;; amdgpu-corpus repo=ROCm/rocSOLVER kind=compiled arch=gfx1100 opt=O3
	.text
	.amdgcn_target "amdgcn-amd-amdhsa--gfx1100"
	.amdhsa_code_object_version 6
	.section	.text._ZN9rocsolver6v33100L18getf2_small_kernelILi1E19rocblas_complex_numIdEiiPKPS3_EEvT1_T3_lS7_lPS7_llPT2_S7_S7_S9_l,"axG",@progbits,_ZN9rocsolver6v33100L18getf2_small_kernelILi1E19rocblas_complex_numIdEiiPKPS3_EEvT1_T3_lS7_lPS7_llPT2_S7_S7_S9_l,comdat
	.globl	_ZN9rocsolver6v33100L18getf2_small_kernelILi1E19rocblas_complex_numIdEiiPKPS3_EEvT1_T3_lS7_lPS7_llPT2_S7_S7_S9_l ; -- Begin function _ZN9rocsolver6v33100L18getf2_small_kernelILi1E19rocblas_complex_numIdEiiPKPS3_EEvT1_T3_lS7_lPS7_llPT2_S7_S7_S9_l
	.p2align	8
	.type	_ZN9rocsolver6v33100L18getf2_small_kernelILi1E19rocblas_complex_numIdEiiPKPS3_EEvT1_T3_lS7_lPS7_llPT2_S7_S7_S9_l,@function
_ZN9rocsolver6v33100L18getf2_small_kernelILi1E19rocblas_complex_numIdEiiPKPS3_EEvT1_T3_lS7_lPS7_llPT2_S7_S7_S9_l: ; @_ZN9rocsolver6v33100L18getf2_small_kernelILi1E19rocblas_complex_numIdEiiPKPS3_EEvT1_T3_lS7_lPS7_llPT2_S7_S7_S9_l
; %bb.0:
	s_clause 0x1
	s_load_b32 s2, s[0:1], 0x6c
	s_load_b64 s[12:13], s[0:1], 0x48
	v_bfe_u32 v4, v0, 10, 10
	s_waitcnt lgkmcnt(0)
	s_lshr_b32 s2, s2, 16
	s_delay_alu instid0(VALU_DEP_1) | instid1(SALU_CYCLE_1)
	v_mad_u64_u32 v[8:9], null, s15, s2, v[4:5]
	s_mov_b32 s2, exec_lo
	s_delay_alu instid0(VALU_DEP_1)
	v_cmpx_gt_i32_e64 s12, v8
	s_cbranch_execz .LBB0_28
; %bb.1:
	s_clause 0x1
	s_load_b128 s[4:7], s[0:1], 0x8
	s_load_b128 s[8:11], s[0:1], 0x50
	v_ashrrev_i32_e32 v9, 31, v8
	v_mov_b32_e32 v10, 0
	v_mov_b32_e32 v11, 0
	s_delay_alu instid0(VALU_DEP_3) | instskip(SKIP_1) | instid1(VALU_DEP_1)
	v_lshlrev_b64 v[1:2], 3, v[8:9]
	s_waitcnt lgkmcnt(0)
	v_add_co_u32 v1, vcc_lo, s4, v1
	s_delay_alu instid0(VALU_DEP_2)
	v_add_co_ci_u32_e32 v2, vcc_lo, s5, v2, vcc_lo
	s_cmp_lg_u64 s[8:9], 0
	s_cselect_b32 s4, -1, 0
	global_load_b64 v[1:2], v[1:2], off
	s_cmp_eq_u64 s[8:9], 0
	s_cbranch_scc1 .LBB0_3
; %bb.2:
	v_mul_lo_u32 v3, v9, s10
	v_mul_lo_u32 v7, v8, s11
	v_mad_u64_u32 v[5:6], null, v8, s10, 0
	s_delay_alu instid0(VALU_DEP_1) | instskip(NEXT) | instid1(VALU_DEP_1)
	v_add3_u32 v6, v6, v7, v3
	v_lshlrev_b64 v[5:6], 2, v[5:6]
	s_delay_alu instid0(VALU_DEP_1) | instskip(NEXT) | instid1(VALU_DEP_2)
	v_add_co_u32 v10, vcc_lo, s8, v5
	v_add_co_ci_u32_e32 v11, vcc_lo, s9, v6, vcc_lo
.LBB0_3:
	v_and_b32_e32 v14, 0x3ff, v0
	s_lshl_b64 s[2:3], s[6:7], 4
	s_load_b32 s5, s[0:1], 0x0
	s_waitcnt vmcnt(0)
	v_add_co_u32 v15, vcc_lo, v1, s2
	v_dual_mov_b32 v12, 0 :: v_dual_lshlrev_b32 v5, 4, v14
	v_add_co_ci_u32_e32 v16, vcc_lo, s3, v2, vcc_lo
	s_mov_b32 s6, 1
	s_delay_alu instid0(VALU_DEP_2) | instskip(NEXT) | instid1(VALU_DEP_2)
	v_add_co_u32 v0, vcc_lo, v15, v5
	v_add_co_ci_u32_e32 v1, vcc_lo, 0, v16, vcc_lo
	global_load_b128 v[0:3], v[0:1], off
	s_waitcnt lgkmcnt(0)
	s_max_i32 s2, s5, 1
	s_cmp_lt_i32 s5, 2
	v_mul_lo_u32 v13, s2, v4
	s_delay_alu instid0(VALU_DEP_1) | instskip(NEXT) | instid1(VALU_DEP_1)
	v_lshl_add_u32 v4, v13, 4, 0
	v_add_nc_u32_e32 v5, v4, v5
	s_waitcnt vmcnt(0)
	ds_store_2addr_b64 v5, v[0:1], v[2:3] offset1:1
	s_waitcnt lgkmcnt(0)
	s_barrier
	buffer_gl0_inv
	ds_load_2addr_b64 v[4:7], v4 offset1:1
	s_cbranch_scc1 .LBB0_6
; %bb.4:
	v_lshlrev_b32_e32 v12, 4, v13
	s_delay_alu instid0(VALU_DEP_1)
	v_add3_u32 v13, v12, 0, 16
	v_mov_b32_e32 v12, 0
	s_set_inst_prefetch_distance 0x1
	.p2align	6
.LBB0_5:                                ; =>This Inner Loop Header: Depth=1
	ds_load_2addr_b64 v[17:20], v13 offset1:1
	s_waitcnt lgkmcnt(1)
	v_cmp_gt_f64_e32 vcc_lo, 0, v[4:5]
	v_xor_b32_e32 v21, 0x80000000, v5
	v_cmp_gt_f64_e64 s2, 0, v[6:7]
	v_xor_b32_e32 v23, 0x80000000, v7
	v_add_nc_u32_e32 v13, 16, v13
	s_waitcnt lgkmcnt(0)
	v_cmp_gt_f64_e64 s3, 0, v[17:18]
	v_mov_b32_e32 v25, v17
	v_dual_mov_b32 v27, v19 :: v_dual_cndmask_b32 v22, v5, v21
	v_xor_b32_e32 v21, 0x80000000, v18
	v_cndmask_b32_e64 v24, v7, v23, s2
	v_xor_b32_e32 v23, 0x80000000, v20
	s_delay_alu instid0(VALU_DEP_3) | instskip(SKIP_2) | instid1(VALU_DEP_2)
	v_cndmask_b32_e64 v26, v18, v21, s3
	v_cmp_gt_f64_e64 s3, 0, v[19:20]
	v_cndmask_b32_e32 v21, v4, v4, vcc_lo
	v_cndmask_b32_e64 v28, v20, v23, s3
	v_cndmask_b32_e64 v23, v6, v6, s2
	s_delay_alu instid0(VALU_DEP_2) | instskip(NEXT) | instid1(VALU_DEP_2)
	v_add_f64 v[25:26], v[25:26], v[27:28]
	v_add_f64 v[21:22], v[21:22], v[23:24]
	s_delay_alu instid0(VALU_DEP_1) | instskip(SKIP_4) | instid1(SALU_CYCLE_1)
	v_cmp_lt_f64_e32 vcc_lo, v[21:22], v[25:26]
	v_dual_cndmask_b32 v6, v6, v19 :: v_dual_cndmask_b32 v5, v5, v18
	v_dual_cndmask_b32 v4, v4, v17 :: v_dual_cndmask_b32 v7, v7, v20
	v_cndmask_b32_e64 v12, v12, s6, vcc_lo
	s_add_i32 s6, s6, 1
	s_cmp_eq_u32 s5, s6
	s_cbranch_scc0 .LBB0_5
.LBB0_6:
	s_set_inst_prefetch_distance 0x2
	s_waitcnt lgkmcnt(0)
	v_cmp_eq_f64_e32 vcc_lo, 0, v[4:5]
	v_cmp_eq_f64_e64 s2, 0, v[6:7]
	s_delay_alu instid0(VALU_DEP_1) | instskip(NEXT) | instid1(SALU_CYCLE_1)
	s_and_b32 s8, vcc_lo, s2
	s_xor_b32 s2, s8, -1
	s_delay_alu instid0(SALU_CYCLE_1)
	s_and_saveexec_b32 s3, s2
	s_cbranch_execz .LBB0_12
; %bb.7:
	v_cmp_gt_f64_e32 vcc_lo, 0, v[4:5]
	v_cmp_gt_f64_e64 s2, 0, v[6:7]
	v_xor_b32_e32 v13, 0x80000000, v5
	v_xor_b32_e32 v17, 0x80000000, v7
	s_delay_alu instid0(VALU_DEP_2) | instskip(NEXT) | instid1(VALU_DEP_2)
	v_cndmask_b32_e32 v18, v5, v13, vcc_lo
	v_cndmask_b32_e64 v20, v7, v17, s2
	v_cndmask_b32_e32 v17, v4, v4, vcc_lo
	v_cndmask_b32_e64 v19, v6, v6, s2
	s_mov_b32 s2, exec_lo
	s_delay_alu instid0(VALU_DEP_1)
	v_cmpx_ngt_f64_e32 v[17:18], v[19:20]
	s_xor_b32 s2, exec_lo, s2
	s_cbranch_execz .LBB0_9
; %bb.8:
	v_div_scale_f64 v[17:18], null, v[6:7], v[6:7], v[4:5]
	v_div_scale_f64 v[23:24], vcc_lo, v[4:5], v[6:7], v[4:5]
	s_delay_alu instid0(VALU_DEP_2) | instskip(SKIP_2) | instid1(VALU_DEP_1)
	v_rcp_f64_e32 v[19:20], v[17:18]
	s_waitcnt_depctr 0xfff
	v_fma_f64 v[21:22], -v[17:18], v[19:20], 1.0
	v_fma_f64 v[19:20], v[19:20], v[21:22], v[19:20]
	s_delay_alu instid0(VALU_DEP_1) | instskip(NEXT) | instid1(VALU_DEP_1)
	v_fma_f64 v[21:22], -v[17:18], v[19:20], 1.0
	v_fma_f64 v[19:20], v[19:20], v[21:22], v[19:20]
	s_delay_alu instid0(VALU_DEP_1) | instskip(NEXT) | instid1(VALU_DEP_1)
	v_mul_f64 v[21:22], v[23:24], v[19:20]
	v_fma_f64 v[17:18], -v[17:18], v[21:22], v[23:24]
	s_delay_alu instid0(VALU_DEP_1) | instskip(NEXT) | instid1(VALU_DEP_1)
	v_div_fmas_f64 v[17:18], v[17:18], v[19:20], v[21:22]
	v_div_fixup_f64 v[17:18], v[17:18], v[6:7], v[4:5]
	s_delay_alu instid0(VALU_DEP_1) | instskip(NEXT) | instid1(VALU_DEP_1)
	v_fma_f64 v[4:5], v[4:5], v[17:18], v[6:7]
	v_div_scale_f64 v[6:7], null, v[4:5], v[4:5], 1.0
	s_delay_alu instid0(VALU_DEP_1) | instskip(SKIP_2) | instid1(VALU_DEP_1)
	v_rcp_f64_e32 v[19:20], v[6:7]
	s_waitcnt_depctr 0xfff
	v_fma_f64 v[21:22], -v[6:7], v[19:20], 1.0
	v_fma_f64 v[19:20], v[19:20], v[21:22], v[19:20]
	s_delay_alu instid0(VALU_DEP_1) | instskip(NEXT) | instid1(VALU_DEP_1)
	v_fma_f64 v[21:22], -v[6:7], v[19:20], 1.0
	v_fma_f64 v[19:20], v[19:20], v[21:22], v[19:20]
	v_div_scale_f64 v[21:22], vcc_lo, 1.0, v[4:5], 1.0
	s_delay_alu instid0(VALU_DEP_1) | instskip(NEXT) | instid1(VALU_DEP_1)
	v_mul_f64 v[23:24], v[21:22], v[19:20]
	v_fma_f64 v[6:7], -v[6:7], v[23:24], v[21:22]
	s_delay_alu instid0(VALU_DEP_1) | instskip(NEXT) | instid1(VALU_DEP_1)
	v_div_fmas_f64 v[6:7], v[6:7], v[19:20], v[23:24]
	v_div_fixup_f64 v[6:7], v[6:7], v[4:5], 1.0
	s_delay_alu instid0(VALU_DEP_1)
	v_mul_f64 v[4:5], v[17:18], v[6:7]
	v_xor_b32_e32 v7, 0x80000000, v7
.LBB0_9:
	s_and_not1_saveexec_b32 s2, s2
	s_cbranch_execz .LBB0_11
; %bb.10:
	s_delay_alu instid0(VALU_DEP_1) | instskip(SKIP_1) | instid1(VALU_DEP_2)
	v_div_scale_f64 v[17:18], null, v[4:5], v[4:5], v[6:7]
	v_div_scale_f64 v[23:24], vcc_lo, v[6:7], v[4:5], v[6:7]
	v_rcp_f64_e32 v[19:20], v[17:18]
	s_waitcnt_depctr 0xfff
	v_fma_f64 v[21:22], -v[17:18], v[19:20], 1.0
	s_delay_alu instid0(VALU_DEP_1) | instskip(NEXT) | instid1(VALU_DEP_1)
	v_fma_f64 v[19:20], v[19:20], v[21:22], v[19:20]
	v_fma_f64 v[21:22], -v[17:18], v[19:20], 1.0
	s_delay_alu instid0(VALU_DEP_1) | instskip(NEXT) | instid1(VALU_DEP_1)
	v_fma_f64 v[19:20], v[19:20], v[21:22], v[19:20]
	v_mul_f64 v[21:22], v[23:24], v[19:20]
	s_delay_alu instid0(VALU_DEP_1) | instskip(NEXT) | instid1(VALU_DEP_1)
	v_fma_f64 v[17:18], -v[17:18], v[21:22], v[23:24]
	v_div_fmas_f64 v[17:18], v[17:18], v[19:20], v[21:22]
	s_delay_alu instid0(VALU_DEP_1) | instskip(NEXT) | instid1(VALU_DEP_1)
	v_div_fixup_f64 v[17:18], v[17:18], v[4:5], v[6:7]
	v_fma_f64 v[4:5], v[6:7], v[17:18], v[4:5]
	s_delay_alu instid0(VALU_DEP_1) | instskip(NEXT) | instid1(VALU_DEP_1)
	v_div_scale_f64 v[6:7], null, v[4:5], v[4:5], 1.0
	v_rcp_f64_e32 v[19:20], v[6:7]
	s_waitcnt_depctr 0xfff
	v_fma_f64 v[21:22], -v[6:7], v[19:20], 1.0
	s_delay_alu instid0(VALU_DEP_1) | instskip(NEXT) | instid1(VALU_DEP_1)
	v_fma_f64 v[19:20], v[19:20], v[21:22], v[19:20]
	v_fma_f64 v[21:22], -v[6:7], v[19:20], 1.0
	s_delay_alu instid0(VALU_DEP_1) | instskip(SKIP_1) | instid1(VALU_DEP_1)
	v_fma_f64 v[19:20], v[19:20], v[21:22], v[19:20]
	v_div_scale_f64 v[21:22], vcc_lo, 1.0, v[4:5], 1.0
	v_mul_f64 v[23:24], v[21:22], v[19:20]
	s_delay_alu instid0(VALU_DEP_1) | instskip(NEXT) | instid1(VALU_DEP_1)
	v_fma_f64 v[6:7], -v[6:7], v[23:24], v[21:22]
	v_div_fmas_f64 v[6:7], v[6:7], v[19:20], v[23:24]
	s_delay_alu instid0(VALU_DEP_1) | instskip(NEXT) | instid1(VALU_DEP_1)
	v_div_fixup_f64 v[4:5], v[6:7], v[4:5], 1.0
	v_mul_f64 v[6:7], v[17:18], -v[4:5]
.LBB0_11:
	s_or_b32 exec_lo, exec_lo, s2
.LBB0_12:
	s_delay_alu instid0(SALU_CYCLE_1)
	s_or_b32 exec_lo, exec_lo, s3
	v_add_nc_u32_e32 v17, 1, v14
	v_mov_b32_e32 v13, 0
	s_mov_b32 s2, exec_lo
	v_cmpx_ne_u32_e64 v14, v12
	s_cbranch_execz .LBB0_20
; %bb.13:
	s_mov_b32 s3, exec_lo
	v_cmpx_eq_u32_e32 0, v14
	s_cbranch_execz .LBB0_19
; %bb.14:
	v_add_nc_u32_e32 v17, 1, v12
	s_and_not1_b32 vcc_lo, exec_lo, s4
	s_cbranch_vccnz .LBB0_18
; %bb.15:
	v_dual_mov_b32 v13, 0 :: v_dual_mov_b32 v14, 1
	s_mov_b32 s4, exec_lo
	v_cmpx_ne_u32_e32 0, v12
	s_cbranch_execz .LBB0_17
; %bb.16:
	v_ashrrev_i32_e32 v13, 31, v12
	s_delay_alu instid0(VALU_DEP_1) | instskip(NEXT) | instid1(VALU_DEP_1)
	v_lshlrev_b64 v[13:14], 2, v[12:13]
	v_add_co_u32 v18, vcc_lo, v10, v13
	s_delay_alu instid0(VALU_DEP_2)
	v_add_co_ci_u32_e32 v19, vcc_lo, v11, v14, vcc_lo
	v_dual_mov_b32 v13, v12 :: v_dual_mov_b32 v14, v17
	s_clause 0x1
	flat_load_b32 v20, v[18:19]
	flat_load_b32 v21, v[10:11]
	s_waitcnt vmcnt(1) lgkmcnt(1)
	flat_store_b32 v[10:11], v20
	s_waitcnt vmcnt(0) lgkmcnt(1)
	flat_store_b32 v[18:19], v21
.LBB0_17:
	s_or_b32 exec_lo, exec_lo, s4
	v_dual_mov_b32 v12, v13 :: v_dual_mov_b32 v17, v14
.LBB0_18:
	s_delay_alu instid0(VALU_DEP_1)
	v_mov_b32_e32 v14, v12
.LBB0_19:
	s_or_b32 exec_lo, exec_lo, s3
	s_delay_alu instid0(VALU_DEP_1)
	v_mov_b32_e32 v13, v14
.LBB0_20:
	s_or_b32 exec_lo, exec_lo, s2
	s_delay_alu instid0(SALU_CYCLE_1)
	s_mov_b32 s2, exec_lo
	s_waitcnt lgkmcnt(0)
	s_waitcnt_vscnt null, 0x0
	s_barrier
	buffer_gl0_inv
	v_cmpx_lt_i32_e32 0, v13
; %bb.21:
	v_mul_f64 v[10:11], v[2:3], v[6:7]
	v_mul_f64 v[6:7], v[0:1], v[6:7]
	s_delay_alu instid0(VALU_DEP_2) | instskip(NEXT) | instid1(VALU_DEP_2)
	v_fma_f64 v[0:1], v[0:1], v[4:5], -v[10:11]
	v_fma_f64 v[2:3], v[2:3], v[4:5], v[6:7]
; %bb.22:
	s_or_b32 exec_lo, exec_lo, s2
	s_load_b256 s[0:7], s[0:1], 0x28
	v_ashrrev_i32_e32 v14, 31, v13
	s_mov_b32 s9, exec_lo
	s_waitcnt lgkmcnt(0)
	s_barrier
	buffer_gl0_inv
	v_cmpx_gt_i32_e32 1, v13
	s_cbranch_execz .LBB0_24
; %bb.23:
	v_mul_lo_u32 v6, v9, s4
	v_mul_lo_u32 v7, v8, s5
	v_mad_u64_u32 v[4:5], null, v8, s4, 0
	s_lshl_b64 s[2:3], s[2:3], 2
	s_delay_alu instid0(SALU_CYCLE_1) | instskip(SKIP_1) | instid1(VALU_DEP_1)
	s_add_u32 s0, s2, s0
	s_addc_u32 s1, s3, s1
	v_add3_u32 v5, v5, v7, v6
	v_lshlrev_b64 v[6:7], 2, v[13:14]
	s_delay_alu instid0(VALU_DEP_2) | instskip(NEXT) | instid1(VALU_DEP_1)
	v_lshlrev_b64 v[4:5], 2, v[4:5]
	v_add_co_u32 v4, vcc_lo, s0, v4
	s_delay_alu instid0(VALU_DEP_2) | instskip(NEXT) | instid1(VALU_DEP_2)
	v_add_co_ci_u32_e32 v5, vcc_lo, s1, v5, vcc_lo
	v_add_co_u32 v4, vcc_lo, v4, v6
	s_delay_alu instid0(VALU_DEP_2)
	v_add_co_ci_u32_e32 v5, vcc_lo, v5, v7, vcc_lo
	v_add_nc_u32_e32 v6, s13, v17
	global_store_b32 v[4:5], v6, off
.LBB0_24:
	s_or_b32 exec_lo, exec_lo, s9
	s_delay_alu instid0(SALU_CYCLE_1)
	s_mov_b32 s0, exec_lo
	v_cmpx_eq_u32_e32 0, v13
	s_cbranch_execz .LBB0_27
; %bb.25:
	v_lshlrev_b64 v[4:5], 2, v[8:9]
	s_delay_alu instid0(VALU_DEP_1) | instskip(NEXT) | instid1(VALU_DEP_2)
	v_add_co_u32 v4, vcc_lo, s6, v4
	v_add_co_ci_u32_e32 v5, vcc_lo, s7, v5, vcc_lo
	global_load_b32 v6, v[4:5], off
	s_waitcnt vmcnt(0)
	v_cmp_eq_u32_e32 vcc_lo, 0, v6
	s_and_b32 s1, vcc_lo, s8
	s_delay_alu instid0(SALU_CYCLE_1)
	s_and_b32 exec_lo, exec_lo, s1
	s_cbranch_execz .LBB0_27
; %bb.26:
	s_add_i32 s1, s13, 1
	s_delay_alu instid0(SALU_CYCLE_1)
	v_mov_b32_e32 v6, s1
	global_store_b32 v[4:5], v6, off
.LBB0_27:
	s_or_b32 exec_lo, exec_lo, s0
	v_lshlrev_b64 v[4:5], 4, v[13:14]
	s_delay_alu instid0(VALU_DEP_1) | instskip(NEXT) | instid1(VALU_DEP_2)
	v_add_co_u32 v4, vcc_lo, v15, v4
	v_add_co_ci_u32_e32 v5, vcc_lo, v16, v5, vcc_lo
	global_store_b128 v[4:5], v[0:3], off
.LBB0_28:
	s_nop 0
	s_sendmsg sendmsg(MSG_DEALLOC_VGPRS)
	s_endpgm
	.section	.rodata,"a",@progbits
	.p2align	6, 0x0
	.amdhsa_kernel _ZN9rocsolver6v33100L18getf2_small_kernelILi1E19rocblas_complex_numIdEiiPKPS3_EEvT1_T3_lS7_lPS7_llPT2_S7_S7_S9_l
		.amdhsa_group_segment_fixed_size 0
		.amdhsa_private_segment_fixed_size 0
		.amdhsa_kernarg_size 352
		.amdhsa_user_sgpr_count 14
		.amdhsa_user_sgpr_dispatch_ptr 0
		.amdhsa_user_sgpr_queue_ptr 0
		.amdhsa_user_sgpr_kernarg_segment_ptr 1
		.amdhsa_user_sgpr_dispatch_id 0
		.amdhsa_user_sgpr_private_segment_size 0
		.amdhsa_wavefront_size32 1
		.amdhsa_uses_dynamic_stack 0
		.amdhsa_enable_private_segment 0
		.amdhsa_system_sgpr_workgroup_id_x 1
		.amdhsa_system_sgpr_workgroup_id_y 1
		.amdhsa_system_sgpr_workgroup_id_z 0
		.amdhsa_system_sgpr_workgroup_info 0
		.amdhsa_system_vgpr_workitem_id 1
		.amdhsa_next_free_vgpr 29
		.amdhsa_next_free_sgpr 16
		.amdhsa_reserve_vcc 1
		.amdhsa_float_round_mode_32 0
		.amdhsa_float_round_mode_16_64 0
		.amdhsa_float_denorm_mode_32 3
		.amdhsa_float_denorm_mode_16_64 3
		.amdhsa_dx10_clamp 1
		.amdhsa_ieee_mode 1
		.amdhsa_fp16_overflow 0
		.amdhsa_workgroup_processor_mode 1
		.amdhsa_memory_ordered 1
		.amdhsa_forward_progress 0
		.amdhsa_shared_vgpr_count 0
		.amdhsa_exception_fp_ieee_invalid_op 0
		.amdhsa_exception_fp_denorm_src 0
		.amdhsa_exception_fp_ieee_div_zero 0
		.amdhsa_exception_fp_ieee_overflow 0
		.amdhsa_exception_fp_ieee_underflow 0
		.amdhsa_exception_fp_ieee_inexact 0
		.amdhsa_exception_int_div_zero 0
	.end_amdhsa_kernel
	.section	.text._ZN9rocsolver6v33100L18getf2_small_kernelILi1E19rocblas_complex_numIdEiiPKPS3_EEvT1_T3_lS7_lPS7_llPT2_S7_S7_S9_l,"axG",@progbits,_ZN9rocsolver6v33100L18getf2_small_kernelILi1E19rocblas_complex_numIdEiiPKPS3_EEvT1_T3_lS7_lPS7_llPT2_S7_S7_S9_l,comdat
.Lfunc_end0:
	.size	_ZN9rocsolver6v33100L18getf2_small_kernelILi1E19rocblas_complex_numIdEiiPKPS3_EEvT1_T3_lS7_lPS7_llPT2_S7_S7_S9_l, .Lfunc_end0-_ZN9rocsolver6v33100L18getf2_small_kernelILi1E19rocblas_complex_numIdEiiPKPS3_EEvT1_T3_lS7_lPS7_llPT2_S7_S7_S9_l
                                        ; -- End function
	.section	.AMDGPU.csdata,"",@progbits
; Kernel info:
; codeLenInByte = 1752
; NumSgprs: 18
; NumVgprs: 29
; ScratchSize: 0
; MemoryBound: 0
; FloatMode: 240
; IeeeMode: 1
; LDSByteSize: 0 bytes/workgroup (compile time only)
; SGPRBlocks: 2
; VGPRBlocks: 3
; NumSGPRsForWavesPerEU: 18
; NumVGPRsForWavesPerEU: 29
; Occupancy: 16
; WaveLimiterHint : 1
; COMPUTE_PGM_RSRC2:SCRATCH_EN: 0
; COMPUTE_PGM_RSRC2:USER_SGPR: 14
; COMPUTE_PGM_RSRC2:TRAP_HANDLER: 0
; COMPUTE_PGM_RSRC2:TGID_X_EN: 1
; COMPUTE_PGM_RSRC2:TGID_Y_EN: 1
; COMPUTE_PGM_RSRC2:TGID_Z_EN: 0
; COMPUTE_PGM_RSRC2:TIDIG_COMP_CNT: 1
	.section	.text._ZN9rocsolver6v33100L23getf2_npvt_small_kernelILi1E19rocblas_complex_numIdEiiPKPS3_EEvT1_T3_lS7_lPT2_S7_S7_,"axG",@progbits,_ZN9rocsolver6v33100L23getf2_npvt_small_kernelILi1E19rocblas_complex_numIdEiiPKPS3_EEvT1_T3_lS7_lPT2_S7_S7_,comdat
	.globl	_ZN9rocsolver6v33100L23getf2_npvt_small_kernelILi1E19rocblas_complex_numIdEiiPKPS3_EEvT1_T3_lS7_lPT2_S7_S7_ ; -- Begin function _ZN9rocsolver6v33100L23getf2_npvt_small_kernelILi1E19rocblas_complex_numIdEiiPKPS3_EEvT1_T3_lS7_lPT2_S7_S7_
	.p2align	8
	.type	_ZN9rocsolver6v33100L23getf2_npvt_small_kernelILi1E19rocblas_complex_numIdEiiPKPS3_EEvT1_T3_lS7_lPT2_S7_S7_,@function
_ZN9rocsolver6v33100L23getf2_npvt_small_kernelILi1E19rocblas_complex_numIdEiiPKPS3_EEvT1_T3_lS7_lPT2_S7_S7_: ; @_ZN9rocsolver6v33100L23getf2_npvt_small_kernelILi1E19rocblas_complex_numIdEiiPKPS3_EEvT1_T3_lS7_lPT2_S7_S7_
; %bb.0:
	s_clause 0x1
	s_load_b32 s2, s[0:1], 0x44
	s_load_b64 s[4:5], s[0:1], 0x30
	v_bfe_u32 v4, v0, 10, 10
	s_mov_b32 s3, exec_lo
	s_waitcnt lgkmcnt(0)
	s_lshr_b32 s2, s2, 16
	s_delay_alu instid0(VALU_DEP_1) | instid1(SALU_CYCLE_1)
	v_mad_u64_u32 v[8:9], null, s15, s2, v[4:5]
	s_delay_alu instid0(VALU_DEP_1)
	v_cmpx_gt_i32_e64 s4, v8
	s_cbranch_execz .LBB1_14
; %bb.1:
	s_load_b128 s[8:11], s[0:1], 0x8
	v_ashrrev_i32_e32 v9, 31, v8
	v_and_b32_e32 v5, 0x3ff, v0
	v_lshlrev_b32_e32 v4, 4, v4
	s_lshl_b32 s4, s2, 4
	s_delay_alu instid0(VALU_DEP_3) | instskip(NEXT) | instid1(VALU_DEP_3)
	v_lshlrev_b64 v[1:2], 3, v[8:9]
	v_lshlrev_b32_e32 v0, 4, v5
	v_cmp_ne_u32_e64 s3, 0, v5
	v_cmp_eq_u32_e64 s2, 0, v5
	v_add3_u32 v14, 0, s4, v4
	s_waitcnt lgkmcnt(0)
	v_add_co_u32 v1, vcc_lo, s8, v1
	v_add_co_ci_u32_e32 v2, vcc_lo, s9, v2, vcc_lo
	s_lshl_b64 s[6:7], s[10:11], 4
	global_load_b64 v[1:2], v[1:2], off
	s_waitcnt vmcnt(0)
	v_add_co_u32 v1, vcc_lo, v1, s6
	v_add_co_ci_u32_e32 v2, vcc_lo, s7, v2, vcc_lo
	s_delay_alu instid0(VALU_DEP_2) | instskip(NEXT) | instid1(VALU_DEP_2)
	v_add_co_u32 v10, vcc_lo, v1, v0
	v_add_co_ci_u32_e32 v11, vcc_lo, 0, v2, vcc_lo
	global_load_b128 v[0:3], v[10:11], off
	s_and_saveexec_b32 s6, s2
	s_cbranch_execz .LBB1_8
; %bb.2:
	s_waitcnt vmcnt(0)
	v_cmp_neq_f64_e32 vcc_lo, 0, v[0:1]
	v_cmp_neq_f64_e64 s4, 0, v[2:3]
	ds_store_2addr_b64 v14, v[0:1], v[2:3] offset1:1
	s_or_b32 s4, vcc_lo, s4
	s_delay_alu instid0(SALU_CYCLE_1)
	s_and_b32 exec_lo, exec_lo, s4
	s_cbranch_execz .LBB1_8
; %bb.3:
	v_cmp_gt_f64_e32 vcc_lo, 0, v[0:1]
	v_cmp_gt_f64_e64 s4, 0, v[2:3]
	v_xor_b32_e32 v4, 0x80000000, v1
	v_xor_b32_e32 v6, 0x80000000, v3
                                        ; implicit-def: $vgpr12_vgpr13
	s_delay_alu instid0(VALU_DEP_2) | instskip(NEXT) | instid1(VALU_DEP_2)
	v_cndmask_b32_e32 v5, v1, v4, vcc_lo
	v_cndmask_b32_e64 v7, v3, v6, s4
	v_cndmask_b32_e32 v4, v0, v0, vcc_lo
	v_cndmask_b32_e64 v6, v2, v2, s4
	s_mov_b32 s4, exec_lo
	s_delay_alu instid0(VALU_DEP_1)
	v_cmpx_ngt_f64_e32 v[4:5], v[6:7]
	s_xor_b32 s4, exec_lo, s4
                                        ; implicit-def: $vgpr4_vgpr5_vgpr6_vgpr7
	s_cbranch_execz .LBB1_5
; %bb.4:
	v_div_scale_f64 v[4:5], null, v[2:3], v[2:3], v[0:1]
	v_div_scale_f64 v[15:16], vcc_lo, v[0:1], v[2:3], v[0:1]
	s_delay_alu instid0(VALU_DEP_2) | instskip(SKIP_2) | instid1(VALU_DEP_1)
	v_rcp_f64_e32 v[6:7], v[4:5]
	s_waitcnt_depctr 0xfff
	v_fma_f64 v[12:13], -v[4:5], v[6:7], 1.0
	v_fma_f64 v[6:7], v[6:7], v[12:13], v[6:7]
	s_delay_alu instid0(VALU_DEP_1) | instskip(NEXT) | instid1(VALU_DEP_1)
	v_fma_f64 v[12:13], -v[4:5], v[6:7], 1.0
	v_fma_f64 v[6:7], v[6:7], v[12:13], v[6:7]
	s_delay_alu instid0(VALU_DEP_1) | instskip(NEXT) | instid1(VALU_DEP_1)
	v_mul_f64 v[12:13], v[15:16], v[6:7]
	v_fma_f64 v[4:5], -v[4:5], v[12:13], v[15:16]
	s_delay_alu instid0(VALU_DEP_1) | instskip(NEXT) | instid1(VALU_DEP_1)
	v_div_fmas_f64 v[4:5], v[4:5], v[6:7], v[12:13]
	v_div_fixup_f64 v[4:5], v[4:5], v[2:3], v[0:1]
	s_delay_alu instid0(VALU_DEP_1) | instskip(NEXT) | instid1(VALU_DEP_1)
	v_fma_f64 v[6:7], v[0:1], v[4:5], v[2:3]
	v_div_scale_f64 v[12:13], null, v[6:7], v[6:7], 1.0
	s_delay_alu instid0(VALU_DEP_1) | instskip(SKIP_2) | instid1(VALU_DEP_1)
	v_rcp_f64_e32 v[15:16], v[12:13]
	s_waitcnt_depctr 0xfff
	v_fma_f64 v[17:18], -v[12:13], v[15:16], 1.0
	v_fma_f64 v[15:16], v[15:16], v[17:18], v[15:16]
	s_delay_alu instid0(VALU_DEP_1) | instskip(NEXT) | instid1(VALU_DEP_1)
	v_fma_f64 v[17:18], -v[12:13], v[15:16], 1.0
	v_fma_f64 v[15:16], v[15:16], v[17:18], v[15:16]
	v_div_scale_f64 v[17:18], vcc_lo, 1.0, v[6:7], 1.0
	s_delay_alu instid0(VALU_DEP_1) | instskip(NEXT) | instid1(VALU_DEP_1)
	v_mul_f64 v[19:20], v[17:18], v[15:16]
	v_fma_f64 v[12:13], -v[12:13], v[19:20], v[17:18]
	s_delay_alu instid0(VALU_DEP_1) | instskip(NEXT) | instid1(VALU_DEP_1)
	v_div_fmas_f64 v[12:13], v[12:13], v[15:16], v[19:20]
	v_div_fixup_f64 v[6:7], v[12:13], v[6:7], 1.0
	s_delay_alu instid0(VALU_DEP_1)
	v_mul_f64 v[12:13], v[4:5], v[6:7]
	v_xor_b32_e32 v7, 0x80000000, v7
.LBB1_5:
	s_and_not1_saveexec_b32 s4, s4
	s_cbranch_execz .LBB1_7
; %bb.6:
	v_div_scale_f64 v[4:5], null, v[0:1], v[0:1], v[2:3]
	v_div_scale_f64 v[15:16], vcc_lo, v[2:3], v[0:1], v[2:3]
	s_delay_alu instid0(VALU_DEP_2) | instskip(SKIP_2) | instid1(VALU_DEP_1)
	v_rcp_f64_e32 v[6:7], v[4:5]
	s_waitcnt_depctr 0xfff
	v_fma_f64 v[12:13], -v[4:5], v[6:7], 1.0
	v_fma_f64 v[6:7], v[6:7], v[12:13], v[6:7]
	s_delay_alu instid0(VALU_DEP_1) | instskip(NEXT) | instid1(VALU_DEP_1)
	v_fma_f64 v[12:13], -v[4:5], v[6:7], 1.0
	v_fma_f64 v[6:7], v[6:7], v[12:13], v[6:7]
	s_delay_alu instid0(VALU_DEP_1) | instskip(NEXT) | instid1(VALU_DEP_1)
	v_mul_f64 v[12:13], v[15:16], v[6:7]
	v_fma_f64 v[4:5], -v[4:5], v[12:13], v[15:16]
	s_delay_alu instid0(VALU_DEP_1) | instskip(NEXT) | instid1(VALU_DEP_1)
	v_div_fmas_f64 v[4:5], v[4:5], v[6:7], v[12:13]
	v_div_fixup_f64 v[4:5], v[4:5], v[0:1], v[2:3]
	s_delay_alu instid0(VALU_DEP_1) | instskip(NEXT) | instid1(VALU_DEP_1)
	v_fma_f64 v[6:7], v[2:3], v[4:5], v[0:1]
	v_div_scale_f64 v[12:13], null, v[6:7], v[6:7], 1.0
	s_delay_alu instid0(VALU_DEP_1) | instskip(SKIP_2) | instid1(VALU_DEP_1)
	v_rcp_f64_e32 v[15:16], v[12:13]
	s_waitcnt_depctr 0xfff
	v_fma_f64 v[17:18], -v[12:13], v[15:16], 1.0
	v_fma_f64 v[15:16], v[15:16], v[17:18], v[15:16]
	s_delay_alu instid0(VALU_DEP_1) | instskip(NEXT) | instid1(VALU_DEP_1)
	v_fma_f64 v[17:18], -v[12:13], v[15:16], 1.0
	v_fma_f64 v[15:16], v[15:16], v[17:18], v[15:16]
	v_div_scale_f64 v[17:18], vcc_lo, 1.0, v[6:7], 1.0
	s_delay_alu instid0(VALU_DEP_1) | instskip(NEXT) | instid1(VALU_DEP_1)
	v_mul_f64 v[19:20], v[17:18], v[15:16]
	v_fma_f64 v[12:13], -v[12:13], v[19:20], v[17:18]
	s_delay_alu instid0(VALU_DEP_1) | instskip(NEXT) | instid1(VALU_DEP_1)
	v_div_fmas_f64 v[12:13], v[12:13], v[15:16], v[19:20]
	v_div_fixup_f64 v[12:13], v[12:13], v[6:7], 1.0
	s_delay_alu instid0(VALU_DEP_1)
	v_mul_f64 v[6:7], v[4:5], -v[12:13]
.LBB1_7:
	s_or_b32 exec_lo, exec_lo, s4
	ds_store_2addr_b64 v14, v[12:13], v[6:7] offset1:1
.LBB1_8:
	s_or_b32 exec_lo, exec_lo, s6
	s_waitcnt vmcnt(0) lgkmcnt(0)
	s_barrier
	buffer_gl0_inv
	ds_load_2addr_b64 v[4:7], v14 offset1:1
	s_and_saveexec_b32 s4, s3
	s_cbranch_execz .LBB1_10
; %bb.9:
	s_waitcnt lgkmcnt(0)
	v_mul_f64 v[12:13], v[2:3], v[6:7]
	v_mul_f64 v[14:15], v[0:1], v[6:7]
	s_delay_alu instid0(VALU_DEP_2) | instskip(NEXT) | instid1(VALU_DEP_2)
	v_fma_f64 v[0:1], v[0:1], v[4:5], -v[12:13]
	v_fma_f64 v[2:3], v[2:3], v[4:5], v[14:15]
.LBB1_10:
	s_or_b32 exec_lo, exec_lo, s4
	s_waitcnt lgkmcnt(0)
	s_barrier
	buffer_gl0_inv
	s_and_saveexec_b32 s3, s2
	s_cbranch_execz .LBB1_13
; %bb.11:
	s_load_b64 s[0:1], s[0:1], 0x28
	v_lshlrev_b64 v[8:9], 2, v[8:9]
	s_waitcnt lgkmcnt(0)
	s_delay_alu instid0(VALU_DEP_1) | instskip(NEXT) | instid1(VALU_DEP_2)
	v_add_co_u32 v8, vcc_lo, s0, v8
	v_add_co_ci_u32_e32 v9, vcc_lo, s1, v9, vcc_lo
	v_cmp_eq_f64_e32 vcc_lo, 0, v[4:5]
	v_cmp_eq_f64_e64 s0, 0, v[6:7]
	global_load_b32 v12, v[8:9], off
	s_and_b32 s0, vcc_lo, s0
	s_waitcnt vmcnt(0)
	v_cmp_eq_u32_e64 s1, 0, v12
	s_delay_alu instid0(VALU_DEP_1) | instskip(NEXT) | instid1(SALU_CYCLE_1)
	s_and_b32 s0, s0, s1
	s_and_b32 exec_lo, exec_lo, s0
	s_cbranch_execz .LBB1_13
; %bb.12:
	s_add_i32 s0, s5, 1
	s_delay_alu instid0(SALU_CYCLE_1)
	v_mov_b32_e32 v4, s0
	global_store_b32 v[8:9], v4, off
.LBB1_13:
	s_or_b32 exec_lo, exec_lo, s3
	global_store_b128 v[10:11], v[0:3], off
.LBB1_14:
	s_nop 0
	s_sendmsg sendmsg(MSG_DEALLOC_VGPRS)
	s_endpgm
	.section	.rodata,"a",@progbits
	.p2align	6, 0x0
	.amdhsa_kernel _ZN9rocsolver6v33100L23getf2_npvt_small_kernelILi1E19rocblas_complex_numIdEiiPKPS3_EEvT1_T3_lS7_lPT2_S7_S7_
		.amdhsa_group_segment_fixed_size 0
		.amdhsa_private_segment_fixed_size 0
		.amdhsa_kernarg_size 312
		.amdhsa_user_sgpr_count 14
		.amdhsa_user_sgpr_dispatch_ptr 0
		.amdhsa_user_sgpr_queue_ptr 0
		.amdhsa_user_sgpr_kernarg_segment_ptr 1
		.amdhsa_user_sgpr_dispatch_id 0
		.amdhsa_user_sgpr_private_segment_size 0
		.amdhsa_wavefront_size32 1
		.amdhsa_uses_dynamic_stack 0
		.amdhsa_enable_private_segment 0
		.amdhsa_system_sgpr_workgroup_id_x 1
		.amdhsa_system_sgpr_workgroup_id_y 1
		.amdhsa_system_sgpr_workgroup_id_z 0
		.amdhsa_system_sgpr_workgroup_info 0
		.amdhsa_system_vgpr_workitem_id 1
		.amdhsa_next_free_vgpr 21
		.amdhsa_next_free_sgpr 16
		.amdhsa_reserve_vcc 1
		.amdhsa_float_round_mode_32 0
		.amdhsa_float_round_mode_16_64 0
		.amdhsa_float_denorm_mode_32 3
		.amdhsa_float_denorm_mode_16_64 3
		.amdhsa_dx10_clamp 1
		.amdhsa_ieee_mode 1
		.amdhsa_fp16_overflow 0
		.amdhsa_workgroup_processor_mode 1
		.amdhsa_memory_ordered 1
		.amdhsa_forward_progress 0
		.amdhsa_shared_vgpr_count 0
		.amdhsa_exception_fp_ieee_invalid_op 0
		.amdhsa_exception_fp_denorm_src 0
		.amdhsa_exception_fp_ieee_div_zero 0
		.amdhsa_exception_fp_ieee_overflow 0
		.amdhsa_exception_fp_ieee_underflow 0
		.amdhsa_exception_fp_ieee_inexact 0
		.amdhsa_exception_int_div_zero 0
	.end_amdhsa_kernel
	.section	.text._ZN9rocsolver6v33100L23getf2_npvt_small_kernelILi1E19rocblas_complex_numIdEiiPKPS3_EEvT1_T3_lS7_lPT2_S7_S7_,"axG",@progbits,_ZN9rocsolver6v33100L23getf2_npvt_small_kernelILi1E19rocblas_complex_numIdEiiPKPS3_EEvT1_T3_lS7_lPT2_S7_S7_,comdat
.Lfunc_end1:
	.size	_ZN9rocsolver6v33100L23getf2_npvt_small_kernelILi1E19rocblas_complex_numIdEiiPKPS3_EEvT1_T3_lS7_lPT2_S7_S7_, .Lfunc_end1-_ZN9rocsolver6v33100L23getf2_npvt_small_kernelILi1E19rocblas_complex_numIdEiiPKPS3_EEvT1_T3_lS7_lPT2_S7_S7_
                                        ; -- End function
	.section	.AMDGPU.csdata,"",@progbits
; Kernel info:
; codeLenInByte = 1056
; NumSgprs: 18
; NumVgprs: 21
; ScratchSize: 0
; MemoryBound: 0
; FloatMode: 240
; IeeeMode: 1
; LDSByteSize: 0 bytes/workgroup (compile time only)
; SGPRBlocks: 2
; VGPRBlocks: 2
; NumSGPRsForWavesPerEU: 18
; NumVGPRsForWavesPerEU: 21
; Occupancy: 16
; WaveLimiterHint : 1
; COMPUTE_PGM_RSRC2:SCRATCH_EN: 0
; COMPUTE_PGM_RSRC2:USER_SGPR: 14
; COMPUTE_PGM_RSRC2:TRAP_HANDLER: 0
; COMPUTE_PGM_RSRC2:TGID_X_EN: 1
; COMPUTE_PGM_RSRC2:TGID_Y_EN: 1
; COMPUTE_PGM_RSRC2:TGID_Z_EN: 0
; COMPUTE_PGM_RSRC2:TIDIG_COMP_CNT: 1
	.section	.text._ZN9rocsolver6v33100L18getf2_small_kernelILi2E19rocblas_complex_numIdEiiPKPS3_EEvT1_T3_lS7_lPS7_llPT2_S7_S7_S9_l,"axG",@progbits,_ZN9rocsolver6v33100L18getf2_small_kernelILi2E19rocblas_complex_numIdEiiPKPS3_EEvT1_T3_lS7_lPS7_llPT2_S7_S7_S9_l,comdat
	.globl	_ZN9rocsolver6v33100L18getf2_small_kernelILi2E19rocblas_complex_numIdEiiPKPS3_EEvT1_T3_lS7_lPS7_llPT2_S7_S7_S9_l ; -- Begin function _ZN9rocsolver6v33100L18getf2_small_kernelILi2E19rocblas_complex_numIdEiiPKPS3_EEvT1_T3_lS7_lPS7_llPT2_S7_S7_S9_l
	.p2align	8
	.type	_ZN9rocsolver6v33100L18getf2_small_kernelILi2E19rocblas_complex_numIdEiiPKPS3_EEvT1_T3_lS7_lPS7_llPT2_S7_S7_S9_l,@function
_ZN9rocsolver6v33100L18getf2_small_kernelILi2E19rocblas_complex_numIdEiiPKPS3_EEvT1_T3_lS7_lPS7_llPT2_S7_S7_S9_l: ; @_ZN9rocsolver6v33100L18getf2_small_kernelILi2E19rocblas_complex_numIdEiiPKPS3_EEvT1_T3_lS7_lPS7_llPT2_S7_S7_S9_l
; %bb.0:
	s_clause 0x1
	s_load_b32 s2, s[0:1], 0x6c
	s_load_b64 s[12:13], s[0:1], 0x48
	v_bfe_u32 v8, v0, 10, 10
	s_waitcnt lgkmcnt(0)
	s_lshr_b32 s2, s2, 16
	s_delay_alu instid0(VALU_DEP_1) | instid1(SALU_CYCLE_1)
	v_mad_u64_u32 v[12:13], null, s15, s2, v[8:9]
	s_mov_b32 s2, exec_lo
	s_delay_alu instid0(VALU_DEP_1)
	v_cmpx_gt_i32_e64 s12, v12
	s_cbranch_execz .LBB2_45
; %bb.1:
	s_clause 0x1
	s_load_b128 s[4:7], s[0:1], 0x8
	s_load_b128 s[8:11], s[0:1], 0x50
	v_ashrrev_i32_e32 v13, 31, v12
	v_mov_b32_e32 v14, 0
	v_mov_b32_e32 v15, 0
	s_delay_alu instid0(VALU_DEP_3) | instskip(SKIP_1) | instid1(VALU_DEP_1)
	v_lshlrev_b64 v[1:2], 3, v[12:13]
	s_waitcnt lgkmcnt(0)
	v_add_co_u32 v1, vcc_lo, s4, v1
	s_delay_alu instid0(VALU_DEP_2)
	v_add_co_ci_u32_e32 v2, vcc_lo, s5, v2, vcc_lo
	s_cmp_eq_u64 s[8:9], 0
	s_cselect_b32 s4, -1, 0
	global_load_b64 v[1:2], v[1:2], off
	s_and_b32 vcc_lo, exec_lo, s4
	s_cbranch_vccnz .LBB2_3
; %bb.2:
	v_mul_lo_u32 v5, v13, s10
	v_mul_lo_u32 v6, v12, s11
	v_mad_u64_u32 v[3:4], null, v12, s10, 0
	s_delay_alu instid0(VALU_DEP_1) | instskip(NEXT) | instid1(VALU_DEP_1)
	v_add3_u32 v4, v4, v6, v5
	v_lshlrev_b64 v[3:4], 2, v[3:4]
	s_delay_alu instid0(VALU_DEP_1) | instskip(NEXT) | instid1(VALU_DEP_2)
	v_add_co_u32 v14, vcc_lo, s8, v3
	v_add_co_ci_u32_e32 v15, vcc_lo, s9, v4, vcc_lo
.LBB2_3:
	v_dual_mov_b32 v16, 0 :: v_dual_and_b32 v21, 0x3ff, v0
	s_lshl_b64 s[2:3], s[6:7], 4
	s_load_b32 s5, s[0:1], 0x0
	s_waitcnt vmcnt(0)
	v_add_co_u32 v19, vcc_lo, v1, s2
	v_lshlrev_b32_e32 v9, 4, v21
	s_load_b32 s2, s[0:1], 0x18
	v_add_co_ci_u32_e32 v20, vcc_lo, s3, v2, vcc_lo
	s_delay_alu instid0(VALU_DEP_2) | instskip(NEXT) | instid1(VALU_DEP_2)
	v_add_co_u32 v4, vcc_lo, v19, v9
	v_add_co_ci_u32_e32 v5, vcc_lo, 0, v20, vcc_lo
	global_load_b128 v[0:3], v[4:5], off
	s_waitcnt lgkmcnt(0)
	s_ashr_i32 s3, s2, 31
	s_delay_alu instid0(SALU_CYCLE_1)
	s_lshl_b64 s[8:9], s[2:3], 4
	s_max_i32 s2, s5, 2
	v_add_co_u32 v4, vcc_lo, v4, s8
	v_add_co_ci_u32_e32 v5, vcc_lo, s9, v5, vcc_lo
	v_mul_lo_u32 v17, s2, v8
	s_cmp_lt_i32 s5, 2
	global_load_b128 v[4:7], v[4:5], off
	v_lshl_add_u32 v23, v17, 4, 0
	v_lshlrev_b32_e32 v24, 4, v17
	s_delay_alu instid0(VALU_DEP_2)
	v_add_nc_u32_e32 v8, v23, v9
	s_waitcnt vmcnt(1)
	ds_store_2addr_b64 v8, v[0:1], v[2:3] offset1:1
	s_waitcnt vmcnt(0) lgkmcnt(0)
	s_barrier
	buffer_gl0_inv
	ds_load_2addr_b64 v[8:11], v23 offset1:1
	s_cbranch_scc1 .LBB2_6
; %bb.4:
	v_add3_u32 v17, v24, 0, 16
	v_mov_b32_e32 v16, 0
	s_mov_b32 s6, 1
	s_set_inst_prefetch_distance 0x1
	.p2align	6
.LBB2_5:                                ; =>This Inner Loop Header: Depth=1
	ds_load_2addr_b64 v[25:28], v17 offset1:1
	s_waitcnt lgkmcnt(1)
	v_cmp_gt_f64_e32 vcc_lo, 0, v[8:9]
	v_xor_b32_e32 v18, 0x80000000, v9
	v_cmp_gt_f64_e64 s2, 0, v[10:11]
	v_xor_b32_e32 v22, 0x80000000, v11
	v_add_nc_u32_e32 v17, 16, v17
	s_waitcnt lgkmcnt(0)
	v_cmp_gt_f64_e64 s3, 0, v[25:26]
	v_mov_b32_e32 v33, v25
	v_dual_mov_b32 v35, v27 :: v_dual_cndmask_b32 v30, v9, v18
	v_xor_b32_e32 v18, 0x80000000, v26
	v_cndmask_b32_e64 v32, v11, v22, s2
	v_xor_b32_e32 v22, 0x80000000, v28
	v_cndmask_b32_e32 v29, v8, v8, vcc_lo
	v_cndmask_b32_e64 v31, v10, v10, s2
	s_delay_alu instid0(VALU_DEP_1) | instskip(SKIP_2) | instid1(VALU_DEP_1)
	v_add_f64 v[29:30], v[29:30], v[31:32]
	v_cndmask_b32_e64 v34, v26, v18, s3
	v_cmp_gt_f64_e64 s3, 0, v[27:28]
	v_cndmask_b32_e64 v36, v28, v22, s3
	s_delay_alu instid0(VALU_DEP_1) | instskip(NEXT) | instid1(VALU_DEP_1)
	v_add_f64 v[33:34], v[33:34], v[35:36]
	v_cmp_lt_f64_e32 vcc_lo, v[29:30], v[33:34]
	v_dual_cndmask_b32 v10, v10, v27 :: v_dual_cndmask_b32 v9, v9, v26
	v_dual_cndmask_b32 v8, v8, v25 :: v_dual_cndmask_b32 v11, v11, v28
	v_cndmask_b32_e64 v16, v16, s6, vcc_lo
	s_add_i32 s6, s6, 1
	s_delay_alu instid0(SALU_CYCLE_1)
	s_cmp_eq_u32 s5, s6
	s_cbranch_scc0 .LBB2_5
.LBB2_6:
	s_set_inst_prefetch_distance 0x2
	s_waitcnt lgkmcnt(0)
	v_cmp_neq_f64_e32 vcc_lo, 0, v[8:9]
	v_cmp_neq_f64_e64 s2, 0, v[10:11]
	v_mov_b32_e32 v22, 1
	v_mov_b32_e32 v18, 1
	s_delay_alu instid0(VALU_DEP_3) | instskip(NEXT) | instid1(SALU_CYCLE_1)
	s_or_b32 s2, vcc_lo, s2
	s_and_saveexec_b32 s3, s2
	s_cbranch_execz .LBB2_12
; %bb.7:
	v_cmp_gt_f64_e32 vcc_lo, 0, v[8:9]
	v_cmp_gt_f64_e64 s2, 0, v[10:11]
	v_xor_b32_e32 v17, 0x80000000, v9
	v_xor_b32_e32 v22, 0x80000000, v11
                                        ; implicit-def: $sgpr6
                                        ; implicit-def: $sgpr7
	s_delay_alu instid0(VALU_DEP_2) | instskip(NEXT) | instid1(VALU_DEP_2)
	v_dual_cndmask_b32 v18, v9, v17 :: v_dual_cndmask_b32 v17, v8, v8
	v_cndmask_b32_e64 v26, v11, v22, s2
	v_cndmask_b32_e64 v25, v10, v10, s2
	s_mov_b32 s2, exec_lo
	s_delay_alu instid0(VALU_DEP_1)
	v_cmpx_ngt_f64_e32 v[17:18], v[25:26]
	s_xor_b32 s2, exec_lo, s2
	s_cbranch_execz .LBB2_9
; %bb.8:
	v_div_scale_f64 v[17:18], null, v[10:11], v[10:11], v[8:9]
	v_div_scale_f64 v[29:30], vcc_lo, v[8:9], v[10:11], v[8:9]
	s_mov_b32 s7, 2
	s_mov_b32 s6, 0
	s_delay_alu instid0(VALU_DEP_2) | instskip(SKIP_2) | instid1(VALU_DEP_1)
	v_rcp_f64_e32 v[25:26], v[17:18]
	s_waitcnt_depctr 0xfff
	v_fma_f64 v[27:28], -v[17:18], v[25:26], 1.0
	v_fma_f64 v[25:26], v[25:26], v[27:28], v[25:26]
	s_delay_alu instid0(VALU_DEP_1) | instskip(NEXT) | instid1(VALU_DEP_1)
	v_fma_f64 v[27:28], -v[17:18], v[25:26], 1.0
	v_fma_f64 v[25:26], v[25:26], v[27:28], v[25:26]
	s_delay_alu instid0(VALU_DEP_1) | instskip(NEXT) | instid1(VALU_DEP_1)
	v_mul_f64 v[27:28], v[29:30], v[25:26]
	v_fma_f64 v[17:18], -v[17:18], v[27:28], v[29:30]
	s_delay_alu instid0(VALU_DEP_1) | instskip(NEXT) | instid1(VALU_DEP_1)
	v_div_fmas_f64 v[17:18], v[17:18], v[25:26], v[27:28]
	v_div_fixup_f64 v[17:18], v[17:18], v[10:11], v[8:9]
	s_delay_alu instid0(VALU_DEP_1) | instskip(NEXT) | instid1(VALU_DEP_1)
	v_fma_f64 v[8:9], v[8:9], v[17:18], v[10:11]
	v_div_scale_f64 v[10:11], null, v[8:9], v[8:9], 1.0
	s_delay_alu instid0(VALU_DEP_1) | instskip(SKIP_2) | instid1(VALU_DEP_1)
	v_rcp_f64_e32 v[25:26], v[10:11]
	s_waitcnt_depctr 0xfff
	v_fma_f64 v[27:28], -v[10:11], v[25:26], 1.0
	v_fma_f64 v[25:26], v[25:26], v[27:28], v[25:26]
	s_delay_alu instid0(VALU_DEP_1) | instskip(NEXT) | instid1(VALU_DEP_1)
	v_fma_f64 v[27:28], -v[10:11], v[25:26], 1.0
	v_fma_f64 v[25:26], v[25:26], v[27:28], v[25:26]
	v_div_scale_f64 v[27:28], vcc_lo, 1.0, v[8:9], 1.0
	s_delay_alu instid0(VALU_DEP_1) | instskip(NEXT) | instid1(VALU_DEP_1)
	v_mul_f64 v[29:30], v[27:28], v[25:26]
	v_fma_f64 v[10:11], -v[10:11], v[29:30], v[27:28]
	s_delay_alu instid0(VALU_DEP_1) | instskip(NEXT) | instid1(VALU_DEP_1)
	v_div_fmas_f64 v[10:11], v[10:11], v[25:26], v[29:30]
	v_div_fixup_f64 v[10:11], v[10:11], v[8:9], 1.0
	s_delay_alu instid0(VALU_DEP_1)
	v_mul_f64 v[8:9], v[17:18], v[10:11]
	v_xor_b32_e32 v11, 0x80000000, v11
.LBB2_9:
	s_or_saveexec_b32 s2, s2
	v_mov_b32_e32 v18, s6
	v_mov_b32_e32 v22, s7
	s_xor_b32 exec_lo, exec_lo, s2
	s_cbranch_execz .LBB2_11
; %bb.10:
	s_delay_alu instid0(VALU_DEP_4) | instskip(SKIP_2) | instid1(VALU_DEP_3)
	v_div_scale_f64 v[17:18], null, v[8:9], v[8:9], v[10:11]
	v_div_scale_f64 v[29:30], vcc_lo, v[10:11], v[8:9], v[10:11]
	v_mov_b32_e32 v22, 2
	v_rcp_f64_e32 v[25:26], v[17:18]
	s_waitcnt_depctr 0xfff
	v_fma_f64 v[27:28], -v[17:18], v[25:26], 1.0
	s_delay_alu instid0(VALU_DEP_1) | instskip(NEXT) | instid1(VALU_DEP_1)
	v_fma_f64 v[25:26], v[25:26], v[27:28], v[25:26]
	v_fma_f64 v[27:28], -v[17:18], v[25:26], 1.0
	s_delay_alu instid0(VALU_DEP_1) | instskip(NEXT) | instid1(VALU_DEP_1)
	v_fma_f64 v[25:26], v[25:26], v[27:28], v[25:26]
	v_mul_f64 v[27:28], v[29:30], v[25:26]
	s_delay_alu instid0(VALU_DEP_1) | instskip(NEXT) | instid1(VALU_DEP_1)
	v_fma_f64 v[17:18], -v[17:18], v[27:28], v[29:30]
	v_div_fmas_f64 v[17:18], v[17:18], v[25:26], v[27:28]
	s_delay_alu instid0(VALU_DEP_1) | instskip(NEXT) | instid1(VALU_DEP_1)
	v_div_fixup_f64 v[17:18], v[17:18], v[8:9], v[10:11]
	v_fma_f64 v[8:9], v[10:11], v[17:18], v[8:9]
	s_delay_alu instid0(VALU_DEP_1) | instskip(NEXT) | instid1(VALU_DEP_1)
	v_div_scale_f64 v[10:11], null, v[8:9], v[8:9], 1.0
	v_rcp_f64_e32 v[25:26], v[10:11]
	s_waitcnt_depctr 0xfff
	v_fma_f64 v[27:28], -v[10:11], v[25:26], 1.0
	s_delay_alu instid0(VALU_DEP_1) | instskip(NEXT) | instid1(VALU_DEP_1)
	v_fma_f64 v[25:26], v[25:26], v[27:28], v[25:26]
	v_fma_f64 v[27:28], -v[10:11], v[25:26], 1.0
	s_delay_alu instid0(VALU_DEP_1) | instskip(SKIP_1) | instid1(VALU_DEP_1)
	v_fma_f64 v[25:26], v[25:26], v[27:28], v[25:26]
	v_div_scale_f64 v[27:28], vcc_lo, 1.0, v[8:9], 1.0
	v_mul_f64 v[29:30], v[27:28], v[25:26]
	s_delay_alu instid0(VALU_DEP_1) | instskip(NEXT) | instid1(VALU_DEP_1)
	v_fma_f64 v[10:11], -v[10:11], v[29:30], v[27:28]
	v_div_fmas_f64 v[10:11], v[10:11], v[25:26], v[29:30]
	s_delay_alu instid0(VALU_DEP_1) | instskip(NEXT) | instid1(VALU_DEP_1)
	v_div_fixup_f64 v[8:9], v[10:11], v[8:9], 1.0
	v_mul_f64 v[10:11], v[17:18], -v[8:9]
	v_mov_b32_e32 v18, 0
.LBB2_11:
	s_or_b32 exec_lo, exec_lo, s2
.LBB2_12:
	s_delay_alu instid0(SALU_CYCLE_1) | instskip(NEXT) | instid1(SALU_CYCLE_1)
	s_or_b32 exec_lo, exec_lo, s3
	s_mov_b32 s2, exec_lo
	v_cmpx_ne_u32_e64 v21, v16
	s_xor_b32 s2, exec_lo, s2
	s_cbranch_execz .LBB2_18
; %bb.13:
	s_mov_b32 s3, exec_lo
	v_cmpx_eq_u32_e32 0, v21
	s_cbranch_execz .LBB2_17
; %bb.14:
	v_cmp_ne_u32_e32 vcc_lo, 0, v16
	s_xor_b32 s6, s4, -1
	s_delay_alu instid0(SALU_CYCLE_1) | instskip(NEXT) | instid1(SALU_CYCLE_1)
	s_and_b32 s7, s6, vcc_lo
	s_and_saveexec_b32 s6, s7
	s_cbranch_execz .LBB2_16
; %bb.15:
	v_ashrrev_i32_e32 v17, 31, v16
	s_delay_alu instid0(VALU_DEP_1) | instskip(NEXT) | instid1(VALU_DEP_1)
	v_lshlrev_b64 v[25:26], 2, v[16:17]
	v_add_co_u32 v25, vcc_lo, v14, v25
	s_delay_alu instid0(VALU_DEP_2)
	v_add_co_ci_u32_e32 v26, vcc_lo, v15, v26, vcc_lo
	s_clause 0x1
	flat_load_b32 v17, v[25:26]
	flat_load_b32 v21, v[14:15]
	s_waitcnt vmcnt(1) lgkmcnt(1)
	flat_store_b32 v[14:15], v17
	s_waitcnt vmcnt(0) lgkmcnt(1)
	flat_store_b32 v[25:26], v21
.LBB2_16:
	s_or_b32 exec_lo, exec_lo, s6
	v_mov_b32_e32 v21, v16
.LBB2_17:
	s_or_b32 exec_lo, exec_lo, s3
.LBB2_18:
	s_or_saveexec_b32 s2, s2
	s_delay_alu instid0(VALU_DEP_1)
	v_mov_b32_e32 v25, v21
	s_xor_b32 exec_lo, exec_lo, s2
	s_cbranch_execz .LBB2_20
; %bb.19:
	v_mov_b32_e32 v25, 0
	ds_store_2addr_b64 v23, v[4:5], v[6:7] offset0:2 offset1:3
.LBB2_20:
	s_or_b32 exec_lo, exec_lo, s2
	s_delay_alu instid0(SALU_CYCLE_1)
	s_mov_b32 s2, exec_lo
	s_waitcnt lgkmcnt(0)
	s_waitcnt_vscnt null, 0x0
	s_barrier
	buffer_gl0_inv
	v_cmpx_lt_i32_e32 0, v25
	s_cbranch_execz .LBB2_22
; %bb.21:
	v_mul_f64 v[16:17], v[8:9], v[2:3]
	v_mul_f64 v[2:3], v[10:11], v[2:3]
	ds_load_2addr_b64 v[26:29], v23 offset0:2 offset1:3
	v_fma_f64 v[10:11], v[10:11], v[0:1], v[16:17]
	v_fma_f64 v[0:1], v[8:9], v[0:1], -v[2:3]
	s_waitcnt lgkmcnt(0)
	s_delay_alu instid0(VALU_DEP_2) | instskip(SKIP_1) | instid1(VALU_DEP_2)
	v_mul_f64 v[2:3], v[28:29], v[10:11]
	v_mul_f64 v[8:9], v[26:27], v[10:11]
	v_fma_f64 v[2:3], v[26:27], v[0:1], -v[2:3]
	s_delay_alu instid0(VALU_DEP_2) | instskip(NEXT) | instid1(VALU_DEP_2)
	v_fma_f64 v[8:9], v[28:29], v[0:1], v[8:9]
	v_add_f64 v[4:5], v[4:5], -v[2:3]
	s_delay_alu instid0(VALU_DEP_2)
	v_add_f64 v[6:7], v[6:7], -v[8:9]
	v_dual_mov_b32 v2, v10 :: v_dual_mov_b32 v3, v11
.LBB2_22:
	s_or_b32 exec_lo, exec_lo, s2
	v_lshl_add_u32 v8, v25, 4, v23
	s_barrier
	buffer_gl0_inv
	v_mov_b32_e32 v16, 1
	ds_store_2addr_b64 v8, v[4:5], v[6:7] offset1:1
	s_waitcnt lgkmcnt(0)
	s_barrier
	buffer_gl0_inv
	ds_load_2addr_b64 v[8:11], v23 offset0:2 offset1:3
	s_cmp_lt_i32 s5, 3
	s_cbranch_scc1 .LBB2_25
; %bb.23:
	v_add3_u32 v17, v24, 0, 32
	v_mov_b32_e32 v16, 1
	s_mov_b32 s6, 2
	s_set_inst_prefetch_distance 0x1
	.p2align	6
.LBB2_24:                               ; =>This Inner Loop Header: Depth=1
	ds_load_2addr_b64 v[26:29], v17 offset1:1
	s_waitcnt lgkmcnt(1)
	v_cmp_gt_f64_e32 vcc_lo, 0, v[8:9]
	v_xor_b32_e32 v23, 0x80000000, v9
	v_cmp_gt_f64_e64 s2, 0, v[10:11]
	v_xor_b32_e32 v30, 0x80000000, v11
	v_add_nc_u32_e32 v17, 16, v17
	s_waitcnt lgkmcnt(0)
	v_cmp_gt_f64_e64 s3, 0, v[26:27]
	v_mov_b32_e32 v32, v26
	v_mov_b32_e32 v34, v28
	v_cndmask_b32_e32 v24, v9, v23, vcc_lo
	v_xor_b32_e32 v23, 0x80000000, v27
	v_cndmask_b32_e64 v31, v11, v30, s2
	v_xor_b32_e32 v30, 0x80000000, v29
	s_delay_alu instid0(VALU_DEP_3) | instskip(SKIP_2) | instid1(VALU_DEP_1)
	v_cndmask_b32_e64 v33, v27, v23, s3
	v_cndmask_b32_e32 v23, v8, v8, vcc_lo
	v_cmp_gt_f64_e64 s3, 0, v[28:29]
	v_cndmask_b32_e64 v35, v29, v30, s3
	v_cndmask_b32_e64 v30, v10, v10, s2
	s_delay_alu instid0(VALU_DEP_2) | instskip(NEXT) | instid1(VALU_DEP_2)
	v_add_f64 v[32:33], v[32:33], v[34:35]
	v_add_f64 v[23:24], v[23:24], v[30:31]
	s_delay_alu instid0(VALU_DEP_1) | instskip(SKIP_4) | instid1(SALU_CYCLE_1)
	v_cmp_lt_f64_e32 vcc_lo, v[23:24], v[32:33]
	v_dual_cndmask_b32 v9, v9, v27 :: v_dual_cndmask_b32 v8, v8, v26
	v_dual_cndmask_b32 v11, v11, v29 :: v_dual_cndmask_b32 v10, v10, v28
	v_cndmask_b32_e64 v16, v16, s6, vcc_lo
	s_add_i32 s6, s6, 1
	s_cmp_lg_u32 s5, s6
	s_cbranch_scc1 .LBB2_24
.LBB2_25:
	s_set_inst_prefetch_distance 0x2
	s_waitcnt lgkmcnt(0)
	v_cmp_neq_f64_e32 vcc_lo, 0, v[8:9]
	v_cmp_neq_f64_e64 s2, 0, v[10:11]
	s_delay_alu instid0(VALU_DEP_1) | instskip(NEXT) | instid1(SALU_CYCLE_1)
	s_or_b32 s2, vcc_lo, s2
	s_and_saveexec_b32 s3, s2
	s_cbranch_execz .LBB2_31
; %bb.26:
	v_cmp_gt_f64_e32 vcc_lo, 0, v[8:9]
	v_cmp_gt_f64_e64 s2, 0, v[10:11]
	v_xor_b32_e32 v17, 0x80000000, v9
	v_xor_b32_e32 v22, 0x80000000, v11
	s_delay_alu instid0(VALU_DEP_2) | instskip(NEXT) | instid1(VALU_DEP_2)
	v_cndmask_b32_e32 v23, v9, v17, vcc_lo
	v_cndmask_b32_e64 v27, v11, v22, s2
	v_cndmask_b32_e32 v22, v8, v8, vcc_lo
	v_cndmask_b32_e64 v26, v10, v10, s2
	s_mov_b32 s2, exec_lo
	s_delay_alu instid0(VALU_DEP_1)
	v_cmpx_ngt_f64_e32 v[22:23], v[26:27]
	s_xor_b32 s2, exec_lo, s2
	s_cbranch_execz .LBB2_28
; %bb.27:
	v_div_scale_f64 v[22:23], null, v[10:11], v[10:11], v[8:9]
	v_div_scale_f64 v[30:31], vcc_lo, v[8:9], v[10:11], v[8:9]
	s_delay_alu instid0(VALU_DEP_2) | instskip(SKIP_2) | instid1(VALU_DEP_1)
	v_rcp_f64_e32 v[26:27], v[22:23]
	s_waitcnt_depctr 0xfff
	v_fma_f64 v[28:29], -v[22:23], v[26:27], 1.0
	v_fma_f64 v[26:27], v[26:27], v[28:29], v[26:27]
	s_delay_alu instid0(VALU_DEP_1) | instskip(NEXT) | instid1(VALU_DEP_1)
	v_fma_f64 v[28:29], -v[22:23], v[26:27], 1.0
	v_fma_f64 v[26:27], v[26:27], v[28:29], v[26:27]
	s_delay_alu instid0(VALU_DEP_1) | instskip(NEXT) | instid1(VALU_DEP_1)
	v_mul_f64 v[28:29], v[30:31], v[26:27]
	v_fma_f64 v[22:23], -v[22:23], v[28:29], v[30:31]
	s_delay_alu instid0(VALU_DEP_1) | instskip(NEXT) | instid1(VALU_DEP_1)
	v_div_fmas_f64 v[22:23], v[22:23], v[26:27], v[28:29]
	v_div_fixup_f64 v[22:23], v[22:23], v[10:11], v[8:9]
	s_delay_alu instid0(VALU_DEP_1) | instskip(NEXT) | instid1(VALU_DEP_1)
	v_fma_f64 v[8:9], v[8:9], v[22:23], v[10:11]
	v_div_scale_f64 v[10:11], null, v[8:9], v[8:9], 1.0
	s_delay_alu instid0(VALU_DEP_1) | instskip(SKIP_2) | instid1(VALU_DEP_1)
	v_rcp_f64_e32 v[26:27], v[10:11]
	s_waitcnt_depctr 0xfff
	v_fma_f64 v[28:29], -v[10:11], v[26:27], 1.0
	v_fma_f64 v[26:27], v[26:27], v[28:29], v[26:27]
	s_delay_alu instid0(VALU_DEP_1) | instskip(NEXT) | instid1(VALU_DEP_1)
	v_fma_f64 v[28:29], -v[10:11], v[26:27], 1.0
	v_fma_f64 v[26:27], v[26:27], v[28:29], v[26:27]
	v_div_scale_f64 v[28:29], vcc_lo, 1.0, v[8:9], 1.0
	s_delay_alu instid0(VALU_DEP_1) | instskip(NEXT) | instid1(VALU_DEP_1)
	v_mul_f64 v[30:31], v[28:29], v[26:27]
	v_fma_f64 v[10:11], -v[10:11], v[30:31], v[28:29]
	s_delay_alu instid0(VALU_DEP_1) | instskip(NEXT) | instid1(VALU_DEP_1)
	v_div_fmas_f64 v[10:11], v[10:11], v[26:27], v[30:31]
	v_div_fixup_f64 v[10:11], v[10:11], v[8:9], 1.0
	s_delay_alu instid0(VALU_DEP_1)
	v_mul_f64 v[8:9], v[22:23], v[10:11]
	v_xor_b32_e32 v11, 0x80000000, v11
.LBB2_28:
	s_and_not1_saveexec_b32 s2, s2
	s_cbranch_execz .LBB2_30
; %bb.29:
	s_delay_alu instid0(VALU_DEP_1) | instskip(SKIP_1) | instid1(VALU_DEP_2)
	v_div_scale_f64 v[22:23], null, v[8:9], v[8:9], v[10:11]
	v_div_scale_f64 v[30:31], vcc_lo, v[10:11], v[8:9], v[10:11]
	v_rcp_f64_e32 v[26:27], v[22:23]
	s_waitcnt_depctr 0xfff
	v_fma_f64 v[28:29], -v[22:23], v[26:27], 1.0
	s_delay_alu instid0(VALU_DEP_1) | instskip(NEXT) | instid1(VALU_DEP_1)
	v_fma_f64 v[26:27], v[26:27], v[28:29], v[26:27]
	v_fma_f64 v[28:29], -v[22:23], v[26:27], 1.0
	s_delay_alu instid0(VALU_DEP_1) | instskip(NEXT) | instid1(VALU_DEP_1)
	v_fma_f64 v[26:27], v[26:27], v[28:29], v[26:27]
	v_mul_f64 v[28:29], v[30:31], v[26:27]
	s_delay_alu instid0(VALU_DEP_1) | instskip(NEXT) | instid1(VALU_DEP_1)
	v_fma_f64 v[22:23], -v[22:23], v[28:29], v[30:31]
	v_div_fmas_f64 v[22:23], v[22:23], v[26:27], v[28:29]
	s_delay_alu instid0(VALU_DEP_1) | instskip(NEXT) | instid1(VALU_DEP_1)
	v_div_fixup_f64 v[22:23], v[22:23], v[8:9], v[10:11]
	v_fma_f64 v[8:9], v[10:11], v[22:23], v[8:9]
	s_delay_alu instid0(VALU_DEP_1) | instskip(NEXT) | instid1(VALU_DEP_1)
	v_div_scale_f64 v[10:11], null, v[8:9], v[8:9], 1.0
	v_rcp_f64_e32 v[26:27], v[10:11]
	s_waitcnt_depctr 0xfff
	v_fma_f64 v[28:29], -v[10:11], v[26:27], 1.0
	s_delay_alu instid0(VALU_DEP_1) | instskip(NEXT) | instid1(VALU_DEP_1)
	v_fma_f64 v[26:27], v[26:27], v[28:29], v[26:27]
	v_fma_f64 v[28:29], -v[10:11], v[26:27], 1.0
	s_delay_alu instid0(VALU_DEP_1) | instskip(SKIP_1) | instid1(VALU_DEP_1)
	v_fma_f64 v[26:27], v[26:27], v[28:29], v[26:27]
	v_div_scale_f64 v[28:29], vcc_lo, 1.0, v[8:9], 1.0
	v_mul_f64 v[30:31], v[28:29], v[26:27]
	s_delay_alu instid0(VALU_DEP_1) | instskip(NEXT) | instid1(VALU_DEP_1)
	v_fma_f64 v[10:11], -v[10:11], v[30:31], v[28:29]
	v_div_fmas_f64 v[10:11], v[10:11], v[26:27], v[30:31]
	s_delay_alu instid0(VALU_DEP_1) | instskip(NEXT) | instid1(VALU_DEP_1)
	v_div_fixup_f64 v[8:9], v[10:11], v[8:9], 1.0
	v_mul_f64 v[10:11], v[22:23], -v[8:9]
.LBB2_30:
	s_or_b32 exec_lo, exec_lo, s2
	v_mov_b32_e32 v22, v18
.LBB2_31:
	s_or_b32 exec_lo, exec_lo, s3
	v_mov_b32_e32 v17, 1
	s_mov_b32 s2, exec_lo
	v_cmpx_ne_u32_e64 v25, v16
	s_cbranch_execz .LBB2_37
; %bb.32:
	s_mov_b32 s3, exec_lo
	v_cmpx_eq_u32_e32 1, v25
	s_cbranch_execz .LBB2_36
; %bb.33:
	v_cmp_ne_u32_e32 vcc_lo, 1, v16
	s_xor_b32 s4, s4, -1
	s_delay_alu instid0(SALU_CYCLE_1) | instskip(NEXT) | instid1(SALU_CYCLE_1)
	s_and_b32 s5, s4, vcc_lo
	s_and_saveexec_b32 s4, s5
	s_cbranch_execz .LBB2_35
; %bb.34:
	v_ashrrev_i32_e32 v17, 31, v16
	s_delay_alu instid0(VALU_DEP_1) | instskip(NEXT) | instid1(VALU_DEP_1)
	v_lshlrev_b64 v[17:18], 2, v[16:17]
	v_add_co_u32 v17, vcc_lo, v14, v17
	s_delay_alu instid0(VALU_DEP_2)
	v_add_co_ci_u32_e32 v18, vcc_lo, v15, v18, vcc_lo
	s_clause 0x1
	flat_load_b32 v21, v[17:18]
	flat_load_b32 v23, v[14:15] offset:4
	s_waitcnt vmcnt(1) lgkmcnt(1)
	flat_store_b32 v[14:15], v21 offset:4
	s_waitcnt vmcnt(0) lgkmcnt(1)
	flat_store_b32 v[17:18], v23
.LBB2_35:
	s_or_b32 exec_lo, exec_lo, s4
	v_mov_b32_e32 v25, v16
	v_mov_b32_e32 v21, v16
.LBB2_36:
	s_or_b32 exec_lo, exec_lo, s3
	s_delay_alu instid0(VALU_DEP_2)
	v_mov_b32_e32 v17, v25
.LBB2_37:
	s_or_b32 exec_lo, exec_lo, s2
	s_delay_alu instid0(SALU_CYCLE_1)
	s_mov_b32 s2, exec_lo
	s_waitcnt lgkmcnt(0)
	s_waitcnt_vscnt null, 0x0
	s_barrier
	buffer_gl0_inv
	v_cmpx_lt_i32_e32 1, v17
; %bb.38:
	v_mul_f64 v[14:15], v[10:11], v[6:7]
	v_mul_f64 v[6:7], v[8:9], v[6:7]
	s_delay_alu instid0(VALU_DEP_2) | instskip(NEXT) | instid1(VALU_DEP_2)
	v_fma_f64 v[8:9], v[8:9], v[4:5], -v[14:15]
	v_fma_f64 v[6:7], v[10:11], v[4:5], v[6:7]
	s_delay_alu instid0(VALU_DEP_2)
	v_dual_mov_b32 v4, v8 :: v_dual_mov_b32 v5, v9
; %bb.39:
	s_or_b32 exec_lo, exec_lo, s2
	s_load_b256 s[0:7], s[0:1], 0x28
	v_ashrrev_i32_e32 v18, 31, v17
	s_mov_b32 s10, exec_lo
	s_waitcnt lgkmcnt(0)
	s_barrier
	buffer_gl0_inv
	v_cmpx_gt_i32_e32 2, v17
	s_cbranch_execz .LBB2_41
; %bb.40:
	v_mul_lo_u32 v10, v13, s4
	v_mul_lo_u32 v11, v12, s5
	v_mad_u64_u32 v[8:9], null, v12, s4, 0
	s_lshl_b64 s[2:3], s[2:3], 2
	s_delay_alu instid0(SALU_CYCLE_1) | instskip(SKIP_1) | instid1(VALU_DEP_1)
	s_add_u32 s0, s2, s0
	s_addc_u32 s1, s3, s1
	v_add3_u32 v9, v9, v11, v10
	v_lshlrev_b64 v[10:11], 2, v[17:18]
	s_delay_alu instid0(VALU_DEP_2) | instskip(NEXT) | instid1(VALU_DEP_1)
	v_lshlrev_b64 v[8:9], 2, v[8:9]
	v_add_co_u32 v8, vcc_lo, s0, v8
	s_delay_alu instid0(VALU_DEP_2) | instskip(NEXT) | instid1(VALU_DEP_2)
	v_add_co_ci_u32_e32 v9, vcc_lo, s1, v9, vcc_lo
	v_add_co_u32 v8, vcc_lo, v8, v10
	s_delay_alu instid0(VALU_DEP_2)
	v_add_co_ci_u32_e32 v9, vcc_lo, v9, v11, vcc_lo
	v_add3_u32 v10, v21, s13, 1
	global_store_b32 v[8:9], v10, off
.LBB2_41:
	s_or_b32 exec_lo, exec_lo, s10
	s_delay_alu instid0(SALU_CYCLE_1)
	s_mov_b32 s1, exec_lo
	v_cmpx_eq_u32_e32 0, v17
	s_cbranch_execz .LBB2_44
; %bb.42:
	v_lshlrev_b64 v[8:9], 2, v[12:13]
	v_cmp_lt_i32_e64 s0, 0, v22
	s_delay_alu instid0(VALU_DEP_2) | instskip(NEXT) | instid1(VALU_DEP_3)
	v_add_co_u32 v8, vcc_lo, s6, v8
	v_add_co_ci_u32_e32 v9, vcc_lo, s7, v9, vcc_lo
	global_load_b32 v10, v[8:9], off
	s_waitcnt vmcnt(0)
	v_cmp_eq_u32_e32 vcc_lo, 0, v10
	s_and_b32 s0, vcc_lo, s0
	s_delay_alu instid0(SALU_CYCLE_1)
	s_and_b32 exec_lo, exec_lo, s0
	s_cbranch_execz .LBB2_44
; %bb.43:
	v_add_nc_u32_e32 v10, s13, v22
	global_store_b32 v[8:9], v10, off
.LBB2_44:
	s_or_b32 exec_lo, exec_lo, s1
	v_lshlrev_b64 v[8:9], 4, v[17:18]
	s_delay_alu instid0(VALU_DEP_1) | instskip(NEXT) | instid1(VALU_DEP_2)
	v_add_co_u32 v8, vcc_lo, v19, v8
	v_add_co_ci_u32_e32 v9, vcc_lo, v20, v9, vcc_lo
	s_delay_alu instid0(VALU_DEP_2) | instskip(NEXT) | instid1(VALU_DEP_2)
	v_add_co_u32 v10, vcc_lo, v8, s8
	v_add_co_ci_u32_e32 v11, vcc_lo, s9, v9, vcc_lo
	s_clause 0x1
	global_store_b128 v[8:9], v[0:3], off
	global_store_b128 v[10:11], v[4:7], off
.LBB2_45:
	s_nop 0
	s_sendmsg sendmsg(MSG_DEALLOC_VGPRS)
	s_endpgm
	.section	.rodata,"a",@progbits
	.p2align	6, 0x0
	.amdhsa_kernel _ZN9rocsolver6v33100L18getf2_small_kernelILi2E19rocblas_complex_numIdEiiPKPS3_EEvT1_T3_lS7_lPS7_llPT2_S7_S7_S9_l
		.amdhsa_group_segment_fixed_size 0
		.amdhsa_private_segment_fixed_size 0
		.amdhsa_kernarg_size 352
		.amdhsa_user_sgpr_count 14
		.amdhsa_user_sgpr_dispatch_ptr 0
		.amdhsa_user_sgpr_queue_ptr 0
		.amdhsa_user_sgpr_kernarg_segment_ptr 1
		.amdhsa_user_sgpr_dispatch_id 0
		.amdhsa_user_sgpr_private_segment_size 0
		.amdhsa_wavefront_size32 1
		.amdhsa_uses_dynamic_stack 0
		.amdhsa_enable_private_segment 0
		.amdhsa_system_sgpr_workgroup_id_x 1
		.amdhsa_system_sgpr_workgroup_id_y 1
		.amdhsa_system_sgpr_workgroup_id_z 0
		.amdhsa_system_sgpr_workgroup_info 0
		.amdhsa_system_vgpr_workitem_id 1
		.amdhsa_next_free_vgpr 37
		.amdhsa_next_free_sgpr 16
		.amdhsa_reserve_vcc 1
		.amdhsa_float_round_mode_32 0
		.amdhsa_float_round_mode_16_64 0
		.amdhsa_float_denorm_mode_32 3
		.amdhsa_float_denorm_mode_16_64 3
		.amdhsa_dx10_clamp 1
		.amdhsa_ieee_mode 1
		.amdhsa_fp16_overflow 0
		.amdhsa_workgroup_processor_mode 1
		.amdhsa_memory_ordered 1
		.amdhsa_forward_progress 0
		.amdhsa_shared_vgpr_count 0
		.amdhsa_exception_fp_ieee_invalid_op 0
		.amdhsa_exception_fp_denorm_src 0
		.amdhsa_exception_fp_ieee_div_zero 0
		.amdhsa_exception_fp_ieee_overflow 0
		.amdhsa_exception_fp_ieee_underflow 0
		.amdhsa_exception_fp_ieee_inexact 0
		.amdhsa_exception_int_div_zero 0
	.end_amdhsa_kernel
	.section	.text._ZN9rocsolver6v33100L18getf2_small_kernelILi2E19rocblas_complex_numIdEiiPKPS3_EEvT1_T3_lS7_lPS7_llPT2_S7_S7_S9_l,"axG",@progbits,_ZN9rocsolver6v33100L18getf2_small_kernelILi2E19rocblas_complex_numIdEiiPKPS3_EEvT1_T3_lS7_lPS7_llPT2_S7_S7_S9_l,comdat
.Lfunc_end2:
	.size	_ZN9rocsolver6v33100L18getf2_small_kernelILi2E19rocblas_complex_numIdEiiPKPS3_EEvT1_T3_lS7_lPS7_llPT2_S7_S7_S9_l, .Lfunc_end2-_ZN9rocsolver6v33100L18getf2_small_kernelILi2E19rocblas_complex_numIdEiiPKPS3_EEvT1_T3_lS7_lPS7_llPT2_S7_S7_S9_l
                                        ; -- End function
	.section	.AMDGPU.csdata,"",@progbits
; Kernel info:
; codeLenInByte = 3048
; NumSgprs: 18
; NumVgprs: 37
; ScratchSize: 0
; MemoryBound: 0
; FloatMode: 240
; IeeeMode: 1
; LDSByteSize: 0 bytes/workgroup (compile time only)
; SGPRBlocks: 2
; VGPRBlocks: 4
; NumSGPRsForWavesPerEU: 18
; NumVGPRsForWavesPerEU: 37
; Occupancy: 16
; WaveLimiterHint : 1
; COMPUTE_PGM_RSRC2:SCRATCH_EN: 0
; COMPUTE_PGM_RSRC2:USER_SGPR: 14
; COMPUTE_PGM_RSRC2:TRAP_HANDLER: 0
; COMPUTE_PGM_RSRC2:TGID_X_EN: 1
; COMPUTE_PGM_RSRC2:TGID_Y_EN: 1
; COMPUTE_PGM_RSRC2:TGID_Z_EN: 0
; COMPUTE_PGM_RSRC2:TIDIG_COMP_CNT: 1
	.section	.text._ZN9rocsolver6v33100L23getf2_npvt_small_kernelILi2E19rocblas_complex_numIdEiiPKPS3_EEvT1_T3_lS7_lPT2_S7_S7_,"axG",@progbits,_ZN9rocsolver6v33100L23getf2_npvt_small_kernelILi2E19rocblas_complex_numIdEiiPKPS3_EEvT1_T3_lS7_lPT2_S7_S7_,comdat
	.globl	_ZN9rocsolver6v33100L23getf2_npvt_small_kernelILi2E19rocblas_complex_numIdEiiPKPS3_EEvT1_T3_lS7_lPT2_S7_S7_ ; -- Begin function _ZN9rocsolver6v33100L23getf2_npvt_small_kernelILi2E19rocblas_complex_numIdEiiPKPS3_EEvT1_T3_lS7_lPT2_S7_S7_
	.p2align	8
	.type	_ZN9rocsolver6v33100L23getf2_npvt_small_kernelILi2E19rocblas_complex_numIdEiiPKPS3_EEvT1_T3_lS7_lPT2_S7_S7_,@function
_ZN9rocsolver6v33100L23getf2_npvt_small_kernelILi2E19rocblas_complex_numIdEiiPKPS3_EEvT1_T3_lS7_lPT2_S7_S7_: ; @_ZN9rocsolver6v33100L23getf2_npvt_small_kernelILi2E19rocblas_complex_numIdEiiPKPS3_EEvT1_T3_lS7_lPT2_S7_S7_
; %bb.0:
	s_clause 0x1
	s_load_b32 s2, s[0:1], 0x44
	s_load_b64 s[4:5], s[0:1], 0x30
	v_bfe_u32 v8, v0, 10, 10
	s_mov_b32 s3, exec_lo
	s_waitcnt lgkmcnt(0)
	s_lshr_b32 s2, s2, 16
	s_delay_alu instid0(VALU_DEP_1) | instid1(SALU_CYCLE_1)
	v_mad_u64_u32 v[18:19], null, s15, s2, v[8:9]
	s_delay_alu instid0(VALU_DEP_1)
	v_cmpx_gt_i32_e64 s4, v18
	s_cbranch_execz .LBB3_23
; %bb.1:
	s_clause 0x1
	s_load_b128 s[8:11], s[0:1], 0x8
	s_load_b32 s6, s[0:1], 0x18
	v_ashrrev_i32_e32 v19, 31, v18
	v_and_b32_e32 v24, 0x3ff, v0
	v_lshlrev_b32_e32 v9, 4, v8
	v_lshlrev_b32_e32 v8, 5, v8
	s_lshl_b32 s2, s2, 5
	v_lshlrev_b64 v[1:2], 3, v[18:19]
	v_lshlrev_b32_e32 v0, 4, v24
	v_add3_u32 v25, 0, s2, v9
	v_cmp_ne_u32_e64 s3, 0, v24
	v_cmp_eq_u32_e64 s2, 0, v24
	v_add_nc_u32_e32 v26, 0, v8
	s_waitcnt lgkmcnt(0)
	v_add_co_u32 v1, vcc_lo, s8, v1
	v_add_co_ci_u32_e32 v2, vcc_lo, s9, v2, vcc_lo
	s_lshl_b64 s[8:9], s[10:11], 4
	s_ashr_i32 s7, s6, 31
	s_delay_alu instid0(SALU_CYCLE_1) | instskip(SKIP_4) | instid1(VALU_DEP_2)
	s_lshl_b64 s[6:7], s[6:7], 4
	global_load_b64 v[1:2], v[1:2], off
	s_waitcnt vmcnt(0)
	v_add_co_u32 v1, vcc_lo, v1, s8
	v_add_co_ci_u32_e32 v2, vcc_lo, s9, v2, vcc_lo
	v_add_co_u32 v16, vcc_lo, v1, v0
	s_delay_alu instid0(VALU_DEP_2) | instskip(NEXT) | instid1(VALU_DEP_2)
	v_add_co_ci_u32_e32 v17, vcc_lo, 0, v2, vcc_lo
	v_add_co_u32 v20, vcc_lo, v16, s6
	s_delay_alu instid0(VALU_DEP_2)
	v_add_co_ci_u32_e32 v21, vcc_lo, s7, v17, vcc_lo
	s_clause 0x1
	global_load_b128 v[4:7], v[16:17], off
	global_load_b128 v[0:3], v[20:21], off
	s_and_saveexec_b32 s6, s2
	s_cbranch_execz .LBB3_8
; %bb.2:
	s_waitcnt vmcnt(1)
	ds_store_2addr_b64 v25, v[4:5], v[6:7] offset1:1
	s_waitcnt vmcnt(0)
	ds_store_2addr_b64 v26, v[0:1], v[2:3] offset0:2 offset1:3
	ds_load_2addr_b64 v[8:11], v25 offset1:1
	s_waitcnt lgkmcnt(0)
	v_cmp_neq_f64_e32 vcc_lo, 0, v[8:9]
	v_cmp_neq_f64_e64 s4, 0, v[10:11]
	s_delay_alu instid0(VALU_DEP_1) | instskip(NEXT) | instid1(SALU_CYCLE_1)
	s_or_b32 s4, vcc_lo, s4
	s_and_b32 exec_lo, exec_lo, s4
	s_cbranch_execz .LBB3_8
; %bb.3:
	v_cmp_gt_f64_e32 vcc_lo, 0, v[8:9]
	v_cmp_gt_f64_e64 s4, 0, v[10:11]
	v_xor_b32_e32 v12, 0x80000000, v9
	v_xor_b32_e32 v14, 0x80000000, v11
                                        ; implicit-def: $vgpr22_vgpr23
	s_delay_alu instid0(VALU_DEP_2) | instskip(NEXT) | instid1(VALU_DEP_2)
	v_cndmask_b32_e32 v13, v9, v12, vcc_lo
	v_cndmask_b32_e64 v15, v11, v14, s4
	v_cndmask_b32_e32 v12, v8, v8, vcc_lo
	v_cndmask_b32_e64 v14, v10, v10, s4
	s_mov_b32 s4, exec_lo
	s_delay_alu instid0(VALU_DEP_1)
	v_cmpx_ngt_f64_e32 v[12:13], v[14:15]
	s_xor_b32 s4, exec_lo, s4
                                        ; implicit-def: $vgpr12_vgpr13_vgpr14_vgpr15
	s_cbranch_execz .LBB3_5
; %bb.4:
	v_div_scale_f64 v[12:13], null, v[10:11], v[10:11], v[8:9]
	v_div_scale_f64 v[27:28], vcc_lo, v[8:9], v[10:11], v[8:9]
	s_delay_alu instid0(VALU_DEP_2) | instskip(SKIP_2) | instid1(VALU_DEP_1)
	v_rcp_f64_e32 v[14:15], v[12:13]
	s_waitcnt_depctr 0xfff
	v_fma_f64 v[22:23], -v[12:13], v[14:15], 1.0
	v_fma_f64 v[14:15], v[14:15], v[22:23], v[14:15]
	s_delay_alu instid0(VALU_DEP_1) | instskip(NEXT) | instid1(VALU_DEP_1)
	v_fma_f64 v[22:23], -v[12:13], v[14:15], 1.0
	v_fma_f64 v[14:15], v[14:15], v[22:23], v[14:15]
	s_delay_alu instid0(VALU_DEP_1) | instskip(NEXT) | instid1(VALU_DEP_1)
	v_mul_f64 v[22:23], v[27:28], v[14:15]
	v_fma_f64 v[12:13], -v[12:13], v[22:23], v[27:28]
	s_delay_alu instid0(VALU_DEP_1) | instskip(NEXT) | instid1(VALU_DEP_1)
	v_div_fmas_f64 v[12:13], v[12:13], v[14:15], v[22:23]
	v_div_fixup_f64 v[12:13], v[12:13], v[10:11], v[8:9]
	s_delay_alu instid0(VALU_DEP_1) | instskip(NEXT) | instid1(VALU_DEP_1)
	v_fma_f64 v[8:9], v[8:9], v[12:13], v[10:11]
	v_div_scale_f64 v[10:11], null, v[8:9], v[8:9], 1.0
	s_delay_alu instid0(VALU_DEP_1) | instskip(SKIP_2) | instid1(VALU_DEP_1)
	v_rcp_f64_e32 v[14:15], v[10:11]
	s_waitcnt_depctr 0xfff
	v_fma_f64 v[22:23], -v[10:11], v[14:15], 1.0
	v_fma_f64 v[14:15], v[14:15], v[22:23], v[14:15]
	s_delay_alu instid0(VALU_DEP_1) | instskip(NEXT) | instid1(VALU_DEP_1)
	v_fma_f64 v[22:23], -v[10:11], v[14:15], 1.0
	v_fma_f64 v[14:15], v[14:15], v[22:23], v[14:15]
	v_div_scale_f64 v[22:23], vcc_lo, 1.0, v[8:9], 1.0
	s_delay_alu instid0(VALU_DEP_1) | instskip(NEXT) | instid1(VALU_DEP_1)
	v_mul_f64 v[27:28], v[22:23], v[14:15]
	v_fma_f64 v[10:11], -v[10:11], v[27:28], v[22:23]
	s_delay_alu instid0(VALU_DEP_1) | instskip(NEXT) | instid1(VALU_DEP_1)
	v_div_fmas_f64 v[10:11], v[10:11], v[14:15], v[27:28]
	v_div_fixup_f64 v[14:15], v[10:11], v[8:9], 1.0
                                        ; implicit-def: $vgpr8_vgpr9
	s_delay_alu instid0(VALU_DEP_1)
	v_mul_f64 v[22:23], v[12:13], v[14:15]
	v_xor_b32_e32 v15, 0x80000000, v15
.LBB3_5:
	s_and_not1_saveexec_b32 s4, s4
	s_cbranch_execz .LBB3_7
; %bb.6:
	v_div_scale_f64 v[12:13], null, v[8:9], v[8:9], v[10:11]
	v_div_scale_f64 v[27:28], vcc_lo, v[10:11], v[8:9], v[10:11]
	s_delay_alu instid0(VALU_DEP_2) | instskip(SKIP_2) | instid1(VALU_DEP_1)
	v_rcp_f64_e32 v[14:15], v[12:13]
	s_waitcnt_depctr 0xfff
	v_fma_f64 v[22:23], -v[12:13], v[14:15], 1.0
	v_fma_f64 v[14:15], v[14:15], v[22:23], v[14:15]
	s_delay_alu instid0(VALU_DEP_1) | instskip(NEXT) | instid1(VALU_DEP_1)
	v_fma_f64 v[22:23], -v[12:13], v[14:15], 1.0
	v_fma_f64 v[14:15], v[14:15], v[22:23], v[14:15]
	s_delay_alu instid0(VALU_DEP_1) | instskip(NEXT) | instid1(VALU_DEP_1)
	v_mul_f64 v[22:23], v[27:28], v[14:15]
	v_fma_f64 v[12:13], -v[12:13], v[22:23], v[27:28]
	s_delay_alu instid0(VALU_DEP_1) | instskip(NEXT) | instid1(VALU_DEP_1)
	v_div_fmas_f64 v[12:13], v[12:13], v[14:15], v[22:23]
	v_div_fixup_f64 v[12:13], v[12:13], v[8:9], v[10:11]
	s_delay_alu instid0(VALU_DEP_1) | instskip(NEXT) | instid1(VALU_DEP_1)
	v_fma_f64 v[8:9], v[10:11], v[12:13], v[8:9]
	v_div_scale_f64 v[10:11], null, v[8:9], v[8:9], 1.0
	s_delay_alu instid0(VALU_DEP_1) | instskip(SKIP_2) | instid1(VALU_DEP_1)
	v_rcp_f64_e32 v[14:15], v[10:11]
	s_waitcnt_depctr 0xfff
	v_fma_f64 v[22:23], -v[10:11], v[14:15], 1.0
	v_fma_f64 v[14:15], v[14:15], v[22:23], v[14:15]
	s_delay_alu instid0(VALU_DEP_1) | instskip(NEXT) | instid1(VALU_DEP_1)
	v_fma_f64 v[22:23], -v[10:11], v[14:15], 1.0
	v_fma_f64 v[14:15], v[14:15], v[22:23], v[14:15]
	v_div_scale_f64 v[22:23], vcc_lo, 1.0, v[8:9], 1.0
	s_delay_alu instid0(VALU_DEP_1) | instskip(NEXT) | instid1(VALU_DEP_1)
	v_mul_f64 v[27:28], v[22:23], v[14:15]
	v_fma_f64 v[10:11], -v[10:11], v[27:28], v[22:23]
	s_delay_alu instid0(VALU_DEP_1) | instskip(NEXT) | instid1(VALU_DEP_1)
	v_div_fmas_f64 v[10:11], v[10:11], v[14:15], v[27:28]
	v_div_fixup_f64 v[22:23], v[10:11], v[8:9], 1.0
	s_delay_alu instid0(VALU_DEP_1)
	v_mul_f64 v[14:15], v[12:13], -v[22:23]
.LBB3_7:
	s_or_b32 exec_lo, exec_lo, s4
	ds_store_2addr_b64 v25, v[22:23], v[14:15] offset1:1
.LBB3_8:
	s_or_b32 exec_lo, exec_lo, s6
	s_waitcnt vmcnt(0) lgkmcnt(0)
	s_barrier
	buffer_gl0_inv
	ds_load_2addr_b64 v[8:11], v25 offset1:1
	s_and_saveexec_b32 s4, s3
	s_cbranch_execz .LBB3_10
; %bb.9:
	s_waitcnt lgkmcnt(0)
	v_mul_f64 v[12:13], v[8:9], v[6:7]
	v_mul_f64 v[6:7], v[10:11], v[6:7]
	s_delay_alu instid0(VALU_DEP_2)
	v_fma_f64 v[22:23], v[10:11], v[4:5], v[12:13]
	ds_load_2addr_b64 v[12:15], v26 offset0:2 offset1:3
	v_fma_f64 v[4:5], v[8:9], v[4:5], -v[6:7]
	s_waitcnt lgkmcnt(0)
	v_mul_f64 v[6:7], v[14:15], v[22:23]
	v_mul_f64 v[26:27], v[12:13], v[22:23]
	s_delay_alu instid0(VALU_DEP_2) | instskip(NEXT) | instid1(VALU_DEP_2)
	v_fma_f64 v[6:7], v[12:13], v[4:5], -v[6:7]
	v_fma_f64 v[12:13], v[14:15], v[4:5], v[26:27]
	s_delay_alu instid0(VALU_DEP_2) | instskip(NEXT) | instid1(VALU_DEP_2)
	v_add_f64 v[0:1], v[0:1], -v[6:7]
	v_add_f64 v[2:3], v[2:3], -v[12:13]
	v_dual_mov_b32 v6, v22 :: v_dual_mov_b32 v7, v23
.LBB3_10:
	s_or_b32 exec_lo, exec_lo, s4
	s_delay_alu instid0(SALU_CYCLE_1)
	s_mov_b32 s4, exec_lo
	s_waitcnt lgkmcnt(0)
	s_barrier
	buffer_gl0_inv
	v_cmpx_eq_u32_e32 1, v24
	s_cbranch_execz .LBB3_17
; %bb.11:
	v_cmp_neq_f64_e32 vcc_lo, 0, v[0:1]
	v_cmp_neq_f64_e64 s3, 0, v[2:3]
	ds_store_2addr_b64 v25, v[0:1], v[2:3] offset1:1
	s_or_b32 s3, vcc_lo, s3
	s_delay_alu instid0(SALU_CYCLE_1)
	s_and_b32 exec_lo, exec_lo, s3
	s_cbranch_execz .LBB3_17
; %bb.12:
	v_cmp_gt_f64_e32 vcc_lo, 0, v[0:1]
	v_cmp_gt_f64_e64 s3, 0, v[2:3]
	v_xor_b32_e32 v12, 0x80000000, v1
	v_xor_b32_e32 v14, 0x80000000, v3
                                        ; implicit-def: $vgpr22_vgpr23
	s_delay_alu instid0(VALU_DEP_2) | instskip(NEXT) | instid1(VALU_DEP_2)
	v_cndmask_b32_e32 v13, v1, v12, vcc_lo
	v_cndmask_b32_e64 v15, v3, v14, s3
	v_cndmask_b32_e32 v12, v0, v0, vcc_lo
	v_cndmask_b32_e64 v14, v2, v2, s3
	s_mov_b32 s3, exec_lo
	s_delay_alu instid0(VALU_DEP_1)
	v_cmpx_ngt_f64_e32 v[12:13], v[14:15]
	s_xor_b32 s3, exec_lo, s3
                                        ; implicit-def: $vgpr12_vgpr13_vgpr14_vgpr15
	s_cbranch_execz .LBB3_14
; %bb.13:
	v_div_scale_f64 v[12:13], null, v[2:3], v[2:3], v[0:1]
	v_div_scale_f64 v[26:27], vcc_lo, v[0:1], v[2:3], v[0:1]
	s_delay_alu instid0(VALU_DEP_2) | instskip(SKIP_2) | instid1(VALU_DEP_1)
	v_rcp_f64_e32 v[14:15], v[12:13]
	s_waitcnt_depctr 0xfff
	v_fma_f64 v[22:23], -v[12:13], v[14:15], 1.0
	v_fma_f64 v[14:15], v[14:15], v[22:23], v[14:15]
	s_delay_alu instid0(VALU_DEP_1) | instskip(NEXT) | instid1(VALU_DEP_1)
	v_fma_f64 v[22:23], -v[12:13], v[14:15], 1.0
	v_fma_f64 v[14:15], v[14:15], v[22:23], v[14:15]
	s_delay_alu instid0(VALU_DEP_1) | instskip(NEXT) | instid1(VALU_DEP_1)
	v_mul_f64 v[22:23], v[26:27], v[14:15]
	v_fma_f64 v[12:13], -v[12:13], v[22:23], v[26:27]
	s_delay_alu instid0(VALU_DEP_1) | instskip(NEXT) | instid1(VALU_DEP_1)
	v_div_fmas_f64 v[12:13], v[12:13], v[14:15], v[22:23]
	v_div_fixup_f64 v[12:13], v[12:13], v[2:3], v[0:1]
	s_delay_alu instid0(VALU_DEP_1) | instskip(NEXT) | instid1(VALU_DEP_1)
	v_fma_f64 v[14:15], v[0:1], v[12:13], v[2:3]
	v_div_scale_f64 v[22:23], null, v[14:15], v[14:15], 1.0
	s_delay_alu instid0(VALU_DEP_1) | instskip(SKIP_2) | instid1(VALU_DEP_1)
	v_rcp_f64_e32 v[26:27], v[22:23]
	s_waitcnt_depctr 0xfff
	v_fma_f64 v[28:29], -v[22:23], v[26:27], 1.0
	v_fma_f64 v[26:27], v[26:27], v[28:29], v[26:27]
	s_delay_alu instid0(VALU_DEP_1) | instskip(NEXT) | instid1(VALU_DEP_1)
	v_fma_f64 v[28:29], -v[22:23], v[26:27], 1.0
	v_fma_f64 v[26:27], v[26:27], v[28:29], v[26:27]
	v_div_scale_f64 v[28:29], vcc_lo, 1.0, v[14:15], 1.0
	s_delay_alu instid0(VALU_DEP_1) | instskip(NEXT) | instid1(VALU_DEP_1)
	v_mul_f64 v[30:31], v[28:29], v[26:27]
	v_fma_f64 v[22:23], -v[22:23], v[30:31], v[28:29]
	s_delay_alu instid0(VALU_DEP_1) | instskip(NEXT) | instid1(VALU_DEP_1)
	v_div_fmas_f64 v[22:23], v[22:23], v[26:27], v[30:31]
	v_div_fixup_f64 v[14:15], v[22:23], v[14:15], 1.0
	s_delay_alu instid0(VALU_DEP_1)
	v_mul_f64 v[22:23], v[12:13], v[14:15]
	v_xor_b32_e32 v15, 0x80000000, v15
.LBB3_14:
	s_and_not1_saveexec_b32 s3, s3
	s_cbranch_execz .LBB3_16
; %bb.15:
	v_div_scale_f64 v[12:13], null, v[0:1], v[0:1], v[2:3]
	v_div_scale_f64 v[26:27], vcc_lo, v[2:3], v[0:1], v[2:3]
	s_delay_alu instid0(VALU_DEP_2) | instskip(SKIP_2) | instid1(VALU_DEP_1)
	v_rcp_f64_e32 v[14:15], v[12:13]
	s_waitcnt_depctr 0xfff
	v_fma_f64 v[22:23], -v[12:13], v[14:15], 1.0
	v_fma_f64 v[14:15], v[14:15], v[22:23], v[14:15]
	s_delay_alu instid0(VALU_DEP_1) | instskip(NEXT) | instid1(VALU_DEP_1)
	v_fma_f64 v[22:23], -v[12:13], v[14:15], 1.0
	v_fma_f64 v[14:15], v[14:15], v[22:23], v[14:15]
	s_delay_alu instid0(VALU_DEP_1) | instskip(NEXT) | instid1(VALU_DEP_1)
	v_mul_f64 v[22:23], v[26:27], v[14:15]
	v_fma_f64 v[12:13], -v[12:13], v[22:23], v[26:27]
	s_delay_alu instid0(VALU_DEP_1) | instskip(NEXT) | instid1(VALU_DEP_1)
	v_div_fmas_f64 v[12:13], v[12:13], v[14:15], v[22:23]
	v_div_fixup_f64 v[12:13], v[12:13], v[0:1], v[2:3]
	s_delay_alu instid0(VALU_DEP_1) | instskip(NEXT) | instid1(VALU_DEP_1)
	v_fma_f64 v[14:15], v[2:3], v[12:13], v[0:1]
	v_div_scale_f64 v[22:23], null, v[14:15], v[14:15], 1.0
	s_delay_alu instid0(VALU_DEP_1) | instskip(SKIP_2) | instid1(VALU_DEP_1)
	v_rcp_f64_e32 v[26:27], v[22:23]
	s_waitcnt_depctr 0xfff
	v_fma_f64 v[28:29], -v[22:23], v[26:27], 1.0
	v_fma_f64 v[26:27], v[26:27], v[28:29], v[26:27]
	s_delay_alu instid0(VALU_DEP_1) | instskip(NEXT) | instid1(VALU_DEP_1)
	v_fma_f64 v[28:29], -v[22:23], v[26:27], 1.0
	v_fma_f64 v[26:27], v[26:27], v[28:29], v[26:27]
	v_div_scale_f64 v[28:29], vcc_lo, 1.0, v[14:15], 1.0
	s_delay_alu instid0(VALU_DEP_1) | instskip(NEXT) | instid1(VALU_DEP_1)
	v_mul_f64 v[30:31], v[28:29], v[26:27]
	v_fma_f64 v[22:23], -v[22:23], v[30:31], v[28:29]
	s_delay_alu instid0(VALU_DEP_1) | instskip(NEXT) | instid1(VALU_DEP_1)
	v_div_fmas_f64 v[22:23], v[22:23], v[26:27], v[30:31]
	v_div_fixup_f64 v[22:23], v[22:23], v[14:15], 1.0
	s_delay_alu instid0(VALU_DEP_1)
	v_mul_f64 v[14:15], v[12:13], -v[22:23]
.LBB3_16:
	s_or_b32 exec_lo, exec_lo, s3
	ds_store_2addr_b64 v25, v[22:23], v[14:15] offset1:1
.LBB3_17:
	s_or_b32 exec_lo, exec_lo, s4
	s_waitcnt lgkmcnt(0)
	s_barrier
	buffer_gl0_inv
	ds_load_2addr_b64 v[12:15], v25 offset1:1
	s_mov_b32 s3, exec_lo
	v_cmpx_lt_u32_e32 1, v24
	s_cbranch_execz .LBB3_19
; %bb.18:
	s_waitcnt lgkmcnt(0)
	v_mul_f64 v[22:23], v[14:15], v[2:3]
	v_mul_f64 v[2:3], v[12:13], v[2:3]
	s_delay_alu instid0(VALU_DEP_2) | instskip(NEXT) | instid1(VALU_DEP_2)
	v_fma_f64 v[22:23], v[12:13], v[0:1], -v[22:23]
	v_fma_f64 v[2:3], v[14:15], v[0:1], v[2:3]
	s_delay_alu instid0(VALU_DEP_2)
	v_dual_mov_b32 v0, v22 :: v_dual_mov_b32 v1, v23
.LBB3_19:
	s_or_b32 exec_lo, exec_lo, s3
	s_waitcnt lgkmcnt(0)
	s_barrier
	buffer_gl0_inv
	s_and_saveexec_b32 s3, s2
	s_cbranch_execz .LBB3_22
; %bb.20:
	s_load_b64 s[0:1], s[0:1], 0x28
	v_lshlrev_b64 v[18:19], 2, v[18:19]
	v_cmp_neq_f64_e64 s2, 0, v[14:15]
	s_waitcnt lgkmcnt(0)
	s_delay_alu instid0(VALU_DEP_2) | instskip(NEXT) | instid1(VALU_DEP_3)
	v_add_co_u32 v18, vcc_lo, s0, v18
	v_add_co_ci_u32_e32 v19, vcc_lo, s1, v19, vcc_lo
	v_cmp_eq_f64_e32 vcc_lo, 0, v[8:9]
	v_cmp_eq_f64_e64 s0, 0, v[10:11]
	v_cmp_neq_f64_e64 s1, 0, v[12:13]
	global_load_b32 v22, v[18:19], off
	s_and_b32 s4, vcc_lo, s0
	s_or_b32 s0, s1, s2
	s_delay_alu instid0(SALU_CYCLE_1) | instskip(NEXT) | instid1(SALU_CYCLE_1)
	s_or_b32 vcc_lo, s0, s4
	s_xor_b32 s1, vcc_lo, -1
	s_delay_alu instid0(SALU_CYCLE_1) | instskip(SKIP_2) | instid1(VALU_DEP_1)
	s_or_b32 s1, s1, s4
	s_waitcnt vmcnt(0)
	v_cmp_eq_u32_e64 s0, 0, v22
	s_and_b32 s0, s0, s1
	s_delay_alu instid0(SALU_CYCLE_1)
	s_and_b32 exec_lo, exec_lo, s0
	s_cbranch_execz .LBB3_22
; %bb.21:
	v_cndmask_b32_e64 v8, 0, 1, s4
	s_delay_alu instid0(VALU_DEP_1) | instskip(NEXT) | instid1(VALU_DEP_1)
	v_cndmask_b32_e32 v8, 2, v8, vcc_lo
	v_add_nc_u32_e32 v8, s5, v8
	global_store_b32 v[18:19], v8, off
.LBB3_22:
	s_or_b32 exec_lo, exec_lo, s3
	s_clause 0x1
	global_store_b128 v[16:17], v[4:7], off
	global_store_b128 v[20:21], v[0:3], off
.LBB3_23:
	s_nop 0
	s_sendmsg sendmsg(MSG_DEALLOC_VGPRS)
	s_endpgm
	.section	.rodata,"a",@progbits
	.p2align	6, 0x0
	.amdhsa_kernel _ZN9rocsolver6v33100L23getf2_npvt_small_kernelILi2E19rocblas_complex_numIdEiiPKPS3_EEvT1_T3_lS7_lPT2_S7_S7_
		.amdhsa_group_segment_fixed_size 0
		.amdhsa_private_segment_fixed_size 0
		.amdhsa_kernarg_size 312
		.amdhsa_user_sgpr_count 14
		.amdhsa_user_sgpr_dispatch_ptr 0
		.amdhsa_user_sgpr_queue_ptr 0
		.amdhsa_user_sgpr_kernarg_segment_ptr 1
		.amdhsa_user_sgpr_dispatch_id 0
		.amdhsa_user_sgpr_private_segment_size 0
		.amdhsa_wavefront_size32 1
		.amdhsa_uses_dynamic_stack 0
		.amdhsa_enable_private_segment 0
		.amdhsa_system_sgpr_workgroup_id_x 1
		.amdhsa_system_sgpr_workgroup_id_y 1
		.amdhsa_system_sgpr_workgroup_id_z 0
		.amdhsa_system_sgpr_workgroup_info 0
		.amdhsa_system_vgpr_workitem_id 1
		.amdhsa_next_free_vgpr 32
		.amdhsa_next_free_sgpr 16
		.amdhsa_reserve_vcc 1
		.amdhsa_float_round_mode_32 0
		.amdhsa_float_round_mode_16_64 0
		.amdhsa_float_denorm_mode_32 3
		.amdhsa_float_denorm_mode_16_64 3
		.amdhsa_dx10_clamp 1
		.amdhsa_ieee_mode 1
		.amdhsa_fp16_overflow 0
		.amdhsa_workgroup_processor_mode 1
		.amdhsa_memory_ordered 1
		.amdhsa_forward_progress 0
		.amdhsa_shared_vgpr_count 0
		.amdhsa_exception_fp_ieee_invalid_op 0
		.amdhsa_exception_fp_denorm_src 0
		.amdhsa_exception_fp_ieee_div_zero 0
		.amdhsa_exception_fp_ieee_overflow 0
		.amdhsa_exception_fp_ieee_underflow 0
		.amdhsa_exception_fp_ieee_inexact 0
		.amdhsa_exception_int_div_zero 0
	.end_amdhsa_kernel
	.section	.text._ZN9rocsolver6v33100L23getf2_npvt_small_kernelILi2E19rocblas_complex_numIdEiiPKPS3_EEvT1_T3_lS7_lPT2_S7_S7_,"axG",@progbits,_ZN9rocsolver6v33100L23getf2_npvt_small_kernelILi2E19rocblas_complex_numIdEiiPKPS3_EEvT1_T3_lS7_lPT2_S7_S7_,comdat
.Lfunc_end3:
	.size	_ZN9rocsolver6v33100L23getf2_npvt_small_kernelILi2E19rocblas_complex_numIdEiiPKPS3_EEvT1_T3_lS7_lPT2_S7_S7_, .Lfunc_end3-_ZN9rocsolver6v33100L23getf2_npvt_small_kernelILi2E19rocblas_complex_numIdEiiPKPS3_EEvT1_T3_lS7_lPT2_S7_S7_
                                        ; -- End function
	.section	.AMDGPU.csdata,"",@progbits
; Kernel info:
; codeLenInByte = 2004
; NumSgprs: 18
; NumVgprs: 32
; ScratchSize: 0
; MemoryBound: 0
; FloatMode: 240
; IeeeMode: 1
; LDSByteSize: 0 bytes/workgroup (compile time only)
; SGPRBlocks: 2
; VGPRBlocks: 3
; NumSGPRsForWavesPerEU: 18
; NumVGPRsForWavesPerEU: 32
; Occupancy: 16
; WaveLimiterHint : 1
; COMPUTE_PGM_RSRC2:SCRATCH_EN: 0
; COMPUTE_PGM_RSRC2:USER_SGPR: 14
; COMPUTE_PGM_RSRC2:TRAP_HANDLER: 0
; COMPUTE_PGM_RSRC2:TGID_X_EN: 1
; COMPUTE_PGM_RSRC2:TGID_Y_EN: 1
; COMPUTE_PGM_RSRC2:TGID_Z_EN: 0
; COMPUTE_PGM_RSRC2:TIDIG_COMP_CNT: 1
	.section	.text._ZN9rocsolver6v33100L18getf2_small_kernelILi3E19rocblas_complex_numIdEiiPKPS3_EEvT1_T3_lS7_lPS7_llPT2_S7_S7_S9_l,"axG",@progbits,_ZN9rocsolver6v33100L18getf2_small_kernelILi3E19rocblas_complex_numIdEiiPKPS3_EEvT1_T3_lS7_lPS7_llPT2_S7_S7_S9_l,comdat
	.globl	_ZN9rocsolver6v33100L18getf2_small_kernelILi3E19rocblas_complex_numIdEiiPKPS3_EEvT1_T3_lS7_lPS7_llPT2_S7_S7_S9_l ; -- Begin function _ZN9rocsolver6v33100L18getf2_small_kernelILi3E19rocblas_complex_numIdEiiPKPS3_EEvT1_T3_lS7_lPS7_llPT2_S7_S7_S9_l
	.p2align	8
	.type	_ZN9rocsolver6v33100L18getf2_small_kernelILi3E19rocblas_complex_numIdEiiPKPS3_EEvT1_T3_lS7_lPS7_llPT2_S7_S7_S9_l,@function
_ZN9rocsolver6v33100L18getf2_small_kernelILi3E19rocblas_complex_numIdEiiPKPS3_EEvT1_T3_lS7_lPS7_llPT2_S7_S7_S9_l: ; @_ZN9rocsolver6v33100L18getf2_small_kernelILi3E19rocblas_complex_numIdEiiPKPS3_EEvT1_T3_lS7_lPS7_llPT2_S7_S7_S9_l
; %bb.0:
	s_clause 0x1
	s_load_b32 s2, s[0:1], 0x6c
	s_load_b64 s[12:13], s[0:1], 0x48
	v_bfe_u32 v12, v0, 10, 10
	s_waitcnt lgkmcnt(0)
	s_lshr_b32 s2, s2, 16
	s_delay_alu instid0(VALU_DEP_1) | instid1(SALU_CYCLE_1)
	v_mad_u64_u32 v[16:17], null, s15, s2, v[12:13]
	s_mov_b32 s2, exec_lo
	s_delay_alu instid0(VALU_DEP_1)
	v_cmpx_gt_i32_e64 s12, v16
	s_cbranch_execz .LBB4_66
; %bb.1:
	s_clause 0x1
	s_load_b128 s[4:7], s[0:1], 0x8
	s_load_b128 s[8:11], s[0:1], 0x50
	v_ashrrev_i32_e32 v17, 31, v16
	v_mov_b32_e32 v18, 0
	v_mov_b32_e32 v19, 0
	s_delay_alu instid0(VALU_DEP_3) | instskip(SKIP_1) | instid1(VALU_DEP_1)
	v_lshlrev_b64 v[1:2], 3, v[16:17]
	s_waitcnt lgkmcnt(0)
	v_add_co_u32 v1, vcc_lo, s4, v1
	s_delay_alu instid0(VALU_DEP_2)
	v_add_co_ci_u32_e32 v2, vcc_lo, s5, v2, vcc_lo
	s_cmp_eq_u64 s[8:9], 0
	s_cselect_b32 s4, -1, 0
	global_load_b64 v[1:2], v[1:2], off
	s_and_b32 vcc_lo, exec_lo, s4
	s_cbranch_vccnz .LBB4_3
; %bb.2:
	v_mul_lo_u32 v5, v17, s10
	v_mul_lo_u32 v6, v16, s11
	v_mad_u64_u32 v[3:4], null, v16, s10, 0
	s_delay_alu instid0(VALU_DEP_1) | instskip(NEXT) | instid1(VALU_DEP_1)
	v_add3_u32 v4, v4, v6, v5
	v_lshlrev_b64 v[3:4], 2, v[3:4]
	s_delay_alu instid0(VALU_DEP_1) | instskip(NEXT) | instid1(VALU_DEP_2)
	v_add_co_u32 v18, vcc_lo, s8, v3
	v_add_co_ci_u32_e32 v19, vcc_lo, s9, v4, vcc_lo
.LBB4_3:
	s_clause 0x1
	s_load_b32 s8, s[0:1], 0x18
	s_load_b32 s5, s[0:1], 0x0
	v_dual_mov_b32 v20, 0 :: v_dual_and_b32 v25, 0x3ff, v0
	s_lshl_b64 s[2:3], s[6:7], 4
	s_waitcnt vmcnt(0)
	v_add_co_u32 v23, vcc_lo, v1, s2
	s_delay_alu instid0(VALU_DEP_2) | instskip(SKIP_1) | instid1(VALU_DEP_2)
	v_lshlrev_b32_e32 v13, 4, v25
	v_add_co_ci_u32_e32 v24, vcc_lo, s3, v2, vcc_lo
	v_add_co_u32 v4, vcc_lo, v23, v13
	s_delay_alu instid0(VALU_DEP_2)
	v_add_co_ci_u32_e32 v5, vcc_lo, 0, v24, vcc_lo
	global_load_b128 v[0:3], v[4:5], off
	s_waitcnt lgkmcnt(0)
	v_add3_u32 v6, s8, s8, v25
	s_ashr_i32 s9, s8, 31
	s_max_i32 s2, s5, 3
	s_lshl_b64 s[10:11], s[8:9], 4
	v_mul_lo_u32 v21, s2, v12
	v_ashrrev_i32_e32 v7, 31, v6
	v_add_co_u32 v4, vcc_lo, v4, s10
	v_add_co_ci_u32_e32 v5, vcc_lo, s11, v5, vcc_lo
	s_delay_alu instid0(VALU_DEP_3) | instskip(SKIP_3) | instid1(VALU_DEP_3)
	v_lshlrev_b64 v[6:7], 4, v[6:7]
	s_cmp_lt_i32 s5, 2
	v_lshl_add_u32 v22, v21, 4, 0
	v_lshlrev_b32_e32 v27, 4, v21
	v_add_co_u32 v6, vcc_lo, v23, v6
	s_delay_alu instid0(VALU_DEP_4) | instskip(NEXT) | instid1(VALU_DEP_4)
	v_add_co_ci_u32_e32 v7, vcc_lo, v24, v7, vcc_lo
	v_add_nc_u32_e32 v12, v22, v13
	s_clause 0x1
	global_load_b128 v[8:11], v[4:5], off
	global_load_b128 v[4:7], v[6:7], off
	s_waitcnt vmcnt(2)
	ds_store_2addr_b64 v12, v[0:1], v[2:3] offset1:1
	s_waitcnt vmcnt(0) lgkmcnt(0)
	s_barrier
	buffer_gl0_inv
	ds_load_2addr_b64 v[12:15], v22 offset1:1
	s_cbranch_scc1 .LBB4_6
; %bb.4:
	v_add3_u32 v21, v27, 0, 16
	v_mov_b32_e32 v20, 0
	s_mov_b32 s6, 1
	s_set_inst_prefetch_distance 0x1
	.p2align	6
.LBB4_5:                                ; =>This Inner Loop Header: Depth=1
	ds_load_2addr_b64 v[28:31], v21 offset1:1
	s_waitcnt lgkmcnt(1)
	v_cmp_gt_f64_e32 vcc_lo, 0, v[12:13]
	v_xor_b32_e32 v26, 0x80000000, v13
	v_cmp_gt_f64_e64 s2, 0, v[14:15]
	v_xor_b32_e32 v32, 0x80000000, v15
	v_add_nc_u32_e32 v21, 16, v21
	s_waitcnt lgkmcnt(0)
	v_cmp_gt_f64_e64 s3, 0, v[28:29]
	v_mov_b32_e32 v36, v28
	v_dual_mov_b32 v38, v30 :: v_dual_cndmask_b32 v33, v13, v26
	v_xor_b32_e32 v26, 0x80000000, v29
	v_cndmask_b32_e64 v35, v15, v32, s2
	v_xor_b32_e32 v32, 0x80000000, v31
	v_cndmask_b32_e64 v34, v14, v14, s2
	s_delay_alu instid0(VALU_DEP_4) | instskip(SKIP_1) | instid1(VALU_DEP_1)
	v_cndmask_b32_e64 v37, v29, v26, s3
	v_cmp_gt_f64_e64 s3, 0, v[30:31]
	v_cndmask_b32_e64 v39, v31, v32, s3
	v_cndmask_b32_e32 v32, v12, v12, vcc_lo
	s_delay_alu instid0(VALU_DEP_2) | instskip(NEXT) | instid1(VALU_DEP_2)
	v_add_f64 v[36:37], v[36:37], v[38:39]
	v_add_f64 v[32:33], v[32:33], v[34:35]
	s_delay_alu instid0(VALU_DEP_1)
	v_cmp_lt_f64_e32 vcc_lo, v[32:33], v[36:37]
	v_cndmask_b32_e32 v15, v15, v31, vcc_lo
	v_dual_cndmask_b32 v13, v13, v29 :: v_dual_cndmask_b32 v12, v12, v28
	v_cndmask_b32_e32 v14, v14, v30, vcc_lo
	v_cndmask_b32_e64 v20, v20, s6, vcc_lo
	s_add_i32 s6, s6, 1
	s_delay_alu instid0(SALU_CYCLE_1)
	s_cmp_eq_u32 s5, s6
	s_cbranch_scc0 .LBB4_5
.LBB4_6:
	s_set_inst_prefetch_distance 0x2
	s_waitcnt lgkmcnt(0)
	v_cmp_neq_f64_e32 vcc_lo, 0, v[12:13]
	v_cmp_neq_f64_e64 s2, 0, v[14:15]
	v_dual_mov_b32 v26, 1 :: v_dual_mov_b32 v29, 1
	s_delay_alu instid0(VALU_DEP_2) | instskip(NEXT) | instid1(SALU_CYCLE_1)
	s_or_b32 s2, vcc_lo, s2
	s_and_saveexec_b32 s3, s2
	s_cbranch_execz .LBB4_12
; %bb.7:
	v_cmp_gt_f64_e32 vcc_lo, 0, v[12:13]
	v_cmp_gt_f64_e64 s2, 0, v[14:15]
	v_xor_b32_e32 v21, 0x80000000, v13
	v_xor_b32_e32 v26, 0x80000000, v15
                                        ; implicit-def: $sgpr6
                                        ; implicit-def: $sgpr7
	s_delay_alu instid0(VALU_DEP_2) | instskip(NEXT) | instid1(VALU_DEP_2)
	v_dual_cndmask_b32 v29, v13, v21 :: v_dual_cndmask_b32 v28, v12, v12
	v_cndmask_b32_e64 v31, v15, v26, s2
	v_cndmask_b32_e64 v30, v14, v14, s2
	s_mov_b32 s2, exec_lo
	s_delay_alu instid0(VALU_DEP_1)
	v_cmpx_ngt_f64_e32 v[28:29], v[30:31]
	s_xor_b32 s2, exec_lo, s2
	s_cbranch_execz .LBB4_9
; %bb.8:
	v_div_scale_f64 v[28:29], null, v[14:15], v[14:15], v[12:13]
	v_div_scale_f64 v[34:35], vcc_lo, v[12:13], v[14:15], v[12:13]
	s_mov_b32 s7, 2
	s_mov_b32 s6, 0
	s_delay_alu instid0(VALU_DEP_2) | instskip(SKIP_2) | instid1(VALU_DEP_1)
	v_rcp_f64_e32 v[30:31], v[28:29]
	s_waitcnt_depctr 0xfff
	v_fma_f64 v[32:33], -v[28:29], v[30:31], 1.0
	v_fma_f64 v[30:31], v[30:31], v[32:33], v[30:31]
	s_delay_alu instid0(VALU_DEP_1) | instskip(NEXT) | instid1(VALU_DEP_1)
	v_fma_f64 v[32:33], -v[28:29], v[30:31], 1.0
	v_fma_f64 v[30:31], v[30:31], v[32:33], v[30:31]
	s_delay_alu instid0(VALU_DEP_1) | instskip(NEXT) | instid1(VALU_DEP_1)
	v_mul_f64 v[32:33], v[34:35], v[30:31]
	v_fma_f64 v[28:29], -v[28:29], v[32:33], v[34:35]
	s_delay_alu instid0(VALU_DEP_1) | instskip(NEXT) | instid1(VALU_DEP_1)
	v_div_fmas_f64 v[28:29], v[28:29], v[30:31], v[32:33]
	v_div_fixup_f64 v[28:29], v[28:29], v[14:15], v[12:13]
	s_delay_alu instid0(VALU_DEP_1) | instskip(NEXT) | instid1(VALU_DEP_1)
	v_fma_f64 v[12:13], v[12:13], v[28:29], v[14:15]
	v_div_scale_f64 v[14:15], null, v[12:13], v[12:13], 1.0
	s_delay_alu instid0(VALU_DEP_1) | instskip(SKIP_2) | instid1(VALU_DEP_1)
	v_rcp_f64_e32 v[30:31], v[14:15]
	s_waitcnt_depctr 0xfff
	v_fma_f64 v[32:33], -v[14:15], v[30:31], 1.0
	v_fma_f64 v[30:31], v[30:31], v[32:33], v[30:31]
	s_delay_alu instid0(VALU_DEP_1) | instskip(NEXT) | instid1(VALU_DEP_1)
	v_fma_f64 v[32:33], -v[14:15], v[30:31], 1.0
	v_fma_f64 v[30:31], v[30:31], v[32:33], v[30:31]
	v_div_scale_f64 v[32:33], vcc_lo, 1.0, v[12:13], 1.0
	s_delay_alu instid0(VALU_DEP_1) | instskip(NEXT) | instid1(VALU_DEP_1)
	v_mul_f64 v[34:35], v[32:33], v[30:31]
	v_fma_f64 v[14:15], -v[14:15], v[34:35], v[32:33]
	s_delay_alu instid0(VALU_DEP_1) | instskip(NEXT) | instid1(VALU_DEP_1)
	v_div_fmas_f64 v[14:15], v[14:15], v[30:31], v[34:35]
	v_div_fixup_f64 v[14:15], v[14:15], v[12:13], 1.0
	s_delay_alu instid0(VALU_DEP_1)
	v_mul_f64 v[12:13], v[28:29], v[14:15]
	v_xor_b32_e32 v15, 0x80000000, v15
.LBB4_9:
	s_or_saveexec_b32 s2, s2
	v_dual_mov_b32 v29, s6 :: v_dual_mov_b32 v26, s7
	s_xor_b32 exec_lo, exec_lo, s2
	s_cbranch_execz .LBB4_11
; %bb.10:
	s_delay_alu instid0(VALU_DEP_3) | instskip(SKIP_2) | instid1(VALU_DEP_3)
	v_div_scale_f64 v[28:29], null, v[12:13], v[12:13], v[14:15]
	v_div_scale_f64 v[34:35], vcc_lo, v[14:15], v[12:13], v[14:15]
	v_mov_b32_e32 v26, 2
	v_rcp_f64_e32 v[30:31], v[28:29]
	s_waitcnt_depctr 0xfff
	v_fma_f64 v[32:33], -v[28:29], v[30:31], 1.0
	s_delay_alu instid0(VALU_DEP_1) | instskip(NEXT) | instid1(VALU_DEP_1)
	v_fma_f64 v[30:31], v[30:31], v[32:33], v[30:31]
	v_fma_f64 v[32:33], -v[28:29], v[30:31], 1.0
	s_delay_alu instid0(VALU_DEP_1) | instskip(NEXT) | instid1(VALU_DEP_1)
	v_fma_f64 v[30:31], v[30:31], v[32:33], v[30:31]
	v_mul_f64 v[32:33], v[34:35], v[30:31]
	s_delay_alu instid0(VALU_DEP_1) | instskip(NEXT) | instid1(VALU_DEP_1)
	v_fma_f64 v[28:29], -v[28:29], v[32:33], v[34:35]
	v_div_fmas_f64 v[28:29], v[28:29], v[30:31], v[32:33]
	s_delay_alu instid0(VALU_DEP_1) | instskip(NEXT) | instid1(VALU_DEP_1)
	v_div_fixup_f64 v[28:29], v[28:29], v[12:13], v[14:15]
	v_fma_f64 v[12:13], v[14:15], v[28:29], v[12:13]
	s_delay_alu instid0(VALU_DEP_1) | instskip(NEXT) | instid1(VALU_DEP_1)
	v_div_scale_f64 v[14:15], null, v[12:13], v[12:13], 1.0
	v_rcp_f64_e32 v[30:31], v[14:15]
	s_waitcnt_depctr 0xfff
	v_fma_f64 v[32:33], -v[14:15], v[30:31], 1.0
	s_delay_alu instid0(VALU_DEP_1) | instskip(NEXT) | instid1(VALU_DEP_1)
	v_fma_f64 v[30:31], v[30:31], v[32:33], v[30:31]
	v_fma_f64 v[32:33], -v[14:15], v[30:31], 1.0
	s_delay_alu instid0(VALU_DEP_1) | instskip(SKIP_1) | instid1(VALU_DEP_1)
	v_fma_f64 v[30:31], v[30:31], v[32:33], v[30:31]
	v_div_scale_f64 v[32:33], vcc_lo, 1.0, v[12:13], 1.0
	v_mul_f64 v[34:35], v[32:33], v[30:31]
	s_delay_alu instid0(VALU_DEP_1) | instskip(NEXT) | instid1(VALU_DEP_1)
	v_fma_f64 v[14:15], -v[14:15], v[34:35], v[32:33]
	v_div_fmas_f64 v[14:15], v[14:15], v[30:31], v[34:35]
	s_delay_alu instid0(VALU_DEP_1) | instskip(NEXT) | instid1(VALU_DEP_1)
	v_div_fixup_f64 v[12:13], v[14:15], v[12:13], 1.0
	v_mul_f64 v[14:15], v[28:29], -v[12:13]
	v_mov_b32_e32 v29, 0
.LBB4_11:
	s_or_b32 exec_lo, exec_lo, s2
.LBB4_12:
	s_delay_alu instid0(SALU_CYCLE_1) | instskip(NEXT) | instid1(SALU_CYCLE_1)
	s_or_b32 exec_lo, exec_lo, s3
	s_mov_b32 s2, exec_lo
	v_cmpx_ne_u32_e64 v25, v20
	s_xor_b32 s2, exec_lo, s2
	s_cbranch_execz .LBB4_18
; %bb.13:
	s_mov_b32 s3, exec_lo
	v_cmpx_eq_u32_e32 0, v25
	s_cbranch_execz .LBB4_17
; %bb.14:
	v_cmp_ne_u32_e32 vcc_lo, 0, v20
	s_xor_b32 s6, s4, -1
	s_delay_alu instid0(SALU_CYCLE_1) | instskip(NEXT) | instid1(SALU_CYCLE_1)
	s_and_b32 s7, s6, vcc_lo
	s_and_saveexec_b32 s6, s7
	s_cbranch_execz .LBB4_16
; %bb.15:
	v_ashrrev_i32_e32 v21, 31, v20
	s_delay_alu instid0(VALU_DEP_1) | instskip(NEXT) | instid1(VALU_DEP_1)
	v_lshlrev_b64 v[30:31], 2, v[20:21]
	v_add_co_u32 v30, vcc_lo, v18, v30
	s_delay_alu instid0(VALU_DEP_2)
	v_add_co_ci_u32_e32 v31, vcc_lo, v19, v31, vcc_lo
	s_clause 0x1
	flat_load_b32 v21, v[30:31]
	flat_load_b32 v25, v[18:19]
	s_waitcnt vmcnt(1) lgkmcnt(1)
	flat_store_b32 v[18:19], v21
	s_waitcnt vmcnt(0) lgkmcnt(1)
	flat_store_b32 v[30:31], v25
.LBB4_16:
	s_or_b32 exec_lo, exec_lo, s6
	v_mov_b32_e32 v25, v20
.LBB4_17:
	s_or_b32 exec_lo, exec_lo, s3
.LBB4_18:
	s_or_saveexec_b32 s2, s2
	s_delay_alu instid0(VALU_DEP_1)
	v_mov_b32_e32 v28, v25
	s_xor_b32 exec_lo, exec_lo, s2
	s_cbranch_execz .LBB4_20
; %bb.19:
	v_mov_b32_e32 v28, 0
	ds_store_2addr_b64 v22, v[8:9], v[10:11] offset0:2 offset1:3
	ds_store_2addr_b64 v22, v[4:5], v[6:7] offset0:4 offset1:5
.LBB4_20:
	s_or_b32 exec_lo, exec_lo, s2
	s_delay_alu instid0(SALU_CYCLE_1)
	s_mov_b32 s2, exec_lo
	s_waitcnt lgkmcnt(0)
	s_waitcnt_vscnt null, 0x0
	s_barrier
	buffer_gl0_inv
	v_cmpx_lt_i32_e32 0, v28
	s_cbranch_execz .LBB4_22
; %bb.21:
	v_mul_f64 v[20:21], v[12:13], v[2:3]
	v_mul_f64 v[2:3], v[14:15], v[2:3]
	ds_load_2addr_b64 v[30:33], v22 offset0:2 offset1:3
	ds_load_2addr_b64 v[34:37], v22 offset0:4 offset1:5
	v_fma_f64 v[14:15], v[14:15], v[0:1], v[20:21]
	v_fma_f64 v[0:1], v[12:13], v[0:1], -v[2:3]
	s_waitcnt lgkmcnt(1)
	s_delay_alu instid0(VALU_DEP_2) | instskip(SKIP_4) | instid1(VALU_DEP_4)
	v_mul_f64 v[2:3], v[32:33], v[14:15]
	v_mul_f64 v[12:13], v[30:31], v[14:15]
	s_waitcnt lgkmcnt(0)
	v_mul_f64 v[20:21], v[36:37], v[14:15]
	v_mul_f64 v[38:39], v[34:35], v[14:15]
	v_fma_f64 v[2:3], v[30:31], v[0:1], -v[2:3]
	s_delay_alu instid0(VALU_DEP_4) | instskip(NEXT) | instid1(VALU_DEP_4)
	v_fma_f64 v[12:13], v[32:33], v[0:1], v[12:13]
	v_fma_f64 v[20:21], v[34:35], v[0:1], -v[20:21]
	s_delay_alu instid0(VALU_DEP_4) | instskip(NEXT) | instid1(VALU_DEP_4)
	v_fma_f64 v[30:31], v[36:37], v[0:1], v[38:39]
	v_add_f64 v[8:9], v[8:9], -v[2:3]
	s_delay_alu instid0(VALU_DEP_4) | instskip(NEXT) | instid1(VALU_DEP_4)
	v_add_f64 v[10:11], v[10:11], -v[12:13]
	v_add_f64 v[4:5], v[4:5], -v[20:21]
	s_delay_alu instid0(VALU_DEP_4)
	v_add_f64 v[6:7], v[6:7], -v[30:31]
	v_dual_mov_b32 v2, v14 :: v_dual_mov_b32 v3, v15
.LBB4_22:
	s_or_b32 exec_lo, exec_lo, s2
	v_lshl_add_u32 v12, v28, 4, v22
	s_barrier
	buffer_gl0_inv
	v_mov_b32_e32 v20, 1
	ds_store_2addr_b64 v12, v[8:9], v[10:11] offset1:1
	s_waitcnt lgkmcnt(0)
	s_barrier
	buffer_gl0_inv
	ds_load_2addr_b64 v[12:15], v22 offset0:2 offset1:3
	s_cmp_lt_i32 s5, 3
	s_cbranch_scc1 .LBB4_25
; %bb.23:
	v_add3_u32 v21, v27, 0, 32
	v_mov_b32_e32 v20, 1
	s_mov_b32 s6, 2
	s_set_inst_prefetch_distance 0x1
	.p2align	6
.LBB4_24:                               ; =>This Inner Loop Header: Depth=1
	ds_load_2addr_b64 v[30:33], v21 offset1:1
	s_waitcnt lgkmcnt(1)
	v_cmp_gt_f64_e32 vcc_lo, 0, v[12:13]
	v_xor_b32_e32 v34, 0x80000000, v13
	v_cmp_gt_f64_e64 s2, 0, v[14:15]
	v_xor_b32_e32 v36, 0x80000000, v15
	v_add_nc_u32_e32 v21, 16, v21
	s_waitcnt lgkmcnt(0)
	v_cmp_gt_f64_e64 s3, 0, v[30:31]
	v_mov_b32_e32 v38, v30
	v_dual_mov_b32 v40, v32 :: v_dual_cndmask_b32 v35, v13, v34
	v_xor_b32_e32 v34, 0x80000000, v31
	v_cndmask_b32_e64 v37, v15, v36, s2
	v_xor_b32_e32 v36, 0x80000000, v33
	s_delay_alu instid0(VALU_DEP_3) | instskip(SKIP_2) | instid1(VALU_DEP_2)
	v_cndmask_b32_e64 v39, v31, v34, s3
	v_cmp_gt_f64_e64 s3, 0, v[32:33]
	v_cndmask_b32_e32 v34, v12, v12, vcc_lo
	v_cndmask_b32_e64 v41, v33, v36, s3
	v_cndmask_b32_e64 v36, v14, v14, s2
	s_delay_alu instid0(VALU_DEP_2) | instskip(NEXT) | instid1(VALU_DEP_2)
	v_add_f64 v[38:39], v[38:39], v[40:41]
	v_add_f64 v[34:35], v[34:35], v[36:37]
	s_delay_alu instid0(VALU_DEP_1)
	v_cmp_lt_f64_e32 vcc_lo, v[34:35], v[38:39]
	v_cndmask_b32_e32 v15, v15, v33, vcc_lo
	v_dual_cndmask_b32 v13, v13, v31 :: v_dual_cndmask_b32 v12, v12, v30
	v_cndmask_b32_e32 v14, v14, v32, vcc_lo
	v_cndmask_b32_e64 v20, v20, s6, vcc_lo
	s_add_i32 s6, s6, 1
	s_delay_alu instid0(SALU_CYCLE_1)
	s_cmp_lg_u32 s5, s6
	s_cbranch_scc1 .LBB4_24
.LBB4_25:
	s_set_inst_prefetch_distance 0x2
	s_waitcnt lgkmcnt(0)
	v_cmp_neq_f64_e32 vcc_lo, 0, v[12:13]
	v_cmp_neq_f64_e64 s2, 0, v[14:15]
	s_delay_alu instid0(VALU_DEP_1) | instskip(NEXT) | instid1(SALU_CYCLE_1)
	s_or_b32 s2, vcc_lo, s2
	s_and_saveexec_b32 s3, s2
	s_cbranch_execz .LBB4_31
; %bb.26:
	v_cmp_gt_f64_e32 vcc_lo, 0, v[12:13]
	v_cmp_gt_f64_e64 s2, 0, v[14:15]
	v_xor_b32_e32 v21, 0x80000000, v13
	v_xor_b32_e32 v26, 0x80000000, v15
	s_delay_alu instid0(VALU_DEP_2) | instskip(NEXT) | instid1(VALU_DEP_2)
	v_dual_cndmask_b32 v31, v13, v21 :: v_dual_cndmask_b32 v30, v12, v12
	v_cndmask_b32_e64 v33, v15, v26, s2
	v_cndmask_b32_e64 v32, v14, v14, s2
	s_mov_b32 s2, exec_lo
	s_delay_alu instid0(VALU_DEP_1)
	v_cmpx_ngt_f64_e32 v[30:31], v[32:33]
	s_xor_b32 s2, exec_lo, s2
	s_cbranch_execz .LBB4_28
; %bb.27:
	v_div_scale_f64 v[30:31], null, v[14:15], v[14:15], v[12:13]
	v_div_scale_f64 v[36:37], vcc_lo, v[12:13], v[14:15], v[12:13]
	s_delay_alu instid0(VALU_DEP_2) | instskip(SKIP_2) | instid1(VALU_DEP_1)
	v_rcp_f64_e32 v[32:33], v[30:31]
	s_waitcnt_depctr 0xfff
	v_fma_f64 v[34:35], -v[30:31], v[32:33], 1.0
	v_fma_f64 v[32:33], v[32:33], v[34:35], v[32:33]
	s_delay_alu instid0(VALU_DEP_1) | instskip(NEXT) | instid1(VALU_DEP_1)
	v_fma_f64 v[34:35], -v[30:31], v[32:33], 1.0
	v_fma_f64 v[32:33], v[32:33], v[34:35], v[32:33]
	s_delay_alu instid0(VALU_DEP_1) | instskip(NEXT) | instid1(VALU_DEP_1)
	v_mul_f64 v[34:35], v[36:37], v[32:33]
	v_fma_f64 v[30:31], -v[30:31], v[34:35], v[36:37]
	s_delay_alu instid0(VALU_DEP_1) | instskip(NEXT) | instid1(VALU_DEP_1)
	v_div_fmas_f64 v[30:31], v[30:31], v[32:33], v[34:35]
	v_div_fixup_f64 v[30:31], v[30:31], v[14:15], v[12:13]
	s_delay_alu instid0(VALU_DEP_1) | instskip(NEXT) | instid1(VALU_DEP_1)
	v_fma_f64 v[12:13], v[12:13], v[30:31], v[14:15]
	v_div_scale_f64 v[14:15], null, v[12:13], v[12:13], 1.0
	s_delay_alu instid0(VALU_DEP_1) | instskip(SKIP_2) | instid1(VALU_DEP_1)
	v_rcp_f64_e32 v[32:33], v[14:15]
	s_waitcnt_depctr 0xfff
	v_fma_f64 v[34:35], -v[14:15], v[32:33], 1.0
	v_fma_f64 v[32:33], v[32:33], v[34:35], v[32:33]
	s_delay_alu instid0(VALU_DEP_1) | instskip(NEXT) | instid1(VALU_DEP_1)
	v_fma_f64 v[34:35], -v[14:15], v[32:33], 1.0
	v_fma_f64 v[32:33], v[32:33], v[34:35], v[32:33]
	v_div_scale_f64 v[34:35], vcc_lo, 1.0, v[12:13], 1.0
	s_delay_alu instid0(VALU_DEP_1) | instskip(NEXT) | instid1(VALU_DEP_1)
	v_mul_f64 v[36:37], v[34:35], v[32:33]
	v_fma_f64 v[14:15], -v[14:15], v[36:37], v[34:35]
	s_delay_alu instid0(VALU_DEP_1) | instskip(NEXT) | instid1(VALU_DEP_1)
	v_div_fmas_f64 v[14:15], v[14:15], v[32:33], v[36:37]
	v_div_fixup_f64 v[14:15], v[14:15], v[12:13], 1.0
	s_delay_alu instid0(VALU_DEP_1)
	v_mul_f64 v[12:13], v[30:31], v[14:15]
	v_xor_b32_e32 v15, 0x80000000, v15
.LBB4_28:
	s_and_not1_saveexec_b32 s2, s2
	s_cbranch_execz .LBB4_30
; %bb.29:
	s_delay_alu instid0(VALU_DEP_1) | instskip(SKIP_1) | instid1(VALU_DEP_2)
	v_div_scale_f64 v[30:31], null, v[12:13], v[12:13], v[14:15]
	v_div_scale_f64 v[36:37], vcc_lo, v[14:15], v[12:13], v[14:15]
	v_rcp_f64_e32 v[32:33], v[30:31]
	s_waitcnt_depctr 0xfff
	v_fma_f64 v[34:35], -v[30:31], v[32:33], 1.0
	s_delay_alu instid0(VALU_DEP_1) | instskip(NEXT) | instid1(VALU_DEP_1)
	v_fma_f64 v[32:33], v[32:33], v[34:35], v[32:33]
	v_fma_f64 v[34:35], -v[30:31], v[32:33], 1.0
	s_delay_alu instid0(VALU_DEP_1) | instskip(NEXT) | instid1(VALU_DEP_1)
	v_fma_f64 v[32:33], v[32:33], v[34:35], v[32:33]
	v_mul_f64 v[34:35], v[36:37], v[32:33]
	s_delay_alu instid0(VALU_DEP_1) | instskip(NEXT) | instid1(VALU_DEP_1)
	v_fma_f64 v[30:31], -v[30:31], v[34:35], v[36:37]
	v_div_fmas_f64 v[30:31], v[30:31], v[32:33], v[34:35]
	s_delay_alu instid0(VALU_DEP_1) | instskip(NEXT) | instid1(VALU_DEP_1)
	v_div_fixup_f64 v[30:31], v[30:31], v[12:13], v[14:15]
	v_fma_f64 v[12:13], v[14:15], v[30:31], v[12:13]
	s_delay_alu instid0(VALU_DEP_1) | instskip(NEXT) | instid1(VALU_DEP_1)
	v_div_scale_f64 v[14:15], null, v[12:13], v[12:13], 1.0
	v_rcp_f64_e32 v[32:33], v[14:15]
	s_waitcnt_depctr 0xfff
	v_fma_f64 v[34:35], -v[14:15], v[32:33], 1.0
	s_delay_alu instid0(VALU_DEP_1) | instskip(NEXT) | instid1(VALU_DEP_1)
	v_fma_f64 v[32:33], v[32:33], v[34:35], v[32:33]
	v_fma_f64 v[34:35], -v[14:15], v[32:33], 1.0
	s_delay_alu instid0(VALU_DEP_1) | instskip(SKIP_1) | instid1(VALU_DEP_1)
	v_fma_f64 v[32:33], v[32:33], v[34:35], v[32:33]
	v_div_scale_f64 v[34:35], vcc_lo, 1.0, v[12:13], 1.0
	v_mul_f64 v[36:37], v[34:35], v[32:33]
	s_delay_alu instid0(VALU_DEP_1) | instskip(NEXT) | instid1(VALU_DEP_1)
	v_fma_f64 v[14:15], -v[14:15], v[36:37], v[34:35]
	v_div_fmas_f64 v[14:15], v[14:15], v[32:33], v[36:37]
	s_delay_alu instid0(VALU_DEP_1) | instskip(NEXT) | instid1(VALU_DEP_1)
	v_div_fixup_f64 v[12:13], v[14:15], v[12:13], 1.0
	v_mul_f64 v[14:15], v[30:31], -v[12:13]
.LBB4_30:
	s_or_b32 exec_lo, exec_lo, s2
	v_mov_b32_e32 v26, v29
.LBB4_31:
	s_or_b32 exec_lo, exec_lo, s3
	s_delay_alu instid0(SALU_CYCLE_1)
	s_mov_b32 s2, exec_lo
	v_cmpx_ne_u32_e64 v28, v20
	s_xor_b32 s2, exec_lo, s2
	s_cbranch_execz .LBB4_37
; %bb.32:
	s_mov_b32 s3, exec_lo
	v_cmpx_eq_u32_e32 1, v28
	s_cbranch_execz .LBB4_36
; %bb.33:
	v_cmp_ne_u32_e32 vcc_lo, 1, v20
	s_xor_b32 s6, s4, -1
	s_delay_alu instid0(SALU_CYCLE_1) | instskip(NEXT) | instid1(SALU_CYCLE_1)
	s_and_b32 s7, s6, vcc_lo
	s_and_saveexec_b32 s6, s7
	s_cbranch_execz .LBB4_35
; %bb.34:
	v_ashrrev_i32_e32 v21, 31, v20
	s_delay_alu instid0(VALU_DEP_1) | instskip(NEXT) | instid1(VALU_DEP_1)
	v_lshlrev_b64 v[28:29], 2, v[20:21]
	v_add_co_u32 v28, vcc_lo, v18, v28
	s_delay_alu instid0(VALU_DEP_2)
	v_add_co_ci_u32_e32 v29, vcc_lo, v19, v29, vcc_lo
	s_clause 0x1
	flat_load_b32 v21, v[28:29]
	flat_load_b32 v25, v[18:19] offset:4
	s_waitcnt vmcnt(1) lgkmcnt(1)
	flat_store_b32 v[18:19], v21 offset:4
	s_waitcnt vmcnt(0) lgkmcnt(1)
	flat_store_b32 v[28:29], v25
.LBB4_35:
	s_or_b32 exec_lo, exec_lo, s6
	v_mov_b32_e32 v28, v20
	v_mov_b32_e32 v25, v20
.LBB4_36:
	s_or_b32 exec_lo, exec_lo, s3
.LBB4_37:
	s_and_not1_saveexec_b32 s2, s2
	s_cbranch_execz .LBB4_39
; %bb.38:
	v_mov_b32_e32 v28, 1
	ds_store_2addr_b64 v22, v[4:5], v[6:7] offset0:4 offset1:5
.LBB4_39:
	s_or_b32 exec_lo, exec_lo, s2
	s_delay_alu instid0(SALU_CYCLE_1)
	s_mov_b32 s2, exec_lo
	s_waitcnt lgkmcnt(0)
	s_waitcnt_vscnt null, 0x0
	s_barrier
	buffer_gl0_inv
	v_cmpx_lt_i32_e32 1, v28
	s_cbranch_execz .LBB4_41
; %bb.40:
	v_mul_f64 v[20:21], v[12:13], v[10:11]
	v_mul_f64 v[10:11], v[14:15], v[10:11]
	ds_load_2addr_b64 v[29:32], v22 offset0:4 offset1:5
	v_fma_f64 v[14:15], v[14:15], v[8:9], v[20:21]
	v_fma_f64 v[8:9], v[12:13], v[8:9], -v[10:11]
	s_waitcnt lgkmcnt(0)
	s_delay_alu instid0(VALU_DEP_2) | instskip(SKIP_1) | instid1(VALU_DEP_2)
	v_mul_f64 v[10:11], v[31:32], v[14:15]
	v_mul_f64 v[12:13], v[29:30], v[14:15]
	v_fma_f64 v[10:11], v[29:30], v[8:9], -v[10:11]
	s_delay_alu instid0(VALU_DEP_2) | instskip(NEXT) | instid1(VALU_DEP_2)
	v_fma_f64 v[12:13], v[31:32], v[8:9], v[12:13]
	v_add_f64 v[4:5], v[4:5], -v[10:11]
	s_delay_alu instid0(VALU_DEP_2)
	v_add_f64 v[6:7], v[6:7], -v[12:13]
	v_dual_mov_b32 v10, v14 :: v_dual_mov_b32 v11, v15
.LBB4_41:
	s_or_b32 exec_lo, exec_lo, s2
	v_lshl_add_u32 v12, v28, 4, v22
	s_barrier
	buffer_gl0_inv
	v_mov_b32_e32 v20, 2
	ds_store_2addr_b64 v12, v[4:5], v[6:7] offset1:1
	s_waitcnt lgkmcnt(0)
	s_barrier
	buffer_gl0_inv
	ds_load_2addr_b64 v[12:15], v22 offset0:4 offset1:5
	s_cmp_lt_i32 s5, 4
	s_cbranch_scc1 .LBB4_44
; %bb.42:
	v_add3_u32 v21, v27, 0, 48
	v_mov_b32_e32 v20, 2
	s_mov_b32 s6, 3
	s_set_inst_prefetch_distance 0x1
	.p2align	6
.LBB4_43:                               ; =>This Inner Loop Header: Depth=1
	ds_load_2addr_b64 v[29:32], v21 offset1:1
	s_waitcnt lgkmcnt(1)
	v_cmp_gt_f64_e32 vcc_lo, 0, v[12:13]
	v_xor_b32_e32 v22, 0x80000000, v13
	v_cmp_gt_f64_e64 s2, 0, v[14:15]
	v_xor_b32_e32 v27, 0x80000000, v15
	v_add_nc_u32_e32 v21, 16, v21
	s_waitcnt lgkmcnt(0)
	v_cmp_gt_f64_e64 s3, 0, v[29:30]
	v_mov_b32_e32 v37, v29
	v_dual_mov_b32 v39, v31 :: v_dual_cndmask_b32 v34, v13, v22
	v_xor_b32_e32 v22, 0x80000000, v30
	v_cndmask_b32_e64 v36, v15, v27, s2
	v_xor_b32_e32 v27, 0x80000000, v32
	v_cndmask_b32_e32 v33, v12, v12, vcc_lo
	v_cndmask_b32_e64 v35, v14, v14, s2
	s_delay_alu instid0(VALU_DEP_1) | instskip(SKIP_2) | instid1(VALU_DEP_1)
	v_add_f64 v[33:34], v[33:34], v[35:36]
	v_cndmask_b32_e64 v38, v30, v22, s3
	v_cmp_gt_f64_e64 s3, 0, v[31:32]
	v_cndmask_b32_e64 v40, v32, v27, s3
	s_delay_alu instid0(VALU_DEP_1) | instskip(NEXT) | instid1(VALU_DEP_1)
	v_add_f64 v[37:38], v[37:38], v[39:40]
	v_cmp_lt_f64_e32 vcc_lo, v[33:34], v[37:38]
	v_dual_cndmask_b32 v14, v14, v31 :: v_dual_cndmask_b32 v13, v13, v30
	v_dual_cndmask_b32 v12, v12, v29 :: v_dual_cndmask_b32 v15, v15, v32
	v_cndmask_b32_e64 v20, v20, s6, vcc_lo
	s_add_i32 s6, s6, 1
	s_delay_alu instid0(SALU_CYCLE_1)
	s_cmp_lg_u32 s5, s6
	s_cbranch_scc1 .LBB4_43
.LBB4_44:
	s_set_inst_prefetch_distance 0x2
	s_waitcnt lgkmcnt(0)
	v_cmp_eq_f64_e32 vcc_lo, 0, v[12:13]
	v_cmp_eq_f64_e64 s2, 0, v[14:15]
	s_delay_alu instid0(VALU_DEP_1) | instskip(NEXT) | instid1(SALU_CYCLE_1)
	s_and_b32 s2, vcc_lo, s2
	s_and_saveexec_b32 s3, s2
	s_delay_alu instid0(SALU_CYCLE_1)
	s_xor_b32 s2, exec_lo, s3
; %bb.45:
	v_cmp_ne_u32_e32 vcc_lo, 0, v26
	v_cndmask_b32_e32 v26, 3, v26, vcc_lo
; %bb.46:
	s_and_not1_saveexec_b32 s3, s2
	s_cbranch_execz .LBB4_52
; %bb.47:
	v_cmp_gt_f64_e32 vcc_lo, 0, v[12:13]
	v_cmp_gt_f64_e64 s2, 0, v[14:15]
	v_xor_b32_e32 v21, 0x80000000, v13
	v_xor_b32_e32 v27, 0x80000000, v15
	s_delay_alu instid0(VALU_DEP_2) | instskip(NEXT) | instid1(VALU_DEP_2)
	v_dual_cndmask_b32 v22, v13, v21 :: v_dual_cndmask_b32 v21, v12, v12
	v_cndmask_b32_e64 v30, v15, v27, s2
	v_cndmask_b32_e64 v29, v14, v14, s2
	s_mov_b32 s2, exec_lo
	s_delay_alu instid0(VALU_DEP_1)
	v_cmpx_ngt_f64_e32 v[21:22], v[29:30]
	s_xor_b32 s2, exec_lo, s2
	s_cbranch_execz .LBB4_49
; %bb.48:
	v_div_scale_f64 v[21:22], null, v[14:15], v[14:15], v[12:13]
	v_div_scale_f64 v[33:34], vcc_lo, v[12:13], v[14:15], v[12:13]
	s_delay_alu instid0(VALU_DEP_2) | instskip(SKIP_2) | instid1(VALU_DEP_1)
	v_rcp_f64_e32 v[29:30], v[21:22]
	s_waitcnt_depctr 0xfff
	v_fma_f64 v[31:32], -v[21:22], v[29:30], 1.0
	v_fma_f64 v[29:30], v[29:30], v[31:32], v[29:30]
	s_delay_alu instid0(VALU_DEP_1) | instskip(NEXT) | instid1(VALU_DEP_1)
	v_fma_f64 v[31:32], -v[21:22], v[29:30], 1.0
	v_fma_f64 v[29:30], v[29:30], v[31:32], v[29:30]
	s_delay_alu instid0(VALU_DEP_1) | instskip(NEXT) | instid1(VALU_DEP_1)
	v_mul_f64 v[31:32], v[33:34], v[29:30]
	v_fma_f64 v[21:22], -v[21:22], v[31:32], v[33:34]
	s_delay_alu instid0(VALU_DEP_1) | instskip(NEXT) | instid1(VALU_DEP_1)
	v_div_fmas_f64 v[21:22], v[21:22], v[29:30], v[31:32]
	v_div_fixup_f64 v[21:22], v[21:22], v[14:15], v[12:13]
	s_delay_alu instid0(VALU_DEP_1) | instskip(NEXT) | instid1(VALU_DEP_1)
	v_fma_f64 v[12:13], v[12:13], v[21:22], v[14:15]
	v_div_scale_f64 v[14:15], null, v[12:13], v[12:13], 1.0
	s_delay_alu instid0(VALU_DEP_1) | instskip(SKIP_2) | instid1(VALU_DEP_1)
	v_rcp_f64_e32 v[29:30], v[14:15]
	s_waitcnt_depctr 0xfff
	v_fma_f64 v[31:32], -v[14:15], v[29:30], 1.0
	v_fma_f64 v[29:30], v[29:30], v[31:32], v[29:30]
	s_delay_alu instid0(VALU_DEP_1) | instskip(NEXT) | instid1(VALU_DEP_1)
	v_fma_f64 v[31:32], -v[14:15], v[29:30], 1.0
	v_fma_f64 v[29:30], v[29:30], v[31:32], v[29:30]
	v_div_scale_f64 v[31:32], vcc_lo, 1.0, v[12:13], 1.0
	s_delay_alu instid0(VALU_DEP_1) | instskip(NEXT) | instid1(VALU_DEP_1)
	v_mul_f64 v[33:34], v[31:32], v[29:30]
	v_fma_f64 v[14:15], -v[14:15], v[33:34], v[31:32]
	s_delay_alu instid0(VALU_DEP_1) | instskip(NEXT) | instid1(VALU_DEP_1)
	v_div_fmas_f64 v[14:15], v[14:15], v[29:30], v[33:34]
	v_div_fixup_f64 v[14:15], v[14:15], v[12:13], 1.0
	s_delay_alu instid0(VALU_DEP_1)
	v_mul_f64 v[12:13], v[21:22], v[14:15]
	v_xor_b32_e32 v15, 0x80000000, v15
.LBB4_49:
	s_and_not1_saveexec_b32 s2, s2
	s_cbranch_execz .LBB4_51
; %bb.50:
	s_delay_alu instid0(VALU_DEP_1) | instskip(SKIP_1) | instid1(VALU_DEP_2)
	v_div_scale_f64 v[21:22], null, v[12:13], v[12:13], v[14:15]
	v_div_scale_f64 v[33:34], vcc_lo, v[14:15], v[12:13], v[14:15]
	v_rcp_f64_e32 v[29:30], v[21:22]
	s_waitcnt_depctr 0xfff
	v_fma_f64 v[31:32], -v[21:22], v[29:30], 1.0
	s_delay_alu instid0(VALU_DEP_1) | instskip(NEXT) | instid1(VALU_DEP_1)
	v_fma_f64 v[29:30], v[29:30], v[31:32], v[29:30]
	v_fma_f64 v[31:32], -v[21:22], v[29:30], 1.0
	s_delay_alu instid0(VALU_DEP_1) | instskip(NEXT) | instid1(VALU_DEP_1)
	v_fma_f64 v[29:30], v[29:30], v[31:32], v[29:30]
	v_mul_f64 v[31:32], v[33:34], v[29:30]
	s_delay_alu instid0(VALU_DEP_1) | instskip(NEXT) | instid1(VALU_DEP_1)
	v_fma_f64 v[21:22], -v[21:22], v[31:32], v[33:34]
	v_div_fmas_f64 v[21:22], v[21:22], v[29:30], v[31:32]
	s_delay_alu instid0(VALU_DEP_1) | instskip(NEXT) | instid1(VALU_DEP_1)
	v_div_fixup_f64 v[21:22], v[21:22], v[12:13], v[14:15]
	v_fma_f64 v[12:13], v[14:15], v[21:22], v[12:13]
	s_delay_alu instid0(VALU_DEP_1) | instskip(NEXT) | instid1(VALU_DEP_1)
	v_div_scale_f64 v[14:15], null, v[12:13], v[12:13], 1.0
	v_rcp_f64_e32 v[29:30], v[14:15]
	s_waitcnt_depctr 0xfff
	v_fma_f64 v[31:32], -v[14:15], v[29:30], 1.0
	s_delay_alu instid0(VALU_DEP_1) | instskip(NEXT) | instid1(VALU_DEP_1)
	v_fma_f64 v[29:30], v[29:30], v[31:32], v[29:30]
	v_fma_f64 v[31:32], -v[14:15], v[29:30], 1.0
	s_delay_alu instid0(VALU_DEP_1) | instskip(SKIP_1) | instid1(VALU_DEP_1)
	v_fma_f64 v[29:30], v[29:30], v[31:32], v[29:30]
	v_div_scale_f64 v[31:32], vcc_lo, 1.0, v[12:13], 1.0
	v_mul_f64 v[33:34], v[31:32], v[29:30]
	s_delay_alu instid0(VALU_DEP_1) | instskip(NEXT) | instid1(VALU_DEP_1)
	v_fma_f64 v[14:15], -v[14:15], v[33:34], v[31:32]
	v_div_fmas_f64 v[14:15], v[14:15], v[29:30], v[33:34]
	s_delay_alu instid0(VALU_DEP_1) | instskip(NEXT) | instid1(VALU_DEP_1)
	v_div_fixup_f64 v[12:13], v[14:15], v[12:13], 1.0
	v_mul_f64 v[14:15], v[21:22], -v[12:13]
.LBB4_51:
	s_or_b32 exec_lo, exec_lo, s2
.LBB4_52:
	s_delay_alu instid0(SALU_CYCLE_1)
	s_or_b32 exec_lo, exec_lo, s3
	v_mov_b32_e32 v21, 2
	s_mov_b32 s2, exec_lo
	v_cmpx_ne_u32_e64 v28, v20
	s_cbranch_execz .LBB4_58
; %bb.53:
	s_mov_b32 s3, exec_lo
	v_cmpx_eq_u32_e32 2, v28
	s_cbranch_execz .LBB4_57
; %bb.54:
	v_cmp_ne_u32_e32 vcc_lo, 2, v20
	s_xor_b32 s4, s4, -1
	s_delay_alu instid0(SALU_CYCLE_1) | instskip(NEXT) | instid1(SALU_CYCLE_1)
	s_and_b32 s5, s4, vcc_lo
	s_and_saveexec_b32 s4, s5
	s_cbranch_execz .LBB4_56
; %bb.55:
	v_ashrrev_i32_e32 v21, 31, v20
	s_delay_alu instid0(VALU_DEP_1) | instskip(NEXT) | instid1(VALU_DEP_1)
	v_lshlrev_b64 v[21:22], 2, v[20:21]
	v_add_co_u32 v21, vcc_lo, v18, v21
	s_delay_alu instid0(VALU_DEP_2)
	v_add_co_ci_u32_e32 v22, vcc_lo, v19, v22, vcc_lo
	s_clause 0x1
	flat_load_b32 v25, v[21:22]
	flat_load_b32 v27, v[18:19] offset:8
	s_waitcnt vmcnt(1) lgkmcnt(1)
	flat_store_b32 v[18:19], v25 offset:8
	s_waitcnt vmcnt(0) lgkmcnt(1)
	flat_store_b32 v[21:22], v27
.LBB4_56:
	s_or_b32 exec_lo, exec_lo, s4
	v_mov_b32_e32 v28, v20
	v_mov_b32_e32 v25, v20
.LBB4_57:
	s_or_b32 exec_lo, exec_lo, s3
	s_delay_alu instid0(VALU_DEP_2)
	v_mov_b32_e32 v21, v28
.LBB4_58:
	s_or_b32 exec_lo, exec_lo, s2
	s_delay_alu instid0(SALU_CYCLE_1)
	s_mov_b32 s2, exec_lo
	s_waitcnt lgkmcnt(0)
	s_waitcnt_vscnt null, 0x0
	s_barrier
	buffer_gl0_inv
	v_cmpx_lt_i32_e32 2, v21
; %bb.59:
	v_mul_f64 v[18:19], v[14:15], v[6:7]
	v_mul_f64 v[6:7], v[12:13], v[6:7]
	s_delay_alu instid0(VALU_DEP_2) | instskip(NEXT) | instid1(VALU_DEP_2)
	v_fma_f64 v[12:13], v[12:13], v[4:5], -v[18:19]
	v_fma_f64 v[6:7], v[14:15], v[4:5], v[6:7]
	s_delay_alu instid0(VALU_DEP_2)
	v_dual_mov_b32 v4, v12 :: v_dual_mov_b32 v5, v13
; %bb.60:
	s_or_b32 exec_lo, exec_lo, s2
	s_load_b256 s[0:7], s[0:1], 0x28
	v_ashrrev_i32_e32 v22, 31, v21
	s_mov_b32 s9, exec_lo
	s_waitcnt lgkmcnt(0)
	s_barrier
	buffer_gl0_inv
	v_cmpx_gt_i32_e32 3, v21
	s_cbranch_execz .LBB4_62
; %bb.61:
	v_mul_lo_u32 v14, v17, s4
	v_mul_lo_u32 v15, v16, s5
	v_mad_u64_u32 v[12:13], null, v16, s4, 0
	s_lshl_b64 s[2:3], s[2:3], 2
	s_delay_alu instid0(SALU_CYCLE_1) | instskip(SKIP_1) | instid1(VALU_DEP_1)
	s_add_u32 s0, s2, s0
	s_addc_u32 s1, s3, s1
	v_add3_u32 v13, v13, v15, v14
	v_lshlrev_b64 v[14:15], 2, v[21:22]
	s_delay_alu instid0(VALU_DEP_2) | instskip(NEXT) | instid1(VALU_DEP_1)
	v_lshlrev_b64 v[12:13], 2, v[12:13]
	v_add_co_u32 v12, vcc_lo, s0, v12
	s_delay_alu instid0(VALU_DEP_2) | instskip(NEXT) | instid1(VALU_DEP_2)
	v_add_co_ci_u32_e32 v13, vcc_lo, s1, v13, vcc_lo
	v_add_co_u32 v12, vcc_lo, v12, v14
	s_delay_alu instid0(VALU_DEP_2)
	v_add_co_ci_u32_e32 v13, vcc_lo, v13, v15, vcc_lo
	v_add3_u32 v14, v25, s13, 1
	global_store_b32 v[12:13], v14, off
.LBB4_62:
	s_or_b32 exec_lo, exec_lo, s9
	s_delay_alu instid0(SALU_CYCLE_1)
	s_mov_b32 s1, exec_lo
	v_cmpx_eq_u32_e32 0, v21
	s_cbranch_execz .LBB4_65
; %bb.63:
	v_lshlrev_b64 v[12:13], 2, v[16:17]
	v_cmp_lt_i32_e64 s0, 0, v26
	s_delay_alu instid0(VALU_DEP_2) | instskip(NEXT) | instid1(VALU_DEP_3)
	v_add_co_u32 v12, vcc_lo, s6, v12
	v_add_co_ci_u32_e32 v13, vcc_lo, s7, v13, vcc_lo
	global_load_b32 v14, v[12:13], off
	s_waitcnt vmcnt(0)
	v_cmp_eq_u32_e32 vcc_lo, 0, v14
	s_and_b32 s0, vcc_lo, s0
	s_delay_alu instid0(SALU_CYCLE_1)
	s_and_b32 exec_lo, exec_lo, s0
	s_cbranch_execz .LBB4_65
; %bb.64:
	v_add_nc_u32_e32 v14, s13, v26
	global_store_b32 v[12:13], v14, off
.LBB4_65:
	s_or_b32 exec_lo, exec_lo, s1
	v_add3_u32 v12, s8, s8, v21
	v_lshlrev_b64 v[14:15], 4, v[21:22]
	s_delay_alu instid0(VALU_DEP_2) | instskip(NEXT) | instid1(VALU_DEP_2)
	v_ashrrev_i32_e32 v13, 31, v12
	v_add_co_u32 v14, vcc_lo, v23, v14
	s_delay_alu instid0(VALU_DEP_3) | instskip(NEXT) | instid1(VALU_DEP_3)
	v_add_co_ci_u32_e32 v15, vcc_lo, v24, v15, vcc_lo
	v_lshlrev_b64 v[12:13], 4, v[12:13]
	s_delay_alu instid0(VALU_DEP_3) | instskip(NEXT) | instid1(VALU_DEP_3)
	v_add_co_u32 v16, vcc_lo, v14, s10
	v_add_co_ci_u32_e32 v17, vcc_lo, s11, v15, vcc_lo
	s_delay_alu instid0(VALU_DEP_3) | instskip(NEXT) | instid1(VALU_DEP_4)
	v_add_co_u32 v12, vcc_lo, v23, v12
	v_add_co_ci_u32_e32 v13, vcc_lo, v24, v13, vcc_lo
	s_clause 0x2
	global_store_b128 v[14:15], v[0:3], off
	global_store_b128 v[16:17], v[8:11], off
	;; [unrolled: 1-line block ×3, first 2 shown]
.LBB4_66:
	s_nop 0
	s_sendmsg sendmsg(MSG_DEALLOC_VGPRS)
	s_endpgm
	.section	.rodata,"a",@progbits
	.p2align	6, 0x0
	.amdhsa_kernel _ZN9rocsolver6v33100L18getf2_small_kernelILi3E19rocblas_complex_numIdEiiPKPS3_EEvT1_T3_lS7_lPS7_llPT2_S7_S7_S9_l
		.amdhsa_group_segment_fixed_size 0
		.amdhsa_private_segment_fixed_size 0
		.amdhsa_kernarg_size 352
		.amdhsa_user_sgpr_count 14
		.amdhsa_user_sgpr_dispatch_ptr 0
		.amdhsa_user_sgpr_queue_ptr 0
		.amdhsa_user_sgpr_kernarg_segment_ptr 1
		.amdhsa_user_sgpr_dispatch_id 0
		.amdhsa_user_sgpr_private_segment_size 0
		.amdhsa_wavefront_size32 1
		.amdhsa_uses_dynamic_stack 0
		.amdhsa_enable_private_segment 0
		.amdhsa_system_sgpr_workgroup_id_x 1
		.amdhsa_system_sgpr_workgroup_id_y 1
		.amdhsa_system_sgpr_workgroup_id_z 0
		.amdhsa_system_sgpr_workgroup_info 0
		.amdhsa_system_vgpr_workitem_id 1
		.amdhsa_next_free_vgpr 42
		.amdhsa_next_free_sgpr 16
		.amdhsa_reserve_vcc 1
		.amdhsa_float_round_mode_32 0
		.amdhsa_float_round_mode_16_64 0
		.amdhsa_float_denorm_mode_32 3
		.amdhsa_float_denorm_mode_16_64 3
		.amdhsa_dx10_clamp 1
		.amdhsa_ieee_mode 1
		.amdhsa_fp16_overflow 0
		.amdhsa_workgroup_processor_mode 1
		.amdhsa_memory_ordered 1
		.amdhsa_forward_progress 0
		.amdhsa_shared_vgpr_count 0
		.amdhsa_exception_fp_ieee_invalid_op 0
		.amdhsa_exception_fp_denorm_src 0
		.amdhsa_exception_fp_ieee_div_zero 0
		.amdhsa_exception_fp_ieee_overflow 0
		.amdhsa_exception_fp_ieee_underflow 0
		.amdhsa_exception_fp_ieee_inexact 0
		.amdhsa_exception_int_div_zero 0
	.end_amdhsa_kernel
	.section	.text._ZN9rocsolver6v33100L18getf2_small_kernelILi3E19rocblas_complex_numIdEiiPKPS3_EEvT1_T3_lS7_lPS7_llPT2_S7_S7_S9_l,"axG",@progbits,_ZN9rocsolver6v33100L18getf2_small_kernelILi3E19rocblas_complex_numIdEiiPKPS3_EEvT1_T3_lS7_lPS7_llPT2_S7_S7_S9_l,comdat
.Lfunc_end4:
	.size	_ZN9rocsolver6v33100L18getf2_small_kernelILi3E19rocblas_complex_numIdEiiPKPS3_EEvT1_T3_lS7_lPS7_llPT2_S7_S7_S9_l, .Lfunc_end4-_ZN9rocsolver6v33100L18getf2_small_kernelILi3E19rocblas_complex_numIdEiiPKPS3_EEvT1_T3_lS7_lPS7_llPT2_S7_S7_S9_l
                                        ; -- End function
	.section	.AMDGPU.csdata,"",@progbits
; Kernel info:
; codeLenInByte = 4464
; NumSgprs: 18
; NumVgprs: 42
; ScratchSize: 0
; MemoryBound: 0
; FloatMode: 240
; IeeeMode: 1
; LDSByteSize: 0 bytes/workgroup (compile time only)
; SGPRBlocks: 2
; VGPRBlocks: 5
; NumSGPRsForWavesPerEU: 18
; NumVGPRsForWavesPerEU: 42
; Occupancy: 16
; WaveLimiterHint : 1
; COMPUTE_PGM_RSRC2:SCRATCH_EN: 0
; COMPUTE_PGM_RSRC2:USER_SGPR: 14
; COMPUTE_PGM_RSRC2:TRAP_HANDLER: 0
; COMPUTE_PGM_RSRC2:TGID_X_EN: 1
; COMPUTE_PGM_RSRC2:TGID_Y_EN: 1
; COMPUTE_PGM_RSRC2:TGID_Z_EN: 0
; COMPUTE_PGM_RSRC2:TIDIG_COMP_CNT: 1
	.section	.text._ZN9rocsolver6v33100L23getf2_npvt_small_kernelILi3E19rocblas_complex_numIdEiiPKPS3_EEvT1_T3_lS7_lPT2_S7_S7_,"axG",@progbits,_ZN9rocsolver6v33100L23getf2_npvt_small_kernelILi3E19rocblas_complex_numIdEiiPKPS3_EEvT1_T3_lS7_lPT2_S7_S7_,comdat
	.globl	_ZN9rocsolver6v33100L23getf2_npvt_small_kernelILi3E19rocblas_complex_numIdEiiPKPS3_EEvT1_T3_lS7_lPT2_S7_S7_ ; -- Begin function _ZN9rocsolver6v33100L23getf2_npvt_small_kernelILi3E19rocblas_complex_numIdEiiPKPS3_EEvT1_T3_lS7_lPT2_S7_S7_
	.p2align	8
	.type	_ZN9rocsolver6v33100L23getf2_npvt_small_kernelILi3E19rocblas_complex_numIdEiiPKPS3_EEvT1_T3_lS7_lPT2_S7_S7_,@function
_ZN9rocsolver6v33100L23getf2_npvt_small_kernelILi3E19rocblas_complex_numIdEiiPKPS3_EEvT1_T3_lS7_lPT2_S7_S7_: ; @_ZN9rocsolver6v33100L23getf2_npvt_small_kernelILi3E19rocblas_complex_numIdEiiPKPS3_EEvT1_T3_lS7_lPT2_S7_S7_
; %bb.0:
	s_clause 0x1
	s_load_b32 s2, s[0:1], 0x44
	s_load_b64 s[4:5], s[0:1], 0x30
	v_bfe_u32 v12, v0, 10, 10
	s_mov_b32 s3, exec_lo
	s_waitcnt lgkmcnt(0)
	s_lshr_b32 s2, s2, 16
	s_delay_alu instid0(VALU_DEP_1) | instid1(SALU_CYCLE_1)
	v_mad_u64_u32 v[24:25], null, s15, s2, v[12:13]
	s_delay_alu instid0(VALU_DEP_1)
	v_cmpx_gt_i32_e64 s4, v24
	s_cbranch_execz .LBB5_32
; %bb.1:
	s_clause 0x1
	s_load_b128 s[8:11], s[0:1], 0x8
	s_load_b32 s6, s[0:1], 0x18
	v_ashrrev_i32_e32 v25, 31, v24
	v_and_b32_e32 v34, 0x3ff, v0
	v_lshlrev_b32_e32 v13, 4, v12
	v_mul_u32_u24_e32 v12, 48, v12
	s_mul_i32 s2, s2, 48
	v_lshlrev_b64 v[1:2], 3, v[24:25]
	v_lshlrev_b32_e32 v3, 4, v34
	v_add3_u32 v35, 0, s2, v13
	v_cmp_ne_u32_e64 s3, 0, v34
	v_cmp_eq_u32_e64 s2, 0, v34
	v_add_nc_u32_e32 v36, 0, v12
	s_waitcnt lgkmcnt(0)
	v_add_co_u32 v1, vcc_lo, s8, v1
	v_add_co_ci_u32_e32 v2, vcc_lo, s9, v2, vcc_lo
	v_add3_u32 v0, s6, s6, v34
	s_lshl_b64 s[8:9], s[10:11], 4
	s_ashr_i32 s7, s6, 31
	global_load_b64 v[1:2], v[1:2], off
	s_lshl_b64 s[6:7], s[6:7], 4
	s_waitcnt vmcnt(0)
	v_add_co_u32 v4, vcc_lo, v1, s8
	v_add_co_ci_u32_e32 v2, vcc_lo, s9, v2, vcc_lo
	v_ashrrev_i32_e32 v1, 31, v0
	s_delay_alu instid0(VALU_DEP_3) | instskip(NEXT) | instid1(VALU_DEP_3)
	v_add_co_u32 v30, vcc_lo, v4, v3
	v_add_co_ci_u32_e32 v31, vcc_lo, 0, v2, vcc_lo
	s_delay_alu instid0(VALU_DEP_3) | instskip(NEXT) | instid1(VALU_DEP_3)
	v_lshlrev_b64 v[0:1], 4, v[0:1]
	v_add_co_u32 v28, vcc_lo, v30, s6
	s_delay_alu instid0(VALU_DEP_3) | instskip(NEXT) | instid1(VALU_DEP_3)
	v_add_co_ci_u32_e32 v29, vcc_lo, s7, v31, vcc_lo
	v_add_co_u32 v26, vcc_lo, v4, v0
	s_delay_alu instid0(VALU_DEP_4)
	v_add_co_ci_u32_e32 v27, vcc_lo, v2, v1, vcc_lo
	s_clause 0x2
	global_load_b128 v[8:11], v[30:31], off
	global_load_b128 v[4:7], v[28:29], off
	;; [unrolled: 1-line block ×3, first 2 shown]
	s_and_saveexec_b32 s6, s2
	s_cbranch_execz .LBB5_8
; %bb.2:
	s_waitcnt vmcnt(2)
	ds_store_2addr_b64 v35, v[8:9], v[10:11] offset1:1
	s_waitcnt vmcnt(1)
	ds_store_2addr_b64 v36, v[4:5], v[6:7] offset0:2 offset1:3
	s_waitcnt vmcnt(0)
	ds_store_2addr_b64 v36, v[0:1], v[2:3] offset0:4 offset1:5
	ds_load_2addr_b64 v[12:15], v35 offset1:1
	s_waitcnt lgkmcnt(0)
	v_cmp_neq_f64_e32 vcc_lo, 0, v[12:13]
	v_cmp_neq_f64_e64 s4, 0, v[14:15]
	s_delay_alu instid0(VALU_DEP_1) | instskip(NEXT) | instid1(SALU_CYCLE_1)
	s_or_b32 s4, vcc_lo, s4
	s_and_b32 exec_lo, exec_lo, s4
	s_cbranch_execz .LBB5_8
; %bb.3:
	v_cmp_gt_f64_e32 vcc_lo, 0, v[12:13]
	v_cmp_gt_f64_e64 s4, 0, v[14:15]
	v_xor_b32_e32 v16, 0x80000000, v13
	v_xor_b32_e32 v18, 0x80000000, v15
                                        ; implicit-def: $vgpr20_vgpr21
	s_delay_alu instid0(VALU_DEP_2) | instskip(NEXT) | instid1(VALU_DEP_2)
	v_cndmask_b32_e32 v17, v13, v16, vcc_lo
	v_cndmask_b32_e64 v19, v15, v18, s4
	v_cndmask_b32_e32 v16, v12, v12, vcc_lo
	v_cndmask_b32_e64 v18, v14, v14, s4
	s_mov_b32 s4, exec_lo
	s_delay_alu instid0(VALU_DEP_1)
	v_cmpx_ngt_f64_e32 v[16:17], v[18:19]
	s_xor_b32 s4, exec_lo, s4
                                        ; implicit-def: $vgpr16_vgpr17_vgpr18_vgpr19
	s_cbranch_execz .LBB5_5
; %bb.4:
	v_div_scale_f64 v[16:17], null, v[14:15], v[14:15], v[12:13]
	v_div_scale_f64 v[22:23], vcc_lo, v[12:13], v[14:15], v[12:13]
	s_delay_alu instid0(VALU_DEP_2) | instskip(SKIP_2) | instid1(VALU_DEP_1)
	v_rcp_f64_e32 v[18:19], v[16:17]
	s_waitcnt_depctr 0xfff
	v_fma_f64 v[20:21], -v[16:17], v[18:19], 1.0
	v_fma_f64 v[18:19], v[18:19], v[20:21], v[18:19]
	s_delay_alu instid0(VALU_DEP_1) | instskip(NEXT) | instid1(VALU_DEP_1)
	v_fma_f64 v[20:21], -v[16:17], v[18:19], 1.0
	v_fma_f64 v[18:19], v[18:19], v[20:21], v[18:19]
	s_delay_alu instid0(VALU_DEP_1) | instskip(NEXT) | instid1(VALU_DEP_1)
	v_mul_f64 v[20:21], v[22:23], v[18:19]
	v_fma_f64 v[16:17], -v[16:17], v[20:21], v[22:23]
	s_delay_alu instid0(VALU_DEP_1) | instskip(NEXT) | instid1(VALU_DEP_1)
	v_div_fmas_f64 v[16:17], v[16:17], v[18:19], v[20:21]
	v_div_fixup_f64 v[16:17], v[16:17], v[14:15], v[12:13]
	s_delay_alu instid0(VALU_DEP_1) | instskip(NEXT) | instid1(VALU_DEP_1)
	v_fma_f64 v[12:13], v[12:13], v[16:17], v[14:15]
	v_div_scale_f64 v[14:15], null, v[12:13], v[12:13], 1.0
	s_delay_alu instid0(VALU_DEP_1) | instskip(SKIP_2) | instid1(VALU_DEP_1)
	v_rcp_f64_e32 v[18:19], v[14:15]
	s_waitcnt_depctr 0xfff
	v_fma_f64 v[20:21], -v[14:15], v[18:19], 1.0
	v_fma_f64 v[18:19], v[18:19], v[20:21], v[18:19]
	s_delay_alu instid0(VALU_DEP_1) | instskip(NEXT) | instid1(VALU_DEP_1)
	v_fma_f64 v[20:21], -v[14:15], v[18:19], 1.0
	v_fma_f64 v[18:19], v[18:19], v[20:21], v[18:19]
	v_div_scale_f64 v[20:21], vcc_lo, 1.0, v[12:13], 1.0
	s_delay_alu instid0(VALU_DEP_1) | instskip(NEXT) | instid1(VALU_DEP_1)
	v_mul_f64 v[22:23], v[20:21], v[18:19]
	v_fma_f64 v[14:15], -v[14:15], v[22:23], v[20:21]
	s_delay_alu instid0(VALU_DEP_1) | instskip(NEXT) | instid1(VALU_DEP_1)
	v_div_fmas_f64 v[14:15], v[14:15], v[18:19], v[22:23]
	v_div_fixup_f64 v[18:19], v[14:15], v[12:13], 1.0
                                        ; implicit-def: $vgpr12_vgpr13
	s_delay_alu instid0(VALU_DEP_1)
	v_mul_f64 v[20:21], v[16:17], v[18:19]
	v_xor_b32_e32 v19, 0x80000000, v19
.LBB5_5:
	s_and_not1_saveexec_b32 s4, s4
	s_cbranch_execz .LBB5_7
; %bb.6:
	v_div_scale_f64 v[16:17], null, v[12:13], v[12:13], v[14:15]
	v_div_scale_f64 v[22:23], vcc_lo, v[14:15], v[12:13], v[14:15]
	s_delay_alu instid0(VALU_DEP_2) | instskip(SKIP_2) | instid1(VALU_DEP_1)
	v_rcp_f64_e32 v[18:19], v[16:17]
	s_waitcnt_depctr 0xfff
	v_fma_f64 v[20:21], -v[16:17], v[18:19], 1.0
	v_fma_f64 v[18:19], v[18:19], v[20:21], v[18:19]
	s_delay_alu instid0(VALU_DEP_1) | instskip(NEXT) | instid1(VALU_DEP_1)
	v_fma_f64 v[20:21], -v[16:17], v[18:19], 1.0
	v_fma_f64 v[18:19], v[18:19], v[20:21], v[18:19]
	s_delay_alu instid0(VALU_DEP_1) | instskip(NEXT) | instid1(VALU_DEP_1)
	v_mul_f64 v[20:21], v[22:23], v[18:19]
	v_fma_f64 v[16:17], -v[16:17], v[20:21], v[22:23]
	s_delay_alu instid0(VALU_DEP_1) | instskip(NEXT) | instid1(VALU_DEP_1)
	v_div_fmas_f64 v[16:17], v[16:17], v[18:19], v[20:21]
	v_div_fixup_f64 v[16:17], v[16:17], v[12:13], v[14:15]
	s_delay_alu instid0(VALU_DEP_1) | instskip(NEXT) | instid1(VALU_DEP_1)
	v_fma_f64 v[12:13], v[14:15], v[16:17], v[12:13]
	v_div_scale_f64 v[14:15], null, v[12:13], v[12:13], 1.0
	s_delay_alu instid0(VALU_DEP_1) | instskip(SKIP_2) | instid1(VALU_DEP_1)
	v_rcp_f64_e32 v[18:19], v[14:15]
	s_waitcnt_depctr 0xfff
	v_fma_f64 v[20:21], -v[14:15], v[18:19], 1.0
	v_fma_f64 v[18:19], v[18:19], v[20:21], v[18:19]
	s_delay_alu instid0(VALU_DEP_1) | instskip(NEXT) | instid1(VALU_DEP_1)
	v_fma_f64 v[20:21], -v[14:15], v[18:19], 1.0
	v_fma_f64 v[18:19], v[18:19], v[20:21], v[18:19]
	v_div_scale_f64 v[20:21], vcc_lo, 1.0, v[12:13], 1.0
	s_delay_alu instid0(VALU_DEP_1) | instskip(NEXT) | instid1(VALU_DEP_1)
	v_mul_f64 v[22:23], v[20:21], v[18:19]
	v_fma_f64 v[14:15], -v[14:15], v[22:23], v[20:21]
	s_delay_alu instid0(VALU_DEP_1) | instskip(NEXT) | instid1(VALU_DEP_1)
	v_div_fmas_f64 v[14:15], v[14:15], v[18:19], v[22:23]
	v_div_fixup_f64 v[20:21], v[14:15], v[12:13], 1.0
	s_delay_alu instid0(VALU_DEP_1)
	v_mul_f64 v[18:19], v[16:17], -v[20:21]
.LBB5_7:
	s_or_b32 exec_lo, exec_lo, s4
	ds_store_2addr_b64 v35, v[20:21], v[18:19] offset1:1
.LBB5_8:
	s_or_b32 exec_lo, exec_lo, s6
	s_waitcnt vmcnt(0) lgkmcnt(0)
	s_barrier
	buffer_gl0_inv
	ds_load_2addr_b64 v[12:15], v35 offset1:1
	s_and_saveexec_b32 s4, s3
	s_cbranch_execz .LBB5_10
; %bb.9:
	s_waitcnt lgkmcnt(0)
	v_mul_f64 v[16:17], v[12:13], v[10:11]
	v_mul_f64 v[10:11], v[14:15], v[10:11]
	s_delay_alu instid0(VALU_DEP_2)
	v_fma_f64 v[32:33], v[14:15], v[8:9], v[16:17]
	ds_load_2addr_b64 v[16:19], v36 offset0:2 offset1:3
	ds_load_2addr_b64 v[20:23], v36 offset0:4 offset1:5
	v_fma_f64 v[8:9], v[12:13], v[8:9], -v[10:11]
	s_waitcnt lgkmcnt(1)
	v_mul_f64 v[10:11], v[18:19], v[32:33]
	v_mul_f64 v[37:38], v[16:17], v[32:33]
	s_waitcnt lgkmcnt(0)
	v_mul_f64 v[39:40], v[22:23], v[32:33]
	v_mul_f64 v[41:42], v[20:21], v[32:33]
	s_delay_alu instid0(VALU_DEP_4) | instskip(NEXT) | instid1(VALU_DEP_4)
	v_fma_f64 v[10:11], v[16:17], v[8:9], -v[10:11]
	v_fma_f64 v[16:17], v[18:19], v[8:9], v[37:38]
	s_delay_alu instid0(VALU_DEP_4) | instskip(NEXT) | instid1(VALU_DEP_4)
	v_fma_f64 v[18:19], v[20:21], v[8:9], -v[39:40]
	v_fma_f64 v[20:21], v[22:23], v[8:9], v[41:42]
	s_delay_alu instid0(VALU_DEP_4) | instskip(NEXT) | instid1(VALU_DEP_4)
	v_add_f64 v[4:5], v[4:5], -v[10:11]
	v_add_f64 v[6:7], v[6:7], -v[16:17]
	s_delay_alu instid0(VALU_DEP_4) | instskip(NEXT) | instid1(VALU_DEP_4)
	v_add_f64 v[0:1], v[0:1], -v[18:19]
	v_add_f64 v[2:3], v[2:3], -v[20:21]
	v_dual_mov_b32 v10, v32 :: v_dual_mov_b32 v11, v33
.LBB5_10:
	s_or_b32 exec_lo, exec_lo, s4
	s_delay_alu instid0(SALU_CYCLE_1)
	s_mov_b32 s4, exec_lo
	s_waitcnt lgkmcnt(0)
	s_barrier
	buffer_gl0_inv
	v_cmpx_eq_u32_e32 1, v34
	s_cbranch_execz .LBB5_17
; %bb.11:
	ds_store_2addr_b64 v35, v[4:5], v[6:7] offset1:1
	ds_store_2addr_b64 v36, v[0:1], v[2:3] offset0:4 offset1:5
	ds_load_2addr_b64 v[16:19], v35 offset1:1
	s_waitcnt lgkmcnt(0)
	v_cmp_neq_f64_e32 vcc_lo, 0, v[16:17]
	v_cmp_neq_f64_e64 s3, 0, v[18:19]
	s_delay_alu instid0(VALU_DEP_1) | instskip(NEXT) | instid1(SALU_CYCLE_1)
	s_or_b32 s3, vcc_lo, s3
	s_and_b32 exec_lo, exec_lo, s3
	s_cbranch_execz .LBB5_17
; %bb.12:
	v_cmp_gt_f64_e32 vcc_lo, 0, v[16:17]
	v_cmp_gt_f64_e64 s3, 0, v[18:19]
	v_xor_b32_e32 v20, 0x80000000, v17
	v_xor_b32_e32 v22, 0x80000000, v19
                                        ; implicit-def: $vgpr32_vgpr33
	s_delay_alu instid0(VALU_DEP_2) | instskip(NEXT) | instid1(VALU_DEP_2)
	v_cndmask_b32_e32 v21, v17, v20, vcc_lo
	v_cndmask_b32_e64 v23, v19, v22, s3
	v_cndmask_b32_e32 v20, v16, v16, vcc_lo
	v_cndmask_b32_e64 v22, v18, v18, s3
	s_mov_b32 s3, exec_lo
	s_delay_alu instid0(VALU_DEP_1)
	v_cmpx_ngt_f64_e32 v[20:21], v[22:23]
	s_xor_b32 s3, exec_lo, s3
                                        ; implicit-def: $vgpr20_vgpr21_vgpr22_vgpr23
	s_cbranch_execz .LBB5_14
; %bb.13:
	v_div_scale_f64 v[20:21], null, v[18:19], v[18:19], v[16:17]
	v_div_scale_f64 v[37:38], vcc_lo, v[16:17], v[18:19], v[16:17]
	s_delay_alu instid0(VALU_DEP_2) | instskip(SKIP_2) | instid1(VALU_DEP_1)
	v_rcp_f64_e32 v[22:23], v[20:21]
	s_waitcnt_depctr 0xfff
	v_fma_f64 v[32:33], -v[20:21], v[22:23], 1.0
	v_fma_f64 v[22:23], v[22:23], v[32:33], v[22:23]
	s_delay_alu instid0(VALU_DEP_1) | instskip(NEXT) | instid1(VALU_DEP_1)
	v_fma_f64 v[32:33], -v[20:21], v[22:23], 1.0
	v_fma_f64 v[22:23], v[22:23], v[32:33], v[22:23]
	s_delay_alu instid0(VALU_DEP_1) | instskip(NEXT) | instid1(VALU_DEP_1)
	v_mul_f64 v[32:33], v[37:38], v[22:23]
	v_fma_f64 v[20:21], -v[20:21], v[32:33], v[37:38]
	s_delay_alu instid0(VALU_DEP_1) | instskip(NEXT) | instid1(VALU_DEP_1)
	v_div_fmas_f64 v[20:21], v[20:21], v[22:23], v[32:33]
	v_div_fixup_f64 v[20:21], v[20:21], v[18:19], v[16:17]
	s_delay_alu instid0(VALU_DEP_1) | instskip(NEXT) | instid1(VALU_DEP_1)
	v_fma_f64 v[16:17], v[16:17], v[20:21], v[18:19]
	v_div_scale_f64 v[18:19], null, v[16:17], v[16:17], 1.0
	s_delay_alu instid0(VALU_DEP_1) | instskip(SKIP_2) | instid1(VALU_DEP_1)
	v_rcp_f64_e32 v[22:23], v[18:19]
	s_waitcnt_depctr 0xfff
	v_fma_f64 v[32:33], -v[18:19], v[22:23], 1.0
	v_fma_f64 v[22:23], v[22:23], v[32:33], v[22:23]
	s_delay_alu instid0(VALU_DEP_1) | instskip(NEXT) | instid1(VALU_DEP_1)
	v_fma_f64 v[32:33], -v[18:19], v[22:23], 1.0
	v_fma_f64 v[22:23], v[22:23], v[32:33], v[22:23]
	v_div_scale_f64 v[32:33], vcc_lo, 1.0, v[16:17], 1.0
	s_delay_alu instid0(VALU_DEP_1) | instskip(NEXT) | instid1(VALU_DEP_1)
	v_mul_f64 v[37:38], v[32:33], v[22:23]
	v_fma_f64 v[18:19], -v[18:19], v[37:38], v[32:33]
	s_delay_alu instid0(VALU_DEP_1) | instskip(NEXT) | instid1(VALU_DEP_1)
	v_div_fmas_f64 v[18:19], v[18:19], v[22:23], v[37:38]
	v_div_fixup_f64 v[22:23], v[18:19], v[16:17], 1.0
                                        ; implicit-def: $vgpr16_vgpr17
	s_delay_alu instid0(VALU_DEP_1)
	v_mul_f64 v[32:33], v[20:21], v[22:23]
	v_xor_b32_e32 v23, 0x80000000, v23
.LBB5_14:
	s_and_not1_saveexec_b32 s3, s3
	s_cbranch_execz .LBB5_16
; %bb.15:
	v_div_scale_f64 v[20:21], null, v[16:17], v[16:17], v[18:19]
	v_div_scale_f64 v[37:38], vcc_lo, v[18:19], v[16:17], v[18:19]
	s_delay_alu instid0(VALU_DEP_2) | instskip(SKIP_2) | instid1(VALU_DEP_1)
	v_rcp_f64_e32 v[22:23], v[20:21]
	s_waitcnt_depctr 0xfff
	v_fma_f64 v[32:33], -v[20:21], v[22:23], 1.0
	v_fma_f64 v[22:23], v[22:23], v[32:33], v[22:23]
	s_delay_alu instid0(VALU_DEP_1) | instskip(NEXT) | instid1(VALU_DEP_1)
	v_fma_f64 v[32:33], -v[20:21], v[22:23], 1.0
	v_fma_f64 v[22:23], v[22:23], v[32:33], v[22:23]
	s_delay_alu instid0(VALU_DEP_1) | instskip(NEXT) | instid1(VALU_DEP_1)
	v_mul_f64 v[32:33], v[37:38], v[22:23]
	v_fma_f64 v[20:21], -v[20:21], v[32:33], v[37:38]
	s_delay_alu instid0(VALU_DEP_1) | instskip(NEXT) | instid1(VALU_DEP_1)
	v_div_fmas_f64 v[20:21], v[20:21], v[22:23], v[32:33]
	v_div_fixup_f64 v[20:21], v[20:21], v[16:17], v[18:19]
	s_delay_alu instid0(VALU_DEP_1) | instskip(NEXT) | instid1(VALU_DEP_1)
	v_fma_f64 v[16:17], v[18:19], v[20:21], v[16:17]
	v_div_scale_f64 v[18:19], null, v[16:17], v[16:17], 1.0
	s_delay_alu instid0(VALU_DEP_1) | instskip(SKIP_2) | instid1(VALU_DEP_1)
	v_rcp_f64_e32 v[22:23], v[18:19]
	s_waitcnt_depctr 0xfff
	v_fma_f64 v[32:33], -v[18:19], v[22:23], 1.0
	v_fma_f64 v[22:23], v[22:23], v[32:33], v[22:23]
	s_delay_alu instid0(VALU_DEP_1) | instskip(NEXT) | instid1(VALU_DEP_1)
	v_fma_f64 v[32:33], -v[18:19], v[22:23], 1.0
	v_fma_f64 v[22:23], v[22:23], v[32:33], v[22:23]
	v_div_scale_f64 v[32:33], vcc_lo, 1.0, v[16:17], 1.0
	s_delay_alu instid0(VALU_DEP_1) | instskip(NEXT) | instid1(VALU_DEP_1)
	v_mul_f64 v[37:38], v[32:33], v[22:23]
	v_fma_f64 v[18:19], -v[18:19], v[37:38], v[32:33]
	s_delay_alu instid0(VALU_DEP_1) | instskip(NEXT) | instid1(VALU_DEP_1)
	v_div_fmas_f64 v[18:19], v[18:19], v[22:23], v[37:38]
	v_div_fixup_f64 v[32:33], v[18:19], v[16:17], 1.0
	s_delay_alu instid0(VALU_DEP_1)
	v_mul_f64 v[22:23], v[20:21], -v[32:33]
.LBB5_16:
	s_or_b32 exec_lo, exec_lo, s3
	ds_store_2addr_b64 v35, v[32:33], v[22:23] offset1:1
.LBB5_17:
	s_or_b32 exec_lo, exec_lo, s4
	s_waitcnt lgkmcnt(0)
	s_barrier
	buffer_gl0_inv
	ds_load_2addr_b64 v[16:19], v35 offset1:1
	s_mov_b32 s3, exec_lo
	v_cmpx_lt_u32_e32 1, v34
	s_cbranch_execz .LBB5_19
; %bb.18:
	s_waitcnt lgkmcnt(0)
	v_mul_f64 v[20:21], v[16:17], v[6:7]
	v_mul_f64 v[6:7], v[18:19], v[6:7]
	s_delay_alu instid0(VALU_DEP_2)
	v_fma_f64 v[32:33], v[18:19], v[4:5], v[20:21]
	ds_load_2addr_b64 v[20:23], v36 offset0:4 offset1:5
	v_fma_f64 v[4:5], v[16:17], v[4:5], -v[6:7]
	s_waitcnt lgkmcnt(0)
	v_mul_f64 v[6:7], v[22:23], v[32:33]
	v_mul_f64 v[36:37], v[20:21], v[32:33]
	s_delay_alu instid0(VALU_DEP_2) | instskip(NEXT) | instid1(VALU_DEP_2)
	v_fma_f64 v[6:7], v[20:21], v[4:5], -v[6:7]
	v_fma_f64 v[20:21], v[22:23], v[4:5], v[36:37]
	s_delay_alu instid0(VALU_DEP_2) | instskip(NEXT) | instid1(VALU_DEP_2)
	v_add_f64 v[0:1], v[0:1], -v[6:7]
	v_add_f64 v[2:3], v[2:3], -v[20:21]
	v_dual_mov_b32 v6, v32 :: v_dual_mov_b32 v7, v33
.LBB5_19:
	s_or_b32 exec_lo, exec_lo, s3
	s_delay_alu instid0(SALU_CYCLE_1)
	s_mov_b32 s4, exec_lo
	s_waitcnt lgkmcnt(0)
	s_barrier
	buffer_gl0_inv
	v_cmpx_eq_u32_e32 2, v34
	s_cbranch_execz .LBB5_26
; %bb.20:
	v_cmp_neq_f64_e32 vcc_lo, 0, v[0:1]
	v_cmp_neq_f64_e64 s3, 0, v[2:3]
	ds_store_2addr_b64 v35, v[0:1], v[2:3] offset1:1
	s_or_b32 s3, vcc_lo, s3
	s_delay_alu instid0(SALU_CYCLE_1)
	s_and_b32 exec_lo, exec_lo, s3
	s_cbranch_execz .LBB5_26
; %bb.21:
	v_cmp_gt_f64_e32 vcc_lo, 0, v[0:1]
	v_cmp_gt_f64_e64 s3, 0, v[2:3]
	v_xor_b32_e32 v20, 0x80000000, v1
	v_xor_b32_e32 v22, 0x80000000, v3
                                        ; implicit-def: $vgpr32_vgpr33
	s_delay_alu instid0(VALU_DEP_2) | instskip(NEXT) | instid1(VALU_DEP_2)
	v_cndmask_b32_e32 v21, v1, v20, vcc_lo
	v_cndmask_b32_e64 v23, v3, v22, s3
	v_cndmask_b32_e32 v20, v0, v0, vcc_lo
	v_cndmask_b32_e64 v22, v2, v2, s3
	s_mov_b32 s3, exec_lo
	s_delay_alu instid0(VALU_DEP_1)
	v_cmpx_ngt_f64_e32 v[20:21], v[22:23]
	s_xor_b32 s3, exec_lo, s3
                                        ; implicit-def: $vgpr20_vgpr21_vgpr22_vgpr23
	s_cbranch_execz .LBB5_23
; %bb.22:
	v_div_scale_f64 v[20:21], null, v[2:3], v[2:3], v[0:1]
	v_div_scale_f64 v[36:37], vcc_lo, v[0:1], v[2:3], v[0:1]
	s_delay_alu instid0(VALU_DEP_2) | instskip(SKIP_2) | instid1(VALU_DEP_1)
	v_rcp_f64_e32 v[22:23], v[20:21]
	s_waitcnt_depctr 0xfff
	v_fma_f64 v[32:33], -v[20:21], v[22:23], 1.0
	v_fma_f64 v[22:23], v[22:23], v[32:33], v[22:23]
	s_delay_alu instid0(VALU_DEP_1) | instskip(NEXT) | instid1(VALU_DEP_1)
	v_fma_f64 v[32:33], -v[20:21], v[22:23], 1.0
	v_fma_f64 v[22:23], v[22:23], v[32:33], v[22:23]
	s_delay_alu instid0(VALU_DEP_1) | instskip(NEXT) | instid1(VALU_DEP_1)
	v_mul_f64 v[32:33], v[36:37], v[22:23]
	v_fma_f64 v[20:21], -v[20:21], v[32:33], v[36:37]
	s_delay_alu instid0(VALU_DEP_1) | instskip(NEXT) | instid1(VALU_DEP_1)
	v_div_fmas_f64 v[20:21], v[20:21], v[22:23], v[32:33]
	v_div_fixup_f64 v[20:21], v[20:21], v[2:3], v[0:1]
	s_delay_alu instid0(VALU_DEP_1) | instskip(NEXT) | instid1(VALU_DEP_1)
	v_fma_f64 v[22:23], v[0:1], v[20:21], v[2:3]
	v_div_scale_f64 v[32:33], null, v[22:23], v[22:23], 1.0
	s_delay_alu instid0(VALU_DEP_1) | instskip(SKIP_2) | instid1(VALU_DEP_1)
	v_rcp_f64_e32 v[36:37], v[32:33]
	s_waitcnt_depctr 0xfff
	v_fma_f64 v[38:39], -v[32:33], v[36:37], 1.0
	v_fma_f64 v[36:37], v[36:37], v[38:39], v[36:37]
	s_delay_alu instid0(VALU_DEP_1) | instskip(NEXT) | instid1(VALU_DEP_1)
	v_fma_f64 v[38:39], -v[32:33], v[36:37], 1.0
	v_fma_f64 v[36:37], v[36:37], v[38:39], v[36:37]
	v_div_scale_f64 v[38:39], vcc_lo, 1.0, v[22:23], 1.0
	s_delay_alu instid0(VALU_DEP_1) | instskip(NEXT) | instid1(VALU_DEP_1)
	v_mul_f64 v[40:41], v[38:39], v[36:37]
	v_fma_f64 v[32:33], -v[32:33], v[40:41], v[38:39]
	s_delay_alu instid0(VALU_DEP_1) | instskip(NEXT) | instid1(VALU_DEP_1)
	v_div_fmas_f64 v[32:33], v[32:33], v[36:37], v[40:41]
	v_div_fixup_f64 v[22:23], v[32:33], v[22:23], 1.0
	s_delay_alu instid0(VALU_DEP_1)
	v_mul_f64 v[32:33], v[20:21], v[22:23]
	v_xor_b32_e32 v23, 0x80000000, v23
.LBB5_23:
	s_and_not1_saveexec_b32 s3, s3
	s_cbranch_execz .LBB5_25
; %bb.24:
	v_div_scale_f64 v[20:21], null, v[0:1], v[0:1], v[2:3]
	v_div_scale_f64 v[36:37], vcc_lo, v[2:3], v[0:1], v[2:3]
	s_delay_alu instid0(VALU_DEP_2) | instskip(SKIP_2) | instid1(VALU_DEP_1)
	v_rcp_f64_e32 v[22:23], v[20:21]
	s_waitcnt_depctr 0xfff
	v_fma_f64 v[32:33], -v[20:21], v[22:23], 1.0
	v_fma_f64 v[22:23], v[22:23], v[32:33], v[22:23]
	s_delay_alu instid0(VALU_DEP_1) | instskip(NEXT) | instid1(VALU_DEP_1)
	v_fma_f64 v[32:33], -v[20:21], v[22:23], 1.0
	v_fma_f64 v[22:23], v[22:23], v[32:33], v[22:23]
	s_delay_alu instid0(VALU_DEP_1) | instskip(NEXT) | instid1(VALU_DEP_1)
	v_mul_f64 v[32:33], v[36:37], v[22:23]
	v_fma_f64 v[20:21], -v[20:21], v[32:33], v[36:37]
	s_delay_alu instid0(VALU_DEP_1) | instskip(NEXT) | instid1(VALU_DEP_1)
	v_div_fmas_f64 v[20:21], v[20:21], v[22:23], v[32:33]
	v_div_fixup_f64 v[20:21], v[20:21], v[0:1], v[2:3]
	s_delay_alu instid0(VALU_DEP_1) | instskip(NEXT) | instid1(VALU_DEP_1)
	v_fma_f64 v[22:23], v[2:3], v[20:21], v[0:1]
	v_div_scale_f64 v[32:33], null, v[22:23], v[22:23], 1.0
	s_delay_alu instid0(VALU_DEP_1) | instskip(SKIP_2) | instid1(VALU_DEP_1)
	v_rcp_f64_e32 v[36:37], v[32:33]
	s_waitcnt_depctr 0xfff
	v_fma_f64 v[38:39], -v[32:33], v[36:37], 1.0
	v_fma_f64 v[36:37], v[36:37], v[38:39], v[36:37]
	s_delay_alu instid0(VALU_DEP_1) | instskip(NEXT) | instid1(VALU_DEP_1)
	v_fma_f64 v[38:39], -v[32:33], v[36:37], 1.0
	v_fma_f64 v[36:37], v[36:37], v[38:39], v[36:37]
	v_div_scale_f64 v[38:39], vcc_lo, 1.0, v[22:23], 1.0
	s_delay_alu instid0(VALU_DEP_1) | instskip(NEXT) | instid1(VALU_DEP_1)
	v_mul_f64 v[40:41], v[38:39], v[36:37]
	v_fma_f64 v[32:33], -v[32:33], v[40:41], v[38:39]
	s_delay_alu instid0(VALU_DEP_1) | instskip(NEXT) | instid1(VALU_DEP_1)
	v_div_fmas_f64 v[32:33], v[32:33], v[36:37], v[40:41]
	v_div_fixup_f64 v[32:33], v[32:33], v[22:23], 1.0
	s_delay_alu instid0(VALU_DEP_1)
	v_mul_f64 v[22:23], v[20:21], -v[32:33]
.LBB5_25:
	s_or_b32 exec_lo, exec_lo, s3
	ds_store_2addr_b64 v35, v[32:33], v[22:23] offset1:1
.LBB5_26:
	s_or_b32 exec_lo, exec_lo, s4
	s_waitcnt lgkmcnt(0)
	s_barrier
	buffer_gl0_inv
	ds_load_2addr_b64 v[20:23], v35 offset1:1
	s_mov_b32 s3, exec_lo
	v_cmpx_lt_u32_e32 2, v34
	s_cbranch_execz .LBB5_28
; %bb.27:
	s_waitcnt lgkmcnt(0)
	v_mul_f64 v[32:33], v[22:23], v[2:3]
	v_mul_f64 v[2:3], v[20:21], v[2:3]
	s_delay_alu instid0(VALU_DEP_2) | instskip(NEXT) | instid1(VALU_DEP_2)
	v_fma_f64 v[32:33], v[20:21], v[0:1], -v[32:33]
	v_fma_f64 v[2:3], v[22:23], v[0:1], v[2:3]
	s_delay_alu instid0(VALU_DEP_2)
	v_dual_mov_b32 v0, v32 :: v_dual_mov_b32 v1, v33
.LBB5_28:
	s_or_b32 exec_lo, exec_lo, s3
	s_waitcnt lgkmcnt(0)
	s_barrier
	buffer_gl0_inv
	s_and_saveexec_b32 s6, s2
	s_cbranch_execz .LBB5_31
; %bb.29:
	s_load_b64 s[0:1], s[0:1], 0x28
	v_lshlrev_b64 v[24:25], 2, v[24:25]
	v_cmp_neq_f64_e64 s2, 0, v[18:19]
	v_cmp_eq_f64_e64 s3, 0, v[20:21]
	v_cmp_eq_f64_e64 s4, 0, v[22:23]
	s_waitcnt lgkmcnt(0)
	s_delay_alu instid0(VALU_DEP_4)
	v_add_co_u32 v24, vcc_lo, s0, v24
	v_add_co_ci_u32_e32 v25, vcc_lo, s1, v25, vcc_lo
	v_cmp_eq_f64_e32 vcc_lo, 0, v[12:13]
	v_cmp_eq_f64_e64 s0, 0, v[14:15]
	v_cmp_neq_f64_e64 s1, 0, v[16:17]
	global_load_b32 v32, v[24:25], off
	s_and_b32 s0, vcc_lo, s0
	s_or_b32 s1, s1, s2
	v_cndmask_b32_e64 v12, 0, 1, s0
	s_or_b32 vcc_lo, s1, s0
	s_and_b32 s0, s3, s4
	s_delay_alu instid0(VALU_DEP_1) | instskip(NEXT) | instid1(VALU_DEP_1)
	v_cndmask_b32_e32 v12, 2, v12, vcc_lo
	v_cmp_eq_u32_e32 vcc_lo, 0, v12
	s_and_b32 s0, s0, vcc_lo
	s_delay_alu instid0(SALU_CYCLE_1) | instskip(NEXT) | instid1(VALU_DEP_1)
	v_cndmask_b32_e64 v12, v12, 3, s0
	v_cmp_ne_u32_e64 s0, 0, v12
	s_waitcnt vmcnt(0)
	v_cmp_eq_u32_e32 vcc_lo, 0, v32
	s_delay_alu instid0(VALU_DEP_2) | instskip(NEXT) | instid1(SALU_CYCLE_1)
	s_and_b32 s0, vcc_lo, s0
	s_and_b32 exec_lo, exec_lo, s0
	s_cbranch_execz .LBB5_31
; %bb.30:
	v_add_nc_u32_e32 v12, s5, v12
	global_store_b32 v[24:25], v12, off
.LBB5_31:
	s_or_b32 exec_lo, exec_lo, s6
	s_clause 0x2
	global_store_b128 v[30:31], v[8:11], off
	global_store_b128 v[28:29], v[4:7], off
	;; [unrolled: 1-line block ×3, first 2 shown]
.LBB5_32:
	s_nop 0
	s_sendmsg sendmsg(MSG_DEALLOC_VGPRS)
	s_endpgm
	.section	.rodata,"a",@progbits
	.p2align	6, 0x0
	.amdhsa_kernel _ZN9rocsolver6v33100L23getf2_npvt_small_kernelILi3E19rocblas_complex_numIdEiiPKPS3_EEvT1_T3_lS7_lPT2_S7_S7_
		.amdhsa_group_segment_fixed_size 0
		.amdhsa_private_segment_fixed_size 0
		.amdhsa_kernarg_size 312
		.amdhsa_user_sgpr_count 14
		.amdhsa_user_sgpr_dispatch_ptr 0
		.amdhsa_user_sgpr_queue_ptr 0
		.amdhsa_user_sgpr_kernarg_segment_ptr 1
		.amdhsa_user_sgpr_dispatch_id 0
		.amdhsa_user_sgpr_private_segment_size 0
		.amdhsa_wavefront_size32 1
		.amdhsa_uses_dynamic_stack 0
		.amdhsa_enable_private_segment 0
		.amdhsa_system_sgpr_workgroup_id_x 1
		.amdhsa_system_sgpr_workgroup_id_y 1
		.amdhsa_system_sgpr_workgroup_id_z 0
		.amdhsa_system_sgpr_workgroup_info 0
		.amdhsa_system_vgpr_workitem_id 1
		.amdhsa_next_free_vgpr 43
		.amdhsa_next_free_sgpr 16
		.amdhsa_reserve_vcc 1
		.amdhsa_float_round_mode_32 0
		.amdhsa_float_round_mode_16_64 0
		.amdhsa_float_denorm_mode_32 3
		.amdhsa_float_denorm_mode_16_64 3
		.amdhsa_dx10_clamp 1
		.amdhsa_ieee_mode 1
		.amdhsa_fp16_overflow 0
		.amdhsa_workgroup_processor_mode 1
		.amdhsa_memory_ordered 1
		.amdhsa_forward_progress 0
		.amdhsa_shared_vgpr_count 0
		.amdhsa_exception_fp_ieee_invalid_op 0
		.amdhsa_exception_fp_denorm_src 0
		.amdhsa_exception_fp_ieee_div_zero 0
		.amdhsa_exception_fp_ieee_overflow 0
		.amdhsa_exception_fp_ieee_underflow 0
		.amdhsa_exception_fp_ieee_inexact 0
		.amdhsa_exception_int_div_zero 0
	.end_amdhsa_kernel
	.section	.text._ZN9rocsolver6v33100L23getf2_npvt_small_kernelILi3E19rocblas_complex_numIdEiiPKPS3_EEvT1_T3_lS7_lPT2_S7_S7_,"axG",@progbits,_ZN9rocsolver6v33100L23getf2_npvt_small_kernelILi3E19rocblas_complex_numIdEiiPKPS3_EEvT1_T3_lS7_lPT2_S7_S7_,comdat
.Lfunc_end5:
	.size	_ZN9rocsolver6v33100L23getf2_npvt_small_kernelILi3E19rocblas_complex_numIdEiiPKPS3_EEvT1_T3_lS7_lPT2_S7_S7_, .Lfunc_end5-_ZN9rocsolver6v33100L23getf2_npvt_small_kernelILi3E19rocblas_complex_numIdEiiPKPS3_EEvT1_T3_lS7_lPT2_S7_S7_
                                        ; -- End function
	.section	.AMDGPU.csdata,"",@progbits
; Kernel info:
; codeLenInByte = 2980
; NumSgprs: 18
; NumVgprs: 43
; ScratchSize: 0
; MemoryBound: 0
; FloatMode: 240
; IeeeMode: 1
; LDSByteSize: 0 bytes/workgroup (compile time only)
; SGPRBlocks: 2
; VGPRBlocks: 5
; NumSGPRsForWavesPerEU: 18
; NumVGPRsForWavesPerEU: 43
; Occupancy: 16
; WaveLimiterHint : 1
; COMPUTE_PGM_RSRC2:SCRATCH_EN: 0
; COMPUTE_PGM_RSRC2:USER_SGPR: 14
; COMPUTE_PGM_RSRC2:TRAP_HANDLER: 0
; COMPUTE_PGM_RSRC2:TGID_X_EN: 1
; COMPUTE_PGM_RSRC2:TGID_Y_EN: 1
; COMPUTE_PGM_RSRC2:TGID_Z_EN: 0
; COMPUTE_PGM_RSRC2:TIDIG_COMP_CNT: 1
	.section	.text._ZN9rocsolver6v33100L18getf2_small_kernelILi4E19rocblas_complex_numIdEiiPKPS3_EEvT1_T3_lS7_lPS7_llPT2_S7_S7_S9_l,"axG",@progbits,_ZN9rocsolver6v33100L18getf2_small_kernelILi4E19rocblas_complex_numIdEiiPKPS3_EEvT1_T3_lS7_lPS7_llPT2_S7_S7_S9_l,comdat
	.globl	_ZN9rocsolver6v33100L18getf2_small_kernelILi4E19rocblas_complex_numIdEiiPKPS3_EEvT1_T3_lS7_lPS7_llPT2_S7_S7_S9_l ; -- Begin function _ZN9rocsolver6v33100L18getf2_small_kernelILi4E19rocblas_complex_numIdEiiPKPS3_EEvT1_T3_lS7_lPS7_llPT2_S7_S7_S9_l
	.p2align	8
	.type	_ZN9rocsolver6v33100L18getf2_small_kernelILi4E19rocblas_complex_numIdEiiPKPS3_EEvT1_T3_lS7_lPS7_llPT2_S7_S7_S9_l,@function
_ZN9rocsolver6v33100L18getf2_small_kernelILi4E19rocblas_complex_numIdEiiPKPS3_EEvT1_T3_lS7_lPS7_llPT2_S7_S7_S9_l: ; @_ZN9rocsolver6v33100L18getf2_small_kernelILi4E19rocblas_complex_numIdEiiPKPS3_EEvT1_T3_lS7_lPS7_llPT2_S7_S7_S9_l
; %bb.0:
	s_clause 0x1
	s_load_b32 s2, s[0:1], 0x6c
	s_load_b64 s[12:13], s[0:1], 0x48
	v_bfe_u32 v16, v0, 10, 10
	s_waitcnt lgkmcnt(0)
	s_lshr_b32 s2, s2, 16
	s_delay_alu instid0(VALU_DEP_1) | instid1(SALU_CYCLE_1)
	v_mad_u64_u32 v[20:21], null, s15, s2, v[16:17]
	s_mov_b32 s2, exec_lo
	s_delay_alu instid0(VALU_DEP_1)
	v_cmpx_gt_i32_e64 s12, v20
	s_cbranch_execz .LBB6_87
; %bb.1:
	s_clause 0x1
	s_load_b128 s[4:7], s[0:1], 0x8
	s_load_b128 s[8:11], s[0:1], 0x50
	v_ashrrev_i32_e32 v21, 31, v20
	v_mov_b32_e32 v22, 0
	v_mov_b32_e32 v23, 0
	s_delay_alu instid0(VALU_DEP_3) | instskip(SKIP_1) | instid1(VALU_DEP_1)
	v_lshlrev_b64 v[1:2], 3, v[20:21]
	s_waitcnt lgkmcnt(0)
	v_add_co_u32 v1, vcc_lo, s4, v1
	s_delay_alu instid0(VALU_DEP_2)
	v_add_co_ci_u32_e32 v2, vcc_lo, s5, v2, vcc_lo
	s_cmp_eq_u64 s[8:9], 0
	s_cselect_b32 s4, -1, 0
	global_load_b64 v[1:2], v[1:2], off
	s_and_b32 vcc_lo, exec_lo, s4
	s_cbranch_vccnz .LBB6_3
; %bb.2:
	v_mul_lo_u32 v5, v21, s10
	v_mul_lo_u32 v6, v20, s11
	v_mad_u64_u32 v[3:4], null, v20, s10, 0
	s_delay_alu instid0(VALU_DEP_1) | instskip(NEXT) | instid1(VALU_DEP_1)
	v_add3_u32 v4, v4, v6, v5
	v_lshlrev_b64 v[3:4], 2, v[3:4]
	s_delay_alu instid0(VALU_DEP_1) | instskip(NEXT) | instid1(VALU_DEP_2)
	v_add_co_u32 v22, vcc_lo, s8, v3
	v_add_co_ci_u32_e32 v23, vcc_lo, s9, v4, vcc_lo
.LBB6_3:
	s_clause 0x1
	s_load_b32 s8, s[0:1], 0x18
	s_load_b32 s5, s[0:1], 0x0
	v_dual_mov_b32 v24, 0 :: v_dual_and_b32 v29, 0x3ff, v0
	s_lshl_b64 s[2:3], s[6:7], 4
	s_waitcnt vmcnt(0)
	v_add_co_u32 v27, vcc_lo, v1, s2
	s_delay_alu instid0(VALU_DEP_2) | instskip(SKIP_1) | instid1(VALU_DEP_2)
	v_lshlrev_b32_e32 v19, 4, v29
	v_add_co_ci_u32_e32 v28, vcc_lo, s3, v2, vcc_lo
	v_add_co_u32 v4, vcc_lo, v27, v19
	s_delay_alu instid0(VALU_DEP_2)
	v_add_co_ci_u32_e32 v5, vcc_lo, 0, v28, vcc_lo
	global_load_b128 v[0:3], v[4:5], off
	s_waitcnt lgkmcnt(0)
	v_add3_u32 v6, s8, s8, v29
	s_ashr_i32 s9, s8, 31
	s_max_i32 s2, s5, 4
	s_lshl_b64 s[10:11], s[8:9], 4
	v_mul_lo_u32 v25, s2, v16
	v_add_nc_u32_e32 v8, s8, v6
	v_ashrrev_i32_e32 v7, 31, v6
	v_add_co_u32 v4, vcc_lo, v4, s10
	v_add_co_ci_u32_e32 v5, vcc_lo, s11, v5, vcc_lo
	s_delay_alu instid0(VALU_DEP_4) | instskip(NEXT) | instid1(VALU_DEP_4)
	v_ashrrev_i32_e32 v9, 31, v8
	v_lshlrev_b64 v[6:7], 4, v[6:7]
	v_lshl_add_u32 v26, v25, 4, 0
	v_lshlrev_b32_e32 v31, 4, v25
	s_cmp_lt_i32 s5, 2
	v_lshlrev_b64 v[8:9], 4, v[8:9]
	s_delay_alu instid0(VALU_DEP_4) | instskip(SKIP_1) | instid1(VALU_DEP_3)
	v_add_co_u32 v6, vcc_lo, v27, v6
	v_add_co_ci_u32_e32 v7, vcc_lo, v28, v7, vcc_lo
	v_add_co_u32 v17, vcc_lo, v27, v8
	s_delay_alu instid0(VALU_DEP_4)
	v_add_co_ci_u32_e32 v18, vcc_lo, v28, v9, vcc_lo
	s_clause 0x2
	global_load_b128 v[12:15], v[4:5], off
	global_load_b128 v[8:11], v[6:7], off
	;; [unrolled: 1-line block ×3, first 2 shown]
	v_add_nc_u32_e32 v16, v26, v19
	s_waitcnt vmcnt(3)
	ds_store_2addr_b64 v16, v[0:1], v[2:3] offset1:1
	s_waitcnt vmcnt(0) lgkmcnt(0)
	s_barrier
	buffer_gl0_inv
	ds_load_2addr_b64 v[16:19], v26 offset1:1
	s_cbranch_scc1 .LBB6_6
; %bb.4:
	v_add3_u32 v25, v31, 0, 16
	v_mov_b32_e32 v24, 0
	s_mov_b32 s6, 1
	s_set_inst_prefetch_distance 0x1
	.p2align	6
.LBB6_5:                                ; =>This Inner Loop Header: Depth=1
	ds_load_2addr_b64 v[32:35], v25 offset1:1
	s_waitcnt lgkmcnt(1)
	v_cmp_gt_f64_e32 vcc_lo, 0, v[16:17]
	v_xor_b32_e32 v30, 0x80000000, v17
	v_cmp_gt_f64_e64 s2, 0, v[18:19]
	v_xor_b32_e32 v36, 0x80000000, v19
	v_add_nc_u32_e32 v25, 16, v25
	s_waitcnt lgkmcnt(0)
	v_cmp_gt_f64_e64 s3, 0, v[32:33]
	v_mov_b32_e32 v40, v32
	v_dual_mov_b32 v42, v34 :: v_dual_cndmask_b32 v37, v17, v30
	v_xor_b32_e32 v30, 0x80000000, v33
	v_cndmask_b32_e64 v39, v19, v36, s2
	v_xor_b32_e32 v36, 0x80000000, v35
	v_cndmask_b32_e64 v38, v18, v18, s2
	s_delay_alu instid0(VALU_DEP_4) | instskip(SKIP_1) | instid1(VALU_DEP_1)
	v_cndmask_b32_e64 v41, v33, v30, s3
	v_cmp_gt_f64_e64 s3, 0, v[34:35]
	v_cndmask_b32_e64 v43, v35, v36, s3
	v_cndmask_b32_e32 v36, v16, v16, vcc_lo
	s_delay_alu instid0(VALU_DEP_2) | instskip(NEXT) | instid1(VALU_DEP_2)
	v_add_f64 v[40:41], v[40:41], v[42:43]
	v_add_f64 v[36:37], v[36:37], v[38:39]
	s_delay_alu instid0(VALU_DEP_1)
	v_cmp_lt_f64_e32 vcc_lo, v[36:37], v[40:41]
	v_cndmask_b32_e32 v19, v19, v35, vcc_lo
	v_dual_cndmask_b32 v17, v17, v33 :: v_dual_cndmask_b32 v16, v16, v32
	v_cndmask_b32_e32 v18, v18, v34, vcc_lo
	v_cndmask_b32_e64 v24, v24, s6, vcc_lo
	s_add_i32 s6, s6, 1
	s_delay_alu instid0(SALU_CYCLE_1)
	s_cmp_eq_u32 s5, s6
	s_cbranch_scc0 .LBB6_5
.LBB6_6:
	s_set_inst_prefetch_distance 0x2
	s_waitcnt lgkmcnt(0)
	v_cmp_neq_f64_e32 vcc_lo, 0, v[16:17]
	v_cmp_neq_f64_e64 s2, 0, v[18:19]
	v_dual_mov_b32 v30, 1 :: v_dual_mov_b32 v33, 1
	s_delay_alu instid0(VALU_DEP_2) | instskip(NEXT) | instid1(SALU_CYCLE_1)
	s_or_b32 s2, vcc_lo, s2
	s_and_saveexec_b32 s3, s2
	s_cbranch_execz .LBB6_12
; %bb.7:
	v_cmp_gt_f64_e32 vcc_lo, 0, v[16:17]
	v_cmp_gt_f64_e64 s2, 0, v[18:19]
	v_xor_b32_e32 v25, 0x80000000, v17
	v_xor_b32_e32 v30, 0x80000000, v19
                                        ; implicit-def: $sgpr6
                                        ; implicit-def: $sgpr7
	s_delay_alu instid0(VALU_DEP_2) | instskip(NEXT) | instid1(VALU_DEP_2)
	v_dual_cndmask_b32 v33, v17, v25 :: v_dual_cndmask_b32 v32, v16, v16
	v_cndmask_b32_e64 v35, v19, v30, s2
	v_cndmask_b32_e64 v34, v18, v18, s2
	s_mov_b32 s2, exec_lo
	s_delay_alu instid0(VALU_DEP_1)
	v_cmpx_ngt_f64_e32 v[32:33], v[34:35]
	s_xor_b32 s2, exec_lo, s2
	s_cbranch_execz .LBB6_9
; %bb.8:
	v_div_scale_f64 v[32:33], null, v[18:19], v[18:19], v[16:17]
	v_div_scale_f64 v[38:39], vcc_lo, v[16:17], v[18:19], v[16:17]
	s_mov_b32 s7, 2
	s_mov_b32 s6, 0
	s_delay_alu instid0(VALU_DEP_2) | instskip(SKIP_2) | instid1(VALU_DEP_1)
	v_rcp_f64_e32 v[34:35], v[32:33]
	s_waitcnt_depctr 0xfff
	v_fma_f64 v[36:37], -v[32:33], v[34:35], 1.0
	v_fma_f64 v[34:35], v[34:35], v[36:37], v[34:35]
	s_delay_alu instid0(VALU_DEP_1) | instskip(NEXT) | instid1(VALU_DEP_1)
	v_fma_f64 v[36:37], -v[32:33], v[34:35], 1.0
	v_fma_f64 v[34:35], v[34:35], v[36:37], v[34:35]
	s_delay_alu instid0(VALU_DEP_1) | instskip(NEXT) | instid1(VALU_DEP_1)
	v_mul_f64 v[36:37], v[38:39], v[34:35]
	v_fma_f64 v[32:33], -v[32:33], v[36:37], v[38:39]
	s_delay_alu instid0(VALU_DEP_1) | instskip(NEXT) | instid1(VALU_DEP_1)
	v_div_fmas_f64 v[32:33], v[32:33], v[34:35], v[36:37]
	v_div_fixup_f64 v[32:33], v[32:33], v[18:19], v[16:17]
	s_delay_alu instid0(VALU_DEP_1) | instskip(NEXT) | instid1(VALU_DEP_1)
	v_fma_f64 v[16:17], v[16:17], v[32:33], v[18:19]
	v_div_scale_f64 v[18:19], null, v[16:17], v[16:17], 1.0
	s_delay_alu instid0(VALU_DEP_1) | instskip(SKIP_2) | instid1(VALU_DEP_1)
	v_rcp_f64_e32 v[34:35], v[18:19]
	s_waitcnt_depctr 0xfff
	v_fma_f64 v[36:37], -v[18:19], v[34:35], 1.0
	v_fma_f64 v[34:35], v[34:35], v[36:37], v[34:35]
	s_delay_alu instid0(VALU_DEP_1) | instskip(NEXT) | instid1(VALU_DEP_1)
	v_fma_f64 v[36:37], -v[18:19], v[34:35], 1.0
	v_fma_f64 v[34:35], v[34:35], v[36:37], v[34:35]
	v_div_scale_f64 v[36:37], vcc_lo, 1.0, v[16:17], 1.0
	s_delay_alu instid0(VALU_DEP_1) | instskip(NEXT) | instid1(VALU_DEP_1)
	v_mul_f64 v[38:39], v[36:37], v[34:35]
	v_fma_f64 v[18:19], -v[18:19], v[38:39], v[36:37]
	s_delay_alu instid0(VALU_DEP_1) | instskip(NEXT) | instid1(VALU_DEP_1)
	v_div_fmas_f64 v[18:19], v[18:19], v[34:35], v[38:39]
	v_div_fixup_f64 v[18:19], v[18:19], v[16:17], 1.0
	s_delay_alu instid0(VALU_DEP_1)
	v_mul_f64 v[16:17], v[32:33], v[18:19]
	v_xor_b32_e32 v19, 0x80000000, v19
.LBB6_9:
	s_or_saveexec_b32 s2, s2
	v_dual_mov_b32 v33, s6 :: v_dual_mov_b32 v30, s7
	s_xor_b32 exec_lo, exec_lo, s2
	s_cbranch_execz .LBB6_11
; %bb.10:
	s_delay_alu instid0(VALU_DEP_3) | instskip(SKIP_2) | instid1(VALU_DEP_3)
	v_div_scale_f64 v[32:33], null, v[16:17], v[16:17], v[18:19]
	v_div_scale_f64 v[38:39], vcc_lo, v[18:19], v[16:17], v[18:19]
	v_mov_b32_e32 v30, 2
	v_rcp_f64_e32 v[34:35], v[32:33]
	s_waitcnt_depctr 0xfff
	v_fma_f64 v[36:37], -v[32:33], v[34:35], 1.0
	s_delay_alu instid0(VALU_DEP_1) | instskip(NEXT) | instid1(VALU_DEP_1)
	v_fma_f64 v[34:35], v[34:35], v[36:37], v[34:35]
	v_fma_f64 v[36:37], -v[32:33], v[34:35], 1.0
	s_delay_alu instid0(VALU_DEP_1) | instskip(NEXT) | instid1(VALU_DEP_1)
	v_fma_f64 v[34:35], v[34:35], v[36:37], v[34:35]
	v_mul_f64 v[36:37], v[38:39], v[34:35]
	s_delay_alu instid0(VALU_DEP_1) | instskip(NEXT) | instid1(VALU_DEP_1)
	v_fma_f64 v[32:33], -v[32:33], v[36:37], v[38:39]
	v_div_fmas_f64 v[32:33], v[32:33], v[34:35], v[36:37]
	s_delay_alu instid0(VALU_DEP_1) | instskip(NEXT) | instid1(VALU_DEP_1)
	v_div_fixup_f64 v[32:33], v[32:33], v[16:17], v[18:19]
	v_fma_f64 v[16:17], v[18:19], v[32:33], v[16:17]
	s_delay_alu instid0(VALU_DEP_1) | instskip(NEXT) | instid1(VALU_DEP_1)
	v_div_scale_f64 v[18:19], null, v[16:17], v[16:17], 1.0
	v_rcp_f64_e32 v[34:35], v[18:19]
	s_waitcnt_depctr 0xfff
	v_fma_f64 v[36:37], -v[18:19], v[34:35], 1.0
	s_delay_alu instid0(VALU_DEP_1) | instskip(NEXT) | instid1(VALU_DEP_1)
	v_fma_f64 v[34:35], v[34:35], v[36:37], v[34:35]
	v_fma_f64 v[36:37], -v[18:19], v[34:35], 1.0
	s_delay_alu instid0(VALU_DEP_1) | instskip(SKIP_1) | instid1(VALU_DEP_1)
	v_fma_f64 v[34:35], v[34:35], v[36:37], v[34:35]
	v_div_scale_f64 v[36:37], vcc_lo, 1.0, v[16:17], 1.0
	v_mul_f64 v[38:39], v[36:37], v[34:35]
	s_delay_alu instid0(VALU_DEP_1) | instskip(NEXT) | instid1(VALU_DEP_1)
	v_fma_f64 v[18:19], -v[18:19], v[38:39], v[36:37]
	v_div_fmas_f64 v[18:19], v[18:19], v[34:35], v[38:39]
	s_delay_alu instid0(VALU_DEP_1) | instskip(NEXT) | instid1(VALU_DEP_1)
	v_div_fixup_f64 v[16:17], v[18:19], v[16:17], 1.0
	v_mul_f64 v[18:19], v[32:33], -v[16:17]
	v_mov_b32_e32 v33, 0
.LBB6_11:
	s_or_b32 exec_lo, exec_lo, s2
.LBB6_12:
	s_delay_alu instid0(SALU_CYCLE_1) | instskip(NEXT) | instid1(SALU_CYCLE_1)
	s_or_b32 exec_lo, exec_lo, s3
	s_mov_b32 s2, exec_lo
	v_cmpx_ne_u32_e64 v29, v24
	s_xor_b32 s2, exec_lo, s2
	s_cbranch_execz .LBB6_18
; %bb.13:
	s_mov_b32 s3, exec_lo
	v_cmpx_eq_u32_e32 0, v29
	s_cbranch_execz .LBB6_17
; %bb.14:
	v_cmp_ne_u32_e32 vcc_lo, 0, v24
	s_xor_b32 s6, s4, -1
	s_delay_alu instid0(SALU_CYCLE_1) | instskip(NEXT) | instid1(SALU_CYCLE_1)
	s_and_b32 s7, s6, vcc_lo
	s_and_saveexec_b32 s6, s7
	s_cbranch_execz .LBB6_16
; %bb.15:
	v_ashrrev_i32_e32 v25, 31, v24
	s_delay_alu instid0(VALU_DEP_1) | instskip(NEXT) | instid1(VALU_DEP_1)
	v_lshlrev_b64 v[34:35], 2, v[24:25]
	v_add_co_u32 v34, vcc_lo, v22, v34
	s_delay_alu instid0(VALU_DEP_2)
	v_add_co_ci_u32_e32 v35, vcc_lo, v23, v35, vcc_lo
	s_clause 0x1
	flat_load_b32 v25, v[34:35]
	flat_load_b32 v29, v[22:23]
	s_waitcnt vmcnt(1) lgkmcnt(1)
	flat_store_b32 v[22:23], v25
	s_waitcnt vmcnt(0) lgkmcnt(1)
	flat_store_b32 v[34:35], v29
.LBB6_16:
	s_or_b32 exec_lo, exec_lo, s6
	v_mov_b32_e32 v29, v24
.LBB6_17:
	s_or_b32 exec_lo, exec_lo, s3
.LBB6_18:
	s_or_saveexec_b32 s2, s2
	s_delay_alu instid0(VALU_DEP_1)
	v_mov_b32_e32 v32, v29
	s_xor_b32 exec_lo, exec_lo, s2
	s_cbranch_execz .LBB6_20
; %bb.19:
	v_mov_b32_e32 v32, 0
	ds_store_2addr_b64 v26, v[12:13], v[14:15] offset0:2 offset1:3
	ds_store_2addr_b64 v26, v[8:9], v[10:11] offset0:4 offset1:5
	;; [unrolled: 1-line block ×3, first 2 shown]
.LBB6_20:
	s_or_b32 exec_lo, exec_lo, s2
	s_delay_alu instid0(SALU_CYCLE_1)
	s_mov_b32 s2, exec_lo
	s_waitcnt lgkmcnt(0)
	s_waitcnt_vscnt null, 0x0
	s_barrier
	buffer_gl0_inv
	v_cmpx_lt_i32_e32 0, v32
	s_cbranch_execz .LBB6_22
; %bb.21:
	v_mul_f64 v[24:25], v[16:17], v[2:3]
	v_mul_f64 v[2:3], v[18:19], v[2:3]
	ds_load_2addr_b64 v[34:37], v26 offset0:2 offset1:3
	ds_load_2addr_b64 v[38:41], v26 offset0:4 offset1:5
	;; [unrolled: 1-line block ×3, first 2 shown]
	v_fma_f64 v[18:19], v[18:19], v[0:1], v[24:25]
	v_fma_f64 v[0:1], v[16:17], v[0:1], -v[2:3]
	s_waitcnt lgkmcnt(2)
	s_delay_alu instid0(VALU_DEP_2)
	v_mul_f64 v[2:3], v[36:37], v[18:19]
	v_mul_f64 v[16:17], v[34:35], v[18:19]
	s_waitcnt lgkmcnt(1)
	v_mul_f64 v[24:25], v[40:41], v[18:19]
	v_mul_f64 v[46:47], v[38:39], v[18:19]
	s_waitcnt lgkmcnt(0)
	v_mul_f64 v[48:49], v[44:45], v[18:19]
	v_mul_f64 v[50:51], v[42:43], v[18:19]
	v_fma_f64 v[2:3], v[34:35], v[0:1], -v[2:3]
	v_fma_f64 v[16:17], v[36:37], v[0:1], v[16:17]
	v_fma_f64 v[24:25], v[38:39], v[0:1], -v[24:25]
	v_fma_f64 v[34:35], v[40:41], v[0:1], v[46:47]
	;; [unrolled: 2-line block ×3, first 2 shown]
	v_add_f64 v[12:13], v[12:13], -v[2:3]
	v_add_f64 v[14:15], v[14:15], -v[16:17]
	;; [unrolled: 1-line block ×6, first 2 shown]
	v_dual_mov_b32 v2, v18 :: v_dual_mov_b32 v3, v19
.LBB6_22:
	s_or_b32 exec_lo, exec_lo, s2
	v_lshl_add_u32 v16, v32, 4, v26
	s_barrier
	buffer_gl0_inv
	v_mov_b32_e32 v24, 1
	ds_store_2addr_b64 v16, v[12:13], v[14:15] offset1:1
	s_waitcnt lgkmcnt(0)
	s_barrier
	buffer_gl0_inv
	ds_load_2addr_b64 v[16:19], v26 offset0:2 offset1:3
	s_cmp_lt_i32 s5, 3
	s_cbranch_scc1 .LBB6_25
; %bb.23:
	v_add3_u32 v25, v31, 0, 32
	v_mov_b32_e32 v24, 1
	s_mov_b32 s6, 2
	s_set_inst_prefetch_distance 0x1
	.p2align	6
.LBB6_24:                               ; =>This Inner Loop Header: Depth=1
	ds_load_2addr_b64 v[34:37], v25 offset1:1
	s_waitcnt lgkmcnt(1)
	v_cmp_gt_f64_e32 vcc_lo, 0, v[16:17]
	v_xor_b32_e32 v38, 0x80000000, v17
	v_cmp_gt_f64_e64 s2, 0, v[18:19]
	v_xor_b32_e32 v40, 0x80000000, v19
	v_add_nc_u32_e32 v25, 16, v25
	s_waitcnt lgkmcnt(0)
	v_cmp_gt_f64_e64 s3, 0, v[34:35]
	v_mov_b32_e32 v42, v34
	v_dual_mov_b32 v44, v36 :: v_dual_cndmask_b32 v39, v17, v38
	v_xor_b32_e32 v38, 0x80000000, v35
	v_cndmask_b32_e64 v41, v19, v40, s2
	v_xor_b32_e32 v40, 0x80000000, v37
	s_delay_alu instid0(VALU_DEP_3) | instskip(SKIP_2) | instid1(VALU_DEP_2)
	v_cndmask_b32_e64 v43, v35, v38, s3
	v_cmp_gt_f64_e64 s3, 0, v[36:37]
	v_cndmask_b32_e32 v38, v16, v16, vcc_lo
	v_cndmask_b32_e64 v45, v37, v40, s3
	v_cndmask_b32_e64 v40, v18, v18, s2
	s_delay_alu instid0(VALU_DEP_2) | instskip(NEXT) | instid1(VALU_DEP_2)
	v_add_f64 v[42:43], v[42:43], v[44:45]
	v_add_f64 v[38:39], v[38:39], v[40:41]
	s_delay_alu instid0(VALU_DEP_1)
	v_cmp_lt_f64_e32 vcc_lo, v[38:39], v[42:43]
	v_cndmask_b32_e32 v19, v19, v37, vcc_lo
	v_dual_cndmask_b32 v17, v17, v35 :: v_dual_cndmask_b32 v16, v16, v34
	v_cndmask_b32_e32 v18, v18, v36, vcc_lo
	v_cndmask_b32_e64 v24, v24, s6, vcc_lo
	s_add_i32 s6, s6, 1
	s_delay_alu instid0(SALU_CYCLE_1)
	s_cmp_lg_u32 s5, s6
	s_cbranch_scc1 .LBB6_24
.LBB6_25:
	s_set_inst_prefetch_distance 0x2
	s_waitcnt lgkmcnt(0)
	v_cmp_neq_f64_e32 vcc_lo, 0, v[16:17]
	v_cmp_neq_f64_e64 s2, 0, v[18:19]
	s_delay_alu instid0(VALU_DEP_1) | instskip(NEXT) | instid1(SALU_CYCLE_1)
	s_or_b32 s2, vcc_lo, s2
	s_and_saveexec_b32 s3, s2
	s_cbranch_execz .LBB6_31
; %bb.26:
	v_cmp_gt_f64_e32 vcc_lo, 0, v[16:17]
	v_cmp_gt_f64_e64 s2, 0, v[18:19]
	v_xor_b32_e32 v25, 0x80000000, v17
	v_xor_b32_e32 v30, 0x80000000, v19
	s_delay_alu instid0(VALU_DEP_2) | instskip(NEXT) | instid1(VALU_DEP_2)
	v_dual_cndmask_b32 v35, v17, v25 :: v_dual_cndmask_b32 v34, v16, v16
	v_cndmask_b32_e64 v37, v19, v30, s2
	v_cndmask_b32_e64 v36, v18, v18, s2
	s_mov_b32 s2, exec_lo
	s_delay_alu instid0(VALU_DEP_1)
	v_cmpx_ngt_f64_e32 v[34:35], v[36:37]
	s_xor_b32 s2, exec_lo, s2
	s_cbranch_execz .LBB6_28
; %bb.27:
	v_div_scale_f64 v[34:35], null, v[18:19], v[18:19], v[16:17]
	v_div_scale_f64 v[40:41], vcc_lo, v[16:17], v[18:19], v[16:17]
	s_delay_alu instid0(VALU_DEP_2) | instskip(SKIP_2) | instid1(VALU_DEP_1)
	v_rcp_f64_e32 v[36:37], v[34:35]
	s_waitcnt_depctr 0xfff
	v_fma_f64 v[38:39], -v[34:35], v[36:37], 1.0
	v_fma_f64 v[36:37], v[36:37], v[38:39], v[36:37]
	s_delay_alu instid0(VALU_DEP_1) | instskip(NEXT) | instid1(VALU_DEP_1)
	v_fma_f64 v[38:39], -v[34:35], v[36:37], 1.0
	v_fma_f64 v[36:37], v[36:37], v[38:39], v[36:37]
	s_delay_alu instid0(VALU_DEP_1) | instskip(NEXT) | instid1(VALU_DEP_1)
	v_mul_f64 v[38:39], v[40:41], v[36:37]
	v_fma_f64 v[34:35], -v[34:35], v[38:39], v[40:41]
	s_delay_alu instid0(VALU_DEP_1) | instskip(NEXT) | instid1(VALU_DEP_1)
	v_div_fmas_f64 v[34:35], v[34:35], v[36:37], v[38:39]
	v_div_fixup_f64 v[34:35], v[34:35], v[18:19], v[16:17]
	s_delay_alu instid0(VALU_DEP_1) | instskip(NEXT) | instid1(VALU_DEP_1)
	v_fma_f64 v[16:17], v[16:17], v[34:35], v[18:19]
	v_div_scale_f64 v[18:19], null, v[16:17], v[16:17], 1.0
	s_delay_alu instid0(VALU_DEP_1) | instskip(SKIP_2) | instid1(VALU_DEP_1)
	v_rcp_f64_e32 v[36:37], v[18:19]
	s_waitcnt_depctr 0xfff
	v_fma_f64 v[38:39], -v[18:19], v[36:37], 1.0
	v_fma_f64 v[36:37], v[36:37], v[38:39], v[36:37]
	s_delay_alu instid0(VALU_DEP_1) | instskip(NEXT) | instid1(VALU_DEP_1)
	v_fma_f64 v[38:39], -v[18:19], v[36:37], 1.0
	v_fma_f64 v[36:37], v[36:37], v[38:39], v[36:37]
	v_div_scale_f64 v[38:39], vcc_lo, 1.0, v[16:17], 1.0
	s_delay_alu instid0(VALU_DEP_1) | instskip(NEXT) | instid1(VALU_DEP_1)
	v_mul_f64 v[40:41], v[38:39], v[36:37]
	v_fma_f64 v[18:19], -v[18:19], v[40:41], v[38:39]
	s_delay_alu instid0(VALU_DEP_1) | instskip(NEXT) | instid1(VALU_DEP_1)
	v_div_fmas_f64 v[18:19], v[18:19], v[36:37], v[40:41]
	v_div_fixup_f64 v[18:19], v[18:19], v[16:17], 1.0
	s_delay_alu instid0(VALU_DEP_1)
	v_mul_f64 v[16:17], v[34:35], v[18:19]
	v_xor_b32_e32 v19, 0x80000000, v19
.LBB6_28:
	s_and_not1_saveexec_b32 s2, s2
	s_cbranch_execz .LBB6_30
; %bb.29:
	s_delay_alu instid0(VALU_DEP_1) | instskip(SKIP_1) | instid1(VALU_DEP_2)
	v_div_scale_f64 v[34:35], null, v[16:17], v[16:17], v[18:19]
	v_div_scale_f64 v[40:41], vcc_lo, v[18:19], v[16:17], v[18:19]
	v_rcp_f64_e32 v[36:37], v[34:35]
	s_waitcnt_depctr 0xfff
	v_fma_f64 v[38:39], -v[34:35], v[36:37], 1.0
	s_delay_alu instid0(VALU_DEP_1) | instskip(NEXT) | instid1(VALU_DEP_1)
	v_fma_f64 v[36:37], v[36:37], v[38:39], v[36:37]
	v_fma_f64 v[38:39], -v[34:35], v[36:37], 1.0
	s_delay_alu instid0(VALU_DEP_1) | instskip(NEXT) | instid1(VALU_DEP_1)
	v_fma_f64 v[36:37], v[36:37], v[38:39], v[36:37]
	v_mul_f64 v[38:39], v[40:41], v[36:37]
	s_delay_alu instid0(VALU_DEP_1) | instskip(NEXT) | instid1(VALU_DEP_1)
	v_fma_f64 v[34:35], -v[34:35], v[38:39], v[40:41]
	v_div_fmas_f64 v[34:35], v[34:35], v[36:37], v[38:39]
	s_delay_alu instid0(VALU_DEP_1) | instskip(NEXT) | instid1(VALU_DEP_1)
	v_div_fixup_f64 v[34:35], v[34:35], v[16:17], v[18:19]
	v_fma_f64 v[16:17], v[18:19], v[34:35], v[16:17]
	s_delay_alu instid0(VALU_DEP_1) | instskip(NEXT) | instid1(VALU_DEP_1)
	v_div_scale_f64 v[18:19], null, v[16:17], v[16:17], 1.0
	v_rcp_f64_e32 v[36:37], v[18:19]
	s_waitcnt_depctr 0xfff
	v_fma_f64 v[38:39], -v[18:19], v[36:37], 1.0
	s_delay_alu instid0(VALU_DEP_1) | instskip(NEXT) | instid1(VALU_DEP_1)
	v_fma_f64 v[36:37], v[36:37], v[38:39], v[36:37]
	v_fma_f64 v[38:39], -v[18:19], v[36:37], 1.0
	s_delay_alu instid0(VALU_DEP_1) | instskip(SKIP_1) | instid1(VALU_DEP_1)
	v_fma_f64 v[36:37], v[36:37], v[38:39], v[36:37]
	v_div_scale_f64 v[38:39], vcc_lo, 1.0, v[16:17], 1.0
	v_mul_f64 v[40:41], v[38:39], v[36:37]
	s_delay_alu instid0(VALU_DEP_1) | instskip(NEXT) | instid1(VALU_DEP_1)
	v_fma_f64 v[18:19], -v[18:19], v[40:41], v[38:39]
	v_div_fmas_f64 v[18:19], v[18:19], v[36:37], v[40:41]
	s_delay_alu instid0(VALU_DEP_1) | instskip(NEXT) | instid1(VALU_DEP_1)
	v_div_fixup_f64 v[16:17], v[18:19], v[16:17], 1.0
	v_mul_f64 v[18:19], v[34:35], -v[16:17]
.LBB6_30:
	s_or_b32 exec_lo, exec_lo, s2
	v_mov_b32_e32 v30, v33
.LBB6_31:
	s_or_b32 exec_lo, exec_lo, s3
	s_delay_alu instid0(SALU_CYCLE_1)
	s_mov_b32 s2, exec_lo
	v_cmpx_ne_u32_e64 v32, v24
	s_xor_b32 s2, exec_lo, s2
	s_cbranch_execz .LBB6_37
; %bb.32:
	s_mov_b32 s3, exec_lo
	v_cmpx_eq_u32_e32 1, v32
	s_cbranch_execz .LBB6_36
; %bb.33:
	v_cmp_ne_u32_e32 vcc_lo, 1, v24
	s_xor_b32 s6, s4, -1
	s_delay_alu instid0(SALU_CYCLE_1) | instskip(NEXT) | instid1(SALU_CYCLE_1)
	s_and_b32 s7, s6, vcc_lo
	s_and_saveexec_b32 s6, s7
	s_cbranch_execz .LBB6_35
; %bb.34:
	v_ashrrev_i32_e32 v25, 31, v24
	s_delay_alu instid0(VALU_DEP_1) | instskip(NEXT) | instid1(VALU_DEP_1)
	v_lshlrev_b64 v[32:33], 2, v[24:25]
	v_add_co_u32 v32, vcc_lo, v22, v32
	s_delay_alu instid0(VALU_DEP_2)
	v_add_co_ci_u32_e32 v33, vcc_lo, v23, v33, vcc_lo
	s_clause 0x1
	flat_load_b32 v25, v[32:33]
	flat_load_b32 v29, v[22:23] offset:4
	s_waitcnt vmcnt(1) lgkmcnt(1)
	flat_store_b32 v[22:23], v25 offset:4
	s_waitcnt vmcnt(0) lgkmcnt(1)
	flat_store_b32 v[32:33], v29
.LBB6_35:
	s_or_b32 exec_lo, exec_lo, s6
	v_mov_b32_e32 v32, v24
	v_mov_b32_e32 v29, v24
.LBB6_36:
	s_or_b32 exec_lo, exec_lo, s3
.LBB6_37:
	s_and_not1_saveexec_b32 s2, s2
	s_cbranch_execz .LBB6_39
; %bb.38:
	v_mov_b32_e32 v32, 1
	ds_store_2addr_b64 v26, v[8:9], v[10:11] offset0:4 offset1:5
	ds_store_2addr_b64 v26, v[4:5], v[6:7] offset0:6 offset1:7
.LBB6_39:
	s_or_b32 exec_lo, exec_lo, s2
	s_delay_alu instid0(SALU_CYCLE_1)
	s_mov_b32 s2, exec_lo
	s_waitcnt lgkmcnt(0)
	s_waitcnt_vscnt null, 0x0
	s_barrier
	buffer_gl0_inv
	v_cmpx_lt_i32_e32 1, v32
	s_cbranch_execz .LBB6_41
; %bb.40:
	v_mul_f64 v[24:25], v[16:17], v[14:15]
	v_mul_f64 v[14:15], v[18:19], v[14:15]
	ds_load_2addr_b64 v[33:36], v26 offset0:4 offset1:5
	ds_load_2addr_b64 v[37:40], v26 offset0:6 offset1:7
	v_fma_f64 v[18:19], v[18:19], v[12:13], v[24:25]
	v_fma_f64 v[12:13], v[16:17], v[12:13], -v[14:15]
	s_waitcnt lgkmcnt(1)
	s_delay_alu instid0(VALU_DEP_2) | instskip(SKIP_4) | instid1(VALU_DEP_4)
	v_mul_f64 v[14:15], v[35:36], v[18:19]
	v_mul_f64 v[16:17], v[33:34], v[18:19]
	s_waitcnt lgkmcnt(0)
	v_mul_f64 v[24:25], v[39:40], v[18:19]
	v_mul_f64 v[41:42], v[37:38], v[18:19]
	v_fma_f64 v[14:15], v[33:34], v[12:13], -v[14:15]
	s_delay_alu instid0(VALU_DEP_4) | instskip(NEXT) | instid1(VALU_DEP_4)
	v_fma_f64 v[16:17], v[35:36], v[12:13], v[16:17]
	v_fma_f64 v[24:25], v[37:38], v[12:13], -v[24:25]
	s_delay_alu instid0(VALU_DEP_4) | instskip(NEXT) | instid1(VALU_DEP_4)
	v_fma_f64 v[33:34], v[39:40], v[12:13], v[41:42]
	v_add_f64 v[8:9], v[8:9], -v[14:15]
	s_delay_alu instid0(VALU_DEP_4) | instskip(NEXT) | instid1(VALU_DEP_4)
	v_add_f64 v[10:11], v[10:11], -v[16:17]
	v_add_f64 v[4:5], v[4:5], -v[24:25]
	s_delay_alu instid0(VALU_DEP_4)
	v_add_f64 v[6:7], v[6:7], -v[33:34]
	v_dual_mov_b32 v14, v18 :: v_dual_mov_b32 v15, v19
.LBB6_41:
	s_or_b32 exec_lo, exec_lo, s2
	v_lshl_add_u32 v16, v32, 4, v26
	s_barrier
	buffer_gl0_inv
	v_mov_b32_e32 v24, 2
	ds_store_2addr_b64 v16, v[8:9], v[10:11] offset1:1
	s_waitcnt lgkmcnt(0)
	s_barrier
	buffer_gl0_inv
	ds_load_2addr_b64 v[16:19], v26 offset0:4 offset1:5
	s_cmp_lt_i32 s5, 4
	s_cbranch_scc1 .LBB6_44
; %bb.42:
	v_add3_u32 v25, v31, 0, 48
	v_mov_b32_e32 v24, 2
	s_mov_b32 s6, 3
	s_set_inst_prefetch_distance 0x1
	.p2align	6
.LBB6_43:                               ; =>This Inner Loop Header: Depth=1
	ds_load_2addr_b64 v[33:36], v25 offset1:1
	s_waitcnt lgkmcnt(1)
	v_cmp_gt_f64_e32 vcc_lo, 0, v[16:17]
	v_xor_b32_e32 v37, 0x80000000, v17
	v_cmp_gt_f64_e64 s2, 0, v[18:19]
	v_xor_b32_e32 v39, 0x80000000, v19
	v_add_nc_u32_e32 v25, 16, v25
	s_waitcnt lgkmcnt(0)
	v_cmp_gt_f64_e64 s3, 0, v[33:34]
	v_mov_b32_e32 v41, v33
	v_dual_mov_b32 v43, v35 :: v_dual_cndmask_b32 v38, v17, v37
	v_xor_b32_e32 v37, 0x80000000, v34
	v_cndmask_b32_e64 v40, v19, v39, s2
	v_xor_b32_e32 v39, 0x80000000, v36
	s_delay_alu instid0(VALU_DEP_3) | instskip(SKIP_2) | instid1(VALU_DEP_2)
	v_cndmask_b32_e64 v42, v34, v37, s3
	v_cmp_gt_f64_e64 s3, 0, v[35:36]
	v_cndmask_b32_e32 v37, v16, v16, vcc_lo
	v_cndmask_b32_e64 v44, v36, v39, s3
	v_cndmask_b32_e64 v39, v18, v18, s2
	s_delay_alu instid0(VALU_DEP_2) | instskip(NEXT) | instid1(VALU_DEP_2)
	v_add_f64 v[41:42], v[41:42], v[43:44]
	v_add_f64 v[37:38], v[37:38], v[39:40]
	s_delay_alu instid0(VALU_DEP_1) | instskip(SKIP_4) | instid1(SALU_CYCLE_1)
	v_cmp_lt_f64_e32 vcc_lo, v[37:38], v[41:42]
	v_dual_cndmask_b32 v18, v18, v35 :: v_dual_cndmask_b32 v17, v17, v34
	v_dual_cndmask_b32 v16, v16, v33 :: v_dual_cndmask_b32 v19, v19, v36
	v_cndmask_b32_e64 v24, v24, s6, vcc_lo
	s_add_i32 s6, s6, 1
	s_cmp_lg_u32 s5, s6
	s_cbranch_scc1 .LBB6_43
.LBB6_44:
	s_set_inst_prefetch_distance 0x2
	s_waitcnt lgkmcnt(0)
	v_cmp_eq_f64_e32 vcc_lo, 0, v[16:17]
	v_cmp_eq_f64_e64 s2, 0, v[18:19]
	s_delay_alu instid0(VALU_DEP_1) | instskip(NEXT) | instid1(SALU_CYCLE_1)
	s_and_b32 s2, vcc_lo, s2
	s_and_saveexec_b32 s3, s2
	s_delay_alu instid0(SALU_CYCLE_1)
	s_xor_b32 s2, exec_lo, s3
; %bb.45:
	v_cmp_ne_u32_e32 vcc_lo, 0, v30
	v_cndmask_b32_e32 v30, 3, v30, vcc_lo
; %bb.46:
	s_and_not1_saveexec_b32 s3, s2
	s_cbranch_execz .LBB6_52
; %bb.47:
	v_cmp_gt_f64_e32 vcc_lo, 0, v[16:17]
	v_cmp_gt_f64_e64 s2, 0, v[18:19]
	v_xor_b32_e32 v25, 0x80000000, v17
	v_xor_b32_e32 v33, 0x80000000, v19
	s_delay_alu instid0(VALU_DEP_2) | instskip(NEXT) | instid1(VALU_DEP_2)
	v_cndmask_b32_e32 v34, v17, v25, vcc_lo
	v_cndmask_b32_e64 v36, v19, v33, s2
	v_cndmask_b32_e32 v33, v16, v16, vcc_lo
	v_cndmask_b32_e64 v35, v18, v18, s2
	s_mov_b32 s2, exec_lo
	s_delay_alu instid0(VALU_DEP_1)
	v_cmpx_ngt_f64_e32 v[33:34], v[35:36]
	s_xor_b32 s2, exec_lo, s2
	s_cbranch_execz .LBB6_49
; %bb.48:
	v_div_scale_f64 v[33:34], null, v[18:19], v[18:19], v[16:17]
	v_div_scale_f64 v[39:40], vcc_lo, v[16:17], v[18:19], v[16:17]
	s_delay_alu instid0(VALU_DEP_2) | instskip(SKIP_2) | instid1(VALU_DEP_1)
	v_rcp_f64_e32 v[35:36], v[33:34]
	s_waitcnt_depctr 0xfff
	v_fma_f64 v[37:38], -v[33:34], v[35:36], 1.0
	v_fma_f64 v[35:36], v[35:36], v[37:38], v[35:36]
	s_delay_alu instid0(VALU_DEP_1) | instskip(NEXT) | instid1(VALU_DEP_1)
	v_fma_f64 v[37:38], -v[33:34], v[35:36], 1.0
	v_fma_f64 v[35:36], v[35:36], v[37:38], v[35:36]
	s_delay_alu instid0(VALU_DEP_1) | instskip(NEXT) | instid1(VALU_DEP_1)
	v_mul_f64 v[37:38], v[39:40], v[35:36]
	v_fma_f64 v[33:34], -v[33:34], v[37:38], v[39:40]
	s_delay_alu instid0(VALU_DEP_1) | instskip(NEXT) | instid1(VALU_DEP_1)
	v_div_fmas_f64 v[33:34], v[33:34], v[35:36], v[37:38]
	v_div_fixup_f64 v[33:34], v[33:34], v[18:19], v[16:17]
	s_delay_alu instid0(VALU_DEP_1) | instskip(NEXT) | instid1(VALU_DEP_1)
	v_fma_f64 v[16:17], v[16:17], v[33:34], v[18:19]
	v_div_scale_f64 v[18:19], null, v[16:17], v[16:17], 1.0
	s_delay_alu instid0(VALU_DEP_1) | instskip(SKIP_2) | instid1(VALU_DEP_1)
	v_rcp_f64_e32 v[35:36], v[18:19]
	s_waitcnt_depctr 0xfff
	v_fma_f64 v[37:38], -v[18:19], v[35:36], 1.0
	v_fma_f64 v[35:36], v[35:36], v[37:38], v[35:36]
	s_delay_alu instid0(VALU_DEP_1) | instskip(NEXT) | instid1(VALU_DEP_1)
	v_fma_f64 v[37:38], -v[18:19], v[35:36], 1.0
	v_fma_f64 v[35:36], v[35:36], v[37:38], v[35:36]
	v_div_scale_f64 v[37:38], vcc_lo, 1.0, v[16:17], 1.0
	s_delay_alu instid0(VALU_DEP_1) | instskip(NEXT) | instid1(VALU_DEP_1)
	v_mul_f64 v[39:40], v[37:38], v[35:36]
	v_fma_f64 v[18:19], -v[18:19], v[39:40], v[37:38]
	s_delay_alu instid0(VALU_DEP_1) | instskip(NEXT) | instid1(VALU_DEP_1)
	v_div_fmas_f64 v[18:19], v[18:19], v[35:36], v[39:40]
	v_div_fixup_f64 v[18:19], v[18:19], v[16:17], 1.0
	s_delay_alu instid0(VALU_DEP_1)
	v_mul_f64 v[16:17], v[33:34], v[18:19]
	v_xor_b32_e32 v19, 0x80000000, v19
.LBB6_49:
	s_and_not1_saveexec_b32 s2, s2
	s_cbranch_execz .LBB6_51
; %bb.50:
	s_delay_alu instid0(VALU_DEP_1) | instskip(SKIP_1) | instid1(VALU_DEP_2)
	v_div_scale_f64 v[33:34], null, v[16:17], v[16:17], v[18:19]
	v_div_scale_f64 v[39:40], vcc_lo, v[18:19], v[16:17], v[18:19]
	v_rcp_f64_e32 v[35:36], v[33:34]
	s_waitcnt_depctr 0xfff
	v_fma_f64 v[37:38], -v[33:34], v[35:36], 1.0
	s_delay_alu instid0(VALU_DEP_1) | instskip(NEXT) | instid1(VALU_DEP_1)
	v_fma_f64 v[35:36], v[35:36], v[37:38], v[35:36]
	v_fma_f64 v[37:38], -v[33:34], v[35:36], 1.0
	s_delay_alu instid0(VALU_DEP_1) | instskip(NEXT) | instid1(VALU_DEP_1)
	v_fma_f64 v[35:36], v[35:36], v[37:38], v[35:36]
	v_mul_f64 v[37:38], v[39:40], v[35:36]
	s_delay_alu instid0(VALU_DEP_1) | instskip(NEXT) | instid1(VALU_DEP_1)
	v_fma_f64 v[33:34], -v[33:34], v[37:38], v[39:40]
	v_div_fmas_f64 v[33:34], v[33:34], v[35:36], v[37:38]
	s_delay_alu instid0(VALU_DEP_1) | instskip(NEXT) | instid1(VALU_DEP_1)
	v_div_fixup_f64 v[33:34], v[33:34], v[16:17], v[18:19]
	v_fma_f64 v[16:17], v[18:19], v[33:34], v[16:17]
	s_delay_alu instid0(VALU_DEP_1) | instskip(NEXT) | instid1(VALU_DEP_1)
	v_div_scale_f64 v[18:19], null, v[16:17], v[16:17], 1.0
	v_rcp_f64_e32 v[35:36], v[18:19]
	s_waitcnt_depctr 0xfff
	v_fma_f64 v[37:38], -v[18:19], v[35:36], 1.0
	s_delay_alu instid0(VALU_DEP_1) | instskip(NEXT) | instid1(VALU_DEP_1)
	v_fma_f64 v[35:36], v[35:36], v[37:38], v[35:36]
	v_fma_f64 v[37:38], -v[18:19], v[35:36], 1.0
	s_delay_alu instid0(VALU_DEP_1) | instskip(SKIP_1) | instid1(VALU_DEP_1)
	v_fma_f64 v[35:36], v[35:36], v[37:38], v[35:36]
	v_div_scale_f64 v[37:38], vcc_lo, 1.0, v[16:17], 1.0
	v_mul_f64 v[39:40], v[37:38], v[35:36]
	s_delay_alu instid0(VALU_DEP_1) | instskip(NEXT) | instid1(VALU_DEP_1)
	v_fma_f64 v[18:19], -v[18:19], v[39:40], v[37:38]
	v_div_fmas_f64 v[18:19], v[18:19], v[35:36], v[39:40]
	s_delay_alu instid0(VALU_DEP_1) | instskip(NEXT) | instid1(VALU_DEP_1)
	v_div_fixup_f64 v[16:17], v[18:19], v[16:17], 1.0
	v_mul_f64 v[18:19], v[33:34], -v[16:17]
.LBB6_51:
	s_or_b32 exec_lo, exec_lo, s2
.LBB6_52:
	s_delay_alu instid0(SALU_CYCLE_1) | instskip(NEXT) | instid1(SALU_CYCLE_1)
	s_or_b32 exec_lo, exec_lo, s3
	s_mov_b32 s2, exec_lo
	v_cmpx_ne_u32_e64 v32, v24
	s_xor_b32 s2, exec_lo, s2
	s_cbranch_execz .LBB6_58
; %bb.53:
	s_mov_b32 s3, exec_lo
	v_cmpx_eq_u32_e32 2, v32
	s_cbranch_execz .LBB6_57
; %bb.54:
	v_cmp_ne_u32_e32 vcc_lo, 2, v24
	s_xor_b32 s6, s4, -1
	s_delay_alu instid0(SALU_CYCLE_1) | instskip(NEXT) | instid1(SALU_CYCLE_1)
	s_and_b32 s7, s6, vcc_lo
	s_and_saveexec_b32 s6, s7
	s_cbranch_execz .LBB6_56
; %bb.55:
	v_ashrrev_i32_e32 v25, 31, v24
	s_delay_alu instid0(VALU_DEP_1) | instskip(NEXT) | instid1(VALU_DEP_1)
	v_lshlrev_b64 v[32:33], 2, v[24:25]
	v_add_co_u32 v32, vcc_lo, v22, v32
	s_delay_alu instid0(VALU_DEP_2)
	v_add_co_ci_u32_e32 v33, vcc_lo, v23, v33, vcc_lo
	s_clause 0x1
	flat_load_b32 v25, v[32:33]
	flat_load_b32 v29, v[22:23] offset:8
	s_waitcnt vmcnt(1) lgkmcnt(1)
	flat_store_b32 v[22:23], v25 offset:8
	s_waitcnt vmcnt(0) lgkmcnt(1)
	flat_store_b32 v[32:33], v29
.LBB6_56:
	s_or_b32 exec_lo, exec_lo, s6
	v_mov_b32_e32 v32, v24
	v_mov_b32_e32 v29, v24
.LBB6_57:
	s_or_b32 exec_lo, exec_lo, s3
.LBB6_58:
	s_and_not1_saveexec_b32 s2, s2
	s_cbranch_execz .LBB6_60
; %bb.59:
	v_mov_b32_e32 v32, 2
	ds_store_2addr_b64 v26, v[4:5], v[6:7] offset0:6 offset1:7
.LBB6_60:
	s_or_b32 exec_lo, exec_lo, s2
	s_delay_alu instid0(SALU_CYCLE_1)
	s_mov_b32 s2, exec_lo
	s_waitcnt lgkmcnt(0)
	s_waitcnt_vscnt null, 0x0
	s_barrier
	buffer_gl0_inv
	v_cmpx_lt_i32_e32 2, v32
	s_cbranch_execz .LBB6_62
; %bb.61:
	v_mul_f64 v[24:25], v[16:17], v[10:11]
	v_mul_f64 v[10:11], v[18:19], v[10:11]
	ds_load_2addr_b64 v[33:36], v26 offset0:6 offset1:7
	v_fma_f64 v[18:19], v[18:19], v[8:9], v[24:25]
	v_fma_f64 v[8:9], v[16:17], v[8:9], -v[10:11]
	s_waitcnt lgkmcnt(0)
	s_delay_alu instid0(VALU_DEP_2) | instskip(SKIP_1) | instid1(VALU_DEP_2)
	v_mul_f64 v[10:11], v[35:36], v[18:19]
	v_mul_f64 v[16:17], v[33:34], v[18:19]
	v_fma_f64 v[10:11], v[33:34], v[8:9], -v[10:11]
	s_delay_alu instid0(VALU_DEP_2) | instskip(NEXT) | instid1(VALU_DEP_2)
	v_fma_f64 v[16:17], v[35:36], v[8:9], v[16:17]
	v_add_f64 v[4:5], v[4:5], -v[10:11]
	s_delay_alu instid0(VALU_DEP_2)
	v_add_f64 v[6:7], v[6:7], -v[16:17]
	v_dual_mov_b32 v10, v18 :: v_dual_mov_b32 v11, v19
.LBB6_62:
	s_or_b32 exec_lo, exec_lo, s2
	v_lshl_add_u32 v16, v32, 4, v26
	s_barrier
	buffer_gl0_inv
	v_mov_b32_e32 v24, 3
	ds_store_2addr_b64 v16, v[4:5], v[6:7] offset1:1
	s_waitcnt lgkmcnt(0)
	s_barrier
	buffer_gl0_inv
	ds_load_2addr_b64 v[16:19], v26 offset0:6 offset1:7
	s_cmp_lt_i32 s5, 5
	s_mov_b32 s6, 4
	s_cbranch_scc1 .LBB6_65
; %bb.63:
	v_add3_u32 v25, v31, 0, 64
	v_mov_b32_e32 v24, 3
	s_set_inst_prefetch_distance 0x1
	.p2align	6
.LBB6_64:                               ; =>This Inner Loop Header: Depth=1
	ds_load_2addr_b64 v[33:36], v25 offset1:1
	s_waitcnt lgkmcnt(1)
	v_cmp_gt_f64_e32 vcc_lo, 0, v[16:17]
	v_xor_b32_e32 v26, 0x80000000, v17
	v_cmp_gt_f64_e64 s2, 0, v[18:19]
	v_xor_b32_e32 v31, 0x80000000, v19
	v_add_nc_u32_e32 v25, 16, v25
	s_waitcnt lgkmcnt(0)
	v_cmp_gt_f64_e64 s3, 0, v[33:34]
	v_mov_b32_e32 v41, v33
	v_dual_mov_b32 v43, v35 :: v_dual_cndmask_b32 v38, v17, v26
	v_xor_b32_e32 v26, 0x80000000, v34
	v_cndmask_b32_e64 v40, v19, v31, s2
	v_xor_b32_e32 v31, 0x80000000, v36
	v_cndmask_b32_e32 v37, v16, v16, vcc_lo
	v_cndmask_b32_e64 v39, v18, v18, s2
	s_delay_alu instid0(VALU_DEP_1) | instskip(SKIP_2) | instid1(VALU_DEP_1)
	v_add_f64 v[37:38], v[37:38], v[39:40]
	v_cndmask_b32_e64 v42, v34, v26, s3
	v_cmp_gt_f64_e64 s3, 0, v[35:36]
	v_cndmask_b32_e64 v44, v36, v31, s3
	s_delay_alu instid0(VALU_DEP_1) | instskip(NEXT) | instid1(VALU_DEP_1)
	v_add_f64 v[41:42], v[41:42], v[43:44]
	v_cmp_lt_f64_e32 vcc_lo, v[37:38], v[41:42]
	v_dual_cndmask_b32 v18, v18, v35 :: v_dual_cndmask_b32 v17, v17, v34
	v_dual_cndmask_b32 v16, v16, v33 :: v_dual_cndmask_b32 v19, v19, v36
	v_cndmask_b32_e64 v24, v24, s6, vcc_lo
	s_add_i32 s6, s6, 1
	s_delay_alu instid0(SALU_CYCLE_1)
	s_cmp_lg_u32 s5, s6
	s_cbranch_scc1 .LBB6_64
.LBB6_65:
	s_set_inst_prefetch_distance 0x2
	s_waitcnt lgkmcnt(0)
	v_cmp_eq_f64_e32 vcc_lo, 0, v[16:17]
	v_cmp_eq_f64_e64 s2, 0, v[18:19]
	s_delay_alu instid0(VALU_DEP_1) | instskip(NEXT) | instid1(SALU_CYCLE_1)
	s_and_b32 s2, vcc_lo, s2
	s_and_saveexec_b32 s3, s2
	s_delay_alu instid0(SALU_CYCLE_1)
	s_xor_b32 s2, exec_lo, s3
; %bb.66:
	v_cmp_ne_u32_e32 vcc_lo, 0, v30
	v_cndmask_b32_e32 v30, 4, v30, vcc_lo
; %bb.67:
	s_and_not1_saveexec_b32 s3, s2
	s_cbranch_execz .LBB6_73
; %bb.68:
	v_cmp_gt_f64_e32 vcc_lo, 0, v[16:17]
	v_cmp_gt_f64_e64 s2, 0, v[18:19]
	v_xor_b32_e32 v25, 0x80000000, v17
	v_xor_b32_e32 v31, 0x80000000, v19
	s_delay_alu instid0(VALU_DEP_2) | instskip(NEXT) | instid1(VALU_DEP_2)
	v_dual_cndmask_b32 v26, v17, v25 :: v_dual_cndmask_b32 v25, v16, v16
	v_cndmask_b32_e64 v34, v19, v31, s2
	v_cndmask_b32_e64 v33, v18, v18, s2
	s_mov_b32 s2, exec_lo
	s_delay_alu instid0(VALU_DEP_1)
	v_cmpx_ngt_f64_e32 v[25:26], v[33:34]
	s_xor_b32 s2, exec_lo, s2
	s_cbranch_execz .LBB6_70
; %bb.69:
	v_div_scale_f64 v[25:26], null, v[18:19], v[18:19], v[16:17]
	v_div_scale_f64 v[37:38], vcc_lo, v[16:17], v[18:19], v[16:17]
	s_delay_alu instid0(VALU_DEP_2) | instskip(SKIP_2) | instid1(VALU_DEP_1)
	v_rcp_f64_e32 v[33:34], v[25:26]
	s_waitcnt_depctr 0xfff
	v_fma_f64 v[35:36], -v[25:26], v[33:34], 1.0
	v_fma_f64 v[33:34], v[33:34], v[35:36], v[33:34]
	s_delay_alu instid0(VALU_DEP_1) | instskip(NEXT) | instid1(VALU_DEP_1)
	v_fma_f64 v[35:36], -v[25:26], v[33:34], 1.0
	v_fma_f64 v[33:34], v[33:34], v[35:36], v[33:34]
	s_delay_alu instid0(VALU_DEP_1) | instskip(NEXT) | instid1(VALU_DEP_1)
	v_mul_f64 v[35:36], v[37:38], v[33:34]
	v_fma_f64 v[25:26], -v[25:26], v[35:36], v[37:38]
	s_delay_alu instid0(VALU_DEP_1) | instskip(NEXT) | instid1(VALU_DEP_1)
	v_div_fmas_f64 v[25:26], v[25:26], v[33:34], v[35:36]
	v_div_fixup_f64 v[25:26], v[25:26], v[18:19], v[16:17]
	s_delay_alu instid0(VALU_DEP_1) | instskip(NEXT) | instid1(VALU_DEP_1)
	v_fma_f64 v[16:17], v[16:17], v[25:26], v[18:19]
	v_div_scale_f64 v[18:19], null, v[16:17], v[16:17], 1.0
	s_delay_alu instid0(VALU_DEP_1) | instskip(SKIP_2) | instid1(VALU_DEP_1)
	v_rcp_f64_e32 v[33:34], v[18:19]
	s_waitcnt_depctr 0xfff
	v_fma_f64 v[35:36], -v[18:19], v[33:34], 1.0
	v_fma_f64 v[33:34], v[33:34], v[35:36], v[33:34]
	s_delay_alu instid0(VALU_DEP_1) | instskip(NEXT) | instid1(VALU_DEP_1)
	v_fma_f64 v[35:36], -v[18:19], v[33:34], 1.0
	v_fma_f64 v[33:34], v[33:34], v[35:36], v[33:34]
	v_div_scale_f64 v[35:36], vcc_lo, 1.0, v[16:17], 1.0
	s_delay_alu instid0(VALU_DEP_1) | instskip(NEXT) | instid1(VALU_DEP_1)
	v_mul_f64 v[37:38], v[35:36], v[33:34]
	v_fma_f64 v[18:19], -v[18:19], v[37:38], v[35:36]
	s_delay_alu instid0(VALU_DEP_1) | instskip(NEXT) | instid1(VALU_DEP_1)
	v_div_fmas_f64 v[18:19], v[18:19], v[33:34], v[37:38]
	v_div_fixup_f64 v[18:19], v[18:19], v[16:17], 1.0
	s_delay_alu instid0(VALU_DEP_1)
	v_mul_f64 v[16:17], v[25:26], v[18:19]
	v_xor_b32_e32 v19, 0x80000000, v19
.LBB6_70:
	s_and_not1_saveexec_b32 s2, s2
	s_cbranch_execz .LBB6_72
; %bb.71:
	s_delay_alu instid0(VALU_DEP_1) | instskip(SKIP_1) | instid1(VALU_DEP_2)
	v_div_scale_f64 v[25:26], null, v[16:17], v[16:17], v[18:19]
	v_div_scale_f64 v[37:38], vcc_lo, v[18:19], v[16:17], v[18:19]
	v_rcp_f64_e32 v[33:34], v[25:26]
	s_waitcnt_depctr 0xfff
	v_fma_f64 v[35:36], -v[25:26], v[33:34], 1.0
	s_delay_alu instid0(VALU_DEP_1) | instskip(NEXT) | instid1(VALU_DEP_1)
	v_fma_f64 v[33:34], v[33:34], v[35:36], v[33:34]
	v_fma_f64 v[35:36], -v[25:26], v[33:34], 1.0
	s_delay_alu instid0(VALU_DEP_1) | instskip(NEXT) | instid1(VALU_DEP_1)
	v_fma_f64 v[33:34], v[33:34], v[35:36], v[33:34]
	v_mul_f64 v[35:36], v[37:38], v[33:34]
	s_delay_alu instid0(VALU_DEP_1) | instskip(NEXT) | instid1(VALU_DEP_1)
	v_fma_f64 v[25:26], -v[25:26], v[35:36], v[37:38]
	v_div_fmas_f64 v[25:26], v[25:26], v[33:34], v[35:36]
	s_delay_alu instid0(VALU_DEP_1) | instskip(NEXT) | instid1(VALU_DEP_1)
	v_div_fixup_f64 v[25:26], v[25:26], v[16:17], v[18:19]
	v_fma_f64 v[16:17], v[18:19], v[25:26], v[16:17]
	s_delay_alu instid0(VALU_DEP_1) | instskip(NEXT) | instid1(VALU_DEP_1)
	v_div_scale_f64 v[18:19], null, v[16:17], v[16:17], 1.0
	v_rcp_f64_e32 v[33:34], v[18:19]
	s_waitcnt_depctr 0xfff
	v_fma_f64 v[35:36], -v[18:19], v[33:34], 1.0
	s_delay_alu instid0(VALU_DEP_1) | instskip(NEXT) | instid1(VALU_DEP_1)
	v_fma_f64 v[33:34], v[33:34], v[35:36], v[33:34]
	v_fma_f64 v[35:36], -v[18:19], v[33:34], 1.0
	s_delay_alu instid0(VALU_DEP_1) | instskip(SKIP_1) | instid1(VALU_DEP_1)
	v_fma_f64 v[33:34], v[33:34], v[35:36], v[33:34]
	v_div_scale_f64 v[35:36], vcc_lo, 1.0, v[16:17], 1.0
	v_mul_f64 v[37:38], v[35:36], v[33:34]
	s_delay_alu instid0(VALU_DEP_1) | instskip(NEXT) | instid1(VALU_DEP_1)
	v_fma_f64 v[18:19], -v[18:19], v[37:38], v[35:36]
	v_div_fmas_f64 v[18:19], v[18:19], v[33:34], v[37:38]
	s_delay_alu instid0(VALU_DEP_1) | instskip(NEXT) | instid1(VALU_DEP_1)
	v_div_fixup_f64 v[16:17], v[18:19], v[16:17], 1.0
	v_mul_f64 v[18:19], v[25:26], -v[16:17]
.LBB6_72:
	s_or_b32 exec_lo, exec_lo, s2
.LBB6_73:
	s_delay_alu instid0(SALU_CYCLE_1)
	s_or_b32 exec_lo, exec_lo, s3
	v_mov_b32_e32 v25, 3
	s_mov_b32 s2, exec_lo
	v_cmpx_ne_u32_e64 v32, v24
	s_cbranch_execz .LBB6_79
; %bb.74:
	s_mov_b32 s3, exec_lo
	v_cmpx_eq_u32_e32 3, v32
	s_cbranch_execz .LBB6_78
; %bb.75:
	v_cmp_ne_u32_e32 vcc_lo, 3, v24
	s_xor_b32 s4, s4, -1
	s_delay_alu instid0(SALU_CYCLE_1) | instskip(NEXT) | instid1(SALU_CYCLE_1)
	s_and_b32 s5, s4, vcc_lo
	s_and_saveexec_b32 s4, s5
	s_cbranch_execz .LBB6_77
; %bb.76:
	v_ashrrev_i32_e32 v25, 31, v24
	s_delay_alu instid0(VALU_DEP_1) | instskip(NEXT) | instid1(VALU_DEP_1)
	v_lshlrev_b64 v[25:26], 2, v[24:25]
	v_add_co_u32 v25, vcc_lo, v22, v25
	s_delay_alu instid0(VALU_DEP_2)
	v_add_co_ci_u32_e32 v26, vcc_lo, v23, v26, vcc_lo
	s_clause 0x1
	flat_load_b32 v29, v[25:26]
	flat_load_b32 v31, v[22:23] offset:12
	s_waitcnt vmcnt(1) lgkmcnt(1)
	flat_store_b32 v[22:23], v29 offset:12
	s_waitcnt vmcnt(0) lgkmcnt(1)
	flat_store_b32 v[25:26], v31
.LBB6_77:
	s_or_b32 exec_lo, exec_lo, s4
	v_mov_b32_e32 v32, v24
	v_mov_b32_e32 v29, v24
.LBB6_78:
	s_or_b32 exec_lo, exec_lo, s3
	s_delay_alu instid0(VALU_DEP_2)
	v_mov_b32_e32 v25, v32
.LBB6_79:
	s_or_b32 exec_lo, exec_lo, s2
	s_delay_alu instid0(SALU_CYCLE_1)
	s_mov_b32 s2, exec_lo
	s_waitcnt lgkmcnt(0)
	s_waitcnt_vscnt null, 0x0
	s_barrier
	buffer_gl0_inv
	v_cmpx_lt_i32_e32 3, v25
; %bb.80:
	v_mul_f64 v[22:23], v[18:19], v[6:7]
	v_mul_f64 v[6:7], v[16:17], v[6:7]
	s_delay_alu instid0(VALU_DEP_2) | instskip(NEXT) | instid1(VALU_DEP_2)
	v_fma_f64 v[16:17], v[16:17], v[4:5], -v[22:23]
	v_fma_f64 v[6:7], v[18:19], v[4:5], v[6:7]
	s_delay_alu instid0(VALU_DEP_2)
	v_dual_mov_b32 v4, v16 :: v_dual_mov_b32 v5, v17
; %bb.81:
	s_or_b32 exec_lo, exec_lo, s2
	s_load_b256 s[0:7], s[0:1], 0x28
	v_ashrrev_i32_e32 v26, 31, v25
	s_mov_b32 s9, exec_lo
	s_waitcnt lgkmcnt(0)
	s_barrier
	buffer_gl0_inv
	v_cmpx_gt_i32_e32 4, v25
	s_cbranch_execz .LBB6_83
; %bb.82:
	v_mul_lo_u32 v18, v21, s4
	v_mul_lo_u32 v19, v20, s5
	v_mad_u64_u32 v[16:17], null, v20, s4, 0
	s_lshl_b64 s[2:3], s[2:3], 2
	s_delay_alu instid0(SALU_CYCLE_1) | instskip(SKIP_1) | instid1(VALU_DEP_1)
	s_add_u32 s0, s2, s0
	s_addc_u32 s1, s3, s1
	v_add3_u32 v17, v17, v19, v18
	v_lshlrev_b64 v[18:19], 2, v[25:26]
	s_delay_alu instid0(VALU_DEP_2) | instskip(NEXT) | instid1(VALU_DEP_1)
	v_lshlrev_b64 v[16:17], 2, v[16:17]
	v_add_co_u32 v16, vcc_lo, s0, v16
	s_delay_alu instid0(VALU_DEP_2) | instskip(NEXT) | instid1(VALU_DEP_2)
	v_add_co_ci_u32_e32 v17, vcc_lo, s1, v17, vcc_lo
	v_add_co_u32 v16, vcc_lo, v16, v18
	s_delay_alu instid0(VALU_DEP_2)
	v_add_co_ci_u32_e32 v17, vcc_lo, v17, v19, vcc_lo
	v_add3_u32 v18, v29, s13, 1
	global_store_b32 v[16:17], v18, off
.LBB6_83:
	s_or_b32 exec_lo, exec_lo, s9
	s_delay_alu instid0(SALU_CYCLE_1)
	s_mov_b32 s1, exec_lo
	v_cmpx_eq_u32_e32 0, v25
	s_cbranch_execz .LBB6_86
; %bb.84:
	v_lshlrev_b64 v[16:17], 2, v[20:21]
	v_cmp_lt_i32_e64 s0, 0, v30
	s_delay_alu instid0(VALU_DEP_2) | instskip(NEXT) | instid1(VALU_DEP_3)
	v_add_co_u32 v16, vcc_lo, s6, v16
	v_add_co_ci_u32_e32 v17, vcc_lo, s7, v17, vcc_lo
	global_load_b32 v18, v[16:17], off
	s_waitcnt vmcnt(0)
	v_cmp_eq_u32_e32 vcc_lo, 0, v18
	s_and_b32 s0, vcc_lo, s0
	s_delay_alu instid0(SALU_CYCLE_1)
	s_and_b32 exec_lo, exec_lo, s0
	s_cbranch_execz .LBB6_86
; %bb.85:
	v_add_nc_u32_e32 v18, s13, v30
	global_store_b32 v[16:17], v18, off
.LBB6_86:
	s_or_b32 exec_lo, exec_lo, s1
	v_add3_u32 v16, s8, s8, v25
	v_lshlrev_b64 v[18:19], 4, v[25:26]
	s_delay_alu instid0(VALU_DEP_2) | instskip(SKIP_1) | instid1(VALU_DEP_3)
	v_add_nc_u32_e32 v20, s8, v16
	v_ashrrev_i32_e32 v17, 31, v16
	v_add_co_u32 v18, vcc_lo, v27, v18
	s_delay_alu instid0(VALU_DEP_4) | instskip(NEXT) | instid1(VALU_DEP_4)
	v_add_co_ci_u32_e32 v19, vcc_lo, v28, v19, vcc_lo
	v_ashrrev_i32_e32 v21, 31, v20
	s_delay_alu instid0(VALU_DEP_4) | instskip(NEXT) | instid1(VALU_DEP_4)
	v_lshlrev_b64 v[16:17], 4, v[16:17]
	v_add_co_u32 v22, vcc_lo, v18, s10
	s_delay_alu instid0(VALU_DEP_4) | instskip(NEXT) | instid1(VALU_DEP_4)
	v_add_co_ci_u32_e32 v23, vcc_lo, s11, v19, vcc_lo
	v_lshlrev_b64 v[20:21], 4, v[20:21]
	s_delay_alu instid0(VALU_DEP_4) | instskip(SKIP_1) | instid1(VALU_DEP_3)
	v_add_co_u32 v16, vcc_lo, v27, v16
	v_add_co_ci_u32_e32 v17, vcc_lo, v28, v17, vcc_lo
	v_add_co_u32 v20, vcc_lo, v27, v20
	s_delay_alu instid0(VALU_DEP_4)
	v_add_co_ci_u32_e32 v21, vcc_lo, v28, v21, vcc_lo
	s_clause 0x3
	global_store_b128 v[18:19], v[0:3], off
	global_store_b128 v[22:23], v[12:15], off
	;; [unrolled: 1-line block ×4, first 2 shown]
.LBB6_87:
	s_nop 0
	s_sendmsg sendmsg(MSG_DEALLOC_VGPRS)
	s_endpgm
	.section	.rodata,"a",@progbits
	.p2align	6, 0x0
	.amdhsa_kernel _ZN9rocsolver6v33100L18getf2_small_kernelILi4E19rocblas_complex_numIdEiiPKPS3_EEvT1_T3_lS7_lPS7_llPT2_S7_S7_S9_l
		.amdhsa_group_segment_fixed_size 0
		.amdhsa_private_segment_fixed_size 0
		.amdhsa_kernarg_size 352
		.amdhsa_user_sgpr_count 14
		.amdhsa_user_sgpr_dispatch_ptr 0
		.amdhsa_user_sgpr_queue_ptr 0
		.amdhsa_user_sgpr_kernarg_segment_ptr 1
		.amdhsa_user_sgpr_dispatch_id 0
		.amdhsa_user_sgpr_private_segment_size 0
		.amdhsa_wavefront_size32 1
		.amdhsa_uses_dynamic_stack 0
		.amdhsa_enable_private_segment 0
		.amdhsa_system_sgpr_workgroup_id_x 1
		.amdhsa_system_sgpr_workgroup_id_y 1
		.amdhsa_system_sgpr_workgroup_id_z 0
		.amdhsa_system_sgpr_workgroup_info 0
		.amdhsa_system_vgpr_workitem_id 1
		.amdhsa_next_free_vgpr 52
		.amdhsa_next_free_sgpr 16
		.amdhsa_reserve_vcc 1
		.amdhsa_float_round_mode_32 0
		.amdhsa_float_round_mode_16_64 0
		.amdhsa_float_denorm_mode_32 3
		.amdhsa_float_denorm_mode_16_64 3
		.amdhsa_dx10_clamp 1
		.amdhsa_ieee_mode 1
		.amdhsa_fp16_overflow 0
		.amdhsa_workgroup_processor_mode 1
		.amdhsa_memory_ordered 1
		.amdhsa_forward_progress 0
		.amdhsa_shared_vgpr_count 0
		.amdhsa_exception_fp_ieee_invalid_op 0
		.amdhsa_exception_fp_denorm_src 0
		.amdhsa_exception_fp_ieee_div_zero 0
		.amdhsa_exception_fp_ieee_overflow 0
		.amdhsa_exception_fp_ieee_underflow 0
		.amdhsa_exception_fp_ieee_inexact 0
		.amdhsa_exception_int_div_zero 0
	.end_amdhsa_kernel
	.section	.text._ZN9rocsolver6v33100L18getf2_small_kernelILi4E19rocblas_complex_numIdEiiPKPS3_EEvT1_T3_lS7_lPS7_llPT2_S7_S7_S9_l,"axG",@progbits,_ZN9rocsolver6v33100L18getf2_small_kernelILi4E19rocblas_complex_numIdEiiPKPS3_EEvT1_T3_lS7_lPS7_llPT2_S7_S7_S9_l,comdat
.Lfunc_end6:
	.size	_ZN9rocsolver6v33100L18getf2_small_kernelILi4E19rocblas_complex_numIdEiiPKPS3_EEvT1_T3_lS7_lPS7_llPT2_S7_S7_S9_l, .Lfunc_end6-_ZN9rocsolver6v33100L18getf2_small_kernelILi4E19rocblas_complex_numIdEiiPKPS3_EEvT1_T3_lS7_lPS7_llPT2_S7_S7_S9_l
                                        ; -- End function
	.section	.AMDGPU.csdata,"",@progbits
; Kernel info:
; codeLenInByte = 5904
; NumSgprs: 18
; NumVgprs: 52
; ScratchSize: 0
; MemoryBound: 0
; FloatMode: 240
; IeeeMode: 1
; LDSByteSize: 0 bytes/workgroup (compile time only)
; SGPRBlocks: 2
; VGPRBlocks: 6
; NumSGPRsForWavesPerEU: 18
; NumVGPRsForWavesPerEU: 52
; Occupancy: 16
; WaveLimiterHint : 1
; COMPUTE_PGM_RSRC2:SCRATCH_EN: 0
; COMPUTE_PGM_RSRC2:USER_SGPR: 14
; COMPUTE_PGM_RSRC2:TRAP_HANDLER: 0
; COMPUTE_PGM_RSRC2:TGID_X_EN: 1
; COMPUTE_PGM_RSRC2:TGID_Y_EN: 1
; COMPUTE_PGM_RSRC2:TGID_Z_EN: 0
; COMPUTE_PGM_RSRC2:TIDIG_COMP_CNT: 1
	.section	.text._ZN9rocsolver6v33100L23getf2_npvt_small_kernelILi4E19rocblas_complex_numIdEiiPKPS3_EEvT1_T3_lS7_lPT2_S7_S7_,"axG",@progbits,_ZN9rocsolver6v33100L23getf2_npvt_small_kernelILi4E19rocblas_complex_numIdEiiPKPS3_EEvT1_T3_lS7_lPT2_S7_S7_,comdat
	.globl	_ZN9rocsolver6v33100L23getf2_npvt_small_kernelILi4E19rocblas_complex_numIdEiiPKPS3_EEvT1_T3_lS7_lPT2_S7_S7_ ; -- Begin function _ZN9rocsolver6v33100L23getf2_npvt_small_kernelILi4E19rocblas_complex_numIdEiiPKPS3_EEvT1_T3_lS7_lPT2_S7_S7_
	.p2align	8
	.type	_ZN9rocsolver6v33100L23getf2_npvt_small_kernelILi4E19rocblas_complex_numIdEiiPKPS3_EEvT1_T3_lS7_lPT2_S7_S7_,@function
_ZN9rocsolver6v33100L23getf2_npvt_small_kernelILi4E19rocblas_complex_numIdEiiPKPS3_EEvT1_T3_lS7_lPT2_S7_S7_: ; @_ZN9rocsolver6v33100L23getf2_npvt_small_kernelILi4E19rocblas_complex_numIdEiiPKPS3_EEvT1_T3_lS7_lPT2_S7_S7_
; %bb.0:
	s_clause 0x1
	s_load_b32 s2, s[0:1], 0x44
	s_load_b64 s[8:9], s[0:1], 0x30
	v_bfe_u32 v16, v0, 10, 10
	s_mov_b32 s3, exec_lo
	s_waitcnt lgkmcnt(0)
	s_lshr_b32 s2, s2, 16
	s_delay_alu instid0(VALU_DEP_1) | instid1(SALU_CYCLE_1)
	v_mad_u64_u32 v[32:33], null, s15, s2, v[16:17]
	s_delay_alu instid0(VALU_DEP_1)
	v_cmpx_gt_i32_e64 s8, v32
	s_cbranch_execz .LBB7_41
; %bb.1:
	s_clause 0x1
	s_load_b128 s[4:7], s[0:1], 0x8
	s_load_b32 s10, s[0:1], 0x18
	v_ashrrev_i32_e32 v33, 31, v32
	v_and_b32_e32 v44, 0x3ff, v0
	v_lshlrev_b32_e32 v17, 4, v16
	v_lshlrev_b32_e32 v16, 6, v16
	s_lshl_b32 s2, s2, 6
	v_lshlrev_b64 v[1:2], 3, v[32:33]
	v_lshlrev_b32_e32 v7, 4, v44
	v_add3_u32 v45, 0, s2, v17
	v_cmp_ne_u32_e64 s3, 0, v44
	v_cmp_eq_u32_e64 s2, 0, v44
	v_add_nc_u32_e32 v46, 0, v16
	s_waitcnt lgkmcnt(0)
	v_add_co_u32 v1, vcc_lo, s4, v1
	v_add_co_ci_u32_e32 v2, vcc_lo, s5, v2, vcc_lo
	v_add3_u32 v3, s10, s10, v44
	s_lshl_b64 s[4:5], s[6:7], 4
	s_ashr_i32 s11, s10, 31
	global_load_b64 v[1:2], v[1:2], off
	s_lshl_b64 s[6:7], s[10:11], 4
	v_ashrrev_i32_e32 v4, 31, v3
	v_add_nc_u32_e32 v5, s10, v3
	s_delay_alu instid0(VALU_DEP_2) | instskip(NEXT) | instid1(VALU_DEP_2)
	v_lshlrev_b64 v[3:4], 4, v[3:4]
	v_ashrrev_i32_e32 v6, 31, v5
	s_waitcnt vmcnt(0)
	v_add_co_u32 v8, vcc_lo, v1, s4
	v_add_co_ci_u32_e32 v2, vcc_lo, s5, v2, vcc_lo
	s_delay_alu instid0(VALU_DEP_3) | instskip(NEXT) | instid1(VALU_DEP_3)
	v_lshlrev_b64 v[0:1], 4, v[5:6]
	v_add_co_u32 v40, vcc_lo, v8, v7
	s_delay_alu instid0(VALU_DEP_3) | instskip(SKIP_2) | instid1(VALU_DEP_4)
	v_add_co_ci_u32_e32 v41, vcc_lo, 0, v2, vcc_lo
	v_add_co_u32 v36, vcc_lo, v8, v3
	v_add_co_ci_u32_e32 v37, vcc_lo, v2, v4, vcc_lo
	v_add_co_u32 v38, vcc_lo, v40, s6
	s_delay_alu instid0(VALU_DEP_4)
	v_add_co_ci_u32_e32 v39, vcc_lo, s7, v41, vcc_lo
	v_add_co_u32 v34, vcc_lo, v8, v0
	v_add_co_ci_u32_e32 v35, vcc_lo, v2, v1, vcc_lo
	s_clause 0x3
	global_load_b128 v[12:15], v[40:41], off
	global_load_b128 v[8:11], v[38:39], off
	;; [unrolled: 1-line block ×4, first 2 shown]
	s_and_saveexec_b32 s5, s2
	s_cbranch_execz .LBB7_8
; %bb.2:
	s_waitcnt vmcnt(3)
	ds_store_2addr_b64 v45, v[12:13], v[14:15] offset1:1
	s_waitcnt vmcnt(2)
	ds_store_2addr_b64 v46, v[8:9], v[10:11] offset0:2 offset1:3
	s_waitcnt vmcnt(1)
	ds_store_2addr_b64 v46, v[4:5], v[6:7] offset0:4 offset1:5
	;; [unrolled: 2-line block ×3, first 2 shown]
	ds_load_2addr_b64 v[16:19], v45 offset1:1
	s_waitcnt lgkmcnt(0)
	v_cmp_neq_f64_e32 vcc_lo, 0, v[16:17]
	v_cmp_neq_f64_e64 s4, 0, v[18:19]
	s_delay_alu instid0(VALU_DEP_1) | instskip(NEXT) | instid1(SALU_CYCLE_1)
	s_or_b32 s4, vcc_lo, s4
	s_and_b32 exec_lo, exec_lo, s4
	s_cbranch_execz .LBB7_8
; %bb.3:
	v_cmp_gt_f64_e32 vcc_lo, 0, v[16:17]
	v_cmp_gt_f64_e64 s4, 0, v[18:19]
	v_xor_b32_e32 v20, 0x80000000, v17
	v_xor_b32_e32 v22, 0x80000000, v19
                                        ; implicit-def: $vgpr24_vgpr25
	s_delay_alu instid0(VALU_DEP_2) | instskip(NEXT) | instid1(VALU_DEP_2)
	v_cndmask_b32_e32 v21, v17, v20, vcc_lo
	v_cndmask_b32_e64 v23, v19, v22, s4
	v_cndmask_b32_e32 v20, v16, v16, vcc_lo
	v_cndmask_b32_e64 v22, v18, v18, s4
	s_mov_b32 s4, exec_lo
	s_delay_alu instid0(VALU_DEP_1)
	v_cmpx_ngt_f64_e32 v[20:21], v[22:23]
	s_xor_b32 s4, exec_lo, s4
                                        ; implicit-def: $vgpr20_vgpr21_vgpr22_vgpr23
	s_cbranch_execz .LBB7_5
; %bb.4:
	v_div_scale_f64 v[20:21], null, v[18:19], v[18:19], v[16:17]
	v_div_scale_f64 v[26:27], vcc_lo, v[16:17], v[18:19], v[16:17]
	s_delay_alu instid0(VALU_DEP_2) | instskip(SKIP_2) | instid1(VALU_DEP_1)
	v_rcp_f64_e32 v[22:23], v[20:21]
	s_waitcnt_depctr 0xfff
	v_fma_f64 v[24:25], -v[20:21], v[22:23], 1.0
	v_fma_f64 v[22:23], v[22:23], v[24:25], v[22:23]
	s_delay_alu instid0(VALU_DEP_1) | instskip(NEXT) | instid1(VALU_DEP_1)
	v_fma_f64 v[24:25], -v[20:21], v[22:23], 1.0
	v_fma_f64 v[22:23], v[22:23], v[24:25], v[22:23]
	s_delay_alu instid0(VALU_DEP_1) | instskip(NEXT) | instid1(VALU_DEP_1)
	v_mul_f64 v[24:25], v[26:27], v[22:23]
	v_fma_f64 v[20:21], -v[20:21], v[24:25], v[26:27]
	s_delay_alu instid0(VALU_DEP_1) | instskip(NEXT) | instid1(VALU_DEP_1)
	v_div_fmas_f64 v[20:21], v[20:21], v[22:23], v[24:25]
	v_div_fixup_f64 v[20:21], v[20:21], v[18:19], v[16:17]
	s_delay_alu instid0(VALU_DEP_1) | instskip(NEXT) | instid1(VALU_DEP_1)
	v_fma_f64 v[16:17], v[16:17], v[20:21], v[18:19]
	v_div_scale_f64 v[18:19], null, v[16:17], v[16:17], 1.0
	s_delay_alu instid0(VALU_DEP_1) | instskip(SKIP_2) | instid1(VALU_DEP_1)
	v_rcp_f64_e32 v[22:23], v[18:19]
	s_waitcnt_depctr 0xfff
	v_fma_f64 v[24:25], -v[18:19], v[22:23], 1.0
	v_fma_f64 v[22:23], v[22:23], v[24:25], v[22:23]
	s_delay_alu instid0(VALU_DEP_1) | instskip(NEXT) | instid1(VALU_DEP_1)
	v_fma_f64 v[24:25], -v[18:19], v[22:23], 1.0
	v_fma_f64 v[22:23], v[22:23], v[24:25], v[22:23]
	v_div_scale_f64 v[24:25], vcc_lo, 1.0, v[16:17], 1.0
	s_delay_alu instid0(VALU_DEP_1) | instskip(NEXT) | instid1(VALU_DEP_1)
	v_mul_f64 v[26:27], v[24:25], v[22:23]
	v_fma_f64 v[18:19], -v[18:19], v[26:27], v[24:25]
	s_delay_alu instid0(VALU_DEP_1) | instskip(NEXT) | instid1(VALU_DEP_1)
	v_div_fmas_f64 v[18:19], v[18:19], v[22:23], v[26:27]
	v_div_fixup_f64 v[22:23], v[18:19], v[16:17], 1.0
                                        ; implicit-def: $vgpr16_vgpr17
	s_delay_alu instid0(VALU_DEP_1)
	v_mul_f64 v[24:25], v[20:21], v[22:23]
	v_xor_b32_e32 v23, 0x80000000, v23
.LBB7_5:
	s_and_not1_saveexec_b32 s4, s4
	s_cbranch_execz .LBB7_7
; %bb.6:
	v_div_scale_f64 v[20:21], null, v[16:17], v[16:17], v[18:19]
	v_div_scale_f64 v[26:27], vcc_lo, v[18:19], v[16:17], v[18:19]
	s_delay_alu instid0(VALU_DEP_2) | instskip(SKIP_2) | instid1(VALU_DEP_1)
	v_rcp_f64_e32 v[22:23], v[20:21]
	s_waitcnt_depctr 0xfff
	v_fma_f64 v[24:25], -v[20:21], v[22:23], 1.0
	v_fma_f64 v[22:23], v[22:23], v[24:25], v[22:23]
	s_delay_alu instid0(VALU_DEP_1) | instskip(NEXT) | instid1(VALU_DEP_1)
	v_fma_f64 v[24:25], -v[20:21], v[22:23], 1.0
	v_fma_f64 v[22:23], v[22:23], v[24:25], v[22:23]
	s_delay_alu instid0(VALU_DEP_1) | instskip(NEXT) | instid1(VALU_DEP_1)
	v_mul_f64 v[24:25], v[26:27], v[22:23]
	v_fma_f64 v[20:21], -v[20:21], v[24:25], v[26:27]
	s_delay_alu instid0(VALU_DEP_1) | instskip(NEXT) | instid1(VALU_DEP_1)
	v_div_fmas_f64 v[20:21], v[20:21], v[22:23], v[24:25]
	v_div_fixup_f64 v[20:21], v[20:21], v[16:17], v[18:19]
	s_delay_alu instid0(VALU_DEP_1) | instskip(NEXT) | instid1(VALU_DEP_1)
	v_fma_f64 v[16:17], v[18:19], v[20:21], v[16:17]
	v_div_scale_f64 v[18:19], null, v[16:17], v[16:17], 1.0
	s_delay_alu instid0(VALU_DEP_1) | instskip(SKIP_2) | instid1(VALU_DEP_1)
	v_rcp_f64_e32 v[22:23], v[18:19]
	s_waitcnt_depctr 0xfff
	v_fma_f64 v[24:25], -v[18:19], v[22:23], 1.0
	v_fma_f64 v[22:23], v[22:23], v[24:25], v[22:23]
	s_delay_alu instid0(VALU_DEP_1) | instskip(NEXT) | instid1(VALU_DEP_1)
	v_fma_f64 v[24:25], -v[18:19], v[22:23], 1.0
	v_fma_f64 v[22:23], v[22:23], v[24:25], v[22:23]
	v_div_scale_f64 v[24:25], vcc_lo, 1.0, v[16:17], 1.0
	s_delay_alu instid0(VALU_DEP_1) | instskip(NEXT) | instid1(VALU_DEP_1)
	v_mul_f64 v[26:27], v[24:25], v[22:23]
	v_fma_f64 v[18:19], -v[18:19], v[26:27], v[24:25]
	s_delay_alu instid0(VALU_DEP_1) | instskip(NEXT) | instid1(VALU_DEP_1)
	v_div_fmas_f64 v[18:19], v[18:19], v[22:23], v[26:27]
	v_div_fixup_f64 v[24:25], v[18:19], v[16:17], 1.0
	s_delay_alu instid0(VALU_DEP_1)
	v_mul_f64 v[22:23], v[20:21], -v[24:25]
.LBB7_7:
	s_or_b32 exec_lo, exec_lo, s4
	ds_store_2addr_b64 v45, v[24:25], v[22:23] offset1:1
.LBB7_8:
	s_or_b32 exec_lo, exec_lo, s5
	s_waitcnt vmcnt(0) lgkmcnt(0)
	s_barrier
	buffer_gl0_inv
	ds_load_2addr_b64 v[16:19], v45 offset1:1
	s_and_saveexec_b32 s4, s3
	s_cbranch_execz .LBB7_10
; %bb.9:
	s_waitcnt lgkmcnt(0)
	v_mul_f64 v[20:21], v[16:17], v[14:15]
	v_mul_f64 v[14:15], v[18:19], v[14:15]
	s_delay_alu instid0(VALU_DEP_2)
	v_fma_f64 v[42:43], v[18:19], v[12:13], v[20:21]
	ds_load_2addr_b64 v[20:23], v46 offset0:2 offset1:3
	ds_load_2addr_b64 v[24:27], v46 offset0:4 offset1:5
	;; [unrolled: 1-line block ×3, first 2 shown]
	v_fma_f64 v[12:13], v[16:17], v[12:13], -v[14:15]
	s_waitcnt lgkmcnt(2)
	v_mul_f64 v[14:15], v[22:23], v[42:43]
	v_mul_f64 v[47:48], v[20:21], v[42:43]
	s_waitcnt lgkmcnt(1)
	v_mul_f64 v[49:50], v[26:27], v[42:43]
	v_mul_f64 v[51:52], v[24:25], v[42:43]
	s_waitcnt lgkmcnt(0)
	v_mul_f64 v[53:54], v[30:31], v[42:43]
	v_mul_f64 v[55:56], v[28:29], v[42:43]
	v_fma_f64 v[14:15], v[20:21], v[12:13], -v[14:15]
	v_fma_f64 v[20:21], v[22:23], v[12:13], v[47:48]
	v_fma_f64 v[22:23], v[24:25], v[12:13], -v[49:50]
	v_fma_f64 v[24:25], v[26:27], v[12:13], v[51:52]
	;; [unrolled: 2-line block ×3, first 2 shown]
	v_add_f64 v[8:9], v[8:9], -v[14:15]
	v_add_f64 v[10:11], v[10:11], -v[20:21]
	;; [unrolled: 1-line block ×6, first 2 shown]
	v_dual_mov_b32 v14, v42 :: v_dual_mov_b32 v15, v43
.LBB7_10:
	s_or_b32 exec_lo, exec_lo, s4
	s_delay_alu instid0(SALU_CYCLE_1)
	s_mov_b32 s4, exec_lo
	s_waitcnt lgkmcnt(0)
	s_barrier
	buffer_gl0_inv
	v_cmpx_eq_u32_e32 1, v44
	s_cbranch_execz .LBB7_17
; %bb.11:
	ds_store_2addr_b64 v45, v[8:9], v[10:11] offset1:1
	ds_store_2addr_b64 v46, v[4:5], v[6:7] offset0:4 offset1:5
	ds_store_2addr_b64 v46, v[0:1], v[2:3] offset0:6 offset1:7
	ds_load_2addr_b64 v[20:23], v45 offset1:1
	s_waitcnt lgkmcnt(0)
	v_cmp_neq_f64_e32 vcc_lo, 0, v[20:21]
	v_cmp_neq_f64_e64 s3, 0, v[22:23]
	s_delay_alu instid0(VALU_DEP_1) | instskip(NEXT) | instid1(SALU_CYCLE_1)
	s_or_b32 s3, vcc_lo, s3
	s_and_b32 exec_lo, exec_lo, s3
	s_cbranch_execz .LBB7_17
; %bb.12:
	v_cmp_gt_f64_e32 vcc_lo, 0, v[20:21]
	v_cmp_gt_f64_e64 s3, 0, v[22:23]
	v_xor_b32_e32 v24, 0x80000000, v21
	v_xor_b32_e32 v26, 0x80000000, v23
                                        ; implicit-def: $vgpr28_vgpr29
	s_delay_alu instid0(VALU_DEP_2) | instskip(NEXT) | instid1(VALU_DEP_2)
	v_cndmask_b32_e32 v25, v21, v24, vcc_lo
	v_cndmask_b32_e64 v27, v23, v26, s3
	v_cndmask_b32_e32 v24, v20, v20, vcc_lo
	v_cndmask_b32_e64 v26, v22, v22, s3
	s_mov_b32 s3, exec_lo
	s_delay_alu instid0(VALU_DEP_1)
	v_cmpx_ngt_f64_e32 v[24:25], v[26:27]
	s_xor_b32 s3, exec_lo, s3
                                        ; implicit-def: $vgpr24_vgpr25_vgpr26_vgpr27
	s_cbranch_execz .LBB7_14
; %bb.13:
	v_div_scale_f64 v[24:25], null, v[22:23], v[22:23], v[20:21]
	v_div_scale_f64 v[30:31], vcc_lo, v[20:21], v[22:23], v[20:21]
	s_delay_alu instid0(VALU_DEP_2) | instskip(SKIP_2) | instid1(VALU_DEP_1)
	v_rcp_f64_e32 v[26:27], v[24:25]
	s_waitcnt_depctr 0xfff
	v_fma_f64 v[28:29], -v[24:25], v[26:27], 1.0
	v_fma_f64 v[26:27], v[26:27], v[28:29], v[26:27]
	s_delay_alu instid0(VALU_DEP_1) | instskip(NEXT) | instid1(VALU_DEP_1)
	v_fma_f64 v[28:29], -v[24:25], v[26:27], 1.0
	v_fma_f64 v[26:27], v[26:27], v[28:29], v[26:27]
	s_delay_alu instid0(VALU_DEP_1) | instskip(NEXT) | instid1(VALU_DEP_1)
	v_mul_f64 v[28:29], v[30:31], v[26:27]
	v_fma_f64 v[24:25], -v[24:25], v[28:29], v[30:31]
	s_delay_alu instid0(VALU_DEP_1) | instskip(NEXT) | instid1(VALU_DEP_1)
	v_div_fmas_f64 v[24:25], v[24:25], v[26:27], v[28:29]
	v_div_fixup_f64 v[24:25], v[24:25], v[22:23], v[20:21]
	s_delay_alu instid0(VALU_DEP_1) | instskip(NEXT) | instid1(VALU_DEP_1)
	v_fma_f64 v[20:21], v[20:21], v[24:25], v[22:23]
	v_div_scale_f64 v[22:23], null, v[20:21], v[20:21], 1.0
	s_delay_alu instid0(VALU_DEP_1) | instskip(SKIP_2) | instid1(VALU_DEP_1)
	v_rcp_f64_e32 v[26:27], v[22:23]
	s_waitcnt_depctr 0xfff
	v_fma_f64 v[28:29], -v[22:23], v[26:27], 1.0
	v_fma_f64 v[26:27], v[26:27], v[28:29], v[26:27]
	s_delay_alu instid0(VALU_DEP_1) | instskip(NEXT) | instid1(VALU_DEP_1)
	v_fma_f64 v[28:29], -v[22:23], v[26:27], 1.0
	v_fma_f64 v[26:27], v[26:27], v[28:29], v[26:27]
	v_div_scale_f64 v[28:29], vcc_lo, 1.0, v[20:21], 1.0
	s_delay_alu instid0(VALU_DEP_1) | instskip(NEXT) | instid1(VALU_DEP_1)
	v_mul_f64 v[30:31], v[28:29], v[26:27]
	v_fma_f64 v[22:23], -v[22:23], v[30:31], v[28:29]
	s_delay_alu instid0(VALU_DEP_1) | instskip(NEXT) | instid1(VALU_DEP_1)
	v_div_fmas_f64 v[22:23], v[22:23], v[26:27], v[30:31]
	v_div_fixup_f64 v[26:27], v[22:23], v[20:21], 1.0
                                        ; implicit-def: $vgpr20_vgpr21
	s_delay_alu instid0(VALU_DEP_1)
	v_mul_f64 v[28:29], v[24:25], v[26:27]
	v_xor_b32_e32 v27, 0x80000000, v27
.LBB7_14:
	s_and_not1_saveexec_b32 s3, s3
	s_cbranch_execz .LBB7_16
; %bb.15:
	v_div_scale_f64 v[24:25], null, v[20:21], v[20:21], v[22:23]
	v_div_scale_f64 v[30:31], vcc_lo, v[22:23], v[20:21], v[22:23]
	s_delay_alu instid0(VALU_DEP_2) | instskip(SKIP_2) | instid1(VALU_DEP_1)
	v_rcp_f64_e32 v[26:27], v[24:25]
	s_waitcnt_depctr 0xfff
	v_fma_f64 v[28:29], -v[24:25], v[26:27], 1.0
	v_fma_f64 v[26:27], v[26:27], v[28:29], v[26:27]
	s_delay_alu instid0(VALU_DEP_1) | instskip(NEXT) | instid1(VALU_DEP_1)
	v_fma_f64 v[28:29], -v[24:25], v[26:27], 1.0
	v_fma_f64 v[26:27], v[26:27], v[28:29], v[26:27]
	s_delay_alu instid0(VALU_DEP_1) | instskip(NEXT) | instid1(VALU_DEP_1)
	v_mul_f64 v[28:29], v[30:31], v[26:27]
	v_fma_f64 v[24:25], -v[24:25], v[28:29], v[30:31]
	s_delay_alu instid0(VALU_DEP_1) | instskip(NEXT) | instid1(VALU_DEP_1)
	v_div_fmas_f64 v[24:25], v[24:25], v[26:27], v[28:29]
	v_div_fixup_f64 v[24:25], v[24:25], v[20:21], v[22:23]
	s_delay_alu instid0(VALU_DEP_1) | instskip(NEXT) | instid1(VALU_DEP_1)
	v_fma_f64 v[20:21], v[22:23], v[24:25], v[20:21]
	v_div_scale_f64 v[22:23], null, v[20:21], v[20:21], 1.0
	s_delay_alu instid0(VALU_DEP_1) | instskip(SKIP_2) | instid1(VALU_DEP_1)
	v_rcp_f64_e32 v[26:27], v[22:23]
	s_waitcnt_depctr 0xfff
	v_fma_f64 v[28:29], -v[22:23], v[26:27], 1.0
	v_fma_f64 v[26:27], v[26:27], v[28:29], v[26:27]
	s_delay_alu instid0(VALU_DEP_1) | instskip(NEXT) | instid1(VALU_DEP_1)
	v_fma_f64 v[28:29], -v[22:23], v[26:27], 1.0
	v_fma_f64 v[26:27], v[26:27], v[28:29], v[26:27]
	v_div_scale_f64 v[28:29], vcc_lo, 1.0, v[20:21], 1.0
	s_delay_alu instid0(VALU_DEP_1) | instskip(NEXT) | instid1(VALU_DEP_1)
	v_mul_f64 v[30:31], v[28:29], v[26:27]
	v_fma_f64 v[22:23], -v[22:23], v[30:31], v[28:29]
	s_delay_alu instid0(VALU_DEP_1) | instskip(NEXT) | instid1(VALU_DEP_1)
	v_div_fmas_f64 v[22:23], v[22:23], v[26:27], v[30:31]
	v_div_fixup_f64 v[28:29], v[22:23], v[20:21], 1.0
	s_delay_alu instid0(VALU_DEP_1)
	v_mul_f64 v[26:27], v[24:25], -v[28:29]
.LBB7_16:
	s_or_b32 exec_lo, exec_lo, s3
	ds_store_2addr_b64 v45, v[28:29], v[26:27] offset1:1
.LBB7_17:
	s_or_b32 exec_lo, exec_lo, s4
	s_waitcnt lgkmcnt(0)
	s_barrier
	buffer_gl0_inv
	ds_load_2addr_b64 v[20:23], v45 offset1:1
	s_mov_b32 s3, exec_lo
	v_cmpx_lt_u32_e32 1, v44
	s_cbranch_execz .LBB7_19
; %bb.18:
	s_waitcnt lgkmcnt(0)
	v_mul_f64 v[24:25], v[20:21], v[10:11]
	v_mul_f64 v[10:11], v[22:23], v[10:11]
	s_delay_alu instid0(VALU_DEP_2)
	v_fma_f64 v[42:43], v[22:23], v[8:9], v[24:25]
	ds_load_2addr_b64 v[24:27], v46 offset0:4 offset1:5
	ds_load_2addr_b64 v[28:31], v46 offset0:6 offset1:7
	v_fma_f64 v[8:9], v[20:21], v[8:9], -v[10:11]
	s_waitcnt lgkmcnt(1)
	v_mul_f64 v[10:11], v[26:27], v[42:43]
	v_mul_f64 v[47:48], v[24:25], v[42:43]
	s_waitcnt lgkmcnt(0)
	v_mul_f64 v[49:50], v[30:31], v[42:43]
	v_mul_f64 v[51:52], v[28:29], v[42:43]
	s_delay_alu instid0(VALU_DEP_4) | instskip(NEXT) | instid1(VALU_DEP_4)
	v_fma_f64 v[10:11], v[24:25], v[8:9], -v[10:11]
	v_fma_f64 v[24:25], v[26:27], v[8:9], v[47:48]
	s_delay_alu instid0(VALU_DEP_4) | instskip(NEXT) | instid1(VALU_DEP_4)
	v_fma_f64 v[26:27], v[28:29], v[8:9], -v[49:50]
	v_fma_f64 v[28:29], v[30:31], v[8:9], v[51:52]
	s_delay_alu instid0(VALU_DEP_4) | instskip(NEXT) | instid1(VALU_DEP_4)
	v_add_f64 v[4:5], v[4:5], -v[10:11]
	v_add_f64 v[6:7], v[6:7], -v[24:25]
	s_delay_alu instid0(VALU_DEP_4) | instskip(NEXT) | instid1(VALU_DEP_4)
	v_add_f64 v[0:1], v[0:1], -v[26:27]
	v_add_f64 v[2:3], v[2:3], -v[28:29]
	v_dual_mov_b32 v10, v42 :: v_dual_mov_b32 v11, v43
.LBB7_19:
	s_or_b32 exec_lo, exec_lo, s3
	s_delay_alu instid0(SALU_CYCLE_1)
	s_mov_b32 s4, exec_lo
	s_waitcnt lgkmcnt(0)
	s_barrier
	buffer_gl0_inv
	v_cmpx_eq_u32_e32 2, v44
	s_cbranch_execz .LBB7_26
; %bb.20:
	ds_store_2addr_b64 v45, v[4:5], v[6:7] offset1:1
	ds_store_2addr_b64 v46, v[0:1], v[2:3] offset0:6 offset1:7
	ds_load_2addr_b64 v[24:27], v45 offset1:1
	s_waitcnt lgkmcnt(0)
	v_cmp_neq_f64_e32 vcc_lo, 0, v[24:25]
	v_cmp_neq_f64_e64 s3, 0, v[26:27]
	s_delay_alu instid0(VALU_DEP_1) | instskip(NEXT) | instid1(SALU_CYCLE_1)
	s_or_b32 s3, vcc_lo, s3
	s_and_b32 exec_lo, exec_lo, s3
	s_cbranch_execz .LBB7_26
; %bb.21:
	v_cmp_gt_f64_e32 vcc_lo, 0, v[24:25]
	v_cmp_gt_f64_e64 s3, 0, v[26:27]
	v_xor_b32_e32 v28, 0x80000000, v25
	v_xor_b32_e32 v30, 0x80000000, v27
                                        ; implicit-def: $vgpr42_vgpr43
	s_delay_alu instid0(VALU_DEP_2) | instskip(NEXT) | instid1(VALU_DEP_2)
	v_cndmask_b32_e32 v29, v25, v28, vcc_lo
	v_cndmask_b32_e64 v31, v27, v30, s3
	v_cndmask_b32_e32 v28, v24, v24, vcc_lo
	v_cndmask_b32_e64 v30, v26, v26, s3
	s_mov_b32 s3, exec_lo
	s_delay_alu instid0(VALU_DEP_1)
	v_cmpx_ngt_f64_e32 v[28:29], v[30:31]
	s_xor_b32 s3, exec_lo, s3
                                        ; implicit-def: $vgpr28_vgpr29_vgpr30_vgpr31
	s_cbranch_execz .LBB7_23
; %bb.22:
	v_div_scale_f64 v[28:29], null, v[26:27], v[26:27], v[24:25]
	v_div_scale_f64 v[47:48], vcc_lo, v[24:25], v[26:27], v[24:25]
	s_delay_alu instid0(VALU_DEP_2) | instskip(SKIP_2) | instid1(VALU_DEP_1)
	v_rcp_f64_e32 v[30:31], v[28:29]
	s_waitcnt_depctr 0xfff
	v_fma_f64 v[42:43], -v[28:29], v[30:31], 1.0
	v_fma_f64 v[30:31], v[30:31], v[42:43], v[30:31]
	s_delay_alu instid0(VALU_DEP_1) | instskip(NEXT) | instid1(VALU_DEP_1)
	v_fma_f64 v[42:43], -v[28:29], v[30:31], 1.0
	v_fma_f64 v[30:31], v[30:31], v[42:43], v[30:31]
	s_delay_alu instid0(VALU_DEP_1) | instskip(NEXT) | instid1(VALU_DEP_1)
	v_mul_f64 v[42:43], v[47:48], v[30:31]
	v_fma_f64 v[28:29], -v[28:29], v[42:43], v[47:48]
	s_delay_alu instid0(VALU_DEP_1) | instskip(NEXT) | instid1(VALU_DEP_1)
	v_div_fmas_f64 v[28:29], v[28:29], v[30:31], v[42:43]
	v_div_fixup_f64 v[28:29], v[28:29], v[26:27], v[24:25]
	s_delay_alu instid0(VALU_DEP_1) | instskip(NEXT) | instid1(VALU_DEP_1)
	v_fma_f64 v[24:25], v[24:25], v[28:29], v[26:27]
	v_div_scale_f64 v[26:27], null, v[24:25], v[24:25], 1.0
	s_delay_alu instid0(VALU_DEP_1) | instskip(SKIP_2) | instid1(VALU_DEP_1)
	v_rcp_f64_e32 v[30:31], v[26:27]
	s_waitcnt_depctr 0xfff
	v_fma_f64 v[42:43], -v[26:27], v[30:31], 1.0
	v_fma_f64 v[30:31], v[30:31], v[42:43], v[30:31]
	s_delay_alu instid0(VALU_DEP_1) | instskip(NEXT) | instid1(VALU_DEP_1)
	v_fma_f64 v[42:43], -v[26:27], v[30:31], 1.0
	v_fma_f64 v[30:31], v[30:31], v[42:43], v[30:31]
	v_div_scale_f64 v[42:43], vcc_lo, 1.0, v[24:25], 1.0
	s_delay_alu instid0(VALU_DEP_1) | instskip(NEXT) | instid1(VALU_DEP_1)
	v_mul_f64 v[47:48], v[42:43], v[30:31]
	v_fma_f64 v[26:27], -v[26:27], v[47:48], v[42:43]
	s_delay_alu instid0(VALU_DEP_1) | instskip(NEXT) | instid1(VALU_DEP_1)
	v_div_fmas_f64 v[26:27], v[26:27], v[30:31], v[47:48]
	v_div_fixup_f64 v[30:31], v[26:27], v[24:25], 1.0
                                        ; implicit-def: $vgpr24_vgpr25
	s_delay_alu instid0(VALU_DEP_1)
	v_mul_f64 v[42:43], v[28:29], v[30:31]
	v_xor_b32_e32 v31, 0x80000000, v31
.LBB7_23:
	s_and_not1_saveexec_b32 s3, s3
	s_cbranch_execz .LBB7_25
; %bb.24:
	v_div_scale_f64 v[28:29], null, v[24:25], v[24:25], v[26:27]
	v_div_scale_f64 v[47:48], vcc_lo, v[26:27], v[24:25], v[26:27]
	s_delay_alu instid0(VALU_DEP_2) | instskip(SKIP_2) | instid1(VALU_DEP_1)
	v_rcp_f64_e32 v[30:31], v[28:29]
	s_waitcnt_depctr 0xfff
	v_fma_f64 v[42:43], -v[28:29], v[30:31], 1.0
	v_fma_f64 v[30:31], v[30:31], v[42:43], v[30:31]
	s_delay_alu instid0(VALU_DEP_1) | instskip(NEXT) | instid1(VALU_DEP_1)
	v_fma_f64 v[42:43], -v[28:29], v[30:31], 1.0
	v_fma_f64 v[30:31], v[30:31], v[42:43], v[30:31]
	s_delay_alu instid0(VALU_DEP_1) | instskip(NEXT) | instid1(VALU_DEP_1)
	v_mul_f64 v[42:43], v[47:48], v[30:31]
	v_fma_f64 v[28:29], -v[28:29], v[42:43], v[47:48]
	s_delay_alu instid0(VALU_DEP_1) | instskip(NEXT) | instid1(VALU_DEP_1)
	v_div_fmas_f64 v[28:29], v[28:29], v[30:31], v[42:43]
	v_div_fixup_f64 v[28:29], v[28:29], v[24:25], v[26:27]
	s_delay_alu instid0(VALU_DEP_1) | instskip(NEXT) | instid1(VALU_DEP_1)
	v_fma_f64 v[24:25], v[26:27], v[28:29], v[24:25]
	v_div_scale_f64 v[26:27], null, v[24:25], v[24:25], 1.0
	s_delay_alu instid0(VALU_DEP_1) | instskip(SKIP_2) | instid1(VALU_DEP_1)
	v_rcp_f64_e32 v[30:31], v[26:27]
	s_waitcnt_depctr 0xfff
	v_fma_f64 v[42:43], -v[26:27], v[30:31], 1.0
	v_fma_f64 v[30:31], v[30:31], v[42:43], v[30:31]
	s_delay_alu instid0(VALU_DEP_1) | instskip(NEXT) | instid1(VALU_DEP_1)
	v_fma_f64 v[42:43], -v[26:27], v[30:31], 1.0
	v_fma_f64 v[30:31], v[30:31], v[42:43], v[30:31]
	v_div_scale_f64 v[42:43], vcc_lo, 1.0, v[24:25], 1.0
	s_delay_alu instid0(VALU_DEP_1) | instskip(NEXT) | instid1(VALU_DEP_1)
	v_mul_f64 v[47:48], v[42:43], v[30:31]
	v_fma_f64 v[26:27], -v[26:27], v[47:48], v[42:43]
	s_delay_alu instid0(VALU_DEP_1) | instskip(NEXT) | instid1(VALU_DEP_1)
	v_div_fmas_f64 v[26:27], v[26:27], v[30:31], v[47:48]
	v_div_fixup_f64 v[42:43], v[26:27], v[24:25], 1.0
	s_delay_alu instid0(VALU_DEP_1)
	v_mul_f64 v[30:31], v[28:29], -v[42:43]
.LBB7_25:
	s_or_b32 exec_lo, exec_lo, s3
	ds_store_2addr_b64 v45, v[42:43], v[30:31] offset1:1
.LBB7_26:
	s_or_b32 exec_lo, exec_lo, s4
	s_waitcnt lgkmcnt(0)
	s_barrier
	buffer_gl0_inv
	ds_load_2addr_b64 v[24:27], v45 offset1:1
	s_mov_b32 s3, exec_lo
	v_cmpx_lt_u32_e32 2, v44
	s_cbranch_execz .LBB7_28
; %bb.27:
	s_waitcnt lgkmcnt(0)
	v_mul_f64 v[28:29], v[24:25], v[6:7]
	v_mul_f64 v[6:7], v[26:27], v[6:7]
	s_delay_alu instid0(VALU_DEP_2)
	v_fma_f64 v[42:43], v[26:27], v[4:5], v[28:29]
	ds_load_2addr_b64 v[28:31], v46 offset0:6 offset1:7
	v_fma_f64 v[4:5], v[24:25], v[4:5], -v[6:7]
	s_waitcnt lgkmcnt(0)
	v_mul_f64 v[6:7], v[30:31], v[42:43]
	v_mul_f64 v[46:47], v[28:29], v[42:43]
	s_delay_alu instid0(VALU_DEP_2) | instskip(NEXT) | instid1(VALU_DEP_2)
	v_fma_f64 v[6:7], v[28:29], v[4:5], -v[6:7]
	v_fma_f64 v[28:29], v[30:31], v[4:5], v[46:47]
	s_delay_alu instid0(VALU_DEP_2) | instskip(NEXT) | instid1(VALU_DEP_2)
	v_add_f64 v[0:1], v[0:1], -v[6:7]
	v_add_f64 v[2:3], v[2:3], -v[28:29]
	v_dual_mov_b32 v6, v42 :: v_dual_mov_b32 v7, v43
.LBB7_28:
	s_or_b32 exec_lo, exec_lo, s3
	s_delay_alu instid0(SALU_CYCLE_1)
	s_mov_b32 s4, exec_lo
	s_waitcnt lgkmcnt(0)
	s_barrier
	buffer_gl0_inv
	v_cmpx_eq_u32_e32 3, v44
	s_cbranch_execz .LBB7_35
; %bb.29:
	v_cmp_neq_f64_e32 vcc_lo, 0, v[0:1]
	v_cmp_neq_f64_e64 s3, 0, v[2:3]
	ds_store_2addr_b64 v45, v[0:1], v[2:3] offset1:1
	s_or_b32 s3, vcc_lo, s3
	s_delay_alu instid0(SALU_CYCLE_1)
	s_and_b32 exec_lo, exec_lo, s3
	s_cbranch_execz .LBB7_35
; %bb.30:
	v_cmp_gt_f64_e32 vcc_lo, 0, v[0:1]
	v_cmp_gt_f64_e64 s3, 0, v[2:3]
	v_xor_b32_e32 v28, 0x80000000, v1
	v_xor_b32_e32 v30, 0x80000000, v3
                                        ; implicit-def: $vgpr42_vgpr43
	s_delay_alu instid0(VALU_DEP_2) | instskip(NEXT) | instid1(VALU_DEP_2)
	v_cndmask_b32_e32 v29, v1, v28, vcc_lo
	v_cndmask_b32_e64 v31, v3, v30, s3
	v_cndmask_b32_e32 v28, v0, v0, vcc_lo
	v_cndmask_b32_e64 v30, v2, v2, s3
	s_mov_b32 s3, exec_lo
	s_delay_alu instid0(VALU_DEP_1)
	v_cmpx_ngt_f64_e32 v[28:29], v[30:31]
	s_xor_b32 s3, exec_lo, s3
                                        ; implicit-def: $vgpr28_vgpr29_vgpr30_vgpr31
	s_cbranch_execz .LBB7_32
; %bb.31:
	v_div_scale_f64 v[28:29], null, v[2:3], v[2:3], v[0:1]
	v_div_scale_f64 v[46:47], vcc_lo, v[0:1], v[2:3], v[0:1]
	s_delay_alu instid0(VALU_DEP_2) | instskip(SKIP_2) | instid1(VALU_DEP_1)
	v_rcp_f64_e32 v[30:31], v[28:29]
	s_waitcnt_depctr 0xfff
	v_fma_f64 v[42:43], -v[28:29], v[30:31], 1.0
	v_fma_f64 v[30:31], v[30:31], v[42:43], v[30:31]
	s_delay_alu instid0(VALU_DEP_1) | instskip(NEXT) | instid1(VALU_DEP_1)
	v_fma_f64 v[42:43], -v[28:29], v[30:31], 1.0
	v_fma_f64 v[30:31], v[30:31], v[42:43], v[30:31]
	s_delay_alu instid0(VALU_DEP_1) | instskip(NEXT) | instid1(VALU_DEP_1)
	v_mul_f64 v[42:43], v[46:47], v[30:31]
	v_fma_f64 v[28:29], -v[28:29], v[42:43], v[46:47]
	s_delay_alu instid0(VALU_DEP_1) | instskip(NEXT) | instid1(VALU_DEP_1)
	v_div_fmas_f64 v[28:29], v[28:29], v[30:31], v[42:43]
	v_div_fixup_f64 v[28:29], v[28:29], v[2:3], v[0:1]
	s_delay_alu instid0(VALU_DEP_1) | instskip(NEXT) | instid1(VALU_DEP_1)
	v_fma_f64 v[30:31], v[0:1], v[28:29], v[2:3]
	v_div_scale_f64 v[42:43], null, v[30:31], v[30:31], 1.0
	s_delay_alu instid0(VALU_DEP_1) | instskip(SKIP_2) | instid1(VALU_DEP_1)
	v_rcp_f64_e32 v[46:47], v[42:43]
	s_waitcnt_depctr 0xfff
	v_fma_f64 v[48:49], -v[42:43], v[46:47], 1.0
	v_fma_f64 v[46:47], v[46:47], v[48:49], v[46:47]
	s_delay_alu instid0(VALU_DEP_1) | instskip(NEXT) | instid1(VALU_DEP_1)
	v_fma_f64 v[48:49], -v[42:43], v[46:47], 1.0
	v_fma_f64 v[46:47], v[46:47], v[48:49], v[46:47]
	v_div_scale_f64 v[48:49], vcc_lo, 1.0, v[30:31], 1.0
	s_delay_alu instid0(VALU_DEP_1) | instskip(NEXT) | instid1(VALU_DEP_1)
	v_mul_f64 v[50:51], v[48:49], v[46:47]
	v_fma_f64 v[42:43], -v[42:43], v[50:51], v[48:49]
	s_delay_alu instid0(VALU_DEP_1) | instskip(NEXT) | instid1(VALU_DEP_1)
	v_div_fmas_f64 v[42:43], v[42:43], v[46:47], v[50:51]
	v_div_fixup_f64 v[30:31], v[42:43], v[30:31], 1.0
	s_delay_alu instid0(VALU_DEP_1)
	v_mul_f64 v[42:43], v[28:29], v[30:31]
	v_xor_b32_e32 v31, 0x80000000, v31
.LBB7_32:
	s_and_not1_saveexec_b32 s3, s3
	s_cbranch_execz .LBB7_34
; %bb.33:
	v_div_scale_f64 v[28:29], null, v[0:1], v[0:1], v[2:3]
	v_div_scale_f64 v[46:47], vcc_lo, v[2:3], v[0:1], v[2:3]
	s_delay_alu instid0(VALU_DEP_2) | instskip(SKIP_2) | instid1(VALU_DEP_1)
	v_rcp_f64_e32 v[30:31], v[28:29]
	s_waitcnt_depctr 0xfff
	v_fma_f64 v[42:43], -v[28:29], v[30:31], 1.0
	v_fma_f64 v[30:31], v[30:31], v[42:43], v[30:31]
	s_delay_alu instid0(VALU_DEP_1) | instskip(NEXT) | instid1(VALU_DEP_1)
	v_fma_f64 v[42:43], -v[28:29], v[30:31], 1.0
	v_fma_f64 v[30:31], v[30:31], v[42:43], v[30:31]
	s_delay_alu instid0(VALU_DEP_1) | instskip(NEXT) | instid1(VALU_DEP_1)
	v_mul_f64 v[42:43], v[46:47], v[30:31]
	v_fma_f64 v[28:29], -v[28:29], v[42:43], v[46:47]
	s_delay_alu instid0(VALU_DEP_1) | instskip(NEXT) | instid1(VALU_DEP_1)
	v_div_fmas_f64 v[28:29], v[28:29], v[30:31], v[42:43]
	v_div_fixup_f64 v[28:29], v[28:29], v[0:1], v[2:3]
	s_delay_alu instid0(VALU_DEP_1) | instskip(NEXT) | instid1(VALU_DEP_1)
	v_fma_f64 v[30:31], v[2:3], v[28:29], v[0:1]
	v_div_scale_f64 v[42:43], null, v[30:31], v[30:31], 1.0
	s_delay_alu instid0(VALU_DEP_1) | instskip(SKIP_2) | instid1(VALU_DEP_1)
	v_rcp_f64_e32 v[46:47], v[42:43]
	s_waitcnt_depctr 0xfff
	v_fma_f64 v[48:49], -v[42:43], v[46:47], 1.0
	v_fma_f64 v[46:47], v[46:47], v[48:49], v[46:47]
	s_delay_alu instid0(VALU_DEP_1) | instskip(NEXT) | instid1(VALU_DEP_1)
	v_fma_f64 v[48:49], -v[42:43], v[46:47], 1.0
	v_fma_f64 v[46:47], v[46:47], v[48:49], v[46:47]
	v_div_scale_f64 v[48:49], vcc_lo, 1.0, v[30:31], 1.0
	s_delay_alu instid0(VALU_DEP_1) | instskip(NEXT) | instid1(VALU_DEP_1)
	v_mul_f64 v[50:51], v[48:49], v[46:47]
	v_fma_f64 v[42:43], -v[42:43], v[50:51], v[48:49]
	s_delay_alu instid0(VALU_DEP_1) | instskip(NEXT) | instid1(VALU_DEP_1)
	v_div_fmas_f64 v[42:43], v[42:43], v[46:47], v[50:51]
	v_div_fixup_f64 v[42:43], v[42:43], v[30:31], 1.0
	s_delay_alu instid0(VALU_DEP_1)
	v_mul_f64 v[30:31], v[28:29], -v[42:43]
.LBB7_34:
	s_or_b32 exec_lo, exec_lo, s3
	ds_store_2addr_b64 v45, v[42:43], v[30:31] offset1:1
.LBB7_35:
	s_or_b32 exec_lo, exec_lo, s4
	s_waitcnt lgkmcnt(0)
	s_barrier
	buffer_gl0_inv
	ds_load_2addr_b64 v[28:31], v45 offset1:1
	s_mov_b32 s3, exec_lo
	v_cmpx_lt_u32_e32 3, v44
	s_cbranch_execz .LBB7_37
; %bb.36:
	s_waitcnt lgkmcnt(0)
	v_mul_f64 v[42:43], v[30:31], v[2:3]
	v_mul_f64 v[2:3], v[28:29], v[2:3]
	s_delay_alu instid0(VALU_DEP_2) | instskip(NEXT) | instid1(VALU_DEP_2)
	v_fma_f64 v[42:43], v[28:29], v[0:1], -v[42:43]
	v_fma_f64 v[2:3], v[30:31], v[0:1], v[2:3]
	s_delay_alu instid0(VALU_DEP_2)
	v_dual_mov_b32 v0, v42 :: v_dual_mov_b32 v1, v43
.LBB7_37:
	s_or_b32 exec_lo, exec_lo, s3
	s_waitcnt lgkmcnt(0)
	s_barrier
	buffer_gl0_inv
	s_and_saveexec_b32 s7, s2
	s_cbranch_execz .LBB7_40
; %bb.38:
	s_load_b64 s[0:1], s[0:1], 0x28
	v_lshlrev_b64 v[32:33], 2, v[32:33]
	v_cmp_neq_f64_e64 s2, 0, v[22:23]
	v_cmp_eq_f64_e64 s3, 0, v[24:25]
	v_cmp_eq_f64_e64 s4, 0, v[26:27]
	;; [unrolled: 1-line block ×4, first 2 shown]
	s_waitcnt lgkmcnt(0)
	v_add_co_u32 v32, vcc_lo, s0, v32
	v_add_co_ci_u32_e32 v33, vcc_lo, s1, v33, vcc_lo
	v_cmp_eq_f64_e32 vcc_lo, 0, v[16:17]
	v_cmp_eq_f64_e64 s0, 0, v[18:19]
	v_cmp_neq_f64_e64 s1, 0, v[20:21]
	global_load_b32 v42, v[32:33], off
	s_and_b32 s0, vcc_lo, s0
	s_or_b32 s1, s1, s2
	v_cndmask_b32_e64 v16, 0, 1, s0
	s_or_b32 vcc_lo, s1, s0
	s_and_b32 s0, s3, s4
	s_delay_alu instid0(VALU_DEP_1) | instskip(NEXT) | instid1(VALU_DEP_1)
	v_cndmask_b32_e32 v16, 2, v16, vcc_lo
	v_cmp_eq_u32_e32 vcc_lo, 0, v16
	s_and_b32 s0, s0, vcc_lo
	s_delay_alu instid0(SALU_CYCLE_1) | instskip(SKIP_1) | instid1(VALU_DEP_1)
	v_cndmask_b32_e64 v16, v16, 3, s0
	s_and_b32 s0, s5, s6
	v_cmp_eq_u32_e32 vcc_lo, 0, v16
	s_and_b32 s0, s0, vcc_lo
	s_delay_alu instid0(SALU_CYCLE_1) | instskip(NEXT) | instid1(VALU_DEP_1)
	v_cndmask_b32_e64 v16, v16, 4, s0
	v_cmp_ne_u32_e64 s0, 0, v16
	s_waitcnt vmcnt(0)
	v_cmp_eq_u32_e32 vcc_lo, 0, v42
	s_delay_alu instid0(VALU_DEP_2) | instskip(NEXT) | instid1(SALU_CYCLE_1)
	s_and_b32 s0, vcc_lo, s0
	s_and_b32 exec_lo, exec_lo, s0
	s_cbranch_execz .LBB7_40
; %bb.39:
	v_add_nc_u32_e32 v16, s9, v16
	global_store_b32 v[32:33], v16, off
.LBB7_40:
	s_or_b32 exec_lo, exec_lo, s7
	s_clause 0x3
	global_store_b128 v[40:41], v[12:15], off
	global_store_b128 v[38:39], v[8:11], off
	;; [unrolled: 1-line block ×4, first 2 shown]
.LBB7_41:
	s_nop 0
	s_sendmsg sendmsg(MSG_DEALLOC_VGPRS)
	s_endpgm
	.section	.rodata,"a",@progbits
	.p2align	6, 0x0
	.amdhsa_kernel _ZN9rocsolver6v33100L23getf2_npvt_small_kernelILi4E19rocblas_complex_numIdEiiPKPS3_EEvT1_T3_lS7_lPT2_S7_S7_
		.amdhsa_group_segment_fixed_size 0
		.amdhsa_private_segment_fixed_size 0
		.amdhsa_kernarg_size 312
		.amdhsa_user_sgpr_count 14
		.amdhsa_user_sgpr_dispatch_ptr 0
		.amdhsa_user_sgpr_queue_ptr 0
		.amdhsa_user_sgpr_kernarg_segment_ptr 1
		.amdhsa_user_sgpr_dispatch_id 0
		.amdhsa_user_sgpr_private_segment_size 0
		.amdhsa_wavefront_size32 1
		.amdhsa_uses_dynamic_stack 0
		.amdhsa_enable_private_segment 0
		.amdhsa_system_sgpr_workgroup_id_x 1
		.amdhsa_system_sgpr_workgroup_id_y 1
		.amdhsa_system_sgpr_workgroup_id_z 0
		.amdhsa_system_sgpr_workgroup_info 0
		.amdhsa_system_vgpr_workitem_id 1
		.amdhsa_next_free_vgpr 57
		.amdhsa_next_free_sgpr 16
		.amdhsa_reserve_vcc 1
		.amdhsa_float_round_mode_32 0
		.amdhsa_float_round_mode_16_64 0
		.amdhsa_float_denorm_mode_32 3
		.amdhsa_float_denorm_mode_16_64 3
		.amdhsa_dx10_clamp 1
		.amdhsa_ieee_mode 1
		.amdhsa_fp16_overflow 0
		.amdhsa_workgroup_processor_mode 1
		.amdhsa_memory_ordered 1
		.amdhsa_forward_progress 0
		.amdhsa_shared_vgpr_count 0
		.amdhsa_exception_fp_ieee_invalid_op 0
		.amdhsa_exception_fp_denorm_src 0
		.amdhsa_exception_fp_ieee_div_zero 0
		.amdhsa_exception_fp_ieee_overflow 0
		.amdhsa_exception_fp_ieee_underflow 0
		.amdhsa_exception_fp_ieee_inexact 0
		.amdhsa_exception_int_div_zero 0
	.end_amdhsa_kernel
	.section	.text._ZN9rocsolver6v33100L23getf2_npvt_small_kernelILi4E19rocblas_complex_numIdEiiPKPS3_EEvT1_T3_lS7_lPT2_S7_S7_,"axG",@progbits,_ZN9rocsolver6v33100L23getf2_npvt_small_kernelILi4E19rocblas_complex_numIdEiiPKPS3_EEvT1_T3_lS7_lPT2_S7_S7_,comdat
.Lfunc_end7:
	.size	_ZN9rocsolver6v33100L23getf2_npvt_small_kernelILi4E19rocblas_complex_numIdEiiPKPS3_EEvT1_T3_lS7_lPT2_S7_S7_, .Lfunc_end7-_ZN9rocsolver6v33100L23getf2_npvt_small_kernelILi4E19rocblas_complex_numIdEiiPKPS3_EEvT1_T3_lS7_lPT2_S7_S7_
                                        ; -- End function
	.section	.AMDGPU.csdata,"",@progbits
; Kernel info:
; codeLenInByte = 4008
; NumSgprs: 18
; NumVgprs: 57
; ScratchSize: 0
; MemoryBound: 0
; FloatMode: 240
; IeeeMode: 1
; LDSByteSize: 0 bytes/workgroup (compile time only)
; SGPRBlocks: 2
; VGPRBlocks: 7
; NumSGPRsForWavesPerEU: 18
; NumVGPRsForWavesPerEU: 57
; Occupancy: 16
; WaveLimiterHint : 1
; COMPUTE_PGM_RSRC2:SCRATCH_EN: 0
; COMPUTE_PGM_RSRC2:USER_SGPR: 14
; COMPUTE_PGM_RSRC2:TRAP_HANDLER: 0
; COMPUTE_PGM_RSRC2:TGID_X_EN: 1
; COMPUTE_PGM_RSRC2:TGID_Y_EN: 1
; COMPUTE_PGM_RSRC2:TGID_Z_EN: 0
; COMPUTE_PGM_RSRC2:TIDIG_COMP_CNT: 1
	.section	.text._ZN9rocsolver6v33100L18getf2_small_kernelILi5E19rocblas_complex_numIdEiiPKPS3_EEvT1_T3_lS7_lPS7_llPT2_S7_S7_S9_l,"axG",@progbits,_ZN9rocsolver6v33100L18getf2_small_kernelILi5E19rocblas_complex_numIdEiiPKPS3_EEvT1_T3_lS7_lPS7_llPT2_S7_S7_S9_l,comdat
	.globl	_ZN9rocsolver6v33100L18getf2_small_kernelILi5E19rocblas_complex_numIdEiiPKPS3_EEvT1_T3_lS7_lPS7_llPT2_S7_S7_S9_l ; -- Begin function _ZN9rocsolver6v33100L18getf2_small_kernelILi5E19rocblas_complex_numIdEiiPKPS3_EEvT1_T3_lS7_lPS7_llPT2_S7_S7_S9_l
	.p2align	8
	.type	_ZN9rocsolver6v33100L18getf2_small_kernelILi5E19rocblas_complex_numIdEiiPKPS3_EEvT1_T3_lS7_lPS7_llPT2_S7_S7_S9_l,@function
_ZN9rocsolver6v33100L18getf2_small_kernelILi5E19rocblas_complex_numIdEiiPKPS3_EEvT1_T3_lS7_lPS7_llPT2_S7_S7_S9_l: ; @_ZN9rocsolver6v33100L18getf2_small_kernelILi5E19rocblas_complex_numIdEiiPKPS3_EEvT1_T3_lS7_lPS7_llPT2_S7_S7_S9_l
; %bb.0:
	s_clause 0x1
	s_load_b32 s2, s[0:1], 0x6c
	s_load_b64 s[12:13], s[0:1], 0x48
	v_bfe_u32 v20, v0, 10, 10
	s_waitcnt lgkmcnt(0)
	s_lshr_b32 s2, s2, 16
	s_delay_alu instid0(VALU_DEP_1) | instid1(SALU_CYCLE_1)
	v_mad_u64_u32 v[24:25], null, s15, s2, v[20:21]
	s_mov_b32 s2, exec_lo
	s_delay_alu instid0(VALU_DEP_1)
	v_cmpx_gt_i32_e64 s12, v24
	s_cbranch_execz .LBB8_108
; %bb.1:
	s_clause 0x1
	s_load_b128 s[4:7], s[0:1], 0x8
	s_load_b128 s[8:11], s[0:1], 0x50
	v_ashrrev_i32_e32 v25, 31, v24
	v_mov_b32_e32 v26, 0
	v_mov_b32_e32 v27, 0
	s_delay_alu instid0(VALU_DEP_3) | instskip(SKIP_1) | instid1(VALU_DEP_1)
	v_lshlrev_b64 v[1:2], 3, v[24:25]
	s_waitcnt lgkmcnt(0)
	v_add_co_u32 v1, vcc_lo, s4, v1
	s_delay_alu instid0(VALU_DEP_2)
	v_add_co_ci_u32_e32 v2, vcc_lo, s5, v2, vcc_lo
	s_cmp_eq_u64 s[8:9], 0
	s_cselect_b32 s4, -1, 0
	global_load_b64 v[1:2], v[1:2], off
	s_and_b32 vcc_lo, exec_lo, s4
	s_cbranch_vccnz .LBB8_3
; %bb.2:
	v_mul_lo_u32 v5, v25, s10
	v_mul_lo_u32 v6, v24, s11
	v_mad_u64_u32 v[3:4], null, v24, s10, 0
	s_delay_alu instid0(VALU_DEP_1) | instskip(NEXT) | instid1(VALU_DEP_1)
	v_add3_u32 v4, v4, v6, v5
	v_lshlrev_b64 v[3:4], 2, v[3:4]
	s_delay_alu instid0(VALU_DEP_1) | instskip(NEXT) | instid1(VALU_DEP_2)
	v_add_co_u32 v26, vcc_lo, s8, v3
	v_add_co_ci_u32_e32 v27, vcc_lo, s9, v4, vcc_lo
.LBB8_3:
	s_clause 0x1
	s_load_b32 s8, s[0:1], 0x18
	s_load_b32 s5, s[0:1], 0x0
	v_dual_mov_b32 v28, 0 :: v_dual_and_b32 v33, 0x3ff, v0
	s_lshl_b64 s[2:3], s[6:7], 4
	s_waitcnt vmcnt(0)
	v_add_co_u32 v31, vcc_lo, v1, s2
	s_delay_alu instid0(VALU_DEP_2) | instskip(SKIP_1) | instid1(VALU_DEP_2)
	v_lshlrev_b32_e32 v23, 4, v33
	v_add_co_ci_u32_e32 v32, vcc_lo, s3, v2, vcc_lo
	v_add_co_u32 v6, vcc_lo, v31, v23
	s_delay_alu instid0(VALU_DEP_2)
	v_add_co_ci_u32_e32 v7, vcc_lo, 0, v32, vcc_lo
	global_load_b128 v[0:3], v[6:7], off
	s_waitcnt lgkmcnt(0)
	v_add3_u32 v4, s8, s8, v33
	s_ashr_i32 s9, s8, 31
	s_max_i32 s2, s5, 5
	s_lshl_b64 s[10:11], s[8:9], 4
	v_mul_lo_u32 v29, s2, v20
	v_add_nc_u32_e32 v8, s8, v4
	v_ashrrev_i32_e32 v5, 31, v4
	v_add_co_u32 v6, vcc_lo, v6, s10
	v_add_co_ci_u32_e32 v7, vcc_lo, s11, v7, vcc_lo
	s_delay_alu instid0(VALU_DEP_4)
	v_add_nc_u32_e32 v10, s8, v8
	v_ashrrev_i32_e32 v9, 31, v8
	v_lshlrev_b64 v[4:5], 4, v[4:5]
	v_lshl_add_u32 v30, v29, 4, 0
	v_lshlrev_b32_e32 v35, 4, v29
	v_ashrrev_i32_e32 v11, 31, v10
	v_lshlrev_b64 v[8:9], 4, v[8:9]
	s_cmp_lt_i32 s5, 2
	v_add_co_u32 v4, vcc_lo, v31, v4
	s_delay_alu instid0(VALU_DEP_3) | instskip(SKIP_1) | instid1(VALU_DEP_4)
	v_lshlrev_b64 v[10:11], 4, v[10:11]
	v_add_co_ci_u32_e32 v5, vcc_lo, v32, v5, vcc_lo
	v_add_co_u32 v8, vcc_lo, v31, v8
	v_add_co_ci_u32_e32 v9, vcc_lo, v32, v9, vcc_lo
	s_delay_alu instid0(VALU_DEP_4)
	v_add_co_u32 v21, vcc_lo, v31, v10
	v_add_co_ci_u32_e32 v22, vcc_lo, v32, v11, vcc_lo
	s_clause 0x3
	global_load_b128 v[16:19], v[6:7], off
	global_load_b128 v[12:15], v[4:5], off
	;; [unrolled: 1-line block ×4, first 2 shown]
	v_add_nc_u32_e32 v20, v30, v23
	s_waitcnt vmcnt(4)
	ds_store_2addr_b64 v20, v[0:1], v[2:3] offset1:1
	s_waitcnt vmcnt(0) lgkmcnt(0)
	s_barrier
	buffer_gl0_inv
	ds_load_2addr_b64 v[20:23], v30 offset1:1
	s_cbranch_scc1 .LBB8_6
; %bb.4:
	v_add3_u32 v29, v35, 0, 16
	v_mov_b32_e32 v28, 0
	s_mov_b32 s6, 1
	s_set_inst_prefetch_distance 0x1
	.p2align	6
.LBB8_5:                                ; =>This Inner Loop Header: Depth=1
	ds_load_2addr_b64 v[36:39], v29 offset1:1
	s_waitcnt lgkmcnt(1)
	v_cmp_gt_f64_e32 vcc_lo, 0, v[20:21]
	v_xor_b32_e32 v34, 0x80000000, v21
	v_cmp_gt_f64_e64 s2, 0, v[22:23]
	v_xor_b32_e32 v40, 0x80000000, v23
	v_add_nc_u32_e32 v29, 16, v29
	s_waitcnt lgkmcnt(0)
	v_cmp_gt_f64_e64 s3, 0, v[36:37]
	v_mov_b32_e32 v44, v36
	v_dual_mov_b32 v46, v38 :: v_dual_cndmask_b32 v41, v21, v34
	v_xor_b32_e32 v34, 0x80000000, v37
	v_cndmask_b32_e64 v43, v23, v40, s2
	v_xor_b32_e32 v40, 0x80000000, v39
	v_cndmask_b32_e64 v42, v22, v22, s2
	s_delay_alu instid0(VALU_DEP_4) | instskip(SKIP_1) | instid1(VALU_DEP_1)
	v_cndmask_b32_e64 v45, v37, v34, s3
	v_cmp_gt_f64_e64 s3, 0, v[38:39]
	v_cndmask_b32_e64 v47, v39, v40, s3
	v_cndmask_b32_e32 v40, v20, v20, vcc_lo
	s_delay_alu instid0(VALU_DEP_2) | instskip(NEXT) | instid1(VALU_DEP_2)
	v_add_f64 v[44:45], v[44:45], v[46:47]
	v_add_f64 v[40:41], v[40:41], v[42:43]
	s_delay_alu instid0(VALU_DEP_1)
	v_cmp_lt_f64_e32 vcc_lo, v[40:41], v[44:45]
	v_cndmask_b32_e32 v23, v23, v39, vcc_lo
	v_dual_cndmask_b32 v21, v21, v37 :: v_dual_cndmask_b32 v20, v20, v36
	v_cndmask_b32_e32 v22, v22, v38, vcc_lo
	v_cndmask_b32_e64 v28, v28, s6, vcc_lo
	s_add_i32 s6, s6, 1
	s_delay_alu instid0(SALU_CYCLE_1)
	s_cmp_eq_u32 s5, s6
	s_cbranch_scc0 .LBB8_5
.LBB8_6:
	s_set_inst_prefetch_distance 0x2
	s_waitcnt lgkmcnt(0)
	v_cmp_neq_f64_e32 vcc_lo, 0, v[20:21]
	v_cmp_neq_f64_e64 s2, 0, v[22:23]
	v_dual_mov_b32 v34, 1 :: v_dual_mov_b32 v37, 1
	s_delay_alu instid0(VALU_DEP_2) | instskip(NEXT) | instid1(SALU_CYCLE_1)
	s_or_b32 s2, vcc_lo, s2
	s_and_saveexec_b32 s3, s2
	s_cbranch_execz .LBB8_12
; %bb.7:
	v_cmp_gt_f64_e32 vcc_lo, 0, v[20:21]
	v_cmp_gt_f64_e64 s2, 0, v[22:23]
	v_xor_b32_e32 v29, 0x80000000, v21
	v_xor_b32_e32 v34, 0x80000000, v23
                                        ; implicit-def: $sgpr6
                                        ; implicit-def: $sgpr7
	s_delay_alu instid0(VALU_DEP_2) | instskip(NEXT) | instid1(VALU_DEP_2)
	v_dual_cndmask_b32 v37, v21, v29 :: v_dual_cndmask_b32 v36, v20, v20
	v_cndmask_b32_e64 v39, v23, v34, s2
	v_cndmask_b32_e64 v38, v22, v22, s2
	s_mov_b32 s2, exec_lo
	s_delay_alu instid0(VALU_DEP_1)
	v_cmpx_ngt_f64_e32 v[36:37], v[38:39]
	s_xor_b32 s2, exec_lo, s2
	s_cbranch_execz .LBB8_9
; %bb.8:
	v_div_scale_f64 v[36:37], null, v[22:23], v[22:23], v[20:21]
	v_div_scale_f64 v[42:43], vcc_lo, v[20:21], v[22:23], v[20:21]
	s_mov_b32 s7, 2
	s_mov_b32 s6, 0
	s_delay_alu instid0(VALU_DEP_2) | instskip(SKIP_2) | instid1(VALU_DEP_1)
	v_rcp_f64_e32 v[38:39], v[36:37]
	s_waitcnt_depctr 0xfff
	v_fma_f64 v[40:41], -v[36:37], v[38:39], 1.0
	v_fma_f64 v[38:39], v[38:39], v[40:41], v[38:39]
	s_delay_alu instid0(VALU_DEP_1) | instskip(NEXT) | instid1(VALU_DEP_1)
	v_fma_f64 v[40:41], -v[36:37], v[38:39], 1.0
	v_fma_f64 v[38:39], v[38:39], v[40:41], v[38:39]
	s_delay_alu instid0(VALU_DEP_1) | instskip(NEXT) | instid1(VALU_DEP_1)
	v_mul_f64 v[40:41], v[42:43], v[38:39]
	v_fma_f64 v[36:37], -v[36:37], v[40:41], v[42:43]
	s_delay_alu instid0(VALU_DEP_1) | instskip(NEXT) | instid1(VALU_DEP_1)
	v_div_fmas_f64 v[36:37], v[36:37], v[38:39], v[40:41]
	v_div_fixup_f64 v[36:37], v[36:37], v[22:23], v[20:21]
	s_delay_alu instid0(VALU_DEP_1) | instskip(NEXT) | instid1(VALU_DEP_1)
	v_fma_f64 v[20:21], v[20:21], v[36:37], v[22:23]
	v_div_scale_f64 v[22:23], null, v[20:21], v[20:21], 1.0
	s_delay_alu instid0(VALU_DEP_1) | instskip(SKIP_2) | instid1(VALU_DEP_1)
	v_rcp_f64_e32 v[38:39], v[22:23]
	s_waitcnt_depctr 0xfff
	v_fma_f64 v[40:41], -v[22:23], v[38:39], 1.0
	v_fma_f64 v[38:39], v[38:39], v[40:41], v[38:39]
	s_delay_alu instid0(VALU_DEP_1) | instskip(NEXT) | instid1(VALU_DEP_1)
	v_fma_f64 v[40:41], -v[22:23], v[38:39], 1.0
	v_fma_f64 v[38:39], v[38:39], v[40:41], v[38:39]
	v_div_scale_f64 v[40:41], vcc_lo, 1.0, v[20:21], 1.0
	s_delay_alu instid0(VALU_DEP_1) | instskip(NEXT) | instid1(VALU_DEP_1)
	v_mul_f64 v[42:43], v[40:41], v[38:39]
	v_fma_f64 v[22:23], -v[22:23], v[42:43], v[40:41]
	s_delay_alu instid0(VALU_DEP_1) | instskip(NEXT) | instid1(VALU_DEP_1)
	v_div_fmas_f64 v[22:23], v[22:23], v[38:39], v[42:43]
	v_div_fixup_f64 v[22:23], v[22:23], v[20:21], 1.0
	s_delay_alu instid0(VALU_DEP_1)
	v_mul_f64 v[20:21], v[36:37], v[22:23]
	v_xor_b32_e32 v23, 0x80000000, v23
.LBB8_9:
	s_or_saveexec_b32 s2, s2
	v_dual_mov_b32 v37, s6 :: v_dual_mov_b32 v34, s7
	s_xor_b32 exec_lo, exec_lo, s2
	s_cbranch_execz .LBB8_11
; %bb.10:
	s_delay_alu instid0(VALU_DEP_3) | instskip(SKIP_2) | instid1(VALU_DEP_3)
	v_div_scale_f64 v[36:37], null, v[20:21], v[20:21], v[22:23]
	v_div_scale_f64 v[42:43], vcc_lo, v[22:23], v[20:21], v[22:23]
	v_mov_b32_e32 v34, 2
	v_rcp_f64_e32 v[38:39], v[36:37]
	s_waitcnt_depctr 0xfff
	v_fma_f64 v[40:41], -v[36:37], v[38:39], 1.0
	s_delay_alu instid0(VALU_DEP_1) | instskip(NEXT) | instid1(VALU_DEP_1)
	v_fma_f64 v[38:39], v[38:39], v[40:41], v[38:39]
	v_fma_f64 v[40:41], -v[36:37], v[38:39], 1.0
	s_delay_alu instid0(VALU_DEP_1) | instskip(NEXT) | instid1(VALU_DEP_1)
	v_fma_f64 v[38:39], v[38:39], v[40:41], v[38:39]
	v_mul_f64 v[40:41], v[42:43], v[38:39]
	s_delay_alu instid0(VALU_DEP_1) | instskip(NEXT) | instid1(VALU_DEP_1)
	v_fma_f64 v[36:37], -v[36:37], v[40:41], v[42:43]
	v_div_fmas_f64 v[36:37], v[36:37], v[38:39], v[40:41]
	s_delay_alu instid0(VALU_DEP_1) | instskip(NEXT) | instid1(VALU_DEP_1)
	v_div_fixup_f64 v[36:37], v[36:37], v[20:21], v[22:23]
	v_fma_f64 v[20:21], v[22:23], v[36:37], v[20:21]
	s_delay_alu instid0(VALU_DEP_1) | instskip(NEXT) | instid1(VALU_DEP_1)
	v_div_scale_f64 v[22:23], null, v[20:21], v[20:21], 1.0
	v_rcp_f64_e32 v[38:39], v[22:23]
	s_waitcnt_depctr 0xfff
	v_fma_f64 v[40:41], -v[22:23], v[38:39], 1.0
	s_delay_alu instid0(VALU_DEP_1) | instskip(NEXT) | instid1(VALU_DEP_1)
	v_fma_f64 v[38:39], v[38:39], v[40:41], v[38:39]
	v_fma_f64 v[40:41], -v[22:23], v[38:39], 1.0
	s_delay_alu instid0(VALU_DEP_1) | instskip(SKIP_1) | instid1(VALU_DEP_1)
	v_fma_f64 v[38:39], v[38:39], v[40:41], v[38:39]
	v_div_scale_f64 v[40:41], vcc_lo, 1.0, v[20:21], 1.0
	v_mul_f64 v[42:43], v[40:41], v[38:39]
	s_delay_alu instid0(VALU_DEP_1) | instskip(NEXT) | instid1(VALU_DEP_1)
	v_fma_f64 v[22:23], -v[22:23], v[42:43], v[40:41]
	v_div_fmas_f64 v[22:23], v[22:23], v[38:39], v[42:43]
	s_delay_alu instid0(VALU_DEP_1) | instskip(NEXT) | instid1(VALU_DEP_1)
	v_div_fixup_f64 v[20:21], v[22:23], v[20:21], 1.0
	v_mul_f64 v[22:23], v[36:37], -v[20:21]
	v_mov_b32_e32 v37, 0
.LBB8_11:
	s_or_b32 exec_lo, exec_lo, s2
.LBB8_12:
	s_delay_alu instid0(SALU_CYCLE_1) | instskip(NEXT) | instid1(SALU_CYCLE_1)
	s_or_b32 exec_lo, exec_lo, s3
	s_mov_b32 s2, exec_lo
	v_cmpx_ne_u32_e64 v33, v28
	s_xor_b32 s2, exec_lo, s2
	s_cbranch_execz .LBB8_18
; %bb.13:
	s_mov_b32 s3, exec_lo
	v_cmpx_eq_u32_e32 0, v33
	s_cbranch_execz .LBB8_17
; %bb.14:
	v_cmp_ne_u32_e32 vcc_lo, 0, v28
	s_xor_b32 s6, s4, -1
	s_delay_alu instid0(SALU_CYCLE_1) | instskip(NEXT) | instid1(SALU_CYCLE_1)
	s_and_b32 s7, s6, vcc_lo
	s_and_saveexec_b32 s6, s7
	s_cbranch_execz .LBB8_16
; %bb.15:
	v_ashrrev_i32_e32 v29, 31, v28
	s_delay_alu instid0(VALU_DEP_1) | instskip(NEXT) | instid1(VALU_DEP_1)
	v_lshlrev_b64 v[38:39], 2, v[28:29]
	v_add_co_u32 v38, vcc_lo, v26, v38
	s_delay_alu instid0(VALU_DEP_2)
	v_add_co_ci_u32_e32 v39, vcc_lo, v27, v39, vcc_lo
	s_clause 0x1
	flat_load_b32 v29, v[38:39]
	flat_load_b32 v33, v[26:27]
	s_waitcnt vmcnt(1) lgkmcnt(1)
	flat_store_b32 v[26:27], v29
	s_waitcnt vmcnt(0) lgkmcnt(1)
	flat_store_b32 v[38:39], v33
.LBB8_16:
	s_or_b32 exec_lo, exec_lo, s6
	v_mov_b32_e32 v33, v28
.LBB8_17:
	s_or_b32 exec_lo, exec_lo, s3
.LBB8_18:
	s_or_saveexec_b32 s2, s2
	s_delay_alu instid0(VALU_DEP_1)
	v_mov_b32_e32 v36, v33
	s_xor_b32 exec_lo, exec_lo, s2
	s_cbranch_execz .LBB8_20
; %bb.19:
	v_mov_b32_e32 v36, 0
	ds_store_2addr_b64 v30, v[16:17], v[18:19] offset0:2 offset1:3
	ds_store_2addr_b64 v30, v[12:13], v[14:15] offset0:4 offset1:5
	;; [unrolled: 1-line block ×4, first 2 shown]
.LBB8_20:
	s_or_b32 exec_lo, exec_lo, s2
	s_delay_alu instid0(SALU_CYCLE_1)
	s_mov_b32 s2, exec_lo
	s_waitcnt lgkmcnt(0)
	s_waitcnt_vscnt null, 0x0
	s_barrier
	buffer_gl0_inv
	v_cmpx_lt_i32_e32 0, v36
	s_cbranch_execz .LBB8_22
; %bb.21:
	v_mul_f64 v[28:29], v[20:21], v[2:3]
	v_mul_f64 v[2:3], v[22:23], v[2:3]
	ds_load_2addr_b64 v[38:41], v30 offset0:2 offset1:3
	ds_load_2addr_b64 v[42:45], v30 offset0:4 offset1:5
	ds_load_2addr_b64 v[46:49], v30 offset0:6 offset1:7
	ds_load_2addr_b64 v[50:53], v30 offset0:8 offset1:9
	v_fma_f64 v[22:23], v[22:23], v[0:1], v[28:29]
	v_fma_f64 v[0:1], v[20:21], v[0:1], -v[2:3]
	s_waitcnt lgkmcnt(3)
	s_delay_alu instid0(VALU_DEP_2)
	v_mul_f64 v[2:3], v[40:41], v[22:23]
	v_mul_f64 v[20:21], v[38:39], v[22:23]
	s_waitcnt lgkmcnt(2)
	v_mul_f64 v[28:29], v[44:45], v[22:23]
	v_mul_f64 v[54:55], v[42:43], v[22:23]
	s_waitcnt lgkmcnt(1)
	;; [unrolled: 3-line block ×3, first 2 shown]
	v_mul_f64 v[60:61], v[52:53], v[22:23]
	v_mul_f64 v[62:63], v[50:51], v[22:23]
	v_fma_f64 v[2:3], v[38:39], v[0:1], -v[2:3]
	v_fma_f64 v[20:21], v[40:41], v[0:1], v[20:21]
	v_fma_f64 v[28:29], v[42:43], v[0:1], -v[28:29]
	v_fma_f64 v[38:39], v[44:45], v[0:1], v[54:55]
	;; [unrolled: 2-line block ×4, first 2 shown]
	v_add_f64 v[16:17], v[16:17], -v[2:3]
	v_add_f64 v[18:19], v[18:19], -v[20:21]
	;; [unrolled: 1-line block ×8, first 2 shown]
	v_dual_mov_b32 v2, v22 :: v_dual_mov_b32 v3, v23
.LBB8_22:
	s_or_b32 exec_lo, exec_lo, s2
	v_lshl_add_u32 v20, v36, 4, v30
	s_barrier
	buffer_gl0_inv
	v_mov_b32_e32 v28, 1
	ds_store_2addr_b64 v20, v[16:17], v[18:19] offset1:1
	s_waitcnt lgkmcnt(0)
	s_barrier
	buffer_gl0_inv
	ds_load_2addr_b64 v[20:23], v30 offset0:2 offset1:3
	s_cmp_lt_i32 s5, 3
	s_cbranch_scc1 .LBB8_25
; %bb.23:
	v_add3_u32 v29, v35, 0, 32
	v_mov_b32_e32 v28, 1
	s_mov_b32 s6, 2
	s_set_inst_prefetch_distance 0x1
	.p2align	6
.LBB8_24:                               ; =>This Inner Loop Header: Depth=1
	ds_load_2addr_b64 v[38:41], v29 offset1:1
	s_waitcnt lgkmcnt(1)
	v_cmp_gt_f64_e32 vcc_lo, 0, v[20:21]
	v_xor_b32_e32 v42, 0x80000000, v21
	v_cmp_gt_f64_e64 s2, 0, v[22:23]
	v_xor_b32_e32 v44, 0x80000000, v23
	v_add_nc_u32_e32 v29, 16, v29
	s_waitcnt lgkmcnt(0)
	v_cmp_gt_f64_e64 s3, 0, v[38:39]
	v_mov_b32_e32 v46, v38
	v_dual_mov_b32 v48, v40 :: v_dual_cndmask_b32 v43, v21, v42
	v_xor_b32_e32 v42, 0x80000000, v39
	v_cndmask_b32_e64 v45, v23, v44, s2
	v_xor_b32_e32 v44, 0x80000000, v41
	s_delay_alu instid0(VALU_DEP_3) | instskip(SKIP_2) | instid1(VALU_DEP_2)
	v_cndmask_b32_e64 v47, v39, v42, s3
	v_cmp_gt_f64_e64 s3, 0, v[40:41]
	v_cndmask_b32_e32 v42, v20, v20, vcc_lo
	v_cndmask_b32_e64 v49, v41, v44, s3
	v_cndmask_b32_e64 v44, v22, v22, s2
	s_delay_alu instid0(VALU_DEP_2) | instskip(NEXT) | instid1(VALU_DEP_2)
	v_add_f64 v[46:47], v[46:47], v[48:49]
	v_add_f64 v[42:43], v[42:43], v[44:45]
	s_delay_alu instid0(VALU_DEP_1)
	v_cmp_lt_f64_e32 vcc_lo, v[42:43], v[46:47]
	v_cndmask_b32_e32 v23, v23, v41, vcc_lo
	v_dual_cndmask_b32 v21, v21, v39 :: v_dual_cndmask_b32 v20, v20, v38
	v_cndmask_b32_e32 v22, v22, v40, vcc_lo
	v_cndmask_b32_e64 v28, v28, s6, vcc_lo
	s_add_i32 s6, s6, 1
	s_delay_alu instid0(SALU_CYCLE_1)
	s_cmp_lg_u32 s5, s6
	s_cbranch_scc1 .LBB8_24
.LBB8_25:
	s_set_inst_prefetch_distance 0x2
	s_waitcnt lgkmcnt(0)
	v_cmp_neq_f64_e32 vcc_lo, 0, v[20:21]
	v_cmp_neq_f64_e64 s2, 0, v[22:23]
	s_delay_alu instid0(VALU_DEP_1) | instskip(NEXT) | instid1(SALU_CYCLE_1)
	s_or_b32 s2, vcc_lo, s2
	s_and_saveexec_b32 s3, s2
	s_cbranch_execz .LBB8_31
; %bb.26:
	v_cmp_gt_f64_e32 vcc_lo, 0, v[20:21]
	v_cmp_gt_f64_e64 s2, 0, v[22:23]
	v_xor_b32_e32 v29, 0x80000000, v21
	v_xor_b32_e32 v34, 0x80000000, v23
	s_delay_alu instid0(VALU_DEP_2) | instskip(NEXT) | instid1(VALU_DEP_2)
	v_dual_cndmask_b32 v39, v21, v29 :: v_dual_cndmask_b32 v38, v20, v20
	v_cndmask_b32_e64 v41, v23, v34, s2
	v_cndmask_b32_e64 v40, v22, v22, s2
	s_mov_b32 s2, exec_lo
	s_delay_alu instid0(VALU_DEP_1)
	v_cmpx_ngt_f64_e32 v[38:39], v[40:41]
	s_xor_b32 s2, exec_lo, s2
	s_cbranch_execz .LBB8_28
; %bb.27:
	v_div_scale_f64 v[38:39], null, v[22:23], v[22:23], v[20:21]
	v_div_scale_f64 v[44:45], vcc_lo, v[20:21], v[22:23], v[20:21]
	s_delay_alu instid0(VALU_DEP_2) | instskip(SKIP_2) | instid1(VALU_DEP_1)
	v_rcp_f64_e32 v[40:41], v[38:39]
	s_waitcnt_depctr 0xfff
	v_fma_f64 v[42:43], -v[38:39], v[40:41], 1.0
	v_fma_f64 v[40:41], v[40:41], v[42:43], v[40:41]
	s_delay_alu instid0(VALU_DEP_1) | instskip(NEXT) | instid1(VALU_DEP_1)
	v_fma_f64 v[42:43], -v[38:39], v[40:41], 1.0
	v_fma_f64 v[40:41], v[40:41], v[42:43], v[40:41]
	s_delay_alu instid0(VALU_DEP_1) | instskip(NEXT) | instid1(VALU_DEP_1)
	v_mul_f64 v[42:43], v[44:45], v[40:41]
	v_fma_f64 v[38:39], -v[38:39], v[42:43], v[44:45]
	s_delay_alu instid0(VALU_DEP_1) | instskip(NEXT) | instid1(VALU_DEP_1)
	v_div_fmas_f64 v[38:39], v[38:39], v[40:41], v[42:43]
	v_div_fixup_f64 v[38:39], v[38:39], v[22:23], v[20:21]
	s_delay_alu instid0(VALU_DEP_1) | instskip(NEXT) | instid1(VALU_DEP_1)
	v_fma_f64 v[20:21], v[20:21], v[38:39], v[22:23]
	v_div_scale_f64 v[22:23], null, v[20:21], v[20:21], 1.0
	s_delay_alu instid0(VALU_DEP_1) | instskip(SKIP_2) | instid1(VALU_DEP_1)
	v_rcp_f64_e32 v[40:41], v[22:23]
	s_waitcnt_depctr 0xfff
	v_fma_f64 v[42:43], -v[22:23], v[40:41], 1.0
	v_fma_f64 v[40:41], v[40:41], v[42:43], v[40:41]
	s_delay_alu instid0(VALU_DEP_1) | instskip(NEXT) | instid1(VALU_DEP_1)
	v_fma_f64 v[42:43], -v[22:23], v[40:41], 1.0
	v_fma_f64 v[40:41], v[40:41], v[42:43], v[40:41]
	v_div_scale_f64 v[42:43], vcc_lo, 1.0, v[20:21], 1.0
	s_delay_alu instid0(VALU_DEP_1) | instskip(NEXT) | instid1(VALU_DEP_1)
	v_mul_f64 v[44:45], v[42:43], v[40:41]
	v_fma_f64 v[22:23], -v[22:23], v[44:45], v[42:43]
	s_delay_alu instid0(VALU_DEP_1) | instskip(NEXT) | instid1(VALU_DEP_1)
	v_div_fmas_f64 v[22:23], v[22:23], v[40:41], v[44:45]
	v_div_fixup_f64 v[22:23], v[22:23], v[20:21], 1.0
	s_delay_alu instid0(VALU_DEP_1)
	v_mul_f64 v[20:21], v[38:39], v[22:23]
	v_xor_b32_e32 v23, 0x80000000, v23
.LBB8_28:
	s_and_not1_saveexec_b32 s2, s2
	s_cbranch_execz .LBB8_30
; %bb.29:
	s_delay_alu instid0(VALU_DEP_1) | instskip(SKIP_1) | instid1(VALU_DEP_2)
	v_div_scale_f64 v[38:39], null, v[20:21], v[20:21], v[22:23]
	v_div_scale_f64 v[44:45], vcc_lo, v[22:23], v[20:21], v[22:23]
	v_rcp_f64_e32 v[40:41], v[38:39]
	s_waitcnt_depctr 0xfff
	v_fma_f64 v[42:43], -v[38:39], v[40:41], 1.0
	s_delay_alu instid0(VALU_DEP_1) | instskip(NEXT) | instid1(VALU_DEP_1)
	v_fma_f64 v[40:41], v[40:41], v[42:43], v[40:41]
	v_fma_f64 v[42:43], -v[38:39], v[40:41], 1.0
	s_delay_alu instid0(VALU_DEP_1) | instskip(NEXT) | instid1(VALU_DEP_1)
	v_fma_f64 v[40:41], v[40:41], v[42:43], v[40:41]
	v_mul_f64 v[42:43], v[44:45], v[40:41]
	s_delay_alu instid0(VALU_DEP_1) | instskip(NEXT) | instid1(VALU_DEP_1)
	v_fma_f64 v[38:39], -v[38:39], v[42:43], v[44:45]
	v_div_fmas_f64 v[38:39], v[38:39], v[40:41], v[42:43]
	s_delay_alu instid0(VALU_DEP_1) | instskip(NEXT) | instid1(VALU_DEP_1)
	v_div_fixup_f64 v[38:39], v[38:39], v[20:21], v[22:23]
	v_fma_f64 v[20:21], v[22:23], v[38:39], v[20:21]
	s_delay_alu instid0(VALU_DEP_1) | instskip(NEXT) | instid1(VALU_DEP_1)
	v_div_scale_f64 v[22:23], null, v[20:21], v[20:21], 1.0
	v_rcp_f64_e32 v[40:41], v[22:23]
	s_waitcnt_depctr 0xfff
	v_fma_f64 v[42:43], -v[22:23], v[40:41], 1.0
	s_delay_alu instid0(VALU_DEP_1) | instskip(NEXT) | instid1(VALU_DEP_1)
	v_fma_f64 v[40:41], v[40:41], v[42:43], v[40:41]
	v_fma_f64 v[42:43], -v[22:23], v[40:41], 1.0
	s_delay_alu instid0(VALU_DEP_1) | instskip(SKIP_1) | instid1(VALU_DEP_1)
	v_fma_f64 v[40:41], v[40:41], v[42:43], v[40:41]
	v_div_scale_f64 v[42:43], vcc_lo, 1.0, v[20:21], 1.0
	v_mul_f64 v[44:45], v[42:43], v[40:41]
	s_delay_alu instid0(VALU_DEP_1) | instskip(NEXT) | instid1(VALU_DEP_1)
	v_fma_f64 v[22:23], -v[22:23], v[44:45], v[42:43]
	v_div_fmas_f64 v[22:23], v[22:23], v[40:41], v[44:45]
	s_delay_alu instid0(VALU_DEP_1) | instskip(NEXT) | instid1(VALU_DEP_1)
	v_div_fixup_f64 v[20:21], v[22:23], v[20:21], 1.0
	v_mul_f64 v[22:23], v[38:39], -v[20:21]
.LBB8_30:
	s_or_b32 exec_lo, exec_lo, s2
	v_mov_b32_e32 v34, v37
.LBB8_31:
	s_or_b32 exec_lo, exec_lo, s3
	s_delay_alu instid0(SALU_CYCLE_1)
	s_mov_b32 s2, exec_lo
	v_cmpx_ne_u32_e64 v36, v28
	s_xor_b32 s2, exec_lo, s2
	s_cbranch_execz .LBB8_37
; %bb.32:
	s_mov_b32 s3, exec_lo
	v_cmpx_eq_u32_e32 1, v36
	s_cbranch_execz .LBB8_36
; %bb.33:
	v_cmp_ne_u32_e32 vcc_lo, 1, v28
	s_xor_b32 s6, s4, -1
	s_delay_alu instid0(SALU_CYCLE_1) | instskip(NEXT) | instid1(SALU_CYCLE_1)
	s_and_b32 s7, s6, vcc_lo
	s_and_saveexec_b32 s6, s7
	s_cbranch_execz .LBB8_35
; %bb.34:
	v_ashrrev_i32_e32 v29, 31, v28
	s_delay_alu instid0(VALU_DEP_1) | instskip(NEXT) | instid1(VALU_DEP_1)
	v_lshlrev_b64 v[36:37], 2, v[28:29]
	v_add_co_u32 v36, vcc_lo, v26, v36
	s_delay_alu instid0(VALU_DEP_2)
	v_add_co_ci_u32_e32 v37, vcc_lo, v27, v37, vcc_lo
	s_clause 0x1
	flat_load_b32 v29, v[36:37]
	flat_load_b32 v33, v[26:27] offset:4
	s_waitcnt vmcnt(1) lgkmcnt(1)
	flat_store_b32 v[26:27], v29 offset:4
	s_waitcnt vmcnt(0) lgkmcnt(1)
	flat_store_b32 v[36:37], v33
.LBB8_35:
	s_or_b32 exec_lo, exec_lo, s6
	v_mov_b32_e32 v36, v28
	v_mov_b32_e32 v33, v28
.LBB8_36:
	s_or_b32 exec_lo, exec_lo, s3
.LBB8_37:
	s_and_not1_saveexec_b32 s2, s2
	s_cbranch_execz .LBB8_39
; %bb.38:
	v_mov_b32_e32 v36, 1
	ds_store_2addr_b64 v30, v[12:13], v[14:15] offset0:4 offset1:5
	ds_store_2addr_b64 v30, v[8:9], v[10:11] offset0:6 offset1:7
	;; [unrolled: 1-line block ×3, first 2 shown]
.LBB8_39:
	s_or_b32 exec_lo, exec_lo, s2
	s_delay_alu instid0(SALU_CYCLE_1)
	s_mov_b32 s2, exec_lo
	s_waitcnt lgkmcnt(0)
	s_waitcnt_vscnt null, 0x0
	s_barrier
	buffer_gl0_inv
	v_cmpx_lt_i32_e32 1, v36
	s_cbranch_execz .LBB8_41
; %bb.40:
	v_mul_f64 v[28:29], v[20:21], v[18:19]
	v_mul_f64 v[18:19], v[22:23], v[18:19]
	ds_load_2addr_b64 v[37:40], v30 offset0:4 offset1:5
	ds_load_2addr_b64 v[41:44], v30 offset0:6 offset1:7
	;; [unrolled: 1-line block ×3, first 2 shown]
	v_fma_f64 v[22:23], v[22:23], v[16:17], v[28:29]
	v_fma_f64 v[16:17], v[20:21], v[16:17], -v[18:19]
	s_waitcnt lgkmcnt(2)
	s_delay_alu instid0(VALU_DEP_2)
	v_mul_f64 v[18:19], v[39:40], v[22:23]
	v_mul_f64 v[20:21], v[37:38], v[22:23]
	s_waitcnt lgkmcnt(1)
	v_mul_f64 v[28:29], v[43:44], v[22:23]
	v_mul_f64 v[49:50], v[41:42], v[22:23]
	s_waitcnt lgkmcnt(0)
	v_mul_f64 v[51:52], v[47:48], v[22:23]
	v_mul_f64 v[53:54], v[45:46], v[22:23]
	v_fma_f64 v[18:19], v[37:38], v[16:17], -v[18:19]
	v_fma_f64 v[20:21], v[39:40], v[16:17], v[20:21]
	v_fma_f64 v[28:29], v[41:42], v[16:17], -v[28:29]
	v_fma_f64 v[37:38], v[43:44], v[16:17], v[49:50]
	;; [unrolled: 2-line block ×3, first 2 shown]
	v_add_f64 v[12:13], v[12:13], -v[18:19]
	v_add_f64 v[14:15], v[14:15], -v[20:21]
	;; [unrolled: 1-line block ×6, first 2 shown]
	v_dual_mov_b32 v18, v22 :: v_dual_mov_b32 v19, v23
.LBB8_41:
	s_or_b32 exec_lo, exec_lo, s2
	v_lshl_add_u32 v20, v36, 4, v30
	s_barrier
	buffer_gl0_inv
	v_mov_b32_e32 v28, 2
	ds_store_2addr_b64 v20, v[12:13], v[14:15] offset1:1
	s_waitcnt lgkmcnt(0)
	s_barrier
	buffer_gl0_inv
	ds_load_2addr_b64 v[20:23], v30 offset0:4 offset1:5
	s_cmp_lt_i32 s5, 4
	s_cbranch_scc1 .LBB8_44
; %bb.42:
	v_add3_u32 v29, v35, 0, 48
	v_mov_b32_e32 v28, 2
	s_mov_b32 s6, 3
	s_set_inst_prefetch_distance 0x1
	.p2align	6
.LBB8_43:                               ; =>This Inner Loop Header: Depth=1
	ds_load_2addr_b64 v[37:40], v29 offset1:1
	s_waitcnt lgkmcnt(1)
	v_cmp_gt_f64_e32 vcc_lo, 0, v[20:21]
	v_xor_b32_e32 v41, 0x80000000, v21
	v_cmp_gt_f64_e64 s2, 0, v[22:23]
	v_xor_b32_e32 v43, 0x80000000, v23
	v_add_nc_u32_e32 v29, 16, v29
	s_waitcnt lgkmcnt(0)
	v_cmp_gt_f64_e64 s3, 0, v[37:38]
	v_mov_b32_e32 v45, v37
	v_dual_mov_b32 v47, v39 :: v_dual_cndmask_b32 v42, v21, v41
	v_xor_b32_e32 v41, 0x80000000, v38
	v_cndmask_b32_e64 v44, v23, v43, s2
	v_xor_b32_e32 v43, 0x80000000, v40
	s_delay_alu instid0(VALU_DEP_3) | instskip(SKIP_2) | instid1(VALU_DEP_2)
	v_cndmask_b32_e64 v46, v38, v41, s3
	v_cmp_gt_f64_e64 s3, 0, v[39:40]
	v_cndmask_b32_e32 v41, v20, v20, vcc_lo
	v_cndmask_b32_e64 v48, v40, v43, s3
	v_cndmask_b32_e64 v43, v22, v22, s2
	s_delay_alu instid0(VALU_DEP_2) | instskip(NEXT) | instid1(VALU_DEP_2)
	v_add_f64 v[45:46], v[45:46], v[47:48]
	v_add_f64 v[41:42], v[41:42], v[43:44]
	s_delay_alu instid0(VALU_DEP_1) | instskip(SKIP_4) | instid1(SALU_CYCLE_1)
	v_cmp_lt_f64_e32 vcc_lo, v[41:42], v[45:46]
	v_dual_cndmask_b32 v22, v22, v39 :: v_dual_cndmask_b32 v21, v21, v38
	v_dual_cndmask_b32 v20, v20, v37 :: v_dual_cndmask_b32 v23, v23, v40
	v_cndmask_b32_e64 v28, v28, s6, vcc_lo
	s_add_i32 s6, s6, 1
	s_cmp_lg_u32 s5, s6
	s_cbranch_scc1 .LBB8_43
.LBB8_44:
	s_set_inst_prefetch_distance 0x2
	s_waitcnt lgkmcnt(0)
	v_cmp_eq_f64_e32 vcc_lo, 0, v[20:21]
	v_cmp_eq_f64_e64 s2, 0, v[22:23]
	s_delay_alu instid0(VALU_DEP_1) | instskip(NEXT) | instid1(SALU_CYCLE_1)
	s_and_b32 s2, vcc_lo, s2
	s_and_saveexec_b32 s3, s2
	s_delay_alu instid0(SALU_CYCLE_1)
	s_xor_b32 s2, exec_lo, s3
; %bb.45:
	v_cmp_ne_u32_e32 vcc_lo, 0, v34
	v_cndmask_b32_e32 v34, 3, v34, vcc_lo
; %bb.46:
	s_and_not1_saveexec_b32 s3, s2
	s_cbranch_execz .LBB8_52
; %bb.47:
	v_cmp_gt_f64_e32 vcc_lo, 0, v[20:21]
	v_cmp_gt_f64_e64 s2, 0, v[22:23]
	v_xor_b32_e32 v29, 0x80000000, v21
	v_xor_b32_e32 v37, 0x80000000, v23
	s_delay_alu instid0(VALU_DEP_2) | instskip(NEXT) | instid1(VALU_DEP_2)
	v_cndmask_b32_e32 v38, v21, v29, vcc_lo
	v_cndmask_b32_e64 v40, v23, v37, s2
	v_cndmask_b32_e32 v37, v20, v20, vcc_lo
	v_cndmask_b32_e64 v39, v22, v22, s2
	s_mov_b32 s2, exec_lo
	s_delay_alu instid0(VALU_DEP_1)
	v_cmpx_ngt_f64_e32 v[37:38], v[39:40]
	s_xor_b32 s2, exec_lo, s2
	s_cbranch_execz .LBB8_49
; %bb.48:
	v_div_scale_f64 v[37:38], null, v[22:23], v[22:23], v[20:21]
	v_div_scale_f64 v[43:44], vcc_lo, v[20:21], v[22:23], v[20:21]
	s_delay_alu instid0(VALU_DEP_2) | instskip(SKIP_2) | instid1(VALU_DEP_1)
	v_rcp_f64_e32 v[39:40], v[37:38]
	s_waitcnt_depctr 0xfff
	v_fma_f64 v[41:42], -v[37:38], v[39:40], 1.0
	v_fma_f64 v[39:40], v[39:40], v[41:42], v[39:40]
	s_delay_alu instid0(VALU_DEP_1) | instskip(NEXT) | instid1(VALU_DEP_1)
	v_fma_f64 v[41:42], -v[37:38], v[39:40], 1.0
	v_fma_f64 v[39:40], v[39:40], v[41:42], v[39:40]
	s_delay_alu instid0(VALU_DEP_1) | instskip(NEXT) | instid1(VALU_DEP_1)
	v_mul_f64 v[41:42], v[43:44], v[39:40]
	v_fma_f64 v[37:38], -v[37:38], v[41:42], v[43:44]
	s_delay_alu instid0(VALU_DEP_1) | instskip(NEXT) | instid1(VALU_DEP_1)
	v_div_fmas_f64 v[37:38], v[37:38], v[39:40], v[41:42]
	v_div_fixup_f64 v[37:38], v[37:38], v[22:23], v[20:21]
	s_delay_alu instid0(VALU_DEP_1) | instskip(NEXT) | instid1(VALU_DEP_1)
	v_fma_f64 v[20:21], v[20:21], v[37:38], v[22:23]
	v_div_scale_f64 v[22:23], null, v[20:21], v[20:21], 1.0
	s_delay_alu instid0(VALU_DEP_1) | instskip(SKIP_2) | instid1(VALU_DEP_1)
	v_rcp_f64_e32 v[39:40], v[22:23]
	s_waitcnt_depctr 0xfff
	v_fma_f64 v[41:42], -v[22:23], v[39:40], 1.0
	v_fma_f64 v[39:40], v[39:40], v[41:42], v[39:40]
	s_delay_alu instid0(VALU_DEP_1) | instskip(NEXT) | instid1(VALU_DEP_1)
	v_fma_f64 v[41:42], -v[22:23], v[39:40], 1.0
	v_fma_f64 v[39:40], v[39:40], v[41:42], v[39:40]
	v_div_scale_f64 v[41:42], vcc_lo, 1.0, v[20:21], 1.0
	s_delay_alu instid0(VALU_DEP_1) | instskip(NEXT) | instid1(VALU_DEP_1)
	v_mul_f64 v[43:44], v[41:42], v[39:40]
	v_fma_f64 v[22:23], -v[22:23], v[43:44], v[41:42]
	s_delay_alu instid0(VALU_DEP_1) | instskip(NEXT) | instid1(VALU_DEP_1)
	v_div_fmas_f64 v[22:23], v[22:23], v[39:40], v[43:44]
	v_div_fixup_f64 v[22:23], v[22:23], v[20:21], 1.0
	s_delay_alu instid0(VALU_DEP_1)
	v_mul_f64 v[20:21], v[37:38], v[22:23]
	v_xor_b32_e32 v23, 0x80000000, v23
.LBB8_49:
	s_and_not1_saveexec_b32 s2, s2
	s_cbranch_execz .LBB8_51
; %bb.50:
	s_delay_alu instid0(VALU_DEP_1) | instskip(SKIP_1) | instid1(VALU_DEP_2)
	v_div_scale_f64 v[37:38], null, v[20:21], v[20:21], v[22:23]
	v_div_scale_f64 v[43:44], vcc_lo, v[22:23], v[20:21], v[22:23]
	v_rcp_f64_e32 v[39:40], v[37:38]
	s_waitcnt_depctr 0xfff
	v_fma_f64 v[41:42], -v[37:38], v[39:40], 1.0
	s_delay_alu instid0(VALU_DEP_1) | instskip(NEXT) | instid1(VALU_DEP_1)
	v_fma_f64 v[39:40], v[39:40], v[41:42], v[39:40]
	v_fma_f64 v[41:42], -v[37:38], v[39:40], 1.0
	s_delay_alu instid0(VALU_DEP_1) | instskip(NEXT) | instid1(VALU_DEP_1)
	v_fma_f64 v[39:40], v[39:40], v[41:42], v[39:40]
	v_mul_f64 v[41:42], v[43:44], v[39:40]
	s_delay_alu instid0(VALU_DEP_1) | instskip(NEXT) | instid1(VALU_DEP_1)
	v_fma_f64 v[37:38], -v[37:38], v[41:42], v[43:44]
	v_div_fmas_f64 v[37:38], v[37:38], v[39:40], v[41:42]
	s_delay_alu instid0(VALU_DEP_1) | instskip(NEXT) | instid1(VALU_DEP_1)
	v_div_fixup_f64 v[37:38], v[37:38], v[20:21], v[22:23]
	v_fma_f64 v[20:21], v[22:23], v[37:38], v[20:21]
	s_delay_alu instid0(VALU_DEP_1) | instskip(NEXT) | instid1(VALU_DEP_1)
	v_div_scale_f64 v[22:23], null, v[20:21], v[20:21], 1.0
	v_rcp_f64_e32 v[39:40], v[22:23]
	s_waitcnt_depctr 0xfff
	v_fma_f64 v[41:42], -v[22:23], v[39:40], 1.0
	s_delay_alu instid0(VALU_DEP_1) | instskip(NEXT) | instid1(VALU_DEP_1)
	v_fma_f64 v[39:40], v[39:40], v[41:42], v[39:40]
	v_fma_f64 v[41:42], -v[22:23], v[39:40], 1.0
	s_delay_alu instid0(VALU_DEP_1) | instskip(SKIP_1) | instid1(VALU_DEP_1)
	v_fma_f64 v[39:40], v[39:40], v[41:42], v[39:40]
	v_div_scale_f64 v[41:42], vcc_lo, 1.0, v[20:21], 1.0
	v_mul_f64 v[43:44], v[41:42], v[39:40]
	s_delay_alu instid0(VALU_DEP_1) | instskip(NEXT) | instid1(VALU_DEP_1)
	v_fma_f64 v[22:23], -v[22:23], v[43:44], v[41:42]
	v_div_fmas_f64 v[22:23], v[22:23], v[39:40], v[43:44]
	s_delay_alu instid0(VALU_DEP_1) | instskip(NEXT) | instid1(VALU_DEP_1)
	v_div_fixup_f64 v[20:21], v[22:23], v[20:21], 1.0
	v_mul_f64 v[22:23], v[37:38], -v[20:21]
.LBB8_51:
	s_or_b32 exec_lo, exec_lo, s2
.LBB8_52:
	s_delay_alu instid0(SALU_CYCLE_1) | instskip(NEXT) | instid1(SALU_CYCLE_1)
	s_or_b32 exec_lo, exec_lo, s3
	s_mov_b32 s2, exec_lo
	v_cmpx_ne_u32_e64 v36, v28
	s_xor_b32 s2, exec_lo, s2
	s_cbranch_execz .LBB8_58
; %bb.53:
	s_mov_b32 s3, exec_lo
	v_cmpx_eq_u32_e32 2, v36
	s_cbranch_execz .LBB8_57
; %bb.54:
	v_cmp_ne_u32_e32 vcc_lo, 2, v28
	s_xor_b32 s6, s4, -1
	s_delay_alu instid0(SALU_CYCLE_1) | instskip(NEXT) | instid1(SALU_CYCLE_1)
	s_and_b32 s7, s6, vcc_lo
	s_and_saveexec_b32 s6, s7
	s_cbranch_execz .LBB8_56
; %bb.55:
	v_ashrrev_i32_e32 v29, 31, v28
	s_delay_alu instid0(VALU_DEP_1) | instskip(NEXT) | instid1(VALU_DEP_1)
	v_lshlrev_b64 v[36:37], 2, v[28:29]
	v_add_co_u32 v36, vcc_lo, v26, v36
	s_delay_alu instid0(VALU_DEP_2)
	v_add_co_ci_u32_e32 v37, vcc_lo, v27, v37, vcc_lo
	s_clause 0x1
	flat_load_b32 v29, v[36:37]
	flat_load_b32 v33, v[26:27] offset:8
	s_waitcnt vmcnt(1) lgkmcnt(1)
	flat_store_b32 v[26:27], v29 offset:8
	s_waitcnt vmcnt(0) lgkmcnt(1)
	flat_store_b32 v[36:37], v33
.LBB8_56:
	s_or_b32 exec_lo, exec_lo, s6
	v_mov_b32_e32 v36, v28
	v_mov_b32_e32 v33, v28
.LBB8_57:
	s_or_b32 exec_lo, exec_lo, s3
.LBB8_58:
	s_and_not1_saveexec_b32 s2, s2
	s_cbranch_execz .LBB8_60
; %bb.59:
	v_mov_b32_e32 v36, 2
	ds_store_2addr_b64 v30, v[8:9], v[10:11] offset0:6 offset1:7
	ds_store_2addr_b64 v30, v[4:5], v[6:7] offset0:8 offset1:9
.LBB8_60:
	s_or_b32 exec_lo, exec_lo, s2
	s_delay_alu instid0(SALU_CYCLE_1)
	s_mov_b32 s2, exec_lo
	s_waitcnt lgkmcnt(0)
	s_waitcnt_vscnt null, 0x0
	s_barrier
	buffer_gl0_inv
	v_cmpx_lt_i32_e32 2, v36
	s_cbranch_execz .LBB8_62
; %bb.61:
	v_mul_f64 v[28:29], v[20:21], v[14:15]
	v_mul_f64 v[14:15], v[22:23], v[14:15]
	ds_load_2addr_b64 v[37:40], v30 offset0:6 offset1:7
	ds_load_2addr_b64 v[41:44], v30 offset0:8 offset1:9
	v_fma_f64 v[22:23], v[22:23], v[12:13], v[28:29]
	v_fma_f64 v[12:13], v[20:21], v[12:13], -v[14:15]
	s_waitcnt lgkmcnt(1)
	s_delay_alu instid0(VALU_DEP_2) | instskip(SKIP_4) | instid1(VALU_DEP_4)
	v_mul_f64 v[14:15], v[39:40], v[22:23]
	v_mul_f64 v[20:21], v[37:38], v[22:23]
	s_waitcnt lgkmcnt(0)
	v_mul_f64 v[28:29], v[43:44], v[22:23]
	v_mul_f64 v[45:46], v[41:42], v[22:23]
	v_fma_f64 v[14:15], v[37:38], v[12:13], -v[14:15]
	s_delay_alu instid0(VALU_DEP_4) | instskip(NEXT) | instid1(VALU_DEP_4)
	v_fma_f64 v[20:21], v[39:40], v[12:13], v[20:21]
	v_fma_f64 v[28:29], v[41:42], v[12:13], -v[28:29]
	s_delay_alu instid0(VALU_DEP_4) | instskip(NEXT) | instid1(VALU_DEP_4)
	v_fma_f64 v[37:38], v[43:44], v[12:13], v[45:46]
	v_add_f64 v[8:9], v[8:9], -v[14:15]
	s_delay_alu instid0(VALU_DEP_4) | instskip(NEXT) | instid1(VALU_DEP_4)
	v_add_f64 v[10:11], v[10:11], -v[20:21]
	v_add_f64 v[4:5], v[4:5], -v[28:29]
	s_delay_alu instid0(VALU_DEP_4)
	v_add_f64 v[6:7], v[6:7], -v[37:38]
	v_dual_mov_b32 v14, v22 :: v_dual_mov_b32 v15, v23
.LBB8_62:
	s_or_b32 exec_lo, exec_lo, s2
	v_lshl_add_u32 v20, v36, 4, v30
	s_barrier
	buffer_gl0_inv
	v_mov_b32_e32 v28, 3
	ds_store_2addr_b64 v20, v[8:9], v[10:11] offset1:1
	s_waitcnt lgkmcnt(0)
	s_barrier
	buffer_gl0_inv
	ds_load_2addr_b64 v[20:23], v30 offset0:6 offset1:7
	s_cmp_lt_i32 s5, 5
	s_mov_b32 s6, 4
	s_cbranch_scc1 .LBB8_65
; %bb.63:
	v_add3_u32 v29, v35, 0, 64
	v_mov_b32_e32 v28, 3
	s_set_inst_prefetch_distance 0x1
	.p2align	6
.LBB8_64:                               ; =>This Inner Loop Header: Depth=1
	ds_load_2addr_b64 v[37:40], v29 offset1:1
	s_waitcnt lgkmcnt(1)
	v_cmp_gt_f64_e32 vcc_lo, 0, v[20:21]
	v_xor_b32_e32 v41, 0x80000000, v21
	v_cmp_gt_f64_e64 s2, 0, v[22:23]
	v_xor_b32_e32 v43, 0x80000000, v23
	v_add_nc_u32_e32 v29, 16, v29
	s_waitcnt lgkmcnt(0)
	v_cmp_gt_f64_e64 s3, 0, v[37:38]
	v_mov_b32_e32 v45, v37
	v_dual_mov_b32 v47, v39 :: v_dual_cndmask_b32 v42, v21, v41
	v_xor_b32_e32 v41, 0x80000000, v38
	v_cndmask_b32_e64 v44, v23, v43, s2
	v_xor_b32_e32 v43, 0x80000000, v40
	s_delay_alu instid0(VALU_DEP_3) | instskip(SKIP_2) | instid1(VALU_DEP_2)
	v_cndmask_b32_e64 v46, v38, v41, s3
	v_cmp_gt_f64_e64 s3, 0, v[39:40]
	v_cndmask_b32_e32 v41, v20, v20, vcc_lo
	v_cndmask_b32_e64 v48, v40, v43, s3
	v_cndmask_b32_e64 v43, v22, v22, s2
	s_delay_alu instid0(VALU_DEP_2) | instskip(NEXT) | instid1(VALU_DEP_2)
	v_add_f64 v[45:46], v[45:46], v[47:48]
	v_add_f64 v[41:42], v[41:42], v[43:44]
	s_delay_alu instid0(VALU_DEP_1) | instskip(SKIP_4) | instid1(SALU_CYCLE_1)
	v_cmp_lt_f64_e32 vcc_lo, v[41:42], v[45:46]
	v_dual_cndmask_b32 v22, v22, v39 :: v_dual_cndmask_b32 v21, v21, v38
	v_dual_cndmask_b32 v20, v20, v37 :: v_dual_cndmask_b32 v23, v23, v40
	v_cndmask_b32_e64 v28, v28, s6, vcc_lo
	s_add_i32 s6, s6, 1
	s_cmp_lg_u32 s5, s6
	s_cbranch_scc1 .LBB8_64
.LBB8_65:
	s_set_inst_prefetch_distance 0x2
	s_waitcnt lgkmcnt(0)
	v_cmp_eq_f64_e32 vcc_lo, 0, v[20:21]
	v_cmp_eq_f64_e64 s2, 0, v[22:23]
	s_delay_alu instid0(VALU_DEP_1) | instskip(NEXT) | instid1(SALU_CYCLE_1)
	s_and_b32 s2, vcc_lo, s2
	s_and_saveexec_b32 s3, s2
	s_delay_alu instid0(SALU_CYCLE_1)
	s_xor_b32 s2, exec_lo, s3
; %bb.66:
	v_cmp_ne_u32_e32 vcc_lo, 0, v34
	v_cndmask_b32_e32 v34, 4, v34, vcc_lo
; %bb.67:
	s_and_not1_saveexec_b32 s3, s2
	s_cbranch_execz .LBB8_73
; %bb.68:
	v_cmp_gt_f64_e32 vcc_lo, 0, v[20:21]
	v_cmp_gt_f64_e64 s2, 0, v[22:23]
	v_xor_b32_e32 v29, 0x80000000, v21
	v_xor_b32_e32 v37, 0x80000000, v23
	s_delay_alu instid0(VALU_DEP_2) | instskip(NEXT) | instid1(VALU_DEP_2)
	v_cndmask_b32_e32 v38, v21, v29, vcc_lo
	v_cndmask_b32_e64 v40, v23, v37, s2
	v_cndmask_b32_e32 v37, v20, v20, vcc_lo
	v_cndmask_b32_e64 v39, v22, v22, s2
	s_mov_b32 s2, exec_lo
	s_delay_alu instid0(VALU_DEP_1)
	v_cmpx_ngt_f64_e32 v[37:38], v[39:40]
	s_xor_b32 s2, exec_lo, s2
	s_cbranch_execz .LBB8_70
; %bb.69:
	v_div_scale_f64 v[37:38], null, v[22:23], v[22:23], v[20:21]
	v_div_scale_f64 v[43:44], vcc_lo, v[20:21], v[22:23], v[20:21]
	s_delay_alu instid0(VALU_DEP_2) | instskip(SKIP_2) | instid1(VALU_DEP_1)
	v_rcp_f64_e32 v[39:40], v[37:38]
	s_waitcnt_depctr 0xfff
	v_fma_f64 v[41:42], -v[37:38], v[39:40], 1.0
	v_fma_f64 v[39:40], v[39:40], v[41:42], v[39:40]
	s_delay_alu instid0(VALU_DEP_1) | instskip(NEXT) | instid1(VALU_DEP_1)
	v_fma_f64 v[41:42], -v[37:38], v[39:40], 1.0
	v_fma_f64 v[39:40], v[39:40], v[41:42], v[39:40]
	s_delay_alu instid0(VALU_DEP_1) | instskip(NEXT) | instid1(VALU_DEP_1)
	v_mul_f64 v[41:42], v[43:44], v[39:40]
	v_fma_f64 v[37:38], -v[37:38], v[41:42], v[43:44]
	s_delay_alu instid0(VALU_DEP_1) | instskip(NEXT) | instid1(VALU_DEP_1)
	v_div_fmas_f64 v[37:38], v[37:38], v[39:40], v[41:42]
	v_div_fixup_f64 v[37:38], v[37:38], v[22:23], v[20:21]
	s_delay_alu instid0(VALU_DEP_1) | instskip(NEXT) | instid1(VALU_DEP_1)
	v_fma_f64 v[20:21], v[20:21], v[37:38], v[22:23]
	v_div_scale_f64 v[22:23], null, v[20:21], v[20:21], 1.0
	s_delay_alu instid0(VALU_DEP_1) | instskip(SKIP_2) | instid1(VALU_DEP_1)
	v_rcp_f64_e32 v[39:40], v[22:23]
	s_waitcnt_depctr 0xfff
	v_fma_f64 v[41:42], -v[22:23], v[39:40], 1.0
	v_fma_f64 v[39:40], v[39:40], v[41:42], v[39:40]
	s_delay_alu instid0(VALU_DEP_1) | instskip(NEXT) | instid1(VALU_DEP_1)
	v_fma_f64 v[41:42], -v[22:23], v[39:40], 1.0
	v_fma_f64 v[39:40], v[39:40], v[41:42], v[39:40]
	v_div_scale_f64 v[41:42], vcc_lo, 1.0, v[20:21], 1.0
	s_delay_alu instid0(VALU_DEP_1) | instskip(NEXT) | instid1(VALU_DEP_1)
	v_mul_f64 v[43:44], v[41:42], v[39:40]
	v_fma_f64 v[22:23], -v[22:23], v[43:44], v[41:42]
	s_delay_alu instid0(VALU_DEP_1) | instskip(NEXT) | instid1(VALU_DEP_1)
	v_div_fmas_f64 v[22:23], v[22:23], v[39:40], v[43:44]
	v_div_fixup_f64 v[22:23], v[22:23], v[20:21], 1.0
	s_delay_alu instid0(VALU_DEP_1)
	v_mul_f64 v[20:21], v[37:38], v[22:23]
	v_xor_b32_e32 v23, 0x80000000, v23
.LBB8_70:
	s_and_not1_saveexec_b32 s2, s2
	s_cbranch_execz .LBB8_72
; %bb.71:
	s_delay_alu instid0(VALU_DEP_1) | instskip(SKIP_1) | instid1(VALU_DEP_2)
	v_div_scale_f64 v[37:38], null, v[20:21], v[20:21], v[22:23]
	v_div_scale_f64 v[43:44], vcc_lo, v[22:23], v[20:21], v[22:23]
	v_rcp_f64_e32 v[39:40], v[37:38]
	s_waitcnt_depctr 0xfff
	v_fma_f64 v[41:42], -v[37:38], v[39:40], 1.0
	s_delay_alu instid0(VALU_DEP_1) | instskip(NEXT) | instid1(VALU_DEP_1)
	v_fma_f64 v[39:40], v[39:40], v[41:42], v[39:40]
	v_fma_f64 v[41:42], -v[37:38], v[39:40], 1.0
	s_delay_alu instid0(VALU_DEP_1) | instskip(NEXT) | instid1(VALU_DEP_1)
	v_fma_f64 v[39:40], v[39:40], v[41:42], v[39:40]
	v_mul_f64 v[41:42], v[43:44], v[39:40]
	s_delay_alu instid0(VALU_DEP_1) | instskip(NEXT) | instid1(VALU_DEP_1)
	v_fma_f64 v[37:38], -v[37:38], v[41:42], v[43:44]
	v_div_fmas_f64 v[37:38], v[37:38], v[39:40], v[41:42]
	s_delay_alu instid0(VALU_DEP_1) | instskip(NEXT) | instid1(VALU_DEP_1)
	v_div_fixup_f64 v[37:38], v[37:38], v[20:21], v[22:23]
	v_fma_f64 v[20:21], v[22:23], v[37:38], v[20:21]
	s_delay_alu instid0(VALU_DEP_1) | instskip(NEXT) | instid1(VALU_DEP_1)
	v_div_scale_f64 v[22:23], null, v[20:21], v[20:21], 1.0
	v_rcp_f64_e32 v[39:40], v[22:23]
	s_waitcnt_depctr 0xfff
	v_fma_f64 v[41:42], -v[22:23], v[39:40], 1.0
	s_delay_alu instid0(VALU_DEP_1) | instskip(NEXT) | instid1(VALU_DEP_1)
	v_fma_f64 v[39:40], v[39:40], v[41:42], v[39:40]
	v_fma_f64 v[41:42], -v[22:23], v[39:40], 1.0
	s_delay_alu instid0(VALU_DEP_1) | instskip(SKIP_1) | instid1(VALU_DEP_1)
	v_fma_f64 v[39:40], v[39:40], v[41:42], v[39:40]
	v_div_scale_f64 v[41:42], vcc_lo, 1.0, v[20:21], 1.0
	v_mul_f64 v[43:44], v[41:42], v[39:40]
	s_delay_alu instid0(VALU_DEP_1) | instskip(NEXT) | instid1(VALU_DEP_1)
	v_fma_f64 v[22:23], -v[22:23], v[43:44], v[41:42]
	v_div_fmas_f64 v[22:23], v[22:23], v[39:40], v[43:44]
	s_delay_alu instid0(VALU_DEP_1) | instskip(NEXT) | instid1(VALU_DEP_1)
	v_div_fixup_f64 v[20:21], v[22:23], v[20:21], 1.0
	v_mul_f64 v[22:23], v[37:38], -v[20:21]
.LBB8_72:
	s_or_b32 exec_lo, exec_lo, s2
.LBB8_73:
	s_delay_alu instid0(SALU_CYCLE_1) | instskip(NEXT) | instid1(SALU_CYCLE_1)
	s_or_b32 exec_lo, exec_lo, s3
	s_mov_b32 s2, exec_lo
	v_cmpx_ne_u32_e64 v36, v28
	s_xor_b32 s2, exec_lo, s2
	s_cbranch_execz .LBB8_79
; %bb.74:
	s_mov_b32 s3, exec_lo
	v_cmpx_eq_u32_e32 3, v36
	s_cbranch_execz .LBB8_78
; %bb.75:
	v_cmp_ne_u32_e32 vcc_lo, 3, v28
	s_xor_b32 s6, s4, -1
	s_delay_alu instid0(SALU_CYCLE_1) | instskip(NEXT) | instid1(SALU_CYCLE_1)
	s_and_b32 s7, s6, vcc_lo
	s_and_saveexec_b32 s6, s7
	s_cbranch_execz .LBB8_77
; %bb.76:
	v_ashrrev_i32_e32 v29, 31, v28
	s_delay_alu instid0(VALU_DEP_1) | instskip(NEXT) | instid1(VALU_DEP_1)
	v_lshlrev_b64 v[36:37], 2, v[28:29]
	v_add_co_u32 v36, vcc_lo, v26, v36
	s_delay_alu instid0(VALU_DEP_2)
	v_add_co_ci_u32_e32 v37, vcc_lo, v27, v37, vcc_lo
	s_clause 0x1
	flat_load_b32 v29, v[36:37]
	flat_load_b32 v33, v[26:27] offset:12
	s_waitcnt vmcnt(1) lgkmcnt(1)
	flat_store_b32 v[26:27], v29 offset:12
	s_waitcnt vmcnt(0) lgkmcnt(1)
	flat_store_b32 v[36:37], v33
.LBB8_77:
	s_or_b32 exec_lo, exec_lo, s6
	v_mov_b32_e32 v36, v28
	v_mov_b32_e32 v33, v28
.LBB8_78:
	s_or_b32 exec_lo, exec_lo, s3
.LBB8_79:
	s_and_not1_saveexec_b32 s2, s2
	s_cbranch_execz .LBB8_81
; %bb.80:
	v_mov_b32_e32 v36, 3
	ds_store_2addr_b64 v30, v[4:5], v[6:7] offset0:8 offset1:9
.LBB8_81:
	s_or_b32 exec_lo, exec_lo, s2
	s_delay_alu instid0(SALU_CYCLE_1)
	s_mov_b32 s2, exec_lo
	s_waitcnt lgkmcnt(0)
	s_waitcnt_vscnt null, 0x0
	s_barrier
	buffer_gl0_inv
	v_cmpx_lt_i32_e32 3, v36
	s_cbranch_execz .LBB8_83
; %bb.82:
	v_mul_f64 v[28:29], v[20:21], v[10:11]
	v_mul_f64 v[10:11], v[22:23], v[10:11]
	ds_load_2addr_b64 v[37:40], v30 offset0:8 offset1:9
	v_fma_f64 v[22:23], v[22:23], v[8:9], v[28:29]
	v_fma_f64 v[8:9], v[20:21], v[8:9], -v[10:11]
	s_waitcnt lgkmcnt(0)
	s_delay_alu instid0(VALU_DEP_2) | instskip(SKIP_1) | instid1(VALU_DEP_2)
	v_mul_f64 v[10:11], v[39:40], v[22:23]
	v_mul_f64 v[20:21], v[37:38], v[22:23]
	v_fma_f64 v[10:11], v[37:38], v[8:9], -v[10:11]
	s_delay_alu instid0(VALU_DEP_2) | instskip(NEXT) | instid1(VALU_DEP_2)
	v_fma_f64 v[20:21], v[39:40], v[8:9], v[20:21]
	v_add_f64 v[4:5], v[4:5], -v[10:11]
	s_delay_alu instid0(VALU_DEP_2)
	v_add_f64 v[6:7], v[6:7], -v[20:21]
	v_dual_mov_b32 v10, v22 :: v_dual_mov_b32 v11, v23
.LBB8_83:
	s_or_b32 exec_lo, exec_lo, s2
	v_lshl_add_u32 v20, v36, 4, v30
	s_barrier
	buffer_gl0_inv
	v_mov_b32_e32 v28, 4
	ds_store_2addr_b64 v20, v[4:5], v[6:7] offset1:1
	s_waitcnt lgkmcnt(0)
	s_barrier
	buffer_gl0_inv
	ds_load_2addr_b64 v[20:23], v30 offset0:8 offset1:9
	s_cmp_lt_i32 s5, 6
	s_cbranch_scc1 .LBB8_86
; %bb.84:
	v_add3_u32 v29, v35, 0, 0x50
	v_mov_b32_e32 v28, 4
	s_mov_b32 s6, 5
	s_set_inst_prefetch_distance 0x1
	.p2align	6
.LBB8_85:                               ; =>This Inner Loop Header: Depth=1
	ds_load_2addr_b64 v[37:40], v29 offset1:1
	s_waitcnt lgkmcnt(1)
	v_cmp_gt_f64_e32 vcc_lo, 0, v[20:21]
	v_xor_b32_e32 v30, 0x80000000, v21
	v_cmp_gt_f64_e64 s2, 0, v[22:23]
	v_xor_b32_e32 v35, 0x80000000, v23
	v_add_nc_u32_e32 v29, 16, v29
	s_waitcnt lgkmcnt(0)
	v_cmp_gt_f64_e64 s3, 0, v[37:38]
	v_mov_b32_e32 v45, v37
	v_dual_mov_b32 v47, v39 :: v_dual_cndmask_b32 v42, v21, v30
	v_xor_b32_e32 v30, 0x80000000, v38
	v_cndmask_b32_e64 v44, v23, v35, s2
	v_xor_b32_e32 v35, 0x80000000, v40
	v_cndmask_b32_e32 v41, v20, v20, vcc_lo
	v_cndmask_b32_e64 v43, v22, v22, s2
	s_delay_alu instid0(VALU_DEP_1) | instskip(SKIP_2) | instid1(VALU_DEP_1)
	v_add_f64 v[41:42], v[41:42], v[43:44]
	v_cndmask_b32_e64 v46, v38, v30, s3
	v_cmp_gt_f64_e64 s3, 0, v[39:40]
	v_cndmask_b32_e64 v48, v40, v35, s3
	s_delay_alu instid0(VALU_DEP_1) | instskip(NEXT) | instid1(VALU_DEP_1)
	v_add_f64 v[45:46], v[45:46], v[47:48]
	v_cmp_lt_f64_e32 vcc_lo, v[41:42], v[45:46]
	v_dual_cndmask_b32 v22, v22, v39 :: v_dual_cndmask_b32 v21, v21, v38
	v_dual_cndmask_b32 v20, v20, v37 :: v_dual_cndmask_b32 v23, v23, v40
	v_cndmask_b32_e64 v28, v28, s6, vcc_lo
	s_add_i32 s6, s6, 1
	s_delay_alu instid0(SALU_CYCLE_1)
	s_cmp_lg_u32 s5, s6
	s_cbranch_scc1 .LBB8_85
.LBB8_86:
	s_set_inst_prefetch_distance 0x2
	s_waitcnt lgkmcnt(0)
	v_cmp_eq_f64_e32 vcc_lo, 0, v[20:21]
	v_cmp_eq_f64_e64 s2, 0, v[22:23]
	s_delay_alu instid0(VALU_DEP_1) | instskip(NEXT) | instid1(SALU_CYCLE_1)
	s_and_b32 s2, vcc_lo, s2
	s_and_saveexec_b32 s3, s2
	s_delay_alu instid0(SALU_CYCLE_1)
	s_xor_b32 s2, exec_lo, s3
; %bb.87:
	v_cmp_ne_u32_e32 vcc_lo, 0, v34
	v_cndmask_b32_e32 v34, 5, v34, vcc_lo
; %bb.88:
	s_and_not1_saveexec_b32 s3, s2
	s_cbranch_execz .LBB8_94
; %bb.89:
	v_cmp_gt_f64_e32 vcc_lo, 0, v[20:21]
	v_cmp_gt_f64_e64 s2, 0, v[22:23]
	v_xor_b32_e32 v29, 0x80000000, v21
	v_xor_b32_e32 v35, 0x80000000, v23
	s_delay_alu instid0(VALU_DEP_2) | instskip(NEXT) | instid1(VALU_DEP_2)
	v_dual_cndmask_b32 v30, v21, v29 :: v_dual_cndmask_b32 v29, v20, v20
	v_cndmask_b32_e64 v38, v23, v35, s2
	v_cndmask_b32_e64 v37, v22, v22, s2
	s_mov_b32 s2, exec_lo
	s_delay_alu instid0(VALU_DEP_1)
	v_cmpx_ngt_f64_e32 v[29:30], v[37:38]
	s_xor_b32 s2, exec_lo, s2
	s_cbranch_execz .LBB8_91
; %bb.90:
	v_div_scale_f64 v[29:30], null, v[22:23], v[22:23], v[20:21]
	v_div_scale_f64 v[41:42], vcc_lo, v[20:21], v[22:23], v[20:21]
	s_delay_alu instid0(VALU_DEP_2) | instskip(SKIP_2) | instid1(VALU_DEP_1)
	v_rcp_f64_e32 v[37:38], v[29:30]
	s_waitcnt_depctr 0xfff
	v_fma_f64 v[39:40], -v[29:30], v[37:38], 1.0
	v_fma_f64 v[37:38], v[37:38], v[39:40], v[37:38]
	s_delay_alu instid0(VALU_DEP_1) | instskip(NEXT) | instid1(VALU_DEP_1)
	v_fma_f64 v[39:40], -v[29:30], v[37:38], 1.0
	v_fma_f64 v[37:38], v[37:38], v[39:40], v[37:38]
	s_delay_alu instid0(VALU_DEP_1) | instskip(NEXT) | instid1(VALU_DEP_1)
	v_mul_f64 v[39:40], v[41:42], v[37:38]
	v_fma_f64 v[29:30], -v[29:30], v[39:40], v[41:42]
	s_delay_alu instid0(VALU_DEP_1) | instskip(NEXT) | instid1(VALU_DEP_1)
	v_div_fmas_f64 v[29:30], v[29:30], v[37:38], v[39:40]
	v_div_fixup_f64 v[29:30], v[29:30], v[22:23], v[20:21]
	s_delay_alu instid0(VALU_DEP_1) | instskip(NEXT) | instid1(VALU_DEP_1)
	v_fma_f64 v[20:21], v[20:21], v[29:30], v[22:23]
	v_div_scale_f64 v[22:23], null, v[20:21], v[20:21], 1.0
	s_delay_alu instid0(VALU_DEP_1) | instskip(SKIP_2) | instid1(VALU_DEP_1)
	v_rcp_f64_e32 v[37:38], v[22:23]
	s_waitcnt_depctr 0xfff
	v_fma_f64 v[39:40], -v[22:23], v[37:38], 1.0
	v_fma_f64 v[37:38], v[37:38], v[39:40], v[37:38]
	s_delay_alu instid0(VALU_DEP_1) | instskip(NEXT) | instid1(VALU_DEP_1)
	v_fma_f64 v[39:40], -v[22:23], v[37:38], 1.0
	v_fma_f64 v[37:38], v[37:38], v[39:40], v[37:38]
	v_div_scale_f64 v[39:40], vcc_lo, 1.0, v[20:21], 1.0
	s_delay_alu instid0(VALU_DEP_1) | instskip(NEXT) | instid1(VALU_DEP_1)
	v_mul_f64 v[41:42], v[39:40], v[37:38]
	v_fma_f64 v[22:23], -v[22:23], v[41:42], v[39:40]
	s_delay_alu instid0(VALU_DEP_1) | instskip(NEXT) | instid1(VALU_DEP_1)
	v_div_fmas_f64 v[22:23], v[22:23], v[37:38], v[41:42]
	v_div_fixup_f64 v[22:23], v[22:23], v[20:21], 1.0
	s_delay_alu instid0(VALU_DEP_1)
	v_mul_f64 v[20:21], v[29:30], v[22:23]
	v_xor_b32_e32 v23, 0x80000000, v23
.LBB8_91:
	s_and_not1_saveexec_b32 s2, s2
	s_cbranch_execz .LBB8_93
; %bb.92:
	s_delay_alu instid0(VALU_DEP_1) | instskip(SKIP_1) | instid1(VALU_DEP_2)
	v_div_scale_f64 v[29:30], null, v[20:21], v[20:21], v[22:23]
	v_div_scale_f64 v[41:42], vcc_lo, v[22:23], v[20:21], v[22:23]
	v_rcp_f64_e32 v[37:38], v[29:30]
	s_waitcnt_depctr 0xfff
	v_fma_f64 v[39:40], -v[29:30], v[37:38], 1.0
	s_delay_alu instid0(VALU_DEP_1) | instskip(NEXT) | instid1(VALU_DEP_1)
	v_fma_f64 v[37:38], v[37:38], v[39:40], v[37:38]
	v_fma_f64 v[39:40], -v[29:30], v[37:38], 1.0
	s_delay_alu instid0(VALU_DEP_1) | instskip(NEXT) | instid1(VALU_DEP_1)
	v_fma_f64 v[37:38], v[37:38], v[39:40], v[37:38]
	v_mul_f64 v[39:40], v[41:42], v[37:38]
	s_delay_alu instid0(VALU_DEP_1) | instskip(NEXT) | instid1(VALU_DEP_1)
	v_fma_f64 v[29:30], -v[29:30], v[39:40], v[41:42]
	v_div_fmas_f64 v[29:30], v[29:30], v[37:38], v[39:40]
	s_delay_alu instid0(VALU_DEP_1) | instskip(NEXT) | instid1(VALU_DEP_1)
	v_div_fixup_f64 v[29:30], v[29:30], v[20:21], v[22:23]
	v_fma_f64 v[20:21], v[22:23], v[29:30], v[20:21]
	s_delay_alu instid0(VALU_DEP_1) | instskip(NEXT) | instid1(VALU_DEP_1)
	v_div_scale_f64 v[22:23], null, v[20:21], v[20:21], 1.0
	v_rcp_f64_e32 v[37:38], v[22:23]
	s_waitcnt_depctr 0xfff
	v_fma_f64 v[39:40], -v[22:23], v[37:38], 1.0
	s_delay_alu instid0(VALU_DEP_1) | instskip(NEXT) | instid1(VALU_DEP_1)
	v_fma_f64 v[37:38], v[37:38], v[39:40], v[37:38]
	v_fma_f64 v[39:40], -v[22:23], v[37:38], 1.0
	s_delay_alu instid0(VALU_DEP_1) | instskip(SKIP_1) | instid1(VALU_DEP_1)
	v_fma_f64 v[37:38], v[37:38], v[39:40], v[37:38]
	v_div_scale_f64 v[39:40], vcc_lo, 1.0, v[20:21], 1.0
	v_mul_f64 v[41:42], v[39:40], v[37:38]
	s_delay_alu instid0(VALU_DEP_1) | instskip(NEXT) | instid1(VALU_DEP_1)
	v_fma_f64 v[22:23], -v[22:23], v[41:42], v[39:40]
	v_div_fmas_f64 v[22:23], v[22:23], v[37:38], v[41:42]
	s_delay_alu instid0(VALU_DEP_1) | instskip(NEXT) | instid1(VALU_DEP_1)
	v_div_fixup_f64 v[20:21], v[22:23], v[20:21], 1.0
	v_mul_f64 v[22:23], v[29:30], -v[20:21]
.LBB8_93:
	s_or_b32 exec_lo, exec_lo, s2
.LBB8_94:
	s_delay_alu instid0(SALU_CYCLE_1)
	s_or_b32 exec_lo, exec_lo, s3
	v_mov_b32_e32 v29, 4
	s_mov_b32 s2, exec_lo
	v_cmpx_ne_u32_e64 v36, v28
	s_cbranch_execz .LBB8_100
; %bb.95:
	s_mov_b32 s3, exec_lo
	v_cmpx_eq_u32_e32 4, v36
	s_cbranch_execz .LBB8_99
; %bb.96:
	v_cmp_ne_u32_e32 vcc_lo, 4, v28
	s_xor_b32 s4, s4, -1
	s_delay_alu instid0(SALU_CYCLE_1) | instskip(NEXT) | instid1(SALU_CYCLE_1)
	s_and_b32 s5, s4, vcc_lo
	s_and_saveexec_b32 s4, s5
	s_cbranch_execz .LBB8_98
; %bb.97:
	v_ashrrev_i32_e32 v29, 31, v28
	s_delay_alu instid0(VALU_DEP_1) | instskip(NEXT) | instid1(VALU_DEP_1)
	v_lshlrev_b64 v[29:30], 2, v[28:29]
	v_add_co_u32 v29, vcc_lo, v26, v29
	s_delay_alu instid0(VALU_DEP_2)
	v_add_co_ci_u32_e32 v30, vcc_lo, v27, v30, vcc_lo
	s_clause 0x1
	flat_load_b32 v33, v[29:30]
	flat_load_b32 v35, v[26:27] offset:16
	s_waitcnt vmcnt(1) lgkmcnt(1)
	flat_store_b32 v[26:27], v33 offset:16
	s_waitcnt vmcnt(0) lgkmcnt(1)
	flat_store_b32 v[29:30], v35
.LBB8_98:
	s_or_b32 exec_lo, exec_lo, s4
	v_mov_b32_e32 v36, v28
	v_mov_b32_e32 v33, v28
.LBB8_99:
	s_or_b32 exec_lo, exec_lo, s3
	s_delay_alu instid0(VALU_DEP_2)
	v_mov_b32_e32 v29, v36
.LBB8_100:
	s_or_b32 exec_lo, exec_lo, s2
	s_delay_alu instid0(SALU_CYCLE_1)
	s_mov_b32 s2, exec_lo
	s_waitcnt lgkmcnt(0)
	s_waitcnt_vscnt null, 0x0
	s_barrier
	buffer_gl0_inv
	v_cmpx_lt_i32_e32 4, v29
; %bb.101:
	v_mul_f64 v[26:27], v[22:23], v[6:7]
	v_mul_f64 v[6:7], v[20:21], v[6:7]
	s_delay_alu instid0(VALU_DEP_2) | instskip(NEXT) | instid1(VALU_DEP_2)
	v_fma_f64 v[20:21], v[20:21], v[4:5], -v[26:27]
	v_fma_f64 v[6:7], v[22:23], v[4:5], v[6:7]
	s_delay_alu instid0(VALU_DEP_2)
	v_dual_mov_b32 v4, v20 :: v_dual_mov_b32 v5, v21
; %bb.102:
	s_or_b32 exec_lo, exec_lo, s2
	s_load_b256 s[0:7], s[0:1], 0x28
	v_ashrrev_i32_e32 v30, 31, v29
	s_mov_b32 s9, exec_lo
	s_waitcnt lgkmcnt(0)
	s_barrier
	buffer_gl0_inv
	v_cmpx_gt_i32_e32 5, v29
	s_cbranch_execz .LBB8_104
; %bb.103:
	v_mul_lo_u32 v22, v25, s4
	v_mul_lo_u32 v23, v24, s5
	v_mad_u64_u32 v[20:21], null, v24, s4, 0
	s_lshl_b64 s[2:3], s[2:3], 2
	s_delay_alu instid0(SALU_CYCLE_1) | instskip(SKIP_1) | instid1(VALU_DEP_1)
	s_add_u32 s0, s2, s0
	s_addc_u32 s1, s3, s1
	v_add3_u32 v21, v21, v23, v22
	v_lshlrev_b64 v[22:23], 2, v[29:30]
	s_delay_alu instid0(VALU_DEP_2) | instskip(NEXT) | instid1(VALU_DEP_1)
	v_lshlrev_b64 v[20:21], 2, v[20:21]
	v_add_co_u32 v20, vcc_lo, s0, v20
	s_delay_alu instid0(VALU_DEP_2) | instskip(NEXT) | instid1(VALU_DEP_2)
	v_add_co_ci_u32_e32 v21, vcc_lo, s1, v21, vcc_lo
	v_add_co_u32 v20, vcc_lo, v20, v22
	s_delay_alu instid0(VALU_DEP_2)
	v_add_co_ci_u32_e32 v21, vcc_lo, v21, v23, vcc_lo
	v_add3_u32 v22, v33, s13, 1
	global_store_b32 v[20:21], v22, off
.LBB8_104:
	s_or_b32 exec_lo, exec_lo, s9
	s_delay_alu instid0(SALU_CYCLE_1)
	s_mov_b32 s1, exec_lo
	v_cmpx_eq_u32_e32 0, v29
	s_cbranch_execz .LBB8_107
; %bb.105:
	v_lshlrev_b64 v[20:21], 2, v[24:25]
	v_cmp_lt_i32_e64 s0, 0, v34
	s_delay_alu instid0(VALU_DEP_2) | instskip(NEXT) | instid1(VALU_DEP_3)
	v_add_co_u32 v20, vcc_lo, s6, v20
	v_add_co_ci_u32_e32 v21, vcc_lo, s7, v21, vcc_lo
	global_load_b32 v22, v[20:21], off
	s_waitcnt vmcnt(0)
	v_cmp_eq_u32_e32 vcc_lo, 0, v22
	s_and_b32 s0, vcc_lo, s0
	s_delay_alu instid0(SALU_CYCLE_1)
	s_and_b32 exec_lo, exec_lo, s0
	s_cbranch_execz .LBB8_107
; %bb.106:
	v_add_nc_u32_e32 v22, s13, v34
	global_store_b32 v[20:21], v22, off
.LBB8_107:
	s_or_b32 exec_lo, exec_lo, s1
	v_add3_u32 v20, s8, s8, v29
	v_lshlrev_b64 v[22:23], 4, v[29:30]
	s_delay_alu instid0(VALU_DEP_2) | instskip(SKIP_1) | instid1(VALU_DEP_3)
	v_add_nc_u32_e32 v24, s8, v20
	v_ashrrev_i32_e32 v21, 31, v20
	v_add_co_u32 v22, vcc_lo, v31, v22
	s_delay_alu instid0(VALU_DEP_4) | instskip(NEXT) | instid1(VALU_DEP_4)
	v_add_co_ci_u32_e32 v23, vcc_lo, v32, v23, vcc_lo
	v_add_nc_u32_e32 v26, s8, v24
	v_ashrrev_i32_e32 v25, 31, v24
	v_lshlrev_b64 v[20:21], 4, v[20:21]
	v_add_co_u32 v28, vcc_lo, v22, s10
	s_delay_alu instid0(VALU_DEP_4) | instskip(NEXT) | instid1(VALU_DEP_4)
	v_ashrrev_i32_e32 v27, 31, v26
	v_lshlrev_b64 v[24:25], 4, v[24:25]
	v_add_co_ci_u32_e32 v29, vcc_lo, s11, v23, vcc_lo
	v_add_co_u32 v20, vcc_lo, v31, v20
	s_delay_alu instid0(VALU_DEP_4) | instskip(SKIP_3) | instid1(VALU_DEP_4)
	v_lshlrev_b64 v[26:27], 4, v[26:27]
	v_add_co_ci_u32_e32 v21, vcc_lo, v32, v21, vcc_lo
	v_add_co_u32 v24, vcc_lo, v31, v24
	v_add_co_ci_u32_e32 v25, vcc_lo, v32, v25, vcc_lo
	v_add_co_u32 v26, vcc_lo, v31, v26
	v_add_co_ci_u32_e32 v27, vcc_lo, v32, v27, vcc_lo
	s_clause 0x4
	global_store_b128 v[22:23], v[0:3], off
	global_store_b128 v[28:29], v[16:19], off
	;; [unrolled: 1-line block ×5, first 2 shown]
.LBB8_108:
	s_nop 0
	s_sendmsg sendmsg(MSG_DEALLOC_VGPRS)
	s_endpgm
	.section	.rodata,"a",@progbits
	.p2align	6, 0x0
	.amdhsa_kernel _ZN9rocsolver6v33100L18getf2_small_kernelILi5E19rocblas_complex_numIdEiiPKPS3_EEvT1_T3_lS7_lPS7_llPT2_S7_S7_S9_l
		.amdhsa_group_segment_fixed_size 0
		.amdhsa_private_segment_fixed_size 0
		.amdhsa_kernarg_size 352
		.amdhsa_user_sgpr_count 14
		.amdhsa_user_sgpr_dispatch_ptr 0
		.amdhsa_user_sgpr_queue_ptr 0
		.amdhsa_user_sgpr_kernarg_segment_ptr 1
		.amdhsa_user_sgpr_dispatch_id 0
		.amdhsa_user_sgpr_private_segment_size 0
		.amdhsa_wavefront_size32 1
		.amdhsa_uses_dynamic_stack 0
		.amdhsa_enable_private_segment 0
		.amdhsa_system_sgpr_workgroup_id_x 1
		.amdhsa_system_sgpr_workgroup_id_y 1
		.amdhsa_system_sgpr_workgroup_id_z 0
		.amdhsa_system_sgpr_workgroup_info 0
		.amdhsa_system_vgpr_workitem_id 1
		.amdhsa_next_free_vgpr 64
		.amdhsa_next_free_sgpr 16
		.amdhsa_reserve_vcc 1
		.amdhsa_float_round_mode_32 0
		.amdhsa_float_round_mode_16_64 0
		.amdhsa_float_denorm_mode_32 3
		.amdhsa_float_denorm_mode_16_64 3
		.amdhsa_dx10_clamp 1
		.amdhsa_ieee_mode 1
		.amdhsa_fp16_overflow 0
		.amdhsa_workgroup_processor_mode 1
		.amdhsa_memory_ordered 1
		.amdhsa_forward_progress 0
		.amdhsa_shared_vgpr_count 0
		.amdhsa_exception_fp_ieee_invalid_op 0
		.amdhsa_exception_fp_denorm_src 0
		.amdhsa_exception_fp_ieee_div_zero 0
		.amdhsa_exception_fp_ieee_overflow 0
		.amdhsa_exception_fp_ieee_underflow 0
		.amdhsa_exception_fp_ieee_inexact 0
		.amdhsa_exception_int_div_zero 0
	.end_amdhsa_kernel
	.section	.text._ZN9rocsolver6v33100L18getf2_small_kernelILi5E19rocblas_complex_numIdEiiPKPS3_EEvT1_T3_lS7_lPS7_llPT2_S7_S7_S9_l,"axG",@progbits,_ZN9rocsolver6v33100L18getf2_small_kernelILi5E19rocblas_complex_numIdEiiPKPS3_EEvT1_T3_lS7_lPS7_llPT2_S7_S7_S9_l,comdat
.Lfunc_end8:
	.size	_ZN9rocsolver6v33100L18getf2_small_kernelILi5E19rocblas_complex_numIdEiiPKPS3_EEvT1_T3_lS7_lPS7_llPT2_S7_S7_S9_l, .Lfunc_end8-_ZN9rocsolver6v33100L18getf2_small_kernelILi5E19rocblas_complex_numIdEiiPKPS3_EEvT1_T3_lS7_lPS7_llPT2_S7_S7_S9_l
                                        ; -- End function
	.section	.AMDGPU.csdata,"",@progbits
; Kernel info:
; codeLenInByte = 7396
; NumSgprs: 18
; NumVgprs: 64
; ScratchSize: 0
; MemoryBound: 0
; FloatMode: 240
; IeeeMode: 1
; LDSByteSize: 0 bytes/workgroup (compile time only)
; SGPRBlocks: 2
; VGPRBlocks: 7
; NumSGPRsForWavesPerEU: 18
; NumVGPRsForWavesPerEU: 64
; Occupancy: 16
; WaveLimiterHint : 1
; COMPUTE_PGM_RSRC2:SCRATCH_EN: 0
; COMPUTE_PGM_RSRC2:USER_SGPR: 14
; COMPUTE_PGM_RSRC2:TRAP_HANDLER: 0
; COMPUTE_PGM_RSRC2:TGID_X_EN: 1
; COMPUTE_PGM_RSRC2:TGID_Y_EN: 1
; COMPUTE_PGM_RSRC2:TGID_Z_EN: 0
; COMPUTE_PGM_RSRC2:TIDIG_COMP_CNT: 1
	.section	.text._ZN9rocsolver6v33100L23getf2_npvt_small_kernelILi5E19rocblas_complex_numIdEiiPKPS3_EEvT1_T3_lS7_lPT2_S7_S7_,"axG",@progbits,_ZN9rocsolver6v33100L23getf2_npvt_small_kernelILi5E19rocblas_complex_numIdEiiPKPS3_EEvT1_T3_lS7_lPT2_S7_S7_,comdat
	.globl	_ZN9rocsolver6v33100L23getf2_npvt_small_kernelILi5E19rocblas_complex_numIdEiiPKPS3_EEvT1_T3_lS7_lPT2_S7_S7_ ; -- Begin function _ZN9rocsolver6v33100L23getf2_npvt_small_kernelILi5E19rocblas_complex_numIdEiiPKPS3_EEvT1_T3_lS7_lPT2_S7_S7_
	.p2align	8
	.type	_ZN9rocsolver6v33100L23getf2_npvt_small_kernelILi5E19rocblas_complex_numIdEiiPKPS3_EEvT1_T3_lS7_lPT2_S7_S7_,@function
_ZN9rocsolver6v33100L23getf2_npvt_small_kernelILi5E19rocblas_complex_numIdEiiPKPS3_EEvT1_T3_lS7_lPT2_S7_S7_: ; @_ZN9rocsolver6v33100L23getf2_npvt_small_kernelILi5E19rocblas_complex_numIdEiiPKPS3_EEvT1_T3_lS7_lPT2_S7_S7_
; %bb.0:
	s_clause 0x1
	s_load_b32 s2, s[0:1], 0x44
	s_load_b64 s[8:9], s[0:1], 0x30
	v_bfe_u32 v20, v0, 10, 10
	s_mov_b32 s3, exec_lo
	s_waitcnt lgkmcnt(0)
	s_lshr_b32 s2, s2, 16
	s_delay_alu instid0(VALU_DEP_1) | instid1(SALU_CYCLE_1)
	v_mad_u64_u32 v[40:41], null, s15, s2, v[20:21]
	s_delay_alu instid0(VALU_DEP_1)
	v_cmpx_gt_i32_e64 s8, v40
	s_cbranch_execz .LBB9_50
; %bb.1:
	s_clause 0x1
	s_load_b128 s[4:7], s[0:1], 0x8
	s_load_b32 s10, s[0:1], 0x18
	v_ashrrev_i32_e32 v41, 31, v40
	v_and_b32_e32 v54, 0x3ff, v0
	v_lshlrev_b32_e32 v21, 4, v20
	v_mul_u32_u24_e32 v20, 0x50, v20
	s_mulk_i32 s2, 0x50
	v_lshlrev_b64 v[1:2], 3, v[40:41]
	v_lshlrev_b32_e32 v9, 4, v54
	v_add3_u32 v55, 0, s2, v21
	v_cmp_ne_u32_e64 s3, 0, v54
	v_cmp_eq_u32_e64 s2, 0, v54
	v_add_nc_u32_e32 v56, 0, v20
	s_waitcnt lgkmcnt(0)
	v_add_co_u32 v1, vcc_lo, s4, v1
	v_add_co_ci_u32_e32 v2, vcc_lo, s5, v2, vcc_lo
	v_add3_u32 v3, s10, s10, v54
	s_lshl_b64 s[4:5], s[6:7], 4
	s_ashr_i32 s11, s10, 31
	global_load_b64 v[1:2], v[1:2], off
	s_lshl_b64 s[6:7], s[10:11], 4
	v_add_nc_u32_e32 v5, s10, v3
	v_ashrrev_i32_e32 v4, 31, v3
	s_delay_alu instid0(VALU_DEP_2) | instskip(SKIP_1) | instid1(VALU_DEP_3)
	v_ashrrev_i32_e32 v6, 31, v5
	v_add_nc_u32_e32 v7, s10, v5
	v_lshlrev_b64 v[3:4], 4, v[3:4]
	s_delay_alu instid0(VALU_DEP_3) | instskip(NEXT) | instid1(VALU_DEP_3)
	v_lshlrev_b64 v[5:6], 4, v[5:6]
	v_ashrrev_i32_e32 v8, 31, v7
	s_waitcnt vmcnt(0)
	v_add_co_u32 v10, vcc_lo, v1, s4
	v_add_co_ci_u32_e32 v2, vcc_lo, s5, v2, vcc_lo
	s_delay_alu instid0(VALU_DEP_3) | instskip(NEXT) | instid1(VALU_DEP_3)
	v_lshlrev_b64 v[0:1], 4, v[7:8]
	v_add_co_u32 v50, vcc_lo, v10, v9
	s_delay_alu instid0(VALU_DEP_3)
	v_add_co_ci_u32_e32 v51, vcc_lo, 0, v2, vcc_lo
	v_add_co_u32 v46, vcc_lo, v10, v3
	v_add_co_ci_u32_e32 v47, vcc_lo, v2, v4, vcc_lo
	v_add_co_u32 v44, vcc_lo, v10, v5
	;; [unrolled: 2-line block ×4, first 2 shown]
	v_add_co_ci_u32_e32 v43, vcc_lo, v2, v1, vcc_lo
	s_clause 0x4
	global_load_b128 v[8:11], v[46:47], off
	global_load_b128 v[4:7], v[44:45], off
	;; [unrolled: 1-line block ×5, first 2 shown]
	s_and_saveexec_b32 s5, s2
	s_cbranch_execz .LBB9_8
; %bb.2:
	s_waitcnt vmcnt(2)
	ds_store_2addr_b64 v55, v[16:17], v[18:19] offset1:1
	s_waitcnt vmcnt(1)
	ds_store_2addr_b64 v56, v[12:13], v[14:15] offset0:2 offset1:3
	ds_store_2addr_b64 v56, v[8:9], v[10:11] offset0:4 offset1:5
	;; [unrolled: 1-line block ×3, first 2 shown]
	s_waitcnt vmcnt(0)
	ds_store_2addr_b64 v56, v[0:1], v[2:3] offset0:8 offset1:9
	ds_load_2addr_b64 v[20:23], v55 offset1:1
	s_waitcnt lgkmcnt(0)
	v_cmp_neq_f64_e32 vcc_lo, 0, v[20:21]
	v_cmp_neq_f64_e64 s4, 0, v[22:23]
	s_delay_alu instid0(VALU_DEP_1) | instskip(NEXT) | instid1(SALU_CYCLE_1)
	s_or_b32 s4, vcc_lo, s4
	s_and_b32 exec_lo, exec_lo, s4
	s_cbranch_execz .LBB9_8
; %bb.3:
	v_cmp_gt_f64_e32 vcc_lo, 0, v[20:21]
	v_cmp_gt_f64_e64 s4, 0, v[22:23]
	v_xor_b32_e32 v24, 0x80000000, v21
	v_xor_b32_e32 v26, 0x80000000, v23
                                        ; implicit-def: $vgpr28_vgpr29
	s_delay_alu instid0(VALU_DEP_2) | instskip(NEXT) | instid1(VALU_DEP_2)
	v_cndmask_b32_e32 v25, v21, v24, vcc_lo
	v_cndmask_b32_e64 v27, v23, v26, s4
	v_cndmask_b32_e32 v24, v20, v20, vcc_lo
	v_cndmask_b32_e64 v26, v22, v22, s4
	s_mov_b32 s4, exec_lo
	s_delay_alu instid0(VALU_DEP_1)
	v_cmpx_ngt_f64_e32 v[24:25], v[26:27]
	s_xor_b32 s4, exec_lo, s4
                                        ; implicit-def: $vgpr24_vgpr25_vgpr26_vgpr27
	s_cbranch_execz .LBB9_5
; %bb.4:
	v_div_scale_f64 v[24:25], null, v[22:23], v[22:23], v[20:21]
	v_div_scale_f64 v[30:31], vcc_lo, v[20:21], v[22:23], v[20:21]
	s_delay_alu instid0(VALU_DEP_2) | instskip(SKIP_2) | instid1(VALU_DEP_1)
	v_rcp_f64_e32 v[26:27], v[24:25]
	s_waitcnt_depctr 0xfff
	v_fma_f64 v[28:29], -v[24:25], v[26:27], 1.0
	v_fma_f64 v[26:27], v[26:27], v[28:29], v[26:27]
	s_delay_alu instid0(VALU_DEP_1) | instskip(NEXT) | instid1(VALU_DEP_1)
	v_fma_f64 v[28:29], -v[24:25], v[26:27], 1.0
	v_fma_f64 v[26:27], v[26:27], v[28:29], v[26:27]
	s_delay_alu instid0(VALU_DEP_1) | instskip(NEXT) | instid1(VALU_DEP_1)
	v_mul_f64 v[28:29], v[30:31], v[26:27]
	v_fma_f64 v[24:25], -v[24:25], v[28:29], v[30:31]
	s_delay_alu instid0(VALU_DEP_1) | instskip(NEXT) | instid1(VALU_DEP_1)
	v_div_fmas_f64 v[24:25], v[24:25], v[26:27], v[28:29]
	v_div_fixup_f64 v[24:25], v[24:25], v[22:23], v[20:21]
	s_delay_alu instid0(VALU_DEP_1) | instskip(NEXT) | instid1(VALU_DEP_1)
	v_fma_f64 v[20:21], v[20:21], v[24:25], v[22:23]
	v_div_scale_f64 v[22:23], null, v[20:21], v[20:21], 1.0
	s_delay_alu instid0(VALU_DEP_1) | instskip(SKIP_2) | instid1(VALU_DEP_1)
	v_rcp_f64_e32 v[26:27], v[22:23]
	s_waitcnt_depctr 0xfff
	v_fma_f64 v[28:29], -v[22:23], v[26:27], 1.0
	v_fma_f64 v[26:27], v[26:27], v[28:29], v[26:27]
	s_delay_alu instid0(VALU_DEP_1) | instskip(NEXT) | instid1(VALU_DEP_1)
	v_fma_f64 v[28:29], -v[22:23], v[26:27], 1.0
	v_fma_f64 v[26:27], v[26:27], v[28:29], v[26:27]
	v_div_scale_f64 v[28:29], vcc_lo, 1.0, v[20:21], 1.0
	s_delay_alu instid0(VALU_DEP_1) | instskip(NEXT) | instid1(VALU_DEP_1)
	v_mul_f64 v[30:31], v[28:29], v[26:27]
	v_fma_f64 v[22:23], -v[22:23], v[30:31], v[28:29]
	s_delay_alu instid0(VALU_DEP_1) | instskip(NEXT) | instid1(VALU_DEP_1)
	v_div_fmas_f64 v[22:23], v[22:23], v[26:27], v[30:31]
	v_div_fixup_f64 v[26:27], v[22:23], v[20:21], 1.0
                                        ; implicit-def: $vgpr20_vgpr21
	s_delay_alu instid0(VALU_DEP_1)
	v_mul_f64 v[28:29], v[24:25], v[26:27]
	v_xor_b32_e32 v27, 0x80000000, v27
.LBB9_5:
	s_and_not1_saveexec_b32 s4, s4
	s_cbranch_execz .LBB9_7
; %bb.6:
	v_div_scale_f64 v[24:25], null, v[20:21], v[20:21], v[22:23]
	v_div_scale_f64 v[30:31], vcc_lo, v[22:23], v[20:21], v[22:23]
	s_delay_alu instid0(VALU_DEP_2) | instskip(SKIP_2) | instid1(VALU_DEP_1)
	v_rcp_f64_e32 v[26:27], v[24:25]
	s_waitcnt_depctr 0xfff
	v_fma_f64 v[28:29], -v[24:25], v[26:27], 1.0
	v_fma_f64 v[26:27], v[26:27], v[28:29], v[26:27]
	s_delay_alu instid0(VALU_DEP_1) | instskip(NEXT) | instid1(VALU_DEP_1)
	v_fma_f64 v[28:29], -v[24:25], v[26:27], 1.0
	v_fma_f64 v[26:27], v[26:27], v[28:29], v[26:27]
	s_delay_alu instid0(VALU_DEP_1) | instskip(NEXT) | instid1(VALU_DEP_1)
	v_mul_f64 v[28:29], v[30:31], v[26:27]
	v_fma_f64 v[24:25], -v[24:25], v[28:29], v[30:31]
	s_delay_alu instid0(VALU_DEP_1) | instskip(NEXT) | instid1(VALU_DEP_1)
	v_div_fmas_f64 v[24:25], v[24:25], v[26:27], v[28:29]
	v_div_fixup_f64 v[24:25], v[24:25], v[20:21], v[22:23]
	s_delay_alu instid0(VALU_DEP_1) | instskip(NEXT) | instid1(VALU_DEP_1)
	v_fma_f64 v[20:21], v[22:23], v[24:25], v[20:21]
	v_div_scale_f64 v[22:23], null, v[20:21], v[20:21], 1.0
	s_delay_alu instid0(VALU_DEP_1) | instskip(SKIP_2) | instid1(VALU_DEP_1)
	v_rcp_f64_e32 v[26:27], v[22:23]
	s_waitcnt_depctr 0xfff
	v_fma_f64 v[28:29], -v[22:23], v[26:27], 1.0
	v_fma_f64 v[26:27], v[26:27], v[28:29], v[26:27]
	s_delay_alu instid0(VALU_DEP_1) | instskip(NEXT) | instid1(VALU_DEP_1)
	v_fma_f64 v[28:29], -v[22:23], v[26:27], 1.0
	v_fma_f64 v[26:27], v[26:27], v[28:29], v[26:27]
	v_div_scale_f64 v[28:29], vcc_lo, 1.0, v[20:21], 1.0
	s_delay_alu instid0(VALU_DEP_1) | instskip(NEXT) | instid1(VALU_DEP_1)
	v_mul_f64 v[30:31], v[28:29], v[26:27]
	v_fma_f64 v[22:23], -v[22:23], v[30:31], v[28:29]
	s_delay_alu instid0(VALU_DEP_1) | instskip(NEXT) | instid1(VALU_DEP_1)
	v_div_fmas_f64 v[22:23], v[22:23], v[26:27], v[30:31]
	v_div_fixup_f64 v[28:29], v[22:23], v[20:21], 1.0
	s_delay_alu instid0(VALU_DEP_1)
	v_mul_f64 v[26:27], v[24:25], -v[28:29]
.LBB9_7:
	s_or_b32 exec_lo, exec_lo, s4
	ds_store_2addr_b64 v55, v[28:29], v[26:27] offset1:1
.LBB9_8:
	s_or_b32 exec_lo, exec_lo, s5
	s_waitcnt vmcnt(0) lgkmcnt(0)
	s_barrier
	buffer_gl0_inv
	ds_load_2addr_b64 v[20:23], v55 offset1:1
	s_and_saveexec_b32 s4, s3
	s_cbranch_execz .LBB9_10
; %bb.9:
	s_waitcnt lgkmcnt(0)
	v_mul_f64 v[24:25], v[20:21], v[18:19]
	v_mul_f64 v[18:19], v[22:23], v[18:19]
	s_delay_alu instid0(VALU_DEP_2)
	v_fma_f64 v[52:53], v[22:23], v[16:17], v[24:25]
	ds_load_2addr_b64 v[24:27], v56 offset0:2 offset1:3
	ds_load_2addr_b64 v[28:31], v56 offset0:4 offset1:5
	;; [unrolled: 1-line block ×4, first 2 shown]
	v_fma_f64 v[16:17], v[20:21], v[16:17], -v[18:19]
	s_waitcnt lgkmcnt(3)
	v_mul_f64 v[18:19], v[26:27], v[52:53]
	v_mul_f64 v[57:58], v[24:25], v[52:53]
	s_waitcnt lgkmcnt(2)
	v_mul_f64 v[59:60], v[30:31], v[52:53]
	v_mul_f64 v[61:62], v[28:29], v[52:53]
	;; [unrolled: 3-line block ×4, first 2 shown]
	v_fma_f64 v[18:19], v[24:25], v[16:17], -v[18:19]
	v_fma_f64 v[24:25], v[26:27], v[16:17], v[57:58]
	v_fma_f64 v[26:27], v[28:29], v[16:17], -v[59:60]
	v_fma_f64 v[28:29], v[30:31], v[16:17], v[61:62]
	;; [unrolled: 2-line block ×4, first 2 shown]
	v_add_f64 v[12:13], v[12:13], -v[18:19]
	v_add_f64 v[14:15], v[14:15], -v[24:25]
	;; [unrolled: 1-line block ×8, first 2 shown]
	v_dual_mov_b32 v18, v52 :: v_dual_mov_b32 v19, v53
.LBB9_10:
	s_or_b32 exec_lo, exec_lo, s4
	s_delay_alu instid0(SALU_CYCLE_1)
	s_mov_b32 s4, exec_lo
	s_waitcnt lgkmcnt(0)
	s_barrier
	buffer_gl0_inv
	v_cmpx_eq_u32_e32 1, v54
	s_cbranch_execz .LBB9_17
; %bb.11:
	ds_store_2addr_b64 v55, v[12:13], v[14:15] offset1:1
	ds_store_2addr_b64 v56, v[8:9], v[10:11] offset0:4 offset1:5
	ds_store_2addr_b64 v56, v[4:5], v[6:7] offset0:6 offset1:7
	;; [unrolled: 1-line block ×3, first 2 shown]
	ds_load_2addr_b64 v[24:27], v55 offset1:1
	s_waitcnt lgkmcnt(0)
	v_cmp_neq_f64_e32 vcc_lo, 0, v[24:25]
	v_cmp_neq_f64_e64 s3, 0, v[26:27]
	s_delay_alu instid0(VALU_DEP_1) | instskip(NEXT) | instid1(SALU_CYCLE_1)
	s_or_b32 s3, vcc_lo, s3
	s_and_b32 exec_lo, exec_lo, s3
	s_cbranch_execz .LBB9_17
; %bb.12:
	v_cmp_gt_f64_e32 vcc_lo, 0, v[24:25]
	v_cmp_gt_f64_e64 s3, 0, v[26:27]
	v_xor_b32_e32 v28, 0x80000000, v25
	v_xor_b32_e32 v30, 0x80000000, v27
                                        ; implicit-def: $vgpr32_vgpr33
	s_delay_alu instid0(VALU_DEP_2) | instskip(NEXT) | instid1(VALU_DEP_2)
	v_cndmask_b32_e32 v29, v25, v28, vcc_lo
	v_cndmask_b32_e64 v31, v27, v30, s3
	v_cndmask_b32_e32 v28, v24, v24, vcc_lo
	v_cndmask_b32_e64 v30, v26, v26, s3
	s_mov_b32 s3, exec_lo
	s_delay_alu instid0(VALU_DEP_1)
	v_cmpx_ngt_f64_e32 v[28:29], v[30:31]
	s_xor_b32 s3, exec_lo, s3
                                        ; implicit-def: $vgpr28_vgpr29_vgpr30_vgpr31
	s_cbranch_execz .LBB9_14
; %bb.13:
	v_div_scale_f64 v[28:29], null, v[26:27], v[26:27], v[24:25]
	v_div_scale_f64 v[34:35], vcc_lo, v[24:25], v[26:27], v[24:25]
	s_delay_alu instid0(VALU_DEP_2) | instskip(SKIP_2) | instid1(VALU_DEP_1)
	v_rcp_f64_e32 v[30:31], v[28:29]
	s_waitcnt_depctr 0xfff
	v_fma_f64 v[32:33], -v[28:29], v[30:31], 1.0
	v_fma_f64 v[30:31], v[30:31], v[32:33], v[30:31]
	s_delay_alu instid0(VALU_DEP_1) | instskip(NEXT) | instid1(VALU_DEP_1)
	v_fma_f64 v[32:33], -v[28:29], v[30:31], 1.0
	v_fma_f64 v[30:31], v[30:31], v[32:33], v[30:31]
	s_delay_alu instid0(VALU_DEP_1) | instskip(NEXT) | instid1(VALU_DEP_1)
	v_mul_f64 v[32:33], v[34:35], v[30:31]
	v_fma_f64 v[28:29], -v[28:29], v[32:33], v[34:35]
	s_delay_alu instid0(VALU_DEP_1) | instskip(NEXT) | instid1(VALU_DEP_1)
	v_div_fmas_f64 v[28:29], v[28:29], v[30:31], v[32:33]
	v_div_fixup_f64 v[28:29], v[28:29], v[26:27], v[24:25]
	s_delay_alu instid0(VALU_DEP_1) | instskip(NEXT) | instid1(VALU_DEP_1)
	v_fma_f64 v[24:25], v[24:25], v[28:29], v[26:27]
	v_div_scale_f64 v[26:27], null, v[24:25], v[24:25], 1.0
	s_delay_alu instid0(VALU_DEP_1) | instskip(SKIP_2) | instid1(VALU_DEP_1)
	v_rcp_f64_e32 v[30:31], v[26:27]
	s_waitcnt_depctr 0xfff
	v_fma_f64 v[32:33], -v[26:27], v[30:31], 1.0
	v_fma_f64 v[30:31], v[30:31], v[32:33], v[30:31]
	s_delay_alu instid0(VALU_DEP_1) | instskip(NEXT) | instid1(VALU_DEP_1)
	v_fma_f64 v[32:33], -v[26:27], v[30:31], 1.0
	v_fma_f64 v[30:31], v[30:31], v[32:33], v[30:31]
	v_div_scale_f64 v[32:33], vcc_lo, 1.0, v[24:25], 1.0
	s_delay_alu instid0(VALU_DEP_1) | instskip(NEXT) | instid1(VALU_DEP_1)
	v_mul_f64 v[34:35], v[32:33], v[30:31]
	v_fma_f64 v[26:27], -v[26:27], v[34:35], v[32:33]
	s_delay_alu instid0(VALU_DEP_1) | instskip(NEXT) | instid1(VALU_DEP_1)
	v_div_fmas_f64 v[26:27], v[26:27], v[30:31], v[34:35]
	v_div_fixup_f64 v[30:31], v[26:27], v[24:25], 1.0
                                        ; implicit-def: $vgpr24_vgpr25
	s_delay_alu instid0(VALU_DEP_1)
	v_mul_f64 v[32:33], v[28:29], v[30:31]
	v_xor_b32_e32 v31, 0x80000000, v31
.LBB9_14:
	s_and_not1_saveexec_b32 s3, s3
	s_cbranch_execz .LBB9_16
; %bb.15:
	v_div_scale_f64 v[28:29], null, v[24:25], v[24:25], v[26:27]
	v_div_scale_f64 v[34:35], vcc_lo, v[26:27], v[24:25], v[26:27]
	s_delay_alu instid0(VALU_DEP_2) | instskip(SKIP_2) | instid1(VALU_DEP_1)
	v_rcp_f64_e32 v[30:31], v[28:29]
	s_waitcnt_depctr 0xfff
	v_fma_f64 v[32:33], -v[28:29], v[30:31], 1.0
	v_fma_f64 v[30:31], v[30:31], v[32:33], v[30:31]
	s_delay_alu instid0(VALU_DEP_1) | instskip(NEXT) | instid1(VALU_DEP_1)
	v_fma_f64 v[32:33], -v[28:29], v[30:31], 1.0
	v_fma_f64 v[30:31], v[30:31], v[32:33], v[30:31]
	s_delay_alu instid0(VALU_DEP_1) | instskip(NEXT) | instid1(VALU_DEP_1)
	v_mul_f64 v[32:33], v[34:35], v[30:31]
	v_fma_f64 v[28:29], -v[28:29], v[32:33], v[34:35]
	s_delay_alu instid0(VALU_DEP_1) | instskip(NEXT) | instid1(VALU_DEP_1)
	v_div_fmas_f64 v[28:29], v[28:29], v[30:31], v[32:33]
	v_div_fixup_f64 v[28:29], v[28:29], v[24:25], v[26:27]
	s_delay_alu instid0(VALU_DEP_1) | instskip(NEXT) | instid1(VALU_DEP_1)
	v_fma_f64 v[24:25], v[26:27], v[28:29], v[24:25]
	v_div_scale_f64 v[26:27], null, v[24:25], v[24:25], 1.0
	s_delay_alu instid0(VALU_DEP_1) | instskip(SKIP_2) | instid1(VALU_DEP_1)
	v_rcp_f64_e32 v[30:31], v[26:27]
	s_waitcnt_depctr 0xfff
	v_fma_f64 v[32:33], -v[26:27], v[30:31], 1.0
	v_fma_f64 v[30:31], v[30:31], v[32:33], v[30:31]
	s_delay_alu instid0(VALU_DEP_1) | instskip(NEXT) | instid1(VALU_DEP_1)
	v_fma_f64 v[32:33], -v[26:27], v[30:31], 1.0
	v_fma_f64 v[30:31], v[30:31], v[32:33], v[30:31]
	v_div_scale_f64 v[32:33], vcc_lo, 1.0, v[24:25], 1.0
	s_delay_alu instid0(VALU_DEP_1) | instskip(NEXT) | instid1(VALU_DEP_1)
	v_mul_f64 v[34:35], v[32:33], v[30:31]
	v_fma_f64 v[26:27], -v[26:27], v[34:35], v[32:33]
	s_delay_alu instid0(VALU_DEP_1) | instskip(NEXT) | instid1(VALU_DEP_1)
	v_div_fmas_f64 v[26:27], v[26:27], v[30:31], v[34:35]
	v_div_fixup_f64 v[32:33], v[26:27], v[24:25], 1.0
	s_delay_alu instid0(VALU_DEP_1)
	v_mul_f64 v[30:31], v[28:29], -v[32:33]
.LBB9_16:
	s_or_b32 exec_lo, exec_lo, s3
	ds_store_2addr_b64 v55, v[32:33], v[30:31] offset1:1
.LBB9_17:
	s_or_b32 exec_lo, exec_lo, s4
	s_waitcnt lgkmcnt(0)
	s_barrier
	buffer_gl0_inv
	ds_load_2addr_b64 v[24:27], v55 offset1:1
	s_mov_b32 s3, exec_lo
	v_cmpx_lt_u32_e32 1, v54
	s_cbranch_execz .LBB9_19
; %bb.18:
	s_waitcnt lgkmcnt(0)
	v_mul_f64 v[28:29], v[24:25], v[14:15]
	v_mul_f64 v[14:15], v[26:27], v[14:15]
	s_delay_alu instid0(VALU_DEP_2)
	v_fma_f64 v[52:53], v[26:27], v[12:13], v[28:29]
	ds_load_2addr_b64 v[28:31], v56 offset0:4 offset1:5
	ds_load_2addr_b64 v[32:35], v56 offset0:6 offset1:7
	;; [unrolled: 1-line block ×3, first 2 shown]
	v_fma_f64 v[12:13], v[24:25], v[12:13], -v[14:15]
	s_waitcnt lgkmcnt(2)
	v_mul_f64 v[14:15], v[30:31], v[52:53]
	v_mul_f64 v[57:58], v[28:29], v[52:53]
	s_waitcnt lgkmcnt(1)
	v_mul_f64 v[59:60], v[34:35], v[52:53]
	v_mul_f64 v[61:62], v[32:33], v[52:53]
	;; [unrolled: 3-line block ×3, first 2 shown]
	v_fma_f64 v[14:15], v[28:29], v[12:13], -v[14:15]
	v_fma_f64 v[28:29], v[30:31], v[12:13], v[57:58]
	v_fma_f64 v[30:31], v[32:33], v[12:13], -v[59:60]
	v_fma_f64 v[32:33], v[34:35], v[12:13], v[61:62]
	;; [unrolled: 2-line block ×3, first 2 shown]
	v_add_f64 v[8:9], v[8:9], -v[14:15]
	v_add_f64 v[10:11], v[10:11], -v[28:29]
	;; [unrolled: 1-line block ×6, first 2 shown]
	v_dual_mov_b32 v14, v52 :: v_dual_mov_b32 v15, v53
.LBB9_19:
	s_or_b32 exec_lo, exec_lo, s3
	s_delay_alu instid0(SALU_CYCLE_1)
	s_mov_b32 s4, exec_lo
	s_waitcnt lgkmcnt(0)
	s_barrier
	buffer_gl0_inv
	v_cmpx_eq_u32_e32 2, v54
	s_cbranch_execz .LBB9_26
; %bb.20:
	ds_store_2addr_b64 v55, v[8:9], v[10:11] offset1:1
	ds_store_2addr_b64 v56, v[4:5], v[6:7] offset0:6 offset1:7
	ds_store_2addr_b64 v56, v[0:1], v[2:3] offset0:8 offset1:9
	ds_load_2addr_b64 v[28:31], v55 offset1:1
	s_waitcnt lgkmcnt(0)
	v_cmp_neq_f64_e32 vcc_lo, 0, v[28:29]
	v_cmp_neq_f64_e64 s3, 0, v[30:31]
	s_delay_alu instid0(VALU_DEP_1) | instskip(NEXT) | instid1(SALU_CYCLE_1)
	s_or_b32 s3, vcc_lo, s3
	s_and_b32 exec_lo, exec_lo, s3
	s_cbranch_execz .LBB9_26
; %bb.21:
	v_cmp_gt_f64_e32 vcc_lo, 0, v[28:29]
	v_cmp_gt_f64_e64 s3, 0, v[30:31]
	v_xor_b32_e32 v32, 0x80000000, v29
	v_xor_b32_e32 v34, 0x80000000, v31
                                        ; implicit-def: $vgpr36_vgpr37
	s_delay_alu instid0(VALU_DEP_2) | instskip(NEXT) | instid1(VALU_DEP_2)
	v_cndmask_b32_e32 v33, v29, v32, vcc_lo
	v_cndmask_b32_e64 v35, v31, v34, s3
	v_cndmask_b32_e32 v32, v28, v28, vcc_lo
	v_cndmask_b32_e64 v34, v30, v30, s3
	s_mov_b32 s3, exec_lo
	s_delay_alu instid0(VALU_DEP_1)
	v_cmpx_ngt_f64_e32 v[32:33], v[34:35]
	s_xor_b32 s3, exec_lo, s3
                                        ; implicit-def: $vgpr32_vgpr33_vgpr34_vgpr35
	s_cbranch_execz .LBB9_23
; %bb.22:
	v_div_scale_f64 v[32:33], null, v[30:31], v[30:31], v[28:29]
	v_div_scale_f64 v[38:39], vcc_lo, v[28:29], v[30:31], v[28:29]
	s_delay_alu instid0(VALU_DEP_2) | instskip(SKIP_2) | instid1(VALU_DEP_1)
	v_rcp_f64_e32 v[34:35], v[32:33]
	s_waitcnt_depctr 0xfff
	v_fma_f64 v[36:37], -v[32:33], v[34:35], 1.0
	v_fma_f64 v[34:35], v[34:35], v[36:37], v[34:35]
	s_delay_alu instid0(VALU_DEP_1) | instskip(NEXT) | instid1(VALU_DEP_1)
	v_fma_f64 v[36:37], -v[32:33], v[34:35], 1.0
	v_fma_f64 v[34:35], v[34:35], v[36:37], v[34:35]
	s_delay_alu instid0(VALU_DEP_1) | instskip(NEXT) | instid1(VALU_DEP_1)
	v_mul_f64 v[36:37], v[38:39], v[34:35]
	v_fma_f64 v[32:33], -v[32:33], v[36:37], v[38:39]
	s_delay_alu instid0(VALU_DEP_1) | instskip(NEXT) | instid1(VALU_DEP_1)
	v_div_fmas_f64 v[32:33], v[32:33], v[34:35], v[36:37]
	v_div_fixup_f64 v[32:33], v[32:33], v[30:31], v[28:29]
	s_delay_alu instid0(VALU_DEP_1) | instskip(NEXT) | instid1(VALU_DEP_1)
	v_fma_f64 v[28:29], v[28:29], v[32:33], v[30:31]
	v_div_scale_f64 v[30:31], null, v[28:29], v[28:29], 1.0
	s_delay_alu instid0(VALU_DEP_1) | instskip(SKIP_2) | instid1(VALU_DEP_1)
	v_rcp_f64_e32 v[34:35], v[30:31]
	s_waitcnt_depctr 0xfff
	v_fma_f64 v[36:37], -v[30:31], v[34:35], 1.0
	v_fma_f64 v[34:35], v[34:35], v[36:37], v[34:35]
	s_delay_alu instid0(VALU_DEP_1) | instskip(NEXT) | instid1(VALU_DEP_1)
	v_fma_f64 v[36:37], -v[30:31], v[34:35], 1.0
	v_fma_f64 v[34:35], v[34:35], v[36:37], v[34:35]
	v_div_scale_f64 v[36:37], vcc_lo, 1.0, v[28:29], 1.0
	s_delay_alu instid0(VALU_DEP_1) | instskip(NEXT) | instid1(VALU_DEP_1)
	v_mul_f64 v[38:39], v[36:37], v[34:35]
	v_fma_f64 v[30:31], -v[30:31], v[38:39], v[36:37]
	s_delay_alu instid0(VALU_DEP_1) | instskip(NEXT) | instid1(VALU_DEP_1)
	v_div_fmas_f64 v[30:31], v[30:31], v[34:35], v[38:39]
	v_div_fixup_f64 v[34:35], v[30:31], v[28:29], 1.0
                                        ; implicit-def: $vgpr28_vgpr29
	s_delay_alu instid0(VALU_DEP_1)
	v_mul_f64 v[36:37], v[32:33], v[34:35]
	v_xor_b32_e32 v35, 0x80000000, v35
.LBB9_23:
	s_and_not1_saveexec_b32 s3, s3
	s_cbranch_execz .LBB9_25
; %bb.24:
	v_div_scale_f64 v[32:33], null, v[28:29], v[28:29], v[30:31]
	v_div_scale_f64 v[38:39], vcc_lo, v[30:31], v[28:29], v[30:31]
	s_delay_alu instid0(VALU_DEP_2) | instskip(SKIP_2) | instid1(VALU_DEP_1)
	v_rcp_f64_e32 v[34:35], v[32:33]
	s_waitcnt_depctr 0xfff
	v_fma_f64 v[36:37], -v[32:33], v[34:35], 1.0
	v_fma_f64 v[34:35], v[34:35], v[36:37], v[34:35]
	s_delay_alu instid0(VALU_DEP_1) | instskip(NEXT) | instid1(VALU_DEP_1)
	v_fma_f64 v[36:37], -v[32:33], v[34:35], 1.0
	v_fma_f64 v[34:35], v[34:35], v[36:37], v[34:35]
	s_delay_alu instid0(VALU_DEP_1) | instskip(NEXT) | instid1(VALU_DEP_1)
	v_mul_f64 v[36:37], v[38:39], v[34:35]
	v_fma_f64 v[32:33], -v[32:33], v[36:37], v[38:39]
	s_delay_alu instid0(VALU_DEP_1) | instskip(NEXT) | instid1(VALU_DEP_1)
	v_div_fmas_f64 v[32:33], v[32:33], v[34:35], v[36:37]
	v_div_fixup_f64 v[32:33], v[32:33], v[28:29], v[30:31]
	s_delay_alu instid0(VALU_DEP_1) | instskip(NEXT) | instid1(VALU_DEP_1)
	v_fma_f64 v[28:29], v[30:31], v[32:33], v[28:29]
	v_div_scale_f64 v[30:31], null, v[28:29], v[28:29], 1.0
	s_delay_alu instid0(VALU_DEP_1) | instskip(SKIP_2) | instid1(VALU_DEP_1)
	v_rcp_f64_e32 v[34:35], v[30:31]
	s_waitcnt_depctr 0xfff
	v_fma_f64 v[36:37], -v[30:31], v[34:35], 1.0
	v_fma_f64 v[34:35], v[34:35], v[36:37], v[34:35]
	s_delay_alu instid0(VALU_DEP_1) | instskip(NEXT) | instid1(VALU_DEP_1)
	v_fma_f64 v[36:37], -v[30:31], v[34:35], 1.0
	v_fma_f64 v[34:35], v[34:35], v[36:37], v[34:35]
	v_div_scale_f64 v[36:37], vcc_lo, 1.0, v[28:29], 1.0
	s_delay_alu instid0(VALU_DEP_1) | instskip(NEXT) | instid1(VALU_DEP_1)
	v_mul_f64 v[38:39], v[36:37], v[34:35]
	v_fma_f64 v[30:31], -v[30:31], v[38:39], v[36:37]
	s_delay_alu instid0(VALU_DEP_1) | instskip(NEXT) | instid1(VALU_DEP_1)
	v_div_fmas_f64 v[30:31], v[30:31], v[34:35], v[38:39]
	v_div_fixup_f64 v[36:37], v[30:31], v[28:29], 1.0
	s_delay_alu instid0(VALU_DEP_1)
	v_mul_f64 v[34:35], v[32:33], -v[36:37]
.LBB9_25:
	s_or_b32 exec_lo, exec_lo, s3
	ds_store_2addr_b64 v55, v[36:37], v[34:35] offset1:1
.LBB9_26:
	s_or_b32 exec_lo, exec_lo, s4
	s_waitcnt lgkmcnt(0)
	s_barrier
	buffer_gl0_inv
	ds_load_2addr_b64 v[28:31], v55 offset1:1
	s_mov_b32 s3, exec_lo
	v_cmpx_lt_u32_e32 2, v54
	s_cbranch_execz .LBB9_28
; %bb.27:
	s_waitcnt lgkmcnt(0)
	v_mul_f64 v[32:33], v[28:29], v[10:11]
	v_mul_f64 v[10:11], v[30:31], v[10:11]
	s_delay_alu instid0(VALU_DEP_2)
	v_fma_f64 v[52:53], v[30:31], v[8:9], v[32:33]
	ds_load_2addr_b64 v[32:35], v56 offset0:6 offset1:7
	ds_load_2addr_b64 v[36:39], v56 offset0:8 offset1:9
	v_fma_f64 v[8:9], v[28:29], v[8:9], -v[10:11]
	s_waitcnt lgkmcnt(1)
	v_mul_f64 v[10:11], v[34:35], v[52:53]
	v_mul_f64 v[57:58], v[32:33], v[52:53]
	s_waitcnt lgkmcnt(0)
	v_mul_f64 v[59:60], v[38:39], v[52:53]
	v_mul_f64 v[61:62], v[36:37], v[52:53]
	s_delay_alu instid0(VALU_DEP_4) | instskip(NEXT) | instid1(VALU_DEP_4)
	v_fma_f64 v[10:11], v[32:33], v[8:9], -v[10:11]
	v_fma_f64 v[32:33], v[34:35], v[8:9], v[57:58]
	s_delay_alu instid0(VALU_DEP_4) | instskip(NEXT) | instid1(VALU_DEP_4)
	v_fma_f64 v[34:35], v[36:37], v[8:9], -v[59:60]
	v_fma_f64 v[36:37], v[38:39], v[8:9], v[61:62]
	s_delay_alu instid0(VALU_DEP_4) | instskip(NEXT) | instid1(VALU_DEP_4)
	v_add_f64 v[4:5], v[4:5], -v[10:11]
	v_add_f64 v[6:7], v[6:7], -v[32:33]
	s_delay_alu instid0(VALU_DEP_4) | instskip(NEXT) | instid1(VALU_DEP_4)
	v_add_f64 v[0:1], v[0:1], -v[34:35]
	v_add_f64 v[2:3], v[2:3], -v[36:37]
	v_dual_mov_b32 v10, v52 :: v_dual_mov_b32 v11, v53
.LBB9_28:
	s_or_b32 exec_lo, exec_lo, s3
	s_delay_alu instid0(SALU_CYCLE_1)
	s_mov_b32 s4, exec_lo
	s_waitcnt lgkmcnt(0)
	s_barrier
	buffer_gl0_inv
	v_cmpx_eq_u32_e32 3, v54
	s_cbranch_execz .LBB9_35
; %bb.29:
	ds_store_2addr_b64 v55, v[4:5], v[6:7] offset1:1
	ds_store_2addr_b64 v56, v[0:1], v[2:3] offset0:8 offset1:9
	ds_load_2addr_b64 v[32:35], v55 offset1:1
	s_waitcnt lgkmcnt(0)
	v_cmp_neq_f64_e32 vcc_lo, 0, v[32:33]
	v_cmp_neq_f64_e64 s3, 0, v[34:35]
	s_delay_alu instid0(VALU_DEP_1) | instskip(NEXT) | instid1(SALU_CYCLE_1)
	s_or_b32 s3, vcc_lo, s3
	s_and_b32 exec_lo, exec_lo, s3
	s_cbranch_execz .LBB9_35
; %bb.30:
	v_cmp_gt_f64_e32 vcc_lo, 0, v[32:33]
	v_cmp_gt_f64_e64 s3, 0, v[34:35]
	v_xor_b32_e32 v36, 0x80000000, v33
	v_xor_b32_e32 v38, 0x80000000, v35
                                        ; implicit-def: $vgpr52_vgpr53
	s_delay_alu instid0(VALU_DEP_2) | instskip(NEXT) | instid1(VALU_DEP_2)
	v_cndmask_b32_e32 v37, v33, v36, vcc_lo
	v_cndmask_b32_e64 v39, v35, v38, s3
	v_cndmask_b32_e32 v36, v32, v32, vcc_lo
	v_cndmask_b32_e64 v38, v34, v34, s3
	s_mov_b32 s3, exec_lo
	s_delay_alu instid0(VALU_DEP_1)
	v_cmpx_ngt_f64_e32 v[36:37], v[38:39]
	s_xor_b32 s3, exec_lo, s3
                                        ; implicit-def: $vgpr36_vgpr37_vgpr38_vgpr39
	s_cbranch_execz .LBB9_32
; %bb.31:
	v_div_scale_f64 v[36:37], null, v[34:35], v[34:35], v[32:33]
	v_div_scale_f64 v[57:58], vcc_lo, v[32:33], v[34:35], v[32:33]
	s_delay_alu instid0(VALU_DEP_2) | instskip(SKIP_2) | instid1(VALU_DEP_1)
	v_rcp_f64_e32 v[38:39], v[36:37]
	s_waitcnt_depctr 0xfff
	v_fma_f64 v[52:53], -v[36:37], v[38:39], 1.0
	v_fma_f64 v[38:39], v[38:39], v[52:53], v[38:39]
	s_delay_alu instid0(VALU_DEP_1) | instskip(NEXT) | instid1(VALU_DEP_1)
	v_fma_f64 v[52:53], -v[36:37], v[38:39], 1.0
	v_fma_f64 v[38:39], v[38:39], v[52:53], v[38:39]
	s_delay_alu instid0(VALU_DEP_1) | instskip(NEXT) | instid1(VALU_DEP_1)
	v_mul_f64 v[52:53], v[57:58], v[38:39]
	v_fma_f64 v[36:37], -v[36:37], v[52:53], v[57:58]
	s_delay_alu instid0(VALU_DEP_1) | instskip(NEXT) | instid1(VALU_DEP_1)
	v_div_fmas_f64 v[36:37], v[36:37], v[38:39], v[52:53]
	v_div_fixup_f64 v[36:37], v[36:37], v[34:35], v[32:33]
	s_delay_alu instid0(VALU_DEP_1) | instskip(NEXT) | instid1(VALU_DEP_1)
	v_fma_f64 v[32:33], v[32:33], v[36:37], v[34:35]
	v_div_scale_f64 v[34:35], null, v[32:33], v[32:33], 1.0
	s_delay_alu instid0(VALU_DEP_1) | instskip(SKIP_2) | instid1(VALU_DEP_1)
	v_rcp_f64_e32 v[38:39], v[34:35]
	s_waitcnt_depctr 0xfff
	v_fma_f64 v[52:53], -v[34:35], v[38:39], 1.0
	v_fma_f64 v[38:39], v[38:39], v[52:53], v[38:39]
	s_delay_alu instid0(VALU_DEP_1) | instskip(NEXT) | instid1(VALU_DEP_1)
	v_fma_f64 v[52:53], -v[34:35], v[38:39], 1.0
	v_fma_f64 v[38:39], v[38:39], v[52:53], v[38:39]
	v_div_scale_f64 v[52:53], vcc_lo, 1.0, v[32:33], 1.0
	s_delay_alu instid0(VALU_DEP_1) | instskip(NEXT) | instid1(VALU_DEP_1)
	v_mul_f64 v[57:58], v[52:53], v[38:39]
	v_fma_f64 v[34:35], -v[34:35], v[57:58], v[52:53]
	s_delay_alu instid0(VALU_DEP_1) | instskip(NEXT) | instid1(VALU_DEP_1)
	v_div_fmas_f64 v[34:35], v[34:35], v[38:39], v[57:58]
	v_div_fixup_f64 v[38:39], v[34:35], v[32:33], 1.0
                                        ; implicit-def: $vgpr32_vgpr33
	s_delay_alu instid0(VALU_DEP_1)
	v_mul_f64 v[52:53], v[36:37], v[38:39]
	v_xor_b32_e32 v39, 0x80000000, v39
.LBB9_32:
	s_and_not1_saveexec_b32 s3, s3
	s_cbranch_execz .LBB9_34
; %bb.33:
	v_div_scale_f64 v[36:37], null, v[32:33], v[32:33], v[34:35]
	v_div_scale_f64 v[57:58], vcc_lo, v[34:35], v[32:33], v[34:35]
	s_delay_alu instid0(VALU_DEP_2) | instskip(SKIP_2) | instid1(VALU_DEP_1)
	v_rcp_f64_e32 v[38:39], v[36:37]
	s_waitcnt_depctr 0xfff
	v_fma_f64 v[52:53], -v[36:37], v[38:39], 1.0
	v_fma_f64 v[38:39], v[38:39], v[52:53], v[38:39]
	s_delay_alu instid0(VALU_DEP_1) | instskip(NEXT) | instid1(VALU_DEP_1)
	v_fma_f64 v[52:53], -v[36:37], v[38:39], 1.0
	v_fma_f64 v[38:39], v[38:39], v[52:53], v[38:39]
	s_delay_alu instid0(VALU_DEP_1) | instskip(NEXT) | instid1(VALU_DEP_1)
	v_mul_f64 v[52:53], v[57:58], v[38:39]
	v_fma_f64 v[36:37], -v[36:37], v[52:53], v[57:58]
	s_delay_alu instid0(VALU_DEP_1) | instskip(NEXT) | instid1(VALU_DEP_1)
	v_div_fmas_f64 v[36:37], v[36:37], v[38:39], v[52:53]
	v_div_fixup_f64 v[36:37], v[36:37], v[32:33], v[34:35]
	s_delay_alu instid0(VALU_DEP_1) | instskip(NEXT) | instid1(VALU_DEP_1)
	v_fma_f64 v[32:33], v[34:35], v[36:37], v[32:33]
	v_div_scale_f64 v[34:35], null, v[32:33], v[32:33], 1.0
	s_delay_alu instid0(VALU_DEP_1) | instskip(SKIP_2) | instid1(VALU_DEP_1)
	v_rcp_f64_e32 v[38:39], v[34:35]
	s_waitcnt_depctr 0xfff
	v_fma_f64 v[52:53], -v[34:35], v[38:39], 1.0
	v_fma_f64 v[38:39], v[38:39], v[52:53], v[38:39]
	s_delay_alu instid0(VALU_DEP_1) | instskip(NEXT) | instid1(VALU_DEP_1)
	v_fma_f64 v[52:53], -v[34:35], v[38:39], 1.0
	v_fma_f64 v[38:39], v[38:39], v[52:53], v[38:39]
	v_div_scale_f64 v[52:53], vcc_lo, 1.0, v[32:33], 1.0
	s_delay_alu instid0(VALU_DEP_1) | instskip(NEXT) | instid1(VALU_DEP_1)
	v_mul_f64 v[57:58], v[52:53], v[38:39]
	v_fma_f64 v[34:35], -v[34:35], v[57:58], v[52:53]
	s_delay_alu instid0(VALU_DEP_1) | instskip(NEXT) | instid1(VALU_DEP_1)
	v_div_fmas_f64 v[34:35], v[34:35], v[38:39], v[57:58]
	v_div_fixup_f64 v[52:53], v[34:35], v[32:33], 1.0
	s_delay_alu instid0(VALU_DEP_1)
	v_mul_f64 v[38:39], v[36:37], -v[52:53]
.LBB9_34:
	s_or_b32 exec_lo, exec_lo, s3
	ds_store_2addr_b64 v55, v[52:53], v[38:39] offset1:1
.LBB9_35:
	s_or_b32 exec_lo, exec_lo, s4
	s_waitcnt lgkmcnt(0)
	s_barrier
	buffer_gl0_inv
	ds_load_2addr_b64 v[32:35], v55 offset1:1
	s_mov_b32 s3, exec_lo
	v_cmpx_lt_u32_e32 3, v54
	s_cbranch_execz .LBB9_37
; %bb.36:
	s_waitcnt lgkmcnt(0)
	v_mul_f64 v[36:37], v[32:33], v[6:7]
	v_mul_f64 v[6:7], v[34:35], v[6:7]
	s_delay_alu instid0(VALU_DEP_2)
	v_fma_f64 v[52:53], v[34:35], v[4:5], v[36:37]
	ds_load_2addr_b64 v[36:39], v56 offset0:8 offset1:9
	v_fma_f64 v[4:5], v[32:33], v[4:5], -v[6:7]
	s_waitcnt lgkmcnt(0)
	v_mul_f64 v[6:7], v[38:39], v[52:53]
	v_mul_f64 v[56:57], v[36:37], v[52:53]
	s_delay_alu instid0(VALU_DEP_2) | instskip(NEXT) | instid1(VALU_DEP_2)
	v_fma_f64 v[6:7], v[36:37], v[4:5], -v[6:7]
	v_fma_f64 v[36:37], v[38:39], v[4:5], v[56:57]
	s_delay_alu instid0(VALU_DEP_2) | instskip(NEXT) | instid1(VALU_DEP_2)
	v_add_f64 v[0:1], v[0:1], -v[6:7]
	v_add_f64 v[2:3], v[2:3], -v[36:37]
	v_dual_mov_b32 v6, v52 :: v_dual_mov_b32 v7, v53
.LBB9_37:
	s_or_b32 exec_lo, exec_lo, s3
	s_delay_alu instid0(SALU_CYCLE_1)
	s_mov_b32 s4, exec_lo
	s_waitcnt lgkmcnt(0)
	s_barrier
	buffer_gl0_inv
	v_cmpx_eq_u32_e32 4, v54
	s_cbranch_execz .LBB9_44
; %bb.38:
	v_cmp_neq_f64_e32 vcc_lo, 0, v[0:1]
	v_cmp_neq_f64_e64 s3, 0, v[2:3]
	ds_store_2addr_b64 v55, v[0:1], v[2:3] offset1:1
	s_or_b32 s3, vcc_lo, s3
	s_delay_alu instid0(SALU_CYCLE_1)
	s_and_b32 exec_lo, exec_lo, s3
	s_cbranch_execz .LBB9_44
; %bb.39:
	v_cmp_gt_f64_e32 vcc_lo, 0, v[0:1]
	v_cmp_gt_f64_e64 s3, 0, v[2:3]
	v_xor_b32_e32 v36, 0x80000000, v1
	v_xor_b32_e32 v38, 0x80000000, v3
                                        ; implicit-def: $vgpr52_vgpr53
	s_delay_alu instid0(VALU_DEP_2) | instskip(NEXT) | instid1(VALU_DEP_2)
	v_cndmask_b32_e32 v37, v1, v36, vcc_lo
	v_cndmask_b32_e64 v39, v3, v38, s3
	v_cndmask_b32_e32 v36, v0, v0, vcc_lo
	v_cndmask_b32_e64 v38, v2, v2, s3
	s_mov_b32 s3, exec_lo
	s_delay_alu instid0(VALU_DEP_1)
	v_cmpx_ngt_f64_e32 v[36:37], v[38:39]
	s_xor_b32 s3, exec_lo, s3
                                        ; implicit-def: $vgpr36_vgpr37_vgpr38_vgpr39
	s_cbranch_execz .LBB9_41
; %bb.40:
	v_div_scale_f64 v[36:37], null, v[2:3], v[2:3], v[0:1]
	v_div_scale_f64 v[56:57], vcc_lo, v[0:1], v[2:3], v[0:1]
	s_delay_alu instid0(VALU_DEP_2) | instskip(SKIP_2) | instid1(VALU_DEP_1)
	v_rcp_f64_e32 v[38:39], v[36:37]
	s_waitcnt_depctr 0xfff
	v_fma_f64 v[52:53], -v[36:37], v[38:39], 1.0
	v_fma_f64 v[38:39], v[38:39], v[52:53], v[38:39]
	s_delay_alu instid0(VALU_DEP_1) | instskip(NEXT) | instid1(VALU_DEP_1)
	v_fma_f64 v[52:53], -v[36:37], v[38:39], 1.0
	v_fma_f64 v[38:39], v[38:39], v[52:53], v[38:39]
	s_delay_alu instid0(VALU_DEP_1) | instskip(NEXT) | instid1(VALU_DEP_1)
	v_mul_f64 v[52:53], v[56:57], v[38:39]
	v_fma_f64 v[36:37], -v[36:37], v[52:53], v[56:57]
	s_delay_alu instid0(VALU_DEP_1) | instskip(NEXT) | instid1(VALU_DEP_1)
	v_div_fmas_f64 v[36:37], v[36:37], v[38:39], v[52:53]
	v_div_fixup_f64 v[36:37], v[36:37], v[2:3], v[0:1]
	s_delay_alu instid0(VALU_DEP_1) | instskip(NEXT) | instid1(VALU_DEP_1)
	v_fma_f64 v[38:39], v[0:1], v[36:37], v[2:3]
	v_div_scale_f64 v[52:53], null, v[38:39], v[38:39], 1.0
	s_delay_alu instid0(VALU_DEP_1) | instskip(SKIP_2) | instid1(VALU_DEP_1)
	v_rcp_f64_e32 v[56:57], v[52:53]
	s_waitcnt_depctr 0xfff
	v_fma_f64 v[58:59], -v[52:53], v[56:57], 1.0
	v_fma_f64 v[56:57], v[56:57], v[58:59], v[56:57]
	s_delay_alu instid0(VALU_DEP_1) | instskip(NEXT) | instid1(VALU_DEP_1)
	v_fma_f64 v[58:59], -v[52:53], v[56:57], 1.0
	v_fma_f64 v[56:57], v[56:57], v[58:59], v[56:57]
	v_div_scale_f64 v[58:59], vcc_lo, 1.0, v[38:39], 1.0
	s_delay_alu instid0(VALU_DEP_1) | instskip(NEXT) | instid1(VALU_DEP_1)
	v_mul_f64 v[60:61], v[58:59], v[56:57]
	v_fma_f64 v[52:53], -v[52:53], v[60:61], v[58:59]
	s_delay_alu instid0(VALU_DEP_1) | instskip(NEXT) | instid1(VALU_DEP_1)
	v_div_fmas_f64 v[52:53], v[52:53], v[56:57], v[60:61]
	v_div_fixup_f64 v[38:39], v[52:53], v[38:39], 1.0
	s_delay_alu instid0(VALU_DEP_1)
	v_mul_f64 v[52:53], v[36:37], v[38:39]
	v_xor_b32_e32 v39, 0x80000000, v39
.LBB9_41:
	s_and_not1_saveexec_b32 s3, s3
	s_cbranch_execz .LBB9_43
; %bb.42:
	v_div_scale_f64 v[36:37], null, v[0:1], v[0:1], v[2:3]
	v_div_scale_f64 v[56:57], vcc_lo, v[2:3], v[0:1], v[2:3]
	s_delay_alu instid0(VALU_DEP_2) | instskip(SKIP_2) | instid1(VALU_DEP_1)
	v_rcp_f64_e32 v[38:39], v[36:37]
	s_waitcnt_depctr 0xfff
	v_fma_f64 v[52:53], -v[36:37], v[38:39], 1.0
	v_fma_f64 v[38:39], v[38:39], v[52:53], v[38:39]
	s_delay_alu instid0(VALU_DEP_1) | instskip(NEXT) | instid1(VALU_DEP_1)
	v_fma_f64 v[52:53], -v[36:37], v[38:39], 1.0
	v_fma_f64 v[38:39], v[38:39], v[52:53], v[38:39]
	s_delay_alu instid0(VALU_DEP_1) | instskip(NEXT) | instid1(VALU_DEP_1)
	v_mul_f64 v[52:53], v[56:57], v[38:39]
	v_fma_f64 v[36:37], -v[36:37], v[52:53], v[56:57]
	s_delay_alu instid0(VALU_DEP_1) | instskip(NEXT) | instid1(VALU_DEP_1)
	v_div_fmas_f64 v[36:37], v[36:37], v[38:39], v[52:53]
	v_div_fixup_f64 v[36:37], v[36:37], v[0:1], v[2:3]
	s_delay_alu instid0(VALU_DEP_1) | instskip(NEXT) | instid1(VALU_DEP_1)
	v_fma_f64 v[38:39], v[2:3], v[36:37], v[0:1]
	v_div_scale_f64 v[52:53], null, v[38:39], v[38:39], 1.0
	s_delay_alu instid0(VALU_DEP_1) | instskip(SKIP_2) | instid1(VALU_DEP_1)
	v_rcp_f64_e32 v[56:57], v[52:53]
	s_waitcnt_depctr 0xfff
	v_fma_f64 v[58:59], -v[52:53], v[56:57], 1.0
	v_fma_f64 v[56:57], v[56:57], v[58:59], v[56:57]
	s_delay_alu instid0(VALU_DEP_1) | instskip(NEXT) | instid1(VALU_DEP_1)
	v_fma_f64 v[58:59], -v[52:53], v[56:57], 1.0
	v_fma_f64 v[56:57], v[56:57], v[58:59], v[56:57]
	v_div_scale_f64 v[58:59], vcc_lo, 1.0, v[38:39], 1.0
	s_delay_alu instid0(VALU_DEP_1) | instskip(NEXT) | instid1(VALU_DEP_1)
	v_mul_f64 v[60:61], v[58:59], v[56:57]
	v_fma_f64 v[52:53], -v[52:53], v[60:61], v[58:59]
	s_delay_alu instid0(VALU_DEP_1) | instskip(NEXT) | instid1(VALU_DEP_1)
	v_div_fmas_f64 v[52:53], v[52:53], v[56:57], v[60:61]
	v_div_fixup_f64 v[52:53], v[52:53], v[38:39], 1.0
	s_delay_alu instid0(VALU_DEP_1)
	v_mul_f64 v[38:39], v[36:37], -v[52:53]
.LBB9_43:
	s_or_b32 exec_lo, exec_lo, s3
	ds_store_2addr_b64 v55, v[52:53], v[38:39] offset1:1
.LBB9_44:
	s_or_b32 exec_lo, exec_lo, s4
	s_waitcnt lgkmcnt(0)
	s_barrier
	buffer_gl0_inv
	ds_load_2addr_b64 v[36:39], v55 offset1:1
	s_mov_b32 s3, exec_lo
	v_cmpx_lt_u32_e32 4, v54
	s_cbranch_execz .LBB9_46
; %bb.45:
	s_waitcnt lgkmcnt(0)
	v_mul_f64 v[52:53], v[38:39], v[2:3]
	v_mul_f64 v[2:3], v[36:37], v[2:3]
	s_delay_alu instid0(VALU_DEP_2) | instskip(NEXT) | instid1(VALU_DEP_2)
	v_fma_f64 v[52:53], v[36:37], v[0:1], -v[52:53]
	v_fma_f64 v[2:3], v[38:39], v[0:1], v[2:3]
	s_delay_alu instid0(VALU_DEP_2)
	v_dual_mov_b32 v0, v52 :: v_dual_mov_b32 v1, v53
.LBB9_46:
	s_or_b32 exec_lo, exec_lo, s3
	s_waitcnt lgkmcnt(0)
	s_barrier
	buffer_gl0_inv
	s_and_saveexec_b32 s10, s2
	s_cbranch_execz .LBB9_49
; %bb.47:
	s_load_b64 s[0:1], s[0:1], 0x28
	v_lshlrev_b64 v[40:41], 2, v[40:41]
	v_cmp_neq_f64_e64 s2, 0, v[26:27]
	v_cmp_eq_f64_e64 s3, 0, v[28:29]
	v_cmp_eq_f64_e64 s4, 0, v[30:31]
	;; [unrolled: 1-line block ×6, first 2 shown]
	s_waitcnt lgkmcnt(0)
	v_add_co_u32 v40, vcc_lo, s0, v40
	v_add_co_ci_u32_e32 v41, vcc_lo, s1, v41, vcc_lo
	v_cmp_eq_f64_e32 vcc_lo, 0, v[20:21]
	v_cmp_eq_f64_e64 s0, 0, v[22:23]
	v_cmp_neq_f64_e64 s1, 0, v[24:25]
	global_load_b32 v52, v[40:41], off
	s_and_b32 s0, vcc_lo, s0
	s_or_b32 s1, s1, s2
	v_cndmask_b32_e64 v20, 0, 1, s0
	s_or_b32 vcc_lo, s1, s0
	s_and_b32 s0, s3, s4
	s_delay_alu instid0(VALU_DEP_1) | instskip(NEXT) | instid1(VALU_DEP_1)
	v_cndmask_b32_e32 v20, 2, v20, vcc_lo
	v_cmp_eq_u32_e32 vcc_lo, 0, v20
	s_and_b32 s0, s0, vcc_lo
	s_delay_alu instid0(SALU_CYCLE_1) | instskip(SKIP_1) | instid1(VALU_DEP_1)
	v_cndmask_b32_e64 v20, v20, 3, s0
	s_and_b32 s0, s5, s6
	v_cmp_eq_u32_e32 vcc_lo, 0, v20
	s_and_b32 s0, s0, vcc_lo
	s_delay_alu instid0(SALU_CYCLE_1) | instskip(SKIP_1) | instid1(VALU_DEP_1)
	v_cndmask_b32_e64 v20, v20, 4, s0
	s_and_b32 s0, s7, s8
	v_cmp_eq_u32_e32 vcc_lo, 0, v20
	s_and_b32 s0, s0, vcc_lo
	s_delay_alu instid0(SALU_CYCLE_1) | instskip(NEXT) | instid1(VALU_DEP_1)
	v_cndmask_b32_e64 v20, v20, 5, s0
	v_cmp_ne_u32_e64 s0, 0, v20
	s_waitcnt vmcnt(0)
	v_cmp_eq_u32_e32 vcc_lo, 0, v52
	s_delay_alu instid0(VALU_DEP_2) | instskip(NEXT) | instid1(SALU_CYCLE_1)
	s_and_b32 s0, vcc_lo, s0
	s_and_b32 exec_lo, exec_lo, s0
	s_cbranch_execz .LBB9_49
; %bb.48:
	v_add_nc_u32_e32 v20, s9, v20
	global_store_b32 v[40:41], v20, off
.LBB9_49:
	s_or_b32 exec_lo, exec_lo, s10
	s_clause 0x4
	global_store_b128 v[50:51], v[16:19], off
	global_store_b128 v[48:49], v[12:15], off
	;; [unrolled: 1-line block ×5, first 2 shown]
.LBB9_50:
	s_nop 0
	s_sendmsg sendmsg(MSG_DEALLOC_VGPRS)
	s_endpgm
	.section	.rodata,"a",@progbits
	.p2align	6, 0x0
	.amdhsa_kernel _ZN9rocsolver6v33100L23getf2_npvt_small_kernelILi5E19rocblas_complex_numIdEiiPKPS3_EEvT1_T3_lS7_lPT2_S7_S7_
		.amdhsa_group_segment_fixed_size 0
		.amdhsa_private_segment_fixed_size 0
		.amdhsa_kernarg_size 312
		.amdhsa_user_sgpr_count 14
		.amdhsa_user_sgpr_dispatch_ptr 0
		.amdhsa_user_sgpr_queue_ptr 0
		.amdhsa_user_sgpr_kernarg_segment_ptr 1
		.amdhsa_user_sgpr_dispatch_id 0
		.amdhsa_user_sgpr_private_segment_size 0
		.amdhsa_wavefront_size32 1
		.amdhsa_uses_dynamic_stack 0
		.amdhsa_enable_private_segment 0
		.amdhsa_system_sgpr_workgroup_id_x 1
		.amdhsa_system_sgpr_workgroup_id_y 1
		.amdhsa_system_sgpr_workgroup_id_z 0
		.amdhsa_system_sgpr_workgroup_info 0
		.amdhsa_system_vgpr_workitem_id 1
		.amdhsa_next_free_vgpr 71
		.amdhsa_next_free_sgpr 16
		.amdhsa_reserve_vcc 1
		.amdhsa_float_round_mode_32 0
		.amdhsa_float_round_mode_16_64 0
		.amdhsa_float_denorm_mode_32 3
		.amdhsa_float_denorm_mode_16_64 3
		.amdhsa_dx10_clamp 1
		.amdhsa_ieee_mode 1
		.amdhsa_fp16_overflow 0
		.amdhsa_workgroup_processor_mode 1
		.amdhsa_memory_ordered 1
		.amdhsa_forward_progress 0
		.amdhsa_shared_vgpr_count 0
		.amdhsa_exception_fp_ieee_invalid_op 0
		.amdhsa_exception_fp_denorm_src 0
		.amdhsa_exception_fp_ieee_div_zero 0
		.amdhsa_exception_fp_ieee_overflow 0
		.amdhsa_exception_fp_ieee_underflow 0
		.amdhsa_exception_fp_ieee_inexact 0
		.amdhsa_exception_int_div_zero 0
	.end_amdhsa_kernel
	.section	.text._ZN9rocsolver6v33100L23getf2_npvt_small_kernelILi5E19rocblas_complex_numIdEiiPKPS3_EEvT1_T3_lS7_lPT2_S7_S7_,"axG",@progbits,_ZN9rocsolver6v33100L23getf2_npvt_small_kernelILi5E19rocblas_complex_numIdEiiPKPS3_EEvT1_T3_lS7_lPT2_S7_S7_,comdat
.Lfunc_end9:
	.size	_ZN9rocsolver6v33100L23getf2_npvt_small_kernelILi5E19rocblas_complex_numIdEiiPKPS3_EEvT1_T3_lS7_lPT2_S7_S7_, .Lfunc_end9-_ZN9rocsolver6v33100L23getf2_npvt_small_kernelILi5E19rocblas_complex_numIdEiiPKPS3_EEvT1_T3_lS7_lPT2_S7_S7_
                                        ; -- End function
	.section	.AMDGPU.csdata,"",@progbits
; Kernel info:
; codeLenInByte = 5104
; NumSgprs: 18
; NumVgprs: 71
; ScratchSize: 0
; MemoryBound: 0
; FloatMode: 240
; IeeeMode: 1
; LDSByteSize: 0 bytes/workgroup (compile time only)
; SGPRBlocks: 2
; VGPRBlocks: 8
; NumSGPRsForWavesPerEU: 18
; NumVGPRsForWavesPerEU: 71
; Occupancy: 16
; WaveLimiterHint : 1
; COMPUTE_PGM_RSRC2:SCRATCH_EN: 0
; COMPUTE_PGM_RSRC2:USER_SGPR: 14
; COMPUTE_PGM_RSRC2:TRAP_HANDLER: 0
; COMPUTE_PGM_RSRC2:TGID_X_EN: 1
; COMPUTE_PGM_RSRC2:TGID_Y_EN: 1
; COMPUTE_PGM_RSRC2:TGID_Z_EN: 0
; COMPUTE_PGM_RSRC2:TIDIG_COMP_CNT: 1
	.section	.text._ZN9rocsolver6v33100L18getf2_small_kernelILi6E19rocblas_complex_numIdEiiPKPS3_EEvT1_T3_lS7_lPS7_llPT2_S7_S7_S9_l,"axG",@progbits,_ZN9rocsolver6v33100L18getf2_small_kernelILi6E19rocblas_complex_numIdEiiPKPS3_EEvT1_T3_lS7_lPS7_llPT2_S7_S7_S9_l,comdat
	.globl	_ZN9rocsolver6v33100L18getf2_small_kernelILi6E19rocblas_complex_numIdEiiPKPS3_EEvT1_T3_lS7_lPS7_llPT2_S7_S7_S9_l ; -- Begin function _ZN9rocsolver6v33100L18getf2_small_kernelILi6E19rocblas_complex_numIdEiiPKPS3_EEvT1_T3_lS7_lPS7_llPT2_S7_S7_S9_l
	.p2align	8
	.type	_ZN9rocsolver6v33100L18getf2_small_kernelILi6E19rocblas_complex_numIdEiiPKPS3_EEvT1_T3_lS7_lPS7_llPT2_S7_S7_S9_l,@function
_ZN9rocsolver6v33100L18getf2_small_kernelILi6E19rocblas_complex_numIdEiiPKPS3_EEvT1_T3_lS7_lPS7_llPT2_S7_S7_S9_l: ; @_ZN9rocsolver6v33100L18getf2_small_kernelILi6E19rocblas_complex_numIdEiiPKPS3_EEvT1_T3_lS7_lPS7_llPT2_S7_S7_S9_l
; %bb.0:
	s_clause 0x1
	s_load_b32 s2, s[0:1], 0x6c
	s_load_b64 s[12:13], s[0:1], 0x48
	v_bfe_u32 v24, v0, 10, 10
	s_waitcnt lgkmcnt(0)
	s_lshr_b32 s2, s2, 16
	s_delay_alu instid0(VALU_DEP_1) | instid1(SALU_CYCLE_1)
	v_mad_u64_u32 v[28:29], null, s15, s2, v[24:25]
	s_mov_b32 s2, exec_lo
	s_delay_alu instid0(VALU_DEP_1)
	v_cmpx_gt_i32_e64 s12, v28
	s_cbranch_execz .LBB10_129
; %bb.1:
	s_clause 0x1
	s_load_b128 s[4:7], s[0:1], 0x8
	s_load_b128 s[8:11], s[0:1], 0x50
	v_ashrrev_i32_e32 v29, 31, v28
	v_mov_b32_e32 v30, 0
	v_mov_b32_e32 v31, 0
	s_delay_alu instid0(VALU_DEP_3) | instskip(SKIP_1) | instid1(VALU_DEP_1)
	v_lshlrev_b64 v[1:2], 3, v[28:29]
	s_waitcnt lgkmcnt(0)
	v_add_co_u32 v1, vcc_lo, s4, v1
	s_delay_alu instid0(VALU_DEP_2)
	v_add_co_ci_u32_e32 v2, vcc_lo, s5, v2, vcc_lo
	s_cmp_eq_u64 s[8:9], 0
	s_cselect_b32 s4, -1, 0
	global_load_b64 v[1:2], v[1:2], off
	s_and_b32 vcc_lo, exec_lo, s4
	s_cbranch_vccnz .LBB10_3
; %bb.2:
	v_mul_lo_u32 v5, v29, s10
	v_mul_lo_u32 v6, v28, s11
	v_mad_u64_u32 v[3:4], null, v28, s10, 0
	s_delay_alu instid0(VALU_DEP_1) | instskip(NEXT) | instid1(VALU_DEP_1)
	v_add3_u32 v4, v4, v6, v5
	v_lshlrev_b64 v[3:4], 2, v[3:4]
	s_delay_alu instid0(VALU_DEP_1) | instskip(NEXT) | instid1(VALU_DEP_2)
	v_add_co_u32 v30, vcc_lo, s8, v3
	v_add_co_ci_u32_e32 v31, vcc_lo, s9, v4, vcc_lo
.LBB10_3:
	s_clause 0x1
	s_load_b32 s8, s[0:1], 0x18
	s_load_b32 s5, s[0:1], 0x0
	v_dual_mov_b32 v32, 0 :: v_dual_and_b32 v37, 0x3ff, v0
	s_lshl_b64 s[2:3], s[6:7], 4
	s_waitcnt vmcnt(0)
	v_add_co_u32 v35, vcc_lo, v1, s2
	s_delay_alu instid0(VALU_DEP_2) | instskip(SKIP_1) | instid1(VALU_DEP_2)
	v_lshlrev_b32_e32 v27, 4, v37
	v_add_co_ci_u32_e32 v36, vcc_lo, s3, v2, vcc_lo
	v_add_co_u32 v2, vcc_lo, v35, v27
	s_delay_alu instid0(VALU_DEP_2)
	v_add_co_ci_u32_e32 v3, vcc_lo, 0, v36, vcc_lo
	global_load_b128 v[4:7], v[2:3], off
	s_waitcnt lgkmcnt(0)
	v_add3_u32 v0, s8, s8, v37
	s_ashr_i32 s9, s8, 31
	s_max_i32 s2, s5, 6
	s_lshl_b64 s[10:11], s[8:9], 4
	v_mul_lo_u32 v33, s2, v24
	v_add_nc_u32_e32 v8, s8, v0
	v_ashrrev_i32_e32 v1, 31, v0
	v_add_co_u32 v2, vcc_lo, v2, s10
	v_add_co_ci_u32_e32 v3, vcc_lo, s11, v3, vcc_lo
	s_delay_alu instid0(VALU_DEP_4)
	v_add_nc_u32_e32 v10, s8, v8
	v_ashrrev_i32_e32 v9, 31, v8
	v_lshlrev_b64 v[0:1], 4, v[0:1]
	v_lshl_add_u32 v34, v33, 4, 0
	v_lshlrev_b32_e32 v39, 4, v33
	v_add_nc_u32_e32 v12, s8, v10
	v_ashrrev_i32_e32 v11, 31, v10
	v_lshlrev_b64 v[8:9], 4, v[8:9]
	v_add_co_u32 v0, vcc_lo, v35, v0
	s_delay_alu instid0(VALU_DEP_4) | instskip(NEXT) | instid1(VALU_DEP_4)
	v_ashrrev_i32_e32 v13, 31, v12
	v_lshlrev_b64 v[10:11], 4, v[10:11]
	v_add_co_ci_u32_e32 v1, vcc_lo, v36, v1, vcc_lo
	v_add_co_u32 v8, vcc_lo, v35, v8
	s_delay_alu instid0(VALU_DEP_4) | instskip(SKIP_3) | instid1(VALU_DEP_4)
	v_lshlrev_b64 v[12:13], 4, v[12:13]
	v_add_co_ci_u32_e32 v9, vcc_lo, v36, v9, vcc_lo
	v_add_co_u32 v10, vcc_lo, v35, v10
	v_add_co_ci_u32_e32 v11, vcc_lo, v36, v11, vcc_lo
	v_add_co_u32 v25, vcc_lo, v35, v12
	v_add_co_ci_u32_e32 v26, vcc_lo, v36, v13, vcc_lo
	s_clause 0x4
	global_load_b128 v[20:23], v[2:3], off
	global_load_b128 v[16:19], v[0:1], off
	;; [unrolled: 1-line block ×5, first 2 shown]
	v_add_nc_u32_e32 v24, v34, v27
	s_cmp_lt_i32 s5, 2
	s_waitcnt vmcnt(5)
	ds_store_2addr_b64 v24, v[4:5], v[6:7] offset1:1
	s_waitcnt vmcnt(0) lgkmcnt(0)
	s_barrier
	buffer_gl0_inv
	ds_load_2addr_b64 v[24:27], v34 offset1:1
	s_cbranch_scc1 .LBB10_6
; %bb.4:
	v_add3_u32 v33, v39, 0, 16
	v_mov_b32_e32 v32, 0
	s_mov_b32 s6, 1
	s_set_inst_prefetch_distance 0x1
	.p2align	6
.LBB10_5:                               ; =>This Inner Loop Header: Depth=1
	ds_load_2addr_b64 v[40:43], v33 offset1:1
	s_waitcnt lgkmcnt(1)
	v_cmp_gt_f64_e32 vcc_lo, 0, v[24:25]
	v_xor_b32_e32 v38, 0x80000000, v25
	v_cmp_gt_f64_e64 s2, 0, v[26:27]
	v_xor_b32_e32 v44, 0x80000000, v27
	v_add_nc_u32_e32 v33, 16, v33
	s_waitcnt lgkmcnt(0)
	v_cmp_gt_f64_e64 s3, 0, v[40:41]
	v_mov_b32_e32 v48, v40
	v_dual_mov_b32 v50, v42 :: v_dual_cndmask_b32 v45, v25, v38
	v_xor_b32_e32 v38, 0x80000000, v41
	v_cndmask_b32_e64 v47, v27, v44, s2
	v_xor_b32_e32 v44, 0x80000000, v43
	v_cndmask_b32_e64 v46, v26, v26, s2
	s_delay_alu instid0(VALU_DEP_4) | instskip(SKIP_1) | instid1(VALU_DEP_1)
	v_cndmask_b32_e64 v49, v41, v38, s3
	v_cmp_gt_f64_e64 s3, 0, v[42:43]
	v_cndmask_b32_e64 v51, v43, v44, s3
	v_cndmask_b32_e32 v44, v24, v24, vcc_lo
	s_delay_alu instid0(VALU_DEP_2) | instskip(NEXT) | instid1(VALU_DEP_2)
	v_add_f64 v[48:49], v[48:49], v[50:51]
	v_add_f64 v[44:45], v[44:45], v[46:47]
	s_delay_alu instid0(VALU_DEP_1)
	v_cmp_lt_f64_e32 vcc_lo, v[44:45], v[48:49]
	v_cndmask_b32_e32 v27, v27, v43, vcc_lo
	v_dual_cndmask_b32 v25, v25, v41 :: v_dual_cndmask_b32 v24, v24, v40
	v_cndmask_b32_e32 v26, v26, v42, vcc_lo
	v_cndmask_b32_e64 v32, v32, s6, vcc_lo
	s_add_i32 s6, s6, 1
	s_delay_alu instid0(SALU_CYCLE_1)
	s_cmp_eq_u32 s5, s6
	s_cbranch_scc0 .LBB10_5
.LBB10_6:
	s_set_inst_prefetch_distance 0x2
	s_waitcnt lgkmcnt(0)
	v_cmp_neq_f64_e32 vcc_lo, 0, v[24:25]
	v_cmp_neq_f64_e64 s2, 0, v[26:27]
	v_dual_mov_b32 v38, 1 :: v_dual_mov_b32 v41, 1
	s_delay_alu instid0(VALU_DEP_2) | instskip(NEXT) | instid1(SALU_CYCLE_1)
	s_or_b32 s2, vcc_lo, s2
	s_and_saveexec_b32 s3, s2
	s_cbranch_execz .LBB10_12
; %bb.7:
	v_cmp_gt_f64_e32 vcc_lo, 0, v[24:25]
	v_cmp_gt_f64_e64 s2, 0, v[26:27]
	v_xor_b32_e32 v33, 0x80000000, v25
	v_xor_b32_e32 v38, 0x80000000, v27
                                        ; implicit-def: $sgpr6
                                        ; implicit-def: $sgpr7
	s_delay_alu instid0(VALU_DEP_2) | instskip(NEXT) | instid1(VALU_DEP_2)
	v_dual_cndmask_b32 v41, v25, v33 :: v_dual_cndmask_b32 v40, v24, v24
	v_cndmask_b32_e64 v43, v27, v38, s2
	v_cndmask_b32_e64 v42, v26, v26, s2
	s_mov_b32 s2, exec_lo
	s_delay_alu instid0(VALU_DEP_1)
	v_cmpx_ngt_f64_e32 v[40:41], v[42:43]
	s_xor_b32 s2, exec_lo, s2
	s_cbranch_execz .LBB10_9
; %bb.8:
	v_div_scale_f64 v[40:41], null, v[26:27], v[26:27], v[24:25]
	v_div_scale_f64 v[46:47], vcc_lo, v[24:25], v[26:27], v[24:25]
	s_mov_b32 s7, 2
	s_mov_b32 s6, 0
	s_delay_alu instid0(VALU_DEP_2) | instskip(SKIP_2) | instid1(VALU_DEP_1)
	v_rcp_f64_e32 v[42:43], v[40:41]
	s_waitcnt_depctr 0xfff
	v_fma_f64 v[44:45], -v[40:41], v[42:43], 1.0
	v_fma_f64 v[42:43], v[42:43], v[44:45], v[42:43]
	s_delay_alu instid0(VALU_DEP_1) | instskip(NEXT) | instid1(VALU_DEP_1)
	v_fma_f64 v[44:45], -v[40:41], v[42:43], 1.0
	v_fma_f64 v[42:43], v[42:43], v[44:45], v[42:43]
	s_delay_alu instid0(VALU_DEP_1) | instskip(NEXT) | instid1(VALU_DEP_1)
	v_mul_f64 v[44:45], v[46:47], v[42:43]
	v_fma_f64 v[40:41], -v[40:41], v[44:45], v[46:47]
	s_delay_alu instid0(VALU_DEP_1) | instskip(NEXT) | instid1(VALU_DEP_1)
	v_div_fmas_f64 v[40:41], v[40:41], v[42:43], v[44:45]
	v_div_fixup_f64 v[40:41], v[40:41], v[26:27], v[24:25]
	s_delay_alu instid0(VALU_DEP_1) | instskip(NEXT) | instid1(VALU_DEP_1)
	v_fma_f64 v[24:25], v[24:25], v[40:41], v[26:27]
	v_div_scale_f64 v[26:27], null, v[24:25], v[24:25], 1.0
	s_delay_alu instid0(VALU_DEP_1) | instskip(SKIP_2) | instid1(VALU_DEP_1)
	v_rcp_f64_e32 v[42:43], v[26:27]
	s_waitcnt_depctr 0xfff
	v_fma_f64 v[44:45], -v[26:27], v[42:43], 1.0
	v_fma_f64 v[42:43], v[42:43], v[44:45], v[42:43]
	s_delay_alu instid0(VALU_DEP_1) | instskip(NEXT) | instid1(VALU_DEP_1)
	v_fma_f64 v[44:45], -v[26:27], v[42:43], 1.0
	v_fma_f64 v[42:43], v[42:43], v[44:45], v[42:43]
	v_div_scale_f64 v[44:45], vcc_lo, 1.0, v[24:25], 1.0
	s_delay_alu instid0(VALU_DEP_1) | instskip(NEXT) | instid1(VALU_DEP_1)
	v_mul_f64 v[46:47], v[44:45], v[42:43]
	v_fma_f64 v[26:27], -v[26:27], v[46:47], v[44:45]
	s_delay_alu instid0(VALU_DEP_1) | instskip(NEXT) | instid1(VALU_DEP_1)
	v_div_fmas_f64 v[26:27], v[26:27], v[42:43], v[46:47]
	v_div_fixup_f64 v[26:27], v[26:27], v[24:25], 1.0
	s_delay_alu instid0(VALU_DEP_1)
	v_mul_f64 v[24:25], v[40:41], v[26:27]
	v_xor_b32_e32 v27, 0x80000000, v27
.LBB10_9:
	s_or_saveexec_b32 s2, s2
	v_dual_mov_b32 v41, s6 :: v_dual_mov_b32 v38, s7
	s_xor_b32 exec_lo, exec_lo, s2
	s_cbranch_execz .LBB10_11
; %bb.10:
	s_delay_alu instid0(VALU_DEP_3) | instskip(SKIP_2) | instid1(VALU_DEP_3)
	v_div_scale_f64 v[40:41], null, v[24:25], v[24:25], v[26:27]
	v_div_scale_f64 v[46:47], vcc_lo, v[26:27], v[24:25], v[26:27]
	v_mov_b32_e32 v38, 2
	v_rcp_f64_e32 v[42:43], v[40:41]
	s_waitcnt_depctr 0xfff
	v_fma_f64 v[44:45], -v[40:41], v[42:43], 1.0
	s_delay_alu instid0(VALU_DEP_1) | instskip(NEXT) | instid1(VALU_DEP_1)
	v_fma_f64 v[42:43], v[42:43], v[44:45], v[42:43]
	v_fma_f64 v[44:45], -v[40:41], v[42:43], 1.0
	s_delay_alu instid0(VALU_DEP_1) | instskip(NEXT) | instid1(VALU_DEP_1)
	v_fma_f64 v[42:43], v[42:43], v[44:45], v[42:43]
	v_mul_f64 v[44:45], v[46:47], v[42:43]
	s_delay_alu instid0(VALU_DEP_1) | instskip(NEXT) | instid1(VALU_DEP_1)
	v_fma_f64 v[40:41], -v[40:41], v[44:45], v[46:47]
	v_div_fmas_f64 v[40:41], v[40:41], v[42:43], v[44:45]
	s_delay_alu instid0(VALU_DEP_1) | instskip(NEXT) | instid1(VALU_DEP_1)
	v_div_fixup_f64 v[40:41], v[40:41], v[24:25], v[26:27]
	v_fma_f64 v[24:25], v[26:27], v[40:41], v[24:25]
	s_delay_alu instid0(VALU_DEP_1) | instskip(NEXT) | instid1(VALU_DEP_1)
	v_div_scale_f64 v[26:27], null, v[24:25], v[24:25], 1.0
	v_rcp_f64_e32 v[42:43], v[26:27]
	s_waitcnt_depctr 0xfff
	v_fma_f64 v[44:45], -v[26:27], v[42:43], 1.0
	s_delay_alu instid0(VALU_DEP_1) | instskip(NEXT) | instid1(VALU_DEP_1)
	v_fma_f64 v[42:43], v[42:43], v[44:45], v[42:43]
	v_fma_f64 v[44:45], -v[26:27], v[42:43], 1.0
	s_delay_alu instid0(VALU_DEP_1) | instskip(SKIP_1) | instid1(VALU_DEP_1)
	v_fma_f64 v[42:43], v[42:43], v[44:45], v[42:43]
	v_div_scale_f64 v[44:45], vcc_lo, 1.0, v[24:25], 1.0
	v_mul_f64 v[46:47], v[44:45], v[42:43]
	s_delay_alu instid0(VALU_DEP_1) | instskip(NEXT) | instid1(VALU_DEP_1)
	v_fma_f64 v[26:27], -v[26:27], v[46:47], v[44:45]
	v_div_fmas_f64 v[26:27], v[26:27], v[42:43], v[46:47]
	s_delay_alu instid0(VALU_DEP_1) | instskip(NEXT) | instid1(VALU_DEP_1)
	v_div_fixup_f64 v[24:25], v[26:27], v[24:25], 1.0
	v_mul_f64 v[26:27], v[40:41], -v[24:25]
	v_mov_b32_e32 v41, 0
.LBB10_11:
	s_or_b32 exec_lo, exec_lo, s2
.LBB10_12:
	s_delay_alu instid0(SALU_CYCLE_1) | instskip(NEXT) | instid1(SALU_CYCLE_1)
	s_or_b32 exec_lo, exec_lo, s3
	s_mov_b32 s2, exec_lo
	v_cmpx_ne_u32_e64 v37, v32
	s_xor_b32 s2, exec_lo, s2
	s_cbranch_execz .LBB10_18
; %bb.13:
	s_mov_b32 s3, exec_lo
	v_cmpx_eq_u32_e32 0, v37
	s_cbranch_execz .LBB10_17
; %bb.14:
	v_cmp_ne_u32_e32 vcc_lo, 0, v32
	s_xor_b32 s6, s4, -1
	s_delay_alu instid0(SALU_CYCLE_1) | instskip(NEXT) | instid1(SALU_CYCLE_1)
	s_and_b32 s7, s6, vcc_lo
	s_and_saveexec_b32 s6, s7
	s_cbranch_execz .LBB10_16
; %bb.15:
	v_ashrrev_i32_e32 v33, 31, v32
	s_delay_alu instid0(VALU_DEP_1) | instskip(NEXT) | instid1(VALU_DEP_1)
	v_lshlrev_b64 v[42:43], 2, v[32:33]
	v_add_co_u32 v42, vcc_lo, v30, v42
	s_delay_alu instid0(VALU_DEP_2)
	v_add_co_ci_u32_e32 v43, vcc_lo, v31, v43, vcc_lo
	s_clause 0x1
	flat_load_b32 v33, v[42:43]
	flat_load_b32 v37, v[30:31]
	s_waitcnt vmcnt(1) lgkmcnt(1)
	flat_store_b32 v[30:31], v33
	s_waitcnt vmcnt(0) lgkmcnt(1)
	flat_store_b32 v[42:43], v37
.LBB10_16:
	s_or_b32 exec_lo, exec_lo, s6
	v_mov_b32_e32 v37, v32
.LBB10_17:
	s_or_b32 exec_lo, exec_lo, s3
.LBB10_18:
	s_or_saveexec_b32 s2, s2
	s_delay_alu instid0(VALU_DEP_1)
	v_mov_b32_e32 v40, v37
	s_xor_b32 exec_lo, exec_lo, s2
	s_cbranch_execz .LBB10_20
; %bb.19:
	v_mov_b32_e32 v40, 0
	ds_store_2addr_b64 v34, v[20:21], v[22:23] offset0:2 offset1:3
	ds_store_2addr_b64 v34, v[16:17], v[18:19] offset0:4 offset1:5
	;; [unrolled: 1-line block ×5, first 2 shown]
.LBB10_20:
	s_or_b32 exec_lo, exec_lo, s2
	s_delay_alu instid0(SALU_CYCLE_1)
	s_mov_b32 s2, exec_lo
	s_waitcnt lgkmcnt(0)
	s_waitcnt_vscnt null, 0x0
	s_barrier
	buffer_gl0_inv
	v_cmpx_lt_i32_e32 0, v40
	s_cbranch_execz .LBB10_22
; %bb.21:
	v_mul_f64 v[32:33], v[24:25], v[6:7]
	v_mul_f64 v[6:7], v[26:27], v[6:7]
	ds_load_2addr_b64 v[42:45], v34 offset0:2 offset1:3
	ds_load_2addr_b64 v[46:49], v34 offset0:4 offset1:5
	;; [unrolled: 1-line block ×5, first 2 shown]
	v_fma_f64 v[26:27], v[26:27], v[4:5], v[32:33]
	v_fma_f64 v[4:5], v[24:25], v[4:5], -v[6:7]
	s_waitcnt lgkmcnt(4)
	s_delay_alu instid0(VALU_DEP_2)
	v_mul_f64 v[6:7], v[44:45], v[26:27]
	v_mul_f64 v[24:25], v[42:43], v[26:27]
	s_waitcnt lgkmcnt(3)
	v_mul_f64 v[32:33], v[48:49], v[26:27]
	v_mul_f64 v[62:63], v[46:47], v[26:27]
	s_waitcnt lgkmcnt(2)
	;; [unrolled: 3-line block ×4, first 2 shown]
	v_mul_f64 v[72:73], v[60:61], v[26:27]
	v_mul_f64 v[74:75], v[58:59], v[26:27]
	v_fma_f64 v[6:7], v[42:43], v[4:5], -v[6:7]
	v_fma_f64 v[24:25], v[44:45], v[4:5], v[24:25]
	v_fma_f64 v[32:33], v[46:47], v[4:5], -v[32:33]
	v_fma_f64 v[42:43], v[48:49], v[4:5], v[62:63]
	;; [unrolled: 2-line block ×5, first 2 shown]
	v_add_f64 v[20:21], v[20:21], -v[6:7]
	v_add_f64 v[22:23], v[22:23], -v[24:25]
	;; [unrolled: 1-line block ×10, first 2 shown]
	v_dual_mov_b32 v6, v26 :: v_dual_mov_b32 v7, v27
.LBB10_22:
	s_or_b32 exec_lo, exec_lo, s2
	v_lshl_add_u32 v24, v40, 4, v34
	s_barrier
	buffer_gl0_inv
	v_mov_b32_e32 v32, 1
	ds_store_2addr_b64 v24, v[20:21], v[22:23] offset1:1
	s_waitcnt lgkmcnt(0)
	s_barrier
	buffer_gl0_inv
	ds_load_2addr_b64 v[24:27], v34 offset0:2 offset1:3
	s_cmp_lt_i32 s5, 3
	s_cbranch_scc1 .LBB10_25
; %bb.23:
	v_add3_u32 v33, v39, 0, 32
	v_mov_b32_e32 v32, 1
	s_mov_b32 s6, 2
	s_set_inst_prefetch_distance 0x1
	.p2align	6
.LBB10_24:                              ; =>This Inner Loop Header: Depth=1
	ds_load_2addr_b64 v[42:45], v33 offset1:1
	s_waitcnt lgkmcnt(1)
	v_cmp_gt_f64_e32 vcc_lo, 0, v[24:25]
	v_xor_b32_e32 v46, 0x80000000, v25
	v_cmp_gt_f64_e64 s2, 0, v[26:27]
	v_xor_b32_e32 v48, 0x80000000, v27
	v_add_nc_u32_e32 v33, 16, v33
	s_waitcnt lgkmcnt(0)
	v_cmp_gt_f64_e64 s3, 0, v[42:43]
	v_mov_b32_e32 v50, v42
	v_dual_mov_b32 v52, v44 :: v_dual_cndmask_b32 v47, v25, v46
	v_xor_b32_e32 v46, 0x80000000, v43
	v_cndmask_b32_e64 v49, v27, v48, s2
	v_xor_b32_e32 v48, 0x80000000, v45
	s_delay_alu instid0(VALU_DEP_3) | instskip(SKIP_2) | instid1(VALU_DEP_2)
	v_cndmask_b32_e64 v51, v43, v46, s3
	v_cmp_gt_f64_e64 s3, 0, v[44:45]
	v_cndmask_b32_e32 v46, v24, v24, vcc_lo
	v_cndmask_b32_e64 v53, v45, v48, s3
	v_cndmask_b32_e64 v48, v26, v26, s2
	s_delay_alu instid0(VALU_DEP_2) | instskip(NEXT) | instid1(VALU_DEP_2)
	v_add_f64 v[50:51], v[50:51], v[52:53]
	v_add_f64 v[46:47], v[46:47], v[48:49]
	s_delay_alu instid0(VALU_DEP_1)
	v_cmp_lt_f64_e32 vcc_lo, v[46:47], v[50:51]
	v_cndmask_b32_e32 v27, v27, v45, vcc_lo
	v_dual_cndmask_b32 v25, v25, v43 :: v_dual_cndmask_b32 v24, v24, v42
	v_cndmask_b32_e32 v26, v26, v44, vcc_lo
	v_cndmask_b32_e64 v32, v32, s6, vcc_lo
	s_add_i32 s6, s6, 1
	s_delay_alu instid0(SALU_CYCLE_1)
	s_cmp_lg_u32 s5, s6
	s_cbranch_scc1 .LBB10_24
.LBB10_25:
	s_set_inst_prefetch_distance 0x2
	s_waitcnt lgkmcnt(0)
	v_cmp_neq_f64_e32 vcc_lo, 0, v[24:25]
	v_cmp_neq_f64_e64 s2, 0, v[26:27]
	s_delay_alu instid0(VALU_DEP_1) | instskip(NEXT) | instid1(SALU_CYCLE_1)
	s_or_b32 s2, vcc_lo, s2
	s_and_saveexec_b32 s3, s2
	s_cbranch_execz .LBB10_31
; %bb.26:
	v_cmp_gt_f64_e32 vcc_lo, 0, v[24:25]
	v_cmp_gt_f64_e64 s2, 0, v[26:27]
	v_xor_b32_e32 v33, 0x80000000, v25
	v_xor_b32_e32 v38, 0x80000000, v27
	s_delay_alu instid0(VALU_DEP_2) | instskip(NEXT) | instid1(VALU_DEP_2)
	v_dual_cndmask_b32 v43, v25, v33 :: v_dual_cndmask_b32 v42, v24, v24
	v_cndmask_b32_e64 v45, v27, v38, s2
	v_cndmask_b32_e64 v44, v26, v26, s2
	s_mov_b32 s2, exec_lo
	s_delay_alu instid0(VALU_DEP_1)
	v_cmpx_ngt_f64_e32 v[42:43], v[44:45]
	s_xor_b32 s2, exec_lo, s2
	s_cbranch_execz .LBB10_28
; %bb.27:
	v_div_scale_f64 v[42:43], null, v[26:27], v[26:27], v[24:25]
	v_div_scale_f64 v[48:49], vcc_lo, v[24:25], v[26:27], v[24:25]
	s_delay_alu instid0(VALU_DEP_2) | instskip(SKIP_2) | instid1(VALU_DEP_1)
	v_rcp_f64_e32 v[44:45], v[42:43]
	s_waitcnt_depctr 0xfff
	v_fma_f64 v[46:47], -v[42:43], v[44:45], 1.0
	v_fma_f64 v[44:45], v[44:45], v[46:47], v[44:45]
	s_delay_alu instid0(VALU_DEP_1) | instskip(NEXT) | instid1(VALU_DEP_1)
	v_fma_f64 v[46:47], -v[42:43], v[44:45], 1.0
	v_fma_f64 v[44:45], v[44:45], v[46:47], v[44:45]
	s_delay_alu instid0(VALU_DEP_1) | instskip(NEXT) | instid1(VALU_DEP_1)
	v_mul_f64 v[46:47], v[48:49], v[44:45]
	v_fma_f64 v[42:43], -v[42:43], v[46:47], v[48:49]
	s_delay_alu instid0(VALU_DEP_1) | instskip(NEXT) | instid1(VALU_DEP_1)
	v_div_fmas_f64 v[42:43], v[42:43], v[44:45], v[46:47]
	v_div_fixup_f64 v[42:43], v[42:43], v[26:27], v[24:25]
	s_delay_alu instid0(VALU_DEP_1) | instskip(NEXT) | instid1(VALU_DEP_1)
	v_fma_f64 v[24:25], v[24:25], v[42:43], v[26:27]
	v_div_scale_f64 v[26:27], null, v[24:25], v[24:25], 1.0
	s_delay_alu instid0(VALU_DEP_1) | instskip(SKIP_2) | instid1(VALU_DEP_1)
	v_rcp_f64_e32 v[44:45], v[26:27]
	s_waitcnt_depctr 0xfff
	v_fma_f64 v[46:47], -v[26:27], v[44:45], 1.0
	v_fma_f64 v[44:45], v[44:45], v[46:47], v[44:45]
	s_delay_alu instid0(VALU_DEP_1) | instskip(NEXT) | instid1(VALU_DEP_1)
	v_fma_f64 v[46:47], -v[26:27], v[44:45], 1.0
	v_fma_f64 v[44:45], v[44:45], v[46:47], v[44:45]
	v_div_scale_f64 v[46:47], vcc_lo, 1.0, v[24:25], 1.0
	s_delay_alu instid0(VALU_DEP_1) | instskip(NEXT) | instid1(VALU_DEP_1)
	v_mul_f64 v[48:49], v[46:47], v[44:45]
	v_fma_f64 v[26:27], -v[26:27], v[48:49], v[46:47]
	s_delay_alu instid0(VALU_DEP_1) | instskip(NEXT) | instid1(VALU_DEP_1)
	v_div_fmas_f64 v[26:27], v[26:27], v[44:45], v[48:49]
	v_div_fixup_f64 v[26:27], v[26:27], v[24:25], 1.0
	s_delay_alu instid0(VALU_DEP_1)
	v_mul_f64 v[24:25], v[42:43], v[26:27]
	v_xor_b32_e32 v27, 0x80000000, v27
.LBB10_28:
	s_and_not1_saveexec_b32 s2, s2
	s_cbranch_execz .LBB10_30
; %bb.29:
	s_delay_alu instid0(VALU_DEP_1) | instskip(SKIP_1) | instid1(VALU_DEP_2)
	v_div_scale_f64 v[42:43], null, v[24:25], v[24:25], v[26:27]
	v_div_scale_f64 v[48:49], vcc_lo, v[26:27], v[24:25], v[26:27]
	v_rcp_f64_e32 v[44:45], v[42:43]
	s_waitcnt_depctr 0xfff
	v_fma_f64 v[46:47], -v[42:43], v[44:45], 1.0
	s_delay_alu instid0(VALU_DEP_1) | instskip(NEXT) | instid1(VALU_DEP_1)
	v_fma_f64 v[44:45], v[44:45], v[46:47], v[44:45]
	v_fma_f64 v[46:47], -v[42:43], v[44:45], 1.0
	s_delay_alu instid0(VALU_DEP_1) | instskip(NEXT) | instid1(VALU_DEP_1)
	v_fma_f64 v[44:45], v[44:45], v[46:47], v[44:45]
	v_mul_f64 v[46:47], v[48:49], v[44:45]
	s_delay_alu instid0(VALU_DEP_1) | instskip(NEXT) | instid1(VALU_DEP_1)
	v_fma_f64 v[42:43], -v[42:43], v[46:47], v[48:49]
	v_div_fmas_f64 v[42:43], v[42:43], v[44:45], v[46:47]
	s_delay_alu instid0(VALU_DEP_1) | instskip(NEXT) | instid1(VALU_DEP_1)
	v_div_fixup_f64 v[42:43], v[42:43], v[24:25], v[26:27]
	v_fma_f64 v[24:25], v[26:27], v[42:43], v[24:25]
	s_delay_alu instid0(VALU_DEP_1) | instskip(NEXT) | instid1(VALU_DEP_1)
	v_div_scale_f64 v[26:27], null, v[24:25], v[24:25], 1.0
	v_rcp_f64_e32 v[44:45], v[26:27]
	s_waitcnt_depctr 0xfff
	v_fma_f64 v[46:47], -v[26:27], v[44:45], 1.0
	s_delay_alu instid0(VALU_DEP_1) | instskip(NEXT) | instid1(VALU_DEP_1)
	v_fma_f64 v[44:45], v[44:45], v[46:47], v[44:45]
	v_fma_f64 v[46:47], -v[26:27], v[44:45], 1.0
	s_delay_alu instid0(VALU_DEP_1) | instskip(SKIP_1) | instid1(VALU_DEP_1)
	v_fma_f64 v[44:45], v[44:45], v[46:47], v[44:45]
	v_div_scale_f64 v[46:47], vcc_lo, 1.0, v[24:25], 1.0
	v_mul_f64 v[48:49], v[46:47], v[44:45]
	s_delay_alu instid0(VALU_DEP_1) | instskip(NEXT) | instid1(VALU_DEP_1)
	v_fma_f64 v[26:27], -v[26:27], v[48:49], v[46:47]
	v_div_fmas_f64 v[26:27], v[26:27], v[44:45], v[48:49]
	s_delay_alu instid0(VALU_DEP_1) | instskip(NEXT) | instid1(VALU_DEP_1)
	v_div_fixup_f64 v[24:25], v[26:27], v[24:25], 1.0
	v_mul_f64 v[26:27], v[42:43], -v[24:25]
.LBB10_30:
	s_or_b32 exec_lo, exec_lo, s2
	v_mov_b32_e32 v38, v41
.LBB10_31:
	s_or_b32 exec_lo, exec_lo, s3
	s_delay_alu instid0(SALU_CYCLE_1)
	s_mov_b32 s2, exec_lo
	v_cmpx_ne_u32_e64 v40, v32
	s_xor_b32 s2, exec_lo, s2
	s_cbranch_execz .LBB10_37
; %bb.32:
	s_mov_b32 s3, exec_lo
	v_cmpx_eq_u32_e32 1, v40
	s_cbranch_execz .LBB10_36
; %bb.33:
	v_cmp_ne_u32_e32 vcc_lo, 1, v32
	s_xor_b32 s6, s4, -1
	s_delay_alu instid0(SALU_CYCLE_1) | instskip(NEXT) | instid1(SALU_CYCLE_1)
	s_and_b32 s7, s6, vcc_lo
	s_and_saveexec_b32 s6, s7
	s_cbranch_execz .LBB10_35
; %bb.34:
	v_ashrrev_i32_e32 v33, 31, v32
	s_delay_alu instid0(VALU_DEP_1) | instskip(NEXT) | instid1(VALU_DEP_1)
	v_lshlrev_b64 v[40:41], 2, v[32:33]
	v_add_co_u32 v40, vcc_lo, v30, v40
	s_delay_alu instid0(VALU_DEP_2)
	v_add_co_ci_u32_e32 v41, vcc_lo, v31, v41, vcc_lo
	s_clause 0x1
	flat_load_b32 v33, v[40:41]
	flat_load_b32 v37, v[30:31] offset:4
	s_waitcnt vmcnt(1) lgkmcnt(1)
	flat_store_b32 v[30:31], v33 offset:4
	s_waitcnt vmcnt(0) lgkmcnt(1)
	flat_store_b32 v[40:41], v37
.LBB10_35:
	s_or_b32 exec_lo, exec_lo, s6
	v_mov_b32_e32 v40, v32
	v_mov_b32_e32 v37, v32
.LBB10_36:
	s_or_b32 exec_lo, exec_lo, s3
.LBB10_37:
	s_and_not1_saveexec_b32 s2, s2
	s_cbranch_execz .LBB10_39
; %bb.38:
	v_mov_b32_e32 v40, 1
	ds_store_2addr_b64 v34, v[16:17], v[18:19] offset0:4 offset1:5
	ds_store_2addr_b64 v34, v[12:13], v[14:15] offset0:6 offset1:7
	;; [unrolled: 1-line block ×4, first 2 shown]
.LBB10_39:
	s_or_b32 exec_lo, exec_lo, s2
	s_delay_alu instid0(SALU_CYCLE_1)
	s_mov_b32 s2, exec_lo
	s_waitcnt lgkmcnt(0)
	s_waitcnt_vscnt null, 0x0
	s_barrier
	buffer_gl0_inv
	v_cmpx_lt_i32_e32 1, v40
	s_cbranch_execz .LBB10_41
; %bb.40:
	v_mul_f64 v[32:33], v[24:25], v[22:23]
	v_mul_f64 v[22:23], v[26:27], v[22:23]
	ds_load_2addr_b64 v[41:44], v34 offset0:4 offset1:5
	ds_load_2addr_b64 v[45:48], v34 offset0:6 offset1:7
	;; [unrolled: 1-line block ×4, first 2 shown]
	v_fma_f64 v[26:27], v[26:27], v[20:21], v[32:33]
	v_fma_f64 v[20:21], v[24:25], v[20:21], -v[22:23]
	s_waitcnt lgkmcnt(3)
	s_delay_alu instid0(VALU_DEP_2)
	v_mul_f64 v[22:23], v[43:44], v[26:27]
	v_mul_f64 v[24:25], v[41:42], v[26:27]
	s_waitcnt lgkmcnt(2)
	v_mul_f64 v[32:33], v[47:48], v[26:27]
	v_mul_f64 v[57:58], v[45:46], v[26:27]
	s_waitcnt lgkmcnt(1)
	;; [unrolled: 3-line block ×3, first 2 shown]
	v_mul_f64 v[63:64], v[55:56], v[26:27]
	v_mul_f64 v[65:66], v[53:54], v[26:27]
	v_fma_f64 v[22:23], v[41:42], v[20:21], -v[22:23]
	v_fma_f64 v[24:25], v[43:44], v[20:21], v[24:25]
	v_fma_f64 v[32:33], v[45:46], v[20:21], -v[32:33]
	v_fma_f64 v[41:42], v[47:48], v[20:21], v[57:58]
	;; [unrolled: 2-line block ×4, first 2 shown]
	v_add_f64 v[16:17], v[16:17], -v[22:23]
	v_add_f64 v[18:19], v[18:19], -v[24:25]
	;; [unrolled: 1-line block ×8, first 2 shown]
	v_dual_mov_b32 v22, v26 :: v_dual_mov_b32 v23, v27
.LBB10_41:
	s_or_b32 exec_lo, exec_lo, s2
	v_lshl_add_u32 v24, v40, 4, v34
	s_barrier
	buffer_gl0_inv
	v_mov_b32_e32 v32, 2
	ds_store_2addr_b64 v24, v[16:17], v[18:19] offset1:1
	s_waitcnt lgkmcnt(0)
	s_barrier
	buffer_gl0_inv
	ds_load_2addr_b64 v[24:27], v34 offset0:4 offset1:5
	s_cmp_lt_i32 s5, 4
	s_cbranch_scc1 .LBB10_44
; %bb.42:
	v_add3_u32 v33, v39, 0, 48
	v_mov_b32_e32 v32, 2
	s_mov_b32 s6, 3
	s_set_inst_prefetch_distance 0x1
	.p2align	6
.LBB10_43:                              ; =>This Inner Loop Header: Depth=1
	ds_load_2addr_b64 v[41:44], v33 offset1:1
	s_waitcnt lgkmcnt(1)
	v_cmp_gt_f64_e32 vcc_lo, 0, v[24:25]
	v_xor_b32_e32 v45, 0x80000000, v25
	v_cmp_gt_f64_e64 s2, 0, v[26:27]
	v_xor_b32_e32 v47, 0x80000000, v27
	v_add_nc_u32_e32 v33, 16, v33
	s_waitcnt lgkmcnt(0)
	v_cmp_gt_f64_e64 s3, 0, v[41:42]
	v_mov_b32_e32 v49, v41
	v_dual_mov_b32 v51, v43 :: v_dual_cndmask_b32 v46, v25, v45
	v_xor_b32_e32 v45, 0x80000000, v42
	v_cndmask_b32_e64 v48, v27, v47, s2
	v_xor_b32_e32 v47, 0x80000000, v44
	s_delay_alu instid0(VALU_DEP_3) | instskip(SKIP_2) | instid1(VALU_DEP_2)
	v_cndmask_b32_e64 v50, v42, v45, s3
	v_cmp_gt_f64_e64 s3, 0, v[43:44]
	v_cndmask_b32_e32 v45, v24, v24, vcc_lo
	v_cndmask_b32_e64 v52, v44, v47, s3
	v_cndmask_b32_e64 v47, v26, v26, s2
	s_delay_alu instid0(VALU_DEP_2) | instskip(NEXT) | instid1(VALU_DEP_2)
	v_add_f64 v[49:50], v[49:50], v[51:52]
	v_add_f64 v[45:46], v[45:46], v[47:48]
	s_delay_alu instid0(VALU_DEP_1) | instskip(SKIP_4) | instid1(SALU_CYCLE_1)
	v_cmp_lt_f64_e32 vcc_lo, v[45:46], v[49:50]
	v_dual_cndmask_b32 v26, v26, v43 :: v_dual_cndmask_b32 v25, v25, v42
	v_dual_cndmask_b32 v24, v24, v41 :: v_dual_cndmask_b32 v27, v27, v44
	v_cndmask_b32_e64 v32, v32, s6, vcc_lo
	s_add_i32 s6, s6, 1
	s_cmp_lg_u32 s5, s6
	s_cbranch_scc1 .LBB10_43
.LBB10_44:
	s_set_inst_prefetch_distance 0x2
	s_waitcnt lgkmcnt(0)
	v_cmp_eq_f64_e32 vcc_lo, 0, v[24:25]
	v_cmp_eq_f64_e64 s2, 0, v[26:27]
	s_delay_alu instid0(VALU_DEP_1) | instskip(NEXT) | instid1(SALU_CYCLE_1)
	s_and_b32 s2, vcc_lo, s2
	s_and_saveexec_b32 s3, s2
	s_delay_alu instid0(SALU_CYCLE_1)
	s_xor_b32 s2, exec_lo, s3
; %bb.45:
	v_cmp_ne_u32_e32 vcc_lo, 0, v38
	v_cndmask_b32_e32 v38, 3, v38, vcc_lo
; %bb.46:
	s_and_not1_saveexec_b32 s3, s2
	s_cbranch_execz .LBB10_52
; %bb.47:
	v_cmp_gt_f64_e32 vcc_lo, 0, v[24:25]
	v_cmp_gt_f64_e64 s2, 0, v[26:27]
	v_xor_b32_e32 v33, 0x80000000, v25
	v_xor_b32_e32 v41, 0x80000000, v27
	s_delay_alu instid0(VALU_DEP_2) | instskip(NEXT) | instid1(VALU_DEP_2)
	v_cndmask_b32_e32 v42, v25, v33, vcc_lo
	v_cndmask_b32_e64 v44, v27, v41, s2
	v_cndmask_b32_e32 v41, v24, v24, vcc_lo
	v_cndmask_b32_e64 v43, v26, v26, s2
	s_mov_b32 s2, exec_lo
	s_delay_alu instid0(VALU_DEP_1)
	v_cmpx_ngt_f64_e32 v[41:42], v[43:44]
	s_xor_b32 s2, exec_lo, s2
	s_cbranch_execz .LBB10_49
; %bb.48:
	v_div_scale_f64 v[41:42], null, v[26:27], v[26:27], v[24:25]
	v_div_scale_f64 v[47:48], vcc_lo, v[24:25], v[26:27], v[24:25]
	s_delay_alu instid0(VALU_DEP_2) | instskip(SKIP_2) | instid1(VALU_DEP_1)
	v_rcp_f64_e32 v[43:44], v[41:42]
	s_waitcnt_depctr 0xfff
	v_fma_f64 v[45:46], -v[41:42], v[43:44], 1.0
	v_fma_f64 v[43:44], v[43:44], v[45:46], v[43:44]
	s_delay_alu instid0(VALU_DEP_1) | instskip(NEXT) | instid1(VALU_DEP_1)
	v_fma_f64 v[45:46], -v[41:42], v[43:44], 1.0
	v_fma_f64 v[43:44], v[43:44], v[45:46], v[43:44]
	s_delay_alu instid0(VALU_DEP_1) | instskip(NEXT) | instid1(VALU_DEP_1)
	v_mul_f64 v[45:46], v[47:48], v[43:44]
	v_fma_f64 v[41:42], -v[41:42], v[45:46], v[47:48]
	s_delay_alu instid0(VALU_DEP_1) | instskip(NEXT) | instid1(VALU_DEP_1)
	v_div_fmas_f64 v[41:42], v[41:42], v[43:44], v[45:46]
	v_div_fixup_f64 v[41:42], v[41:42], v[26:27], v[24:25]
	s_delay_alu instid0(VALU_DEP_1) | instskip(NEXT) | instid1(VALU_DEP_1)
	v_fma_f64 v[24:25], v[24:25], v[41:42], v[26:27]
	v_div_scale_f64 v[26:27], null, v[24:25], v[24:25], 1.0
	s_delay_alu instid0(VALU_DEP_1) | instskip(SKIP_2) | instid1(VALU_DEP_1)
	v_rcp_f64_e32 v[43:44], v[26:27]
	s_waitcnt_depctr 0xfff
	v_fma_f64 v[45:46], -v[26:27], v[43:44], 1.0
	v_fma_f64 v[43:44], v[43:44], v[45:46], v[43:44]
	s_delay_alu instid0(VALU_DEP_1) | instskip(NEXT) | instid1(VALU_DEP_1)
	v_fma_f64 v[45:46], -v[26:27], v[43:44], 1.0
	v_fma_f64 v[43:44], v[43:44], v[45:46], v[43:44]
	v_div_scale_f64 v[45:46], vcc_lo, 1.0, v[24:25], 1.0
	s_delay_alu instid0(VALU_DEP_1) | instskip(NEXT) | instid1(VALU_DEP_1)
	v_mul_f64 v[47:48], v[45:46], v[43:44]
	v_fma_f64 v[26:27], -v[26:27], v[47:48], v[45:46]
	s_delay_alu instid0(VALU_DEP_1) | instskip(NEXT) | instid1(VALU_DEP_1)
	v_div_fmas_f64 v[26:27], v[26:27], v[43:44], v[47:48]
	v_div_fixup_f64 v[26:27], v[26:27], v[24:25], 1.0
	s_delay_alu instid0(VALU_DEP_1)
	v_mul_f64 v[24:25], v[41:42], v[26:27]
	v_xor_b32_e32 v27, 0x80000000, v27
.LBB10_49:
	s_and_not1_saveexec_b32 s2, s2
	s_cbranch_execz .LBB10_51
; %bb.50:
	s_delay_alu instid0(VALU_DEP_1) | instskip(SKIP_1) | instid1(VALU_DEP_2)
	v_div_scale_f64 v[41:42], null, v[24:25], v[24:25], v[26:27]
	v_div_scale_f64 v[47:48], vcc_lo, v[26:27], v[24:25], v[26:27]
	v_rcp_f64_e32 v[43:44], v[41:42]
	s_waitcnt_depctr 0xfff
	v_fma_f64 v[45:46], -v[41:42], v[43:44], 1.0
	s_delay_alu instid0(VALU_DEP_1) | instskip(NEXT) | instid1(VALU_DEP_1)
	v_fma_f64 v[43:44], v[43:44], v[45:46], v[43:44]
	v_fma_f64 v[45:46], -v[41:42], v[43:44], 1.0
	s_delay_alu instid0(VALU_DEP_1) | instskip(NEXT) | instid1(VALU_DEP_1)
	v_fma_f64 v[43:44], v[43:44], v[45:46], v[43:44]
	v_mul_f64 v[45:46], v[47:48], v[43:44]
	s_delay_alu instid0(VALU_DEP_1) | instskip(NEXT) | instid1(VALU_DEP_1)
	v_fma_f64 v[41:42], -v[41:42], v[45:46], v[47:48]
	v_div_fmas_f64 v[41:42], v[41:42], v[43:44], v[45:46]
	s_delay_alu instid0(VALU_DEP_1) | instskip(NEXT) | instid1(VALU_DEP_1)
	v_div_fixup_f64 v[41:42], v[41:42], v[24:25], v[26:27]
	v_fma_f64 v[24:25], v[26:27], v[41:42], v[24:25]
	s_delay_alu instid0(VALU_DEP_1) | instskip(NEXT) | instid1(VALU_DEP_1)
	v_div_scale_f64 v[26:27], null, v[24:25], v[24:25], 1.0
	v_rcp_f64_e32 v[43:44], v[26:27]
	s_waitcnt_depctr 0xfff
	v_fma_f64 v[45:46], -v[26:27], v[43:44], 1.0
	s_delay_alu instid0(VALU_DEP_1) | instskip(NEXT) | instid1(VALU_DEP_1)
	v_fma_f64 v[43:44], v[43:44], v[45:46], v[43:44]
	v_fma_f64 v[45:46], -v[26:27], v[43:44], 1.0
	s_delay_alu instid0(VALU_DEP_1) | instskip(SKIP_1) | instid1(VALU_DEP_1)
	v_fma_f64 v[43:44], v[43:44], v[45:46], v[43:44]
	v_div_scale_f64 v[45:46], vcc_lo, 1.0, v[24:25], 1.0
	v_mul_f64 v[47:48], v[45:46], v[43:44]
	s_delay_alu instid0(VALU_DEP_1) | instskip(NEXT) | instid1(VALU_DEP_1)
	v_fma_f64 v[26:27], -v[26:27], v[47:48], v[45:46]
	v_div_fmas_f64 v[26:27], v[26:27], v[43:44], v[47:48]
	s_delay_alu instid0(VALU_DEP_1) | instskip(NEXT) | instid1(VALU_DEP_1)
	v_div_fixup_f64 v[24:25], v[26:27], v[24:25], 1.0
	v_mul_f64 v[26:27], v[41:42], -v[24:25]
.LBB10_51:
	s_or_b32 exec_lo, exec_lo, s2
.LBB10_52:
	s_delay_alu instid0(SALU_CYCLE_1) | instskip(NEXT) | instid1(SALU_CYCLE_1)
	s_or_b32 exec_lo, exec_lo, s3
	s_mov_b32 s2, exec_lo
	v_cmpx_ne_u32_e64 v40, v32
	s_xor_b32 s2, exec_lo, s2
	s_cbranch_execz .LBB10_58
; %bb.53:
	s_mov_b32 s3, exec_lo
	v_cmpx_eq_u32_e32 2, v40
	s_cbranch_execz .LBB10_57
; %bb.54:
	v_cmp_ne_u32_e32 vcc_lo, 2, v32
	s_xor_b32 s6, s4, -1
	s_delay_alu instid0(SALU_CYCLE_1) | instskip(NEXT) | instid1(SALU_CYCLE_1)
	s_and_b32 s7, s6, vcc_lo
	s_and_saveexec_b32 s6, s7
	s_cbranch_execz .LBB10_56
; %bb.55:
	v_ashrrev_i32_e32 v33, 31, v32
	s_delay_alu instid0(VALU_DEP_1) | instskip(NEXT) | instid1(VALU_DEP_1)
	v_lshlrev_b64 v[40:41], 2, v[32:33]
	v_add_co_u32 v40, vcc_lo, v30, v40
	s_delay_alu instid0(VALU_DEP_2)
	v_add_co_ci_u32_e32 v41, vcc_lo, v31, v41, vcc_lo
	s_clause 0x1
	flat_load_b32 v33, v[40:41]
	flat_load_b32 v37, v[30:31] offset:8
	s_waitcnt vmcnt(1) lgkmcnt(1)
	flat_store_b32 v[30:31], v33 offset:8
	s_waitcnt vmcnt(0) lgkmcnt(1)
	flat_store_b32 v[40:41], v37
.LBB10_56:
	s_or_b32 exec_lo, exec_lo, s6
	v_mov_b32_e32 v40, v32
	v_mov_b32_e32 v37, v32
.LBB10_57:
	s_or_b32 exec_lo, exec_lo, s3
.LBB10_58:
	s_and_not1_saveexec_b32 s2, s2
	s_cbranch_execz .LBB10_60
; %bb.59:
	v_mov_b32_e32 v40, 2
	ds_store_2addr_b64 v34, v[12:13], v[14:15] offset0:6 offset1:7
	ds_store_2addr_b64 v34, v[8:9], v[10:11] offset0:8 offset1:9
	;; [unrolled: 1-line block ×3, first 2 shown]
.LBB10_60:
	s_or_b32 exec_lo, exec_lo, s2
	s_delay_alu instid0(SALU_CYCLE_1)
	s_mov_b32 s2, exec_lo
	s_waitcnt lgkmcnt(0)
	s_waitcnt_vscnt null, 0x0
	s_barrier
	buffer_gl0_inv
	v_cmpx_lt_i32_e32 2, v40
	s_cbranch_execz .LBB10_62
; %bb.61:
	v_mul_f64 v[32:33], v[24:25], v[18:19]
	v_mul_f64 v[18:19], v[26:27], v[18:19]
	ds_load_2addr_b64 v[41:44], v34 offset0:6 offset1:7
	ds_load_2addr_b64 v[45:48], v34 offset0:8 offset1:9
	;; [unrolled: 1-line block ×3, first 2 shown]
	v_fma_f64 v[26:27], v[26:27], v[16:17], v[32:33]
	v_fma_f64 v[16:17], v[24:25], v[16:17], -v[18:19]
	s_waitcnt lgkmcnt(2)
	s_delay_alu instid0(VALU_DEP_2)
	v_mul_f64 v[18:19], v[43:44], v[26:27]
	v_mul_f64 v[24:25], v[41:42], v[26:27]
	s_waitcnt lgkmcnt(1)
	v_mul_f64 v[32:33], v[47:48], v[26:27]
	v_mul_f64 v[53:54], v[45:46], v[26:27]
	s_waitcnt lgkmcnt(0)
	v_mul_f64 v[55:56], v[51:52], v[26:27]
	v_mul_f64 v[57:58], v[49:50], v[26:27]
	v_fma_f64 v[18:19], v[41:42], v[16:17], -v[18:19]
	v_fma_f64 v[24:25], v[43:44], v[16:17], v[24:25]
	v_fma_f64 v[32:33], v[45:46], v[16:17], -v[32:33]
	v_fma_f64 v[41:42], v[47:48], v[16:17], v[53:54]
	;; [unrolled: 2-line block ×3, first 2 shown]
	v_add_f64 v[12:13], v[12:13], -v[18:19]
	v_add_f64 v[14:15], v[14:15], -v[24:25]
	;; [unrolled: 1-line block ×6, first 2 shown]
	v_dual_mov_b32 v18, v26 :: v_dual_mov_b32 v19, v27
.LBB10_62:
	s_or_b32 exec_lo, exec_lo, s2
	v_lshl_add_u32 v24, v40, 4, v34
	s_barrier
	buffer_gl0_inv
	v_mov_b32_e32 v32, 3
	ds_store_2addr_b64 v24, v[12:13], v[14:15] offset1:1
	s_waitcnt lgkmcnt(0)
	s_barrier
	buffer_gl0_inv
	ds_load_2addr_b64 v[24:27], v34 offset0:6 offset1:7
	s_cmp_lt_i32 s5, 5
	s_mov_b32 s6, 4
	s_cbranch_scc1 .LBB10_65
; %bb.63:
	v_add3_u32 v33, v39, 0, 64
	v_mov_b32_e32 v32, 3
	s_set_inst_prefetch_distance 0x1
	.p2align	6
.LBB10_64:                              ; =>This Inner Loop Header: Depth=1
	ds_load_2addr_b64 v[41:44], v33 offset1:1
	s_waitcnt lgkmcnt(1)
	v_cmp_gt_f64_e32 vcc_lo, 0, v[24:25]
	v_xor_b32_e32 v45, 0x80000000, v25
	v_cmp_gt_f64_e64 s2, 0, v[26:27]
	v_xor_b32_e32 v47, 0x80000000, v27
	v_add_nc_u32_e32 v33, 16, v33
	s_waitcnt lgkmcnt(0)
	v_cmp_gt_f64_e64 s3, 0, v[41:42]
	v_mov_b32_e32 v49, v41
	v_dual_mov_b32 v51, v43 :: v_dual_cndmask_b32 v46, v25, v45
	v_xor_b32_e32 v45, 0x80000000, v42
	v_cndmask_b32_e64 v48, v27, v47, s2
	v_xor_b32_e32 v47, 0x80000000, v44
	s_delay_alu instid0(VALU_DEP_3) | instskip(SKIP_2) | instid1(VALU_DEP_2)
	v_cndmask_b32_e64 v50, v42, v45, s3
	v_cmp_gt_f64_e64 s3, 0, v[43:44]
	v_cndmask_b32_e32 v45, v24, v24, vcc_lo
	v_cndmask_b32_e64 v52, v44, v47, s3
	v_cndmask_b32_e64 v47, v26, v26, s2
	s_delay_alu instid0(VALU_DEP_2) | instskip(NEXT) | instid1(VALU_DEP_2)
	v_add_f64 v[49:50], v[49:50], v[51:52]
	v_add_f64 v[45:46], v[45:46], v[47:48]
	s_delay_alu instid0(VALU_DEP_1) | instskip(SKIP_4) | instid1(SALU_CYCLE_1)
	v_cmp_lt_f64_e32 vcc_lo, v[45:46], v[49:50]
	v_dual_cndmask_b32 v26, v26, v43 :: v_dual_cndmask_b32 v25, v25, v42
	v_dual_cndmask_b32 v24, v24, v41 :: v_dual_cndmask_b32 v27, v27, v44
	v_cndmask_b32_e64 v32, v32, s6, vcc_lo
	s_add_i32 s6, s6, 1
	s_cmp_lg_u32 s5, s6
	s_cbranch_scc1 .LBB10_64
.LBB10_65:
	s_set_inst_prefetch_distance 0x2
	s_waitcnt lgkmcnt(0)
	v_cmp_eq_f64_e32 vcc_lo, 0, v[24:25]
	v_cmp_eq_f64_e64 s2, 0, v[26:27]
	s_delay_alu instid0(VALU_DEP_1) | instskip(NEXT) | instid1(SALU_CYCLE_1)
	s_and_b32 s2, vcc_lo, s2
	s_and_saveexec_b32 s3, s2
	s_delay_alu instid0(SALU_CYCLE_1)
	s_xor_b32 s2, exec_lo, s3
; %bb.66:
	v_cmp_ne_u32_e32 vcc_lo, 0, v38
	v_cndmask_b32_e32 v38, 4, v38, vcc_lo
; %bb.67:
	s_and_not1_saveexec_b32 s3, s2
	s_cbranch_execz .LBB10_73
; %bb.68:
	v_cmp_gt_f64_e32 vcc_lo, 0, v[24:25]
	v_cmp_gt_f64_e64 s2, 0, v[26:27]
	v_xor_b32_e32 v33, 0x80000000, v25
	v_xor_b32_e32 v41, 0x80000000, v27
	s_delay_alu instid0(VALU_DEP_2) | instskip(NEXT) | instid1(VALU_DEP_2)
	v_cndmask_b32_e32 v42, v25, v33, vcc_lo
	v_cndmask_b32_e64 v44, v27, v41, s2
	v_cndmask_b32_e32 v41, v24, v24, vcc_lo
	v_cndmask_b32_e64 v43, v26, v26, s2
	s_mov_b32 s2, exec_lo
	s_delay_alu instid0(VALU_DEP_1)
	v_cmpx_ngt_f64_e32 v[41:42], v[43:44]
	s_xor_b32 s2, exec_lo, s2
	s_cbranch_execz .LBB10_70
; %bb.69:
	v_div_scale_f64 v[41:42], null, v[26:27], v[26:27], v[24:25]
	v_div_scale_f64 v[47:48], vcc_lo, v[24:25], v[26:27], v[24:25]
	s_delay_alu instid0(VALU_DEP_2) | instskip(SKIP_2) | instid1(VALU_DEP_1)
	v_rcp_f64_e32 v[43:44], v[41:42]
	s_waitcnt_depctr 0xfff
	v_fma_f64 v[45:46], -v[41:42], v[43:44], 1.0
	v_fma_f64 v[43:44], v[43:44], v[45:46], v[43:44]
	s_delay_alu instid0(VALU_DEP_1) | instskip(NEXT) | instid1(VALU_DEP_1)
	v_fma_f64 v[45:46], -v[41:42], v[43:44], 1.0
	v_fma_f64 v[43:44], v[43:44], v[45:46], v[43:44]
	s_delay_alu instid0(VALU_DEP_1) | instskip(NEXT) | instid1(VALU_DEP_1)
	v_mul_f64 v[45:46], v[47:48], v[43:44]
	v_fma_f64 v[41:42], -v[41:42], v[45:46], v[47:48]
	s_delay_alu instid0(VALU_DEP_1) | instskip(NEXT) | instid1(VALU_DEP_1)
	v_div_fmas_f64 v[41:42], v[41:42], v[43:44], v[45:46]
	v_div_fixup_f64 v[41:42], v[41:42], v[26:27], v[24:25]
	s_delay_alu instid0(VALU_DEP_1) | instskip(NEXT) | instid1(VALU_DEP_1)
	v_fma_f64 v[24:25], v[24:25], v[41:42], v[26:27]
	v_div_scale_f64 v[26:27], null, v[24:25], v[24:25], 1.0
	s_delay_alu instid0(VALU_DEP_1) | instskip(SKIP_2) | instid1(VALU_DEP_1)
	v_rcp_f64_e32 v[43:44], v[26:27]
	s_waitcnt_depctr 0xfff
	v_fma_f64 v[45:46], -v[26:27], v[43:44], 1.0
	v_fma_f64 v[43:44], v[43:44], v[45:46], v[43:44]
	s_delay_alu instid0(VALU_DEP_1) | instskip(NEXT) | instid1(VALU_DEP_1)
	v_fma_f64 v[45:46], -v[26:27], v[43:44], 1.0
	v_fma_f64 v[43:44], v[43:44], v[45:46], v[43:44]
	v_div_scale_f64 v[45:46], vcc_lo, 1.0, v[24:25], 1.0
	s_delay_alu instid0(VALU_DEP_1) | instskip(NEXT) | instid1(VALU_DEP_1)
	v_mul_f64 v[47:48], v[45:46], v[43:44]
	v_fma_f64 v[26:27], -v[26:27], v[47:48], v[45:46]
	s_delay_alu instid0(VALU_DEP_1) | instskip(NEXT) | instid1(VALU_DEP_1)
	v_div_fmas_f64 v[26:27], v[26:27], v[43:44], v[47:48]
	v_div_fixup_f64 v[26:27], v[26:27], v[24:25], 1.0
	s_delay_alu instid0(VALU_DEP_1)
	v_mul_f64 v[24:25], v[41:42], v[26:27]
	v_xor_b32_e32 v27, 0x80000000, v27
.LBB10_70:
	s_and_not1_saveexec_b32 s2, s2
	s_cbranch_execz .LBB10_72
; %bb.71:
	s_delay_alu instid0(VALU_DEP_1) | instskip(SKIP_1) | instid1(VALU_DEP_2)
	v_div_scale_f64 v[41:42], null, v[24:25], v[24:25], v[26:27]
	v_div_scale_f64 v[47:48], vcc_lo, v[26:27], v[24:25], v[26:27]
	v_rcp_f64_e32 v[43:44], v[41:42]
	s_waitcnt_depctr 0xfff
	v_fma_f64 v[45:46], -v[41:42], v[43:44], 1.0
	s_delay_alu instid0(VALU_DEP_1) | instskip(NEXT) | instid1(VALU_DEP_1)
	v_fma_f64 v[43:44], v[43:44], v[45:46], v[43:44]
	v_fma_f64 v[45:46], -v[41:42], v[43:44], 1.0
	s_delay_alu instid0(VALU_DEP_1) | instskip(NEXT) | instid1(VALU_DEP_1)
	v_fma_f64 v[43:44], v[43:44], v[45:46], v[43:44]
	v_mul_f64 v[45:46], v[47:48], v[43:44]
	s_delay_alu instid0(VALU_DEP_1) | instskip(NEXT) | instid1(VALU_DEP_1)
	v_fma_f64 v[41:42], -v[41:42], v[45:46], v[47:48]
	v_div_fmas_f64 v[41:42], v[41:42], v[43:44], v[45:46]
	s_delay_alu instid0(VALU_DEP_1) | instskip(NEXT) | instid1(VALU_DEP_1)
	v_div_fixup_f64 v[41:42], v[41:42], v[24:25], v[26:27]
	v_fma_f64 v[24:25], v[26:27], v[41:42], v[24:25]
	s_delay_alu instid0(VALU_DEP_1) | instskip(NEXT) | instid1(VALU_DEP_1)
	v_div_scale_f64 v[26:27], null, v[24:25], v[24:25], 1.0
	v_rcp_f64_e32 v[43:44], v[26:27]
	s_waitcnt_depctr 0xfff
	v_fma_f64 v[45:46], -v[26:27], v[43:44], 1.0
	s_delay_alu instid0(VALU_DEP_1) | instskip(NEXT) | instid1(VALU_DEP_1)
	v_fma_f64 v[43:44], v[43:44], v[45:46], v[43:44]
	v_fma_f64 v[45:46], -v[26:27], v[43:44], 1.0
	s_delay_alu instid0(VALU_DEP_1) | instskip(SKIP_1) | instid1(VALU_DEP_1)
	v_fma_f64 v[43:44], v[43:44], v[45:46], v[43:44]
	v_div_scale_f64 v[45:46], vcc_lo, 1.0, v[24:25], 1.0
	v_mul_f64 v[47:48], v[45:46], v[43:44]
	s_delay_alu instid0(VALU_DEP_1) | instskip(NEXT) | instid1(VALU_DEP_1)
	v_fma_f64 v[26:27], -v[26:27], v[47:48], v[45:46]
	v_div_fmas_f64 v[26:27], v[26:27], v[43:44], v[47:48]
	s_delay_alu instid0(VALU_DEP_1) | instskip(NEXT) | instid1(VALU_DEP_1)
	v_div_fixup_f64 v[24:25], v[26:27], v[24:25], 1.0
	v_mul_f64 v[26:27], v[41:42], -v[24:25]
.LBB10_72:
	s_or_b32 exec_lo, exec_lo, s2
.LBB10_73:
	s_delay_alu instid0(SALU_CYCLE_1) | instskip(NEXT) | instid1(SALU_CYCLE_1)
	s_or_b32 exec_lo, exec_lo, s3
	s_mov_b32 s2, exec_lo
	v_cmpx_ne_u32_e64 v40, v32
	s_xor_b32 s2, exec_lo, s2
	s_cbranch_execz .LBB10_79
; %bb.74:
	s_mov_b32 s3, exec_lo
	v_cmpx_eq_u32_e32 3, v40
	s_cbranch_execz .LBB10_78
; %bb.75:
	v_cmp_ne_u32_e32 vcc_lo, 3, v32
	s_xor_b32 s6, s4, -1
	s_delay_alu instid0(SALU_CYCLE_1) | instskip(NEXT) | instid1(SALU_CYCLE_1)
	s_and_b32 s7, s6, vcc_lo
	s_and_saveexec_b32 s6, s7
	s_cbranch_execz .LBB10_77
; %bb.76:
	v_ashrrev_i32_e32 v33, 31, v32
	s_delay_alu instid0(VALU_DEP_1) | instskip(NEXT) | instid1(VALU_DEP_1)
	v_lshlrev_b64 v[40:41], 2, v[32:33]
	v_add_co_u32 v40, vcc_lo, v30, v40
	s_delay_alu instid0(VALU_DEP_2)
	v_add_co_ci_u32_e32 v41, vcc_lo, v31, v41, vcc_lo
	s_clause 0x1
	flat_load_b32 v33, v[40:41]
	flat_load_b32 v37, v[30:31] offset:12
	s_waitcnt vmcnt(1) lgkmcnt(1)
	flat_store_b32 v[30:31], v33 offset:12
	s_waitcnt vmcnt(0) lgkmcnt(1)
	flat_store_b32 v[40:41], v37
.LBB10_77:
	s_or_b32 exec_lo, exec_lo, s6
	v_mov_b32_e32 v40, v32
	v_mov_b32_e32 v37, v32
.LBB10_78:
	s_or_b32 exec_lo, exec_lo, s3
.LBB10_79:
	s_and_not1_saveexec_b32 s2, s2
	s_cbranch_execz .LBB10_81
; %bb.80:
	v_mov_b32_e32 v40, 3
	ds_store_2addr_b64 v34, v[8:9], v[10:11] offset0:8 offset1:9
	ds_store_2addr_b64 v34, v[0:1], v[2:3] offset0:10 offset1:11
.LBB10_81:
	s_or_b32 exec_lo, exec_lo, s2
	s_delay_alu instid0(SALU_CYCLE_1)
	s_mov_b32 s2, exec_lo
	s_waitcnt lgkmcnt(0)
	s_waitcnt_vscnt null, 0x0
	s_barrier
	buffer_gl0_inv
	v_cmpx_lt_i32_e32 3, v40
	s_cbranch_execz .LBB10_83
; %bb.82:
	v_mul_f64 v[32:33], v[24:25], v[14:15]
	v_mul_f64 v[14:15], v[26:27], v[14:15]
	ds_load_2addr_b64 v[41:44], v34 offset0:8 offset1:9
	ds_load_2addr_b64 v[45:48], v34 offset0:10 offset1:11
	v_fma_f64 v[26:27], v[26:27], v[12:13], v[32:33]
	v_fma_f64 v[12:13], v[24:25], v[12:13], -v[14:15]
	s_waitcnt lgkmcnt(1)
	s_delay_alu instid0(VALU_DEP_2) | instskip(SKIP_4) | instid1(VALU_DEP_4)
	v_mul_f64 v[14:15], v[43:44], v[26:27]
	v_mul_f64 v[24:25], v[41:42], v[26:27]
	s_waitcnt lgkmcnt(0)
	v_mul_f64 v[32:33], v[47:48], v[26:27]
	v_mul_f64 v[49:50], v[45:46], v[26:27]
	v_fma_f64 v[14:15], v[41:42], v[12:13], -v[14:15]
	s_delay_alu instid0(VALU_DEP_4) | instskip(NEXT) | instid1(VALU_DEP_4)
	v_fma_f64 v[24:25], v[43:44], v[12:13], v[24:25]
	v_fma_f64 v[32:33], v[45:46], v[12:13], -v[32:33]
	s_delay_alu instid0(VALU_DEP_4) | instskip(NEXT) | instid1(VALU_DEP_4)
	v_fma_f64 v[41:42], v[47:48], v[12:13], v[49:50]
	v_add_f64 v[8:9], v[8:9], -v[14:15]
	s_delay_alu instid0(VALU_DEP_4) | instskip(NEXT) | instid1(VALU_DEP_4)
	v_add_f64 v[10:11], v[10:11], -v[24:25]
	v_add_f64 v[0:1], v[0:1], -v[32:33]
	s_delay_alu instid0(VALU_DEP_4)
	v_add_f64 v[2:3], v[2:3], -v[41:42]
	v_dual_mov_b32 v14, v26 :: v_dual_mov_b32 v15, v27
.LBB10_83:
	s_or_b32 exec_lo, exec_lo, s2
	v_lshl_add_u32 v24, v40, 4, v34
	s_barrier
	buffer_gl0_inv
	v_mov_b32_e32 v32, 4
	ds_store_2addr_b64 v24, v[8:9], v[10:11] offset1:1
	s_waitcnt lgkmcnt(0)
	s_barrier
	buffer_gl0_inv
	ds_load_2addr_b64 v[24:27], v34 offset0:8 offset1:9
	s_cmp_lt_i32 s5, 6
	s_cbranch_scc1 .LBB10_86
; %bb.84:
	v_add3_u32 v33, v39, 0, 0x50
	v_mov_b32_e32 v32, 4
	s_mov_b32 s6, 5
	s_set_inst_prefetch_distance 0x1
	.p2align	6
.LBB10_85:                              ; =>This Inner Loop Header: Depth=1
	ds_load_2addr_b64 v[41:44], v33 offset1:1
	s_waitcnt lgkmcnt(1)
	v_cmp_gt_f64_e32 vcc_lo, 0, v[24:25]
	v_xor_b32_e32 v45, 0x80000000, v25
	v_cmp_gt_f64_e64 s2, 0, v[26:27]
	v_xor_b32_e32 v47, 0x80000000, v27
	v_add_nc_u32_e32 v33, 16, v33
	s_waitcnt lgkmcnt(0)
	v_cmp_gt_f64_e64 s3, 0, v[41:42]
	v_mov_b32_e32 v49, v41
	v_dual_mov_b32 v51, v43 :: v_dual_cndmask_b32 v46, v25, v45
	v_xor_b32_e32 v45, 0x80000000, v42
	v_cndmask_b32_e64 v48, v27, v47, s2
	v_xor_b32_e32 v47, 0x80000000, v44
	s_delay_alu instid0(VALU_DEP_3) | instskip(SKIP_2) | instid1(VALU_DEP_2)
	v_cndmask_b32_e64 v50, v42, v45, s3
	v_cmp_gt_f64_e64 s3, 0, v[43:44]
	v_cndmask_b32_e32 v45, v24, v24, vcc_lo
	v_cndmask_b32_e64 v52, v44, v47, s3
	v_cndmask_b32_e64 v47, v26, v26, s2
	s_delay_alu instid0(VALU_DEP_2) | instskip(NEXT) | instid1(VALU_DEP_2)
	v_add_f64 v[49:50], v[49:50], v[51:52]
	v_add_f64 v[45:46], v[45:46], v[47:48]
	s_delay_alu instid0(VALU_DEP_1) | instskip(SKIP_4) | instid1(SALU_CYCLE_1)
	v_cmp_lt_f64_e32 vcc_lo, v[45:46], v[49:50]
	v_dual_cndmask_b32 v26, v26, v43 :: v_dual_cndmask_b32 v25, v25, v42
	v_dual_cndmask_b32 v24, v24, v41 :: v_dual_cndmask_b32 v27, v27, v44
	v_cndmask_b32_e64 v32, v32, s6, vcc_lo
	s_add_i32 s6, s6, 1
	s_cmp_lg_u32 s5, s6
	s_cbranch_scc1 .LBB10_85
.LBB10_86:
	s_set_inst_prefetch_distance 0x2
	s_waitcnt lgkmcnt(0)
	v_cmp_eq_f64_e32 vcc_lo, 0, v[24:25]
	v_cmp_eq_f64_e64 s2, 0, v[26:27]
	s_delay_alu instid0(VALU_DEP_1) | instskip(NEXT) | instid1(SALU_CYCLE_1)
	s_and_b32 s2, vcc_lo, s2
	s_and_saveexec_b32 s3, s2
	s_delay_alu instid0(SALU_CYCLE_1)
	s_xor_b32 s2, exec_lo, s3
; %bb.87:
	v_cmp_ne_u32_e32 vcc_lo, 0, v38
	v_cndmask_b32_e32 v38, 5, v38, vcc_lo
; %bb.88:
	s_and_not1_saveexec_b32 s3, s2
	s_cbranch_execz .LBB10_94
; %bb.89:
	v_cmp_gt_f64_e32 vcc_lo, 0, v[24:25]
	v_cmp_gt_f64_e64 s2, 0, v[26:27]
	v_xor_b32_e32 v33, 0x80000000, v25
	v_xor_b32_e32 v41, 0x80000000, v27
	s_delay_alu instid0(VALU_DEP_2) | instskip(NEXT) | instid1(VALU_DEP_2)
	v_cndmask_b32_e32 v42, v25, v33, vcc_lo
	v_cndmask_b32_e64 v44, v27, v41, s2
	v_cndmask_b32_e32 v41, v24, v24, vcc_lo
	v_cndmask_b32_e64 v43, v26, v26, s2
	s_mov_b32 s2, exec_lo
	s_delay_alu instid0(VALU_DEP_1)
	v_cmpx_ngt_f64_e32 v[41:42], v[43:44]
	s_xor_b32 s2, exec_lo, s2
	s_cbranch_execz .LBB10_91
; %bb.90:
	v_div_scale_f64 v[41:42], null, v[26:27], v[26:27], v[24:25]
	v_div_scale_f64 v[47:48], vcc_lo, v[24:25], v[26:27], v[24:25]
	s_delay_alu instid0(VALU_DEP_2) | instskip(SKIP_2) | instid1(VALU_DEP_1)
	v_rcp_f64_e32 v[43:44], v[41:42]
	s_waitcnt_depctr 0xfff
	v_fma_f64 v[45:46], -v[41:42], v[43:44], 1.0
	v_fma_f64 v[43:44], v[43:44], v[45:46], v[43:44]
	s_delay_alu instid0(VALU_DEP_1) | instskip(NEXT) | instid1(VALU_DEP_1)
	v_fma_f64 v[45:46], -v[41:42], v[43:44], 1.0
	v_fma_f64 v[43:44], v[43:44], v[45:46], v[43:44]
	s_delay_alu instid0(VALU_DEP_1) | instskip(NEXT) | instid1(VALU_DEP_1)
	v_mul_f64 v[45:46], v[47:48], v[43:44]
	v_fma_f64 v[41:42], -v[41:42], v[45:46], v[47:48]
	s_delay_alu instid0(VALU_DEP_1) | instskip(NEXT) | instid1(VALU_DEP_1)
	v_div_fmas_f64 v[41:42], v[41:42], v[43:44], v[45:46]
	v_div_fixup_f64 v[41:42], v[41:42], v[26:27], v[24:25]
	s_delay_alu instid0(VALU_DEP_1) | instskip(NEXT) | instid1(VALU_DEP_1)
	v_fma_f64 v[24:25], v[24:25], v[41:42], v[26:27]
	v_div_scale_f64 v[26:27], null, v[24:25], v[24:25], 1.0
	s_delay_alu instid0(VALU_DEP_1) | instskip(SKIP_2) | instid1(VALU_DEP_1)
	v_rcp_f64_e32 v[43:44], v[26:27]
	s_waitcnt_depctr 0xfff
	v_fma_f64 v[45:46], -v[26:27], v[43:44], 1.0
	v_fma_f64 v[43:44], v[43:44], v[45:46], v[43:44]
	s_delay_alu instid0(VALU_DEP_1) | instskip(NEXT) | instid1(VALU_DEP_1)
	v_fma_f64 v[45:46], -v[26:27], v[43:44], 1.0
	v_fma_f64 v[43:44], v[43:44], v[45:46], v[43:44]
	v_div_scale_f64 v[45:46], vcc_lo, 1.0, v[24:25], 1.0
	s_delay_alu instid0(VALU_DEP_1) | instskip(NEXT) | instid1(VALU_DEP_1)
	v_mul_f64 v[47:48], v[45:46], v[43:44]
	v_fma_f64 v[26:27], -v[26:27], v[47:48], v[45:46]
	s_delay_alu instid0(VALU_DEP_1) | instskip(NEXT) | instid1(VALU_DEP_1)
	v_div_fmas_f64 v[26:27], v[26:27], v[43:44], v[47:48]
	v_div_fixup_f64 v[26:27], v[26:27], v[24:25], 1.0
	s_delay_alu instid0(VALU_DEP_1)
	v_mul_f64 v[24:25], v[41:42], v[26:27]
	v_xor_b32_e32 v27, 0x80000000, v27
.LBB10_91:
	s_and_not1_saveexec_b32 s2, s2
	s_cbranch_execz .LBB10_93
; %bb.92:
	s_delay_alu instid0(VALU_DEP_1) | instskip(SKIP_1) | instid1(VALU_DEP_2)
	v_div_scale_f64 v[41:42], null, v[24:25], v[24:25], v[26:27]
	v_div_scale_f64 v[47:48], vcc_lo, v[26:27], v[24:25], v[26:27]
	v_rcp_f64_e32 v[43:44], v[41:42]
	s_waitcnt_depctr 0xfff
	v_fma_f64 v[45:46], -v[41:42], v[43:44], 1.0
	s_delay_alu instid0(VALU_DEP_1) | instskip(NEXT) | instid1(VALU_DEP_1)
	v_fma_f64 v[43:44], v[43:44], v[45:46], v[43:44]
	v_fma_f64 v[45:46], -v[41:42], v[43:44], 1.0
	s_delay_alu instid0(VALU_DEP_1) | instskip(NEXT) | instid1(VALU_DEP_1)
	v_fma_f64 v[43:44], v[43:44], v[45:46], v[43:44]
	v_mul_f64 v[45:46], v[47:48], v[43:44]
	s_delay_alu instid0(VALU_DEP_1) | instskip(NEXT) | instid1(VALU_DEP_1)
	v_fma_f64 v[41:42], -v[41:42], v[45:46], v[47:48]
	v_div_fmas_f64 v[41:42], v[41:42], v[43:44], v[45:46]
	s_delay_alu instid0(VALU_DEP_1) | instskip(NEXT) | instid1(VALU_DEP_1)
	v_div_fixup_f64 v[41:42], v[41:42], v[24:25], v[26:27]
	v_fma_f64 v[24:25], v[26:27], v[41:42], v[24:25]
	s_delay_alu instid0(VALU_DEP_1) | instskip(NEXT) | instid1(VALU_DEP_1)
	v_div_scale_f64 v[26:27], null, v[24:25], v[24:25], 1.0
	v_rcp_f64_e32 v[43:44], v[26:27]
	s_waitcnt_depctr 0xfff
	v_fma_f64 v[45:46], -v[26:27], v[43:44], 1.0
	s_delay_alu instid0(VALU_DEP_1) | instskip(NEXT) | instid1(VALU_DEP_1)
	v_fma_f64 v[43:44], v[43:44], v[45:46], v[43:44]
	v_fma_f64 v[45:46], -v[26:27], v[43:44], 1.0
	s_delay_alu instid0(VALU_DEP_1) | instskip(SKIP_1) | instid1(VALU_DEP_1)
	v_fma_f64 v[43:44], v[43:44], v[45:46], v[43:44]
	v_div_scale_f64 v[45:46], vcc_lo, 1.0, v[24:25], 1.0
	v_mul_f64 v[47:48], v[45:46], v[43:44]
	s_delay_alu instid0(VALU_DEP_1) | instskip(NEXT) | instid1(VALU_DEP_1)
	v_fma_f64 v[26:27], -v[26:27], v[47:48], v[45:46]
	v_div_fmas_f64 v[26:27], v[26:27], v[43:44], v[47:48]
	s_delay_alu instid0(VALU_DEP_1) | instskip(NEXT) | instid1(VALU_DEP_1)
	v_div_fixup_f64 v[24:25], v[26:27], v[24:25], 1.0
	v_mul_f64 v[26:27], v[41:42], -v[24:25]
.LBB10_93:
	s_or_b32 exec_lo, exec_lo, s2
.LBB10_94:
	s_delay_alu instid0(SALU_CYCLE_1) | instskip(NEXT) | instid1(SALU_CYCLE_1)
	s_or_b32 exec_lo, exec_lo, s3
	s_mov_b32 s2, exec_lo
	v_cmpx_ne_u32_e64 v40, v32
	s_xor_b32 s2, exec_lo, s2
	s_cbranch_execz .LBB10_100
; %bb.95:
	s_mov_b32 s3, exec_lo
	v_cmpx_eq_u32_e32 4, v40
	s_cbranch_execz .LBB10_99
; %bb.96:
	v_cmp_ne_u32_e32 vcc_lo, 4, v32
	s_xor_b32 s6, s4, -1
	s_delay_alu instid0(SALU_CYCLE_1) | instskip(NEXT) | instid1(SALU_CYCLE_1)
	s_and_b32 s7, s6, vcc_lo
	s_and_saveexec_b32 s6, s7
	s_cbranch_execz .LBB10_98
; %bb.97:
	v_ashrrev_i32_e32 v33, 31, v32
	s_delay_alu instid0(VALU_DEP_1) | instskip(NEXT) | instid1(VALU_DEP_1)
	v_lshlrev_b64 v[40:41], 2, v[32:33]
	v_add_co_u32 v40, vcc_lo, v30, v40
	s_delay_alu instid0(VALU_DEP_2)
	v_add_co_ci_u32_e32 v41, vcc_lo, v31, v41, vcc_lo
	s_clause 0x1
	flat_load_b32 v33, v[40:41]
	flat_load_b32 v37, v[30:31] offset:16
	s_waitcnt vmcnt(1) lgkmcnt(1)
	flat_store_b32 v[30:31], v33 offset:16
	s_waitcnt vmcnt(0) lgkmcnt(1)
	flat_store_b32 v[40:41], v37
.LBB10_98:
	s_or_b32 exec_lo, exec_lo, s6
	v_mov_b32_e32 v40, v32
	v_mov_b32_e32 v37, v32
.LBB10_99:
	s_or_b32 exec_lo, exec_lo, s3
.LBB10_100:
	s_and_not1_saveexec_b32 s2, s2
	s_cbranch_execz .LBB10_102
; %bb.101:
	v_mov_b32_e32 v40, 4
	ds_store_2addr_b64 v34, v[0:1], v[2:3] offset0:10 offset1:11
.LBB10_102:
	s_or_b32 exec_lo, exec_lo, s2
	s_delay_alu instid0(SALU_CYCLE_1)
	s_mov_b32 s2, exec_lo
	s_waitcnt lgkmcnt(0)
	s_waitcnt_vscnt null, 0x0
	s_barrier
	buffer_gl0_inv
	v_cmpx_lt_i32_e32 4, v40
	s_cbranch_execz .LBB10_104
; %bb.103:
	v_mul_f64 v[32:33], v[24:25], v[10:11]
	v_mul_f64 v[10:11], v[26:27], v[10:11]
	ds_load_2addr_b64 v[41:44], v34 offset0:10 offset1:11
	v_fma_f64 v[26:27], v[26:27], v[8:9], v[32:33]
	v_fma_f64 v[8:9], v[24:25], v[8:9], -v[10:11]
	s_waitcnt lgkmcnt(0)
	s_delay_alu instid0(VALU_DEP_2) | instskip(SKIP_1) | instid1(VALU_DEP_2)
	v_mul_f64 v[10:11], v[43:44], v[26:27]
	v_mul_f64 v[24:25], v[41:42], v[26:27]
	v_fma_f64 v[10:11], v[41:42], v[8:9], -v[10:11]
	s_delay_alu instid0(VALU_DEP_2) | instskip(NEXT) | instid1(VALU_DEP_2)
	v_fma_f64 v[24:25], v[43:44], v[8:9], v[24:25]
	v_add_f64 v[0:1], v[0:1], -v[10:11]
	s_delay_alu instid0(VALU_DEP_2)
	v_add_f64 v[2:3], v[2:3], -v[24:25]
	v_dual_mov_b32 v10, v26 :: v_dual_mov_b32 v11, v27
.LBB10_104:
	s_or_b32 exec_lo, exec_lo, s2
	v_lshl_add_u32 v24, v40, 4, v34
	s_barrier
	buffer_gl0_inv
	v_mov_b32_e32 v32, 5
	ds_store_2addr_b64 v24, v[0:1], v[2:3] offset1:1
	s_waitcnt lgkmcnt(0)
	s_barrier
	buffer_gl0_inv
	ds_load_2addr_b64 v[24:27], v34 offset0:10 offset1:11
	s_cmp_lt_i32 s5, 7
	s_cbranch_scc1 .LBB10_107
; %bb.105:
	v_add3_u32 v33, v39, 0, 0x60
	v_mov_b32_e32 v32, 5
	s_mov_b32 s6, 6
	s_set_inst_prefetch_distance 0x1
	.p2align	6
.LBB10_106:                             ; =>This Inner Loop Header: Depth=1
	ds_load_2addr_b64 v[41:44], v33 offset1:1
	s_waitcnt lgkmcnt(1)
	v_cmp_gt_f64_e32 vcc_lo, 0, v[24:25]
	v_xor_b32_e32 v34, 0x80000000, v25
	v_cmp_gt_f64_e64 s2, 0, v[26:27]
	v_xor_b32_e32 v39, 0x80000000, v27
	v_add_nc_u32_e32 v33, 16, v33
	s_waitcnt lgkmcnt(0)
	v_cmp_gt_f64_e64 s3, 0, v[41:42]
	v_mov_b32_e32 v49, v41
	v_dual_mov_b32 v51, v43 :: v_dual_cndmask_b32 v46, v25, v34
	v_xor_b32_e32 v34, 0x80000000, v42
	v_cndmask_b32_e64 v48, v27, v39, s2
	v_xor_b32_e32 v39, 0x80000000, v44
	v_cndmask_b32_e32 v45, v24, v24, vcc_lo
	v_cndmask_b32_e64 v47, v26, v26, s2
	s_delay_alu instid0(VALU_DEP_1) | instskip(SKIP_2) | instid1(VALU_DEP_1)
	v_add_f64 v[45:46], v[45:46], v[47:48]
	v_cndmask_b32_e64 v50, v42, v34, s3
	v_cmp_gt_f64_e64 s3, 0, v[43:44]
	v_cndmask_b32_e64 v52, v44, v39, s3
	s_delay_alu instid0(VALU_DEP_1) | instskip(NEXT) | instid1(VALU_DEP_1)
	v_add_f64 v[49:50], v[49:50], v[51:52]
	v_cmp_lt_f64_e32 vcc_lo, v[45:46], v[49:50]
	v_dual_cndmask_b32 v26, v26, v43 :: v_dual_cndmask_b32 v25, v25, v42
	v_dual_cndmask_b32 v24, v24, v41 :: v_dual_cndmask_b32 v27, v27, v44
	v_cndmask_b32_e64 v32, v32, s6, vcc_lo
	s_add_i32 s6, s6, 1
	s_delay_alu instid0(SALU_CYCLE_1)
	s_cmp_lg_u32 s5, s6
	s_cbranch_scc1 .LBB10_106
.LBB10_107:
	s_set_inst_prefetch_distance 0x2
	s_waitcnt lgkmcnt(0)
	v_cmp_eq_f64_e32 vcc_lo, 0, v[24:25]
	v_cmp_eq_f64_e64 s2, 0, v[26:27]
	s_delay_alu instid0(VALU_DEP_1) | instskip(NEXT) | instid1(SALU_CYCLE_1)
	s_and_b32 s2, vcc_lo, s2
	s_and_saveexec_b32 s3, s2
	s_delay_alu instid0(SALU_CYCLE_1)
	s_xor_b32 s2, exec_lo, s3
; %bb.108:
	v_cmp_ne_u32_e32 vcc_lo, 0, v38
	v_cndmask_b32_e32 v38, 6, v38, vcc_lo
; %bb.109:
	s_and_not1_saveexec_b32 s3, s2
	s_cbranch_execz .LBB10_115
; %bb.110:
	v_cmp_gt_f64_e32 vcc_lo, 0, v[24:25]
	v_cmp_gt_f64_e64 s2, 0, v[26:27]
	v_xor_b32_e32 v33, 0x80000000, v25
	v_xor_b32_e32 v39, 0x80000000, v27
	s_delay_alu instid0(VALU_DEP_2) | instskip(NEXT) | instid1(VALU_DEP_2)
	v_dual_cndmask_b32 v34, v25, v33 :: v_dual_cndmask_b32 v33, v24, v24
	v_cndmask_b32_e64 v42, v27, v39, s2
	v_cndmask_b32_e64 v41, v26, v26, s2
	s_mov_b32 s2, exec_lo
	s_delay_alu instid0(VALU_DEP_1)
	v_cmpx_ngt_f64_e32 v[33:34], v[41:42]
	s_xor_b32 s2, exec_lo, s2
	s_cbranch_execz .LBB10_112
; %bb.111:
	v_div_scale_f64 v[33:34], null, v[26:27], v[26:27], v[24:25]
	v_div_scale_f64 v[45:46], vcc_lo, v[24:25], v[26:27], v[24:25]
	s_delay_alu instid0(VALU_DEP_2) | instskip(SKIP_2) | instid1(VALU_DEP_1)
	v_rcp_f64_e32 v[41:42], v[33:34]
	s_waitcnt_depctr 0xfff
	v_fma_f64 v[43:44], -v[33:34], v[41:42], 1.0
	v_fma_f64 v[41:42], v[41:42], v[43:44], v[41:42]
	s_delay_alu instid0(VALU_DEP_1) | instskip(NEXT) | instid1(VALU_DEP_1)
	v_fma_f64 v[43:44], -v[33:34], v[41:42], 1.0
	v_fma_f64 v[41:42], v[41:42], v[43:44], v[41:42]
	s_delay_alu instid0(VALU_DEP_1) | instskip(NEXT) | instid1(VALU_DEP_1)
	v_mul_f64 v[43:44], v[45:46], v[41:42]
	v_fma_f64 v[33:34], -v[33:34], v[43:44], v[45:46]
	s_delay_alu instid0(VALU_DEP_1) | instskip(NEXT) | instid1(VALU_DEP_1)
	v_div_fmas_f64 v[33:34], v[33:34], v[41:42], v[43:44]
	v_div_fixup_f64 v[33:34], v[33:34], v[26:27], v[24:25]
	s_delay_alu instid0(VALU_DEP_1) | instskip(NEXT) | instid1(VALU_DEP_1)
	v_fma_f64 v[24:25], v[24:25], v[33:34], v[26:27]
	v_div_scale_f64 v[26:27], null, v[24:25], v[24:25], 1.0
	s_delay_alu instid0(VALU_DEP_1) | instskip(SKIP_2) | instid1(VALU_DEP_1)
	v_rcp_f64_e32 v[41:42], v[26:27]
	s_waitcnt_depctr 0xfff
	v_fma_f64 v[43:44], -v[26:27], v[41:42], 1.0
	v_fma_f64 v[41:42], v[41:42], v[43:44], v[41:42]
	s_delay_alu instid0(VALU_DEP_1) | instskip(NEXT) | instid1(VALU_DEP_1)
	v_fma_f64 v[43:44], -v[26:27], v[41:42], 1.0
	v_fma_f64 v[41:42], v[41:42], v[43:44], v[41:42]
	v_div_scale_f64 v[43:44], vcc_lo, 1.0, v[24:25], 1.0
	s_delay_alu instid0(VALU_DEP_1) | instskip(NEXT) | instid1(VALU_DEP_1)
	v_mul_f64 v[45:46], v[43:44], v[41:42]
	v_fma_f64 v[26:27], -v[26:27], v[45:46], v[43:44]
	s_delay_alu instid0(VALU_DEP_1) | instskip(NEXT) | instid1(VALU_DEP_1)
	v_div_fmas_f64 v[26:27], v[26:27], v[41:42], v[45:46]
	v_div_fixup_f64 v[26:27], v[26:27], v[24:25], 1.0
	s_delay_alu instid0(VALU_DEP_1)
	v_mul_f64 v[24:25], v[33:34], v[26:27]
	v_xor_b32_e32 v27, 0x80000000, v27
.LBB10_112:
	s_and_not1_saveexec_b32 s2, s2
	s_cbranch_execz .LBB10_114
; %bb.113:
	s_delay_alu instid0(VALU_DEP_1) | instskip(SKIP_1) | instid1(VALU_DEP_2)
	v_div_scale_f64 v[33:34], null, v[24:25], v[24:25], v[26:27]
	v_div_scale_f64 v[45:46], vcc_lo, v[26:27], v[24:25], v[26:27]
	v_rcp_f64_e32 v[41:42], v[33:34]
	s_waitcnt_depctr 0xfff
	v_fma_f64 v[43:44], -v[33:34], v[41:42], 1.0
	s_delay_alu instid0(VALU_DEP_1) | instskip(NEXT) | instid1(VALU_DEP_1)
	v_fma_f64 v[41:42], v[41:42], v[43:44], v[41:42]
	v_fma_f64 v[43:44], -v[33:34], v[41:42], 1.0
	s_delay_alu instid0(VALU_DEP_1) | instskip(NEXT) | instid1(VALU_DEP_1)
	v_fma_f64 v[41:42], v[41:42], v[43:44], v[41:42]
	v_mul_f64 v[43:44], v[45:46], v[41:42]
	s_delay_alu instid0(VALU_DEP_1) | instskip(NEXT) | instid1(VALU_DEP_1)
	v_fma_f64 v[33:34], -v[33:34], v[43:44], v[45:46]
	v_div_fmas_f64 v[33:34], v[33:34], v[41:42], v[43:44]
	s_delay_alu instid0(VALU_DEP_1) | instskip(NEXT) | instid1(VALU_DEP_1)
	v_div_fixup_f64 v[33:34], v[33:34], v[24:25], v[26:27]
	v_fma_f64 v[24:25], v[26:27], v[33:34], v[24:25]
	s_delay_alu instid0(VALU_DEP_1) | instskip(NEXT) | instid1(VALU_DEP_1)
	v_div_scale_f64 v[26:27], null, v[24:25], v[24:25], 1.0
	v_rcp_f64_e32 v[41:42], v[26:27]
	s_waitcnt_depctr 0xfff
	v_fma_f64 v[43:44], -v[26:27], v[41:42], 1.0
	s_delay_alu instid0(VALU_DEP_1) | instskip(NEXT) | instid1(VALU_DEP_1)
	v_fma_f64 v[41:42], v[41:42], v[43:44], v[41:42]
	v_fma_f64 v[43:44], -v[26:27], v[41:42], 1.0
	s_delay_alu instid0(VALU_DEP_1) | instskip(SKIP_1) | instid1(VALU_DEP_1)
	v_fma_f64 v[41:42], v[41:42], v[43:44], v[41:42]
	v_div_scale_f64 v[43:44], vcc_lo, 1.0, v[24:25], 1.0
	v_mul_f64 v[45:46], v[43:44], v[41:42]
	s_delay_alu instid0(VALU_DEP_1) | instskip(NEXT) | instid1(VALU_DEP_1)
	v_fma_f64 v[26:27], -v[26:27], v[45:46], v[43:44]
	v_div_fmas_f64 v[26:27], v[26:27], v[41:42], v[45:46]
	s_delay_alu instid0(VALU_DEP_1) | instskip(NEXT) | instid1(VALU_DEP_1)
	v_div_fixup_f64 v[24:25], v[26:27], v[24:25], 1.0
	v_mul_f64 v[26:27], v[33:34], -v[24:25]
.LBB10_114:
	s_or_b32 exec_lo, exec_lo, s2
.LBB10_115:
	s_delay_alu instid0(SALU_CYCLE_1)
	s_or_b32 exec_lo, exec_lo, s3
	v_mov_b32_e32 v33, 5
	s_mov_b32 s2, exec_lo
	v_cmpx_ne_u32_e64 v40, v32
	s_cbranch_execz .LBB10_121
; %bb.116:
	s_mov_b32 s3, exec_lo
	v_cmpx_eq_u32_e32 5, v40
	s_cbranch_execz .LBB10_120
; %bb.117:
	v_cmp_ne_u32_e32 vcc_lo, 5, v32
	s_xor_b32 s4, s4, -1
	s_delay_alu instid0(SALU_CYCLE_1) | instskip(NEXT) | instid1(SALU_CYCLE_1)
	s_and_b32 s5, s4, vcc_lo
	s_and_saveexec_b32 s4, s5
	s_cbranch_execz .LBB10_119
; %bb.118:
	v_ashrrev_i32_e32 v33, 31, v32
	s_delay_alu instid0(VALU_DEP_1) | instskip(NEXT) | instid1(VALU_DEP_1)
	v_lshlrev_b64 v[33:34], 2, v[32:33]
	v_add_co_u32 v33, vcc_lo, v30, v33
	s_delay_alu instid0(VALU_DEP_2)
	v_add_co_ci_u32_e32 v34, vcc_lo, v31, v34, vcc_lo
	s_clause 0x1
	flat_load_b32 v37, v[33:34]
	flat_load_b32 v39, v[30:31] offset:20
	s_waitcnt vmcnt(1) lgkmcnt(1)
	flat_store_b32 v[30:31], v37 offset:20
	s_waitcnt vmcnt(0) lgkmcnt(1)
	flat_store_b32 v[33:34], v39
.LBB10_119:
	s_or_b32 exec_lo, exec_lo, s4
	v_mov_b32_e32 v40, v32
	v_mov_b32_e32 v37, v32
.LBB10_120:
	s_or_b32 exec_lo, exec_lo, s3
	s_delay_alu instid0(VALU_DEP_2)
	v_mov_b32_e32 v33, v40
.LBB10_121:
	s_or_b32 exec_lo, exec_lo, s2
	s_delay_alu instid0(SALU_CYCLE_1)
	s_mov_b32 s2, exec_lo
	s_waitcnt lgkmcnt(0)
	s_waitcnt_vscnt null, 0x0
	s_barrier
	buffer_gl0_inv
	v_cmpx_lt_i32_e32 5, v33
; %bb.122:
	v_mul_f64 v[30:31], v[26:27], v[2:3]
	v_mul_f64 v[2:3], v[24:25], v[2:3]
	s_delay_alu instid0(VALU_DEP_2) | instskip(NEXT) | instid1(VALU_DEP_2)
	v_fma_f64 v[24:25], v[24:25], v[0:1], -v[30:31]
	v_fma_f64 v[2:3], v[26:27], v[0:1], v[2:3]
	s_delay_alu instid0(VALU_DEP_2)
	v_dual_mov_b32 v0, v24 :: v_dual_mov_b32 v1, v25
; %bb.123:
	s_or_b32 exec_lo, exec_lo, s2
	s_load_b256 s[0:7], s[0:1], 0x28
	v_ashrrev_i32_e32 v34, 31, v33
	s_mov_b32 s9, exec_lo
	s_waitcnt lgkmcnt(0)
	s_barrier
	buffer_gl0_inv
	v_cmpx_gt_i32_e32 6, v33
	s_cbranch_execz .LBB10_125
; %bb.124:
	v_mul_lo_u32 v26, v29, s4
	v_mul_lo_u32 v27, v28, s5
	v_mad_u64_u32 v[24:25], null, v28, s4, 0
	s_lshl_b64 s[2:3], s[2:3], 2
	s_delay_alu instid0(SALU_CYCLE_1) | instskip(SKIP_1) | instid1(VALU_DEP_1)
	s_add_u32 s0, s2, s0
	s_addc_u32 s1, s3, s1
	v_add3_u32 v25, v25, v27, v26
	v_lshlrev_b64 v[26:27], 2, v[33:34]
	s_delay_alu instid0(VALU_DEP_2) | instskip(NEXT) | instid1(VALU_DEP_1)
	v_lshlrev_b64 v[24:25], 2, v[24:25]
	v_add_co_u32 v24, vcc_lo, s0, v24
	s_delay_alu instid0(VALU_DEP_2) | instskip(NEXT) | instid1(VALU_DEP_2)
	v_add_co_ci_u32_e32 v25, vcc_lo, s1, v25, vcc_lo
	v_add_co_u32 v24, vcc_lo, v24, v26
	s_delay_alu instid0(VALU_DEP_2)
	v_add_co_ci_u32_e32 v25, vcc_lo, v25, v27, vcc_lo
	v_add3_u32 v26, v37, s13, 1
	global_store_b32 v[24:25], v26, off
.LBB10_125:
	s_or_b32 exec_lo, exec_lo, s9
	s_delay_alu instid0(SALU_CYCLE_1)
	s_mov_b32 s1, exec_lo
	v_cmpx_eq_u32_e32 0, v33
	s_cbranch_execz .LBB10_128
; %bb.126:
	v_lshlrev_b64 v[24:25], 2, v[28:29]
	v_cmp_lt_i32_e64 s0, 0, v38
	s_delay_alu instid0(VALU_DEP_2) | instskip(NEXT) | instid1(VALU_DEP_3)
	v_add_co_u32 v24, vcc_lo, s6, v24
	v_add_co_ci_u32_e32 v25, vcc_lo, s7, v25, vcc_lo
	global_load_b32 v26, v[24:25], off
	s_waitcnt vmcnt(0)
	v_cmp_eq_u32_e32 vcc_lo, 0, v26
	s_and_b32 s0, vcc_lo, s0
	s_delay_alu instid0(SALU_CYCLE_1)
	s_and_b32 exec_lo, exec_lo, s0
	s_cbranch_execz .LBB10_128
; %bb.127:
	v_add_nc_u32_e32 v26, s13, v38
	global_store_b32 v[24:25], v26, off
.LBB10_128:
	s_or_b32 exec_lo, exec_lo, s1
	v_add3_u32 v24, s8, s8, v33
	v_lshlrev_b64 v[26:27], 4, v[33:34]
	s_delay_alu instid0(VALU_DEP_2) | instskip(SKIP_1) | instid1(VALU_DEP_3)
	v_add_nc_u32_e32 v28, s8, v24
	v_ashrrev_i32_e32 v25, 31, v24
	v_add_co_u32 v26, vcc_lo, v35, v26
	s_delay_alu instid0(VALU_DEP_4) | instskip(NEXT) | instid1(VALU_DEP_4)
	v_add_co_ci_u32_e32 v27, vcc_lo, v36, v27, vcc_lo
	v_add_nc_u32_e32 v30, s8, v28
	v_ashrrev_i32_e32 v29, 31, v28
	v_lshlrev_b64 v[24:25], 4, v[24:25]
	global_store_b128 v[26:27], v[4:7], off
	v_add_co_u32 v4, vcc_lo, v26, s10
	v_add_nc_u32_e32 v26, s8, v30
	v_ashrrev_i32_e32 v31, 31, v30
	v_lshlrev_b64 v[6:7], 4, v[28:29]
	v_add_co_ci_u32_e32 v5, vcc_lo, s11, v27, vcc_lo
	s_delay_alu instid0(VALU_DEP_4)
	v_ashrrev_i32_e32 v27, 31, v26
	v_add_co_u32 v24, vcc_lo, v35, v24
	v_lshlrev_b64 v[28:29], 4, v[30:31]
	v_add_co_ci_u32_e32 v25, vcc_lo, v36, v25, vcc_lo
	v_add_co_u32 v6, vcc_lo, v35, v6
	v_lshlrev_b64 v[26:27], 4, v[26:27]
	v_add_co_ci_u32_e32 v7, vcc_lo, v36, v7, vcc_lo
	v_add_co_u32 v28, vcc_lo, v35, v28
	v_add_co_ci_u32_e32 v29, vcc_lo, v36, v29, vcc_lo
	s_delay_alu instid0(VALU_DEP_4)
	v_add_co_u32 v26, vcc_lo, v35, v26
	v_add_co_ci_u32_e32 v27, vcc_lo, v36, v27, vcc_lo
	s_clause 0x4
	global_store_b128 v[4:5], v[20:23], off
	global_store_b128 v[24:25], v[16:19], off
	;; [unrolled: 1-line block ×5, first 2 shown]
.LBB10_129:
	s_nop 0
	s_sendmsg sendmsg(MSG_DEALLOC_VGPRS)
	s_endpgm
	.section	.rodata,"a",@progbits
	.p2align	6, 0x0
	.amdhsa_kernel _ZN9rocsolver6v33100L18getf2_small_kernelILi6E19rocblas_complex_numIdEiiPKPS3_EEvT1_T3_lS7_lPS7_llPT2_S7_S7_S9_l
		.amdhsa_group_segment_fixed_size 0
		.amdhsa_private_segment_fixed_size 0
		.amdhsa_kernarg_size 352
		.amdhsa_user_sgpr_count 14
		.amdhsa_user_sgpr_dispatch_ptr 0
		.amdhsa_user_sgpr_queue_ptr 0
		.amdhsa_user_sgpr_kernarg_segment_ptr 1
		.amdhsa_user_sgpr_dispatch_id 0
		.amdhsa_user_sgpr_private_segment_size 0
		.amdhsa_wavefront_size32 1
		.amdhsa_uses_dynamic_stack 0
		.amdhsa_enable_private_segment 0
		.amdhsa_system_sgpr_workgroup_id_x 1
		.amdhsa_system_sgpr_workgroup_id_y 1
		.amdhsa_system_sgpr_workgroup_id_z 0
		.amdhsa_system_sgpr_workgroup_info 0
		.amdhsa_system_vgpr_workitem_id 1
		.amdhsa_next_free_vgpr 76
		.amdhsa_next_free_sgpr 16
		.amdhsa_reserve_vcc 1
		.amdhsa_float_round_mode_32 0
		.amdhsa_float_round_mode_16_64 0
		.amdhsa_float_denorm_mode_32 3
		.amdhsa_float_denorm_mode_16_64 3
		.amdhsa_dx10_clamp 1
		.amdhsa_ieee_mode 1
		.amdhsa_fp16_overflow 0
		.amdhsa_workgroup_processor_mode 1
		.amdhsa_memory_ordered 1
		.amdhsa_forward_progress 0
		.amdhsa_shared_vgpr_count 0
		.amdhsa_exception_fp_ieee_invalid_op 0
		.amdhsa_exception_fp_denorm_src 0
		.amdhsa_exception_fp_ieee_div_zero 0
		.amdhsa_exception_fp_ieee_overflow 0
		.amdhsa_exception_fp_ieee_underflow 0
		.amdhsa_exception_fp_ieee_inexact 0
		.amdhsa_exception_int_div_zero 0
	.end_amdhsa_kernel
	.section	.text._ZN9rocsolver6v33100L18getf2_small_kernelILi6E19rocblas_complex_numIdEiiPKPS3_EEvT1_T3_lS7_lPS7_llPT2_S7_S7_S9_l,"axG",@progbits,_ZN9rocsolver6v33100L18getf2_small_kernelILi6E19rocblas_complex_numIdEiiPKPS3_EEvT1_T3_lS7_lPS7_llPT2_S7_S7_S9_l,comdat
.Lfunc_end10:
	.size	_ZN9rocsolver6v33100L18getf2_small_kernelILi6E19rocblas_complex_numIdEiiPKPS3_EEvT1_T3_lS7_lPS7_llPT2_S7_S7_S9_l, .Lfunc_end10-_ZN9rocsolver6v33100L18getf2_small_kernelILi6E19rocblas_complex_numIdEiiPKPS3_EEvT1_T3_lS7_lPS7_llPT2_S7_S7_S9_l
                                        ; -- End function
	.section	.AMDGPU.csdata,"",@progbits
; Kernel info:
; codeLenInByte = 8964
; NumSgprs: 18
; NumVgprs: 76
; ScratchSize: 0
; MemoryBound: 0
; FloatMode: 240
; IeeeMode: 1
; LDSByteSize: 0 bytes/workgroup (compile time only)
; SGPRBlocks: 2
; VGPRBlocks: 9
; NumSGPRsForWavesPerEU: 18
; NumVGPRsForWavesPerEU: 76
; Occupancy: 16
; WaveLimiterHint : 1
; COMPUTE_PGM_RSRC2:SCRATCH_EN: 0
; COMPUTE_PGM_RSRC2:USER_SGPR: 14
; COMPUTE_PGM_RSRC2:TRAP_HANDLER: 0
; COMPUTE_PGM_RSRC2:TGID_X_EN: 1
; COMPUTE_PGM_RSRC2:TGID_Y_EN: 1
; COMPUTE_PGM_RSRC2:TGID_Z_EN: 0
; COMPUTE_PGM_RSRC2:TIDIG_COMP_CNT: 1
	.section	.text._ZN9rocsolver6v33100L23getf2_npvt_small_kernelILi6E19rocblas_complex_numIdEiiPKPS3_EEvT1_T3_lS7_lPT2_S7_S7_,"axG",@progbits,_ZN9rocsolver6v33100L23getf2_npvt_small_kernelILi6E19rocblas_complex_numIdEiiPKPS3_EEvT1_T3_lS7_lPT2_S7_S7_,comdat
	.globl	_ZN9rocsolver6v33100L23getf2_npvt_small_kernelILi6E19rocblas_complex_numIdEiiPKPS3_EEvT1_T3_lS7_lPT2_S7_S7_ ; -- Begin function _ZN9rocsolver6v33100L23getf2_npvt_small_kernelILi6E19rocblas_complex_numIdEiiPKPS3_EEvT1_T3_lS7_lPT2_S7_S7_
	.p2align	8
	.type	_ZN9rocsolver6v33100L23getf2_npvt_small_kernelILi6E19rocblas_complex_numIdEiiPKPS3_EEvT1_T3_lS7_lPT2_S7_S7_,@function
_ZN9rocsolver6v33100L23getf2_npvt_small_kernelILi6E19rocblas_complex_numIdEiiPKPS3_EEvT1_T3_lS7_lPT2_S7_S7_: ; @_ZN9rocsolver6v33100L23getf2_npvt_small_kernelILi6E19rocblas_complex_numIdEiiPKPS3_EEvT1_T3_lS7_lPT2_S7_S7_
; %bb.0:
	s_clause 0x1
	s_load_b32 s2, s[0:1], 0x44
	s_load_b64 s[8:9], s[0:1], 0x30
	v_bfe_u32 v24, v0, 10, 10
	s_waitcnt lgkmcnt(0)
	s_lshr_b32 s10, s2, 16
	s_mov_b32 s2, exec_lo
	s_delay_alu instid0(VALU_DEP_1) | instskip(NEXT) | instid1(VALU_DEP_1)
	v_mad_u64_u32 v[48:49], null, s15, s10, v[24:25]
	v_cmpx_gt_i32_e64 s8, v48
	s_cbranch_execz .LBB11_59
; %bb.1:
	s_clause 0x1
	s_load_b128 s[4:7], s[0:1], 0x8
	s_load_b32 s2, s[0:1], 0x18
	v_ashrrev_i32_e32 v49, 31, v48
	v_and_b32_e32 v64, 0x3ff, v0
	v_lshlrev_b32_e32 v25, 4, v24
	s_mulk_i32 s10, 0x60
	v_mad_u32_u24 v66, 0x60, v24, 0
	v_lshlrev_b64 v[1:2], 3, v[48:49]
	v_lshlrev_b32_e32 v11, 4, v64
	v_add3_u32 v65, 0, s10, v25
	s_waitcnt lgkmcnt(0)
	s_delay_alu instid0(VALU_DEP_3) | instskip(NEXT) | instid1(VALU_DEP_4)
	v_add_co_u32 v1, vcc_lo, s4, v1
	v_add_co_ci_u32_e32 v2, vcc_lo, s5, v2, vcc_lo
	v_add3_u32 v3, s2, s2, v64
	s_lshl_b64 s[4:5], s[6:7], 4
	s_ashr_i32 s3, s2, 31
	global_load_b64 v[1:2], v[1:2], off
	v_add_nc_u32_e32 v5, s2, v3
	v_ashrrev_i32_e32 v4, 31, v3
	s_delay_alu instid0(VALU_DEP_2) | instskip(SKIP_1) | instid1(VALU_DEP_3)
	v_add_nc_u32_e32 v7, s2, v5
	v_ashrrev_i32_e32 v6, 31, v5
	v_lshlrev_b64 v[3:4], 4, v[3:4]
	s_delay_alu instid0(VALU_DEP_3) | instskip(SKIP_1) | instid1(VALU_DEP_4)
	v_ashrrev_i32_e32 v8, 31, v7
	v_add_nc_u32_e32 v9, s2, v7
	v_lshlrev_b64 v[5:6], 4, v[5:6]
	s_lshl_b64 s[2:3], s[2:3], 4
	s_delay_alu instid0(VALU_DEP_3) | instskip(NEXT) | instid1(VALU_DEP_3)
	v_lshlrev_b64 v[7:8], 4, v[7:8]
	v_ashrrev_i32_e32 v10, 31, v9
	s_waitcnt vmcnt(0)
	v_add_co_u32 v12, vcc_lo, v1, s4
	v_add_co_ci_u32_e32 v2, vcc_lo, s5, v2, vcc_lo
	s_delay_alu instid0(VALU_DEP_3) | instskip(NEXT) | instid1(VALU_DEP_3)
	v_lshlrev_b64 v[0:1], 4, v[9:10]
	v_add_co_u32 v60, vcc_lo, v12, v11
	s_delay_alu instid0(VALU_DEP_3)
	v_add_co_ci_u32_e32 v61, vcc_lo, 0, v2, vcc_lo
	v_add_co_u32 v56, vcc_lo, v12, v3
	v_add_co_ci_u32_e32 v57, vcc_lo, v2, v4, vcc_lo
	v_add_co_u32 v54, vcc_lo, v12, v5
	;; [unrolled: 2-line block ×5, first 2 shown]
	v_add_co_ci_u32_e32 v51, vcc_lo, v2, v1, vcc_lo
	s_clause 0x5
	global_load_b128 v[12:15], v[56:57], off
	global_load_b128 v[8:11], v[54:55], off
	global_load_b128 v[20:23], v[60:61], off
	global_load_b128 v[16:19], v[58:59], off
	global_load_b128 v[4:7], v[52:53], off
	global_load_b128 v[0:3], v[50:51], off
	v_cmp_ne_u32_e64 s3, 0, v64
	v_cmp_eq_u32_e64 s2, 0, v64
	s_delay_alu instid0(VALU_DEP_1)
	s_and_saveexec_b32 s5, s2
	s_cbranch_execz .LBB11_8
; %bb.2:
	s_waitcnt vmcnt(3)
	ds_store_2addr_b64 v65, v[20:21], v[22:23] offset1:1
	s_waitcnt vmcnt(2)
	ds_store_2addr_b64 v66, v[16:17], v[18:19] offset0:2 offset1:3
	ds_store_2addr_b64 v66, v[12:13], v[14:15] offset0:4 offset1:5
	;; [unrolled: 1-line block ×3, first 2 shown]
	s_waitcnt vmcnt(1)
	ds_store_2addr_b64 v66, v[4:5], v[6:7] offset0:8 offset1:9
	s_waitcnt vmcnt(0)
	ds_store_2addr_b64 v66, v[0:1], v[2:3] offset0:10 offset1:11
	ds_load_2addr_b64 v[24:27], v65 offset1:1
	s_waitcnt lgkmcnt(0)
	v_cmp_neq_f64_e32 vcc_lo, 0, v[24:25]
	v_cmp_neq_f64_e64 s4, 0, v[26:27]
	s_delay_alu instid0(VALU_DEP_1) | instskip(NEXT) | instid1(SALU_CYCLE_1)
	s_or_b32 s4, vcc_lo, s4
	s_and_b32 exec_lo, exec_lo, s4
	s_cbranch_execz .LBB11_8
; %bb.3:
	v_cmp_gt_f64_e32 vcc_lo, 0, v[24:25]
	v_cmp_gt_f64_e64 s4, 0, v[26:27]
	v_xor_b32_e32 v28, 0x80000000, v25
	v_xor_b32_e32 v30, 0x80000000, v27
                                        ; implicit-def: $vgpr32_vgpr33
	s_delay_alu instid0(VALU_DEP_2) | instskip(NEXT) | instid1(VALU_DEP_2)
	v_cndmask_b32_e32 v29, v25, v28, vcc_lo
	v_cndmask_b32_e64 v31, v27, v30, s4
	v_cndmask_b32_e32 v28, v24, v24, vcc_lo
	v_cndmask_b32_e64 v30, v26, v26, s4
	s_mov_b32 s4, exec_lo
	s_delay_alu instid0(VALU_DEP_1)
	v_cmpx_ngt_f64_e32 v[28:29], v[30:31]
	s_xor_b32 s4, exec_lo, s4
                                        ; implicit-def: $vgpr28_vgpr29_vgpr30_vgpr31
	s_cbranch_execz .LBB11_5
; %bb.4:
	v_div_scale_f64 v[28:29], null, v[26:27], v[26:27], v[24:25]
	v_div_scale_f64 v[34:35], vcc_lo, v[24:25], v[26:27], v[24:25]
	s_delay_alu instid0(VALU_DEP_2) | instskip(SKIP_2) | instid1(VALU_DEP_1)
	v_rcp_f64_e32 v[30:31], v[28:29]
	s_waitcnt_depctr 0xfff
	v_fma_f64 v[32:33], -v[28:29], v[30:31], 1.0
	v_fma_f64 v[30:31], v[30:31], v[32:33], v[30:31]
	s_delay_alu instid0(VALU_DEP_1) | instskip(NEXT) | instid1(VALU_DEP_1)
	v_fma_f64 v[32:33], -v[28:29], v[30:31], 1.0
	v_fma_f64 v[30:31], v[30:31], v[32:33], v[30:31]
	s_delay_alu instid0(VALU_DEP_1) | instskip(NEXT) | instid1(VALU_DEP_1)
	v_mul_f64 v[32:33], v[34:35], v[30:31]
	v_fma_f64 v[28:29], -v[28:29], v[32:33], v[34:35]
	s_delay_alu instid0(VALU_DEP_1) | instskip(NEXT) | instid1(VALU_DEP_1)
	v_div_fmas_f64 v[28:29], v[28:29], v[30:31], v[32:33]
	v_div_fixup_f64 v[28:29], v[28:29], v[26:27], v[24:25]
	s_delay_alu instid0(VALU_DEP_1) | instskip(NEXT) | instid1(VALU_DEP_1)
	v_fma_f64 v[24:25], v[24:25], v[28:29], v[26:27]
	v_div_scale_f64 v[26:27], null, v[24:25], v[24:25], 1.0
	s_delay_alu instid0(VALU_DEP_1) | instskip(SKIP_2) | instid1(VALU_DEP_1)
	v_rcp_f64_e32 v[30:31], v[26:27]
	s_waitcnt_depctr 0xfff
	v_fma_f64 v[32:33], -v[26:27], v[30:31], 1.0
	v_fma_f64 v[30:31], v[30:31], v[32:33], v[30:31]
	s_delay_alu instid0(VALU_DEP_1) | instskip(NEXT) | instid1(VALU_DEP_1)
	v_fma_f64 v[32:33], -v[26:27], v[30:31], 1.0
	v_fma_f64 v[30:31], v[30:31], v[32:33], v[30:31]
	v_div_scale_f64 v[32:33], vcc_lo, 1.0, v[24:25], 1.0
	s_delay_alu instid0(VALU_DEP_1) | instskip(NEXT) | instid1(VALU_DEP_1)
	v_mul_f64 v[34:35], v[32:33], v[30:31]
	v_fma_f64 v[26:27], -v[26:27], v[34:35], v[32:33]
	s_delay_alu instid0(VALU_DEP_1) | instskip(NEXT) | instid1(VALU_DEP_1)
	v_div_fmas_f64 v[26:27], v[26:27], v[30:31], v[34:35]
	v_div_fixup_f64 v[30:31], v[26:27], v[24:25], 1.0
                                        ; implicit-def: $vgpr24_vgpr25
	s_delay_alu instid0(VALU_DEP_1)
	v_mul_f64 v[32:33], v[28:29], v[30:31]
	v_xor_b32_e32 v31, 0x80000000, v31
.LBB11_5:
	s_and_not1_saveexec_b32 s4, s4
	s_cbranch_execz .LBB11_7
; %bb.6:
	v_div_scale_f64 v[28:29], null, v[24:25], v[24:25], v[26:27]
	v_div_scale_f64 v[34:35], vcc_lo, v[26:27], v[24:25], v[26:27]
	s_delay_alu instid0(VALU_DEP_2) | instskip(SKIP_2) | instid1(VALU_DEP_1)
	v_rcp_f64_e32 v[30:31], v[28:29]
	s_waitcnt_depctr 0xfff
	v_fma_f64 v[32:33], -v[28:29], v[30:31], 1.0
	v_fma_f64 v[30:31], v[30:31], v[32:33], v[30:31]
	s_delay_alu instid0(VALU_DEP_1) | instskip(NEXT) | instid1(VALU_DEP_1)
	v_fma_f64 v[32:33], -v[28:29], v[30:31], 1.0
	v_fma_f64 v[30:31], v[30:31], v[32:33], v[30:31]
	s_delay_alu instid0(VALU_DEP_1) | instskip(NEXT) | instid1(VALU_DEP_1)
	v_mul_f64 v[32:33], v[34:35], v[30:31]
	v_fma_f64 v[28:29], -v[28:29], v[32:33], v[34:35]
	s_delay_alu instid0(VALU_DEP_1) | instskip(NEXT) | instid1(VALU_DEP_1)
	v_div_fmas_f64 v[28:29], v[28:29], v[30:31], v[32:33]
	v_div_fixup_f64 v[28:29], v[28:29], v[24:25], v[26:27]
	s_delay_alu instid0(VALU_DEP_1) | instskip(NEXT) | instid1(VALU_DEP_1)
	v_fma_f64 v[24:25], v[26:27], v[28:29], v[24:25]
	v_div_scale_f64 v[26:27], null, v[24:25], v[24:25], 1.0
	s_delay_alu instid0(VALU_DEP_1) | instskip(SKIP_2) | instid1(VALU_DEP_1)
	v_rcp_f64_e32 v[30:31], v[26:27]
	s_waitcnt_depctr 0xfff
	v_fma_f64 v[32:33], -v[26:27], v[30:31], 1.0
	v_fma_f64 v[30:31], v[30:31], v[32:33], v[30:31]
	s_delay_alu instid0(VALU_DEP_1) | instskip(NEXT) | instid1(VALU_DEP_1)
	v_fma_f64 v[32:33], -v[26:27], v[30:31], 1.0
	v_fma_f64 v[30:31], v[30:31], v[32:33], v[30:31]
	v_div_scale_f64 v[32:33], vcc_lo, 1.0, v[24:25], 1.0
	s_delay_alu instid0(VALU_DEP_1) | instskip(NEXT) | instid1(VALU_DEP_1)
	v_mul_f64 v[34:35], v[32:33], v[30:31]
	v_fma_f64 v[26:27], -v[26:27], v[34:35], v[32:33]
	s_delay_alu instid0(VALU_DEP_1) | instskip(NEXT) | instid1(VALU_DEP_1)
	v_div_fmas_f64 v[26:27], v[26:27], v[30:31], v[34:35]
	v_div_fixup_f64 v[32:33], v[26:27], v[24:25], 1.0
	s_delay_alu instid0(VALU_DEP_1)
	v_mul_f64 v[30:31], v[28:29], -v[32:33]
.LBB11_7:
	s_or_b32 exec_lo, exec_lo, s4
	ds_store_2addr_b64 v65, v[32:33], v[30:31] offset1:1
.LBB11_8:
	s_or_b32 exec_lo, exec_lo, s5
	s_waitcnt vmcnt(0) lgkmcnt(0)
	s_barrier
	buffer_gl0_inv
	ds_load_2addr_b64 v[24:27], v65 offset1:1
	s_and_saveexec_b32 s4, s3
	s_cbranch_execz .LBB11_10
; %bb.9:
	s_waitcnt lgkmcnt(0)
	v_mul_f64 v[28:29], v[24:25], v[22:23]
	v_mul_f64 v[22:23], v[26:27], v[22:23]
	s_delay_alu instid0(VALU_DEP_2)
	v_fma_f64 v[62:63], v[26:27], v[20:21], v[28:29]
	ds_load_2addr_b64 v[28:31], v66 offset0:2 offset1:3
	ds_load_2addr_b64 v[32:35], v66 offset0:4 offset1:5
	;; [unrolled: 1-line block ×5, first 2 shown]
	v_fma_f64 v[20:21], v[24:25], v[20:21], -v[22:23]
	s_waitcnt lgkmcnt(4)
	v_mul_f64 v[22:23], v[30:31], v[62:63]
	v_mul_f64 v[67:68], v[28:29], v[62:63]
	s_waitcnt lgkmcnt(3)
	v_mul_f64 v[69:70], v[34:35], v[62:63]
	v_mul_f64 v[71:72], v[32:33], v[62:63]
	;; [unrolled: 3-line block ×5, first 2 shown]
	v_fma_f64 v[22:23], v[28:29], v[20:21], -v[22:23]
	v_fma_f64 v[28:29], v[30:31], v[20:21], v[67:68]
	v_fma_f64 v[30:31], v[32:33], v[20:21], -v[69:70]
	v_fma_f64 v[32:33], v[34:35], v[20:21], v[71:72]
	;; [unrolled: 2-line block ×5, first 2 shown]
	v_add_f64 v[16:17], v[16:17], -v[22:23]
	v_add_f64 v[18:19], v[18:19], -v[28:29]
	;; [unrolled: 1-line block ×10, first 2 shown]
	v_dual_mov_b32 v22, v62 :: v_dual_mov_b32 v23, v63
.LBB11_10:
	s_or_b32 exec_lo, exec_lo, s4
	s_delay_alu instid0(SALU_CYCLE_1)
	s_mov_b32 s4, exec_lo
	s_waitcnt lgkmcnt(0)
	s_barrier
	buffer_gl0_inv
	v_cmpx_eq_u32_e32 1, v64
	s_cbranch_execz .LBB11_17
; %bb.11:
	ds_store_2addr_b64 v65, v[16:17], v[18:19] offset1:1
	ds_store_2addr_b64 v66, v[12:13], v[14:15] offset0:4 offset1:5
	ds_store_2addr_b64 v66, v[8:9], v[10:11] offset0:6 offset1:7
	;; [unrolled: 1-line block ×4, first 2 shown]
	ds_load_2addr_b64 v[28:31], v65 offset1:1
	s_waitcnt lgkmcnt(0)
	v_cmp_neq_f64_e32 vcc_lo, 0, v[28:29]
	v_cmp_neq_f64_e64 s3, 0, v[30:31]
	s_delay_alu instid0(VALU_DEP_1) | instskip(NEXT) | instid1(SALU_CYCLE_1)
	s_or_b32 s3, vcc_lo, s3
	s_and_b32 exec_lo, exec_lo, s3
	s_cbranch_execz .LBB11_17
; %bb.12:
	v_cmp_gt_f64_e32 vcc_lo, 0, v[28:29]
	v_cmp_gt_f64_e64 s3, 0, v[30:31]
	v_xor_b32_e32 v32, 0x80000000, v29
	v_xor_b32_e32 v34, 0x80000000, v31
                                        ; implicit-def: $vgpr36_vgpr37
	s_delay_alu instid0(VALU_DEP_2) | instskip(NEXT) | instid1(VALU_DEP_2)
	v_cndmask_b32_e32 v33, v29, v32, vcc_lo
	v_cndmask_b32_e64 v35, v31, v34, s3
	v_cndmask_b32_e32 v32, v28, v28, vcc_lo
	v_cndmask_b32_e64 v34, v30, v30, s3
	s_mov_b32 s3, exec_lo
	s_delay_alu instid0(VALU_DEP_1)
	v_cmpx_ngt_f64_e32 v[32:33], v[34:35]
	s_xor_b32 s3, exec_lo, s3
                                        ; implicit-def: $vgpr32_vgpr33_vgpr34_vgpr35
	s_cbranch_execz .LBB11_14
; %bb.13:
	v_div_scale_f64 v[32:33], null, v[30:31], v[30:31], v[28:29]
	v_div_scale_f64 v[38:39], vcc_lo, v[28:29], v[30:31], v[28:29]
	s_delay_alu instid0(VALU_DEP_2) | instskip(SKIP_2) | instid1(VALU_DEP_1)
	v_rcp_f64_e32 v[34:35], v[32:33]
	s_waitcnt_depctr 0xfff
	v_fma_f64 v[36:37], -v[32:33], v[34:35], 1.0
	v_fma_f64 v[34:35], v[34:35], v[36:37], v[34:35]
	s_delay_alu instid0(VALU_DEP_1) | instskip(NEXT) | instid1(VALU_DEP_1)
	v_fma_f64 v[36:37], -v[32:33], v[34:35], 1.0
	v_fma_f64 v[34:35], v[34:35], v[36:37], v[34:35]
	s_delay_alu instid0(VALU_DEP_1) | instskip(NEXT) | instid1(VALU_DEP_1)
	v_mul_f64 v[36:37], v[38:39], v[34:35]
	v_fma_f64 v[32:33], -v[32:33], v[36:37], v[38:39]
	s_delay_alu instid0(VALU_DEP_1) | instskip(NEXT) | instid1(VALU_DEP_1)
	v_div_fmas_f64 v[32:33], v[32:33], v[34:35], v[36:37]
	v_div_fixup_f64 v[32:33], v[32:33], v[30:31], v[28:29]
	s_delay_alu instid0(VALU_DEP_1) | instskip(NEXT) | instid1(VALU_DEP_1)
	v_fma_f64 v[28:29], v[28:29], v[32:33], v[30:31]
	v_div_scale_f64 v[30:31], null, v[28:29], v[28:29], 1.0
	s_delay_alu instid0(VALU_DEP_1) | instskip(SKIP_2) | instid1(VALU_DEP_1)
	v_rcp_f64_e32 v[34:35], v[30:31]
	s_waitcnt_depctr 0xfff
	v_fma_f64 v[36:37], -v[30:31], v[34:35], 1.0
	v_fma_f64 v[34:35], v[34:35], v[36:37], v[34:35]
	s_delay_alu instid0(VALU_DEP_1) | instskip(NEXT) | instid1(VALU_DEP_1)
	v_fma_f64 v[36:37], -v[30:31], v[34:35], 1.0
	v_fma_f64 v[34:35], v[34:35], v[36:37], v[34:35]
	v_div_scale_f64 v[36:37], vcc_lo, 1.0, v[28:29], 1.0
	s_delay_alu instid0(VALU_DEP_1) | instskip(NEXT) | instid1(VALU_DEP_1)
	v_mul_f64 v[38:39], v[36:37], v[34:35]
	v_fma_f64 v[30:31], -v[30:31], v[38:39], v[36:37]
	s_delay_alu instid0(VALU_DEP_1) | instskip(NEXT) | instid1(VALU_DEP_1)
	v_div_fmas_f64 v[30:31], v[30:31], v[34:35], v[38:39]
	v_div_fixup_f64 v[34:35], v[30:31], v[28:29], 1.0
                                        ; implicit-def: $vgpr28_vgpr29
	s_delay_alu instid0(VALU_DEP_1)
	v_mul_f64 v[36:37], v[32:33], v[34:35]
	v_xor_b32_e32 v35, 0x80000000, v35
.LBB11_14:
	s_and_not1_saveexec_b32 s3, s3
	s_cbranch_execz .LBB11_16
; %bb.15:
	v_div_scale_f64 v[32:33], null, v[28:29], v[28:29], v[30:31]
	v_div_scale_f64 v[38:39], vcc_lo, v[30:31], v[28:29], v[30:31]
	s_delay_alu instid0(VALU_DEP_2) | instskip(SKIP_2) | instid1(VALU_DEP_1)
	v_rcp_f64_e32 v[34:35], v[32:33]
	s_waitcnt_depctr 0xfff
	v_fma_f64 v[36:37], -v[32:33], v[34:35], 1.0
	v_fma_f64 v[34:35], v[34:35], v[36:37], v[34:35]
	s_delay_alu instid0(VALU_DEP_1) | instskip(NEXT) | instid1(VALU_DEP_1)
	v_fma_f64 v[36:37], -v[32:33], v[34:35], 1.0
	v_fma_f64 v[34:35], v[34:35], v[36:37], v[34:35]
	s_delay_alu instid0(VALU_DEP_1) | instskip(NEXT) | instid1(VALU_DEP_1)
	v_mul_f64 v[36:37], v[38:39], v[34:35]
	v_fma_f64 v[32:33], -v[32:33], v[36:37], v[38:39]
	s_delay_alu instid0(VALU_DEP_1) | instskip(NEXT) | instid1(VALU_DEP_1)
	v_div_fmas_f64 v[32:33], v[32:33], v[34:35], v[36:37]
	v_div_fixup_f64 v[32:33], v[32:33], v[28:29], v[30:31]
	s_delay_alu instid0(VALU_DEP_1) | instskip(NEXT) | instid1(VALU_DEP_1)
	v_fma_f64 v[28:29], v[30:31], v[32:33], v[28:29]
	v_div_scale_f64 v[30:31], null, v[28:29], v[28:29], 1.0
	s_delay_alu instid0(VALU_DEP_1) | instskip(SKIP_2) | instid1(VALU_DEP_1)
	v_rcp_f64_e32 v[34:35], v[30:31]
	s_waitcnt_depctr 0xfff
	v_fma_f64 v[36:37], -v[30:31], v[34:35], 1.0
	v_fma_f64 v[34:35], v[34:35], v[36:37], v[34:35]
	s_delay_alu instid0(VALU_DEP_1) | instskip(NEXT) | instid1(VALU_DEP_1)
	v_fma_f64 v[36:37], -v[30:31], v[34:35], 1.0
	v_fma_f64 v[34:35], v[34:35], v[36:37], v[34:35]
	v_div_scale_f64 v[36:37], vcc_lo, 1.0, v[28:29], 1.0
	s_delay_alu instid0(VALU_DEP_1) | instskip(NEXT) | instid1(VALU_DEP_1)
	v_mul_f64 v[38:39], v[36:37], v[34:35]
	v_fma_f64 v[30:31], -v[30:31], v[38:39], v[36:37]
	s_delay_alu instid0(VALU_DEP_1) | instskip(NEXT) | instid1(VALU_DEP_1)
	v_div_fmas_f64 v[30:31], v[30:31], v[34:35], v[38:39]
	v_div_fixup_f64 v[36:37], v[30:31], v[28:29], 1.0
	s_delay_alu instid0(VALU_DEP_1)
	v_mul_f64 v[34:35], v[32:33], -v[36:37]
.LBB11_16:
	s_or_b32 exec_lo, exec_lo, s3
	ds_store_2addr_b64 v65, v[36:37], v[34:35] offset1:1
.LBB11_17:
	s_or_b32 exec_lo, exec_lo, s4
	s_waitcnt lgkmcnt(0)
	s_barrier
	buffer_gl0_inv
	ds_load_2addr_b64 v[28:31], v65 offset1:1
	s_mov_b32 s3, exec_lo
	v_cmpx_lt_u32_e32 1, v64
	s_cbranch_execz .LBB11_19
; %bb.18:
	s_waitcnt lgkmcnt(0)
	v_mul_f64 v[32:33], v[28:29], v[18:19]
	v_mul_f64 v[18:19], v[30:31], v[18:19]
	s_delay_alu instid0(VALU_DEP_2)
	v_fma_f64 v[62:63], v[30:31], v[16:17], v[32:33]
	ds_load_2addr_b64 v[32:35], v66 offset0:4 offset1:5
	ds_load_2addr_b64 v[36:39], v66 offset0:6 offset1:7
	;; [unrolled: 1-line block ×4, first 2 shown]
	v_fma_f64 v[16:17], v[28:29], v[16:17], -v[18:19]
	s_waitcnt lgkmcnt(3)
	v_mul_f64 v[18:19], v[34:35], v[62:63]
	v_mul_f64 v[67:68], v[32:33], v[62:63]
	s_waitcnt lgkmcnt(2)
	v_mul_f64 v[69:70], v[38:39], v[62:63]
	v_mul_f64 v[71:72], v[36:37], v[62:63]
	;; [unrolled: 3-line block ×4, first 2 shown]
	v_fma_f64 v[18:19], v[32:33], v[16:17], -v[18:19]
	v_fma_f64 v[32:33], v[34:35], v[16:17], v[67:68]
	v_fma_f64 v[34:35], v[36:37], v[16:17], -v[69:70]
	v_fma_f64 v[36:37], v[38:39], v[16:17], v[71:72]
	;; [unrolled: 2-line block ×4, first 2 shown]
	v_add_f64 v[12:13], v[12:13], -v[18:19]
	v_add_f64 v[14:15], v[14:15], -v[32:33]
	v_add_f64 v[8:9], v[8:9], -v[34:35]
	v_add_f64 v[10:11], v[10:11], -v[36:37]
	v_add_f64 v[4:5], v[4:5], -v[38:39]
	v_add_f64 v[6:7], v[6:7], -v[40:41]
	v_add_f64 v[0:1], v[0:1], -v[42:43]
	v_add_f64 v[2:3], v[2:3], -v[44:45]
	v_dual_mov_b32 v18, v62 :: v_dual_mov_b32 v19, v63
.LBB11_19:
	s_or_b32 exec_lo, exec_lo, s3
	s_delay_alu instid0(SALU_CYCLE_1)
	s_mov_b32 s4, exec_lo
	s_waitcnt lgkmcnt(0)
	s_barrier
	buffer_gl0_inv
	v_cmpx_eq_u32_e32 2, v64
	s_cbranch_execz .LBB11_26
; %bb.20:
	ds_store_2addr_b64 v65, v[12:13], v[14:15] offset1:1
	ds_store_2addr_b64 v66, v[8:9], v[10:11] offset0:6 offset1:7
	ds_store_2addr_b64 v66, v[4:5], v[6:7] offset0:8 offset1:9
	;; [unrolled: 1-line block ×3, first 2 shown]
	ds_load_2addr_b64 v[32:35], v65 offset1:1
	s_waitcnt lgkmcnt(0)
	v_cmp_neq_f64_e32 vcc_lo, 0, v[32:33]
	v_cmp_neq_f64_e64 s3, 0, v[34:35]
	s_delay_alu instid0(VALU_DEP_1) | instskip(NEXT) | instid1(SALU_CYCLE_1)
	s_or_b32 s3, vcc_lo, s3
	s_and_b32 exec_lo, exec_lo, s3
	s_cbranch_execz .LBB11_26
; %bb.21:
	v_cmp_gt_f64_e32 vcc_lo, 0, v[32:33]
	v_cmp_gt_f64_e64 s3, 0, v[34:35]
	v_xor_b32_e32 v36, 0x80000000, v33
	v_xor_b32_e32 v38, 0x80000000, v35
                                        ; implicit-def: $vgpr40_vgpr41
	s_delay_alu instid0(VALU_DEP_2) | instskip(NEXT) | instid1(VALU_DEP_2)
	v_cndmask_b32_e32 v37, v33, v36, vcc_lo
	v_cndmask_b32_e64 v39, v35, v38, s3
	v_cndmask_b32_e32 v36, v32, v32, vcc_lo
	v_cndmask_b32_e64 v38, v34, v34, s3
	s_mov_b32 s3, exec_lo
	s_delay_alu instid0(VALU_DEP_1)
	v_cmpx_ngt_f64_e32 v[36:37], v[38:39]
	s_xor_b32 s3, exec_lo, s3
                                        ; implicit-def: $vgpr36_vgpr37_vgpr38_vgpr39
	s_cbranch_execz .LBB11_23
; %bb.22:
	v_div_scale_f64 v[36:37], null, v[34:35], v[34:35], v[32:33]
	v_div_scale_f64 v[42:43], vcc_lo, v[32:33], v[34:35], v[32:33]
	s_delay_alu instid0(VALU_DEP_2) | instskip(SKIP_2) | instid1(VALU_DEP_1)
	v_rcp_f64_e32 v[38:39], v[36:37]
	s_waitcnt_depctr 0xfff
	v_fma_f64 v[40:41], -v[36:37], v[38:39], 1.0
	v_fma_f64 v[38:39], v[38:39], v[40:41], v[38:39]
	s_delay_alu instid0(VALU_DEP_1) | instskip(NEXT) | instid1(VALU_DEP_1)
	v_fma_f64 v[40:41], -v[36:37], v[38:39], 1.0
	v_fma_f64 v[38:39], v[38:39], v[40:41], v[38:39]
	s_delay_alu instid0(VALU_DEP_1) | instskip(NEXT) | instid1(VALU_DEP_1)
	v_mul_f64 v[40:41], v[42:43], v[38:39]
	v_fma_f64 v[36:37], -v[36:37], v[40:41], v[42:43]
	s_delay_alu instid0(VALU_DEP_1) | instskip(NEXT) | instid1(VALU_DEP_1)
	v_div_fmas_f64 v[36:37], v[36:37], v[38:39], v[40:41]
	v_div_fixup_f64 v[36:37], v[36:37], v[34:35], v[32:33]
	s_delay_alu instid0(VALU_DEP_1) | instskip(NEXT) | instid1(VALU_DEP_1)
	v_fma_f64 v[32:33], v[32:33], v[36:37], v[34:35]
	v_div_scale_f64 v[34:35], null, v[32:33], v[32:33], 1.0
	s_delay_alu instid0(VALU_DEP_1) | instskip(SKIP_2) | instid1(VALU_DEP_1)
	v_rcp_f64_e32 v[38:39], v[34:35]
	s_waitcnt_depctr 0xfff
	v_fma_f64 v[40:41], -v[34:35], v[38:39], 1.0
	v_fma_f64 v[38:39], v[38:39], v[40:41], v[38:39]
	s_delay_alu instid0(VALU_DEP_1) | instskip(NEXT) | instid1(VALU_DEP_1)
	v_fma_f64 v[40:41], -v[34:35], v[38:39], 1.0
	v_fma_f64 v[38:39], v[38:39], v[40:41], v[38:39]
	v_div_scale_f64 v[40:41], vcc_lo, 1.0, v[32:33], 1.0
	s_delay_alu instid0(VALU_DEP_1) | instskip(NEXT) | instid1(VALU_DEP_1)
	v_mul_f64 v[42:43], v[40:41], v[38:39]
	v_fma_f64 v[34:35], -v[34:35], v[42:43], v[40:41]
	s_delay_alu instid0(VALU_DEP_1) | instskip(NEXT) | instid1(VALU_DEP_1)
	v_div_fmas_f64 v[34:35], v[34:35], v[38:39], v[42:43]
	v_div_fixup_f64 v[38:39], v[34:35], v[32:33], 1.0
                                        ; implicit-def: $vgpr32_vgpr33
	s_delay_alu instid0(VALU_DEP_1)
	v_mul_f64 v[40:41], v[36:37], v[38:39]
	v_xor_b32_e32 v39, 0x80000000, v39
.LBB11_23:
	s_and_not1_saveexec_b32 s3, s3
	s_cbranch_execz .LBB11_25
; %bb.24:
	v_div_scale_f64 v[36:37], null, v[32:33], v[32:33], v[34:35]
	v_div_scale_f64 v[42:43], vcc_lo, v[34:35], v[32:33], v[34:35]
	s_delay_alu instid0(VALU_DEP_2) | instskip(SKIP_2) | instid1(VALU_DEP_1)
	v_rcp_f64_e32 v[38:39], v[36:37]
	s_waitcnt_depctr 0xfff
	v_fma_f64 v[40:41], -v[36:37], v[38:39], 1.0
	v_fma_f64 v[38:39], v[38:39], v[40:41], v[38:39]
	s_delay_alu instid0(VALU_DEP_1) | instskip(NEXT) | instid1(VALU_DEP_1)
	v_fma_f64 v[40:41], -v[36:37], v[38:39], 1.0
	v_fma_f64 v[38:39], v[38:39], v[40:41], v[38:39]
	s_delay_alu instid0(VALU_DEP_1) | instskip(NEXT) | instid1(VALU_DEP_1)
	v_mul_f64 v[40:41], v[42:43], v[38:39]
	v_fma_f64 v[36:37], -v[36:37], v[40:41], v[42:43]
	s_delay_alu instid0(VALU_DEP_1) | instskip(NEXT) | instid1(VALU_DEP_1)
	v_div_fmas_f64 v[36:37], v[36:37], v[38:39], v[40:41]
	v_div_fixup_f64 v[36:37], v[36:37], v[32:33], v[34:35]
	s_delay_alu instid0(VALU_DEP_1) | instskip(NEXT) | instid1(VALU_DEP_1)
	v_fma_f64 v[32:33], v[34:35], v[36:37], v[32:33]
	v_div_scale_f64 v[34:35], null, v[32:33], v[32:33], 1.0
	s_delay_alu instid0(VALU_DEP_1) | instskip(SKIP_2) | instid1(VALU_DEP_1)
	v_rcp_f64_e32 v[38:39], v[34:35]
	s_waitcnt_depctr 0xfff
	v_fma_f64 v[40:41], -v[34:35], v[38:39], 1.0
	v_fma_f64 v[38:39], v[38:39], v[40:41], v[38:39]
	s_delay_alu instid0(VALU_DEP_1) | instskip(NEXT) | instid1(VALU_DEP_1)
	v_fma_f64 v[40:41], -v[34:35], v[38:39], 1.0
	v_fma_f64 v[38:39], v[38:39], v[40:41], v[38:39]
	v_div_scale_f64 v[40:41], vcc_lo, 1.0, v[32:33], 1.0
	s_delay_alu instid0(VALU_DEP_1) | instskip(NEXT) | instid1(VALU_DEP_1)
	v_mul_f64 v[42:43], v[40:41], v[38:39]
	v_fma_f64 v[34:35], -v[34:35], v[42:43], v[40:41]
	s_delay_alu instid0(VALU_DEP_1) | instskip(NEXT) | instid1(VALU_DEP_1)
	v_div_fmas_f64 v[34:35], v[34:35], v[38:39], v[42:43]
	v_div_fixup_f64 v[40:41], v[34:35], v[32:33], 1.0
	s_delay_alu instid0(VALU_DEP_1)
	v_mul_f64 v[38:39], v[36:37], -v[40:41]
.LBB11_25:
	s_or_b32 exec_lo, exec_lo, s3
	ds_store_2addr_b64 v65, v[40:41], v[38:39] offset1:1
.LBB11_26:
	s_or_b32 exec_lo, exec_lo, s4
	s_waitcnt lgkmcnt(0)
	s_barrier
	buffer_gl0_inv
	ds_load_2addr_b64 v[32:35], v65 offset1:1
	s_mov_b32 s3, exec_lo
	v_cmpx_lt_u32_e32 2, v64
	s_cbranch_execz .LBB11_28
; %bb.27:
	s_waitcnt lgkmcnt(0)
	v_mul_f64 v[36:37], v[32:33], v[14:15]
	v_mul_f64 v[14:15], v[34:35], v[14:15]
	s_delay_alu instid0(VALU_DEP_2)
	v_fma_f64 v[62:63], v[34:35], v[12:13], v[36:37]
	ds_load_2addr_b64 v[36:39], v66 offset0:6 offset1:7
	ds_load_2addr_b64 v[40:43], v66 offset0:8 offset1:9
	;; [unrolled: 1-line block ×3, first 2 shown]
	v_fma_f64 v[12:13], v[32:33], v[12:13], -v[14:15]
	s_waitcnt lgkmcnt(2)
	v_mul_f64 v[14:15], v[38:39], v[62:63]
	v_mul_f64 v[67:68], v[36:37], v[62:63]
	s_waitcnt lgkmcnt(1)
	v_mul_f64 v[69:70], v[42:43], v[62:63]
	v_mul_f64 v[71:72], v[40:41], v[62:63]
	;; [unrolled: 3-line block ×3, first 2 shown]
	v_fma_f64 v[14:15], v[36:37], v[12:13], -v[14:15]
	v_fma_f64 v[36:37], v[38:39], v[12:13], v[67:68]
	v_fma_f64 v[38:39], v[40:41], v[12:13], -v[69:70]
	v_fma_f64 v[40:41], v[42:43], v[12:13], v[71:72]
	;; [unrolled: 2-line block ×3, first 2 shown]
	v_add_f64 v[8:9], v[8:9], -v[14:15]
	v_add_f64 v[10:11], v[10:11], -v[36:37]
	;; [unrolled: 1-line block ×6, first 2 shown]
	v_dual_mov_b32 v14, v62 :: v_dual_mov_b32 v15, v63
.LBB11_28:
	s_or_b32 exec_lo, exec_lo, s3
	s_delay_alu instid0(SALU_CYCLE_1)
	s_mov_b32 s4, exec_lo
	s_waitcnt lgkmcnt(0)
	s_barrier
	buffer_gl0_inv
	v_cmpx_eq_u32_e32 3, v64
	s_cbranch_execz .LBB11_35
; %bb.29:
	ds_store_2addr_b64 v65, v[8:9], v[10:11] offset1:1
	ds_store_2addr_b64 v66, v[4:5], v[6:7] offset0:8 offset1:9
	ds_store_2addr_b64 v66, v[0:1], v[2:3] offset0:10 offset1:11
	ds_load_2addr_b64 v[36:39], v65 offset1:1
	s_waitcnt lgkmcnt(0)
	v_cmp_neq_f64_e32 vcc_lo, 0, v[36:37]
	v_cmp_neq_f64_e64 s3, 0, v[38:39]
	s_delay_alu instid0(VALU_DEP_1) | instskip(NEXT) | instid1(SALU_CYCLE_1)
	s_or_b32 s3, vcc_lo, s3
	s_and_b32 exec_lo, exec_lo, s3
	s_cbranch_execz .LBB11_35
; %bb.30:
	v_cmp_gt_f64_e32 vcc_lo, 0, v[36:37]
	v_cmp_gt_f64_e64 s3, 0, v[38:39]
	v_xor_b32_e32 v40, 0x80000000, v37
	v_xor_b32_e32 v42, 0x80000000, v39
                                        ; implicit-def: $vgpr44_vgpr45
	s_delay_alu instid0(VALU_DEP_2) | instskip(NEXT) | instid1(VALU_DEP_2)
	v_cndmask_b32_e32 v41, v37, v40, vcc_lo
	v_cndmask_b32_e64 v43, v39, v42, s3
	v_cndmask_b32_e32 v40, v36, v36, vcc_lo
	v_cndmask_b32_e64 v42, v38, v38, s3
	s_mov_b32 s3, exec_lo
	s_delay_alu instid0(VALU_DEP_1)
	v_cmpx_ngt_f64_e32 v[40:41], v[42:43]
	s_xor_b32 s3, exec_lo, s3
                                        ; implicit-def: $vgpr40_vgpr41_vgpr42_vgpr43
	s_cbranch_execz .LBB11_32
; %bb.31:
	v_div_scale_f64 v[40:41], null, v[38:39], v[38:39], v[36:37]
	v_div_scale_f64 v[46:47], vcc_lo, v[36:37], v[38:39], v[36:37]
	s_delay_alu instid0(VALU_DEP_2) | instskip(SKIP_2) | instid1(VALU_DEP_1)
	v_rcp_f64_e32 v[42:43], v[40:41]
	s_waitcnt_depctr 0xfff
	v_fma_f64 v[44:45], -v[40:41], v[42:43], 1.0
	v_fma_f64 v[42:43], v[42:43], v[44:45], v[42:43]
	s_delay_alu instid0(VALU_DEP_1) | instskip(NEXT) | instid1(VALU_DEP_1)
	v_fma_f64 v[44:45], -v[40:41], v[42:43], 1.0
	v_fma_f64 v[42:43], v[42:43], v[44:45], v[42:43]
	s_delay_alu instid0(VALU_DEP_1) | instskip(NEXT) | instid1(VALU_DEP_1)
	v_mul_f64 v[44:45], v[46:47], v[42:43]
	v_fma_f64 v[40:41], -v[40:41], v[44:45], v[46:47]
	s_delay_alu instid0(VALU_DEP_1) | instskip(NEXT) | instid1(VALU_DEP_1)
	v_div_fmas_f64 v[40:41], v[40:41], v[42:43], v[44:45]
	v_div_fixup_f64 v[40:41], v[40:41], v[38:39], v[36:37]
	s_delay_alu instid0(VALU_DEP_1) | instskip(NEXT) | instid1(VALU_DEP_1)
	v_fma_f64 v[36:37], v[36:37], v[40:41], v[38:39]
	v_div_scale_f64 v[38:39], null, v[36:37], v[36:37], 1.0
	s_delay_alu instid0(VALU_DEP_1) | instskip(SKIP_2) | instid1(VALU_DEP_1)
	v_rcp_f64_e32 v[42:43], v[38:39]
	s_waitcnt_depctr 0xfff
	v_fma_f64 v[44:45], -v[38:39], v[42:43], 1.0
	v_fma_f64 v[42:43], v[42:43], v[44:45], v[42:43]
	s_delay_alu instid0(VALU_DEP_1) | instskip(NEXT) | instid1(VALU_DEP_1)
	v_fma_f64 v[44:45], -v[38:39], v[42:43], 1.0
	v_fma_f64 v[42:43], v[42:43], v[44:45], v[42:43]
	v_div_scale_f64 v[44:45], vcc_lo, 1.0, v[36:37], 1.0
	s_delay_alu instid0(VALU_DEP_1) | instskip(NEXT) | instid1(VALU_DEP_1)
	v_mul_f64 v[46:47], v[44:45], v[42:43]
	v_fma_f64 v[38:39], -v[38:39], v[46:47], v[44:45]
	s_delay_alu instid0(VALU_DEP_1) | instskip(NEXT) | instid1(VALU_DEP_1)
	v_div_fmas_f64 v[38:39], v[38:39], v[42:43], v[46:47]
	v_div_fixup_f64 v[42:43], v[38:39], v[36:37], 1.0
                                        ; implicit-def: $vgpr36_vgpr37
	s_delay_alu instid0(VALU_DEP_1)
	v_mul_f64 v[44:45], v[40:41], v[42:43]
	v_xor_b32_e32 v43, 0x80000000, v43
.LBB11_32:
	s_and_not1_saveexec_b32 s3, s3
	s_cbranch_execz .LBB11_34
; %bb.33:
	v_div_scale_f64 v[40:41], null, v[36:37], v[36:37], v[38:39]
	v_div_scale_f64 v[46:47], vcc_lo, v[38:39], v[36:37], v[38:39]
	s_delay_alu instid0(VALU_DEP_2) | instskip(SKIP_2) | instid1(VALU_DEP_1)
	v_rcp_f64_e32 v[42:43], v[40:41]
	s_waitcnt_depctr 0xfff
	v_fma_f64 v[44:45], -v[40:41], v[42:43], 1.0
	v_fma_f64 v[42:43], v[42:43], v[44:45], v[42:43]
	s_delay_alu instid0(VALU_DEP_1) | instskip(NEXT) | instid1(VALU_DEP_1)
	v_fma_f64 v[44:45], -v[40:41], v[42:43], 1.0
	v_fma_f64 v[42:43], v[42:43], v[44:45], v[42:43]
	s_delay_alu instid0(VALU_DEP_1) | instskip(NEXT) | instid1(VALU_DEP_1)
	v_mul_f64 v[44:45], v[46:47], v[42:43]
	v_fma_f64 v[40:41], -v[40:41], v[44:45], v[46:47]
	s_delay_alu instid0(VALU_DEP_1) | instskip(NEXT) | instid1(VALU_DEP_1)
	v_div_fmas_f64 v[40:41], v[40:41], v[42:43], v[44:45]
	v_div_fixup_f64 v[40:41], v[40:41], v[36:37], v[38:39]
	s_delay_alu instid0(VALU_DEP_1) | instskip(NEXT) | instid1(VALU_DEP_1)
	v_fma_f64 v[36:37], v[38:39], v[40:41], v[36:37]
	v_div_scale_f64 v[38:39], null, v[36:37], v[36:37], 1.0
	s_delay_alu instid0(VALU_DEP_1) | instskip(SKIP_2) | instid1(VALU_DEP_1)
	v_rcp_f64_e32 v[42:43], v[38:39]
	s_waitcnt_depctr 0xfff
	v_fma_f64 v[44:45], -v[38:39], v[42:43], 1.0
	v_fma_f64 v[42:43], v[42:43], v[44:45], v[42:43]
	s_delay_alu instid0(VALU_DEP_1) | instskip(NEXT) | instid1(VALU_DEP_1)
	v_fma_f64 v[44:45], -v[38:39], v[42:43], 1.0
	v_fma_f64 v[42:43], v[42:43], v[44:45], v[42:43]
	v_div_scale_f64 v[44:45], vcc_lo, 1.0, v[36:37], 1.0
	s_delay_alu instid0(VALU_DEP_1) | instskip(NEXT) | instid1(VALU_DEP_1)
	v_mul_f64 v[46:47], v[44:45], v[42:43]
	v_fma_f64 v[38:39], -v[38:39], v[46:47], v[44:45]
	s_delay_alu instid0(VALU_DEP_1) | instskip(NEXT) | instid1(VALU_DEP_1)
	v_div_fmas_f64 v[38:39], v[38:39], v[42:43], v[46:47]
	v_div_fixup_f64 v[44:45], v[38:39], v[36:37], 1.0
	s_delay_alu instid0(VALU_DEP_1)
	v_mul_f64 v[42:43], v[40:41], -v[44:45]
.LBB11_34:
	s_or_b32 exec_lo, exec_lo, s3
	ds_store_2addr_b64 v65, v[44:45], v[42:43] offset1:1
.LBB11_35:
	s_or_b32 exec_lo, exec_lo, s4
	s_waitcnt lgkmcnt(0)
	s_barrier
	buffer_gl0_inv
	ds_load_2addr_b64 v[36:39], v65 offset1:1
	s_mov_b32 s3, exec_lo
	v_cmpx_lt_u32_e32 3, v64
	s_cbranch_execz .LBB11_37
; %bb.36:
	s_waitcnt lgkmcnt(0)
	v_mul_f64 v[40:41], v[36:37], v[10:11]
	v_mul_f64 v[10:11], v[38:39], v[10:11]
	s_delay_alu instid0(VALU_DEP_2)
	v_fma_f64 v[62:63], v[38:39], v[8:9], v[40:41]
	ds_load_2addr_b64 v[40:43], v66 offset0:8 offset1:9
	ds_load_2addr_b64 v[44:47], v66 offset0:10 offset1:11
	v_fma_f64 v[8:9], v[36:37], v[8:9], -v[10:11]
	s_waitcnt lgkmcnt(1)
	v_mul_f64 v[10:11], v[42:43], v[62:63]
	v_mul_f64 v[67:68], v[40:41], v[62:63]
	s_waitcnt lgkmcnt(0)
	v_mul_f64 v[69:70], v[46:47], v[62:63]
	v_mul_f64 v[71:72], v[44:45], v[62:63]
	s_delay_alu instid0(VALU_DEP_4) | instskip(NEXT) | instid1(VALU_DEP_4)
	v_fma_f64 v[10:11], v[40:41], v[8:9], -v[10:11]
	v_fma_f64 v[40:41], v[42:43], v[8:9], v[67:68]
	s_delay_alu instid0(VALU_DEP_4) | instskip(NEXT) | instid1(VALU_DEP_4)
	v_fma_f64 v[42:43], v[44:45], v[8:9], -v[69:70]
	v_fma_f64 v[44:45], v[46:47], v[8:9], v[71:72]
	s_delay_alu instid0(VALU_DEP_4) | instskip(NEXT) | instid1(VALU_DEP_4)
	v_add_f64 v[4:5], v[4:5], -v[10:11]
	v_add_f64 v[6:7], v[6:7], -v[40:41]
	s_delay_alu instid0(VALU_DEP_4) | instskip(NEXT) | instid1(VALU_DEP_4)
	v_add_f64 v[0:1], v[0:1], -v[42:43]
	v_add_f64 v[2:3], v[2:3], -v[44:45]
	v_dual_mov_b32 v10, v62 :: v_dual_mov_b32 v11, v63
.LBB11_37:
	s_or_b32 exec_lo, exec_lo, s3
	s_delay_alu instid0(SALU_CYCLE_1)
	s_mov_b32 s4, exec_lo
	s_waitcnt lgkmcnt(0)
	s_barrier
	buffer_gl0_inv
	v_cmpx_eq_u32_e32 4, v64
	s_cbranch_execz .LBB11_44
; %bb.38:
	ds_store_2addr_b64 v65, v[4:5], v[6:7] offset1:1
	ds_store_2addr_b64 v66, v[0:1], v[2:3] offset0:10 offset1:11
	ds_load_2addr_b64 v[40:43], v65 offset1:1
	s_waitcnt lgkmcnt(0)
	v_cmp_neq_f64_e32 vcc_lo, 0, v[40:41]
	v_cmp_neq_f64_e64 s3, 0, v[42:43]
	s_delay_alu instid0(VALU_DEP_1) | instskip(NEXT) | instid1(SALU_CYCLE_1)
	s_or_b32 s3, vcc_lo, s3
	s_and_b32 exec_lo, exec_lo, s3
	s_cbranch_execz .LBB11_44
; %bb.39:
	v_cmp_gt_f64_e32 vcc_lo, 0, v[40:41]
	v_cmp_gt_f64_e64 s3, 0, v[42:43]
	v_xor_b32_e32 v44, 0x80000000, v41
	v_xor_b32_e32 v46, 0x80000000, v43
                                        ; implicit-def: $vgpr62_vgpr63
	s_delay_alu instid0(VALU_DEP_2) | instskip(NEXT) | instid1(VALU_DEP_2)
	v_cndmask_b32_e32 v45, v41, v44, vcc_lo
	v_cndmask_b32_e64 v47, v43, v46, s3
	v_cndmask_b32_e32 v44, v40, v40, vcc_lo
	v_cndmask_b32_e64 v46, v42, v42, s3
	s_mov_b32 s3, exec_lo
	s_delay_alu instid0(VALU_DEP_1)
	v_cmpx_ngt_f64_e32 v[44:45], v[46:47]
	s_xor_b32 s3, exec_lo, s3
                                        ; implicit-def: $vgpr44_vgpr45_vgpr46_vgpr47
	s_cbranch_execz .LBB11_41
; %bb.40:
	v_div_scale_f64 v[44:45], null, v[42:43], v[42:43], v[40:41]
	v_div_scale_f64 v[67:68], vcc_lo, v[40:41], v[42:43], v[40:41]
	s_delay_alu instid0(VALU_DEP_2) | instskip(SKIP_2) | instid1(VALU_DEP_1)
	v_rcp_f64_e32 v[46:47], v[44:45]
	s_waitcnt_depctr 0xfff
	v_fma_f64 v[62:63], -v[44:45], v[46:47], 1.0
	v_fma_f64 v[46:47], v[46:47], v[62:63], v[46:47]
	s_delay_alu instid0(VALU_DEP_1) | instskip(NEXT) | instid1(VALU_DEP_1)
	v_fma_f64 v[62:63], -v[44:45], v[46:47], 1.0
	v_fma_f64 v[46:47], v[46:47], v[62:63], v[46:47]
	s_delay_alu instid0(VALU_DEP_1) | instskip(NEXT) | instid1(VALU_DEP_1)
	v_mul_f64 v[62:63], v[67:68], v[46:47]
	v_fma_f64 v[44:45], -v[44:45], v[62:63], v[67:68]
	s_delay_alu instid0(VALU_DEP_1) | instskip(NEXT) | instid1(VALU_DEP_1)
	v_div_fmas_f64 v[44:45], v[44:45], v[46:47], v[62:63]
	v_div_fixup_f64 v[44:45], v[44:45], v[42:43], v[40:41]
	s_delay_alu instid0(VALU_DEP_1) | instskip(NEXT) | instid1(VALU_DEP_1)
	v_fma_f64 v[40:41], v[40:41], v[44:45], v[42:43]
	v_div_scale_f64 v[42:43], null, v[40:41], v[40:41], 1.0
	s_delay_alu instid0(VALU_DEP_1) | instskip(SKIP_2) | instid1(VALU_DEP_1)
	v_rcp_f64_e32 v[46:47], v[42:43]
	s_waitcnt_depctr 0xfff
	v_fma_f64 v[62:63], -v[42:43], v[46:47], 1.0
	v_fma_f64 v[46:47], v[46:47], v[62:63], v[46:47]
	s_delay_alu instid0(VALU_DEP_1) | instskip(NEXT) | instid1(VALU_DEP_1)
	v_fma_f64 v[62:63], -v[42:43], v[46:47], 1.0
	v_fma_f64 v[46:47], v[46:47], v[62:63], v[46:47]
	v_div_scale_f64 v[62:63], vcc_lo, 1.0, v[40:41], 1.0
	s_delay_alu instid0(VALU_DEP_1) | instskip(NEXT) | instid1(VALU_DEP_1)
	v_mul_f64 v[67:68], v[62:63], v[46:47]
	v_fma_f64 v[42:43], -v[42:43], v[67:68], v[62:63]
	s_delay_alu instid0(VALU_DEP_1) | instskip(NEXT) | instid1(VALU_DEP_1)
	v_div_fmas_f64 v[42:43], v[42:43], v[46:47], v[67:68]
	v_div_fixup_f64 v[46:47], v[42:43], v[40:41], 1.0
                                        ; implicit-def: $vgpr40_vgpr41
	s_delay_alu instid0(VALU_DEP_1)
	v_mul_f64 v[62:63], v[44:45], v[46:47]
	v_xor_b32_e32 v47, 0x80000000, v47
.LBB11_41:
	s_and_not1_saveexec_b32 s3, s3
	s_cbranch_execz .LBB11_43
; %bb.42:
	v_div_scale_f64 v[44:45], null, v[40:41], v[40:41], v[42:43]
	v_div_scale_f64 v[67:68], vcc_lo, v[42:43], v[40:41], v[42:43]
	s_delay_alu instid0(VALU_DEP_2) | instskip(SKIP_2) | instid1(VALU_DEP_1)
	v_rcp_f64_e32 v[46:47], v[44:45]
	s_waitcnt_depctr 0xfff
	v_fma_f64 v[62:63], -v[44:45], v[46:47], 1.0
	v_fma_f64 v[46:47], v[46:47], v[62:63], v[46:47]
	s_delay_alu instid0(VALU_DEP_1) | instskip(NEXT) | instid1(VALU_DEP_1)
	v_fma_f64 v[62:63], -v[44:45], v[46:47], 1.0
	v_fma_f64 v[46:47], v[46:47], v[62:63], v[46:47]
	s_delay_alu instid0(VALU_DEP_1) | instskip(NEXT) | instid1(VALU_DEP_1)
	v_mul_f64 v[62:63], v[67:68], v[46:47]
	v_fma_f64 v[44:45], -v[44:45], v[62:63], v[67:68]
	s_delay_alu instid0(VALU_DEP_1) | instskip(NEXT) | instid1(VALU_DEP_1)
	v_div_fmas_f64 v[44:45], v[44:45], v[46:47], v[62:63]
	v_div_fixup_f64 v[44:45], v[44:45], v[40:41], v[42:43]
	s_delay_alu instid0(VALU_DEP_1) | instskip(NEXT) | instid1(VALU_DEP_1)
	v_fma_f64 v[40:41], v[42:43], v[44:45], v[40:41]
	v_div_scale_f64 v[42:43], null, v[40:41], v[40:41], 1.0
	s_delay_alu instid0(VALU_DEP_1) | instskip(SKIP_2) | instid1(VALU_DEP_1)
	v_rcp_f64_e32 v[46:47], v[42:43]
	s_waitcnt_depctr 0xfff
	v_fma_f64 v[62:63], -v[42:43], v[46:47], 1.0
	v_fma_f64 v[46:47], v[46:47], v[62:63], v[46:47]
	s_delay_alu instid0(VALU_DEP_1) | instskip(NEXT) | instid1(VALU_DEP_1)
	v_fma_f64 v[62:63], -v[42:43], v[46:47], 1.0
	v_fma_f64 v[46:47], v[46:47], v[62:63], v[46:47]
	v_div_scale_f64 v[62:63], vcc_lo, 1.0, v[40:41], 1.0
	s_delay_alu instid0(VALU_DEP_1) | instskip(NEXT) | instid1(VALU_DEP_1)
	v_mul_f64 v[67:68], v[62:63], v[46:47]
	v_fma_f64 v[42:43], -v[42:43], v[67:68], v[62:63]
	s_delay_alu instid0(VALU_DEP_1) | instskip(NEXT) | instid1(VALU_DEP_1)
	v_div_fmas_f64 v[42:43], v[42:43], v[46:47], v[67:68]
	v_div_fixup_f64 v[62:63], v[42:43], v[40:41], 1.0
	s_delay_alu instid0(VALU_DEP_1)
	v_mul_f64 v[46:47], v[44:45], -v[62:63]
.LBB11_43:
	s_or_b32 exec_lo, exec_lo, s3
	ds_store_2addr_b64 v65, v[62:63], v[46:47] offset1:1
.LBB11_44:
	s_or_b32 exec_lo, exec_lo, s4
	s_waitcnt lgkmcnt(0)
	s_barrier
	buffer_gl0_inv
	ds_load_2addr_b64 v[40:43], v65 offset1:1
	s_mov_b32 s3, exec_lo
	v_cmpx_lt_u32_e32 4, v64
	s_cbranch_execz .LBB11_46
; %bb.45:
	s_waitcnt lgkmcnt(0)
	v_mul_f64 v[44:45], v[40:41], v[6:7]
	v_mul_f64 v[6:7], v[42:43], v[6:7]
	s_delay_alu instid0(VALU_DEP_2)
	v_fma_f64 v[62:63], v[42:43], v[4:5], v[44:45]
	ds_load_2addr_b64 v[44:47], v66 offset0:10 offset1:11
	v_fma_f64 v[4:5], v[40:41], v[4:5], -v[6:7]
	s_waitcnt lgkmcnt(0)
	v_mul_f64 v[6:7], v[46:47], v[62:63]
	v_mul_f64 v[66:67], v[44:45], v[62:63]
	s_delay_alu instid0(VALU_DEP_2) | instskip(NEXT) | instid1(VALU_DEP_2)
	v_fma_f64 v[6:7], v[44:45], v[4:5], -v[6:7]
	v_fma_f64 v[44:45], v[46:47], v[4:5], v[66:67]
	s_delay_alu instid0(VALU_DEP_2) | instskip(NEXT) | instid1(VALU_DEP_2)
	v_add_f64 v[0:1], v[0:1], -v[6:7]
	v_add_f64 v[2:3], v[2:3], -v[44:45]
	v_dual_mov_b32 v6, v62 :: v_dual_mov_b32 v7, v63
.LBB11_46:
	s_or_b32 exec_lo, exec_lo, s3
	s_delay_alu instid0(SALU_CYCLE_1)
	s_mov_b32 s4, exec_lo
	s_waitcnt lgkmcnt(0)
	s_barrier
	buffer_gl0_inv
	v_cmpx_eq_u32_e32 5, v64
	s_cbranch_execz .LBB11_53
; %bb.47:
	v_cmp_neq_f64_e32 vcc_lo, 0, v[0:1]
	v_cmp_neq_f64_e64 s3, 0, v[2:3]
	ds_store_2addr_b64 v65, v[0:1], v[2:3] offset1:1
	s_or_b32 s3, vcc_lo, s3
	s_delay_alu instid0(SALU_CYCLE_1)
	s_and_b32 exec_lo, exec_lo, s3
	s_cbranch_execz .LBB11_53
; %bb.48:
	v_cmp_gt_f64_e32 vcc_lo, 0, v[0:1]
	v_cmp_gt_f64_e64 s3, 0, v[2:3]
	v_xor_b32_e32 v44, 0x80000000, v1
	v_xor_b32_e32 v46, 0x80000000, v3
                                        ; implicit-def: $vgpr62_vgpr63
	s_delay_alu instid0(VALU_DEP_2) | instskip(NEXT) | instid1(VALU_DEP_2)
	v_cndmask_b32_e32 v45, v1, v44, vcc_lo
	v_cndmask_b32_e64 v47, v3, v46, s3
	v_cndmask_b32_e32 v44, v0, v0, vcc_lo
	v_cndmask_b32_e64 v46, v2, v2, s3
	s_mov_b32 s3, exec_lo
	s_delay_alu instid0(VALU_DEP_1)
	v_cmpx_ngt_f64_e32 v[44:45], v[46:47]
	s_xor_b32 s3, exec_lo, s3
                                        ; implicit-def: $vgpr44_vgpr45_vgpr46_vgpr47
	s_cbranch_execz .LBB11_50
; %bb.49:
	v_div_scale_f64 v[44:45], null, v[2:3], v[2:3], v[0:1]
	v_div_scale_f64 v[66:67], vcc_lo, v[0:1], v[2:3], v[0:1]
	s_delay_alu instid0(VALU_DEP_2) | instskip(SKIP_2) | instid1(VALU_DEP_1)
	v_rcp_f64_e32 v[46:47], v[44:45]
	s_waitcnt_depctr 0xfff
	v_fma_f64 v[62:63], -v[44:45], v[46:47], 1.0
	v_fma_f64 v[46:47], v[46:47], v[62:63], v[46:47]
	s_delay_alu instid0(VALU_DEP_1) | instskip(NEXT) | instid1(VALU_DEP_1)
	v_fma_f64 v[62:63], -v[44:45], v[46:47], 1.0
	v_fma_f64 v[46:47], v[46:47], v[62:63], v[46:47]
	s_delay_alu instid0(VALU_DEP_1) | instskip(NEXT) | instid1(VALU_DEP_1)
	v_mul_f64 v[62:63], v[66:67], v[46:47]
	v_fma_f64 v[44:45], -v[44:45], v[62:63], v[66:67]
	s_delay_alu instid0(VALU_DEP_1) | instskip(NEXT) | instid1(VALU_DEP_1)
	v_div_fmas_f64 v[44:45], v[44:45], v[46:47], v[62:63]
	v_div_fixup_f64 v[44:45], v[44:45], v[2:3], v[0:1]
	s_delay_alu instid0(VALU_DEP_1) | instskip(NEXT) | instid1(VALU_DEP_1)
	v_fma_f64 v[46:47], v[0:1], v[44:45], v[2:3]
	v_div_scale_f64 v[62:63], null, v[46:47], v[46:47], 1.0
	s_delay_alu instid0(VALU_DEP_1) | instskip(SKIP_2) | instid1(VALU_DEP_1)
	v_rcp_f64_e32 v[66:67], v[62:63]
	s_waitcnt_depctr 0xfff
	v_fma_f64 v[68:69], -v[62:63], v[66:67], 1.0
	v_fma_f64 v[66:67], v[66:67], v[68:69], v[66:67]
	s_delay_alu instid0(VALU_DEP_1) | instskip(NEXT) | instid1(VALU_DEP_1)
	v_fma_f64 v[68:69], -v[62:63], v[66:67], 1.0
	v_fma_f64 v[66:67], v[66:67], v[68:69], v[66:67]
	v_div_scale_f64 v[68:69], vcc_lo, 1.0, v[46:47], 1.0
	s_delay_alu instid0(VALU_DEP_1) | instskip(NEXT) | instid1(VALU_DEP_1)
	v_mul_f64 v[70:71], v[68:69], v[66:67]
	v_fma_f64 v[62:63], -v[62:63], v[70:71], v[68:69]
	s_delay_alu instid0(VALU_DEP_1) | instskip(NEXT) | instid1(VALU_DEP_1)
	v_div_fmas_f64 v[62:63], v[62:63], v[66:67], v[70:71]
	v_div_fixup_f64 v[46:47], v[62:63], v[46:47], 1.0
	s_delay_alu instid0(VALU_DEP_1)
	v_mul_f64 v[62:63], v[44:45], v[46:47]
	v_xor_b32_e32 v47, 0x80000000, v47
.LBB11_50:
	s_and_not1_saveexec_b32 s3, s3
	s_cbranch_execz .LBB11_52
; %bb.51:
	v_div_scale_f64 v[44:45], null, v[0:1], v[0:1], v[2:3]
	v_div_scale_f64 v[66:67], vcc_lo, v[2:3], v[0:1], v[2:3]
	s_delay_alu instid0(VALU_DEP_2) | instskip(SKIP_2) | instid1(VALU_DEP_1)
	v_rcp_f64_e32 v[46:47], v[44:45]
	s_waitcnt_depctr 0xfff
	v_fma_f64 v[62:63], -v[44:45], v[46:47], 1.0
	v_fma_f64 v[46:47], v[46:47], v[62:63], v[46:47]
	s_delay_alu instid0(VALU_DEP_1) | instskip(NEXT) | instid1(VALU_DEP_1)
	v_fma_f64 v[62:63], -v[44:45], v[46:47], 1.0
	v_fma_f64 v[46:47], v[46:47], v[62:63], v[46:47]
	s_delay_alu instid0(VALU_DEP_1) | instskip(NEXT) | instid1(VALU_DEP_1)
	v_mul_f64 v[62:63], v[66:67], v[46:47]
	v_fma_f64 v[44:45], -v[44:45], v[62:63], v[66:67]
	s_delay_alu instid0(VALU_DEP_1) | instskip(NEXT) | instid1(VALU_DEP_1)
	v_div_fmas_f64 v[44:45], v[44:45], v[46:47], v[62:63]
	v_div_fixup_f64 v[44:45], v[44:45], v[0:1], v[2:3]
	s_delay_alu instid0(VALU_DEP_1) | instskip(NEXT) | instid1(VALU_DEP_1)
	v_fma_f64 v[46:47], v[2:3], v[44:45], v[0:1]
	v_div_scale_f64 v[62:63], null, v[46:47], v[46:47], 1.0
	s_delay_alu instid0(VALU_DEP_1) | instskip(SKIP_2) | instid1(VALU_DEP_1)
	v_rcp_f64_e32 v[66:67], v[62:63]
	s_waitcnt_depctr 0xfff
	v_fma_f64 v[68:69], -v[62:63], v[66:67], 1.0
	v_fma_f64 v[66:67], v[66:67], v[68:69], v[66:67]
	s_delay_alu instid0(VALU_DEP_1) | instskip(NEXT) | instid1(VALU_DEP_1)
	v_fma_f64 v[68:69], -v[62:63], v[66:67], 1.0
	v_fma_f64 v[66:67], v[66:67], v[68:69], v[66:67]
	v_div_scale_f64 v[68:69], vcc_lo, 1.0, v[46:47], 1.0
	s_delay_alu instid0(VALU_DEP_1) | instskip(NEXT) | instid1(VALU_DEP_1)
	v_mul_f64 v[70:71], v[68:69], v[66:67]
	v_fma_f64 v[62:63], -v[62:63], v[70:71], v[68:69]
	s_delay_alu instid0(VALU_DEP_1) | instskip(NEXT) | instid1(VALU_DEP_1)
	v_div_fmas_f64 v[62:63], v[62:63], v[66:67], v[70:71]
	v_div_fixup_f64 v[62:63], v[62:63], v[46:47], 1.0
	s_delay_alu instid0(VALU_DEP_1)
	v_mul_f64 v[46:47], v[44:45], -v[62:63]
.LBB11_52:
	s_or_b32 exec_lo, exec_lo, s3
	ds_store_2addr_b64 v65, v[62:63], v[46:47] offset1:1
.LBB11_53:
	s_or_b32 exec_lo, exec_lo, s4
	s_waitcnt lgkmcnt(0)
	s_barrier
	buffer_gl0_inv
	ds_load_2addr_b64 v[44:47], v65 offset1:1
	s_mov_b32 s3, exec_lo
	v_cmpx_lt_u32_e32 5, v64
	s_cbranch_execz .LBB11_55
; %bb.54:
	s_waitcnt lgkmcnt(0)
	v_mul_f64 v[62:63], v[46:47], v[2:3]
	v_mul_f64 v[2:3], v[44:45], v[2:3]
	s_delay_alu instid0(VALU_DEP_2) | instskip(NEXT) | instid1(VALU_DEP_2)
	v_fma_f64 v[62:63], v[44:45], v[0:1], -v[62:63]
	v_fma_f64 v[2:3], v[46:47], v[0:1], v[2:3]
	s_delay_alu instid0(VALU_DEP_2)
	v_dual_mov_b32 v0, v62 :: v_dual_mov_b32 v1, v63
.LBB11_55:
	s_or_b32 exec_lo, exec_lo, s3
	s_waitcnt lgkmcnt(0)
	s_barrier
	buffer_gl0_inv
	s_and_saveexec_b32 s10, s2
	s_cbranch_execz .LBB11_58
; %bb.56:
	s_load_b64 s[0:1], s[0:1], 0x28
	v_lshlrev_b64 v[48:49], 2, v[48:49]
	v_cmp_neq_f64_e64 s2, 0, v[30:31]
	v_cmp_eq_f64_e64 s3, 0, v[32:33]
	v_cmp_eq_f64_e64 s4, 0, v[34:35]
	;; [unrolled: 1-line block ×6, first 2 shown]
	s_waitcnt lgkmcnt(0)
	v_add_co_u32 v48, vcc_lo, s0, v48
	v_add_co_ci_u32_e32 v49, vcc_lo, s1, v49, vcc_lo
	v_cmp_eq_f64_e32 vcc_lo, 0, v[24:25]
	v_cmp_eq_f64_e64 s0, 0, v[26:27]
	v_cmp_neq_f64_e64 s1, 0, v[28:29]
	global_load_b32 v62, v[48:49], off
	s_and_b32 s0, vcc_lo, s0
	s_or_b32 s1, s1, s2
	v_cndmask_b32_e64 v24, 0, 1, s0
	s_or_b32 vcc_lo, s1, s0
	v_cmp_eq_f64_e64 s0, 0, v[46:47]
	s_and_b32 s2, s3, s4
	s_delay_alu instid0(VALU_DEP_2) | instskip(SKIP_1) | instid1(VALU_DEP_2)
	v_cndmask_b32_e32 v24, 2, v24, vcc_lo
	v_cmp_eq_f64_e32 vcc_lo, 0, v[44:45]
	v_cmp_eq_u32_e64 s1, 0, v24
	s_delay_alu instid0(VALU_DEP_1) | instskip(SKIP_2) | instid1(VALU_DEP_1)
	s_and_b32 s1, s2, s1
	s_and_b32 s2, s5, s6
	v_cndmask_b32_e64 v24, v24, 3, s1
	v_cmp_eq_u32_e64 s1, 0, v24
	s_delay_alu instid0(VALU_DEP_1) | instskip(SKIP_2) | instid1(VALU_DEP_1)
	s_and_b32 s1, s2, s1
	s_and_b32 s2, s7, s8
	v_cndmask_b32_e64 v24, v24, 4, s1
	v_cmp_eq_u32_e64 s1, 0, v24
	s_delay_alu instid0(VALU_DEP_1) | instskip(NEXT) | instid1(SALU_CYCLE_1)
	s_and_b32 s1, s2, s1
	v_cndmask_b32_e64 v24, v24, 5, s1
	s_and_b32 s0, vcc_lo, s0
	s_delay_alu instid0(VALU_DEP_1) | instskip(NEXT) | instid1(VALU_DEP_1)
	v_cmp_eq_u32_e64 s1, 0, v24
	s_and_b32 s0, s0, s1
	s_delay_alu instid0(SALU_CYCLE_1) | instskip(NEXT) | instid1(VALU_DEP_1)
	v_cndmask_b32_e64 v24, v24, 6, s0
	v_cmp_ne_u32_e64 s0, 0, v24
	s_waitcnt vmcnt(0)
	v_cmp_eq_u32_e32 vcc_lo, 0, v62
	s_delay_alu instid0(VALU_DEP_2) | instskip(NEXT) | instid1(SALU_CYCLE_1)
	s_and_b32 s0, vcc_lo, s0
	s_and_b32 exec_lo, exec_lo, s0
	s_cbranch_execz .LBB11_58
; %bb.57:
	v_add_nc_u32_e32 v24, s9, v24
	global_store_b32 v[48:49], v24, off
.LBB11_58:
	s_or_b32 exec_lo, exec_lo, s10
	s_clause 0x5
	global_store_b128 v[60:61], v[20:23], off
	global_store_b128 v[58:59], v[16:19], off
	;; [unrolled: 1-line block ×6, first 2 shown]
.LBB11_59:
	s_nop 0
	s_sendmsg sendmsg(MSG_DEALLOC_VGPRS)
	s_endpgm
	.section	.rodata,"a",@progbits
	.p2align	6, 0x0
	.amdhsa_kernel _ZN9rocsolver6v33100L23getf2_npvt_small_kernelILi6E19rocblas_complex_numIdEiiPKPS3_EEvT1_T3_lS7_lPT2_S7_S7_
		.amdhsa_group_segment_fixed_size 0
		.amdhsa_private_segment_fixed_size 0
		.amdhsa_kernarg_size 312
		.amdhsa_user_sgpr_count 14
		.amdhsa_user_sgpr_dispatch_ptr 0
		.amdhsa_user_sgpr_queue_ptr 0
		.amdhsa_user_sgpr_kernarg_segment_ptr 1
		.amdhsa_user_sgpr_dispatch_id 0
		.amdhsa_user_sgpr_private_segment_size 0
		.amdhsa_wavefront_size32 1
		.amdhsa_uses_dynamic_stack 0
		.amdhsa_enable_private_segment 0
		.amdhsa_system_sgpr_workgroup_id_x 1
		.amdhsa_system_sgpr_workgroup_id_y 1
		.amdhsa_system_sgpr_workgroup_id_z 0
		.amdhsa_system_sgpr_workgroup_info 0
		.amdhsa_system_vgpr_workitem_id 1
		.amdhsa_next_free_vgpr 85
		.amdhsa_next_free_sgpr 16
		.amdhsa_reserve_vcc 1
		.amdhsa_float_round_mode_32 0
		.amdhsa_float_round_mode_16_64 0
		.amdhsa_float_denorm_mode_32 3
		.amdhsa_float_denorm_mode_16_64 3
		.amdhsa_dx10_clamp 1
		.amdhsa_ieee_mode 1
		.amdhsa_fp16_overflow 0
		.amdhsa_workgroup_processor_mode 1
		.amdhsa_memory_ordered 1
		.amdhsa_forward_progress 0
		.amdhsa_shared_vgpr_count 0
		.amdhsa_exception_fp_ieee_invalid_op 0
		.amdhsa_exception_fp_denorm_src 0
		.amdhsa_exception_fp_ieee_div_zero 0
		.amdhsa_exception_fp_ieee_overflow 0
		.amdhsa_exception_fp_ieee_underflow 0
		.amdhsa_exception_fp_ieee_inexact 0
		.amdhsa_exception_int_div_zero 0
	.end_amdhsa_kernel
	.section	.text._ZN9rocsolver6v33100L23getf2_npvt_small_kernelILi6E19rocblas_complex_numIdEiiPKPS3_EEvT1_T3_lS7_lPT2_S7_S7_,"axG",@progbits,_ZN9rocsolver6v33100L23getf2_npvt_small_kernelILi6E19rocblas_complex_numIdEiiPKPS3_EEvT1_T3_lS7_lPT2_S7_S7_,comdat
.Lfunc_end11:
	.size	_ZN9rocsolver6v33100L23getf2_npvt_small_kernelILi6E19rocblas_complex_numIdEiiPKPS3_EEvT1_T3_lS7_lPT2_S7_S7_, .Lfunc_end11-_ZN9rocsolver6v33100L23getf2_npvt_small_kernelILi6E19rocblas_complex_numIdEiiPKPS3_EEvT1_T3_lS7_lPT2_S7_S7_
                                        ; -- End function
	.section	.AMDGPU.csdata,"",@progbits
; Kernel info:
; codeLenInByte = 6296
; NumSgprs: 18
; NumVgprs: 85
; ScratchSize: 0
; MemoryBound: 0
; FloatMode: 240
; IeeeMode: 1
; LDSByteSize: 0 bytes/workgroup (compile time only)
; SGPRBlocks: 2
; VGPRBlocks: 10
; NumSGPRsForWavesPerEU: 18
; NumVGPRsForWavesPerEU: 85
; Occupancy: 16
; WaveLimiterHint : 1
; COMPUTE_PGM_RSRC2:SCRATCH_EN: 0
; COMPUTE_PGM_RSRC2:USER_SGPR: 14
; COMPUTE_PGM_RSRC2:TRAP_HANDLER: 0
; COMPUTE_PGM_RSRC2:TGID_X_EN: 1
; COMPUTE_PGM_RSRC2:TGID_Y_EN: 1
; COMPUTE_PGM_RSRC2:TGID_Z_EN: 0
; COMPUTE_PGM_RSRC2:TIDIG_COMP_CNT: 1
	.section	.text._ZN9rocsolver6v33100L18getf2_small_kernelILi7E19rocblas_complex_numIdEiiPKPS3_EEvT1_T3_lS7_lPS7_llPT2_S7_S7_S9_l,"axG",@progbits,_ZN9rocsolver6v33100L18getf2_small_kernelILi7E19rocblas_complex_numIdEiiPKPS3_EEvT1_T3_lS7_lPS7_llPT2_S7_S7_S9_l,comdat
	.globl	_ZN9rocsolver6v33100L18getf2_small_kernelILi7E19rocblas_complex_numIdEiiPKPS3_EEvT1_T3_lS7_lPS7_llPT2_S7_S7_S9_l ; -- Begin function _ZN9rocsolver6v33100L18getf2_small_kernelILi7E19rocblas_complex_numIdEiiPKPS3_EEvT1_T3_lS7_lPS7_llPT2_S7_S7_S9_l
	.p2align	8
	.type	_ZN9rocsolver6v33100L18getf2_small_kernelILi7E19rocblas_complex_numIdEiiPKPS3_EEvT1_T3_lS7_lPS7_llPT2_S7_S7_S9_l,@function
_ZN9rocsolver6v33100L18getf2_small_kernelILi7E19rocblas_complex_numIdEiiPKPS3_EEvT1_T3_lS7_lPS7_llPT2_S7_S7_S9_l: ; @_ZN9rocsolver6v33100L18getf2_small_kernelILi7E19rocblas_complex_numIdEiiPKPS3_EEvT1_T3_lS7_lPS7_llPT2_S7_S7_S9_l
; %bb.0:
	s_clause 0x1
	s_load_b32 s2, s[0:1], 0x6c
	s_load_b64 s[12:13], s[0:1], 0x48
	v_bfe_u32 v28, v0, 10, 10
	s_waitcnt lgkmcnt(0)
	s_lshr_b32 s2, s2, 16
	s_delay_alu instid0(VALU_DEP_1) | instid1(SALU_CYCLE_1)
	v_mad_u64_u32 v[32:33], null, s15, s2, v[28:29]
	s_mov_b32 s2, exec_lo
	s_delay_alu instid0(VALU_DEP_1)
	v_cmpx_gt_i32_e64 s12, v32
	s_cbranch_execz .LBB12_150
; %bb.1:
	s_clause 0x1
	s_load_b128 s[4:7], s[0:1], 0x8
	s_load_b128 s[8:11], s[0:1], 0x50
	v_ashrrev_i32_e32 v33, 31, v32
	v_mov_b32_e32 v34, 0
	v_mov_b32_e32 v35, 0
	s_delay_alu instid0(VALU_DEP_3) | instskip(SKIP_1) | instid1(VALU_DEP_1)
	v_lshlrev_b64 v[1:2], 3, v[32:33]
	s_waitcnt lgkmcnt(0)
	v_add_co_u32 v1, vcc_lo, s4, v1
	s_delay_alu instid0(VALU_DEP_2)
	v_add_co_ci_u32_e32 v2, vcc_lo, s5, v2, vcc_lo
	s_cmp_eq_u64 s[8:9], 0
	s_cselect_b32 s4, -1, 0
	global_load_b64 v[1:2], v[1:2], off
	s_and_b32 vcc_lo, exec_lo, s4
	s_cbranch_vccnz .LBB12_3
; %bb.2:
	v_mul_lo_u32 v5, v33, s10
	v_mul_lo_u32 v6, v32, s11
	v_mad_u64_u32 v[3:4], null, v32, s10, 0
	s_delay_alu instid0(VALU_DEP_1) | instskip(NEXT) | instid1(VALU_DEP_1)
	v_add3_u32 v4, v4, v6, v5
	v_lshlrev_b64 v[3:4], 2, v[3:4]
	s_delay_alu instid0(VALU_DEP_1) | instskip(NEXT) | instid1(VALU_DEP_2)
	v_add_co_u32 v34, vcc_lo, s8, v3
	v_add_co_ci_u32_e32 v35, vcc_lo, s9, v4, vcc_lo
.LBB12_3:
	s_clause 0x1
	s_load_b32 s8, s[0:1], 0x18
	s_load_b32 s5, s[0:1], 0x0
	v_dual_mov_b32 v36, 0 :: v_dual_and_b32 v41, 0x3ff, v0
	s_lshl_b64 s[2:3], s[6:7], 4
	s_waitcnt vmcnt(0)
	v_add_co_u32 v39, vcc_lo, v1, s2
	s_delay_alu instid0(VALU_DEP_2) | instskip(SKIP_1) | instid1(VALU_DEP_2)
	v_lshlrev_b32_e32 v31, 4, v41
	v_add_co_ci_u32_e32 v40, vcc_lo, s3, v2, vcc_lo
	v_add_co_u32 v2, vcc_lo, v39, v31
	s_delay_alu instid0(VALU_DEP_2)
	v_add_co_ci_u32_e32 v3, vcc_lo, 0, v40, vcc_lo
	s_waitcnt lgkmcnt(0)
	v_add3_u32 v0, s8, s8, v41
	s_ashr_i32 s9, s8, 31
	s_max_i32 s2, s5, 7
	s_lshl_b64 s[10:11], s[8:9], 4
	v_mul_lo_u32 v37, s2, v28
	v_add_nc_u32_e32 v4, s8, v0
	v_add_co_u32 v6, vcc_lo, v2, s10
	v_add_co_ci_u32_e32 v7, vcc_lo, s11, v3, vcc_lo
	s_delay_alu instid0(VALU_DEP_3)
	v_ashrrev_i32_e32 v5, 31, v4
	v_add_nc_u32_e32 v8, s8, v4
	v_ashrrev_i32_e32 v1, 31, v0
	s_clause 0x1
	global_load_b128 v[20:23], v[2:3], off
	global_load_b128 v[24:27], v[6:7], off
	v_lshl_add_u32 v38, v37, 4, 0
	v_lshlrev_b64 v[2:3], 4, v[4:5]
	v_ashrrev_i32_e32 v9, 31, v8
	v_add_nc_u32_e32 v4, s8, v8
	v_lshlrev_b64 v[0:1], 4, v[0:1]
	v_add_nc_u32_e32 v28, v38, v31
	v_lshlrev_b32_e32 v43, 4, v37
	v_lshlrev_b64 v[6:7], 4, v[8:9]
	v_add_nc_u32_e32 v8, s8, v4
	v_ashrrev_i32_e32 v5, 31, v4
	v_add_co_u32 v0, vcc_lo, v39, v0
	v_add_co_ci_u32_e32 v1, vcc_lo, v40, v1, vcc_lo
	s_delay_alu instid0(VALU_DEP_4)
	v_ashrrev_i32_e32 v9, 31, v8
	v_add_co_u32 v2, vcc_lo, v39, v2
	v_lshlrev_b64 v[4:5], 4, v[4:5]
	v_add_co_ci_u32_e32 v3, vcc_lo, v40, v3, vcc_lo
	v_add_co_u32 v6, vcc_lo, v39, v6
	v_lshlrev_b64 v[8:9], 4, v[8:9]
	v_add_co_ci_u32_e32 v7, vcc_lo, v40, v7, vcc_lo
	v_add_co_u32 v4, vcc_lo, v39, v4
	v_add_co_ci_u32_e32 v5, vcc_lo, v40, v5, vcc_lo
	s_delay_alu instid0(VALU_DEP_4)
	v_add_co_u32 v29, vcc_lo, v39, v8
	v_add_co_ci_u32_e32 v30, vcc_lo, v40, v9, vcc_lo
	s_clause 0x4
	global_load_b128 v[16:19], v[0:1], off
	global_load_b128 v[12:15], v[2:3], off
	;; [unrolled: 1-line block ×5, first 2 shown]
	s_cmp_lt_i32 s5, 2
	s_waitcnt vmcnt(6)
	ds_store_2addr_b64 v28, v[20:21], v[22:23] offset1:1
	s_waitcnt vmcnt(0) lgkmcnt(0)
	s_barrier
	buffer_gl0_inv
	ds_load_2addr_b64 v[28:31], v38 offset1:1
	s_cbranch_scc1 .LBB12_6
; %bb.4:
	v_add3_u32 v37, v43, 0, 16
	v_mov_b32_e32 v36, 0
	s_mov_b32 s6, 1
	s_set_inst_prefetch_distance 0x1
	.p2align	6
.LBB12_5:                               ; =>This Inner Loop Header: Depth=1
	ds_load_2addr_b64 v[44:47], v37 offset1:1
	s_waitcnt lgkmcnt(1)
	v_cmp_gt_f64_e32 vcc_lo, 0, v[28:29]
	v_xor_b32_e32 v42, 0x80000000, v29
	v_cmp_gt_f64_e64 s2, 0, v[30:31]
	v_xor_b32_e32 v48, 0x80000000, v31
	v_add_nc_u32_e32 v37, 16, v37
	s_waitcnt lgkmcnt(0)
	v_cmp_gt_f64_e64 s3, 0, v[44:45]
	v_mov_b32_e32 v52, v44
	v_dual_mov_b32 v54, v46 :: v_dual_cndmask_b32 v49, v29, v42
	v_xor_b32_e32 v42, 0x80000000, v45
	v_cndmask_b32_e64 v51, v31, v48, s2
	v_xor_b32_e32 v48, 0x80000000, v47
	v_cndmask_b32_e64 v50, v30, v30, s2
	s_delay_alu instid0(VALU_DEP_4) | instskip(SKIP_1) | instid1(VALU_DEP_1)
	v_cndmask_b32_e64 v53, v45, v42, s3
	v_cmp_gt_f64_e64 s3, 0, v[46:47]
	v_cndmask_b32_e64 v55, v47, v48, s3
	v_cndmask_b32_e32 v48, v28, v28, vcc_lo
	s_delay_alu instid0(VALU_DEP_2) | instskip(NEXT) | instid1(VALU_DEP_2)
	v_add_f64 v[52:53], v[52:53], v[54:55]
	v_add_f64 v[48:49], v[48:49], v[50:51]
	s_delay_alu instid0(VALU_DEP_1)
	v_cmp_lt_f64_e32 vcc_lo, v[48:49], v[52:53]
	v_cndmask_b32_e32 v31, v31, v47, vcc_lo
	v_dual_cndmask_b32 v29, v29, v45 :: v_dual_cndmask_b32 v28, v28, v44
	v_cndmask_b32_e32 v30, v30, v46, vcc_lo
	v_cndmask_b32_e64 v36, v36, s6, vcc_lo
	s_add_i32 s6, s6, 1
	s_delay_alu instid0(SALU_CYCLE_1)
	s_cmp_eq_u32 s5, s6
	s_cbranch_scc0 .LBB12_5
.LBB12_6:
	s_set_inst_prefetch_distance 0x2
	s_waitcnt lgkmcnt(0)
	v_cmp_neq_f64_e32 vcc_lo, 0, v[28:29]
	v_cmp_neq_f64_e64 s2, 0, v[30:31]
	v_dual_mov_b32 v42, 1 :: v_dual_mov_b32 v45, 1
	s_delay_alu instid0(VALU_DEP_2) | instskip(NEXT) | instid1(SALU_CYCLE_1)
	s_or_b32 s2, vcc_lo, s2
	s_and_saveexec_b32 s3, s2
	s_cbranch_execz .LBB12_12
; %bb.7:
	v_cmp_gt_f64_e32 vcc_lo, 0, v[28:29]
	v_cmp_gt_f64_e64 s2, 0, v[30:31]
	v_xor_b32_e32 v37, 0x80000000, v29
	v_xor_b32_e32 v42, 0x80000000, v31
                                        ; implicit-def: $sgpr6
                                        ; implicit-def: $sgpr7
	s_delay_alu instid0(VALU_DEP_2) | instskip(NEXT) | instid1(VALU_DEP_2)
	v_dual_cndmask_b32 v45, v29, v37 :: v_dual_cndmask_b32 v44, v28, v28
	v_cndmask_b32_e64 v47, v31, v42, s2
	v_cndmask_b32_e64 v46, v30, v30, s2
	s_mov_b32 s2, exec_lo
	s_delay_alu instid0(VALU_DEP_1)
	v_cmpx_ngt_f64_e32 v[44:45], v[46:47]
	s_xor_b32 s2, exec_lo, s2
	s_cbranch_execz .LBB12_9
; %bb.8:
	v_div_scale_f64 v[44:45], null, v[30:31], v[30:31], v[28:29]
	v_div_scale_f64 v[50:51], vcc_lo, v[28:29], v[30:31], v[28:29]
	s_mov_b32 s7, 2
	s_mov_b32 s6, 0
	s_delay_alu instid0(VALU_DEP_2) | instskip(SKIP_2) | instid1(VALU_DEP_1)
	v_rcp_f64_e32 v[46:47], v[44:45]
	s_waitcnt_depctr 0xfff
	v_fma_f64 v[48:49], -v[44:45], v[46:47], 1.0
	v_fma_f64 v[46:47], v[46:47], v[48:49], v[46:47]
	s_delay_alu instid0(VALU_DEP_1) | instskip(NEXT) | instid1(VALU_DEP_1)
	v_fma_f64 v[48:49], -v[44:45], v[46:47], 1.0
	v_fma_f64 v[46:47], v[46:47], v[48:49], v[46:47]
	s_delay_alu instid0(VALU_DEP_1) | instskip(NEXT) | instid1(VALU_DEP_1)
	v_mul_f64 v[48:49], v[50:51], v[46:47]
	v_fma_f64 v[44:45], -v[44:45], v[48:49], v[50:51]
	s_delay_alu instid0(VALU_DEP_1) | instskip(NEXT) | instid1(VALU_DEP_1)
	v_div_fmas_f64 v[44:45], v[44:45], v[46:47], v[48:49]
	v_div_fixup_f64 v[44:45], v[44:45], v[30:31], v[28:29]
	s_delay_alu instid0(VALU_DEP_1) | instskip(NEXT) | instid1(VALU_DEP_1)
	v_fma_f64 v[28:29], v[28:29], v[44:45], v[30:31]
	v_div_scale_f64 v[30:31], null, v[28:29], v[28:29], 1.0
	s_delay_alu instid0(VALU_DEP_1) | instskip(SKIP_2) | instid1(VALU_DEP_1)
	v_rcp_f64_e32 v[46:47], v[30:31]
	s_waitcnt_depctr 0xfff
	v_fma_f64 v[48:49], -v[30:31], v[46:47], 1.0
	v_fma_f64 v[46:47], v[46:47], v[48:49], v[46:47]
	s_delay_alu instid0(VALU_DEP_1) | instskip(NEXT) | instid1(VALU_DEP_1)
	v_fma_f64 v[48:49], -v[30:31], v[46:47], 1.0
	v_fma_f64 v[46:47], v[46:47], v[48:49], v[46:47]
	v_div_scale_f64 v[48:49], vcc_lo, 1.0, v[28:29], 1.0
	s_delay_alu instid0(VALU_DEP_1) | instskip(NEXT) | instid1(VALU_DEP_1)
	v_mul_f64 v[50:51], v[48:49], v[46:47]
	v_fma_f64 v[30:31], -v[30:31], v[50:51], v[48:49]
	s_delay_alu instid0(VALU_DEP_1) | instskip(NEXT) | instid1(VALU_DEP_1)
	v_div_fmas_f64 v[30:31], v[30:31], v[46:47], v[50:51]
	v_div_fixup_f64 v[30:31], v[30:31], v[28:29], 1.0
	s_delay_alu instid0(VALU_DEP_1)
	v_mul_f64 v[28:29], v[44:45], v[30:31]
	v_xor_b32_e32 v31, 0x80000000, v31
.LBB12_9:
	s_or_saveexec_b32 s2, s2
	v_dual_mov_b32 v45, s6 :: v_dual_mov_b32 v42, s7
	s_xor_b32 exec_lo, exec_lo, s2
	s_cbranch_execz .LBB12_11
; %bb.10:
	s_delay_alu instid0(VALU_DEP_3) | instskip(SKIP_2) | instid1(VALU_DEP_3)
	v_div_scale_f64 v[44:45], null, v[28:29], v[28:29], v[30:31]
	v_div_scale_f64 v[50:51], vcc_lo, v[30:31], v[28:29], v[30:31]
	v_mov_b32_e32 v42, 2
	v_rcp_f64_e32 v[46:47], v[44:45]
	s_waitcnt_depctr 0xfff
	v_fma_f64 v[48:49], -v[44:45], v[46:47], 1.0
	s_delay_alu instid0(VALU_DEP_1) | instskip(NEXT) | instid1(VALU_DEP_1)
	v_fma_f64 v[46:47], v[46:47], v[48:49], v[46:47]
	v_fma_f64 v[48:49], -v[44:45], v[46:47], 1.0
	s_delay_alu instid0(VALU_DEP_1) | instskip(NEXT) | instid1(VALU_DEP_1)
	v_fma_f64 v[46:47], v[46:47], v[48:49], v[46:47]
	v_mul_f64 v[48:49], v[50:51], v[46:47]
	s_delay_alu instid0(VALU_DEP_1) | instskip(NEXT) | instid1(VALU_DEP_1)
	v_fma_f64 v[44:45], -v[44:45], v[48:49], v[50:51]
	v_div_fmas_f64 v[44:45], v[44:45], v[46:47], v[48:49]
	s_delay_alu instid0(VALU_DEP_1) | instskip(NEXT) | instid1(VALU_DEP_1)
	v_div_fixup_f64 v[44:45], v[44:45], v[28:29], v[30:31]
	v_fma_f64 v[28:29], v[30:31], v[44:45], v[28:29]
	s_delay_alu instid0(VALU_DEP_1) | instskip(NEXT) | instid1(VALU_DEP_1)
	v_div_scale_f64 v[30:31], null, v[28:29], v[28:29], 1.0
	v_rcp_f64_e32 v[46:47], v[30:31]
	s_waitcnt_depctr 0xfff
	v_fma_f64 v[48:49], -v[30:31], v[46:47], 1.0
	s_delay_alu instid0(VALU_DEP_1) | instskip(NEXT) | instid1(VALU_DEP_1)
	v_fma_f64 v[46:47], v[46:47], v[48:49], v[46:47]
	v_fma_f64 v[48:49], -v[30:31], v[46:47], 1.0
	s_delay_alu instid0(VALU_DEP_1) | instskip(SKIP_1) | instid1(VALU_DEP_1)
	v_fma_f64 v[46:47], v[46:47], v[48:49], v[46:47]
	v_div_scale_f64 v[48:49], vcc_lo, 1.0, v[28:29], 1.0
	v_mul_f64 v[50:51], v[48:49], v[46:47]
	s_delay_alu instid0(VALU_DEP_1) | instskip(NEXT) | instid1(VALU_DEP_1)
	v_fma_f64 v[30:31], -v[30:31], v[50:51], v[48:49]
	v_div_fmas_f64 v[30:31], v[30:31], v[46:47], v[50:51]
	s_delay_alu instid0(VALU_DEP_1) | instskip(NEXT) | instid1(VALU_DEP_1)
	v_div_fixup_f64 v[28:29], v[30:31], v[28:29], 1.0
	v_mul_f64 v[30:31], v[44:45], -v[28:29]
	v_mov_b32_e32 v45, 0
.LBB12_11:
	s_or_b32 exec_lo, exec_lo, s2
.LBB12_12:
	s_delay_alu instid0(SALU_CYCLE_1) | instskip(NEXT) | instid1(SALU_CYCLE_1)
	s_or_b32 exec_lo, exec_lo, s3
	s_mov_b32 s2, exec_lo
	v_cmpx_ne_u32_e64 v41, v36
	s_xor_b32 s2, exec_lo, s2
	s_cbranch_execz .LBB12_18
; %bb.13:
	s_mov_b32 s3, exec_lo
	v_cmpx_eq_u32_e32 0, v41
	s_cbranch_execz .LBB12_17
; %bb.14:
	v_cmp_ne_u32_e32 vcc_lo, 0, v36
	s_xor_b32 s6, s4, -1
	s_delay_alu instid0(SALU_CYCLE_1) | instskip(NEXT) | instid1(SALU_CYCLE_1)
	s_and_b32 s7, s6, vcc_lo
	s_and_saveexec_b32 s6, s7
	s_cbranch_execz .LBB12_16
; %bb.15:
	v_ashrrev_i32_e32 v37, 31, v36
	s_delay_alu instid0(VALU_DEP_1) | instskip(NEXT) | instid1(VALU_DEP_1)
	v_lshlrev_b64 v[46:47], 2, v[36:37]
	v_add_co_u32 v46, vcc_lo, v34, v46
	s_delay_alu instid0(VALU_DEP_2)
	v_add_co_ci_u32_e32 v47, vcc_lo, v35, v47, vcc_lo
	s_clause 0x1
	flat_load_b32 v37, v[46:47]
	flat_load_b32 v41, v[34:35]
	s_waitcnt vmcnt(1) lgkmcnt(1)
	flat_store_b32 v[34:35], v37
	s_waitcnt vmcnt(0) lgkmcnt(1)
	flat_store_b32 v[46:47], v41
.LBB12_16:
	s_or_b32 exec_lo, exec_lo, s6
	v_mov_b32_e32 v41, v36
.LBB12_17:
	s_or_b32 exec_lo, exec_lo, s3
.LBB12_18:
	s_or_saveexec_b32 s2, s2
	s_delay_alu instid0(VALU_DEP_1)
	v_mov_b32_e32 v44, v41
	s_xor_b32 exec_lo, exec_lo, s2
	s_cbranch_execz .LBB12_20
; %bb.19:
	v_mov_b32_e32 v44, 0
	ds_store_2addr_b64 v38, v[24:25], v[26:27] offset0:2 offset1:3
	ds_store_2addr_b64 v38, v[16:17], v[18:19] offset0:4 offset1:5
	;; [unrolled: 1-line block ×6, first 2 shown]
.LBB12_20:
	s_or_b32 exec_lo, exec_lo, s2
	s_delay_alu instid0(SALU_CYCLE_1)
	s_mov_b32 s2, exec_lo
	s_waitcnt lgkmcnt(0)
	s_waitcnt_vscnt null, 0x0
	s_barrier
	buffer_gl0_inv
	v_cmpx_lt_i32_e32 0, v44
	s_cbranch_execz .LBB12_22
; %bb.21:
	v_mul_f64 v[36:37], v[28:29], v[22:23]
	v_mul_f64 v[22:23], v[30:31], v[22:23]
	ds_load_2addr_b64 v[46:49], v38 offset0:2 offset1:3
	ds_load_2addr_b64 v[50:53], v38 offset0:4 offset1:5
	ds_load_2addr_b64 v[54:57], v38 offset0:6 offset1:7
	ds_load_2addr_b64 v[58:61], v38 offset0:8 offset1:9
	ds_load_2addr_b64 v[62:65], v38 offset0:10 offset1:11
	ds_load_2addr_b64 v[66:69], v38 offset0:12 offset1:13
	v_fma_f64 v[30:31], v[30:31], v[20:21], v[36:37]
	v_fma_f64 v[20:21], v[28:29], v[20:21], -v[22:23]
	s_waitcnt lgkmcnt(5)
	s_delay_alu instid0(VALU_DEP_2)
	v_mul_f64 v[22:23], v[48:49], v[30:31]
	v_mul_f64 v[28:29], v[46:47], v[30:31]
	s_waitcnt lgkmcnt(4)
	v_mul_f64 v[36:37], v[52:53], v[30:31]
	v_mul_f64 v[70:71], v[50:51], v[30:31]
	s_waitcnt lgkmcnt(3)
	;; [unrolled: 3-line block ×5, first 2 shown]
	v_mul_f64 v[84:85], v[68:69], v[30:31]
	v_mul_f64 v[86:87], v[66:67], v[30:31]
	v_fma_f64 v[22:23], v[46:47], v[20:21], -v[22:23]
	v_fma_f64 v[28:29], v[48:49], v[20:21], v[28:29]
	v_fma_f64 v[36:37], v[50:51], v[20:21], -v[36:37]
	v_fma_f64 v[46:47], v[52:53], v[20:21], v[70:71]
	;; [unrolled: 2-line block ×6, first 2 shown]
	v_add_f64 v[24:25], v[24:25], -v[22:23]
	v_add_f64 v[26:27], v[26:27], -v[28:29]
	;; [unrolled: 1-line block ×12, first 2 shown]
	v_dual_mov_b32 v22, v30 :: v_dual_mov_b32 v23, v31
.LBB12_22:
	s_or_b32 exec_lo, exec_lo, s2
	v_lshl_add_u32 v28, v44, 4, v38
	s_barrier
	buffer_gl0_inv
	v_mov_b32_e32 v36, 1
	ds_store_2addr_b64 v28, v[24:25], v[26:27] offset1:1
	s_waitcnt lgkmcnt(0)
	s_barrier
	buffer_gl0_inv
	ds_load_2addr_b64 v[28:31], v38 offset0:2 offset1:3
	s_cmp_lt_i32 s5, 3
	s_cbranch_scc1 .LBB12_25
; %bb.23:
	v_add3_u32 v37, v43, 0, 32
	v_mov_b32_e32 v36, 1
	s_mov_b32 s6, 2
	s_set_inst_prefetch_distance 0x1
	.p2align	6
.LBB12_24:                              ; =>This Inner Loop Header: Depth=1
	ds_load_2addr_b64 v[46:49], v37 offset1:1
	s_waitcnt lgkmcnt(1)
	v_cmp_gt_f64_e32 vcc_lo, 0, v[28:29]
	v_xor_b32_e32 v50, 0x80000000, v29
	v_cmp_gt_f64_e64 s2, 0, v[30:31]
	v_xor_b32_e32 v52, 0x80000000, v31
	v_add_nc_u32_e32 v37, 16, v37
	s_waitcnt lgkmcnt(0)
	v_cmp_gt_f64_e64 s3, 0, v[46:47]
	v_mov_b32_e32 v54, v46
	v_dual_mov_b32 v56, v48 :: v_dual_cndmask_b32 v51, v29, v50
	v_xor_b32_e32 v50, 0x80000000, v47
	v_cndmask_b32_e64 v53, v31, v52, s2
	v_xor_b32_e32 v52, 0x80000000, v49
	s_delay_alu instid0(VALU_DEP_3) | instskip(SKIP_2) | instid1(VALU_DEP_2)
	v_cndmask_b32_e64 v55, v47, v50, s3
	v_cmp_gt_f64_e64 s3, 0, v[48:49]
	v_cndmask_b32_e32 v50, v28, v28, vcc_lo
	v_cndmask_b32_e64 v57, v49, v52, s3
	v_cndmask_b32_e64 v52, v30, v30, s2
	s_delay_alu instid0(VALU_DEP_2) | instskip(NEXT) | instid1(VALU_DEP_2)
	v_add_f64 v[54:55], v[54:55], v[56:57]
	v_add_f64 v[50:51], v[50:51], v[52:53]
	s_delay_alu instid0(VALU_DEP_1)
	v_cmp_lt_f64_e32 vcc_lo, v[50:51], v[54:55]
	v_cndmask_b32_e32 v31, v31, v49, vcc_lo
	v_dual_cndmask_b32 v29, v29, v47 :: v_dual_cndmask_b32 v28, v28, v46
	v_cndmask_b32_e32 v30, v30, v48, vcc_lo
	v_cndmask_b32_e64 v36, v36, s6, vcc_lo
	s_add_i32 s6, s6, 1
	s_delay_alu instid0(SALU_CYCLE_1)
	s_cmp_lg_u32 s5, s6
	s_cbranch_scc1 .LBB12_24
.LBB12_25:
	s_set_inst_prefetch_distance 0x2
	s_waitcnt lgkmcnt(0)
	v_cmp_neq_f64_e32 vcc_lo, 0, v[28:29]
	v_cmp_neq_f64_e64 s2, 0, v[30:31]
	s_delay_alu instid0(VALU_DEP_1) | instskip(NEXT) | instid1(SALU_CYCLE_1)
	s_or_b32 s2, vcc_lo, s2
	s_and_saveexec_b32 s3, s2
	s_cbranch_execz .LBB12_31
; %bb.26:
	v_cmp_gt_f64_e32 vcc_lo, 0, v[28:29]
	v_cmp_gt_f64_e64 s2, 0, v[30:31]
	v_xor_b32_e32 v37, 0x80000000, v29
	v_xor_b32_e32 v42, 0x80000000, v31
	s_delay_alu instid0(VALU_DEP_2) | instskip(NEXT) | instid1(VALU_DEP_2)
	v_dual_cndmask_b32 v47, v29, v37 :: v_dual_cndmask_b32 v46, v28, v28
	v_cndmask_b32_e64 v49, v31, v42, s2
	v_cndmask_b32_e64 v48, v30, v30, s2
	s_mov_b32 s2, exec_lo
	s_delay_alu instid0(VALU_DEP_1)
	v_cmpx_ngt_f64_e32 v[46:47], v[48:49]
	s_xor_b32 s2, exec_lo, s2
	s_cbranch_execz .LBB12_28
; %bb.27:
	v_div_scale_f64 v[46:47], null, v[30:31], v[30:31], v[28:29]
	v_div_scale_f64 v[52:53], vcc_lo, v[28:29], v[30:31], v[28:29]
	s_delay_alu instid0(VALU_DEP_2) | instskip(SKIP_2) | instid1(VALU_DEP_1)
	v_rcp_f64_e32 v[48:49], v[46:47]
	s_waitcnt_depctr 0xfff
	v_fma_f64 v[50:51], -v[46:47], v[48:49], 1.0
	v_fma_f64 v[48:49], v[48:49], v[50:51], v[48:49]
	s_delay_alu instid0(VALU_DEP_1) | instskip(NEXT) | instid1(VALU_DEP_1)
	v_fma_f64 v[50:51], -v[46:47], v[48:49], 1.0
	v_fma_f64 v[48:49], v[48:49], v[50:51], v[48:49]
	s_delay_alu instid0(VALU_DEP_1) | instskip(NEXT) | instid1(VALU_DEP_1)
	v_mul_f64 v[50:51], v[52:53], v[48:49]
	v_fma_f64 v[46:47], -v[46:47], v[50:51], v[52:53]
	s_delay_alu instid0(VALU_DEP_1) | instskip(NEXT) | instid1(VALU_DEP_1)
	v_div_fmas_f64 v[46:47], v[46:47], v[48:49], v[50:51]
	v_div_fixup_f64 v[46:47], v[46:47], v[30:31], v[28:29]
	s_delay_alu instid0(VALU_DEP_1) | instskip(NEXT) | instid1(VALU_DEP_1)
	v_fma_f64 v[28:29], v[28:29], v[46:47], v[30:31]
	v_div_scale_f64 v[30:31], null, v[28:29], v[28:29], 1.0
	s_delay_alu instid0(VALU_DEP_1) | instskip(SKIP_2) | instid1(VALU_DEP_1)
	v_rcp_f64_e32 v[48:49], v[30:31]
	s_waitcnt_depctr 0xfff
	v_fma_f64 v[50:51], -v[30:31], v[48:49], 1.0
	v_fma_f64 v[48:49], v[48:49], v[50:51], v[48:49]
	s_delay_alu instid0(VALU_DEP_1) | instskip(NEXT) | instid1(VALU_DEP_1)
	v_fma_f64 v[50:51], -v[30:31], v[48:49], 1.0
	v_fma_f64 v[48:49], v[48:49], v[50:51], v[48:49]
	v_div_scale_f64 v[50:51], vcc_lo, 1.0, v[28:29], 1.0
	s_delay_alu instid0(VALU_DEP_1) | instskip(NEXT) | instid1(VALU_DEP_1)
	v_mul_f64 v[52:53], v[50:51], v[48:49]
	v_fma_f64 v[30:31], -v[30:31], v[52:53], v[50:51]
	s_delay_alu instid0(VALU_DEP_1) | instskip(NEXT) | instid1(VALU_DEP_1)
	v_div_fmas_f64 v[30:31], v[30:31], v[48:49], v[52:53]
	v_div_fixup_f64 v[30:31], v[30:31], v[28:29], 1.0
	s_delay_alu instid0(VALU_DEP_1)
	v_mul_f64 v[28:29], v[46:47], v[30:31]
	v_xor_b32_e32 v31, 0x80000000, v31
.LBB12_28:
	s_and_not1_saveexec_b32 s2, s2
	s_cbranch_execz .LBB12_30
; %bb.29:
	s_delay_alu instid0(VALU_DEP_1) | instskip(SKIP_1) | instid1(VALU_DEP_2)
	v_div_scale_f64 v[46:47], null, v[28:29], v[28:29], v[30:31]
	v_div_scale_f64 v[52:53], vcc_lo, v[30:31], v[28:29], v[30:31]
	v_rcp_f64_e32 v[48:49], v[46:47]
	s_waitcnt_depctr 0xfff
	v_fma_f64 v[50:51], -v[46:47], v[48:49], 1.0
	s_delay_alu instid0(VALU_DEP_1) | instskip(NEXT) | instid1(VALU_DEP_1)
	v_fma_f64 v[48:49], v[48:49], v[50:51], v[48:49]
	v_fma_f64 v[50:51], -v[46:47], v[48:49], 1.0
	s_delay_alu instid0(VALU_DEP_1) | instskip(NEXT) | instid1(VALU_DEP_1)
	v_fma_f64 v[48:49], v[48:49], v[50:51], v[48:49]
	v_mul_f64 v[50:51], v[52:53], v[48:49]
	s_delay_alu instid0(VALU_DEP_1) | instskip(NEXT) | instid1(VALU_DEP_1)
	v_fma_f64 v[46:47], -v[46:47], v[50:51], v[52:53]
	v_div_fmas_f64 v[46:47], v[46:47], v[48:49], v[50:51]
	s_delay_alu instid0(VALU_DEP_1) | instskip(NEXT) | instid1(VALU_DEP_1)
	v_div_fixup_f64 v[46:47], v[46:47], v[28:29], v[30:31]
	v_fma_f64 v[28:29], v[30:31], v[46:47], v[28:29]
	s_delay_alu instid0(VALU_DEP_1) | instskip(NEXT) | instid1(VALU_DEP_1)
	v_div_scale_f64 v[30:31], null, v[28:29], v[28:29], 1.0
	v_rcp_f64_e32 v[48:49], v[30:31]
	s_waitcnt_depctr 0xfff
	v_fma_f64 v[50:51], -v[30:31], v[48:49], 1.0
	s_delay_alu instid0(VALU_DEP_1) | instskip(NEXT) | instid1(VALU_DEP_1)
	v_fma_f64 v[48:49], v[48:49], v[50:51], v[48:49]
	v_fma_f64 v[50:51], -v[30:31], v[48:49], 1.0
	s_delay_alu instid0(VALU_DEP_1) | instskip(SKIP_1) | instid1(VALU_DEP_1)
	v_fma_f64 v[48:49], v[48:49], v[50:51], v[48:49]
	v_div_scale_f64 v[50:51], vcc_lo, 1.0, v[28:29], 1.0
	v_mul_f64 v[52:53], v[50:51], v[48:49]
	s_delay_alu instid0(VALU_DEP_1) | instskip(NEXT) | instid1(VALU_DEP_1)
	v_fma_f64 v[30:31], -v[30:31], v[52:53], v[50:51]
	v_div_fmas_f64 v[30:31], v[30:31], v[48:49], v[52:53]
	s_delay_alu instid0(VALU_DEP_1) | instskip(NEXT) | instid1(VALU_DEP_1)
	v_div_fixup_f64 v[28:29], v[30:31], v[28:29], 1.0
	v_mul_f64 v[30:31], v[46:47], -v[28:29]
.LBB12_30:
	s_or_b32 exec_lo, exec_lo, s2
	v_mov_b32_e32 v42, v45
.LBB12_31:
	s_or_b32 exec_lo, exec_lo, s3
	s_delay_alu instid0(SALU_CYCLE_1)
	s_mov_b32 s2, exec_lo
	v_cmpx_ne_u32_e64 v44, v36
	s_xor_b32 s2, exec_lo, s2
	s_cbranch_execz .LBB12_37
; %bb.32:
	s_mov_b32 s3, exec_lo
	v_cmpx_eq_u32_e32 1, v44
	s_cbranch_execz .LBB12_36
; %bb.33:
	v_cmp_ne_u32_e32 vcc_lo, 1, v36
	s_xor_b32 s6, s4, -1
	s_delay_alu instid0(SALU_CYCLE_1) | instskip(NEXT) | instid1(SALU_CYCLE_1)
	s_and_b32 s7, s6, vcc_lo
	s_and_saveexec_b32 s6, s7
	s_cbranch_execz .LBB12_35
; %bb.34:
	v_ashrrev_i32_e32 v37, 31, v36
	s_delay_alu instid0(VALU_DEP_1) | instskip(NEXT) | instid1(VALU_DEP_1)
	v_lshlrev_b64 v[44:45], 2, v[36:37]
	v_add_co_u32 v44, vcc_lo, v34, v44
	s_delay_alu instid0(VALU_DEP_2)
	v_add_co_ci_u32_e32 v45, vcc_lo, v35, v45, vcc_lo
	s_clause 0x1
	flat_load_b32 v37, v[44:45]
	flat_load_b32 v41, v[34:35] offset:4
	s_waitcnt vmcnt(1) lgkmcnt(1)
	flat_store_b32 v[34:35], v37 offset:4
	s_waitcnt vmcnt(0) lgkmcnt(1)
	flat_store_b32 v[44:45], v41
.LBB12_35:
	s_or_b32 exec_lo, exec_lo, s6
	v_mov_b32_e32 v44, v36
	v_mov_b32_e32 v41, v36
.LBB12_36:
	s_or_b32 exec_lo, exec_lo, s3
.LBB12_37:
	s_and_not1_saveexec_b32 s2, s2
	s_cbranch_execz .LBB12_39
; %bb.38:
	v_mov_b32_e32 v44, 1
	ds_store_2addr_b64 v38, v[16:17], v[18:19] offset0:4 offset1:5
	ds_store_2addr_b64 v38, v[12:13], v[14:15] offset0:6 offset1:7
	;; [unrolled: 1-line block ×5, first 2 shown]
.LBB12_39:
	s_or_b32 exec_lo, exec_lo, s2
	s_delay_alu instid0(SALU_CYCLE_1)
	s_mov_b32 s2, exec_lo
	s_waitcnt lgkmcnt(0)
	s_waitcnt_vscnt null, 0x0
	s_barrier
	buffer_gl0_inv
	v_cmpx_lt_i32_e32 1, v44
	s_cbranch_execz .LBB12_41
; %bb.40:
	v_mul_f64 v[36:37], v[28:29], v[26:27]
	v_mul_f64 v[26:27], v[30:31], v[26:27]
	ds_load_2addr_b64 v[45:48], v38 offset0:4 offset1:5
	ds_load_2addr_b64 v[49:52], v38 offset0:6 offset1:7
	;; [unrolled: 1-line block ×5, first 2 shown]
	v_fma_f64 v[30:31], v[30:31], v[24:25], v[36:37]
	v_fma_f64 v[24:25], v[28:29], v[24:25], -v[26:27]
	s_waitcnt lgkmcnt(4)
	s_delay_alu instid0(VALU_DEP_2)
	v_mul_f64 v[26:27], v[47:48], v[30:31]
	v_mul_f64 v[28:29], v[45:46], v[30:31]
	s_waitcnt lgkmcnt(3)
	v_mul_f64 v[36:37], v[51:52], v[30:31]
	v_mul_f64 v[65:66], v[49:50], v[30:31]
	s_waitcnt lgkmcnt(2)
	;; [unrolled: 3-line block ×4, first 2 shown]
	v_mul_f64 v[75:76], v[63:64], v[30:31]
	v_mul_f64 v[77:78], v[61:62], v[30:31]
	v_fma_f64 v[26:27], v[45:46], v[24:25], -v[26:27]
	v_fma_f64 v[28:29], v[47:48], v[24:25], v[28:29]
	v_fma_f64 v[36:37], v[49:50], v[24:25], -v[36:37]
	v_fma_f64 v[45:46], v[51:52], v[24:25], v[65:66]
	;; [unrolled: 2-line block ×5, first 2 shown]
	v_add_f64 v[16:17], v[16:17], -v[26:27]
	v_add_f64 v[18:19], v[18:19], -v[28:29]
	;; [unrolled: 1-line block ×10, first 2 shown]
	v_dual_mov_b32 v26, v30 :: v_dual_mov_b32 v27, v31
.LBB12_41:
	s_or_b32 exec_lo, exec_lo, s2
	v_lshl_add_u32 v28, v44, 4, v38
	s_barrier
	buffer_gl0_inv
	v_mov_b32_e32 v36, 2
	ds_store_2addr_b64 v28, v[16:17], v[18:19] offset1:1
	s_waitcnt lgkmcnt(0)
	s_barrier
	buffer_gl0_inv
	ds_load_2addr_b64 v[28:31], v38 offset0:4 offset1:5
	s_cmp_lt_i32 s5, 4
	s_cbranch_scc1 .LBB12_44
; %bb.42:
	v_add3_u32 v37, v43, 0, 48
	v_mov_b32_e32 v36, 2
	s_mov_b32 s6, 3
	s_set_inst_prefetch_distance 0x1
	.p2align	6
.LBB12_43:                              ; =>This Inner Loop Header: Depth=1
	ds_load_2addr_b64 v[45:48], v37 offset1:1
	s_waitcnt lgkmcnt(1)
	v_cmp_gt_f64_e32 vcc_lo, 0, v[28:29]
	v_xor_b32_e32 v49, 0x80000000, v29
	v_cmp_gt_f64_e64 s2, 0, v[30:31]
	v_xor_b32_e32 v51, 0x80000000, v31
	v_add_nc_u32_e32 v37, 16, v37
	s_waitcnt lgkmcnt(0)
	v_cmp_gt_f64_e64 s3, 0, v[45:46]
	v_mov_b32_e32 v53, v45
	v_dual_mov_b32 v55, v47 :: v_dual_cndmask_b32 v50, v29, v49
	v_xor_b32_e32 v49, 0x80000000, v46
	v_cndmask_b32_e64 v52, v31, v51, s2
	v_xor_b32_e32 v51, 0x80000000, v48
	s_delay_alu instid0(VALU_DEP_3) | instskip(SKIP_2) | instid1(VALU_DEP_2)
	v_cndmask_b32_e64 v54, v46, v49, s3
	v_cmp_gt_f64_e64 s3, 0, v[47:48]
	v_cndmask_b32_e32 v49, v28, v28, vcc_lo
	v_cndmask_b32_e64 v56, v48, v51, s3
	v_cndmask_b32_e64 v51, v30, v30, s2
	s_delay_alu instid0(VALU_DEP_2) | instskip(NEXT) | instid1(VALU_DEP_2)
	v_add_f64 v[53:54], v[53:54], v[55:56]
	v_add_f64 v[49:50], v[49:50], v[51:52]
	s_delay_alu instid0(VALU_DEP_1) | instskip(SKIP_4) | instid1(SALU_CYCLE_1)
	v_cmp_lt_f64_e32 vcc_lo, v[49:50], v[53:54]
	v_dual_cndmask_b32 v30, v30, v47 :: v_dual_cndmask_b32 v29, v29, v46
	v_dual_cndmask_b32 v28, v28, v45 :: v_dual_cndmask_b32 v31, v31, v48
	v_cndmask_b32_e64 v36, v36, s6, vcc_lo
	s_add_i32 s6, s6, 1
	s_cmp_lg_u32 s5, s6
	s_cbranch_scc1 .LBB12_43
.LBB12_44:
	s_set_inst_prefetch_distance 0x2
	s_waitcnt lgkmcnt(0)
	v_cmp_eq_f64_e32 vcc_lo, 0, v[28:29]
	v_cmp_eq_f64_e64 s2, 0, v[30:31]
	s_delay_alu instid0(VALU_DEP_1) | instskip(NEXT) | instid1(SALU_CYCLE_1)
	s_and_b32 s2, vcc_lo, s2
	s_and_saveexec_b32 s3, s2
	s_delay_alu instid0(SALU_CYCLE_1)
	s_xor_b32 s2, exec_lo, s3
; %bb.45:
	v_cmp_ne_u32_e32 vcc_lo, 0, v42
	v_cndmask_b32_e32 v42, 3, v42, vcc_lo
; %bb.46:
	s_and_not1_saveexec_b32 s3, s2
	s_cbranch_execz .LBB12_52
; %bb.47:
	v_cmp_gt_f64_e32 vcc_lo, 0, v[28:29]
	v_cmp_gt_f64_e64 s2, 0, v[30:31]
	v_xor_b32_e32 v37, 0x80000000, v29
	v_xor_b32_e32 v45, 0x80000000, v31
	s_delay_alu instid0(VALU_DEP_2) | instskip(NEXT) | instid1(VALU_DEP_2)
	v_cndmask_b32_e32 v46, v29, v37, vcc_lo
	v_cndmask_b32_e64 v48, v31, v45, s2
	v_cndmask_b32_e32 v45, v28, v28, vcc_lo
	v_cndmask_b32_e64 v47, v30, v30, s2
	s_mov_b32 s2, exec_lo
	s_delay_alu instid0(VALU_DEP_1)
	v_cmpx_ngt_f64_e32 v[45:46], v[47:48]
	s_xor_b32 s2, exec_lo, s2
	s_cbranch_execz .LBB12_49
; %bb.48:
	v_div_scale_f64 v[45:46], null, v[30:31], v[30:31], v[28:29]
	v_div_scale_f64 v[51:52], vcc_lo, v[28:29], v[30:31], v[28:29]
	s_delay_alu instid0(VALU_DEP_2) | instskip(SKIP_2) | instid1(VALU_DEP_1)
	v_rcp_f64_e32 v[47:48], v[45:46]
	s_waitcnt_depctr 0xfff
	v_fma_f64 v[49:50], -v[45:46], v[47:48], 1.0
	v_fma_f64 v[47:48], v[47:48], v[49:50], v[47:48]
	s_delay_alu instid0(VALU_DEP_1) | instskip(NEXT) | instid1(VALU_DEP_1)
	v_fma_f64 v[49:50], -v[45:46], v[47:48], 1.0
	v_fma_f64 v[47:48], v[47:48], v[49:50], v[47:48]
	s_delay_alu instid0(VALU_DEP_1) | instskip(NEXT) | instid1(VALU_DEP_1)
	v_mul_f64 v[49:50], v[51:52], v[47:48]
	v_fma_f64 v[45:46], -v[45:46], v[49:50], v[51:52]
	s_delay_alu instid0(VALU_DEP_1) | instskip(NEXT) | instid1(VALU_DEP_1)
	v_div_fmas_f64 v[45:46], v[45:46], v[47:48], v[49:50]
	v_div_fixup_f64 v[45:46], v[45:46], v[30:31], v[28:29]
	s_delay_alu instid0(VALU_DEP_1) | instskip(NEXT) | instid1(VALU_DEP_1)
	v_fma_f64 v[28:29], v[28:29], v[45:46], v[30:31]
	v_div_scale_f64 v[30:31], null, v[28:29], v[28:29], 1.0
	s_delay_alu instid0(VALU_DEP_1) | instskip(SKIP_2) | instid1(VALU_DEP_1)
	v_rcp_f64_e32 v[47:48], v[30:31]
	s_waitcnt_depctr 0xfff
	v_fma_f64 v[49:50], -v[30:31], v[47:48], 1.0
	v_fma_f64 v[47:48], v[47:48], v[49:50], v[47:48]
	s_delay_alu instid0(VALU_DEP_1) | instskip(NEXT) | instid1(VALU_DEP_1)
	v_fma_f64 v[49:50], -v[30:31], v[47:48], 1.0
	v_fma_f64 v[47:48], v[47:48], v[49:50], v[47:48]
	v_div_scale_f64 v[49:50], vcc_lo, 1.0, v[28:29], 1.0
	s_delay_alu instid0(VALU_DEP_1) | instskip(NEXT) | instid1(VALU_DEP_1)
	v_mul_f64 v[51:52], v[49:50], v[47:48]
	v_fma_f64 v[30:31], -v[30:31], v[51:52], v[49:50]
	s_delay_alu instid0(VALU_DEP_1) | instskip(NEXT) | instid1(VALU_DEP_1)
	v_div_fmas_f64 v[30:31], v[30:31], v[47:48], v[51:52]
	v_div_fixup_f64 v[30:31], v[30:31], v[28:29], 1.0
	s_delay_alu instid0(VALU_DEP_1)
	v_mul_f64 v[28:29], v[45:46], v[30:31]
	v_xor_b32_e32 v31, 0x80000000, v31
.LBB12_49:
	s_and_not1_saveexec_b32 s2, s2
	s_cbranch_execz .LBB12_51
; %bb.50:
	s_delay_alu instid0(VALU_DEP_1) | instskip(SKIP_1) | instid1(VALU_DEP_2)
	v_div_scale_f64 v[45:46], null, v[28:29], v[28:29], v[30:31]
	v_div_scale_f64 v[51:52], vcc_lo, v[30:31], v[28:29], v[30:31]
	v_rcp_f64_e32 v[47:48], v[45:46]
	s_waitcnt_depctr 0xfff
	v_fma_f64 v[49:50], -v[45:46], v[47:48], 1.0
	s_delay_alu instid0(VALU_DEP_1) | instskip(NEXT) | instid1(VALU_DEP_1)
	v_fma_f64 v[47:48], v[47:48], v[49:50], v[47:48]
	v_fma_f64 v[49:50], -v[45:46], v[47:48], 1.0
	s_delay_alu instid0(VALU_DEP_1) | instskip(NEXT) | instid1(VALU_DEP_1)
	v_fma_f64 v[47:48], v[47:48], v[49:50], v[47:48]
	v_mul_f64 v[49:50], v[51:52], v[47:48]
	s_delay_alu instid0(VALU_DEP_1) | instskip(NEXT) | instid1(VALU_DEP_1)
	v_fma_f64 v[45:46], -v[45:46], v[49:50], v[51:52]
	v_div_fmas_f64 v[45:46], v[45:46], v[47:48], v[49:50]
	s_delay_alu instid0(VALU_DEP_1) | instskip(NEXT) | instid1(VALU_DEP_1)
	v_div_fixup_f64 v[45:46], v[45:46], v[28:29], v[30:31]
	v_fma_f64 v[28:29], v[30:31], v[45:46], v[28:29]
	s_delay_alu instid0(VALU_DEP_1) | instskip(NEXT) | instid1(VALU_DEP_1)
	v_div_scale_f64 v[30:31], null, v[28:29], v[28:29], 1.0
	v_rcp_f64_e32 v[47:48], v[30:31]
	s_waitcnt_depctr 0xfff
	v_fma_f64 v[49:50], -v[30:31], v[47:48], 1.0
	s_delay_alu instid0(VALU_DEP_1) | instskip(NEXT) | instid1(VALU_DEP_1)
	v_fma_f64 v[47:48], v[47:48], v[49:50], v[47:48]
	v_fma_f64 v[49:50], -v[30:31], v[47:48], 1.0
	s_delay_alu instid0(VALU_DEP_1) | instskip(SKIP_1) | instid1(VALU_DEP_1)
	v_fma_f64 v[47:48], v[47:48], v[49:50], v[47:48]
	v_div_scale_f64 v[49:50], vcc_lo, 1.0, v[28:29], 1.0
	v_mul_f64 v[51:52], v[49:50], v[47:48]
	s_delay_alu instid0(VALU_DEP_1) | instskip(NEXT) | instid1(VALU_DEP_1)
	v_fma_f64 v[30:31], -v[30:31], v[51:52], v[49:50]
	v_div_fmas_f64 v[30:31], v[30:31], v[47:48], v[51:52]
	s_delay_alu instid0(VALU_DEP_1) | instskip(NEXT) | instid1(VALU_DEP_1)
	v_div_fixup_f64 v[28:29], v[30:31], v[28:29], 1.0
	v_mul_f64 v[30:31], v[45:46], -v[28:29]
.LBB12_51:
	s_or_b32 exec_lo, exec_lo, s2
.LBB12_52:
	s_delay_alu instid0(SALU_CYCLE_1) | instskip(NEXT) | instid1(SALU_CYCLE_1)
	s_or_b32 exec_lo, exec_lo, s3
	s_mov_b32 s2, exec_lo
	v_cmpx_ne_u32_e64 v44, v36
	s_xor_b32 s2, exec_lo, s2
	s_cbranch_execz .LBB12_58
; %bb.53:
	s_mov_b32 s3, exec_lo
	v_cmpx_eq_u32_e32 2, v44
	s_cbranch_execz .LBB12_57
; %bb.54:
	v_cmp_ne_u32_e32 vcc_lo, 2, v36
	s_xor_b32 s6, s4, -1
	s_delay_alu instid0(SALU_CYCLE_1) | instskip(NEXT) | instid1(SALU_CYCLE_1)
	s_and_b32 s7, s6, vcc_lo
	s_and_saveexec_b32 s6, s7
	s_cbranch_execz .LBB12_56
; %bb.55:
	v_ashrrev_i32_e32 v37, 31, v36
	s_delay_alu instid0(VALU_DEP_1) | instskip(NEXT) | instid1(VALU_DEP_1)
	v_lshlrev_b64 v[44:45], 2, v[36:37]
	v_add_co_u32 v44, vcc_lo, v34, v44
	s_delay_alu instid0(VALU_DEP_2)
	v_add_co_ci_u32_e32 v45, vcc_lo, v35, v45, vcc_lo
	s_clause 0x1
	flat_load_b32 v37, v[44:45]
	flat_load_b32 v41, v[34:35] offset:8
	s_waitcnt vmcnt(1) lgkmcnt(1)
	flat_store_b32 v[34:35], v37 offset:8
	s_waitcnt vmcnt(0) lgkmcnt(1)
	flat_store_b32 v[44:45], v41
.LBB12_56:
	s_or_b32 exec_lo, exec_lo, s6
	v_mov_b32_e32 v44, v36
	v_mov_b32_e32 v41, v36
.LBB12_57:
	s_or_b32 exec_lo, exec_lo, s3
.LBB12_58:
	s_and_not1_saveexec_b32 s2, s2
	s_cbranch_execz .LBB12_60
; %bb.59:
	v_mov_b32_e32 v44, 2
	ds_store_2addr_b64 v38, v[12:13], v[14:15] offset0:6 offset1:7
	ds_store_2addr_b64 v38, v[8:9], v[10:11] offset0:8 offset1:9
	;; [unrolled: 1-line block ×4, first 2 shown]
.LBB12_60:
	s_or_b32 exec_lo, exec_lo, s2
	s_delay_alu instid0(SALU_CYCLE_1)
	s_mov_b32 s2, exec_lo
	s_waitcnt lgkmcnt(0)
	s_waitcnt_vscnt null, 0x0
	s_barrier
	buffer_gl0_inv
	v_cmpx_lt_i32_e32 2, v44
	s_cbranch_execz .LBB12_62
; %bb.61:
	v_mul_f64 v[36:37], v[28:29], v[18:19]
	v_mul_f64 v[18:19], v[30:31], v[18:19]
	ds_load_2addr_b64 v[45:48], v38 offset0:6 offset1:7
	ds_load_2addr_b64 v[49:52], v38 offset0:8 offset1:9
	;; [unrolled: 1-line block ×4, first 2 shown]
	v_fma_f64 v[30:31], v[30:31], v[16:17], v[36:37]
	v_fma_f64 v[16:17], v[28:29], v[16:17], -v[18:19]
	s_waitcnt lgkmcnt(3)
	s_delay_alu instid0(VALU_DEP_2)
	v_mul_f64 v[18:19], v[47:48], v[30:31]
	v_mul_f64 v[28:29], v[45:46], v[30:31]
	s_waitcnt lgkmcnt(2)
	v_mul_f64 v[36:37], v[51:52], v[30:31]
	v_mul_f64 v[61:62], v[49:50], v[30:31]
	s_waitcnt lgkmcnt(1)
	;; [unrolled: 3-line block ×3, first 2 shown]
	v_mul_f64 v[67:68], v[59:60], v[30:31]
	v_mul_f64 v[69:70], v[57:58], v[30:31]
	v_fma_f64 v[18:19], v[45:46], v[16:17], -v[18:19]
	v_fma_f64 v[28:29], v[47:48], v[16:17], v[28:29]
	v_fma_f64 v[36:37], v[49:50], v[16:17], -v[36:37]
	v_fma_f64 v[45:46], v[51:52], v[16:17], v[61:62]
	;; [unrolled: 2-line block ×4, first 2 shown]
	v_add_f64 v[12:13], v[12:13], -v[18:19]
	v_add_f64 v[14:15], v[14:15], -v[28:29]
	v_add_f64 v[8:9], v[8:9], -v[36:37]
	v_add_f64 v[10:11], v[10:11], -v[45:46]
	v_add_f64 v[4:5], v[4:5], -v[47:48]
	v_add_f64 v[6:7], v[6:7], -v[49:50]
	v_add_f64 v[0:1], v[0:1], -v[51:52]
	v_add_f64 v[2:3], v[2:3], -v[53:54]
	v_dual_mov_b32 v18, v30 :: v_dual_mov_b32 v19, v31
.LBB12_62:
	s_or_b32 exec_lo, exec_lo, s2
	v_lshl_add_u32 v28, v44, 4, v38
	s_barrier
	buffer_gl0_inv
	v_mov_b32_e32 v36, 3
	ds_store_2addr_b64 v28, v[12:13], v[14:15] offset1:1
	s_waitcnt lgkmcnt(0)
	s_barrier
	buffer_gl0_inv
	ds_load_2addr_b64 v[28:31], v38 offset0:6 offset1:7
	s_cmp_lt_i32 s5, 5
	s_mov_b32 s6, 4
	s_cbranch_scc1 .LBB12_65
; %bb.63:
	v_add3_u32 v37, v43, 0, 64
	v_mov_b32_e32 v36, 3
	s_set_inst_prefetch_distance 0x1
	.p2align	6
.LBB12_64:                              ; =>This Inner Loop Header: Depth=1
	ds_load_2addr_b64 v[45:48], v37 offset1:1
	s_waitcnt lgkmcnt(1)
	v_cmp_gt_f64_e32 vcc_lo, 0, v[28:29]
	v_xor_b32_e32 v49, 0x80000000, v29
	v_cmp_gt_f64_e64 s2, 0, v[30:31]
	v_xor_b32_e32 v51, 0x80000000, v31
	v_add_nc_u32_e32 v37, 16, v37
	s_waitcnt lgkmcnt(0)
	v_cmp_gt_f64_e64 s3, 0, v[45:46]
	v_mov_b32_e32 v53, v45
	v_dual_mov_b32 v55, v47 :: v_dual_cndmask_b32 v50, v29, v49
	v_xor_b32_e32 v49, 0x80000000, v46
	v_cndmask_b32_e64 v52, v31, v51, s2
	v_xor_b32_e32 v51, 0x80000000, v48
	s_delay_alu instid0(VALU_DEP_3) | instskip(SKIP_2) | instid1(VALU_DEP_2)
	v_cndmask_b32_e64 v54, v46, v49, s3
	v_cmp_gt_f64_e64 s3, 0, v[47:48]
	v_cndmask_b32_e32 v49, v28, v28, vcc_lo
	v_cndmask_b32_e64 v56, v48, v51, s3
	v_cndmask_b32_e64 v51, v30, v30, s2
	s_delay_alu instid0(VALU_DEP_2) | instskip(NEXT) | instid1(VALU_DEP_2)
	v_add_f64 v[53:54], v[53:54], v[55:56]
	v_add_f64 v[49:50], v[49:50], v[51:52]
	s_delay_alu instid0(VALU_DEP_1) | instskip(SKIP_4) | instid1(SALU_CYCLE_1)
	v_cmp_lt_f64_e32 vcc_lo, v[49:50], v[53:54]
	v_dual_cndmask_b32 v30, v30, v47 :: v_dual_cndmask_b32 v29, v29, v46
	v_dual_cndmask_b32 v28, v28, v45 :: v_dual_cndmask_b32 v31, v31, v48
	v_cndmask_b32_e64 v36, v36, s6, vcc_lo
	s_add_i32 s6, s6, 1
	s_cmp_lg_u32 s5, s6
	s_cbranch_scc1 .LBB12_64
.LBB12_65:
	s_set_inst_prefetch_distance 0x2
	s_waitcnt lgkmcnt(0)
	v_cmp_eq_f64_e32 vcc_lo, 0, v[28:29]
	v_cmp_eq_f64_e64 s2, 0, v[30:31]
	s_delay_alu instid0(VALU_DEP_1) | instskip(NEXT) | instid1(SALU_CYCLE_1)
	s_and_b32 s2, vcc_lo, s2
	s_and_saveexec_b32 s3, s2
	s_delay_alu instid0(SALU_CYCLE_1)
	s_xor_b32 s2, exec_lo, s3
; %bb.66:
	v_cmp_ne_u32_e32 vcc_lo, 0, v42
	v_cndmask_b32_e32 v42, 4, v42, vcc_lo
; %bb.67:
	s_and_not1_saveexec_b32 s3, s2
	s_cbranch_execz .LBB12_73
; %bb.68:
	v_cmp_gt_f64_e32 vcc_lo, 0, v[28:29]
	v_cmp_gt_f64_e64 s2, 0, v[30:31]
	v_xor_b32_e32 v37, 0x80000000, v29
	v_xor_b32_e32 v45, 0x80000000, v31
	s_delay_alu instid0(VALU_DEP_2) | instskip(NEXT) | instid1(VALU_DEP_2)
	v_cndmask_b32_e32 v46, v29, v37, vcc_lo
	v_cndmask_b32_e64 v48, v31, v45, s2
	v_cndmask_b32_e32 v45, v28, v28, vcc_lo
	v_cndmask_b32_e64 v47, v30, v30, s2
	s_mov_b32 s2, exec_lo
	s_delay_alu instid0(VALU_DEP_1)
	v_cmpx_ngt_f64_e32 v[45:46], v[47:48]
	s_xor_b32 s2, exec_lo, s2
	s_cbranch_execz .LBB12_70
; %bb.69:
	v_div_scale_f64 v[45:46], null, v[30:31], v[30:31], v[28:29]
	v_div_scale_f64 v[51:52], vcc_lo, v[28:29], v[30:31], v[28:29]
	s_delay_alu instid0(VALU_DEP_2) | instskip(SKIP_2) | instid1(VALU_DEP_1)
	v_rcp_f64_e32 v[47:48], v[45:46]
	s_waitcnt_depctr 0xfff
	v_fma_f64 v[49:50], -v[45:46], v[47:48], 1.0
	v_fma_f64 v[47:48], v[47:48], v[49:50], v[47:48]
	s_delay_alu instid0(VALU_DEP_1) | instskip(NEXT) | instid1(VALU_DEP_1)
	v_fma_f64 v[49:50], -v[45:46], v[47:48], 1.0
	v_fma_f64 v[47:48], v[47:48], v[49:50], v[47:48]
	s_delay_alu instid0(VALU_DEP_1) | instskip(NEXT) | instid1(VALU_DEP_1)
	v_mul_f64 v[49:50], v[51:52], v[47:48]
	v_fma_f64 v[45:46], -v[45:46], v[49:50], v[51:52]
	s_delay_alu instid0(VALU_DEP_1) | instskip(NEXT) | instid1(VALU_DEP_1)
	v_div_fmas_f64 v[45:46], v[45:46], v[47:48], v[49:50]
	v_div_fixup_f64 v[45:46], v[45:46], v[30:31], v[28:29]
	s_delay_alu instid0(VALU_DEP_1) | instskip(NEXT) | instid1(VALU_DEP_1)
	v_fma_f64 v[28:29], v[28:29], v[45:46], v[30:31]
	v_div_scale_f64 v[30:31], null, v[28:29], v[28:29], 1.0
	s_delay_alu instid0(VALU_DEP_1) | instskip(SKIP_2) | instid1(VALU_DEP_1)
	v_rcp_f64_e32 v[47:48], v[30:31]
	s_waitcnt_depctr 0xfff
	v_fma_f64 v[49:50], -v[30:31], v[47:48], 1.0
	v_fma_f64 v[47:48], v[47:48], v[49:50], v[47:48]
	s_delay_alu instid0(VALU_DEP_1) | instskip(NEXT) | instid1(VALU_DEP_1)
	v_fma_f64 v[49:50], -v[30:31], v[47:48], 1.0
	v_fma_f64 v[47:48], v[47:48], v[49:50], v[47:48]
	v_div_scale_f64 v[49:50], vcc_lo, 1.0, v[28:29], 1.0
	s_delay_alu instid0(VALU_DEP_1) | instskip(NEXT) | instid1(VALU_DEP_1)
	v_mul_f64 v[51:52], v[49:50], v[47:48]
	v_fma_f64 v[30:31], -v[30:31], v[51:52], v[49:50]
	s_delay_alu instid0(VALU_DEP_1) | instskip(NEXT) | instid1(VALU_DEP_1)
	v_div_fmas_f64 v[30:31], v[30:31], v[47:48], v[51:52]
	v_div_fixup_f64 v[30:31], v[30:31], v[28:29], 1.0
	s_delay_alu instid0(VALU_DEP_1)
	v_mul_f64 v[28:29], v[45:46], v[30:31]
	v_xor_b32_e32 v31, 0x80000000, v31
.LBB12_70:
	s_and_not1_saveexec_b32 s2, s2
	s_cbranch_execz .LBB12_72
; %bb.71:
	s_delay_alu instid0(VALU_DEP_1) | instskip(SKIP_1) | instid1(VALU_DEP_2)
	v_div_scale_f64 v[45:46], null, v[28:29], v[28:29], v[30:31]
	v_div_scale_f64 v[51:52], vcc_lo, v[30:31], v[28:29], v[30:31]
	v_rcp_f64_e32 v[47:48], v[45:46]
	s_waitcnt_depctr 0xfff
	v_fma_f64 v[49:50], -v[45:46], v[47:48], 1.0
	s_delay_alu instid0(VALU_DEP_1) | instskip(NEXT) | instid1(VALU_DEP_1)
	v_fma_f64 v[47:48], v[47:48], v[49:50], v[47:48]
	v_fma_f64 v[49:50], -v[45:46], v[47:48], 1.0
	s_delay_alu instid0(VALU_DEP_1) | instskip(NEXT) | instid1(VALU_DEP_1)
	v_fma_f64 v[47:48], v[47:48], v[49:50], v[47:48]
	v_mul_f64 v[49:50], v[51:52], v[47:48]
	s_delay_alu instid0(VALU_DEP_1) | instskip(NEXT) | instid1(VALU_DEP_1)
	v_fma_f64 v[45:46], -v[45:46], v[49:50], v[51:52]
	v_div_fmas_f64 v[45:46], v[45:46], v[47:48], v[49:50]
	s_delay_alu instid0(VALU_DEP_1) | instskip(NEXT) | instid1(VALU_DEP_1)
	v_div_fixup_f64 v[45:46], v[45:46], v[28:29], v[30:31]
	v_fma_f64 v[28:29], v[30:31], v[45:46], v[28:29]
	s_delay_alu instid0(VALU_DEP_1) | instskip(NEXT) | instid1(VALU_DEP_1)
	v_div_scale_f64 v[30:31], null, v[28:29], v[28:29], 1.0
	v_rcp_f64_e32 v[47:48], v[30:31]
	s_waitcnt_depctr 0xfff
	v_fma_f64 v[49:50], -v[30:31], v[47:48], 1.0
	s_delay_alu instid0(VALU_DEP_1) | instskip(NEXT) | instid1(VALU_DEP_1)
	v_fma_f64 v[47:48], v[47:48], v[49:50], v[47:48]
	v_fma_f64 v[49:50], -v[30:31], v[47:48], 1.0
	s_delay_alu instid0(VALU_DEP_1) | instskip(SKIP_1) | instid1(VALU_DEP_1)
	v_fma_f64 v[47:48], v[47:48], v[49:50], v[47:48]
	v_div_scale_f64 v[49:50], vcc_lo, 1.0, v[28:29], 1.0
	v_mul_f64 v[51:52], v[49:50], v[47:48]
	s_delay_alu instid0(VALU_DEP_1) | instskip(NEXT) | instid1(VALU_DEP_1)
	v_fma_f64 v[30:31], -v[30:31], v[51:52], v[49:50]
	v_div_fmas_f64 v[30:31], v[30:31], v[47:48], v[51:52]
	s_delay_alu instid0(VALU_DEP_1) | instskip(NEXT) | instid1(VALU_DEP_1)
	v_div_fixup_f64 v[28:29], v[30:31], v[28:29], 1.0
	v_mul_f64 v[30:31], v[45:46], -v[28:29]
.LBB12_72:
	s_or_b32 exec_lo, exec_lo, s2
.LBB12_73:
	s_delay_alu instid0(SALU_CYCLE_1) | instskip(NEXT) | instid1(SALU_CYCLE_1)
	s_or_b32 exec_lo, exec_lo, s3
	s_mov_b32 s2, exec_lo
	v_cmpx_ne_u32_e64 v44, v36
	s_xor_b32 s2, exec_lo, s2
	s_cbranch_execz .LBB12_79
; %bb.74:
	s_mov_b32 s3, exec_lo
	v_cmpx_eq_u32_e32 3, v44
	s_cbranch_execz .LBB12_78
; %bb.75:
	v_cmp_ne_u32_e32 vcc_lo, 3, v36
	s_xor_b32 s6, s4, -1
	s_delay_alu instid0(SALU_CYCLE_1) | instskip(NEXT) | instid1(SALU_CYCLE_1)
	s_and_b32 s7, s6, vcc_lo
	s_and_saveexec_b32 s6, s7
	s_cbranch_execz .LBB12_77
; %bb.76:
	v_ashrrev_i32_e32 v37, 31, v36
	s_delay_alu instid0(VALU_DEP_1) | instskip(NEXT) | instid1(VALU_DEP_1)
	v_lshlrev_b64 v[44:45], 2, v[36:37]
	v_add_co_u32 v44, vcc_lo, v34, v44
	s_delay_alu instid0(VALU_DEP_2)
	v_add_co_ci_u32_e32 v45, vcc_lo, v35, v45, vcc_lo
	s_clause 0x1
	flat_load_b32 v37, v[44:45]
	flat_load_b32 v41, v[34:35] offset:12
	s_waitcnt vmcnt(1) lgkmcnt(1)
	flat_store_b32 v[34:35], v37 offset:12
	s_waitcnt vmcnt(0) lgkmcnt(1)
	flat_store_b32 v[44:45], v41
.LBB12_77:
	s_or_b32 exec_lo, exec_lo, s6
	v_mov_b32_e32 v44, v36
	v_mov_b32_e32 v41, v36
.LBB12_78:
	s_or_b32 exec_lo, exec_lo, s3
.LBB12_79:
	s_and_not1_saveexec_b32 s2, s2
	s_cbranch_execz .LBB12_81
; %bb.80:
	v_mov_b32_e32 v44, 3
	ds_store_2addr_b64 v38, v[8:9], v[10:11] offset0:8 offset1:9
	ds_store_2addr_b64 v38, v[4:5], v[6:7] offset0:10 offset1:11
	;; [unrolled: 1-line block ×3, first 2 shown]
.LBB12_81:
	s_or_b32 exec_lo, exec_lo, s2
	s_delay_alu instid0(SALU_CYCLE_1)
	s_mov_b32 s2, exec_lo
	s_waitcnt lgkmcnt(0)
	s_waitcnt_vscnt null, 0x0
	s_barrier
	buffer_gl0_inv
	v_cmpx_lt_i32_e32 3, v44
	s_cbranch_execz .LBB12_83
; %bb.82:
	v_mul_f64 v[36:37], v[28:29], v[14:15]
	v_mul_f64 v[14:15], v[30:31], v[14:15]
	ds_load_2addr_b64 v[45:48], v38 offset0:8 offset1:9
	ds_load_2addr_b64 v[49:52], v38 offset0:10 offset1:11
	;; [unrolled: 1-line block ×3, first 2 shown]
	v_fma_f64 v[30:31], v[30:31], v[12:13], v[36:37]
	v_fma_f64 v[12:13], v[28:29], v[12:13], -v[14:15]
	s_waitcnt lgkmcnt(2)
	s_delay_alu instid0(VALU_DEP_2)
	v_mul_f64 v[14:15], v[47:48], v[30:31]
	v_mul_f64 v[28:29], v[45:46], v[30:31]
	s_waitcnt lgkmcnt(1)
	v_mul_f64 v[36:37], v[51:52], v[30:31]
	v_mul_f64 v[57:58], v[49:50], v[30:31]
	s_waitcnt lgkmcnt(0)
	v_mul_f64 v[59:60], v[55:56], v[30:31]
	v_mul_f64 v[61:62], v[53:54], v[30:31]
	v_fma_f64 v[14:15], v[45:46], v[12:13], -v[14:15]
	v_fma_f64 v[28:29], v[47:48], v[12:13], v[28:29]
	v_fma_f64 v[36:37], v[49:50], v[12:13], -v[36:37]
	v_fma_f64 v[45:46], v[51:52], v[12:13], v[57:58]
	;; [unrolled: 2-line block ×3, first 2 shown]
	v_add_f64 v[8:9], v[8:9], -v[14:15]
	v_add_f64 v[10:11], v[10:11], -v[28:29]
	;; [unrolled: 1-line block ×6, first 2 shown]
	v_dual_mov_b32 v14, v30 :: v_dual_mov_b32 v15, v31
.LBB12_83:
	s_or_b32 exec_lo, exec_lo, s2
	v_lshl_add_u32 v28, v44, 4, v38
	s_barrier
	buffer_gl0_inv
	v_mov_b32_e32 v36, 4
	ds_store_2addr_b64 v28, v[8:9], v[10:11] offset1:1
	s_waitcnt lgkmcnt(0)
	s_barrier
	buffer_gl0_inv
	ds_load_2addr_b64 v[28:31], v38 offset0:8 offset1:9
	s_cmp_lt_i32 s5, 6
	s_cbranch_scc1 .LBB12_86
; %bb.84:
	v_add3_u32 v37, v43, 0, 0x50
	v_mov_b32_e32 v36, 4
	s_mov_b32 s6, 5
	s_set_inst_prefetch_distance 0x1
	.p2align	6
.LBB12_85:                              ; =>This Inner Loop Header: Depth=1
	ds_load_2addr_b64 v[45:48], v37 offset1:1
	s_waitcnt lgkmcnt(1)
	v_cmp_gt_f64_e32 vcc_lo, 0, v[28:29]
	v_xor_b32_e32 v49, 0x80000000, v29
	v_cmp_gt_f64_e64 s2, 0, v[30:31]
	v_xor_b32_e32 v51, 0x80000000, v31
	v_add_nc_u32_e32 v37, 16, v37
	s_waitcnt lgkmcnt(0)
	v_cmp_gt_f64_e64 s3, 0, v[45:46]
	v_mov_b32_e32 v53, v45
	v_dual_mov_b32 v55, v47 :: v_dual_cndmask_b32 v50, v29, v49
	v_xor_b32_e32 v49, 0x80000000, v46
	v_cndmask_b32_e64 v52, v31, v51, s2
	v_xor_b32_e32 v51, 0x80000000, v48
	s_delay_alu instid0(VALU_DEP_3) | instskip(SKIP_2) | instid1(VALU_DEP_2)
	v_cndmask_b32_e64 v54, v46, v49, s3
	v_cmp_gt_f64_e64 s3, 0, v[47:48]
	v_cndmask_b32_e32 v49, v28, v28, vcc_lo
	v_cndmask_b32_e64 v56, v48, v51, s3
	v_cndmask_b32_e64 v51, v30, v30, s2
	s_delay_alu instid0(VALU_DEP_2) | instskip(NEXT) | instid1(VALU_DEP_2)
	v_add_f64 v[53:54], v[53:54], v[55:56]
	v_add_f64 v[49:50], v[49:50], v[51:52]
	s_delay_alu instid0(VALU_DEP_1) | instskip(SKIP_4) | instid1(SALU_CYCLE_1)
	v_cmp_lt_f64_e32 vcc_lo, v[49:50], v[53:54]
	v_dual_cndmask_b32 v30, v30, v47 :: v_dual_cndmask_b32 v29, v29, v46
	v_dual_cndmask_b32 v28, v28, v45 :: v_dual_cndmask_b32 v31, v31, v48
	v_cndmask_b32_e64 v36, v36, s6, vcc_lo
	s_add_i32 s6, s6, 1
	s_cmp_lg_u32 s5, s6
	s_cbranch_scc1 .LBB12_85
.LBB12_86:
	s_set_inst_prefetch_distance 0x2
	s_waitcnt lgkmcnt(0)
	v_cmp_eq_f64_e32 vcc_lo, 0, v[28:29]
	v_cmp_eq_f64_e64 s2, 0, v[30:31]
	s_delay_alu instid0(VALU_DEP_1) | instskip(NEXT) | instid1(SALU_CYCLE_1)
	s_and_b32 s2, vcc_lo, s2
	s_and_saveexec_b32 s3, s2
	s_delay_alu instid0(SALU_CYCLE_1)
	s_xor_b32 s2, exec_lo, s3
; %bb.87:
	v_cmp_ne_u32_e32 vcc_lo, 0, v42
	v_cndmask_b32_e32 v42, 5, v42, vcc_lo
; %bb.88:
	s_and_not1_saveexec_b32 s3, s2
	s_cbranch_execz .LBB12_94
; %bb.89:
	v_cmp_gt_f64_e32 vcc_lo, 0, v[28:29]
	v_cmp_gt_f64_e64 s2, 0, v[30:31]
	v_xor_b32_e32 v37, 0x80000000, v29
	v_xor_b32_e32 v45, 0x80000000, v31
	s_delay_alu instid0(VALU_DEP_2) | instskip(NEXT) | instid1(VALU_DEP_2)
	v_cndmask_b32_e32 v46, v29, v37, vcc_lo
	v_cndmask_b32_e64 v48, v31, v45, s2
	v_cndmask_b32_e32 v45, v28, v28, vcc_lo
	v_cndmask_b32_e64 v47, v30, v30, s2
	s_mov_b32 s2, exec_lo
	s_delay_alu instid0(VALU_DEP_1)
	v_cmpx_ngt_f64_e32 v[45:46], v[47:48]
	s_xor_b32 s2, exec_lo, s2
	s_cbranch_execz .LBB12_91
; %bb.90:
	v_div_scale_f64 v[45:46], null, v[30:31], v[30:31], v[28:29]
	v_div_scale_f64 v[51:52], vcc_lo, v[28:29], v[30:31], v[28:29]
	s_delay_alu instid0(VALU_DEP_2) | instskip(SKIP_2) | instid1(VALU_DEP_1)
	v_rcp_f64_e32 v[47:48], v[45:46]
	s_waitcnt_depctr 0xfff
	v_fma_f64 v[49:50], -v[45:46], v[47:48], 1.0
	v_fma_f64 v[47:48], v[47:48], v[49:50], v[47:48]
	s_delay_alu instid0(VALU_DEP_1) | instskip(NEXT) | instid1(VALU_DEP_1)
	v_fma_f64 v[49:50], -v[45:46], v[47:48], 1.0
	v_fma_f64 v[47:48], v[47:48], v[49:50], v[47:48]
	s_delay_alu instid0(VALU_DEP_1) | instskip(NEXT) | instid1(VALU_DEP_1)
	v_mul_f64 v[49:50], v[51:52], v[47:48]
	v_fma_f64 v[45:46], -v[45:46], v[49:50], v[51:52]
	s_delay_alu instid0(VALU_DEP_1) | instskip(NEXT) | instid1(VALU_DEP_1)
	v_div_fmas_f64 v[45:46], v[45:46], v[47:48], v[49:50]
	v_div_fixup_f64 v[45:46], v[45:46], v[30:31], v[28:29]
	s_delay_alu instid0(VALU_DEP_1) | instskip(NEXT) | instid1(VALU_DEP_1)
	v_fma_f64 v[28:29], v[28:29], v[45:46], v[30:31]
	v_div_scale_f64 v[30:31], null, v[28:29], v[28:29], 1.0
	s_delay_alu instid0(VALU_DEP_1) | instskip(SKIP_2) | instid1(VALU_DEP_1)
	v_rcp_f64_e32 v[47:48], v[30:31]
	s_waitcnt_depctr 0xfff
	v_fma_f64 v[49:50], -v[30:31], v[47:48], 1.0
	v_fma_f64 v[47:48], v[47:48], v[49:50], v[47:48]
	s_delay_alu instid0(VALU_DEP_1) | instskip(NEXT) | instid1(VALU_DEP_1)
	v_fma_f64 v[49:50], -v[30:31], v[47:48], 1.0
	v_fma_f64 v[47:48], v[47:48], v[49:50], v[47:48]
	v_div_scale_f64 v[49:50], vcc_lo, 1.0, v[28:29], 1.0
	s_delay_alu instid0(VALU_DEP_1) | instskip(NEXT) | instid1(VALU_DEP_1)
	v_mul_f64 v[51:52], v[49:50], v[47:48]
	v_fma_f64 v[30:31], -v[30:31], v[51:52], v[49:50]
	s_delay_alu instid0(VALU_DEP_1) | instskip(NEXT) | instid1(VALU_DEP_1)
	v_div_fmas_f64 v[30:31], v[30:31], v[47:48], v[51:52]
	v_div_fixup_f64 v[30:31], v[30:31], v[28:29], 1.0
	s_delay_alu instid0(VALU_DEP_1)
	v_mul_f64 v[28:29], v[45:46], v[30:31]
	v_xor_b32_e32 v31, 0x80000000, v31
.LBB12_91:
	s_and_not1_saveexec_b32 s2, s2
	s_cbranch_execz .LBB12_93
; %bb.92:
	s_delay_alu instid0(VALU_DEP_1) | instskip(SKIP_1) | instid1(VALU_DEP_2)
	v_div_scale_f64 v[45:46], null, v[28:29], v[28:29], v[30:31]
	v_div_scale_f64 v[51:52], vcc_lo, v[30:31], v[28:29], v[30:31]
	v_rcp_f64_e32 v[47:48], v[45:46]
	s_waitcnt_depctr 0xfff
	v_fma_f64 v[49:50], -v[45:46], v[47:48], 1.0
	s_delay_alu instid0(VALU_DEP_1) | instskip(NEXT) | instid1(VALU_DEP_1)
	v_fma_f64 v[47:48], v[47:48], v[49:50], v[47:48]
	v_fma_f64 v[49:50], -v[45:46], v[47:48], 1.0
	s_delay_alu instid0(VALU_DEP_1) | instskip(NEXT) | instid1(VALU_DEP_1)
	v_fma_f64 v[47:48], v[47:48], v[49:50], v[47:48]
	v_mul_f64 v[49:50], v[51:52], v[47:48]
	s_delay_alu instid0(VALU_DEP_1) | instskip(NEXT) | instid1(VALU_DEP_1)
	v_fma_f64 v[45:46], -v[45:46], v[49:50], v[51:52]
	v_div_fmas_f64 v[45:46], v[45:46], v[47:48], v[49:50]
	s_delay_alu instid0(VALU_DEP_1) | instskip(NEXT) | instid1(VALU_DEP_1)
	v_div_fixup_f64 v[45:46], v[45:46], v[28:29], v[30:31]
	v_fma_f64 v[28:29], v[30:31], v[45:46], v[28:29]
	s_delay_alu instid0(VALU_DEP_1) | instskip(NEXT) | instid1(VALU_DEP_1)
	v_div_scale_f64 v[30:31], null, v[28:29], v[28:29], 1.0
	v_rcp_f64_e32 v[47:48], v[30:31]
	s_waitcnt_depctr 0xfff
	v_fma_f64 v[49:50], -v[30:31], v[47:48], 1.0
	s_delay_alu instid0(VALU_DEP_1) | instskip(NEXT) | instid1(VALU_DEP_1)
	v_fma_f64 v[47:48], v[47:48], v[49:50], v[47:48]
	v_fma_f64 v[49:50], -v[30:31], v[47:48], 1.0
	s_delay_alu instid0(VALU_DEP_1) | instskip(SKIP_1) | instid1(VALU_DEP_1)
	v_fma_f64 v[47:48], v[47:48], v[49:50], v[47:48]
	v_div_scale_f64 v[49:50], vcc_lo, 1.0, v[28:29], 1.0
	v_mul_f64 v[51:52], v[49:50], v[47:48]
	s_delay_alu instid0(VALU_DEP_1) | instskip(NEXT) | instid1(VALU_DEP_1)
	v_fma_f64 v[30:31], -v[30:31], v[51:52], v[49:50]
	v_div_fmas_f64 v[30:31], v[30:31], v[47:48], v[51:52]
	s_delay_alu instid0(VALU_DEP_1) | instskip(NEXT) | instid1(VALU_DEP_1)
	v_div_fixup_f64 v[28:29], v[30:31], v[28:29], 1.0
	v_mul_f64 v[30:31], v[45:46], -v[28:29]
.LBB12_93:
	s_or_b32 exec_lo, exec_lo, s2
.LBB12_94:
	s_delay_alu instid0(SALU_CYCLE_1) | instskip(NEXT) | instid1(SALU_CYCLE_1)
	s_or_b32 exec_lo, exec_lo, s3
	s_mov_b32 s2, exec_lo
	v_cmpx_ne_u32_e64 v44, v36
	s_xor_b32 s2, exec_lo, s2
	s_cbranch_execz .LBB12_100
; %bb.95:
	s_mov_b32 s3, exec_lo
	v_cmpx_eq_u32_e32 4, v44
	s_cbranch_execz .LBB12_99
; %bb.96:
	v_cmp_ne_u32_e32 vcc_lo, 4, v36
	s_xor_b32 s6, s4, -1
	s_delay_alu instid0(SALU_CYCLE_1) | instskip(NEXT) | instid1(SALU_CYCLE_1)
	s_and_b32 s7, s6, vcc_lo
	s_and_saveexec_b32 s6, s7
	s_cbranch_execz .LBB12_98
; %bb.97:
	v_ashrrev_i32_e32 v37, 31, v36
	s_delay_alu instid0(VALU_DEP_1) | instskip(NEXT) | instid1(VALU_DEP_1)
	v_lshlrev_b64 v[44:45], 2, v[36:37]
	v_add_co_u32 v44, vcc_lo, v34, v44
	s_delay_alu instid0(VALU_DEP_2)
	v_add_co_ci_u32_e32 v45, vcc_lo, v35, v45, vcc_lo
	s_clause 0x1
	flat_load_b32 v37, v[44:45]
	flat_load_b32 v41, v[34:35] offset:16
	s_waitcnt vmcnt(1) lgkmcnt(1)
	flat_store_b32 v[34:35], v37 offset:16
	s_waitcnt vmcnt(0) lgkmcnt(1)
	flat_store_b32 v[44:45], v41
.LBB12_98:
	s_or_b32 exec_lo, exec_lo, s6
	v_mov_b32_e32 v44, v36
	v_mov_b32_e32 v41, v36
.LBB12_99:
	s_or_b32 exec_lo, exec_lo, s3
.LBB12_100:
	s_and_not1_saveexec_b32 s2, s2
	s_cbranch_execz .LBB12_102
; %bb.101:
	v_mov_b32_e32 v44, 4
	ds_store_2addr_b64 v38, v[4:5], v[6:7] offset0:10 offset1:11
	ds_store_2addr_b64 v38, v[0:1], v[2:3] offset0:12 offset1:13
.LBB12_102:
	s_or_b32 exec_lo, exec_lo, s2
	s_delay_alu instid0(SALU_CYCLE_1)
	s_mov_b32 s2, exec_lo
	s_waitcnt lgkmcnt(0)
	s_waitcnt_vscnt null, 0x0
	s_barrier
	buffer_gl0_inv
	v_cmpx_lt_i32_e32 4, v44
	s_cbranch_execz .LBB12_104
; %bb.103:
	v_mul_f64 v[36:37], v[28:29], v[10:11]
	v_mul_f64 v[10:11], v[30:31], v[10:11]
	ds_load_2addr_b64 v[45:48], v38 offset0:10 offset1:11
	ds_load_2addr_b64 v[49:52], v38 offset0:12 offset1:13
	v_fma_f64 v[30:31], v[30:31], v[8:9], v[36:37]
	v_fma_f64 v[8:9], v[28:29], v[8:9], -v[10:11]
	s_waitcnt lgkmcnt(1)
	s_delay_alu instid0(VALU_DEP_2) | instskip(SKIP_4) | instid1(VALU_DEP_4)
	v_mul_f64 v[10:11], v[47:48], v[30:31]
	v_mul_f64 v[28:29], v[45:46], v[30:31]
	s_waitcnt lgkmcnt(0)
	v_mul_f64 v[36:37], v[51:52], v[30:31]
	v_mul_f64 v[53:54], v[49:50], v[30:31]
	v_fma_f64 v[10:11], v[45:46], v[8:9], -v[10:11]
	s_delay_alu instid0(VALU_DEP_4) | instskip(NEXT) | instid1(VALU_DEP_4)
	v_fma_f64 v[28:29], v[47:48], v[8:9], v[28:29]
	v_fma_f64 v[36:37], v[49:50], v[8:9], -v[36:37]
	s_delay_alu instid0(VALU_DEP_4) | instskip(NEXT) | instid1(VALU_DEP_4)
	v_fma_f64 v[45:46], v[51:52], v[8:9], v[53:54]
	v_add_f64 v[4:5], v[4:5], -v[10:11]
	s_delay_alu instid0(VALU_DEP_4) | instskip(NEXT) | instid1(VALU_DEP_4)
	v_add_f64 v[6:7], v[6:7], -v[28:29]
	v_add_f64 v[0:1], v[0:1], -v[36:37]
	s_delay_alu instid0(VALU_DEP_4)
	v_add_f64 v[2:3], v[2:3], -v[45:46]
	v_dual_mov_b32 v10, v30 :: v_dual_mov_b32 v11, v31
.LBB12_104:
	s_or_b32 exec_lo, exec_lo, s2
	v_lshl_add_u32 v28, v44, 4, v38
	s_barrier
	buffer_gl0_inv
	v_mov_b32_e32 v36, 5
	ds_store_2addr_b64 v28, v[4:5], v[6:7] offset1:1
	s_waitcnt lgkmcnt(0)
	s_barrier
	buffer_gl0_inv
	ds_load_2addr_b64 v[28:31], v38 offset0:10 offset1:11
	s_cmp_lt_i32 s5, 7
	s_cbranch_scc1 .LBB12_107
; %bb.105:
	v_add3_u32 v37, v43, 0, 0x60
	v_mov_b32_e32 v36, 5
	s_mov_b32 s6, 6
	s_set_inst_prefetch_distance 0x1
	.p2align	6
.LBB12_106:                             ; =>This Inner Loop Header: Depth=1
	ds_load_2addr_b64 v[45:48], v37 offset1:1
	s_waitcnt lgkmcnt(1)
	v_cmp_gt_f64_e32 vcc_lo, 0, v[28:29]
	v_xor_b32_e32 v49, 0x80000000, v29
	v_cmp_gt_f64_e64 s2, 0, v[30:31]
	v_xor_b32_e32 v51, 0x80000000, v31
	v_add_nc_u32_e32 v37, 16, v37
	s_waitcnt lgkmcnt(0)
	v_cmp_gt_f64_e64 s3, 0, v[45:46]
	v_mov_b32_e32 v53, v45
	v_dual_mov_b32 v55, v47 :: v_dual_cndmask_b32 v50, v29, v49
	v_xor_b32_e32 v49, 0x80000000, v46
	v_cndmask_b32_e64 v52, v31, v51, s2
	v_xor_b32_e32 v51, 0x80000000, v48
	s_delay_alu instid0(VALU_DEP_3) | instskip(SKIP_2) | instid1(VALU_DEP_2)
	v_cndmask_b32_e64 v54, v46, v49, s3
	v_cmp_gt_f64_e64 s3, 0, v[47:48]
	v_cndmask_b32_e32 v49, v28, v28, vcc_lo
	v_cndmask_b32_e64 v56, v48, v51, s3
	v_cndmask_b32_e64 v51, v30, v30, s2
	s_delay_alu instid0(VALU_DEP_2) | instskip(NEXT) | instid1(VALU_DEP_2)
	v_add_f64 v[53:54], v[53:54], v[55:56]
	v_add_f64 v[49:50], v[49:50], v[51:52]
	s_delay_alu instid0(VALU_DEP_1) | instskip(SKIP_4) | instid1(SALU_CYCLE_1)
	v_cmp_lt_f64_e32 vcc_lo, v[49:50], v[53:54]
	v_dual_cndmask_b32 v30, v30, v47 :: v_dual_cndmask_b32 v29, v29, v46
	v_dual_cndmask_b32 v28, v28, v45 :: v_dual_cndmask_b32 v31, v31, v48
	v_cndmask_b32_e64 v36, v36, s6, vcc_lo
	s_add_i32 s6, s6, 1
	s_cmp_lg_u32 s5, s6
	s_cbranch_scc1 .LBB12_106
.LBB12_107:
	s_set_inst_prefetch_distance 0x2
	s_waitcnt lgkmcnt(0)
	v_cmp_eq_f64_e32 vcc_lo, 0, v[28:29]
	v_cmp_eq_f64_e64 s2, 0, v[30:31]
	s_delay_alu instid0(VALU_DEP_1) | instskip(NEXT) | instid1(SALU_CYCLE_1)
	s_and_b32 s2, vcc_lo, s2
	s_and_saveexec_b32 s3, s2
	s_delay_alu instid0(SALU_CYCLE_1)
	s_xor_b32 s2, exec_lo, s3
; %bb.108:
	v_cmp_ne_u32_e32 vcc_lo, 0, v42
	v_cndmask_b32_e32 v42, 6, v42, vcc_lo
; %bb.109:
	s_and_not1_saveexec_b32 s3, s2
	s_cbranch_execz .LBB12_115
; %bb.110:
	v_cmp_gt_f64_e32 vcc_lo, 0, v[28:29]
	v_cmp_gt_f64_e64 s2, 0, v[30:31]
	v_xor_b32_e32 v37, 0x80000000, v29
	v_xor_b32_e32 v45, 0x80000000, v31
	s_delay_alu instid0(VALU_DEP_2) | instskip(NEXT) | instid1(VALU_DEP_2)
	v_cndmask_b32_e32 v46, v29, v37, vcc_lo
	v_cndmask_b32_e64 v48, v31, v45, s2
	v_cndmask_b32_e32 v45, v28, v28, vcc_lo
	v_cndmask_b32_e64 v47, v30, v30, s2
	s_mov_b32 s2, exec_lo
	s_delay_alu instid0(VALU_DEP_1)
	v_cmpx_ngt_f64_e32 v[45:46], v[47:48]
	s_xor_b32 s2, exec_lo, s2
	s_cbranch_execz .LBB12_112
; %bb.111:
	v_div_scale_f64 v[45:46], null, v[30:31], v[30:31], v[28:29]
	v_div_scale_f64 v[51:52], vcc_lo, v[28:29], v[30:31], v[28:29]
	s_delay_alu instid0(VALU_DEP_2) | instskip(SKIP_2) | instid1(VALU_DEP_1)
	v_rcp_f64_e32 v[47:48], v[45:46]
	s_waitcnt_depctr 0xfff
	v_fma_f64 v[49:50], -v[45:46], v[47:48], 1.0
	v_fma_f64 v[47:48], v[47:48], v[49:50], v[47:48]
	s_delay_alu instid0(VALU_DEP_1) | instskip(NEXT) | instid1(VALU_DEP_1)
	v_fma_f64 v[49:50], -v[45:46], v[47:48], 1.0
	v_fma_f64 v[47:48], v[47:48], v[49:50], v[47:48]
	s_delay_alu instid0(VALU_DEP_1) | instskip(NEXT) | instid1(VALU_DEP_1)
	v_mul_f64 v[49:50], v[51:52], v[47:48]
	v_fma_f64 v[45:46], -v[45:46], v[49:50], v[51:52]
	s_delay_alu instid0(VALU_DEP_1) | instskip(NEXT) | instid1(VALU_DEP_1)
	v_div_fmas_f64 v[45:46], v[45:46], v[47:48], v[49:50]
	v_div_fixup_f64 v[45:46], v[45:46], v[30:31], v[28:29]
	s_delay_alu instid0(VALU_DEP_1) | instskip(NEXT) | instid1(VALU_DEP_1)
	v_fma_f64 v[28:29], v[28:29], v[45:46], v[30:31]
	v_div_scale_f64 v[30:31], null, v[28:29], v[28:29], 1.0
	s_delay_alu instid0(VALU_DEP_1) | instskip(SKIP_2) | instid1(VALU_DEP_1)
	v_rcp_f64_e32 v[47:48], v[30:31]
	s_waitcnt_depctr 0xfff
	v_fma_f64 v[49:50], -v[30:31], v[47:48], 1.0
	v_fma_f64 v[47:48], v[47:48], v[49:50], v[47:48]
	s_delay_alu instid0(VALU_DEP_1) | instskip(NEXT) | instid1(VALU_DEP_1)
	v_fma_f64 v[49:50], -v[30:31], v[47:48], 1.0
	v_fma_f64 v[47:48], v[47:48], v[49:50], v[47:48]
	v_div_scale_f64 v[49:50], vcc_lo, 1.0, v[28:29], 1.0
	s_delay_alu instid0(VALU_DEP_1) | instskip(NEXT) | instid1(VALU_DEP_1)
	v_mul_f64 v[51:52], v[49:50], v[47:48]
	v_fma_f64 v[30:31], -v[30:31], v[51:52], v[49:50]
	s_delay_alu instid0(VALU_DEP_1) | instskip(NEXT) | instid1(VALU_DEP_1)
	v_div_fmas_f64 v[30:31], v[30:31], v[47:48], v[51:52]
	v_div_fixup_f64 v[30:31], v[30:31], v[28:29], 1.0
	s_delay_alu instid0(VALU_DEP_1)
	v_mul_f64 v[28:29], v[45:46], v[30:31]
	v_xor_b32_e32 v31, 0x80000000, v31
.LBB12_112:
	s_and_not1_saveexec_b32 s2, s2
	s_cbranch_execz .LBB12_114
; %bb.113:
	s_delay_alu instid0(VALU_DEP_1) | instskip(SKIP_1) | instid1(VALU_DEP_2)
	v_div_scale_f64 v[45:46], null, v[28:29], v[28:29], v[30:31]
	v_div_scale_f64 v[51:52], vcc_lo, v[30:31], v[28:29], v[30:31]
	v_rcp_f64_e32 v[47:48], v[45:46]
	s_waitcnt_depctr 0xfff
	v_fma_f64 v[49:50], -v[45:46], v[47:48], 1.0
	s_delay_alu instid0(VALU_DEP_1) | instskip(NEXT) | instid1(VALU_DEP_1)
	v_fma_f64 v[47:48], v[47:48], v[49:50], v[47:48]
	v_fma_f64 v[49:50], -v[45:46], v[47:48], 1.0
	s_delay_alu instid0(VALU_DEP_1) | instskip(NEXT) | instid1(VALU_DEP_1)
	v_fma_f64 v[47:48], v[47:48], v[49:50], v[47:48]
	v_mul_f64 v[49:50], v[51:52], v[47:48]
	s_delay_alu instid0(VALU_DEP_1) | instskip(NEXT) | instid1(VALU_DEP_1)
	v_fma_f64 v[45:46], -v[45:46], v[49:50], v[51:52]
	v_div_fmas_f64 v[45:46], v[45:46], v[47:48], v[49:50]
	s_delay_alu instid0(VALU_DEP_1) | instskip(NEXT) | instid1(VALU_DEP_1)
	v_div_fixup_f64 v[45:46], v[45:46], v[28:29], v[30:31]
	v_fma_f64 v[28:29], v[30:31], v[45:46], v[28:29]
	s_delay_alu instid0(VALU_DEP_1) | instskip(NEXT) | instid1(VALU_DEP_1)
	v_div_scale_f64 v[30:31], null, v[28:29], v[28:29], 1.0
	v_rcp_f64_e32 v[47:48], v[30:31]
	s_waitcnt_depctr 0xfff
	v_fma_f64 v[49:50], -v[30:31], v[47:48], 1.0
	s_delay_alu instid0(VALU_DEP_1) | instskip(NEXT) | instid1(VALU_DEP_1)
	v_fma_f64 v[47:48], v[47:48], v[49:50], v[47:48]
	v_fma_f64 v[49:50], -v[30:31], v[47:48], 1.0
	s_delay_alu instid0(VALU_DEP_1) | instskip(SKIP_1) | instid1(VALU_DEP_1)
	v_fma_f64 v[47:48], v[47:48], v[49:50], v[47:48]
	v_div_scale_f64 v[49:50], vcc_lo, 1.0, v[28:29], 1.0
	v_mul_f64 v[51:52], v[49:50], v[47:48]
	s_delay_alu instid0(VALU_DEP_1) | instskip(NEXT) | instid1(VALU_DEP_1)
	v_fma_f64 v[30:31], -v[30:31], v[51:52], v[49:50]
	v_div_fmas_f64 v[30:31], v[30:31], v[47:48], v[51:52]
	s_delay_alu instid0(VALU_DEP_1) | instskip(NEXT) | instid1(VALU_DEP_1)
	v_div_fixup_f64 v[28:29], v[30:31], v[28:29], 1.0
	v_mul_f64 v[30:31], v[45:46], -v[28:29]
.LBB12_114:
	s_or_b32 exec_lo, exec_lo, s2
.LBB12_115:
	s_delay_alu instid0(SALU_CYCLE_1) | instskip(NEXT) | instid1(SALU_CYCLE_1)
	s_or_b32 exec_lo, exec_lo, s3
	s_mov_b32 s2, exec_lo
	v_cmpx_ne_u32_e64 v44, v36
	s_xor_b32 s2, exec_lo, s2
	s_cbranch_execz .LBB12_121
; %bb.116:
	s_mov_b32 s3, exec_lo
	v_cmpx_eq_u32_e32 5, v44
	s_cbranch_execz .LBB12_120
; %bb.117:
	v_cmp_ne_u32_e32 vcc_lo, 5, v36
	s_xor_b32 s6, s4, -1
	s_delay_alu instid0(SALU_CYCLE_1) | instskip(NEXT) | instid1(SALU_CYCLE_1)
	s_and_b32 s7, s6, vcc_lo
	s_and_saveexec_b32 s6, s7
	s_cbranch_execz .LBB12_119
; %bb.118:
	v_ashrrev_i32_e32 v37, 31, v36
	s_delay_alu instid0(VALU_DEP_1) | instskip(NEXT) | instid1(VALU_DEP_1)
	v_lshlrev_b64 v[44:45], 2, v[36:37]
	v_add_co_u32 v44, vcc_lo, v34, v44
	s_delay_alu instid0(VALU_DEP_2)
	v_add_co_ci_u32_e32 v45, vcc_lo, v35, v45, vcc_lo
	s_clause 0x1
	flat_load_b32 v37, v[44:45]
	flat_load_b32 v41, v[34:35] offset:20
	s_waitcnt vmcnt(1) lgkmcnt(1)
	flat_store_b32 v[34:35], v37 offset:20
	s_waitcnt vmcnt(0) lgkmcnt(1)
	flat_store_b32 v[44:45], v41
.LBB12_119:
	s_or_b32 exec_lo, exec_lo, s6
	v_mov_b32_e32 v44, v36
	v_mov_b32_e32 v41, v36
.LBB12_120:
	s_or_b32 exec_lo, exec_lo, s3
.LBB12_121:
	s_and_not1_saveexec_b32 s2, s2
	s_cbranch_execz .LBB12_123
; %bb.122:
	v_mov_b32_e32 v44, 5
	ds_store_2addr_b64 v38, v[0:1], v[2:3] offset0:12 offset1:13
.LBB12_123:
	s_or_b32 exec_lo, exec_lo, s2
	s_delay_alu instid0(SALU_CYCLE_1)
	s_mov_b32 s2, exec_lo
	s_waitcnt lgkmcnt(0)
	s_waitcnt_vscnt null, 0x0
	s_barrier
	buffer_gl0_inv
	v_cmpx_lt_i32_e32 5, v44
	s_cbranch_execz .LBB12_125
; %bb.124:
	v_mul_f64 v[36:37], v[28:29], v[6:7]
	v_mul_f64 v[6:7], v[30:31], v[6:7]
	ds_load_2addr_b64 v[45:48], v38 offset0:12 offset1:13
	v_fma_f64 v[30:31], v[30:31], v[4:5], v[36:37]
	v_fma_f64 v[4:5], v[28:29], v[4:5], -v[6:7]
	s_waitcnt lgkmcnt(0)
	s_delay_alu instid0(VALU_DEP_2) | instskip(SKIP_1) | instid1(VALU_DEP_2)
	v_mul_f64 v[6:7], v[47:48], v[30:31]
	v_mul_f64 v[28:29], v[45:46], v[30:31]
	v_fma_f64 v[6:7], v[45:46], v[4:5], -v[6:7]
	s_delay_alu instid0(VALU_DEP_2) | instskip(NEXT) | instid1(VALU_DEP_2)
	v_fma_f64 v[28:29], v[47:48], v[4:5], v[28:29]
	v_add_f64 v[0:1], v[0:1], -v[6:7]
	s_delay_alu instid0(VALU_DEP_2)
	v_add_f64 v[2:3], v[2:3], -v[28:29]
	v_dual_mov_b32 v6, v30 :: v_dual_mov_b32 v7, v31
.LBB12_125:
	s_or_b32 exec_lo, exec_lo, s2
	v_lshl_add_u32 v28, v44, 4, v38
	s_barrier
	buffer_gl0_inv
	v_mov_b32_e32 v36, 6
	ds_store_2addr_b64 v28, v[0:1], v[2:3] offset1:1
	s_waitcnt lgkmcnt(0)
	s_barrier
	buffer_gl0_inv
	ds_load_2addr_b64 v[28:31], v38 offset0:12 offset1:13
	s_cmp_lt_i32 s5, 8
	s_cbranch_scc1 .LBB12_128
; %bb.126:
	v_add3_u32 v37, v43, 0, 0x70
	v_mov_b32_e32 v36, 6
	s_mov_b32 s6, 7
	s_set_inst_prefetch_distance 0x1
	.p2align	6
.LBB12_127:                             ; =>This Inner Loop Header: Depth=1
	ds_load_2addr_b64 v[45:48], v37 offset1:1
	s_waitcnt lgkmcnt(1)
	v_cmp_gt_f64_e32 vcc_lo, 0, v[28:29]
	v_xor_b32_e32 v38, 0x80000000, v29
	v_cmp_gt_f64_e64 s2, 0, v[30:31]
	v_xor_b32_e32 v43, 0x80000000, v31
	v_add_nc_u32_e32 v37, 16, v37
	s_waitcnt lgkmcnt(0)
	v_cmp_gt_f64_e64 s3, 0, v[45:46]
	v_mov_b32_e32 v53, v45
	v_dual_mov_b32 v55, v47 :: v_dual_cndmask_b32 v50, v29, v38
	v_xor_b32_e32 v38, 0x80000000, v46
	v_cndmask_b32_e64 v52, v31, v43, s2
	v_xor_b32_e32 v43, 0x80000000, v48
	v_cndmask_b32_e32 v49, v28, v28, vcc_lo
	v_cndmask_b32_e64 v51, v30, v30, s2
	s_delay_alu instid0(VALU_DEP_1) | instskip(SKIP_2) | instid1(VALU_DEP_1)
	v_add_f64 v[49:50], v[49:50], v[51:52]
	v_cndmask_b32_e64 v54, v46, v38, s3
	v_cmp_gt_f64_e64 s3, 0, v[47:48]
	v_cndmask_b32_e64 v56, v48, v43, s3
	s_delay_alu instid0(VALU_DEP_1) | instskip(NEXT) | instid1(VALU_DEP_1)
	v_add_f64 v[53:54], v[53:54], v[55:56]
	v_cmp_lt_f64_e32 vcc_lo, v[49:50], v[53:54]
	v_dual_cndmask_b32 v30, v30, v47 :: v_dual_cndmask_b32 v29, v29, v46
	v_dual_cndmask_b32 v28, v28, v45 :: v_dual_cndmask_b32 v31, v31, v48
	v_cndmask_b32_e64 v36, v36, s6, vcc_lo
	s_add_i32 s6, s6, 1
	s_delay_alu instid0(SALU_CYCLE_1)
	s_cmp_lg_u32 s5, s6
	s_cbranch_scc1 .LBB12_127
.LBB12_128:
	s_set_inst_prefetch_distance 0x2
	s_waitcnt lgkmcnt(0)
	v_cmp_eq_f64_e32 vcc_lo, 0, v[28:29]
	v_cmp_eq_f64_e64 s2, 0, v[30:31]
	s_delay_alu instid0(VALU_DEP_1) | instskip(NEXT) | instid1(SALU_CYCLE_1)
	s_and_b32 s2, vcc_lo, s2
	s_and_saveexec_b32 s3, s2
	s_delay_alu instid0(SALU_CYCLE_1)
	s_xor_b32 s2, exec_lo, s3
; %bb.129:
	v_cmp_ne_u32_e32 vcc_lo, 0, v42
	v_cndmask_b32_e32 v42, 7, v42, vcc_lo
; %bb.130:
	s_and_not1_saveexec_b32 s3, s2
	s_cbranch_execz .LBB12_136
; %bb.131:
	v_cmp_gt_f64_e32 vcc_lo, 0, v[28:29]
	v_cmp_gt_f64_e64 s2, 0, v[30:31]
	v_xor_b32_e32 v37, 0x80000000, v29
	v_xor_b32_e32 v43, 0x80000000, v31
	s_delay_alu instid0(VALU_DEP_2) | instskip(NEXT) | instid1(VALU_DEP_2)
	v_dual_cndmask_b32 v38, v29, v37 :: v_dual_cndmask_b32 v37, v28, v28
	v_cndmask_b32_e64 v46, v31, v43, s2
	v_cndmask_b32_e64 v45, v30, v30, s2
	s_mov_b32 s2, exec_lo
	s_delay_alu instid0(VALU_DEP_1)
	v_cmpx_ngt_f64_e32 v[37:38], v[45:46]
	s_xor_b32 s2, exec_lo, s2
	s_cbranch_execz .LBB12_133
; %bb.132:
	v_div_scale_f64 v[37:38], null, v[30:31], v[30:31], v[28:29]
	v_div_scale_f64 v[49:50], vcc_lo, v[28:29], v[30:31], v[28:29]
	s_delay_alu instid0(VALU_DEP_2) | instskip(SKIP_2) | instid1(VALU_DEP_1)
	v_rcp_f64_e32 v[45:46], v[37:38]
	s_waitcnt_depctr 0xfff
	v_fma_f64 v[47:48], -v[37:38], v[45:46], 1.0
	v_fma_f64 v[45:46], v[45:46], v[47:48], v[45:46]
	s_delay_alu instid0(VALU_DEP_1) | instskip(NEXT) | instid1(VALU_DEP_1)
	v_fma_f64 v[47:48], -v[37:38], v[45:46], 1.0
	v_fma_f64 v[45:46], v[45:46], v[47:48], v[45:46]
	s_delay_alu instid0(VALU_DEP_1) | instskip(NEXT) | instid1(VALU_DEP_1)
	v_mul_f64 v[47:48], v[49:50], v[45:46]
	v_fma_f64 v[37:38], -v[37:38], v[47:48], v[49:50]
	s_delay_alu instid0(VALU_DEP_1) | instskip(NEXT) | instid1(VALU_DEP_1)
	v_div_fmas_f64 v[37:38], v[37:38], v[45:46], v[47:48]
	v_div_fixup_f64 v[37:38], v[37:38], v[30:31], v[28:29]
	s_delay_alu instid0(VALU_DEP_1) | instskip(NEXT) | instid1(VALU_DEP_1)
	v_fma_f64 v[28:29], v[28:29], v[37:38], v[30:31]
	v_div_scale_f64 v[30:31], null, v[28:29], v[28:29], 1.0
	s_delay_alu instid0(VALU_DEP_1) | instskip(SKIP_2) | instid1(VALU_DEP_1)
	v_rcp_f64_e32 v[45:46], v[30:31]
	s_waitcnt_depctr 0xfff
	v_fma_f64 v[47:48], -v[30:31], v[45:46], 1.0
	v_fma_f64 v[45:46], v[45:46], v[47:48], v[45:46]
	s_delay_alu instid0(VALU_DEP_1) | instskip(NEXT) | instid1(VALU_DEP_1)
	v_fma_f64 v[47:48], -v[30:31], v[45:46], 1.0
	v_fma_f64 v[45:46], v[45:46], v[47:48], v[45:46]
	v_div_scale_f64 v[47:48], vcc_lo, 1.0, v[28:29], 1.0
	s_delay_alu instid0(VALU_DEP_1) | instskip(NEXT) | instid1(VALU_DEP_1)
	v_mul_f64 v[49:50], v[47:48], v[45:46]
	v_fma_f64 v[30:31], -v[30:31], v[49:50], v[47:48]
	s_delay_alu instid0(VALU_DEP_1) | instskip(NEXT) | instid1(VALU_DEP_1)
	v_div_fmas_f64 v[30:31], v[30:31], v[45:46], v[49:50]
	v_div_fixup_f64 v[30:31], v[30:31], v[28:29], 1.0
	s_delay_alu instid0(VALU_DEP_1)
	v_mul_f64 v[28:29], v[37:38], v[30:31]
	v_xor_b32_e32 v31, 0x80000000, v31
.LBB12_133:
	s_and_not1_saveexec_b32 s2, s2
	s_cbranch_execz .LBB12_135
; %bb.134:
	s_delay_alu instid0(VALU_DEP_1) | instskip(SKIP_1) | instid1(VALU_DEP_2)
	v_div_scale_f64 v[37:38], null, v[28:29], v[28:29], v[30:31]
	v_div_scale_f64 v[49:50], vcc_lo, v[30:31], v[28:29], v[30:31]
	v_rcp_f64_e32 v[45:46], v[37:38]
	s_waitcnt_depctr 0xfff
	v_fma_f64 v[47:48], -v[37:38], v[45:46], 1.0
	s_delay_alu instid0(VALU_DEP_1) | instskip(NEXT) | instid1(VALU_DEP_1)
	v_fma_f64 v[45:46], v[45:46], v[47:48], v[45:46]
	v_fma_f64 v[47:48], -v[37:38], v[45:46], 1.0
	s_delay_alu instid0(VALU_DEP_1) | instskip(NEXT) | instid1(VALU_DEP_1)
	v_fma_f64 v[45:46], v[45:46], v[47:48], v[45:46]
	v_mul_f64 v[47:48], v[49:50], v[45:46]
	s_delay_alu instid0(VALU_DEP_1) | instskip(NEXT) | instid1(VALU_DEP_1)
	v_fma_f64 v[37:38], -v[37:38], v[47:48], v[49:50]
	v_div_fmas_f64 v[37:38], v[37:38], v[45:46], v[47:48]
	s_delay_alu instid0(VALU_DEP_1) | instskip(NEXT) | instid1(VALU_DEP_1)
	v_div_fixup_f64 v[37:38], v[37:38], v[28:29], v[30:31]
	v_fma_f64 v[28:29], v[30:31], v[37:38], v[28:29]
	s_delay_alu instid0(VALU_DEP_1) | instskip(NEXT) | instid1(VALU_DEP_1)
	v_div_scale_f64 v[30:31], null, v[28:29], v[28:29], 1.0
	v_rcp_f64_e32 v[45:46], v[30:31]
	s_waitcnt_depctr 0xfff
	v_fma_f64 v[47:48], -v[30:31], v[45:46], 1.0
	s_delay_alu instid0(VALU_DEP_1) | instskip(NEXT) | instid1(VALU_DEP_1)
	v_fma_f64 v[45:46], v[45:46], v[47:48], v[45:46]
	v_fma_f64 v[47:48], -v[30:31], v[45:46], 1.0
	s_delay_alu instid0(VALU_DEP_1) | instskip(SKIP_1) | instid1(VALU_DEP_1)
	v_fma_f64 v[45:46], v[45:46], v[47:48], v[45:46]
	v_div_scale_f64 v[47:48], vcc_lo, 1.0, v[28:29], 1.0
	v_mul_f64 v[49:50], v[47:48], v[45:46]
	s_delay_alu instid0(VALU_DEP_1) | instskip(NEXT) | instid1(VALU_DEP_1)
	v_fma_f64 v[30:31], -v[30:31], v[49:50], v[47:48]
	v_div_fmas_f64 v[30:31], v[30:31], v[45:46], v[49:50]
	s_delay_alu instid0(VALU_DEP_1) | instskip(NEXT) | instid1(VALU_DEP_1)
	v_div_fixup_f64 v[28:29], v[30:31], v[28:29], 1.0
	v_mul_f64 v[30:31], v[37:38], -v[28:29]
.LBB12_135:
	s_or_b32 exec_lo, exec_lo, s2
.LBB12_136:
	s_delay_alu instid0(SALU_CYCLE_1)
	s_or_b32 exec_lo, exec_lo, s3
	v_mov_b32_e32 v37, 6
	s_mov_b32 s2, exec_lo
	v_cmpx_ne_u32_e64 v44, v36
	s_cbranch_execz .LBB12_142
; %bb.137:
	s_mov_b32 s3, exec_lo
	v_cmpx_eq_u32_e32 6, v44
	s_cbranch_execz .LBB12_141
; %bb.138:
	v_cmp_ne_u32_e32 vcc_lo, 6, v36
	s_xor_b32 s4, s4, -1
	s_delay_alu instid0(SALU_CYCLE_1) | instskip(NEXT) | instid1(SALU_CYCLE_1)
	s_and_b32 s5, s4, vcc_lo
	s_and_saveexec_b32 s4, s5
	s_cbranch_execz .LBB12_140
; %bb.139:
	v_ashrrev_i32_e32 v37, 31, v36
	s_delay_alu instid0(VALU_DEP_1) | instskip(NEXT) | instid1(VALU_DEP_1)
	v_lshlrev_b64 v[37:38], 2, v[36:37]
	v_add_co_u32 v37, vcc_lo, v34, v37
	s_delay_alu instid0(VALU_DEP_2)
	v_add_co_ci_u32_e32 v38, vcc_lo, v35, v38, vcc_lo
	s_clause 0x1
	flat_load_b32 v41, v[37:38]
	flat_load_b32 v43, v[34:35] offset:24
	s_waitcnt vmcnt(1) lgkmcnt(1)
	flat_store_b32 v[34:35], v41 offset:24
	s_waitcnt vmcnt(0) lgkmcnt(1)
	flat_store_b32 v[37:38], v43
.LBB12_140:
	s_or_b32 exec_lo, exec_lo, s4
	v_mov_b32_e32 v44, v36
	v_mov_b32_e32 v41, v36
.LBB12_141:
	s_or_b32 exec_lo, exec_lo, s3
	s_delay_alu instid0(VALU_DEP_2)
	v_mov_b32_e32 v37, v44
.LBB12_142:
	s_or_b32 exec_lo, exec_lo, s2
	s_delay_alu instid0(SALU_CYCLE_1)
	s_mov_b32 s2, exec_lo
	s_waitcnt lgkmcnt(0)
	s_waitcnt_vscnt null, 0x0
	s_barrier
	buffer_gl0_inv
	v_cmpx_lt_i32_e32 6, v37
; %bb.143:
	v_mul_f64 v[34:35], v[30:31], v[2:3]
	v_mul_f64 v[2:3], v[28:29], v[2:3]
	s_delay_alu instid0(VALU_DEP_2) | instskip(NEXT) | instid1(VALU_DEP_2)
	v_fma_f64 v[28:29], v[28:29], v[0:1], -v[34:35]
	v_fma_f64 v[2:3], v[30:31], v[0:1], v[2:3]
	s_delay_alu instid0(VALU_DEP_2)
	v_dual_mov_b32 v0, v28 :: v_dual_mov_b32 v1, v29
; %bb.144:
	s_or_b32 exec_lo, exec_lo, s2
	s_load_b256 s[0:7], s[0:1], 0x28
	v_ashrrev_i32_e32 v38, 31, v37
	s_mov_b32 s9, exec_lo
	s_waitcnt lgkmcnt(0)
	s_barrier
	buffer_gl0_inv
	v_cmpx_gt_i32_e32 7, v37
	s_cbranch_execz .LBB12_146
; %bb.145:
	v_mul_lo_u32 v30, v33, s4
	v_mul_lo_u32 v31, v32, s5
	v_mad_u64_u32 v[28:29], null, v32, s4, 0
	s_lshl_b64 s[2:3], s[2:3], 2
	s_delay_alu instid0(SALU_CYCLE_1) | instskip(SKIP_1) | instid1(VALU_DEP_1)
	s_add_u32 s0, s2, s0
	s_addc_u32 s1, s3, s1
	v_add3_u32 v29, v29, v31, v30
	v_lshlrev_b64 v[30:31], 2, v[37:38]
	s_delay_alu instid0(VALU_DEP_2) | instskip(NEXT) | instid1(VALU_DEP_1)
	v_lshlrev_b64 v[28:29], 2, v[28:29]
	v_add_co_u32 v28, vcc_lo, s0, v28
	s_delay_alu instid0(VALU_DEP_2) | instskip(NEXT) | instid1(VALU_DEP_2)
	v_add_co_ci_u32_e32 v29, vcc_lo, s1, v29, vcc_lo
	v_add_co_u32 v28, vcc_lo, v28, v30
	s_delay_alu instid0(VALU_DEP_2)
	v_add_co_ci_u32_e32 v29, vcc_lo, v29, v31, vcc_lo
	v_add3_u32 v30, v41, s13, 1
	global_store_b32 v[28:29], v30, off
.LBB12_146:
	s_or_b32 exec_lo, exec_lo, s9
	s_delay_alu instid0(SALU_CYCLE_1)
	s_mov_b32 s1, exec_lo
	v_cmpx_eq_u32_e32 0, v37
	s_cbranch_execz .LBB12_149
; %bb.147:
	v_lshlrev_b64 v[28:29], 2, v[32:33]
	v_cmp_lt_i32_e64 s0, 0, v42
	s_delay_alu instid0(VALU_DEP_2) | instskip(NEXT) | instid1(VALU_DEP_3)
	v_add_co_u32 v28, vcc_lo, s6, v28
	v_add_co_ci_u32_e32 v29, vcc_lo, s7, v29, vcc_lo
	global_load_b32 v30, v[28:29], off
	s_waitcnt vmcnt(0)
	v_cmp_eq_u32_e32 vcc_lo, 0, v30
	s_and_b32 s0, vcc_lo, s0
	s_delay_alu instid0(SALU_CYCLE_1)
	s_and_b32 exec_lo, exec_lo, s0
	s_cbranch_execz .LBB12_149
; %bb.148:
	v_add_nc_u32_e32 v30, s13, v42
	global_store_b32 v[28:29], v30, off
.LBB12_149:
	s_or_b32 exec_lo, exec_lo, s1
	v_lshlrev_b64 v[30:31], 4, v[37:38]
	v_add3_u32 v28, s8, s8, v37
	s_delay_alu instid0(VALU_DEP_1) | instskip(NEXT) | instid1(VALU_DEP_3)
	v_add_nc_u32_e32 v32, s8, v28
	v_add_co_u32 v30, vcc_lo, v39, v30
	s_delay_alu instid0(VALU_DEP_4) | instskip(SKIP_1) | instid1(VALU_DEP_3)
	v_add_co_ci_u32_e32 v31, vcc_lo, v40, v31, vcc_lo
	v_ashrrev_i32_e32 v29, 31, v28
	v_add_co_u32 v34, vcc_lo, v30, s10
	v_add_nc_u32_e32 v36, s8, v32
	s_delay_alu instid0(VALU_DEP_4) | instskip(NEXT) | instid1(VALU_DEP_4)
	v_add_co_ci_u32_e32 v35, vcc_lo, s11, v31, vcc_lo
	v_lshlrev_b64 v[28:29], 4, v[28:29]
	s_clause 0x1
	global_store_b128 v[30:31], v[20:23], off
	global_store_b128 v[34:35], v[24:27], off
	v_add_nc_u32_e32 v22, s8, v36
	v_ashrrev_i32_e32 v33, 31, v32
	v_ashrrev_i32_e32 v37, 31, v36
	v_add_co_u32 v24, vcc_lo, v39, v28
	s_delay_alu instid0(VALU_DEP_4) | instskip(NEXT) | instid1(VALU_DEP_4)
	v_add_nc_u32_e32 v28, s8, v22
	v_lshlrev_b64 v[20:21], 4, v[32:33]
	v_ashrrev_i32_e32 v23, 31, v22
	v_lshlrev_b64 v[26:27], 4, v[36:37]
	v_add_co_ci_u32_e32 v25, vcc_lo, v40, v29, vcc_lo
	v_ashrrev_i32_e32 v29, 31, v28
	v_add_co_u32 v20, vcc_lo, v39, v20
	v_lshlrev_b64 v[22:23], 4, v[22:23]
	v_add_co_ci_u32_e32 v21, vcc_lo, v40, v21, vcc_lo
	v_add_co_u32 v26, vcc_lo, v39, v26
	v_lshlrev_b64 v[28:29], 4, v[28:29]
	v_add_co_ci_u32_e32 v27, vcc_lo, v40, v27, vcc_lo
	v_add_co_u32 v22, vcc_lo, v39, v22
	v_add_co_ci_u32_e32 v23, vcc_lo, v40, v23, vcc_lo
	s_delay_alu instid0(VALU_DEP_4)
	v_add_co_u32 v28, vcc_lo, v39, v28
	v_add_co_ci_u32_e32 v29, vcc_lo, v40, v29, vcc_lo
	s_clause 0x4
	global_store_b128 v[24:25], v[16:19], off
	global_store_b128 v[20:21], v[12:15], off
	global_store_b128 v[26:27], v[8:11], off
	global_store_b128 v[22:23], v[4:7], off
	global_store_b128 v[28:29], v[0:3], off
.LBB12_150:
	s_nop 0
	s_sendmsg sendmsg(MSG_DEALLOC_VGPRS)
	s_endpgm
	.section	.rodata,"a",@progbits
	.p2align	6, 0x0
	.amdhsa_kernel _ZN9rocsolver6v33100L18getf2_small_kernelILi7E19rocblas_complex_numIdEiiPKPS3_EEvT1_T3_lS7_lPS7_llPT2_S7_S7_S9_l
		.amdhsa_group_segment_fixed_size 0
		.amdhsa_private_segment_fixed_size 0
		.amdhsa_kernarg_size 352
		.amdhsa_user_sgpr_count 14
		.amdhsa_user_sgpr_dispatch_ptr 0
		.amdhsa_user_sgpr_queue_ptr 0
		.amdhsa_user_sgpr_kernarg_segment_ptr 1
		.amdhsa_user_sgpr_dispatch_id 0
		.amdhsa_user_sgpr_private_segment_size 0
		.amdhsa_wavefront_size32 1
		.amdhsa_uses_dynamic_stack 0
		.amdhsa_enable_private_segment 0
		.amdhsa_system_sgpr_workgroup_id_x 1
		.amdhsa_system_sgpr_workgroup_id_y 1
		.amdhsa_system_sgpr_workgroup_id_z 0
		.amdhsa_system_sgpr_workgroup_info 0
		.amdhsa_system_vgpr_workitem_id 1
		.amdhsa_next_free_vgpr 88
		.amdhsa_next_free_sgpr 16
		.amdhsa_reserve_vcc 1
		.amdhsa_float_round_mode_32 0
		.amdhsa_float_round_mode_16_64 0
		.amdhsa_float_denorm_mode_32 3
		.amdhsa_float_denorm_mode_16_64 3
		.amdhsa_dx10_clamp 1
		.amdhsa_ieee_mode 1
		.amdhsa_fp16_overflow 0
		.amdhsa_workgroup_processor_mode 1
		.amdhsa_memory_ordered 1
		.amdhsa_forward_progress 0
		.amdhsa_shared_vgpr_count 0
		.amdhsa_exception_fp_ieee_invalid_op 0
		.amdhsa_exception_fp_denorm_src 0
		.amdhsa_exception_fp_ieee_div_zero 0
		.amdhsa_exception_fp_ieee_overflow 0
		.amdhsa_exception_fp_ieee_underflow 0
		.amdhsa_exception_fp_ieee_inexact 0
		.amdhsa_exception_int_div_zero 0
	.end_amdhsa_kernel
	.section	.text._ZN9rocsolver6v33100L18getf2_small_kernelILi7E19rocblas_complex_numIdEiiPKPS3_EEvT1_T3_lS7_lPS7_llPT2_S7_S7_S9_l,"axG",@progbits,_ZN9rocsolver6v33100L18getf2_small_kernelILi7E19rocblas_complex_numIdEiiPKPS3_EEvT1_T3_lS7_lPS7_llPT2_S7_S7_S9_l,comdat
.Lfunc_end12:
	.size	_ZN9rocsolver6v33100L18getf2_small_kernelILi7E19rocblas_complex_numIdEiiPKPS3_EEvT1_T3_lS7_lPS7_llPT2_S7_S7_S9_l, .Lfunc_end12-_ZN9rocsolver6v33100L18getf2_small_kernelILi7E19rocblas_complex_numIdEiiPKPS3_EEvT1_T3_lS7_lPS7_llPT2_S7_S7_S9_l
                                        ; -- End function
	.section	.AMDGPU.csdata,"",@progbits
; Kernel info:
; codeLenInByte = 10612
; NumSgprs: 18
; NumVgprs: 88
; ScratchSize: 0
; MemoryBound: 0
; FloatMode: 240
; IeeeMode: 1
; LDSByteSize: 0 bytes/workgroup (compile time only)
; SGPRBlocks: 2
; VGPRBlocks: 10
; NumSGPRsForWavesPerEU: 18
; NumVGPRsForWavesPerEU: 88
; Occupancy: 16
; WaveLimiterHint : 1
; COMPUTE_PGM_RSRC2:SCRATCH_EN: 0
; COMPUTE_PGM_RSRC2:USER_SGPR: 14
; COMPUTE_PGM_RSRC2:TRAP_HANDLER: 0
; COMPUTE_PGM_RSRC2:TGID_X_EN: 1
; COMPUTE_PGM_RSRC2:TGID_Y_EN: 1
; COMPUTE_PGM_RSRC2:TGID_Z_EN: 0
; COMPUTE_PGM_RSRC2:TIDIG_COMP_CNT: 1
	.section	.text._ZN9rocsolver6v33100L23getf2_npvt_small_kernelILi7E19rocblas_complex_numIdEiiPKPS3_EEvT1_T3_lS7_lPT2_S7_S7_,"axG",@progbits,_ZN9rocsolver6v33100L23getf2_npvt_small_kernelILi7E19rocblas_complex_numIdEiiPKPS3_EEvT1_T3_lS7_lPT2_S7_S7_,comdat
	.globl	_ZN9rocsolver6v33100L23getf2_npvt_small_kernelILi7E19rocblas_complex_numIdEiiPKPS3_EEvT1_T3_lS7_lPT2_S7_S7_ ; -- Begin function _ZN9rocsolver6v33100L23getf2_npvt_small_kernelILi7E19rocblas_complex_numIdEiiPKPS3_EEvT1_T3_lS7_lPT2_S7_S7_
	.p2align	8
	.type	_ZN9rocsolver6v33100L23getf2_npvt_small_kernelILi7E19rocblas_complex_numIdEiiPKPS3_EEvT1_T3_lS7_lPT2_S7_S7_,@function
_ZN9rocsolver6v33100L23getf2_npvt_small_kernelILi7E19rocblas_complex_numIdEiiPKPS3_EEvT1_T3_lS7_lPT2_S7_S7_: ; @_ZN9rocsolver6v33100L23getf2_npvt_small_kernelILi7E19rocblas_complex_numIdEiiPKPS3_EEvT1_T3_lS7_lPT2_S7_S7_
; %bb.0:
	s_clause 0x1
	s_load_b32 s2, s[0:1], 0x44
	s_load_b64 s[8:9], s[0:1], 0x30
	v_bfe_u32 v28, v0, 10, 10
	s_waitcnt lgkmcnt(0)
	s_lshr_b32 s10, s2, 16
	s_mov_b32 s2, exec_lo
	s_delay_alu instid0(VALU_DEP_1) | instskip(NEXT) | instid1(VALU_DEP_1)
	v_mad_u64_u32 v[56:57], null, s15, s10, v[28:29]
	v_cmpx_gt_i32_e64 s8, v56
	s_cbranch_execz .LBB13_68
; %bb.1:
	s_clause 0x1
	s_load_b128 s[4:7], s[0:1], 0x8
	s_load_b32 s2, s[0:1], 0x18
	v_ashrrev_i32_e32 v57, 31, v56
	v_and_b32_e32 v74, 0x3ff, v0
	v_lshlrev_b32_e32 v29, 4, v28
	s_mulk_i32 s10, 0x70
	v_mad_u32_u24 v76, 0x70, v28, 0
	v_lshlrev_b64 v[1:2], 3, v[56:57]
	v_lshlrev_b32_e32 v13, 4, v74
	v_add3_u32 v75, 0, s10, v29
	s_waitcnt lgkmcnt(0)
	s_delay_alu instid0(VALU_DEP_3) | instskip(NEXT) | instid1(VALU_DEP_4)
	v_add_co_u32 v1, vcc_lo, s4, v1
	v_add_co_ci_u32_e32 v2, vcc_lo, s5, v2, vcc_lo
	v_add3_u32 v3, s2, s2, v74
	s_lshl_b64 s[4:5], s[6:7], 4
	s_ashr_i32 s3, s2, 31
	global_load_b64 v[1:2], v[1:2], off
	s_lshl_b64 s[6:7], s[2:3], 4
	v_add_nc_u32_e32 v5, s2, v3
	v_ashrrev_i32_e32 v4, 31, v3
	v_cmp_ne_u32_e64 s3, 0, v74
	s_delay_alu instid0(VALU_DEP_3) | instskip(SKIP_1) | instid1(VALU_DEP_4)
	v_add_nc_u32_e32 v7, s2, v5
	v_ashrrev_i32_e32 v6, 31, v5
	v_lshlrev_b64 v[3:4], 4, v[3:4]
	s_delay_alu instid0(VALU_DEP_3) | instskip(SKIP_1) | instid1(VALU_DEP_4)
	v_add_nc_u32_e32 v9, s2, v7
	v_ashrrev_i32_e32 v8, 31, v7
	v_lshlrev_b64 v[5:6], 4, v[5:6]
	;; [unrolled: 4-line block ×3, first 2 shown]
	v_cmp_eq_u32_e64 s2, 0, v74
	s_delay_alu instid0(VALU_DEP_4) | instskip(NEXT) | instid1(VALU_DEP_4)
	v_ashrrev_i32_e32 v12, 31, v11
	v_lshlrev_b64 v[9:10], 4, v[9:10]
	s_waitcnt vmcnt(0)
	v_add_co_u32 v14, vcc_lo, v1, s4
	v_add_co_ci_u32_e32 v2, vcc_lo, s5, v2, vcc_lo
	v_lshlrev_b64 v[0:1], 4, v[11:12]
	s_delay_alu instid0(VALU_DEP_3) | instskip(NEXT) | instid1(VALU_DEP_3)
	v_add_co_u32 v68, vcc_lo, v14, v13
	v_add_co_ci_u32_e32 v69, vcc_lo, 0, v2, vcc_lo
	v_add_co_u32 v66, vcc_lo, v14, v3
	v_add_co_ci_u32_e32 v67, vcc_lo, v2, v4, vcc_lo
	;; [unrolled: 2-line block ×7, first 2 shown]
	s_clause 0x6
	global_load_b128 v[16:19], v[66:67], off
	global_load_b128 v[12:15], v[64:65], off
	;; [unrolled: 1-line block ×7, first 2 shown]
	s_and_saveexec_b32 s5, s2
	s_cbranch_execz .LBB13_8
; %bb.2:
	s_waitcnt vmcnt(2)
	ds_store_2addr_b64 v75, v[24:25], v[26:27] offset1:1
	s_waitcnt vmcnt(1)
	ds_store_2addr_b64 v76, v[20:21], v[22:23] offset0:2 offset1:3
	ds_store_2addr_b64 v76, v[16:17], v[18:19] offset0:4 offset1:5
	;; [unrolled: 1-line block ×5, first 2 shown]
	s_waitcnt vmcnt(0)
	ds_store_2addr_b64 v76, v[0:1], v[2:3] offset0:12 offset1:13
	ds_load_2addr_b64 v[28:31], v75 offset1:1
	s_waitcnt lgkmcnt(0)
	v_cmp_neq_f64_e32 vcc_lo, 0, v[28:29]
	v_cmp_neq_f64_e64 s4, 0, v[30:31]
	s_delay_alu instid0(VALU_DEP_1) | instskip(NEXT) | instid1(SALU_CYCLE_1)
	s_or_b32 s4, vcc_lo, s4
	s_and_b32 exec_lo, exec_lo, s4
	s_cbranch_execz .LBB13_8
; %bb.3:
	v_cmp_gt_f64_e32 vcc_lo, 0, v[28:29]
	v_cmp_gt_f64_e64 s4, 0, v[30:31]
	v_xor_b32_e32 v32, 0x80000000, v29
	v_xor_b32_e32 v34, 0x80000000, v31
                                        ; implicit-def: $vgpr36_vgpr37
	s_delay_alu instid0(VALU_DEP_2) | instskip(NEXT) | instid1(VALU_DEP_2)
	v_cndmask_b32_e32 v33, v29, v32, vcc_lo
	v_cndmask_b32_e64 v35, v31, v34, s4
	v_cndmask_b32_e32 v32, v28, v28, vcc_lo
	v_cndmask_b32_e64 v34, v30, v30, s4
	s_mov_b32 s4, exec_lo
	s_delay_alu instid0(VALU_DEP_1)
	v_cmpx_ngt_f64_e32 v[32:33], v[34:35]
	s_xor_b32 s4, exec_lo, s4
                                        ; implicit-def: $vgpr32_vgpr33_vgpr34_vgpr35
	s_cbranch_execz .LBB13_5
; %bb.4:
	v_div_scale_f64 v[32:33], null, v[30:31], v[30:31], v[28:29]
	v_div_scale_f64 v[38:39], vcc_lo, v[28:29], v[30:31], v[28:29]
	s_delay_alu instid0(VALU_DEP_2) | instskip(SKIP_2) | instid1(VALU_DEP_1)
	v_rcp_f64_e32 v[34:35], v[32:33]
	s_waitcnt_depctr 0xfff
	v_fma_f64 v[36:37], -v[32:33], v[34:35], 1.0
	v_fma_f64 v[34:35], v[34:35], v[36:37], v[34:35]
	s_delay_alu instid0(VALU_DEP_1) | instskip(NEXT) | instid1(VALU_DEP_1)
	v_fma_f64 v[36:37], -v[32:33], v[34:35], 1.0
	v_fma_f64 v[34:35], v[34:35], v[36:37], v[34:35]
	s_delay_alu instid0(VALU_DEP_1) | instskip(NEXT) | instid1(VALU_DEP_1)
	v_mul_f64 v[36:37], v[38:39], v[34:35]
	v_fma_f64 v[32:33], -v[32:33], v[36:37], v[38:39]
	s_delay_alu instid0(VALU_DEP_1) | instskip(NEXT) | instid1(VALU_DEP_1)
	v_div_fmas_f64 v[32:33], v[32:33], v[34:35], v[36:37]
	v_div_fixup_f64 v[32:33], v[32:33], v[30:31], v[28:29]
	s_delay_alu instid0(VALU_DEP_1) | instskip(NEXT) | instid1(VALU_DEP_1)
	v_fma_f64 v[28:29], v[28:29], v[32:33], v[30:31]
	v_div_scale_f64 v[30:31], null, v[28:29], v[28:29], 1.0
	s_delay_alu instid0(VALU_DEP_1) | instskip(SKIP_2) | instid1(VALU_DEP_1)
	v_rcp_f64_e32 v[34:35], v[30:31]
	s_waitcnt_depctr 0xfff
	v_fma_f64 v[36:37], -v[30:31], v[34:35], 1.0
	v_fma_f64 v[34:35], v[34:35], v[36:37], v[34:35]
	s_delay_alu instid0(VALU_DEP_1) | instskip(NEXT) | instid1(VALU_DEP_1)
	v_fma_f64 v[36:37], -v[30:31], v[34:35], 1.0
	v_fma_f64 v[34:35], v[34:35], v[36:37], v[34:35]
	v_div_scale_f64 v[36:37], vcc_lo, 1.0, v[28:29], 1.0
	s_delay_alu instid0(VALU_DEP_1) | instskip(NEXT) | instid1(VALU_DEP_1)
	v_mul_f64 v[38:39], v[36:37], v[34:35]
	v_fma_f64 v[30:31], -v[30:31], v[38:39], v[36:37]
	s_delay_alu instid0(VALU_DEP_1) | instskip(NEXT) | instid1(VALU_DEP_1)
	v_div_fmas_f64 v[30:31], v[30:31], v[34:35], v[38:39]
	v_div_fixup_f64 v[34:35], v[30:31], v[28:29], 1.0
                                        ; implicit-def: $vgpr28_vgpr29
	s_delay_alu instid0(VALU_DEP_1)
	v_mul_f64 v[36:37], v[32:33], v[34:35]
	v_xor_b32_e32 v35, 0x80000000, v35
.LBB13_5:
	s_and_not1_saveexec_b32 s4, s4
	s_cbranch_execz .LBB13_7
; %bb.6:
	v_div_scale_f64 v[32:33], null, v[28:29], v[28:29], v[30:31]
	v_div_scale_f64 v[38:39], vcc_lo, v[30:31], v[28:29], v[30:31]
	s_delay_alu instid0(VALU_DEP_2) | instskip(SKIP_2) | instid1(VALU_DEP_1)
	v_rcp_f64_e32 v[34:35], v[32:33]
	s_waitcnt_depctr 0xfff
	v_fma_f64 v[36:37], -v[32:33], v[34:35], 1.0
	v_fma_f64 v[34:35], v[34:35], v[36:37], v[34:35]
	s_delay_alu instid0(VALU_DEP_1) | instskip(NEXT) | instid1(VALU_DEP_1)
	v_fma_f64 v[36:37], -v[32:33], v[34:35], 1.0
	v_fma_f64 v[34:35], v[34:35], v[36:37], v[34:35]
	s_delay_alu instid0(VALU_DEP_1) | instskip(NEXT) | instid1(VALU_DEP_1)
	v_mul_f64 v[36:37], v[38:39], v[34:35]
	v_fma_f64 v[32:33], -v[32:33], v[36:37], v[38:39]
	s_delay_alu instid0(VALU_DEP_1) | instskip(NEXT) | instid1(VALU_DEP_1)
	v_div_fmas_f64 v[32:33], v[32:33], v[34:35], v[36:37]
	v_div_fixup_f64 v[32:33], v[32:33], v[28:29], v[30:31]
	s_delay_alu instid0(VALU_DEP_1) | instskip(NEXT) | instid1(VALU_DEP_1)
	v_fma_f64 v[28:29], v[30:31], v[32:33], v[28:29]
	v_div_scale_f64 v[30:31], null, v[28:29], v[28:29], 1.0
	s_delay_alu instid0(VALU_DEP_1) | instskip(SKIP_2) | instid1(VALU_DEP_1)
	v_rcp_f64_e32 v[34:35], v[30:31]
	s_waitcnt_depctr 0xfff
	v_fma_f64 v[36:37], -v[30:31], v[34:35], 1.0
	v_fma_f64 v[34:35], v[34:35], v[36:37], v[34:35]
	s_delay_alu instid0(VALU_DEP_1) | instskip(NEXT) | instid1(VALU_DEP_1)
	v_fma_f64 v[36:37], -v[30:31], v[34:35], 1.0
	v_fma_f64 v[34:35], v[34:35], v[36:37], v[34:35]
	v_div_scale_f64 v[36:37], vcc_lo, 1.0, v[28:29], 1.0
	s_delay_alu instid0(VALU_DEP_1) | instskip(NEXT) | instid1(VALU_DEP_1)
	v_mul_f64 v[38:39], v[36:37], v[34:35]
	v_fma_f64 v[30:31], -v[30:31], v[38:39], v[36:37]
	s_delay_alu instid0(VALU_DEP_1) | instskip(NEXT) | instid1(VALU_DEP_1)
	v_div_fmas_f64 v[30:31], v[30:31], v[34:35], v[38:39]
	v_div_fixup_f64 v[36:37], v[30:31], v[28:29], 1.0
	s_delay_alu instid0(VALU_DEP_1)
	v_mul_f64 v[34:35], v[32:33], -v[36:37]
.LBB13_7:
	s_or_b32 exec_lo, exec_lo, s4
	ds_store_2addr_b64 v75, v[36:37], v[34:35] offset1:1
.LBB13_8:
	s_or_b32 exec_lo, exec_lo, s5
	s_waitcnt vmcnt(0) lgkmcnt(0)
	s_barrier
	buffer_gl0_inv
	ds_load_2addr_b64 v[28:31], v75 offset1:1
	s_and_saveexec_b32 s4, s3
	s_cbranch_execz .LBB13_10
; %bb.9:
	s_waitcnt lgkmcnt(0)
	v_mul_f64 v[32:33], v[28:29], v[26:27]
	v_mul_f64 v[26:27], v[30:31], v[26:27]
	s_delay_alu instid0(VALU_DEP_2)
	v_fma_f64 v[72:73], v[30:31], v[24:25], v[32:33]
	ds_load_2addr_b64 v[32:35], v76 offset0:2 offset1:3
	ds_load_2addr_b64 v[36:39], v76 offset0:4 offset1:5
	ds_load_2addr_b64 v[40:43], v76 offset0:6 offset1:7
	ds_load_2addr_b64 v[44:47], v76 offset0:8 offset1:9
	ds_load_2addr_b64 v[48:51], v76 offset0:10 offset1:11
	ds_load_2addr_b64 v[52:55], v76 offset0:12 offset1:13
	v_fma_f64 v[24:25], v[28:29], v[24:25], -v[26:27]
	s_waitcnt lgkmcnt(5)
	v_mul_f64 v[26:27], v[34:35], v[72:73]
	v_mul_f64 v[77:78], v[32:33], v[72:73]
	s_waitcnt lgkmcnt(4)
	v_mul_f64 v[79:80], v[38:39], v[72:73]
	v_mul_f64 v[81:82], v[36:37], v[72:73]
	;; [unrolled: 3-line block ×6, first 2 shown]
	v_fma_f64 v[26:27], v[32:33], v[24:25], -v[26:27]
	v_fma_f64 v[32:33], v[34:35], v[24:25], v[77:78]
	v_fma_f64 v[34:35], v[36:37], v[24:25], -v[79:80]
	v_fma_f64 v[36:37], v[38:39], v[24:25], v[81:82]
	;; [unrolled: 2-line block ×6, first 2 shown]
	v_add_f64 v[20:21], v[20:21], -v[26:27]
	v_add_f64 v[22:23], v[22:23], -v[32:33]
	;; [unrolled: 1-line block ×12, first 2 shown]
	v_dual_mov_b32 v26, v72 :: v_dual_mov_b32 v27, v73
.LBB13_10:
	s_or_b32 exec_lo, exec_lo, s4
	s_delay_alu instid0(SALU_CYCLE_1)
	s_mov_b32 s4, exec_lo
	s_waitcnt lgkmcnt(0)
	s_barrier
	buffer_gl0_inv
	v_cmpx_eq_u32_e32 1, v74
	s_cbranch_execz .LBB13_17
; %bb.11:
	ds_store_2addr_b64 v75, v[20:21], v[22:23] offset1:1
	ds_store_2addr_b64 v76, v[16:17], v[18:19] offset0:4 offset1:5
	ds_store_2addr_b64 v76, v[12:13], v[14:15] offset0:6 offset1:7
	;; [unrolled: 1-line block ×5, first 2 shown]
	ds_load_2addr_b64 v[32:35], v75 offset1:1
	s_waitcnt lgkmcnt(0)
	v_cmp_neq_f64_e32 vcc_lo, 0, v[32:33]
	v_cmp_neq_f64_e64 s3, 0, v[34:35]
	s_delay_alu instid0(VALU_DEP_1) | instskip(NEXT) | instid1(SALU_CYCLE_1)
	s_or_b32 s3, vcc_lo, s3
	s_and_b32 exec_lo, exec_lo, s3
	s_cbranch_execz .LBB13_17
; %bb.12:
	v_cmp_gt_f64_e32 vcc_lo, 0, v[32:33]
	v_cmp_gt_f64_e64 s3, 0, v[34:35]
	v_xor_b32_e32 v36, 0x80000000, v33
	v_xor_b32_e32 v38, 0x80000000, v35
                                        ; implicit-def: $vgpr40_vgpr41
	s_delay_alu instid0(VALU_DEP_2) | instskip(NEXT) | instid1(VALU_DEP_2)
	v_cndmask_b32_e32 v37, v33, v36, vcc_lo
	v_cndmask_b32_e64 v39, v35, v38, s3
	v_cndmask_b32_e32 v36, v32, v32, vcc_lo
	v_cndmask_b32_e64 v38, v34, v34, s3
	s_mov_b32 s3, exec_lo
	s_delay_alu instid0(VALU_DEP_1)
	v_cmpx_ngt_f64_e32 v[36:37], v[38:39]
	s_xor_b32 s3, exec_lo, s3
                                        ; implicit-def: $vgpr36_vgpr37_vgpr38_vgpr39
	s_cbranch_execz .LBB13_14
; %bb.13:
	v_div_scale_f64 v[36:37], null, v[34:35], v[34:35], v[32:33]
	v_div_scale_f64 v[42:43], vcc_lo, v[32:33], v[34:35], v[32:33]
	s_delay_alu instid0(VALU_DEP_2) | instskip(SKIP_2) | instid1(VALU_DEP_1)
	v_rcp_f64_e32 v[38:39], v[36:37]
	s_waitcnt_depctr 0xfff
	v_fma_f64 v[40:41], -v[36:37], v[38:39], 1.0
	v_fma_f64 v[38:39], v[38:39], v[40:41], v[38:39]
	s_delay_alu instid0(VALU_DEP_1) | instskip(NEXT) | instid1(VALU_DEP_1)
	v_fma_f64 v[40:41], -v[36:37], v[38:39], 1.0
	v_fma_f64 v[38:39], v[38:39], v[40:41], v[38:39]
	s_delay_alu instid0(VALU_DEP_1) | instskip(NEXT) | instid1(VALU_DEP_1)
	v_mul_f64 v[40:41], v[42:43], v[38:39]
	v_fma_f64 v[36:37], -v[36:37], v[40:41], v[42:43]
	s_delay_alu instid0(VALU_DEP_1) | instskip(NEXT) | instid1(VALU_DEP_1)
	v_div_fmas_f64 v[36:37], v[36:37], v[38:39], v[40:41]
	v_div_fixup_f64 v[36:37], v[36:37], v[34:35], v[32:33]
	s_delay_alu instid0(VALU_DEP_1) | instskip(NEXT) | instid1(VALU_DEP_1)
	v_fma_f64 v[32:33], v[32:33], v[36:37], v[34:35]
	v_div_scale_f64 v[34:35], null, v[32:33], v[32:33], 1.0
	s_delay_alu instid0(VALU_DEP_1) | instskip(SKIP_2) | instid1(VALU_DEP_1)
	v_rcp_f64_e32 v[38:39], v[34:35]
	s_waitcnt_depctr 0xfff
	v_fma_f64 v[40:41], -v[34:35], v[38:39], 1.0
	v_fma_f64 v[38:39], v[38:39], v[40:41], v[38:39]
	s_delay_alu instid0(VALU_DEP_1) | instskip(NEXT) | instid1(VALU_DEP_1)
	v_fma_f64 v[40:41], -v[34:35], v[38:39], 1.0
	v_fma_f64 v[38:39], v[38:39], v[40:41], v[38:39]
	v_div_scale_f64 v[40:41], vcc_lo, 1.0, v[32:33], 1.0
	s_delay_alu instid0(VALU_DEP_1) | instskip(NEXT) | instid1(VALU_DEP_1)
	v_mul_f64 v[42:43], v[40:41], v[38:39]
	v_fma_f64 v[34:35], -v[34:35], v[42:43], v[40:41]
	s_delay_alu instid0(VALU_DEP_1) | instskip(NEXT) | instid1(VALU_DEP_1)
	v_div_fmas_f64 v[34:35], v[34:35], v[38:39], v[42:43]
	v_div_fixup_f64 v[38:39], v[34:35], v[32:33], 1.0
                                        ; implicit-def: $vgpr32_vgpr33
	s_delay_alu instid0(VALU_DEP_1)
	v_mul_f64 v[40:41], v[36:37], v[38:39]
	v_xor_b32_e32 v39, 0x80000000, v39
.LBB13_14:
	s_and_not1_saveexec_b32 s3, s3
	s_cbranch_execz .LBB13_16
; %bb.15:
	v_div_scale_f64 v[36:37], null, v[32:33], v[32:33], v[34:35]
	v_div_scale_f64 v[42:43], vcc_lo, v[34:35], v[32:33], v[34:35]
	s_delay_alu instid0(VALU_DEP_2) | instskip(SKIP_2) | instid1(VALU_DEP_1)
	v_rcp_f64_e32 v[38:39], v[36:37]
	s_waitcnt_depctr 0xfff
	v_fma_f64 v[40:41], -v[36:37], v[38:39], 1.0
	v_fma_f64 v[38:39], v[38:39], v[40:41], v[38:39]
	s_delay_alu instid0(VALU_DEP_1) | instskip(NEXT) | instid1(VALU_DEP_1)
	v_fma_f64 v[40:41], -v[36:37], v[38:39], 1.0
	v_fma_f64 v[38:39], v[38:39], v[40:41], v[38:39]
	s_delay_alu instid0(VALU_DEP_1) | instskip(NEXT) | instid1(VALU_DEP_1)
	v_mul_f64 v[40:41], v[42:43], v[38:39]
	v_fma_f64 v[36:37], -v[36:37], v[40:41], v[42:43]
	s_delay_alu instid0(VALU_DEP_1) | instskip(NEXT) | instid1(VALU_DEP_1)
	v_div_fmas_f64 v[36:37], v[36:37], v[38:39], v[40:41]
	v_div_fixup_f64 v[36:37], v[36:37], v[32:33], v[34:35]
	s_delay_alu instid0(VALU_DEP_1) | instskip(NEXT) | instid1(VALU_DEP_1)
	v_fma_f64 v[32:33], v[34:35], v[36:37], v[32:33]
	v_div_scale_f64 v[34:35], null, v[32:33], v[32:33], 1.0
	s_delay_alu instid0(VALU_DEP_1) | instskip(SKIP_2) | instid1(VALU_DEP_1)
	v_rcp_f64_e32 v[38:39], v[34:35]
	s_waitcnt_depctr 0xfff
	v_fma_f64 v[40:41], -v[34:35], v[38:39], 1.0
	v_fma_f64 v[38:39], v[38:39], v[40:41], v[38:39]
	s_delay_alu instid0(VALU_DEP_1) | instskip(NEXT) | instid1(VALU_DEP_1)
	v_fma_f64 v[40:41], -v[34:35], v[38:39], 1.0
	v_fma_f64 v[38:39], v[38:39], v[40:41], v[38:39]
	v_div_scale_f64 v[40:41], vcc_lo, 1.0, v[32:33], 1.0
	s_delay_alu instid0(VALU_DEP_1) | instskip(NEXT) | instid1(VALU_DEP_1)
	v_mul_f64 v[42:43], v[40:41], v[38:39]
	v_fma_f64 v[34:35], -v[34:35], v[42:43], v[40:41]
	s_delay_alu instid0(VALU_DEP_1) | instskip(NEXT) | instid1(VALU_DEP_1)
	v_div_fmas_f64 v[34:35], v[34:35], v[38:39], v[42:43]
	v_div_fixup_f64 v[40:41], v[34:35], v[32:33], 1.0
	s_delay_alu instid0(VALU_DEP_1)
	v_mul_f64 v[38:39], v[36:37], -v[40:41]
.LBB13_16:
	s_or_b32 exec_lo, exec_lo, s3
	ds_store_2addr_b64 v75, v[40:41], v[38:39] offset1:1
.LBB13_17:
	s_or_b32 exec_lo, exec_lo, s4
	s_waitcnt lgkmcnt(0)
	s_barrier
	buffer_gl0_inv
	ds_load_2addr_b64 v[32:35], v75 offset1:1
	s_mov_b32 s3, exec_lo
	v_cmpx_lt_u32_e32 1, v74
	s_cbranch_execz .LBB13_19
; %bb.18:
	s_waitcnt lgkmcnt(0)
	v_mul_f64 v[36:37], v[32:33], v[22:23]
	v_mul_f64 v[22:23], v[34:35], v[22:23]
	s_delay_alu instid0(VALU_DEP_2)
	v_fma_f64 v[72:73], v[34:35], v[20:21], v[36:37]
	ds_load_2addr_b64 v[36:39], v76 offset0:4 offset1:5
	ds_load_2addr_b64 v[40:43], v76 offset0:6 offset1:7
	;; [unrolled: 1-line block ×5, first 2 shown]
	v_fma_f64 v[20:21], v[32:33], v[20:21], -v[22:23]
	s_waitcnt lgkmcnt(4)
	v_mul_f64 v[22:23], v[38:39], v[72:73]
	v_mul_f64 v[77:78], v[36:37], v[72:73]
	s_waitcnt lgkmcnt(3)
	v_mul_f64 v[79:80], v[42:43], v[72:73]
	v_mul_f64 v[81:82], v[40:41], v[72:73]
	;; [unrolled: 3-line block ×5, first 2 shown]
	v_fma_f64 v[22:23], v[36:37], v[20:21], -v[22:23]
	v_fma_f64 v[36:37], v[38:39], v[20:21], v[77:78]
	v_fma_f64 v[38:39], v[40:41], v[20:21], -v[79:80]
	v_fma_f64 v[40:41], v[42:43], v[20:21], v[81:82]
	;; [unrolled: 2-line block ×5, first 2 shown]
	v_add_f64 v[16:17], v[16:17], -v[22:23]
	v_add_f64 v[18:19], v[18:19], -v[36:37]
	;; [unrolled: 1-line block ×10, first 2 shown]
	v_dual_mov_b32 v22, v72 :: v_dual_mov_b32 v23, v73
.LBB13_19:
	s_or_b32 exec_lo, exec_lo, s3
	s_delay_alu instid0(SALU_CYCLE_1)
	s_mov_b32 s4, exec_lo
	s_waitcnt lgkmcnt(0)
	s_barrier
	buffer_gl0_inv
	v_cmpx_eq_u32_e32 2, v74
	s_cbranch_execz .LBB13_26
; %bb.20:
	ds_store_2addr_b64 v75, v[16:17], v[18:19] offset1:1
	ds_store_2addr_b64 v76, v[12:13], v[14:15] offset0:6 offset1:7
	ds_store_2addr_b64 v76, v[8:9], v[10:11] offset0:8 offset1:9
	;; [unrolled: 1-line block ×4, first 2 shown]
	ds_load_2addr_b64 v[36:39], v75 offset1:1
	s_waitcnt lgkmcnt(0)
	v_cmp_neq_f64_e32 vcc_lo, 0, v[36:37]
	v_cmp_neq_f64_e64 s3, 0, v[38:39]
	s_delay_alu instid0(VALU_DEP_1) | instskip(NEXT) | instid1(SALU_CYCLE_1)
	s_or_b32 s3, vcc_lo, s3
	s_and_b32 exec_lo, exec_lo, s3
	s_cbranch_execz .LBB13_26
; %bb.21:
	v_cmp_gt_f64_e32 vcc_lo, 0, v[36:37]
	v_cmp_gt_f64_e64 s3, 0, v[38:39]
	v_xor_b32_e32 v40, 0x80000000, v37
	v_xor_b32_e32 v42, 0x80000000, v39
                                        ; implicit-def: $vgpr44_vgpr45
	s_delay_alu instid0(VALU_DEP_2) | instskip(NEXT) | instid1(VALU_DEP_2)
	v_cndmask_b32_e32 v41, v37, v40, vcc_lo
	v_cndmask_b32_e64 v43, v39, v42, s3
	v_cndmask_b32_e32 v40, v36, v36, vcc_lo
	v_cndmask_b32_e64 v42, v38, v38, s3
	s_mov_b32 s3, exec_lo
	s_delay_alu instid0(VALU_DEP_1)
	v_cmpx_ngt_f64_e32 v[40:41], v[42:43]
	s_xor_b32 s3, exec_lo, s3
                                        ; implicit-def: $vgpr40_vgpr41_vgpr42_vgpr43
	s_cbranch_execz .LBB13_23
; %bb.22:
	v_div_scale_f64 v[40:41], null, v[38:39], v[38:39], v[36:37]
	v_div_scale_f64 v[46:47], vcc_lo, v[36:37], v[38:39], v[36:37]
	s_delay_alu instid0(VALU_DEP_2) | instskip(SKIP_2) | instid1(VALU_DEP_1)
	v_rcp_f64_e32 v[42:43], v[40:41]
	s_waitcnt_depctr 0xfff
	v_fma_f64 v[44:45], -v[40:41], v[42:43], 1.0
	v_fma_f64 v[42:43], v[42:43], v[44:45], v[42:43]
	s_delay_alu instid0(VALU_DEP_1) | instskip(NEXT) | instid1(VALU_DEP_1)
	v_fma_f64 v[44:45], -v[40:41], v[42:43], 1.0
	v_fma_f64 v[42:43], v[42:43], v[44:45], v[42:43]
	s_delay_alu instid0(VALU_DEP_1) | instskip(NEXT) | instid1(VALU_DEP_1)
	v_mul_f64 v[44:45], v[46:47], v[42:43]
	v_fma_f64 v[40:41], -v[40:41], v[44:45], v[46:47]
	s_delay_alu instid0(VALU_DEP_1) | instskip(NEXT) | instid1(VALU_DEP_1)
	v_div_fmas_f64 v[40:41], v[40:41], v[42:43], v[44:45]
	v_div_fixup_f64 v[40:41], v[40:41], v[38:39], v[36:37]
	s_delay_alu instid0(VALU_DEP_1) | instskip(NEXT) | instid1(VALU_DEP_1)
	v_fma_f64 v[36:37], v[36:37], v[40:41], v[38:39]
	v_div_scale_f64 v[38:39], null, v[36:37], v[36:37], 1.0
	s_delay_alu instid0(VALU_DEP_1) | instskip(SKIP_2) | instid1(VALU_DEP_1)
	v_rcp_f64_e32 v[42:43], v[38:39]
	s_waitcnt_depctr 0xfff
	v_fma_f64 v[44:45], -v[38:39], v[42:43], 1.0
	v_fma_f64 v[42:43], v[42:43], v[44:45], v[42:43]
	s_delay_alu instid0(VALU_DEP_1) | instskip(NEXT) | instid1(VALU_DEP_1)
	v_fma_f64 v[44:45], -v[38:39], v[42:43], 1.0
	v_fma_f64 v[42:43], v[42:43], v[44:45], v[42:43]
	v_div_scale_f64 v[44:45], vcc_lo, 1.0, v[36:37], 1.0
	s_delay_alu instid0(VALU_DEP_1) | instskip(NEXT) | instid1(VALU_DEP_1)
	v_mul_f64 v[46:47], v[44:45], v[42:43]
	v_fma_f64 v[38:39], -v[38:39], v[46:47], v[44:45]
	s_delay_alu instid0(VALU_DEP_1) | instskip(NEXT) | instid1(VALU_DEP_1)
	v_div_fmas_f64 v[38:39], v[38:39], v[42:43], v[46:47]
	v_div_fixup_f64 v[42:43], v[38:39], v[36:37], 1.0
                                        ; implicit-def: $vgpr36_vgpr37
	s_delay_alu instid0(VALU_DEP_1)
	v_mul_f64 v[44:45], v[40:41], v[42:43]
	v_xor_b32_e32 v43, 0x80000000, v43
.LBB13_23:
	s_and_not1_saveexec_b32 s3, s3
	s_cbranch_execz .LBB13_25
; %bb.24:
	v_div_scale_f64 v[40:41], null, v[36:37], v[36:37], v[38:39]
	v_div_scale_f64 v[46:47], vcc_lo, v[38:39], v[36:37], v[38:39]
	s_delay_alu instid0(VALU_DEP_2) | instskip(SKIP_2) | instid1(VALU_DEP_1)
	v_rcp_f64_e32 v[42:43], v[40:41]
	s_waitcnt_depctr 0xfff
	v_fma_f64 v[44:45], -v[40:41], v[42:43], 1.0
	v_fma_f64 v[42:43], v[42:43], v[44:45], v[42:43]
	s_delay_alu instid0(VALU_DEP_1) | instskip(NEXT) | instid1(VALU_DEP_1)
	v_fma_f64 v[44:45], -v[40:41], v[42:43], 1.0
	v_fma_f64 v[42:43], v[42:43], v[44:45], v[42:43]
	s_delay_alu instid0(VALU_DEP_1) | instskip(NEXT) | instid1(VALU_DEP_1)
	v_mul_f64 v[44:45], v[46:47], v[42:43]
	v_fma_f64 v[40:41], -v[40:41], v[44:45], v[46:47]
	s_delay_alu instid0(VALU_DEP_1) | instskip(NEXT) | instid1(VALU_DEP_1)
	v_div_fmas_f64 v[40:41], v[40:41], v[42:43], v[44:45]
	v_div_fixup_f64 v[40:41], v[40:41], v[36:37], v[38:39]
	s_delay_alu instid0(VALU_DEP_1) | instskip(NEXT) | instid1(VALU_DEP_1)
	v_fma_f64 v[36:37], v[38:39], v[40:41], v[36:37]
	v_div_scale_f64 v[38:39], null, v[36:37], v[36:37], 1.0
	s_delay_alu instid0(VALU_DEP_1) | instskip(SKIP_2) | instid1(VALU_DEP_1)
	v_rcp_f64_e32 v[42:43], v[38:39]
	s_waitcnt_depctr 0xfff
	v_fma_f64 v[44:45], -v[38:39], v[42:43], 1.0
	v_fma_f64 v[42:43], v[42:43], v[44:45], v[42:43]
	s_delay_alu instid0(VALU_DEP_1) | instskip(NEXT) | instid1(VALU_DEP_1)
	v_fma_f64 v[44:45], -v[38:39], v[42:43], 1.0
	v_fma_f64 v[42:43], v[42:43], v[44:45], v[42:43]
	v_div_scale_f64 v[44:45], vcc_lo, 1.0, v[36:37], 1.0
	s_delay_alu instid0(VALU_DEP_1) | instskip(NEXT) | instid1(VALU_DEP_1)
	v_mul_f64 v[46:47], v[44:45], v[42:43]
	v_fma_f64 v[38:39], -v[38:39], v[46:47], v[44:45]
	s_delay_alu instid0(VALU_DEP_1) | instskip(NEXT) | instid1(VALU_DEP_1)
	v_div_fmas_f64 v[38:39], v[38:39], v[42:43], v[46:47]
	v_div_fixup_f64 v[44:45], v[38:39], v[36:37], 1.0
	s_delay_alu instid0(VALU_DEP_1)
	v_mul_f64 v[42:43], v[40:41], -v[44:45]
.LBB13_25:
	s_or_b32 exec_lo, exec_lo, s3
	ds_store_2addr_b64 v75, v[44:45], v[42:43] offset1:1
.LBB13_26:
	s_or_b32 exec_lo, exec_lo, s4
	s_waitcnt lgkmcnt(0)
	s_barrier
	buffer_gl0_inv
	ds_load_2addr_b64 v[36:39], v75 offset1:1
	s_mov_b32 s3, exec_lo
	v_cmpx_lt_u32_e32 2, v74
	s_cbranch_execz .LBB13_28
; %bb.27:
	s_waitcnt lgkmcnt(0)
	v_mul_f64 v[40:41], v[36:37], v[18:19]
	v_mul_f64 v[18:19], v[38:39], v[18:19]
	s_delay_alu instid0(VALU_DEP_2)
	v_fma_f64 v[72:73], v[38:39], v[16:17], v[40:41]
	ds_load_2addr_b64 v[40:43], v76 offset0:6 offset1:7
	ds_load_2addr_b64 v[44:47], v76 offset0:8 offset1:9
	;; [unrolled: 1-line block ×4, first 2 shown]
	v_fma_f64 v[16:17], v[36:37], v[16:17], -v[18:19]
	s_waitcnt lgkmcnt(3)
	v_mul_f64 v[18:19], v[42:43], v[72:73]
	v_mul_f64 v[77:78], v[40:41], v[72:73]
	s_waitcnt lgkmcnt(2)
	v_mul_f64 v[79:80], v[46:47], v[72:73]
	v_mul_f64 v[81:82], v[44:45], v[72:73]
	;; [unrolled: 3-line block ×4, first 2 shown]
	v_fma_f64 v[18:19], v[40:41], v[16:17], -v[18:19]
	v_fma_f64 v[40:41], v[42:43], v[16:17], v[77:78]
	v_fma_f64 v[42:43], v[44:45], v[16:17], -v[79:80]
	v_fma_f64 v[44:45], v[46:47], v[16:17], v[81:82]
	;; [unrolled: 2-line block ×4, first 2 shown]
	v_add_f64 v[12:13], v[12:13], -v[18:19]
	v_add_f64 v[14:15], v[14:15], -v[40:41]
	v_add_f64 v[8:9], v[8:9], -v[42:43]
	v_add_f64 v[10:11], v[10:11], -v[44:45]
	v_add_f64 v[4:5], v[4:5], -v[46:47]
	v_add_f64 v[6:7], v[6:7], -v[48:49]
	v_add_f64 v[0:1], v[0:1], -v[50:51]
	v_add_f64 v[2:3], v[2:3], -v[52:53]
	v_dual_mov_b32 v18, v72 :: v_dual_mov_b32 v19, v73
.LBB13_28:
	s_or_b32 exec_lo, exec_lo, s3
	s_delay_alu instid0(SALU_CYCLE_1)
	s_mov_b32 s4, exec_lo
	s_waitcnt lgkmcnt(0)
	s_barrier
	buffer_gl0_inv
	v_cmpx_eq_u32_e32 3, v74
	s_cbranch_execz .LBB13_35
; %bb.29:
	ds_store_2addr_b64 v75, v[12:13], v[14:15] offset1:1
	ds_store_2addr_b64 v76, v[8:9], v[10:11] offset0:8 offset1:9
	ds_store_2addr_b64 v76, v[4:5], v[6:7] offset0:10 offset1:11
	;; [unrolled: 1-line block ×3, first 2 shown]
	ds_load_2addr_b64 v[40:43], v75 offset1:1
	s_waitcnt lgkmcnt(0)
	v_cmp_neq_f64_e32 vcc_lo, 0, v[40:41]
	v_cmp_neq_f64_e64 s3, 0, v[42:43]
	s_delay_alu instid0(VALU_DEP_1) | instskip(NEXT) | instid1(SALU_CYCLE_1)
	s_or_b32 s3, vcc_lo, s3
	s_and_b32 exec_lo, exec_lo, s3
	s_cbranch_execz .LBB13_35
; %bb.30:
	v_cmp_gt_f64_e32 vcc_lo, 0, v[40:41]
	v_cmp_gt_f64_e64 s3, 0, v[42:43]
	v_xor_b32_e32 v44, 0x80000000, v41
	v_xor_b32_e32 v46, 0x80000000, v43
                                        ; implicit-def: $vgpr48_vgpr49
	s_delay_alu instid0(VALU_DEP_2) | instskip(NEXT) | instid1(VALU_DEP_2)
	v_cndmask_b32_e32 v45, v41, v44, vcc_lo
	v_cndmask_b32_e64 v47, v43, v46, s3
	v_cndmask_b32_e32 v44, v40, v40, vcc_lo
	v_cndmask_b32_e64 v46, v42, v42, s3
	s_mov_b32 s3, exec_lo
	s_delay_alu instid0(VALU_DEP_1)
	v_cmpx_ngt_f64_e32 v[44:45], v[46:47]
	s_xor_b32 s3, exec_lo, s3
                                        ; implicit-def: $vgpr44_vgpr45_vgpr46_vgpr47
	s_cbranch_execz .LBB13_32
; %bb.31:
	v_div_scale_f64 v[44:45], null, v[42:43], v[42:43], v[40:41]
	v_div_scale_f64 v[50:51], vcc_lo, v[40:41], v[42:43], v[40:41]
	s_delay_alu instid0(VALU_DEP_2) | instskip(SKIP_2) | instid1(VALU_DEP_1)
	v_rcp_f64_e32 v[46:47], v[44:45]
	s_waitcnt_depctr 0xfff
	v_fma_f64 v[48:49], -v[44:45], v[46:47], 1.0
	v_fma_f64 v[46:47], v[46:47], v[48:49], v[46:47]
	s_delay_alu instid0(VALU_DEP_1) | instskip(NEXT) | instid1(VALU_DEP_1)
	v_fma_f64 v[48:49], -v[44:45], v[46:47], 1.0
	v_fma_f64 v[46:47], v[46:47], v[48:49], v[46:47]
	s_delay_alu instid0(VALU_DEP_1) | instskip(NEXT) | instid1(VALU_DEP_1)
	v_mul_f64 v[48:49], v[50:51], v[46:47]
	v_fma_f64 v[44:45], -v[44:45], v[48:49], v[50:51]
	s_delay_alu instid0(VALU_DEP_1) | instskip(NEXT) | instid1(VALU_DEP_1)
	v_div_fmas_f64 v[44:45], v[44:45], v[46:47], v[48:49]
	v_div_fixup_f64 v[44:45], v[44:45], v[42:43], v[40:41]
	s_delay_alu instid0(VALU_DEP_1) | instskip(NEXT) | instid1(VALU_DEP_1)
	v_fma_f64 v[40:41], v[40:41], v[44:45], v[42:43]
	v_div_scale_f64 v[42:43], null, v[40:41], v[40:41], 1.0
	s_delay_alu instid0(VALU_DEP_1) | instskip(SKIP_2) | instid1(VALU_DEP_1)
	v_rcp_f64_e32 v[46:47], v[42:43]
	s_waitcnt_depctr 0xfff
	v_fma_f64 v[48:49], -v[42:43], v[46:47], 1.0
	v_fma_f64 v[46:47], v[46:47], v[48:49], v[46:47]
	s_delay_alu instid0(VALU_DEP_1) | instskip(NEXT) | instid1(VALU_DEP_1)
	v_fma_f64 v[48:49], -v[42:43], v[46:47], 1.0
	v_fma_f64 v[46:47], v[46:47], v[48:49], v[46:47]
	v_div_scale_f64 v[48:49], vcc_lo, 1.0, v[40:41], 1.0
	s_delay_alu instid0(VALU_DEP_1) | instskip(NEXT) | instid1(VALU_DEP_1)
	v_mul_f64 v[50:51], v[48:49], v[46:47]
	v_fma_f64 v[42:43], -v[42:43], v[50:51], v[48:49]
	s_delay_alu instid0(VALU_DEP_1) | instskip(NEXT) | instid1(VALU_DEP_1)
	v_div_fmas_f64 v[42:43], v[42:43], v[46:47], v[50:51]
	v_div_fixup_f64 v[46:47], v[42:43], v[40:41], 1.0
                                        ; implicit-def: $vgpr40_vgpr41
	s_delay_alu instid0(VALU_DEP_1)
	v_mul_f64 v[48:49], v[44:45], v[46:47]
	v_xor_b32_e32 v47, 0x80000000, v47
.LBB13_32:
	s_and_not1_saveexec_b32 s3, s3
	s_cbranch_execz .LBB13_34
; %bb.33:
	v_div_scale_f64 v[44:45], null, v[40:41], v[40:41], v[42:43]
	v_div_scale_f64 v[50:51], vcc_lo, v[42:43], v[40:41], v[42:43]
	s_delay_alu instid0(VALU_DEP_2) | instskip(SKIP_2) | instid1(VALU_DEP_1)
	v_rcp_f64_e32 v[46:47], v[44:45]
	s_waitcnt_depctr 0xfff
	v_fma_f64 v[48:49], -v[44:45], v[46:47], 1.0
	v_fma_f64 v[46:47], v[46:47], v[48:49], v[46:47]
	s_delay_alu instid0(VALU_DEP_1) | instskip(NEXT) | instid1(VALU_DEP_1)
	v_fma_f64 v[48:49], -v[44:45], v[46:47], 1.0
	v_fma_f64 v[46:47], v[46:47], v[48:49], v[46:47]
	s_delay_alu instid0(VALU_DEP_1) | instskip(NEXT) | instid1(VALU_DEP_1)
	v_mul_f64 v[48:49], v[50:51], v[46:47]
	v_fma_f64 v[44:45], -v[44:45], v[48:49], v[50:51]
	s_delay_alu instid0(VALU_DEP_1) | instskip(NEXT) | instid1(VALU_DEP_1)
	v_div_fmas_f64 v[44:45], v[44:45], v[46:47], v[48:49]
	v_div_fixup_f64 v[44:45], v[44:45], v[40:41], v[42:43]
	s_delay_alu instid0(VALU_DEP_1) | instskip(NEXT) | instid1(VALU_DEP_1)
	v_fma_f64 v[40:41], v[42:43], v[44:45], v[40:41]
	v_div_scale_f64 v[42:43], null, v[40:41], v[40:41], 1.0
	s_delay_alu instid0(VALU_DEP_1) | instskip(SKIP_2) | instid1(VALU_DEP_1)
	v_rcp_f64_e32 v[46:47], v[42:43]
	s_waitcnt_depctr 0xfff
	v_fma_f64 v[48:49], -v[42:43], v[46:47], 1.0
	v_fma_f64 v[46:47], v[46:47], v[48:49], v[46:47]
	s_delay_alu instid0(VALU_DEP_1) | instskip(NEXT) | instid1(VALU_DEP_1)
	v_fma_f64 v[48:49], -v[42:43], v[46:47], 1.0
	v_fma_f64 v[46:47], v[46:47], v[48:49], v[46:47]
	v_div_scale_f64 v[48:49], vcc_lo, 1.0, v[40:41], 1.0
	s_delay_alu instid0(VALU_DEP_1) | instskip(NEXT) | instid1(VALU_DEP_1)
	v_mul_f64 v[50:51], v[48:49], v[46:47]
	v_fma_f64 v[42:43], -v[42:43], v[50:51], v[48:49]
	s_delay_alu instid0(VALU_DEP_1) | instskip(NEXT) | instid1(VALU_DEP_1)
	v_div_fmas_f64 v[42:43], v[42:43], v[46:47], v[50:51]
	v_div_fixup_f64 v[48:49], v[42:43], v[40:41], 1.0
	s_delay_alu instid0(VALU_DEP_1)
	v_mul_f64 v[46:47], v[44:45], -v[48:49]
.LBB13_34:
	s_or_b32 exec_lo, exec_lo, s3
	ds_store_2addr_b64 v75, v[48:49], v[46:47] offset1:1
.LBB13_35:
	s_or_b32 exec_lo, exec_lo, s4
	s_waitcnt lgkmcnt(0)
	s_barrier
	buffer_gl0_inv
	ds_load_2addr_b64 v[40:43], v75 offset1:1
	s_mov_b32 s3, exec_lo
	v_cmpx_lt_u32_e32 3, v74
	s_cbranch_execz .LBB13_37
; %bb.36:
	s_waitcnt lgkmcnt(0)
	v_mul_f64 v[44:45], v[40:41], v[14:15]
	v_mul_f64 v[14:15], v[42:43], v[14:15]
	s_delay_alu instid0(VALU_DEP_2)
	v_fma_f64 v[72:73], v[42:43], v[12:13], v[44:45]
	ds_load_2addr_b64 v[44:47], v76 offset0:8 offset1:9
	ds_load_2addr_b64 v[48:51], v76 offset0:10 offset1:11
	;; [unrolled: 1-line block ×3, first 2 shown]
	v_fma_f64 v[12:13], v[40:41], v[12:13], -v[14:15]
	s_waitcnt lgkmcnt(2)
	v_mul_f64 v[14:15], v[46:47], v[72:73]
	v_mul_f64 v[77:78], v[44:45], v[72:73]
	s_waitcnt lgkmcnt(1)
	v_mul_f64 v[79:80], v[50:51], v[72:73]
	v_mul_f64 v[81:82], v[48:49], v[72:73]
	;; [unrolled: 3-line block ×3, first 2 shown]
	v_fma_f64 v[14:15], v[44:45], v[12:13], -v[14:15]
	v_fma_f64 v[44:45], v[46:47], v[12:13], v[77:78]
	v_fma_f64 v[46:47], v[48:49], v[12:13], -v[79:80]
	v_fma_f64 v[48:49], v[50:51], v[12:13], v[81:82]
	;; [unrolled: 2-line block ×3, first 2 shown]
	v_add_f64 v[8:9], v[8:9], -v[14:15]
	v_add_f64 v[10:11], v[10:11], -v[44:45]
	;; [unrolled: 1-line block ×6, first 2 shown]
	v_dual_mov_b32 v14, v72 :: v_dual_mov_b32 v15, v73
.LBB13_37:
	s_or_b32 exec_lo, exec_lo, s3
	s_delay_alu instid0(SALU_CYCLE_1)
	s_mov_b32 s4, exec_lo
	s_waitcnt lgkmcnt(0)
	s_barrier
	buffer_gl0_inv
	v_cmpx_eq_u32_e32 4, v74
	s_cbranch_execz .LBB13_44
; %bb.38:
	ds_store_2addr_b64 v75, v[8:9], v[10:11] offset1:1
	ds_store_2addr_b64 v76, v[4:5], v[6:7] offset0:10 offset1:11
	ds_store_2addr_b64 v76, v[0:1], v[2:3] offset0:12 offset1:13
	ds_load_2addr_b64 v[44:47], v75 offset1:1
	s_waitcnt lgkmcnt(0)
	v_cmp_neq_f64_e32 vcc_lo, 0, v[44:45]
	v_cmp_neq_f64_e64 s3, 0, v[46:47]
	s_delay_alu instid0(VALU_DEP_1) | instskip(NEXT) | instid1(SALU_CYCLE_1)
	s_or_b32 s3, vcc_lo, s3
	s_and_b32 exec_lo, exec_lo, s3
	s_cbranch_execz .LBB13_44
; %bb.39:
	v_cmp_gt_f64_e32 vcc_lo, 0, v[44:45]
	v_cmp_gt_f64_e64 s3, 0, v[46:47]
	v_xor_b32_e32 v48, 0x80000000, v45
	v_xor_b32_e32 v50, 0x80000000, v47
                                        ; implicit-def: $vgpr52_vgpr53
	s_delay_alu instid0(VALU_DEP_2) | instskip(NEXT) | instid1(VALU_DEP_2)
	v_cndmask_b32_e32 v49, v45, v48, vcc_lo
	v_cndmask_b32_e64 v51, v47, v50, s3
	v_cndmask_b32_e32 v48, v44, v44, vcc_lo
	v_cndmask_b32_e64 v50, v46, v46, s3
	s_mov_b32 s3, exec_lo
	s_delay_alu instid0(VALU_DEP_1)
	v_cmpx_ngt_f64_e32 v[48:49], v[50:51]
	s_xor_b32 s3, exec_lo, s3
                                        ; implicit-def: $vgpr48_vgpr49_vgpr50_vgpr51
	s_cbranch_execz .LBB13_41
; %bb.40:
	v_div_scale_f64 v[48:49], null, v[46:47], v[46:47], v[44:45]
	v_div_scale_f64 v[54:55], vcc_lo, v[44:45], v[46:47], v[44:45]
	s_delay_alu instid0(VALU_DEP_2) | instskip(SKIP_2) | instid1(VALU_DEP_1)
	v_rcp_f64_e32 v[50:51], v[48:49]
	s_waitcnt_depctr 0xfff
	v_fma_f64 v[52:53], -v[48:49], v[50:51], 1.0
	v_fma_f64 v[50:51], v[50:51], v[52:53], v[50:51]
	s_delay_alu instid0(VALU_DEP_1) | instskip(NEXT) | instid1(VALU_DEP_1)
	v_fma_f64 v[52:53], -v[48:49], v[50:51], 1.0
	v_fma_f64 v[50:51], v[50:51], v[52:53], v[50:51]
	s_delay_alu instid0(VALU_DEP_1) | instskip(NEXT) | instid1(VALU_DEP_1)
	v_mul_f64 v[52:53], v[54:55], v[50:51]
	v_fma_f64 v[48:49], -v[48:49], v[52:53], v[54:55]
	s_delay_alu instid0(VALU_DEP_1) | instskip(NEXT) | instid1(VALU_DEP_1)
	v_div_fmas_f64 v[48:49], v[48:49], v[50:51], v[52:53]
	v_div_fixup_f64 v[48:49], v[48:49], v[46:47], v[44:45]
	s_delay_alu instid0(VALU_DEP_1) | instskip(NEXT) | instid1(VALU_DEP_1)
	v_fma_f64 v[44:45], v[44:45], v[48:49], v[46:47]
	v_div_scale_f64 v[46:47], null, v[44:45], v[44:45], 1.0
	s_delay_alu instid0(VALU_DEP_1) | instskip(SKIP_2) | instid1(VALU_DEP_1)
	v_rcp_f64_e32 v[50:51], v[46:47]
	s_waitcnt_depctr 0xfff
	v_fma_f64 v[52:53], -v[46:47], v[50:51], 1.0
	v_fma_f64 v[50:51], v[50:51], v[52:53], v[50:51]
	s_delay_alu instid0(VALU_DEP_1) | instskip(NEXT) | instid1(VALU_DEP_1)
	v_fma_f64 v[52:53], -v[46:47], v[50:51], 1.0
	v_fma_f64 v[50:51], v[50:51], v[52:53], v[50:51]
	v_div_scale_f64 v[52:53], vcc_lo, 1.0, v[44:45], 1.0
	s_delay_alu instid0(VALU_DEP_1) | instskip(NEXT) | instid1(VALU_DEP_1)
	v_mul_f64 v[54:55], v[52:53], v[50:51]
	v_fma_f64 v[46:47], -v[46:47], v[54:55], v[52:53]
	s_delay_alu instid0(VALU_DEP_1) | instskip(NEXT) | instid1(VALU_DEP_1)
	v_div_fmas_f64 v[46:47], v[46:47], v[50:51], v[54:55]
	v_div_fixup_f64 v[50:51], v[46:47], v[44:45], 1.0
                                        ; implicit-def: $vgpr44_vgpr45
	s_delay_alu instid0(VALU_DEP_1)
	v_mul_f64 v[52:53], v[48:49], v[50:51]
	v_xor_b32_e32 v51, 0x80000000, v51
.LBB13_41:
	s_and_not1_saveexec_b32 s3, s3
	s_cbranch_execz .LBB13_43
; %bb.42:
	v_div_scale_f64 v[48:49], null, v[44:45], v[44:45], v[46:47]
	v_div_scale_f64 v[54:55], vcc_lo, v[46:47], v[44:45], v[46:47]
	s_delay_alu instid0(VALU_DEP_2) | instskip(SKIP_2) | instid1(VALU_DEP_1)
	v_rcp_f64_e32 v[50:51], v[48:49]
	s_waitcnt_depctr 0xfff
	v_fma_f64 v[52:53], -v[48:49], v[50:51], 1.0
	v_fma_f64 v[50:51], v[50:51], v[52:53], v[50:51]
	s_delay_alu instid0(VALU_DEP_1) | instskip(NEXT) | instid1(VALU_DEP_1)
	v_fma_f64 v[52:53], -v[48:49], v[50:51], 1.0
	v_fma_f64 v[50:51], v[50:51], v[52:53], v[50:51]
	s_delay_alu instid0(VALU_DEP_1) | instskip(NEXT) | instid1(VALU_DEP_1)
	v_mul_f64 v[52:53], v[54:55], v[50:51]
	v_fma_f64 v[48:49], -v[48:49], v[52:53], v[54:55]
	s_delay_alu instid0(VALU_DEP_1) | instskip(NEXT) | instid1(VALU_DEP_1)
	v_div_fmas_f64 v[48:49], v[48:49], v[50:51], v[52:53]
	v_div_fixup_f64 v[48:49], v[48:49], v[44:45], v[46:47]
	s_delay_alu instid0(VALU_DEP_1) | instskip(NEXT) | instid1(VALU_DEP_1)
	v_fma_f64 v[44:45], v[46:47], v[48:49], v[44:45]
	v_div_scale_f64 v[46:47], null, v[44:45], v[44:45], 1.0
	s_delay_alu instid0(VALU_DEP_1) | instskip(SKIP_2) | instid1(VALU_DEP_1)
	v_rcp_f64_e32 v[50:51], v[46:47]
	s_waitcnt_depctr 0xfff
	v_fma_f64 v[52:53], -v[46:47], v[50:51], 1.0
	v_fma_f64 v[50:51], v[50:51], v[52:53], v[50:51]
	s_delay_alu instid0(VALU_DEP_1) | instskip(NEXT) | instid1(VALU_DEP_1)
	v_fma_f64 v[52:53], -v[46:47], v[50:51], 1.0
	v_fma_f64 v[50:51], v[50:51], v[52:53], v[50:51]
	v_div_scale_f64 v[52:53], vcc_lo, 1.0, v[44:45], 1.0
	s_delay_alu instid0(VALU_DEP_1) | instskip(NEXT) | instid1(VALU_DEP_1)
	v_mul_f64 v[54:55], v[52:53], v[50:51]
	v_fma_f64 v[46:47], -v[46:47], v[54:55], v[52:53]
	s_delay_alu instid0(VALU_DEP_1) | instskip(NEXT) | instid1(VALU_DEP_1)
	v_div_fmas_f64 v[46:47], v[46:47], v[50:51], v[54:55]
	v_div_fixup_f64 v[52:53], v[46:47], v[44:45], 1.0
	s_delay_alu instid0(VALU_DEP_1)
	v_mul_f64 v[50:51], v[48:49], -v[52:53]
.LBB13_43:
	s_or_b32 exec_lo, exec_lo, s3
	ds_store_2addr_b64 v75, v[52:53], v[50:51] offset1:1
.LBB13_44:
	s_or_b32 exec_lo, exec_lo, s4
	s_waitcnt lgkmcnt(0)
	s_barrier
	buffer_gl0_inv
	ds_load_2addr_b64 v[44:47], v75 offset1:1
	s_mov_b32 s3, exec_lo
	v_cmpx_lt_u32_e32 4, v74
	s_cbranch_execz .LBB13_46
; %bb.45:
	s_waitcnt lgkmcnt(0)
	v_mul_f64 v[48:49], v[44:45], v[10:11]
	v_mul_f64 v[10:11], v[46:47], v[10:11]
	s_delay_alu instid0(VALU_DEP_2)
	v_fma_f64 v[72:73], v[46:47], v[8:9], v[48:49]
	ds_load_2addr_b64 v[48:51], v76 offset0:10 offset1:11
	ds_load_2addr_b64 v[52:55], v76 offset0:12 offset1:13
	v_fma_f64 v[8:9], v[44:45], v[8:9], -v[10:11]
	s_waitcnt lgkmcnt(1)
	v_mul_f64 v[10:11], v[50:51], v[72:73]
	v_mul_f64 v[77:78], v[48:49], v[72:73]
	s_waitcnt lgkmcnt(0)
	v_mul_f64 v[79:80], v[54:55], v[72:73]
	v_mul_f64 v[81:82], v[52:53], v[72:73]
	s_delay_alu instid0(VALU_DEP_4) | instskip(NEXT) | instid1(VALU_DEP_4)
	v_fma_f64 v[10:11], v[48:49], v[8:9], -v[10:11]
	v_fma_f64 v[48:49], v[50:51], v[8:9], v[77:78]
	s_delay_alu instid0(VALU_DEP_4) | instskip(NEXT) | instid1(VALU_DEP_4)
	v_fma_f64 v[50:51], v[52:53], v[8:9], -v[79:80]
	v_fma_f64 v[52:53], v[54:55], v[8:9], v[81:82]
	s_delay_alu instid0(VALU_DEP_4) | instskip(NEXT) | instid1(VALU_DEP_4)
	v_add_f64 v[4:5], v[4:5], -v[10:11]
	v_add_f64 v[6:7], v[6:7], -v[48:49]
	s_delay_alu instid0(VALU_DEP_4) | instskip(NEXT) | instid1(VALU_DEP_4)
	v_add_f64 v[0:1], v[0:1], -v[50:51]
	v_add_f64 v[2:3], v[2:3], -v[52:53]
	v_dual_mov_b32 v10, v72 :: v_dual_mov_b32 v11, v73
.LBB13_46:
	s_or_b32 exec_lo, exec_lo, s3
	s_delay_alu instid0(SALU_CYCLE_1)
	s_mov_b32 s4, exec_lo
	s_waitcnt lgkmcnt(0)
	s_barrier
	buffer_gl0_inv
	v_cmpx_eq_u32_e32 5, v74
	s_cbranch_execz .LBB13_53
; %bb.47:
	ds_store_2addr_b64 v75, v[4:5], v[6:7] offset1:1
	ds_store_2addr_b64 v76, v[0:1], v[2:3] offset0:12 offset1:13
	ds_load_2addr_b64 v[48:51], v75 offset1:1
	s_waitcnt lgkmcnt(0)
	v_cmp_neq_f64_e32 vcc_lo, 0, v[48:49]
	v_cmp_neq_f64_e64 s3, 0, v[50:51]
	s_delay_alu instid0(VALU_DEP_1) | instskip(NEXT) | instid1(SALU_CYCLE_1)
	s_or_b32 s3, vcc_lo, s3
	s_and_b32 exec_lo, exec_lo, s3
	s_cbranch_execz .LBB13_53
; %bb.48:
	v_cmp_gt_f64_e32 vcc_lo, 0, v[48:49]
	v_cmp_gt_f64_e64 s3, 0, v[50:51]
	v_xor_b32_e32 v52, 0x80000000, v49
	v_xor_b32_e32 v54, 0x80000000, v51
                                        ; implicit-def: $vgpr72_vgpr73
	s_delay_alu instid0(VALU_DEP_2) | instskip(NEXT) | instid1(VALU_DEP_2)
	v_cndmask_b32_e32 v53, v49, v52, vcc_lo
	v_cndmask_b32_e64 v55, v51, v54, s3
	v_cndmask_b32_e32 v52, v48, v48, vcc_lo
	v_cndmask_b32_e64 v54, v50, v50, s3
	s_mov_b32 s3, exec_lo
	s_delay_alu instid0(VALU_DEP_1)
	v_cmpx_ngt_f64_e32 v[52:53], v[54:55]
	s_xor_b32 s3, exec_lo, s3
                                        ; implicit-def: $vgpr52_vgpr53_vgpr54_vgpr55
	s_cbranch_execz .LBB13_50
; %bb.49:
	v_div_scale_f64 v[52:53], null, v[50:51], v[50:51], v[48:49]
	v_div_scale_f64 v[77:78], vcc_lo, v[48:49], v[50:51], v[48:49]
	s_delay_alu instid0(VALU_DEP_2) | instskip(SKIP_2) | instid1(VALU_DEP_1)
	v_rcp_f64_e32 v[54:55], v[52:53]
	s_waitcnt_depctr 0xfff
	v_fma_f64 v[72:73], -v[52:53], v[54:55], 1.0
	v_fma_f64 v[54:55], v[54:55], v[72:73], v[54:55]
	s_delay_alu instid0(VALU_DEP_1) | instskip(NEXT) | instid1(VALU_DEP_1)
	v_fma_f64 v[72:73], -v[52:53], v[54:55], 1.0
	v_fma_f64 v[54:55], v[54:55], v[72:73], v[54:55]
	s_delay_alu instid0(VALU_DEP_1) | instskip(NEXT) | instid1(VALU_DEP_1)
	v_mul_f64 v[72:73], v[77:78], v[54:55]
	v_fma_f64 v[52:53], -v[52:53], v[72:73], v[77:78]
	s_delay_alu instid0(VALU_DEP_1) | instskip(NEXT) | instid1(VALU_DEP_1)
	v_div_fmas_f64 v[52:53], v[52:53], v[54:55], v[72:73]
	v_div_fixup_f64 v[52:53], v[52:53], v[50:51], v[48:49]
	s_delay_alu instid0(VALU_DEP_1) | instskip(NEXT) | instid1(VALU_DEP_1)
	v_fma_f64 v[48:49], v[48:49], v[52:53], v[50:51]
	v_div_scale_f64 v[50:51], null, v[48:49], v[48:49], 1.0
	s_delay_alu instid0(VALU_DEP_1) | instskip(SKIP_2) | instid1(VALU_DEP_1)
	v_rcp_f64_e32 v[54:55], v[50:51]
	s_waitcnt_depctr 0xfff
	v_fma_f64 v[72:73], -v[50:51], v[54:55], 1.0
	v_fma_f64 v[54:55], v[54:55], v[72:73], v[54:55]
	s_delay_alu instid0(VALU_DEP_1) | instskip(NEXT) | instid1(VALU_DEP_1)
	v_fma_f64 v[72:73], -v[50:51], v[54:55], 1.0
	v_fma_f64 v[54:55], v[54:55], v[72:73], v[54:55]
	v_div_scale_f64 v[72:73], vcc_lo, 1.0, v[48:49], 1.0
	s_delay_alu instid0(VALU_DEP_1) | instskip(NEXT) | instid1(VALU_DEP_1)
	v_mul_f64 v[77:78], v[72:73], v[54:55]
	v_fma_f64 v[50:51], -v[50:51], v[77:78], v[72:73]
	s_delay_alu instid0(VALU_DEP_1) | instskip(NEXT) | instid1(VALU_DEP_1)
	v_div_fmas_f64 v[50:51], v[50:51], v[54:55], v[77:78]
	v_div_fixup_f64 v[54:55], v[50:51], v[48:49], 1.0
                                        ; implicit-def: $vgpr48_vgpr49
	s_delay_alu instid0(VALU_DEP_1)
	v_mul_f64 v[72:73], v[52:53], v[54:55]
	v_xor_b32_e32 v55, 0x80000000, v55
.LBB13_50:
	s_and_not1_saveexec_b32 s3, s3
	s_cbranch_execz .LBB13_52
; %bb.51:
	v_div_scale_f64 v[52:53], null, v[48:49], v[48:49], v[50:51]
	v_div_scale_f64 v[77:78], vcc_lo, v[50:51], v[48:49], v[50:51]
	s_delay_alu instid0(VALU_DEP_2) | instskip(SKIP_2) | instid1(VALU_DEP_1)
	v_rcp_f64_e32 v[54:55], v[52:53]
	s_waitcnt_depctr 0xfff
	v_fma_f64 v[72:73], -v[52:53], v[54:55], 1.0
	v_fma_f64 v[54:55], v[54:55], v[72:73], v[54:55]
	s_delay_alu instid0(VALU_DEP_1) | instskip(NEXT) | instid1(VALU_DEP_1)
	v_fma_f64 v[72:73], -v[52:53], v[54:55], 1.0
	v_fma_f64 v[54:55], v[54:55], v[72:73], v[54:55]
	s_delay_alu instid0(VALU_DEP_1) | instskip(NEXT) | instid1(VALU_DEP_1)
	v_mul_f64 v[72:73], v[77:78], v[54:55]
	v_fma_f64 v[52:53], -v[52:53], v[72:73], v[77:78]
	s_delay_alu instid0(VALU_DEP_1) | instskip(NEXT) | instid1(VALU_DEP_1)
	v_div_fmas_f64 v[52:53], v[52:53], v[54:55], v[72:73]
	v_div_fixup_f64 v[52:53], v[52:53], v[48:49], v[50:51]
	s_delay_alu instid0(VALU_DEP_1) | instskip(NEXT) | instid1(VALU_DEP_1)
	v_fma_f64 v[48:49], v[50:51], v[52:53], v[48:49]
	v_div_scale_f64 v[50:51], null, v[48:49], v[48:49], 1.0
	s_delay_alu instid0(VALU_DEP_1) | instskip(SKIP_2) | instid1(VALU_DEP_1)
	v_rcp_f64_e32 v[54:55], v[50:51]
	s_waitcnt_depctr 0xfff
	v_fma_f64 v[72:73], -v[50:51], v[54:55], 1.0
	v_fma_f64 v[54:55], v[54:55], v[72:73], v[54:55]
	s_delay_alu instid0(VALU_DEP_1) | instskip(NEXT) | instid1(VALU_DEP_1)
	v_fma_f64 v[72:73], -v[50:51], v[54:55], 1.0
	v_fma_f64 v[54:55], v[54:55], v[72:73], v[54:55]
	v_div_scale_f64 v[72:73], vcc_lo, 1.0, v[48:49], 1.0
	s_delay_alu instid0(VALU_DEP_1) | instskip(NEXT) | instid1(VALU_DEP_1)
	v_mul_f64 v[77:78], v[72:73], v[54:55]
	v_fma_f64 v[50:51], -v[50:51], v[77:78], v[72:73]
	s_delay_alu instid0(VALU_DEP_1) | instskip(NEXT) | instid1(VALU_DEP_1)
	v_div_fmas_f64 v[50:51], v[50:51], v[54:55], v[77:78]
	v_div_fixup_f64 v[72:73], v[50:51], v[48:49], 1.0
	s_delay_alu instid0(VALU_DEP_1)
	v_mul_f64 v[54:55], v[52:53], -v[72:73]
.LBB13_52:
	s_or_b32 exec_lo, exec_lo, s3
	ds_store_2addr_b64 v75, v[72:73], v[54:55] offset1:1
.LBB13_53:
	s_or_b32 exec_lo, exec_lo, s4
	s_waitcnt lgkmcnt(0)
	s_barrier
	buffer_gl0_inv
	ds_load_2addr_b64 v[48:51], v75 offset1:1
	s_mov_b32 s3, exec_lo
	v_cmpx_lt_u32_e32 5, v74
	s_cbranch_execz .LBB13_55
; %bb.54:
	s_waitcnt lgkmcnt(0)
	v_mul_f64 v[52:53], v[48:49], v[6:7]
	v_mul_f64 v[6:7], v[50:51], v[6:7]
	s_delay_alu instid0(VALU_DEP_2)
	v_fma_f64 v[72:73], v[50:51], v[4:5], v[52:53]
	ds_load_2addr_b64 v[52:55], v76 offset0:12 offset1:13
	v_fma_f64 v[4:5], v[48:49], v[4:5], -v[6:7]
	s_waitcnt lgkmcnt(0)
	v_mul_f64 v[6:7], v[54:55], v[72:73]
	v_mul_f64 v[76:77], v[52:53], v[72:73]
	s_delay_alu instid0(VALU_DEP_2) | instskip(NEXT) | instid1(VALU_DEP_2)
	v_fma_f64 v[6:7], v[52:53], v[4:5], -v[6:7]
	v_fma_f64 v[52:53], v[54:55], v[4:5], v[76:77]
	s_delay_alu instid0(VALU_DEP_2) | instskip(NEXT) | instid1(VALU_DEP_2)
	v_add_f64 v[0:1], v[0:1], -v[6:7]
	v_add_f64 v[2:3], v[2:3], -v[52:53]
	v_dual_mov_b32 v6, v72 :: v_dual_mov_b32 v7, v73
.LBB13_55:
	s_or_b32 exec_lo, exec_lo, s3
	s_delay_alu instid0(SALU_CYCLE_1)
	s_mov_b32 s4, exec_lo
	s_waitcnt lgkmcnt(0)
	s_barrier
	buffer_gl0_inv
	v_cmpx_eq_u32_e32 6, v74
	s_cbranch_execz .LBB13_62
; %bb.56:
	v_cmp_neq_f64_e32 vcc_lo, 0, v[0:1]
	v_cmp_neq_f64_e64 s3, 0, v[2:3]
	ds_store_2addr_b64 v75, v[0:1], v[2:3] offset1:1
	s_or_b32 s3, vcc_lo, s3
	s_delay_alu instid0(SALU_CYCLE_1)
	s_and_b32 exec_lo, exec_lo, s3
	s_cbranch_execz .LBB13_62
; %bb.57:
	v_cmp_gt_f64_e32 vcc_lo, 0, v[0:1]
	v_cmp_gt_f64_e64 s3, 0, v[2:3]
	v_xor_b32_e32 v52, 0x80000000, v1
	v_xor_b32_e32 v54, 0x80000000, v3
                                        ; implicit-def: $vgpr72_vgpr73
	s_delay_alu instid0(VALU_DEP_2) | instskip(NEXT) | instid1(VALU_DEP_2)
	v_cndmask_b32_e32 v53, v1, v52, vcc_lo
	v_cndmask_b32_e64 v55, v3, v54, s3
	v_cndmask_b32_e32 v52, v0, v0, vcc_lo
	v_cndmask_b32_e64 v54, v2, v2, s3
	s_mov_b32 s3, exec_lo
	s_delay_alu instid0(VALU_DEP_1)
	v_cmpx_ngt_f64_e32 v[52:53], v[54:55]
	s_xor_b32 s3, exec_lo, s3
                                        ; implicit-def: $vgpr52_vgpr53_vgpr54_vgpr55
	s_cbranch_execz .LBB13_59
; %bb.58:
	v_div_scale_f64 v[52:53], null, v[2:3], v[2:3], v[0:1]
	v_div_scale_f64 v[76:77], vcc_lo, v[0:1], v[2:3], v[0:1]
	s_delay_alu instid0(VALU_DEP_2) | instskip(SKIP_2) | instid1(VALU_DEP_1)
	v_rcp_f64_e32 v[54:55], v[52:53]
	s_waitcnt_depctr 0xfff
	v_fma_f64 v[72:73], -v[52:53], v[54:55], 1.0
	v_fma_f64 v[54:55], v[54:55], v[72:73], v[54:55]
	s_delay_alu instid0(VALU_DEP_1) | instskip(NEXT) | instid1(VALU_DEP_1)
	v_fma_f64 v[72:73], -v[52:53], v[54:55], 1.0
	v_fma_f64 v[54:55], v[54:55], v[72:73], v[54:55]
	s_delay_alu instid0(VALU_DEP_1) | instskip(NEXT) | instid1(VALU_DEP_1)
	v_mul_f64 v[72:73], v[76:77], v[54:55]
	v_fma_f64 v[52:53], -v[52:53], v[72:73], v[76:77]
	s_delay_alu instid0(VALU_DEP_1) | instskip(NEXT) | instid1(VALU_DEP_1)
	v_div_fmas_f64 v[52:53], v[52:53], v[54:55], v[72:73]
	v_div_fixup_f64 v[52:53], v[52:53], v[2:3], v[0:1]
	s_delay_alu instid0(VALU_DEP_1) | instskip(NEXT) | instid1(VALU_DEP_1)
	v_fma_f64 v[54:55], v[0:1], v[52:53], v[2:3]
	v_div_scale_f64 v[72:73], null, v[54:55], v[54:55], 1.0
	s_delay_alu instid0(VALU_DEP_1) | instskip(SKIP_2) | instid1(VALU_DEP_1)
	v_rcp_f64_e32 v[76:77], v[72:73]
	s_waitcnt_depctr 0xfff
	v_fma_f64 v[78:79], -v[72:73], v[76:77], 1.0
	v_fma_f64 v[76:77], v[76:77], v[78:79], v[76:77]
	s_delay_alu instid0(VALU_DEP_1) | instskip(NEXT) | instid1(VALU_DEP_1)
	v_fma_f64 v[78:79], -v[72:73], v[76:77], 1.0
	v_fma_f64 v[76:77], v[76:77], v[78:79], v[76:77]
	v_div_scale_f64 v[78:79], vcc_lo, 1.0, v[54:55], 1.0
	s_delay_alu instid0(VALU_DEP_1) | instskip(NEXT) | instid1(VALU_DEP_1)
	v_mul_f64 v[80:81], v[78:79], v[76:77]
	v_fma_f64 v[72:73], -v[72:73], v[80:81], v[78:79]
	s_delay_alu instid0(VALU_DEP_1) | instskip(NEXT) | instid1(VALU_DEP_1)
	v_div_fmas_f64 v[72:73], v[72:73], v[76:77], v[80:81]
	v_div_fixup_f64 v[54:55], v[72:73], v[54:55], 1.0
	s_delay_alu instid0(VALU_DEP_1)
	v_mul_f64 v[72:73], v[52:53], v[54:55]
	v_xor_b32_e32 v55, 0x80000000, v55
.LBB13_59:
	s_and_not1_saveexec_b32 s3, s3
	s_cbranch_execz .LBB13_61
; %bb.60:
	v_div_scale_f64 v[52:53], null, v[0:1], v[0:1], v[2:3]
	v_div_scale_f64 v[76:77], vcc_lo, v[2:3], v[0:1], v[2:3]
	s_delay_alu instid0(VALU_DEP_2) | instskip(SKIP_2) | instid1(VALU_DEP_1)
	v_rcp_f64_e32 v[54:55], v[52:53]
	s_waitcnt_depctr 0xfff
	v_fma_f64 v[72:73], -v[52:53], v[54:55], 1.0
	v_fma_f64 v[54:55], v[54:55], v[72:73], v[54:55]
	s_delay_alu instid0(VALU_DEP_1) | instskip(NEXT) | instid1(VALU_DEP_1)
	v_fma_f64 v[72:73], -v[52:53], v[54:55], 1.0
	v_fma_f64 v[54:55], v[54:55], v[72:73], v[54:55]
	s_delay_alu instid0(VALU_DEP_1) | instskip(NEXT) | instid1(VALU_DEP_1)
	v_mul_f64 v[72:73], v[76:77], v[54:55]
	v_fma_f64 v[52:53], -v[52:53], v[72:73], v[76:77]
	s_delay_alu instid0(VALU_DEP_1) | instskip(NEXT) | instid1(VALU_DEP_1)
	v_div_fmas_f64 v[52:53], v[52:53], v[54:55], v[72:73]
	v_div_fixup_f64 v[52:53], v[52:53], v[0:1], v[2:3]
	s_delay_alu instid0(VALU_DEP_1) | instskip(NEXT) | instid1(VALU_DEP_1)
	v_fma_f64 v[54:55], v[2:3], v[52:53], v[0:1]
	v_div_scale_f64 v[72:73], null, v[54:55], v[54:55], 1.0
	s_delay_alu instid0(VALU_DEP_1) | instskip(SKIP_2) | instid1(VALU_DEP_1)
	v_rcp_f64_e32 v[76:77], v[72:73]
	s_waitcnt_depctr 0xfff
	v_fma_f64 v[78:79], -v[72:73], v[76:77], 1.0
	v_fma_f64 v[76:77], v[76:77], v[78:79], v[76:77]
	s_delay_alu instid0(VALU_DEP_1) | instskip(NEXT) | instid1(VALU_DEP_1)
	v_fma_f64 v[78:79], -v[72:73], v[76:77], 1.0
	v_fma_f64 v[76:77], v[76:77], v[78:79], v[76:77]
	v_div_scale_f64 v[78:79], vcc_lo, 1.0, v[54:55], 1.0
	s_delay_alu instid0(VALU_DEP_1) | instskip(NEXT) | instid1(VALU_DEP_1)
	v_mul_f64 v[80:81], v[78:79], v[76:77]
	v_fma_f64 v[72:73], -v[72:73], v[80:81], v[78:79]
	s_delay_alu instid0(VALU_DEP_1) | instskip(NEXT) | instid1(VALU_DEP_1)
	v_div_fmas_f64 v[72:73], v[72:73], v[76:77], v[80:81]
	v_div_fixup_f64 v[72:73], v[72:73], v[54:55], 1.0
	s_delay_alu instid0(VALU_DEP_1)
	v_mul_f64 v[54:55], v[52:53], -v[72:73]
.LBB13_61:
	s_or_b32 exec_lo, exec_lo, s3
	ds_store_2addr_b64 v75, v[72:73], v[54:55] offset1:1
.LBB13_62:
	s_or_b32 exec_lo, exec_lo, s4
	s_waitcnt lgkmcnt(0)
	s_barrier
	buffer_gl0_inv
	ds_load_2addr_b64 v[52:55], v75 offset1:1
	s_mov_b32 s3, exec_lo
	v_cmpx_lt_u32_e32 6, v74
	s_cbranch_execz .LBB13_64
; %bb.63:
	s_waitcnt lgkmcnt(0)
	v_mul_f64 v[72:73], v[54:55], v[2:3]
	v_mul_f64 v[2:3], v[52:53], v[2:3]
	s_delay_alu instid0(VALU_DEP_2) | instskip(NEXT) | instid1(VALU_DEP_2)
	v_fma_f64 v[72:73], v[52:53], v[0:1], -v[72:73]
	v_fma_f64 v[2:3], v[54:55], v[0:1], v[2:3]
	s_delay_alu instid0(VALU_DEP_2)
	v_dual_mov_b32 v0, v72 :: v_dual_mov_b32 v1, v73
.LBB13_64:
	s_or_b32 exec_lo, exec_lo, s3
	s_waitcnt lgkmcnt(0)
	s_barrier
	buffer_gl0_inv
	s_and_saveexec_b32 s10, s2
	s_cbranch_execz .LBB13_67
; %bb.65:
	s_load_b64 s[0:1], s[0:1], 0x28
	v_lshlrev_b64 v[56:57], 2, v[56:57]
	v_cmp_neq_f64_e64 s2, 0, v[34:35]
	v_cmp_eq_f64_e64 s3, 0, v[36:37]
	v_cmp_eq_f64_e64 s4, 0, v[38:39]
	;; [unrolled: 1-line block ×6, first 2 shown]
	s_waitcnt lgkmcnt(0)
	v_add_co_u32 v56, vcc_lo, s0, v56
	v_add_co_ci_u32_e32 v57, vcc_lo, s1, v57, vcc_lo
	v_cmp_eq_f64_e32 vcc_lo, 0, v[28:29]
	v_cmp_eq_f64_e64 s0, 0, v[30:31]
	v_cmp_neq_f64_e64 s1, 0, v[32:33]
	global_load_b32 v72, v[56:57], off
	s_and_b32 s0, vcc_lo, s0
	s_or_b32 s1, s1, s2
	v_cndmask_b32_e64 v28, 0, 1, s0
	s_or_b32 vcc_lo, s1, s0
	v_cmp_eq_f64_e64 s0, 0, v[50:51]
	s_and_b32 s2, s3, s4
	s_and_b32 s4, s5, s6
	v_cndmask_b32_e32 v28, 2, v28, vcc_lo
	v_cmp_eq_f64_e32 vcc_lo, 0, v[48:49]
	s_delay_alu instid0(VALU_DEP_2) | instskip(NEXT) | instid1(VALU_DEP_1)
	v_cmp_eq_u32_e64 s1, 0, v28
	s_and_b32 s1, s2, s1
	v_cmp_eq_f64_e64 s2, 0, v[54:55]
	v_cndmask_b32_e64 v28, v28, 3, s1
	v_cmp_eq_f64_e64 s1, 0, v[52:53]
	s_delay_alu instid0(VALU_DEP_2) | instskip(NEXT) | instid1(VALU_DEP_1)
	v_cmp_eq_u32_e64 s3, 0, v28
	s_and_b32 s3, s4, s3
	s_and_b32 s4, s7, s8
	v_cndmask_b32_e64 v28, v28, 4, s3
	s_delay_alu instid0(VALU_DEP_1) | instskip(NEXT) | instid1(VALU_DEP_1)
	v_cmp_eq_u32_e64 s3, 0, v28
	s_and_b32 s3, s4, s3
	s_delay_alu instid0(SALU_CYCLE_1) | instskip(SKIP_1) | instid1(VALU_DEP_1)
	v_cndmask_b32_e64 v28, v28, 5, s3
	s_and_b32 s0, vcc_lo, s0
	v_cmp_eq_u32_e64 s3, 0, v28
	s_delay_alu instid0(VALU_DEP_1) | instskip(NEXT) | instid1(SALU_CYCLE_1)
	s_and_b32 s0, s0, s3
	v_cndmask_b32_e64 v28, v28, 6, s0
	s_and_b32 s0, s1, s2
	s_delay_alu instid0(VALU_DEP_1) | instskip(SKIP_1) | instid1(SALU_CYCLE_1)
	v_cmp_eq_u32_e32 vcc_lo, 0, v28
	s_and_b32 s0, s0, vcc_lo
	v_cndmask_b32_e64 v28, v28, 7, s0
	s_delay_alu instid0(VALU_DEP_1) | instskip(SKIP_2) | instid1(VALU_DEP_2)
	v_cmp_ne_u32_e64 s0, 0, v28
	s_waitcnt vmcnt(0)
	v_cmp_eq_u32_e32 vcc_lo, 0, v72
	s_and_b32 s0, vcc_lo, s0
	s_delay_alu instid0(SALU_CYCLE_1)
	s_and_b32 exec_lo, exec_lo, s0
	s_cbranch_execz .LBB13_67
; %bb.66:
	v_add_nc_u32_e32 v28, s9, v28
	global_store_b32 v[56:57], v28, off
.LBB13_67:
	s_or_b32 exec_lo, exec_lo, s10
	s_clause 0x6
	global_store_b128 v[68:69], v[24:27], off
	global_store_b128 v[70:71], v[20:23], off
	;; [unrolled: 1-line block ×7, first 2 shown]
.LBB13_68:
	s_nop 0
	s_sendmsg sendmsg(MSG_DEALLOC_VGPRS)
	s_endpgm
	.section	.rodata,"a",@progbits
	.p2align	6, 0x0
	.amdhsa_kernel _ZN9rocsolver6v33100L23getf2_npvt_small_kernelILi7E19rocblas_complex_numIdEiiPKPS3_EEvT1_T3_lS7_lPT2_S7_S7_
		.amdhsa_group_segment_fixed_size 0
		.amdhsa_private_segment_fixed_size 0
		.amdhsa_kernarg_size 312
		.amdhsa_user_sgpr_count 14
		.amdhsa_user_sgpr_dispatch_ptr 0
		.amdhsa_user_sgpr_queue_ptr 0
		.amdhsa_user_sgpr_kernarg_segment_ptr 1
		.amdhsa_user_sgpr_dispatch_id 0
		.amdhsa_user_sgpr_private_segment_size 0
		.amdhsa_wavefront_size32 1
		.amdhsa_uses_dynamic_stack 0
		.amdhsa_enable_private_segment 0
		.amdhsa_system_sgpr_workgroup_id_x 1
		.amdhsa_system_sgpr_workgroup_id_y 1
		.amdhsa_system_sgpr_workgroup_id_z 0
		.amdhsa_system_sgpr_workgroup_info 0
		.amdhsa_system_vgpr_workitem_id 1
		.amdhsa_next_free_vgpr 99
		.amdhsa_next_free_sgpr 16
		.amdhsa_reserve_vcc 1
		.amdhsa_float_round_mode_32 0
		.amdhsa_float_round_mode_16_64 0
		.amdhsa_float_denorm_mode_32 3
		.amdhsa_float_denorm_mode_16_64 3
		.amdhsa_dx10_clamp 1
		.amdhsa_ieee_mode 1
		.amdhsa_fp16_overflow 0
		.amdhsa_workgroup_processor_mode 1
		.amdhsa_memory_ordered 1
		.amdhsa_forward_progress 0
		.amdhsa_shared_vgpr_count 0
		.amdhsa_exception_fp_ieee_invalid_op 0
		.amdhsa_exception_fp_denorm_src 0
		.amdhsa_exception_fp_ieee_div_zero 0
		.amdhsa_exception_fp_ieee_overflow 0
		.amdhsa_exception_fp_ieee_underflow 0
		.amdhsa_exception_fp_ieee_inexact 0
		.amdhsa_exception_int_div_zero 0
	.end_amdhsa_kernel
	.section	.text._ZN9rocsolver6v33100L23getf2_npvt_small_kernelILi7E19rocblas_complex_numIdEiiPKPS3_EEvT1_T3_lS7_lPT2_S7_S7_,"axG",@progbits,_ZN9rocsolver6v33100L23getf2_npvt_small_kernelILi7E19rocblas_complex_numIdEiiPKPS3_EEvT1_T3_lS7_lPT2_S7_S7_,comdat
.Lfunc_end13:
	.size	_ZN9rocsolver6v33100L23getf2_npvt_small_kernelILi7E19rocblas_complex_numIdEiiPKPS3_EEvT1_T3_lS7_lPT2_S7_S7_, .Lfunc_end13-_ZN9rocsolver6v33100L23getf2_npvt_small_kernelILi7E19rocblas_complex_numIdEiiPKPS3_EEvT1_T3_lS7_lPT2_S7_S7_
                                        ; -- End function
	.section	.AMDGPU.csdata,"",@progbits
; Kernel info:
; codeLenInByte = 7520
; NumSgprs: 18
; NumVgprs: 99
; ScratchSize: 0
; MemoryBound: 0
; FloatMode: 240
; IeeeMode: 1
; LDSByteSize: 0 bytes/workgroup (compile time only)
; SGPRBlocks: 2
; VGPRBlocks: 12
; NumSGPRsForWavesPerEU: 18
; NumVGPRsForWavesPerEU: 99
; Occupancy: 12
; WaveLimiterHint : 1
; COMPUTE_PGM_RSRC2:SCRATCH_EN: 0
; COMPUTE_PGM_RSRC2:USER_SGPR: 14
; COMPUTE_PGM_RSRC2:TRAP_HANDLER: 0
; COMPUTE_PGM_RSRC2:TGID_X_EN: 1
; COMPUTE_PGM_RSRC2:TGID_Y_EN: 1
; COMPUTE_PGM_RSRC2:TGID_Z_EN: 0
; COMPUTE_PGM_RSRC2:TIDIG_COMP_CNT: 1
	.section	.text._ZN9rocsolver6v33100L18getf2_small_kernelILi8E19rocblas_complex_numIdEiiPKPS3_EEvT1_T3_lS7_lPS7_llPT2_S7_S7_S9_l,"axG",@progbits,_ZN9rocsolver6v33100L18getf2_small_kernelILi8E19rocblas_complex_numIdEiiPKPS3_EEvT1_T3_lS7_lPS7_llPT2_S7_S7_S9_l,comdat
	.globl	_ZN9rocsolver6v33100L18getf2_small_kernelILi8E19rocblas_complex_numIdEiiPKPS3_EEvT1_T3_lS7_lPS7_llPT2_S7_S7_S9_l ; -- Begin function _ZN9rocsolver6v33100L18getf2_small_kernelILi8E19rocblas_complex_numIdEiiPKPS3_EEvT1_T3_lS7_lPS7_llPT2_S7_S7_S9_l
	.p2align	8
	.type	_ZN9rocsolver6v33100L18getf2_small_kernelILi8E19rocblas_complex_numIdEiiPKPS3_EEvT1_T3_lS7_lPS7_llPT2_S7_S7_S9_l,@function
_ZN9rocsolver6v33100L18getf2_small_kernelILi8E19rocblas_complex_numIdEiiPKPS3_EEvT1_T3_lS7_lPS7_llPT2_S7_S7_S9_l: ; @_ZN9rocsolver6v33100L18getf2_small_kernelILi8E19rocblas_complex_numIdEiiPKPS3_EEvT1_T3_lS7_lPS7_llPT2_S7_S7_S9_l
; %bb.0:
	s_clause 0x1
	s_load_b32 s2, s[0:1], 0x6c
	s_load_b64 s[12:13], s[0:1], 0x48
	v_bfe_u32 v32, v0, 10, 10
	s_waitcnt lgkmcnt(0)
	s_lshr_b32 s2, s2, 16
	s_delay_alu instid0(VALU_DEP_1) | instid1(SALU_CYCLE_1)
	v_mad_u64_u32 v[36:37], null, s15, s2, v[32:33]
	s_mov_b32 s2, exec_lo
	s_delay_alu instid0(VALU_DEP_1)
	v_cmpx_gt_i32_e64 s12, v36
	s_cbranch_execz .LBB14_171
; %bb.1:
	s_clause 0x1
	s_load_b128 s[4:7], s[0:1], 0x8
	s_load_b128 s[8:11], s[0:1], 0x50
	v_ashrrev_i32_e32 v37, 31, v36
	v_mov_b32_e32 v38, 0
	v_mov_b32_e32 v39, 0
	s_delay_alu instid0(VALU_DEP_3) | instskip(SKIP_1) | instid1(VALU_DEP_1)
	v_lshlrev_b64 v[1:2], 3, v[36:37]
	s_waitcnt lgkmcnt(0)
	v_add_co_u32 v1, vcc_lo, s4, v1
	s_delay_alu instid0(VALU_DEP_2)
	v_add_co_ci_u32_e32 v2, vcc_lo, s5, v2, vcc_lo
	s_cmp_eq_u64 s[8:9], 0
	s_cselect_b32 s4, -1, 0
	global_load_b64 v[1:2], v[1:2], off
	s_and_b32 vcc_lo, exec_lo, s4
	s_cbranch_vccnz .LBB14_3
; %bb.2:
	v_mul_lo_u32 v5, v37, s10
	v_mul_lo_u32 v6, v36, s11
	v_mad_u64_u32 v[3:4], null, v36, s10, 0
	s_delay_alu instid0(VALU_DEP_1) | instskip(NEXT) | instid1(VALU_DEP_1)
	v_add3_u32 v4, v4, v6, v5
	v_lshlrev_b64 v[3:4], 2, v[3:4]
	s_delay_alu instid0(VALU_DEP_1) | instskip(NEXT) | instid1(VALU_DEP_2)
	v_add_co_u32 v38, vcc_lo, s8, v3
	v_add_co_ci_u32_e32 v39, vcc_lo, s9, v4, vcc_lo
.LBB14_3:
	s_clause 0x1
	s_load_b32 s8, s[0:1], 0x18
	s_load_b32 s5, s[0:1], 0x0
	v_and_b32_e32 v45, 0x3ff, v0
	s_lshl_b64 s[2:3], s[6:7], 4
	s_waitcnt vmcnt(0)
	v_add_co_u32 v43, vcc_lo, v1, s2
	s_delay_alu instid0(VALU_DEP_2) | instskip(SKIP_1) | instid1(VALU_DEP_2)
	v_lshlrev_b32_e32 v35, 4, v45
	v_add_co_ci_u32_e32 v44, vcc_lo, s3, v2, vcc_lo
	v_add_co_u32 v2, vcc_lo, v43, v35
	s_delay_alu instid0(VALU_DEP_2)
	v_add_co_ci_u32_e32 v3, vcc_lo, 0, v44, vcc_lo
	s_waitcnt lgkmcnt(0)
	v_add3_u32 v0, s8, s8, v45
	s_ashr_i32 s9, s8, 31
	s_max_i32 s2, s5, 8
	s_lshl_b64 s[10:11], s[8:9], 4
	s_cmp_lt_i32 s5, 2
	v_add_nc_u32_e32 v4, s8, v0
	v_add_co_u32 v6, vcc_lo, v2, s10
	v_add_co_ci_u32_e32 v7, vcc_lo, s11, v3, vcc_lo
	s_delay_alu instid0(VALU_DEP_3)
	v_ashrrev_i32_e32 v5, 31, v4
	v_add_nc_u32_e32 v8, s8, v4
	v_ashrrev_i32_e32 v1, 31, v0
	s_clause 0x1
	global_load_b128 v[24:27], v[2:3], off
	global_load_b128 v[20:23], v[6:7], off
	v_lshlrev_b64 v[2:3], 4, v[4:5]
	v_ashrrev_i32_e32 v9, 31, v8
	v_add_nc_u32_e32 v4, s8, v8
	v_lshlrev_b64 v[0:1], 4, v[0:1]
	s_delay_alu instid0(VALU_DEP_3) | instskip(NEXT) | instid1(VALU_DEP_3)
	v_lshlrev_b64 v[6:7], 4, v[8:9]
	v_add_nc_u32_e32 v8, s8, v4
	v_ashrrev_i32_e32 v5, 31, v4
	s_delay_alu instid0(VALU_DEP_4) | instskip(SKIP_1) | instid1(VALU_DEP_4)
	v_add_co_u32 v0, vcc_lo, v43, v0
	v_add_co_ci_u32_e32 v1, vcc_lo, v44, v1, vcc_lo
	v_add_nc_u32_e32 v10, s8, v8
	v_ashrrev_i32_e32 v9, 31, v8
	v_add_co_u32 v2, vcc_lo, v43, v2
	v_lshlrev_b64 v[4:5], 4, v[4:5]
	s_delay_alu instid0(VALU_DEP_4)
	v_ashrrev_i32_e32 v11, 31, v10
	v_add_co_ci_u32_e32 v3, vcc_lo, v44, v3, vcc_lo
	v_add_co_u32 v6, vcc_lo, v43, v6
	v_lshlrev_b64 v[8:9], 4, v[8:9]
	v_add_co_ci_u32_e32 v7, vcc_lo, v44, v7, vcc_lo
	v_add_co_u32 v4, vcc_lo, v43, v4
	v_lshlrev_b64 v[10:11], 4, v[10:11]
	v_add_co_ci_u32_e32 v5, vcc_lo, v44, v5, vcc_lo
	v_add_co_u32 v33, vcc_lo, v43, v8
	v_add_co_ci_u32_e32 v34, vcc_lo, v44, v9, vcc_lo
	s_delay_alu instid0(VALU_DEP_4)
	v_add_co_u32 v40, vcc_lo, v43, v10
	v_add_co_ci_u32_e32 v41, vcc_lo, v44, v11, vcc_lo
	s_clause 0x5
	global_load_b128 v[28:31], v[0:1], off
	global_load_b128 v[16:19], v[2:3], off
	global_load_b128 v[12:15], v[6:7], off
	global_load_b128 v[8:11], v[4:5], off
	global_load_b128 v[4:7], v[33:34], off
	global_load_b128 v[0:3], v[40:41], off
	v_mov_b32_e32 v40, 0
	v_mul_lo_u32 v41, s2, v32
	s_delay_alu instid0(VALU_DEP_1) | instskip(SKIP_1) | instid1(VALU_DEP_2)
	v_lshl_add_u32 v42, v41, 4, 0
	v_lshlrev_b32_e32 v47, 4, v41
	v_add_nc_u32_e32 v32, v42, v35
	s_waitcnt vmcnt(7)
	ds_store_2addr_b64 v32, v[24:25], v[26:27] offset1:1
	s_waitcnt vmcnt(0) lgkmcnt(0)
	s_barrier
	buffer_gl0_inv
	ds_load_2addr_b64 v[32:35], v42 offset1:1
	s_cbranch_scc1 .LBB14_6
; %bb.4:
	v_add3_u32 v41, v47, 0, 16
	v_mov_b32_e32 v40, 0
	s_mov_b32 s6, 1
	s_set_inst_prefetch_distance 0x1
	.p2align	6
.LBB14_5:                               ; =>This Inner Loop Header: Depth=1
	ds_load_2addr_b64 v[48:51], v41 offset1:1
	s_waitcnt lgkmcnt(1)
	v_cmp_gt_f64_e32 vcc_lo, 0, v[32:33]
	v_xor_b32_e32 v46, 0x80000000, v33
	v_cmp_gt_f64_e64 s2, 0, v[34:35]
	v_xor_b32_e32 v52, 0x80000000, v35
	v_add_nc_u32_e32 v41, 16, v41
	s_waitcnt lgkmcnt(0)
	v_cmp_gt_f64_e64 s3, 0, v[48:49]
	v_mov_b32_e32 v56, v48
	v_dual_mov_b32 v58, v50 :: v_dual_cndmask_b32 v53, v33, v46
	v_xor_b32_e32 v46, 0x80000000, v49
	v_cndmask_b32_e64 v55, v35, v52, s2
	v_xor_b32_e32 v52, 0x80000000, v51
	v_cndmask_b32_e64 v54, v34, v34, s2
	s_delay_alu instid0(VALU_DEP_4) | instskip(SKIP_1) | instid1(VALU_DEP_1)
	v_cndmask_b32_e64 v57, v49, v46, s3
	v_cmp_gt_f64_e64 s3, 0, v[50:51]
	v_cndmask_b32_e64 v59, v51, v52, s3
	v_cndmask_b32_e32 v52, v32, v32, vcc_lo
	s_delay_alu instid0(VALU_DEP_2) | instskip(NEXT) | instid1(VALU_DEP_2)
	v_add_f64 v[56:57], v[56:57], v[58:59]
	v_add_f64 v[52:53], v[52:53], v[54:55]
	s_delay_alu instid0(VALU_DEP_1)
	v_cmp_lt_f64_e32 vcc_lo, v[52:53], v[56:57]
	v_cndmask_b32_e32 v35, v35, v51, vcc_lo
	v_dual_cndmask_b32 v33, v33, v49 :: v_dual_cndmask_b32 v32, v32, v48
	v_cndmask_b32_e32 v34, v34, v50, vcc_lo
	v_cndmask_b32_e64 v40, v40, s6, vcc_lo
	s_add_i32 s6, s6, 1
	s_delay_alu instid0(SALU_CYCLE_1)
	s_cmp_eq_u32 s5, s6
	s_cbranch_scc0 .LBB14_5
.LBB14_6:
	s_set_inst_prefetch_distance 0x2
	s_waitcnt lgkmcnt(0)
	v_cmp_neq_f64_e32 vcc_lo, 0, v[32:33]
	v_cmp_neq_f64_e64 s2, 0, v[34:35]
	v_dual_mov_b32 v46, 1 :: v_dual_mov_b32 v49, 1
	s_delay_alu instid0(VALU_DEP_2) | instskip(NEXT) | instid1(SALU_CYCLE_1)
	s_or_b32 s2, vcc_lo, s2
	s_and_saveexec_b32 s3, s2
	s_cbranch_execz .LBB14_12
; %bb.7:
	v_cmp_gt_f64_e32 vcc_lo, 0, v[32:33]
	v_cmp_gt_f64_e64 s2, 0, v[34:35]
	v_xor_b32_e32 v41, 0x80000000, v33
	v_xor_b32_e32 v46, 0x80000000, v35
                                        ; implicit-def: $sgpr6
                                        ; implicit-def: $sgpr7
	s_delay_alu instid0(VALU_DEP_2) | instskip(NEXT) | instid1(VALU_DEP_2)
	v_dual_cndmask_b32 v49, v33, v41 :: v_dual_cndmask_b32 v48, v32, v32
	v_cndmask_b32_e64 v51, v35, v46, s2
	v_cndmask_b32_e64 v50, v34, v34, s2
	s_mov_b32 s2, exec_lo
	s_delay_alu instid0(VALU_DEP_1)
	v_cmpx_ngt_f64_e32 v[48:49], v[50:51]
	s_xor_b32 s2, exec_lo, s2
	s_cbranch_execz .LBB14_9
; %bb.8:
	v_div_scale_f64 v[48:49], null, v[34:35], v[34:35], v[32:33]
	v_div_scale_f64 v[54:55], vcc_lo, v[32:33], v[34:35], v[32:33]
	s_mov_b32 s7, 2
	s_mov_b32 s6, 0
	s_delay_alu instid0(VALU_DEP_2) | instskip(SKIP_2) | instid1(VALU_DEP_1)
	v_rcp_f64_e32 v[50:51], v[48:49]
	s_waitcnt_depctr 0xfff
	v_fma_f64 v[52:53], -v[48:49], v[50:51], 1.0
	v_fma_f64 v[50:51], v[50:51], v[52:53], v[50:51]
	s_delay_alu instid0(VALU_DEP_1) | instskip(NEXT) | instid1(VALU_DEP_1)
	v_fma_f64 v[52:53], -v[48:49], v[50:51], 1.0
	v_fma_f64 v[50:51], v[50:51], v[52:53], v[50:51]
	s_delay_alu instid0(VALU_DEP_1) | instskip(NEXT) | instid1(VALU_DEP_1)
	v_mul_f64 v[52:53], v[54:55], v[50:51]
	v_fma_f64 v[48:49], -v[48:49], v[52:53], v[54:55]
	s_delay_alu instid0(VALU_DEP_1) | instskip(NEXT) | instid1(VALU_DEP_1)
	v_div_fmas_f64 v[48:49], v[48:49], v[50:51], v[52:53]
	v_div_fixup_f64 v[48:49], v[48:49], v[34:35], v[32:33]
	s_delay_alu instid0(VALU_DEP_1) | instskip(NEXT) | instid1(VALU_DEP_1)
	v_fma_f64 v[32:33], v[32:33], v[48:49], v[34:35]
	v_div_scale_f64 v[34:35], null, v[32:33], v[32:33], 1.0
	s_delay_alu instid0(VALU_DEP_1) | instskip(SKIP_2) | instid1(VALU_DEP_1)
	v_rcp_f64_e32 v[50:51], v[34:35]
	s_waitcnt_depctr 0xfff
	v_fma_f64 v[52:53], -v[34:35], v[50:51], 1.0
	v_fma_f64 v[50:51], v[50:51], v[52:53], v[50:51]
	s_delay_alu instid0(VALU_DEP_1) | instskip(NEXT) | instid1(VALU_DEP_1)
	v_fma_f64 v[52:53], -v[34:35], v[50:51], 1.0
	v_fma_f64 v[50:51], v[50:51], v[52:53], v[50:51]
	v_div_scale_f64 v[52:53], vcc_lo, 1.0, v[32:33], 1.0
	s_delay_alu instid0(VALU_DEP_1) | instskip(NEXT) | instid1(VALU_DEP_1)
	v_mul_f64 v[54:55], v[52:53], v[50:51]
	v_fma_f64 v[34:35], -v[34:35], v[54:55], v[52:53]
	s_delay_alu instid0(VALU_DEP_1) | instskip(NEXT) | instid1(VALU_DEP_1)
	v_div_fmas_f64 v[34:35], v[34:35], v[50:51], v[54:55]
	v_div_fixup_f64 v[34:35], v[34:35], v[32:33], 1.0
	s_delay_alu instid0(VALU_DEP_1)
	v_mul_f64 v[32:33], v[48:49], v[34:35]
	v_xor_b32_e32 v35, 0x80000000, v35
.LBB14_9:
	s_or_saveexec_b32 s2, s2
	v_dual_mov_b32 v49, s6 :: v_dual_mov_b32 v46, s7
	s_xor_b32 exec_lo, exec_lo, s2
	s_cbranch_execz .LBB14_11
; %bb.10:
	s_delay_alu instid0(VALU_DEP_3) | instskip(SKIP_2) | instid1(VALU_DEP_3)
	v_div_scale_f64 v[48:49], null, v[32:33], v[32:33], v[34:35]
	v_div_scale_f64 v[54:55], vcc_lo, v[34:35], v[32:33], v[34:35]
	v_mov_b32_e32 v46, 2
	v_rcp_f64_e32 v[50:51], v[48:49]
	s_waitcnt_depctr 0xfff
	v_fma_f64 v[52:53], -v[48:49], v[50:51], 1.0
	s_delay_alu instid0(VALU_DEP_1) | instskip(NEXT) | instid1(VALU_DEP_1)
	v_fma_f64 v[50:51], v[50:51], v[52:53], v[50:51]
	v_fma_f64 v[52:53], -v[48:49], v[50:51], 1.0
	s_delay_alu instid0(VALU_DEP_1) | instskip(NEXT) | instid1(VALU_DEP_1)
	v_fma_f64 v[50:51], v[50:51], v[52:53], v[50:51]
	v_mul_f64 v[52:53], v[54:55], v[50:51]
	s_delay_alu instid0(VALU_DEP_1) | instskip(NEXT) | instid1(VALU_DEP_1)
	v_fma_f64 v[48:49], -v[48:49], v[52:53], v[54:55]
	v_div_fmas_f64 v[48:49], v[48:49], v[50:51], v[52:53]
	s_delay_alu instid0(VALU_DEP_1) | instskip(NEXT) | instid1(VALU_DEP_1)
	v_div_fixup_f64 v[48:49], v[48:49], v[32:33], v[34:35]
	v_fma_f64 v[32:33], v[34:35], v[48:49], v[32:33]
	s_delay_alu instid0(VALU_DEP_1) | instskip(NEXT) | instid1(VALU_DEP_1)
	v_div_scale_f64 v[34:35], null, v[32:33], v[32:33], 1.0
	v_rcp_f64_e32 v[50:51], v[34:35]
	s_waitcnt_depctr 0xfff
	v_fma_f64 v[52:53], -v[34:35], v[50:51], 1.0
	s_delay_alu instid0(VALU_DEP_1) | instskip(NEXT) | instid1(VALU_DEP_1)
	v_fma_f64 v[50:51], v[50:51], v[52:53], v[50:51]
	v_fma_f64 v[52:53], -v[34:35], v[50:51], 1.0
	s_delay_alu instid0(VALU_DEP_1) | instskip(SKIP_1) | instid1(VALU_DEP_1)
	v_fma_f64 v[50:51], v[50:51], v[52:53], v[50:51]
	v_div_scale_f64 v[52:53], vcc_lo, 1.0, v[32:33], 1.0
	v_mul_f64 v[54:55], v[52:53], v[50:51]
	s_delay_alu instid0(VALU_DEP_1) | instskip(NEXT) | instid1(VALU_DEP_1)
	v_fma_f64 v[34:35], -v[34:35], v[54:55], v[52:53]
	v_div_fmas_f64 v[34:35], v[34:35], v[50:51], v[54:55]
	s_delay_alu instid0(VALU_DEP_1) | instskip(NEXT) | instid1(VALU_DEP_1)
	v_div_fixup_f64 v[32:33], v[34:35], v[32:33], 1.0
	v_mul_f64 v[34:35], v[48:49], -v[32:33]
	v_mov_b32_e32 v49, 0
.LBB14_11:
	s_or_b32 exec_lo, exec_lo, s2
.LBB14_12:
	s_delay_alu instid0(SALU_CYCLE_1) | instskip(NEXT) | instid1(SALU_CYCLE_1)
	s_or_b32 exec_lo, exec_lo, s3
	s_mov_b32 s2, exec_lo
	v_cmpx_ne_u32_e64 v45, v40
	s_xor_b32 s2, exec_lo, s2
	s_cbranch_execz .LBB14_18
; %bb.13:
	s_mov_b32 s3, exec_lo
	v_cmpx_eq_u32_e32 0, v45
	s_cbranch_execz .LBB14_17
; %bb.14:
	v_cmp_ne_u32_e32 vcc_lo, 0, v40
	s_xor_b32 s6, s4, -1
	s_delay_alu instid0(SALU_CYCLE_1) | instskip(NEXT) | instid1(SALU_CYCLE_1)
	s_and_b32 s7, s6, vcc_lo
	s_and_saveexec_b32 s6, s7
	s_cbranch_execz .LBB14_16
; %bb.15:
	v_ashrrev_i32_e32 v41, 31, v40
	s_delay_alu instid0(VALU_DEP_1) | instskip(NEXT) | instid1(VALU_DEP_1)
	v_lshlrev_b64 v[50:51], 2, v[40:41]
	v_add_co_u32 v50, vcc_lo, v38, v50
	s_delay_alu instid0(VALU_DEP_2)
	v_add_co_ci_u32_e32 v51, vcc_lo, v39, v51, vcc_lo
	s_clause 0x1
	flat_load_b32 v41, v[50:51]
	flat_load_b32 v45, v[38:39]
	s_waitcnt vmcnt(1) lgkmcnt(1)
	flat_store_b32 v[38:39], v41
	s_waitcnt vmcnt(0) lgkmcnt(1)
	flat_store_b32 v[50:51], v45
.LBB14_16:
	s_or_b32 exec_lo, exec_lo, s6
	v_mov_b32_e32 v45, v40
.LBB14_17:
	s_or_b32 exec_lo, exec_lo, s3
.LBB14_18:
	s_or_saveexec_b32 s2, s2
	s_delay_alu instid0(VALU_DEP_1)
	v_mov_b32_e32 v48, v45
	s_xor_b32 exec_lo, exec_lo, s2
	s_cbranch_execz .LBB14_20
; %bb.19:
	v_mov_b32_e32 v48, 0
	ds_store_2addr_b64 v42, v[20:21], v[22:23] offset0:2 offset1:3
	ds_store_2addr_b64 v42, v[28:29], v[30:31] offset0:4 offset1:5
	;; [unrolled: 1-line block ×7, first 2 shown]
.LBB14_20:
	s_or_b32 exec_lo, exec_lo, s2
	s_delay_alu instid0(SALU_CYCLE_1)
	s_mov_b32 s2, exec_lo
	s_waitcnt lgkmcnt(0)
	s_waitcnt_vscnt null, 0x0
	s_barrier
	buffer_gl0_inv
	v_cmpx_lt_i32_e32 0, v48
	s_cbranch_execz .LBB14_22
; %bb.21:
	v_mul_f64 v[40:41], v[32:33], v[26:27]
	v_mul_f64 v[26:27], v[34:35], v[26:27]
	ds_load_2addr_b64 v[50:53], v42 offset0:2 offset1:3
	ds_load_2addr_b64 v[54:57], v42 offset0:4 offset1:5
	;; [unrolled: 1-line block ×7, first 2 shown]
	v_fma_f64 v[34:35], v[34:35], v[24:25], v[40:41]
	v_fma_f64 v[24:25], v[32:33], v[24:25], -v[26:27]
	s_waitcnt lgkmcnt(6)
	s_delay_alu instid0(VALU_DEP_2)
	v_mul_f64 v[26:27], v[52:53], v[34:35]
	v_mul_f64 v[32:33], v[50:51], v[34:35]
	s_waitcnt lgkmcnt(5)
	v_mul_f64 v[40:41], v[56:57], v[34:35]
	v_mul_f64 v[78:79], v[54:55], v[34:35]
	s_waitcnt lgkmcnt(4)
	;; [unrolled: 3-line block ×6, first 2 shown]
	v_mul_f64 v[96:97], v[76:77], v[34:35]
	v_mul_f64 v[98:99], v[74:75], v[34:35]
	v_fma_f64 v[26:27], v[50:51], v[24:25], -v[26:27]
	v_fma_f64 v[32:33], v[52:53], v[24:25], v[32:33]
	v_fma_f64 v[40:41], v[54:55], v[24:25], -v[40:41]
	v_fma_f64 v[50:51], v[56:57], v[24:25], v[78:79]
	;; [unrolled: 2-line block ×7, first 2 shown]
	v_add_f64 v[20:21], v[20:21], -v[26:27]
	v_add_f64 v[22:23], v[22:23], -v[32:33]
	;; [unrolled: 1-line block ×14, first 2 shown]
	v_dual_mov_b32 v26, v34 :: v_dual_mov_b32 v27, v35
.LBB14_22:
	s_or_b32 exec_lo, exec_lo, s2
	v_lshl_add_u32 v32, v48, 4, v42
	s_barrier
	buffer_gl0_inv
	v_mov_b32_e32 v40, 1
	ds_store_2addr_b64 v32, v[20:21], v[22:23] offset1:1
	s_waitcnt lgkmcnt(0)
	s_barrier
	buffer_gl0_inv
	ds_load_2addr_b64 v[32:35], v42 offset0:2 offset1:3
	s_cmp_lt_i32 s5, 3
	s_cbranch_scc1 .LBB14_25
; %bb.23:
	v_add3_u32 v41, v47, 0, 32
	v_mov_b32_e32 v40, 1
	s_mov_b32 s6, 2
	s_set_inst_prefetch_distance 0x1
	.p2align	6
.LBB14_24:                              ; =>This Inner Loop Header: Depth=1
	ds_load_2addr_b64 v[50:53], v41 offset1:1
	s_waitcnt lgkmcnt(1)
	v_cmp_gt_f64_e32 vcc_lo, 0, v[32:33]
	v_xor_b32_e32 v54, 0x80000000, v33
	v_cmp_gt_f64_e64 s2, 0, v[34:35]
	v_xor_b32_e32 v56, 0x80000000, v35
	v_add_nc_u32_e32 v41, 16, v41
	s_waitcnt lgkmcnt(0)
	v_cmp_gt_f64_e64 s3, 0, v[50:51]
	v_mov_b32_e32 v58, v50
	v_dual_mov_b32 v60, v52 :: v_dual_cndmask_b32 v55, v33, v54
	v_xor_b32_e32 v54, 0x80000000, v51
	v_cndmask_b32_e64 v57, v35, v56, s2
	v_xor_b32_e32 v56, 0x80000000, v53
	s_delay_alu instid0(VALU_DEP_3) | instskip(SKIP_2) | instid1(VALU_DEP_2)
	v_cndmask_b32_e64 v59, v51, v54, s3
	v_cmp_gt_f64_e64 s3, 0, v[52:53]
	v_cndmask_b32_e32 v54, v32, v32, vcc_lo
	v_cndmask_b32_e64 v61, v53, v56, s3
	v_cndmask_b32_e64 v56, v34, v34, s2
	s_delay_alu instid0(VALU_DEP_2) | instskip(NEXT) | instid1(VALU_DEP_2)
	v_add_f64 v[58:59], v[58:59], v[60:61]
	v_add_f64 v[54:55], v[54:55], v[56:57]
	s_delay_alu instid0(VALU_DEP_1)
	v_cmp_lt_f64_e32 vcc_lo, v[54:55], v[58:59]
	v_cndmask_b32_e32 v35, v35, v53, vcc_lo
	v_dual_cndmask_b32 v33, v33, v51 :: v_dual_cndmask_b32 v32, v32, v50
	v_cndmask_b32_e32 v34, v34, v52, vcc_lo
	v_cndmask_b32_e64 v40, v40, s6, vcc_lo
	s_add_i32 s6, s6, 1
	s_delay_alu instid0(SALU_CYCLE_1)
	s_cmp_lg_u32 s5, s6
	s_cbranch_scc1 .LBB14_24
.LBB14_25:
	s_set_inst_prefetch_distance 0x2
	s_waitcnt lgkmcnt(0)
	v_cmp_neq_f64_e32 vcc_lo, 0, v[32:33]
	v_cmp_neq_f64_e64 s2, 0, v[34:35]
	s_delay_alu instid0(VALU_DEP_1) | instskip(NEXT) | instid1(SALU_CYCLE_1)
	s_or_b32 s2, vcc_lo, s2
	s_and_saveexec_b32 s3, s2
	s_cbranch_execz .LBB14_31
; %bb.26:
	v_cmp_gt_f64_e32 vcc_lo, 0, v[32:33]
	v_cmp_gt_f64_e64 s2, 0, v[34:35]
	v_xor_b32_e32 v41, 0x80000000, v33
	v_xor_b32_e32 v46, 0x80000000, v35
	s_delay_alu instid0(VALU_DEP_2) | instskip(NEXT) | instid1(VALU_DEP_2)
	v_dual_cndmask_b32 v51, v33, v41 :: v_dual_cndmask_b32 v50, v32, v32
	v_cndmask_b32_e64 v53, v35, v46, s2
	v_cndmask_b32_e64 v52, v34, v34, s2
	s_mov_b32 s2, exec_lo
	s_delay_alu instid0(VALU_DEP_1)
	v_cmpx_ngt_f64_e32 v[50:51], v[52:53]
	s_xor_b32 s2, exec_lo, s2
	s_cbranch_execz .LBB14_28
; %bb.27:
	v_div_scale_f64 v[50:51], null, v[34:35], v[34:35], v[32:33]
	v_div_scale_f64 v[56:57], vcc_lo, v[32:33], v[34:35], v[32:33]
	s_delay_alu instid0(VALU_DEP_2) | instskip(SKIP_2) | instid1(VALU_DEP_1)
	v_rcp_f64_e32 v[52:53], v[50:51]
	s_waitcnt_depctr 0xfff
	v_fma_f64 v[54:55], -v[50:51], v[52:53], 1.0
	v_fma_f64 v[52:53], v[52:53], v[54:55], v[52:53]
	s_delay_alu instid0(VALU_DEP_1) | instskip(NEXT) | instid1(VALU_DEP_1)
	v_fma_f64 v[54:55], -v[50:51], v[52:53], 1.0
	v_fma_f64 v[52:53], v[52:53], v[54:55], v[52:53]
	s_delay_alu instid0(VALU_DEP_1) | instskip(NEXT) | instid1(VALU_DEP_1)
	v_mul_f64 v[54:55], v[56:57], v[52:53]
	v_fma_f64 v[50:51], -v[50:51], v[54:55], v[56:57]
	s_delay_alu instid0(VALU_DEP_1) | instskip(NEXT) | instid1(VALU_DEP_1)
	v_div_fmas_f64 v[50:51], v[50:51], v[52:53], v[54:55]
	v_div_fixup_f64 v[50:51], v[50:51], v[34:35], v[32:33]
	s_delay_alu instid0(VALU_DEP_1) | instskip(NEXT) | instid1(VALU_DEP_1)
	v_fma_f64 v[32:33], v[32:33], v[50:51], v[34:35]
	v_div_scale_f64 v[34:35], null, v[32:33], v[32:33], 1.0
	s_delay_alu instid0(VALU_DEP_1) | instskip(SKIP_2) | instid1(VALU_DEP_1)
	v_rcp_f64_e32 v[52:53], v[34:35]
	s_waitcnt_depctr 0xfff
	v_fma_f64 v[54:55], -v[34:35], v[52:53], 1.0
	v_fma_f64 v[52:53], v[52:53], v[54:55], v[52:53]
	s_delay_alu instid0(VALU_DEP_1) | instskip(NEXT) | instid1(VALU_DEP_1)
	v_fma_f64 v[54:55], -v[34:35], v[52:53], 1.0
	v_fma_f64 v[52:53], v[52:53], v[54:55], v[52:53]
	v_div_scale_f64 v[54:55], vcc_lo, 1.0, v[32:33], 1.0
	s_delay_alu instid0(VALU_DEP_1) | instskip(NEXT) | instid1(VALU_DEP_1)
	v_mul_f64 v[56:57], v[54:55], v[52:53]
	v_fma_f64 v[34:35], -v[34:35], v[56:57], v[54:55]
	s_delay_alu instid0(VALU_DEP_1) | instskip(NEXT) | instid1(VALU_DEP_1)
	v_div_fmas_f64 v[34:35], v[34:35], v[52:53], v[56:57]
	v_div_fixup_f64 v[34:35], v[34:35], v[32:33], 1.0
	s_delay_alu instid0(VALU_DEP_1)
	v_mul_f64 v[32:33], v[50:51], v[34:35]
	v_xor_b32_e32 v35, 0x80000000, v35
.LBB14_28:
	s_and_not1_saveexec_b32 s2, s2
	s_cbranch_execz .LBB14_30
; %bb.29:
	s_delay_alu instid0(VALU_DEP_1) | instskip(SKIP_1) | instid1(VALU_DEP_2)
	v_div_scale_f64 v[50:51], null, v[32:33], v[32:33], v[34:35]
	v_div_scale_f64 v[56:57], vcc_lo, v[34:35], v[32:33], v[34:35]
	v_rcp_f64_e32 v[52:53], v[50:51]
	s_waitcnt_depctr 0xfff
	v_fma_f64 v[54:55], -v[50:51], v[52:53], 1.0
	s_delay_alu instid0(VALU_DEP_1) | instskip(NEXT) | instid1(VALU_DEP_1)
	v_fma_f64 v[52:53], v[52:53], v[54:55], v[52:53]
	v_fma_f64 v[54:55], -v[50:51], v[52:53], 1.0
	s_delay_alu instid0(VALU_DEP_1) | instskip(NEXT) | instid1(VALU_DEP_1)
	v_fma_f64 v[52:53], v[52:53], v[54:55], v[52:53]
	v_mul_f64 v[54:55], v[56:57], v[52:53]
	s_delay_alu instid0(VALU_DEP_1) | instskip(NEXT) | instid1(VALU_DEP_1)
	v_fma_f64 v[50:51], -v[50:51], v[54:55], v[56:57]
	v_div_fmas_f64 v[50:51], v[50:51], v[52:53], v[54:55]
	s_delay_alu instid0(VALU_DEP_1) | instskip(NEXT) | instid1(VALU_DEP_1)
	v_div_fixup_f64 v[50:51], v[50:51], v[32:33], v[34:35]
	v_fma_f64 v[32:33], v[34:35], v[50:51], v[32:33]
	s_delay_alu instid0(VALU_DEP_1) | instskip(NEXT) | instid1(VALU_DEP_1)
	v_div_scale_f64 v[34:35], null, v[32:33], v[32:33], 1.0
	v_rcp_f64_e32 v[52:53], v[34:35]
	s_waitcnt_depctr 0xfff
	v_fma_f64 v[54:55], -v[34:35], v[52:53], 1.0
	s_delay_alu instid0(VALU_DEP_1) | instskip(NEXT) | instid1(VALU_DEP_1)
	v_fma_f64 v[52:53], v[52:53], v[54:55], v[52:53]
	v_fma_f64 v[54:55], -v[34:35], v[52:53], 1.0
	s_delay_alu instid0(VALU_DEP_1) | instskip(SKIP_1) | instid1(VALU_DEP_1)
	v_fma_f64 v[52:53], v[52:53], v[54:55], v[52:53]
	v_div_scale_f64 v[54:55], vcc_lo, 1.0, v[32:33], 1.0
	v_mul_f64 v[56:57], v[54:55], v[52:53]
	s_delay_alu instid0(VALU_DEP_1) | instskip(NEXT) | instid1(VALU_DEP_1)
	v_fma_f64 v[34:35], -v[34:35], v[56:57], v[54:55]
	v_div_fmas_f64 v[34:35], v[34:35], v[52:53], v[56:57]
	s_delay_alu instid0(VALU_DEP_1) | instskip(NEXT) | instid1(VALU_DEP_1)
	v_div_fixup_f64 v[32:33], v[34:35], v[32:33], 1.0
	v_mul_f64 v[34:35], v[50:51], -v[32:33]
.LBB14_30:
	s_or_b32 exec_lo, exec_lo, s2
	v_mov_b32_e32 v46, v49
.LBB14_31:
	s_or_b32 exec_lo, exec_lo, s3
	s_delay_alu instid0(SALU_CYCLE_1)
	s_mov_b32 s2, exec_lo
	v_cmpx_ne_u32_e64 v48, v40
	s_xor_b32 s2, exec_lo, s2
	s_cbranch_execz .LBB14_37
; %bb.32:
	s_mov_b32 s3, exec_lo
	v_cmpx_eq_u32_e32 1, v48
	s_cbranch_execz .LBB14_36
; %bb.33:
	v_cmp_ne_u32_e32 vcc_lo, 1, v40
	s_xor_b32 s6, s4, -1
	s_delay_alu instid0(SALU_CYCLE_1) | instskip(NEXT) | instid1(SALU_CYCLE_1)
	s_and_b32 s7, s6, vcc_lo
	s_and_saveexec_b32 s6, s7
	s_cbranch_execz .LBB14_35
; %bb.34:
	v_ashrrev_i32_e32 v41, 31, v40
	s_delay_alu instid0(VALU_DEP_1) | instskip(NEXT) | instid1(VALU_DEP_1)
	v_lshlrev_b64 v[48:49], 2, v[40:41]
	v_add_co_u32 v48, vcc_lo, v38, v48
	s_delay_alu instid0(VALU_DEP_2)
	v_add_co_ci_u32_e32 v49, vcc_lo, v39, v49, vcc_lo
	s_clause 0x1
	flat_load_b32 v41, v[48:49]
	flat_load_b32 v45, v[38:39] offset:4
	s_waitcnt vmcnt(1) lgkmcnt(1)
	flat_store_b32 v[38:39], v41 offset:4
	s_waitcnt vmcnt(0) lgkmcnt(1)
	flat_store_b32 v[48:49], v45
.LBB14_35:
	s_or_b32 exec_lo, exec_lo, s6
	v_mov_b32_e32 v48, v40
	v_mov_b32_e32 v45, v40
.LBB14_36:
	s_or_b32 exec_lo, exec_lo, s3
.LBB14_37:
	s_and_not1_saveexec_b32 s2, s2
	s_cbranch_execz .LBB14_39
; %bb.38:
	v_mov_b32_e32 v48, 1
	ds_store_2addr_b64 v42, v[28:29], v[30:31] offset0:4 offset1:5
	ds_store_2addr_b64 v42, v[16:17], v[18:19] offset0:6 offset1:7
	;; [unrolled: 1-line block ×6, first 2 shown]
.LBB14_39:
	s_or_b32 exec_lo, exec_lo, s2
	s_delay_alu instid0(SALU_CYCLE_1)
	s_mov_b32 s2, exec_lo
	s_waitcnt lgkmcnt(0)
	s_waitcnt_vscnt null, 0x0
	s_barrier
	buffer_gl0_inv
	v_cmpx_lt_i32_e32 1, v48
	s_cbranch_execz .LBB14_41
; %bb.40:
	v_mul_f64 v[40:41], v[32:33], v[22:23]
	v_mul_f64 v[22:23], v[34:35], v[22:23]
	ds_load_2addr_b64 v[49:52], v42 offset0:4 offset1:5
	ds_load_2addr_b64 v[53:56], v42 offset0:6 offset1:7
	;; [unrolled: 1-line block ×6, first 2 shown]
	v_fma_f64 v[34:35], v[34:35], v[20:21], v[40:41]
	v_fma_f64 v[20:21], v[32:33], v[20:21], -v[22:23]
	s_waitcnt lgkmcnt(5)
	s_delay_alu instid0(VALU_DEP_2)
	v_mul_f64 v[22:23], v[51:52], v[34:35]
	v_mul_f64 v[32:33], v[49:50], v[34:35]
	s_waitcnt lgkmcnt(4)
	v_mul_f64 v[40:41], v[55:56], v[34:35]
	v_mul_f64 v[73:74], v[53:54], v[34:35]
	s_waitcnt lgkmcnt(3)
	;; [unrolled: 3-line block ×5, first 2 shown]
	v_mul_f64 v[87:88], v[71:72], v[34:35]
	v_mul_f64 v[89:90], v[69:70], v[34:35]
	v_fma_f64 v[22:23], v[49:50], v[20:21], -v[22:23]
	v_fma_f64 v[32:33], v[51:52], v[20:21], v[32:33]
	v_fma_f64 v[40:41], v[53:54], v[20:21], -v[40:41]
	v_fma_f64 v[49:50], v[55:56], v[20:21], v[73:74]
	v_fma_f64 v[51:52], v[57:58], v[20:21], -v[75:76]
	v_fma_f64 v[53:54], v[59:60], v[20:21], v[77:78]
	v_fma_f64 v[55:56], v[61:62], v[20:21], -v[79:80]
	v_fma_f64 v[57:58], v[63:64], v[20:21], v[81:82]
	v_fma_f64 v[59:60], v[65:66], v[20:21], -v[83:84]
	v_fma_f64 v[61:62], v[67:68], v[20:21], v[85:86]
	v_fma_f64 v[63:64], v[69:70], v[20:21], -v[87:88]
	v_fma_f64 v[65:66], v[71:72], v[20:21], v[89:90]
	v_add_f64 v[28:29], v[28:29], -v[22:23]
	v_add_f64 v[30:31], v[30:31], -v[32:33]
	v_add_f64 v[16:17], v[16:17], -v[40:41]
	v_add_f64 v[18:19], v[18:19], -v[49:50]
	v_add_f64 v[12:13], v[12:13], -v[51:52]
	v_add_f64 v[14:15], v[14:15], -v[53:54]
	v_add_f64 v[8:9], v[8:9], -v[55:56]
	v_add_f64 v[10:11], v[10:11], -v[57:58]
	v_add_f64 v[4:5], v[4:5], -v[59:60]
	v_add_f64 v[6:7], v[6:7], -v[61:62]
	v_add_f64 v[0:1], v[0:1], -v[63:64]
	v_add_f64 v[2:3], v[2:3], -v[65:66]
	v_dual_mov_b32 v22, v34 :: v_dual_mov_b32 v23, v35
.LBB14_41:
	s_or_b32 exec_lo, exec_lo, s2
	v_lshl_add_u32 v32, v48, 4, v42
	s_barrier
	buffer_gl0_inv
	v_mov_b32_e32 v40, 2
	ds_store_2addr_b64 v32, v[28:29], v[30:31] offset1:1
	s_waitcnt lgkmcnt(0)
	s_barrier
	buffer_gl0_inv
	ds_load_2addr_b64 v[32:35], v42 offset0:4 offset1:5
	s_cmp_lt_i32 s5, 4
	s_cbranch_scc1 .LBB14_44
; %bb.42:
	v_add3_u32 v41, v47, 0, 48
	v_mov_b32_e32 v40, 2
	s_mov_b32 s6, 3
	s_set_inst_prefetch_distance 0x1
	.p2align	6
.LBB14_43:                              ; =>This Inner Loop Header: Depth=1
	ds_load_2addr_b64 v[49:52], v41 offset1:1
	s_waitcnt lgkmcnt(1)
	v_cmp_gt_f64_e32 vcc_lo, 0, v[32:33]
	v_xor_b32_e32 v53, 0x80000000, v33
	v_cmp_gt_f64_e64 s2, 0, v[34:35]
	v_xor_b32_e32 v55, 0x80000000, v35
	v_add_nc_u32_e32 v41, 16, v41
	s_waitcnt lgkmcnt(0)
	v_cmp_gt_f64_e64 s3, 0, v[49:50]
	v_mov_b32_e32 v57, v49
	v_dual_mov_b32 v59, v51 :: v_dual_cndmask_b32 v54, v33, v53
	v_xor_b32_e32 v53, 0x80000000, v50
	v_cndmask_b32_e64 v56, v35, v55, s2
	v_xor_b32_e32 v55, 0x80000000, v52
	s_delay_alu instid0(VALU_DEP_3) | instskip(SKIP_2) | instid1(VALU_DEP_2)
	v_cndmask_b32_e64 v58, v50, v53, s3
	v_cmp_gt_f64_e64 s3, 0, v[51:52]
	v_cndmask_b32_e32 v53, v32, v32, vcc_lo
	v_cndmask_b32_e64 v60, v52, v55, s3
	v_cndmask_b32_e64 v55, v34, v34, s2
	s_delay_alu instid0(VALU_DEP_2) | instskip(NEXT) | instid1(VALU_DEP_2)
	v_add_f64 v[57:58], v[57:58], v[59:60]
	v_add_f64 v[53:54], v[53:54], v[55:56]
	s_delay_alu instid0(VALU_DEP_1) | instskip(SKIP_4) | instid1(SALU_CYCLE_1)
	v_cmp_lt_f64_e32 vcc_lo, v[53:54], v[57:58]
	v_dual_cndmask_b32 v34, v34, v51 :: v_dual_cndmask_b32 v33, v33, v50
	v_dual_cndmask_b32 v32, v32, v49 :: v_dual_cndmask_b32 v35, v35, v52
	v_cndmask_b32_e64 v40, v40, s6, vcc_lo
	s_add_i32 s6, s6, 1
	s_cmp_lg_u32 s5, s6
	s_cbranch_scc1 .LBB14_43
.LBB14_44:
	s_set_inst_prefetch_distance 0x2
	s_waitcnt lgkmcnt(0)
	v_cmp_eq_f64_e32 vcc_lo, 0, v[32:33]
	v_cmp_eq_f64_e64 s2, 0, v[34:35]
	s_delay_alu instid0(VALU_DEP_1) | instskip(NEXT) | instid1(SALU_CYCLE_1)
	s_and_b32 s2, vcc_lo, s2
	s_and_saveexec_b32 s3, s2
	s_delay_alu instid0(SALU_CYCLE_1)
	s_xor_b32 s2, exec_lo, s3
; %bb.45:
	v_cmp_ne_u32_e32 vcc_lo, 0, v46
	v_cndmask_b32_e32 v46, 3, v46, vcc_lo
; %bb.46:
	s_and_not1_saveexec_b32 s3, s2
	s_cbranch_execz .LBB14_52
; %bb.47:
	v_cmp_gt_f64_e32 vcc_lo, 0, v[32:33]
	v_cmp_gt_f64_e64 s2, 0, v[34:35]
	v_xor_b32_e32 v41, 0x80000000, v33
	v_xor_b32_e32 v49, 0x80000000, v35
	s_delay_alu instid0(VALU_DEP_2) | instskip(NEXT) | instid1(VALU_DEP_2)
	v_cndmask_b32_e32 v50, v33, v41, vcc_lo
	v_cndmask_b32_e64 v52, v35, v49, s2
	v_cndmask_b32_e32 v49, v32, v32, vcc_lo
	v_cndmask_b32_e64 v51, v34, v34, s2
	s_mov_b32 s2, exec_lo
	s_delay_alu instid0(VALU_DEP_1)
	v_cmpx_ngt_f64_e32 v[49:50], v[51:52]
	s_xor_b32 s2, exec_lo, s2
	s_cbranch_execz .LBB14_49
; %bb.48:
	v_div_scale_f64 v[49:50], null, v[34:35], v[34:35], v[32:33]
	v_div_scale_f64 v[55:56], vcc_lo, v[32:33], v[34:35], v[32:33]
	s_delay_alu instid0(VALU_DEP_2) | instskip(SKIP_2) | instid1(VALU_DEP_1)
	v_rcp_f64_e32 v[51:52], v[49:50]
	s_waitcnt_depctr 0xfff
	v_fma_f64 v[53:54], -v[49:50], v[51:52], 1.0
	v_fma_f64 v[51:52], v[51:52], v[53:54], v[51:52]
	s_delay_alu instid0(VALU_DEP_1) | instskip(NEXT) | instid1(VALU_DEP_1)
	v_fma_f64 v[53:54], -v[49:50], v[51:52], 1.0
	v_fma_f64 v[51:52], v[51:52], v[53:54], v[51:52]
	s_delay_alu instid0(VALU_DEP_1) | instskip(NEXT) | instid1(VALU_DEP_1)
	v_mul_f64 v[53:54], v[55:56], v[51:52]
	v_fma_f64 v[49:50], -v[49:50], v[53:54], v[55:56]
	s_delay_alu instid0(VALU_DEP_1) | instskip(NEXT) | instid1(VALU_DEP_1)
	v_div_fmas_f64 v[49:50], v[49:50], v[51:52], v[53:54]
	v_div_fixup_f64 v[49:50], v[49:50], v[34:35], v[32:33]
	s_delay_alu instid0(VALU_DEP_1) | instskip(NEXT) | instid1(VALU_DEP_1)
	v_fma_f64 v[32:33], v[32:33], v[49:50], v[34:35]
	v_div_scale_f64 v[34:35], null, v[32:33], v[32:33], 1.0
	s_delay_alu instid0(VALU_DEP_1) | instskip(SKIP_2) | instid1(VALU_DEP_1)
	v_rcp_f64_e32 v[51:52], v[34:35]
	s_waitcnt_depctr 0xfff
	v_fma_f64 v[53:54], -v[34:35], v[51:52], 1.0
	v_fma_f64 v[51:52], v[51:52], v[53:54], v[51:52]
	s_delay_alu instid0(VALU_DEP_1) | instskip(NEXT) | instid1(VALU_DEP_1)
	v_fma_f64 v[53:54], -v[34:35], v[51:52], 1.0
	v_fma_f64 v[51:52], v[51:52], v[53:54], v[51:52]
	v_div_scale_f64 v[53:54], vcc_lo, 1.0, v[32:33], 1.0
	s_delay_alu instid0(VALU_DEP_1) | instskip(NEXT) | instid1(VALU_DEP_1)
	v_mul_f64 v[55:56], v[53:54], v[51:52]
	v_fma_f64 v[34:35], -v[34:35], v[55:56], v[53:54]
	s_delay_alu instid0(VALU_DEP_1) | instskip(NEXT) | instid1(VALU_DEP_1)
	v_div_fmas_f64 v[34:35], v[34:35], v[51:52], v[55:56]
	v_div_fixup_f64 v[34:35], v[34:35], v[32:33], 1.0
	s_delay_alu instid0(VALU_DEP_1)
	v_mul_f64 v[32:33], v[49:50], v[34:35]
	v_xor_b32_e32 v35, 0x80000000, v35
.LBB14_49:
	s_and_not1_saveexec_b32 s2, s2
	s_cbranch_execz .LBB14_51
; %bb.50:
	s_delay_alu instid0(VALU_DEP_1) | instskip(SKIP_1) | instid1(VALU_DEP_2)
	v_div_scale_f64 v[49:50], null, v[32:33], v[32:33], v[34:35]
	v_div_scale_f64 v[55:56], vcc_lo, v[34:35], v[32:33], v[34:35]
	v_rcp_f64_e32 v[51:52], v[49:50]
	s_waitcnt_depctr 0xfff
	v_fma_f64 v[53:54], -v[49:50], v[51:52], 1.0
	s_delay_alu instid0(VALU_DEP_1) | instskip(NEXT) | instid1(VALU_DEP_1)
	v_fma_f64 v[51:52], v[51:52], v[53:54], v[51:52]
	v_fma_f64 v[53:54], -v[49:50], v[51:52], 1.0
	s_delay_alu instid0(VALU_DEP_1) | instskip(NEXT) | instid1(VALU_DEP_1)
	v_fma_f64 v[51:52], v[51:52], v[53:54], v[51:52]
	v_mul_f64 v[53:54], v[55:56], v[51:52]
	s_delay_alu instid0(VALU_DEP_1) | instskip(NEXT) | instid1(VALU_DEP_1)
	v_fma_f64 v[49:50], -v[49:50], v[53:54], v[55:56]
	v_div_fmas_f64 v[49:50], v[49:50], v[51:52], v[53:54]
	s_delay_alu instid0(VALU_DEP_1) | instskip(NEXT) | instid1(VALU_DEP_1)
	v_div_fixup_f64 v[49:50], v[49:50], v[32:33], v[34:35]
	v_fma_f64 v[32:33], v[34:35], v[49:50], v[32:33]
	s_delay_alu instid0(VALU_DEP_1) | instskip(NEXT) | instid1(VALU_DEP_1)
	v_div_scale_f64 v[34:35], null, v[32:33], v[32:33], 1.0
	v_rcp_f64_e32 v[51:52], v[34:35]
	s_waitcnt_depctr 0xfff
	v_fma_f64 v[53:54], -v[34:35], v[51:52], 1.0
	s_delay_alu instid0(VALU_DEP_1) | instskip(NEXT) | instid1(VALU_DEP_1)
	v_fma_f64 v[51:52], v[51:52], v[53:54], v[51:52]
	v_fma_f64 v[53:54], -v[34:35], v[51:52], 1.0
	s_delay_alu instid0(VALU_DEP_1) | instskip(SKIP_1) | instid1(VALU_DEP_1)
	v_fma_f64 v[51:52], v[51:52], v[53:54], v[51:52]
	v_div_scale_f64 v[53:54], vcc_lo, 1.0, v[32:33], 1.0
	v_mul_f64 v[55:56], v[53:54], v[51:52]
	s_delay_alu instid0(VALU_DEP_1) | instskip(NEXT) | instid1(VALU_DEP_1)
	v_fma_f64 v[34:35], -v[34:35], v[55:56], v[53:54]
	v_div_fmas_f64 v[34:35], v[34:35], v[51:52], v[55:56]
	s_delay_alu instid0(VALU_DEP_1) | instskip(NEXT) | instid1(VALU_DEP_1)
	v_div_fixup_f64 v[32:33], v[34:35], v[32:33], 1.0
	v_mul_f64 v[34:35], v[49:50], -v[32:33]
.LBB14_51:
	s_or_b32 exec_lo, exec_lo, s2
.LBB14_52:
	s_delay_alu instid0(SALU_CYCLE_1) | instskip(NEXT) | instid1(SALU_CYCLE_1)
	s_or_b32 exec_lo, exec_lo, s3
	s_mov_b32 s2, exec_lo
	v_cmpx_ne_u32_e64 v48, v40
	s_xor_b32 s2, exec_lo, s2
	s_cbranch_execz .LBB14_58
; %bb.53:
	s_mov_b32 s3, exec_lo
	v_cmpx_eq_u32_e32 2, v48
	s_cbranch_execz .LBB14_57
; %bb.54:
	v_cmp_ne_u32_e32 vcc_lo, 2, v40
	s_xor_b32 s6, s4, -1
	s_delay_alu instid0(SALU_CYCLE_1) | instskip(NEXT) | instid1(SALU_CYCLE_1)
	s_and_b32 s7, s6, vcc_lo
	s_and_saveexec_b32 s6, s7
	s_cbranch_execz .LBB14_56
; %bb.55:
	v_ashrrev_i32_e32 v41, 31, v40
	s_delay_alu instid0(VALU_DEP_1) | instskip(NEXT) | instid1(VALU_DEP_1)
	v_lshlrev_b64 v[48:49], 2, v[40:41]
	v_add_co_u32 v48, vcc_lo, v38, v48
	s_delay_alu instid0(VALU_DEP_2)
	v_add_co_ci_u32_e32 v49, vcc_lo, v39, v49, vcc_lo
	s_clause 0x1
	flat_load_b32 v41, v[48:49]
	flat_load_b32 v45, v[38:39] offset:8
	s_waitcnt vmcnt(1) lgkmcnt(1)
	flat_store_b32 v[38:39], v41 offset:8
	s_waitcnt vmcnt(0) lgkmcnt(1)
	flat_store_b32 v[48:49], v45
.LBB14_56:
	s_or_b32 exec_lo, exec_lo, s6
	v_mov_b32_e32 v48, v40
	v_mov_b32_e32 v45, v40
.LBB14_57:
	s_or_b32 exec_lo, exec_lo, s3
.LBB14_58:
	s_and_not1_saveexec_b32 s2, s2
	s_cbranch_execz .LBB14_60
; %bb.59:
	v_mov_b32_e32 v48, 2
	ds_store_2addr_b64 v42, v[16:17], v[18:19] offset0:6 offset1:7
	ds_store_2addr_b64 v42, v[12:13], v[14:15] offset0:8 offset1:9
	;; [unrolled: 1-line block ×5, first 2 shown]
.LBB14_60:
	s_or_b32 exec_lo, exec_lo, s2
	s_delay_alu instid0(SALU_CYCLE_1)
	s_mov_b32 s2, exec_lo
	s_waitcnt lgkmcnt(0)
	s_waitcnt_vscnt null, 0x0
	s_barrier
	buffer_gl0_inv
	v_cmpx_lt_i32_e32 2, v48
	s_cbranch_execz .LBB14_62
; %bb.61:
	v_mul_f64 v[40:41], v[32:33], v[30:31]
	v_mul_f64 v[30:31], v[34:35], v[30:31]
	ds_load_2addr_b64 v[49:52], v42 offset0:6 offset1:7
	ds_load_2addr_b64 v[53:56], v42 offset0:8 offset1:9
	;; [unrolled: 1-line block ×5, first 2 shown]
	v_fma_f64 v[34:35], v[34:35], v[28:29], v[40:41]
	v_fma_f64 v[28:29], v[32:33], v[28:29], -v[30:31]
	s_waitcnt lgkmcnt(4)
	s_delay_alu instid0(VALU_DEP_2)
	v_mul_f64 v[30:31], v[51:52], v[34:35]
	v_mul_f64 v[32:33], v[49:50], v[34:35]
	s_waitcnt lgkmcnt(3)
	v_mul_f64 v[40:41], v[55:56], v[34:35]
	v_mul_f64 v[69:70], v[53:54], v[34:35]
	s_waitcnt lgkmcnt(2)
	v_mul_f64 v[71:72], v[59:60], v[34:35]
	v_mul_f64 v[73:74], v[57:58], v[34:35]
	s_waitcnt lgkmcnt(1)
	v_mul_f64 v[75:76], v[63:64], v[34:35]
	v_mul_f64 v[77:78], v[61:62], v[34:35]
	s_waitcnt lgkmcnt(0)
	v_mul_f64 v[79:80], v[67:68], v[34:35]
	v_mul_f64 v[81:82], v[65:66], v[34:35]
	v_fma_f64 v[30:31], v[49:50], v[28:29], -v[30:31]
	v_fma_f64 v[32:33], v[51:52], v[28:29], v[32:33]
	v_fma_f64 v[40:41], v[53:54], v[28:29], -v[40:41]
	v_fma_f64 v[49:50], v[55:56], v[28:29], v[69:70]
	;; [unrolled: 2-line block ×5, first 2 shown]
	v_add_f64 v[16:17], v[16:17], -v[30:31]
	v_add_f64 v[18:19], v[18:19], -v[32:33]
	;; [unrolled: 1-line block ×10, first 2 shown]
	v_dual_mov_b32 v30, v34 :: v_dual_mov_b32 v31, v35
.LBB14_62:
	s_or_b32 exec_lo, exec_lo, s2
	v_lshl_add_u32 v32, v48, 4, v42
	s_barrier
	buffer_gl0_inv
	v_mov_b32_e32 v40, 3
	ds_store_2addr_b64 v32, v[16:17], v[18:19] offset1:1
	s_waitcnt lgkmcnt(0)
	s_barrier
	buffer_gl0_inv
	ds_load_2addr_b64 v[32:35], v42 offset0:6 offset1:7
	s_cmp_lt_i32 s5, 5
	s_mov_b32 s6, 4
	s_cbranch_scc1 .LBB14_65
; %bb.63:
	v_add3_u32 v41, v47, 0, 64
	v_mov_b32_e32 v40, 3
	s_set_inst_prefetch_distance 0x1
	.p2align	6
.LBB14_64:                              ; =>This Inner Loop Header: Depth=1
	ds_load_2addr_b64 v[49:52], v41 offset1:1
	s_waitcnt lgkmcnt(1)
	v_cmp_gt_f64_e32 vcc_lo, 0, v[32:33]
	v_xor_b32_e32 v53, 0x80000000, v33
	v_cmp_gt_f64_e64 s2, 0, v[34:35]
	v_xor_b32_e32 v55, 0x80000000, v35
	v_add_nc_u32_e32 v41, 16, v41
	s_waitcnt lgkmcnt(0)
	v_cmp_gt_f64_e64 s3, 0, v[49:50]
	v_mov_b32_e32 v57, v49
	v_dual_mov_b32 v59, v51 :: v_dual_cndmask_b32 v54, v33, v53
	v_xor_b32_e32 v53, 0x80000000, v50
	v_cndmask_b32_e64 v56, v35, v55, s2
	v_xor_b32_e32 v55, 0x80000000, v52
	s_delay_alu instid0(VALU_DEP_3) | instskip(SKIP_2) | instid1(VALU_DEP_2)
	v_cndmask_b32_e64 v58, v50, v53, s3
	v_cmp_gt_f64_e64 s3, 0, v[51:52]
	v_cndmask_b32_e32 v53, v32, v32, vcc_lo
	v_cndmask_b32_e64 v60, v52, v55, s3
	v_cndmask_b32_e64 v55, v34, v34, s2
	s_delay_alu instid0(VALU_DEP_2) | instskip(NEXT) | instid1(VALU_DEP_2)
	v_add_f64 v[57:58], v[57:58], v[59:60]
	v_add_f64 v[53:54], v[53:54], v[55:56]
	s_delay_alu instid0(VALU_DEP_1) | instskip(SKIP_4) | instid1(SALU_CYCLE_1)
	v_cmp_lt_f64_e32 vcc_lo, v[53:54], v[57:58]
	v_dual_cndmask_b32 v34, v34, v51 :: v_dual_cndmask_b32 v33, v33, v50
	v_dual_cndmask_b32 v32, v32, v49 :: v_dual_cndmask_b32 v35, v35, v52
	v_cndmask_b32_e64 v40, v40, s6, vcc_lo
	s_add_i32 s6, s6, 1
	s_cmp_lg_u32 s5, s6
	s_cbranch_scc1 .LBB14_64
.LBB14_65:
	s_set_inst_prefetch_distance 0x2
	s_waitcnt lgkmcnt(0)
	v_cmp_eq_f64_e32 vcc_lo, 0, v[32:33]
	v_cmp_eq_f64_e64 s2, 0, v[34:35]
	s_delay_alu instid0(VALU_DEP_1) | instskip(NEXT) | instid1(SALU_CYCLE_1)
	s_and_b32 s2, vcc_lo, s2
	s_and_saveexec_b32 s3, s2
	s_delay_alu instid0(SALU_CYCLE_1)
	s_xor_b32 s2, exec_lo, s3
; %bb.66:
	v_cmp_ne_u32_e32 vcc_lo, 0, v46
	v_cndmask_b32_e32 v46, 4, v46, vcc_lo
; %bb.67:
	s_and_not1_saveexec_b32 s3, s2
	s_cbranch_execz .LBB14_73
; %bb.68:
	v_cmp_gt_f64_e32 vcc_lo, 0, v[32:33]
	v_cmp_gt_f64_e64 s2, 0, v[34:35]
	v_xor_b32_e32 v41, 0x80000000, v33
	v_xor_b32_e32 v49, 0x80000000, v35
	s_delay_alu instid0(VALU_DEP_2) | instskip(NEXT) | instid1(VALU_DEP_2)
	v_cndmask_b32_e32 v50, v33, v41, vcc_lo
	v_cndmask_b32_e64 v52, v35, v49, s2
	v_cndmask_b32_e32 v49, v32, v32, vcc_lo
	v_cndmask_b32_e64 v51, v34, v34, s2
	s_mov_b32 s2, exec_lo
	s_delay_alu instid0(VALU_DEP_1)
	v_cmpx_ngt_f64_e32 v[49:50], v[51:52]
	s_xor_b32 s2, exec_lo, s2
	s_cbranch_execz .LBB14_70
; %bb.69:
	v_div_scale_f64 v[49:50], null, v[34:35], v[34:35], v[32:33]
	v_div_scale_f64 v[55:56], vcc_lo, v[32:33], v[34:35], v[32:33]
	s_delay_alu instid0(VALU_DEP_2) | instskip(SKIP_2) | instid1(VALU_DEP_1)
	v_rcp_f64_e32 v[51:52], v[49:50]
	s_waitcnt_depctr 0xfff
	v_fma_f64 v[53:54], -v[49:50], v[51:52], 1.0
	v_fma_f64 v[51:52], v[51:52], v[53:54], v[51:52]
	s_delay_alu instid0(VALU_DEP_1) | instskip(NEXT) | instid1(VALU_DEP_1)
	v_fma_f64 v[53:54], -v[49:50], v[51:52], 1.0
	v_fma_f64 v[51:52], v[51:52], v[53:54], v[51:52]
	s_delay_alu instid0(VALU_DEP_1) | instskip(NEXT) | instid1(VALU_DEP_1)
	v_mul_f64 v[53:54], v[55:56], v[51:52]
	v_fma_f64 v[49:50], -v[49:50], v[53:54], v[55:56]
	s_delay_alu instid0(VALU_DEP_1) | instskip(NEXT) | instid1(VALU_DEP_1)
	v_div_fmas_f64 v[49:50], v[49:50], v[51:52], v[53:54]
	v_div_fixup_f64 v[49:50], v[49:50], v[34:35], v[32:33]
	s_delay_alu instid0(VALU_DEP_1) | instskip(NEXT) | instid1(VALU_DEP_1)
	v_fma_f64 v[32:33], v[32:33], v[49:50], v[34:35]
	v_div_scale_f64 v[34:35], null, v[32:33], v[32:33], 1.0
	s_delay_alu instid0(VALU_DEP_1) | instskip(SKIP_2) | instid1(VALU_DEP_1)
	v_rcp_f64_e32 v[51:52], v[34:35]
	s_waitcnt_depctr 0xfff
	v_fma_f64 v[53:54], -v[34:35], v[51:52], 1.0
	v_fma_f64 v[51:52], v[51:52], v[53:54], v[51:52]
	s_delay_alu instid0(VALU_DEP_1) | instskip(NEXT) | instid1(VALU_DEP_1)
	v_fma_f64 v[53:54], -v[34:35], v[51:52], 1.0
	v_fma_f64 v[51:52], v[51:52], v[53:54], v[51:52]
	v_div_scale_f64 v[53:54], vcc_lo, 1.0, v[32:33], 1.0
	s_delay_alu instid0(VALU_DEP_1) | instskip(NEXT) | instid1(VALU_DEP_1)
	v_mul_f64 v[55:56], v[53:54], v[51:52]
	v_fma_f64 v[34:35], -v[34:35], v[55:56], v[53:54]
	s_delay_alu instid0(VALU_DEP_1) | instskip(NEXT) | instid1(VALU_DEP_1)
	v_div_fmas_f64 v[34:35], v[34:35], v[51:52], v[55:56]
	v_div_fixup_f64 v[34:35], v[34:35], v[32:33], 1.0
	s_delay_alu instid0(VALU_DEP_1)
	v_mul_f64 v[32:33], v[49:50], v[34:35]
	v_xor_b32_e32 v35, 0x80000000, v35
.LBB14_70:
	s_and_not1_saveexec_b32 s2, s2
	s_cbranch_execz .LBB14_72
; %bb.71:
	s_delay_alu instid0(VALU_DEP_1) | instskip(SKIP_1) | instid1(VALU_DEP_2)
	v_div_scale_f64 v[49:50], null, v[32:33], v[32:33], v[34:35]
	v_div_scale_f64 v[55:56], vcc_lo, v[34:35], v[32:33], v[34:35]
	v_rcp_f64_e32 v[51:52], v[49:50]
	s_waitcnt_depctr 0xfff
	v_fma_f64 v[53:54], -v[49:50], v[51:52], 1.0
	s_delay_alu instid0(VALU_DEP_1) | instskip(NEXT) | instid1(VALU_DEP_1)
	v_fma_f64 v[51:52], v[51:52], v[53:54], v[51:52]
	v_fma_f64 v[53:54], -v[49:50], v[51:52], 1.0
	s_delay_alu instid0(VALU_DEP_1) | instskip(NEXT) | instid1(VALU_DEP_1)
	v_fma_f64 v[51:52], v[51:52], v[53:54], v[51:52]
	v_mul_f64 v[53:54], v[55:56], v[51:52]
	s_delay_alu instid0(VALU_DEP_1) | instskip(NEXT) | instid1(VALU_DEP_1)
	v_fma_f64 v[49:50], -v[49:50], v[53:54], v[55:56]
	v_div_fmas_f64 v[49:50], v[49:50], v[51:52], v[53:54]
	s_delay_alu instid0(VALU_DEP_1) | instskip(NEXT) | instid1(VALU_DEP_1)
	v_div_fixup_f64 v[49:50], v[49:50], v[32:33], v[34:35]
	v_fma_f64 v[32:33], v[34:35], v[49:50], v[32:33]
	s_delay_alu instid0(VALU_DEP_1) | instskip(NEXT) | instid1(VALU_DEP_1)
	v_div_scale_f64 v[34:35], null, v[32:33], v[32:33], 1.0
	v_rcp_f64_e32 v[51:52], v[34:35]
	s_waitcnt_depctr 0xfff
	v_fma_f64 v[53:54], -v[34:35], v[51:52], 1.0
	s_delay_alu instid0(VALU_DEP_1) | instskip(NEXT) | instid1(VALU_DEP_1)
	v_fma_f64 v[51:52], v[51:52], v[53:54], v[51:52]
	v_fma_f64 v[53:54], -v[34:35], v[51:52], 1.0
	s_delay_alu instid0(VALU_DEP_1) | instskip(SKIP_1) | instid1(VALU_DEP_1)
	v_fma_f64 v[51:52], v[51:52], v[53:54], v[51:52]
	v_div_scale_f64 v[53:54], vcc_lo, 1.0, v[32:33], 1.0
	v_mul_f64 v[55:56], v[53:54], v[51:52]
	s_delay_alu instid0(VALU_DEP_1) | instskip(NEXT) | instid1(VALU_DEP_1)
	v_fma_f64 v[34:35], -v[34:35], v[55:56], v[53:54]
	v_div_fmas_f64 v[34:35], v[34:35], v[51:52], v[55:56]
	s_delay_alu instid0(VALU_DEP_1) | instskip(NEXT) | instid1(VALU_DEP_1)
	v_div_fixup_f64 v[32:33], v[34:35], v[32:33], 1.0
	v_mul_f64 v[34:35], v[49:50], -v[32:33]
.LBB14_72:
	s_or_b32 exec_lo, exec_lo, s2
.LBB14_73:
	s_delay_alu instid0(SALU_CYCLE_1) | instskip(NEXT) | instid1(SALU_CYCLE_1)
	s_or_b32 exec_lo, exec_lo, s3
	s_mov_b32 s2, exec_lo
	v_cmpx_ne_u32_e64 v48, v40
	s_xor_b32 s2, exec_lo, s2
	s_cbranch_execz .LBB14_79
; %bb.74:
	s_mov_b32 s3, exec_lo
	v_cmpx_eq_u32_e32 3, v48
	s_cbranch_execz .LBB14_78
; %bb.75:
	v_cmp_ne_u32_e32 vcc_lo, 3, v40
	s_xor_b32 s6, s4, -1
	s_delay_alu instid0(SALU_CYCLE_1) | instskip(NEXT) | instid1(SALU_CYCLE_1)
	s_and_b32 s7, s6, vcc_lo
	s_and_saveexec_b32 s6, s7
	s_cbranch_execz .LBB14_77
; %bb.76:
	v_ashrrev_i32_e32 v41, 31, v40
	s_delay_alu instid0(VALU_DEP_1) | instskip(NEXT) | instid1(VALU_DEP_1)
	v_lshlrev_b64 v[48:49], 2, v[40:41]
	v_add_co_u32 v48, vcc_lo, v38, v48
	s_delay_alu instid0(VALU_DEP_2)
	v_add_co_ci_u32_e32 v49, vcc_lo, v39, v49, vcc_lo
	s_clause 0x1
	flat_load_b32 v41, v[48:49]
	flat_load_b32 v45, v[38:39] offset:12
	s_waitcnt vmcnt(1) lgkmcnt(1)
	flat_store_b32 v[38:39], v41 offset:12
	s_waitcnt vmcnt(0) lgkmcnt(1)
	flat_store_b32 v[48:49], v45
.LBB14_77:
	s_or_b32 exec_lo, exec_lo, s6
	v_mov_b32_e32 v48, v40
	v_mov_b32_e32 v45, v40
.LBB14_78:
	s_or_b32 exec_lo, exec_lo, s3
.LBB14_79:
	s_and_not1_saveexec_b32 s2, s2
	s_cbranch_execz .LBB14_81
; %bb.80:
	v_mov_b32_e32 v48, 3
	ds_store_2addr_b64 v42, v[12:13], v[14:15] offset0:8 offset1:9
	ds_store_2addr_b64 v42, v[8:9], v[10:11] offset0:10 offset1:11
	ds_store_2addr_b64 v42, v[4:5], v[6:7] offset0:12 offset1:13
	ds_store_2addr_b64 v42, v[0:1], v[2:3] offset0:14 offset1:15
.LBB14_81:
	s_or_b32 exec_lo, exec_lo, s2
	s_delay_alu instid0(SALU_CYCLE_1)
	s_mov_b32 s2, exec_lo
	s_waitcnt lgkmcnt(0)
	s_waitcnt_vscnt null, 0x0
	s_barrier
	buffer_gl0_inv
	v_cmpx_lt_i32_e32 3, v48
	s_cbranch_execz .LBB14_83
; %bb.82:
	v_mul_f64 v[40:41], v[32:33], v[18:19]
	v_mul_f64 v[18:19], v[34:35], v[18:19]
	ds_load_2addr_b64 v[49:52], v42 offset0:8 offset1:9
	ds_load_2addr_b64 v[53:56], v42 offset0:10 offset1:11
	;; [unrolled: 1-line block ×4, first 2 shown]
	v_fma_f64 v[34:35], v[34:35], v[16:17], v[40:41]
	v_fma_f64 v[16:17], v[32:33], v[16:17], -v[18:19]
	s_waitcnt lgkmcnt(3)
	s_delay_alu instid0(VALU_DEP_2)
	v_mul_f64 v[18:19], v[51:52], v[34:35]
	v_mul_f64 v[32:33], v[49:50], v[34:35]
	s_waitcnt lgkmcnt(2)
	v_mul_f64 v[40:41], v[55:56], v[34:35]
	v_mul_f64 v[65:66], v[53:54], v[34:35]
	s_waitcnt lgkmcnt(1)
	;; [unrolled: 3-line block ×3, first 2 shown]
	v_mul_f64 v[71:72], v[63:64], v[34:35]
	v_mul_f64 v[73:74], v[61:62], v[34:35]
	v_fma_f64 v[18:19], v[49:50], v[16:17], -v[18:19]
	v_fma_f64 v[32:33], v[51:52], v[16:17], v[32:33]
	v_fma_f64 v[40:41], v[53:54], v[16:17], -v[40:41]
	v_fma_f64 v[49:50], v[55:56], v[16:17], v[65:66]
	;; [unrolled: 2-line block ×4, first 2 shown]
	v_add_f64 v[12:13], v[12:13], -v[18:19]
	v_add_f64 v[14:15], v[14:15], -v[32:33]
	;; [unrolled: 1-line block ×8, first 2 shown]
	v_dual_mov_b32 v18, v34 :: v_dual_mov_b32 v19, v35
.LBB14_83:
	s_or_b32 exec_lo, exec_lo, s2
	v_lshl_add_u32 v32, v48, 4, v42
	s_barrier
	buffer_gl0_inv
	v_mov_b32_e32 v40, 4
	ds_store_2addr_b64 v32, v[12:13], v[14:15] offset1:1
	s_waitcnt lgkmcnt(0)
	s_barrier
	buffer_gl0_inv
	ds_load_2addr_b64 v[32:35], v42 offset0:8 offset1:9
	s_cmp_lt_i32 s5, 6
	s_cbranch_scc1 .LBB14_86
; %bb.84:
	v_add3_u32 v41, v47, 0, 0x50
	v_mov_b32_e32 v40, 4
	s_mov_b32 s6, 5
	s_set_inst_prefetch_distance 0x1
	.p2align	6
.LBB14_85:                              ; =>This Inner Loop Header: Depth=1
	ds_load_2addr_b64 v[49:52], v41 offset1:1
	s_waitcnt lgkmcnt(1)
	v_cmp_gt_f64_e32 vcc_lo, 0, v[32:33]
	v_xor_b32_e32 v53, 0x80000000, v33
	v_cmp_gt_f64_e64 s2, 0, v[34:35]
	v_xor_b32_e32 v55, 0x80000000, v35
	v_add_nc_u32_e32 v41, 16, v41
	s_waitcnt lgkmcnt(0)
	v_cmp_gt_f64_e64 s3, 0, v[49:50]
	v_mov_b32_e32 v57, v49
	v_dual_mov_b32 v59, v51 :: v_dual_cndmask_b32 v54, v33, v53
	v_xor_b32_e32 v53, 0x80000000, v50
	v_cndmask_b32_e64 v56, v35, v55, s2
	v_xor_b32_e32 v55, 0x80000000, v52
	s_delay_alu instid0(VALU_DEP_3) | instskip(SKIP_2) | instid1(VALU_DEP_2)
	v_cndmask_b32_e64 v58, v50, v53, s3
	v_cmp_gt_f64_e64 s3, 0, v[51:52]
	v_cndmask_b32_e32 v53, v32, v32, vcc_lo
	v_cndmask_b32_e64 v60, v52, v55, s3
	v_cndmask_b32_e64 v55, v34, v34, s2
	s_delay_alu instid0(VALU_DEP_2) | instskip(NEXT) | instid1(VALU_DEP_2)
	v_add_f64 v[57:58], v[57:58], v[59:60]
	v_add_f64 v[53:54], v[53:54], v[55:56]
	s_delay_alu instid0(VALU_DEP_1) | instskip(SKIP_4) | instid1(SALU_CYCLE_1)
	v_cmp_lt_f64_e32 vcc_lo, v[53:54], v[57:58]
	v_dual_cndmask_b32 v34, v34, v51 :: v_dual_cndmask_b32 v33, v33, v50
	v_dual_cndmask_b32 v32, v32, v49 :: v_dual_cndmask_b32 v35, v35, v52
	v_cndmask_b32_e64 v40, v40, s6, vcc_lo
	s_add_i32 s6, s6, 1
	s_cmp_lg_u32 s5, s6
	s_cbranch_scc1 .LBB14_85
.LBB14_86:
	s_set_inst_prefetch_distance 0x2
	s_waitcnt lgkmcnt(0)
	v_cmp_eq_f64_e32 vcc_lo, 0, v[32:33]
	v_cmp_eq_f64_e64 s2, 0, v[34:35]
	s_delay_alu instid0(VALU_DEP_1) | instskip(NEXT) | instid1(SALU_CYCLE_1)
	s_and_b32 s2, vcc_lo, s2
	s_and_saveexec_b32 s3, s2
	s_delay_alu instid0(SALU_CYCLE_1)
	s_xor_b32 s2, exec_lo, s3
; %bb.87:
	v_cmp_ne_u32_e32 vcc_lo, 0, v46
	v_cndmask_b32_e32 v46, 5, v46, vcc_lo
; %bb.88:
	s_and_not1_saveexec_b32 s3, s2
	s_cbranch_execz .LBB14_94
; %bb.89:
	v_cmp_gt_f64_e32 vcc_lo, 0, v[32:33]
	v_cmp_gt_f64_e64 s2, 0, v[34:35]
	v_xor_b32_e32 v41, 0x80000000, v33
	v_xor_b32_e32 v49, 0x80000000, v35
	s_delay_alu instid0(VALU_DEP_2) | instskip(NEXT) | instid1(VALU_DEP_2)
	v_cndmask_b32_e32 v50, v33, v41, vcc_lo
	v_cndmask_b32_e64 v52, v35, v49, s2
	v_cndmask_b32_e32 v49, v32, v32, vcc_lo
	v_cndmask_b32_e64 v51, v34, v34, s2
	s_mov_b32 s2, exec_lo
	s_delay_alu instid0(VALU_DEP_1)
	v_cmpx_ngt_f64_e32 v[49:50], v[51:52]
	s_xor_b32 s2, exec_lo, s2
	s_cbranch_execz .LBB14_91
; %bb.90:
	v_div_scale_f64 v[49:50], null, v[34:35], v[34:35], v[32:33]
	v_div_scale_f64 v[55:56], vcc_lo, v[32:33], v[34:35], v[32:33]
	s_delay_alu instid0(VALU_DEP_2) | instskip(SKIP_2) | instid1(VALU_DEP_1)
	v_rcp_f64_e32 v[51:52], v[49:50]
	s_waitcnt_depctr 0xfff
	v_fma_f64 v[53:54], -v[49:50], v[51:52], 1.0
	v_fma_f64 v[51:52], v[51:52], v[53:54], v[51:52]
	s_delay_alu instid0(VALU_DEP_1) | instskip(NEXT) | instid1(VALU_DEP_1)
	v_fma_f64 v[53:54], -v[49:50], v[51:52], 1.0
	v_fma_f64 v[51:52], v[51:52], v[53:54], v[51:52]
	s_delay_alu instid0(VALU_DEP_1) | instskip(NEXT) | instid1(VALU_DEP_1)
	v_mul_f64 v[53:54], v[55:56], v[51:52]
	v_fma_f64 v[49:50], -v[49:50], v[53:54], v[55:56]
	s_delay_alu instid0(VALU_DEP_1) | instskip(NEXT) | instid1(VALU_DEP_1)
	v_div_fmas_f64 v[49:50], v[49:50], v[51:52], v[53:54]
	v_div_fixup_f64 v[49:50], v[49:50], v[34:35], v[32:33]
	s_delay_alu instid0(VALU_DEP_1) | instskip(NEXT) | instid1(VALU_DEP_1)
	v_fma_f64 v[32:33], v[32:33], v[49:50], v[34:35]
	v_div_scale_f64 v[34:35], null, v[32:33], v[32:33], 1.0
	s_delay_alu instid0(VALU_DEP_1) | instskip(SKIP_2) | instid1(VALU_DEP_1)
	v_rcp_f64_e32 v[51:52], v[34:35]
	s_waitcnt_depctr 0xfff
	v_fma_f64 v[53:54], -v[34:35], v[51:52], 1.0
	v_fma_f64 v[51:52], v[51:52], v[53:54], v[51:52]
	s_delay_alu instid0(VALU_DEP_1) | instskip(NEXT) | instid1(VALU_DEP_1)
	v_fma_f64 v[53:54], -v[34:35], v[51:52], 1.0
	v_fma_f64 v[51:52], v[51:52], v[53:54], v[51:52]
	v_div_scale_f64 v[53:54], vcc_lo, 1.0, v[32:33], 1.0
	s_delay_alu instid0(VALU_DEP_1) | instskip(NEXT) | instid1(VALU_DEP_1)
	v_mul_f64 v[55:56], v[53:54], v[51:52]
	v_fma_f64 v[34:35], -v[34:35], v[55:56], v[53:54]
	s_delay_alu instid0(VALU_DEP_1) | instskip(NEXT) | instid1(VALU_DEP_1)
	v_div_fmas_f64 v[34:35], v[34:35], v[51:52], v[55:56]
	v_div_fixup_f64 v[34:35], v[34:35], v[32:33], 1.0
	s_delay_alu instid0(VALU_DEP_1)
	v_mul_f64 v[32:33], v[49:50], v[34:35]
	v_xor_b32_e32 v35, 0x80000000, v35
.LBB14_91:
	s_and_not1_saveexec_b32 s2, s2
	s_cbranch_execz .LBB14_93
; %bb.92:
	s_delay_alu instid0(VALU_DEP_1) | instskip(SKIP_1) | instid1(VALU_DEP_2)
	v_div_scale_f64 v[49:50], null, v[32:33], v[32:33], v[34:35]
	v_div_scale_f64 v[55:56], vcc_lo, v[34:35], v[32:33], v[34:35]
	v_rcp_f64_e32 v[51:52], v[49:50]
	s_waitcnt_depctr 0xfff
	v_fma_f64 v[53:54], -v[49:50], v[51:52], 1.0
	s_delay_alu instid0(VALU_DEP_1) | instskip(NEXT) | instid1(VALU_DEP_1)
	v_fma_f64 v[51:52], v[51:52], v[53:54], v[51:52]
	v_fma_f64 v[53:54], -v[49:50], v[51:52], 1.0
	s_delay_alu instid0(VALU_DEP_1) | instskip(NEXT) | instid1(VALU_DEP_1)
	v_fma_f64 v[51:52], v[51:52], v[53:54], v[51:52]
	v_mul_f64 v[53:54], v[55:56], v[51:52]
	s_delay_alu instid0(VALU_DEP_1) | instskip(NEXT) | instid1(VALU_DEP_1)
	v_fma_f64 v[49:50], -v[49:50], v[53:54], v[55:56]
	v_div_fmas_f64 v[49:50], v[49:50], v[51:52], v[53:54]
	s_delay_alu instid0(VALU_DEP_1) | instskip(NEXT) | instid1(VALU_DEP_1)
	v_div_fixup_f64 v[49:50], v[49:50], v[32:33], v[34:35]
	v_fma_f64 v[32:33], v[34:35], v[49:50], v[32:33]
	s_delay_alu instid0(VALU_DEP_1) | instskip(NEXT) | instid1(VALU_DEP_1)
	v_div_scale_f64 v[34:35], null, v[32:33], v[32:33], 1.0
	v_rcp_f64_e32 v[51:52], v[34:35]
	s_waitcnt_depctr 0xfff
	v_fma_f64 v[53:54], -v[34:35], v[51:52], 1.0
	s_delay_alu instid0(VALU_DEP_1) | instskip(NEXT) | instid1(VALU_DEP_1)
	v_fma_f64 v[51:52], v[51:52], v[53:54], v[51:52]
	v_fma_f64 v[53:54], -v[34:35], v[51:52], 1.0
	s_delay_alu instid0(VALU_DEP_1) | instskip(SKIP_1) | instid1(VALU_DEP_1)
	v_fma_f64 v[51:52], v[51:52], v[53:54], v[51:52]
	v_div_scale_f64 v[53:54], vcc_lo, 1.0, v[32:33], 1.0
	v_mul_f64 v[55:56], v[53:54], v[51:52]
	s_delay_alu instid0(VALU_DEP_1) | instskip(NEXT) | instid1(VALU_DEP_1)
	v_fma_f64 v[34:35], -v[34:35], v[55:56], v[53:54]
	v_div_fmas_f64 v[34:35], v[34:35], v[51:52], v[55:56]
	s_delay_alu instid0(VALU_DEP_1) | instskip(NEXT) | instid1(VALU_DEP_1)
	v_div_fixup_f64 v[32:33], v[34:35], v[32:33], 1.0
	v_mul_f64 v[34:35], v[49:50], -v[32:33]
.LBB14_93:
	s_or_b32 exec_lo, exec_lo, s2
.LBB14_94:
	s_delay_alu instid0(SALU_CYCLE_1) | instskip(NEXT) | instid1(SALU_CYCLE_1)
	s_or_b32 exec_lo, exec_lo, s3
	s_mov_b32 s2, exec_lo
	v_cmpx_ne_u32_e64 v48, v40
	s_xor_b32 s2, exec_lo, s2
	s_cbranch_execz .LBB14_100
; %bb.95:
	s_mov_b32 s3, exec_lo
	v_cmpx_eq_u32_e32 4, v48
	s_cbranch_execz .LBB14_99
; %bb.96:
	v_cmp_ne_u32_e32 vcc_lo, 4, v40
	s_xor_b32 s6, s4, -1
	s_delay_alu instid0(SALU_CYCLE_1) | instskip(NEXT) | instid1(SALU_CYCLE_1)
	s_and_b32 s7, s6, vcc_lo
	s_and_saveexec_b32 s6, s7
	s_cbranch_execz .LBB14_98
; %bb.97:
	v_ashrrev_i32_e32 v41, 31, v40
	s_delay_alu instid0(VALU_DEP_1) | instskip(NEXT) | instid1(VALU_DEP_1)
	v_lshlrev_b64 v[48:49], 2, v[40:41]
	v_add_co_u32 v48, vcc_lo, v38, v48
	s_delay_alu instid0(VALU_DEP_2)
	v_add_co_ci_u32_e32 v49, vcc_lo, v39, v49, vcc_lo
	s_clause 0x1
	flat_load_b32 v41, v[48:49]
	flat_load_b32 v45, v[38:39] offset:16
	s_waitcnt vmcnt(1) lgkmcnt(1)
	flat_store_b32 v[38:39], v41 offset:16
	s_waitcnt vmcnt(0) lgkmcnt(1)
	flat_store_b32 v[48:49], v45
.LBB14_98:
	s_or_b32 exec_lo, exec_lo, s6
	v_mov_b32_e32 v48, v40
	v_mov_b32_e32 v45, v40
.LBB14_99:
	s_or_b32 exec_lo, exec_lo, s3
.LBB14_100:
	s_and_not1_saveexec_b32 s2, s2
	s_cbranch_execz .LBB14_102
; %bb.101:
	v_mov_b32_e32 v48, 4
	ds_store_2addr_b64 v42, v[8:9], v[10:11] offset0:10 offset1:11
	ds_store_2addr_b64 v42, v[4:5], v[6:7] offset0:12 offset1:13
	;; [unrolled: 1-line block ×3, first 2 shown]
.LBB14_102:
	s_or_b32 exec_lo, exec_lo, s2
	s_delay_alu instid0(SALU_CYCLE_1)
	s_mov_b32 s2, exec_lo
	s_waitcnt lgkmcnt(0)
	s_waitcnt_vscnt null, 0x0
	s_barrier
	buffer_gl0_inv
	v_cmpx_lt_i32_e32 4, v48
	s_cbranch_execz .LBB14_104
; %bb.103:
	v_mul_f64 v[40:41], v[32:33], v[14:15]
	v_mul_f64 v[14:15], v[34:35], v[14:15]
	ds_load_2addr_b64 v[49:52], v42 offset0:10 offset1:11
	ds_load_2addr_b64 v[53:56], v42 offset0:12 offset1:13
	;; [unrolled: 1-line block ×3, first 2 shown]
	v_fma_f64 v[34:35], v[34:35], v[12:13], v[40:41]
	v_fma_f64 v[12:13], v[32:33], v[12:13], -v[14:15]
	s_waitcnt lgkmcnt(2)
	s_delay_alu instid0(VALU_DEP_2)
	v_mul_f64 v[14:15], v[51:52], v[34:35]
	v_mul_f64 v[32:33], v[49:50], v[34:35]
	s_waitcnt lgkmcnt(1)
	v_mul_f64 v[40:41], v[55:56], v[34:35]
	v_mul_f64 v[61:62], v[53:54], v[34:35]
	s_waitcnt lgkmcnt(0)
	v_mul_f64 v[63:64], v[59:60], v[34:35]
	v_mul_f64 v[65:66], v[57:58], v[34:35]
	v_fma_f64 v[14:15], v[49:50], v[12:13], -v[14:15]
	v_fma_f64 v[32:33], v[51:52], v[12:13], v[32:33]
	v_fma_f64 v[40:41], v[53:54], v[12:13], -v[40:41]
	v_fma_f64 v[49:50], v[55:56], v[12:13], v[61:62]
	;; [unrolled: 2-line block ×3, first 2 shown]
	v_add_f64 v[8:9], v[8:9], -v[14:15]
	v_add_f64 v[10:11], v[10:11], -v[32:33]
	;; [unrolled: 1-line block ×6, first 2 shown]
	v_dual_mov_b32 v14, v34 :: v_dual_mov_b32 v15, v35
.LBB14_104:
	s_or_b32 exec_lo, exec_lo, s2
	v_lshl_add_u32 v32, v48, 4, v42
	s_barrier
	buffer_gl0_inv
	v_mov_b32_e32 v40, 5
	ds_store_2addr_b64 v32, v[8:9], v[10:11] offset1:1
	s_waitcnt lgkmcnt(0)
	s_barrier
	buffer_gl0_inv
	ds_load_2addr_b64 v[32:35], v42 offset0:10 offset1:11
	s_cmp_lt_i32 s5, 7
	s_cbranch_scc1 .LBB14_107
; %bb.105:
	v_add3_u32 v41, v47, 0, 0x60
	v_mov_b32_e32 v40, 5
	s_mov_b32 s6, 6
	s_set_inst_prefetch_distance 0x1
	.p2align	6
.LBB14_106:                             ; =>This Inner Loop Header: Depth=1
	ds_load_2addr_b64 v[49:52], v41 offset1:1
	s_waitcnt lgkmcnt(1)
	v_cmp_gt_f64_e32 vcc_lo, 0, v[32:33]
	v_xor_b32_e32 v53, 0x80000000, v33
	v_cmp_gt_f64_e64 s2, 0, v[34:35]
	v_xor_b32_e32 v55, 0x80000000, v35
	v_add_nc_u32_e32 v41, 16, v41
	s_waitcnt lgkmcnt(0)
	v_cmp_gt_f64_e64 s3, 0, v[49:50]
	v_mov_b32_e32 v57, v49
	v_dual_mov_b32 v59, v51 :: v_dual_cndmask_b32 v54, v33, v53
	v_xor_b32_e32 v53, 0x80000000, v50
	v_cndmask_b32_e64 v56, v35, v55, s2
	v_xor_b32_e32 v55, 0x80000000, v52
	s_delay_alu instid0(VALU_DEP_3) | instskip(SKIP_2) | instid1(VALU_DEP_2)
	v_cndmask_b32_e64 v58, v50, v53, s3
	v_cmp_gt_f64_e64 s3, 0, v[51:52]
	v_cndmask_b32_e32 v53, v32, v32, vcc_lo
	v_cndmask_b32_e64 v60, v52, v55, s3
	v_cndmask_b32_e64 v55, v34, v34, s2
	s_delay_alu instid0(VALU_DEP_2) | instskip(NEXT) | instid1(VALU_DEP_2)
	v_add_f64 v[57:58], v[57:58], v[59:60]
	v_add_f64 v[53:54], v[53:54], v[55:56]
	s_delay_alu instid0(VALU_DEP_1) | instskip(SKIP_4) | instid1(SALU_CYCLE_1)
	v_cmp_lt_f64_e32 vcc_lo, v[53:54], v[57:58]
	v_dual_cndmask_b32 v34, v34, v51 :: v_dual_cndmask_b32 v33, v33, v50
	v_dual_cndmask_b32 v32, v32, v49 :: v_dual_cndmask_b32 v35, v35, v52
	v_cndmask_b32_e64 v40, v40, s6, vcc_lo
	s_add_i32 s6, s6, 1
	s_cmp_lg_u32 s5, s6
	s_cbranch_scc1 .LBB14_106
.LBB14_107:
	s_set_inst_prefetch_distance 0x2
	s_waitcnt lgkmcnt(0)
	v_cmp_eq_f64_e32 vcc_lo, 0, v[32:33]
	v_cmp_eq_f64_e64 s2, 0, v[34:35]
	s_delay_alu instid0(VALU_DEP_1) | instskip(NEXT) | instid1(SALU_CYCLE_1)
	s_and_b32 s2, vcc_lo, s2
	s_and_saveexec_b32 s3, s2
	s_delay_alu instid0(SALU_CYCLE_1)
	s_xor_b32 s2, exec_lo, s3
; %bb.108:
	v_cmp_ne_u32_e32 vcc_lo, 0, v46
	v_cndmask_b32_e32 v46, 6, v46, vcc_lo
; %bb.109:
	s_and_not1_saveexec_b32 s3, s2
	s_cbranch_execz .LBB14_115
; %bb.110:
	v_cmp_gt_f64_e32 vcc_lo, 0, v[32:33]
	v_cmp_gt_f64_e64 s2, 0, v[34:35]
	v_xor_b32_e32 v41, 0x80000000, v33
	v_xor_b32_e32 v49, 0x80000000, v35
	s_delay_alu instid0(VALU_DEP_2) | instskip(NEXT) | instid1(VALU_DEP_2)
	v_cndmask_b32_e32 v50, v33, v41, vcc_lo
	v_cndmask_b32_e64 v52, v35, v49, s2
	v_cndmask_b32_e32 v49, v32, v32, vcc_lo
	v_cndmask_b32_e64 v51, v34, v34, s2
	s_mov_b32 s2, exec_lo
	s_delay_alu instid0(VALU_DEP_1)
	v_cmpx_ngt_f64_e32 v[49:50], v[51:52]
	s_xor_b32 s2, exec_lo, s2
	s_cbranch_execz .LBB14_112
; %bb.111:
	v_div_scale_f64 v[49:50], null, v[34:35], v[34:35], v[32:33]
	v_div_scale_f64 v[55:56], vcc_lo, v[32:33], v[34:35], v[32:33]
	s_delay_alu instid0(VALU_DEP_2) | instskip(SKIP_2) | instid1(VALU_DEP_1)
	v_rcp_f64_e32 v[51:52], v[49:50]
	s_waitcnt_depctr 0xfff
	v_fma_f64 v[53:54], -v[49:50], v[51:52], 1.0
	v_fma_f64 v[51:52], v[51:52], v[53:54], v[51:52]
	s_delay_alu instid0(VALU_DEP_1) | instskip(NEXT) | instid1(VALU_DEP_1)
	v_fma_f64 v[53:54], -v[49:50], v[51:52], 1.0
	v_fma_f64 v[51:52], v[51:52], v[53:54], v[51:52]
	s_delay_alu instid0(VALU_DEP_1) | instskip(NEXT) | instid1(VALU_DEP_1)
	v_mul_f64 v[53:54], v[55:56], v[51:52]
	v_fma_f64 v[49:50], -v[49:50], v[53:54], v[55:56]
	s_delay_alu instid0(VALU_DEP_1) | instskip(NEXT) | instid1(VALU_DEP_1)
	v_div_fmas_f64 v[49:50], v[49:50], v[51:52], v[53:54]
	v_div_fixup_f64 v[49:50], v[49:50], v[34:35], v[32:33]
	s_delay_alu instid0(VALU_DEP_1) | instskip(NEXT) | instid1(VALU_DEP_1)
	v_fma_f64 v[32:33], v[32:33], v[49:50], v[34:35]
	v_div_scale_f64 v[34:35], null, v[32:33], v[32:33], 1.0
	s_delay_alu instid0(VALU_DEP_1) | instskip(SKIP_2) | instid1(VALU_DEP_1)
	v_rcp_f64_e32 v[51:52], v[34:35]
	s_waitcnt_depctr 0xfff
	v_fma_f64 v[53:54], -v[34:35], v[51:52], 1.0
	v_fma_f64 v[51:52], v[51:52], v[53:54], v[51:52]
	s_delay_alu instid0(VALU_DEP_1) | instskip(NEXT) | instid1(VALU_DEP_1)
	v_fma_f64 v[53:54], -v[34:35], v[51:52], 1.0
	v_fma_f64 v[51:52], v[51:52], v[53:54], v[51:52]
	v_div_scale_f64 v[53:54], vcc_lo, 1.0, v[32:33], 1.0
	s_delay_alu instid0(VALU_DEP_1) | instskip(NEXT) | instid1(VALU_DEP_1)
	v_mul_f64 v[55:56], v[53:54], v[51:52]
	v_fma_f64 v[34:35], -v[34:35], v[55:56], v[53:54]
	s_delay_alu instid0(VALU_DEP_1) | instskip(NEXT) | instid1(VALU_DEP_1)
	v_div_fmas_f64 v[34:35], v[34:35], v[51:52], v[55:56]
	v_div_fixup_f64 v[34:35], v[34:35], v[32:33], 1.0
	s_delay_alu instid0(VALU_DEP_1)
	v_mul_f64 v[32:33], v[49:50], v[34:35]
	v_xor_b32_e32 v35, 0x80000000, v35
.LBB14_112:
	s_and_not1_saveexec_b32 s2, s2
	s_cbranch_execz .LBB14_114
; %bb.113:
	s_delay_alu instid0(VALU_DEP_1) | instskip(SKIP_1) | instid1(VALU_DEP_2)
	v_div_scale_f64 v[49:50], null, v[32:33], v[32:33], v[34:35]
	v_div_scale_f64 v[55:56], vcc_lo, v[34:35], v[32:33], v[34:35]
	v_rcp_f64_e32 v[51:52], v[49:50]
	s_waitcnt_depctr 0xfff
	v_fma_f64 v[53:54], -v[49:50], v[51:52], 1.0
	s_delay_alu instid0(VALU_DEP_1) | instskip(NEXT) | instid1(VALU_DEP_1)
	v_fma_f64 v[51:52], v[51:52], v[53:54], v[51:52]
	v_fma_f64 v[53:54], -v[49:50], v[51:52], 1.0
	s_delay_alu instid0(VALU_DEP_1) | instskip(NEXT) | instid1(VALU_DEP_1)
	v_fma_f64 v[51:52], v[51:52], v[53:54], v[51:52]
	v_mul_f64 v[53:54], v[55:56], v[51:52]
	s_delay_alu instid0(VALU_DEP_1) | instskip(NEXT) | instid1(VALU_DEP_1)
	v_fma_f64 v[49:50], -v[49:50], v[53:54], v[55:56]
	v_div_fmas_f64 v[49:50], v[49:50], v[51:52], v[53:54]
	s_delay_alu instid0(VALU_DEP_1) | instskip(NEXT) | instid1(VALU_DEP_1)
	v_div_fixup_f64 v[49:50], v[49:50], v[32:33], v[34:35]
	v_fma_f64 v[32:33], v[34:35], v[49:50], v[32:33]
	s_delay_alu instid0(VALU_DEP_1) | instskip(NEXT) | instid1(VALU_DEP_1)
	v_div_scale_f64 v[34:35], null, v[32:33], v[32:33], 1.0
	v_rcp_f64_e32 v[51:52], v[34:35]
	s_waitcnt_depctr 0xfff
	v_fma_f64 v[53:54], -v[34:35], v[51:52], 1.0
	s_delay_alu instid0(VALU_DEP_1) | instskip(NEXT) | instid1(VALU_DEP_1)
	v_fma_f64 v[51:52], v[51:52], v[53:54], v[51:52]
	v_fma_f64 v[53:54], -v[34:35], v[51:52], 1.0
	s_delay_alu instid0(VALU_DEP_1) | instskip(SKIP_1) | instid1(VALU_DEP_1)
	v_fma_f64 v[51:52], v[51:52], v[53:54], v[51:52]
	v_div_scale_f64 v[53:54], vcc_lo, 1.0, v[32:33], 1.0
	v_mul_f64 v[55:56], v[53:54], v[51:52]
	s_delay_alu instid0(VALU_DEP_1) | instskip(NEXT) | instid1(VALU_DEP_1)
	v_fma_f64 v[34:35], -v[34:35], v[55:56], v[53:54]
	v_div_fmas_f64 v[34:35], v[34:35], v[51:52], v[55:56]
	s_delay_alu instid0(VALU_DEP_1) | instskip(NEXT) | instid1(VALU_DEP_1)
	v_div_fixup_f64 v[32:33], v[34:35], v[32:33], 1.0
	v_mul_f64 v[34:35], v[49:50], -v[32:33]
.LBB14_114:
	s_or_b32 exec_lo, exec_lo, s2
.LBB14_115:
	s_delay_alu instid0(SALU_CYCLE_1) | instskip(NEXT) | instid1(SALU_CYCLE_1)
	s_or_b32 exec_lo, exec_lo, s3
	s_mov_b32 s2, exec_lo
	v_cmpx_ne_u32_e64 v48, v40
	s_xor_b32 s2, exec_lo, s2
	s_cbranch_execz .LBB14_121
; %bb.116:
	s_mov_b32 s3, exec_lo
	v_cmpx_eq_u32_e32 5, v48
	s_cbranch_execz .LBB14_120
; %bb.117:
	v_cmp_ne_u32_e32 vcc_lo, 5, v40
	s_xor_b32 s6, s4, -1
	s_delay_alu instid0(SALU_CYCLE_1) | instskip(NEXT) | instid1(SALU_CYCLE_1)
	s_and_b32 s7, s6, vcc_lo
	s_and_saveexec_b32 s6, s7
	s_cbranch_execz .LBB14_119
; %bb.118:
	v_ashrrev_i32_e32 v41, 31, v40
	s_delay_alu instid0(VALU_DEP_1) | instskip(NEXT) | instid1(VALU_DEP_1)
	v_lshlrev_b64 v[48:49], 2, v[40:41]
	v_add_co_u32 v48, vcc_lo, v38, v48
	s_delay_alu instid0(VALU_DEP_2)
	v_add_co_ci_u32_e32 v49, vcc_lo, v39, v49, vcc_lo
	s_clause 0x1
	flat_load_b32 v41, v[48:49]
	flat_load_b32 v45, v[38:39] offset:20
	s_waitcnt vmcnt(1) lgkmcnt(1)
	flat_store_b32 v[38:39], v41 offset:20
	s_waitcnt vmcnt(0) lgkmcnt(1)
	flat_store_b32 v[48:49], v45
.LBB14_119:
	s_or_b32 exec_lo, exec_lo, s6
	v_mov_b32_e32 v48, v40
	v_mov_b32_e32 v45, v40
.LBB14_120:
	s_or_b32 exec_lo, exec_lo, s3
.LBB14_121:
	s_and_not1_saveexec_b32 s2, s2
	s_cbranch_execz .LBB14_123
; %bb.122:
	v_mov_b32_e32 v48, 5
	ds_store_2addr_b64 v42, v[4:5], v[6:7] offset0:12 offset1:13
	ds_store_2addr_b64 v42, v[0:1], v[2:3] offset0:14 offset1:15
.LBB14_123:
	s_or_b32 exec_lo, exec_lo, s2
	s_delay_alu instid0(SALU_CYCLE_1)
	s_mov_b32 s2, exec_lo
	s_waitcnt lgkmcnt(0)
	s_waitcnt_vscnt null, 0x0
	s_barrier
	buffer_gl0_inv
	v_cmpx_lt_i32_e32 5, v48
	s_cbranch_execz .LBB14_125
; %bb.124:
	v_mul_f64 v[40:41], v[32:33], v[10:11]
	v_mul_f64 v[10:11], v[34:35], v[10:11]
	ds_load_2addr_b64 v[49:52], v42 offset0:12 offset1:13
	ds_load_2addr_b64 v[53:56], v42 offset0:14 offset1:15
	v_fma_f64 v[34:35], v[34:35], v[8:9], v[40:41]
	v_fma_f64 v[8:9], v[32:33], v[8:9], -v[10:11]
	s_waitcnt lgkmcnt(1)
	s_delay_alu instid0(VALU_DEP_2) | instskip(SKIP_4) | instid1(VALU_DEP_4)
	v_mul_f64 v[10:11], v[51:52], v[34:35]
	v_mul_f64 v[32:33], v[49:50], v[34:35]
	s_waitcnt lgkmcnt(0)
	v_mul_f64 v[40:41], v[55:56], v[34:35]
	v_mul_f64 v[57:58], v[53:54], v[34:35]
	v_fma_f64 v[10:11], v[49:50], v[8:9], -v[10:11]
	s_delay_alu instid0(VALU_DEP_4) | instskip(NEXT) | instid1(VALU_DEP_4)
	v_fma_f64 v[32:33], v[51:52], v[8:9], v[32:33]
	v_fma_f64 v[40:41], v[53:54], v[8:9], -v[40:41]
	s_delay_alu instid0(VALU_DEP_4) | instskip(NEXT) | instid1(VALU_DEP_4)
	v_fma_f64 v[49:50], v[55:56], v[8:9], v[57:58]
	v_add_f64 v[4:5], v[4:5], -v[10:11]
	s_delay_alu instid0(VALU_DEP_4) | instskip(NEXT) | instid1(VALU_DEP_4)
	v_add_f64 v[6:7], v[6:7], -v[32:33]
	v_add_f64 v[0:1], v[0:1], -v[40:41]
	s_delay_alu instid0(VALU_DEP_4)
	v_add_f64 v[2:3], v[2:3], -v[49:50]
	v_dual_mov_b32 v10, v34 :: v_dual_mov_b32 v11, v35
.LBB14_125:
	s_or_b32 exec_lo, exec_lo, s2
	v_lshl_add_u32 v32, v48, 4, v42
	s_barrier
	buffer_gl0_inv
	v_mov_b32_e32 v40, 6
	ds_store_2addr_b64 v32, v[4:5], v[6:7] offset1:1
	s_waitcnt lgkmcnt(0)
	s_barrier
	buffer_gl0_inv
	ds_load_2addr_b64 v[32:35], v42 offset0:12 offset1:13
	s_cmp_lt_i32 s5, 8
	s_cbranch_scc1 .LBB14_128
; %bb.126:
	v_add3_u32 v41, v47, 0, 0x70
	v_mov_b32_e32 v40, 6
	s_mov_b32 s6, 7
	s_set_inst_prefetch_distance 0x1
	.p2align	6
.LBB14_127:                             ; =>This Inner Loop Header: Depth=1
	ds_load_2addr_b64 v[49:52], v41 offset1:1
	s_waitcnt lgkmcnt(1)
	v_cmp_gt_f64_e32 vcc_lo, 0, v[32:33]
	v_xor_b32_e32 v53, 0x80000000, v33
	v_cmp_gt_f64_e64 s2, 0, v[34:35]
	v_xor_b32_e32 v55, 0x80000000, v35
	v_add_nc_u32_e32 v41, 16, v41
	s_waitcnt lgkmcnt(0)
	v_cmp_gt_f64_e64 s3, 0, v[49:50]
	v_mov_b32_e32 v57, v49
	v_dual_mov_b32 v59, v51 :: v_dual_cndmask_b32 v54, v33, v53
	v_xor_b32_e32 v53, 0x80000000, v50
	v_cndmask_b32_e64 v56, v35, v55, s2
	v_xor_b32_e32 v55, 0x80000000, v52
	s_delay_alu instid0(VALU_DEP_3) | instskip(SKIP_2) | instid1(VALU_DEP_2)
	v_cndmask_b32_e64 v58, v50, v53, s3
	v_cmp_gt_f64_e64 s3, 0, v[51:52]
	v_cndmask_b32_e32 v53, v32, v32, vcc_lo
	v_cndmask_b32_e64 v60, v52, v55, s3
	v_cndmask_b32_e64 v55, v34, v34, s2
	s_delay_alu instid0(VALU_DEP_2) | instskip(NEXT) | instid1(VALU_DEP_2)
	v_add_f64 v[57:58], v[57:58], v[59:60]
	v_add_f64 v[53:54], v[53:54], v[55:56]
	s_delay_alu instid0(VALU_DEP_1) | instskip(SKIP_4) | instid1(SALU_CYCLE_1)
	v_cmp_lt_f64_e32 vcc_lo, v[53:54], v[57:58]
	v_dual_cndmask_b32 v34, v34, v51 :: v_dual_cndmask_b32 v33, v33, v50
	v_dual_cndmask_b32 v32, v32, v49 :: v_dual_cndmask_b32 v35, v35, v52
	v_cndmask_b32_e64 v40, v40, s6, vcc_lo
	s_add_i32 s6, s6, 1
	s_cmp_lg_u32 s5, s6
	s_cbranch_scc1 .LBB14_127
.LBB14_128:
	s_set_inst_prefetch_distance 0x2
	s_waitcnt lgkmcnt(0)
	v_cmp_eq_f64_e32 vcc_lo, 0, v[32:33]
	v_cmp_eq_f64_e64 s2, 0, v[34:35]
	s_delay_alu instid0(VALU_DEP_1) | instskip(NEXT) | instid1(SALU_CYCLE_1)
	s_and_b32 s2, vcc_lo, s2
	s_and_saveexec_b32 s3, s2
	s_delay_alu instid0(SALU_CYCLE_1)
	s_xor_b32 s2, exec_lo, s3
; %bb.129:
	v_cmp_ne_u32_e32 vcc_lo, 0, v46
	v_cndmask_b32_e32 v46, 7, v46, vcc_lo
; %bb.130:
	s_and_not1_saveexec_b32 s3, s2
	s_cbranch_execz .LBB14_136
; %bb.131:
	v_cmp_gt_f64_e32 vcc_lo, 0, v[32:33]
	v_cmp_gt_f64_e64 s2, 0, v[34:35]
	v_xor_b32_e32 v41, 0x80000000, v33
	v_xor_b32_e32 v49, 0x80000000, v35
	s_delay_alu instid0(VALU_DEP_2) | instskip(NEXT) | instid1(VALU_DEP_2)
	v_cndmask_b32_e32 v50, v33, v41, vcc_lo
	v_cndmask_b32_e64 v52, v35, v49, s2
	v_cndmask_b32_e32 v49, v32, v32, vcc_lo
	v_cndmask_b32_e64 v51, v34, v34, s2
	s_mov_b32 s2, exec_lo
	s_delay_alu instid0(VALU_DEP_1)
	v_cmpx_ngt_f64_e32 v[49:50], v[51:52]
	s_xor_b32 s2, exec_lo, s2
	s_cbranch_execz .LBB14_133
; %bb.132:
	v_div_scale_f64 v[49:50], null, v[34:35], v[34:35], v[32:33]
	v_div_scale_f64 v[55:56], vcc_lo, v[32:33], v[34:35], v[32:33]
	s_delay_alu instid0(VALU_DEP_2) | instskip(SKIP_2) | instid1(VALU_DEP_1)
	v_rcp_f64_e32 v[51:52], v[49:50]
	s_waitcnt_depctr 0xfff
	v_fma_f64 v[53:54], -v[49:50], v[51:52], 1.0
	v_fma_f64 v[51:52], v[51:52], v[53:54], v[51:52]
	s_delay_alu instid0(VALU_DEP_1) | instskip(NEXT) | instid1(VALU_DEP_1)
	v_fma_f64 v[53:54], -v[49:50], v[51:52], 1.0
	v_fma_f64 v[51:52], v[51:52], v[53:54], v[51:52]
	s_delay_alu instid0(VALU_DEP_1) | instskip(NEXT) | instid1(VALU_DEP_1)
	v_mul_f64 v[53:54], v[55:56], v[51:52]
	v_fma_f64 v[49:50], -v[49:50], v[53:54], v[55:56]
	s_delay_alu instid0(VALU_DEP_1) | instskip(NEXT) | instid1(VALU_DEP_1)
	v_div_fmas_f64 v[49:50], v[49:50], v[51:52], v[53:54]
	v_div_fixup_f64 v[49:50], v[49:50], v[34:35], v[32:33]
	s_delay_alu instid0(VALU_DEP_1) | instskip(NEXT) | instid1(VALU_DEP_1)
	v_fma_f64 v[32:33], v[32:33], v[49:50], v[34:35]
	v_div_scale_f64 v[34:35], null, v[32:33], v[32:33], 1.0
	s_delay_alu instid0(VALU_DEP_1) | instskip(SKIP_2) | instid1(VALU_DEP_1)
	v_rcp_f64_e32 v[51:52], v[34:35]
	s_waitcnt_depctr 0xfff
	v_fma_f64 v[53:54], -v[34:35], v[51:52], 1.0
	v_fma_f64 v[51:52], v[51:52], v[53:54], v[51:52]
	s_delay_alu instid0(VALU_DEP_1) | instskip(NEXT) | instid1(VALU_DEP_1)
	v_fma_f64 v[53:54], -v[34:35], v[51:52], 1.0
	v_fma_f64 v[51:52], v[51:52], v[53:54], v[51:52]
	v_div_scale_f64 v[53:54], vcc_lo, 1.0, v[32:33], 1.0
	s_delay_alu instid0(VALU_DEP_1) | instskip(NEXT) | instid1(VALU_DEP_1)
	v_mul_f64 v[55:56], v[53:54], v[51:52]
	v_fma_f64 v[34:35], -v[34:35], v[55:56], v[53:54]
	s_delay_alu instid0(VALU_DEP_1) | instskip(NEXT) | instid1(VALU_DEP_1)
	v_div_fmas_f64 v[34:35], v[34:35], v[51:52], v[55:56]
	v_div_fixup_f64 v[34:35], v[34:35], v[32:33], 1.0
	s_delay_alu instid0(VALU_DEP_1)
	v_mul_f64 v[32:33], v[49:50], v[34:35]
	v_xor_b32_e32 v35, 0x80000000, v35
.LBB14_133:
	s_and_not1_saveexec_b32 s2, s2
	s_cbranch_execz .LBB14_135
; %bb.134:
	s_delay_alu instid0(VALU_DEP_1) | instskip(SKIP_1) | instid1(VALU_DEP_2)
	v_div_scale_f64 v[49:50], null, v[32:33], v[32:33], v[34:35]
	v_div_scale_f64 v[55:56], vcc_lo, v[34:35], v[32:33], v[34:35]
	v_rcp_f64_e32 v[51:52], v[49:50]
	s_waitcnt_depctr 0xfff
	v_fma_f64 v[53:54], -v[49:50], v[51:52], 1.0
	s_delay_alu instid0(VALU_DEP_1) | instskip(NEXT) | instid1(VALU_DEP_1)
	v_fma_f64 v[51:52], v[51:52], v[53:54], v[51:52]
	v_fma_f64 v[53:54], -v[49:50], v[51:52], 1.0
	s_delay_alu instid0(VALU_DEP_1) | instskip(NEXT) | instid1(VALU_DEP_1)
	v_fma_f64 v[51:52], v[51:52], v[53:54], v[51:52]
	v_mul_f64 v[53:54], v[55:56], v[51:52]
	s_delay_alu instid0(VALU_DEP_1) | instskip(NEXT) | instid1(VALU_DEP_1)
	v_fma_f64 v[49:50], -v[49:50], v[53:54], v[55:56]
	v_div_fmas_f64 v[49:50], v[49:50], v[51:52], v[53:54]
	s_delay_alu instid0(VALU_DEP_1) | instskip(NEXT) | instid1(VALU_DEP_1)
	v_div_fixup_f64 v[49:50], v[49:50], v[32:33], v[34:35]
	v_fma_f64 v[32:33], v[34:35], v[49:50], v[32:33]
	s_delay_alu instid0(VALU_DEP_1) | instskip(NEXT) | instid1(VALU_DEP_1)
	v_div_scale_f64 v[34:35], null, v[32:33], v[32:33], 1.0
	v_rcp_f64_e32 v[51:52], v[34:35]
	s_waitcnt_depctr 0xfff
	v_fma_f64 v[53:54], -v[34:35], v[51:52], 1.0
	s_delay_alu instid0(VALU_DEP_1) | instskip(NEXT) | instid1(VALU_DEP_1)
	v_fma_f64 v[51:52], v[51:52], v[53:54], v[51:52]
	v_fma_f64 v[53:54], -v[34:35], v[51:52], 1.0
	s_delay_alu instid0(VALU_DEP_1) | instskip(SKIP_1) | instid1(VALU_DEP_1)
	v_fma_f64 v[51:52], v[51:52], v[53:54], v[51:52]
	v_div_scale_f64 v[53:54], vcc_lo, 1.0, v[32:33], 1.0
	v_mul_f64 v[55:56], v[53:54], v[51:52]
	s_delay_alu instid0(VALU_DEP_1) | instskip(NEXT) | instid1(VALU_DEP_1)
	v_fma_f64 v[34:35], -v[34:35], v[55:56], v[53:54]
	v_div_fmas_f64 v[34:35], v[34:35], v[51:52], v[55:56]
	s_delay_alu instid0(VALU_DEP_1) | instskip(NEXT) | instid1(VALU_DEP_1)
	v_div_fixup_f64 v[32:33], v[34:35], v[32:33], 1.0
	v_mul_f64 v[34:35], v[49:50], -v[32:33]
.LBB14_135:
	s_or_b32 exec_lo, exec_lo, s2
.LBB14_136:
	s_delay_alu instid0(SALU_CYCLE_1) | instskip(NEXT) | instid1(SALU_CYCLE_1)
	s_or_b32 exec_lo, exec_lo, s3
	s_mov_b32 s2, exec_lo
	v_cmpx_ne_u32_e64 v48, v40
	s_xor_b32 s2, exec_lo, s2
	s_cbranch_execz .LBB14_142
; %bb.137:
	s_mov_b32 s3, exec_lo
	v_cmpx_eq_u32_e32 6, v48
	s_cbranch_execz .LBB14_141
; %bb.138:
	v_cmp_ne_u32_e32 vcc_lo, 6, v40
	s_xor_b32 s6, s4, -1
	s_delay_alu instid0(SALU_CYCLE_1) | instskip(NEXT) | instid1(SALU_CYCLE_1)
	s_and_b32 s7, s6, vcc_lo
	s_and_saveexec_b32 s6, s7
	s_cbranch_execz .LBB14_140
; %bb.139:
	v_ashrrev_i32_e32 v41, 31, v40
	s_delay_alu instid0(VALU_DEP_1) | instskip(NEXT) | instid1(VALU_DEP_1)
	v_lshlrev_b64 v[48:49], 2, v[40:41]
	v_add_co_u32 v48, vcc_lo, v38, v48
	s_delay_alu instid0(VALU_DEP_2)
	v_add_co_ci_u32_e32 v49, vcc_lo, v39, v49, vcc_lo
	s_clause 0x1
	flat_load_b32 v41, v[48:49]
	flat_load_b32 v45, v[38:39] offset:24
	s_waitcnt vmcnt(1) lgkmcnt(1)
	flat_store_b32 v[38:39], v41 offset:24
	s_waitcnt vmcnt(0) lgkmcnt(1)
	flat_store_b32 v[48:49], v45
.LBB14_140:
	s_or_b32 exec_lo, exec_lo, s6
	v_mov_b32_e32 v48, v40
	v_mov_b32_e32 v45, v40
.LBB14_141:
	s_or_b32 exec_lo, exec_lo, s3
.LBB14_142:
	s_and_not1_saveexec_b32 s2, s2
	s_cbranch_execz .LBB14_144
; %bb.143:
	v_mov_b32_e32 v48, 6
	ds_store_2addr_b64 v42, v[0:1], v[2:3] offset0:14 offset1:15
.LBB14_144:
	s_or_b32 exec_lo, exec_lo, s2
	s_delay_alu instid0(SALU_CYCLE_1)
	s_mov_b32 s2, exec_lo
	s_waitcnt lgkmcnt(0)
	s_waitcnt_vscnt null, 0x0
	s_barrier
	buffer_gl0_inv
	v_cmpx_lt_i32_e32 6, v48
	s_cbranch_execz .LBB14_146
; %bb.145:
	v_mul_f64 v[40:41], v[32:33], v[6:7]
	v_mul_f64 v[6:7], v[34:35], v[6:7]
	ds_load_2addr_b64 v[49:52], v42 offset0:14 offset1:15
	v_fma_f64 v[34:35], v[34:35], v[4:5], v[40:41]
	v_fma_f64 v[4:5], v[32:33], v[4:5], -v[6:7]
	s_waitcnt lgkmcnt(0)
	s_delay_alu instid0(VALU_DEP_2) | instskip(SKIP_1) | instid1(VALU_DEP_2)
	v_mul_f64 v[6:7], v[51:52], v[34:35]
	v_mul_f64 v[32:33], v[49:50], v[34:35]
	v_fma_f64 v[6:7], v[49:50], v[4:5], -v[6:7]
	s_delay_alu instid0(VALU_DEP_2) | instskip(NEXT) | instid1(VALU_DEP_2)
	v_fma_f64 v[32:33], v[51:52], v[4:5], v[32:33]
	v_add_f64 v[0:1], v[0:1], -v[6:7]
	s_delay_alu instid0(VALU_DEP_2)
	v_add_f64 v[2:3], v[2:3], -v[32:33]
	v_dual_mov_b32 v6, v34 :: v_dual_mov_b32 v7, v35
.LBB14_146:
	s_or_b32 exec_lo, exec_lo, s2
	v_lshl_add_u32 v32, v48, 4, v42
	s_barrier
	buffer_gl0_inv
	v_mov_b32_e32 v40, 7
	ds_store_2addr_b64 v32, v[0:1], v[2:3] offset1:1
	s_waitcnt lgkmcnt(0)
	s_barrier
	buffer_gl0_inv
	ds_load_2addr_b64 v[32:35], v42 offset0:14 offset1:15
	s_cmp_lt_i32 s5, 9
	s_cbranch_scc1 .LBB14_149
; %bb.147:
	v_add3_u32 v41, v47, 0, 0x80
	v_mov_b32_e32 v40, 7
	s_mov_b32 s6, 8
	s_set_inst_prefetch_distance 0x1
	.p2align	6
.LBB14_148:                             ; =>This Inner Loop Header: Depth=1
	ds_load_2addr_b64 v[49:52], v41 offset1:1
	s_waitcnt lgkmcnt(1)
	v_cmp_gt_f64_e32 vcc_lo, 0, v[32:33]
	v_xor_b32_e32 v42, 0x80000000, v33
	v_cmp_gt_f64_e64 s2, 0, v[34:35]
	v_xor_b32_e32 v47, 0x80000000, v35
	v_add_nc_u32_e32 v41, 16, v41
	s_waitcnt lgkmcnt(0)
	v_cmp_gt_f64_e64 s3, 0, v[49:50]
	v_mov_b32_e32 v57, v49
	v_dual_mov_b32 v59, v51 :: v_dual_cndmask_b32 v54, v33, v42
	v_xor_b32_e32 v42, 0x80000000, v50
	v_cndmask_b32_e64 v56, v35, v47, s2
	v_xor_b32_e32 v47, 0x80000000, v52
	v_cndmask_b32_e32 v53, v32, v32, vcc_lo
	v_cndmask_b32_e64 v55, v34, v34, s2
	s_delay_alu instid0(VALU_DEP_1) | instskip(SKIP_2) | instid1(VALU_DEP_1)
	v_add_f64 v[53:54], v[53:54], v[55:56]
	v_cndmask_b32_e64 v58, v50, v42, s3
	v_cmp_gt_f64_e64 s3, 0, v[51:52]
	v_cndmask_b32_e64 v60, v52, v47, s3
	s_delay_alu instid0(VALU_DEP_1) | instskip(NEXT) | instid1(VALU_DEP_1)
	v_add_f64 v[57:58], v[57:58], v[59:60]
	v_cmp_lt_f64_e32 vcc_lo, v[53:54], v[57:58]
	v_dual_cndmask_b32 v34, v34, v51 :: v_dual_cndmask_b32 v33, v33, v50
	v_dual_cndmask_b32 v32, v32, v49 :: v_dual_cndmask_b32 v35, v35, v52
	v_cndmask_b32_e64 v40, v40, s6, vcc_lo
	s_add_i32 s6, s6, 1
	s_delay_alu instid0(SALU_CYCLE_1)
	s_cmp_lg_u32 s5, s6
	s_cbranch_scc1 .LBB14_148
.LBB14_149:
	s_set_inst_prefetch_distance 0x2
	s_waitcnt lgkmcnt(0)
	v_cmp_eq_f64_e32 vcc_lo, 0, v[32:33]
	v_cmp_eq_f64_e64 s2, 0, v[34:35]
	s_delay_alu instid0(VALU_DEP_1) | instskip(NEXT) | instid1(SALU_CYCLE_1)
	s_and_b32 s2, vcc_lo, s2
	s_and_saveexec_b32 s3, s2
	s_delay_alu instid0(SALU_CYCLE_1)
	s_xor_b32 s2, exec_lo, s3
; %bb.150:
	v_cmp_ne_u32_e32 vcc_lo, 0, v46
	v_cndmask_b32_e32 v46, 8, v46, vcc_lo
; %bb.151:
	s_and_not1_saveexec_b32 s3, s2
	s_cbranch_execz .LBB14_157
; %bb.152:
	v_cmp_gt_f64_e32 vcc_lo, 0, v[32:33]
	v_cmp_gt_f64_e64 s2, 0, v[34:35]
	v_xor_b32_e32 v41, 0x80000000, v33
	v_xor_b32_e32 v47, 0x80000000, v35
	s_delay_alu instid0(VALU_DEP_2) | instskip(NEXT) | instid1(VALU_DEP_2)
	v_dual_cndmask_b32 v42, v33, v41 :: v_dual_cndmask_b32 v41, v32, v32
	v_cndmask_b32_e64 v50, v35, v47, s2
	v_cndmask_b32_e64 v49, v34, v34, s2
	s_mov_b32 s2, exec_lo
	s_delay_alu instid0(VALU_DEP_1)
	v_cmpx_ngt_f64_e32 v[41:42], v[49:50]
	s_xor_b32 s2, exec_lo, s2
	s_cbranch_execz .LBB14_154
; %bb.153:
	v_div_scale_f64 v[41:42], null, v[34:35], v[34:35], v[32:33]
	v_div_scale_f64 v[53:54], vcc_lo, v[32:33], v[34:35], v[32:33]
	s_delay_alu instid0(VALU_DEP_2) | instskip(SKIP_2) | instid1(VALU_DEP_1)
	v_rcp_f64_e32 v[49:50], v[41:42]
	s_waitcnt_depctr 0xfff
	v_fma_f64 v[51:52], -v[41:42], v[49:50], 1.0
	v_fma_f64 v[49:50], v[49:50], v[51:52], v[49:50]
	s_delay_alu instid0(VALU_DEP_1) | instskip(NEXT) | instid1(VALU_DEP_1)
	v_fma_f64 v[51:52], -v[41:42], v[49:50], 1.0
	v_fma_f64 v[49:50], v[49:50], v[51:52], v[49:50]
	s_delay_alu instid0(VALU_DEP_1) | instskip(NEXT) | instid1(VALU_DEP_1)
	v_mul_f64 v[51:52], v[53:54], v[49:50]
	v_fma_f64 v[41:42], -v[41:42], v[51:52], v[53:54]
	s_delay_alu instid0(VALU_DEP_1) | instskip(NEXT) | instid1(VALU_DEP_1)
	v_div_fmas_f64 v[41:42], v[41:42], v[49:50], v[51:52]
	v_div_fixup_f64 v[41:42], v[41:42], v[34:35], v[32:33]
	s_delay_alu instid0(VALU_DEP_1) | instskip(NEXT) | instid1(VALU_DEP_1)
	v_fma_f64 v[32:33], v[32:33], v[41:42], v[34:35]
	v_div_scale_f64 v[34:35], null, v[32:33], v[32:33], 1.0
	s_delay_alu instid0(VALU_DEP_1) | instskip(SKIP_2) | instid1(VALU_DEP_1)
	v_rcp_f64_e32 v[49:50], v[34:35]
	s_waitcnt_depctr 0xfff
	v_fma_f64 v[51:52], -v[34:35], v[49:50], 1.0
	v_fma_f64 v[49:50], v[49:50], v[51:52], v[49:50]
	s_delay_alu instid0(VALU_DEP_1) | instskip(NEXT) | instid1(VALU_DEP_1)
	v_fma_f64 v[51:52], -v[34:35], v[49:50], 1.0
	v_fma_f64 v[49:50], v[49:50], v[51:52], v[49:50]
	v_div_scale_f64 v[51:52], vcc_lo, 1.0, v[32:33], 1.0
	s_delay_alu instid0(VALU_DEP_1) | instskip(NEXT) | instid1(VALU_DEP_1)
	v_mul_f64 v[53:54], v[51:52], v[49:50]
	v_fma_f64 v[34:35], -v[34:35], v[53:54], v[51:52]
	s_delay_alu instid0(VALU_DEP_1) | instskip(NEXT) | instid1(VALU_DEP_1)
	v_div_fmas_f64 v[34:35], v[34:35], v[49:50], v[53:54]
	v_div_fixup_f64 v[34:35], v[34:35], v[32:33], 1.0
	s_delay_alu instid0(VALU_DEP_1)
	v_mul_f64 v[32:33], v[41:42], v[34:35]
	v_xor_b32_e32 v35, 0x80000000, v35
.LBB14_154:
	s_and_not1_saveexec_b32 s2, s2
	s_cbranch_execz .LBB14_156
; %bb.155:
	s_delay_alu instid0(VALU_DEP_1) | instskip(SKIP_1) | instid1(VALU_DEP_2)
	v_div_scale_f64 v[41:42], null, v[32:33], v[32:33], v[34:35]
	v_div_scale_f64 v[53:54], vcc_lo, v[34:35], v[32:33], v[34:35]
	v_rcp_f64_e32 v[49:50], v[41:42]
	s_waitcnt_depctr 0xfff
	v_fma_f64 v[51:52], -v[41:42], v[49:50], 1.0
	s_delay_alu instid0(VALU_DEP_1) | instskip(NEXT) | instid1(VALU_DEP_1)
	v_fma_f64 v[49:50], v[49:50], v[51:52], v[49:50]
	v_fma_f64 v[51:52], -v[41:42], v[49:50], 1.0
	s_delay_alu instid0(VALU_DEP_1) | instskip(NEXT) | instid1(VALU_DEP_1)
	v_fma_f64 v[49:50], v[49:50], v[51:52], v[49:50]
	v_mul_f64 v[51:52], v[53:54], v[49:50]
	s_delay_alu instid0(VALU_DEP_1) | instskip(NEXT) | instid1(VALU_DEP_1)
	v_fma_f64 v[41:42], -v[41:42], v[51:52], v[53:54]
	v_div_fmas_f64 v[41:42], v[41:42], v[49:50], v[51:52]
	s_delay_alu instid0(VALU_DEP_1) | instskip(NEXT) | instid1(VALU_DEP_1)
	v_div_fixup_f64 v[41:42], v[41:42], v[32:33], v[34:35]
	v_fma_f64 v[32:33], v[34:35], v[41:42], v[32:33]
	s_delay_alu instid0(VALU_DEP_1) | instskip(NEXT) | instid1(VALU_DEP_1)
	v_div_scale_f64 v[34:35], null, v[32:33], v[32:33], 1.0
	v_rcp_f64_e32 v[49:50], v[34:35]
	s_waitcnt_depctr 0xfff
	v_fma_f64 v[51:52], -v[34:35], v[49:50], 1.0
	s_delay_alu instid0(VALU_DEP_1) | instskip(NEXT) | instid1(VALU_DEP_1)
	v_fma_f64 v[49:50], v[49:50], v[51:52], v[49:50]
	v_fma_f64 v[51:52], -v[34:35], v[49:50], 1.0
	s_delay_alu instid0(VALU_DEP_1) | instskip(SKIP_1) | instid1(VALU_DEP_1)
	v_fma_f64 v[49:50], v[49:50], v[51:52], v[49:50]
	v_div_scale_f64 v[51:52], vcc_lo, 1.0, v[32:33], 1.0
	v_mul_f64 v[53:54], v[51:52], v[49:50]
	s_delay_alu instid0(VALU_DEP_1) | instskip(NEXT) | instid1(VALU_DEP_1)
	v_fma_f64 v[34:35], -v[34:35], v[53:54], v[51:52]
	v_div_fmas_f64 v[34:35], v[34:35], v[49:50], v[53:54]
	s_delay_alu instid0(VALU_DEP_1) | instskip(NEXT) | instid1(VALU_DEP_1)
	v_div_fixup_f64 v[32:33], v[34:35], v[32:33], 1.0
	v_mul_f64 v[34:35], v[41:42], -v[32:33]
.LBB14_156:
	s_or_b32 exec_lo, exec_lo, s2
.LBB14_157:
	s_delay_alu instid0(SALU_CYCLE_1)
	s_or_b32 exec_lo, exec_lo, s3
	v_mov_b32_e32 v41, 7
	s_mov_b32 s2, exec_lo
	v_cmpx_ne_u32_e64 v48, v40
	s_cbranch_execz .LBB14_163
; %bb.158:
	s_mov_b32 s3, exec_lo
	v_cmpx_eq_u32_e32 7, v48
	s_cbranch_execz .LBB14_162
; %bb.159:
	v_cmp_ne_u32_e32 vcc_lo, 7, v40
	s_xor_b32 s4, s4, -1
	s_delay_alu instid0(SALU_CYCLE_1) | instskip(NEXT) | instid1(SALU_CYCLE_1)
	s_and_b32 s5, s4, vcc_lo
	s_and_saveexec_b32 s4, s5
	s_cbranch_execz .LBB14_161
; %bb.160:
	v_ashrrev_i32_e32 v41, 31, v40
	s_delay_alu instid0(VALU_DEP_1) | instskip(NEXT) | instid1(VALU_DEP_1)
	v_lshlrev_b64 v[41:42], 2, v[40:41]
	v_add_co_u32 v41, vcc_lo, v38, v41
	s_delay_alu instid0(VALU_DEP_2)
	v_add_co_ci_u32_e32 v42, vcc_lo, v39, v42, vcc_lo
	s_clause 0x1
	flat_load_b32 v45, v[41:42]
	flat_load_b32 v47, v[38:39] offset:28
	s_waitcnt vmcnt(1) lgkmcnt(1)
	flat_store_b32 v[38:39], v45 offset:28
	s_waitcnt vmcnt(0) lgkmcnt(1)
	flat_store_b32 v[41:42], v47
.LBB14_161:
	s_or_b32 exec_lo, exec_lo, s4
	v_mov_b32_e32 v48, v40
	v_mov_b32_e32 v45, v40
.LBB14_162:
	s_or_b32 exec_lo, exec_lo, s3
	s_delay_alu instid0(VALU_DEP_2)
	v_mov_b32_e32 v41, v48
.LBB14_163:
	s_or_b32 exec_lo, exec_lo, s2
	s_delay_alu instid0(SALU_CYCLE_1)
	s_mov_b32 s2, exec_lo
	s_waitcnt lgkmcnt(0)
	s_waitcnt_vscnt null, 0x0
	s_barrier
	buffer_gl0_inv
	v_cmpx_lt_i32_e32 7, v41
; %bb.164:
	v_mul_f64 v[38:39], v[34:35], v[2:3]
	v_mul_f64 v[2:3], v[32:33], v[2:3]
	s_delay_alu instid0(VALU_DEP_2) | instskip(NEXT) | instid1(VALU_DEP_2)
	v_fma_f64 v[32:33], v[32:33], v[0:1], -v[38:39]
	v_fma_f64 v[2:3], v[34:35], v[0:1], v[2:3]
	s_delay_alu instid0(VALU_DEP_2)
	v_dual_mov_b32 v0, v32 :: v_dual_mov_b32 v1, v33
; %bb.165:
	s_or_b32 exec_lo, exec_lo, s2
	s_load_b256 s[0:7], s[0:1], 0x28
	v_ashrrev_i32_e32 v42, 31, v41
	s_mov_b32 s9, exec_lo
	s_waitcnt lgkmcnt(0)
	s_barrier
	buffer_gl0_inv
	v_cmpx_gt_i32_e32 8, v41
	s_cbranch_execz .LBB14_167
; %bb.166:
	v_mul_lo_u32 v34, v37, s4
	v_mul_lo_u32 v35, v36, s5
	v_mad_u64_u32 v[32:33], null, v36, s4, 0
	s_lshl_b64 s[2:3], s[2:3], 2
	s_delay_alu instid0(SALU_CYCLE_1) | instskip(SKIP_1) | instid1(VALU_DEP_1)
	s_add_u32 s0, s2, s0
	s_addc_u32 s1, s3, s1
	v_add3_u32 v33, v33, v35, v34
	v_lshlrev_b64 v[34:35], 2, v[41:42]
	s_delay_alu instid0(VALU_DEP_2) | instskip(NEXT) | instid1(VALU_DEP_1)
	v_lshlrev_b64 v[32:33], 2, v[32:33]
	v_add_co_u32 v32, vcc_lo, s0, v32
	s_delay_alu instid0(VALU_DEP_2) | instskip(NEXT) | instid1(VALU_DEP_2)
	v_add_co_ci_u32_e32 v33, vcc_lo, s1, v33, vcc_lo
	v_add_co_u32 v32, vcc_lo, v32, v34
	s_delay_alu instid0(VALU_DEP_2)
	v_add_co_ci_u32_e32 v33, vcc_lo, v33, v35, vcc_lo
	v_add3_u32 v34, v45, s13, 1
	global_store_b32 v[32:33], v34, off
.LBB14_167:
	s_or_b32 exec_lo, exec_lo, s9
	s_delay_alu instid0(SALU_CYCLE_1)
	s_mov_b32 s1, exec_lo
	v_cmpx_eq_u32_e32 0, v41
	s_cbranch_execz .LBB14_170
; %bb.168:
	v_lshlrev_b64 v[32:33], 2, v[36:37]
	v_cmp_lt_i32_e64 s0, 0, v46
	s_delay_alu instid0(VALU_DEP_2) | instskip(NEXT) | instid1(VALU_DEP_3)
	v_add_co_u32 v32, vcc_lo, s6, v32
	v_add_co_ci_u32_e32 v33, vcc_lo, s7, v33, vcc_lo
	global_load_b32 v34, v[32:33], off
	s_waitcnt vmcnt(0)
	v_cmp_eq_u32_e32 vcc_lo, 0, v34
	s_and_b32 s0, vcc_lo, s0
	s_delay_alu instid0(SALU_CYCLE_1)
	s_and_b32 exec_lo, exec_lo, s0
	s_cbranch_execz .LBB14_170
; %bb.169:
	v_add_nc_u32_e32 v34, s13, v46
	global_store_b32 v[32:33], v34, off
.LBB14_170:
	s_or_b32 exec_lo, exec_lo, s1
	v_lshlrev_b64 v[34:35], 4, v[41:42]
	v_add3_u32 v32, s8, s8, v41
	s_delay_alu instid0(VALU_DEP_1) | instskip(NEXT) | instid1(VALU_DEP_3)
	v_add_nc_u32_e32 v36, s8, v32
	v_add_co_u32 v34, vcc_lo, v43, v34
	s_delay_alu instid0(VALU_DEP_4) | instskip(SKIP_1) | instid1(VALU_DEP_4)
	v_add_co_ci_u32_e32 v35, vcc_lo, v44, v35, vcc_lo
	v_ashrrev_i32_e32 v33, 31, v32
	v_ashrrev_i32_e32 v37, 31, v36
	global_store_b128 v[34:35], v[24:27], off
	v_add_nc_u32_e32 v26, s8, v36
	v_lshlrev_b64 v[32:33], 4, v[32:33]
	v_add_co_u32 v24, vcc_lo, v34, s10
	v_add_co_ci_u32_e32 v25, vcc_lo, s11, v35, vcc_lo
	s_delay_alu instid0(VALU_DEP_4) | instskip(NEXT) | instid1(VALU_DEP_4)
	v_add_nc_u32_e32 v34, s8, v26
	v_add_co_u32 v32, vcc_lo, v43, v32
	v_add_co_ci_u32_e32 v33, vcc_lo, v44, v33, vcc_lo
	global_store_b128 v[24:25], v[20:23], off
	v_add_nc_u32_e32 v24, s8, v34
	v_ashrrev_i32_e32 v27, 31, v26
	v_lshlrev_b64 v[20:21], 4, v[36:37]
	v_ashrrev_i32_e32 v35, 31, v34
	global_store_b128 v[32:33], v[28:31], off
	v_add_nc_u32_e32 v28, s8, v24
	v_lshlrev_b64 v[22:23], 4, v[26:27]
	v_ashrrev_i32_e32 v25, 31, v24
	v_add_co_u32 v20, vcc_lo, v43, v20
	v_lshlrev_b64 v[26:27], 4, v[34:35]
	v_ashrrev_i32_e32 v29, 31, v28
	v_add_co_ci_u32_e32 v21, vcc_lo, v44, v21, vcc_lo
	v_add_co_u32 v22, vcc_lo, v43, v22
	v_lshlrev_b64 v[24:25], 4, v[24:25]
	v_add_co_ci_u32_e32 v23, vcc_lo, v44, v23, vcc_lo
	v_add_co_u32 v26, vcc_lo, v43, v26
	v_lshlrev_b64 v[28:29], 4, v[28:29]
	v_add_co_ci_u32_e32 v27, vcc_lo, v44, v27, vcc_lo
	v_add_co_u32 v24, vcc_lo, v43, v24
	v_add_co_ci_u32_e32 v25, vcc_lo, v44, v25, vcc_lo
	s_delay_alu instid0(VALU_DEP_4)
	v_add_co_u32 v28, vcc_lo, v43, v28
	v_add_co_ci_u32_e32 v29, vcc_lo, v44, v29, vcc_lo
	s_clause 0x4
	global_store_b128 v[20:21], v[16:19], off
	global_store_b128 v[22:23], v[12:15], off
	;; [unrolled: 1-line block ×5, first 2 shown]
.LBB14_171:
	s_nop 0
	s_sendmsg sendmsg(MSG_DEALLOC_VGPRS)
	s_endpgm
	.section	.rodata,"a",@progbits
	.p2align	6, 0x0
	.amdhsa_kernel _ZN9rocsolver6v33100L18getf2_small_kernelILi8E19rocblas_complex_numIdEiiPKPS3_EEvT1_T3_lS7_lPS7_llPT2_S7_S7_S9_l
		.amdhsa_group_segment_fixed_size 0
		.amdhsa_private_segment_fixed_size 0
		.amdhsa_kernarg_size 352
		.amdhsa_user_sgpr_count 14
		.amdhsa_user_sgpr_dispatch_ptr 0
		.amdhsa_user_sgpr_queue_ptr 0
		.amdhsa_user_sgpr_kernarg_segment_ptr 1
		.amdhsa_user_sgpr_dispatch_id 0
		.amdhsa_user_sgpr_private_segment_size 0
		.amdhsa_wavefront_size32 1
		.amdhsa_uses_dynamic_stack 0
		.amdhsa_enable_private_segment 0
		.amdhsa_system_sgpr_workgroup_id_x 1
		.amdhsa_system_sgpr_workgroup_id_y 1
		.amdhsa_system_sgpr_workgroup_id_z 0
		.amdhsa_system_sgpr_workgroup_info 0
		.amdhsa_system_vgpr_workitem_id 1
		.amdhsa_next_free_vgpr 100
		.amdhsa_next_free_sgpr 16
		.amdhsa_reserve_vcc 1
		.amdhsa_float_round_mode_32 0
		.amdhsa_float_round_mode_16_64 0
		.amdhsa_float_denorm_mode_32 3
		.amdhsa_float_denorm_mode_16_64 3
		.amdhsa_dx10_clamp 1
		.amdhsa_ieee_mode 1
		.amdhsa_fp16_overflow 0
		.amdhsa_workgroup_processor_mode 1
		.amdhsa_memory_ordered 1
		.amdhsa_forward_progress 0
		.amdhsa_shared_vgpr_count 0
		.amdhsa_exception_fp_ieee_invalid_op 0
		.amdhsa_exception_fp_denorm_src 0
		.amdhsa_exception_fp_ieee_div_zero 0
		.amdhsa_exception_fp_ieee_overflow 0
		.amdhsa_exception_fp_ieee_underflow 0
		.amdhsa_exception_fp_ieee_inexact 0
		.amdhsa_exception_int_div_zero 0
	.end_amdhsa_kernel
	.section	.text._ZN9rocsolver6v33100L18getf2_small_kernelILi8E19rocblas_complex_numIdEiiPKPS3_EEvT1_T3_lS7_lPS7_llPT2_S7_S7_S9_l,"axG",@progbits,_ZN9rocsolver6v33100L18getf2_small_kernelILi8E19rocblas_complex_numIdEiiPKPS3_EEvT1_T3_lS7_lPS7_llPT2_S7_S7_S9_l,comdat
.Lfunc_end14:
	.size	_ZN9rocsolver6v33100L18getf2_small_kernelILi8E19rocblas_complex_numIdEiiPKPS3_EEvT1_T3_lS7_lPS7_llPT2_S7_S7_S9_l, .Lfunc_end14-_ZN9rocsolver6v33100L18getf2_small_kernelILi8E19rocblas_complex_numIdEiiPKPS3_EEvT1_T3_lS7_lPS7_llPT2_S7_S7_S9_l
                                        ; -- End function
	.section	.AMDGPU.csdata,"",@progbits
; Kernel info:
; codeLenInByte = 12320
; NumSgprs: 18
; NumVgprs: 100
; ScratchSize: 0
; MemoryBound: 0
; FloatMode: 240
; IeeeMode: 1
; LDSByteSize: 0 bytes/workgroup (compile time only)
; SGPRBlocks: 2
; VGPRBlocks: 12
; NumSGPRsForWavesPerEU: 18
; NumVGPRsForWavesPerEU: 100
; Occupancy: 12
; WaveLimiterHint : 1
; COMPUTE_PGM_RSRC2:SCRATCH_EN: 0
; COMPUTE_PGM_RSRC2:USER_SGPR: 14
; COMPUTE_PGM_RSRC2:TRAP_HANDLER: 0
; COMPUTE_PGM_RSRC2:TGID_X_EN: 1
; COMPUTE_PGM_RSRC2:TGID_Y_EN: 1
; COMPUTE_PGM_RSRC2:TGID_Z_EN: 0
; COMPUTE_PGM_RSRC2:TIDIG_COMP_CNT: 1
	.section	.text._ZN9rocsolver6v33100L23getf2_npvt_small_kernelILi8E19rocblas_complex_numIdEiiPKPS3_EEvT1_T3_lS7_lPT2_S7_S7_,"axG",@progbits,_ZN9rocsolver6v33100L23getf2_npvt_small_kernelILi8E19rocblas_complex_numIdEiiPKPS3_EEvT1_T3_lS7_lPT2_S7_S7_,comdat
	.globl	_ZN9rocsolver6v33100L23getf2_npvt_small_kernelILi8E19rocblas_complex_numIdEiiPKPS3_EEvT1_T3_lS7_lPT2_S7_S7_ ; -- Begin function _ZN9rocsolver6v33100L23getf2_npvt_small_kernelILi8E19rocblas_complex_numIdEiiPKPS3_EEvT1_T3_lS7_lPT2_S7_S7_
	.p2align	8
	.type	_ZN9rocsolver6v33100L23getf2_npvt_small_kernelILi8E19rocblas_complex_numIdEiiPKPS3_EEvT1_T3_lS7_lPT2_S7_S7_,@function
_ZN9rocsolver6v33100L23getf2_npvt_small_kernelILi8E19rocblas_complex_numIdEiiPKPS3_EEvT1_T3_lS7_lPT2_S7_S7_: ; @_ZN9rocsolver6v33100L23getf2_npvt_small_kernelILi8E19rocblas_complex_numIdEiiPKPS3_EEvT1_T3_lS7_lPT2_S7_S7_
; %bb.0:
	s_clause 0x1
	s_load_b32 s2, s[0:1], 0x44
	s_load_b64 s[8:9], s[0:1], 0x30
	v_bfe_u32 v32, v0, 10, 10
	s_waitcnt lgkmcnt(0)
	s_lshr_b32 s10, s2, 16
	s_mov_b32 s2, exec_lo
	s_delay_alu instid0(VALU_DEP_1) | instskip(NEXT) | instid1(VALU_DEP_1)
	v_mad_u64_u32 v[64:65], null, s15, s10, v[32:33]
	v_cmpx_gt_i32_e64 s8, v64
	s_cbranch_execz .LBB15_77
; %bb.1:
	s_clause 0x1
	s_load_b128 s[4:7], s[0:1], 0x8
	s_load_b32 s2, s[0:1], 0x18
	v_ashrrev_i32_e32 v65, 31, v64
	v_and_b32_e32 v84, 0x3ff, v0
	v_lshlrev_b32_e32 v33, 4, v32
	v_lshl_add_u32 v86, v32, 7, 0
	s_delay_alu instid0(VALU_DEP_4) | instskip(NEXT) | instid1(VALU_DEP_4)
	v_lshlrev_b64 v[1:2], 3, v[64:65]
	v_lshlrev_b32_e32 v15, 4, v84
	s_waitcnt lgkmcnt(0)
	s_delay_alu instid0(VALU_DEP_2) | instskip(NEXT) | instid1(VALU_DEP_3)
	v_add_co_u32 v1, vcc_lo, s4, v1
	v_add_co_ci_u32_e32 v2, vcc_lo, s5, v2, vcc_lo
	v_add3_u32 v3, s2, s2, v84
	s_lshl_b64 s[4:5], s[6:7], 4
	s_ashr_i32 s3, s2, 31
	global_load_b64 v[1:2], v[1:2], off
	s_lshl_b64 s[6:7], s[2:3], 4
	v_add_nc_u32_e32 v5, s2, v3
	v_ashrrev_i32_e32 v4, 31, v3
	v_cmp_ne_u32_e64 s3, 0, v84
	s_delay_alu instid0(VALU_DEP_3) | instskip(SKIP_1) | instid1(VALU_DEP_4)
	v_add_nc_u32_e32 v7, s2, v5
	v_ashrrev_i32_e32 v6, 31, v5
	v_lshlrev_b64 v[3:4], 4, v[3:4]
	s_delay_alu instid0(VALU_DEP_3) | instskip(SKIP_1) | instid1(VALU_DEP_4)
	v_add_nc_u32_e32 v9, s2, v7
	v_ashrrev_i32_e32 v8, 31, v7
	v_lshlrev_b64 v[5:6], 4, v[5:6]
	;; [unrolled: 4-line block ×4, first 2 shown]
	s_lshl_b32 s2, s10, 7
	s_delay_alu instid0(VALU_DEP_3) | instskip(NEXT) | instid1(VALU_DEP_3)
	v_ashrrev_i32_e32 v14, 31, v13
	v_lshlrev_b64 v[11:12], 4, v[11:12]
	v_add3_u32 v85, 0, s2, v33
	v_cmp_eq_u32_e64 s2, 0, v84
	s_waitcnt vmcnt(0)
	v_add_co_u32 v16, vcc_lo, v1, s4
	v_add_co_ci_u32_e32 v2, vcc_lo, s5, v2, vcc_lo
	v_lshlrev_b64 v[0:1], 4, v[13:14]
	s_delay_alu instid0(VALU_DEP_3) | instskip(NEXT) | instid1(VALU_DEP_3)
	v_add_co_u32 v78, vcc_lo, v16, v15
	v_add_co_ci_u32_e32 v79, vcc_lo, 0, v2, vcc_lo
	v_add_co_u32 v76, vcc_lo, v16, v3
	v_add_co_ci_u32_e32 v77, vcc_lo, v2, v4, vcc_lo
	;; [unrolled: 2-line block ×8, first 2 shown]
	s_clause 0x7
	global_load_b128 v[20:23], v[76:77], off
	global_load_b128 v[16:19], v[74:75], off
	;; [unrolled: 1-line block ×8, first 2 shown]
	s_and_saveexec_b32 s5, s2
	s_cbranch_execz .LBB15_8
; %bb.2:
	s_waitcnt vmcnt(3)
	ds_store_2addr_b64 v85, v[28:29], v[30:31] offset1:1
	s_waitcnt vmcnt(2)
	ds_store_2addr_b64 v86, v[24:25], v[26:27] offset0:2 offset1:3
	ds_store_2addr_b64 v86, v[20:21], v[22:23] offset0:4 offset1:5
	;; [unrolled: 1-line block ×5, first 2 shown]
	s_waitcnt vmcnt(1)
	ds_store_2addr_b64 v86, v[4:5], v[6:7] offset0:12 offset1:13
	s_waitcnt vmcnt(0)
	ds_store_2addr_b64 v86, v[0:1], v[2:3] offset0:14 offset1:15
	ds_load_2addr_b64 v[32:35], v85 offset1:1
	s_waitcnt lgkmcnt(0)
	v_cmp_neq_f64_e32 vcc_lo, 0, v[32:33]
	v_cmp_neq_f64_e64 s4, 0, v[34:35]
	s_delay_alu instid0(VALU_DEP_1) | instskip(NEXT) | instid1(SALU_CYCLE_1)
	s_or_b32 s4, vcc_lo, s4
	s_and_b32 exec_lo, exec_lo, s4
	s_cbranch_execz .LBB15_8
; %bb.3:
	v_cmp_gt_f64_e32 vcc_lo, 0, v[32:33]
	v_cmp_gt_f64_e64 s4, 0, v[34:35]
	v_xor_b32_e32 v36, 0x80000000, v33
	v_xor_b32_e32 v38, 0x80000000, v35
                                        ; implicit-def: $vgpr40_vgpr41
	s_delay_alu instid0(VALU_DEP_2) | instskip(NEXT) | instid1(VALU_DEP_2)
	v_cndmask_b32_e32 v37, v33, v36, vcc_lo
	v_cndmask_b32_e64 v39, v35, v38, s4
	v_cndmask_b32_e32 v36, v32, v32, vcc_lo
	v_cndmask_b32_e64 v38, v34, v34, s4
	s_mov_b32 s4, exec_lo
	s_delay_alu instid0(VALU_DEP_1)
	v_cmpx_ngt_f64_e32 v[36:37], v[38:39]
	s_xor_b32 s4, exec_lo, s4
                                        ; implicit-def: $vgpr36_vgpr37_vgpr38_vgpr39
	s_cbranch_execz .LBB15_5
; %bb.4:
	v_div_scale_f64 v[36:37], null, v[34:35], v[34:35], v[32:33]
	v_div_scale_f64 v[42:43], vcc_lo, v[32:33], v[34:35], v[32:33]
	s_delay_alu instid0(VALU_DEP_2) | instskip(SKIP_2) | instid1(VALU_DEP_1)
	v_rcp_f64_e32 v[38:39], v[36:37]
	s_waitcnt_depctr 0xfff
	v_fma_f64 v[40:41], -v[36:37], v[38:39], 1.0
	v_fma_f64 v[38:39], v[38:39], v[40:41], v[38:39]
	s_delay_alu instid0(VALU_DEP_1) | instskip(NEXT) | instid1(VALU_DEP_1)
	v_fma_f64 v[40:41], -v[36:37], v[38:39], 1.0
	v_fma_f64 v[38:39], v[38:39], v[40:41], v[38:39]
	s_delay_alu instid0(VALU_DEP_1) | instskip(NEXT) | instid1(VALU_DEP_1)
	v_mul_f64 v[40:41], v[42:43], v[38:39]
	v_fma_f64 v[36:37], -v[36:37], v[40:41], v[42:43]
	s_delay_alu instid0(VALU_DEP_1) | instskip(NEXT) | instid1(VALU_DEP_1)
	v_div_fmas_f64 v[36:37], v[36:37], v[38:39], v[40:41]
	v_div_fixup_f64 v[36:37], v[36:37], v[34:35], v[32:33]
	s_delay_alu instid0(VALU_DEP_1) | instskip(NEXT) | instid1(VALU_DEP_1)
	v_fma_f64 v[32:33], v[32:33], v[36:37], v[34:35]
	v_div_scale_f64 v[34:35], null, v[32:33], v[32:33], 1.0
	s_delay_alu instid0(VALU_DEP_1) | instskip(SKIP_2) | instid1(VALU_DEP_1)
	v_rcp_f64_e32 v[38:39], v[34:35]
	s_waitcnt_depctr 0xfff
	v_fma_f64 v[40:41], -v[34:35], v[38:39], 1.0
	v_fma_f64 v[38:39], v[38:39], v[40:41], v[38:39]
	s_delay_alu instid0(VALU_DEP_1) | instskip(NEXT) | instid1(VALU_DEP_1)
	v_fma_f64 v[40:41], -v[34:35], v[38:39], 1.0
	v_fma_f64 v[38:39], v[38:39], v[40:41], v[38:39]
	v_div_scale_f64 v[40:41], vcc_lo, 1.0, v[32:33], 1.0
	s_delay_alu instid0(VALU_DEP_1) | instskip(NEXT) | instid1(VALU_DEP_1)
	v_mul_f64 v[42:43], v[40:41], v[38:39]
	v_fma_f64 v[34:35], -v[34:35], v[42:43], v[40:41]
	s_delay_alu instid0(VALU_DEP_1) | instskip(NEXT) | instid1(VALU_DEP_1)
	v_div_fmas_f64 v[34:35], v[34:35], v[38:39], v[42:43]
	v_div_fixup_f64 v[38:39], v[34:35], v[32:33], 1.0
                                        ; implicit-def: $vgpr32_vgpr33
	s_delay_alu instid0(VALU_DEP_1)
	v_mul_f64 v[40:41], v[36:37], v[38:39]
	v_xor_b32_e32 v39, 0x80000000, v39
.LBB15_5:
	s_and_not1_saveexec_b32 s4, s4
	s_cbranch_execz .LBB15_7
; %bb.6:
	v_div_scale_f64 v[36:37], null, v[32:33], v[32:33], v[34:35]
	v_div_scale_f64 v[42:43], vcc_lo, v[34:35], v[32:33], v[34:35]
	s_delay_alu instid0(VALU_DEP_2) | instskip(SKIP_2) | instid1(VALU_DEP_1)
	v_rcp_f64_e32 v[38:39], v[36:37]
	s_waitcnt_depctr 0xfff
	v_fma_f64 v[40:41], -v[36:37], v[38:39], 1.0
	v_fma_f64 v[38:39], v[38:39], v[40:41], v[38:39]
	s_delay_alu instid0(VALU_DEP_1) | instskip(NEXT) | instid1(VALU_DEP_1)
	v_fma_f64 v[40:41], -v[36:37], v[38:39], 1.0
	v_fma_f64 v[38:39], v[38:39], v[40:41], v[38:39]
	s_delay_alu instid0(VALU_DEP_1) | instskip(NEXT) | instid1(VALU_DEP_1)
	v_mul_f64 v[40:41], v[42:43], v[38:39]
	v_fma_f64 v[36:37], -v[36:37], v[40:41], v[42:43]
	s_delay_alu instid0(VALU_DEP_1) | instskip(NEXT) | instid1(VALU_DEP_1)
	v_div_fmas_f64 v[36:37], v[36:37], v[38:39], v[40:41]
	v_div_fixup_f64 v[36:37], v[36:37], v[32:33], v[34:35]
	s_delay_alu instid0(VALU_DEP_1) | instskip(NEXT) | instid1(VALU_DEP_1)
	v_fma_f64 v[32:33], v[34:35], v[36:37], v[32:33]
	v_div_scale_f64 v[34:35], null, v[32:33], v[32:33], 1.0
	s_delay_alu instid0(VALU_DEP_1) | instskip(SKIP_2) | instid1(VALU_DEP_1)
	v_rcp_f64_e32 v[38:39], v[34:35]
	s_waitcnt_depctr 0xfff
	v_fma_f64 v[40:41], -v[34:35], v[38:39], 1.0
	v_fma_f64 v[38:39], v[38:39], v[40:41], v[38:39]
	s_delay_alu instid0(VALU_DEP_1) | instskip(NEXT) | instid1(VALU_DEP_1)
	v_fma_f64 v[40:41], -v[34:35], v[38:39], 1.0
	v_fma_f64 v[38:39], v[38:39], v[40:41], v[38:39]
	v_div_scale_f64 v[40:41], vcc_lo, 1.0, v[32:33], 1.0
	s_delay_alu instid0(VALU_DEP_1) | instskip(NEXT) | instid1(VALU_DEP_1)
	v_mul_f64 v[42:43], v[40:41], v[38:39]
	v_fma_f64 v[34:35], -v[34:35], v[42:43], v[40:41]
	s_delay_alu instid0(VALU_DEP_1) | instskip(NEXT) | instid1(VALU_DEP_1)
	v_div_fmas_f64 v[34:35], v[34:35], v[38:39], v[42:43]
	v_div_fixup_f64 v[40:41], v[34:35], v[32:33], 1.0
	s_delay_alu instid0(VALU_DEP_1)
	v_mul_f64 v[38:39], v[36:37], -v[40:41]
.LBB15_7:
	s_or_b32 exec_lo, exec_lo, s4
	ds_store_2addr_b64 v85, v[40:41], v[38:39] offset1:1
.LBB15_8:
	s_or_b32 exec_lo, exec_lo, s5
	s_waitcnt vmcnt(0) lgkmcnt(0)
	s_barrier
	buffer_gl0_inv
	ds_load_2addr_b64 v[32:35], v85 offset1:1
	s_and_saveexec_b32 s4, s3
	s_cbranch_execz .LBB15_10
; %bb.9:
	s_waitcnt lgkmcnt(0)
	v_mul_f64 v[36:37], v[32:33], v[30:31]
	v_mul_f64 v[30:31], v[34:35], v[30:31]
	s_delay_alu instid0(VALU_DEP_2)
	v_fma_f64 v[82:83], v[34:35], v[28:29], v[36:37]
	ds_load_2addr_b64 v[36:39], v86 offset0:2 offset1:3
	ds_load_2addr_b64 v[40:43], v86 offset0:4 offset1:5
	;; [unrolled: 1-line block ×7, first 2 shown]
	v_fma_f64 v[28:29], v[32:33], v[28:29], -v[30:31]
	s_waitcnt lgkmcnt(6)
	v_mul_f64 v[30:31], v[38:39], v[82:83]
	v_mul_f64 v[87:88], v[36:37], v[82:83]
	s_waitcnt lgkmcnt(5)
	v_mul_f64 v[89:90], v[42:43], v[82:83]
	v_mul_f64 v[91:92], v[40:41], v[82:83]
	;; [unrolled: 3-line block ×7, first 2 shown]
	v_fma_f64 v[30:31], v[36:37], v[28:29], -v[30:31]
	v_fma_f64 v[36:37], v[38:39], v[28:29], v[87:88]
	v_fma_f64 v[38:39], v[40:41], v[28:29], -v[89:90]
	v_fma_f64 v[40:41], v[42:43], v[28:29], v[91:92]
	;; [unrolled: 2-line block ×7, first 2 shown]
	v_add_f64 v[24:25], v[24:25], -v[30:31]
	v_add_f64 v[26:27], v[26:27], -v[36:37]
	;; [unrolled: 1-line block ×14, first 2 shown]
	v_dual_mov_b32 v30, v82 :: v_dual_mov_b32 v31, v83
.LBB15_10:
	s_or_b32 exec_lo, exec_lo, s4
	s_delay_alu instid0(SALU_CYCLE_1)
	s_mov_b32 s4, exec_lo
	s_waitcnt lgkmcnt(0)
	s_barrier
	buffer_gl0_inv
	v_cmpx_eq_u32_e32 1, v84
	s_cbranch_execz .LBB15_17
; %bb.11:
	ds_store_2addr_b64 v85, v[24:25], v[26:27] offset1:1
	ds_store_2addr_b64 v86, v[20:21], v[22:23] offset0:4 offset1:5
	ds_store_2addr_b64 v86, v[16:17], v[18:19] offset0:6 offset1:7
	ds_store_2addr_b64 v86, v[12:13], v[14:15] offset0:8 offset1:9
	ds_store_2addr_b64 v86, v[8:9], v[10:11] offset0:10 offset1:11
	ds_store_2addr_b64 v86, v[4:5], v[6:7] offset0:12 offset1:13
	ds_store_2addr_b64 v86, v[0:1], v[2:3] offset0:14 offset1:15
	ds_load_2addr_b64 v[36:39], v85 offset1:1
	s_waitcnt lgkmcnt(0)
	v_cmp_neq_f64_e32 vcc_lo, 0, v[36:37]
	v_cmp_neq_f64_e64 s3, 0, v[38:39]
	s_delay_alu instid0(VALU_DEP_1) | instskip(NEXT) | instid1(SALU_CYCLE_1)
	s_or_b32 s3, vcc_lo, s3
	s_and_b32 exec_lo, exec_lo, s3
	s_cbranch_execz .LBB15_17
; %bb.12:
	v_cmp_gt_f64_e32 vcc_lo, 0, v[36:37]
	v_cmp_gt_f64_e64 s3, 0, v[38:39]
	v_xor_b32_e32 v40, 0x80000000, v37
	v_xor_b32_e32 v42, 0x80000000, v39
                                        ; implicit-def: $vgpr44_vgpr45
	s_delay_alu instid0(VALU_DEP_2) | instskip(NEXT) | instid1(VALU_DEP_2)
	v_cndmask_b32_e32 v41, v37, v40, vcc_lo
	v_cndmask_b32_e64 v43, v39, v42, s3
	v_cndmask_b32_e32 v40, v36, v36, vcc_lo
	v_cndmask_b32_e64 v42, v38, v38, s3
	s_mov_b32 s3, exec_lo
	s_delay_alu instid0(VALU_DEP_1)
	v_cmpx_ngt_f64_e32 v[40:41], v[42:43]
	s_xor_b32 s3, exec_lo, s3
                                        ; implicit-def: $vgpr40_vgpr41_vgpr42_vgpr43
	s_cbranch_execz .LBB15_14
; %bb.13:
	v_div_scale_f64 v[40:41], null, v[38:39], v[38:39], v[36:37]
	v_div_scale_f64 v[46:47], vcc_lo, v[36:37], v[38:39], v[36:37]
	s_delay_alu instid0(VALU_DEP_2) | instskip(SKIP_2) | instid1(VALU_DEP_1)
	v_rcp_f64_e32 v[42:43], v[40:41]
	s_waitcnt_depctr 0xfff
	v_fma_f64 v[44:45], -v[40:41], v[42:43], 1.0
	v_fma_f64 v[42:43], v[42:43], v[44:45], v[42:43]
	s_delay_alu instid0(VALU_DEP_1) | instskip(NEXT) | instid1(VALU_DEP_1)
	v_fma_f64 v[44:45], -v[40:41], v[42:43], 1.0
	v_fma_f64 v[42:43], v[42:43], v[44:45], v[42:43]
	s_delay_alu instid0(VALU_DEP_1) | instskip(NEXT) | instid1(VALU_DEP_1)
	v_mul_f64 v[44:45], v[46:47], v[42:43]
	v_fma_f64 v[40:41], -v[40:41], v[44:45], v[46:47]
	s_delay_alu instid0(VALU_DEP_1) | instskip(NEXT) | instid1(VALU_DEP_1)
	v_div_fmas_f64 v[40:41], v[40:41], v[42:43], v[44:45]
	v_div_fixup_f64 v[40:41], v[40:41], v[38:39], v[36:37]
	s_delay_alu instid0(VALU_DEP_1) | instskip(NEXT) | instid1(VALU_DEP_1)
	v_fma_f64 v[36:37], v[36:37], v[40:41], v[38:39]
	v_div_scale_f64 v[38:39], null, v[36:37], v[36:37], 1.0
	s_delay_alu instid0(VALU_DEP_1) | instskip(SKIP_2) | instid1(VALU_DEP_1)
	v_rcp_f64_e32 v[42:43], v[38:39]
	s_waitcnt_depctr 0xfff
	v_fma_f64 v[44:45], -v[38:39], v[42:43], 1.0
	v_fma_f64 v[42:43], v[42:43], v[44:45], v[42:43]
	s_delay_alu instid0(VALU_DEP_1) | instskip(NEXT) | instid1(VALU_DEP_1)
	v_fma_f64 v[44:45], -v[38:39], v[42:43], 1.0
	v_fma_f64 v[42:43], v[42:43], v[44:45], v[42:43]
	v_div_scale_f64 v[44:45], vcc_lo, 1.0, v[36:37], 1.0
	s_delay_alu instid0(VALU_DEP_1) | instskip(NEXT) | instid1(VALU_DEP_1)
	v_mul_f64 v[46:47], v[44:45], v[42:43]
	v_fma_f64 v[38:39], -v[38:39], v[46:47], v[44:45]
	s_delay_alu instid0(VALU_DEP_1) | instskip(NEXT) | instid1(VALU_DEP_1)
	v_div_fmas_f64 v[38:39], v[38:39], v[42:43], v[46:47]
	v_div_fixup_f64 v[42:43], v[38:39], v[36:37], 1.0
                                        ; implicit-def: $vgpr36_vgpr37
	s_delay_alu instid0(VALU_DEP_1)
	v_mul_f64 v[44:45], v[40:41], v[42:43]
	v_xor_b32_e32 v43, 0x80000000, v43
.LBB15_14:
	s_and_not1_saveexec_b32 s3, s3
	s_cbranch_execz .LBB15_16
; %bb.15:
	v_div_scale_f64 v[40:41], null, v[36:37], v[36:37], v[38:39]
	v_div_scale_f64 v[46:47], vcc_lo, v[38:39], v[36:37], v[38:39]
	s_delay_alu instid0(VALU_DEP_2) | instskip(SKIP_2) | instid1(VALU_DEP_1)
	v_rcp_f64_e32 v[42:43], v[40:41]
	s_waitcnt_depctr 0xfff
	v_fma_f64 v[44:45], -v[40:41], v[42:43], 1.0
	v_fma_f64 v[42:43], v[42:43], v[44:45], v[42:43]
	s_delay_alu instid0(VALU_DEP_1) | instskip(NEXT) | instid1(VALU_DEP_1)
	v_fma_f64 v[44:45], -v[40:41], v[42:43], 1.0
	v_fma_f64 v[42:43], v[42:43], v[44:45], v[42:43]
	s_delay_alu instid0(VALU_DEP_1) | instskip(NEXT) | instid1(VALU_DEP_1)
	v_mul_f64 v[44:45], v[46:47], v[42:43]
	v_fma_f64 v[40:41], -v[40:41], v[44:45], v[46:47]
	s_delay_alu instid0(VALU_DEP_1) | instskip(NEXT) | instid1(VALU_DEP_1)
	v_div_fmas_f64 v[40:41], v[40:41], v[42:43], v[44:45]
	v_div_fixup_f64 v[40:41], v[40:41], v[36:37], v[38:39]
	s_delay_alu instid0(VALU_DEP_1) | instskip(NEXT) | instid1(VALU_DEP_1)
	v_fma_f64 v[36:37], v[38:39], v[40:41], v[36:37]
	v_div_scale_f64 v[38:39], null, v[36:37], v[36:37], 1.0
	s_delay_alu instid0(VALU_DEP_1) | instskip(SKIP_2) | instid1(VALU_DEP_1)
	v_rcp_f64_e32 v[42:43], v[38:39]
	s_waitcnt_depctr 0xfff
	v_fma_f64 v[44:45], -v[38:39], v[42:43], 1.0
	v_fma_f64 v[42:43], v[42:43], v[44:45], v[42:43]
	s_delay_alu instid0(VALU_DEP_1) | instskip(NEXT) | instid1(VALU_DEP_1)
	v_fma_f64 v[44:45], -v[38:39], v[42:43], 1.0
	v_fma_f64 v[42:43], v[42:43], v[44:45], v[42:43]
	v_div_scale_f64 v[44:45], vcc_lo, 1.0, v[36:37], 1.0
	s_delay_alu instid0(VALU_DEP_1) | instskip(NEXT) | instid1(VALU_DEP_1)
	v_mul_f64 v[46:47], v[44:45], v[42:43]
	v_fma_f64 v[38:39], -v[38:39], v[46:47], v[44:45]
	s_delay_alu instid0(VALU_DEP_1) | instskip(NEXT) | instid1(VALU_DEP_1)
	v_div_fmas_f64 v[38:39], v[38:39], v[42:43], v[46:47]
	v_div_fixup_f64 v[44:45], v[38:39], v[36:37], 1.0
	s_delay_alu instid0(VALU_DEP_1)
	v_mul_f64 v[42:43], v[40:41], -v[44:45]
.LBB15_16:
	s_or_b32 exec_lo, exec_lo, s3
	ds_store_2addr_b64 v85, v[44:45], v[42:43] offset1:1
.LBB15_17:
	s_or_b32 exec_lo, exec_lo, s4
	s_waitcnt lgkmcnt(0)
	s_barrier
	buffer_gl0_inv
	ds_load_2addr_b64 v[36:39], v85 offset1:1
	s_mov_b32 s3, exec_lo
	v_cmpx_lt_u32_e32 1, v84
	s_cbranch_execz .LBB15_19
; %bb.18:
	s_waitcnt lgkmcnt(0)
	v_mul_f64 v[40:41], v[36:37], v[26:27]
	v_mul_f64 v[26:27], v[38:39], v[26:27]
	s_delay_alu instid0(VALU_DEP_2)
	v_fma_f64 v[82:83], v[38:39], v[24:25], v[40:41]
	ds_load_2addr_b64 v[40:43], v86 offset0:4 offset1:5
	ds_load_2addr_b64 v[44:47], v86 offset0:6 offset1:7
	;; [unrolled: 1-line block ×6, first 2 shown]
	v_fma_f64 v[24:25], v[36:37], v[24:25], -v[26:27]
	s_waitcnt lgkmcnt(5)
	v_mul_f64 v[26:27], v[42:43], v[82:83]
	v_mul_f64 v[87:88], v[40:41], v[82:83]
	s_waitcnt lgkmcnt(4)
	v_mul_f64 v[89:90], v[46:47], v[82:83]
	v_mul_f64 v[91:92], v[44:45], v[82:83]
	;; [unrolled: 3-line block ×6, first 2 shown]
	v_fma_f64 v[26:27], v[40:41], v[24:25], -v[26:27]
	v_fma_f64 v[40:41], v[42:43], v[24:25], v[87:88]
	v_fma_f64 v[42:43], v[44:45], v[24:25], -v[89:90]
	v_fma_f64 v[44:45], v[46:47], v[24:25], v[91:92]
	;; [unrolled: 2-line block ×6, first 2 shown]
	v_add_f64 v[20:21], v[20:21], -v[26:27]
	v_add_f64 v[22:23], v[22:23], -v[40:41]
	;; [unrolled: 1-line block ×12, first 2 shown]
	v_dual_mov_b32 v26, v82 :: v_dual_mov_b32 v27, v83
.LBB15_19:
	s_or_b32 exec_lo, exec_lo, s3
	s_delay_alu instid0(SALU_CYCLE_1)
	s_mov_b32 s4, exec_lo
	s_waitcnt lgkmcnt(0)
	s_barrier
	buffer_gl0_inv
	v_cmpx_eq_u32_e32 2, v84
	s_cbranch_execz .LBB15_26
; %bb.20:
	ds_store_2addr_b64 v85, v[20:21], v[22:23] offset1:1
	ds_store_2addr_b64 v86, v[16:17], v[18:19] offset0:6 offset1:7
	ds_store_2addr_b64 v86, v[12:13], v[14:15] offset0:8 offset1:9
	;; [unrolled: 1-line block ×5, first 2 shown]
	ds_load_2addr_b64 v[40:43], v85 offset1:1
	s_waitcnt lgkmcnt(0)
	v_cmp_neq_f64_e32 vcc_lo, 0, v[40:41]
	v_cmp_neq_f64_e64 s3, 0, v[42:43]
	s_delay_alu instid0(VALU_DEP_1) | instskip(NEXT) | instid1(SALU_CYCLE_1)
	s_or_b32 s3, vcc_lo, s3
	s_and_b32 exec_lo, exec_lo, s3
	s_cbranch_execz .LBB15_26
; %bb.21:
	v_cmp_gt_f64_e32 vcc_lo, 0, v[40:41]
	v_cmp_gt_f64_e64 s3, 0, v[42:43]
	v_xor_b32_e32 v44, 0x80000000, v41
	v_xor_b32_e32 v46, 0x80000000, v43
                                        ; implicit-def: $vgpr48_vgpr49
	s_delay_alu instid0(VALU_DEP_2) | instskip(NEXT) | instid1(VALU_DEP_2)
	v_cndmask_b32_e32 v45, v41, v44, vcc_lo
	v_cndmask_b32_e64 v47, v43, v46, s3
	v_cndmask_b32_e32 v44, v40, v40, vcc_lo
	v_cndmask_b32_e64 v46, v42, v42, s3
	s_mov_b32 s3, exec_lo
	s_delay_alu instid0(VALU_DEP_1)
	v_cmpx_ngt_f64_e32 v[44:45], v[46:47]
	s_xor_b32 s3, exec_lo, s3
                                        ; implicit-def: $vgpr44_vgpr45_vgpr46_vgpr47
	s_cbranch_execz .LBB15_23
; %bb.22:
	v_div_scale_f64 v[44:45], null, v[42:43], v[42:43], v[40:41]
	v_div_scale_f64 v[50:51], vcc_lo, v[40:41], v[42:43], v[40:41]
	s_delay_alu instid0(VALU_DEP_2) | instskip(SKIP_2) | instid1(VALU_DEP_1)
	v_rcp_f64_e32 v[46:47], v[44:45]
	s_waitcnt_depctr 0xfff
	v_fma_f64 v[48:49], -v[44:45], v[46:47], 1.0
	v_fma_f64 v[46:47], v[46:47], v[48:49], v[46:47]
	s_delay_alu instid0(VALU_DEP_1) | instskip(NEXT) | instid1(VALU_DEP_1)
	v_fma_f64 v[48:49], -v[44:45], v[46:47], 1.0
	v_fma_f64 v[46:47], v[46:47], v[48:49], v[46:47]
	s_delay_alu instid0(VALU_DEP_1) | instskip(NEXT) | instid1(VALU_DEP_1)
	v_mul_f64 v[48:49], v[50:51], v[46:47]
	v_fma_f64 v[44:45], -v[44:45], v[48:49], v[50:51]
	s_delay_alu instid0(VALU_DEP_1) | instskip(NEXT) | instid1(VALU_DEP_1)
	v_div_fmas_f64 v[44:45], v[44:45], v[46:47], v[48:49]
	v_div_fixup_f64 v[44:45], v[44:45], v[42:43], v[40:41]
	s_delay_alu instid0(VALU_DEP_1) | instskip(NEXT) | instid1(VALU_DEP_1)
	v_fma_f64 v[40:41], v[40:41], v[44:45], v[42:43]
	v_div_scale_f64 v[42:43], null, v[40:41], v[40:41], 1.0
	s_delay_alu instid0(VALU_DEP_1) | instskip(SKIP_2) | instid1(VALU_DEP_1)
	v_rcp_f64_e32 v[46:47], v[42:43]
	s_waitcnt_depctr 0xfff
	v_fma_f64 v[48:49], -v[42:43], v[46:47], 1.0
	v_fma_f64 v[46:47], v[46:47], v[48:49], v[46:47]
	s_delay_alu instid0(VALU_DEP_1) | instskip(NEXT) | instid1(VALU_DEP_1)
	v_fma_f64 v[48:49], -v[42:43], v[46:47], 1.0
	v_fma_f64 v[46:47], v[46:47], v[48:49], v[46:47]
	v_div_scale_f64 v[48:49], vcc_lo, 1.0, v[40:41], 1.0
	s_delay_alu instid0(VALU_DEP_1) | instskip(NEXT) | instid1(VALU_DEP_1)
	v_mul_f64 v[50:51], v[48:49], v[46:47]
	v_fma_f64 v[42:43], -v[42:43], v[50:51], v[48:49]
	s_delay_alu instid0(VALU_DEP_1) | instskip(NEXT) | instid1(VALU_DEP_1)
	v_div_fmas_f64 v[42:43], v[42:43], v[46:47], v[50:51]
	v_div_fixup_f64 v[46:47], v[42:43], v[40:41], 1.0
                                        ; implicit-def: $vgpr40_vgpr41
	s_delay_alu instid0(VALU_DEP_1)
	v_mul_f64 v[48:49], v[44:45], v[46:47]
	v_xor_b32_e32 v47, 0x80000000, v47
.LBB15_23:
	s_and_not1_saveexec_b32 s3, s3
	s_cbranch_execz .LBB15_25
; %bb.24:
	v_div_scale_f64 v[44:45], null, v[40:41], v[40:41], v[42:43]
	v_div_scale_f64 v[50:51], vcc_lo, v[42:43], v[40:41], v[42:43]
	s_delay_alu instid0(VALU_DEP_2) | instskip(SKIP_2) | instid1(VALU_DEP_1)
	v_rcp_f64_e32 v[46:47], v[44:45]
	s_waitcnt_depctr 0xfff
	v_fma_f64 v[48:49], -v[44:45], v[46:47], 1.0
	v_fma_f64 v[46:47], v[46:47], v[48:49], v[46:47]
	s_delay_alu instid0(VALU_DEP_1) | instskip(NEXT) | instid1(VALU_DEP_1)
	v_fma_f64 v[48:49], -v[44:45], v[46:47], 1.0
	v_fma_f64 v[46:47], v[46:47], v[48:49], v[46:47]
	s_delay_alu instid0(VALU_DEP_1) | instskip(NEXT) | instid1(VALU_DEP_1)
	v_mul_f64 v[48:49], v[50:51], v[46:47]
	v_fma_f64 v[44:45], -v[44:45], v[48:49], v[50:51]
	s_delay_alu instid0(VALU_DEP_1) | instskip(NEXT) | instid1(VALU_DEP_1)
	v_div_fmas_f64 v[44:45], v[44:45], v[46:47], v[48:49]
	v_div_fixup_f64 v[44:45], v[44:45], v[40:41], v[42:43]
	s_delay_alu instid0(VALU_DEP_1) | instskip(NEXT) | instid1(VALU_DEP_1)
	v_fma_f64 v[40:41], v[42:43], v[44:45], v[40:41]
	v_div_scale_f64 v[42:43], null, v[40:41], v[40:41], 1.0
	s_delay_alu instid0(VALU_DEP_1) | instskip(SKIP_2) | instid1(VALU_DEP_1)
	v_rcp_f64_e32 v[46:47], v[42:43]
	s_waitcnt_depctr 0xfff
	v_fma_f64 v[48:49], -v[42:43], v[46:47], 1.0
	v_fma_f64 v[46:47], v[46:47], v[48:49], v[46:47]
	s_delay_alu instid0(VALU_DEP_1) | instskip(NEXT) | instid1(VALU_DEP_1)
	v_fma_f64 v[48:49], -v[42:43], v[46:47], 1.0
	v_fma_f64 v[46:47], v[46:47], v[48:49], v[46:47]
	v_div_scale_f64 v[48:49], vcc_lo, 1.0, v[40:41], 1.0
	s_delay_alu instid0(VALU_DEP_1) | instskip(NEXT) | instid1(VALU_DEP_1)
	v_mul_f64 v[50:51], v[48:49], v[46:47]
	v_fma_f64 v[42:43], -v[42:43], v[50:51], v[48:49]
	s_delay_alu instid0(VALU_DEP_1) | instskip(NEXT) | instid1(VALU_DEP_1)
	v_div_fmas_f64 v[42:43], v[42:43], v[46:47], v[50:51]
	v_div_fixup_f64 v[48:49], v[42:43], v[40:41], 1.0
	s_delay_alu instid0(VALU_DEP_1)
	v_mul_f64 v[46:47], v[44:45], -v[48:49]
.LBB15_25:
	s_or_b32 exec_lo, exec_lo, s3
	ds_store_2addr_b64 v85, v[48:49], v[46:47] offset1:1
.LBB15_26:
	s_or_b32 exec_lo, exec_lo, s4
	s_waitcnt lgkmcnt(0)
	s_barrier
	buffer_gl0_inv
	ds_load_2addr_b64 v[40:43], v85 offset1:1
	s_mov_b32 s3, exec_lo
	v_cmpx_lt_u32_e32 2, v84
	s_cbranch_execz .LBB15_28
; %bb.27:
	s_waitcnt lgkmcnt(0)
	v_mul_f64 v[44:45], v[40:41], v[22:23]
	v_mul_f64 v[22:23], v[42:43], v[22:23]
	s_delay_alu instid0(VALU_DEP_2)
	v_fma_f64 v[82:83], v[42:43], v[20:21], v[44:45]
	ds_load_2addr_b64 v[44:47], v86 offset0:6 offset1:7
	ds_load_2addr_b64 v[48:51], v86 offset0:8 offset1:9
	ds_load_2addr_b64 v[52:55], v86 offset0:10 offset1:11
	ds_load_2addr_b64 v[56:59], v86 offset0:12 offset1:13
	ds_load_2addr_b64 v[60:63], v86 offset0:14 offset1:15
	v_fma_f64 v[20:21], v[40:41], v[20:21], -v[22:23]
	s_waitcnt lgkmcnt(4)
	v_mul_f64 v[22:23], v[46:47], v[82:83]
	v_mul_f64 v[87:88], v[44:45], v[82:83]
	s_waitcnt lgkmcnt(3)
	v_mul_f64 v[89:90], v[50:51], v[82:83]
	v_mul_f64 v[91:92], v[48:49], v[82:83]
	;; [unrolled: 3-line block ×5, first 2 shown]
	v_fma_f64 v[22:23], v[44:45], v[20:21], -v[22:23]
	v_fma_f64 v[44:45], v[46:47], v[20:21], v[87:88]
	v_fma_f64 v[46:47], v[48:49], v[20:21], -v[89:90]
	v_fma_f64 v[48:49], v[50:51], v[20:21], v[91:92]
	;; [unrolled: 2-line block ×5, first 2 shown]
	v_add_f64 v[16:17], v[16:17], -v[22:23]
	v_add_f64 v[18:19], v[18:19], -v[44:45]
	;; [unrolled: 1-line block ×10, first 2 shown]
	v_dual_mov_b32 v22, v82 :: v_dual_mov_b32 v23, v83
.LBB15_28:
	s_or_b32 exec_lo, exec_lo, s3
	s_delay_alu instid0(SALU_CYCLE_1)
	s_mov_b32 s4, exec_lo
	s_waitcnt lgkmcnt(0)
	s_barrier
	buffer_gl0_inv
	v_cmpx_eq_u32_e32 3, v84
	s_cbranch_execz .LBB15_35
; %bb.29:
	ds_store_2addr_b64 v85, v[16:17], v[18:19] offset1:1
	ds_store_2addr_b64 v86, v[12:13], v[14:15] offset0:8 offset1:9
	ds_store_2addr_b64 v86, v[8:9], v[10:11] offset0:10 offset1:11
	;; [unrolled: 1-line block ×4, first 2 shown]
	ds_load_2addr_b64 v[44:47], v85 offset1:1
	s_waitcnt lgkmcnt(0)
	v_cmp_neq_f64_e32 vcc_lo, 0, v[44:45]
	v_cmp_neq_f64_e64 s3, 0, v[46:47]
	s_delay_alu instid0(VALU_DEP_1) | instskip(NEXT) | instid1(SALU_CYCLE_1)
	s_or_b32 s3, vcc_lo, s3
	s_and_b32 exec_lo, exec_lo, s3
	s_cbranch_execz .LBB15_35
; %bb.30:
	v_cmp_gt_f64_e32 vcc_lo, 0, v[44:45]
	v_cmp_gt_f64_e64 s3, 0, v[46:47]
	v_xor_b32_e32 v48, 0x80000000, v45
	v_xor_b32_e32 v50, 0x80000000, v47
                                        ; implicit-def: $vgpr52_vgpr53
	s_delay_alu instid0(VALU_DEP_2) | instskip(NEXT) | instid1(VALU_DEP_2)
	v_cndmask_b32_e32 v49, v45, v48, vcc_lo
	v_cndmask_b32_e64 v51, v47, v50, s3
	v_cndmask_b32_e32 v48, v44, v44, vcc_lo
	v_cndmask_b32_e64 v50, v46, v46, s3
	s_mov_b32 s3, exec_lo
	s_delay_alu instid0(VALU_DEP_1)
	v_cmpx_ngt_f64_e32 v[48:49], v[50:51]
	s_xor_b32 s3, exec_lo, s3
                                        ; implicit-def: $vgpr48_vgpr49_vgpr50_vgpr51
	s_cbranch_execz .LBB15_32
; %bb.31:
	v_div_scale_f64 v[48:49], null, v[46:47], v[46:47], v[44:45]
	v_div_scale_f64 v[54:55], vcc_lo, v[44:45], v[46:47], v[44:45]
	s_delay_alu instid0(VALU_DEP_2) | instskip(SKIP_2) | instid1(VALU_DEP_1)
	v_rcp_f64_e32 v[50:51], v[48:49]
	s_waitcnt_depctr 0xfff
	v_fma_f64 v[52:53], -v[48:49], v[50:51], 1.0
	v_fma_f64 v[50:51], v[50:51], v[52:53], v[50:51]
	s_delay_alu instid0(VALU_DEP_1) | instskip(NEXT) | instid1(VALU_DEP_1)
	v_fma_f64 v[52:53], -v[48:49], v[50:51], 1.0
	v_fma_f64 v[50:51], v[50:51], v[52:53], v[50:51]
	s_delay_alu instid0(VALU_DEP_1) | instskip(NEXT) | instid1(VALU_DEP_1)
	v_mul_f64 v[52:53], v[54:55], v[50:51]
	v_fma_f64 v[48:49], -v[48:49], v[52:53], v[54:55]
	s_delay_alu instid0(VALU_DEP_1) | instskip(NEXT) | instid1(VALU_DEP_1)
	v_div_fmas_f64 v[48:49], v[48:49], v[50:51], v[52:53]
	v_div_fixup_f64 v[48:49], v[48:49], v[46:47], v[44:45]
	s_delay_alu instid0(VALU_DEP_1) | instskip(NEXT) | instid1(VALU_DEP_1)
	v_fma_f64 v[44:45], v[44:45], v[48:49], v[46:47]
	v_div_scale_f64 v[46:47], null, v[44:45], v[44:45], 1.0
	s_delay_alu instid0(VALU_DEP_1) | instskip(SKIP_2) | instid1(VALU_DEP_1)
	v_rcp_f64_e32 v[50:51], v[46:47]
	s_waitcnt_depctr 0xfff
	v_fma_f64 v[52:53], -v[46:47], v[50:51], 1.0
	v_fma_f64 v[50:51], v[50:51], v[52:53], v[50:51]
	s_delay_alu instid0(VALU_DEP_1) | instskip(NEXT) | instid1(VALU_DEP_1)
	v_fma_f64 v[52:53], -v[46:47], v[50:51], 1.0
	v_fma_f64 v[50:51], v[50:51], v[52:53], v[50:51]
	v_div_scale_f64 v[52:53], vcc_lo, 1.0, v[44:45], 1.0
	s_delay_alu instid0(VALU_DEP_1) | instskip(NEXT) | instid1(VALU_DEP_1)
	v_mul_f64 v[54:55], v[52:53], v[50:51]
	v_fma_f64 v[46:47], -v[46:47], v[54:55], v[52:53]
	s_delay_alu instid0(VALU_DEP_1) | instskip(NEXT) | instid1(VALU_DEP_1)
	v_div_fmas_f64 v[46:47], v[46:47], v[50:51], v[54:55]
	v_div_fixup_f64 v[50:51], v[46:47], v[44:45], 1.0
                                        ; implicit-def: $vgpr44_vgpr45
	s_delay_alu instid0(VALU_DEP_1)
	v_mul_f64 v[52:53], v[48:49], v[50:51]
	v_xor_b32_e32 v51, 0x80000000, v51
.LBB15_32:
	s_and_not1_saveexec_b32 s3, s3
	s_cbranch_execz .LBB15_34
; %bb.33:
	v_div_scale_f64 v[48:49], null, v[44:45], v[44:45], v[46:47]
	v_div_scale_f64 v[54:55], vcc_lo, v[46:47], v[44:45], v[46:47]
	s_delay_alu instid0(VALU_DEP_2) | instskip(SKIP_2) | instid1(VALU_DEP_1)
	v_rcp_f64_e32 v[50:51], v[48:49]
	s_waitcnt_depctr 0xfff
	v_fma_f64 v[52:53], -v[48:49], v[50:51], 1.0
	v_fma_f64 v[50:51], v[50:51], v[52:53], v[50:51]
	s_delay_alu instid0(VALU_DEP_1) | instskip(NEXT) | instid1(VALU_DEP_1)
	v_fma_f64 v[52:53], -v[48:49], v[50:51], 1.0
	v_fma_f64 v[50:51], v[50:51], v[52:53], v[50:51]
	s_delay_alu instid0(VALU_DEP_1) | instskip(NEXT) | instid1(VALU_DEP_1)
	v_mul_f64 v[52:53], v[54:55], v[50:51]
	v_fma_f64 v[48:49], -v[48:49], v[52:53], v[54:55]
	s_delay_alu instid0(VALU_DEP_1) | instskip(NEXT) | instid1(VALU_DEP_1)
	v_div_fmas_f64 v[48:49], v[48:49], v[50:51], v[52:53]
	v_div_fixup_f64 v[48:49], v[48:49], v[44:45], v[46:47]
	s_delay_alu instid0(VALU_DEP_1) | instskip(NEXT) | instid1(VALU_DEP_1)
	v_fma_f64 v[44:45], v[46:47], v[48:49], v[44:45]
	v_div_scale_f64 v[46:47], null, v[44:45], v[44:45], 1.0
	s_delay_alu instid0(VALU_DEP_1) | instskip(SKIP_2) | instid1(VALU_DEP_1)
	v_rcp_f64_e32 v[50:51], v[46:47]
	s_waitcnt_depctr 0xfff
	v_fma_f64 v[52:53], -v[46:47], v[50:51], 1.0
	v_fma_f64 v[50:51], v[50:51], v[52:53], v[50:51]
	s_delay_alu instid0(VALU_DEP_1) | instskip(NEXT) | instid1(VALU_DEP_1)
	v_fma_f64 v[52:53], -v[46:47], v[50:51], 1.0
	v_fma_f64 v[50:51], v[50:51], v[52:53], v[50:51]
	v_div_scale_f64 v[52:53], vcc_lo, 1.0, v[44:45], 1.0
	s_delay_alu instid0(VALU_DEP_1) | instskip(NEXT) | instid1(VALU_DEP_1)
	v_mul_f64 v[54:55], v[52:53], v[50:51]
	v_fma_f64 v[46:47], -v[46:47], v[54:55], v[52:53]
	s_delay_alu instid0(VALU_DEP_1) | instskip(NEXT) | instid1(VALU_DEP_1)
	v_div_fmas_f64 v[46:47], v[46:47], v[50:51], v[54:55]
	v_div_fixup_f64 v[52:53], v[46:47], v[44:45], 1.0
	s_delay_alu instid0(VALU_DEP_1)
	v_mul_f64 v[50:51], v[48:49], -v[52:53]
.LBB15_34:
	s_or_b32 exec_lo, exec_lo, s3
	ds_store_2addr_b64 v85, v[52:53], v[50:51] offset1:1
.LBB15_35:
	s_or_b32 exec_lo, exec_lo, s4
	s_waitcnt lgkmcnt(0)
	s_barrier
	buffer_gl0_inv
	ds_load_2addr_b64 v[44:47], v85 offset1:1
	s_mov_b32 s3, exec_lo
	v_cmpx_lt_u32_e32 3, v84
	s_cbranch_execz .LBB15_37
; %bb.36:
	s_waitcnt lgkmcnt(0)
	v_mul_f64 v[48:49], v[44:45], v[18:19]
	v_mul_f64 v[18:19], v[46:47], v[18:19]
	s_delay_alu instid0(VALU_DEP_2)
	v_fma_f64 v[82:83], v[46:47], v[16:17], v[48:49]
	ds_load_2addr_b64 v[48:51], v86 offset0:8 offset1:9
	ds_load_2addr_b64 v[52:55], v86 offset0:10 offset1:11
	;; [unrolled: 1-line block ×4, first 2 shown]
	v_fma_f64 v[16:17], v[44:45], v[16:17], -v[18:19]
	s_waitcnt lgkmcnt(3)
	v_mul_f64 v[18:19], v[50:51], v[82:83]
	v_mul_f64 v[87:88], v[48:49], v[82:83]
	s_waitcnt lgkmcnt(2)
	v_mul_f64 v[89:90], v[54:55], v[82:83]
	v_mul_f64 v[91:92], v[52:53], v[82:83]
	;; [unrolled: 3-line block ×4, first 2 shown]
	v_fma_f64 v[18:19], v[48:49], v[16:17], -v[18:19]
	v_fma_f64 v[48:49], v[50:51], v[16:17], v[87:88]
	v_fma_f64 v[50:51], v[52:53], v[16:17], -v[89:90]
	v_fma_f64 v[52:53], v[54:55], v[16:17], v[91:92]
	;; [unrolled: 2-line block ×4, first 2 shown]
	v_add_f64 v[12:13], v[12:13], -v[18:19]
	v_add_f64 v[14:15], v[14:15], -v[48:49]
	;; [unrolled: 1-line block ×8, first 2 shown]
	v_dual_mov_b32 v18, v82 :: v_dual_mov_b32 v19, v83
.LBB15_37:
	s_or_b32 exec_lo, exec_lo, s3
	s_delay_alu instid0(SALU_CYCLE_1)
	s_mov_b32 s4, exec_lo
	s_waitcnt lgkmcnt(0)
	s_barrier
	buffer_gl0_inv
	v_cmpx_eq_u32_e32 4, v84
	s_cbranch_execz .LBB15_44
; %bb.38:
	ds_store_2addr_b64 v85, v[12:13], v[14:15] offset1:1
	ds_store_2addr_b64 v86, v[8:9], v[10:11] offset0:10 offset1:11
	ds_store_2addr_b64 v86, v[4:5], v[6:7] offset0:12 offset1:13
	;; [unrolled: 1-line block ×3, first 2 shown]
	ds_load_2addr_b64 v[48:51], v85 offset1:1
	s_waitcnt lgkmcnt(0)
	v_cmp_neq_f64_e32 vcc_lo, 0, v[48:49]
	v_cmp_neq_f64_e64 s3, 0, v[50:51]
	s_delay_alu instid0(VALU_DEP_1) | instskip(NEXT) | instid1(SALU_CYCLE_1)
	s_or_b32 s3, vcc_lo, s3
	s_and_b32 exec_lo, exec_lo, s3
	s_cbranch_execz .LBB15_44
; %bb.39:
	v_cmp_gt_f64_e32 vcc_lo, 0, v[48:49]
	v_cmp_gt_f64_e64 s3, 0, v[50:51]
	v_xor_b32_e32 v52, 0x80000000, v49
	v_xor_b32_e32 v54, 0x80000000, v51
                                        ; implicit-def: $vgpr56_vgpr57
	s_delay_alu instid0(VALU_DEP_2) | instskip(NEXT) | instid1(VALU_DEP_2)
	v_cndmask_b32_e32 v53, v49, v52, vcc_lo
	v_cndmask_b32_e64 v55, v51, v54, s3
	v_cndmask_b32_e32 v52, v48, v48, vcc_lo
	v_cndmask_b32_e64 v54, v50, v50, s3
	s_mov_b32 s3, exec_lo
	s_delay_alu instid0(VALU_DEP_1)
	v_cmpx_ngt_f64_e32 v[52:53], v[54:55]
	s_xor_b32 s3, exec_lo, s3
                                        ; implicit-def: $vgpr52_vgpr53_vgpr54_vgpr55
	s_cbranch_execz .LBB15_41
; %bb.40:
	v_div_scale_f64 v[52:53], null, v[50:51], v[50:51], v[48:49]
	v_div_scale_f64 v[58:59], vcc_lo, v[48:49], v[50:51], v[48:49]
	s_delay_alu instid0(VALU_DEP_2) | instskip(SKIP_2) | instid1(VALU_DEP_1)
	v_rcp_f64_e32 v[54:55], v[52:53]
	s_waitcnt_depctr 0xfff
	v_fma_f64 v[56:57], -v[52:53], v[54:55], 1.0
	v_fma_f64 v[54:55], v[54:55], v[56:57], v[54:55]
	s_delay_alu instid0(VALU_DEP_1) | instskip(NEXT) | instid1(VALU_DEP_1)
	v_fma_f64 v[56:57], -v[52:53], v[54:55], 1.0
	v_fma_f64 v[54:55], v[54:55], v[56:57], v[54:55]
	s_delay_alu instid0(VALU_DEP_1) | instskip(NEXT) | instid1(VALU_DEP_1)
	v_mul_f64 v[56:57], v[58:59], v[54:55]
	v_fma_f64 v[52:53], -v[52:53], v[56:57], v[58:59]
	s_delay_alu instid0(VALU_DEP_1) | instskip(NEXT) | instid1(VALU_DEP_1)
	v_div_fmas_f64 v[52:53], v[52:53], v[54:55], v[56:57]
	v_div_fixup_f64 v[52:53], v[52:53], v[50:51], v[48:49]
	s_delay_alu instid0(VALU_DEP_1) | instskip(NEXT) | instid1(VALU_DEP_1)
	v_fma_f64 v[48:49], v[48:49], v[52:53], v[50:51]
	v_div_scale_f64 v[50:51], null, v[48:49], v[48:49], 1.0
	s_delay_alu instid0(VALU_DEP_1) | instskip(SKIP_2) | instid1(VALU_DEP_1)
	v_rcp_f64_e32 v[54:55], v[50:51]
	s_waitcnt_depctr 0xfff
	v_fma_f64 v[56:57], -v[50:51], v[54:55], 1.0
	v_fma_f64 v[54:55], v[54:55], v[56:57], v[54:55]
	s_delay_alu instid0(VALU_DEP_1) | instskip(NEXT) | instid1(VALU_DEP_1)
	v_fma_f64 v[56:57], -v[50:51], v[54:55], 1.0
	v_fma_f64 v[54:55], v[54:55], v[56:57], v[54:55]
	v_div_scale_f64 v[56:57], vcc_lo, 1.0, v[48:49], 1.0
	s_delay_alu instid0(VALU_DEP_1) | instskip(NEXT) | instid1(VALU_DEP_1)
	v_mul_f64 v[58:59], v[56:57], v[54:55]
	v_fma_f64 v[50:51], -v[50:51], v[58:59], v[56:57]
	s_delay_alu instid0(VALU_DEP_1) | instskip(NEXT) | instid1(VALU_DEP_1)
	v_div_fmas_f64 v[50:51], v[50:51], v[54:55], v[58:59]
	v_div_fixup_f64 v[54:55], v[50:51], v[48:49], 1.0
                                        ; implicit-def: $vgpr48_vgpr49
	s_delay_alu instid0(VALU_DEP_1)
	v_mul_f64 v[56:57], v[52:53], v[54:55]
	v_xor_b32_e32 v55, 0x80000000, v55
.LBB15_41:
	s_and_not1_saveexec_b32 s3, s3
	s_cbranch_execz .LBB15_43
; %bb.42:
	v_div_scale_f64 v[52:53], null, v[48:49], v[48:49], v[50:51]
	v_div_scale_f64 v[58:59], vcc_lo, v[50:51], v[48:49], v[50:51]
	s_delay_alu instid0(VALU_DEP_2) | instskip(SKIP_2) | instid1(VALU_DEP_1)
	v_rcp_f64_e32 v[54:55], v[52:53]
	s_waitcnt_depctr 0xfff
	v_fma_f64 v[56:57], -v[52:53], v[54:55], 1.0
	v_fma_f64 v[54:55], v[54:55], v[56:57], v[54:55]
	s_delay_alu instid0(VALU_DEP_1) | instskip(NEXT) | instid1(VALU_DEP_1)
	v_fma_f64 v[56:57], -v[52:53], v[54:55], 1.0
	v_fma_f64 v[54:55], v[54:55], v[56:57], v[54:55]
	s_delay_alu instid0(VALU_DEP_1) | instskip(NEXT) | instid1(VALU_DEP_1)
	v_mul_f64 v[56:57], v[58:59], v[54:55]
	v_fma_f64 v[52:53], -v[52:53], v[56:57], v[58:59]
	s_delay_alu instid0(VALU_DEP_1) | instskip(NEXT) | instid1(VALU_DEP_1)
	v_div_fmas_f64 v[52:53], v[52:53], v[54:55], v[56:57]
	v_div_fixup_f64 v[52:53], v[52:53], v[48:49], v[50:51]
	s_delay_alu instid0(VALU_DEP_1) | instskip(NEXT) | instid1(VALU_DEP_1)
	v_fma_f64 v[48:49], v[50:51], v[52:53], v[48:49]
	v_div_scale_f64 v[50:51], null, v[48:49], v[48:49], 1.0
	s_delay_alu instid0(VALU_DEP_1) | instskip(SKIP_2) | instid1(VALU_DEP_1)
	v_rcp_f64_e32 v[54:55], v[50:51]
	s_waitcnt_depctr 0xfff
	v_fma_f64 v[56:57], -v[50:51], v[54:55], 1.0
	v_fma_f64 v[54:55], v[54:55], v[56:57], v[54:55]
	s_delay_alu instid0(VALU_DEP_1) | instskip(NEXT) | instid1(VALU_DEP_1)
	v_fma_f64 v[56:57], -v[50:51], v[54:55], 1.0
	v_fma_f64 v[54:55], v[54:55], v[56:57], v[54:55]
	v_div_scale_f64 v[56:57], vcc_lo, 1.0, v[48:49], 1.0
	s_delay_alu instid0(VALU_DEP_1) | instskip(NEXT) | instid1(VALU_DEP_1)
	v_mul_f64 v[58:59], v[56:57], v[54:55]
	v_fma_f64 v[50:51], -v[50:51], v[58:59], v[56:57]
	s_delay_alu instid0(VALU_DEP_1) | instskip(NEXT) | instid1(VALU_DEP_1)
	v_div_fmas_f64 v[50:51], v[50:51], v[54:55], v[58:59]
	v_div_fixup_f64 v[56:57], v[50:51], v[48:49], 1.0
	s_delay_alu instid0(VALU_DEP_1)
	v_mul_f64 v[54:55], v[52:53], -v[56:57]
.LBB15_43:
	s_or_b32 exec_lo, exec_lo, s3
	ds_store_2addr_b64 v85, v[56:57], v[54:55] offset1:1
.LBB15_44:
	s_or_b32 exec_lo, exec_lo, s4
	s_waitcnt lgkmcnt(0)
	s_barrier
	buffer_gl0_inv
	ds_load_2addr_b64 v[48:51], v85 offset1:1
	s_mov_b32 s3, exec_lo
	v_cmpx_lt_u32_e32 4, v84
	s_cbranch_execz .LBB15_46
; %bb.45:
	s_waitcnt lgkmcnt(0)
	v_mul_f64 v[52:53], v[48:49], v[14:15]
	v_mul_f64 v[14:15], v[50:51], v[14:15]
	s_delay_alu instid0(VALU_DEP_2)
	v_fma_f64 v[82:83], v[50:51], v[12:13], v[52:53]
	ds_load_2addr_b64 v[52:55], v86 offset0:10 offset1:11
	ds_load_2addr_b64 v[56:59], v86 offset0:12 offset1:13
	;; [unrolled: 1-line block ×3, first 2 shown]
	v_fma_f64 v[12:13], v[48:49], v[12:13], -v[14:15]
	s_waitcnt lgkmcnt(2)
	v_mul_f64 v[14:15], v[54:55], v[82:83]
	v_mul_f64 v[87:88], v[52:53], v[82:83]
	s_waitcnt lgkmcnt(1)
	v_mul_f64 v[89:90], v[58:59], v[82:83]
	v_mul_f64 v[91:92], v[56:57], v[82:83]
	;; [unrolled: 3-line block ×3, first 2 shown]
	v_fma_f64 v[14:15], v[52:53], v[12:13], -v[14:15]
	v_fma_f64 v[52:53], v[54:55], v[12:13], v[87:88]
	v_fma_f64 v[54:55], v[56:57], v[12:13], -v[89:90]
	v_fma_f64 v[56:57], v[58:59], v[12:13], v[91:92]
	;; [unrolled: 2-line block ×3, first 2 shown]
	v_add_f64 v[8:9], v[8:9], -v[14:15]
	v_add_f64 v[10:11], v[10:11], -v[52:53]
	;; [unrolled: 1-line block ×6, first 2 shown]
	v_dual_mov_b32 v14, v82 :: v_dual_mov_b32 v15, v83
.LBB15_46:
	s_or_b32 exec_lo, exec_lo, s3
	s_delay_alu instid0(SALU_CYCLE_1)
	s_mov_b32 s4, exec_lo
	s_waitcnt lgkmcnt(0)
	s_barrier
	buffer_gl0_inv
	v_cmpx_eq_u32_e32 5, v84
	s_cbranch_execz .LBB15_53
; %bb.47:
	ds_store_2addr_b64 v85, v[8:9], v[10:11] offset1:1
	ds_store_2addr_b64 v86, v[4:5], v[6:7] offset0:12 offset1:13
	ds_store_2addr_b64 v86, v[0:1], v[2:3] offset0:14 offset1:15
	ds_load_2addr_b64 v[52:55], v85 offset1:1
	s_waitcnt lgkmcnt(0)
	v_cmp_neq_f64_e32 vcc_lo, 0, v[52:53]
	v_cmp_neq_f64_e64 s3, 0, v[54:55]
	s_delay_alu instid0(VALU_DEP_1) | instskip(NEXT) | instid1(SALU_CYCLE_1)
	s_or_b32 s3, vcc_lo, s3
	s_and_b32 exec_lo, exec_lo, s3
	s_cbranch_execz .LBB15_53
; %bb.48:
	v_cmp_gt_f64_e32 vcc_lo, 0, v[52:53]
	v_cmp_gt_f64_e64 s3, 0, v[54:55]
	v_xor_b32_e32 v56, 0x80000000, v53
	v_xor_b32_e32 v58, 0x80000000, v55
                                        ; implicit-def: $vgpr60_vgpr61
	s_delay_alu instid0(VALU_DEP_2) | instskip(NEXT) | instid1(VALU_DEP_2)
	v_cndmask_b32_e32 v57, v53, v56, vcc_lo
	v_cndmask_b32_e64 v59, v55, v58, s3
	v_cndmask_b32_e32 v56, v52, v52, vcc_lo
	v_cndmask_b32_e64 v58, v54, v54, s3
	s_mov_b32 s3, exec_lo
	s_delay_alu instid0(VALU_DEP_1)
	v_cmpx_ngt_f64_e32 v[56:57], v[58:59]
	s_xor_b32 s3, exec_lo, s3
                                        ; implicit-def: $vgpr56_vgpr57_vgpr58_vgpr59
	s_cbranch_execz .LBB15_50
; %bb.49:
	v_div_scale_f64 v[56:57], null, v[54:55], v[54:55], v[52:53]
	v_div_scale_f64 v[62:63], vcc_lo, v[52:53], v[54:55], v[52:53]
	s_delay_alu instid0(VALU_DEP_2) | instskip(SKIP_2) | instid1(VALU_DEP_1)
	v_rcp_f64_e32 v[58:59], v[56:57]
	s_waitcnt_depctr 0xfff
	v_fma_f64 v[60:61], -v[56:57], v[58:59], 1.0
	v_fma_f64 v[58:59], v[58:59], v[60:61], v[58:59]
	s_delay_alu instid0(VALU_DEP_1) | instskip(NEXT) | instid1(VALU_DEP_1)
	v_fma_f64 v[60:61], -v[56:57], v[58:59], 1.0
	v_fma_f64 v[58:59], v[58:59], v[60:61], v[58:59]
	s_delay_alu instid0(VALU_DEP_1) | instskip(NEXT) | instid1(VALU_DEP_1)
	v_mul_f64 v[60:61], v[62:63], v[58:59]
	v_fma_f64 v[56:57], -v[56:57], v[60:61], v[62:63]
	s_delay_alu instid0(VALU_DEP_1) | instskip(NEXT) | instid1(VALU_DEP_1)
	v_div_fmas_f64 v[56:57], v[56:57], v[58:59], v[60:61]
	v_div_fixup_f64 v[56:57], v[56:57], v[54:55], v[52:53]
	s_delay_alu instid0(VALU_DEP_1) | instskip(NEXT) | instid1(VALU_DEP_1)
	v_fma_f64 v[52:53], v[52:53], v[56:57], v[54:55]
	v_div_scale_f64 v[54:55], null, v[52:53], v[52:53], 1.0
	s_delay_alu instid0(VALU_DEP_1) | instskip(SKIP_2) | instid1(VALU_DEP_1)
	v_rcp_f64_e32 v[58:59], v[54:55]
	s_waitcnt_depctr 0xfff
	v_fma_f64 v[60:61], -v[54:55], v[58:59], 1.0
	v_fma_f64 v[58:59], v[58:59], v[60:61], v[58:59]
	s_delay_alu instid0(VALU_DEP_1) | instskip(NEXT) | instid1(VALU_DEP_1)
	v_fma_f64 v[60:61], -v[54:55], v[58:59], 1.0
	v_fma_f64 v[58:59], v[58:59], v[60:61], v[58:59]
	v_div_scale_f64 v[60:61], vcc_lo, 1.0, v[52:53], 1.0
	s_delay_alu instid0(VALU_DEP_1) | instskip(NEXT) | instid1(VALU_DEP_1)
	v_mul_f64 v[62:63], v[60:61], v[58:59]
	v_fma_f64 v[54:55], -v[54:55], v[62:63], v[60:61]
	s_delay_alu instid0(VALU_DEP_1) | instskip(NEXT) | instid1(VALU_DEP_1)
	v_div_fmas_f64 v[54:55], v[54:55], v[58:59], v[62:63]
	v_div_fixup_f64 v[58:59], v[54:55], v[52:53], 1.0
                                        ; implicit-def: $vgpr52_vgpr53
	s_delay_alu instid0(VALU_DEP_1)
	v_mul_f64 v[60:61], v[56:57], v[58:59]
	v_xor_b32_e32 v59, 0x80000000, v59
.LBB15_50:
	s_and_not1_saveexec_b32 s3, s3
	s_cbranch_execz .LBB15_52
; %bb.51:
	v_div_scale_f64 v[56:57], null, v[52:53], v[52:53], v[54:55]
	v_div_scale_f64 v[62:63], vcc_lo, v[54:55], v[52:53], v[54:55]
	s_delay_alu instid0(VALU_DEP_2) | instskip(SKIP_2) | instid1(VALU_DEP_1)
	v_rcp_f64_e32 v[58:59], v[56:57]
	s_waitcnt_depctr 0xfff
	v_fma_f64 v[60:61], -v[56:57], v[58:59], 1.0
	v_fma_f64 v[58:59], v[58:59], v[60:61], v[58:59]
	s_delay_alu instid0(VALU_DEP_1) | instskip(NEXT) | instid1(VALU_DEP_1)
	v_fma_f64 v[60:61], -v[56:57], v[58:59], 1.0
	v_fma_f64 v[58:59], v[58:59], v[60:61], v[58:59]
	s_delay_alu instid0(VALU_DEP_1) | instskip(NEXT) | instid1(VALU_DEP_1)
	v_mul_f64 v[60:61], v[62:63], v[58:59]
	v_fma_f64 v[56:57], -v[56:57], v[60:61], v[62:63]
	s_delay_alu instid0(VALU_DEP_1) | instskip(NEXT) | instid1(VALU_DEP_1)
	v_div_fmas_f64 v[56:57], v[56:57], v[58:59], v[60:61]
	v_div_fixup_f64 v[56:57], v[56:57], v[52:53], v[54:55]
	s_delay_alu instid0(VALU_DEP_1) | instskip(NEXT) | instid1(VALU_DEP_1)
	v_fma_f64 v[52:53], v[54:55], v[56:57], v[52:53]
	v_div_scale_f64 v[54:55], null, v[52:53], v[52:53], 1.0
	s_delay_alu instid0(VALU_DEP_1) | instskip(SKIP_2) | instid1(VALU_DEP_1)
	v_rcp_f64_e32 v[58:59], v[54:55]
	s_waitcnt_depctr 0xfff
	v_fma_f64 v[60:61], -v[54:55], v[58:59], 1.0
	v_fma_f64 v[58:59], v[58:59], v[60:61], v[58:59]
	s_delay_alu instid0(VALU_DEP_1) | instskip(NEXT) | instid1(VALU_DEP_1)
	v_fma_f64 v[60:61], -v[54:55], v[58:59], 1.0
	v_fma_f64 v[58:59], v[58:59], v[60:61], v[58:59]
	v_div_scale_f64 v[60:61], vcc_lo, 1.0, v[52:53], 1.0
	s_delay_alu instid0(VALU_DEP_1) | instskip(NEXT) | instid1(VALU_DEP_1)
	v_mul_f64 v[62:63], v[60:61], v[58:59]
	v_fma_f64 v[54:55], -v[54:55], v[62:63], v[60:61]
	s_delay_alu instid0(VALU_DEP_1) | instskip(NEXT) | instid1(VALU_DEP_1)
	v_div_fmas_f64 v[54:55], v[54:55], v[58:59], v[62:63]
	v_div_fixup_f64 v[60:61], v[54:55], v[52:53], 1.0
	s_delay_alu instid0(VALU_DEP_1)
	v_mul_f64 v[58:59], v[56:57], -v[60:61]
.LBB15_52:
	s_or_b32 exec_lo, exec_lo, s3
	ds_store_2addr_b64 v85, v[60:61], v[58:59] offset1:1
.LBB15_53:
	s_or_b32 exec_lo, exec_lo, s4
	s_waitcnt lgkmcnt(0)
	s_barrier
	buffer_gl0_inv
	ds_load_2addr_b64 v[52:55], v85 offset1:1
	s_mov_b32 s3, exec_lo
	v_cmpx_lt_u32_e32 5, v84
	s_cbranch_execz .LBB15_55
; %bb.54:
	s_waitcnt lgkmcnt(0)
	v_mul_f64 v[56:57], v[52:53], v[10:11]
	v_mul_f64 v[10:11], v[54:55], v[10:11]
	s_delay_alu instid0(VALU_DEP_2)
	v_fma_f64 v[82:83], v[54:55], v[8:9], v[56:57]
	ds_load_2addr_b64 v[56:59], v86 offset0:12 offset1:13
	ds_load_2addr_b64 v[60:63], v86 offset0:14 offset1:15
	v_fma_f64 v[8:9], v[52:53], v[8:9], -v[10:11]
	s_waitcnt lgkmcnt(1)
	v_mul_f64 v[10:11], v[58:59], v[82:83]
	v_mul_f64 v[87:88], v[56:57], v[82:83]
	s_waitcnt lgkmcnt(0)
	v_mul_f64 v[89:90], v[62:63], v[82:83]
	v_mul_f64 v[91:92], v[60:61], v[82:83]
	s_delay_alu instid0(VALU_DEP_4) | instskip(NEXT) | instid1(VALU_DEP_4)
	v_fma_f64 v[10:11], v[56:57], v[8:9], -v[10:11]
	v_fma_f64 v[56:57], v[58:59], v[8:9], v[87:88]
	s_delay_alu instid0(VALU_DEP_4) | instskip(NEXT) | instid1(VALU_DEP_4)
	v_fma_f64 v[58:59], v[60:61], v[8:9], -v[89:90]
	v_fma_f64 v[60:61], v[62:63], v[8:9], v[91:92]
	s_delay_alu instid0(VALU_DEP_4) | instskip(NEXT) | instid1(VALU_DEP_4)
	v_add_f64 v[4:5], v[4:5], -v[10:11]
	v_add_f64 v[6:7], v[6:7], -v[56:57]
	s_delay_alu instid0(VALU_DEP_4) | instskip(NEXT) | instid1(VALU_DEP_4)
	v_add_f64 v[0:1], v[0:1], -v[58:59]
	v_add_f64 v[2:3], v[2:3], -v[60:61]
	v_dual_mov_b32 v10, v82 :: v_dual_mov_b32 v11, v83
.LBB15_55:
	s_or_b32 exec_lo, exec_lo, s3
	s_delay_alu instid0(SALU_CYCLE_1)
	s_mov_b32 s4, exec_lo
	s_waitcnt lgkmcnt(0)
	s_barrier
	buffer_gl0_inv
	v_cmpx_eq_u32_e32 6, v84
	s_cbranch_execz .LBB15_62
; %bb.56:
	ds_store_2addr_b64 v85, v[4:5], v[6:7] offset1:1
	ds_store_2addr_b64 v86, v[0:1], v[2:3] offset0:14 offset1:15
	ds_load_2addr_b64 v[56:59], v85 offset1:1
	s_waitcnt lgkmcnt(0)
	v_cmp_neq_f64_e32 vcc_lo, 0, v[56:57]
	v_cmp_neq_f64_e64 s3, 0, v[58:59]
	s_delay_alu instid0(VALU_DEP_1) | instskip(NEXT) | instid1(SALU_CYCLE_1)
	s_or_b32 s3, vcc_lo, s3
	s_and_b32 exec_lo, exec_lo, s3
	s_cbranch_execz .LBB15_62
; %bb.57:
	v_cmp_gt_f64_e32 vcc_lo, 0, v[56:57]
	v_cmp_gt_f64_e64 s3, 0, v[58:59]
	v_xor_b32_e32 v60, 0x80000000, v57
	v_xor_b32_e32 v62, 0x80000000, v59
                                        ; implicit-def: $vgpr82_vgpr83
	s_delay_alu instid0(VALU_DEP_2) | instskip(NEXT) | instid1(VALU_DEP_2)
	v_cndmask_b32_e32 v61, v57, v60, vcc_lo
	v_cndmask_b32_e64 v63, v59, v62, s3
	v_cndmask_b32_e32 v60, v56, v56, vcc_lo
	v_cndmask_b32_e64 v62, v58, v58, s3
	s_mov_b32 s3, exec_lo
	s_delay_alu instid0(VALU_DEP_1)
	v_cmpx_ngt_f64_e32 v[60:61], v[62:63]
	s_xor_b32 s3, exec_lo, s3
                                        ; implicit-def: $vgpr60_vgpr61_vgpr62_vgpr63
	s_cbranch_execz .LBB15_59
; %bb.58:
	v_div_scale_f64 v[60:61], null, v[58:59], v[58:59], v[56:57]
	v_div_scale_f64 v[87:88], vcc_lo, v[56:57], v[58:59], v[56:57]
	s_delay_alu instid0(VALU_DEP_2) | instskip(SKIP_2) | instid1(VALU_DEP_1)
	v_rcp_f64_e32 v[62:63], v[60:61]
	s_waitcnt_depctr 0xfff
	v_fma_f64 v[82:83], -v[60:61], v[62:63], 1.0
	v_fma_f64 v[62:63], v[62:63], v[82:83], v[62:63]
	s_delay_alu instid0(VALU_DEP_1) | instskip(NEXT) | instid1(VALU_DEP_1)
	v_fma_f64 v[82:83], -v[60:61], v[62:63], 1.0
	v_fma_f64 v[62:63], v[62:63], v[82:83], v[62:63]
	s_delay_alu instid0(VALU_DEP_1) | instskip(NEXT) | instid1(VALU_DEP_1)
	v_mul_f64 v[82:83], v[87:88], v[62:63]
	v_fma_f64 v[60:61], -v[60:61], v[82:83], v[87:88]
	s_delay_alu instid0(VALU_DEP_1) | instskip(NEXT) | instid1(VALU_DEP_1)
	v_div_fmas_f64 v[60:61], v[60:61], v[62:63], v[82:83]
	v_div_fixup_f64 v[60:61], v[60:61], v[58:59], v[56:57]
	s_delay_alu instid0(VALU_DEP_1) | instskip(NEXT) | instid1(VALU_DEP_1)
	v_fma_f64 v[56:57], v[56:57], v[60:61], v[58:59]
	v_div_scale_f64 v[58:59], null, v[56:57], v[56:57], 1.0
	s_delay_alu instid0(VALU_DEP_1) | instskip(SKIP_2) | instid1(VALU_DEP_1)
	v_rcp_f64_e32 v[62:63], v[58:59]
	s_waitcnt_depctr 0xfff
	v_fma_f64 v[82:83], -v[58:59], v[62:63], 1.0
	v_fma_f64 v[62:63], v[62:63], v[82:83], v[62:63]
	s_delay_alu instid0(VALU_DEP_1) | instskip(NEXT) | instid1(VALU_DEP_1)
	v_fma_f64 v[82:83], -v[58:59], v[62:63], 1.0
	v_fma_f64 v[62:63], v[62:63], v[82:83], v[62:63]
	v_div_scale_f64 v[82:83], vcc_lo, 1.0, v[56:57], 1.0
	s_delay_alu instid0(VALU_DEP_1) | instskip(NEXT) | instid1(VALU_DEP_1)
	v_mul_f64 v[87:88], v[82:83], v[62:63]
	v_fma_f64 v[58:59], -v[58:59], v[87:88], v[82:83]
	s_delay_alu instid0(VALU_DEP_1) | instskip(NEXT) | instid1(VALU_DEP_1)
	v_div_fmas_f64 v[58:59], v[58:59], v[62:63], v[87:88]
	v_div_fixup_f64 v[62:63], v[58:59], v[56:57], 1.0
                                        ; implicit-def: $vgpr56_vgpr57
	s_delay_alu instid0(VALU_DEP_1)
	v_mul_f64 v[82:83], v[60:61], v[62:63]
	v_xor_b32_e32 v63, 0x80000000, v63
.LBB15_59:
	s_and_not1_saveexec_b32 s3, s3
	s_cbranch_execz .LBB15_61
; %bb.60:
	v_div_scale_f64 v[60:61], null, v[56:57], v[56:57], v[58:59]
	v_div_scale_f64 v[87:88], vcc_lo, v[58:59], v[56:57], v[58:59]
	s_delay_alu instid0(VALU_DEP_2) | instskip(SKIP_2) | instid1(VALU_DEP_1)
	v_rcp_f64_e32 v[62:63], v[60:61]
	s_waitcnt_depctr 0xfff
	v_fma_f64 v[82:83], -v[60:61], v[62:63], 1.0
	v_fma_f64 v[62:63], v[62:63], v[82:83], v[62:63]
	s_delay_alu instid0(VALU_DEP_1) | instskip(NEXT) | instid1(VALU_DEP_1)
	v_fma_f64 v[82:83], -v[60:61], v[62:63], 1.0
	v_fma_f64 v[62:63], v[62:63], v[82:83], v[62:63]
	s_delay_alu instid0(VALU_DEP_1) | instskip(NEXT) | instid1(VALU_DEP_1)
	v_mul_f64 v[82:83], v[87:88], v[62:63]
	v_fma_f64 v[60:61], -v[60:61], v[82:83], v[87:88]
	s_delay_alu instid0(VALU_DEP_1) | instskip(NEXT) | instid1(VALU_DEP_1)
	v_div_fmas_f64 v[60:61], v[60:61], v[62:63], v[82:83]
	v_div_fixup_f64 v[60:61], v[60:61], v[56:57], v[58:59]
	s_delay_alu instid0(VALU_DEP_1) | instskip(NEXT) | instid1(VALU_DEP_1)
	v_fma_f64 v[56:57], v[58:59], v[60:61], v[56:57]
	v_div_scale_f64 v[58:59], null, v[56:57], v[56:57], 1.0
	s_delay_alu instid0(VALU_DEP_1) | instskip(SKIP_2) | instid1(VALU_DEP_1)
	v_rcp_f64_e32 v[62:63], v[58:59]
	s_waitcnt_depctr 0xfff
	v_fma_f64 v[82:83], -v[58:59], v[62:63], 1.0
	v_fma_f64 v[62:63], v[62:63], v[82:83], v[62:63]
	s_delay_alu instid0(VALU_DEP_1) | instskip(NEXT) | instid1(VALU_DEP_1)
	v_fma_f64 v[82:83], -v[58:59], v[62:63], 1.0
	v_fma_f64 v[62:63], v[62:63], v[82:83], v[62:63]
	v_div_scale_f64 v[82:83], vcc_lo, 1.0, v[56:57], 1.0
	s_delay_alu instid0(VALU_DEP_1) | instskip(NEXT) | instid1(VALU_DEP_1)
	v_mul_f64 v[87:88], v[82:83], v[62:63]
	v_fma_f64 v[58:59], -v[58:59], v[87:88], v[82:83]
	s_delay_alu instid0(VALU_DEP_1) | instskip(NEXT) | instid1(VALU_DEP_1)
	v_div_fmas_f64 v[58:59], v[58:59], v[62:63], v[87:88]
	v_div_fixup_f64 v[82:83], v[58:59], v[56:57], 1.0
	s_delay_alu instid0(VALU_DEP_1)
	v_mul_f64 v[62:63], v[60:61], -v[82:83]
.LBB15_61:
	s_or_b32 exec_lo, exec_lo, s3
	ds_store_2addr_b64 v85, v[82:83], v[62:63] offset1:1
.LBB15_62:
	s_or_b32 exec_lo, exec_lo, s4
	s_waitcnt lgkmcnt(0)
	s_barrier
	buffer_gl0_inv
	ds_load_2addr_b64 v[56:59], v85 offset1:1
	s_mov_b32 s3, exec_lo
	v_cmpx_lt_u32_e32 6, v84
	s_cbranch_execz .LBB15_64
; %bb.63:
	s_waitcnt lgkmcnt(0)
	v_mul_f64 v[60:61], v[56:57], v[6:7]
	v_mul_f64 v[6:7], v[58:59], v[6:7]
	s_delay_alu instid0(VALU_DEP_2)
	v_fma_f64 v[82:83], v[58:59], v[4:5], v[60:61]
	ds_load_2addr_b64 v[60:63], v86 offset0:14 offset1:15
	v_fma_f64 v[4:5], v[56:57], v[4:5], -v[6:7]
	s_waitcnt lgkmcnt(0)
	v_mul_f64 v[6:7], v[62:63], v[82:83]
	v_mul_f64 v[86:87], v[60:61], v[82:83]
	s_delay_alu instid0(VALU_DEP_2) | instskip(NEXT) | instid1(VALU_DEP_2)
	v_fma_f64 v[6:7], v[60:61], v[4:5], -v[6:7]
	v_fma_f64 v[60:61], v[62:63], v[4:5], v[86:87]
	s_delay_alu instid0(VALU_DEP_2) | instskip(NEXT) | instid1(VALU_DEP_2)
	v_add_f64 v[0:1], v[0:1], -v[6:7]
	v_add_f64 v[2:3], v[2:3], -v[60:61]
	v_dual_mov_b32 v6, v82 :: v_dual_mov_b32 v7, v83
.LBB15_64:
	s_or_b32 exec_lo, exec_lo, s3
	s_delay_alu instid0(SALU_CYCLE_1)
	s_mov_b32 s4, exec_lo
	s_waitcnt lgkmcnt(0)
	s_barrier
	buffer_gl0_inv
	v_cmpx_eq_u32_e32 7, v84
	s_cbranch_execz .LBB15_71
; %bb.65:
	v_cmp_neq_f64_e32 vcc_lo, 0, v[0:1]
	v_cmp_neq_f64_e64 s3, 0, v[2:3]
	ds_store_2addr_b64 v85, v[0:1], v[2:3] offset1:1
	s_or_b32 s3, vcc_lo, s3
	s_delay_alu instid0(SALU_CYCLE_1)
	s_and_b32 exec_lo, exec_lo, s3
	s_cbranch_execz .LBB15_71
; %bb.66:
	v_cmp_gt_f64_e32 vcc_lo, 0, v[0:1]
	v_cmp_gt_f64_e64 s3, 0, v[2:3]
	v_xor_b32_e32 v60, 0x80000000, v1
	v_xor_b32_e32 v62, 0x80000000, v3
                                        ; implicit-def: $vgpr82_vgpr83
	s_delay_alu instid0(VALU_DEP_2) | instskip(NEXT) | instid1(VALU_DEP_2)
	v_cndmask_b32_e32 v61, v1, v60, vcc_lo
	v_cndmask_b32_e64 v63, v3, v62, s3
	v_cndmask_b32_e32 v60, v0, v0, vcc_lo
	v_cndmask_b32_e64 v62, v2, v2, s3
	s_mov_b32 s3, exec_lo
	s_delay_alu instid0(VALU_DEP_1)
	v_cmpx_ngt_f64_e32 v[60:61], v[62:63]
	s_xor_b32 s3, exec_lo, s3
                                        ; implicit-def: $vgpr60_vgpr61_vgpr62_vgpr63
	s_cbranch_execz .LBB15_68
; %bb.67:
	v_div_scale_f64 v[60:61], null, v[2:3], v[2:3], v[0:1]
	v_div_scale_f64 v[86:87], vcc_lo, v[0:1], v[2:3], v[0:1]
	s_delay_alu instid0(VALU_DEP_2) | instskip(SKIP_2) | instid1(VALU_DEP_1)
	v_rcp_f64_e32 v[62:63], v[60:61]
	s_waitcnt_depctr 0xfff
	v_fma_f64 v[82:83], -v[60:61], v[62:63], 1.0
	v_fma_f64 v[62:63], v[62:63], v[82:83], v[62:63]
	s_delay_alu instid0(VALU_DEP_1) | instskip(NEXT) | instid1(VALU_DEP_1)
	v_fma_f64 v[82:83], -v[60:61], v[62:63], 1.0
	v_fma_f64 v[62:63], v[62:63], v[82:83], v[62:63]
	s_delay_alu instid0(VALU_DEP_1) | instskip(NEXT) | instid1(VALU_DEP_1)
	v_mul_f64 v[82:83], v[86:87], v[62:63]
	v_fma_f64 v[60:61], -v[60:61], v[82:83], v[86:87]
	s_delay_alu instid0(VALU_DEP_1) | instskip(NEXT) | instid1(VALU_DEP_1)
	v_div_fmas_f64 v[60:61], v[60:61], v[62:63], v[82:83]
	v_div_fixup_f64 v[60:61], v[60:61], v[2:3], v[0:1]
	s_delay_alu instid0(VALU_DEP_1) | instskip(NEXT) | instid1(VALU_DEP_1)
	v_fma_f64 v[62:63], v[0:1], v[60:61], v[2:3]
	v_div_scale_f64 v[82:83], null, v[62:63], v[62:63], 1.0
	s_delay_alu instid0(VALU_DEP_1) | instskip(SKIP_2) | instid1(VALU_DEP_1)
	v_rcp_f64_e32 v[86:87], v[82:83]
	s_waitcnt_depctr 0xfff
	v_fma_f64 v[88:89], -v[82:83], v[86:87], 1.0
	v_fma_f64 v[86:87], v[86:87], v[88:89], v[86:87]
	s_delay_alu instid0(VALU_DEP_1) | instskip(NEXT) | instid1(VALU_DEP_1)
	v_fma_f64 v[88:89], -v[82:83], v[86:87], 1.0
	v_fma_f64 v[86:87], v[86:87], v[88:89], v[86:87]
	v_div_scale_f64 v[88:89], vcc_lo, 1.0, v[62:63], 1.0
	s_delay_alu instid0(VALU_DEP_1) | instskip(NEXT) | instid1(VALU_DEP_1)
	v_mul_f64 v[90:91], v[88:89], v[86:87]
	v_fma_f64 v[82:83], -v[82:83], v[90:91], v[88:89]
	s_delay_alu instid0(VALU_DEP_1) | instskip(NEXT) | instid1(VALU_DEP_1)
	v_div_fmas_f64 v[82:83], v[82:83], v[86:87], v[90:91]
	v_div_fixup_f64 v[62:63], v[82:83], v[62:63], 1.0
	s_delay_alu instid0(VALU_DEP_1)
	v_mul_f64 v[82:83], v[60:61], v[62:63]
	v_xor_b32_e32 v63, 0x80000000, v63
.LBB15_68:
	s_and_not1_saveexec_b32 s3, s3
	s_cbranch_execz .LBB15_70
; %bb.69:
	v_div_scale_f64 v[60:61], null, v[0:1], v[0:1], v[2:3]
	v_div_scale_f64 v[86:87], vcc_lo, v[2:3], v[0:1], v[2:3]
	s_delay_alu instid0(VALU_DEP_2) | instskip(SKIP_2) | instid1(VALU_DEP_1)
	v_rcp_f64_e32 v[62:63], v[60:61]
	s_waitcnt_depctr 0xfff
	v_fma_f64 v[82:83], -v[60:61], v[62:63], 1.0
	v_fma_f64 v[62:63], v[62:63], v[82:83], v[62:63]
	s_delay_alu instid0(VALU_DEP_1) | instskip(NEXT) | instid1(VALU_DEP_1)
	v_fma_f64 v[82:83], -v[60:61], v[62:63], 1.0
	v_fma_f64 v[62:63], v[62:63], v[82:83], v[62:63]
	s_delay_alu instid0(VALU_DEP_1) | instskip(NEXT) | instid1(VALU_DEP_1)
	v_mul_f64 v[82:83], v[86:87], v[62:63]
	v_fma_f64 v[60:61], -v[60:61], v[82:83], v[86:87]
	s_delay_alu instid0(VALU_DEP_1) | instskip(NEXT) | instid1(VALU_DEP_1)
	v_div_fmas_f64 v[60:61], v[60:61], v[62:63], v[82:83]
	v_div_fixup_f64 v[60:61], v[60:61], v[0:1], v[2:3]
	s_delay_alu instid0(VALU_DEP_1) | instskip(NEXT) | instid1(VALU_DEP_1)
	v_fma_f64 v[62:63], v[2:3], v[60:61], v[0:1]
	v_div_scale_f64 v[82:83], null, v[62:63], v[62:63], 1.0
	s_delay_alu instid0(VALU_DEP_1) | instskip(SKIP_2) | instid1(VALU_DEP_1)
	v_rcp_f64_e32 v[86:87], v[82:83]
	s_waitcnt_depctr 0xfff
	v_fma_f64 v[88:89], -v[82:83], v[86:87], 1.0
	v_fma_f64 v[86:87], v[86:87], v[88:89], v[86:87]
	s_delay_alu instid0(VALU_DEP_1) | instskip(NEXT) | instid1(VALU_DEP_1)
	v_fma_f64 v[88:89], -v[82:83], v[86:87], 1.0
	v_fma_f64 v[86:87], v[86:87], v[88:89], v[86:87]
	v_div_scale_f64 v[88:89], vcc_lo, 1.0, v[62:63], 1.0
	s_delay_alu instid0(VALU_DEP_1) | instskip(NEXT) | instid1(VALU_DEP_1)
	v_mul_f64 v[90:91], v[88:89], v[86:87]
	v_fma_f64 v[82:83], -v[82:83], v[90:91], v[88:89]
	s_delay_alu instid0(VALU_DEP_1) | instskip(NEXT) | instid1(VALU_DEP_1)
	v_div_fmas_f64 v[82:83], v[82:83], v[86:87], v[90:91]
	v_div_fixup_f64 v[82:83], v[82:83], v[62:63], 1.0
	s_delay_alu instid0(VALU_DEP_1)
	v_mul_f64 v[62:63], v[60:61], -v[82:83]
.LBB15_70:
	s_or_b32 exec_lo, exec_lo, s3
	ds_store_2addr_b64 v85, v[82:83], v[62:63] offset1:1
.LBB15_71:
	s_or_b32 exec_lo, exec_lo, s4
	s_waitcnt lgkmcnt(0)
	s_barrier
	buffer_gl0_inv
	ds_load_2addr_b64 v[60:63], v85 offset1:1
	s_mov_b32 s3, exec_lo
	v_cmpx_lt_u32_e32 7, v84
	s_cbranch_execz .LBB15_73
; %bb.72:
	s_waitcnt lgkmcnt(0)
	v_mul_f64 v[82:83], v[62:63], v[2:3]
	v_mul_f64 v[2:3], v[60:61], v[2:3]
	s_delay_alu instid0(VALU_DEP_2) | instskip(NEXT) | instid1(VALU_DEP_2)
	v_fma_f64 v[82:83], v[60:61], v[0:1], -v[82:83]
	v_fma_f64 v[2:3], v[62:63], v[0:1], v[2:3]
	s_delay_alu instid0(VALU_DEP_2)
	v_dual_mov_b32 v0, v82 :: v_dual_mov_b32 v1, v83
.LBB15_73:
	s_or_b32 exec_lo, exec_lo, s3
	s_waitcnt lgkmcnt(0)
	s_barrier
	buffer_gl0_inv
	s_and_saveexec_b32 s10, s2
	s_cbranch_execz .LBB15_76
; %bb.74:
	s_load_b64 s[0:1], s[0:1], 0x28
	v_lshlrev_b64 v[64:65], 2, v[64:65]
	v_cmp_neq_f64_e64 s2, 0, v[38:39]
	v_cmp_eq_f64_e64 s3, 0, v[40:41]
	v_cmp_eq_f64_e64 s4, 0, v[42:43]
	;; [unrolled: 1-line block ×6, first 2 shown]
	s_waitcnt lgkmcnt(0)
	v_add_co_u32 v64, vcc_lo, s0, v64
	v_add_co_ci_u32_e32 v65, vcc_lo, s1, v65, vcc_lo
	v_cmp_eq_f64_e32 vcc_lo, 0, v[32:33]
	v_cmp_eq_f64_e64 s0, 0, v[34:35]
	v_cmp_neq_f64_e64 s1, 0, v[36:37]
	global_load_b32 v82, v[64:65], off
	s_and_b32 s0, vcc_lo, s0
	s_or_b32 s1, s1, s2
	v_cndmask_b32_e64 v32, 0, 1, s0
	s_or_b32 vcc_lo, s1, s0
	v_cmp_eq_f64_e64 s0, 0, v[54:55]
	s_and_b32 s2, s3, s4
	s_and_b32 s4, s5, s6
	v_cndmask_b32_e32 v32, 2, v32, vcc_lo
	v_cmp_eq_f64_e32 vcc_lo, 0, v[52:53]
	s_and_b32 s6, s7, s8
	s_delay_alu instid0(VALU_DEP_2) | instskip(NEXT) | instid1(VALU_DEP_1)
	v_cmp_eq_u32_e64 s1, 0, v32
	s_and_b32 s1, s2, s1
	v_cmp_eq_f64_e64 s2, 0, v[58:59]
	v_cndmask_b32_e64 v32, v32, 3, s1
	v_cmp_eq_f64_e64 s1, 0, v[56:57]
	s_delay_alu instid0(VALU_DEP_2) | instskip(NEXT) | instid1(VALU_DEP_1)
	v_cmp_eq_u32_e64 s3, 0, v32
	s_and_b32 s3, s4, s3
	v_cmp_eq_f64_e64 s4, 0, v[62:63]
	v_cndmask_b32_e64 v32, v32, 4, s3
	v_cmp_eq_f64_e64 s3, 0, v[60:61]
	s_delay_alu instid0(VALU_DEP_2) | instskip(NEXT) | instid1(VALU_DEP_1)
	v_cmp_eq_u32_e64 s5, 0, v32
	s_and_b32 s5, s6, s5
	s_delay_alu instid0(SALU_CYCLE_1) | instskip(SKIP_1) | instid1(VALU_DEP_1)
	v_cndmask_b32_e64 v32, v32, 5, s5
	s_and_b32 s0, vcc_lo, s0
	v_cmp_eq_u32_e64 s5, 0, v32
	s_delay_alu instid0(VALU_DEP_1) | instskip(NEXT) | instid1(SALU_CYCLE_1)
	s_and_b32 s0, s0, s5
	v_cndmask_b32_e64 v32, v32, 6, s0
	s_and_b32 s0, s1, s2
	s_delay_alu instid0(VALU_DEP_1) | instskip(SKIP_1) | instid1(SALU_CYCLE_1)
	v_cmp_eq_u32_e32 vcc_lo, 0, v32
	s_and_b32 s0, s0, vcc_lo
	v_cndmask_b32_e64 v32, v32, 7, s0
	s_and_b32 s0, s3, s4
	s_delay_alu instid0(VALU_DEP_1) | instskip(SKIP_1) | instid1(SALU_CYCLE_1)
	v_cmp_eq_u32_e32 vcc_lo, 0, v32
	s_and_b32 s0, s0, vcc_lo
	v_cndmask_b32_e64 v32, v32, 8, s0
	s_delay_alu instid0(VALU_DEP_1) | instskip(SKIP_2) | instid1(VALU_DEP_2)
	v_cmp_ne_u32_e64 s0, 0, v32
	s_waitcnt vmcnt(0)
	v_cmp_eq_u32_e32 vcc_lo, 0, v82
	s_and_b32 s0, vcc_lo, s0
	s_delay_alu instid0(SALU_CYCLE_1)
	s_and_b32 exec_lo, exec_lo, s0
	s_cbranch_execz .LBB15_76
; %bb.75:
	v_add_nc_u32_e32 v32, s9, v32
	global_store_b32 v[64:65], v32, off
.LBB15_76:
	s_or_b32 exec_lo, exec_lo, s10
	s_clause 0x7
	global_store_b128 v[78:79], v[28:31], off
	global_store_b128 v[80:81], v[24:27], off
	;; [unrolled: 1-line block ×8, first 2 shown]
.LBB15_77:
	s_nop 0
	s_sendmsg sendmsg(MSG_DEALLOC_VGPRS)
	s_endpgm
	.section	.rodata,"a",@progbits
	.p2align	6, 0x0
	.amdhsa_kernel _ZN9rocsolver6v33100L23getf2_npvt_small_kernelILi8E19rocblas_complex_numIdEiiPKPS3_EEvT1_T3_lS7_lPT2_S7_S7_
		.amdhsa_group_segment_fixed_size 0
		.amdhsa_private_segment_fixed_size 0
		.amdhsa_kernarg_size 312
		.amdhsa_user_sgpr_count 14
		.amdhsa_user_sgpr_dispatch_ptr 0
		.amdhsa_user_sgpr_queue_ptr 0
		.amdhsa_user_sgpr_kernarg_segment_ptr 1
		.amdhsa_user_sgpr_dispatch_id 0
		.amdhsa_user_sgpr_private_segment_size 0
		.amdhsa_wavefront_size32 1
		.amdhsa_uses_dynamic_stack 0
		.amdhsa_enable_private_segment 0
		.amdhsa_system_sgpr_workgroup_id_x 1
		.amdhsa_system_sgpr_workgroup_id_y 1
		.amdhsa_system_sgpr_workgroup_id_z 0
		.amdhsa_system_sgpr_workgroup_info 0
		.amdhsa_system_vgpr_workitem_id 1
		.amdhsa_next_free_vgpr 113
		.amdhsa_next_free_sgpr 16
		.amdhsa_reserve_vcc 1
		.amdhsa_float_round_mode_32 0
		.amdhsa_float_round_mode_16_64 0
		.amdhsa_float_denorm_mode_32 3
		.amdhsa_float_denorm_mode_16_64 3
		.amdhsa_dx10_clamp 1
		.amdhsa_ieee_mode 1
		.amdhsa_fp16_overflow 0
		.amdhsa_workgroup_processor_mode 1
		.amdhsa_memory_ordered 1
		.amdhsa_forward_progress 0
		.amdhsa_shared_vgpr_count 0
		.amdhsa_exception_fp_ieee_invalid_op 0
		.amdhsa_exception_fp_denorm_src 0
		.amdhsa_exception_fp_ieee_div_zero 0
		.amdhsa_exception_fp_ieee_overflow 0
		.amdhsa_exception_fp_ieee_underflow 0
		.amdhsa_exception_fp_ieee_inexact 0
		.amdhsa_exception_int_div_zero 0
	.end_amdhsa_kernel
	.section	.text._ZN9rocsolver6v33100L23getf2_npvt_small_kernelILi8E19rocblas_complex_numIdEiiPKPS3_EEvT1_T3_lS7_lPT2_S7_S7_,"axG",@progbits,_ZN9rocsolver6v33100L23getf2_npvt_small_kernelILi8E19rocblas_complex_numIdEiiPKPS3_EEvT1_T3_lS7_lPT2_S7_S7_,comdat
.Lfunc_end15:
	.size	_ZN9rocsolver6v33100L23getf2_npvt_small_kernelILi8E19rocblas_complex_numIdEiiPKPS3_EEvT1_T3_lS7_lPT2_S7_S7_, .Lfunc_end15-_ZN9rocsolver6v33100L23getf2_npvt_small_kernelILi8E19rocblas_complex_numIdEiiPKPS3_EEvT1_T3_lS7_lPT2_S7_S7_
                                        ; -- End function
	.section	.AMDGPU.csdata,"",@progbits
; Kernel info:
; codeLenInByte = 8828
; NumSgprs: 18
; NumVgprs: 113
; ScratchSize: 0
; MemoryBound: 0
; FloatMode: 240
; IeeeMode: 1
; LDSByteSize: 0 bytes/workgroup (compile time only)
; SGPRBlocks: 2
; VGPRBlocks: 14
; NumSGPRsForWavesPerEU: 18
; NumVGPRsForWavesPerEU: 113
; Occupancy: 12
; WaveLimiterHint : 1
; COMPUTE_PGM_RSRC2:SCRATCH_EN: 0
; COMPUTE_PGM_RSRC2:USER_SGPR: 14
; COMPUTE_PGM_RSRC2:TRAP_HANDLER: 0
; COMPUTE_PGM_RSRC2:TGID_X_EN: 1
; COMPUTE_PGM_RSRC2:TGID_Y_EN: 1
; COMPUTE_PGM_RSRC2:TGID_Z_EN: 0
; COMPUTE_PGM_RSRC2:TIDIG_COMP_CNT: 1
	.section	.text._ZN9rocsolver6v33100L18getf2_small_kernelILi9E19rocblas_complex_numIdEiiPKPS3_EEvT1_T3_lS7_lPS7_llPT2_S7_S7_S9_l,"axG",@progbits,_ZN9rocsolver6v33100L18getf2_small_kernelILi9E19rocblas_complex_numIdEiiPKPS3_EEvT1_T3_lS7_lPS7_llPT2_S7_S7_S9_l,comdat
	.globl	_ZN9rocsolver6v33100L18getf2_small_kernelILi9E19rocblas_complex_numIdEiiPKPS3_EEvT1_T3_lS7_lPS7_llPT2_S7_S7_S9_l ; -- Begin function _ZN9rocsolver6v33100L18getf2_small_kernelILi9E19rocblas_complex_numIdEiiPKPS3_EEvT1_T3_lS7_lPS7_llPT2_S7_S7_S9_l
	.p2align	8
	.type	_ZN9rocsolver6v33100L18getf2_small_kernelILi9E19rocblas_complex_numIdEiiPKPS3_EEvT1_T3_lS7_lPS7_llPT2_S7_S7_S9_l,@function
_ZN9rocsolver6v33100L18getf2_small_kernelILi9E19rocblas_complex_numIdEiiPKPS3_EEvT1_T3_lS7_lPS7_llPT2_S7_S7_S9_l: ; @_ZN9rocsolver6v33100L18getf2_small_kernelILi9E19rocblas_complex_numIdEiiPKPS3_EEvT1_T3_lS7_lPS7_llPT2_S7_S7_S9_l
; %bb.0:
	s_clause 0x1
	s_load_b32 s2, s[0:1], 0x6c
	s_load_b64 s[12:13], s[0:1], 0x48
	v_bfe_u32 v36, v0, 10, 10
	s_waitcnt lgkmcnt(0)
	s_lshr_b32 s2, s2, 16
	s_delay_alu instid0(VALU_DEP_1) | instid1(SALU_CYCLE_1)
	v_mad_u64_u32 v[40:41], null, s15, s2, v[36:37]
	s_mov_b32 s2, exec_lo
	s_delay_alu instid0(VALU_DEP_1)
	v_cmpx_gt_i32_e64 s12, v40
	s_cbranch_execz .LBB16_192
; %bb.1:
	s_clause 0x1
	s_load_b128 s[4:7], s[0:1], 0x8
	s_load_b128 s[8:11], s[0:1], 0x50
	v_ashrrev_i32_e32 v41, 31, v40
	v_mov_b32_e32 v42, 0
	v_mov_b32_e32 v43, 0
	s_delay_alu instid0(VALU_DEP_3) | instskip(SKIP_1) | instid1(VALU_DEP_1)
	v_lshlrev_b64 v[1:2], 3, v[40:41]
	s_waitcnt lgkmcnt(0)
	v_add_co_u32 v1, vcc_lo, s4, v1
	s_delay_alu instid0(VALU_DEP_2)
	v_add_co_ci_u32_e32 v2, vcc_lo, s5, v2, vcc_lo
	s_cmp_eq_u64 s[8:9], 0
	s_cselect_b32 s4, -1, 0
	global_load_b64 v[1:2], v[1:2], off
	s_and_b32 vcc_lo, exec_lo, s4
	s_cbranch_vccnz .LBB16_3
; %bb.2:
	v_mul_lo_u32 v5, v41, s10
	v_mul_lo_u32 v6, v40, s11
	v_mad_u64_u32 v[3:4], null, v40, s10, 0
	s_delay_alu instid0(VALU_DEP_1) | instskip(NEXT) | instid1(VALU_DEP_1)
	v_add3_u32 v4, v4, v6, v5
	v_lshlrev_b64 v[3:4], 2, v[3:4]
	s_delay_alu instid0(VALU_DEP_1) | instskip(NEXT) | instid1(VALU_DEP_2)
	v_add_co_u32 v42, vcc_lo, s8, v3
	v_add_co_ci_u32_e32 v43, vcc_lo, s9, v4, vcc_lo
.LBB16_3:
	s_clause 0x1
	s_load_b32 s8, s[0:1], 0x18
	s_load_b32 s5, s[0:1], 0x0
	v_and_b32_e32 v49, 0x3ff, v0
	s_lshl_b64 s[2:3], s[6:7], 4
	s_waitcnt vmcnt(0)
	v_add_co_u32 v47, vcc_lo, v1, s2
	s_delay_alu instid0(VALU_DEP_2) | instskip(SKIP_1) | instid1(VALU_DEP_2)
	v_lshlrev_b32_e32 v39, 4, v49
	v_add_co_ci_u32_e32 v48, vcc_lo, s3, v2, vcc_lo
	v_add_co_u32 v2, vcc_lo, v47, v39
	s_delay_alu instid0(VALU_DEP_2)
	v_add_co_ci_u32_e32 v3, vcc_lo, 0, v48, vcc_lo
	s_waitcnt lgkmcnt(0)
	v_add3_u32 v0, s8, s8, v49
	s_ashr_i32 s9, s8, 31
	s_max_i32 s2, s5, 9
	s_lshl_b64 s[10:11], s[8:9], 4
	s_cmp_lt_i32 s5, 2
	v_add_nc_u32_e32 v4, s8, v0
	v_add_co_u32 v6, vcc_lo, v2, s10
	v_ashrrev_i32_e32 v1, 31, v0
	v_add_co_ci_u32_e32 v7, vcc_lo, s11, v3, vcc_lo
	s_delay_alu instid0(VALU_DEP_4) | instskip(SKIP_1) | instid1(VALU_DEP_4)
	v_ashrrev_i32_e32 v5, 31, v4
	v_add_nc_u32_e32 v8, s8, v4
	v_lshlrev_b64 v[0:1], 4, v[0:1]
	s_clause 0x1
	global_load_b128 v[32:35], v[2:3], off
	global_load_b128 v[28:31], v[6:7], off
	v_lshlrev_b64 v[2:3], 4, v[4:5]
	v_ashrrev_i32_e32 v9, 31, v8
	v_add_nc_u32_e32 v4, s8, v8
	v_add_co_u32 v0, vcc_lo, v47, v0
	v_add_co_ci_u32_e32 v1, vcc_lo, v48, v1, vcc_lo
	s_delay_alu instid0(VALU_DEP_4) | instskip(NEXT) | instid1(VALU_DEP_4)
	v_lshlrev_b64 v[6:7], 4, v[8:9]
	v_add_nc_u32_e32 v8, s8, v4
	v_add_co_u32 v2, vcc_lo, v47, v2
	v_ashrrev_i32_e32 v5, 31, v4
	v_add_co_ci_u32_e32 v3, vcc_lo, v48, v3, vcc_lo
	s_delay_alu instid0(VALU_DEP_4)
	v_add_nc_u32_e32 v10, s8, v8
	v_ashrrev_i32_e32 v9, 31, v8
	s_clause 0x1
	global_load_b128 v[24:27], v[0:1], off
	global_load_b128 v[20:23], v[2:3], off
	v_add_co_u32 v0, vcc_lo, v47, v6
	v_add_nc_u32_e32 v6, s8, v10
	v_lshlrev_b64 v[4:5], 4, v[4:5]
	v_ashrrev_i32_e32 v11, 31, v10
	v_lshlrev_b64 v[2:3], 4, v[8:9]
	v_add_co_ci_u32_e32 v1, vcc_lo, v48, v7, vcc_lo
	v_ashrrev_i32_e32 v7, 31, v6
	v_add_co_u32 v4, vcc_lo, v47, v4
	v_lshlrev_b64 v[8:9], 4, v[10:11]
	v_add_co_ci_u32_e32 v5, vcc_lo, v48, v5, vcc_lo
	v_add_co_u32 v2, vcc_lo, v47, v2
	v_lshlrev_b64 v[6:7], 4, v[6:7]
	v_add_co_ci_u32_e32 v3, vcc_lo, v48, v3, vcc_lo
	v_add_co_u32 v37, vcc_lo, v47, v8
	v_add_co_ci_u32_e32 v38, vcc_lo, v48, v9, vcc_lo
	s_delay_alu instid0(VALU_DEP_4)
	v_add_co_u32 v44, vcc_lo, v47, v6
	v_add_co_ci_u32_e32 v45, vcc_lo, v48, v7, vcc_lo
	s_clause 0x4
	global_load_b128 v[16:19], v[0:1], off
	global_load_b128 v[12:15], v[4:5], off
	;; [unrolled: 1-line block ×5, first 2 shown]
	v_mov_b32_e32 v44, 0
	v_mul_lo_u32 v45, s2, v36
	s_delay_alu instid0(VALU_DEP_1) | instskip(SKIP_1) | instid1(VALU_DEP_2)
	v_lshl_add_u32 v46, v45, 4, 0
	v_lshlrev_b32_e32 v51, 4, v45
	v_add_nc_u32_e32 v36, v46, v39
	s_waitcnt vmcnt(8)
	ds_store_2addr_b64 v36, v[32:33], v[34:35] offset1:1
	s_waitcnt vmcnt(0) lgkmcnt(0)
	s_barrier
	buffer_gl0_inv
	ds_load_2addr_b64 v[36:39], v46 offset1:1
	s_cbranch_scc1 .LBB16_6
; %bb.4:
	v_add3_u32 v45, v51, 0, 16
	v_mov_b32_e32 v44, 0
	s_mov_b32 s6, 1
	s_set_inst_prefetch_distance 0x1
	.p2align	6
.LBB16_5:                               ; =>This Inner Loop Header: Depth=1
	ds_load_2addr_b64 v[52:55], v45 offset1:1
	s_waitcnt lgkmcnt(1)
	v_cmp_gt_f64_e32 vcc_lo, 0, v[36:37]
	v_xor_b32_e32 v50, 0x80000000, v37
	v_cmp_gt_f64_e64 s2, 0, v[38:39]
	v_xor_b32_e32 v56, 0x80000000, v39
	v_add_nc_u32_e32 v45, 16, v45
	s_waitcnt lgkmcnt(0)
	v_cmp_gt_f64_e64 s3, 0, v[52:53]
	v_mov_b32_e32 v60, v52
	v_dual_mov_b32 v62, v54 :: v_dual_cndmask_b32 v57, v37, v50
	v_xor_b32_e32 v50, 0x80000000, v53
	v_cndmask_b32_e64 v59, v39, v56, s2
	v_xor_b32_e32 v56, 0x80000000, v55
	v_cndmask_b32_e64 v58, v38, v38, s2
	s_delay_alu instid0(VALU_DEP_4) | instskip(SKIP_1) | instid1(VALU_DEP_1)
	v_cndmask_b32_e64 v61, v53, v50, s3
	v_cmp_gt_f64_e64 s3, 0, v[54:55]
	v_cndmask_b32_e64 v63, v55, v56, s3
	v_cndmask_b32_e32 v56, v36, v36, vcc_lo
	s_delay_alu instid0(VALU_DEP_2) | instskip(NEXT) | instid1(VALU_DEP_2)
	v_add_f64 v[60:61], v[60:61], v[62:63]
	v_add_f64 v[56:57], v[56:57], v[58:59]
	s_delay_alu instid0(VALU_DEP_1)
	v_cmp_lt_f64_e32 vcc_lo, v[56:57], v[60:61]
	v_cndmask_b32_e32 v39, v39, v55, vcc_lo
	v_dual_cndmask_b32 v37, v37, v53 :: v_dual_cndmask_b32 v36, v36, v52
	v_cndmask_b32_e32 v38, v38, v54, vcc_lo
	v_cndmask_b32_e64 v44, v44, s6, vcc_lo
	s_add_i32 s6, s6, 1
	s_delay_alu instid0(SALU_CYCLE_1)
	s_cmp_eq_u32 s5, s6
	s_cbranch_scc0 .LBB16_5
.LBB16_6:
	s_set_inst_prefetch_distance 0x2
	s_waitcnt lgkmcnt(0)
	v_cmp_neq_f64_e32 vcc_lo, 0, v[36:37]
	v_cmp_neq_f64_e64 s2, 0, v[38:39]
	v_dual_mov_b32 v50, 1 :: v_dual_mov_b32 v53, 1
	s_delay_alu instid0(VALU_DEP_2) | instskip(NEXT) | instid1(SALU_CYCLE_1)
	s_or_b32 s2, vcc_lo, s2
	s_and_saveexec_b32 s3, s2
	s_cbranch_execz .LBB16_12
; %bb.7:
	v_cmp_gt_f64_e32 vcc_lo, 0, v[36:37]
	v_cmp_gt_f64_e64 s2, 0, v[38:39]
	v_xor_b32_e32 v45, 0x80000000, v37
	v_xor_b32_e32 v50, 0x80000000, v39
                                        ; implicit-def: $sgpr6
                                        ; implicit-def: $sgpr7
	s_delay_alu instid0(VALU_DEP_2) | instskip(NEXT) | instid1(VALU_DEP_2)
	v_dual_cndmask_b32 v53, v37, v45 :: v_dual_cndmask_b32 v52, v36, v36
	v_cndmask_b32_e64 v55, v39, v50, s2
	v_cndmask_b32_e64 v54, v38, v38, s2
	s_mov_b32 s2, exec_lo
	s_delay_alu instid0(VALU_DEP_1)
	v_cmpx_ngt_f64_e32 v[52:53], v[54:55]
	s_xor_b32 s2, exec_lo, s2
	s_cbranch_execz .LBB16_9
; %bb.8:
	v_div_scale_f64 v[52:53], null, v[38:39], v[38:39], v[36:37]
	v_div_scale_f64 v[58:59], vcc_lo, v[36:37], v[38:39], v[36:37]
	s_mov_b32 s7, 2
	s_mov_b32 s6, 0
	s_delay_alu instid0(VALU_DEP_2) | instskip(SKIP_2) | instid1(VALU_DEP_1)
	v_rcp_f64_e32 v[54:55], v[52:53]
	s_waitcnt_depctr 0xfff
	v_fma_f64 v[56:57], -v[52:53], v[54:55], 1.0
	v_fma_f64 v[54:55], v[54:55], v[56:57], v[54:55]
	s_delay_alu instid0(VALU_DEP_1) | instskip(NEXT) | instid1(VALU_DEP_1)
	v_fma_f64 v[56:57], -v[52:53], v[54:55], 1.0
	v_fma_f64 v[54:55], v[54:55], v[56:57], v[54:55]
	s_delay_alu instid0(VALU_DEP_1) | instskip(NEXT) | instid1(VALU_DEP_1)
	v_mul_f64 v[56:57], v[58:59], v[54:55]
	v_fma_f64 v[52:53], -v[52:53], v[56:57], v[58:59]
	s_delay_alu instid0(VALU_DEP_1) | instskip(NEXT) | instid1(VALU_DEP_1)
	v_div_fmas_f64 v[52:53], v[52:53], v[54:55], v[56:57]
	v_div_fixup_f64 v[52:53], v[52:53], v[38:39], v[36:37]
	s_delay_alu instid0(VALU_DEP_1) | instskip(NEXT) | instid1(VALU_DEP_1)
	v_fma_f64 v[36:37], v[36:37], v[52:53], v[38:39]
	v_div_scale_f64 v[38:39], null, v[36:37], v[36:37], 1.0
	s_delay_alu instid0(VALU_DEP_1) | instskip(SKIP_2) | instid1(VALU_DEP_1)
	v_rcp_f64_e32 v[54:55], v[38:39]
	s_waitcnt_depctr 0xfff
	v_fma_f64 v[56:57], -v[38:39], v[54:55], 1.0
	v_fma_f64 v[54:55], v[54:55], v[56:57], v[54:55]
	s_delay_alu instid0(VALU_DEP_1) | instskip(NEXT) | instid1(VALU_DEP_1)
	v_fma_f64 v[56:57], -v[38:39], v[54:55], 1.0
	v_fma_f64 v[54:55], v[54:55], v[56:57], v[54:55]
	v_div_scale_f64 v[56:57], vcc_lo, 1.0, v[36:37], 1.0
	s_delay_alu instid0(VALU_DEP_1) | instskip(NEXT) | instid1(VALU_DEP_1)
	v_mul_f64 v[58:59], v[56:57], v[54:55]
	v_fma_f64 v[38:39], -v[38:39], v[58:59], v[56:57]
	s_delay_alu instid0(VALU_DEP_1) | instskip(NEXT) | instid1(VALU_DEP_1)
	v_div_fmas_f64 v[38:39], v[38:39], v[54:55], v[58:59]
	v_div_fixup_f64 v[38:39], v[38:39], v[36:37], 1.0
	s_delay_alu instid0(VALU_DEP_1)
	v_mul_f64 v[36:37], v[52:53], v[38:39]
	v_xor_b32_e32 v39, 0x80000000, v39
.LBB16_9:
	s_or_saveexec_b32 s2, s2
	v_dual_mov_b32 v53, s6 :: v_dual_mov_b32 v50, s7
	s_xor_b32 exec_lo, exec_lo, s2
	s_cbranch_execz .LBB16_11
; %bb.10:
	s_delay_alu instid0(VALU_DEP_3) | instskip(SKIP_2) | instid1(VALU_DEP_3)
	v_div_scale_f64 v[52:53], null, v[36:37], v[36:37], v[38:39]
	v_div_scale_f64 v[58:59], vcc_lo, v[38:39], v[36:37], v[38:39]
	v_mov_b32_e32 v50, 2
	v_rcp_f64_e32 v[54:55], v[52:53]
	s_waitcnt_depctr 0xfff
	v_fma_f64 v[56:57], -v[52:53], v[54:55], 1.0
	s_delay_alu instid0(VALU_DEP_1) | instskip(NEXT) | instid1(VALU_DEP_1)
	v_fma_f64 v[54:55], v[54:55], v[56:57], v[54:55]
	v_fma_f64 v[56:57], -v[52:53], v[54:55], 1.0
	s_delay_alu instid0(VALU_DEP_1) | instskip(NEXT) | instid1(VALU_DEP_1)
	v_fma_f64 v[54:55], v[54:55], v[56:57], v[54:55]
	v_mul_f64 v[56:57], v[58:59], v[54:55]
	s_delay_alu instid0(VALU_DEP_1) | instskip(NEXT) | instid1(VALU_DEP_1)
	v_fma_f64 v[52:53], -v[52:53], v[56:57], v[58:59]
	v_div_fmas_f64 v[52:53], v[52:53], v[54:55], v[56:57]
	s_delay_alu instid0(VALU_DEP_1) | instskip(NEXT) | instid1(VALU_DEP_1)
	v_div_fixup_f64 v[52:53], v[52:53], v[36:37], v[38:39]
	v_fma_f64 v[36:37], v[38:39], v[52:53], v[36:37]
	s_delay_alu instid0(VALU_DEP_1) | instskip(NEXT) | instid1(VALU_DEP_1)
	v_div_scale_f64 v[38:39], null, v[36:37], v[36:37], 1.0
	v_rcp_f64_e32 v[54:55], v[38:39]
	s_waitcnt_depctr 0xfff
	v_fma_f64 v[56:57], -v[38:39], v[54:55], 1.0
	s_delay_alu instid0(VALU_DEP_1) | instskip(NEXT) | instid1(VALU_DEP_1)
	v_fma_f64 v[54:55], v[54:55], v[56:57], v[54:55]
	v_fma_f64 v[56:57], -v[38:39], v[54:55], 1.0
	s_delay_alu instid0(VALU_DEP_1) | instskip(SKIP_1) | instid1(VALU_DEP_1)
	v_fma_f64 v[54:55], v[54:55], v[56:57], v[54:55]
	v_div_scale_f64 v[56:57], vcc_lo, 1.0, v[36:37], 1.0
	v_mul_f64 v[58:59], v[56:57], v[54:55]
	s_delay_alu instid0(VALU_DEP_1) | instskip(NEXT) | instid1(VALU_DEP_1)
	v_fma_f64 v[38:39], -v[38:39], v[58:59], v[56:57]
	v_div_fmas_f64 v[38:39], v[38:39], v[54:55], v[58:59]
	s_delay_alu instid0(VALU_DEP_1) | instskip(NEXT) | instid1(VALU_DEP_1)
	v_div_fixup_f64 v[36:37], v[38:39], v[36:37], 1.0
	v_mul_f64 v[38:39], v[52:53], -v[36:37]
	v_mov_b32_e32 v53, 0
.LBB16_11:
	s_or_b32 exec_lo, exec_lo, s2
.LBB16_12:
	s_delay_alu instid0(SALU_CYCLE_1) | instskip(NEXT) | instid1(SALU_CYCLE_1)
	s_or_b32 exec_lo, exec_lo, s3
	s_mov_b32 s2, exec_lo
	v_cmpx_ne_u32_e64 v49, v44
	s_xor_b32 s2, exec_lo, s2
	s_cbranch_execz .LBB16_18
; %bb.13:
	s_mov_b32 s3, exec_lo
	v_cmpx_eq_u32_e32 0, v49
	s_cbranch_execz .LBB16_17
; %bb.14:
	v_cmp_ne_u32_e32 vcc_lo, 0, v44
	s_xor_b32 s6, s4, -1
	s_delay_alu instid0(SALU_CYCLE_1) | instskip(NEXT) | instid1(SALU_CYCLE_1)
	s_and_b32 s7, s6, vcc_lo
	s_and_saveexec_b32 s6, s7
	s_cbranch_execz .LBB16_16
; %bb.15:
	v_ashrrev_i32_e32 v45, 31, v44
	s_delay_alu instid0(VALU_DEP_1) | instskip(NEXT) | instid1(VALU_DEP_1)
	v_lshlrev_b64 v[54:55], 2, v[44:45]
	v_add_co_u32 v54, vcc_lo, v42, v54
	s_delay_alu instid0(VALU_DEP_2)
	v_add_co_ci_u32_e32 v55, vcc_lo, v43, v55, vcc_lo
	s_clause 0x1
	flat_load_b32 v45, v[54:55]
	flat_load_b32 v49, v[42:43]
	s_waitcnt vmcnt(1) lgkmcnt(1)
	flat_store_b32 v[42:43], v45
	s_waitcnt vmcnt(0) lgkmcnt(1)
	flat_store_b32 v[54:55], v49
.LBB16_16:
	s_or_b32 exec_lo, exec_lo, s6
	v_mov_b32_e32 v49, v44
.LBB16_17:
	s_or_b32 exec_lo, exec_lo, s3
.LBB16_18:
	s_or_saveexec_b32 s2, s2
	s_delay_alu instid0(VALU_DEP_1)
	v_mov_b32_e32 v52, v49
	s_xor_b32 exec_lo, exec_lo, s2
	s_cbranch_execz .LBB16_20
; %bb.19:
	v_mov_b32_e32 v52, 0
	ds_store_2addr_b64 v46, v[28:29], v[30:31] offset0:2 offset1:3
	ds_store_2addr_b64 v46, v[24:25], v[26:27] offset0:4 offset1:5
	;; [unrolled: 1-line block ×8, first 2 shown]
.LBB16_20:
	s_or_b32 exec_lo, exec_lo, s2
	s_delay_alu instid0(SALU_CYCLE_1)
	s_mov_b32 s2, exec_lo
	s_waitcnt lgkmcnt(0)
	s_waitcnt_vscnt null, 0x0
	s_barrier
	buffer_gl0_inv
	v_cmpx_lt_i32_e32 0, v52
	s_cbranch_execz .LBB16_22
; %bb.21:
	v_mul_f64 v[44:45], v[36:37], v[34:35]
	v_mul_f64 v[34:35], v[38:39], v[34:35]
	ds_load_2addr_b64 v[54:57], v46 offset0:2 offset1:3
	ds_load_2addr_b64 v[58:61], v46 offset0:4 offset1:5
	;; [unrolled: 1-line block ×8, first 2 shown]
	v_fma_f64 v[38:39], v[38:39], v[32:33], v[44:45]
	v_fma_f64 v[32:33], v[36:37], v[32:33], -v[34:35]
	s_waitcnt lgkmcnt(7)
	s_delay_alu instid0(VALU_DEP_2)
	v_mul_f64 v[34:35], v[56:57], v[38:39]
	v_mul_f64 v[36:37], v[54:55], v[38:39]
	s_waitcnt lgkmcnt(6)
	v_mul_f64 v[44:45], v[60:61], v[38:39]
	v_mul_f64 v[86:87], v[58:59], v[38:39]
	s_waitcnt lgkmcnt(5)
	;; [unrolled: 3-line block ×7, first 2 shown]
	v_mul_f64 v[108:109], v[84:85], v[38:39]
	v_mul_f64 v[110:111], v[82:83], v[38:39]
	v_fma_f64 v[34:35], v[54:55], v[32:33], -v[34:35]
	v_fma_f64 v[36:37], v[56:57], v[32:33], v[36:37]
	v_fma_f64 v[44:45], v[58:59], v[32:33], -v[44:45]
	v_fma_f64 v[54:55], v[60:61], v[32:33], v[86:87]
	;; [unrolled: 2-line block ×8, first 2 shown]
	v_add_f64 v[28:29], v[28:29], -v[34:35]
	v_add_f64 v[30:31], v[30:31], -v[36:37]
	;; [unrolled: 1-line block ×16, first 2 shown]
	v_dual_mov_b32 v34, v38 :: v_dual_mov_b32 v35, v39
.LBB16_22:
	s_or_b32 exec_lo, exec_lo, s2
	v_lshl_add_u32 v36, v52, 4, v46
	s_barrier
	buffer_gl0_inv
	v_mov_b32_e32 v44, 1
	ds_store_2addr_b64 v36, v[28:29], v[30:31] offset1:1
	s_waitcnt lgkmcnt(0)
	s_barrier
	buffer_gl0_inv
	ds_load_2addr_b64 v[36:39], v46 offset0:2 offset1:3
	s_cmp_lt_i32 s5, 3
	s_cbranch_scc1 .LBB16_25
; %bb.23:
	v_add3_u32 v45, v51, 0, 32
	v_mov_b32_e32 v44, 1
	s_mov_b32 s6, 2
	s_set_inst_prefetch_distance 0x1
	.p2align	6
.LBB16_24:                              ; =>This Inner Loop Header: Depth=1
	ds_load_2addr_b64 v[54:57], v45 offset1:1
	s_waitcnt lgkmcnt(1)
	v_cmp_gt_f64_e32 vcc_lo, 0, v[36:37]
	v_xor_b32_e32 v58, 0x80000000, v37
	v_cmp_gt_f64_e64 s2, 0, v[38:39]
	v_xor_b32_e32 v60, 0x80000000, v39
	v_add_nc_u32_e32 v45, 16, v45
	s_waitcnt lgkmcnt(0)
	v_cmp_gt_f64_e64 s3, 0, v[54:55]
	v_mov_b32_e32 v62, v54
	v_dual_mov_b32 v64, v56 :: v_dual_cndmask_b32 v59, v37, v58
	v_xor_b32_e32 v58, 0x80000000, v55
	v_cndmask_b32_e64 v61, v39, v60, s2
	v_xor_b32_e32 v60, 0x80000000, v57
	s_delay_alu instid0(VALU_DEP_3) | instskip(SKIP_2) | instid1(VALU_DEP_2)
	v_cndmask_b32_e64 v63, v55, v58, s3
	v_cmp_gt_f64_e64 s3, 0, v[56:57]
	v_cndmask_b32_e32 v58, v36, v36, vcc_lo
	v_cndmask_b32_e64 v65, v57, v60, s3
	v_cndmask_b32_e64 v60, v38, v38, s2
	s_delay_alu instid0(VALU_DEP_2) | instskip(NEXT) | instid1(VALU_DEP_2)
	v_add_f64 v[62:63], v[62:63], v[64:65]
	v_add_f64 v[58:59], v[58:59], v[60:61]
	s_delay_alu instid0(VALU_DEP_1)
	v_cmp_lt_f64_e32 vcc_lo, v[58:59], v[62:63]
	v_cndmask_b32_e32 v39, v39, v57, vcc_lo
	v_dual_cndmask_b32 v37, v37, v55 :: v_dual_cndmask_b32 v36, v36, v54
	v_cndmask_b32_e32 v38, v38, v56, vcc_lo
	v_cndmask_b32_e64 v44, v44, s6, vcc_lo
	s_add_i32 s6, s6, 1
	s_delay_alu instid0(SALU_CYCLE_1)
	s_cmp_lg_u32 s5, s6
	s_cbranch_scc1 .LBB16_24
.LBB16_25:
	s_set_inst_prefetch_distance 0x2
	s_waitcnt lgkmcnt(0)
	v_cmp_neq_f64_e32 vcc_lo, 0, v[36:37]
	v_cmp_neq_f64_e64 s2, 0, v[38:39]
	s_delay_alu instid0(VALU_DEP_1) | instskip(NEXT) | instid1(SALU_CYCLE_1)
	s_or_b32 s2, vcc_lo, s2
	s_and_saveexec_b32 s3, s2
	s_cbranch_execz .LBB16_31
; %bb.26:
	v_cmp_gt_f64_e32 vcc_lo, 0, v[36:37]
	v_cmp_gt_f64_e64 s2, 0, v[38:39]
	v_xor_b32_e32 v45, 0x80000000, v37
	v_xor_b32_e32 v50, 0x80000000, v39
	s_delay_alu instid0(VALU_DEP_2) | instskip(NEXT) | instid1(VALU_DEP_2)
	v_dual_cndmask_b32 v55, v37, v45 :: v_dual_cndmask_b32 v54, v36, v36
	v_cndmask_b32_e64 v57, v39, v50, s2
	v_cndmask_b32_e64 v56, v38, v38, s2
	s_mov_b32 s2, exec_lo
	s_delay_alu instid0(VALU_DEP_1)
	v_cmpx_ngt_f64_e32 v[54:55], v[56:57]
	s_xor_b32 s2, exec_lo, s2
	s_cbranch_execz .LBB16_28
; %bb.27:
	v_div_scale_f64 v[54:55], null, v[38:39], v[38:39], v[36:37]
	v_div_scale_f64 v[60:61], vcc_lo, v[36:37], v[38:39], v[36:37]
	s_delay_alu instid0(VALU_DEP_2) | instskip(SKIP_2) | instid1(VALU_DEP_1)
	v_rcp_f64_e32 v[56:57], v[54:55]
	s_waitcnt_depctr 0xfff
	v_fma_f64 v[58:59], -v[54:55], v[56:57], 1.0
	v_fma_f64 v[56:57], v[56:57], v[58:59], v[56:57]
	s_delay_alu instid0(VALU_DEP_1) | instskip(NEXT) | instid1(VALU_DEP_1)
	v_fma_f64 v[58:59], -v[54:55], v[56:57], 1.0
	v_fma_f64 v[56:57], v[56:57], v[58:59], v[56:57]
	s_delay_alu instid0(VALU_DEP_1) | instskip(NEXT) | instid1(VALU_DEP_1)
	v_mul_f64 v[58:59], v[60:61], v[56:57]
	v_fma_f64 v[54:55], -v[54:55], v[58:59], v[60:61]
	s_delay_alu instid0(VALU_DEP_1) | instskip(NEXT) | instid1(VALU_DEP_1)
	v_div_fmas_f64 v[54:55], v[54:55], v[56:57], v[58:59]
	v_div_fixup_f64 v[54:55], v[54:55], v[38:39], v[36:37]
	s_delay_alu instid0(VALU_DEP_1) | instskip(NEXT) | instid1(VALU_DEP_1)
	v_fma_f64 v[36:37], v[36:37], v[54:55], v[38:39]
	v_div_scale_f64 v[38:39], null, v[36:37], v[36:37], 1.0
	s_delay_alu instid0(VALU_DEP_1) | instskip(SKIP_2) | instid1(VALU_DEP_1)
	v_rcp_f64_e32 v[56:57], v[38:39]
	s_waitcnt_depctr 0xfff
	v_fma_f64 v[58:59], -v[38:39], v[56:57], 1.0
	v_fma_f64 v[56:57], v[56:57], v[58:59], v[56:57]
	s_delay_alu instid0(VALU_DEP_1) | instskip(NEXT) | instid1(VALU_DEP_1)
	v_fma_f64 v[58:59], -v[38:39], v[56:57], 1.0
	v_fma_f64 v[56:57], v[56:57], v[58:59], v[56:57]
	v_div_scale_f64 v[58:59], vcc_lo, 1.0, v[36:37], 1.0
	s_delay_alu instid0(VALU_DEP_1) | instskip(NEXT) | instid1(VALU_DEP_1)
	v_mul_f64 v[60:61], v[58:59], v[56:57]
	v_fma_f64 v[38:39], -v[38:39], v[60:61], v[58:59]
	s_delay_alu instid0(VALU_DEP_1) | instskip(NEXT) | instid1(VALU_DEP_1)
	v_div_fmas_f64 v[38:39], v[38:39], v[56:57], v[60:61]
	v_div_fixup_f64 v[38:39], v[38:39], v[36:37], 1.0
	s_delay_alu instid0(VALU_DEP_1)
	v_mul_f64 v[36:37], v[54:55], v[38:39]
	v_xor_b32_e32 v39, 0x80000000, v39
.LBB16_28:
	s_and_not1_saveexec_b32 s2, s2
	s_cbranch_execz .LBB16_30
; %bb.29:
	s_delay_alu instid0(VALU_DEP_1) | instskip(SKIP_1) | instid1(VALU_DEP_2)
	v_div_scale_f64 v[54:55], null, v[36:37], v[36:37], v[38:39]
	v_div_scale_f64 v[60:61], vcc_lo, v[38:39], v[36:37], v[38:39]
	v_rcp_f64_e32 v[56:57], v[54:55]
	s_waitcnt_depctr 0xfff
	v_fma_f64 v[58:59], -v[54:55], v[56:57], 1.0
	s_delay_alu instid0(VALU_DEP_1) | instskip(NEXT) | instid1(VALU_DEP_1)
	v_fma_f64 v[56:57], v[56:57], v[58:59], v[56:57]
	v_fma_f64 v[58:59], -v[54:55], v[56:57], 1.0
	s_delay_alu instid0(VALU_DEP_1) | instskip(NEXT) | instid1(VALU_DEP_1)
	v_fma_f64 v[56:57], v[56:57], v[58:59], v[56:57]
	v_mul_f64 v[58:59], v[60:61], v[56:57]
	s_delay_alu instid0(VALU_DEP_1) | instskip(NEXT) | instid1(VALU_DEP_1)
	v_fma_f64 v[54:55], -v[54:55], v[58:59], v[60:61]
	v_div_fmas_f64 v[54:55], v[54:55], v[56:57], v[58:59]
	s_delay_alu instid0(VALU_DEP_1) | instskip(NEXT) | instid1(VALU_DEP_1)
	v_div_fixup_f64 v[54:55], v[54:55], v[36:37], v[38:39]
	v_fma_f64 v[36:37], v[38:39], v[54:55], v[36:37]
	s_delay_alu instid0(VALU_DEP_1) | instskip(NEXT) | instid1(VALU_DEP_1)
	v_div_scale_f64 v[38:39], null, v[36:37], v[36:37], 1.0
	v_rcp_f64_e32 v[56:57], v[38:39]
	s_waitcnt_depctr 0xfff
	v_fma_f64 v[58:59], -v[38:39], v[56:57], 1.0
	s_delay_alu instid0(VALU_DEP_1) | instskip(NEXT) | instid1(VALU_DEP_1)
	v_fma_f64 v[56:57], v[56:57], v[58:59], v[56:57]
	v_fma_f64 v[58:59], -v[38:39], v[56:57], 1.0
	s_delay_alu instid0(VALU_DEP_1) | instskip(SKIP_1) | instid1(VALU_DEP_1)
	v_fma_f64 v[56:57], v[56:57], v[58:59], v[56:57]
	v_div_scale_f64 v[58:59], vcc_lo, 1.0, v[36:37], 1.0
	v_mul_f64 v[60:61], v[58:59], v[56:57]
	s_delay_alu instid0(VALU_DEP_1) | instskip(NEXT) | instid1(VALU_DEP_1)
	v_fma_f64 v[38:39], -v[38:39], v[60:61], v[58:59]
	v_div_fmas_f64 v[38:39], v[38:39], v[56:57], v[60:61]
	s_delay_alu instid0(VALU_DEP_1) | instskip(NEXT) | instid1(VALU_DEP_1)
	v_div_fixup_f64 v[36:37], v[38:39], v[36:37], 1.0
	v_mul_f64 v[38:39], v[54:55], -v[36:37]
.LBB16_30:
	s_or_b32 exec_lo, exec_lo, s2
	v_mov_b32_e32 v50, v53
.LBB16_31:
	s_or_b32 exec_lo, exec_lo, s3
	s_delay_alu instid0(SALU_CYCLE_1)
	s_mov_b32 s2, exec_lo
	v_cmpx_ne_u32_e64 v52, v44
	s_xor_b32 s2, exec_lo, s2
	s_cbranch_execz .LBB16_37
; %bb.32:
	s_mov_b32 s3, exec_lo
	v_cmpx_eq_u32_e32 1, v52
	s_cbranch_execz .LBB16_36
; %bb.33:
	v_cmp_ne_u32_e32 vcc_lo, 1, v44
	s_xor_b32 s6, s4, -1
	s_delay_alu instid0(SALU_CYCLE_1) | instskip(NEXT) | instid1(SALU_CYCLE_1)
	s_and_b32 s7, s6, vcc_lo
	s_and_saveexec_b32 s6, s7
	s_cbranch_execz .LBB16_35
; %bb.34:
	v_ashrrev_i32_e32 v45, 31, v44
	s_delay_alu instid0(VALU_DEP_1) | instskip(NEXT) | instid1(VALU_DEP_1)
	v_lshlrev_b64 v[52:53], 2, v[44:45]
	v_add_co_u32 v52, vcc_lo, v42, v52
	s_delay_alu instid0(VALU_DEP_2)
	v_add_co_ci_u32_e32 v53, vcc_lo, v43, v53, vcc_lo
	s_clause 0x1
	flat_load_b32 v45, v[52:53]
	flat_load_b32 v49, v[42:43] offset:4
	s_waitcnt vmcnt(1) lgkmcnt(1)
	flat_store_b32 v[42:43], v45 offset:4
	s_waitcnt vmcnt(0) lgkmcnt(1)
	flat_store_b32 v[52:53], v49
.LBB16_35:
	s_or_b32 exec_lo, exec_lo, s6
	v_mov_b32_e32 v52, v44
	v_mov_b32_e32 v49, v44
.LBB16_36:
	s_or_b32 exec_lo, exec_lo, s3
.LBB16_37:
	s_and_not1_saveexec_b32 s2, s2
	s_cbranch_execz .LBB16_39
; %bb.38:
	v_mov_b32_e32 v52, 1
	ds_store_2addr_b64 v46, v[24:25], v[26:27] offset0:4 offset1:5
	ds_store_2addr_b64 v46, v[20:21], v[22:23] offset0:6 offset1:7
	;; [unrolled: 1-line block ×7, first 2 shown]
.LBB16_39:
	s_or_b32 exec_lo, exec_lo, s2
	s_delay_alu instid0(SALU_CYCLE_1)
	s_mov_b32 s2, exec_lo
	s_waitcnt lgkmcnt(0)
	s_waitcnt_vscnt null, 0x0
	s_barrier
	buffer_gl0_inv
	v_cmpx_lt_i32_e32 1, v52
	s_cbranch_execz .LBB16_41
; %bb.40:
	v_mul_f64 v[44:45], v[36:37], v[30:31]
	v_mul_f64 v[30:31], v[38:39], v[30:31]
	ds_load_2addr_b64 v[53:56], v46 offset0:4 offset1:5
	ds_load_2addr_b64 v[57:60], v46 offset0:6 offset1:7
	;; [unrolled: 1-line block ×7, first 2 shown]
	v_fma_f64 v[38:39], v[38:39], v[28:29], v[44:45]
	v_fma_f64 v[28:29], v[36:37], v[28:29], -v[30:31]
	s_waitcnt lgkmcnt(6)
	s_delay_alu instid0(VALU_DEP_2)
	v_mul_f64 v[30:31], v[55:56], v[38:39]
	v_mul_f64 v[36:37], v[53:54], v[38:39]
	s_waitcnt lgkmcnt(5)
	v_mul_f64 v[44:45], v[59:60], v[38:39]
	v_mul_f64 v[81:82], v[57:58], v[38:39]
	s_waitcnt lgkmcnt(4)
	;; [unrolled: 3-line block ×6, first 2 shown]
	v_mul_f64 v[99:100], v[79:80], v[38:39]
	v_mul_f64 v[101:102], v[77:78], v[38:39]
	v_fma_f64 v[30:31], v[53:54], v[28:29], -v[30:31]
	v_fma_f64 v[36:37], v[55:56], v[28:29], v[36:37]
	v_fma_f64 v[44:45], v[57:58], v[28:29], -v[44:45]
	v_fma_f64 v[53:54], v[59:60], v[28:29], v[81:82]
	v_fma_f64 v[55:56], v[61:62], v[28:29], -v[83:84]
	v_fma_f64 v[57:58], v[63:64], v[28:29], v[85:86]
	v_fma_f64 v[59:60], v[65:66], v[28:29], -v[87:88]
	v_fma_f64 v[61:62], v[67:68], v[28:29], v[89:90]
	v_fma_f64 v[63:64], v[69:70], v[28:29], -v[91:92]
	v_fma_f64 v[65:66], v[71:72], v[28:29], v[93:94]
	v_fma_f64 v[67:68], v[73:74], v[28:29], -v[95:96]
	v_fma_f64 v[69:70], v[75:76], v[28:29], v[97:98]
	v_fma_f64 v[71:72], v[77:78], v[28:29], -v[99:100]
	v_fma_f64 v[73:74], v[79:80], v[28:29], v[101:102]
	v_add_f64 v[24:25], v[24:25], -v[30:31]
	v_add_f64 v[26:27], v[26:27], -v[36:37]
	;; [unrolled: 1-line block ×14, first 2 shown]
	v_dual_mov_b32 v30, v38 :: v_dual_mov_b32 v31, v39
.LBB16_41:
	s_or_b32 exec_lo, exec_lo, s2
	v_lshl_add_u32 v36, v52, 4, v46
	s_barrier
	buffer_gl0_inv
	v_mov_b32_e32 v44, 2
	ds_store_2addr_b64 v36, v[24:25], v[26:27] offset1:1
	s_waitcnt lgkmcnt(0)
	s_barrier
	buffer_gl0_inv
	ds_load_2addr_b64 v[36:39], v46 offset0:4 offset1:5
	s_cmp_lt_i32 s5, 4
	s_cbranch_scc1 .LBB16_44
; %bb.42:
	v_add3_u32 v45, v51, 0, 48
	v_mov_b32_e32 v44, 2
	s_mov_b32 s6, 3
	s_set_inst_prefetch_distance 0x1
	.p2align	6
.LBB16_43:                              ; =>This Inner Loop Header: Depth=1
	ds_load_2addr_b64 v[53:56], v45 offset1:1
	s_waitcnt lgkmcnt(1)
	v_cmp_gt_f64_e32 vcc_lo, 0, v[36:37]
	v_xor_b32_e32 v57, 0x80000000, v37
	v_cmp_gt_f64_e64 s2, 0, v[38:39]
	v_xor_b32_e32 v59, 0x80000000, v39
	v_add_nc_u32_e32 v45, 16, v45
	s_waitcnt lgkmcnt(0)
	v_cmp_gt_f64_e64 s3, 0, v[53:54]
	v_mov_b32_e32 v61, v53
	v_dual_mov_b32 v63, v55 :: v_dual_cndmask_b32 v58, v37, v57
	v_xor_b32_e32 v57, 0x80000000, v54
	v_cndmask_b32_e64 v60, v39, v59, s2
	v_xor_b32_e32 v59, 0x80000000, v56
	s_delay_alu instid0(VALU_DEP_3) | instskip(SKIP_2) | instid1(VALU_DEP_2)
	v_cndmask_b32_e64 v62, v54, v57, s3
	v_cmp_gt_f64_e64 s3, 0, v[55:56]
	v_cndmask_b32_e32 v57, v36, v36, vcc_lo
	v_cndmask_b32_e64 v64, v56, v59, s3
	v_cndmask_b32_e64 v59, v38, v38, s2
	s_delay_alu instid0(VALU_DEP_2) | instskip(NEXT) | instid1(VALU_DEP_2)
	v_add_f64 v[61:62], v[61:62], v[63:64]
	v_add_f64 v[57:58], v[57:58], v[59:60]
	s_delay_alu instid0(VALU_DEP_1) | instskip(SKIP_4) | instid1(SALU_CYCLE_1)
	v_cmp_lt_f64_e32 vcc_lo, v[57:58], v[61:62]
	v_dual_cndmask_b32 v38, v38, v55 :: v_dual_cndmask_b32 v37, v37, v54
	v_dual_cndmask_b32 v36, v36, v53 :: v_dual_cndmask_b32 v39, v39, v56
	v_cndmask_b32_e64 v44, v44, s6, vcc_lo
	s_add_i32 s6, s6, 1
	s_cmp_lg_u32 s5, s6
	s_cbranch_scc1 .LBB16_43
.LBB16_44:
	s_set_inst_prefetch_distance 0x2
	s_waitcnt lgkmcnt(0)
	v_cmp_eq_f64_e32 vcc_lo, 0, v[36:37]
	v_cmp_eq_f64_e64 s2, 0, v[38:39]
	s_delay_alu instid0(VALU_DEP_1) | instskip(NEXT) | instid1(SALU_CYCLE_1)
	s_and_b32 s2, vcc_lo, s2
	s_and_saveexec_b32 s3, s2
	s_delay_alu instid0(SALU_CYCLE_1)
	s_xor_b32 s2, exec_lo, s3
; %bb.45:
	v_cmp_ne_u32_e32 vcc_lo, 0, v50
	v_cndmask_b32_e32 v50, 3, v50, vcc_lo
; %bb.46:
	s_and_not1_saveexec_b32 s3, s2
	s_cbranch_execz .LBB16_52
; %bb.47:
	v_cmp_gt_f64_e32 vcc_lo, 0, v[36:37]
	v_cmp_gt_f64_e64 s2, 0, v[38:39]
	v_xor_b32_e32 v45, 0x80000000, v37
	v_xor_b32_e32 v53, 0x80000000, v39
	s_delay_alu instid0(VALU_DEP_2) | instskip(NEXT) | instid1(VALU_DEP_2)
	v_cndmask_b32_e32 v54, v37, v45, vcc_lo
	v_cndmask_b32_e64 v56, v39, v53, s2
	v_cndmask_b32_e32 v53, v36, v36, vcc_lo
	v_cndmask_b32_e64 v55, v38, v38, s2
	s_mov_b32 s2, exec_lo
	s_delay_alu instid0(VALU_DEP_1)
	v_cmpx_ngt_f64_e32 v[53:54], v[55:56]
	s_xor_b32 s2, exec_lo, s2
	s_cbranch_execz .LBB16_49
; %bb.48:
	v_div_scale_f64 v[53:54], null, v[38:39], v[38:39], v[36:37]
	v_div_scale_f64 v[59:60], vcc_lo, v[36:37], v[38:39], v[36:37]
	s_delay_alu instid0(VALU_DEP_2) | instskip(SKIP_2) | instid1(VALU_DEP_1)
	v_rcp_f64_e32 v[55:56], v[53:54]
	s_waitcnt_depctr 0xfff
	v_fma_f64 v[57:58], -v[53:54], v[55:56], 1.0
	v_fma_f64 v[55:56], v[55:56], v[57:58], v[55:56]
	s_delay_alu instid0(VALU_DEP_1) | instskip(NEXT) | instid1(VALU_DEP_1)
	v_fma_f64 v[57:58], -v[53:54], v[55:56], 1.0
	v_fma_f64 v[55:56], v[55:56], v[57:58], v[55:56]
	s_delay_alu instid0(VALU_DEP_1) | instskip(NEXT) | instid1(VALU_DEP_1)
	v_mul_f64 v[57:58], v[59:60], v[55:56]
	v_fma_f64 v[53:54], -v[53:54], v[57:58], v[59:60]
	s_delay_alu instid0(VALU_DEP_1) | instskip(NEXT) | instid1(VALU_DEP_1)
	v_div_fmas_f64 v[53:54], v[53:54], v[55:56], v[57:58]
	v_div_fixup_f64 v[53:54], v[53:54], v[38:39], v[36:37]
	s_delay_alu instid0(VALU_DEP_1) | instskip(NEXT) | instid1(VALU_DEP_1)
	v_fma_f64 v[36:37], v[36:37], v[53:54], v[38:39]
	v_div_scale_f64 v[38:39], null, v[36:37], v[36:37], 1.0
	s_delay_alu instid0(VALU_DEP_1) | instskip(SKIP_2) | instid1(VALU_DEP_1)
	v_rcp_f64_e32 v[55:56], v[38:39]
	s_waitcnt_depctr 0xfff
	v_fma_f64 v[57:58], -v[38:39], v[55:56], 1.0
	v_fma_f64 v[55:56], v[55:56], v[57:58], v[55:56]
	s_delay_alu instid0(VALU_DEP_1) | instskip(NEXT) | instid1(VALU_DEP_1)
	v_fma_f64 v[57:58], -v[38:39], v[55:56], 1.0
	v_fma_f64 v[55:56], v[55:56], v[57:58], v[55:56]
	v_div_scale_f64 v[57:58], vcc_lo, 1.0, v[36:37], 1.0
	s_delay_alu instid0(VALU_DEP_1) | instskip(NEXT) | instid1(VALU_DEP_1)
	v_mul_f64 v[59:60], v[57:58], v[55:56]
	v_fma_f64 v[38:39], -v[38:39], v[59:60], v[57:58]
	s_delay_alu instid0(VALU_DEP_1) | instskip(NEXT) | instid1(VALU_DEP_1)
	v_div_fmas_f64 v[38:39], v[38:39], v[55:56], v[59:60]
	v_div_fixup_f64 v[38:39], v[38:39], v[36:37], 1.0
	s_delay_alu instid0(VALU_DEP_1)
	v_mul_f64 v[36:37], v[53:54], v[38:39]
	v_xor_b32_e32 v39, 0x80000000, v39
.LBB16_49:
	s_and_not1_saveexec_b32 s2, s2
	s_cbranch_execz .LBB16_51
; %bb.50:
	s_delay_alu instid0(VALU_DEP_1) | instskip(SKIP_1) | instid1(VALU_DEP_2)
	v_div_scale_f64 v[53:54], null, v[36:37], v[36:37], v[38:39]
	v_div_scale_f64 v[59:60], vcc_lo, v[38:39], v[36:37], v[38:39]
	v_rcp_f64_e32 v[55:56], v[53:54]
	s_waitcnt_depctr 0xfff
	v_fma_f64 v[57:58], -v[53:54], v[55:56], 1.0
	s_delay_alu instid0(VALU_DEP_1) | instskip(NEXT) | instid1(VALU_DEP_1)
	v_fma_f64 v[55:56], v[55:56], v[57:58], v[55:56]
	v_fma_f64 v[57:58], -v[53:54], v[55:56], 1.0
	s_delay_alu instid0(VALU_DEP_1) | instskip(NEXT) | instid1(VALU_DEP_1)
	v_fma_f64 v[55:56], v[55:56], v[57:58], v[55:56]
	v_mul_f64 v[57:58], v[59:60], v[55:56]
	s_delay_alu instid0(VALU_DEP_1) | instskip(NEXT) | instid1(VALU_DEP_1)
	v_fma_f64 v[53:54], -v[53:54], v[57:58], v[59:60]
	v_div_fmas_f64 v[53:54], v[53:54], v[55:56], v[57:58]
	s_delay_alu instid0(VALU_DEP_1) | instskip(NEXT) | instid1(VALU_DEP_1)
	v_div_fixup_f64 v[53:54], v[53:54], v[36:37], v[38:39]
	v_fma_f64 v[36:37], v[38:39], v[53:54], v[36:37]
	s_delay_alu instid0(VALU_DEP_1) | instskip(NEXT) | instid1(VALU_DEP_1)
	v_div_scale_f64 v[38:39], null, v[36:37], v[36:37], 1.0
	v_rcp_f64_e32 v[55:56], v[38:39]
	s_waitcnt_depctr 0xfff
	v_fma_f64 v[57:58], -v[38:39], v[55:56], 1.0
	s_delay_alu instid0(VALU_DEP_1) | instskip(NEXT) | instid1(VALU_DEP_1)
	v_fma_f64 v[55:56], v[55:56], v[57:58], v[55:56]
	v_fma_f64 v[57:58], -v[38:39], v[55:56], 1.0
	s_delay_alu instid0(VALU_DEP_1) | instskip(SKIP_1) | instid1(VALU_DEP_1)
	v_fma_f64 v[55:56], v[55:56], v[57:58], v[55:56]
	v_div_scale_f64 v[57:58], vcc_lo, 1.0, v[36:37], 1.0
	v_mul_f64 v[59:60], v[57:58], v[55:56]
	s_delay_alu instid0(VALU_DEP_1) | instskip(NEXT) | instid1(VALU_DEP_1)
	v_fma_f64 v[38:39], -v[38:39], v[59:60], v[57:58]
	v_div_fmas_f64 v[38:39], v[38:39], v[55:56], v[59:60]
	s_delay_alu instid0(VALU_DEP_1) | instskip(NEXT) | instid1(VALU_DEP_1)
	v_div_fixup_f64 v[36:37], v[38:39], v[36:37], 1.0
	v_mul_f64 v[38:39], v[53:54], -v[36:37]
.LBB16_51:
	s_or_b32 exec_lo, exec_lo, s2
.LBB16_52:
	s_delay_alu instid0(SALU_CYCLE_1) | instskip(NEXT) | instid1(SALU_CYCLE_1)
	s_or_b32 exec_lo, exec_lo, s3
	s_mov_b32 s2, exec_lo
	v_cmpx_ne_u32_e64 v52, v44
	s_xor_b32 s2, exec_lo, s2
	s_cbranch_execz .LBB16_58
; %bb.53:
	s_mov_b32 s3, exec_lo
	v_cmpx_eq_u32_e32 2, v52
	s_cbranch_execz .LBB16_57
; %bb.54:
	v_cmp_ne_u32_e32 vcc_lo, 2, v44
	s_xor_b32 s6, s4, -1
	s_delay_alu instid0(SALU_CYCLE_1) | instskip(NEXT) | instid1(SALU_CYCLE_1)
	s_and_b32 s7, s6, vcc_lo
	s_and_saveexec_b32 s6, s7
	s_cbranch_execz .LBB16_56
; %bb.55:
	v_ashrrev_i32_e32 v45, 31, v44
	s_delay_alu instid0(VALU_DEP_1) | instskip(NEXT) | instid1(VALU_DEP_1)
	v_lshlrev_b64 v[52:53], 2, v[44:45]
	v_add_co_u32 v52, vcc_lo, v42, v52
	s_delay_alu instid0(VALU_DEP_2)
	v_add_co_ci_u32_e32 v53, vcc_lo, v43, v53, vcc_lo
	s_clause 0x1
	flat_load_b32 v45, v[52:53]
	flat_load_b32 v49, v[42:43] offset:8
	s_waitcnt vmcnt(1) lgkmcnt(1)
	flat_store_b32 v[42:43], v45 offset:8
	s_waitcnt vmcnt(0) lgkmcnt(1)
	flat_store_b32 v[52:53], v49
.LBB16_56:
	s_or_b32 exec_lo, exec_lo, s6
	v_mov_b32_e32 v52, v44
	v_mov_b32_e32 v49, v44
.LBB16_57:
	s_or_b32 exec_lo, exec_lo, s3
.LBB16_58:
	s_and_not1_saveexec_b32 s2, s2
	s_cbranch_execz .LBB16_60
; %bb.59:
	v_mov_b32_e32 v52, 2
	ds_store_2addr_b64 v46, v[20:21], v[22:23] offset0:6 offset1:7
	ds_store_2addr_b64 v46, v[16:17], v[18:19] offset0:8 offset1:9
	;; [unrolled: 1-line block ×6, first 2 shown]
.LBB16_60:
	s_or_b32 exec_lo, exec_lo, s2
	s_delay_alu instid0(SALU_CYCLE_1)
	s_mov_b32 s2, exec_lo
	s_waitcnt lgkmcnt(0)
	s_waitcnt_vscnt null, 0x0
	s_barrier
	buffer_gl0_inv
	v_cmpx_lt_i32_e32 2, v52
	s_cbranch_execz .LBB16_62
; %bb.61:
	v_mul_f64 v[44:45], v[36:37], v[26:27]
	v_mul_f64 v[26:27], v[38:39], v[26:27]
	ds_load_2addr_b64 v[53:56], v46 offset0:6 offset1:7
	ds_load_2addr_b64 v[57:60], v46 offset0:8 offset1:9
	ds_load_2addr_b64 v[61:64], v46 offset0:10 offset1:11
	ds_load_2addr_b64 v[65:68], v46 offset0:12 offset1:13
	ds_load_2addr_b64 v[69:72], v46 offset0:14 offset1:15
	ds_load_2addr_b64 v[73:76], v46 offset0:16 offset1:17
	v_fma_f64 v[38:39], v[38:39], v[24:25], v[44:45]
	v_fma_f64 v[24:25], v[36:37], v[24:25], -v[26:27]
	s_waitcnt lgkmcnt(5)
	s_delay_alu instid0(VALU_DEP_2)
	v_mul_f64 v[26:27], v[55:56], v[38:39]
	v_mul_f64 v[36:37], v[53:54], v[38:39]
	s_waitcnt lgkmcnt(4)
	v_mul_f64 v[44:45], v[59:60], v[38:39]
	v_mul_f64 v[77:78], v[57:58], v[38:39]
	s_waitcnt lgkmcnt(3)
	;; [unrolled: 3-line block ×5, first 2 shown]
	v_mul_f64 v[91:92], v[75:76], v[38:39]
	v_mul_f64 v[93:94], v[73:74], v[38:39]
	v_fma_f64 v[26:27], v[53:54], v[24:25], -v[26:27]
	v_fma_f64 v[36:37], v[55:56], v[24:25], v[36:37]
	v_fma_f64 v[44:45], v[57:58], v[24:25], -v[44:45]
	v_fma_f64 v[53:54], v[59:60], v[24:25], v[77:78]
	;; [unrolled: 2-line block ×6, first 2 shown]
	v_add_f64 v[20:21], v[20:21], -v[26:27]
	v_add_f64 v[22:23], v[22:23], -v[36:37]
	v_add_f64 v[16:17], v[16:17], -v[44:45]
	v_add_f64 v[18:19], v[18:19], -v[53:54]
	v_add_f64 v[12:13], v[12:13], -v[55:56]
	v_add_f64 v[14:15], v[14:15], -v[57:58]
	v_add_f64 v[8:9], v[8:9], -v[59:60]
	v_add_f64 v[10:11], v[10:11], -v[61:62]
	v_add_f64 v[4:5], v[4:5], -v[63:64]
	v_add_f64 v[6:7], v[6:7], -v[65:66]
	v_add_f64 v[0:1], v[0:1], -v[67:68]
	v_add_f64 v[2:3], v[2:3], -v[69:70]
	v_dual_mov_b32 v26, v38 :: v_dual_mov_b32 v27, v39
.LBB16_62:
	s_or_b32 exec_lo, exec_lo, s2
	v_lshl_add_u32 v36, v52, 4, v46
	s_barrier
	buffer_gl0_inv
	v_mov_b32_e32 v44, 3
	ds_store_2addr_b64 v36, v[20:21], v[22:23] offset1:1
	s_waitcnt lgkmcnt(0)
	s_barrier
	buffer_gl0_inv
	ds_load_2addr_b64 v[36:39], v46 offset0:6 offset1:7
	s_cmp_lt_i32 s5, 5
	s_mov_b32 s6, 4
	s_cbranch_scc1 .LBB16_65
; %bb.63:
	v_add3_u32 v45, v51, 0, 64
	v_mov_b32_e32 v44, 3
	s_set_inst_prefetch_distance 0x1
	.p2align	6
.LBB16_64:                              ; =>This Inner Loop Header: Depth=1
	ds_load_2addr_b64 v[53:56], v45 offset1:1
	s_waitcnt lgkmcnt(1)
	v_cmp_gt_f64_e32 vcc_lo, 0, v[36:37]
	v_xor_b32_e32 v57, 0x80000000, v37
	v_cmp_gt_f64_e64 s2, 0, v[38:39]
	v_xor_b32_e32 v59, 0x80000000, v39
	v_add_nc_u32_e32 v45, 16, v45
	s_waitcnt lgkmcnt(0)
	v_cmp_gt_f64_e64 s3, 0, v[53:54]
	v_mov_b32_e32 v61, v53
	v_dual_mov_b32 v63, v55 :: v_dual_cndmask_b32 v58, v37, v57
	v_xor_b32_e32 v57, 0x80000000, v54
	v_cndmask_b32_e64 v60, v39, v59, s2
	v_xor_b32_e32 v59, 0x80000000, v56
	s_delay_alu instid0(VALU_DEP_3) | instskip(SKIP_2) | instid1(VALU_DEP_2)
	v_cndmask_b32_e64 v62, v54, v57, s3
	v_cmp_gt_f64_e64 s3, 0, v[55:56]
	v_cndmask_b32_e32 v57, v36, v36, vcc_lo
	v_cndmask_b32_e64 v64, v56, v59, s3
	v_cndmask_b32_e64 v59, v38, v38, s2
	s_delay_alu instid0(VALU_DEP_2) | instskip(NEXT) | instid1(VALU_DEP_2)
	v_add_f64 v[61:62], v[61:62], v[63:64]
	v_add_f64 v[57:58], v[57:58], v[59:60]
	s_delay_alu instid0(VALU_DEP_1) | instskip(SKIP_4) | instid1(SALU_CYCLE_1)
	v_cmp_lt_f64_e32 vcc_lo, v[57:58], v[61:62]
	v_dual_cndmask_b32 v38, v38, v55 :: v_dual_cndmask_b32 v37, v37, v54
	v_dual_cndmask_b32 v36, v36, v53 :: v_dual_cndmask_b32 v39, v39, v56
	v_cndmask_b32_e64 v44, v44, s6, vcc_lo
	s_add_i32 s6, s6, 1
	s_cmp_lg_u32 s5, s6
	s_cbranch_scc1 .LBB16_64
.LBB16_65:
	s_set_inst_prefetch_distance 0x2
	s_waitcnt lgkmcnt(0)
	v_cmp_eq_f64_e32 vcc_lo, 0, v[36:37]
	v_cmp_eq_f64_e64 s2, 0, v[38:39]
	s_delay_alu instid0(VALU_DEP_1) | instskip(NEXT) | instid1(SALU_CYCLE_1)
	s_and_b32 s2, vcc_lo, s2
	s_and_saveexec_b32 s3, s2
	s_delay_alu instid0(SALU_CYCLE_1)
	s_xor_b32 s2, exec_lo, s3
; %bb.66:
	v_cmp_ne_u32_e32 vcc_lo, 0, v50
	v_cndmask_b32_e32 v50, 4, v50, vcc_lo
; %bb.67:
	s_and_not1_saveexec_b32 s3, s2
	s_cbranch_execz .LBB16_73
; %bb.68:
	v_cmp_gt_f64_e32 vcc_lo, 0, v[36:37]
	v_cmp_gt_f64_e64 s2, 0, v[38:39]
	v_xor_b32_e32 v45, 0x80000000, v37
	v_xor_b32_e32 v53, 0x80000000, v39
	s_delay_alu instid0(VALU_DEP_2) | instskip(NEXT) | instid1(VALU_DEP_2)
	v_cndmask_b32_e32 v54, v37, v45, vcc_lo
	v_cndmask_b32_e64 v56, v39, v53, s2
	v_cndmask_b32_e32 v53, v36, v36, vcc_lo
	v_cndmask_b32_e64 v55, v38, v38, s2
	s_mov_b32 s2, exec_lo
	s_delay_alu instid0(VALU_DEP_1)
	v_cmpx_ngt_f64_e32 v[53:54], v[55:56]
	s_xor_b32 s2, exec_lo, s2
	s_cbranch_execz .LBB16_70
; %bb.69:
	v_div_scale_f64 v[53:54], null, v[38:39], v[38:39], v[36:37]
	v_div_scale_f64 v[59:60], vcc_lo, v[36:37], v[38:39], v[36:37]
	s_delay_alu instid0(VALU_DEP_2) | instskip(SKIP_2) | instid1(VALU_DEP_1)
	v_rcp_f64_e32 v[55:56], v[53:54]
	s_waitcnt_depctr 0xfff
	v_fma_f64 v[57:58], -v[53:54], v[55:56], 1.0
	v_fma_f64 v[55:56], v[55:56], v[57:58], v[55:56]
	s_delay_alu instid0(VALU_DEP_1) | instskip(NEXT) | instid1(VALU_DEP_1)
	v_fma_f64 v[57:58], -v[53:54], v[55:56], 1.0
	v_fma_f64 v[55:56], v[55:56], v[57:58], v[55:56]
	s_delay_alu instid0(VALU_DEP_1) | instskip(NEXT) | instid1(VALU_DEP_1)
	v_mul_f64 v[57:58], v[59:60], v[55:56]
	v_fma_f64 v[53:54], -v[53:54], v[57:58], v[59:60]
	s_delay_alu instid0(VALU_DEP_1) | instskip(NEXT) | instid1(VALU_DEP_1)
	v_div_fmas_f64 v[53:54], v[53:54], v[55:56], v[57:58]
	v_div_fixup_f64 v[53:54], v[53:54], v[38:39], v[36:37]
	s_delay_alu instid0(VALU_DEP_1) | instskip(NEXT) | instid1(VALU_DEP_1)
	v_fma_f64 v[36:37], v[36:37], v[53:54], v[38:39]
	v_div_scale_f64 v[38:39], null, v[36:37], v[36:37], 1.0
	s_delay_alu instid0(VALU_DEP_1) | instskip(SKIP_2) | instid1(VALU_DEP_1)
	v_rcp_f64_e32 v[55:56], v[38:39]
	s_waitcnt_depctr 0xfff
	v_fma_f64 v[57:58], -v[38:39], v[55:56], 1.0
	v_fma_f64 v[55:56], v[55:56], v[57:58], v[55:56]
	s_delay_alu instid0(VALU_DEP_1) | instskip(NEXT) | instid1(VALU_DEP_1)
	v_fma_f64 v[57:58], -v[38:39], v[55:56], 1.0
	v_fma_f64 v[55:56], v[55:56], v[57:58], v[55:56]
	v_div_scale_f64 v[57:58], vcc_lo, 1.0, v[36:37], 1.0
	s_delay_alu instid0(VALU_DEP_1) | instskip(NEXT) | instid1(VALU_DEP_1)
	v_mul_f64 v[59:60], v[57:58], v[55:56]
	v_fma_f64 v[38:39], -v[38:39], v[59:60], v[57:58]
	s_delay_alu instid0(VALU_DEP_1) | instskip(NEXT) | instid1(VALU_DEP_1)
	v_div_fmas_f64 v[38:39], v[38:39], v[55:56], v[59:60]
	v_div_fixup_f64 v[38:39], v[38:39], v[36:37], 1.0
	s_delay_alu instid0(VALU_DEP_1)
	v_mul_f64 v[36:37], v[53:54], v[38:39]
	v_xor_b32_e32 v39, 0x80000000, v39
.LBB16_70:
	s_and_not1_saveexec_b32 s2, s2
	s_cbranch_execz .LBB16_72
; %bb.71:
	s_delay_alu instid0(VALU_DEP_1) | instskip(SKIP_1) | instid1(VALU_DEP_2)
	v_div_scale_f64 v[53:54], null, v[36:37], v[36:37], v[38:39]
	v_div_scale_f64 v[59:60], vcc_lo, v[38:39], v[36:37], v[38:39]
	v_rcp_f64_e32 v[55:56], v[53:54]
	s_waitcnt_depctr 0xfff
	v_fma_f64 v[57:58], -v[53:54], v[55:56], 1.0
	s_delay_alu instid0(VALU_DEP_1) | instskip(NEXT) | instid1(VALU_DEP_1)
	v_fma_f64 v[55:56], v[55:56], v[57:58], v[55:56]
	v_fma_f64 v[57:58], -v[53:54], v[55:56], 1.0
	s_delay_alu instid0(VALU_DEP_1) | instskip(NEXT) | instid1(VALU_DEP_1)
	v_fma_f64 v[55:56], v[55:56], v[57:58], v[55:56]
	v_mul_f64 v[57:58], v[59:60], v[55:56]
	s_delay_alu instid0(VALU_DEP_1) | instskip(NEXT) | instid1(VALU_DEP_1)
	v_fma_f64 v[53:54], -v[53:54], v[57:58], v[59:60]
	v_div_fmas_f64 v[53:54], v[53:54], v[55:56], v[57:58]
	s_delay_alu instid0(VALU_DEP_1) | instskip(NEXT) | instid1(VALU_DEP_1)
	v_div_fixup_f64 v[53:54], v[53:54], v[36:37], v[38:39]
	v_fma_f64 v[36:37], v[38:39], v[53:54], v[36:37]
	s_delay_alu instid0(VALU_DEP_1) | instskip(NEXT) | instid1(VALU_DEP_1)
	v_div_scale_f64 v[38:39], null, v[36:37], v[36:37], 1.0
	v_rcp_f64_e32 v[55:56], v[38:39]
	s_waitcnt_depctr 0xfff
	v_fma_f64 v[57:58], -v[38:39], v[55:56], 1.0
	s_delay_alu instid0(VALU_DEP_1) | instskip(NEXT) | instid1(VALU_DEP_1)
	v_fma_f64 v[55:56], v[55:56], v[57:58], v[55:56]
	v_fma_f64 v[57:58], -v[38:39], v[55:56], 1.0
	s_delay_alu instid0(VALU_DEP_1) | instskip(SKIP_1) | instid1(VALU_DEP_1)
	v_fma_f64 v[55:56], v[55:56], v[57:58], v[55:56]
	v_div_scale_f64 v[57:58], vcc_lo, 1.0, v[36:37], 1.0
	v_mul_f64 v[59:60], v[57:58], v[55:56]
	s_delay_alu instid0(VALU_DEP_1) | instskip(NEXT) | instid1(VALU_DEP_1)
	v_fma_f64 v[38:39], -v[38:39], v[59:60], v[57:58]
	v_div_fmas_f64 v[38:39], v[38:39], v[55:56], v[59:60]
	s_delay_alu instid0(VALU_DEP_1) | instskip(NEXT) | instid1(VALU_DEP_1)
	v_div_fixup_f64 v[36:37], v[38:39], v[36:37], 1.0
	v_mul_f64 v[38:39], v[53:54], -v[36:37]
.LBB16_72:
	s_or_b32 exec_lo, exec_lo, s2
.LBB16_73:
	s_delay_alu instid0(SALU_CYCLE_1) | instskip(NEXT) | instid1(SALU_CYCLE_1)
	s_or_b32 exec_lo, exec_lo, s3
	s_mov_b32 s2, exec_lo
	v_cmpx_ne_u32_e64 v52, v44
	s_xor_b32 s2, exec_lo, s2
	s_cbranch_execz .LBB16_79
; %bb.74:
	s_mov_b32 s3, exec_lo
	v_cmpx_eq_u32_e32 3, v52
	s_cbranch_execz .LBB16_78
; %bb.75:
	v_cmp_ne_u32_e32 vcc_lo, 3, v44
	s_xor_b32 s6, s4, -1
	s_delay_alu instid0(SALU_CYCLE_1) | instskip(NEXT) | instid1(SALU_CYCLE_1)
	s_and_b32 s7, s6, vcc_lo
	s_and_saveexec_b32 s6, s7
	s_cbranch_execz .LBB16_77
; %bb.76:
	v_ashrrev_i32_e32 v45, 31, v44
	s_delay_alu instid0(VALU_DEP_1) | instskip(NEXT) | instid1(VALU_DEP_1)
	v_lshlrev_b64 v[52:53], 2, v[44:45]
	v_add_co_u32 v52, vcc_lo, v42, v52
	s_delay_alu instid0(VALU_DEP_2)
	v_add_co_ci_u32_e32 v53, vcc_lo, v43, v53, vcc_lo
	s_clause 0x1
	flat_load_b32 v45, v[52:53]
	flat_load_b32 v49, v[42:43] offset:12
	s_waitcnt vmcnt(1) lgkmcnt(1)
	flat_store_b32 v[42:43], v45 offset:12
	s_waitcnt vmcnt(0) lgkmcnt(1)
	flat_store_b32 v[52:53], v49
.LBB16_77:
	s_or_b32 exec_lo, exec_lo, s6
	v_mov_b32_e32 v52, v44
	v_mov_b32_e32 v49, v44
.LBB16_78:
	s_or_b32 exec_lo, exec_lo, s3
.LBB16_79:
	s_and_not1_saveexec_b32 s2, s2
	s_cbranch_execz .LBB16_81
; %bb.80:
	v_mov_b32_e32 v52, 3
	ds_store_2addr_b64 v46, v[16:17], v[18:19] offset0:8 offset1:9
	ds_store_2addr_b64 v46, v[12:13], v[14:15] offset0:10 offset1:11
	;; [unrolled: 1-line block ×5, first 2 shown]
.LBB16_81:
	s_or_b32 exec_lo, exec_lo, s2
	s_delay_alu instid0(SALU_CYCLE_1)
	s_mov_b32 s2, exec_lo
	s_waitcnt lgkmcnt(0)
	s_waitcnt_vscnt null, 0x0
	s_barrier
	buffer_gl0_inv
	v_cmpx_lt_i32_e32 3, v52
	s_cbranch_execz .LBB16_83
; %bb.82:
	v_mul_f64 v[44:45], v[36:37], v[22:23]
	v_mul_f64 v[22:23], v[38:39], v[22:23]
	ds_load_2addr_b64 v[53:56], v46 offset0:8 offset1:9
	ds_load_2addr_b64 v[57:60], v46 offset0:10 offset1:11
	;; [unrolled: 1-line block ×5, first 2 shown]
	v_fma_f64 v[38:39], v[38:39], v[20:21], v[44:45]
	v_fma_f64 v[20:21], v[36:37], v[20:21], -v[22:23]
	s_waitcnt lgkmcnt(4)
	s_delay_alu instid0(VALU_DEP_2)
	v_mul_f64 v[22:23], v[55:56], v[38:39]
	v_mul_f64 v[36:37], v[53:54], v[38:39]
	s_waitcnt lgkmcnt(3)
	v_mul_f64 v[44:45], v[59:60], v[38:39]
	v_mul_f64 v[73:74], v[57:58], v[38:39]
	s_waitcnt lgkmcnt(2)
	;; [unrolled: 3-line block ×4, first 2 shown]
	v_mul_f64 v[83:84], v[71:72], v[38:39]
	v_mul_f64 v[85:86], v[69:70], v[38:39]
	v_fma_f64 v[22:23], v[53:54], v[20:21], -v[22:23]
	v_fma_f64 v[36:37], v[55:56], v[20:21], v[36:37]
	v_fma_f64 v[44:45], v[57:58], v[20:21], -v[44:45]
	v_fma_f64 v[53:54], v[59:60], v[20:21], v[73:74]
	;; [unrolled: 2-line block ×5, first 2 shown]
	v_add_f64 v[16:17], v[16:17], -v[22:23]
	v_add_f64 v[18:19], v[18:19], -v[36:37]
	;; [unrolled: 1-line block ×10, first 2 shown]
	v_dual_mov_b32 v22, v38 :: v_dual_mov_b32 v23, v39
.LBB16_83:
	s_or_b32 exec_lo, exec_lo, s2
	v_lshl_add_u32 v36, v52, 4, v46
	s_barrier
	buffer_gl0_inv
	v_mov_b32_e32 v44, 4
	ds_store_2addr_b64 v36, v[16:17], v[18:19] offset1:1
	s_waitcnt lgkmcnt(0)
	s_barrier
	buffer_gl0_inv
	ds_load_2addr_b64 v[36:39], v46 offset0:8 offset1:9
	s_cmp_lt_i32 s5, 6
	s_cbranch_scc1 .LBB16_86
; %bb.84:
	v_add3_u32 v45, v51, 0, 0x50
	v_mov_b32_e32 v44, 4
	s_mov_b32 s6, 5
	s_set_inst_prefetch_distance 0x1
	.p2align	6
.LBB16_85:                              ; =>This Inner Loop Header: Depth=1
	ds_load_2addr_b64 v[53:56], v45 offset1:1
	s_waitcnt lgkmcnt(1)
	v_cmp_gt_f64_e32 vcc_lo, 0, v[36:37]
	v_xor_b32_e32 v57, 0x80000000, v37
	v_cmp_gt_f64_e64 s2, 0, v[38:39]
	v_xor_b32_e32 v59, 0x80000000, v39
	v_add_nc_u32_e32 v45, 16, v45
	s_waitcnt lgkmcnt(0)
	v_cmp_gt_f64_e64 s3, 0, v[53:54]
	v_mov_b32_e32 v61, v53
	v_dual_mov_b32 v63, v55 :: v_dual_cndmask_b32 v58, v37, v57
	v_xor_b32_e32 v57, 0x80000000, v54
	v_cndmask_b32_e64 v60, v39, v59, s2
	v_xor_b32_e32 v59, 0x80000000, v56
	s_delay_alu instid0(VALU_DEP_3) | instskip(SKIP_2) | instid1(VALU_DEP_2)
	v_cndmask_b32_e64 v62, v54, v57, s3
	v_cmp_gt_f64_e64 s3, 0, v[55:56]
	v_cndmask_b32_e32 v57, v36, v36, vcc_lo
	v_cndmask_b32_e64 v64, v56, v59, s3
	v_cndmask_b32_e64 v59, v38, v38, s2
	s_delay_alu instid0(VALU_DEP_2) | instskip(NEXT) | instid1(VALU_DEP_2)
	v_add_f64 v[61:62], v[61:62], v[63:64]
	v_add_f64 v[57:58], v[57:58], v[59:60]
	s_delay_alu instid0(VALU_DEP_1) | instskip(SKIP_4) | instid1(SALU_CYCLE_1)
	v_cmp_lt_f64_e32 vcc_lo, v[57:58], v[61:62]
	v_dual_cndmask_b32 v38, v38, v55 :: v_dual_cndmask_b32 v37, v37, v54
	v_dual_cndmask_b32 v36, v36, v53 :: v_dual_cndmask_b32 v39, v39, v56
	v_cndmask_b32_e64 v44, v44, s6, vcc_lo
	s_add_i32 s6, s6, 1
	s_cmp_lg_u32 s5, s6
	s_cbranch_scc1 .LBB16_85
.LBB16_86:
	s_set_inst_prefetch_distance 0x2
	s_waitcnt lgkmcnt(0)
	v_cmp_eq_f64_e32 vcc_lo, 0, v[36:37]
	v_cmp_eq_f64_e64 s2, 0, v[38:39]
	s_delay_alu instid0(VALU_DEP_1) | instskip(NEXT) | instid1(SALU_CYCLE_1)
	s_and_b32 s2, vcc_lo, s2
	s_and_saveexec_b32 s3, s2
	s_delay_alu instid0(SALU_CYCLE_1)
	s_xor_b32 s2, exec_lo, s3
; %bb.87:
	v_cmp_ne_u32_e32 vcc_lo, 0, v50
	v_cndmask_b32_e32 v50, 5, v50, vcc_lo
; %bb.88:
	s_and_not1_saveexec_b32 s3, s2
	s_cbranch_execz .LBB16_94
; %bb.89:
	v_cmp_gt_f64_e32 vcc_lo, 0, v[36:37]
	v_cmp_gt_f64_e64 s2, 0, v[38:39]
	v_xor_b32_e32 v45, 0x80000000, v37
	v_xor_b32_e32 v53, 0x80000000, v39
	s_delay_alu instid0(VALU_DEP_2) | instskip(NEXT) | instid1(VALU_DEP_2)
	v_cndmask_b32_e32 v54, v37, v45, vcc_lo
	v_cndmask_b32_e64 v56, v39, v53, s2
	v_cndmask_b32_e32 v53, v36, v36, vcc_lo
	v_cndmask_b32_e64 v55, v38, v38, s2
	s_mov_b32 s2, exec_lo
	s_delay_alu instid0(VALU_DEP_1)
	v_cmpx_ngt_f64_e32 v[53:54], v[55:56]
	s_xor_b32 s2, exec_lo, s2
	s_cbranch_execz .LBB16_91
; %bb.90:
	v_div_scale_f64 v[53:54], null, v[38:39], v[38:39], v[36:37]
	v_div_scale_f64 v[59:60], vcc_lo, v[36:37], v[38:39], v[36:37]
	s_delay_alu instid0(VALU_DEP_2) | instskip(SKIP_2) | instid1(VALU_DEP_1)
	v_rcp_f64_e32 v[55:56], v[53:54]
	s_waitcnt_depctr 0xfff
	v_fma_f64 v[57:58], -v[53:54], v[55:56], 1.0
	v_fma_f64 v[55:56], v[55:56], v[57:58], v[55:56]
	s_delay_alu instid0(VALU_DEP_1) | instskip(NEXT) | instid1(VALU_DEP_1)
	v_fma_f64 v[57:58], -v[53:54], v[55:56], 1.0
	v_fma_f64 v[55:56], v[55:56], v[57:58], v[55:56]
	s_delay_alu instid0(VALU_DEP_1) | instskip(NEXT) | instid1(VALU_DEP_1)
	v_mul_f64 v[57:58], v[59:60], v[55:56]
	v_fma_f64 v[53:54], -v[53:54], v[57:58], v[59:60]
	s_delay_alu instid0(VALU_DEP_1) | instskip(NEXT) | instid1(VALU_DEP_1)
	v_div_fmas_f64 v[53:54], v[53:54], v[55:56], v[57:58]
	v_div_fixup_f64 v[53:54], v[53:54], v[38:39], v[36:37]
	s_delay_alu instid0(VALU_DEP_1) | instskip(NEXT) | instid1(VALU_DEP_1)
	v_fma_f64 v[36:37], v[36:37], v[53:54], v[38:39]
	v_div_scale_f64 v[38:39], null, v[36:37], v[36:37], 1.0
	s_delay_alu instid0(VALU_DEP_1) | instskip(SKIP_2) | instid1(VALU_DEP_1)
	v_rcp_f64_e32 v[55:56], v[38:39]
	s_waitcnt_depctr 0xfff
	v_fma_f64 v[57:58], -v[38:39], v[55:56], 1.0
	v_fma_f64 v[55:56], v[55:56], v[57:58], v[55:56]
	s_delay_alu instid0(VALU_DEP_1) | instskip(NEXT) | instid1(VALU_DEP_1)
	v_fma_f64 v[57:58], -v[38:39], v[55:56], 1.0
	v_fma_f64 v[55:56], v[55:56], v[57:58], v[55:56]
	v_div_scale_f64 v[57:58], vcc_lo, 1.0, v[36:37], 1.0
	s_delay_alu instid0(VALU_DEP_1) | instskip(NEXT) | instid1(VALU_DEP_1)
	v_mul_f64 v[59:60], v[57:58], v[55:56]
	v_fma_f64 v[38:39], -v[38:39], v[59:60], v[57:58]
	s_delay_alu instid0(VALU_DEP_1) | instskip(NEXT) | instid1(VALU_DEP_1)
	v_div_fmas_f64 v[38:39], v[38:39], v[55:56], v[59:60]
	v_div_fixup_f64 v[38:39], v[38:39], v[36:37], 1.0
	s_delay_alu instid0(VALU_DEP_1)
	v_mul_f64 v[36:37], v[53:54], v[38:39]
	v_xor_b32_e32 v39, 0x80000000, v39
.LBB16_91:
	s_and_not1_saveexec_b32 s2, s2
	s_cbranch_execz .LBB16_93
; %bb.92:
	s_delay_alu instid0(VALU_DEP_1) | instskip(SKIP_1) | instid1(VALU_DEP_2)
	v_div_scale_f64 v[53:54], null, v[36:37], v[36:37], v[38:39]
	v_div_scale_f64 v[59:60], vcc_lo, v[38:39], v[36:37], v[38:39]
	v_rcp_f64_e32 v[55:56], v[53:54]
	s_waitcnt_depctr 0xfff
	v_fma_f64 v[57:58], -v[53:54], v[55:56], 1.0
	s_delay_alu instid0(VALU_DEP_1) | instskip(NEXT) | instid1(VALU_DEP_1)
	v_fma_f64 v[55:56], v[55:56], v[57:58], v[55:56]
	v_fma_f64 v[57:58], -v[53:54], v[55:56], 1.0
	s_delay_alu instid0(VALU_DEP_1) | instskip(NEXT) | instid1(VALU_DEP_1)
	v_fma_f64 v[55:56], v[55:56], v[57:58], v[55:56]
	v_mul_f64 v[57:58], v[59:60], v[55:56]
	s_delay_alu instid0(VALU_DEP_1) | instskip(NEXT) | instid1(VALU_DEP_1)
	v_fma_f64 v[53:54], -v[53:54], v[57:58], v[59:60]
	v_div_fmas_f64 v[53:54], v[53:54], v[55:56], v[57:58]
	s_delay_alu instid0(VALU_DEP_1) | instskip(NEXT) | instid1(VALU_DEP_1)
	v_div_fixup_f64 v[53:54], v[53:54], v[36:37], v[38:39]
	v_fma_f64 v[36:37], v[38:39], v[53:54], v[36:37]
	s_delay_alu instid0(VALU_DEP_1) | instskip(NEXT) | instid1(VALU_DEP_1)
	v_div_scale_f64 v[38:39], null, v[36:37], v[36:37], 1.0
	v_rcp_f64_e32 v[55:56], v[38:39]
	s_waitcnt_depctr 0xfff
	v_fma_f64 v[57:58], -v[38:39], v[55:56], 1.0
	s_delay_alu instid0(VALU_DEP_1) | instskip(NEXT) | instid1(VALU_DEP_1)
	v_fma_f64 v[55:56], v[55:56], v[57:58], v[55:56]
	v_fma_f64 v[57:58], -v[38:39], v[55:56], 1.0
	s_delay_alu instid0(VALU_DEP_1) | instskip(SKIP_1) | instid1(VALU_DEP_1)
	v_fma_f64 v[55:56], v[55:56], v[57:58], v[55:56]
	v_div_scale_f64 v[57:58], vcc_lo, 1.0, v[36:37], 1.0
	v_mul_f64 v[59:60], v[57:58], v[55:56]
	s_delay_alu instid0(VALU_DEP_1) | instskip(NEXT) | instid1(VALU_DEP_1)
	v_fma_f64 v[38:39], -v[38:39], v[59:60], v[57:58]
	v_div_fmas_f64 v[38:39], v[38:39], v[55:56], v[59:60]
	s_delay_alu instid0(VALU_DEP_1) | instskip(NEXT) | instid1(VALU_DEP_1)
	v_div_fixup_f64 v[36:37], v[38:39], v[36:37], 1.0
	v_mul_f64 v[38:39], v[53:54], -v[36:37]
.LBB16_93:
	s_or_b32 exec_lo, exec_lo, s2
.LBB16_94:
	s_delay_alu instid0(SALU_CYCLE_1) | instskip(NEXT) | instid1(SALU_CYCLE_1)
	s_or_b32 exec_lo, exec_lo, s3
	s_mov_b32 s2, exec_lo
	v_cmpx_ne_u32_e64 v52, v44
	s_xor_b32 s2, exec_lo, s2
	s_cbranch_execz .LBB16_100
; %bb.95:
	s_mov_b32 s3, exec_lo
	v_cmpx_eq_u32_e32 4, v52
	s_cbranch_execz .LBB16_99
; %bb.96:
	v_cmp_ne_u32_e32 vcc_lo, 4, v44
	s_xor_b32 s6, s4, -1
	s_delay_alu instid0(SALU_CYCLE_1) | instskip(NEXT) | instid1(SALU_CYCLE_1)
	s_and_b32 s7, s6, vcc_lo
	s_and_saveexec_b32 s6, s7
	s_cbranch_execz .LBB16_98
; %bb.97:
	v_ashrrev_i32_e32 v45, 31, v44
	s_delay_alu instid0(VALU_DEP_1) | instskip(NEXT) | instid1(VALU_DEP_1)
	v_lshlrev_b64 v[52:53], 2, v[44:45]
	v_add_co_u32 v52, vcc_lo, v42, v52
	s_delay_alu instid0(VALU_DEP_2)
	v_add_co_ci_u32_e32 v53, vcc_lo, v43, v53, vcc_lo
	s_clause 0x1
	flat_load_b32 v45, v[52:53]
	flat_load_b32 v49, v[42:43] offset:16
	s_waitcnt vmcnt(1) lgkmcnt(1)
	flat_store_b32 v[42:43], v45 offset:16
	s_waitcnt vmcnt(0) lgkmcnt(1)
	flat_store_b32 v[52:53], v49
.LBB16_98:
	s_or_b32 exec_lo, exec_lo, s6
	v_mov_b32_e32 v52, v44
	v_mov_b32_e32 v49, v44
.LBB16_99:
	s_or_b32 exec_lo, exec_lo, s3
.LBB16_100:
	s_and_not1_saveexec_b32 s2, s2
	s_cbranch_execz .LBB16_102
; %bb.101:
	v_mov_b32_e32 v52, 4
	ds_store_2addr_b64 v46, v[12:13], v[14:15] offset0:10 offset1:11
	ds_store_2addr_b64 v46, v[8:9], v[10:11] offset0:12 offset1:13
	;; [unrolled: 1-line block ×4, first 2 shown]
.LBB16_102:
	s_or_b32 exec_lo, exec_lo, s2
	s_delay_alu instid0(SALU_CYCLE_1)
	s_mov_b32 s2, exec_lo
	s_waitcnt lgkmcnt(0)
	s_waitcnt_vscnt null, 0x0
	s_barrier
	buffer_gl0_inv
	v_cmpx_lt_i32_e32 4, v52
	s_cbranch_execz .LBB16_104
; %bb.103:
	v_mul_f64 v[44:45], v[36:37], v[18:19]
	v_mul_f64 v[18:19], v[38:39], v[18:19]
	ds_load_2addr_b64 v[53:56], v46 offset0:10 offset1:11
	ds_load_2addr_b64 v[57:60], v46 offset0:12 offset1:13
	;; [unrolled: 1-line block ×4, first 2 shown]
	v_fma_f64 v[38:39], v[38:39], v[16:17], v[44:45]
	v_fma_f64 v[16:17], v[36:37], v[16:17], -v[18:19]
	s_waitcnt lgkmcnt(3)
	s_delay_alu instid0(VALU_DEP_2)
	v_mul_f64 v[18:19], v[55:56], v[38:39]
	v_mul_f64 v[36:37], v[53:54], v[38:39]
	s_waitcnt lgkmcnt(2)
	v_mul_f64 v[44:45], v[59:60], v[38:39]
	v_mul_f64 v[69:70], v[57:58], v[38:39]
	s_waitcnt lgkmcnt(1)
	;; [unrolled: 3-line block ×3, first 2 shown]
	v_mul_f64 v[75:76], v[67:68], v[38:39]
	v_mul_f64 v[77:78], v[65:66], v[38:39]
	v_fma_f64 v[18:19], v[53:54], v[16:17], -v[18:19]
	v_fma_f64 v[36:37], v[55:56], v[16:17], v[36:37]
	v_fma_f64 v[44:45], v[57:58], v[16:17], -v[44:45]
	v_fma_f64 v[53:54], v[59:60], v[16:17], v[69:70]
	;; [unrolled: 2-line block ×4, first 2 shown]
	v_add_f64 v[12:13], v[12:13], -v[18:19]
	v_add_f64 v[14:15], v[14:15], -v[36:37]
	;; [unrolled: 1-line block ×8, first 2 shown]
	v_dual_mov_b32 v18, v38 :: v_dual_mov_b32 v19, v39
.LBB16_104:
	s_or_b32 exec_lo, exec_lo, s2
	v_lshl_add_u32 v36, v52, 4, v46
	s_barrier
	buffer_gl0_inv
	v_mov_b32_e32 v44, 5
	ds_store_2addr_b64 v36, v[12:13], v[14:15] offset1:1
	s_waitcnt lgkmcnt(0)
	s_barrier
	buffer_gl0_inv
	ds_load_2addr_b64 v[36:39], v46 offset0:10 offset1:11
	s_cmp_lt_i32 s5, 7
	s_cbranch_scc1 .LBB16_107
; %bb.105:
	v_add3_u32 v45, v51, 0, 0x60
	v_mov_b32_e32 v44, 5
	s_mov_b32 s6, 6
	s_set_inst_prefetch_distance 0x1
	.p2align	6
.LBB16_106:                             ; =>This Inner Loop Header: Depth=1
	ds_load_2addr_b64 v[53:56], v45 offset1:1
	s_waitcnt lgkmcnt(1)
	v_cmp_gt_f64_e32 vcc_lo, 0, v[36:37]
	v_xor_b32_e32 v57, 0x80000000, v37
	v_cmp_gt_f64_e64 s2, 0, v[38:39]
	v_xor_b32_e32 v59, 0x80000000, v39
	v_add_nc_u32_e32 v45, 16, v45
	s_waitcnt lgkmcnt(0)
	v_cmp_gt_f64_e64 s3, 0, v[53:54]
	v_mov_b32_e32 v61, v53
	v_dual_mov_b32 v63, v55 :: v_dual_cndmask_b32 v58, v37, v57
	v_xor_b32_e32 v57, 0x80000000, v54
	v_cndmask_b32_e64 v60, v39, v59, s2
	v_xor_b32_e32 v59, 0x80000000, v56
	s_delay_alu instid0(VALU_DEP_3) | instskip(SKIP_2) | instid1(VALU_DEP_2)
	v_cndmask_b32_e64 v62, v54, v57, s3
	v_cmp_gt_f64_e64 s3, 0, v[55:56]
	v_cndmask_b32_e32 v57, v36, v36, vcc_lo
	v_cndmask_b32_e64 v64, v56, v59, s3
	v_cndmask_b32_e64 v59, v38, v38, s2
	s_delay_alu instid0(VALU_DEP_2) | instskip(NEXT) | instid1(VALU_DEP_2)
	v_add_f64 v[61:62], v[61:62], v[63:64]
	v_add_f64 v[57:58], v[57:58], v[59:60]
	s_delay_alu instid0(VALU_DEP_1) | instskip(SKIP_4) | instid1(SALU_CYCLE_1)
	v_cmp_lt_f64_e32 vcc_lo, v[57:58], v[61:62]
	v_dual_cndmask_b32 v38, v38, v55 :: v_dual_cndmask_b32 v37, v37, v54
	v_dual_cndmask_b32 v36, v36, v53 :: v_dual_cndmask_b32 v39, v39, v56
	v_cndmask_b32_e64 v44, v44, s6, vcc_lo
	s_add_i32 s6, s6, 1
	s_cmp_lg_u32 s5, s6
	s_cbranch_scc1 .LBB16_106
.LBB16_107:
	s_set_inst_prefetch_distance 0x2
	s_waitcnt lgkmcnt(0)
	v_cmp_eq_f64_e32 vcc_lo, 0, v[36:37]
	v_cmp_eq_f64_e64 s2, 0, v[38:39]
	s_delay_alu instid0(VALU_DEP_1) | instskip(NEXT) | instid1(SALU_CYCLE_1)
	s_and_b32 s2, vcc_lo, s2
	s_and_saveexec_b32 s3, s2
	s_delay_alu instid0(SALU_CYCLE_1)
	s_xor_b32 s2, exec_lo, s3
; %bb.108:
	v_cmp_ne_u32_e32 vcc_lo, 0, v50
	v_cndmask_b32_e32 v50, 6, v50, vcc_lo
; %bb.109:
	s_and_not1_saveexec_b32 s3, s2
	s_cbranch_execz .LBB16_115
; %bb.110:
	v_cmp_gt_f64_e32 vcc_lo, 0, v[36:37]
	v_cmp_gt_f64_e64 s2, 0, v[38:39]
	v_xor_b32_e32 v45, 0x80000000, v37
	v_xor_b32_e32 v53, 0x80000000, v39
	s_delay_alu instid0(VALU_DEP_2) | instskip(NEXT) | instid1(VALU_DEP_2)
	v_cndmask_b32_e32 v54, v37, v45, vcc_lo
	v_cndmask_b32_e64 v56, v39, v53, s2
	v_cndmask_b32_e32 v53, v36, v36, vcc_lo
	v_cndmask_b32_e64 v55, v38, v38, s2
	s_mov_b32 s2, exec_lo
	s_delay_alu instid0(VALU_DEP_1)
	v_cmpx_ngt_f64_e32 v[53:54], v[55:56]
	s_xor_b32 s2, exec_lo, s2
	s_cbranch_execz .LBB16_112
; %bb.111:
	v_div_scale_f64 v[53:54], null, v[38:39], v[38:39], v[36:37]
	v_div_scale_f64 v[59:60], vcc_lo, v[36:37], v[38:39], v[36:37]
	s_delay_alu instid0(VALU_DEP_2) | instskip(SKIP_2) | instid1(VALU_DEP_1)
	v_rcp_f64_e32 v[55:56], v[53:54]
	s_waitcnt_depctr 0xfff
	v_fma_f64 v[57:58], -v[53:54], v[55:56], 1.0
	v_fma_f64 v[55:56], v[55:56], v[57:58], v[55:56]
	s_delay_alu instid0(VALU_DEP_1) | instskip(NEXT) | instid1(VALU_DEP_1)
	v_fma_f64 v[57:58], -v[53:54], v[55:56], 1.0
	v_fma_f64 v[55:56], v[55:56], v[57:58], v[55:56]
	s_delay_alu instid0(VALU_DEP_1) | instskip(NEXT) | instid1(VALU_DEP_1)
	v_mul_f64 v[57:58], v[59:60], v[55:56]
	v_fma_f64 v[53:54], -v[53:54], v[57:58], v[59:60]
	s_delay_alu instid0(VALU_DEP_1) | instskip(NEXT) | instid1(VALU_DEP_1)
	v_div_fmas_f64 v[53:54], v[53:54], v[55:56], v[57:58]
	v_div_fixup_f64 v[53:54], v[53:54], v[38:39], v[36:37]
	s_delay_alu instid0(VALU_DEP_1) | instskip(NEXT) | instid1(VALU_DEP_1)
	v_fma_f64 v[36:37], v[36:37], v[53:54], v[38:39]
	v_div_scale_f64 v[38:39], null, v[36:37], v[36:37], 1.0
	s_delay_alu instid0(VALU_DEP_1) | instskip(SKIP_2) | instid1(VALU_DEP_1)
	v_rcp_f64_e32 v[55:56], v[38:39]
	s_waitcnt_depctr 0xfff
	v_fma_f64 v[57:58], -v[38:39], v[55:56], 1.0
	v_fma_f64 v[55:56], v[55:56], v[57:58], v[55:56]
	s_delay_alu instid0(VALU_DEP_1) | instskip(NEXT) | instid1(VALU_DEP_1)
	v_fma_f64 v[57:58], -v[38:39], v[55:56], 1.0
	v_fma_f64 v[55:56], v[55:56], v[57:58], v[55:56]
	v_div_scale_f64 v[57:58], vcc_lo, 1.0, v[36:37], 1.0
	s_delay_alu instid0(VALU_DEP_1) | instskip(NEXT) | instid1(VALU_DEP_1)
	v_mul_f64 v[59:60], v[57:58], v[55:56]
	v_fma_f64 v[38:39], -v[38:39], v[59:60], v[57:58]
	s_delay_alu instid0(VALU_DEP_1) | instskip(NEXT) | instid1(VALU_DEP_1)
	v_div_fmas_f64 v[38:39], v[38:39], v[55:56], v[59:60]
	v_div_fixup_f64 v[38:39], v[38:39], v[36:37], 1.0
	s_delay_alu instid0(VALU_DEP_1)
	v_mul_f64 v[36:37], v[53:54], v[38:39]
	v_xor_b32_e32 v39, 0x80000000, v39
.LBB16_112:
	s_and_not1_saveexec_b32 s2, s2
	s_cbranch_execz .LBB16_114
; %bb.113:
	s_delay_alu instid0(VALU_DEP_1) | instskip(SKIP_1) | instid1(VALU_DEP_2)
	v_div_scale_f64 v[53:54], null, v[36:37], v[36:37], v[38:39]
	v_div_scale_f64 v[59:60], vcc_lo, v[38:39], v[36:37], v[38:39]
	v_rcp_f64_e32 v[55:56], v[53:54]
	s_waitcnt_depctr 0xfff
	v_fma_f64 v[57:58], -v[53:54], v[55:56], 1.0
	s_delay_alu instid0(VALU_DEP_1) | instskip(NEXT) | instid1(VALU_DEP_1)
	v_fma_f64 v[55:56], v[55:56], v[57:58], v[55:56]
	v_fma_f64 v[57:58], -v[53:54], v[55:56], 1.0
	s_delay_alu instid0(VALU_DEP_1) | instskip(NEXT) | instid1(VALU_DEP_1)
	v_fma_f64 v[55:56], v[55:56], v[57:58], v[55:56]
	v_mul_f64 v[57:58], v[59:60], v[55:56]
	s_delay_alu instid0(VALU_DEP_1) | instskip(NEXT) | instid1(VALU_DEP_1)
	v_fma_f64 v[53:54], -v[53:54], v[57:58], v[59:60]
	v_div_fmas_f64 v[53:54], v[53:54], v[55:56], v[57:58]
	s_delay_alu instid0(VALU_DEP_1) | instskip(NEXT) | instid1(VALU_DEP_1)
	v_div_fixup_f64 v[53:54], v[53:54], v[36:37], v[38:39]
	v_fma_f64 v[36:37], v[38:39], v[53:54], v[36:37]
	s_delay_alu instid0(VALU_DEP_1) | instskip(NEXT) | instid1(VALU_DEP_1)
	v_div_scale_f64 v[38:39], null, v[36:37], v[36:37], 1.0
	v_rcp_f64_e32 v[55:56], v[38:39]
	s_waitcnt_depctr 0xfff
	v_fma_f64 v[57:58], -v[38:39], v[55:56], 1.0
	s_delay_alu instid0(VALU_DEP_1) | instskip(NEXT) | instid1(VALU_DEP_1)
	v_fma_f64 v[55:56], v[55:56], v[57:58], v[55:56]
	v_fma_f64 v[57:58], -v[38:39], v[55:56], 1.0
	s_delay_alu instid0(VALU_DEP_1) | instskip(SKIP_1) | instid1(VALU_DEP_1)
	v_fma_f64 v[55:56], v[55:56], v[57:58], v[55:56]
	v_div_scale_f64 v[57:58], vcc_lo, 1.0, v[36:37], 1.0
	v_mul_f64 v[59:60], v[57:58], v[55:56]
	s_delay_alu instid0(VALU_DEP_1) | instskip(NEXT) | instid1(VALU_DEP_1)
	v_fma_f64 v[38:39], -v[38:39], v[59:60], v[57:58]
	v_div_fmas_f64 v[38:39], v[38:39], v[55:56], v[59:60]
	s_delay_alu instid0(VALU_DEP_1) | instskip(NEXT) | instid1(VALU_DEP_1)
	v_div_fixup_f64 v[36:37], v[38:39], v[36:37], 1.0
	v_mul_f64 v[38:39], v[53:54], -v[36:37]
.LBB16_114:
	s_or_b32 exec_lo, exec_lo, s2
.LBB16_115:
	s_delay_alu instid0(SALU_CYCLE_1) | instskip(NEXT) | instid1(SALU_CYCLE_1)
	s_or_b32 exec_lo, exec_lo, s3
	s_mov_b32 s2, exec_lo
	v_cmpx_ne_u32_e64 v52, v44
	s_xor_b32 s2, exec_lo, s2
	s_cbranch_execz .LBB16_121
; %bb.116:
	s_mov_b32 s3, exec_lo
	v_cmpx_eq_u32_e32 5, v52
	s_cbranch_execz .LBB16_120
; %bb.117:
	v_cmp_ne_u32_e32 vcc_lo, 5, v44
	s_xor_b32 s6, s4, -1
	s_delay_alu instid0(SALU_CYCLE_1) | instskip(NEXT) | instid1(SALU_CYCLE_1)
	s_and_b32 s7, s6, vcc_lo
	s_and_saveexec_b32 s6, s7
	s_cbranch_execz .LBB16_119
; %bb.118:
	v_ashrrev_i32_e32 v45, 31, v44
	s_delay_alu instid0(VALU_DEP_1) | instskip(NEXT) | instid1(VALU_DEP_1)
	v_lshlrev_b64 v[52:53], 2, v[44:45]
	v_add_co_u32 v52, vcc_lo, v42, v52
	s_delay_alu instid0(VALU_DEP_2)
	v_add_co_ci_u32_e32 v53, vcc_lo, v43, v53, vcc_lo
	s_clause 0x1
	flat_load_b32 v45, v[52:53]
	flat_load_b32 v49, v[42:43] offset:20
	s_waitcnt vmcnt(1) lgkmcnt(1)
	flat_store_b32 v[42:43], v45 offset:20
	s_waitcnt vmcnt(0) lgkmcnt(1)
	flat_store_b32 v[52:53], v49
.LBB16_119:
	s_or_b32 exec_lo, exec_lo, s6
	v_mov_b32_e32 v52, v44
	v_mov_b32_e32 v49, v44
.LBB16_120:
	s_or_b32 exec_lo, exec_lo, s3
.LBB16_121:
	s_and_not1_saveexec_b32 s2, s2
	s_cbranch_execz .LBB16_123
; %bb.122:
	v_mov_b32_e32 v52, 5
	ds_store_2addr_b64 v46, v[8:9], v[10:11] offset0:12 offset1:13
	ds_store_2addr_b64 v46, v[4:5], v[6:7] offset0:14 offset1:15
	;; [unrolled: 1-line block ×3, first 2 shown]
.LBB16_123:
	s_or_b32 exec_lo, exec_lo, s2
	s_delay_alu instid0(SALU_CYCLE_1)
	s_mov_b32 s2, exec_lo
	s_waitcnt lgkmcnt(0)
	s_waitcnt_vscnt null, 0x0
	s_barrier
	buffer_gl0_inv
	v_cmpx_lt_i32_e32 5, v52
	s_cbranch_execz .LBB16_125
; %bb.124:
	v_mul_f64 v[44:45], v[36:37], v[14:15]
	v_mul_f64 v[14:15], v[38:39], v[14:15]
	ds_load_2addr_b64 v[53:56], v46 offset0:12 offset1:13
	ds_load_2addr_b64 v[57:60], v46 offset0:14 offset1:15
	;; [unrolled: 1-line block ×3, first 2 shown]
	v_fma_f64 v[38:39], v[38:39], v[12:13], v[44:45]
	v_fma_f64 v[12:13], v[36:37], v[12:13], -v[14:15]
	s_waitcnt lgkmcnt(2)
	s_delay_alu instid0(VALU_DEP_2)
	v_mul_f64 v[14:15], v[55:56], v[38:39]
	v_mul_f64 v[36:37], v[53:54], v[38:39]
	s_waitcnt lgkmcnt(1)
	v_mul_f64 v[44:45], v[59:60], v[38:39]
	v_mul_f64 v[65:66], v[57:58], v[38:39]
	s_waitcnt lgkmcnt(0)
	v_mul_f64 v[67:68], v[63:64], v[38:39]
	v_mul_f64 v[69:70], v[61:62], v[38:39]
	v_fma_f64 v[14:15], v[53:54], v[12:13], -v[14:15]
	v_fma_f64 v[36:37], v[55:56], v[12:13], v[36:37]
	v_fma_f64 v[44:45], v[57:58], v[12:13], -v[44:45]
	v_fma_f64 v[53:54], v[59:60], v[12:13], v[65:66]
	v_fma_f64 v[55:56], v[61:62], v[12:13], -v[67:68]
	v_fma_f64 v[57:58], v[63:64], v[12:13], v[69:70]
	v_add_f64 v[8:9], v[8:9], -v[14:15]
	v_add_f64 v[10:11], v[10:11], -v[36:37]
	;; [unrolled: 1-line block ×6, first 2 shown]
	v_dual_mov_b32 v14, v38 :: v_dual_mov_b32 v15, v39
.LBB16_125:
	s_or_b32 exec_lo, exec_lo, s2
	v_lshl_add_u32 v36, v52, 4, v46
	s_barrier
	buffer_gl0_inv
	v_mov_b32_e32 v44, 6
	ds_store_2addr_b64 v36, v[8:9], v[10:11] offset1:1
	s_waitcnt lgkmcnt(0)
	s_barrier
	buffer_gl0_inv
	ds_load_2addr_b64 v[36:39], v46 offset0:12 offset1:13
	s_cmp_lt_i32 s5, 8
	s_cbranch_scc1 .LBB16_128
; %bb.126:
	v_add3_u32 v45, v51, 0, 0x70
	v_mov_b32_e32 v44, 6
	s_mov_b32 s6, 7
	s_set_inst_prefetch_distance 0x1
	.p2align	6
.LBB16_127:                             ; =>This Inner Loop Header: Depth=1
	ds_load_2addr_b64 v[53:56], v45 offset1:1
	s_waitcnt lgkmcnt(1)
	v_cmp_gt_f64_e32 vcc_lo, 0, v[36:37]
	v_xor_b32_e32 v57, 0x80000000, v37
	v_cmp_gt_f64_e64 s2, 0, v[38:39]
	v_xor_b32_e32 v59, 0x80000000, v39
	v_add_nc_u32_e32 v45, 16, v45
	s_waitcnt lgkmcnt(0)
	v_cmp_gt_f64_e64 s3, 0, v[53:54]
	v_mov_b32_e32 v61, v53
	v_dual_mov_b32 v63, v55 :: v_dual_cndmask_b32 v58, v37, v57
	v_xor_b32_e32 v57, 0x80000000, v54
	v_cndmask_b32_e64 v60, v39, v59, s2
	v_xor_b32_e32 v59, 0x80000000, v56
	s_delay_alu instid0(VALU_DEP_3) | instskip(SKIP_2) | instid1(VALU_DEP_2)
	v_cndmask_b32_e64 v62, v54, v57, s3
	v_cmp_gt_f64_e64 s3, 0, v[55:56]
	v_cndmask_b32_e32 v57, v36, v36, vcc_lo
	v_cndmask_b32_e64 v64, v56, v59, s3
	v_cndmask_b32_e64 v59, v38, v38, s2
	s_delay_alu instid0(VALU_DEP_2) | instskip(NEXT) | instid1(VALU_DEP_2)
	v_add_f64 v[61:62], v[61:62], v[63:64]
	v_add_f64 v[57:58], v[57:58], v[59:60]
	s_delay_alu instid0(VALU_DEP_1) | instskip(SKIP_4) | instid1(SALU_CYCLE_1)
	v_cmp_lt_f64_e32 vcc_lo, v[57:58], v[61:62]
	v_dual_cndmask_b32 v38, v38, v55 :: v_dual_cndmask_b32 v37, v37, v54
	v_dual_cndmask_b32 v36, v36, v53 :: v_dual_cndmask_b32 v39, v39, v56
	v_cndmask_b32_e64 v44, v44, s6, vcc_lo
	s_add_i32 s6, s6, 1
	s_cmp_lg_u32 s5, s6
	s_cbranch_scc1 .LBB16_127
.LBB16_128:
	s_set_inst_prefetch_distance 0x2
	s_waitcnt lgkmcnt(0)
	v_cmp_eq_f64_e32 vcc_lo, 0, v[36:37]
	v_cmp_eq_f64_e64 s2, 0, v[38:39]
	s_delay_alu instid0(VALU_DEP_1) | instskip(NEXT) | instid1(SALU_CYCLE_1)
	s_and_b32 s2, vcc_lo, s2
	s_and_saveexec_b32 s3, s2
	s_delay_alu instid0(SALU_CYCLE_1)
	s_xor_b32 s2, exec_lo, s3
; %bb.129:
	v_cmp_ne_u32_e32 vcc_lo, 0, v50
	v_cndmask_b32_e32 v50, 7, v50, vcc_lo
; %bb.130:
	s_and_not1_saveexec_b32 s3, s2
	s_cbranch_execz .LBB16_136
; %bb.131:
	v_cmp_gt_f64_e32 vcc_lo, 0, v[36:37]
	v_cmp_gt_f64_e64 s2, 0, v[38:39]
	v_xor_b32_e32 v45, 0x80000000, v37
	v_xor_b32_e32 v53, 0x80000000, v39
	s_delay_alu instid0(VALU_DEP_2) | instskip(NEXT) | instid1(VALU_DEP_2)
	v_cndmask_b32_e32 v54, v37, v45, vcc_lo
	v_cndmask_b32_e64 v56, v39, v53, s2
	v_cndmask_b32_e32 v53, v36, v36, vcc_lo
	v_cndmask_b32_e64 v55, v38, v38, s2
	s_mov_b32 s2, exec_lo
	s_delay_alu instid0(VALU_DEP_1)
	v_cmpx_ngt_f64_e32 v[53:54], v[55:56]
	s_xor_b32 s2, exec_lo, s2
	s_cbranch_execz .LBB16_133
; %bb.132:
	v_div_scale_f64 v[53:54], null, v[38:39], v[38:39], v[36:37]
	v_div_scale_f64 v[59:60], vcc_lo, v[36:37], v[38:39], v[36:37]
	s_delay_alu instid0(VALU_DEP_2) | instskip(SKIP_2) | instid1(VALU_DEP_1)
	v_rcp_f64_e32 v[55:56], v[53:54]
	s_waitcnt_depctr 0xfff
	v_fma_f64 v[57:58], -v[53:54], v[55:56], 1.0
	v_fma_f64 v[55:56], v[55:56], v[57:58], v[55:56]
	s_delay_alu instid0(VALU_DEP_1) | instskip(NEXT) | instid1(VALU_DEP_1)
	v_fma_f64 v[57:58], -v[53:54], v[55:56], 1.0
	v_fma_f64 v[55:56], v[55:56], v[57:58], v[55:56]
	s_delay_alu instid0(VALU_DEP_1) | instskip(NEXT) | instid1(VALU_DEP_1)
	v_mul_f64 v[57:58], v[59:60], v[55:56]
	v_fma_f64 v[53:54], -v[53:54], v[57:58], v[59:60]
	s_delay_alu instid0(VALU_DEP_1) | instskip(NEXT) | instid1(VALU_DEP_1)
	v_div_fmas_f64 v[53:54], v[53:54], v[55:56], v[57:58]
	v_div_fixup_f64 v[53:54], v[53:54], v[38:39], v[36:37]
	s_delay_alu instid0(VALU_DEP_1) | instskip(NEXT) | instid1(VALU_DEP_1)
	v_fma_f64 v[36:37], v[36:37], v[53:54], v[38:39]
	v_div_scale_f64 v[38:39], null, v[36:37], v[36:37], 1.0
	s_delay_alu instid0(VALU_DEP_1) | instskip(SKIP_2) | instid1(VALU_DEP_1)
	v_rcp_f64_e32 v[55:56], v[38:39]
	s_waitcnt_depctr 0xfff
	v_fma_f64 v[57:58], -v[38:39], v[55:56], 1.0
	v_fma_f64 v[55:56], v[55:56], v[57:58], v[55:56]
	s_delay_alu instid0(VALU_DEP_1) | instskip(NEXT) | instid1(VALU_DEP_1)
	v_fma_f64 v[57:58], -v[38:39], v[55:56], 1.0
	v_fma_f64 v[55:56], v[55:56], v[57:58], v[55:56]
	v_div_scale_f64 v[57:58], vcc_lo, 1.0, v[36:37], 1.0
	s_delay_alu instid0(VALU_DEP_1) | instskip(NEXT) | instid1(VALU_DEP_1)
	v_mul_f64 v[59:60], v[57:58], v[55:56]
	v_fma_f64 v[38:39], -v[38:39], v[59:60], v[57:58]
	s_delay_alu instid0(VALU_DEP_1) | instskip(NEXT) | instid1(VALU_DEP_1)
	v_div_fmas_f64 v[38:39], v[38:39], v[55:56], v[59:60]
	v_div_fixup_f64 v[38:39], v[38:39], v[36:37], 1.0
	s_delay_alu instid0(VALU_DEP_1)
	v_mul_f64 v[36:37], v[53:54], v[38:39]
	v_xor_b32_e32 v39, 0x80000000, v39
.LBB16_133:
	s_and_not1_saveexec_b32 s2, s2
	s_cbranch_execz .LBB16_135
; %bb.134:
	s_delay_alu instid0(VALU_DEP_1) | instskip(SKIP_1) | instid1(VALU_DEP_2)
	v_div_scale_f64 v[53:54], null, v[36:37], v[36:37], v[38:39]
	v_div_scale_f64 v[59:60], vcc_lo, v[38:39], v[36:37], v[38:39]
	v_rcp_f64_e32 v[55:56], v[53:54]
	s_waitcnt_depctr 0xfff
	v_fma_f64 v[57:58], -v[53:54], v[55:56], 1.0
	s_delay_alu instid0(VALU_DEP_1) | instskip(NEXT) | instid1(VALU_DEP_1)
	v_fma_f64 v[55:56], v[55:56], v[57:58], v[55:56]
	v_fma_f64 v[57:58], -v[53:54], v[55:56], 1.0
	s_delay_alu instid0(VALU_DEP_1) | instskip(NEXT) | instid1(VALU_DEP_1)
	v_fma_f64 v[55:56], v[55:56], v[57:58], v[55:56]
	v_mul_f64 v[57:58], v[59:60], v[55:56]
	s_delay_alu instid0(VALU_DEP_1) | instskip(NEXT) | instid1(VALU_DEP_1)
	v_fma_f64 v[53:54], -v[53:54], v[57:58], v[59:60]
	v_div_fmas_f64 v[53:54], v[53:54], v[55:56], v[57:58]
	s_delay_alu instid0(VALU_DEP_1) | instskip(NEXT) | instid1(VALU_DEP_1)
	v_div_fixup_f64 v[53:54], v[53:54], v[36:37], v[38:39]
	v_fma_f64 v[36:37], v[38:39], v[53:54], v[36:37]
	s_delay_alu instid0(VALU_DEP_1) | instskip(NEXT) | instid1(VALU_DEP_1)
	v_div_scale_f64 v[38:39], null, v[36:37], v[36:37], 1.0
	v_rcp_f64_e32 v[55:56], v[38:39]
	s_waitcnt_depctr 0xfff
	v_fma_f64 v[57:58], -v[38:39], v[55:56], 1.0
	s_delay_alu instid0(VALU_DEP_1) | instskip(NEXT) | instid1(VALU_DEP_1)
	v_fma_f64 v[55:56], v[55:56], v[57:58], v[55:56]
	v_fma_f64 v[57:58], -v[38:39], v[55:56], 1.0
	s_delay_alu instid0(VALU_DEP_1) | instskip(SKIP_1) | instid1(VALU_DEP_1)
	v_fma_f64 v[55:56], v[55:56], v[57:58], v[55:56]
	v_div_scale_f64 v[57:58], vcc_lo, 1.0, v[36:37], 1.0
	v_mul_f64 v[59:60], v[57:58], v[55:56]
	s_delay_alu instid0(VALU_DEP_1) | instskip(NEXT) | instid1(VALU_DEP_1)
	v_fma_f64 v[38:39], -v[38:39], v[59:60], v[57:58]
	v_div_fmas_f64 v[38:39], v[38:39], v[55:56], v[59:60]
	s_delay_alu instid0(VALU_DEP_1) | instskip(NEXT) | instid1(VALU_DEP_1)
	v_div_fixup_f64 v[36:37], v[38:39], v[36:37], 1.0
	v_mul_f64 v[38:39], v[53:54], -v[36:37]
.LBB16_135:
	s_or_b32 exec_lo, exec_lo, s2
.LBB16_136:
	s_delay_alu instid0(SALU_CYCLE_1) | instskip(NEXT) | instid1(SALU_CYCLE_1)
	s_or_b32 exec_lo, exec_lo, s3
	s_mov_b32 s2, exec_lo
	v_cmpx_ne_u32_e64 v52, v44
	s_xor_b32 s2, exec_lo, s2
	s_cbranch_execz .LBB16_142
; %bb.137:
	s_mov_b32 s3, exec_lo
	v_cmpx_eq_u32_e32 6, v52
	s_cbranch_execz .LBB16_141
; %bb.138:
	v_cmp_ne_u32_e32 vcc_lo, 6, v44
	s_xor_b32 s6, s4, -1
	s_delay_alu instid0(SALU_CYCLE_1) | instskip(NEXT) | instid1(SALU_CYCLE_1)
	s_and_b32 s7, s6, vcc_lo
	s_and_saveexec_b32 s6, s7
	s_cbranch_execz .LBB16_140
; %bb.139:
	v_ashrrev_i32_e32 v45, 31, v44
	s_delay_alu instid0(VALU_DEP_1) | instskip(NEXT) | instid1(VALU_DEP_1)
	v_lshlrev_b64 v[52:53], 2, v[44:45]
	v_add_co_u32 v52, vcc_lo, v42, v52
	s_delay_alu instid0(VALU_DEP_2)
	v_add_co_ci_u32_e32 v53, vcc_lo, v43, v53, vcc_lo
	s_clause 0x1
	flat_load_b32 v45, v[52:53]
	flat_load_b32 v49, v[42:43] offset:24
	s_waitcnt vmcnt(1) lgkmcnt(1)
	flat_store_b32 v[42:43], v45 offset:24
	s_waitcnt vmcnt(0) lgkmcnt(1)
	flat_store_b32 v[52:53], v49
.LBB16_140:
	s_or_b32 exec_lo, exec_lo, s6
	v_mov_b32_e32 v52, v44
	v_mov_b32_e32 v49, v44
.LBB16_141:
	s_or_b32 exec_lo, exec_lo, s3
.LBB16_142:
	s_and_not1_saveexec_b32 s2, s2
	s_cbranch_execz .LBB16_144
; %bb.143:
	v_mov_b32_e32 v52, 6
	ds_store_2addr_b64 v46, v[4:5], v[6:7] offset0:14 offset1:15
	ds_store_2addr_b64 v46, v[0:1], v[2:3] offset0:16 offset1:17
.LBB16_144:
	s_or_b32 exec_lo, exec_lo, s2
	s_delay_alu instid0(SALU_CYCLE_1)
	s_mov_b32 s2, exec_lo
	s_waitcnt lgkmcnt(0)
	s_waitcnt_vscnt null, 0x0
	s_barrier
	buffer_gl0_inv
	v_cmpx_lt_i32_e32 6, v52
	s_cbranch_execz .LBB16_146
; %bb.145:
	v_mul_f64 v[44:45], v[36:37], v[10:11]
	v_mul_f64 v[10:11], v[38:39], v[10:11]
	ds_load_2addr_b64 v[53:56], v46 offset0:14 offset1:15
	ds_load_2addr_b64 v[57:60], v46 offset0:16 offset1:17
	v_fma_f64 v[38:39], v[38:39], v[8:9], v[44:45]
	v_fma_f64 v[8:9], v[36:37], v[8:9], -v[10:11]
	s_waitcnt lgkmcnt(1)
	s_delay_alu instid0(VALU_DEP_2) | instskip(SKIP_4) | instid1(VALU_DEP_4)
	v_mul_f64 v[10:11], v[55:56], v[38:39]
	v_mul_f64 v[36:37], v[53:54], v[38:39]
	s_waitcnt lgkmcnt(0)
	v_mul_f64 v[44:45], v[59:60], v[38:39]
	v_mul_f64 v[61:62], v[57:58], v[38:39]
	v_fma_f64 v[10:11], v[53:54], v[8:9], -v[10:11]
	s_delay_alu instid0(VALU_DEP_4) | instskip(NEXT) | instid1(VALU_DEP_4)
	v_fma_f64 v[36:37], v[55:56], v[8:9], v[36:37]
	v_fma_f64 v[44:45], v[57:58], v[8:9], -v[44:45]
	s_delay_alu instid0(VALU_DEP_4) | instskip(NEXT) | instid1(VALU_DEP_4)
	v_fma_f64 v[53:54], v[59:60], v[8:9], v[61:62]
	v_add_f64 v[4:5], v[4:5], -v[10:11]
	s_delay_alu instid0(VALU_DEP_4) | instskip(NEXT) | instid1(VALU_DEP_4)
	v_add_f64 v[6:7], v[6:7], -v[36:37]
	v_add_f64 v[0:1], v[0:1], -v[44:45]
	s_delay_alu instid0(VALU_DEP_4)
	v_add_f64 v[2:3], v[2:3], -v[53:54]
	v_dual_mov_b32 v10, v38 :: v_dual_mov_b32 v11, v39
.LBB16_146:
	s_or_b32 exec_lo, exec_lo, s2
	v_lshl_add_u32 v36, v52, 4, v46
	s_barrier
	buffer_gl0_inv
	v_mov_b32_e32 v44, 7
	ds_store_2addr_b64 v36, v[4:5], v[6:7] offset1:1
	s_waitcnt lgkmcnt(0)
	s_barrier
	buffer_gl0_inv
	ds_load_2addr_b64 v[36:39], v46 offset0:14 offset1:15
	s_cmp_lt_i32 s5, 9
	s_cbranch_scc1 .LBB16_149
; %bb.147:
	v_add3_u32 v45, v51, 0, 0x80
	v_mov_b32_e32 v44, 7
	s_mov_b32 s6, 8
	s_set_inst_prefetch_distance 0x1
	.p2align	6
.LBB16_148:                             ; =>This Inner Loop Header: Depth=1
	ds_load_2addr_b64 v[53:56], v45 offset1:1
	s_waitcnt lgkmcnt(1)
	v_cmp_gt_f64_e32 vcc_lo, 0, v[36:37]
	v_xor_b32_e32 v57, 0x80000000, v37
	v_cmp_gt_f64_e64 s2, 0, v[38:39]
	v_xor_b32_e32 v59, 0x80000000, v39
	v_add_nc_u32_e32 v45, 16, v45
	s_waitcnt lgkmcnt(0)
	v_cmp_gt_f64_e64 s3, 0, v[53:54]
	v_mov_b32_e32 v61, v53
	v_dual_mov_b32 v63, v55 :: v_dual_cndmask_b32 v58, v37, v57
	v_xor_b32_e32 v57, 0x80000000, v54
	v_cndmask_b32_e64 v60, v39, v59, s2
	v_xor_b32_e32 v59, 0x80000000, v56
	s_delay_alu instid0(VALU_DEP_3) | instskip(SKIP_2) | instid1(VALU_DEP_2)
	v_cndmask_b32_e64 v62, v54, v57, s3
	v_cmp_gt_f64_e64 s3, 0, v[55:56]
	v_cndmask_b32_e32 v57, v36, v36, vcc_lo
	v_cndmask_b32_e64 v64, v56, v59, s3
	v_cndmask_b32_e64 v59, v38, v38, s2
	s_delay_alu instid0(VALU_DEP_2) | instskip(NEXT) | instid1(VALU_DEP_2)
	v_add_f64 v[61:62], v[61:62], v[63:64]
	v_add_f64 v[57:58], v[57:58], v[59:60]
	s_delay_alu instid0(VALU_DEP_1) | instskip(SKIP_4) | instid1(SALU_CYCLE_1)
	v_cmp_lt_f64_e32 vcc_lo, v[57:58], v[61:62]
	v_dual_cndmask_b32 v38, v38, v55 :: v_dual_cndmask_b32 v37, v37, v54
	v_dual_cndmask_b32 v36, v36, v53 :: v_dual_cndmask_b32 v39, v39, v56
	v_cndmask_b32_e64 v44, v44, s6, vcc_lo
	s_add_i32 s6, s6, 1
	s_cmp_lg_u32 s5, s6
	s_cbranch_scc1 .LBB16_148
.LBB16_149:
	s_set_inst_prefetch_distance 0x2
	s_waitcnt lgkmcnt(0)
	v_cmp_eq_f64_e32 vcc_lo, 0, v[36:37]
	v_cmp_eq_f64_e64 s2, 0, v[38:39]
	s_delay_alu instid0(VALU_DEP_1) | instskip(NEXT) | instid1(SALU_CYCLE_1)
	s_and_b32 s2, vcc_lo, s2
	s_and_saveexec_b32 s3, s2
	s_delay_alu instid0(SALU_CYCLE_1)
	s_xor_b32 s2, exec_lo, s3
; %bb.150:
	v_cmp_ne_u32_e32 vcc_lo, 0, v50
	v_cndmask_b32_e32 v50, 8, v50, vcc_lo
; %bb.151:
	s_and_not1_saveexec_b32 s3, s2
	s_cbranch_execz .LBB16_157
; %bb.152:
	v_cmp_gt_f64_e32 vcc_lo, 0, v[36:37]
	v_cmp_gt_f64_e64 s2, 0, v[38:39]
	v_xor_b32_e32 v45, 0x80000000, v37
	v_xor_b32_e32 v53, 0x80000000, v39
	s_delay_alu instid0(VALU_DEP_2) | instskip(NEXT) | instid1(VALU_DEP_2)
	v_cndmask_b32_e32 v54, v37, v45, vcc_lo
	v_cndmask_b32_e64 v56, v39, v53, s2
	v_cndmask_b32_e32 v53, v36, v36, vcc_lo
	v_cndmask_b32_e64 v55, v38, v38, s2
	s_mov_b32 s2, exec_lo
	s_delay_alu instid0(VALU_DEP_1)
	v_cmpx_ngt_f64_e32 v[53:54], v[55:56]
	s_xor_b32 s2, exec_lo, s2
	s_cbranch_execz .LBB16_154
; %bb.153:
	v_div_scale_f64 v[53:54], null, v[38:39], v[38:39], v[36:37]
	v_div_scale_f64 v[59:60], vcc_lo, v[36:37], v[38:39], v[36:37]
	s_delay_alu instid0(VALU_DEP_2) | instskip(SKIP_2) | instid1(VALU_DEP_1)
	v_rcp_f64_e32 v[55:56], v[53:54]
	s_waitcnt_depctr 0xfff
	v_fma_f64 v[57:58], -v[53:54], v[55:56], 1.0
	v_fma_f64 v[55:56], v[55:56], v[57:58], v[55:56]
	s_delay_alu instid0(VALU_DEP_1) | instskip(NEXT) | instid1(VALU_DEP_1)
	v_fma_f64 v[57:58], -v[53:54], v[55:56], 1.0
	v_fma_f64 v[55:56], v[55:56], v[57:58], v[55:56]
	s_delay_alu instid0(VALU_DEP_1) | instskip(NEXT) | instid1(VALU_DEP_1)
	v_mul_f64 v[57:58], v[59:60], v[55:56]
	v_fma_f64 v[53:54], -v[53:54], v[57:58], v[59:60]
	s_delay_alu instid0(VALU_DEP_1) | instskip(NEXT) | instid1(VALU_DEP_1)
	v_div_fmas_f64 v[53:54], v[53:54], v[55:56], v[57:58]
	v_div_fixup_f64 v[53:54], v[53:54], v[38:39], v[36:37]
	s_delay_alu instid0(VALU_DEP_1) | instskip(NEXT) | instid1(VALU_DEP_1)
	v_fma_f64 v[36:37], v[36:37], v[53:54], v[38:39]
	v_div_scale_f64 v[38:39], null, v[36:37], v[36:37], 1.0
	s_delay_alu instid0(VALU_DEP_1) | instskip(SKIP_2) | instid1(VALU_DEP_1)
	v_rcp_f64_e32 v[55:56], v[38:39]
	s_waitcnt_depctr 0xfff
	v_fma_f64 v[57:58], -v[38:39], v[55:56], 1.0
	v_fma_f64 v[55:56], v[55:56], v[57:58], v[55:56]
	s_delay_alu instid0(VALU_DEP_1) | instskip(NEXT) | instid1(VALU_DEP_1)
	v_fma_f64 v[57:58], -v[38:39], v[55:56], 1.0
	v_fma_f64 v[55:56], v[55:56], v[57:58], v[55:56]
	v_div_scale_f64 v[57:58], vcc_lo, 1.0, v[36:37], 1.0
	s_delay_alu instid0(VALU_DEP_1) | instskip(NEXT) | instid1(VALU_DEP_1)
	v_mul_f64 v[59:60], v[57:58], v[55:56]
	v_fma_f64 v[38:39], -v[38:39], v[59:60], v[57:58]
	s_delay_alu instid0(VALU_DEP_1) | instskip(NEXT) | instid1(VALU_DEP_1)
	v_div_fmas_f64 v[38:39], v[38:39], v[55:56], v[59:60]
	v_div_fixup_f64 v[38:39], v[38:39], v[36:37], 1.0
	s_delay_alu instid0(VALU_DEP_1)
	v_mul_f64 v[36:37], v[53:54], v[38:39]
	v_xor_b32_e32 v39, 0x80000000, v39
.LBB16_154:
	s_and_not1_saveexec_b32 s2, s2
	s_cbranch_execz .LBB16_156
; %bb.155:
	s_delay_alu instid0(VALU_DEP_1) | instskip(SKIP_1) | instid1(VALU_DEP_2)
	v_div_scale_f64 v[53:54], null, v[36:37], v[36:37], v[38:39]
	v_div_scale_f64 v[59:60], vcc_lo, v[38:39], v[36:37], v[38:39]
	v_rcp_f64_e32 v[55:56], v[53:54]
	s_waitcnt_depctr 0xfff
	v_fma_f64 v[57:58], -v[53:54], v[55:56], 1.0
	s_delay_alu instid0(VALU_DEP_1) | instskip(NEXT) | instid1(VALU_DEP_1)
	v_fma_f64 v[55:56], v[55:56], v[57:58], v[55:56]
	v_fma_f64 v[57:58], -v[53:54], v[55:56], 1.0
	s_delay_alu instid0(VALU_DEP_1) | instskip(NEXT) | instid1(VALU_DEP_1)
	v_fma_f64 v[55:56], v[55:56], v[57:58], v[55:56]
	v_mul_f64 v[57:58], v[59:60], v[55:56]
	s_delay_alu instid0(VALU_DEP_1) | instskip(NEXT) | instid1(VALU_DEP_1)
	v_fma_f64 v[53:54], -v[53:54], v[57:58], v[59:60]
	v_div_fmas_f64 v[53:54], v[53:54], v[55:56], v[57:58]
	s_delay_alu instid0(VALU_DEP_1) | instskip(NEXT) | instid1(VALU_DEP_1)
	v_div_fixup_f64 v[53:54], v[53:54], v[36:37], v[38:39]
	v_fma_f64 v[36:37], v[38:39], v[53:54], v[36:37]
	s_delay_alu instid0(VALU_DEP_1) | instskip(NEXT) | instid1(VALU_DEP_1)
	v_div_scale_f64 v[38:39], null, v[36:37], v[36:37], 1.0
	v_rcp_f64_e32 v[55:56], v[38:39]
	s_waitcnt_depctr 0xfff
	v_fma_f64 v[57:58], -v[38:39], v[55:56], 1.0
	s_delay_alu instid0(VALU_DEP_1) | instskip(NEXT) | instid1(VALU_DEP_1)
	v_fma_f64 v[55:56], v[55:56], v[57:58], v[55:56]
	v_fma_f64 v[57:58], -v[38:39], v[55:56], 1.0
	s_delay_alu instid0(VALU_DEP_1) | instskip(SKIP_1) | instid1(VALU_DEP_1)
	v_fma_f64 v[55:56], v[55:56], v[57:58], v[55:56]
	v_div_scale_f64 v[57:58], vcc_lo, 1.0, v[36:37], 1.0
	v_mul_f64 v[59:60], v[57:58], v[55:56]
	s_delay_alu instid0(VALU_DEP_1) | instskip(NEXT) | instid1(VALU_DEP_1)
	v_fma_f64 v[38:39], -v[38:39], v[59:60], v[57:58]
	v_div_fmas_f64 v[38:39], v[38:39], v[55:56], v[59:60]
	s_delay_alu instid0(VALU_DEP_1) | instskip(NEXT) | instid1(VALU_DEP_1)
	v_div_fixup_f64 v[36:37], v[38:39], v[36:37], 1.0
	v_mul_f64 v[38:39], v[53:54], -v[36:37]
.LBB16_156:
	s_or_b32 exec_lo, exec_lo, s2
.LBB16_157:
	s_delay_alu instid0(SALU_CYCLE_1) | instskip(NEXT) | instid1(SALU_CYCLE_1)
	s_or_b32 exec_lo, exec_lo, s3
	s_mov_b32 s2, exec_lo
	v_cmpx_ne_u32_e64 v52, v44
	s_xor_b32 s2, exec_lo, s2
	s_cbranch_execz .LBB16_163
; %bb.158:
	s_mov_b32 s3, exec_lo
	v_cmpx_eq_u32_e32 7, v52
	s_cbranch_execz .LBB16_162
; %bb.159:
	v_cmp_ne_u32_e32 vcc_lo, 7, v44
	s_xor_b32 s6, s4, -1
	s_delay_alu instid0(SALU_CYCLE_1) | instskip(NEXT) | instid1(SALU_CYCLE_1)
	s_and_b32 s7, s6, vcc_lo
	s_and_saveexec_b32 s6, s7
	s_cbranch_execz .LBB16_161
; %bb.160:
	v_ashrrev_i32_e32 v45, 31, v44
	s_delay_alu instid0(VALU_DEP_1) | instskip(NEXT) | instid1(VALU_DEP_1)
	v_lshlrev_b64 v[52:53], 2, v[44:45]
	v_add_co_u32 v52, vcc_lo, v42, v52
	s_delay_alu instid0(VALU_DEP_2)
	v_add_co_ci_u32_e32 v53, vcc_lo, v43, v53, vcc_lo
	s_clause 0x1
	flat_load_b32 v45, v[52:53]
	flat_load_b32 v49, v[42:43] offset:28
	s_waitcnt vmcnt(1) lgkmcnt(1)
	flat_store_b32 v[42:43], v45 offset:28
	s_waitcnt vmcnt(0) lgkmcnt(1)
	flat_store_b32 v[52:53], v49
.LBB16_161:
	s_or_b32 exec_lo, exec_lo, s6
	v_mov_b32_e32 v52, v44
	v_mov_b32_e32 v49, v44
.LBB16_162:
	s_or_b32 exec_lo, exec_lo, s3
.LBB16_163:
	s_and_not1_saveexec_b32 s2, s2
	s_cbranch_execz .LBB16_165
; %bb.164:
	v_mov_b32_e32 v52, 7
	ds_store_2addr_b64 v46, v[0:1], v[2:3] offset0:16 offset1:17
.LBB16_165:
	s_or_b32 exec_lo, exec_lo, s2
	s_delay_alu instid0(SALU_CYCLE_1)
	s_mov_b32 s2, exec_lo
	s_waitcnt lgkmcnt(0)
	s_waitcnt_vscnt null, 0x0
	s_barrier
	buffer_gl0_inv
	v_cmpx_lt_i32_e32 7, v52
	s_cbranch_execz .LBB16_167
; %bb.166:
	v_mul_f64 v[44:45], v[36:37], v[6:7]
	v_mul_f64 v[6:7], v[38:39], v[6:7]
	ds_load_2addr_b64 v[53:56], v46 offset0:16 offset1:17
	v_fma_f64 v[38:39], v[38:39], v[4:5], v[44:45]
	v_fma_f64 v[4:5], v[36:37], v[4:5], -v[6:7]
	s_waitcnt lgkmcnt(0)
	s_delay_alu instid0(VALU_DEP_2) | instskip(SKIP_1) | instid1(VALU_DEP_2)
	v_mul_f64 v[6:7], v[55:56], v[38:39]
	v_mul_f64 v[36:37], v[53:54], v[38:39]
	v_fma_f64 v[6:7], v[53:54], v[4:5], -v[6:7]
	s_delay_alu instid0(VALU_DEP_2) | instskip(NEXT) | instid1(VALU_DEP_2)
	v_fma_f64 v[36:37], v[55:56], v[4:5], v[36:37]
	v_add_f64 v[0:1], v[0:1], -v[6:7]
	s_delay_alu instid0(VALU_DEP_2)
	v_add_f64 v[2:3], v[2:3], -v[36:37]
	v_dual_mov_b32 v6, v38 :: v_dual_mov_b32 v7, v39
.LBB16_167:
	s_or_b32 exec_lo, exec_lo, s2
	v_lshl_add_u32 v36, v52, 4, v46
	s_barrier
	buffer_gl0_inv
	v_mov_b32_e32 v44, 8
	ds_store_2addr_b64 v36, v[0:1], v[2:3] offset1:1
	s_waitcnt lgkmcnt(0)
	s_barrier
	buffer_gl0_inv
	ds_load_2addr_b64 v[36:39], v46 offset0:16 offset1:17
	s_cmp_lt_i32 s5, 10
	s_cbranch_scc1 .LBB16_170
; %bb.168:
	v_add3_u32 v45, v51, 0, 0x90
	v_mov_b32_e32 v44, 8
	s_mov_b32 s6, 9
	s_set_inst_prefetch_distance 0x1
	.p2align	6
.LBB16_169:                             ; =>This Inner Loop Header: Depth=1
	ds_load_2addr_b64 v[53:56], v45 offset1:1
	s_waitcnt lgkmcnt(1)
	v_cmp_gt_f64_e32 vcc_lo, 0, v[36:37]
	v_xor_b32_e32 v46, 0x80000000, v37
	v_cmp_gt_f64_e64 s2, 0, v[38:39]
	v_xor_b32_e32 v51, 0x80000000, v39
	v_add_nc_u32_e32 v45, 16, v45
	s_waitcnt lgkmcnt(0)
	v_cmp_gt_f64_e64 s3, 0, v[53:54]
	v_mov_b32_e32 v61, v53
	v_dual_mov_b32 v63, v55 :: v_dual_cndmask_b32 v58, v37, v46
	v_xor_b32_e32 v46, 0x80000000, v54
	v_cndmask_b32_e64 v60, v39, v51, s2
	v_xor_b32_e32 v51, 0x80000000, v56
	v_cndmask_b32_e32 v57, v36, v36, vcc_lo
	v_cndmask_b32_e64 v59, v38, v38, s2
	s_delay_alu instid0(VALU_DEP_1) | instskip(SKIP_2) | instid1(VALU_DEP_1)
	v_add_f64 v[57:58], v[57:58], v[59:60]
	v_cndmask_b32_e64 v62, v54, v46, s3
	v_cmp_gt_f64_e64 s3, 0, v[55:56]
	v_cndmask_b32_e64 v64, v56, v51, s3
	s_delay_alu instid0(VALU_DEP_1) | instskip(NEXT) | instid1(VALU_DEP_1)
	v_add_f64 v[61:62], v[61:62], v[63:64]
	v_cmp_lt_f64_e32 vcc_lo, v[57:58], v[61:62]
	v_dual_cndmask_b32 v38, v38, v55 :: v_dual_cndmask_b32 v37, v37, v54
	v_dual_cndmask_b32 v36, v36, v53 :: v_dual_cndmask_b32 v39, v39, v56
	v_cndmask_b32_e64 v44, v44, s6, vcc_lo
	s_add_i32 s6, s6, 1
	s_delay_alu instid0(SALU_CYCLE_1)
	s_cmp_lg_u32 s5, s6
	s_cbranch_scc1 .LBB16_169
.LBB16_170:
	s_set_inst_prefetch_distance 0x2
	s_waitcnt lgkmcnt(0)
	v_cmp_eq_f64_e32 vcc_lo, 0, v[36:37]
	v_cmp_eq_f64_e64 s2, 0, v[38:39]
	s_delay_alu instid0(VALU_DEP_1) | instskip(NEXT) | instid1(SALU_CYCLE_1)
	s_and_b32 s2, vcc_lo, s2
	s_and_saveexec_b32 s3, s2
	s_delay_alu instid0(SALU_CYCLE_1)
	s_xor_b32 s2, exec_lo, s3
; %bb.171:
	v_cmp_ne_u32_e32 vcc_lo, 0, v50
	v_cndmask_b32_e32 v50, 9, v50, vcc_lo
; %bb.172:
	s_and_not1_saveexec_b32 s3, s2
	s_cbranch_execz .LBB16_178
; %bb.173:
	v_cmp_gt_f64_e32 vcc_lo, 0, v[36:37]
	v_cmp_gt_f64_e64 s2, 0, v[38:39]
	v_xor_b32_e32 v45, 0x80000000, v37
	v_xor_b32_e32 v51, 0x80000000, v39
	s_delay_alu instid0(VALU_DEP_2) | instskip(NEXT) | instid1(VALU_DEP_2)
	v_dual_cndmask_b32 v46, v37, v45 :: v_dual_cndmask_b32 v45, v36, v36
	v_cndmask_b32_e64 v54, v39, v51, s2
	v_cndmask_b32_e64 v53, v38, v38, s2
	s_mov_b32 s2, exec_lo
	s_delay_alu instid0(VALU_DEP_1)
	v_cmpx_ngt_f64_e32 v[45:46], v[53:54]
	s_xor_b32 s2, exec_lo, s2
	s_cbranch_execz .LBB16_175
; %bb.174:
	v_div_scale_f64 v[45:46], null, v[38:39], v[38:39], v[36:37]
	v_div_scale_f64 v[57:58], vcc_lo, v[36:37], v[38:39], v[36:37]
	s_delay_alu instid0(VALU_DEP_2) | instskip(SKIP_2) | instid1(VALU_DEP_1)
	v_rcp_f64_e32 v[53:54], v[45:46]
	s_waitcnt_depctr 0xfff
	v_fma_f64 v[55:56], -v[45:46], v[53:54], 1.0
	v_fma_f64 v[53:54], v[53:54], v[55:56], v[53:54]
	s_delay_alu instid0(VALU_DEP_1) | instskip(NEXT) | instid1(VALU_DEP_1)
	v_fma_f64 v[55:56], -v[45:46], v[53:54], 1.0
	v_fma_f64 v[53:54], v[53:54], v[55:56], v[53:54]
	s_delay_alu instid0(VALU_DEP_1) | instskip(NEXT) | instid1(VALU_DEP_1)
	v_mul_f64 v[55:56], v[57:58], v[53:54]
	v_fma_f64 v[45:46], -v[45:46], v[55:56], v[57:58]
	s_delay_alu instid0(VALU_DEP_1) | instskip(NEXT) | instid1(VALU_DEP_1)
	v_div_fmas_f64 v[45:46], v[45:46], v[53:54], v[55:56]
	v_div_fixup_f64 v[45:46], v[45:46], v[38:39], v[36:37]
	s_delay_alu instid0(VALU_DEP_1) | instskip(NEXT) | instid1(VALU_DEP_1)
	v_fma_f64 v[36:37], v[36:37], v[45:46], v[38:39]
	v_div_scale_f64 v[38:39], null, v[36:37], v[36:37], 1.0
	s_delay_alu instid0(VALU_DEP_1) | instskip(SKIP_2) | instid1(VALU_DEP_1)
	v_rcp_f64_e32 v[53:54], v[38:39]
	s_waitcnt_depctr 0xfff
	v_fma_f64 v[55:56], -v[38:39], v[53:54], 1.0
	v_fma_f64 v[53:54], v[53:54], v[55:56], v[53:54]
	s_delay_alu instid0(VALU_DEP_1) | instskip(NEXT) | instid1(VALU_DEP_1)
	v_fma_f64 v[55:56], -v[38:39], v[53:54], 1.0
	v_fma_f64 v[53:54], v[53:54], v[55:56], v[53:54]
	v_div_scale_f64 v[55:56], vcc_lo, 1.0, v[36:37], 1.0
	s_delay_alu instid0(VALU_DEP_1) | instskip(NEXT) | instid1(VALU_DEP_1)
	v_mul_f64 v[57:58], v[55:56], v[53:54]
	v_fma_f64 v[38:39], -v[38:39], v[57:58], v[55:56]
	s_delay_alu instid0(VALU_DEP_1) | instskip(NEXT) | instid1(VALU_DEP_1)
	v_div_fmas_f64 v[38:39], v[38:39], v[53:54], v[57:58]
	v_div_fixup_f64 v[38:39], v[38:39], v[36:37], 1.0
	s_delay_alu instid0(VALU_DEP_1)
	v_mul_f64 v[36:37], v[45:46], v[38:39]
	v_xor_b32_e32 v39, 0x80000000, v39
.LBB16_175:
	s_and_not1_saveexec_b32 s2, s2
	s_cbranch_execz .LBB16_177
; %bb.176:
	s_delay_alu instid0(VALU_DEP_1) | instskip(SKIP_1) | instid1(VALU_DEP_2)
	v_div_scale_f64 v[45:46], null, v[36:37], v[36:37], v[38:39]
	v_div_scale_f64 v[57:58], vcc_lo, v[38:39], v[36:37], v[38:39]
	v_rcp_f64_e32 v[53:54], v[45:46]
	s_waitcnt_depctr 0xfff
	v_fma_f64 v[55:56], -v[45:46], v[53:54], 1.0
	s_delay_alu instid0(VALU_DEP_1) | instskip(NEXT) | instid1(VALU_DEP_1)
	v_fma_f64 v[53:54], v[53:54], v[55:56], v[53:54]
	v_fma_f64 v[55:56], -v[45:46], v[53:54], 1.0
	s_delay_alu instid0(VALU_DEP_1) | instskip(NEXT) | instid1(VALU_DEP_1)
	v_fma_f64 v[53:54], v[53:54], v[55:56], v[53:54]
	v_mul_f64 v[55:56], v[57:58], v[53:54]
	s_delay_alu instid0(VALU_DEP_1) | instskip(NEXT) | instid1(VALU_DEP_1)
	v_fma_f64 v[45:46], -v[45:46], v[55:56], v[57:58]
	v_div_fmas_f64 v[45:46], v[45:46], v[53:54], v[55:56]
	s_delay_alu instid0(VALU_DEP_1) | instskip(NEXT) | instid1(VALU_DEP_1)
	v_div_fixup_f64 v[45:46], v[45:46], v[36:37], v[38:39]
	v_fma_f64 v[36:37], v[38:39], v[45:46], v[36:37]
	s_delay_alu instid0(VALU_DEP_1) | instskip(NEXT) | instid1(VALU_DEP_1)
	v_div_scale_f64 v[38:39], null, v[36:37], v[36:37], 1.0
	v_rcp_f64_e32 v[53:54], v[38:39]
	s_waitcnt_depctr 0xfff
	v_fma_f64 v[55:56], -v[38:39], v[53:54], 1.0
	s_delay_alu instid0(VALU_DEP_1) | instskip(NEXT) | instid1(VALU_DEP_1)
	v_fma_f64 v[53:54], v[53:54], v[55:56], v[53:54]
	v_fma_f64 v[55:56], -v[38:39], v[53:54], 1.0
	s_delay_alu instid0(VALU_DEP_1) | instskip(SKIP_1) | instid1(VALU_DEP_1)
	v_fma_f64 v[53:54], v[53:54], v[55:56], v[53:54]
	v_div_scale_f64 v[55:56], vcc_lo, 1.0, v[36:37], 1.0
	v_mul_f64 v[57:58], v[55:56], v[53:54]
	s_delay_alu instid0(VALU_DEP_1) | instskip(NEXT) | instid1(VALU_DEP_1)
	v_fma_f64 v[38:39], -v[38:39], v[57:58], v[55:56]
	v_div_fmas_f64 v[38:39], v[38:39], v[53:54], v[57:58]
	s_delay_alu instid0(VALU_DEP_1) | instskip(NEXT) | instid1(VALU_DEP_1)
	v_div_fixup_f64 v[36:37], v[38:39], v[36:37], 1.0
	v_mul_f64 v[38:39], v[45:46], -v[36:37]
.LBB16_177:
	s_or_b32 exec_lo, exec_lo, s2
.LBB16_178:
	s_delay_alu instid0(SALU_CYCLE_1)
	s_or_b32 exec_lo, exec_lo, s3
	v_mov_b32_e32 v45, 8
	s_mov_b32 s2, exec_lo
	v_cmpx_ne_u32_e64 v52, v44
	s_cbranch_execz .LBB16_184
; %bb.179:
	s_mov_b32 s3, exec_lo
	v_cmpx_eq_u32_e32 8, v52
	s_cbranch_execz .LBB16_183
; %bb.180:
	v_cmp_ne_u32_e32 vcc_lo, 8, v44
	s_xor_b32 s4, s4, -1
	s_delay_alu instid0(SALU_CYCLE_1) | instskip(NEXT) | instid1(SALU_CYCLE_1)
	s_and_b32 s5, s4, vcc_lo
	s_and_saveexec_b32 s4, s5
	s_cbranch_execz .LBB16_182
; %bb.181:
	v_ashrrev_i32_e32 v45, 31, v44
	s_delay_alu instid0(VALU_DEP_1) | instskip(NEXT) | instid1(VALU_DEP_1)
	v_lshlrev_b64 v[45:46], 2, v[44:45]
	v_add_co_u32 v45, vcc_lo, v42, v45
	s_delay_alu instid0(VALU_DEP_2)
	v_add_co_ci_u32_e32 v46, vcc_lo, v43, v46, vcc_lo
	s_clause 0x1
	flat_load_b32 v49, v[45:46]
	flat_load_b32 v51, v[42:43] offset:32
	s_waitcnt vmcnt(1) lgkmcnt(1)
	flat_store_b32 v[42:43], v49 offset:32
	s_waitcnt vmcnt(0) lgkmcnt(1)
	flat_store_b32 v[45:46], v51
.LBB16_182:
	s_or_b32 exec_lo, exec_lo, s4
	v_mov_b32_e32 v52, v44
	v_mov_b32_e32 v49, v44
.LBB16_183:
	s_or_b32 exec_lo, exec_lo, s3
	s_delay_alu instid0(VALU_DEP_2)
	v_mov_b32_e32 v45, v52
.LBB16_184:
	s_or_b32 exec_lo, exec_lo, s2
	s_delay_alu instid0(SALU_CYCLE_1)
	s_mov_b32 s2, exec_lo
	s_waitcnt lgkmcnt(0)
	s_waitcnt_vscnt null, 0x0
	s_barrier
	buffer_gl0_inv
	v_cmpx_lt_i32_e32 8, v45
; %bb.185:
	v_mul_f64 v[42:43], v[38:39], v[2:3]
	v_mul_f64 v[2:3], v[36:37], v[2:3]
	s_delay_alu instid0(VALU_DEP_2) | instskip(NEXT) | instid1(VALU_DEP_2)
	v_fma_f64 v[36:37], v[36:37], v[0:1], -v[42:43]
	v_fma_f64 v[2:3], v[38:39], v[0:1], v[2:3]
	s_delay_alu instid0(VALU_DEP_2)
	v_dual_mov_b32 v0, v36 :: v_dual_mov_b32 v1, v37
; %bb.186:
	s_or_b32 exec_lo, exec_lo, s2
	s_load_b256 s[0:7], s[0:1], 0x28
	v_ashrrev_i32_e32 v46, 31, v45
	s_mov_b32 s9, exec_lo
	s_waitcnt lgkmcnt(0)
	s_barrier
	buffer_gl0_inv
	v_cmpx_gt_i32_e32 9, v45
	s_cbranch_execz .LBB16_188
; %bb.187:
	v_mul_lo_u32 v38, v41, s4
	v_mul_lo_u32 v39, v40, s5
	v_mad_u64_u32 v[36:37], null, v40, s4, 0
	s_lshl_b64 s[2:3], s[2:3], 2
	s_delay_alu instid0(SALU_CYCLE_1) | instskip(SKIP_1) | instid1(VALU_DEP_1)
	s_add_u32 s0, s2, s0
	s_addc_u32 s1, s3, s1
	v_add3_u32 v37, v37, v39, v38
	v_lshlrev_b64 v[38:39], 2, v[45:46]
	s_delay_alu instid0(VALU_DEP_2) | instskip(NEXT) | instid1(VALU_DEP_1)
	v_lshlrev_b64 v[36:37], 2, v[36:37]
	v_add_co_u32 v36, vcc_lo, s0, v36
	s_delay_alu instid0(VALU_DEP_2) | instskip(NEXT) | instid1(VALU_DEP_2)
	v_add_co_ci_u32_e32 v37, vcc_lo, s1, v37, vcc_lo
	v_add_co_u32 v36, vcc_lo, v36, v38
	s_delay_alu instid0(VALU_DEP_2)
	v_add_co_ci_u32_e32 v37, vcc_lo, v37, v39, vcc_lo
	v_add3_u32 v38, v49, s13, 1
	global_store_b32 v[36:37], v38, off
.LBB16_188:
	s_or_b32 exec_lo, exec_lo, s9
	s_delay_alu instid0(SALU_CYCLE_1)
	s_mov_b32 s1, exec_lo
	v_cmpx_eq_u32_e32 0, v45
	s_cbranch_execz .LBB16_191
; %bb.189:
	v_lshlrev_b64 v[36:37], 2, v[40:41]
	v_cmp_lt_i32_e64 s0, 0, v50
	s_delay_alu instid0(VALU_DEP_2) | instskip(NEXT) | instid1(VALU_DEP_3)
	v_add_co_u32 v36, vcc_lo, s6, v36
	v_add_co_ci_u32_e32 v37, vcc_lo, s7, v37, vcc_lo
	global_load_b32 v38, v[36:37], off
	s_waitcnt vmcnt(0)
	v_cmp_eq_u32_e32 vcc_lo, 0, v38
	s_and_b32 s0, vcc_lo, s0
	s_delay_alu instid0(SALU_CYCLE_1)
	s_and_b32 exec_lo, exec_lo, s0
	s_cbranch_execz .LBB16_191
; %bb.190:
	v_add_nc_u32_e32 v38, s13, v50
	global_store_b32 v[36:37], v38, off
.LBB16_191:
	s_or_b32 exec_lo, exec_lo, s1
	v_lshlrev_b64 v[38:39], 4, v[45:46]
	v_add3_u32 v36, s8, s8, v45
	s_delay_alu instid0(VALU_DEP_1) | instskip(NEXT) | instid1(VALU_DEP_3)
	v_add_nc_u32_e32 v40, s8, v36
	v_add_co_u32 v38, vcc_lo, v47, v38
	s_delay_alu instid0(VALU_DEP_4) | instskip(SKIP_1) | instid1(VALU_DEP_3)
	v_add_co_ci_u32_e32 v39, vcc_lo, v48, v39, vcc_lo
	v_ashrrev_i32_e32 v37, 31, v36
	v_add_co_u32 v42, vcc_lo, v38, s10
	s_delay_alu instid0(VALU_DEP_3) | instskip(SKIP_1) | instid1(VALU_DEP_4)
	v_add_co_ci_u32_e32 v43, vcc_lo, s11, v39, vcc_lo
	v_ashrrev_i32_e32 v41, 31, v40
	v_lshlrev_b64 v[36:37], 4, v[36:37]
	s_clause 0x1
	global_store_b128 v[38:39], v[32:35], off
	global_store_b128 v[42:43], v[28:31], off
	v_add_nc_u32_e32 v28, s8, v40
	v_lshlrev_b64 v[32:33], 4, v[40:41]
	v_add_co_u32 v30, vcc_lo, v47, v36
	s_delay_alu instid0(VALU_DEP_3) | instskip(SKIP_1) | instid1(VALU_DEP_4)
	v_add_nc_u32_e32 v34, s8, v28
	v_add_co_ci_u32_e32 v31, vcc_lo, v48, v37, vcc_lo
	v_add_co_u32 v32, vcc_lo, v47, v32
	v_add_co_ci_u32_e32 v33, vcc_lo, v48, v33, vcc_lo
	s_delay_alu instid0(VALU_DEP_4)
	v_add_nc_u32_e32 v36, s8, v34
	v_ashrrev_i32_e32 v29, 31, v28
	s_clause 0x1
	global_store_b128 v[30:31], v[24:27], off
	global_store_b128 v[32:33], v[20:23], off
	v_ashrrev_i32_e32 v35, 31, v34
	v_add_nc_u32_e32 v22, s8, v36
	v_lshlrev_b64 v[24:25], 4, v[28:29]
	v_ashrrev_i32_e32 v37, 31, v36
	s_delay_alu instid0(VALU_DEP_4) | instskip(NEXT) | instid1(VALU_DEP_4)
	v_lshlrev_b64 v[20:21], 4, v[34:35]
	v_add_nc_u32_e32 v28, s8, v22
	v_ashrrev_i32_e32 v23, 31, v22
	v_add_co_u32 v24, vcc_lo, v47, v24
	v_lshlrev_b64 v[26:27], 4, v[36:37]
	s_delay_alu instid0(VALU_DEP_4)
	v_ashrrev_i32_e32 v29, 31, v28
	v_add_co_ci_u32_e32 v25, vcc_lo, v48, v25, vcc_lo
	v_add_co_u32 v20, vcc_lo, v47, v20
	v_lshlrev_b64 v[22:23], 4, v[22:23]
	v_add_co_ci_u32_e32 v21, vcc_lo, v48, v21, vcc_lo
	v_add_co_u32 v26, vcc_lo, v47, v26
	v_lshlrev_b64 v[28:29], 4, v[28:29]
	v_add_co_ci_u32_e32 v27, vcc_lo, v48, v27, vcc_lo
	v_add_co_u32 v22, vcc_lo, v47, v22
	v_add_co_ci_u32_e32 v23, vcc_lo, v48, v23, vcc_lo
	s_delay_alu instid0(VALU_DEP_4)
	v_add_co_u32 v28, vcc_lo, v47, v28
	v_add_co_ci_u32_e32 v29, vcc_lo, v48, v29, vcc_lo
	s_clause 0x4
	global_store_b128 v[24:25], v[16:19], off
	global_store_b128 v[20:21], v[12:15], off
	;; [unrolled: 1-line block ×5, first 2 shown]
.LBB16_192:
	s_nop 0
	s_sendmsg sendmsg(MSG_DEALLOC_VGPRS)
	s_endpgm
	.section	.rodata,"a",@progbits
	.p2align	6, 0x0
	.amdhsa_kernel _ZN9rocsolver6v33100L18getf2_small_kernelILi9E19rocblas_complex_numIdEiiPKPS3_EEvT1_T3_lS7_lPS7_llPT2_S7_S7_S9_l
		.amdhsa_group_segment_fixed_size 0
		.amdhsa_private_segment_fixed_size 0
		.amdhsa_kernarg_size 352
		.amdhsa_user_sgpr_count 14
		.amdhsa_user_sgpr_dispatch_ptr 0
		.amdhsa_user_sgpr_queue_ptr 0
		.amdhsa_user_sgpr_kernarg_segment_ptr 1
		.amdhsa_user_sgpr_dispatch_id 0
		.amdhsa_user_sgpr_private_segment_size 0
		.amdhsa_wavefront_size32 1
		.amdhsa_uses_dynamic_stack 0
		.amdhsa_enable_private_segment 0
		.amdhsa_system_sgpr_workgroup_id_x 1
		.amdhsa_system_sgpr_workgroup_id_y 1
		.amdhsa_system_sgpr_workgroup_id_z 0
		.amdhsa_system_sgpr_workgroup_info 0
		.amdhsa_system_vgpr_workitem_id 1
		.amdhsa_next_free_vgpr 112
		.amdhsa_next_free_sgpr 16
		.amdhsa_reserve_vcc 1
		.amdhsa_float_round_mode_32 0
		.amdhsa_float_round_mode_16_64 0
		.amdhsa_float_denorm_mode_32 3
		.amdhsa_float_denorm_mode_16_64 3
		.amdhsa_dx10_clamp 1
		.amdhsa_ieee_mode 1
		.amdhsa_fp16_overflow 0
		.amdhsa_workgroup_processor_mode 1
		.amdhsa_memory_ordered 1
		.amdhsa_forward_progress 0
		.amdhsa_shared_vgpr_count 0
		.amdhsa_exception_fp_ieee_invalid_op 0
		.amdhsa_exception_fp_denorm_src 0
		.amdhsa_exception_fp_ieee_div_zero 0
		.amdhsa_exception_fp_ieee_overflow 0
		.amdhsa_exception_fp_ieee_underflow 0
		.amdhsa_exception_fp_ieee_inexact 0
		.amdhsa_exception_int_div_zero 0
	.end_amdhsa_kernel
	.section	.text._ZN9rocsolver6v33100L18getf2_small_kernelILi9E19rocblas_complex_numIdEiiPKPS3_EEvT1_T3_lS7_lPS7_llPT2_S7_S7_S9_l,"axG",@progbits,_ZN9rocsolver6v33100L18getf2_small_kernelILi9E19rocblas_complex_numIdEiiPKPS3_EEvT1_T3_lS7_lPS7_llPT2_S7_S7_S9_l,comdat
.Lfunc_end16:
	.size	_ZN9rocsolver6v33100L18getf2_small_kernelILi9E19rocblas_complex_numIdEiiPKPS3_EEvT1_T3_lS7_lPS7_llPT2_S7_S7_S9_l, .Lfunc_end16-_ZN9rocsolver6v33100L18getf2_small_kernelILi9E19rocblas_complex_numIdEiiPKPS3_EEvT1_T3_lS7_lPS7_llPT2_S7_S7_S9_l
                                        ; -- End function
	.section	.AMDGPU.csdata,"",@progbits
; Kernel info:
; codeLenInByte = 14116
; NumSgprs: 18
; NumVgprs: 112
; ScratchSize: 0
; MemoryBound: 0
; FloatMode: 240
; IeeeMode: 1
; LDSByteSize: 0 bytes/workgroup (compile time only)
; SGPRBlocks: 2
; VGPRBlocks: 13
; NumSGPRsForWavesPerEU: 18
; NumVGPRsForWavesPerEU: 112
; Occupancy: 12
; WaveLimiterHint : 1
; COMPUTE_PGM_RSRC2:SCRATCH_EN: 0
; COMPUTE_PGM_RSRC2:USER_SGPR: 14
; COMPUTE_PGM_RSRC2:TRAP_HANDLER: 0
; COMPUTE_PGM_RSRC2:TGID_X_EN: 1
; COMPUTE_PGM_RSRC2:TGID_Y_EN: 1
; COMPUTE_PGM_RSRC2:TGID_Z_EN: 0
; COMPUTE_PGM_RSRC2:TIDIG_COMP_CNT: 1
	.section	.text._ZN9rocsolver6v33100L23getf2_npvt_small_kernelILi9E19rocblas_complex_numIdEiiPKPS3_EEvT1_T3_lS7_lPT2_S7_S7_,"axG",@progbits,_ZN9rocsolver6v33100L23getf2_npvt_small_kernelILi9E19rocblas_complex_numIdEiiPKPS3_EEvT1_T3_lS7_lPT2_S7_S7_,comdat
	.globl	_ZN9rocsolver6v33100L23getf2_npvt_small_kernelILi9E19rocblas_complex_numIdEiiPKPS3_EEvT1_T3_lS7_lPT2_S7_S7_ ; -- Begin function _ZN9rocsolver6v33100L23getf2_npvt_small_kernelILi9E19rocblas_complex_numIdEiiPKPS3_EEvT1_T3_lS7_lPT2_S7_S7_
	.p2align	8
	.type	_ZN9rocsolver6v33100L23getf2_npvt_small_kernelILi9E19rocblas_complex_numIdEiiPKPS3_EEvT1_T3_lS7_lPT2_S7_S7_,@function
_ZN9rocsolver6v33100L23getf2_npvt_small_kernelILi9E19rocblas_complex_numIdEiiPKPS3_EEvT1_T3_lS7_lPT2_S7_S7_: ; @_ZN9rocsolver6v33100L23getf2_npvt_small_kernelILi9E19rocblas_complex_numIdEiiPKPS3_EEvT1_T3_lS7_lPT2_S7_S7_
; %bb.0:
	s_clause 0x1
	s_load_b32 s2, s[0:1], 0x44
	s_load_b64 s[8:9], s[0:1], 0x30
	v_bfe_u32 v36, v0, 10, 10
	s_waitcnt lgkmcnt(0)
	s_lshr_b32 s10, s2, 16
	s_mov_b32 s2, exec_lo
	s_delay_alu instid0(VALU_DEP_1) | instskip(NEXT) | instid1(VALU_DEP_1)
	v_mad_u64_u32 v[72:73], null, s15, s10, v[36:37]
	v_cmpx_gt_i32_e64 s8, v72
	s_cbranch_execz .LBB17_86
; %bb.1:
	s_clause 0x1
	s_load_b128 s[4:7], s[0:1], 0x8
	s_load_b32 s2, s[0:1], 0x18
	v_ashrrev_i32_e32 v73, 31, v72
	v_and_b32_e32 v94, 0x3ff, v0
	v_lshlrev_b32_e32 v37, 4, v36
	s_mulk_i32 s10, 0x90
	v_mad_u32_u24 v96, 0x90, v36, 0
	v_lshlrev_b64 v[1:2], 3, v[72:73]
	v_lshlrev_b32_e32 v17, 4, v94
	v_add3_u32 v95, 0, s10, v37
	s_waitcnt lgkmcnt(0)
	s_delay_alu instid0(VALU_DEP_3) | instskip(NEXT) | instid1(VALU_DEP_4)
	v_add_co_u32 v1, vcc_lo, s4, v1
	v_add_co_ci_u32_e32 v2, vcc_lo, s5, v2, vcc_lo
	v_add3_u32 v3, s2, s2, v94
	s_lshl_b64 s[4:5], s[6:7], 4
	s_ashr_i32 s3, s2, 31
	global_load_b64 v[1:2], v[1:2], off
	s_lshl_b64 s[6:7], s[2:3], 4
	v_add_nc_u32_e32 v5, s2, v3
	v_ashrrev_i32_e32 v4, 31, v3
	v_cmp_ne_u32_e64 s3, 0, v94
	s_delay_alu instid0(VALU_DEP_3) | instskip(SKIP_1) | instid1(VALU_DEP_4)
	v_add_nc_u32_e32 v7, s2, v5
	v_ashrrev_i32_e32 v6, 31, v5
	v_lshlrev_b64 v[3:4], 4, v[3:4]
	s_delay_alu instid0(VALU_DEP_3) | instskip(SKIP_1) | instid1(VALU_DEP_4)
	v_add_nc_u32_e32 v9, s2, v7
	v_ashrrev_i32_e32 v8, 31, v7
	v_lshlrev_b64 v[5:6], 4, v[5:6]
	;; [unrolled: 4-line block ×5, first 2 shown]
	v_cmp_eq_u32_e64 s2, 0, v94
	s_delay_alu instid0(VALU_DEP_4) | instskip(NEXT) | instid1(VALU_DEP_4)
	v_ashrrev_i32_e32 v16, 31, v15
	v_lshlrev_b64 v[13:14], 4, v[13:14]
	s_waitcnt vmcnt(0)
	v_add_co_u32 v18, vcc_lo, v1, s4
	v_add_co_ci_u32_e32 v2, vcc_lo, s5, v2, vcc_lo
	v_lshlrev_b64 v[0:1], 4, v[15:16]
	s_delay_alu instid0(VALU_DEP_3) | instskip(NEXT) | instid1(VALU_DEP_3)
	v_add_co_u32 v88, vcc_lo, v18, v17
	v_add_co_ci_u32_e32 v89, vcc_lo, 0, v2, vcc_lo
	v_add_co_u32 v86, vcc_lo, v18, v3
	v_add_co_ci_u32_e32 v87, vcc_lo, v2, v4, vcc_lo
	;; [unrolled: 2-line block ×9, first 2 shown]
	s_clause 0x8
	global_load_b128 v[24:27], v[86:87], off
	global_load_b128 v[20:23], v[84:85], off
	;; [unrolled: 1-line block ×9, first 2 shown]
	s_and_saveexec_b32 s5, s2
	s_cbranch_execz .LBB17_8
; %bb.2:
	s_waitcnt vmcnt(2)
	ds_store_2addr_b64 v95, v[32:33], v[34:35] offset1:1
	s_waitcnt vmcnt(1)
	ds_store_2addr_b64 v96, v[28:29], v[30:31] offset0:2 offset1:3
	ds_store_2addr_b64 v96, v[24:25], v[26:27] offset0:4 offset1:5
	;; [unrolled: 1-line block ×7, first 2 shown]
	s_waitcnt vmcnt(0)
	ds_store_2addr_b64 v96, v[0:1], v[2:3] offset0:16 offset1:17
	ds_load_2addr_b64 v[36:39], v95 offset1:1
	s_waitcnt lgkmcnt(0)
	v_cmp_neq_f64_e32 vcc_lo, 0, v[36:37]
	v_cmp_neq_f64_e64 s4, 0, v[38:39]
	s_delay_alu instid0(VALU_DEP_1) | instskip(NEXT) | instid1(SALU_CYCLE_1)
	s_or_b32 s4, vcc_lo, s4
	s_and_b32 exec_lo, exec_lo, s4
	s_cbranch_execz .LBB17_8
; %bb.3:
	v_cmp_gt_f64_e32 vcc_lo, 0, v[36:37]
	v_cmp_gt_f64_e64 s4, 0, v[38:39]
	v_xor_b32_e32 v40, 0x80000000, v37
	v_xor_b32_e32 v42, 0x80000000, v39
                                        ; implicit-def: $vgpr44_vgpr45
	s_delay_alu instid0(VALU_DEP_2) | instskip(NEXT) | instid1(VALU_DEP_2)
	v_cndmask_b32_e32 v41, v37, v40, vcc_lo
	v_cndmask_b32_e64 v43, v39, v42, s4
	v_cndmask_b32_e32 v40, v36, v36, vcc_lo
	v_cndmask_b32_e64 v42, v38, v38, s4
	s_mov_b32 s4, exec_lo
	s_delay_alu instid0(VALU_DEP_1)
	v_cmpx_ngt_f64_e32 v[40:41], v[42:43]
	s_xor_b32 s4, exec_lo, s4
                                        ; implicit-def: $vgpr40_vgpr41_vgpr42_vgpr43
	s_cbranch_execz .LBB17_5
; %bb.4:
	v_div_scale_f64 v[40:41], null, v[38:39], v[38:39], v[36:37]
	v_div_scale_f64 v[46:47], vcc_lo, v[36:37], v[38:39], v[36:37]
	s_delay_alu instid0(VALU_DEP_2) | instskip(SKIP_2) | instid1(VALU_DEP_1)
	v_rcp_f64_e32 v[42:43], v[40:41]
	s_waitcnt_depctr 0xfff
	v_fma_f64 v[44:45], -v[40:41], v[42:43], 1.0
	v_fma_f64 v[42:43], v[42:43], v[44:45], v[42:43]
	s_delay_alu instid0(VALU_DEP_1) | instskip(NEXT) | instid1(VALU_DEP_1)
	v_fma_f64 v[44:45], -v[40:41], v[42:43], 1.0
	v_fma_f64 v[42:43], v[42:43], v[44:45], v[42:43]
	s_delay_alu instid0(VALU_DEP_1) | instskip(NEXT) | instid1(VALU_DEP_1)
	v_mul_f64 v[44:45], v[46:47], v[42:43]
	v_fma_f64 v[40:41], -v[40:41], v[44:45], v[46:47]
	s_delay_alu instid0(VALU_DEP_1) | instskip(NEXT) | instid1(VALU_DEP_1)
	v_div_fmas_f64 v[40:41], v[40:41], v[42:43], v[44:45]
	v_div_fixup_f64 v[40:41], v[40:41], v[38:39], v[36:37]
	s_delay_alu instid0(VALU_DEP_1) | instskip(NEXT) | instid1(VALU_DEP_1)
	v_fma_f64 v[36:37], v[36:37], v[40:41], v[38:39]
	v_div_scale_f64 v[38:39], null, v[36:37], v[36:37], 1.0
	s_delay_alu instid0(VALU_DEP_1) | instskip(SKIP_2) | instid1(VALU_DEP_1)
	v_rcp_f64_e32 v[42:43], v[38:39]
	s_waitcnt_depctr 0xfff
	v_fma_f64 v[44:45], -v[38:39], v[42:43], 1.0
	v_fma_f64 v[42:43], v[42:43], v[44:45], v[42:43]
	s_delay_alu instid0(VALU_DEP_1) | instskip(NEXT) | instid1(VALU_DEP_1)
	v_fma_f64 v[44:45], -v[38:39], v[42:43], 1.0
	v_fma_f64 v[42:43], v[42:43], v[44:45], v[42:43]
	v_div_scale_f64 v[44:45], vcc_lo, 1.0, v[36:37], 1.0
	s_delay_alu instid0(VALU_DEP_1) | instskip(NEXT) | instid1(VALU_DEP_1)
	v_mul_f64 v[46:47], v[44:45], v[42:43]
	v_fma_f64 v[38:39], -v[38:39], v[46:47], v[44:45]
	s_delay_alu instid0(VALU_DEP_1) | instskip(NEXT) | instid1(VALU_DEP_1)
	v_div_fmas_f64 v[38:39], v[38:39], v[42:43], v[46:47]
	v_div_fixup_f64 v[42:43], v[38:39], v[36:37], 1.0
                                        ; implicit-def: $vgpr36_vgpr37
	s_delay_alu instid0(VALU_DEP_1)
	v_mul_f64 v[44:45], v[40:41], v[42:43]
	v_xor_b32_e32 v43, 0x80000000, v43
.LBB17_5:
	s_and_not1_saveexec_b32 s4, s4
	s_cbranch_execz .LBB17_7
; %bb.6:
	v_div_scale_f64 v[40:41], null, v[36:37], v[36:37], v[38:39]
	v_div_scale_f64 v[46:47], vcc_lo, v[38:39], v[36:37], v[38:39]
	s_delay_alu instid0(VALU_DEP_2) | instskip(SKIP_2) | instid1(VALU_DEP_1)
	v_rcp_f64_e32 v[42:43], v[40:41]
	s_waitcnt_depctr 0xfff
	v_fma_f64 v[44:45], -v[40:41], v[42:43], 1.0
	v_fma_f64 v[42:43], v[42:43], v[44:45], v[42:43]
	s_delay_alu instid0(VALU_DEP_1) | instskip(NEXT) | instid1(VALU_DEP_1)
	v_fma_f64 v[44:45], -v[40:41], v[42:43], 1.0
	v_fma_f64 v[42:43], v[42:43], v[44:45], v[42:43]
	s_delay_alu instid0(VALU_DEP_1) | instskip(NEXT) | instid1(VALU_DEP_1)
	v_mul_f64 v[44:45], v[46:47], v[42:43]
	v_fma_f64 v[40:41], -v[40:41], v[44:45], v[46:47]
	s_delay_alu instid0(VALU_DEP_1) | instskip(NEXT) | instid1(VALU_DEP_1)
	v_div_fmas_f64 v[40:41], v[40:41], v[42:43], v[44:45]
	v_div_fixup_f64 v[40:41], v[40:41], v[36:37], v[38:39]
	s_delay_alu instid0(VALU_DEP_1) | instskip(NEXT) | instid1(VALU_DEP_1)
	v_fma_f64 v[36:37], v[38:39], v[40:41], v[36:37]
	v_div_scale_f64 v[38:39], null, v[36:37], v[36:37], 1.0
	s_delay_alu instid0(VALU_DEP_1) | instskip(SKIP_2) | instid1(VALU_DEP_1)
	v_rcp_f64_e32 v[42:43], v[38:39]
	s_waitcnt_depctr 0xfff
	v_fma_f64 v[44:45], -v[38:39], v[42:43], 1.0
	v_fma_f64 v[42:43], v[42:43], v[44:45], v[42:43]
	s_delay_alu instid0(VALU_DEP_1) | instskip(NEXT) | instid1(VALU_DEP_1)
	v_fma_f64 v[44:45], -v[38:39], v[42:43], 1.0
	v_fma_f64 v[42:43], v[42:43], v[44:45], v[42:43]
	v_div_scale_f64 v[44:45], vcc_lo, 1.0, v[36:37], 1.0
	s_delay_alu instid0(VALU_DEP_1) | instskip(NEXT) | instid1(VALU_DEP_1)
	v_mul_f64 v[46:47], v[44:45], v[42:43]
	v_fma_f64 v[38:39], -v[38:39], v[46:47], v[44:45]
	s_delay_alu instid0(VALU_DEP_1) | instskip(NEXT) | instid1(VALU_DEP_1)
	v_div_fmas_f64 v[38:39], v[38:39], v[42:43], v[46:47]
	v_div_fixup_f64 v[44:45], v[38:39], v[36:37], 1.0
	s_delay_alu instid0(VALU_DEP_1)
	v_mul_f64 v[42:43], v[40:41], -v[44:45]
.LBB17_7:
	s_or_b32 exec_lo, exec_lo, s4
	ds_store_2addr_b64 v95, v[44:45], v[42:43] offset1:1
.LBB17_8:
	s_or_b32 exec_lo, exec_lo, s5
	s_waitcnt vmcnt(0) lgkmcnt(0)
	s_barrier
	buffer_gl0_inv
	ds_load_2addr_b64 v[36:39], v95 offset1:1
	s_and_saveexec_b32 s4, s3
	s_cbranch_execz .LBB17_10
; %bb.9:
	s_waitcnt lgkmcnt(0)
	v_mul_f64 v[40:41], v[36:37], v[34:35]
	v_mul_f64 v[34:35], v[38:39], v[34:35]
	s_delay_alu instid0(VALU_DEP_2)
	v_fma_f64 v[92:93], v[38:39], v[32:33], v[40:41]
	ds_load_2addr_b64 v[40:43], v96 offset0:2 offset1:3
	ds_load_2addr_b64 v[44:47], v96 offset0:4 offset1:5
	;; [unrolled: 1-line block ×8, first 2 shown]
	v_fma_f64 v[32:33], v[36:37], v[32:33], -v[34:35]
	s_waitcnt lgkmcnt(7)
	v_mul_f64 v[34:35], v[42:43], v[92:93]
	v_mul_f64 v[97:98], v[40:41], v[92:93]
	s_waitcnt lgkmcnt(6)
	v_mul_f64 v[99:100], v[46:47], v[92:93]
	v_mul_f64 v[101:102], v[44:45], v[92:93]
	;; [unrolled: 3-line block ×8, first 2 shown]
	v_fma_f64 v[34:35], v[40:41], v[32:33], -v[34:35]
	v_fma_f64 v[40:41], v[42:43], v[32:33], v[97:98]
	v_fma_f64 v[42:43], v[44:45], v[32:33], -v[99:100]
	v_fma_f64 v[44:45], v[46:47], v[32:33], v[101:102]
	;; [unrolled: 2-line block ×8, first 2 shown]
	v_add_f64 v[28:29], v[28:29], -v[34:35]
	v_add_f64 v[30:31], v[30:31], -v[40:41]
	;; [unrolled: 1-line block ×16, first 2 shown]
	v_dual_mov_b32 v34, v92 :: v_dual_mov_b32 v35, v93
.LBB17_10:
	s_or_b32 exec_lo, exec_lo, s4
	s_delay_alu instid0(SALU_CYCLE_1)
	s_mov_b32 s4, exec_lo
	s_waitcnt lgkmcnt(0)
	s_barrier
	buffer_gl0_inv
	v_cmpx_eq_u32_e32 1, v94
	s_cbranch_execz .LBB17_17
; %bb.11:
	ds_store_2addr_b64 v95, v[28:29], v[30:31] offset1:1
	ds_store_2addr_b64 v96, v[24:25], v[26:27] offset0:4 offset1:5
	ds_store_2addr_b64 v96, v[20:21], v[22:23] offset0:6 offset1:7
	;; [unrolled: 1-line block ×7, first 2 shown]
	ds_load_2addr_b64 v[40:43], v95 offset1:1
	s_waitcnt lgkmcnt(0)
	v_cmp_neq_f64_e32 vcc_lo, 0, v[40:41]
	v_cmp_neq_f64_e64 s3, 0, v[42:43]
	s_delay_alu instid0(VALU_DEP_1) | instskip(NEXT) | instid1(SALU_CYCLE_1)
	s_or_b32 s3, vcc_lo, s3
	s_and_b32 exec_lo, exec_lo, s3
	s_cbranch_execz .LBB17_17
; %bb.12:
	v_cmp_gt_f64_e32 vcc_lo, 0, v[40:41]
	v_cmp_gt_f64_e64 s3, 0, v[42:43]
	v_xor_b32_e32 v44, 0x80000000, v41
	v_xor_b32_e32 v46, 0x80000000, v43
                                        ; implicit-def: $vgpr48_vgpr49
	s_delay_alu instid0(VALU_DEP_2) | instskip(NEXT) | instid1(VALU_DEP_2)
	v_cndmask_b32_e32 v45, v41, v44, vcc_lo
	v_cndmask_b32_e64 v47, v43, v46, s3
	v_cndmask_b32_e32 v44, v40, v40, vcc_lo
	v_cndmask_b32_e64 v46, v42, v42, s3
	s_mov_b32 s3, exec_lo
	s_delay_alu instid0(VALU_DEP_1)
	v_cmpx_ngt_f64_e32 v[44:45], v[46:47]
	s_xor_b32 s3, exec_lo, s3
                                        ; implicit-def: $vgpr44_vgpr45_vgpr46_vgpr47
	s_cbranch_execz .LBB17_14
; %bb.13:
	v_div_scale_f64 v[44:45], null, v[42:43], v[42:43], v[40:41]
	v_div_scale_f64 v[50:51], vcc_lo, v[40:41], v[42:43], v[40:41]
	s_delay_alu instid0(VALU_DEP_2) | instskip(SKIP_2) | instid1(VALU_DEP_1)
	v_rcp_f64_e32 v[46:47], v[44:45]
	s_waitcnt_depctr 0xfff
	v_fma_f64 v[48:49], -v[44:45], v[46:47], 1.0
	v_fma_f64 v[46:47], v[46:47], v[48:49], v[46:47]
	s_delay_alu instid0(VALU_DEP_1) | instskip(NEXT) | instid1(VALU_DEP_1)
	v_fma_f64 v[48:49], -v[44:45], v[46:47], 1.0
	v_fma_f64 v[46:47], v[46:47], v[48:49], v[46:47]
	s_delay_alu instid0(VALU_DEP_1) | instskip(NEXT) | instid1(VALU_DEP_1)
	v_mul_f64 v[48:49], v[50:51], v[46:47]
	v_fma_f64 v[44:45], -v[44:45], v[48:49], v[50:51]
	s_delay_alu instid0(VALU_DEP_1) | instskip(NEXT) | instid1(VALU_DEP_1)
	v_div_fmas_f64 v[44:45], v[44:45], v[46:47], v[48:49]
	v_div_fixup_f64 v[44:45], v[44:45], v[42:43], v[40:41]
	s_delay_alu instid0(VALU_DEP_1) | instskip(NEXT) | instid1(VALU_DEP_1)
	v_fma_f64 v[40:41], v[40:41], v[44:45], v[42:43]
	v_div_scale_f64 v[42:43], null, v[40:41], v[40:41], 1.0
	s_delay_alu instid0(VALU_DEP_1) | instskip(SKIP_2) | instid1(VALU_DEP_1)
	v_rcp_f64_e32 v[46:47], v[42:43]
	s_waitcnt_depctr 0xfff
	v_fma_f64 v[48:49], -v[42:43], v[46:47], 1.0
	v_fma_f64 v[46:47], v[46:47], v[48:49], v[46:47]
	s_delay_alu instid0(VALU_DEP_1) | instskip(NEXT) | instid1(VALU_DEP_1)
	v_fma_f64 v[48:49], -v[42:43], v[46:47], 1.0
	v_fma_f64 v[46:47], v[46:47], v[48:49], v[46:47]
	v_div_scale_f64 v[48:49], vcc_lo, 1.0, v[40:41], 1.0
	s_delay_alu instid0(VALU_DEP_1) | instskip(NEXT) | instid1(VALU_DEP_1)
	v_mul_f64 v[50:51], v[48:49], v[46:47]
	v_fma_f64 v[42:43], -v[42:43], v[50:51], v[48:49]
	s_delay_alu instid0(VALU_DEP_1) | instskip(NEXT) | instid1(VALU_DEP_1)
	v_div_fmas_f64 v[42:43], v[42:43], v[46:47], v[50:51]
	v_div_fixup_f64 v[46:47], v[42:43], v[40:41], 1.0
                                        ; implicit-def: $vgpr40_vgpr41
	s_delay_alu instid0(VALU_DEP_1)
	v_mul_f64 v[48:49], v[44:45], v[46:47]
	v_xor_b32_e32 v47, 0x80000000, v47
.LBB17_14:
	s_and_not1_saveexec_b32 s3, s3
	s_cbranch_execz .LBB17_16
; %bb.15:
	v_div_scale_f64 v[44:45], null, v[40:41], v[40:41], v[42:43]
	v_div_scale_f64 v[50:51], vcc_lo, v[42:43], v[40:41], v[42:43]
	s_delay_alu instid0(VALU_DEP_2) | instskip(SKIP_2) | instid1(VALU_DEP_1)
	v_rcp_f64_e32 v[46:47], v[44:45]
	s_waitcnt_depctr 0xfff
	v_fma_f64 v[48:49], -v[44:45], v[46:47], 1.0
	v_fma_f64 v[46:47], v[46:47], v[48:49], v[46:47]
	s_delay_alu instid0(VALU_DEP_1) | instskip(NEXT) | instid1(VALU_DEP_1)
	v_fma_f64 v[48:49], -v[44:45], v[46:47], 1.0
	v_fma_f64 v[46:47], v[46:47], v[48:49], v[46:47]
	s_delay_alu instid0(VALU_DEP_1) | instskip(NEXT) | instid1(VALU_DEP_1)
	v_mul_f64 v[48:49], v[50:51], v[46:47]
	v_fma_f64 v[44:45], -v[44:45], v[48:49], v[50:51]
	s_delay_alu instid0(VALU_DEP_1) | instskip(NEXT) | instid1(VALU_DEP_1)
	v_div_fmas_f64 v[44:45], v[44:45], v[46:47], v[48:49]
	v_div_fixup_f64 v[44:45], v[44:45], v[40:41], v[42:43]
	s_delay_alu instid0(VALU_DEP_1) | instskip(NEXT) | instid1(VALU_DEP_1)
	v_fma_f64 v[40:41], v[42:43], v[44:45], v[40:41]
	v_div_scale_f64 v[42:43], null, v[40:41], v[40:41], 1.0
	s_delay_alu instid0(VALU_DEP_1) | instskip(SKIP_2) | instid1(VALU_DEP_1)
	v_rcp_f64_e32 v[46:47], v[42:43]
	s_waitcnt_depctr 0xfff
	v_fma_f64 v[48:49], -v[42:43], v[46:47], 1.0
	v_fma_f64 v[46:47], v[46:47], v[48:49], v[46:47]
	s_delay_alu instid0(VALU_DEP_1) | instskip(NEXT) | instid1(VALU_DEP_1)
	v_fma_f64 v[48:49], -v[42:43], v[46:47], 1.0
	v_fma_f64 v[46:47], v[46:47], v[48:49], v[46:47]
	v_div_scale_f64 v[48:49], vcc_lo, 1.0, v[40:41], 1.0
	s_delay_alu instid0(VALU_DEP_1) | instskip(NEXT) | instid1(VALU_DEP_1)
	v_mul_f64 v[50:51], v[48:49], v[46:47]
	v_fma_f64 v[42:43], -v[42:43], v[50:51], v[48:49]
	s_delay_alu instid0(VALU_DEP_1) | instskip(NEXT) | instid1(VALU_DEP_1)
	v_div_fmas_f64 v[42:43], v[42:43], v[46:47], v[50:51]
	v_div_fixup_f64 v[48:49], v[42:43], v[40:41], 1.0
	s_delay_alu instid0(VALU_DEP_1)
	v_mul_f64 v[46:47], v[44:45], -v[48:49]
.LBB17_16:
	s_or_b32 exec_lo, exec_lo, s3
	ds_store_2addr_b64 v95, v[48:49], v[46:47] offset1:1
.LBB17_17:
	s_or_b32 exec_lo, exec_lo, s4
	s_waitcnt lgkmcnt(0)
	s_barrier
	buffer_gl0_inv
	ds_load_2addr_b64 v[40:43], v95 offset1:1
	s_mov_b32 s3, exec_lo
	v_cmpx_lt_u32_e32 1, v94
	s_cbranch_execz .LBB17_19
; %bb.18:
	s_waitcnt lgkmcnt(0)
	v_mul_f64 v[44:45], v[40:41], v[30:31]
	v_mul_f64 v[30:31], v[42:43], v[30:31]
	s_delay_alu instid0(VALU_DEP_2)
	v_fma_f64 v[92:93], v[42:43], v[28:29], v[44:45]
	ds_load_2addr_b64 v[44:47], v96 offset0:4 offset1:5
	ds_load_2addr_b64 v[48:51], v96 offset0:6 offset1:7
	;; [unrolled: 1-line block ×7, first 2 shown]
	v_fma_f64 v[28:29], v[40:41], v[28:29], -v[30:31]
	s_waitcnt lgkmcnt(6)
	v_mul_f64 v[30:31], v[46:47], v[92:93]
	v_mul_f64 v[97:98], v[44:45], v[92:93]
	s_waitcnt lgkmcnt(5)
	v_mul_f64 v[99:100], v[50:51], v[92:93]
	v_mul_f64 v[101:102], v[48:49], v[92:93]
	;; [unrolled: 3-line block ×7, first 2 shown]
	v_fma_f64 v[30:31], v[44:45], v[28:29], -v[30:31]
	v_fma_f64 v[44:45], v[46:47], v[28:29], v[97:98]
	v_fma_f64 v[46:47], v[48:49], v[28:29], -v[99:100]
	v_fma_f64 v[48:49], v[50:51], v[28:29], v[101:102]
	;; [unrolled: 2-line block ×7, first 2 shown]
	v_add_f64 v[24:25], v[24:25], -v[30:31]
	v_add_f64 v[26:27], v[26:27], -v[44:45]
	;; [unrolled: 1-line block ×14, first 2 shown]
	v_dual_mov_b32 v30, v92 :: v_dual_mov_b32 v31, v93
.LBB17_19:
	s_or_b32 exec_lo, exec_lo, s3
	s_delay_alu instid0(SALU_CYCLE_1)
	s_mov_b32 s4, exec_lo
	s_waitcnt lgkmcnt(0)
	s_barrier
	buffer_gl0_inv
	v_cmpx_eq_u32_e32 2, v94
	s_cbranch_execz .LBB17_26
; %bb.20:
	ds_store_2addr_b64 v95, v[24:25], v[26:27] offset1:1
	ds_store_2addr_b64 v96, v[20:21], v[22:23] offset0:6 offset1:7
	ds_store_2addr_b64 v96, v[16:17], v[18:19] offset0:8 offset1:9
	;; [unrolled: 1-line block ×6, first 2 shown]
	ds_load_2addr_b64 v[44:47], v95 offset1:1
	s_waitcnt lgkmcnt(0)
	v_cmp_neq_f64_e32 vcc_lo, 0, v[44:45]
	v_cmp_neq_f64_e64 s3, 0, v[46:47]
	s_delay_alu instid0(VALU_DEP_1) | instskip(NEXT) | instid1(SALU_CYCLE_1)
	s_or_b32 s3, vcc_lo, s3
	s_and_b32 exec_lo, exec_lo, s3
	s_cbranch_execz .LBB17_26
; %bb.21:
	v_cmp_gt_f64_e32 vcc_lo, 0, v[44:45]
	v_cmp_gt_f64_e64 s3, 0, v[46:47]
	v_xor_b32_e32 v48, 0x80000000, v45
	v_xor_b32_e32 v50, 0x80000000, v47
                                        ; implicit-def: $vgpr52_vgpr53
	s_delay_alu instid0(VALU_DEP_2) | instskip(NEXT) | instid1(VALU_DEP_2)
	v_cndmask_b32_e32 v49, v45, v48, vcc_lo
	v_cndmask_b32_e64 v51, v47, v50, s3
	v_cndmask_b32_e32 v48, v44, v44, vcc_lo
	v_cndmask_b32_e64 v50, v46, v46, s3
	s_mov_b32 s3, exec_lo
	s_delay_alu instid0(VALU_DEP_1)
	v_cmpx_ngt_f64_e32 v[48:49], v[50:51]
	s_xor_b32 s3, exec_lo, s3
                                        ; implicit-def: $vgpr48_vgpr49_vgpr50_vgpr51
	s_cbranch_execz .LBB17_23
; %bb.22:
	v_div_scale_f64 v[48:49], null, v[46:47], v[46:47], v[44:45]
	v_div_scale_f64 v[54:55], vcc_lo, v[44:45], v[46:47], v[44:45]
	s_delay_alu instid0(VALU_DEP_2) | instskip(SKIP_2) | instid1(VALU_DEP_1)
	v_rcp_f64_e32 v[50:51], v[48:49]
	s_waitcnt_depctr 0xfff
	v_fma_f64 v[52:53], -v[48:49], v[50:51], 1.0
	v_fma_f64 v[50:51], v[50:51], v[52:53], v[50:51]
	s_delay_alu instid0(VALU_DEP_1) | instskip(NEXT) | instid1(VALU_DEP_1)
	v_fma_f64 v[52:53], -v[48:49], v[50:51], 1.0
	v_fma_f64 v[50:51], v[50:51], v[52:53], v[50:51]
	s_delay_alu instid0(VALU_DEP_1) | instskip(NEXT) | instid1(VALU_DEP_1)
	v_mul_f64 v[52:53], v[54:55], v[50:51]
	v_fma_f64 v[48:49], -v[48:49], v[52:53], v[54:55]
	s_delay_alu instid0(VALU_DEP_1) | instskip(NEXT) | instid1(VALU_DEP_1)
	v_div_fmas_f64 v[48:49], v[48:49], v[50:51], v[52:53]
	v_div_fixup_f64 v[48:49], v[48:49], v[46:47], v[44:45]
	s_delay_alu instid0(VALU_DEP_1) | instskip(NEXT) | instid1(VALU_DEP_1)
	v_fma_f64 v[44:45], v[44:45], v[48:49], v[46:47]
	v_div_scale_f64 v[46:47], null, v[44:45], v[44:45], 1.0
	s_delay_alu instid0(VALU_DEP_1) | instskip(SKIP_2) | instid1(VALU_DEP_1)
	v_rcp_f64_e32 v[50:51], v[46:47]
	s_waitcnt_depctr 0xfff
	v_fma_f64 v[52:53], -v[46:47], v[50:51], 1.0
	v_fma_f64 v[50:51], v[50:51], v[52:53], v[50:51]
	s_delay_alu instid0(VALU_DEP_1) | instskip(NEXT) | instid1(VALU_DEP_1)
	v_fma_f64 v[52:53], -v[46:47], v[50:51], 1.0
	v_fma_f64 v[50:51], v[50:51], v[52:53], v[50:51]
	v_div_scale_f64 v[52:53], vcc_lo, 1.0, v[44:45], 1.0
	s_delay_alu instid0(VALU_DEP_1) | instskip(NEXT) | instid1(VALU_DEP_1)
	v_mul_f64 v[54:55], v[52:53], v[50:51]
	v_fma_f64 v[46:47], -v[46:47], v[54:55], v[52:53]
	s_delay_alu instid0(VALU_DEP_1) | instskip(NEXT) | instid1(VALU_DEP_1)
	v_div_fmas_f64 v[46:47], v[46:47], v[50:51], v[54:55]
	v_div_fixup_f64 v[50:51], v[46:47], v[44:45], 1.0
                                        ; implicit-def: $vgpr44_vgpr45
	s_delay_alu instid0(VALU_DEP_1)
	v_mul_f64 v[52:53], v[48:49], v[50:51]
	v_xor_b32_e32 v51, 0x80000000, v51
.LBB17_23:
	s_and_not1_saveexec_b32 s3, s3
	s_cbranch_execz .LBB17_25
; %bb.24:
	v_div_scale_f64 v[48:49], null, v[44:45], v[44:45], v[46:47]
	v_div_scale_f64 v[54:55], vcc_lo, v[46:47], v[44:45], v[46:47]
	s_delay_alu instid0(VALU_DEP_2) | instskip(SKIP_2) | instid1(VALU_DEP_1)
	v_rcp_f64_e32 v[50:51], v[48:49]
	s_waitcnt_depctr 0xfff
	v_fma_f64 v[52:53], -v[48:49], v[50:51], 1.0
	v_fma_f64 v[50:51], v[50:51], v[52:53], v[50:51]
	s_delay_alu instid0(VALU_DEP_1) | instskip(NEXT) | instid1(VALU_DEP_1)
	v_fma_f64 v[52:53], -v[48:49], v[50:51], 1.0
	v_fma_f64 v[50:51], v[50:51], v[52:53], v[50:51]
	s_delay_alu instid0(VALU_DEP_1) | instskip(NEXT) | instid1(VALU_DEP_1)
	v_mul_f64 v[52:53], v[54:55], v[50:51]
	v_fma_f64 v[48:49], -v[48:49], v[52:53], v[54:55]
	s_delay_alu instid0(VALU_DEP_1) | instskip(NEXT) | instid1(VALU_DEP_1)
	v_div_fmas_f64 v[48:49], v[48:49], v[50:51], v[52:53]
	v_div_fixup_f64 v[48:49], v[48:49], v[44:45], v[46:47]
	s_delay_alu instid0(VALU_DEP_1) | instskip(NEXT) | instid1(VALU_DEP_1)
	v_fma_f64 v[44:45], v[46:47], v[48:49], v[44:45]
	v_div_scale_f64 v[46:47], null, v[44:45], v[44:45], 1.0
	s_delay_alu instid0(VALU_DEP_1) | instskip(SKIP_2) | instid1(VALU_DEP_1)
	v_rcp_f64_e32 v[50:51], v[46:47]
	s_waitcnt_depctr 0xfff
	v_fma_f64 v[52:53], -v[46:47], v[50:51], 1.0
	v_fma_f64 v[50:51], v[50:51], v[52:53], v[50:51]
	s_delay_alu instid0(VALU_DEP_1) | instskip(NEXT) | instid1(VALU_DEP_1)
	v_fma_f64 v[52:53], -v[46:47], v[50:51], 1.0
	v_fma_f64 v[50:51], v[50:51], v[52:53], v[50:51]
	v_div_scale_f64 v[52:53], vcc_lo, 1.0, v[44:45], 1.0
	s_delay_alu instid0(VALU_DEP_1) | instskip(NEXT) | instid1(VALU_DEP_1)
	v_mul_f64 v[54:55], v[52:53], v[50:51]
	v_fma_f64 v[46:47], -v[46:47], v[54:55], v[52:53]
	s_delay_alu instid0(VALU_DEP_1) | instskip(NEXT) | instid1(VALU_DEP_1)
	v_div_fmas_f64 v[46:47], v[46:47], v[50:51], v[54:55]
	v_div_fixup_f64 v[52:53], v[46:47], v[44:45], 1.0
	s_delay_alu instid0(VALU_DEP_1)
	v_mul_f64 v[50:51], v[48:49], -v[52:53]
.LBB17_25:
	s_or_b32 exec_lo, exec_lo, s3
	ds_store_2addr_b64 v95, v[52:53], v[50:51] offset1:1
.LBB17_26:
	s_or_b32 exec_lo, exec_lo, s4
	s_waitcnt lgkmcnt(0)
	s_barrier
	buffer_gl0_inv
	ds_load_2addr_b64 v[44:47], v95 offset1:1
	s_mov_b32 s3, exec_lo
	v_cmpx_lt_u32_e32 2, v94
	s_cbranch_execz .LBB17_28
; %bb.27:
	s_waitcnt lgkmcnt(0)
	v_mul_f64 v[48:49], v[44:45], v[26:27]
	v_mul_f64 v[26:27], v[46:47], v[26:27]
	s_delay_alu instid0(VALU_DEP_2)
	v_fma_f64 v[92:93], v[46:47], v[24:25], v[48:49]
	ds_load_2addr_b64 v[48:51], v96 offset0:6 offset1:7
	ds_load_2addr_b64 v[52:55], v96 offset0:8 offset1:9
	;; [unrolled: 1-line block ×6, first 2 shown]
	v_fma_f64 v[24:25], v[44:45], v[24:25], -v[26:27]
	s_waitcnt lgkmcnt(5)
	v_mul_f64 v[26:27], v[50:51], v[92:93]
	v_mul_f64 v[97:98], v[48:49], v[92:93]
	s_waitcnt lgkmcnt(4)
	v_mul_f64 v[99:100], v[54:55], v[92:93]
	v_mul_f64 v[101:102], v[52:53], v[92:93]
	;; [unrolled: 3-line block ×6, first 2 shown]
	v_fma_f64 v[26:27], v[48:49], v[24:25], -v[26:27]
	v_fma_f64 v[48:49], v[50:51], v[24:25], v[97:98]
	v_fma_f64 v[50:51], v[52:53], v[24:25], -v[99:100]
	v_fma_f64 v[52:53], v[54:55], v[24:25], v[101:102]
	;; [unrolled: 2-line block ×6, first 2 shown]
	v_add_f64 v[20:21], v[20:21], -v[26:27]
	v_add_f64 v[22:23], v[22:23], -v[48:49]
	;; [unrolled: 1-line block ×12, first 2 shown]
	v_dual_mov_b32 v26, v92 :: v_dual_mov_b32 v27, v93
.LBB17_28:
	s_or_b32 exec_lo, exec_lo, s3
	s_delay_alu instid0(SALU_CYCLE_1)
	s_mov_b32 s4, exec_lo
	s_waitcnt lgkmcnt(0)
	s_barrier
	buffer_gl0_inv
	v_cmpx_eq_u32_e32 3, v94
	s_cbranch_execz .LBB17_35
; %bb.29:
	ds_store_2addr_b64 v95, v[20:21], v[22:23] offset1:1
	ds_store_2addr_b64 v96, v[16:17], v[18:19] offset0:8 offset1:9
	ds_store_2addr_b64 v96, v[12:13], v[14:15] offset0:10 offset1:11
	;; [unrolled: 1-line block ×5, first 2 shown]
	ds_load_2addr_b64 v[48:51], v95 offset1:1
	s_waitcnt lgkmcnt(0)
	v_cmp_neq_f64_e32 vcc_lo, 0, v[48:49]
	v_cmp_neq_f64_e64 s3, 0, v[50:51]
	s_delay_alu instid0(VALU_DEP_1) | instskip(NEXT) | instid1(SALU_CYCLE_1)
	s_or_b32 s3, vcc_lo, s3
	s_and_b32 exec_lo, exec_lo, s3
	s_cbranch_execz .LBB17_35
; %bb.30:
	v_cmp_gt_f64_e32 vcc_lo, 0, v[48:49]
	v_cmp_gt_f64_e64 s3, 0, v[50:51]
	v_xor_b32_e32 v52, 0x80000000, v49
	v_xor_b32_e32 v54, 0x80000000, v51
                                        ; implicit-def: $vgpr56_vgpr57
	s_delay_alu instid0(VALU_DEP_2) | instskip(NEXT) | instid1(VALU_DEP_2)
	v_cndmask_b32_e32 v53, v49, v52, vcc_lo
	v_cndmask_b32_e64 v55, v51, v54, s3
	v_cndmask_b32_e32 v52, v48, v48, vcc_lo
	v_cndmask_b32_e64 v54, v50, v50, s3
	s_mov_b32 s3, exec_lo
	s_delay_alu instid0(VALU_DEP_1)
	v_cmpx_ngt_f64_e32 v[52:53], v[54:55]
	s_xor_b32 s3, exec_lo, s3
                                        ; implicit-def: $vgpr52_vgpr53_vgpr54_vgpr55
	s_cbranch_execz .LBB17_32
; %bb.31:
	v_div_scale_f64 v[52:53], null, v[50:51], v[50:51], v[48:49]
	v_div_scale_f64 v[58:59], vcc_lo, v[48:49], v[50:51], v[48:49]
	s_delay_alu instid0(VALU_DEP_2) | instskip(SKIP_2) | instid1(VALU_DEP_1)
	v_rcp_f64_e32 v[54:55], v[52:53]
	s_waitcnt_depctr 0xfff
	v_fma_f64 v[56:57], -v[52:53], v[54:55], 1.0
	v_fma_f64 v[54:55], v[54:55], v[56:57], v[54:55]
	s_delay_alu instid0(VALU_DEP_1) | instskip(NEXT) | instid1(VALU_DEP_1)
	v_fma_f64 v[56:57], -v[52:53], v[54:55], 1.0
	v_fma_f64 v[54:55], v[54:55], v[56:57], v[54:55]
	s_delay_alu instid0(VALU_DEP_1) | instskip(NEXT) | instid1(VALU_DEP_1)
	v_mul_f64 v[56:57], v[58:59], v[54:55]
	v_fma_f64 v[52:53], -v[52:53], v[56:57], v[58:59]
	s_delay_alu instid0(VALU_DEP_1) | instskip(NEXT) | instid1(VALU_DEP_1)
	v_div_fmas_f64 v[52:53], v[52:53], v[54:55], v[56:57]
	v_div_fixup_f64 v[52:53], v[52:53], v[50:51], v[48:49]
	s_delay_alu instid0(VALU_DEP_1) | instskip(NEXT) | instid1(VALU_DEP_1)
	v_fma_f64 v[48:49], v[48:49], v[52:53], v[50:51]
	v_div_scale_f64 v[50:51], null, v[48:49], v[48:49], 1.0
	s_delay_alu instid0(VALU_DEP_1) | instskip(SKIP_2) | instid1(VALU_DEP_1)
	v_rcp_f64_e32 v[54:55], v[50:51]
	s_waitcnt_depctr 0xfff
	v_fma_f64 v[56:57], -v[50:51], v[54:55], 1.0
	v_fma_f64 v[54:55], v[54:55], v[56:57], v[54:55]
	s_delay_alu instid0(VALU_DEP_1) | instskip(NEXT) | instid1(VALU_DEP_1)
	v_fma_f64 v[56:57], -v[50:51], v[54:55], 1.0
	v_fma_f64 v[54:55], v[54:55], v[56:57], v[54:55]
	v_div_scale_f64 v[56:57], vcc_lo, 1.0, v[48:49], 1.0
	s_delay_alu instid0(VALU_DEP_1) | instskip(NEXT) | instid1(VALU_DEP_1)
	v_mul_f64 v[58:59], v[56:57], v[54:55]
	v_fma_f64 v[50:51], -v[50:51], v[58:59], v[56:57]
	s_delay_alu instid0(VALU_DEP_1) | instskip(NEXT) | instid1(VALU_DEP_1)
	v_div_fmas_f64 v[50:51], v[50:51], v[54:55], v[58:59]
	v_div_fixup_f64 v[54:55], v[50:51], v[48:49], 1.0
                                        ; implicit-def: $vgpr48_vgpr49
	s_delay_alu instid0(VALU_DEP_1)
	v_mul_f64 v[56:57], v[52:53], v[54:55]
	v_xor_b32_e32 v55, 0x80000000, v55
.LBB17_32:
	s_and_not1_saveexec_b32 s3, s3
	s_cbranch_execz .LBB17_34
; %bb.33:
	v_div_scale_f64 v[52:53], null, v[48:49], v[48:49], v[50:51]
	v_div_scale_f64 v[58:59], vcc_lo, v[50:51], v[48:49], v[50:51]
	s_delay_alu instid0(VALU_DEP_2) | instskip(SKIP_2) | instid1(VALU_DEP_1)
	v_rcp_f64_e32 v[54:55], v[52:53]
	s_waitcnt_depctr 0xfff
	v_fma_f64 v[56:57], -v[52:53], v[54:55], 1.0
	v_fma_f64 v[54:55], v[54:55], v[56:57], v[54:55]
	s_delay_alu instid0(VALU_DEP_1) | instskip(NEXT) | instid1(VALU_DEP_1)
	v_fma_f64 v[56:57], -v[52:53], v[54:55], 1.0
	v_fma_f64 v[54:55], v[54:55], v[56:57], v[54:55]
	s_delay_alu instid0(VALU_DEP_1) | instskip(NEXT) | instid1(VALU_DEP_1)
	v_mul_f64 v[56:57], v[58:59], v[54:55]
	v_fma_f64 v[52:53], -v[52:53], v[56:57], v[58:59]
	s_delay_alu instid0(VALU_DEP_1) | instskip(NEXT) | instid1(VALU_DEP_1)
	v_div_fmas_f64 v[52:53], v[52:53], v[54:55], v[56:57]
	v_div_fixup_f64 v[52:53], v[52:53], v[48:49], v[50:51]
	s_delay_alu instid0(VALU_DEP_1) | instskip(NEXT) | instid1(VALU_DEP_1)
	v_fma_f64 v[48:49], v[50:51], v[52:53], v[48:49]
	v_div_scale_f64 v[50:51], null, v[48:49], v[48:49], 1.0
	s_delay_alu instid0(VALU_DEP_1) | instskip(SKIP_2) | instid1(VALU_DEP_1)
	v_rcp_f64_e32 v[54:55], v[50:51]
	s_waitcnt_depctr 0xfff
	v_fma_f64 v[56:57], -v[50:51], v[54:55], 1.0
	v_fma_f64 v[54:55], v[54:55], v[56:57], v[54:55]
	s_delay_alu instid0(VALU_DEP_1) | instskip(NEXT) | instid1(VALU_DEP_1)
	v_fma_f64 v[56:57], -v[50:51], v[54:55], 1.0
	v_fma_f64 v[54:55], v[54:55], v[56:57], v[54:55]
	v_div_scale_f64 v[56:57], vcc_lo, 1.0, v[48:49], 1.0
	s_delay_alu instid0(VALU_DEP_1) | instskip(NEXT) | instid1(VALU_DEP_1)
	v_mul_f64 v[58:59], v[56:57], v[54:55]
	v_fma_f64 v[50:51], -v[50:51], v[58:59], v[56:57]
	s_delay_alu instid0(VALU_DEP_1) | instskip(NEXT) | instid1(VALU_DEP_1)
	v_div_fmas_f64 v[50:51], v[50:51], v[54:55], v[58:59]
	v_div_fixup_f64 v[56:57], v[50:51], v[48:49], 1.0
	s_delay_alu instid0(VALU_DEP_1)
	v_mul_f64 v[54:55], v[52:53], -v[56:57]
.LBB17_34:
	s_or_b32 exec_lo, exec_lo, s3
	ds_store_2addr_b64 v95, v[56:57], v[54:55] offset1:1
.LBB17_35:
	s_or_b32 exec_lo, exec_lo, s4
	s_waitcnt lgkmcnt(0)
	s_barrier
	buffer_gl0_inv
	ds_load_2addr_b64 v[48:51], v95 offset1:1
	s_mov_b32 s3, exec_lo
	v_cmpx_lt_u32_e32 3, v94
	s_cbranch_execz .LBB17_37
; %bb.36:
	s_waitcnt lgkmcnt(0)
	v_mul_f64 v[52:53], v[48:49], v[22:23]
	v_mul_f64 v[22:23], v[50:51], v[22:23]
	s_delay_alu instid0(VALU_DEP_2)
	v_fma_f64 v[92:93], v[50:51], v[20:21], v[52:53]
	ds_load_2addr_b64 v[52:55], v96 offset0:8 offset1:9
	ds_load_2addr_b64 v[56:59], v96 offset0:10 offset1:11
	;; [unrolled: 1-line block ×5, first 2 shown]
	v_fma_f64 v[20:21], v[48:49], v[20:21], -v[22:23]
	s_waitcnt lgkmcnt(4)
	v_mul_f64 v[22:23], v[54:55], v[92:93]
	v_mul_f64 v[97:98], v[52:53], v[92:93]
	s_waitcnt lgkmcnt(3)
	v_mul_f64 v[99:100], v[58:59], v[92:93]
	v_mul_f64 v[101:102], v[56:57], v[92:93]
	;; [unrolled: 3-line block ×5, first 2 shown]
	v_fma_f64 v[22:23], v[52:53], v[20:21], -v[22:23]
	v_fma_f64 v[52:53], v[54:55], v[20:21], v[97:98]
	v_fma_f64 v[54:55], v[56:57], v[20:21], -v[99:100]
	v_fma_f64 v[56:57], v[58:59], v[20:21], v[101:102]
	;; [unrolled: 2-line block ×5, first 2 shown]
	v_add_f64 v[16:17], v[16:17], -v[22:23]
	v_add_f64 v[18:19], v[18:19], -v[52:53]
	;; [unrolled: 1-line block ×10, first 2 shown]
	v_dual_mov_b32 v22, v92 :: v_dual_mov_b32 v23, v93
.LBB17_37:
	s_or_b32 exec_lo, exec_lo, s3
	s_delay_alu instid0(SALU_CYCLE_1)
	s_mov_b32 s4, exec_lo
	s_waitcnt lgkmcnt(0)
	s_barrier
	buffer_gl0_inv
	v_cmpx_eq_u32_e32 4, v94
	s_cbranch_execz .LBB17_44
; %bb.38:
	ds_store_2addr_b64 v95, v[16:17], v[18:19] offset1:1
	ds_store_2addr_b64 v96, v[12:13], v[14:15] offset0:10 offset1:11
	ds_store_2addr_b64 v96, v[8:9], v[10:11] offset0:12 offset1:13
	;; [unrolled: 1-line block ×4, first 2 shown]
	ds_load_2addr_b64 v[52:55], v95 offset1:1
	s_waitcnt lgkmcnt(0)
	v_cmp_neq_f64_e32 vcc_lo, 0, v[52:53]
	v_cmp_neq_f64_e64 s3, 0, v[54:55]
	s_delay_alu instid0(VALU_DEP_1) | instskip(NEXT) | instid1(SALU_CYCLE_1)
	s_or_b32 s3, vcc_lo, s3
	s_and_b32 exec_lo, exec_lo, s3
	s_cbranch_execz .LBB17_44
; %bb.39:
	v_cmp_gt_f64_e32 vcc_lo, 0, v[52:53]
	v_cmp_gt_f64_e64 s3, 0, v[54:55]
	v_xor_b32_e32 v56, 0x80000000, v53
	v_xor_b32_e32 v58, 0x80000000, v55
                                        ; implicit-def: $vgpr60_vgpr61
	s_delay_alu instid0(VALU_DEP_2) | instskip(NEXT) | instid1(VALU_DEP_2)
	v_cndmask_b32_e32 v57, v53, v56, vcc_lo
	v_cndmask_b32_e64 v59, v55, v58, s3
	v_cndmask_b32_e32 v56, v52, v52, vcc_lo
	v_cndmask_b32_e64 v58, v54, v54, s3
	s_mov_b32 s3, exec_lo
	s_delay_alu instid0(VALU_DEP_1)
	v_cmpx_ngt_f64_e32 v[56:57], v[58:59]
	s_xor_b32 s3, exec_lo, s3
                                        ; implicit-def: $vgpr56_vgpr57_vgpr58_vgpr59
	s_cbranch_execz .LBB17_41
; %bb.40:
	v_div_scale_f64 v[56:57], null, v[54:55], v[54:55], v[52:53]
	v_div_scale_f64 v[62:63], vcc_lo, v[52:53], v[54:55], v[52:53]
	s_delay_alu instid0(VALU_DEP_2) | instskip(SKIP_2) | instid1(VALU_DEP_1)
	v_rcp_f64_e32 v[58:59], v[56:57]
	s_waitcnt_depctr 0xfff
	v_fma_f64 v[60:61], -v[56:57], v[58:59], 1.0
	v_fma_f64 v[58:59], v[58:59], v[60:61], v[58:59]
	s_delay_alu instid0(VALU_DEP_1) | instskip(NEXT) | instid1(VALU_DEP_1)
	v_fma_f64 v[60:61], -v[56:57], v[58:59], 1.0
	v_fma_f64 v[58:59], v[58:59], v[60:61], v[58:59]
	s_delay_alu instid0(VALU_DEP_1) | instskip(NEXT) | instid1(VALU_DEP_1)
	v_mul_f64 v[60:61], v[62:63], v[58:59]
	v_fma_f64 v[56:57], -v[56:57], v[60:61], v[62:63]
	s_delay_alu instid0(VALU_DEP_1) | instskip(NEXT) | instid1(VALU_DEP_1)
	v_div_fmas_f64 v[56:57], v[56:57], v[58:59], v[60:61]
	v_div_fixup_f64 v[56:57], v[56:57], v[54:55], v[52:53]
	s_delay_alu instid0(VALU_DEP_1) | instskip(NEXT) | instid1(VALU_DEP_1)
	v_fma_f64 v[52:53], v[52:53], v[56:57], v[54:55]
	v_div_scale_f64 v[54:55], null, v[52:53], v[52:53], 1.0
	s_delay_alu instid0(VALU_DEP_1) | instskip(SKIP_2) | instid1(VALU_DEP_1)
	v_rcp_f64_e32 v[58:59], v[54:55]
	s_waitcnt_depctr 0xfff
	v_fma_f64 v[60:61], -v[54:55], v[58:59], 1.0
	v_fma_f64 v[58:59], v[58:59], v[60:61], v[58:59]
	s_delay_alu instid0(VALU_DEP_1) | instskip(NEXT) | instid1(VALU_DEP_1)
	v_fma_f64 v[60:61], -v[54:55], v[58:59], 1.0
	v_fma_f64 v[58:59], v[58:59], v[60:61], v[58:59]
	v_div_scale_f64 v[60:61], vcc_lo, 1.0, v[52:53], 1.0
	s_delay_alu instid0(VALU_DEP_1) | instskip(NEXT) | instid1(VALU_DEP_1)
	v_mul_f64 v[62:63], v[60:61], v[58:59]
	v_fma_f64 v[54:55], -v[54:55], v[62:63], v[60:61]
	s_delay_alu instid0(VALU_DEP_1) | instskip(NEXT) | instid1(VALU_DEP_1)
	v_div_fmas_f64 v[54:55], v[54:55], v[58:59], v[62:63]
	v_div_fixup_f64 v[58:59], v[54:55], v[52:53], 1.0
                                        ; implicit-def: $vgpr52_vgpr53
	s_delay_alu instid0(VALU_DEP_1)
	v_mul_f64 v[60:61], v[56:57], v[58:59]
	v_xor_b32_e32 v59, 0x80000000, v59
.LBB17_41:
	s_and_not1_saveexec_b32 s3, s3
	s_cbranch_execz .LBB17_43
; %bb.42:
	v_div_scale_f64 v[56:57], null, v[52:53], v[52:53], v[54:55]
	v_div_scale_f64 v[62:63], vcc_lo, v[54:55], v[52:53], v[54:55]
	s_delay_alu instid0(VALU_DEP_2) | instskip(SKIP_2) | instid1(VALU_DEP_1)
	v_rcp_f64_e32 v[58:59], v[56:57]
	s_waitcnt_depctr 0xfff
	v_fma_f64 v[60:61], -v[56:57], v[58:59], 1.0
	v_fma_f64 v[58:59], v[58:59], v[60:61], v[58:59]
	s_delay_alu instid0(VALU_DEP_1) | instskip(NEXT) | instid1(VALU_DEP_1)
	v_fma_f64 v[60:61], -v[56:57], v[58:59], 1.0
	v_fma_f64 v[58:59], v[58:59], v[60:61], v[58:59]
	s_delay_alu instid0(VALU_DEP_1) | instskip(NEXT) | instid1(VALU_DEP_1)
	v_mul_f64 v[60:61], v[62:63], v[58:59]
	v_fma_f64 v[56:57], -v[56:57], v[60:61], v[62:63]
	s_delay_alu instid0(VALU_DEP_1) | instskip(NEXT) | instid1(VALU_DEP_1)
	v_div_fmas_f64 v[56:57], v[56:57], v[58:59], v[60:61]
	v_div_fixup_f64 v[56:57], v[56:57], v[52:53], v[54:55]
	s_delay_alu instid0(VALU_DEP_1) | instskip(NEXT) | instid1(VALU_DEP_1)
	v_fma_f64 v[52:53], v[54:55], v[56:57], v[52:53]
	v_div_scale_f64 v[54:55], null, v[52:53], v[52:53], 1.0
	s_delay_alu instid0(VALU_DEP_1) | instskip(SKIP_2) | instid1(VALU_DEP_1)
	v_rcp_f64_e32 v[58:59], v[54:55]
	s_waitcnt_depctr 0xfff
	v_fma_f64 v[60:61], -v[54:55], v[58:59], 1.0
	v_fma_f64 v[58:59], v[58:59], v[60:61], v[58:59]
	s_delay_alu instid0(VALU_DEP_1) | instskip(NEXT) | instid1(VALU_DEP_1)
	v_fma_f64 v[60:61], -v[54:55], v[58:59], 1.0
	v_fma_f64 v[58:59], v[58:59], v[60:61], v[58:59]
	v_div_scale_f64 v[60:61], vcc_lo, 1.0, v[52:53], 1.0
	s_delay_alu instid0(VALU_DEP_1) | instskip(NEXT) | instid1(VALU_DEP_1)
	v_mul_f64 v[62:63], v[60:61], v[58:59]
	v_fma_f64 v[54:55], -v[54:55], v[62:63], v[60:61]
	s_delay_alu instid0(VALU_DEP_1) | instskip(NEXT) | instid1(VALU_DEP_1)
	v_div_fmas_f64 v[54:55], v[54:55], v[58:59], v[62:63]
	v_div_fixup_f64 v[60:61], v[54:55], v[52:53], 1.0
	s_delay_alu instid0(VALU_DEP_1)
	v_mul_f64 v[58:59], v[56:57], -v[60:61]
.LBB17_43:
	s_or_b32 exec_lo, exec_lo, s3
	ds_store_2addr_b64 v95, v[60:61], v[58:59] offset1:1
.LBB17_44:
	s_or_b32 exec_lo, exec_lo, s4
	s_waitcnt lgkmcnt(0)
	s_barrier
	buffer_gl0_inv
	ds_load_2addr_b64 v[52:55], v95 offset1:1
	s_mov_b32 s3, exec_lo
	v_cmpx_lt_u32_e32 4, v94
	s_cbranch_execz .LBB17_46
; %bb.45:
	s_waitcnt lgkmcnt(0)
	v_mul_f64 v[56:57], v[52:53], v[18:19]
	v_mul_f64 v[18:19], v[54:55], v[18:19]
	s_delay_alu instid0(VALU_DEP_2)
	v_fma_f64 v[92:93], v[54:55], v[16:17], v[56:57]
	ds_load_2addr_b64 v[56:59], v96 offset0:10 offset1:11
	ds_load_2addr_b64 v[60:63], v96 offset0:12 offset1:13
	;; [unrolled: 1-line block ×4, first 2 shown]
	v_fma_f64 v[16:17], v[52:53], v[16:17], -v[18:19]
	s_waitcnt lgkmcnt(3)
	v_mul_f64 v[18:19], v[58:59], v[92:93]
	v_mul_f64 v[97:98], v[56:57], v[92:93]
	s_waitcnt lgkmcnt(2)
	v_mul_f64 v[99:100], v[62:63], v[92:93]
	v_mul_f64 v[101:102], v[60:61], v[92:93]
	;; [unrolled: 3-line block ×4, first 2 shown]
	v_fma_f64 v[18:19], v[56:57], v[16:17], -v[18:19]
	v_fma_f64 v[56:57], v[58:59], v[16:17], v[97:98]
	v_fma_f64 v[58:59], v[60:61], v[16:17], -v[99:100]
	v_fma_f64 v[60:61], v[62:63], v[16:17], v[101:102]
	;; [unrolled: 2-line block ×4, first 2 shown]
	v_add_f64 v[12:13], v[12:13], -v[18:19]
	v_add_f64 v[14:15], v[14:15], -v[56:57]
	;; [unrolled: 1-line block ×8, first 2 shown]
	v_dual_mov_b32 v18, v92 :: v_dual_mov_b32 v19, v93
.LBB17_46:
	s_or_b32 exec_lo, exec_lo, s3
	s_delay_alu instid0(SALU_CYCLE_1)
	s_mov_b32 s4, exec_lo
	s_waitcnt lgkmcnt(0)
	s_barrier
	buffer_gl0_inv
	v_cmpx_eq_u32_e32 5, v94
	s_cbranch_execz .LBB17_53
; %bb.47:
	ds_store_2addr_b64 v95, v[12:13], v[14:15] offset1:1
	ds_store_2addr_b64 v96, v[8:9], v[10:11] offset0:12 offset1:13
	ds_store_2addr_b64 v96, v[4:5], v[6:7] offset0:14 offset1:15
	;; [unrolled: 1-line block ×3, first 2 shown]
	ds_load_2addr_b64 v[56:59], v95 offset1:1
	s_waitcnt lgkmcnt(0)
	v_cmp_neq_f64_e32 vcc_lo, 0, v[56:57]
	v_cmp_neq_f64_e64 s3, 0, v[58:59]
	s_delay_alu instid0(VALU_DEP_1) | instskip(NEXT) | instid1(SALU_CYCLE_1)
	s_or_b32 s3, vcc_lo, s3
	s_and_b32 exec_lo, exec_lo, s3
	s_cbranch_execz .LBB17_53
; %bb.48:
	v_cmp_gt_f64_e32 vcc_lo, 0, v[56:57]
	v_cmp_gt_f64_e64 s3, 0, v[58:59]
	v_xor_b32_e32 v60, 0x80000000, v57
	v_xor_b32_e32 v62, 0x80000000, v59
                                        ; implicit-def: $vgpr64_vgpr65
	s_delay_alu instid0(VALU_DEP_2) | instskip(NEXT) | instid1(VALU_DEP_2)
	v_cndmask_b32_e32 v61, v57, v60, vcc_lo
	v_cndmask_b32_e64 v63, v59, v62, s3
	v_cndmask_b32_e32 v60, v56, v56, vcc_lo
	v_cndmask_b32_e64 v62, v58, v58, s3
	s_mov_b32 s3, exec_lo
	s_delay_alu instid0(VALU_DEP_1)
	v_cmpx_ngt_f64_e32 v[60:61], v[62:63]
	s_xor_b32 s3, exec_lo, s3
                                        ; implicit-def: $vgpr60_vgpr61_vgpr62_vgpr63
	s_cbranch_execz .LBB17_50
; %bb.49:
	v_div_scale_f64 v[60:61], null, v[58:59], v[58:59], v[56:57]
	v_div_scale_f64 v[66:67], vcc_lo, v[56:57], v[58:59], v[56:57]
	s_delay_alu instid0(VALU_DEP_2) | instskip(SKIP_2) | instid1(VALU_DEP_1)
	v_rcp_f64_e32 v[62:63], v[60:61]
	s_waitcnt_depctr 0xfff
	v_fma_f64 v[64:65], -v[60:61], v[62:63], 1.0
	v_fma_f64 v[62:63], v[62:63], v[64:65], v[62:63]
	s_delay_alu instid0(VALU_DEP_1) | instskip(NEXT) | instid1(VALU_DEP_1)
	v_fma_f64 v[64:65], -v[60:61], v[62:63], 1.0
	v_fma_f64 v[62:63], v[62:63], v[64:65], v[62:63]
	s_delay_alu instid0(VALU_DEP_1) | instskip(NEXT) | instid1(VALU_DEP_1)
	v_mul_f64 v[64:65], v[66:67], v[62:63]
	v_fma_f64 v[60:61], -v[60:61], v[64:65], v[66:67]
	s_delay_alu instid0(VALU_DEP_1) | instskip(NEXT) | instid1(VALU_DEP_1)
	v_div_fmas_f64 v[60:61], v[60:61], v[62:63], v[64:65]
	v_div_fixup_f64 v[60:61], v[60:61], v[58:59], v[56:57]
	s_delay_alu instid0(VALU_DEP_1) | instskip(NEXT) | instid1(VALU_DEP_1)
	v_fma_f64 v[56:57], v[56:57], v[60:61], v[58:59]
	v_div_scale_f64 v[58:59], null, v[56:57], v[56:57], 1.0
	s_delay_alu instid0(VALU_DEP_1) | instskip(SKIP_2) | instid1(VALU_DEP_1)
	v_rcp_f64_e32 v[62:63], v[58:59]
	s_waitcnt_depctr 0xfff
	v_fma_f64 v[64:65], -v[58:59], v[62:63], 1.0
	v_fma_f64 v[62:63], v[62:63], v[64:65], v[62:63]
	s_delay_alu instid0(VALU_DEP_1) | instskip(NEXT) | instid1(VALU_DEP_1)
	v_fma_f64 v[64:65], -v[58:59], v[62:63], 1.0
	v_fma_f64 v[62:63], v[62:63], v[64:65], v[62:63]
	v_div_scale_f64 v[64:65], vcc_lo, 1.0, v[56:57], 1.0
	s_delay_alu instid0(VALU_DEP_1) | instskip(NEXT) | instid1(VALU_DEP_1)
	v_mul_f64 v[66:67], v[64:65], v[62:63]
	v_fma_f64 v[58:59], -v[58:59], v[66:67], v[64:65]
	s_delay_alu instid0(VALU_DEP_1) | instskip(NEXT) | instid1(VALU_DEP_1)
	v_div_fmas_f64 v[58:59], v[58:59], v[62:63], v[66:67]
	v_div_fixup_f64 v[62:63], v[58:59], v[56:57], 1.0
                                        ; implicit-def: $vgpr56_vgpr57
	s_delay_alu instid0(VALU_DEP_1)
	v_mul_f64 v[64:65], v[60:61], v[62:63]
	v_xor_b32_e32 v63, 0x80000000, v63
.LBB17_50:
	s_and_not1_saveexec_b32 s3, s3
	s_cbranch_execz .LBB17_52
; %bb.51:
	v_div_scale_f64 v[60:61], null, v[56:57], v[56:57], v[58:59]
	v_div_scale_f64 v[66:67], vcc_lo, v[58:59], v[56:57], v[58:59]
	s_delay_alu instid0(VALU_DEP_2) | instskip(SKIP_2) | instid1(VALU_DEP_1)
	v_rcp_f64_e32 v[62:63], v[60:61]
	s_waitcnt_depctr 0xfff
	v_fma_f64 v[64:65], -v[60:61], v[62:63], 1.0
	v_fma_f64 v[62:63], v[62:63], v[64:65], v[62:63]
	s_delay_alu instid0(VALU_DEP_1) | instskip(NEXT) | instid1(VALU_DEP_1)
	v_fma_f64 v[64:65], -v[60:61], v[62:63], 1.0
	v_fma_f64 v[62:63], v[62:63], v[64:65], v[62:63]
	s_delay_alu instid0(VALU_DEP_1) | instskip(NEXT) | instid1(VALU_DEP_1)
	v_mul_f64 v[64:65], v[66:67], v[62:63]
	v_fma_f64 v[60:61], -v[60:61], v[64:65], v[66:67]
	s_delay_alu instid0(VALU_DEP_1) | instskip(NEXT) | instid1(VALU_DEP_1)
	v_div_fmas_f64 v[60:61], v[60:61], v[62:63], v[64:65]
	v_div_fixup_f64 v[60:61], v[60:61], v[56:57], v[58:59]
	s_delay_alu instid0(VALU_DEP_1) | instskip(NEXT) | instid1(VALU_DEP_1)
	v_fma_f64 v[56:57], v[58:59], v[60:61], v[56:57]
	v_div_scale_f64 v[58:59], null, v[56:57], v[56:57], 1.0
	s_delay_alu instid0(VALU_DEP_1) | instskip(SKIP_2) | instid1(VALU_DEP_1)
	v_rcp_f64_e32 v[62:63], v[58:59]
	s_waitcnt_depctr 0xfff
	v_fma_f64 v[64:65], -v[58:59], v[62:63], 1.0
	v_fma_f64 v[62:63], v[62:63], v[64:65], v[62:63]
	s_delay_alu instid0(VALU_DEP_1) | instskip(NEXT) | instid1(VALU_DEP_1)
	v_fma_f64 v[64:65], -v[58:59], v[62:63], 1.0
	v_fma_f64 v[62:63], v[62:63], v[64:65], v[62:63]
	v_div_scale_f64 v[64:65], vcc_lo, 1.0, v[56:57], 1.0
	s_delay_alu instid0(VALU_DEP_1) | instskip(NEXT) | instid1(VALU_DEP_1)
	v_mul_f64 v[66:67], v[64:65], v[62:63]
	v_fma_f64 v[58:59], -v[58:59], v[66:67], v[64:65]
	s_delay_alu instid0(VALU_DEP_1) | instskip(NEXT) | instid1(VALU_DEP_1)
	v_div_fmas_f64 v[58:59], v[58:59], v[62:63], v[66:67]
	v_div_fixup_f64 v[64:65], v[58:59], v[56:57], 1.0
	s_delay_alu instid0(VALU_DEP_1)
	v_mul_f64 v[62:63], v[60:61], -v[64:65]
.LBB17_52:
	s_or_b32 exec_lo, exec_lo, s3
	ds_store_2addr_b64 v95, v[64:65], v[62:63] offset1:1
.LBB17_53:
	s_or_b32 exec_lo, exec_lo, s4
	s_waitcnt lgkmcnt(0)
	s_barrier
	buffer_gl0_inv
	ds_load_2addr_b64 v[56:59], v95 offset1:1
	s_mov_b32 s3, exec_lo
	v_cmpx_lt_u32_e32 5, v94
	s_cbranch_execz .LBB17_55
; %bb.54:
	s_waitcnt lgkmcnt(0)
	v_mul_f64 v[60:61], v[56:57], v[14:15]
	v_mul_f64 v[14:15], v[58:59], v[14:15]
	s_delay_alu instid0(VALU_DEP_2)
	v_fma_f64 v[92:93], v[58:59], v[12:13], v[60:61]
	ds_load_2addr_b64 v[60:63], v96 offset0:12 offset1:13
	ds_load_2addr_b64 v[64:67], v96 offset0:14 offset1:15
	;; [unrolled: 1-line block ×3, first 2 shown]
	v_fma_f64 v[12:13], v[56:57], v[12:13], -v[14:15]
	s_waitcnt lgkmcnt(2)
	v_mul_f64 v[14:15], v[62:63], v[92:93]
	v_mul_f64 v[97:98], v[60:61], v[92:93]
	s_waitcnt lgkmcnt(1)
	v_mul_f64 v[99:100], v[66:67], v[92:93]
	v_mul_f64 v[101:102], v[64:65], v[92:93]
	;; [unrolled: 3-line block ×3, first 2 shown]
	v_fma_f64 v[14:15], v[60:61], v[12:13], -v[14:15]
	v_fma_f64 v[60:61], v[62:63], v[12:13], v[97:98]
	v_fma_f64 v[62:63], v[64:65], v[12:13], -v[99:100]
	v_fma_f64 v[64:65], v[66:67], v[12:13], v[101:102]
	;; [unrolled: 2-line block ×3, first 2 shown]
	v_add_f64 v[8:9], v[8:9], -v[14:15]
	v_add_f64 v[10:11], v[10:11], -v[60:61]
	;; [unrolled: 1-line block ×6, first 2 shown]
	v_dual_mov_b32 v14, v92 :: v_dual_mov_b32 v15, v93
.LBB17_55:
	s_or_b32 exec_lo, exec_lo, s3
	s_delay_alu instid0(SALU_CYCLE_1)
	s_mov_b32 s4, exec_lo
	s_waitcnt lgkmcnt(0)
	s_barrier
	buffer_gl0_inv
	v_cmpx_eq_u32_e32 6, v94
	s_cbranch_execz .LBB17_62
; %bb.56:
	ds_store_2addr_b64 v95, v[8:9], v[10:11] offset1:1
	ds_store_2addr_b64 v96, v[4:5], v[6:7] offset0:14 offset1:15
	ds_store_2addr_b64 v96, v[0:1], v[2:3] offset0:16 offset1:17
	ds_load_2addr_b64 v[60:63], v95 offset1:1
	s_waitcnt lgkmcnt(0)
	v_cmp_neq_f64_e32 vcc_lo, 0, v[60:61]
	v_cmp_neq_f64_e64 s3, 0, v[62:63]
	s_delay_alu instid0(VALU_DEP_1) | instskip(NEXT) | instid1(SALU_CYCLE_1)
	s_or_b32 s3, vcc_lo, s3
	s_and_b32 exec_lo, exec_lo, s3
	s_cbranch_execz .LBB17_62
; %bb.57:
	v_cmp_gt_f64_e32 vcc_lo, 0, v[60:61]
	v_cmp_gt_f64_e64 s3, 0, v[62:63]
	v_xor_b32_e32 v64, 0x80000000, v61
	v_xor_b32_e32 v66, 0x80000000, v63
                                        ; implicit-def: $vgpr68_vgpr69
	s_delay_alu instid0(VALU_DEP_2) | instskip(NEXT) | instid1(VALU_DEP_2)
	v_cndmask_b32_e32 v65, v61, v64, vcc_lo
	v_cndmask_b32_e64 v67, v63, v66, s3
	v_cndmask_b32_e32 v64, v60, v60, vcc_lo
	v_cndmask_b32_e64 v66, v62, v62, s3
	s_mov_b32 s3, exec_lo
	s_delay_alu instid0(VALU_DEP_1)
	v_cmpx_ngt_f64_e32 v[64:65], v[66:67]
	s_xor_b32 s3, exec_lo, s3
                                        ; implicit-def: $vgpr64_vgpr65_vgpr66_vgpr67
	s_cbranch_execz .LBB17_59
; %bb.58:
	v_div_scale_f64 v[64:65], null, v[62:63], v[62:63], v[60:61]
	v_div_scale_f64 v[70:71], vcc_lo, v[60:61], v[62:63], v[60:61]
	s_delay_alu instid0(VALU_DEP_2) | instskip(SKIP_2) | instid1(VALU_DEP_1)
	v_rcp_f64_e32 v[66:67], v[64:65]
	s_waitcnt_depctr 0xfff
	v_fma_f64 v[68:69], -v[64:65], v[66:67], 1.0
	v_fma_f64 v[66:67], v[66:67], v[68:69], v[66:67]
	s_delay_alu instid0(VALU_DEP_1) | instskip(NEXT) | instid1(VALU_DEP_1)
	v_fma_f64 v[68:69], -v[64:65], v[66:67], 1.0
	v_fma_f64 v[66:67], v[66:67], v[68:69], v[66:67]
	s_delay_alu instid0(VALU_DEP_1) | instskip(NEXT) | instid1(VALU_DEP_1)
	v_mul_f64 v[68:69], v[70:71], v[66:67]
	v_fma_f64 v[64:65], -v[64:65], v[68:69], v[70:71]
	s_delay_alu instid0(VALU_DEP_1) | instskip(NEXT) | instid1(VALU_DEP_1)
	v_div_fmas_f64 v[64:65], v[64:65], v[66:67], v[68:69]
	v_div_fixup_f64 v[64:65], v[64:65], v[62:63], v[60:61]
	s_delay_alu instid0(VALU_DEP_1) | instskip(NEXT) | instid1(VALU_DEP_1)
	v_fma_f64 v[60:61], v[60:61], v[64:65], v[62:63]
	v_div_scale_f64 v[62:63], null, v[60:61], v[60:61], 1.0
	s_delay_alu instid0(VALU_DEP_1) | instskip(SKIP_2) | instid1(VALU_DEP_1)
	v_rcp_f64_e32 v[66:67], v[62:63]
	s_waitcnt_depctr 0xfff
	v_fma_f64 v[68:69], -v[62:63], v[66:67], 1.0
	v_fma_f64 v[66:67], v[66:67], v[68:69], v[66:67]
	s_delay_alu instid0(VALU_DEP_1) | instskip(NEXT) | instid1(VALU_DEP_1)
	v_fma_f64 v[68:69], -v[62:63], v[66:67], 1.0
	v_fma_f64 v[66:67], v[66:67], v[68:69], v[66:67]
	v_div_scale_f64 v[68:69], vcc_lo, 1.0, v[60:61], 1.0
	s_delay_alu instid0(VALU_DEP_1) | instskip(NEXT) | instid1(VALU_DEP_1)
	v_mul_f64 v[70:71], v[68:69], v[66:67]
	v_fma_f64 v[62:63], -v[62:63], v[70:71], v[68:69]
	s_delay_alu instid0(VALU_DEP_1) | instskip(NEXT) | instid1(VALU_DEP_1)
	v_div_fmas_f64 v[62:63], v[62:63], v[66:67], v[70:71]
	v_div_fixup_f64 v[66:67], v[62:63], v[60:61], 1.0
                                        ; implicit-def: $vgpr60_vgpr61
	s_delay_alu instid0(VALU_DEP_1)
	v_mul_f64 v[68:69], v[64:65], v[66:67]
	v_xor_b32_e32 v67, 0x80000000, v67
.LBB17_59:
	s_and_not1_saveexec_b32 s3, s3
	s_cbranch_execz .LBB17_61
; %bb.60:
	v_div_scale_f64 v[64:65], null, v[60:61], v[60:61], v[62:63]
	v_div_scale_f64 v[70:71], vcc_lo, v[62:63], v[60:61], v[62:63]
	s_delay_alu instid0(VALU_DEP_2) | instskip(SKIP_2) | instid1(VALU_DEP_1)
	v_rcp_f64_e32 v[66:67], v[64:65]
	s_waitcnt_depctr 0xfff
	v_fma_f64 v[68:69], -v[64:65], v[66:67], 1.0
	v_fma_f64 v[66:67], v[66:67], v[68:69], v[66:67]
	s_delay_alu instid0(VALU_DEP_1) | instskip(NEXT) | instid1(VALU_DEP_1)
	v_fma_f64 v[68:69], -v[64:65], v[66:67], 1.0
	v_fma_f64 v[66:67], v[66:67], v[68:69], v[66:67]
	s_delay_alu instid0(VALU_DEP_1) | instskip(NEXT) | instid1(VALU_DEP_1)
	v_mul_f64 v[68:69], v[70:71], v[66:67]
	v_fma_f64 v[64:65], -v[64:65], v[68:69], v[70:71]
	s_delay_alu instid0(VALU_DEP_1) | instskip(NEXT) | instid1(VALU_DEP_1)
	v_div_fmas_f64 v[64:65], v[64:65], v[66:67], v[68:69]
	v_div_fixup_f64 v[64:65], v[64:65], v[60:61], v[62:63]
	s_delay_alu instid0(VALU_DEP_1) | instskip(NEXT) | instid1(VALU_DEP_1)
	v_fma_f64 v[60:61], v[62:63], v[64:65], v[60:61]
	v_div_scale_f64 v[62:63], null, v[60:61], v[60:61], 1.0
	s_delay_alu instid0(VALU_DEP_1) | instskip(SKIP_2) | instid1(VALU_DEP_1)
	v_rcp_f64_e32 v[66:67], v[62:63]
	s_waitcnt_depctr 0xfff
	v_fma_f64 v[68:69], -v[62:63], v[66:67], 1.0
	v_fma_f64 v[66:67], v[66:67], v[68:69], v[66:67]
	s_delay_alu instid0(VALU_DEP_1) | instskip(NEXT) | instid1(VALU_DEP_1)
	v_fma_f64 v[68:69], -v[62:63], v[66:67], 1.0
	v_fma_f64 v[66:67], v[66:67], v[68:69], v[66:67]
	v_div_scale_f64 v[68:69], vcc_lo, 1.0, v[60:61], 1.0
	s_delay_alu instid0(VALU_DEP_1) | instskip(NEXT) | instid1(VALU_DEP_1)
	v_mul_f64 v[70:71], v[68:69], v[66:67]
	v_fma_f64 v[62:63], -v[62:63], v[70:71], v[68:69]
	s_delay_alu instid0(VALU_DEP_1) | instskip(NEXT) | instid1(VALU_DEP_1)
	v_div_fmas_f64 v[62:63], v[62:63], v[66:67], v[70:71]
	v_div_fixup_f64 v[68:69], v[62:63], v[60:61], 1.0
	s_delay_alu instid0(VALU_DEP_1)
	v_mul_f64 v[66:67], v[64:65], -v[68:69]
.LBB17_61:
	s_or_b32 exec_lo, exec_lo, s3
	ds_store_2addr_b64 v95, v[68:69], v[66:67] offset1:1
.LBB17_62:
	s_or_b32 exec_lo, exec_lo, s4
	s_waitcnt lgkmcnt(0)
	s_barrier
	buffer_gl0_inv
	ds_load_2addr_b64 v[60:63], v95 offset1:1
	s_mov_b32 s3, exec_lo
	v_cmpx_lt_u32_e32 6, v94
	s_cbranch_execz .LBB17_64
; %bb.63:
	s_waitcnt lgkmcnt(0)
	v_mul_f64 v[64:65], v[60:61], v[10:11]
	v_mul_f64 v[10:11], v[62:63], v[10:11]
	s_delay_alu instid0(VALU_DEP_2)
	v_fma_f64 v[92:93], v[62:63], v[8:9], v[64:65]
	ds_load_2addr_b64 v[64:67], v96 offset0:14 offset1:15
	ds_load_2addr_b64 v[68:71], v96 offset0:16 offset1:17
	v_fma_f64 v[8:9], v[60:61], v[8:9], -v[10:11]
	s_waitcnt lgkmcnt(1)
	v_mul_f64 v[10:11], v[66:67], v[92:93]
	v_mul_f64 v[97:98], v[64:65], v[92:93]
	s_waitcnt lgkmcnt(0)
	v_mul_f64 v[99:100], v[70:71], v[92:93]
	v_mul_f64 v[101:102], v[68:69], v[92:93]
	s_delay_alu instid0(VALU_DEP_4) | instskip(NEXT) | instid1(VALU_DEP_4)
	v_fma_f64 v[10:11], v[64:65], v[8:9], -v[10:11]
	v_fma_f64 v[64:65], v[66:67], v[8:9], v[97:98]
	s_delay_alu instid0(VALU_DEP_4) | instskip(NEXT) | instid1(VALU_DEP_4)
	v_fma_f64 v[66:67], v[68:69], v[8:9], -v[99:100]
	v_fma_f64 v[68:69], v[70:71], v[8:9], v[101:102]
	s_delay_alu instid0(VALU_DEP_4) | instskip(NEXT) | instid1(VALU_DEP_4)
	v_add_f64 v[4:5], v[4:5], -v[10:11]
	v_add_f64 v[6:7], v[6:7], -v[64:65]
	s_delay_alu instid0(VALU_DEP_4) | instskip(NEXT) | instid1(VALU_DEP_4)
	v_add_f64 v[0:1], v[0:1], -v[66:67]
	v_add_f64 v[2:3], v[2:3], -v[68:69]
	v_dual_mov_b32 v10, v92 :: v_dual_mov_b32 v11, v93
.LBB17_64:
	s_or_b32 exec_lo, exec_lo, s3
	s_delay_alu instid0(SALU_CYCLE_1)
	s_mov_b32 s4, exec_lo
	s_waitcnt lgkmcnt(0)
	s_barrier
	buffer_gl0_inv
	v_cmpx_eq_u32_e32 7, v94
	s_cbranch_execz .LBB17_71
; %bb.65:
	ds_store_2addr_b64 v95, v[4:5], v[6:7] offset1:1
	ds_store_2addr_b64 v96, v[0:1], v[2:3] offset0:16 offset1:17
	ds_load_2addr_b64 v[64:67], v95 offset1:1
	s_waitcnt lgkmcnt(0)
	v_cmp_neq_f64_e32 vcc_lo, 0, v[64:65]
	v_cmp_neq_f64_e64 s3, 0, v[66:67]
	s_delay_alu instid0(VALU_DEP_1) | instskip(NEXT) | instid1(SALU_CYCLE_1)
	s_or_b32 s3, vcc_lo, s3
	s_and_b32 exec_lo, exec_lo, s3
	s_cbranch_execz .LBB17_71
; %bb.66:
	v_cmp_gt_f64_e32 vcc_lo, 0, v[64:65]
	v_cmp_gt_f64_e64 s3, 0, v[66:67]
	v_xor_b32_e32 v68, 0x80000000, v65
	v_xor_b32_e32 v70, 0x80000000, v67
                                        ; implicit-def: $vgpr92_vgpr93
	s_delay_alu instid0(VALU_DEP_2) | instskip(NEXT) | instid1(VALU_DEP_2)
	v_cndmask_b32_e32 v69, v65, v68, vcc_lo
	v_cndmask_b32_e64 v71, v67, v70, s3
	v_cndmask_b32_e32 v68, v64, v64, vcc_lo
	v_cndmask_b32_e64 v70, v66, v66, s3
	s_mov_b32 s3, exec_lo
	s_delay_alu instid0(VALU_DEP_1)
	v_cmpx_ngt_f64_e32 v[68:69], v[70:71]
	s_xor_b32 s3, exec_lo, s3
                                        ; implicit-def: $vgpr68_vgpr69_vgpr70_vgpr71
	s_cbranch_execz .LBB17_68
; %bb.67:
	v_div_scale_f64 v[68:69], null, v[66:67], v[66:67], v[64:65]
	v_div_scale_f64 v[97:98], vcc_lo, v[64:65], v[66:67], v[64:65]
	s_delay_alu instid0(VALU_DEP_2) | instskip(SKIP_2) | instid1(VALU_DEP_1)
	v_rcp_f64_e32 v[70:71], v[68:69]
	s_waitcnt_depctr 0xfff
	v_fma_f64 v[92:93], -v[68:69], v[70:71], 1.0
	v_fma_f64 v[70:71], v[70:71], v[92:93], v[70:71]
	s_delay_alu instid0(VALU_DEP_1) | instskip(NEXT) | instid1(VALU_DEP_1)
	v_fma_f64 v[92:93], -v[68:69], v[70:71], 1.0
	v_fma_f64 v[70:71], v[70:71], v[92:93], v[70:71]
	s_delay_alu instid0(VALU_DEP_1) | instskip(NEXT) | instid1(VALU_DEP_1)
	v_mul_f64 v[92:93], v[97:98], v[70:71]
	v_fma_f64 v[68:69], -v[68:69], v[92:93], v[97:98]
	s_delay_alu instid0(VALU_DEP_1) | instskip(NEXT) | instid1(VALU_DEP_1)
	v_div_fmas_f64 v[68:69], v[68:69], v[70:71], v[92:93]
	v_div_fixup_f64 v[68:69], v[68:69], v[66:67], v[64:65]
	s_delay_alu instid0(VALU_DEP_1) | instskip(NEXT) | instid1(VALU_DEP_1)
	v_fma_f64 v[64:65], v[64:65], v[68:69], v[66:67]
	v_div_scale_f64 v[66:67], null, v[64:65], v[64:65], 1.0
	s_delay_alu instid0(VALU_DEP_1) | instskip(SKIP_2) | instid1(VALU_DEP_1)
	v_rcp_f64_e32 v[70:71], v[66:67]
	s_waitcnt_depctr 0xfff
	v_fma_f64 v[92:93], -v[66:67], v[70:71], 1.0
	v_fma_f64 v[70:71], v[70:71], v[92:93], v[70:71]
	s_delay_alu instid0(VALU_DEP_1) | instskip(NEXT) | instid1(VALU_DEP_1)
	v_fma_f64 v[92:93], -v[66:67], v[70:71], 1.0
	v_fma_f64 v[70:71], v[70:71], v[92:93], v[70:71]
	v_div_scale_f64 v[92:93], vcc_lo, 1.0, v[64:65], 1.0
	s_delay_alu instid0(VALU_DEP_1) | instskip(NEXT) | instid1(VALU_DEP_1)
	v_mul_f64 v[97:98], v[92:93], v[70:71]
	v_fma_f64 v[66:67], -v[66:67], v[97:98], v[92:93]
	s_delay_alu instid0(VALU_DEP_1) | instskip(NEXT) | instid1(VALU_DEP_1)
	v_div_fmas_f64 v[66:67], v[66:67], v[70:71], v[97:98]
	v_div_fixup_f64 v[70:71], v[66:67], v[64:65], 1.0
                                        ; implicit-def: $vgpr64_vgpr65
	s_delay_alu instid0(VALU_DEP_1)
	v_mul_f64 v[92:93], v[68:69], v[70:71]
	v_xor_b32_e32 v71, 0x80000000, v71
.LBB17_68:
	s_and_not1_saveexec_b32 s3, s3
	s_cbranch_execz .LBB17_70
; %bb.69:
	v_div_scale_f64 v[68:69], null, v[64:65], v[64:65], v[66:67]
	v_div_scale_f64 v[97:98], vcc_lo, v[66:67], v[64:65], v[66:67]
	s_delay_alu instid0(VALU_DEP_2) | instskip(SKIP_2) | instid1(VALU_DEP_1)
	v_rcp_f64_e32 v[70:71], v[68:69]
	s_waitcnt_depctr 0xfff
	v_fma_f64 v[92:93], -v[68:69], v[70:71], 1.0
	v_fma_f64 v[70:71], v[70:71], v[92:93], v[70:71]
	s_delay_alu instid0(VALU_DEP_1) | instskip(NEXT) | instid1(VALU_DEP_1)
	v_fma_f64 v[92:93], -v[68:69], v[70:71], 1.0
	v_fma_f64 v[70:71], v[70:71], v[92:93], v[70:71]
	s_delay_alu instid0(VALU_DEP_1) | instskip(NEXT) | instid1(VALU_DEP_1)
	v_mul_f64 v[92:93], v[97:98], v[70:71]
	v_fma_f64 v[68:69], -v[68:69], v[92:93], v[97:98]
	s_delay_alu instid0(VALU_DEP_1) | instskip(NEXT) | instid1(VALU_DEP_1)
	v_div_fmas_f64 v[68:69], v[68:69], v[70:71], v[92:93]
	v_div_fixup_f64 v[68:69], v[68:69], v[64:65], v[66:67]
	s_delay_alu instid0(VALU_DEP_1) | instskip(NEXT) | instid1(VALU_DEP_1)
	v_fma_f64 v[64:65], v[66:67], v[68:69], v[64:65]
	v_div_scale_f64 v[66:67], null, v[64:65], v[64:65], 1.0
	s_delay_alu instid0(VALU_DEP_1) | instskip(SKIP_2) | instid1(VALU_DEP_1)
	v_rcp_f64_e32 v[70:71], v[66:67]
	s_waitcnt_depctr 0xfff
	v_fma_f64 v[92:93], -v[66:67], v[70:71], 1.0
	v_fma_f64 v[70:71], v[70:71], v[92:93], v[70:71]
	s_delay_alu instid0(VALU_DEP_1) | instskip(NEXT) | instid1(VALU_DEP_1)
	v_fma_f64 v[92:93], -v[66:67], v[70:71], 1.0
	v_fma_f64 v[70:71], v[70:71], v[92:93], v[70:71]
	v_div_scale_f64 v[92:93], vcc_lo, 1.0, v[64:65], 1.0
	s_delay_alu instid0(VALU_DEP_1) | instskip(NEXT) | instid1(VALU_DEP_1)
	v_mul_f64 v[97:98], v[92:93], v[70:71]
	v_fma_f64 v[66:67], -v[66:67], v[97:98], v[92:93]
	s_delay_alu instid0(VALU_DEP_1) | instskip(NEXT) | instid1(VALU_DEP_1)
	v_div_fmas_f64 v[66:67], v[66:67], v[70:71], v[97:98]
	v_div_fixup_f64 v[92:93], v[66:67], v[64:65], 1.0
	s_delay_alu instid0(VALU_DEP_1)
	v_mul_f64 v[70:71], v[68:69], -v[92:93]
.LBB17_70:
	s_or_b32 exec_lo, exec_lo, s3
	ds_store_2addr_b64 v95, v[92:93], v[70:71] offset1:1
.LBB17_71:
	s_or_b32 exec_lo, exec_lo, s4
	s_waitcnt lgkmcnt(0)
	s_barrier
	buffer_gl0_inv
	ds_load_2addr_b64 v[64:67], v95 offset1:1
	s_mov_b32 s3, exec_lo
	v_cmpx_lt_u32_e32 7, v94
	s_cbranch_execz .LBB17_73
; %bb.72:
	s_waitcnt lgkmcnt(0)
	v_mul_f64 v[68:69], v[64:65], v[6:7]
	v_mul_f64 v[6:7], v[66:67], v[6:7]
	s_delay_alu instid0(VALU_DEP_2)
	v_fma_f64 v[92:93], v[66:67], v[4:5], v[68:69]
	ds_load_2addr_b64 v[68:71], v96 offset0:16 offset1:17
	v_fma_f64 v[4:5], v[64:65], v[4:5], -v[6:7]
	s_waitcnt lgkmcnt(0)
	v_mul_f64 v[6:7], v[70:71], v[92:93]
	v_mul_f64 v[96:97], v[68:69], v[92:93]
	s_delay_alu instid0(VALU_DEP_2) | instskip(NEXT) | instid1(VALU_DEP_2)
	v_fma_f64 v[6:7], v[68:69], v[4:5], -v[6:7]
	v_fma_f64 v[68:69], v[70:71], v[4:5], v[96:97]
	s_delay_alu instid0(VALU_DEP_2) | instskip(NEXT) | instid1(VALU_DEP_2)
	v_add_f64 v[0:1], v[0:1], -v[6:7]
	v_add_f64 v[2:3], v[2:3], -v[68:69]
	v_dual_mov_b32 v6, v92 :: v_dual_mov_b32 v7, v93
.LBB17_73:
	s_or_b32 exec_lo, exec_lo, s3
	s_delay_alu instid0(SALU_CYCLE_1)
	s_mov_b32 s4, exec_lo
	s_waitcnt lgkmcnt(0)
	s_barrier
	buffer_gl0_inv
	v_cmpx_eq_u32_e32 8, v94
	s_cbranch_execz .LBB17_80
; %bb.74:
	v_cmp_neq_f64_e32 vcc_lo, 0, v[0:1]
	v_cmp_neq_f64_e64 s3, 0, v[2:3]
	ds_store_2addr_b64 v95, v[0:1], v[2:3] offset1:1
	s_or_b32 s3, vcc_lo, s3
	s_delay_alu instid0(SALU_CYCLE_1)
	s_and_b32 exec_lo, exec_lo, s3
	s_cbranch_execz .LBB17_80
; %bb.75:
	v_cmp_gt_f64_e32 vcc_lo, 0, v[0:1]
	v_cmp_gt_f64_e64 s3, 0, v[2:3]
	v_xor_b32_e32 v68, 0x80000000, v1
	v_xor_b32_e32 v70, 0x80000000, v3
                                        ; implicit-def: $vgpr92_vgpr93
	s_delay_alu instid0(VALU_DEP_2) | instskip(NEXT) | instid1(VALU_DEP_2)
	v_cndmask_b32_e32 v69, v1, v68, vcc_lo
	v_cndmask_b32_e64 v71, v3, v70, s3
	v_cndmask_b32_e32 v68, v0, v0, vcc_lo
	v_cndmask_b32_e64 v70, v2, v2, s3
	s_mov_b32 s3, exec_lo
	s_delay_alu instid0(VALU_DEP_1)
	v_cmpx_ngt_f64_e32 v[68:69], v[70:71]
	s_xor_b32 s3, exec_lo, s3
                                        ; implicit-def: $vgpr68_vgpr69_vgpr70_vgpr71
	s_cbranch_execz .LBB17_77
; %bb.76:
	v_div_scale_f64 v[68:69], null, v[2:3], v[2:3], v[0:1]
	v_div_scale_f64 v[96:97], vcc_lo, v[0:1], v[2:3], v[0:1]
	s_delay_alu instid0(VALU_DEP_2) | instskip(SKIP_2) | instid1(VALU_DEP_1)
	v_rcp_f64_e32 v[70:71], v[68:69]
	s_waitcnt_depctr 0xfff
	v_fma_f64 v[92:93], -v[68:69], v[70:71], 1.0
	v_fma_f64 v[70:71], v[70:71], v[92:93], v[70:71]
	s_delay_alu instid0(VALU_DEP_1) | instskip(NEXT) | instid1(VALU_DEP_1)
	v_fma_f64 v[92:93], -v[68:69], v[70:71], 1.0
	v_fma_f64 v[70:71], v[70:71], v[92:93], v[70:71]
	s_delay_alu instid0(VALU_DEP_1) | instskip(NEXT) | instid1(VALU_DEP_1)
	v_mul_f64 v[92:93], v[96:97], v[70:71]
	v_fma_f64 v[68:69], -v[68:69], v[92:93], v[96:97]
	s_delay_alu instid0(VALU_DEP_1) | instskip(NEXT) | instid1(VALU_DEP_1)
	v_div_fmas_f64 v[68:69], v[68:69], v[70:71], v[92:93]
	v_div_fixup_f64 v[68:69], v[68:69], v[2:3], v[0:1]
	s_delay_alu instid0(VALU_DEP_1) | instskip(NEXT) | instid1(VALU_DEP_1)
	v_fma_f64 v[70:71], v[0:1], v[68:69], v[2:3]
	v_div_scale_f64 v[92:93], null, v[70:71], v[70:71], 1.0
	s_delay_alu instid0(VALU_DEP_1) | instskip(SKIP_2) | instid1(VALU_DEP_1)
	v_rcp_f64_e32 v[96:97], v[92:93]
	s_waitcnt_depctr 0xfff
	v_fma_f64 v[98:99], -v[92:93], v[96:97], 1.0
	v_fma_f64 v[96:97], v[96:97], v[98:99], v[96:97]
	s_delay_alu instid0(VALU_DEP_1) | instskip(NEXT) | instid1(VALU_DEP_1)
	v_fma_f64 v[98:99], -v[92:93], v[96:97], 1.0
	v_fma_f64 v[96:97], v[96:97], v[98:99], v[96:97]
	v_div_scale_f64 v[98:99], vcc_lo, 1.0, v[70:71], 1.0
	s_delay_alu instid0(VALU_DEP_1) | instskip(NEXT) | instid1(VALU_DEP_1)
	v_mul_f64 v[100:101], v[98:99], v[96:97]
	v_fma_f64 v[92:93], -v[92:93], v[100:101], v[98:99]
	s_delay_alu instid0(VALU_DEP_1) | instskip(NEXT) | instid1(VALU_DEP_1)
	v_div_fmas_f64 v[92:93], v[92:93], v[96:97], v[100:101]
	v_div_fixup_f64 v[70:71], v[92:93], v[70:71], 1.0
	s_delay_alu instid0(VALU_DEP_1)
	v_mul_f64 v[92:93], v[68:69], v[70:71]
	v_xor_b32_e32 v71, 0x80000000, v71
.LBB17_77:
	s_and_not1_saveexec_b32 s3, s3
	s_cbranch_execz .LBB17_79
; %bb.78:
	v_div_scale_f64 v[68:69], null, v[0:1], v[0:1], v[2:3]
	v_div_scale_f64 v[96:97], vcc_lo, v[2:3], v[0:1], v[2:3]
	s_delay_alu instid0(VALU_DEP_2) | instskip(SKIP_2) | instid1(VALU_DEP_1)
	v_rcp_f64_e32 v[70:71], v[68:69]
	s_waitcnt_depctr 0xfff
	v_fma_f64 v[92:93], -v[68:69], v[70:71], 1.0
	v_fma_f64 v[70:71], v[70:71], v[92:93], v[70:71]
	s_delay_alu instid0(VALU_DEP_1) | instskip(NEXT) | instid1(VALU_DEP_1)
	v_fma_f64 v[92:93], -v[68:69], v[70:71], 1.0
	v_fma_f64 v[70:71], v[70:71], v[92:93], v[70:71]
	s_delay_alu instid0(VALU_DEP_1) | instskip(NEXT) | instid1(VALU_DEP_1)
	v_mul_f64 v[92:93], v[96:97], v[70:71]
	v_fma_f64 v[68:69], -v[68:69], v[92:93], v[96:97]
	s_delay_alu instid0(VALU_DEP_1) | instskip(NEXT) | instid1(VALU_DEP_1)
	v_div_fmas_f64 v[68:69], v[68:69], v[70:71], v[92:93]
	v_div_fixup_f64 v[68:69], v[68:69], v[0:1], v[2:3]
	s_delay_alu instid0(VALU_DEP_1) | instskip(NEXT) | instid1(VALU_DEP_1)
	v_fma_f64 v[70:71], v[2:3], v[68:69], v[0:1]
	v_div_scale_f64 v[92:93], null, v[70:71], v[70:71], 1.0
	s_delay_alu instid0(VALU_DEP_1) | instskip(SKIP_2) | instid1(VALU_DEP_1)
	v_rcp_f64_e32 v[96:97], v[92:93]
	s_waitcnt_depctr 0xfff
	v_fma_f64 v[98:99], -v[92:93], v[96:97], 1.0
	v_fma_f64 v[96:97], v[96:97], v[98:99], v[96:97]
	s_delay_alu instid0(VALU_DEP_1) | instskip(NEXT) | instid1(VALU_DEP_1)
	v_fma_f64 v[98:99], -v[92:93], v[96:97], 1.0
	v_fma_f64 v[96:97], v[96:97], v[98:99], v[96:97]
	v_div_scale_f64 v[98:99], vcc_lo, 1.0, v[70:71], 1.0
	s_delay_alu instid0(VALU_DEP_1) | instskip(NEXT) | instid1(VALU_DEP_1)
	v_mul_f64 v[100:101], v[98:99], v[96:97]
	v_fma_f64 v[92:93], -v[92:93], v[100:101], v[98:99]
	s_delay_alu instid0(VALU_DEP_1) | instskip(NEXT) | instid1(VALU_DEP_1)
	v_div_fmas_f64 v[92:93], v[92:93], v[96:97], v[100:101]
	v_div_fixup_f64 v[92:93], v[92:93], v[70:71], 1.0
	s_delay_alu instid0(VALU_DEP_1)
	v_mul_f64 v[70:71], v[68:69], -v[92:93]
.LBB17_79:
	s_or_b32 exec_lo, exec_lo, s3
	ds_store_2addr_b64 v95, v[92:93], v[70:71] offset1:1
.LBB17_80:
	s_or_b32 exec_lo, exec_lo, s4
	s_waitcnt lgkmcnt(0)
	s_barrier
	buffer_gl0_inv
	ds_load_2addr_b64 v[68:71], v95 offset1:1
	s_mov_b32 s3, exec_lo
	v_cmpx_lt_u32_e32 8, v94
	s_cbranch_execz .LBB17_82
; %bb.81:
	s_waitcnt lgkmcnt(0)
	v_mul_f64 v[92:93], v[70:71], v[2:3]
	v_mul_f64 v[2:3], v[68:69], v[2:3]
	s_delay_alu instid0(VALU_DEP_2) | instskip(NEXT) | instid1(VALU_DEP_2)
	v_fma_f64 v[92:93], v[68:69], v[0:1], -v[92:93]
	v_fma_f64 v[2:3], v[70:71], v[0:1], v[2:3]
	s_delay_alu instid0(VALU_DEP_2)
	v_dual_mov_b32 v0, v92 :: v_dual_mov_b32 v1, v93
.LBB17_82:
	s_or_b32 exec_lo, exec_lo, s3
	s_waitcnt lgkmcnt(0)
	s_barrier
	buffer_gl0_inv
	s_and_saveexec_b32 s10, s2
	s_cbranch_execz .LBB17_85
; %bb.83:
	s_load_b64 s[0:1], s[0:1], 0x28
	v_lshlrev_b64 v[72:73], 2, v[72:73]
	v_cmp_neq_f64_e64 s2, 0, v[42:43]
	v_cmp_eq_f64_e64 s3, 0, v[44:45]
	v_cmp_eq_f64_e64 s4, 0, v[46:47]
	;; [unrolled: 1-line block ×6, first 2 shown]
	s_waitcnt lgkmcnt(0)
	v_add_co_u32 v72, vcc_lo, s0, v72
	v_add_co_ci_u32_e32 v73, vcc_lo, s1, v73, vcc_lo
	v_cmp_eq_f64_e32 vcc_lo, 0, v[36:37]
	v_cmp_eq_f64_e64 s0, 0, v[38:39]
	v_cmp_neq_f64_e64 s1, 0, v[40:41]
	global_load_b32 v92, v[72:73], off
	s_and_b32 s0, vcc_lo, s0
	s_or_b32 s1, s1, s2
	v_cndmask_b32_e64 v36, 0, 1, s0
	s_or_b32 vcc_lo, s1, s0
	v_cmp_eq_f64_e64 s0, 0, v[58:59]
	s_and_b32 s2, s3, s4
	s_and_b32 s4, s5, s6
	v_cndmask_b32_e32 v36, 2, v36, vcc_lo
	v_cmp_eq_f64_e32 vcc_lo, 0, v[56:57]
	s_and_b32 s6, s7, s8
	s_delay_alu instid0(VALU_DEP_2) | instskip(NEXT) | instid1(VALU_DEP_1)
	v_cmp_eq_u32_e64 s1, 0, v36
	s_and_b32 s1, s2, s1
	v_cmp_eq_f64_e64 s2, 0, v[62:63]
	v_cndmask_b32_e64 v36, v36, 3, s1
	v_cmp_eq_f64_e64 s1, 0, v[60:61]
	s_delay_alu instid0(VALU_DEP_2) | instskip(NEXT) | instid1(VALU_DEP_1)
	v_cmp_eq_u32_e64 s3, 0, v36
	s_and_b32 s3, s4, s3
	v_cmp_eq_f64_e64 s4, 0, v[66:67]
	v_cndmask_b32_e64 v36, v36, 4, s3
	v_cmp_eq_f64_e64 s3, 0, v[64:65]
	;; [unrolled: 6-line block ×3, first 2 shown]
	s_and_b32 s0, vcc_lo, s0
	s_delay_alu instid0(VALU_DEP_2) | instskip(NEXT) | instid1(VALU_DEP_1)
	v_cmp_eq_u32_e64 s7, 0, v36
	s_and_b32 s0, s0, s7
	s_delay_alu instid0(SALU_CYCLE_1) | instskip(SKIP_1) | instid1(VALU_DEP_1)
	v_cndmask_b32_e64 v36, v36, 6, s0
	s_and_b32 s0, s1, s2
	v_cmp_eq_u32_e32 vcc_lo, 0, v36
	s_and_b32 s0, s0, vcc_lo
	s_delay_alu instid0(SALU_CYCLE_1) | instskip(SKIP_1) | instid1(VALU_DEP_1)
	v_cndmask_b32_e64 v36, v36, 7, s0
	s_and_b32 s0, s3, s4
	v_cmp_eq_u32_e32 vcc_lo, 0, v36
	s_and_b32 s0, s0, vcc_lo
	;; [unrolled: 5-line block ×3, first 2 shown]
	s_delay_alu instid0(SALU_CYCLE_1) | instskip(NEXT) | instid1(VALU_DEP_1)
	v_cndmask_b32_e64 v36, v36, 9, s0
	v_cmp_ne_u32_e64 s0, 0, v36
	s_waitcnt vmcnt(0)
	v_cmp_eq_u32_e32 vcc_lo, 0, v92
	s_delay_alu instid0(VALU_DEP_2) | instskip(NEXT) | instid1(SALU_CYCLE_1)
	s_and_b32 s0, vcc_lo, s0
	s_and_b32 exec_lo, exec_lo, s0
	s_cbranch_execz .LBB17_85
; %bb.84:
	v_add_nc_u32_e32 v36, s9, v36
	global_store_b32 v[72:73], v36, off
.LBB17_85:
	s_or_b32 exec_lo, exec_lo, s10
	s_clause 0x8
	global_store_b128 v[88:89], v[32:35], off
	global_store_b128 v[90:91], v[28:31], off
	;; [unrolled: 1-line block ×9, first 2 shown]
.LBB17_86:
	s_nop 0
	s_sendmsg sendmsg(MSG_DEALLOC_VGPRS)
	s_endpgm
	.section	.rodata,"a",@progbits
	.p2align	6, 0x0
	.amdhsa_kernel _ZN9rocsolver6v33100L23getf2_npvt_small_kernelILi9E19rocblas_complex_numIdEiiPKPS3_EEvT1_T3_lS7_lPT2_S7_S7_
		.amdhsa_group_segment_fixed_size 0
		.amdhsa_private_segment_fixed_size 0
		.amdhsa_kernarg_size 312
		.amdhsa_user_sgpr_count 14
		.amdhsa_user_sgpr_dispatch_ptr 0
		.amdhsa_user_sgpr_queue_ptr 0
		.amdhsa_user_sgpr_kernarg_segment_ptr 1
		.amdhsa_user_sgpr_dispatch_id 0
		.amdhsa_user_sgpr_private_segment_size 0
		.amdhsa_wavefront_size32 1
		.amdhsa_uses_dynamic_stack 0
		.amdhsa_enable_private_segment 0
		.amdhsa_system_sgpr_workgroup_id_x 1
		.amdhsa_system_sgpr_workgroup_id_y 1
		.amdhsa_system_sgpr_workgroup_id_z 0
		.amdhsa_system_sgpr_workgroup_info 0
		.amdhsa_system_vgpr_workitem_id 1
		.amdhsa_next_free_vgpr 127
		.amdhsa_next_free_sgpr 16
		.amdhsa_reserve_vcc 1
		.amdhsa_float_round_mode_32 0
		.amdhsa_float_round_mode_16_64 0
		.amdhsa_float_denorm_mode_32 3
		.amdhsa_float_denorm_mode_16_64 3
		.amdhsa_dx10_clamp 1
		.amdhsa_ieee_mode 1
		.amdhsa_fp16_overflow 0
		.amdhsa_workgroup_processor_mode 1
		.amdhsa_memory_ordered 1
		.amdhsa_forward_progress 0
		.amdhsa_shared_vgpr_count 0
		.amdhsa_exception_fp_ieee_invalid_op 0
		.amdhsa_exception_fp_denorm_src 0
		.amdhsa_exception_fp_ieee_div_zero 0
		.amdhsa_exception_fp_ieee_overflow 0
		.amdhsa_exception_fp_ieee_underflow 0
		.amdhsa_exception_fp_ieee_inexact 0
		.amdhsa_exception_int_div_zero 0
	.end_amdhsa_kernel
	.section	.text._ZN9rocsolver6v33100L23getf2_npvt_small_kernelILi9E19rocblas_complex_numIdEiiPKPS3_EEvT1_T3_lS7_lPT2_S7_S7_,"axG",@progbits,_ZN9rocsolver6v33100L23getf2_npvt_small_kernelILi9E19rocblas_complex_numIdEiiPKPS3_EEvT1_T3_lS7_lPT2_S7_S7_,comdat
.Lfunc_end17:
	.size	_ZN9rocsolver6v33100L23getf2_npvt_small_kernelILi9E19rocblas_complex_numIdEiiPKPS3_EEvT1_T3_lS7_lPT2_S7_S7_, .Lfunc_end17-_ZN9rocsolver6v33100L23getf2_npvt_small_kernelILi9E19rocblas_complex_numIdEiiPKPS3_EEvT1_T3_lS7_lPT2_S7_S7_
                                        ; -- End function
	.section	.AMDGPU.csdata,"",@progbits
; Kernel info:
; codeLenInByte = 10192
; NumSgprs: 18
; NumVgprs: 127
; ScratchSize: 0
; MemoryBound: 0
; FloatMode: 240
; IeeeMode: 1
; LDSByteSize: 0 bytes/workgroup (compile time only)
; SGPRBlocks: 2
; VGPRBlocks: 15
; NumSGPRsForWavesPerEU: 18
; NumVGPRsForWavesPerEU: 127
; Occupancy: 10
; WaveLimiterHint : 1
; COMPUTE_PGM_RSRC2:SCRATCH_EN: 0
; COMPUTE_PGM_RSRC2:USER_SGPR: 14
; COMPUTE_PGM_RSRC2:TRAP_HANDLER: 0
; COMPUTE_PGM_RSRC2:TGID_X_EN: 1
; COMPUTE_PGM_RSRC2:TGID_Y_EN: 1
; COMPUTE_PGM_RSRC2:TGID_Z_EN: 0
; COMPUTE_PGM_RSRC2:TIDIG_COMP_CNT: 1
	.section	.text._ZN9rocsolver6v33100L18getf2_small_kernelILi10E19rocblas_complex_numIdEiiPKPS3_EEvT1_T3_lS7_lPS7_llPT2_S7_S7_S9_l,"axG",@progbits,_ZN9rocsolver6v33100L18getf2_small_kernelILi10E19rocblas_complex_numIdEiiPKPS3_EEvT1_T3_lS7_lPS7_llPT2_S7_S7_S9_l,comdat
	.globl	_ZN9rocsolver6v33100L18getf2_small_kernelILi10E19rocblas_complex_numIdEiiPKPS3_EEvT1_T3_lS7_lPS7_llPT2_S7_S7_S9_l ; -- Begin function _ZN9rocsolver6v33100L18getf2_small_kernelILi10E19rocblas_complex_numIdEiiPKPS3_EEvT1_T3_lS7_lPS7_llPT2_S7_S7_S9_l
	.p2align	8
	.type	_ZN9rocsolver6v33100L18getf2_small_kernelILi10E19rocblas_complex_numIdEiiPKPS3_EEvT1_T3_lS7_lPS7_llPT2_S7_S7_S9_l,@function
_ZN9rocsolver6v33100L18getf2_small_kernelILi10E19rocblas_complex_numIdEiiPKPS3_EEvT1_T3_lS7_lPS7_llPT2_S7_S7_S9_l: ; @_ZN9rocsolver6v33100L18getf2_small_kernelILi10E19rocblas_complex_numIdEiiPKPS3_EEvT1_T3_lS7_lPS7_llPT2_S7_S7_S9_l
; %bb.0:
	s_clause 0x1
	s_load_b32 s2, s[0:1], 0x6c
	s_load_b64 s[12:13], s[0:1], 0x48
	v_bfe_u32 v40, v0, 10, 10
	s_waitcnt lgkmcnt(0)
	s_lshr_b32 s2, s2, 16
	s_delay_alu instid0(VALU_DEP_1) | instid1(SALU_CYCLE_1)
	v_mad_u64_u32 v[44:45], null, s15, s2, v[40:41]
	s_mov_b32 s2, exec_lo
	s_delay_alu instid0(VALU_DEP_1)
	v_cmpx_gt_i32_e64 s12, v44
	s_cbranch_execz .LBB18_213
; %bb.1:
	s_clause 0x1
	s_load_b128 s[4:7], s[0:1], 0x8
	s_load_b128 s[8:11], s[0:1], 0x50
	v_ashrrev_i32_e32 v45, 31, v44
	v_mov_b32_e32 v46, 0
	v_mov_b32_e32 v47, 0
	s_delay_alu instid0(VALU_DEP_3) | instskip(SKIP_1) | instid1(VALU_DEP_1)
	v_lshlrev_b64 v[1:2], 3, v[44:45]
	s_waitcnt lgkmcnt(0)
	v_add_co_u32 v1, vcc_lo, s4, v1
	s_delay_alu instid0(VALU_DEP_2)
	v_add_co_ci_u32_e32 v2, vcc_lo, s5, v2, vcc_lo
	s_cmp_eq_u64 s[8:9], 0
	s_cselect_b32 s4, -1, 0
	global_load_b64 v[1:2], v[1:2], off
	s_and_b32 vcc_lo, exec_lo, s4
	s_cbranch_vccnz .LBB18_3
; %bb.2:
	v_mul_lo_u32 v5, v45, s10
	v_mul_lo_u32 v6, v44, s11
	v_mad_u64_u32 v[3:4], null, v44, s10, 0
	s_delay_alu instid0(VALU_DEP_1) | instskip(NEXT) | instid1(VALU_DEP_1)
	v_add3_u32 v4, v4, v6, v5
	v_lshlrev_b64 v[3:4], 2, v[3:4]
	s_delay_alu instid0(VALU_DEP_1) | instskip(NEXT) | instid1(VALU_DEP_2)
	v_add_co_u32 v46, vcc_lo, s8, v3
	v_add_co_ci_u32_e32 v47, vcc_lo, s9, v4, vcc_lo
.LBB18_3:
	s_clause 0x1
	s_load_b32 s8, s[0:1], 0x18
	s_load_b32 s5, s[0:1], 0x0
	v_dual_mov_b32 v48, 0 :: v_dual_and_b32 v53, 0x3ff, v0
	s_lshl_b64 s[2:3], s[6:7], 4
	s_waitcnt vmcnt(0)
	v_add_co_u32 v51, vcc_lo, v1, s2
	s_delay_alu instid0(VALU_DEP_2) | instskip(SKIP_1) | instid1(VALU_DEP_2)
	v_lshlrev_b32_e32 v43, 4, v53
	v_add_co_ci_u32_e32 v52, vcc_lo, s3, v2, vcc_lo
	v_add_co_u32 v2, vcc_lo, v51, v43
	s_delay_alu instid0(VALU_DEP_2)
	v_add_co_ci_u32_e32 v3, vcc_lo, 0, v52, vcc_lo
	s_waitcnt lgkmcnt(0)
	v_add3_u32 v0, s8, s8, v53
	s_ashr_i32 s9, s8, 31
	s_max_i32 s2, s5, 10
	s_lshl_b64 s[10:11], s[8:9], 4
	v_mul_lo_u32 v49, s2, v40
	v_add_nc_u32_e32 v4, s8, v0
	v_add_co_u32 v6, vcc_lo, v2, s10
	v_ashrrev_i32_e32 v1, 31, v0
	v_add_co_ci_u32_e32 v7, vcc_lo, s11, v3, vcc_lo
	s_delay_alu instid0(VALU_DEP_4) | instskip(SKIP_1) | instid1(VALU_DEP_4)
	v_ashrrev_i32_e32 v5, 31, v4
	v_add_nc_u32_e32 v8, s8, v4
	v_lshlrev_b64 v[0:1], 4, v[0:1]
	s_clause 0x1
	global_load_b128 v[28:31], v[2:3], off
	global_load_b128 v[24:27], v[6:7], off
	v_lshl_add_u32 v50, v49, 4, 0
	v_lshlrev_b64 v[2:3], 4, v[4:5]
	v_ashrrev_i32_e32 v9, 31, v8
	v_add_nc_u32_e32 v4, s8, v8
	v_add_co_u32 v0, vcc_lo, v51, v0
	v_add_co_ci_u32_e32 v1, vcc_lo, v52, v1, vcc_lo
	s_delay_alu instid0(VALU_DEP_4) | instskip(NEXT) | instid1(VALU_DEP_4)
	v_lshlrev_b64 v[6:7], 4, v[8:9]
	v_add_nc_u32_e32 v8, s8, v4
	v_add_co_u32 v2, vcc_lo, v51, v2
	v_add_co_ci_u32_e32 v3, vcc_lo, v52, v3, vcc_lo
	s_delay_alu instid0(VALU_DEP_3)
	v_add_nc_u32_e32 v10, s8, v8
	v_ashrrev_i32_e32 v5, 31, v4
	v_ashrrev_i32_e32 v9, 31, v8
	s_clause 0x1
	global_load_b128 v[36:39], v[0:1], off
	global_load_b128 v[20:23], v[2:3], off
	v_add_co_u32 v0, vcc_lo, v51, v6
	v_ashrrev_i32_e32 v11, 31, v10
	v_add_nc_u32_e32 v6, s8, v10
	v_lshlrev_b64 v[4:5], 4, v[4:5]
	v_lshlrev_b64 v[2:3], 4, v[8:9]
	v_add_co_ci_u32_e32 v1, vcc_lo, v52, v7, vcc_lo
	v_lshlrev_b64 v[8:9], 4, v[10:11]
	v_add_nc_u32_e32 v10, s8, v6
	v_ashrrev_i32_e32 v7, 31, v6
	v_add_co_u32 v4, vcc_lo, v51, v4
	v_add_co_ci_u32_e32 v5, vcc_lo, v52, v5, vcc_lo
	s_delay_alu instid0(VALU_DEP_4)
	v_ashrrev_i32_e32 v11, 31, v10
	v_add_co_u32 v2, vcc_lo, v51, v2
	v_lshlrev_b64 v[6:7], 4, v[6:7]
	v_add_co_ci_u32_e32 v3, vcc_lo, v52, v3, vcc_lo
	v_add_co_u32 v8, vcc_lo, v51, v8
	v_lshlrev_b64 v[10:11], 4, v[10:11]
	v_add_co_ci_u32_e32 v9, vcc_lo, v52, v9, vcc_lo
	v_add_co_u32 v6, vcc_lo, v51, v6
	v_add_co_ci_u32_e32 v7, vcc_lo, v52, v7, vcc_lo
	s_delay_alu instid0(VALU_DEP_4)
	v_add_co_u32 v41, vcc_lo, v51, v10
	v_add_co_ci_u32_e32 v42, vcc_lo, v52, v11, vcc_lo
	s_clause 0x5
	global_load_b128 v[32:35], v[0:1], off
	global_load_b128 v[16:19], v[4:5], off
	;; [unrolled: 1-line block ×6, first 2 shown]
	v_add_nc_u32_e32 v40, v50, v43
	v_lshlrev_b32_e32 v55, 4, v49
	s_cmp_lt_i32 s5, 2
	s_waitcnt vmcnt(9)
	ds_store_2addr_b64 v40, v[28:29], v[30:31] offset1:1
	s_waitcnt vmcnt(0) lgkmcnt(0)
	s_barrier
	buffer_gl0_inv
	ds_load_2addr_b64 v[40:43], v50 offset1:1
	s_cbranch_scc1 .LBB18_6
; %bb.4:
	v_add3_u32 v49, v55, 0, 16
	v_mov_b32_e32 v48, 0
	s_mov_b32 s6, 1
	s_set_inst_prefetch_distance 0x1
	.p2align	6
.LBB18_5:                               ; =>This Inner Loop Header: Depth=1
	ds_load_2addr_b64 v[56:59], v49 offset1:1
	s_waitcnt lgkmcnt(1)
	v_cmp_gt_f64_e32 vcc_lo, 0, v[40:41]
	v_xor_b32_e32 v54, 0x80000000, v41
	v_cmp_gt_f64_e64 s2, 0, v[42:43]
	v_xor_b32_e32 v60, 0x80000000, v43
	v_add_nc_u32_e32 v49, 16, v49
	s_waitcnt lgkmcnt(0)
	v_cmp_gt_f64_e64 s3, 0, v[56:57]
	v_mov_b32_e32 v64, v56
	v_dual_mov_b32 v66, v58 :: v_dual_cndmask_b32 v61, v41, v54
	v_xor_b32_e32 v54, 0x80000000, v57
	v_cndmask_b32_e64 v63, v43, v60, s2
	v_xor_b32_e32 v60, 0x80000000, v59
	v_cndmask_b32_e64 v62, v42, v42, s2
	s_delay_alu instid0(VALU_DEP_4) | instskip(SKIP_1) | instid1(VALU_DEP_1)
	v_cndmask_b32_e64 v65, v57, v54, s3
	v_cmp_gt_f64_e64 s3, 0, v[58:59]
	v_cndmask_b32_e64 v67, v59, v60, s3
	v_cndmask_b32_e32 v60, v40, v40, vcc_lo
	s_delay_alu instid0(VALU_DEP_2) | instskip(NEXT) | instid1(VALU_DEP_2)
	v_add_f64 v[64:65], v[64:65], v[66:67]
	v_add_f64 v[60:61], v[60:61], v[62:63]
	s_delay_alu instid0(VALU_DEP_1)
	v_cmp_lt_f64_e32 vcc_lo, v[60:61], v[64:65]
	v_cndmask_b32_e32 v43, v43, v59, vcc_lo
	v_dual_cndmask_b32 v41, v41, v57 :: v_dual_cndmask_b32 v40, v40, v56
	v_cndmask_b32_e32 v42, v42, v58, vcc_lo
	v_cndmask_b32_e64 v48, v48, s6, vcc_lo
	s_add_i32 s6, s6, 1
	s_delay_alu instid0(SALU_CYCLE_1)
	s_cmp_eq_u32 s5, s6
	s_cbranch_scc0 .LBB18_5
.LBB18_6:
	s_set_inst_prefetch_distance 0x2
	s_waitcnt lgkmcnt(0)
	v_cmp_neq_f64_e32 vcc_lo, 0, v[40:41]
	v_cmp_neq_f64_e64 s2, 0, v[42:43]
	v_dual_mov_b32 v54, 1 :: v_dual_mov_b32 v57, 1
	s_delay_alu instid0(VALU_DEP_2) | instskip(NEXT) | instid1(SALU_CYCLE_1)
	s_or_b32 s2, vcc_lo, s2
	s_and_saveexec_b32 s3, s2
	s_cbranch_execz .LBB18_12
; %bb.7:
	v_cmp_gt_f64_e32 vcc_lo, 0, v[40:41]
	v_cmp_gt_f64_e64 s2, 0, v[42:43]
	v_xor_b32_e32 v49, 0x80000000, v41
	v_xor_b32_e32 v54, 0x80000000, v43
                                        ; implicit-def: $sgpr6
                                        ; implicit-def: $sgpr7
	s_delay_alu instid0(VALU_DEP_2) | instskip(NEXT) | instid1(VALU_DEP_2)
	v_dual_cndmask_b32 v57, v41, v49 :: v_dual_cndmask_b32 v56, v40, v40
	v_cndmask_b32_e64 v59, v43, v54, s2
	v_cndmask_b32_e64 v58, v42, v42, s2
	s_mov_b32 s2, exec_lo
	s_delay_alu instid0(VALU_DEP_1)
	v_cmpx_ngt_f64_e32 v[56:57], v[58:59]
	s_xor_b32 s2, exec_lo, s2
	s_cbranch_execz .LBB18_9
; %bb.8:
	v_div_scale_f64 v[56:57], null, v[42:43], v[42:43], v[40:41]
	v_div_scale_f64 v[62:63], vcc_lo, v[40:41], v[42:43], v[40:41]
	s_mov_b32 s7, 2
	s_mov_b32 s6, 0
	s_delay_alu instid0(VALU_DEP_2) | instskip(SKIP_2) | instid1(VALU_DEP_1)
	v_rcp_f64_e32 v[58:59], v[56:57]
	s_waitcnt_depctr 0xfff
	v_fma_f64 v[60:61], -v[56:57], v[58:59], 1.0
	v_fma_f64 v[58:59], v[58:59], v[60:61], v[58:59]
	s_delay_alu instid0(VALU_DEP_1) | instskip(NEXT) | instid1(VALU_DEP_1)
	v_fma_f64 v[60:61], -v[56:57], v[58:59], 1.0
	v_fma_f64 v[58:59], v[58:59], v[60:61], v[58:59]
	s_delay_alu instid0(VALU_DEP_1) | instskip(NEXT) | instid1(VALU_DEP_1)
	v_mul_f64 v[60:61], v[62:63], v[58:59]
	v_fma_f64 v[56:57], -v[56:57], v[60:61], v[62:63]
	s_delay_alu instid0(VALU_DEP_1) | instskip(NEXT) | instid1(VALU_DEP_1)
	v_div_fmas_f64 v[56:57], v[56:57], v[58:59], v[60:61]
	v_div_fixup_f64 v[56:57], v[56:57], v[42:43], v[40:41]
	s_delay_alu instid0(VALU_DEP_1) | instskip(NEXT) | instid1(VALU_DEP_1)
	v_fma_f64 v[40:41], v[40:41], v[56:57], v[42:43]
	v_div_scale_f64 v[42:43], null, v[40:41], v[40:41], 1.0
	s_delay_alu instid0(VALU_DEP_1) | instskip(SKIP_2) | instid1(VALU_DEP_1)
	v_rcp_f64_e32 v[58:59], v[42:43]
	s_waitcnt_depctr 0xfff
	v_fma_f64 v[60:61], -v[42:43], v[58:59], 1.0
	v_fma_f64 v[58:59], v[58:59], v[60:61], v[58:59]
	s_delay_alu instid0(VALU_DEP_1) | instskip(NEXT) | instid1(VALU_DEP_1)
	v_fma_f64 v[60:61], -v[42:43], v[58:59], 1.0
	v_fma_f64 v[58:59], v[58:59], v[60:61], v[58:59]
	v_div_scale_f64 v[60:61], vcc_lo, 1.0, v[40:41], 1.0
	s_delay_alu instid0(VALU_DEP_1) | instskip(NEXT) | instid1(VALU_DEP_1)
	v_mul_f64 v[62:63], v[60:61], v[58:59]
	v_fma_f64 v[42:43], -v[42:43], v[62:63], v[60:61]
	s_delay_alu instid0(VALU_DEP_1) | instskip(NEXT) | instid1(VALU_DEP_1)
	v_div_fmas_f64 v[42:43], v[42:43], v[58:59], v[62:63]
	v_div_fixup_f64 v[42:43], v[42:43], v[40:41], 1.0
	s_delay_alu instid0(VALU_DEP_1)
	v_mul_f64 v[40:41], v[56:57], v[42:43]
	v_xor_b32_e32 v43, 0x80000000, v43
.LBB18_9:
	s_or_saveexec_b32 s2, s2
	v_dual_mov_b32 v57, s6 :: v_dual_mov_b32 v54, s7
	s_xor_b32 exec_lo, exec_lo, s2
	s_cbranch_execz .LBB18_11
; %bb.10:
	s_delay_alu instid0(VALU_DEP_3) | instskip(SKIP_2) | instid1(VALU_DEP_3)
	v_div_scale_f64 v[56:57], null, v[40:41], v[40:41], v[42:43]
	v_div_scale_f64 v[62:63], vcc_lo, v[42:43], v[40:41], v[42:43]
	v_mov_b32_e32 v54, 2
	v_rcp_f64_e32 v[58:59], v[56:57]
	s_waitcnt_depctr 0xfff
	v_fma_f64 v[60:61], -v[56:57], v[58:59], 1.0
	s_delay_alu instid0(VALU_DEP_1) | instskip(NEXT) | instid1(VALU_DEP_1)
	v_fma_f64 v[58:59], v[58:59], v[60:61], v[58:59]
	v_fma_f64 v[60:61], -v[56:57], v[58:59], 1.0
	s_delay_alu instid0(VALU_DEP_1) | instskip(NEXT) | instid1(VALU_DEP_1)
	v_fma_f64 v[58:59], v[58:59], v[60:61], v[58:59]
	v_mul_f64 v[60:61], v[62:63], v[58:59]
	s_delay_alu instid0(VALU_DEP_1) | instskip(NEXT) | instid1(VALU_DEP_1)
	v_fma_f64 v[56:57], -v[56:57], v[60:61], v[62:63]
	v_div_fmas_f64 v[56:57], v[56:57], v[58:59], v[60:61]
	s_delay_alu instid0(VALU_DEP_1) | instskip(NEXT) | instid1(VALU_DEP_1)
	v_div_fixup_f64 v[56:57], v[56:57], v[40:41], v[42:43]
	v_fma_f64 v[40:41], v[42:43], v[56:57], v[40:41]
	s_delay_alu instid0(VALU_DEP_1) | instskip(NEXT) | instid1(VALU_DEP_1)
	v_div_scale_f64 v[42:43], null, v[40:41], v[40:41], 1.0
	v_rcp_f64_e32 v[58:59], v[42:43]
	s_waitcnt_depctr 0xfff
	v_fma_f64 v[60:61], -v[42:43], v[58:59], 1.0
	s_delay_alu instid0(VALU_DEP_1) | instskip(NEXT) | instid1(VALU_DEP_1)
	v_fma_f64 v[58:59], v[58:59], v[60:61], v[58:59]
	v_fma_f64 v[60:61], -v[42:43], v[58:59], 1.0
	s_delay_alu instid0(VALU_DEP_1) | instskip(SKIP_1) | instid1(VALU_DEP_1)
	v_fma_f64 v[58:59], v[58:59], v[60:61], v[58:59]
	v_div_scale_f64 v[60:61], vcc_lo, 1.0, v[40:41], 1.0
	v_mul_f64 v[62:63], v[60:61], v[58:59]
	s_delay_alu instid0(VALU_DEP_1) | instskip(NEXT) | instid1(VALU_DEP_1)
	v_fma_f64 v[42:43], -v[42:43], v[62:63], v[60:61]
	v_div_fmas_f64 v[42:43], v[42:43], v[58:59], v[62:63]
	s_delay_alu instid0(VALU_DEP_1) | instskip(NEXT) | instid1(VALU_DEP_1)
	v_div_fixup_f64 v[40:41], v[42:43], v[40:41], 1.0
	v_mul_f64 v[42:43], v[56:57], -v[40:41]
	v_mov_b32_e32 v57, 0
.LBB18_11:
	s_or_b32 exec_lo, exec_lo, s2
.LBB18_12:
	s_delay_alu instid0(SALU_CYCLE_1) | instskip(NEXT) | instid1(SALU_CYCLE_1)
	s_or_b32 exec_lo, exec_lo, s3
	s_mov_b32 s2, exec_lo
	v_cmpx_ne_u32_e64 v53, v48
	s_xor_b32 s2, exec_lo, s2
	s_cbranch_execz .LBB18_18
; %bb.13:
	s_mov_b32 s3, exec_lo
	v_cmpx_eq_u32_e32 0, v53
	s_cbranch_execz .LBB18_17
; %bb.14:
	v_cmp_ne_u32_e32 vcc_lo, 0, v48
	s_xor_b32 s6, s4, -1
	s_delay_alu instid0(SALU_CYCLE_1) | instskip(NEXT) | instid1(SALU_CYCLE_1)
	s_and_b32 s7, s6, vcc_lo
	s_and_saveexec_b32 s6, s7
	s_cbranch_execz .LBB18_16
; %bb.15:
	v_ashrrev_i32_e32 v49, 31, v48
	s_delay_alu instid0(VALU_DEP_1) | instskip(NEXT) | instid1(VALU_DEP_1)
	v_lshlrev_b64 v[58:59], 2, v[48:49]
	v_add_co_u32 v58, vcc_lo, v46, v58
	s_delay_alu instid0(VALU_DEP_2)
	v_add_co_ci_u32_e32 v59, vcc_lo, v47, v59, vcc_lo
	s_clause 0x1
	flat_load_b32 v49, v[58:59]
	flat_load_b32 v53, v[46:47]
	s_waitcnt vmcnt(1) lgkmcnt(1)
	flat_store_b32 v[46:47], v49
	s_waitcnt vmcnt(0) lgkmcnt(1)
	flat_store_b32 v[58:59], v53
.LBB18_16:
	s_or_b32 exec_lo, exec_lo, s6
	v_mov_b32_e32 v53, v48
.LBB18_17:
	s_or_b32 exec_lo, exec_lo, s3
.LBB18_18:
	s_or_saveexec_b32 s2, s2
	s_delay_alu instid0(VALU_DEP_1)
	v_mov_b32_e32 v56, v53
	s_xor_b32 exec_lo, exec_lo, s2
	s_cbranch_execz .LBB18_20
; %bb.19:
	v_mov_b32_e32 v56, 0
	ds_store_2addr_b64 v50, v[24:25], v[26:27] offset0:2 offset1:3
	ds_store_2addr_b64 v50, v[36:37], v[38:39] offset0:4 offset1:5
	ds_store_2addr_b64 v50, v[20:21], v[22:23] offset0:6 offset1:7
	ds_store_2addr_b64 v50, v[32:33], v[34:35] offset0:8 offset1:9
	ds_store_2addr_b64 v50, v[16:17], v[18:19] offset0:10 offset1:11
	ds_store_2addr_b64 v50, v[12:13], v[14:15] offset0:12 offset1:13
	ds_store_2addr_b64 v50, v[8:9], v[10:11] offset0:14 offset1:15
	ds_store_2addr_b64 v50, v[4:5], v[6:7] offset0:16 offset1:17
	ds_store_2addr_b64 v50, v[0:1], v[2:3] offset0:18 offset1:19
.LBB18_20:
	s_or_b32 exec_lo, exec_lo, s2
	s_delay_alu instid0(SALU_CYCLE_1)
	s_mov_b32 s2, exec_lo
	s_waitcnt lgkmcnt(0)
	s_waitcnt_vscnt null, 0x0
	s_barrier
	buffer_gl0_inv
	v_cmpx_lt_i32_e32 0, v56
	s_cbranch_execz .LBB18_22
; %bb.21:
	v_mul_f64 v[48:49], v[40:41], v[30:31]
	v_mul_f64 v[30:31], v[42:43], v[30:31]
	ds_load_2addr_b64 v[58:61], v50 offset0:2 offset1:3
	ds_load_2addr_b64 v[62:65], v50 offset0:4 offset1:5
	;; [unrolled: 1-line block ×9, first 2 shown]
	v_fma_f64 v[42:43], v[42:43], v[28:29], v[48:49]
	v_fma_f64 v[28:29], v[40:41], v[28:29], -v[30:31]
	s_waitcnt lgkmcnt(8)
	s_delay_alu instid0(VALU_DEP_2)
	v_mul_f64 v[30:31], v[60:61], v[42:43]
	v_mul_f64 v[40:41], v[58:59], v[42:43]
	s_waitcnt lgkmcnt(7)
	v_mul_f64 v[48:49], v[64:65], v[42:43]
	v_mul_f64 v[94:95], v[62:63], v[42:43]
	s_waitcnt lgkmcnt(6)
	;; [unrolled: 3-line block ×8, first 2 shown]
	v_mul_f64 v[120:121], v[92:93], v[42:43]
	v_mul_f64 v[122:123], v[90:91], v[42:43]
	v_fma_f64 v[30:31], v[58:59], v[28:29], -v[30:31]
	v_fma_f64 v[40:41], v[60:61], v[28:29], v[40:41]
	v_fma_f64 v[48:49], v[62:63], v[28:29], -v[48:49]
	v_fma_f64 v[58:59], v[64:65], v[28:29], v[94:95]
	;; [unrolled: 2-line block ×9, first 2 shown]
	v_add_f64 v[24:25], v[24:25], -v[30:31]
	v_add_f64 v[26:27], v[26:27], -v[40:41]
	;; [unrolled: 1-line block ×18, first 2 shown]
	v_dual_mov_b32 v30, v42 :: v_dual_mov_b32 v31, v43
.LBB18_22:
	s_or_b32 exec_lo, exec_lo, s2
	v_lshl_add_u32 v40, v56, 4, v50
	s_barrier
	buffer_gl0_inv
	v_mov_b32_e32 v48, 1
	ds_store_2addr_b64 v40, v[24:25], v[26:27] offset1:1
	s_waitcnt lgkmcnt(0)
	s_barrier
	buffer_gl0_inv
	ds_load_2addr_b64 v[40:43], v50 offset0:2 offset1:3
	s_cmp_lt_i32 s5, 3
	s_cbranch_scc1 .LBB18_25
; %bb.23:
	v_add3_u32 v49, v55, 0, 32
	v_mov_b32_e32 v48, 1
	s_mov_b32 s6, 2
	s_set_inst_prefetch_distance 0x1
	.p2align	6
.LBB18_24:                              ; =>This Inner Loop Header: Depth=1
	ds_load_2addr_b64 v[58:61], v49 offset1:1
	s_waitcnt lgkmcnt(1)
	v_cmp_gt_f64_e32 vcc_lo, 0, v[40:41]
	v_xor_b32_e32 v62, 0x80000000, v41
	v_cmp_gt_f64_e64 s2, 0, v[42:43]
	v_xor_b32_e32 v64, 0x80000000, v43
	v_add_nc_u32_e32 v49, 16, v49
	s_waitcnt lgkmcnt(0)
	v_cmp_gt_f64_e64 s3, 0, v[58:59]
	v_mov_b32_e32 v66, v58
	v_dual_mov_b32 v68, v60 :: v_dual_cndmask_b32 v63, v41, v62
	v_xor_b32_e32 v62, 0x80000000, v59
	v_cndmask_b32_e64 v65, v43, v64, s2
	v_xor_b32_e32 v64, 0x80000000, v61
	s_delay_alu instid0(VALU_DEP_3) | instskip(SKIP_2) | instid1(VALU_DEP_2)
	v_cndmask_b32_e64 v67, v59, v62, s3
	v_cmp_gt_f64_e64 s3, 0, v[60:61]
	v_cndmask_b32_e32 v62, v40, v40, vcc_lo
	v_cndmask_b32_e64 v69, v61, v64, s3
	v_cndmask_b32_e64 v64, v42, v42, s2
	s_delay_alu instid0(VALU_DEP_2) | instskip(NEXT) | instid1(VALU_DEP_2)
	v_add_f64 v[66:67], v[66:67], v[68:69]
	v_add_f64 v[62:63], v[62:63], v[64:65]
	s_delay_alu instid0(VALU_DEP_1)
	v_cmp_lt_f64_e32 vcc_lo, v[62:63], v[66:67]
	v_cndmask_b32_e32 v43, v43, v61, vcc_lo
	v_dual_cndmask_b32 v41, v41, v59 :: v_dual_cndmask_b32 v40, v40, v58
	v_cndmask_b32_e32 v42, v42, v60, vcc_lo
	v_cndmask_b32_e64 v48, v48, s6, vcc_lo
	s_add_i32 s6, s6, 1
	s_delay_alu instid0(SALU_CYCLE_1)
	s_cmp_lg_u32 s5, s6
	s_cbranch_scc1 .LBB18_24
.LBB18_25:
	s_set_inst_prefetch_distance 0x2
	s_waitcnt lgkmcnt(0)
	v_cmp_neq_f64_e32 vcc_lo, 0, v[40:41]
	v_cmp_neq_f64_e64 s2, 0, v[42:43]
	s_delay_alu instid0(VALU_DEP_1) | instskip(NEXT) | instid1(SALU_CYCLE_1)
	s_or_b32 s2, vcc_lo, s2
	s_and_saveexec_b32 s3, s2
	s_cbranch_execz .LBB18_31
; %bb.26:
	v_cmp_gt_f64_e32 vcc_lo, 0, v[40:41]
	v_cmp_gt_f64_e64 s2, 0, v[42:43]
	v_xor_b32_e32 v49, 0x80000000, v41
	v_xor_b32_e32 v54, 0x80000000, v43
	s_delay_alu instid0(VALU_DEP_2) | instskip(NEXT) | instid1(VALU_DEP_2)
	v_dual_cndmask_b32 v59, v41, v49 :: v_dual_cndmask_b32 v58, v40, v40
	v_cndmask_b32_e64 v61, v43, v54, s2
	v_cndmask_b32_e64 v60, v42, v42, s2
	s_mov_b32 s2, exec_lo
	s_delay_alu instid0(VALU_DEP_1)
	v_cmpx_ngt_f64_e32 v[58:59], v[60:61]
	s_xor_b32 s2, exec_lo, s2
	s_cbranch_execz .LBB18_28
; %bb.27:
	v_div_scale_f64 v[58:59], null, v[42:43], v[42:43], v[40:41]
	v_div_scale_f64 v[64:65], vcc_lo, v[40:41], v[42:43], v[40:41]
	s_delay_alu instid0(VALU_DEP_2) | instskip(SKIP_2) | instid1(VALU_DEP_1)
	v_rcp_f64_e32 v[60:61], v[58:59]
	s_waitcnt_depctr 0xfff
	v_fma_f64 v[62:63], -v[58:59], v[60:61], 1.0
	v_fma_f64 v[60:61], v[60:61], v[62:63], v[60:61]
	s_delay_alu instid0(VALU_DEP_1) | instskip(NEXT) | instid1(VALU_DEP_1)
	v_fma_f64 v[62:63], -v[58:59], v[60:61], 1.0
	v_fma_f64 v[60:61], v[60:61], v[62:63], v[60:61]
	s_delay_alu instid0(VALU_DEP_1) | instskip(NEXT) | instid1(VALU_DEP_1)
	v_mul_f64 v[62:63], v[64:65], v[60:61]
	v_fma_f64 v[58:59], -v[58:59], v[62:63], v[64:65]
	s_delay_alu instid0(VALU_DEP_1) | instskip(NEXT) | instid1(VALU_DEP_1)
	v_div_fmas_f64 v[58:59], v[58:59], v[60:61], v[62:63]
	v_div_fixup_f64 v[58:59], v[58:59], v[42:43], v[40:41]
	s_delay_alu instid0(VALU_DEP_1) | instskip(NEXT) | instid1(VALU_DEP_1)
	v_fma_f64 v[40:41], v[40:41], v[58:59], v[42:43]
	v_div_scale_f64 v[42:43], null, v[40:41], v[40:41], 1.0
	s_delay_alu instid0(VALU_DEP_1) | instskip(SKIP_2) | instid1(VALU_DEP_1)
	v_rcp_f64_e32 v[60:61], v[42:43]
	s_waitcnt_depctr 0xfff
	v_fma_f64 v[62:63], -v[42:43], v[60:61], 1.0
	v_fma_f64 v[60:61], v[60:61], v[62:63], v[60:61]
	s_delay_alu instid0(VALU_DEP_1) | instskip(NEXT) | instid1(VALU_DEP_1)
	v_fma_f64 v[62:63], -v[42:43], v[60:61], 1.0
	v_fma_f64 v[60:61], v[60:61], v[62:63], v[60:61]
	v_div_scale_f64 v[62:63], vcc_lo, 1.0, v[40:41], 1.0
	s_delay_alu instid0(VALU_DEP_1) | instskip(NEXT) | instid1(VALU_DEP_1)
	v_mul_f64 v[64:65], v[62:63], v[60:61]
	v_fma_f64 v[42:43], -v[42:43], v[64:65], v[62:63]
	s_delay_alu instid0(VALU_DEP_1) | instskip(NEXT) | instid1(VALU_DEP_1)
	v_div_fmas_f64 v[42:43], v[42:43], v[60:61], v[64:65]
	v_div_fixup_f64 v[42:43], v[42:43], v[40:41], 1.0
	s_delay_alu instid0(VALU_DEP_1)
	v_mul_f64 v[40:41], v[58:59], v[42:43]
	v_xor_b32_e32 v43, 0x80000000, v43
.LBB18_28:
	s_and_not1_saveexec_b32 s2, s2
	s_cbranch_execz .LBB18_30
; %bb.29:
	s_delay_alu instid0(VALU_DEP_1) | instskip(SKIP_1) | instid1(VALU_DEP_2)
	v_div_scale_f64 v[58:59], null, v[40:41], v[40:41], v[42:43]
	v_div_scale_f64 v[64:65], vcc_lo, v[42:43], v[40:41], v[42:43]
	v_rcp_f64_e32 v[60:61], v[58:59]
	s_waitcnt_depctr 0xfff
	v_fma_f64 v[62:63], -v[58:59], v[60:61], 1.0
	s_delay_alu instid0(VALU_DEP_1) | instskip(NEXT) | instid1(VALU_DEP_1)
	v_fma_f64 v[60:61], v[60:61], v[62:63], v[60:61]
	v_fma_f64 v[62:63], -v[58:59], v[60:61], 1.0
	s_delay_alu instid0(VALU_DEP_1) | instskip(NEXT) | instid1(VALU_DEP_1)
	v_fma_f64 v[60:61], v[60:61], v[62:63], v[60:61]
	v_mul_f64 v[62:63], v[64:65], v[60:61]
	s_delay_alu instid0(VALU_DEP_1) | instskip(NEXT) | instid1(VALU_DEP_1)
	v_fma_f64 v[58:59], -v[58:59], v[62:63], v[64:65]
	v_div_fmas_f64 v[58:59], v[58:59], v[60:61], v[62:63]
	s_delay_alu instid0(VALU_DEP_1) | instskip(NEXT) | instid1(VALU_DEP_1)
	v_div_fixup_f64 v[58:59], v[58:59], v[40:41], v[42:43]
	v_fma_f64 v[40:41], v[42:43], v[58:59], v[40:41]
	s_delay_alu instid0(VALU_DEP_1) | instskip(NEXT) | instid1(VALU_DEP_1)
	v_div_scale_f64 v[42:43], null, v[40:41], v[40:41], 1.0
	v_rcp_f64_e32 v[60:61], v[42:43]
	s_waitcnt_depctr 0xfff
	v_fma_f64 v[62:63], -v[42:43], v[60:61], 1.0
	s_delay_alu instid0(VALU_DEP_1) | instskip(NEXT) | instid1(VALU_DEP_1)
	v_fma_f64 v[60:61], v[60:61], v[62:63], v[60:61]
	v_fma_f64 v[62:63], -v[42:43], v[60:61], 1.0
	s_delay_alu instid0(VALU_DEP_1) | instskip(SKIP_1) | instid1(VALU_DEP_1)
	v_fma_f64 v[60:61], v[60:61], v[62:63], v[60:61]
	v_div_scale_f64 v[62:63], vcc_lo, 1.0, v[40:41], 1.0
	v_mul_f64 v[64:65], v[62:63], v[60:61]
	s_delay_alu instid0(VALU_DEP_1) | instskip(NEXT) | instid1(VALU_DEP_1)
	v_fma_f64 v[42:43], -v[42:43], v[64:65], v[62:63]
	v_div_fmas_f64 v[42:43], v[42:43], v[60:61], v[64:65]
	s_delay_alu instid0(VALU_DEP_1) | instskip(NEXT) | instid1(VALU_DEP_1)
	v_div_fixup_f64 v[40:41], v[42:43], v[40:41], 1.0
	v_mul_f64 v[42:43], v[58:59], -v[40:41]
.LBB18_30:
	s_or_b32 exec_lo, exec_lo, s2
	v_mov_b32_e32 v54, v57
.LBB18_31:
	s_or_b32 exec_lo, exec_lo, s3
	s_delay_alu instid0(SALU_CYCLE_1)
	s_mov_b32 s2, exec_lo
	v_cmpx_ne_u32_e64 v56, v48
	s_xor_b32 s2, exec_lo, s2
	s_cbranch_execz .LBB18_37
; %bb.32:
	s_mov_b32 s3, exec_lo
	v_cmpx_eq_u32_e32 1, v56
	s_cbranch_execz .LBB18_36
; %bb.33:
	v_cmp_ne_u32_e32 vcc_lo, 1, v48
	s_xor_b32 s6, s4, -1
	s_delay_alu instid0(SALU_CYCLE_1) | instskip(NEXT) | instid1(SALU_CYCLE_1)
	s_and_b32 s7, s6, vcc_lo
	s_and_saveexec_b32 s6, s7
	s_cbranch_execz .LBB18_35
; %bb.34:
	v_ashrrev_i32_e32 v49, 31, v48
	s_delay_alu instid0(VALU_DEP_1) | instskip(NEXT) | instid1(VALU_DEP_1)
	v_lshlrev_b64 v[56:57], 2, v[48:49]
	v_add_co_u32 v56, vcc_lo, v46, v56
	s_delay_alu instid0(VALU_DEP_2)
	v_add_co_ci_u32_e32 v57, vcc_lo, v47, v57, vcc_lo
	s_clause 0x1
	flat_load_b32 v49, v[56:57]
	flat_load_b32 v53, v[46:47] offset:4
	s_waitcnt vmcnt(1) lgkmcnt(1)
	flat_store_b32 v[46:47], v49 offset:4
	s_waitcnt vmcnt(0) lgkmcnt(1)
	flat_store_b32 v[56:57], v53
.LBB18_35:
	s_or_b32 exec_lo, exec_lo, s6
	v_mov_b32_e32 v56, v48
	v_mov_b32_e32 v53, v48
.LBB18_36:
	s_or_b32 exec_lo, exec_lo, s3
.LBB18_37:
	s_and_not1_saveexec_b32 s2, s2
	s_cbranch_execz .LBB18_39
; %bb.38:
	v_mov_b32_e32 v56, 1
	ds_store_2addr_b64 v50, v[36:37], v[38:39] offset0:4 offset1:5
	ds_store_2addr_b64 v50, v[20:21], v[22:23] offset0:6 offset1:7
	;; [unrolled: 1-line block ×8, first 2 shown]
.LBB18_39:
	s_or_b32 exec_lo, exec_lo, s2
	s_delay_alu instid0(SALU_CYCLE_1)
	s_mov_b32 s2, exec_lo
	s_waitcnt lgkmcnt(0)
	s_waitcnt_vscnt null, 0x0
	s_barrier
	buffer_gl0_inv
	v_cmpx_lt_i32_e32 1, v56
	s_cbranch_execz .LBB18_41
; %bb.40:
	v_mul_f64 v[48:49], v[40:41], v[26:27]
	v_mul_f64 v[26:27], v[42:43], v[26:27]
	ds_load_2addr_b64 v[57:60], v50 offset0:4 offset1:5
	ds_load_2addr_b64 v[61:64], v50 offset0:6 offset1:7
	ds_load_2addr_b64 v[65:68], v50 offset0:8 offset1:9
	ds_load_2addr_b64 v[69:72], v50 offset0:10 offset1:11
	ds_load_2addr_b64 v[73:76], v50 offset0:12 offset1:13
	ds_load_2addr_b64 v[77:80], v50 offset0:14 offset1:15
	ds_load_2addr_b64 v[81:84], v50 offset0:16 offset1:17
	ds_load_2addr_b64 v[85:88], v50 offset0:18 offset1:19
	v_fma_f64 v[42:43], v[42:43], v[24:25], v[48:49]
	v_fma_f64 v[24:25], v[40:41], v[24:25], -v[26:27]
	s_waitcnt lgkmcnt(7)
	s_delay_alu instid0(VALU_DEP_2)
	v_mul_f64 v[26:27], v[59:60], v[42:43]
	v_mul_f64 v[40:41], v[57:58], v[42:43]
	s_waitcnt lgkmcnt(6)
	v_mul_f64 v[48:49], v[63:64], v[42:43]
	v_mul_f64 v[89:90], v[61:62], v[42:43]
	s_waitcnt lgkmcnt(5)
	;; [unrolled: 3-line block ×7, first 2 shown]
	v_mul_f64 v[111:112], v[87:88], v[42:43]
	v_mul_f64 v[113:114], v[85:86], v[42:43]
	v_fma_f64 v[26:27], v[57:58], v[24:25], -v[26:27]
	v_fma_f64 v[40:41], v[59:60], v[24:25], v[40:41]
	v_fma_f64 v[48:49], v[61:62], v[24:25], -v[48:49]
	v_fma_f64 v[57:58], v[63:64], v[24:25], v[89:90]
	;; [unrolled: 2-line block ×8, first 2 shown]
	v_add_f64 v[36:37], v[36:37], -v[26:27]
	v_add_f64 v[38:39], v[38:39], -v[40:41]
	;; [unrolled: 1-line block ×16, first 2 shown]
	v_dual_mov_b32 v26, v42 :: v_dual_mov_b32 v27, v43
.LBB18_41:
	s_or_b32 exec_lo, exec_lo, s2
	v_lshl_add_u32 v40, v56, 4, v50
	s_barrier
	buffer_gl0_inv
	v_mov_b32_e32 v48, 2
	ds_store_2addr_b64 v40, v[36:37], v[38:39] offset1:1
	s_waitcnt lgkmcnt(0)
	s_barrier
	buffer_gl0_inv
	ds_load_2addr_b64 v[40:43], v50 offset0:4 offset1:5
	s_cmp_lt_i32 s5, 4
	s_cbranch_scc1 .LBB18_44
; %bb.42:
	v_add3_u32 v49, v55, 0, 48
	v_mov_b32_e32 v48, 2
	s_mov_b32 s6, 3
	s_set_inst_prefetch_distance 0x1
	.p2align	6
.LBB18_43:                              ; =>This Inner Loop Header: Depth=1
	ds_load_2addr_b64 v[57:60], v49 offset1:1
	s_waitcnt lgkmcnt(1)
	v_cmp_gt_f64_e32 vcc_lo, 0, v[40:41]
	v_xor_b32_e32 v61, 0x80000000, v41
	v_cmp_gt_f64_e64 s2, 0, v[42:43]
	v_xor_b32_e32 v63, 0x80000000, v43
	v_add_nc_u32_e32 v49, 16, v49
	s_waitcnt lgkmcnt(0)
	v_cmp_gt_f64_e64 s3, 0, v[57:58]
	v_mov_b32_e32 v65, v57
	v_dual_mov_b32 v67, v59 :: v_dual_cndmask_b32 v62, v41, v61
	v_xor_b32_e32 v61, 0x80000000, v58
	v_cndmask_b32_e64 v64, v43, v63, s2
	v_xor_b32_e32 v63, 0x80000000, v60
	s_delay_alu instid0(VALU_DEP_3) | instskip(SKIP_2) | instid1(VALU_DEP_2)
	v_cndmask_b32_e64 v66, v58, v61, s3
	v_cmp_gt_f64_e64 s3, 0, v[59:60]
	v_cndmask_b32_e32 v61, v40, v40, vcc_lo
	v_cndmask_b32_e64 v68, v60, v63, s3
	v_cndmask_b32_e64 v63, v42, v42, s2
	s_delay_alu instid0(VALU_DEP_2) | instskip(NEXT) | instid1(VALU_DEP_2)
	v_add_f64 v[65:66], v[65:66], v[67:68]
	v_add_f64 v[61:62], v[61:62], v[63:64]
	s_delay_alu instid0(VALU_DEP_1) | instskip(SKIP_4) | instid1(SALU_CYCLE_1)
	v_cmp_lt_f64_e32 vcc_lo, v[61:62], v[65:66]
	v_dual_cndmask_b32 v42, v42, v59 :: v_dual_cndmask_b32 v41, v41, v58
	v_dual_cndmask_b32 v40, v40, v57 :: v_dual_cndmask_b32 v43, v43, v60
	v_cndmask_b32_e64 v48, v48, s6, vcc_lo
	s_add_i32 s6, s6, 1
	s_cmp_lg_u32 s5, s6
	s_cbranch_scc1 .LBB18_43
.LBB18_44:
	s_set_inst_prefetch_distance 0x2
	s_waitcnt lgkmcnt(0)
	v_cmp_eq_f64_e32 vcc_lo, 0, v[40:41]
	v_cmp_eq_f64_e64 s2, 0, v[42:43]
	s_delay_alu instid0(VALU_DEP_1) | instskip(NEXT) | instid1(SALU_CYCLE_1)
	s_and_b32 s2, vcc_lo, s2
	s_and_saveexec_b32 s3, s2
	s_delay_alu instid0(SALU_CYCLE_1)
	s_xor_b32 s2, exec_lo, s3
; %bb.45:
	v_cmp_ne_u32_e32 vcc_lo, 0, v54
	v_cndmask_b32_e32 v54, 3, v54, vcc_lo
; %bb.46:
	s_and_not1_saveexec_b32 s3, s2
	s_cbranch_execz .LBB18_52
; %bb.47:
	v_cmp_gt_f64_e32 vcc_lo, 0, v[40:41]
	v_cmp_gt_f64_e64 s2, 0, v[42:43]
	v_xor_b32_e32 v49, 0x80000000, v41
	v_xor_b32_e32 v57, 0x80000000, v43
	s_delay_alu instid0(VALU_DEP_2) | instskip(NEXT) | instid1(VALU_DEP_2)
	v_cndmask_b32_e32 v58, v41, v49, vcc_lo
	v_cndmask_b32_e64 v60, v43, v57, s2
	v_cndmask_b32_e32 v57, v40, v40, vcc_lo
	v_cndmask_b32_e64 v59, v42, v42, s2
	s_mov_b32 s2, exec_lo
	s_delay_alu instid0(VALU_DEP_1)
	v_cmpx_ngt_f64_e32 v[57:58], v[59:60]
	s_xor_b32 s2, exec_lo, s2
	s_cbranch_execz .LBB18_49
; %bb.48:
	v_div_scale_f64 v[57:58], null, v[42:43], v[42:43], v[40:41]
	v_div_scale_f64 v[63:64], vcc_lo, v[40:41], v[42:43], v[40:41]
	s_delay_alu instid0(VALU_DEP_2) | instskip(SKIP_2) | instid1(VALU_DEP_1)
	v_rcp_f64_e32 v[59:60], v[57:58]
	s_waitcnt_depctr 0xfff
	v_fma_f64 v[61:62], -v[57:58], v[59:60], 1.0
	v_fma_f64 v[59:60], v[59:60], v[61:62], v[59:60]
	s_delay_alu instid0(VALU_DEP_1) | instskip(NEXT) | instid1(VALU_DEP_1)
	v_fma_f64 v[61:62], -v[57:58], v[59:60], 1.0
	v_fma_f64 v[59:60], v[59:60], v[61:62], v[59:60]
	s_delay_alu instid0(VALU_DEP_1) | instskip(NEXT) | instid1(VALU_DEP_1)
	v_mul_f64 v[61:62], v[63:64], v[59:60]
	v_fma_f64 v[57:58], -v[57:58], v[61:62], v[63:64]
	s_delay_alu instid0(VALU_DEP_1) | instskip(NEXT) | instid1(VALU_DEP_1)
	v_div_fmas_f64 v[57:58], v[57:58], v[59:60], v[61:62]
	v_div_fixup_f64 v[57:58], v[57:58], v[42:43], v[40:41]
	s_delay_alu instid0(VALU_DEP_1) | instskip(NEXT) | instid1(VALU_DEP_1)
	v_fma_f64 v[40:41], v[40:41], v[57:58], v[42:43]
	v_div_scale_f64 v[42:43], null, v[40:41], v[40:41], 1.0
	s_delay_alu instid0(VALU_DEP_1) | instskip(SKIP_2) | instid1(VALU_DEP_1)
	v_rcp_f64_e32 v[59:60], v[42:43]
	s_waitcnt_depctr 0xfff
	v_fma_f64 v[61:62], -v[42:43], v[59:60], 1.0
	v_fma_f64 v[59:60], v[59:60], v[61:62], v[59:60]
	s_delay_alu instid0(VALU_DEP_1) | instskip(NEXT) | instid1(VALU_DEP_1)
	v_fma_f64 v[61:62], -v[42:43], v[59:60], 1.0
	v_fma_f64 v[59:60], v[59:60], v[61:62], v[59:60]
	v_div_scale_f64 v[61:62], vcc_lo, 1.0, v[40:41], 1.0
	s_delay_alu instid0(VALU_DEP_1) | instskip(NEXT) | instid1(VALU_DEP_1)
	v_mul_f64 v[63:64], v[61:62], v[59:60]
	v_fma_f64 v[42:43], -v[42:43], v[63:64], v[61:62]
	s_delay_alu instid0(VALU_DEP_1) | instskip(NEXT) | instid1(VALU_DEP_1)
	v_div_fmas_f64 v[42:43], v[42:43], v[59:60], v[63:64]
	v_div_fixup_f64 v[42:43], v[42:43], v[40:41], 1.0
	s_delay_alu instid0(VALU_DEP_1)
	v_mul_f64 v[40:41], v[57:58], v[42:43]
	v_xor_b32_e32 v43, 0x80000000, v43
.LBB18_49:
	s_and_not1_saveexec_b32 s2, s2
	s_cbranch_execz .LBB18_51
; %bb.50:
	s_delay_alu instid0(VALU_DEP_1) | instskip(SKIP_1) | instid1(VALU_DEP_2)
	v_div_scale_f64 v[57:58], null, v[40:41], v[40:41], v[42:43]
	v_div_scale_f64 v[63:64], vcc_lo, v[42:43], v[40:41], v[42:43]
	v_rcp_f64_e32 v[59:60], v[57:58]
	s_waitcnt_depctr 0xfff
	v_fma_f64 v[61:62], -v[57:58], v[59:60], 1.0
	s_delay_alu instid0(VALU_DEP_1) | instskip(NEXT) | instid1(VALU_DEP_1)
	v_fma_f64 v[59:60], v[59:60], v[61:62], v[59:60]
	v_fma_f64 v[61:62], -v[57:58], v[59:60], 1.0
	s_delay_alu instid0(VALU_DEP_1) | instskip(NEXT) | instid1(VALU_DEP_1)
	v_fma_f64 v[59:60], v[59:60], v[61:62], v[59:60]
	v_mul_f64 v[61:62], v[63:64], v[59:60]
	s_delay_alu instid0(VALU_DEP_1) | instskip(NEXT) | instid1(VALU_DEP_1)
	v_fma_f64 v[57:58], -v[57:58], v[61:62], v[63:64]
	v_div_fmas_f64 v[57:58], v[57:58], v[59:60], v[61:62]
	s_delay_alu instid0(VALU_DEP_1) | instskip(NEXT) | instid1(VALU_DEP_1)
	v_div_fixup_f64 v[57:58], v[57:58], v[40:41], v[42:43]
	v_fma_f64 v[40:41], v[42:43], v[57:58], v[40:41]
	s_delay_alu instid0(VALU_DEP_1) | instskip(NEXT) | instid1(VALU_DEP_1)
	v_div_scale_f64 v[42:43], null, v[40:41], v[40:41], 1.0
	v_rcp_f64_e32 v[59:60], v[42:43]
	s_waitcnt_depctr 0xfff
	v_fma_f64 v[61:62], -v[42:43], v[59:60], 1.0
	s_delay_alu instid0(VALU_DEP_1) | instskip(NEXT) | instid1(VALU_DEP_1)
	v_fma_f64 v[59:60], v[59:60], v[61:62], v[59:60]
	v_fma_f64 v[61:62], -v[42:43], v[59:60], 1.0
	s_delay_alu instid0(VALU_DEP_1) | instskip(SKIP_1) | instid1(VALU_DEP_1)
	v_fma_f64 v[59:60], v[59:60], v[61:62], v[59:60]
	v_div_scale_f64 v[61:62], vcc_lo, 1.0, v[40:41], 1.0
	v_mul_f64 v[63:64], v[61:62], v[59:60]
	s_delay_alu instid0(VALU_DEP_1) | instskip(NEXT) | instid1(VALU_DEP_1)
	v_fma_f64 v[42:43], -v[42:43], v[63:64], v[61:62]
	v_div_fmas_f64 v[42:43], v[42:43], v[59:60], v[63:64]
	s_delay_alu instid0(VALU_DEP_1) | instskip(NEXT) | instid1(VALU_DEP_1)
	v_div_fixup_f64 v[40:41], v[42:43], v[40:41], 1.0
	v_mul_f64 v[42:43], v[57:58], -v[40:41]
.LBB18_51:
	s_or_b32 exec_lo, exec_lo, s2
.LBB18_52:
	s_delay_alu instid0(SALU_CYCLE_1) | instskip(NEXT) | instid1(SALU_CYCLE_1)
	s_or_b32 exec_lo, exec_lo, s3
	s_mov_b32 s2, exec_lo
	v_cmpx_ne_u32_e64 v56, v48
	s_xor_b32 s2, exec_lo, s2
	s_cbranch_execz .LBB18_58
; %bb.53:
	s_mov_b32 s3, exec_lo
	v_cmpx_eq_u32_e32 2, v56
	s_cbranch_execz .LBB18_57
; %bb.54:
	v_cmp_ne_u32_e32 vcc_lo, 2, v48
	s_xor_b32 s6, s4, -1
	s_delay_alu instid0(SALU_CYCLE_1) | instskip(NEXT) | instid1(SALU_CYCLE_1)
	s_and_b32 s7, s6, vcc_lo
	s_and_saveexec_b32 s6, s7
	s_cbranch_execz .LBB18_56
; %bb.55:
	v_ashrrev_i32_e32 v49, 31, v48
	s_delay_alu instid0(VALU_DEP_1) | instskip(NEXT) | instid1(VALU_DEP_1)
	v_lshlrev_b64 v[56:57], 2, v[48:49]
	v_add_co_u32 v56, vcc_lo, v46, v56
	s_delay_alu instid0(VALU_DEP_2)
	v_add_co_ci_u32_e32 v57, vcc_lo, v47, v57, vcc_lo
	s_clause 0x1
	flat_load_b32 v49, v[56:57]
	flat_load_b32 v53, v[46:47] offset:8
	s_waitcnt vmcnt(1) lgkmcnt(1)
	flat_store_b32 v[46:47], v49 offset:8
	s_waitcnt vmcnt(0) lgkmcnt(1)
	flat_store_b32 v[56:57], v53
.LBB18_56:
	s_or_b32 exec_lo, exec_lo, s6
	v_mov_b32_e32 v56, v48
	v_mov_b32_e32 v53, v48
.LBB18_57:
	s_or_b32 exec_lo, exec_lo, s3
.LBB18_58:
	s_and_not1_saveexec_b32 s2, s2
	s_cbranch_execz .LBB18_60
; %bb.59:
	v_mov_b32_e32 v56, 2
	ds_store_2addr_b64 v50, v[20:21], v[22:23] offset0:6 offset1:7
	ds_store_2addr_b64 v50, v[32:33], v[34:35] offset0:8 offset1:9
	;; [unrolled: 1-line block ×7, first 2 shown]
.LBB18_60:
	s_or_b32 exec_lo, exec_lo, s2
	s_delay_alu instid0(SALU_CYCLE_1)
	s_mov_b32 s2, exec_lo
	s_waitcnt lgkmcnt(0)
	s_waitcnt_vscnt null, 0x0
	s_barrier
	buffer_gl0_inv
	v_cmpx_lt_i32_e32 2, v56
	s_cbranch_execz .LBB18_62
; %bb.61:
	v_mul_f64 v[48:49], v[40:41], v[38:39]
	v_mul_f64 v[38:39], v[42:43], v[38:39]
	ds_load_2addr_b64 v[57:60], v50 offset0:6 offset1:7
	ds_load_2addr_b64 v[61:64], v50 offset0:8 offset1:9
	ds_load_2addr_b64 v[65:68], v50 offset0:10 offset1:11
	ds_load_2addr_b64 v[69:72], v50 offset0:12 offset1:13
	ds_load_2addr_b64 v[73:76], v50 offset0:14 offset1:15
	ds_load_2addr_b64 v[77:80], v50 offset0:16 offset1:17
	ds_load_2addr_b64 v[81:84], v50 offset0:18 offset1:19
	v_fma_f64 v[42:43], v[42:43], v[36:37], v[48:49]
	v_fma_f64 v[36:37], v[40:41], v[36:37], -v[38:39]
	s_waitcnt lgkmcnt(6)
	s_delay_alu instid0(VALU_DEP_2)
	v_mul_f64 v[38:39], v[59:60], v[42:43]
	v_mul_f64 v[40:41], v[57:58], v[42:43]
	s_waitcnt lgkmcnt(5)
	v_mul_f64 v[48:49], v[63:64], v[42:43]
	v_mul_f64 v[85:86], v[61:62], v[42:43]
	s_waitcnt lgkmcnt(4)
	;; [unrolled: 3-line block ×6, first 2 shown]
	v_mul_f64 v[103:104], v[83:84], v[42:43]
	v_mul_f64 v[105:106], v[81:82], v[42:43]
	v_fma_f64 v[38:39], v[57:58], v[36:37], -v[38:39]
	v_fma_f64 v[40:41], v[59:60], v[36:37], v[40:41]
	v_fma_f64 v[48:49], v[61:62], v[36:37], -v[48:49]
	v_fma_f64 v[57:58], v[63:64], v[36:37], v[85:86]
	;; [unrolled: 2-line block ×7, first 2 shown]
	v_add_f64 v[20:21], v[20:21], -v[38:39]
	v_add_f64 v[22:23], v[22:23], -v[40:41]
	v_add_f64 v[32:33], v[32:33], -v[48:49]
	v_add_f64 v[34:35], v[34:35], -v[57:58]
	v_add_f64 v[16:17], v[16:17], -v[59:60]
	v_add_f64 v[18:19], v[18:19], -v[61:62]
	v_add_f64 v[12:13], v[12:13], -v[63:64]
	v_add_f64 v[14:15], v[14:15], -v[65:66]
	v_add_f64 v[8:9], v[8:9], -v[67:68]
	v_add_f64 v[10:11], v[10:11], -v[69:70]
	v_add_f64 v[4:5], v[4:5], -v[71:72]
	v_add_f64 v[6:7], v[6:7], -v[73:74]
	v_add_f64 v[0:1], v[0:1], -v[75:76]
	v_add_f64 v[2:3], v[2:3], -v[77:78]
	v_dual_mov_b32 v38, v42 :: v_dual_mov_b32 v39, v43
.LBB18_62:
	s_or_b32 exec_lo, exec_lo, s2
	v_lshl_add_u32 v40, v56, 4, v50
	s_barrier
	buffer_gl0_inv
	v_mov_b32_e32 v48, 3
	ds_store_2addr_b64 v40, v[20:21], v[22:23] offset1:1
	s_waitcnt lgkmcnt(0)
	s_barrier
	buffer_gl0_inv
	ds_load_2addr_b64 v[40:43], v50 offset0:6 offset1:7
	s_cmp_lt_i32 s5, 5
	s_mov_b32 s6, 4
	s_cbranch_scc1 .LBB18_65
; %bb.63:
	v_add3_u32 v49, v55, 0, 64
	v_mov_b32_e32 v48, 3
	s_set_inst_prefetch_distance 0x1
	.p2align	6
.LBB18_64:                              ; =>This Inner Loop Header: Depth=1
	ds_load_2addr_b64 v[57:60], v49 offset1:1
	s_waitcnt lgkmcnt(1)
	v_cmp_gt_f64_e32 vcc_lo, 0, v[40:41]
	v_xor_b32_e32 v61, 0x80000000, v41
	v_cmp_gt_f64_e64 s2, 0, v[42:43]
	v_xor_b32_e32 v63, 0x80000000, v43
	v_add_nc_u32_e32 v49, 16, v49
	s_waitcnt lgkmcnt(0)
	v_cmp_gt_f64_e64 s3, 0, v[57:58]
	v_mov_b32_e32 v65, v57
	v_dual_mov_b32 v67, v59 :: v_dual_cndmask_b32 v62, v41, v61
	v_xor_b32_e32 v61, 0x80000000, v58
	v_cndmask_b32_e64 v64, v43, v63, s2
	v_xor_b32_e32 v63, 0x80000000, v60
	s_delay_alu instid0(VALU_DEP_3) | instskip(SKIP_2) | instid1(VALU_DEP_2)
	v_cndmask_b32_e64 v66, v58, v61, s3
	v_cmp_gt_f64_e64 s3, 0, v[59:60]
	v_cndmask_b32_e32 v61, v40, v40, vcc_lo
	v_cndmask_b32_e64 v68, v60, v63, s3
	v_cndmask_b32_e64 v63, v42, v42, s2
	s_delay_alu instid0(VALU_DEP_2) | instskip(NEXT) | instid1(VALU_DEP_2)
	v_add_f64 v[65:66], v[65:66], v[67:68]
	v_add_f64 v[61:62], v[61:62], v[63:64]
	s_delay_alu instid0(VALU_DEP_1) | instskip(SKIP_4) | instid1(SALU_CYCLE_1)
	v_cmp_lt_f64_e32 vcc_lo, v[61:62], v[65:66]
	v_dual_cndmask_b32 v42, v42, v59 :: v_dual_cndmask_b32 v41, v41, v58
	v_dual_cndmask_b32 v40, v40, v57 :: v_dual_cndmask_b32 v43, v43, v60
	v_cndmask_b32_e64 v48, v48, s6, vcc_lo
	s_add_i32 s6, s6, 1
	s_cmp_lg_u32 s5, s6
	s_cbranch_scc1 .LBB18_64
.LBB18_65:
	s_set_inst_prefetch_distance 0x2
	s_waitcnt lgkmcnt(0)
	v_cmp_eq_f64_e32 vcc_lo, 0, v[40:41]
	v_cmp_eq_f64_e64 s2, 0, v[42:43]
	s_delay_alu instid0(VALU_DEP_1) | instskip(NEXT) | instid1(SALU_CYCLE_1)
	s_and_b32 s2, vcc_lo, s2
	s_and_saveexec_b32 s3, s2
	s_delay_alu instid0(SALU_CYCLE_1)
	s_xor_b32 s2, exec_lo, s3
; %bb.66:
	v_cmp_ne_u32_e32 vcc_lo, 0, v54
	v_cndmask_b32_e32 v54, 4, v54, vcc_lo
; %bb.67:
	s_and_not1_saveexec_b32 s3, s2
	s_cbranch_execz .LBB18_73
; %bb.68:
	v_cmp_gt_f64_e32 vcc_lo, 0, v[40:41]
	v_cmp_gt_f64_e64 s2, 0, v[42:43]
	v_xor_b32_e32 v49, 0x80000000, v41
	v_xor_b32_e32 v57, 0x80000000, v43
	s_delay_alu instid0(VALU_DEP_2) | instskip(NEXT) | instid1(VALU_DEP_2)
	v_cndmask_b32_e32 v58, v41, v49, vcc_lo
	v_cndmask_b32_e64 v60, v43, v57, s2
	v_cndmask_b32_e32 v57, v40, v40, vcc_lo
	v_cndmask_b32_e64 v59, v42, v42, s2
	s_mov_b32 s2, exec_lo
	s_delay_alu instid0(VALU_DEP_1)
	v_cmpx_ngt_f64_e32 v[57:58], v[59:60]
	s_xor_b32 s2, exec_lo, s2
	s_cbranch_execz .LBB18_70
; %bb.69:
	v_div_scale_f64 v[57:58], null, v[42:43], v[42:43], v[40:41]
	v_div_scale_f64 v[63:64], vcc_lo, v[40:41], v[42:43], v[40:41]
	s_delay_alu instid0(VALU_DEP_2) | instskip(SKIP_2) | instid1(VALU_DEP_1)
	v_rcp_f64_e32 v[59:60], v[57:58]
	s_waitcnt_depctr 0xfff
	v_fma_f64 v[61:62], -v[57:58], v[59:60], 1.0
	v_fma_f64 v[59:60], v[59:60], v[61:62], v[59:60]
	s_delay_alu instid0(VALU_DEP_1) | instskip(NEXT) | instid1(VALU_DEP_1)
	v_fma_f64 v[61:62], -v[57:58], v[59:60], 1.0
	v_fma_f64 v[59:60], v[59:60], v[61:62], v[59:60]
	s_delay_alu instid0(VALU_DEP_1) | instskip(NEXT) | instid1(VALU_DEP_1)
	v_mul_f64 v[61:62], v[63:64], v[59:60]
	v_fma_f64 v[57:58], -v[57:58], v[61:62], v[63:64]
	s_delay_alu instid0(VALU_DEP_1) | instskip(NEXT) | instid1(VALU_DEP_1)
	v_div_fmas_f64 v[57:58], v[57:58], v[59:60], v[61:62]
	v_div_fixup_f64 v[57:58], v[57:58], v[42:43], v[40:41]
	s_delay_alu instid0(VALU_DEP_1) | instskip(NEXT) | instid1(VALU_DEP_1)
	v_fma_f64 v[40:41], v[40:41], v[57:58], v[42:43]
	v_div_scale_f64 v[42:43], null, v[40:41], v[40:41], 1.0
	s_delay_alu instid0(VALU_DEP_1) | instskip(SKIP_2) | instid1(VALU_DEP_1)
	v_rcp_f64_e32 v[59:60], v[42:43]
	s_waitcnt_depctr 0xfff
	v_fma_f64 v[61:62], -v[42:43], v[59:60], 1.0
	v_fma_f64 v[59:60], v[59:60], v[61:62], v[59:60]
	s_delay_alu instid0(VALU_DEP_1) | instskip(NEXT) | instid1(VALU_DEP_1)
	v_fma_f64 v[61:62], -v[42:43], v[59:60], 1.0
	v_fma_f64 v[59:60], v[59:60], v[61:62], v[59:60]
	v_div_scale_f64 v[61:62], vcc_lo, 1.0, v[40:41], 1.0
	s_delay_alu instid0(VALU_DEP_1) | instskip(NEXT) | instid1(VALU_DEP_1)
	v_mul_f64 v[63:64], v[61:62], v[59:60]
	v_fma_f64 v[42:43], -v[42:43], v[63:64], v[61:62]
	s_delay_alu instid0(VALU_DEP_1) | instskip(NEXT) | instid1(VALU_DEP_1)
	v_div_fmas_f64 v[42:43], v[42:43], v[59:60], v[63:64]
	v_div_fixup_f64 v[42:43], v[42:43], v[40:41], 1.0
	s_delay_alu instid0(VALU_DEP_1)
	v_mul_f64 v[40:41], v[57:58], v[42:43]
	v_xor_b32_e32 v43, 0x80000000, v43
.LBB18_70:
	s_and_not1_saveexec_b32 s2, s2
	s_cbranch_execz .LBB18_72
; %bb.71:
	s_delay_alu instid0(VALU_DEP_1) | instskip(SKIP_1) | instid1(VALU_DEP_2)
	v_div_scale_f64 v[57:58], null, v[40:41], v[40:41], v[42:43]
	v_div_scale_f64 v[63:64], vcc_lo, v[42:43], v[40:41], v[42:43]
	v_rcp_f64_e32 v[59:60], v[57:58]
	s_waitcnt_depctr 0xfff
	v_fma_f64 v[61:62], -v[57:58], v[59:60], 1.0
	s_delay_alu instid0(VALU_DEP_1) | instskip(NEXT) | instid1(VALU_DEP_1)
	v_fma_f64 v[59:60], v[59:60], v[61:62], v[59:60]
	v_fma_f64 v[61:62], -v[57:58], v[59:60], 1.0
	s_delay_alu instid0(VALU_DEP_1) | instskip(NEXT) | instid1(VALU_DEP_1)
	v_fma_f64 v[59:60], v[59:60], v[61:62], v[59:60]
	v_mul_f64 v[61:62], v[63:64], v[59:60]
	s_delay_alu instid0(VALU_DEP_1) | instskip(NEXT) | instid1(VALU_DEP_1)
	v_fma_f64 v[57:58], -v[57:58], v[61:62], v[63:64]
	v_div_fmas_f64 v[57:58], v[57:58], v[59:60], v[61:62]
	s_delay_alu instid0(VALU_DEP_1) | instskip(NEXT) | instid1(VALU_DEP_1)
	v_div_fixup_f64 v[57:58], v[57:58], v[40:41], v[42:43]
	v_fma_f64 v[40:41], v[42:43], v[57:58], v[40:41]
	s_delay_alu instid0(VALU_DEP_1) | instskip(NEXT) | instid1(VALU_DEP_1)
	v_div_scale_f64 v[42:43], null, v[40:41], v[40:41], 1.0
	v_rcp_f64_e32 v[59:60], v[42:43]
	s_waitcnt_depctr 0xfff
	v_fma_f64 v[61:62], -v[42:43], v[59:60], 1.0
	s_delay_alu instid0(VALU_DEP_1) | instskip(NEXT) | instid1(VALU_DEP_1)
	v_fma_f64 v[59:60], v[59:60], v[61:62], v[59:60]
	v_fma_f64 v[61:62], -v[42:43], v[59:60], 1.0
	s_delay_alu instid0(VALU_DEP_1) | instskip(SKIP_1) | instid1(VALU_DEP_1)
	v_fma_f64 v[59:60], v[59:60], v[61:62], v[59:60]
	v_div_scale_f64 v[61:62], vcc_lo, 1.0, v[40:41], 1.0
	v_mul_f64 v[63:64], v[61:62], v[59:60]
	s_delay_alu instid0(VALU_DEP_1) | instskip(NEXT) | instid1(VALU_DEP_1)
	v_fma_f64 v[42:43], -v[42:43], v[63:64], v[61:62]
	v_div_fmas_f64 v[42:43], v[42:43], v[59:60], v[63:64]
	s_delay_alu instid0(VALU_DEP_1) | instskip(NEXT) | instid1(VALU_DEP_1)
	v_div_fixup_f64 v[40:41], v[42:43], v[40:41], 1.0
	v_mul_f64 v[42:43], v[57:58], -v[40:41]
.LBB18_72:
	s_or_b32 exec_lo, exec_lo, s2
.LBB18_73:
	s_delay_alu instid0(SALU_CYCLE_1) | instskip(NEXT) | instid1(SALU_CYCLE_1)
	s_or_b32 exec_lo, exec_lo, s3
	s_mov_b32 s2, exec_lo
	v_cmpx_ne_u32_e64 v56, v48
	s_xor_b32 s2, exec_lo, s2
	s_cbranch_execz .LBB18_79
; %bb.74:
	s_mov_b32 s3, exec_lo
	v_cmpx_eq_u32_e32 3, v56
	s_cbranch_execz .LBB18_78
; %bb.75:
	v_cmp_ne_u32_e32 vcc_lo, 3, v48
	s_xor_b32 s6, s4, -1
	s_delay_alu instid0(SALU_CYCLE_1) | instskip(NEXT) | instid1(SALU_CYCLE_1)
	s_and_b32 s7, s6, vcc_lo
	s_and_saveexec_b32 s6, s7
	s_cbranch_execz .LBB18_77
; %bb.76:
	v_ashrrev_i32_e32 v49, 31, v48
	s_delay_alu instid0(VALU_DEP_1) | instskip(NEXT) | instid1(VALU_DEP_1)
	v_lshlrev_b64 v[56:57], 2, v[48:49]
	v_add_co_u32 v56, vcc_lo, v46, v56
	s_delay_alu instid0(VALU_DEP_2)
	v_add_co_ci_u32_e32 v57, vcc_lo, v47, v57, vcc_lo
	s_clause 0x1
	flat_load_b32 v49, v[56:57]
	flat_load_b32 v53, v[46:47] offset:12
	s_waitcnt vmcnt(1) lgkmcnt(1)
	flat_store_b32 v[46:47], v49 offset:12
	s_waitcnt vmcnt(0) lgkmcnt(1)
	flat_store_b32 v[56:57], v53
.LBB18_77:
	s_or_b32 exec_lo, exec_lo, s6
	v_mov_b32_e32 v56, v48
	v_mov_b32_e32 v53, v48
.LBB18_78:
	s_or_b32 exec_lo, exec_lo, s3
.LBB18_79:
	s_and_not1_saveexec_b32 s2, s2
	s_cbranch_execz .LBB18_81
; %bb.80:
	v_mov_b32_e32 v56, 3
	ds_store_2addr_b64 v50, v[32:33], v[34:35] offset0:8 offset1:9
	ds_store_2addr_b64 v50, v[16:17], v[18:19] offset0:10 offset1:11
	;; [unrolled: 1-line block ×6, first 2 shown]
.LBB18_81:
	s_or_b32 exec_lo, exec_lo, s2
	s_delay_alu instid0(SALU_CYCLE_1)
	s_mov_b32 s2, exec_lo
	s_waitcnt lgkmcnt(0)
	s_waitcnt_vscnt null, 0x0
	s_barrier
	buffer_gl0_inv
	v_cmpx_lt_i32_e32 3, v56
	s_cbranch_execz .LBB18_83
; %bb.82:
	v_mul_f64 v[48:49], v[40:41], v[22:23]
	v_mul_f64 v[22:23], v[42:43], v[22:23]
	ds_load_2addr_b64 v[57:60], v50 offset0:8 offset1:9
	ds_load_2addr_b64 v[61:64], v50 offset0:10 offset1:11
	;; [unrolled: 1-line block ×6, first 2 shown]
	v_fma_f64 v[42:43], v[42:43], v[20:21], v[48:49]
	v_fma_f64 v[20:21], v[40:41], v[20:21], -v[22:23]
	s_waitcnt lgkmcnt(5)
	s_delay_alu instid0(VALU_DEP_2)
	v_mul_f64 v[22:23], v[59:60], v[42:43]
	v_mul_f64 v[40:41], v[57:58], v[42:43]
	s_waitcnt lgkmcnt(4)
	v_mul_f64 v[48:49], v[63:64], v[42:43]
	v_mul_f64 v[81:82], v[61:62], v[42:43]
	s_waitcnt lgkmcnt(3)
	;; [unrolled: 3-line block ×5, first 2 shown]
	v_mul_f64 v[95:96], v[79:80], v[42:43]
	v_mul_f64 v[97:98], v[77:78], v[42:43]
	v_fma_f64 v[22:23], v[57:58], v[20:21], -v[22:23]
	v_fma_f64 v[40:41], v[59:60], v[20:21], v[40:41]
	v_fma_f64 v[48:49], v[61:62], v[20:21], -v[48:49]
	v_fma_f64 v[57:58], v[63:64], v[20:21], v[81:82]
	;; [unrolled: 2-line block ×6, first 2 shown]
	v_add_f64 v[32:33], v[32:33], -v[22:23]
	v_add_f64 v[34:35], v[34:35], -v[40:41]
	;; [unrolled: 1-line block ×12, first 2 shown]
	v_dual_mov_b32 v22, v42 :: v_dual_mov_b32 v23, v43
.LBB18_83:
	s_or_b32 exec_lo, exec_lo, s2
	v_lshl_add_u32 v40, v56, 4, v50
	s_barrier
	buffer_gl0_inv
	v_mov_b32_e32 v48, 4
	ds_store_2addr_b64 v40, v[32:33], v[34:35] offset1:1
	s_waitcnt lgkmcnt(0)
	s_barrier
	buffer_gl0_inv
	ds_load_2addr_b64 v[40:43], v50 offset0:8 offset1:9
	s_cmp_lt_i32 s5, 6
	s_cbranch_scc1 .LBB18_86
; %bb.84:
	v_add3_u32 v49, v55, 0, 0x50
	v_mov_b32_e32 v48, 4
	s_mov_b32 s6, 5
	s_set_inst_prefetch_distance 0x1
	.p2align	6
.LBB18_85:                              ; =>This Inner Loop Header: Depth=1
	ds_load_2addr_b64 v[57:60], v49 offset1:1
	s_waitcnt lgkmcnt(1)
	v_cmp_gt_f64_e32 vcc_lo, 0, v[40:41]
	v_xor_b32_e32 v61, 0x80000000, v41
	v_cmp_gt_f64_e64 s2, 0, v[42:43]
	v_xor_b32_e32 v63, 0x80000000, v43
	v_add_nc_u32_e32 v49, 16, v49
	s_waitcnt lgkmcnt(0)
	v_cmp_gt_f64_e64 s3, 0, v[57:58]
	v_mov_b32_e32 v65, v57
	v_dual_mov_b32 v67, v59 :: v_dual_cndmask_b32 v62, v41, v61
	v_xor_b32_e32 v61, 0x80000000, v58
	v_cndmask_b32_e64 v64, v43, v63, s2
	v_xor_b32_e32 v63, 0x80000000, v60
	s_delay_alu instid0(VALU_DEP_3) | instskip(SKIP_2) | instid1(VALU_DEP_2)
	v_cndmask_b32_e64 v66, v58, v61, s3
	v_cmp_gt_f64_e64 s3, 0, v[59:60]
	v_cndmask_b32_e32 v61, v40, v40, vcc_lo
	v_cndmask_b32_e64 v68, v60, v63, s3
	v_cndmask_b32_e64 v63, v42, v42, s2
	s_delay_alu instid0(VALU_DEP_2) | instskip(NEXT) | instid1(VALU_DEP_2)
	v_add_f64 v[65:66], v[65:66], v[67:68]
	v_add_f64 v[61:62], v[61:62], v[63:64]
	s_delay_alu instid0(VALU_DEP_1) | instskip(SKIP_4) | instid1(SALU_CYCLE_1)
	v_cmp_lt_f64_e32 vcc_lo, v[61:62], v[65:66]
	v_dual_cndmask_b32 v42, v42, v59 :: v_dual_cndmask_b32 v41, v41, v58
	v_dual_cndmask_b32 v40, v40, v57 :: v_dual_cndmask_b32 v43, v43, v60
	v_cndmask_b32_e64 v48, v48, s6, vcc_lo
	s_add_i32 s6, s6, 1
	s_cmp_lg_u32 s5, s6
	s_cbranch_scc1 .LBB18_85
.LBB18_86:
	s_set_inst_prefetch_distance 0x2
	s_waitcnt lgkmcnt(0)
	v_cmp_eq_f64_e32 vcc_lo, 0, v[40:41]
	v_cmp_eq_f64_e64 s2, 0, v[42:43]
	s_delay_alu instid0(VALU_DEP_1) | instskip(NEXT) | instid1(SALU_CYCLE_1)
	s_and_b32 s2, vcc_lo, s2
	s_and_saveexec_b32 s3, s2
	s_delay_alu instid0(SALU_CYCLE_1)
	s_xor_b32 s2, exec_lo, s3
; %bb.87:
	v_cmp_ne_u32_e32 vcc_lo, 0, v54
	v_cndmask_b32_e32 v54, 5, v54, vcc_lo
; %bb.88:
	s_and_not1_saveexec_b32 s3, s2
	s_cbranch_execz .LBB18_94
; %bb.89:
	v_cmp_gt_f64_e32 vcc_lo, 0, v[40:41]
	v_cmp_gt_f64_e64 s2, 0, v[42:43]
	v_xor_b32_e32 v49, 0x80000000, v41
	v_xor_b32_e32 v57, 0x80000000, v43
	s_delay_alu instid0(VALU_DEP_2) | instskip(NEXT) | instid1(VALU_DEP_2)
	v_cndmask_b32_e32 v58, v41, v49, vcc_lo
	v_cndmask_b32_e64 v60, v43, v57, s2
	v_cndmask_b32_e32 v57, v40, v40, vcc_lo
	v_cndmask_b32_e64 v59, v42, v42, s2
	s_mov_b32 s2, exec_lo
	s_delay_alu instid0(VALU_DEP_1)
	v_cmpx_ngt_f64_e32 v[57:58], v[59:60]
	s_xor_b32 s2, exec_lo, s2
	s_cbranch_execz .LBB18_91
; %bb.90:
	v_div_scale_f64 v[57:58], null, v[42:43], v[42:43], v[40:41]
	v_div_scale_f64 v[63:64], vcc_lo, v[40:41], v[42:43], v[40:41]
	s_delay_alu instid0(VALU_DEP_2) | instskip(SKIP_2) | instid1(VALU_DEP_1)
	v_rcp_f64_e32 v[59:60], v[57:58]
	s_waitcnt_depctr 0xfff
	v_fma_f64 v[61:62], -v[57:58], v[59:60], 1.0
	v_fma_f64 v[59:60], v[59:60], v[61:62], v[59:60]
	s_delay_alu instid0(VALU_DEP_1) | instskip(NEXT) | instid1(VALU_DEP_1)
	v_fma_f64 v[61:62], -v[57:58], v[59:60], 1.0
	v_fma_f64 v[59:60], v[59:60], v[61:62], v[59:60]
	s_delay_alu instid0(VALU_DEP_1) | instskip(NEXT) | instid1(VALU_DEP_1)
	v_mul_f64 v[61:62], v[63:64], v[59:60]
	v_fma_f64 v[57:58], -v[57:58], v[61:62], v[63:64]
	s_delay_alu instid0(VALU_DEP_1) | instskip(NEXT) | instid1(VALU_DEP_1)
	v_div_fmas_f64 v[57:58], v[57:58], v[59:60], v[61:62]
	v_div_fixup_f64 v[57:58], v[57:58], v[42:43], v[40:41]
	s_delay_alu instid0(VALU_DEP_1) | instskip(NEXT) | instid1(VALU_DEP_1)
	v_fma_f64 v[40:41], v[40:41], v[57:58], v[42:43]
	v_div_scale_f64 v[42:43], null, v[40:41], v[40:41], 1.0
	s_delay_alu instid0(VALU_DEP_1) | instskip(SKIP_2) | instid1(VALU_DEP_1)
	v_rcp_f64_e32 v[59:60], v[42:43]
	s_waitcnt_depctr 0xfff
	v_fma_f64 v[61:62], -v[42:43], v[59:60], 1.0
	v_fma_f64 v[59:60], v[59:60], v[61:62], v[59:60]
	s_delay_alu instid0(VALU_DEP_1) | instskip(NEXT) | instid1(VALU_DEP_1)
	v_fma_f64 v[61:62], -v[42:43], v[59:60], 1.0
	v_fma_f64 v[59:60], v[59:60], v[61:62], v[59:60]
	v_div_scale_f64 v[61:62], vcc_lo, 1.0, v[40:41], 1.0
	s_delay_alu instid0(VALU_DEP_1) | instskip(NEXT) | instid1(VALU_DEP_1)
	v_mul_f64 v[63:64], v[61:62], v[59:60]
	v_fma_f64 v[42:43], -v[42:43], v[63:64], v[61:62]
	s_delay_alu instid0(VALU_DEP_1) | instskip(NEXT) | instid1(VALU_DEP_1)
	v_div_fmas_f64 v[42:43], v[42:43], v[59:60], v[63:64]
	v_div_fixup_f64 v[42:43], v[42:43], v[40:41], 1.0
	s_delay_alu instid0(VALU_DEP_1)
	v_mul_f64 v[40:41], v[57:58], v[42:43]
	v_xor_b32_e32 v43, 0x80000000, v43
.LBB18_91:
	s_and_not1_saveexec_b32 s2, s2
	s_cbranch_execz .LBB18_93
; %bb.92:
	s_delay_alu instid0(VALU_DEP_1) | instskip(SKIP_1) | instid1(VALU_DEP_2)
	v_div_scale_f64 v[57:58], null, v[40:41], v[40:41], v[42:43]
	v_div_scale_f64 v[63:64], vcc_lo, v[42:43], v[40:41], v[42:43]
	v_rcp_f64_e32 v[59:60], v[57:58]
	s_waitcnt_depctr 0xfff
	v_fma_f64 v[61:62], -v[57:58], v[59:60], 1.0
	s_delay_alu instid0(VALU_DEP_1) | instskip(NEXT) | instid1(VALU_DEP_1)
	v_fma_f64 v[59:60], v[59:60], v[61:62], v[59:60]
	v_fma_f64 v[61:62], -v[57:58], v[59:60], 1.0
	s_delay_alu instid0(VALU_DEP_1) | instskip(NEXT) | instid1(VALU_DEP_1)
	v_fma_f64 v[59:60], v[59:60], v[61:62], v[59:60]
	v_mul_f64 v[61:62], v[63:64], v[59:60]
	s_delay_alu instid0(VALU_DEP_1) | instskip(NEXT) | instid1(VALU_DEP_1)
	v_fma_f64 v[57:58], -v[57:58], v[61:62], v[63:64]
	v_div_fmas_f64 v[57:58], v[57:58], v[59:60], v[61:62]
	s_delay_alu instid0(VALU_DEP_1) | instskip(NEXT) | instid1(VALU_DEP_1)
	v_div_fixup_f64 v[57:58], v[57:58], v[40:41], v[42:43]
	v_fma_f64 v[40:41], v[42:43], v[57:58], v[40:41]
	s_delay_alu instid0(VALU_DEP_1) | instskip(NEXT) | instid1(VALU_DEP_1)
	v_div_scale_f64 v[42:43], null, v[40:41], v[40:41], 1.0
	v_rcp_f64_e32 v[59:60], v[42:43]
	s_waitcnt_depctr 0xfff
	v_fma_f64 v[61:62], -v[42:43], v[59:60], 1.0
	s_delay_alu instid0(VALU_DEP_1) | instskip(NEXT) | instid1(VALU_DEP_1)
	v_fma_f64 v[59:60], v[59:60], v[61:62], v[59:60]
	v_fma_f64 v[61:62], -v[42:43], v[59:60], 1.0
	s_delay_alu instid0(VALU_DEP_1) | instskip(SKIP_1) | instid1(VALU_DEP_1)
	v_fma_f64 v[59:60], v[59:60], v[61:62], v[59:60]
	v_div_scale_f64 v[61:62], vcc_lo, 1.0, v[40:41], 1.0
	v_mul_f64 v[63:64], v[61:62], v[59:60]
	s_delay_alu instid0(VALU_DEP_1) | instskip(NEXT) | instid1(VALU_DEP_1)
	v_fma_f64 v[42:43], -v[42:43], v[63:64], v[61:62]
	v_div_fmas_f64 v[42:43], v[42:43], v[59:60], v[63:64]
	s_delay_alu instid0(VALU_DEP_1) | instskip(NEXT) | instid1(VALU_DEP_1)
	v_div_fixup_f64 v[40:41], v[42:43], v[40:41], 1.0
	v_mul_f64 v[42:43], v[57:58], -v[40:41]
.LBB18_93:
	s_or_b32 exec_lo, exec_lo, s2
.LBB18_94:
	s_delay_alu instid0(SALU_CYCLE_1) | instskip(NEXT) | instid1(SALU_CYCLE_1)
	s_or_b32 exec_lo, exec_lo, s3
	s_mov_b32 s2, exec_lo
	v_cmpx_ne_u32_e64 v56, v48
	s_xor_b32 s2, exec_lo, s2
	s_cbranch_execz .LBB18_100
; %bb.95:
	s_mov_b32 s3, exec_lo
	v_cmpx_eq_u32_e32 4, v56
	s_cbranch_execz .LBB18_99
; %bb.96:
	v_cmp_ne_u32_e32 vcc_lo, 4, v48
	s_xor_b32 s6, s4, -1
	s_delay_alu instid0(SALU_CYCLE_1) | instskip(NEXT) | instid1(SALU_CYCLE_1)
	s_and_b32 s7, s6, vcc_lo
	s_and_saveexec_b32 s6, s7
	s_cbranch_execz .LBB18_98
; %bb.97:
	v_ashrrev_i32_e32 v49, 31, v48
	s_delay_alu instid0(VALU_DEP_1) | instskip(NEXT) | instid1(VALU_DEP_1)
	v_lshlrev_b64 v[56:57], 2, v[48:49]
	v_add_co_u32 v56, vcc_lo, v46, v56
	s_delay_alu instid0(VALU_DEP_2)
	v_add_co_ci_u32_e32 v57, vcc_lo, v47, v57, vcc_lo
	s_clause 0x1
	flat_load_b32 v49, v[56:57]
	flat_load_b32 v53, v[46:47] offset:16
	s_waitcnt vmcnt(1) lgkmcnt(1)
	flat_store_b32 v[46:47], v49 offset:16
	s_waitcnt vmcnt(0) lgkmcnt(1)
	flat_store_b32 v[56:57], v53
.LBB18_98:
	s_or_b32 exec_lo, exec_lo, s6
	v_mov_b32_e32 v56, v48
	v_mov_b32_e32 v53, v48
.LBB18_99:
	s_or_b32 exec_lo, exec_lo, s3
.LBB18_100:
	s_and_not1_saveexec_b32 s2, s2
	s_cbranch_execz .LBB18_102
; %bb.101:
	v_mov_b32_e32 v56, 4
	ds_store_2addr_b64 v50, v[16:17], v[18:19] offset0:10 offset1:11
	ds_store_2addr_b64 v50, v[12:13], v[14:15] offset0:12 offset1:13
	;; [unrolled: 1-line block ×5, first 2 shown]
.LBB18_102:
	s_or_b32 exec_lo, exec_lo, s2
	s_delay_alu instid0(SALU_CYCLE_1)
	s_mov_b32 s2, exec_lo
	s_waitcnt lgkmcnt(0)
	s_waitcnt_vscnt null, 0x0
	s_barrier
	buffer_gl0_inv
	v_cmpx_lt_i32_e32 4, v56
	s_cbranch_execz .LBB18_104
; %bb.103:
	v_mul_f64 v[48:49], v[40:41], v[34:35]
	v_mul_f64 v[34:35], v[42:43], v[34:35]
	ds_load_2addr_b64 v[57:60], v50 offset0:10 offset1:11
	ds_load_2addr_b64 v[61:64], v50 offset0:12 offset1:13
	ds_load_2addr_b64 v[65:68], v50 offset0:14 offset1:15
	ds_load_2addr_b64 v[69:72], v50 offset0:16 offset1:17
	ds_load_2addr_b64 v[73:76], v50 offset0:18 offset1:19
	v_fma_f64 v[42:43], v[42:43], v[32:33], v[48:49]
	v_fma_f64 v[32:33], v[40:41], v[32:33], -v[34:35]
	s_waitcnt lgkmcnt(4)
	s_delay_alu instid0(VALU_DEP_2)
	v_mul_f64 v[34:35], v[59:60], v[42:43]
	v_mul_f64 v[40:41], v[57:58], v[42:43]
	s_waitcnt lgkmcnt(3)
	v_mul_f64 v[48:49], v[63:64], v[42:43]
	v_mul_f64 v[77:78], v[61:62], v[42:43]
	s_waitcnt lgkmcnt(2)
	;; [unrolled: 3-line block ×4, first 2 shown]
	v_mul_f64 v[87:88], v[75:76], v[42:43]
	v_mul_f64 v[89:90], v[73:74], v[42:43]
	v_fma_f64 v[34:35], v[57:58], v[32:33], -v[34:35]
	v_fma_f64 v[40:41], v[59:60], v[32:33], v[40:41]
	v_fma_f64 v[48:49], v[61:62], v[32:33], -v[48:49]
	v_fma_f64 v[57:58], v[63:64], v[32:33], v[77:78]
	;; [unrolled: 2-line block ×5, first 2 shown]
	v_add_f64 v[16:17], v[16:17], -v[34:35]
	v_add_f64 v[18:19], v[18:19], -v[40:41]
	;; [unrolled: 1-line block ×10, first 2 shown]
	v_dual_mov_b32 v34, v42 :: v_dual_mov_b32 v35, v43
.LBB18_104:
	s_or_b32 exec_lo, exec_lo, s2
	v_lshl_add_u32 v40, v56, 4, v50
	s_barrier
	buffer_gl0_inv
	v_mov_b32_e32 v48, 5
	ds_store_2addr_b64 v40, v[16:17], v[18:19] offset1:1
	s_waitcnt lgkmcnt(0)
	s_barrier
	buffer_gl0_inv
	ds_load_2addr_b64 v[40:43], v50 offset0:10 offset1:11
	s_cmp_lt_i32 s5, 7
	s_cbranch_scc1 .LBB18_107
; %bb.105:
	v_add3_u32 v49, v55, 0, 0x60
	v_mov_b32_e32 v48, 5
	s_mov_b32 s6, 6
	s_set_inst_prefetch_distance 0x1
	.p2align	6
.LBB18_106:                             ; =>This Inner Loop Header: Depth=1
	ds_load_2addr_b64 v[57:60], v49 offset1:1
	s_waitcnt lgkmcnt(1)
	v_cmp_gt_f64_e32 vcc_lo, 0, v[40:41]
	v_xor_b32_e32 v61, 0x80000000, v41
	v_cmp_gt_f64_e64 s2, 0, v[42:43]
	v_xor_b32_e32 v63, 0x80000000, v43
	v_add_nc_u32_e32 v49, 16, v49
	s_waitcnt lgkmcnt(0)
	v_cmp_gt_f64_e64 s3, 0, v[57:58]
	v_mov_b32_e32 v65, v57
	v_dual_mov_b32 v67, v59 :: v_dual_cndmask_b32 v62, v41, v61
	v_xor_b32_e32 v61, 0x80000000, v58
	v_cndmask_b32_e64 v64, v43, v63, s2
	v_xor_b32_e32 v63, 0x80000000, v60
	s_delay_alu instid0(VALU_DEP_3) | instskip(SKIP_2) | instid1(VALU_DEP_2)
	v_cndmask_b32_e64 v66, v58, v61, s3
	v_cmp_gt_f64_e64 s3, 0, v[59:60]
	v_cndmask_b32_e32 v61, v40, v40, vcc_lo
	v_cndmask_b32_e64 v68, v60, v63, s3
	v_cndmask_b32_e64 v63, v42, v42, s2
	s_delay_alu instid0(VALU_DEP_2) | instskip(NEXT) | instid1(VALU_DEP_2)
	v_add_f64 v[65:66], v[65:66], v[67:68]
	v_add_f64 v[61:62], v[61:62], v[63:64]
	s_delay_alu instid0(VALU_DEP_1) | instskip(SKIP_4) | instid1(SALU_CYCLE_1)
	v_cmp_lt_f64_e32 vcc_lo, v[61:62], v[65:66]
	v_dual_cndmask_b32 v42, v42, v59 :: v_dual_cndmask_b32 v41, v41, v58
	v_dual_cndmask_b32 v40, v40, v57 :: v_dual_cndmask_b32 v43, v43, v60
	v_cndmask_b32_e64 v48, v48, s6, vcc_lo
	s_add_i32 s6, s6, 1
	s_cmp_lg_u32 s5, s6
	s_cbranch_scc1 .LBB18_106
.LBB18_107:
	s_set_inst_prefetch_distance 0x2
	s_waitcnt lgkmcnt(0)
	v_cmp_eq_f64_e32 vcc_lo, 0, v[40:41]
	v_cmp_eq_f64_e64 s2, 0, v[42:43]
	s_delay_alu instid0(VALU_DEP_1) | instskip(NEXT) | instid1(SALU_CYCLE_1)
	s_and_b32 s2, vcc_lo, s2
	s_and_saveexec_b32 s3, s2
	s_delay_alu instid0(SALU_CYCLE_1)
	s_xor_b32 s2, exec_lo, s3
; %bb.108:
	v_cmp_ne_u32_e32 vcc_lo, 0, v54
	v_cndmask_b32_e32 v54, 6, v54, vcc_lo
; %bb.109:
	s_and_not1_saveexec_b32 s3, s2
	s_cbranch_execz .LBB18_115
; %bb.110:
	v_cmp_gt_f64_e32 vcc_lo, 0, v[40:41]
	v_cmp_gt_f64_e64 s2, 0, v[42:43]
	v_xor_b32_e32 v49, 0x80000000, v41
	v_xor_b32_e32 v57, 0x80000000, v43
	s_delay_alu instid0(VALU_DEP_2) | instskip(NEXT) | instid1(VALU_DEP_2)
	v_cndmask_b32_e32 v58, v41, v49, vcc_lo
	v_cndmask_b32_e64 v60, v43, v57, s2
	v_cndmask_b32_e32 v57, v40, v40, vcc_lo
	v_cndmask_b32_e64 v59, v42, v42, s2
	s_mov_b32 s2, exec_lo
	s_delay_alu instid0(VALU_DEP_1)
	v_cmpx_ngt_f64_e32 v[57:58], v[59:60]
	s_xor_b32 s2, exec_lo, s2
	s_cbranch_execz .LBB18_112
; %bb.111:
	v_div_scale_f64 v[57:58], null, v[42:43], v[42:43], v[40:41]
	v_div_scale_f64 v[63:64], vcc_lo, v[40:41], v[42:43], v[40:41]
	s_delay_alu instid0(VALU_DEP_2) | instskip(SKIP_2) | instid1(VALU_DEP_1)
	v_rcp_f64_e32 v[59:60], v[57:58]
	s_waitcnt_depctr 0xfff
	v_fma_f64 v[61:62], -v[57:58], v[59:60], 1.0
	v_fma_f64 v[59:60], v[59:60], v[61:62], v[59:60]
	s_delay_alu instid0(VALU_DEP_1) | instskip(NEXT) | instid1(VALU_DEP_1)
	v_fma_f64 v[61:62], -v[57:58], v[59:60], 1.0
	v_fma_f64 v[59:60], v[59:60], v[61:62], v[59:60]
	s_delay_alu instid0(VALU_DEP_1) | instskip(NEXT) | instid1(VALU_DEP_1)
	v_mul_f64 v[61:62], v[63:64], v[59:60]
	v_fma_f64 v[57:58], -v[57:58], v[61:62], v[63:64]
	s_delay_alu instid0(VALU_DEP_1) | instskip(NEXT) | instid1(VALU_DEP_1)
	v_div_fmas_f64 v[57:58], v[57:58], v[59:60], v[61:62]
	v_div_fixup_f64 v[57:58], v[57:58], v[42:43], v[40:41]
	s_delay_alu instid0(VALU_DEP_1) | instskip(NEXT) | instid1(VALU_DEP_1)
	v_fma_f64 v[40:41], v[40:41], v[57:58], v[42:43]
	v_div_scale_f64 v[42:43], null, v[40:41], v[40:41], 1.0
	s_delay_alu instid0(VALU_DEP_1) | instskip(SKIP_2) | instid1(VALU_DEP_1)
	v_rcp_f64_e32 v[59:60], v[42:43]
	s_waitcnt_depctr 0xfff
	v_fma_f64 v[61:62], -v[42:43], v[59:60], 1.0
	v_fma_f64 v[59:60], v[59:60], v[61:62], v[59:60]
	s_delay_alu instid0(VALU_DEP_1) | instskip(NEXT) | instid1(VALU_DEP_1)
	v_fma_f64 v[61:62], -v[42:43], v[59:60], 1.0
	v_fma_f64 v[59:60], v[59:60], v[61:62], v[59:60]
	v_div_scale_f64 v[61:62], vcc_lo, 1.0, v[40:41], 1.0
	s_delay_alu instid0(VALU_DEP_1) | instskip(NEXT) | instid1(VALU_DEP_1)
	v_mul_f64 v[63:64], v[61:62], v[59:60]
	v_fma_f64 v[42:43], -v[42:43], v[63:64], v[61:62]
	s_delay_alu instid0(VALU_DEP_1) | instskip(NEXT) | instid1(VALU_DEP_1)
	v_div_fmas_f64 v[42:43], v[42:43], v[59:60], v[63:64]
	v_div_fixup_f64 v[42:43], v[42:43], v[40:41], 1.0
	s_delay_alu instid0(VALU_DEP_1)
	v_mul_f64 v[40:41], v[57:58], v[42:43]
	v_xor_b32_e32 v43, 0x80000000, v43
.LBB18_112:
	s_and_not1_saveexec_b32 s2, s2
	s_cbranch_execz .LBB18_114
; %bb.113:
	s_delay_alu instid0(VALU_DEP_1) | instskip(SKIP_1) | instid1(VALU_DEP_2)
	v_div_scale_f64 v[57:58], null, v[40:41], v[40:41], v[42:43]
	v_div_scale_f64 v[63:64], vcc_lo, v[42:43], v[40:41], v[42:43]
	v_rcp_f64_e32 v[59:60], v[57:58]
	s_waitcnt_depctr 0xfff
	v_fma_f64 v[61:62], -v[57:58], v[59:60], 1.0
	s_delay_alu instid0(VALU_DEP_1) | instskip(NEXT) | instid1(VALU_DEP_1)
	v_fma_f64 v[59:60], v[59:60], v[61:62], v[59:60]
	v_fma_f64 v[61:62], -v[57:58], v[59:60], 1.0
	s_delay_alu instid0(VALU_DEP_1) | instskip(NEXT) | instid1(VALU_DEP_1)
	v_fma_f64 v[59:60], v[59:60], v[61:62], v[59:60]
	v_mul_f64 v[61:62], v[63:64], v[59:60]
	s_delay_alu instid0(VALU_DEP_1) | instskip(NEXT) | instid1(VALU_DEP_1)
	v_fma_f64 v[57:58], -v[57:58], v[61:62], v[63:64]
	v_div_fmas_f64 v[57:58], v[57:58], v[59:60], v[61:62]
	s_delay_alu instid0(VALU_DEP_1) | instskip(NEXT) | instid1(VALU_DEP_1)
	v_div_fixup_f64 v[57:58], v[57:58], v[40:41], v[42:43]
	v_fma_f64 v[40:41], v[42:43], v[57:58], v[40:41]
	s_delay_alu instid0(VALU_DEP_1) | instskip(NEXT) | instid1(VALU_DEP_1)
	v_div_scale_f64 v[42:43], null, v[40:41], v[40:41], 1.0
	v_rcp_f64_e32 v[59:60], v[42:43]
	s_waitcnt_depctr 0xfff
	v_fma_f64 v[61:62], -v[42:43], v[59:60], 1.0
	s_delay_alu instid0(VALU_DEP_1) | instskip(NEXT) | instid1(VALU_DEP_1)
	v_fma_f64 v[59:60], v[59:60], v[61:62], v[59:60]
	v_fma_f64 v[61:62], -v[42:43], v[59:60], 1.0
	s_delay_alu instid0(VALU_DEP_1) | instskip(SKIP_1) | instid1(VALU_DEP_1)
	v_fma_f64 v[59:60], v[59:60], v[61:62], v[59:60]
	v_div_scale_f64 v[61:62], vcc_lo, 1.0, v[40:41], 1.0
	v_mul_f64 v[63:64], v[61:62], v[59:60]
	s_delay_alu instid0(VALU_DEP_1) | instskip(NEXT) | instid1(VALU_DEP_1)
	v_fma_f64 v[42:43], -v[42:43], v[63:64], v[61:62]
	v_div_fmas_f64 v[42:43], v[42:43], v[59:60], v[63:64]
	s_delay_alu instid0(VALU_DEP_1) | instskip(NEXT) | instid1(VALU_DEP_1)
	v_div_fixup_f64 v[40:41], v[42:43], v[40:41], 1.0
	v_mul_f64 v[42:43], v[57:58], -v[40:41]
.LBB18_114:
	s_or_b32 exec_lo, exec_lo, s2
.LBB18_115:
	s_delay_alu instid0(SALU_CYCLE_1) | instskip(NEXT) | instid1(SALU_CYCLE_1)
	s_or_b32 exec_lo, exec_lo, s3
	s_mov_b32 s2, exec_lo
	v_cmpx_ne_u32_e64 v56, v48
	s_xor_b32 s2, exec_lo, s2
	s_cbranch_execz .LBB18_121
; %bb.116:
	s_mov_b32 s3, exec_lo
	v_cmpx_eq_u32_e32 5, v56
	s_cbranch_execz .LBB18_120
; %bb.117:
	v_cmp_ne_u32_e32 vcc_lo, 5, v48
	s_xor_b32 s6, s4, -1
	s_delay_alu instid0(SALU_CYCLE_1) | instskip(NEXT) | instid1(SALU_CYCLE_1)
	s_and_b32 s7, s6, vcc_lo
	s_and_saveexec_b32 s6, s7
	s_cbranch_execz .LBB18_119
; %bb.118:
	v_ashrrev_i32_e32 v49, 31, v48
	s_delay_alu instid0(VALU_DEP_1) | instskip(NEXT) | instid1(VALU_DEP_1)
	v_lshlrev_b64 v[56:57], 2, v[48:49]
	v_add_co_u32 v56, vcc_lo, v46, v56
	s_delay_alu instid0(VALU_DEP_2)
	v_add_co_ci_u32_e32 v57, vcc_lo, v47, v57, vcc_lo
	s_clause 0x1
	flat_load_b32 v49, v[56:57]
	flat_load_b32 v53, v[46:47] offset:20
	s_waitcnt vmcnt(1) lgkmcnt(1)
	flat_store_b32 v[46:47], v49 offset:20
	s_waitcnt vmcnt(0) lgkmcnt(1)
	flat_store_b32 v[56:57], v53
.LBB18_119:
	s_or_b32 exec_lo, exec_lo, s6
	v_mov_b32_e32 v56, v48
	v_mov_b32_e32 v53, v48
.LBB18_120:
	s_or_b32 exec_lo, exec_lo, s3
.LBB18_121:
	s_and_not1_saveexec_b32 s2, s2
	s_cbranch_execz .LBB18_123
; %bb.122:
	v_mov_b32_e32 v56, 5
	ds_store_2addr_b64 v50, v[12:13], v[14:15] offset0:12 offset1:13
	ds_store_2addr_b64 v50, v[8:9], v[10:11] offset0:14 offset1:15
	;; [unrolled: 1-line block ×4, first 2 shown]
.LBB18_123:
	s_or_b32 exec_lo, exec_lo, s2
	s_delay_alu instid0(SALU_CYCLE_1)
	s_mov_b32 s2, exec_lo
	s_waitcnt lgkmcnt(0)
	s_waitcnt_vscnt null, 0x0
	s_barrier
	buffer_gl0_inv
	v_cmpx_lt_i32_e32 5, v56
	s_cbranch_execz .LBB18_125
; %bb.124:
	v_mul_f64 v[48:49], v[40:41], v[18:19]
	v_mul_f64 v[18:19], v[42:43], v[18:19]
	ds_load_2addr_b64 v[57:60], v50 offset0:12 offset1:13
	ds_load_2addr_b64 v[61:64], v50 offset0:14 offset1:15
	;; [unrolled: 1-line block ×4, first 2 shown]
	v_fma_f64 v[42:43], v[42:43], v[16:17], v[48:49]
	v_fma_f64 v[16:17], v[40:41], v[16:17], -v[18:19]
	s_waitcnt lgkmcnt(3)
	s_delay_alu instid0(VALU_DEP_2)
	v_mul_f64 v[18:19], v[59:60], v[42:43]
	v_mul_f64 v[40:41], v[57:58], v[42:43]
	s_waitcnt lgkmcnt(2)
	v_mul_f64 v[48:49], v[63:64], v[42:43]
	v_mul_f64 v[73:74], v[61:62], v[42:43]
	s_waitcnt lgkmcnt(1)
	;; [unrolled: 3-line block ×3, first 2 shown]
	v_mul_f64 v[79:80], v[71:72], v[42:43]
	v_mul_f64 v[81:82], v[69:70], v[42:43]
	v_fma_f64 v[18:19], v[57:58], v[16:17], -v[18:19]
	v_fma_f64 v[40:41], v[59:60], v[16:17], v[40:41]
	v_fma_f64 v[48:49], v[61:62], v[16:17], -v[48:49]
	v_fma_f64 v[57:58], v[63:64], v[16:17], v[73:74]
	;; [unrolled: 2-line block ×4, first 2 shown]
	v_add_f64 v[12:13], v[12:13], -v[18:19]
	v_add_f64 v[14:15], v[14:15], -v[40:41]
	;; [unrolled: 1-line block ×8, first 2 shown]
	v_dual_mov_b32 v18, v42 :: v_dual_mov_b32 v19, v43
.LBB18_125:
	s_or_b32 exec_lo, exec_lo, s2
	v_lshl_add_u32 v40, v56, 4, v50
	s_barrier
	buffer_gl0_inv
	v_mov_b32_e32 v48, 6
	ds_store_2addr_b64 v40, v[12:13], v[14:15] offset1:1
	s_waitcnt lgkmcnt(0)
	s_barrier
	buffer_gl0_inv
	ds_load_2addr_b64 v[40:43], v50 offset0:12 offset1:13
	s_cmp_lt_i32 s5, 8
	s_cbranch_scc1 .LBB18_128
; %bb.126:
	v_add3_u32 v49, v55, 0, 0x70
	v_mov_b32_e32 v48, 6
	s_mov_b32 s6, 7
	s_set_inst_prefetch_distance 0x1
	.p2align	6
.LBB18_127:                             ; =>This Inner Loop Header: Depth=1
	ds_load_2addr_b64 v[57:60], v49 offset1:1
	s_waitcnt lgkmcnt(1)
	v_cmp_gt_f64_e32 vcc_lo, 0, v[40:41]
	v_xor_b32_e32 v61, 0x80000000, v41
	v_cmp_gt_f64_e64 s2, 0, v[42:43]
	v_xor_b32_e32 v63, 0x80000000, v43
	v_add_nc_u32_e32 v49, 16, v49
	s_waitcnt lgkmcnt(0)
	v_cmp_gt_f64_e64 s3, 0, v[57:58]
	v_mov_b32_e32 v65, v57
	v_dual_mov_b32 v67, v59 :: v_dual_cndmask_b32 v62, v41, v61
	v_xor_b32_e32 v61, 0x80000000, v58
	v_cndmask_b32_e64 v64, v43, v63, s2
	v_xor_b32_e32 v63, 0x80000000, v60
	s_delay_alu instid0(VALU_DEP_3) | instskip(SKIP_2) | instid1(VALU_DEP_2)
	v_cndmask_b32_e64 v66, v58, v61, s3
	v_cmp_gt_f64_e64 s3, 0, v[59:60]
	v_cndmask_b32_e32 v61, v40, v40, vcc_lo
	v_cndmask_b32_e64 v68, v60, v63, s3
	v_cndmask_b32_e64 v63, v42, v42, s2
	s_delay_alu instid0(VALU_DEP_2) | instskip(NEXT) | instid1(VALU_DEP_2)
	v_add_f64 v[65:66], v[65:66], v[67:68]
	v_add_f64 v[61:62], v[61:62], v[63:64]
	s_delay_alu instid0(VALU_DEP_1) | instskip(SKIP_4) | instid1(SALU_CYCLE_1)
	v_cmp_lt_f64_e32 vcc_lo, v[61:62], v[65:66]
	v_dual_cndmask_b32 v42, v42, v59 :: v_dual_cndmask_b32 v41, v41, v58
	v_dual_cndmask_b32 v40, v40, v57 :: v_dual_cndmask_b32 v43, v43, v60
	v_cndmask_b32_e64 v48, v48, s6, vcc_lo
	s_add_i32 s6, s6, 1
	s_cmp_lg_u32 s5, s6
	s_cbranch_scc1 .LBB18_127
.LBB18_128:
	s_set_inst_prefetch_distance 0x2
	s_waitcnt lgkmcnt(0)
	v_cmp_eq_f64_e32 vcc_lo, 0, v[40:41]
	v_cmp_eq_f64_e64 s2, 0, v[42:43]
	s_delay_alu instid0(VALU_DEP_1) | instskip(NEXT) | instid1(SALU_CYCLE_1)
	s_and_b32 s2, vcc_lo, s2
	s_and_saveexec_b32 s3, s2
	s_delay_alu instid0(SALU_CYCLE_1)
	s_xor_b32 s2, exec_lo, s3
; %bb.129:
	v_cmp_ne_u32_e32 vcc_lo, 0, v54
	v_cndmask_b32_e32 v54, 7, v54, vcc_lo
; %bb.130:
	s_and_not1_saveexec_b32 s3, s2
	s_cbranch_execz .LBB18_136
; %bb.131:
	v_cmp_gt_f64_e32 vcc_lo, 0, v[40:41]
	v_cmp_gt_f64_e64 s2, 0, v[42:43]
	v_xor_b32_e32 v49, 0x80000000, v41
	v_xor_b32_e32 v57, 0x80000000, v43
	s_delay_alu instid0(VALU_DEP_2) | instskip(NEXT) | instid1(VALU_DEP_2)
	v_cndmask_b32_e32 v58, v41, v49, vcc_lo
	v_cndmask_b32_e64 v60, v43, v57, s2
	v_cndmask_b32_e32 v57, v40, v40, vcc_lo
	v_cndmask_b32_e64 v59, v42, v42, s2
	s_mov_b32 s2, exec_lo
	s_delay_alu instid0(VALU_DEP_1)
	v_cmpx_ngt_f64_e32 v[57:58], v[59:60]
	s_xor_b32 s2, exec_lo, s2
	s_cbranch_execz .LBB18_133
; %bb.132:
	v_div_scale_f64 v[57:58], null, v[42:43], v[42:43], v[40:41]
	v_div_scale_f64 v[63:64], vcc_lo, v[40:41], v[42:43], v[40:41]
	s_delay_alu instid0(VALU_DEP_2) | instskip(SKIP_2) | instid1(VALU_DEP_1)
	v_rcp_f64_e32 v[59:60], v[57:58]
	s_waitcnt_depctr 0xfff
	v_fma_f64 v[61:62], -v[57:58], v[59:60], 1.0
	v_fma_f64 v[59:60], v[59:60], v[61:62], v[59:60]
	s_delay_alu instid0(VALU_DEP_1) | instskip(NEXT) | instid1(VALU_DEP_1)
	v_fma_f64 v[61:62], -v[57:58], v[59:60], 1.0
	v_fma_f64 v[59:60], v[59:60], v[61:62], v[59:60]
	s_delay_alu instid0(VALU_DEP_1) | instskip(NEXT) | instid1(VALU_DEP_1)
	v_mul_f64 v[61:62], v[63:64], v[59:60]
	v_fma_f64 v[57:58], -v[57:58], v[61:62], v[63:64]
	s_delay_alu instid0(VALU_DEP_1) | instskip(NEXT) | instid1(VALU_DEP_1)
	v_div_fmas_f64 v[57:58], v[57:58], v[59:60], v[61:62]
	v_div_fixup_f64 v[57:58], v[57:58], v[42:43], v[40:41]
	s_delay_alu instid0(VALU_DEP_1) | instskip(NEXT) | instid1(VALU_DEP_1)
	v_fma_f64 v[40:41], v[40:41], v[57:58], v[42:43]
	v_div_scale_f64 v[42:43], null, v[40:41], v[40:41], 1.0
	s_delay_alu instid0(VALU_DEP_1) | instskip(SKIP_2) | instid1(VALU_DEP_1)
	v_rcp_f64_e32 v[59:60], v[42:43]
	s_waitcnt_depctr 0xfff
	v_fma_f64 v[61:62], -v[42:43], v[59:60], 1.0
	v_fma_f64 v[59:60], v[59:60], v[61:62], v[59:60]
	s_delay_alu instid0(VALU_DEP_1) | instskip(NEXT) | instid1(VALU_DEP_1)
	v_fma_f64 v[61:62], -v[42:43], v[59:60], 1.0
	v_fma_f64 v[59:60], v[59:60], v[61:62], v[59:60]
	v_div_scale_f64 v[61:62], vcc_lo, 1.0, v[40:41], 1.0
	s_delay_alu instid0(VALU_DEP_1) | instskip(NEXT) | instid1(VALU_DEP_1)
	v_mul_f64 v[63:64], v[61:62], v[59:60]
	v_fma_f64 v[42:43], -v[42:43], v[63:64], v[61:62]
	s_delay_alu instid0(VALU_DEP_1) | instskip(NEXT) | instid1(VALU_DEP_1)
	v_div_fmas_f64 v[42:43], v[42:43], v[59:60], v[63:64]
	v_div_fixup_f64 v[42:43], v[42:43], v[40:41], 1.0
	s_delay_alu instid0(VALU_DEP_1)
	v_mul_f64 v[40:41], v[57:58], v[42:43]
	v_xor_b32_e32 v43, 0x80000000, v43
.LBB18_133:
	s_and_not1_saveexec_b32 s2, s2
	s_cbranch_execz .LBB18_135
; %bb.134:
	s_delay_alu instid0(VALU_DEP_1) | instskip(SKIP_1) | instid1(VALU_DEP_2)
	v_div_scale_f64 v[57:58], null, v[40:41], v[40:41], v[42:43]
	v_div_scale_f64 v[63:64], vcc_lo, v[42:43], v[40:41], v[42:43]
	v_rcp_f64_e32 v[59:60], v[57:58]
	s_waitcnt_depctr 0xfff
	v_fma_f64 v[61:62], -v[57:58], v[59:60], 1.0
	s_delay_alu instid0(VALU_DEP_1) | instskip(NEXT) | instid1(VALU_DEP_1)
	v_fma_f64 v[59:60], v[59:60], v[61:62], v[59:60]
	v_fma_f64 v[61:62], -v[57:58], v[59:60], 1.0
	s_delay_alu instid0(VALU_DEP_1) | instskip(NEXT) | instid1(VALU_DEP_1)
	v_fma_f64 v[59:60], v[59:60], v[61:62], v[59:60]
	v_mul_f64 v[61:62], v[63:64], v[59:60]
	s_delay_alu instid0(VALU_DEP_1) | instskip(NEXT) | instid1(VALU_DEP_1)
	v_fma_f64 v[57:58], -v[57:58], v[61:62], v[63:64]
	v_div_fmas_f64 v[57:58], v[57:58], v[59:60], v[61:62]
	s_delay_alu instid0(VALU_DEP_1) | instskip(NEXT) | instid1(VALU_DEP_1)
	v_div_fixup_f64 v[57:58], v[57:58], v[40:41], v[42:43]
	v_fma_f64 v[40:41], v[42:43], v[57:58], v[40:41]
	s_delay_alu instid0(VALU_DEP_1) | instskip(NEXT) | instid1(VALU_DEP_1)
	v_div_scale_f64 v[42:43], null, v[40:41], v[40:41], 1.0
	v_rcp_f64_e32 v[59:60], v[42:43]
	s_waitcnt_depctr 0xfff
	v_fma_f64 v[61:62], -v[42:43], v[59:60], 1.0
	s_delay_alu instid0(VALU_DEP_1) | instskip(NEXT) | instid1(VALU_DEP_1)
	v_fma_f64 v[59:60], v[59:60], v[61:62], v[59:60]
	v_fma_f64 v[61:62], -v[42:43], v[59:60], 1.0
	s_delay_alu instid0(VALU_DEP_1) | instskip(SKIP_1) | instid1(VALU_DEP_1)
	v_fma_f64 v[59:60], v[59:60], v[61:62], v[59:60]
	v_div_scale_f64 v[61:62], vcc_lo, 1.0, v[40:41], 1.0
	v_mul_f64 v[63:64], v[61:62], v[59:60]
	s_delay_alu instid0(VALU_DEP_1) | instskip(NEXT) | instid1(VALU_DEP_1)
	v_fma_f64 v[42:43], -v[42:43], v[63:64], v[61:62]
	v_div_fmas_f64 v[42:43], v[42:43], v[59:60], v[63:64]
	s_delay_alu instid0(VALU_DEP_1) | instskip(NEXT) | instid1(VALU_DEP_1)
	v_div_fixup_f64 v[40:41], v[42:43], v[40:41], 1.0
	v_mul_f64 v[42:43], v[57:58], -v[40:41]
.LBB18_135:
	s_or_b32 exec_lo, exec_lo, s2
.LBB18_136:
	s_delay_alu instid0(SALU_CYCLE_1) | instskip(NEXT) | instid1(SALU_CYCLE_1)
	s_or_b32 exec_lo, exec_lo, s3
	s_mov_b32 s2, exec_lo
	v_cmpx_ne_u32_e64 v56, v48
	s_xor_b32 s2, exec_lo, s2
	s_cbranch_execz .LBB18_142
; %bb.137:
	s_mov_b32 s3, exec_lo
	v_cmpx_eq_u32_e32 6, v56
	s_cbranch_execz .LBB18_141
; %bb.138:
	v_cmp_ne_u32_e32 vcc_lo, 6, v48
	s_xor_b32 s6, s4, -1
	s_delay_alu instid0(SALU_CYCLE_1) | instskip(NEXT) | instid1(SALU_CYCLE_1)
	s_and_b32 s7, s6, vcc_lo
	s_and_saveexec_b32 s6, s7
	s_cbranch_execz .LBB18_140
; %bb.139:
	v_ashrrev_i32_e32 v49, 31, v48
	s_delay_alu instid0(VALU_DEP_1) | instskip(NEXT) | instid1(VALU_DEP_1)
	v_lshlrev_b64 v[56:57], 2, v[48:49]
	v_add_co_u32 v56, vcc_lo, v46, v56
	s_delay_alu instid0(VALU_DEP_2)
	v_add_co_ci_u32_e32 v57, vcc_lo, v47, v57, vcc_lo
	s_clause 0x1
	flat_load_b32 v49, v[56:57]
	flat_load_b32 v53, v[46:47] offset:24
	s_waitcnt vmcnt(1) lgkmcnt(1)
	flat_store_b32 v[46:47], v49 offset:24
	s_waitcnt vmcnt(0) lgkmcnt(1)
	flat_store_b32 v[56:57], v53
.LBB18_140:
	s_or_b32 exec_lo, exec_lo, s6
	v_mov_b32_e32 v56, v48
	v_mov_b32_e32 v53, v48
.LBB18_141:
	s_or_b32 exec_lo, exec_lo, s3
.LBB18_142:
	s_and_not1_saveexec_b32 s2, s2
	s_cbranch_execz .LBB18_144
; %bb.143:
	v_mov_b32_e32 v56, 6
	ds_store_2addr_b64 v50, v[8:9], v[10:11] offset0:14 offset1:15
	ds_store_2addr_b64 v50, v[4:5], v[6:7] offset0:16 offset1:17
	;; [unrolled: 1-line block ×3, first 2 shown]
.LBB18_144:
	s_or_b32 exec_lo, exec_lo, s2
	s_delay_alu instid0(SALU_CYCLE_1)
	s_mov_b32 s2, exec_lo
	s_waitcnt lgkmcnt(0)
	s_waitcnt_vscnt null, 0x0
	s_barrier
	buffer_gl0_inv
	v_cmpx_lt_i32_e32 6, v56
	s_cbranch_execz .LBB18_146
; %bb.145:
	v_mul_f64 v[48:49], v[40:41], v[14:15]
	v_mul_f64 v[14:15], v[42:43], v[14:15]
	ds_load_2addr_b64 v[57:60], v50 offset0:14 offset1:15
	ds_load_2addr_b64 v[61:64], v50 offset0:16 offset1:17
	;; [unrolled: 1-line block ×3, first 2 shown]
	v_fma_f64 v[42:43], v[42:43], v[12:13], v[48:49]
	v_fma_f64 v[12:13], v[40:41], v[12:13], -v[14:15]
	s_waitcnt lgkmcnt(2)
	s_delay_alu instid0(VALU_DEP_2)
	v_mul_f64 v[14:15], v[59:60], v[42:43]
	v_mul_f64 v[40:41], v[57:58], v[42:43]
	s_waitcnt lgkmcnt(1)
	v_mul_f64 v[48:49], v[63:64], v[42:43]
	v_mul_f64 v[69:70], v[61:62], v[42:43]
	s_waitcnt lgkmcnt(0)
	v_mul_f64 v[71:72], v[67:68], v[42:43]
	v_mul_f64 v[73:74], v[65:66], v[42:43]
	v_fma_f64 v[14:15], v[57:58], v[12:13], -v[14:15]
	v_fma_f64 v[40:41], v[59:60], v[12:13], v[40:41]
	v_fma_f64 v[48:49], v[61:62], v[12:13], -v[48:49]
	v_fma_f64 v[57:58], v[63:64], v[12:13], v[69:70]
	v_fma_f64 v[59:60], v[65:66], v[12:13], -v[71:72]
	v_fma_f64 v[61:62], v[67:68], v[12:13], v[73:74]
	v_add_f64 v[8:9], v[8:9], -v[14:15]
	v_add_f64 v[10:11], v[10:11], -v[40:41]
	;; [unrolled: 1-line block ×6, first 2 shown]
	v_dual_mov_b32 v14, v42 :: v_dual_mov_b32 v15, v43
.LBB18_146:
	s_or_b32 exec_lo, exec_lo, s2
	v_lshl_add_u32 v40, v56, 4, v50
	s_barrier
	buffer_gl0_inv
	v_mov_b32_e32 v48, 7
	ds_store_2addr_b64 v40, v[8:9], v[10:11] offset1:1
	s_waitcnt lgkmcnt(0)
	s_barrier
	buffer_gl0_inv
	ds_load_2addr_b64 v[40:43], v50 offset0:14 offset1:15
	s_cmp_lt_i32 s5, 9
	s_cbranch_scc1 .LBB18_149
; %bb.147:
	v_add3_u32 v49, v55, 0, 0x80
	v_mov_b32_e32 v48, 7
	s_mov_b32 s6, 8
	s_set_inst_prefetch_distance 0x1
	.p2align	6
.LBB18_148:                             ; =>This Inner Loop Header: Depth=1
	ds_load_2addr_b64 v[57:60], v49 offset1:1
	s_waitcnt lgkmcnt(1)
	v_cmp_gt_f64_e32 vcc_lo, 0, v[40:41]
	v_xor_b32_e32 v61, 0x80000000, v41
	v_cmp_gt_f64_e64 s2, 0, v[42:43]
	v_xor_b32_e32 v63, 0x80000000, v43
	v_add_nc_u32_e32 v49, 16, v49
	s_waitcnt lgkmcnt(0)
	v_cmp_gt_f64_e64 s3, 0, v[57:58]
	v_mov_b32_e32 v65, v57
	v_dual_mov_b32 v67, v59 :: v_dual_cndmask_b32 v62, v41, v61
	v_xor_b32_e32 v61, 0x80000000, v58
	v_cndmask_b32_e64 v64, v43, v63, s2
	v_xor_b32_e32 v63, 0x80000000, v60
	s_delay_alu instid0(VALU_DEP_3) | instskip(SKIP_2) | instid1(VALU_DEP_2)
	v_cndmask_b32_e64 v66, v58, v61, s3
	v_cmp_gt_f64_e64 s3, 0, v[59:60]
	v_cndmask_b32_e32 v61, v40, v40, vcc_lo
	v_cndmask_b32_e64 v68, v60, v63, s3
	v_cndmask_b32_e64 v63, v42, v42, s2
	s_delay_alu instid0(VALU_DEP_2) | instskip(NEXT) | instid1(VALU_DEP_2)
	v_add_f64 v[65:66], v[65:66], v[67:68]
	v_add_f64 v[61:62], v[61:62], v[63:64]
	s_delay_alu instid0(VALU_DEP_1) | instskip(SKIP_4) | instid1(SALU_CYCLE_1)
	v_cmp_lt_f64_e32 vcc_lo, v[61:62], v[65:66]
	v_dual_cndmask_b32 v42, v42, v59 :: v_dual_cndmask_b32 v41, v41, v58
	v_dual_cndmask_b32 v40, v40, v57 :: v_dual_cndmask_b32 v43, v43, v60
	v_cndmask_b32_e64 v48, v48, s6, vcc_lo
	s_add_i32 s6, s6, 1
	s_cmp_lg_u32 s5, s6
	s_cbranch_scc1 .LBB18_148
.LBB18_149:
	s_set_inst_prefetch_distance 0x2
	s_waitcnt lgkmcnt(0)
	v_cmp_eq_f64_e32 vcc_lo, 0, v[40:41]
	v_cmp_eq_f64_e64 s2, 0, v[42:43]
	s_delay_alu instid0(VALU_DEP_1) | instskip(NEXT) | instid1(SALU_CYCLE_1)
	s_and_b32 s2, vcc_lo, s2
	s_and_saveexec_b32 s3, s2
	s_delay_alu instid0(SALU_CYCLE_1)
	s_xor_b32 s2, exec_lo, s3
; %bb.150:
	v_cmp_ne_u32_e32 vcc_lo, 0, v54
	v_cndmask_b32_e32 v54, 8, v54, vcc_lo
; %bb.151:
	s_and_not1_saveexec_b32 s3, s2
	s_cbranch_execz .LBB18_157
; %bb.152:
	v_cmp_gt_f64_e32 vcc_lo, 0, v[40:41]
	v_cmp_gt_f64_e64 s2, 0, v[42:43]
	v_xor_b32_e32 v49, 0x80000000, v41
	v_xor_b32_e32 v57, 0x80000000, v43
	s_delay_alu instid0(VALU_DEP_2) | instskip(NEXT) | instid1(VALU_DEP_2)
	v_cndmask_b32_e32 v58, v41, v49, vcc_lo
	v_cndmask_b32_e64 v60, v43, v57, s2
	v_cndmask_b32_e32 v57, v40, v40, vcc_lo
	v_cndmask_b32_e64 v59, v42, v42, s2
	s_mov_b32 s2, exec_lo
	s_delay_alu instid0(VALU_DEP_1)
	v_cmpx_ngt_f64_e32 v[57:58], v[59:60]
	s_xor_b32 s2, exec_lo, s2
	s_cbranch_execz .LBB18_154
; %bb.153:
	v_div_scale_f64 v[57:58], null, v[42:43], v[42:43], v[40:41]
	v_div_scale_f64 v[63:64], vcc_lo, v[40:41], v[42:43], v[40:41]
	s_delay_alu instid0(VALU_DEP_2) | instskip(SKIP_2) | instid1(VALU_DEP_1)
	v_rcp_f64_e32 v[59:60], v[57:58]
	s_waitcnt_depctr 0xfff
	v_fma_f64 v[61:62], -v[57:58], v[59:60], 1.0
	v_fma_f64 v[59:60], v[59:60], v[61:62], v[59:60]
	s_delay_alu instid0(VALU_DEP_1) | instskip(NEXT) | instid1(VALU_DEP_1)
	v_fma_f64 v[61:62], -v[57:58], v[59:60], 1.0
	v_fma_f64 v[59:60], v[59:60], v[61:62], v[59:60]
	s_delay_alu instid0(VALU_DEP_1) | instskip(NEXT) | instid1(VALU_DEP_1)
	v_mul_f64 v[61:62], v[63:64], v[59:60]
	v_fma_f64 v[57:58], -v[57:58], v[61:62], v[63:64]
	s_delay_alu instid0(VALU_DEP_1) | instskip(NEXT) | instid1(VALU_DEP_1)
	v_div_fmas_f64 v[57:58], v[57:58], v[59:60], v[61:62]
	v_div_fixup_f64 v[57:58], v[57:58], v[42:43], v[40:41]
	s_delay_alu instid0(VALU_DEP_1) | instskip(NEXT) | instid1(VALU_DEP_1)
	v_fma_f64 v[40:41], v[40:41], v[57:58], v[42:43]
	v_div_scale_f64 v[42:43], null, v[40:41], v[40:41], 1.0
	s_delay_alu instid0(VALU_DEP_1) | instskip(SKIP_2) | instid1(VALU_DEP_1)
	v_rcp_f64_e32 v[59:60], v[42:43]
	s_waitcnt_depctr 0xfff
	v_fma_f64 v[61:62], -v[42:43], v[59:60], 1.0
	v_fma_f64 v[59:60], v[59:60], v[61:62], v[59:60]
	s_delay_alu instid0(VALU_DEP_1) | instskip(NEXT) | instid1(VALU_DEP_1)
	v_fma_f64 v[61:62], -v[42:43], v[59:60], 1.0
	v_fma_f64 v[59:60], v[59:60], v[61:62], v[59:60]
	v_div_scale_f64 v[61:62], vcc_lo, 1.0, v[40:41], 1.0
	s_delay_alu instid0(VALU_DEP_1) | instskip(NEXT) | instid1(VALU_DEP_1)
	v_mul_f64 v[63:64], v[61:62], v[59:60]
	v_fma_f64 v[42:43], -v[42:43], v[63:64], v[61:62]
	s_delay_alu instid0(VALU_DEP_1) | instskip(NEXT) | instid1(VALU_DEP_1)
	v_div_fmas_f64 v[42:43], v[42:43], v[59:60], v[63:64]
	v_div_fixup_f64 v[42:43], v[42:43], v[40:41], 1.0
	s_delay_alu instid0(VALU_DEP_1)
	v_mul_f64 v[40:41], v[57:58], v[42:43]
	v_xor_b32_e32 v43, 0x80000000, v43
.LBB18_154:
	s_and_not1_saveexec_b32 s2, s2
	s_cbranch_execz .LBB18_156
; %bb.155:
	s_delay_alu instid0(VALU_DEP_1) | instskip(SKIP_1) | instid1(VALU_DEP_2)
	v_div_scale_f64 v[57:58], null, v[40:41], v[40:41], v[42:43]
	v_div_scale_f64 v[63:64], vcc_lo, v[42:43], v[40:41], v[42:43]
	v_rcp_f64_e32 v[59:60], v[57:58]
	s_waitcnt_depctr 0xfff
	v_fma_f64 v[61:62], -v[57:58], v[59:60], 1.0
	s_delay_alu instid0(VALU_DEP_1) | instskip(NEXT) | instid1(VALU_DEP_1)
	v_fma_f64 v[59:60], v[59:60], v[61:62], v[59:60]
	v_fma_f64 v[61:62], -v[57:58], v[59:60], 1.0
	s_delay_alu instid0(VALU_DEP_1) | instskip(NEXT) | instid1(VALU_DEP_1)
	v_fma_f64 v[59:60], v[59:60], v[61:62], v[59:60]
	v_mul_f64 v[61:62], v[63:64], v[59:60]
	s_delay_alu instid0(VALU_DEP_1) | instskip(NEXT) | instid1(VALU_DEP_1)
	v_fma_f64 v[57:58], -v[57:58], v[61:62], v[63:64]
	v_div_fmas_f64 v[57:58], v[57:58], v[59:60], v[61:62]
	s_delay_alu instid0(VALU_DEP_1) | instskip(NEXT) | instid1(VALU_DEP_1)
	v_div_fixup_f64 v[57:58], v[57:58], v[40:41], v[42:43]
	v_fma_f64 v[40:41], v[42:43], v[57:58], v[40:41]
	s_delay_alu instid0(VALU_DEP_1) | instskip(NEXT) | instid1(VALU_DEP_1)
	v_div_scale_f64 v[42:43], null, v[40:41], v[40:41], 1.0
	v_rcp_f64_e32 v[59:60], v[42:43]
	s_waitcnt_depctr 0xfff
	v_fma_f64 v[61:62], -v[42:43], v[59:60], 1.0
	s_delay_alu instid0(VALU_DEP_1) | instskip(NEXT) | instid1(VALU_DEP_1)
	v_fma_f64 v[59:60], v[59:60], v[61:62], v[59:60]
	v_fma_f64 v[61:62], -v[42:43], v[59:60], 1.0
	s_delay_alu instid0(VALU_DEP_1) | instskip(SKIP_1) | instid1(VALU_DEP_1)
	v_fma_f64 v[59:60], v[59:60], v[61:62], v[59:60]
	v_div_scale_f64 v[61:62], vcc_lo, 1.0, v[40:41], 1.0
	v_mul_f64 v[63:64], v[61:62], v[59:60]
	s_delay_alu instid0(VALU_DEP_1) | instskip(NEXT) | instid1(VALU_DEP_1)
	v_fma_f64 v[42:43], -v[42:43], v[63:64], v[61:62]
	v_div_fmas_f64 v[42:43], v[42:43], v[59:60], v[63:64]
	s_delay_alu instid0(VALU_DEP_1) | instskip(NEXT) | instid1(VALU_DEP_1)
	v_div_fixup_f64 v[40:41], v[42:43], v[40:41], 1.0
	v_mul_f64 v[42:43], v[57:58], -v[40:41]
.LBB18_156:
	s_or_b32 exec_lo, exec_lo, s2
.LBB18_157:
	s_delay_alu instid0(SALU_CYCLE_1) | instskip(NEXT) | instid1(SALU_CYCLE_1)
	s_or_b32 exec_lo, exec_lo, s3
	s_mov_b32 s2, exec_lo
	v_cmpx_ne_u32_e64 v56, v48
	s_xor_b32 s2, exec_lo, s2
	s_cbranch_execz .LBB18_163
; %bb.158:
	s_mov_b32 s3, exec_lo
	v_cmpx_eq_u32_e32 7, v56
	s_cbranch_execz .LBB18_162
; %bb.159:
	v_cmp_ne_u32_e32 vcc_lo, 7, v48
	s_xor_b32 s6, s4, -1
	s_delay_alu instid0(SALU_CYCLE_1) | instskip(NEXT) | instid1(SALU_CYCLE_1)
	s_and_b32 s7, s6, vcc_lo
	s_and_saveexec_b32 s6, s7
	s_cbranch_execz .LBB18_161
; %bb.160:
	v_ashrrev_i32_e32 v49, 31, v48
	s_delay_alu instid0(VALU_DEP_1) | instskip(NEXT) | instid1(VALU_DEP_1)
	v_lshlrev_b64 v[56:57], 2, v[48:49]
	v_add_co_u32 v56, vcc_lo, v46, v56
	s_delay_alu instid0(VALU_DEP_2)
	v_add_co_ci_u32_e32 v57, vcc_lo, v47, v57, vcc_lo
	s_clause 0x1
	flat_load_b32 v49, v[56:57]
	flat_load_b32 v53, v[46:47] offset:28
	s_waitcnt vmcnt(1) lgkmcnt(1)
	flat_store_b32 v[46:47], v49 offset:28
	s_waitcnt vmcnt(0) lgkmcnt(1)
	flat_store_b32 v[56:57], v53
.LBB18_161:
	s_or_b32 exec_lo, exec_lo, s6
	v_mov_b32_e32 v56, v48
	v_mov_b32_e32 v53, v48
.LBB18_162:
	s_or_b32 exec_lo, exec_lo, s3
.LBB18_163:
	s_and_not1_saveexec_b32 s2, s2
	s_cbranch_execz .LBB18_165
; %bb.164:
	v_mov_b32_e32 v56, 7
	ds_store_2addr_b64 v50, v[4:5], v[6:7] offset0:16 offset1:17
	ds_store_2addr_b64 v50, v[0:1], v[2:3] offset0:18 offset1:19
.LBB18_165:
	s_or_b32 exec_lo, exec_lo, s2
	s_delay_alu instid0(SALU_CYCLE_1)
	s_mov_b32 s2, exec_lo
	s_waitcnt lgkmcnt(0)
	s_waitcnt_vscnt null, 0x0
	s_barrier
	buffer_gl0_inv
	v_cmpx_lt_i32_e32 7, v56
	s_cbranch_execz .LBB18_167
; %bb.166:
	v_mul_f64 v[48:49], v[40:41], v[10:11]
	v_mul_f64 v[10:11], v[42:43], v[10:11]
	ds_load_2addr_b64 v[57:60], v50 offset0:16 offset1:17
	ds_load_2addr_b64 v[61:64], v50 offset0:18 offset1:19
	v_fma_f64 v[42:43], v[42:43], v[8:9], v[48:49]
	v_fma_f64 v[8:9], v[40:41], v[8:9], -v[10:11]
	s_waitcnt lgkmcnt(1)
	s_delay_alu instid0(VALU_DEP_2) | instskip(SKIP_4) | instid1(VALU_DEP_4)
	v_mul_f64 v[10:11], v[59:60], v[42:43]
	v_mul_f64 v[40:41], v[57:58], v[42:43]
	s_waitcnt lgkmcnt(0)
	v_mul_f64 v[48:49], v[63:64], v[42:43]
	v_mul_f64 v[65:66], v[61:62], v[42:43]
	v_fma_f64 v[10:11], v[57:58], v[8:9], -v[10:11]
	s_delay_alu instid0(VALU_DEP_4) | instskip(NEXT) | instid1(VALU_DEP_4)
	v_fma_f64 v[40:41], v[59:60], v[8:9], v[40:41]
	v_fma_f64 v[48:49], v[61:62], v[8:9], -v[48:49]
	s_delay_alu instid0(VALU_DEP_4) | instskip(NEXT) | instid1(VALU_DEP_4)
	v_fma_f64 v[57:58], v[63:64], v[8:9], v[65:66]
	v_add_f64 v[4:5], v[4:5], -v[10:11]
	s_delay_alu instid0(VALU_DEP_4) | instskip(NEXT) | instid1(VALU_DEP_4)
	v_add_f64 v[6:7], v[6:7], -v[40:41]
	v_add_f64 v[0:1], v[0:1], -v[48:49]
	s_delay_alu instid0(VALU_DEP_4)
	v_add_f64 v[2:3], v[2:3], -v[57:58]
	v_dual_mov_b32 v10, v42 :: v_dual_mov_b32 v11, v43
.LBB18_167:
	s_or_b32 exec_lo, exec_lo, s2
	v_lshl_add_u32 v40, v56, 4, v50
	s_barrier
	buffer_gl0_inv
	v_mov_b32_e32 v48, 8
	ds_store_2addr_b64 v40, v[4:5], v[6:7] offset1:1
	s_waitcnt lgkmcnt(0)
	s_barrier
	buffer_gl0_inv
	ds_load_2addr_b64 v[40:43], v50 offset0:16 offset1:17
	s_cmp_lt_i32 s5, 10
	s_cbranch_scc1 .LBB18_170
; %bb.168:
	v_add3_u32 v49, v55, 0, 0x90
	v_mov_b32_e32 v48, 8
	s_mov_b32 s6, 9
	s_set_inst_prefetch_distance 0x1
	.p2align	6
.LBB18_169:                             ; =>This Inner Loop Header: Depth=1
	ds_load_2addr_b64 v[57:60], v49 offset1:1
	s_waitcnt lgkmcnt(1)
	v_cmp_gt_f64_e32 vcc_lo, 0, v[40:41]
	v_xor_b32_e32 v61, 0x80000000, v41
	v_cmp_gt_f64_e64 s2, 0, v[42:43]
	v_xor_b32_e32 v63, 0x80000000, v43
	v_add_nc_u32_e32 v49, 16, v49
	s_waitcnt lgkmcnt(0)
	v_cmp_gt_f64_e64 s3, 0, v[57:58]
	v_mov_b32_e32 v65, v57
	v_dual_mov_b32 v67, v59 :: v_dual_cndmask_b32 v62, v41, v61
	v_xor_b32_e32 v61, 0x80000000, v58
	v_cndmask_b32_e64 v64, v43, v63, s2
	v_xor_b32_e32 v63, 0x80000000, v60
	s_delay_alu instid0(VALU_DEP_3) | instskip(SKIP_2) | instid1(VALU_DEP_2)
	v_cndmask_b32_e64 v66, v58, v61, s3
	v_cmp_gt_f64_e64 s3, 0, v[59:60]
	v_cndmask_b32_e32 v61, v40, v40, vcc_lo
	v_cndmask_b32_e64 v68, v60, v63, s3
	v_cndmask_b32_e64 v63, v42, v42, s2
	s_delay_alu instid0(VALU_DEP_2) | instskip(NEXT) | instid1(VALU_DEP_2)
	v_add_f64 v[65:66], v[65:66], v[67:68]
	v_add_f64 v[61:62], v[61:62], v[63:64]
	s_delay_alu instid0(VALU_DEP_1) | instskip(SKIP_4) | instid1(SALU_CYCLE_1)
	v_cmp_lt_f64_e32 vcc_lo, v[61:62], v[65:66]
	v_dual_cndmask_b32 v42, v42, v59 :: v_dual_cndmask_b32 v41, v41, v58
	v_dual_cndmask_b32 v40, v40, v57 :: v_dual_cndmask_b32 v43, v43, v60
	v_cndmask_b32_e64 v48, v48, s6, vcc_lo
	s_add_i32 s6, s6, 1
	s_cmp_lg_u32 s5, s6
	s_cbranch_scc1 .LBB18_169
.LBB18_170:
	s_set_inst_prefetch_distance 0x2
	s_waitcnt lgkmcnt(0)
	v_cmp_eq_f64_e32 vcc_lo, 0, v[40:41]
	v_cmp_eq_f64_e64 s2, 0, v[42:43]
	s_delay_alu instid0(VALU_DEP_1) | instskip(NEXT) | instid1(SALU_CYCLE_1)
	s_and_b32 s2, vcc_lo, s2
	s_and_saveexec_b32 s3, s2
	s_delay_alu instid0(SALU_CYCLE_1)
	s_xor_b32 s2, exec_lo, s3
; %bb.171:
	v_cmp_ne_u32_e32 vcc_lo, 0, v54
	v_cndmask_b32_e32 v54, 9, v54, vcc_lo
; %bb.172:
	s_and_not1_saveexec_b32 s3, s2
	s_cbranch_execz .LBB18_178
; %bb.173:
	v_cmp_gt_f64_e32 vcc_lo, 0, v[40:41]
	v_cmp_gt_f64_e64 s2, 0, v[42:43]
	v_xor_b32_e32 v49, 0x80000000, v41
	v_xor_b32_e32 v57, 0x80000000, v43
	s_delay_alu instid0(VALU_DEP_2) | instskip(NEXT) | instid1(VALU_DEP_2)
	v_cndmask_b32_e32 v58, v41, v49, vcc_lo
	v_cndmask_b32_e64 v60, v43, v57, s2
	v_cndmask_b32_e32 v57, v40, v40, vcc_lo
	v_cndmask_b32_e64 v59, v42, v42, s2
	s_mov_b32 s2, exec_lo
	s_delay_alu instid0(VALU_DEP_1)
	v_cmpx_ngt_f64_e32 v[57:58], v[59:60]
	s_xor_b32 s2, exec_lo, s2
	s_cbranch_execz .LBB18_175
; %bb.174:
	v_div_scale_f64 v[57:58], null, v[42:43], v[42:43], v[40:41]
	v_div_scale_f64 v[63:64], vcc_lo, v[40:41], v[42:43], v[40:41]
	s_delay_alu instid0(VALU_DEP_2) | instskip(SKIP_2) | instid1(VALU_DEP_1)
	v_rcp_f64_e32 v[59:60], v[57:58]
	s_waitcnt_depctr 0xfff
	v_fma_f64 v[61:62], -v[57:58], v[59:60], 1.0
	v_fma_f64 v[59:60], v[59:60], v[61:62], v[59:60]
	s_delay_alu instid0(VALU_DEP_1) | instskip(NEXT) | instid1(VALU_DEP_1)
	v_fma_f64 v[61:62], -v[57:58], v[59:60], 1.0
	v_fma_f64 v[59:60], v[59:60], v[61:62], v[59:60]
	s_delay_alu instid0(VALU_DEP_1) | instskip(NEXT) | instid1(VALU_DEP_1)
	v_mul_f64 v[61:62], v[63:64], v[59:60]
	v_fma_f64 v[57:58], -v[57:58], v[61:62], v[63:64]
	s_delay_alu instid0(VALU_DEP_1) | instskip(NEXT) | instid1(VALU_DEP_1)
	v_div_fmas_f64 v[57:58], v[57:58], v[59:60], v[61:62]
	v_div_fixup_f64 v[57:58], v[57:58], v[42:43], v[40:41]
	s_delay_alu instid0(VALU_DEP_1) | instskip(NEXT) | instid1(VALU_DEP_1)
	v_fma_f64 v[40:41], v[40:41], v[57:58], v[42:43]
	v_div_scale_f64 v[42:43], null, v[40:41], v[40:41], 1.0
	s_delay_alu instid0(VALU_DEP_1) | instskip(SKIP_2) | instid1(VALU_DEP_1)
	v_rcp_f64_e32 v[59:60], v[42:43]
	s_waitcnt_depctr 0xfff
	v_fma_f64 v[61:62], -v[42:43], v[59:60], 1.0
	v_fma_f64 v[59:60], v[59:60], v[61:62], v[59:60]
	s_delay_alu instid0(VALU_DEP_1) | instskip(NEXT) | instid1(VALU_DEP_1)
	v_fma_f64 v[61:62], -v[42:43], v[59:60], 1.0
	v_fma_f64 v[59:60], v[59:60], v[61:62], v[59:60]
	v_div_scale_f64 v[61:62], vcc_lo, 1.0, v[40:41], 1.0
	s_delay_alu instid0(VALU_DEP_1) | instskip(NEXT) | instid1(VALU_DEP_1)
	v_mul_f64 v[63:64], v[61:62], v[59:60]
	v_fma_f64 v[42:43], -v[42:43], v[63:64], v[61:62]
	s_delay_alu instid0(VALU_DEP_1) | instskip(NEXT) | instid1(VALU_DEP_1)
	v_div_fmas_f64 v[42:43], v[42:43], v[59:60], v[63:64]
	v_div_fixup_f64 v[42:43], v[42:43], v[40:41], 1.0
	s_delay_alu instid0(VALU_DEP_1)
	v_mul_f64 v[40:41], v[57:58], v[42:43]
	v_xor_b32_e32 v43, 0x80000000, v43
.LBB18_175:
	s_and_not1_saveexec_b32 s2, s2
	s_cbranch_execz .LBB18_177
; %bb.176:
	s_delay_alu instid0(VALU_DEP_1) | instskip(SKIP_1) | instid1(VALU_DEP_2)
	v_div_scale_f64 v[57:58], null, v[40:41], v[40:41], v[42:43]
	v_div_scale_f64 v[63:64], vcc_lo, v[42:43], v[40:41], v[42:43]
	v_rcp_f64_e32 v[59:60], v[57:58]
	s_waitcnt_depctr 0xfff
	v_fma_f64 v[61:62], -v[57:58], v[59:60], 1.0
	s_delay_alu instid0(VALU_DEP_1) | instskip(NEXT) | instid1(VALU_DEP_1)
	v_fma_f64 v[59:60], v[59:60], v[61:62], v[59:60]
	v_fma_f64 v[61:62], -v[57:58], v[59:60], 1.0
	s_delay_alu instid0(VALU_DEP_1) | instskip(NEXT) | instid1(VALU_DEP_1)
	v_fma_f64 v[59:60], v[59:60], v[61:62], v[59:60]
	v_mul_f64 v[61:62], v[63:64], v[59:60]
	s_delay_alu instid0(VALU_DEP_1) | instskip(NEXT) | instid1(VALU_DEP_1)
	v_fma_f64 v[57:58], -v[57:58], v[61:62], v[63:64]
	v_div_fmas_f64 v[57:58], v[57:58], v[59:60], v[61:62]
	s_delay_alu instid0(VALU_DEP_1) | instskip(NEXT) | instid1(VALU_DEP_1)
	v_div_fixup_f64 v[57:58], v[57:58], v[40:41], v[42:43]
	v_fma_f64 v[40:41], v[42:43], v[57:58], v[40:41]
	s_delay_alu instid0(VALU_DEP_1) | instskip(NEXT) | instid1(VALU_DEP_1)
	v_div_scale_f64 v[42:43], null, v[40:41], v[40:41], 1.0
	v_rcp_f64_e32 v[59:60], v[42:43]
	s_waitcnt_depctr 0xfff
	v_fma_f64 v[61:62], -v[42:43], v[59:60], 1.0
	s_delay_alu instid0(VALU_DEP_1) | instskip(NEXT) | instid1(VALU_DEP_1)
	v_fma_f64 v[59:60], v[59:60], v[61:62], v[59:60]
	v_fma_f64 v[61:62], -v[42:43], v[59:60], 1.0
	s_delay_alu instid0(VALU_DEP_1) | instskip(SKIP_1) | instid1(VALU_DEP_1)
	v_fma_f64 v[59:60], v[59:60], v[61:62], v[59:60]
	v_div_scale_f64 v[61:62], vcc_lo, 1.0, v[40:41], 1.0
	v_mul_f64 v[63:64], v[61:62], v[59:60]
	s_delay_alu instid0(VALU_DEP_1) | instskip(NEXT) | instid1(VALU_DEP_1)
	v_fma_f64 v[42:43], -v[42:43], v[63:64], v[61:62]
	v_div_fmas_f64 v[42:43], v[42:43], v[59:60], v[63:64]
	s_delay_alu instid0(VALU_DEP_1) | instskip(NEXT) | instid1(VALU_DEP_1)
	v_div_fixup_f64 v[40:41], v[42:43], v[40:41], 1.0
	v_mul_f64 v[42:43], v[57:58], -v[40:41]
.LBB18_177:
	s_or_b32 exec_lo, exec_lo, s2
.LBB18_178:
	s_delay_alu instid0(SALU_CYCLE_1) | instskip(NEXT) | instid1(SALU_CYCLE_1)
	s_or_b32 exec_lo, exec_lo, s3
	s_mov_b32 s2, exec_lo
	v_cmpx_ne_u32_e64 v56, v48
	s_xor_b32 s2, exec_lo, s2
	s_cbranch_execz .LBB18_184
; %bb.179:
	s_mov_b32 s3, exec_lo
	v_cmpx_eq_u32_e32 8, v56
	s_cbranch_execz .LBB18_183
; %bb.180:
	v_cmp_ne_u32_e32 vcc_lo, 8, v48
	s_xor_b32 s6, s4, -1
	s_delay_alu instid0(SALU_CYCLE_1) | instskip(NEXT) | instid1(SALU_CYCLE_1)
	s_and_b32 s7, s6, vcc_lo
	s_and_saveexec_b32 s6, s7
	s_cbranch_execz .LBB18_182
; %bb.181:
	v_ashrrev_i32_e32 v49, 31, v48
	s_delay_alu instid0(VALU_DEP_1) | instskip(NEXT) | instid1(VALU_DEP_1)
	v_lshlrev_b64 v[56:57], 2, v[48:49]
	v_add_co_u32 v56, vcc_lo, v46, v56
	s_delay_alu instid0(VALU_DEP_2)
	v_add_co_ci_u32_e32 v57, vcc_lo, v47, v57, vcc_lo
	s_clause 0x1
	flat_load_b32 v49, v[56:57]
	flat_load_b32 v53, v[46:47] offset:32
	s_waitcnt vmcnt(1) lgkmcnt(1)
	flat_store_b32 v[46:47], v49 offset:32
	s_waitcnt vmcnt(0) lgkmcnt(1)
	flat_store_b32 v[56:57], v53
.LBB18_182:
	s_or_b32 exec_lo, exec_lo, s6
	v_mov_b32_e32 v56, v48
	v_mov_b32_e32 v53, v48
.LBB18_183:
	s_or_b32 exec_lo, exec_lo, s3
.LBB18_184:
	s_and_not1_saveexec_b32 s2, s2
	s_cbranch_execz .LBB18_186
; %bb.185:
	v_mov_b32_e32 v56, 8
	ds_store_2addr_b64 v50, v[0:1], v[2:3] offset0:18 offset1:19
.LBB18_186:
	s_or_b32 exec_lo, exec_lo, s2
	s_delay_alu instid0(SALU_CYCLE_1)
	s_mov_b32 s2, exec_lo
	s_waitcnt lgkmcnt(0)
	s_waitcnt_vscnt null, 0x0
	s_barrier
	buffer_gl0_inv
	v_cmpx_lt_i32_e32 8, v56
	s_cbranch_execz .LBB18_188
; %bb.187:
	v_mul_f64 v[48:49], v[40:41], v[6:7]
	v_mul_f64 v[6:7], v[42:43], v[6:7]
	ds_load_2addr_b64 v[57:60], v50 offset0:18 offset1:19
	v_fma_f64 v[42:43], v[42:43], v[4:5], v[48:49]
	v_fma_f64 v[4:5], v[40:41], v[4:5], -v[6:7]
	s_waitcnt lgkmcnt(0)
	s_delay_alu instid0(VALU_DEP_2) | instskip(SKIP_1) | instid1(VALU_DEP_2)
	v_mul_f64 v[6:7], v[59:60], v[42:43]
	v_mul_f64 v[40:41], v[57:58], v[42:43]
	v_fma_f64 v[6:7], v[57:58], v[4:5], -v[6:7]
	s_delay_alu instid0(VALU_DEP_2) | instskip(NEXT) | instid1(VALU_DEP_2)
	v_fma_f64 v[40:41], v[59:60], v[4:5], v[40:41]
	v_add_f64 v[0:1], v[0:1], -v[6:7]
	s_delay_alu instid0(VALU_DEP_2)
	v_add_f64 v[2:3], v[2:3], -v[40:41]
	v_dual_mov_b32 v6, v42 :: v_dual_mov_b32 v7, v43
.LBB18_188:
	s_or_b32 exec_lo, exec_lo, s2
	v_lshl_add_u32 v40, v56, 4, v50
	s_barrier
	buffer_gl0_inv
	v_mov_b32_e32 v48, 9
	ds_store_2addr_b64 v40, v[0:1], v[2:3] offset1:1
	s_waitcnt lgkmcnt(0)
	s_barrier
	buffer_gl0_inv
	ds_load_2addr_b64 v[40:43], v50 offset0:18 offset1:19
	s_cmp_lt_i32 s5, 11
	s_cbranch_scc1 .LBB18_191
; %bb.189:
	v_add3_u32 v49, v55, 0, 0xa0
	v_mov_b32_e32 v48, 9
	s_mov_b32 s6, 10
	s_set_inst_prefetch_distance 0x1
	.p2align	6
.LBB18_190:                             ; =>This Inner Loop Header: Depth=1
	ds_load_2addr_b64 v[57:60], v49 offset1:1
	s_waitcnt lgkmcnt(1)
	v_cmp_gt_f64_e32 vcc_lo, 0, v[40:41]
	v_xor_b32_e32 v50, 0x80000000, v41
	v_cmp_gt_f64_e64 s2, 0, v[42:43]
	v_xor_b32_e32 v55, 0x80000000, v43
	v_add_nc_u32_e32 v49, 16, v49
	s_waitcnt lgkmcnt(0)
	v_cmp_gt_f64_e64 s3, 0, v[57:58]
	v_mov_b32_e32 v65, v57
	v_dual_mov_b32 v67, v59 :: v_dual_cndmask_b32 v62, v41, v50
	v_xor_b32_e32 v50, 0x80000000, v58
	v_cndmask_b32_e64 v64, v43, v55, s2
	v_xor_b32_e32 v55, 0x80000000, v60
	v_cndmask_b32_e32 v61, v40, v40, vcc_lo
	v_cndmask_b32_e64 v63, v42, v42, s2
	s_delay_alu instid0(VALU_DEP_1) | instskip(SKIP_2) | instid1(VALU_DEP_1)
	v_add_f64 v[61:62], v[61:62], v[63:64]
	v_cndmask_b32_e64 v66, v58, v50, s3
	v_cmp_gt_f64_e64 s3, 0, v[59:60]
	v_cndmask_b32_e64 v68, v60, v55, s3
	s_delay_alu instid0(VALU_DEP_1) | instskip(NEXT) | instid1(VALU_DEP_1)
	v_add_f64 v[65:66], v[65:66], v[67:68]
	v_cmp_lt_f64_e32 vcc_lo, v[61:62], v[65:66]
	v_dual_cndmask_b32 v42, v42, v59 :: v_dual_cndmask_b32 v41, v41, v58
	v_dual_cndmask_b32 v40, v40, v57 :: v_dual_cndmask_b32 v43, v43, v60
	v_cndmask_b32_e64 v48, v48, s6, vcc_lo
	s_add_i32 s6, s6, 1
	s_delay_alu instid0(SALU_CYCLE_1)
	s_cmp_lg_u32 s5, s6
	s_cbranch_scc1 .LBB18_190
.LBB18_191:
	s_set_inst_prefetch_distance 0x2
	s_waitcnt lgkmcnt(0)
	v_cmp_eq_f64_e32 vcc_lo, 0, v[40:41]
	v_cmp_eq_f64_e64 s2, 0, v[42:43]
	s_delay_alu instid0(VALU_DEP_1) | instskip(NEXT) | instid1(SALU_CYCLE_1)
	s_and_b32 s2, vcc_lo, s2
	s_and_saveexec_b32 s3, s2
	s_delay_alu instid0(SALU_CYCLE_1)
	s_xor_b32 s2, exec_lo, s3
; %bb.192:
	v_cmp_ne_u32_e32 vcc_lo, 0, v54
	v_cndmask_b32_e32 v54, 10, v54, vcc_lo
; %bb.193:
	s_and_not1_saveexec_b32 s3, s2
	s_cbranch_execz .LBB18_199
; %bb.194:
	v_cmp_gt_f64_e32 vcc_lo, 0, v[40:41]
	v_cmp_gt_f64_e64 s2, 0, v[42:43]
	v_xor_b32_e32 v49, 0x80000000, v41
	v_xor_b32_e32 v55, 0x80000000, v43
	s_delay_alu instid0(VALU_DEP_2) | instskip(NEXT) | instid1(VALU_DEP_2)
	v_dual_cndmask_b32 v50, v41, v49 :: v_dual_cndmask_b32 v49, v40, v40
	v_cndmask_b32_e64 v58, v43, v55, s2
	v_cndmask_b32_e64 v57, v42, v42, s2
	s_mov_b32 s2, exec_lo
	s_delay_alu instid0(VALU_DEP_1)
	v_cmpx_ngt_f64_e32 v[49:50], v[57:58]
	s_xor_b32 s2, exec_lo, s2
	s_cbranch_execz .LBB18_196
; %bb.195:
	v_div_scale_f64 v[49:50], null, v[42:43], v[42:43], v[40:41]
	v_div_scale_f64 v[61:62], vcc_lo, v[40:41], v[42:43], v[40:41]
	s_delay_alu instid0(VALU_DEP_2) | instskip(SKIP_2) | instid1(VALU_DEP_1)
	v_rcp_f64_e32 v[57:58], v[49:50]
	s_waitcnt_depctr 0xfff
	v_fma_f64 v[59:60], -v[49:50], v[57:58], 1.0
	v_fma_f64 v[57:58], v[57:58], v[59:60], v[57:58]
	s_delay_alu instid0(VALU_DEP_1) | instskip(NEXT) | instid1(VALU_DEP_1)
	v_fma_f64 v[59:60], -v[49:50], v[57:58], 1.0
	v_fma_f64 v[57:58], v[57:58], v[59:60], v[57:58]
	s_delay_alu instid0(VALU_DEP_1) | instskip(NEXT) | instid1(VALU_DEP_1)
	v_mul_f64 v[59:60], v[61:62], v[57:58]
	v_fma_f64 v[49:50], -v[49:50], v[59:60], v[61:62]
	s_delay_alu instid0(VALU_DEP_1) | instskip(NEXT) | instid1(VALU_DEP_1)
	v_div_fmas_f64 v[49:50], v[49:50], v[57:58], v[59:60]
	v_div_fixup_f64 v[49:50], v[49:50], v[42:43], v[40:41]
	s_delay_alu instid0(VALU_DEP_1) | instskip(NEXT) | instid1(VALU_DEP_1)
	v_fma_f64 v[40:41], v[40:41], v[49:50], v[42:43]
	v_div_scale_f64 v[42:43], null, v[40:41], v[40:41], 1.0
	s_delay_alu instid0(VALU_DEP_1) | instskip(SKIP_2) | instid1(VALU_DEP_1)
	v_rcp_f64_e32 v[57:58], v[42:43]
	s_waitcnt_depctr 0xfff
	v_fma_f64 v[59:60], -v[42:43], v[57:58], 1.0
	v_fma_f64 v[57:58], v[57:58], v[59:60], v[57:58]
	s_delay_alu instid0(VALU_DEP_1) | instskip(NEXT) | instid1(VALU_DEP_1)
	v_fma_f64 v[59:60], -v[42:43], v[57:58], 1.0
	v_fma_f64 v[57:58], v[57:58], v[59:60], v[57:58]
	v_div_scale_f64 v[59:60], vcc_lo, 1.0, v[40:41], 1.0
	s_delay_alu instid0(VALU_DEP_1) | instskip(NEXT) | instid1(VALU_DEP_1)
	v_mul_f64 v[61:62], v[59:60], v[57:58]
	v_fma_f64 v[42:43], -v[42:43], v[61:62], v[59:60]
	s_delay_alu instid0(VALU_DEP_1) | instskip(NEXT) | instid1(VALU_DEP_1)
	v_div_fmas_f64 v[42:43], v[42:43], v[57:58], v[61:62]
	v_div_fixup_f64 v[42:43], v[42:43], v[40:41], 1.0
	s_delay_alu instid0(VALU_DEP_1)
	v_mul_f64 v[40:41], v[49:50], v[42:43]
	v_xor_b32_e32 v43, 0x80000000, v43
.LBB18_196:
	s_and_not1_saveexec_b32 s2, s2
	s_cbranch_execz .LBB18_198
; %bb.197:
	s_delay_alu instid0(VALU_DEP_1) | instskip(SKIP_1) | instid1(VALU_DEP_2)
	v_div_scale_f64 v[49:50], null, v[40:41], v[40:41], v[42:43]
	v_div_scale_f64 v[61:62], vcc_lo, v[42:43], v[40:41], v[42:43]
	v_rcp_f64_e32 v[57:58], v[49:50]
	s_waitcnt_depctr 0xfff
	v_fma_f64 v[59:60], -v[49:50], v[57:58], 1.0
	s_delay_alu instid0(VALU_DEP_1) | instskip(NEXT) | instid1(VALU_DEP_1)
	v_fma_f64 v[57:58], v[57:58], v[59:60], v[57:58]
	v_fma_f64 v[59:60], -v[49:50], v[57:58], 1.0
	s_delay_alu instid0(VALU_DEP_1) | instskip(NEXT) | instid1(VALU_DEP_1)
	v_fma_f64 v[57:58], v[57:58], v[59:60], v[57:58]
	v_mul_f64 v[59:60], v[61:62], v[57:58]
	s_delay_alu instid0(VALU_DEP_1) | instskip(NEXT) | instid1(VALU_DEP_1)
	v_fma_f64 v[49:50], -v[49:50], v[59:60], v[61:62]
	v_div_fmas_f64 v[49:50], v[49:50], v[57:58], v[59:60]
	s_delay_alu instid0(VALU_DEP_1) | instskip(NEXT) | instid1(VALU_DEP_1)
	v_div_fixup_f64 v[49:50], v[49:50], v[40:41], v[42:43]
	v_fma_f64 v[40:41], v[42:43], v[49:50], v[40:41]
	s_delay_alu instid0(VALU_DEP_1) | instskip(NEXT) | instid1(VALU_DEP_1)
	v_div_scale_f64 v[42:43], null, v[40:41], v[40:41], 1.0
	v_rcp_f64_e32 v[57:58], v[42:43]
	s_waitcnt_depctr 0xfff
	v_fma_f64 v[59:60], -v[42:43], v[57:58], 1.0
	s_delay_alu instid0(VALU_DEP_1) | instskip(NEXT) | instid1(VALU_DEP_1)
	v_fma_f64 v[57:58], v[57:58], v[59:60], v[57:58]
	v_fma_f64 v[59:60], -v[42:43], v[57:58], 1.0
	s_delay_alu instid0(VALU_DEP_1) | instskip(SKIP_1) | instid1(VALU_DEP_1)
	v_fma_f64 v[57:58], v[57:58], v[59:60], v[57:58]
	v_div_scale_f64 v[59:60], vcc_lo, 1.0, v[40:41], 1.0
	v_mul_f64 v[61:62], v[59:60], v[57:58]
	s_delay_alu instid0(VALU_DEP_1) | instskip(NEXT) | instid1(VALU_DEP_1)
	v_fma_f64 v[42:43], -v[42:43], v[61:62], v[59:60]
	v_div_fmas_f64 v[42:43], v[42:43], v[57:58], v[61:62]
	s_delay_alu instid0(VALU_DEP_1) | instskip(NEXT) | instid1(VALU_DEP_1)
	v_div_fixup_f64 v[40:41], v[42:43], v[40:41], 1.0
	v_mul_f64 v[42:43], v[49:50], -v[40:41]
.LBB18_198:
	s_or_b32 exec_lo, exec_lo, s2
.LBB18_199:
	s_delay_alu instid0(SALU_CYCLE_1)
	s_or_b32 exec_lo, exec_lo, s3
	v_mov_b32_e32 v49, 9
	s_mov_b32 s2, exec_lo
	v_cmpx_ne_u32_e64 v56, v48
	s_cbranch_execz .LBB18_205
; %bb.200:
	s_mov_b32 s3, exec_lo
	v_cmpx_eq_u32_e32 9, v56
	s_cbranch_execz .LBB18_204
; %bb.201:
	v_cmp_ne_u32_e32 vcc_lo, 9, v48
	s_xor_b32 s4, s4, -1
	s_delay_alu instid0(SALU_CYCLE_1) | instskip(NEXT) | instid1(SALU_CYCLE_1)
	s_and_b32 s5, s4, vcc_lo
	s_and_saveexec_b32 s4, s5
	s_cbranch_execz .LBB18_203
; %bb.202:
	v_ashrrev_i32_e32 v49, 31, v48
	s_delay_alu instid0(VALU_DEP_1) | instskip(NEXT) | instid1(VALU_DEP_1)
	v_lshlrev_b64 v[49:50], 2, v[48:49]
	v_add_co_u32 v49, vcc_lo, v46, v49
	s_delay_alu instid0(VALU_DEP_2)
	v_add_co_ci_u32_e32 v50, vcc_lo, v47, v50, vcc_lo
	s_clause 0x1
	flat_load_b32 v53, v[49:50]
	flat_load_b32 v55, v[46:47] offset:36
	s_waitcnt vmcnt(1) lgkmcnt(1)
	flat_store_b32 v[46:47], v53 offset:36
	s_waitcnt vmcnt(0) lgkmcnt(1)
	flat_store_b32 v[49:50], v55
.LBB18_203:
	s_or_b32 exec_lo, exec_lo, s4
	v_mov_b32_e32 v56, v48
	v_mov_b32_e32 v53, v48
.LBB18_204:
	s_or_b32 exec_lo, exec_lo, s3
	s_delay_alu instid0(VALU_DEP_2)
	v_mov_b32_e32 v49, v56
.LBB18_205:
	s_or_b32 exec_lo, exec_lo, s2
	s_delay_alu instid0(SALU_CYCLE_1)
	s_mov_b32 s2, exec_lo
	s_waitcnt lgkmcnt(0)
	s_waitcnt_vscnt null, 0x0
	s_barrier
	buffer_gl0_inv
	v_cmpx_lt_i32_e32 9, v49
; %bb.206:
	v_mul_f64 v[46:47], v[42:43], v[2:3]
	v_mul_f64 v[2:3], v[40:41], v[2:3]
	s_delay_alu instid0(VALU_DEP_2) | instskip(NEXT) | instid1(VALU_DEP_2)
	v_fma_f64 v[40:41], v[40:41], v[0:1], -v[46:47]
	v_fma_f64 v[2:3], v[42:43], v[0:1], v[2:3]
	s_delay_alu instid0(VALU_DEP_2)
	v_dual_mov_b32 v0, v40 :: v_dual_mov_b32 v1, v41
; %bb.207:
	s_or_b32 exec_lo, exec_lo, s2
	s_load_b256 s[0:7], s[0:1], 0x28
	v_ashrrev_i32_e32 v50, 31, v49
	s_mov_b32 s9, exec_lo
	s_waitcnt lgkmcnt(0)
	s_barrier
	buffer_gl0_inv
	v_cmpx_gt_i32_e32 10, v49
	s_cbranch_execz .LBB18_209
; %bb.208:
	v_mul_lo_u32 v42, v45, s4
	v_mul_lo_u32 v43, v44, s5
	v_mad_u64_u32 v[40:41], null, v44, s4, 0
	s_lshl_b64 s[2:3], s[2:3], 2
	s_delay_alu instid0(SALU_CYCLE_1) | instskip(SKIP_1) | instid1(VALU_DEP_1)
	s_add_u32 s0, s2, s0
	s_addc_u32 s1, s3, s1
	v_add3_u32 v41, v41, v43, v42
	v_lshlrev_b64 v[42:43], 2, v[49:50]
	s_delay_alu instid0(VALU_DEP_2) | instskip(NEXT) | instid1(VALU_DEP_1)
	v_lshlrev_b64 v[40:41], 2, v[40:41]
	v_add_co_u32 v40, vcc_lo, s0, v40
	s_delay_alu instid0(VALU_DEP_2) | instskip(NEXT) | instid1(VALU_DEP_2)
	v_add_co_ci_u32_e32 v41, vcc_lo, s1, v41, vcc_lo
	v_add_co_u32 v40, vcc_lo, v40, v42
	s_delay_alu instid0(VALU_DEP_2)
	v_add_co_ci_u32_e32 v41, vcc_lo, v41, v43, vcc_lo
	v_add3_u32 v42, v53, s13, 1
	global_store_b32 v[40:41], v42, off
.LBB18_209:
	s_or_b32 exec_lo, exec_lo, s9
	s_delay_alu instid0(SALU_CYCLE_1)
	s_mov_b32 s1, exec_lo
	v_cmpx_eq_u32_e32 0, v49
	s_cbranch_execz .LBB18_212
; %bb.210:
	v_lshlrev_b64 v[40:41], 2, v[44:45]
	v_cmp_lt_i32_e64 s0, 0, v54
	s_delay_alu instid0(VALU_DEP_2) | instskip(NEXT) | instid1(VALU_DEP_3)
	v_add_co_u32 v40, vcc_lo, s6, v40
	v_add_co_ci_u32_e32 v41, vcc_lo, s7, v41, vcc_lo
	global_load_b32 v42, v[40:41], off
	s_waitcnt vmcnt(0)
	v_cmp_eq_u32_e32 vcc_lo, 0, v42
	s_and_b32 s0, vcc_lo, s0
	s_delay_alu instid0(SALU_CYCLE_1)
	s_and_b32 exec_lo, exec_lo, s0
	s_cbranch_execz .LBB18_212
; %bb.211:
	v_add_nc_u32_e32 v42, s13, v54
	global_store_b32 v[40:41], v42, off
.LBB18_212:
	s_or_b32 exec_lo, exec_lo, s1
	v_add3_u32 v40, s8, s8, v49
	v_lshlrev_b64 v[42:43], 4, v[49:50]
	s_delay_alu instid0(VALU_DEP_2) | instskip(SKIP_1) | instid1(VALU_DEP_3)
	v_ashrrev_i32_e32 v41, 31, v40
	v_add_nc_u32_e32 v44, s8, v40
	v_add_co_u32 v42, vcc_lo, v51, v42
	s_delay_alu instid0(VALU_DEP_4) | instskip(NEXT) | instid1(VALU_DEP_4)
	v_add_co_ci_u32_e32 v43, vcc_lo, v52, v43, vcc_lo
	v_lshlrev_b64 v[40:41], 4, v[40:41]
	s_delay_alu instid0(VALU_DEP_3) | instskip(SKIP_1) | instid1(VALU_DEP_4)
	v_add_co_u32 v48, vcc_lo, v42, s10
	v_add_nc_u32_e32 v46, s8, v44
	v_add_co_ci_u32_e32 v49, vcc_lo, s11, v43, vcc_lo
	v_ashrrev_i32_e32 v45, 31, v44
	v_add_co_u32 v40, vcc_lo, v51, v40
	v_add_co_ci_u32_e32 v41, vcc_lo, v52, v41, vcc_lo
	v_ashrrev_i32_e32 v47, 31, v46
	global_store_b128 v[42:43], v[28:31], off
	v_lshlrev_b64 v[28:29], 4, v[44:45]
	s_clause 0x1
	global_store_b128 v[48:49], v[24:27], off
	global_store_b128 v[40:41], v[36:39], off
	v_add_nc_u32_e32 v26, s8, v46
	v_lshlrev_b64 v[24:25], 4, v[46:47]
	v_add_co_u32 v28, vcc_lo, v51, v28
	s_delay_alu instid0(VALU_DEP_3) | instskip(SKIP_1) | instid1(VALU_DEP_4)
	v_add_nc_u32_e32 v30, s8, v26
	v_add_co_ci_u32_e32 v29, vcc_lo, v52, v29, vcc_lo
	v_add_co_u32 v24, vcc_lo, v51, v24
	v_add_co_ci_u32_e32 v25, vcc_lo, v52, v25, vcc_lo
	s_delay_alu instid0(VALU_DEP_4)
	v_add_nc_u32_e32 v36, s8, v30
	v_ashrrev_i32_e32 v27, 31, v26
	s_clause 0x1
	global_store_b128 v[28:29], v[20:23], off
	global_store_b128 v[24:25], v[32:35], off
	v_ashrrev_i32_e32 v31, 31, v30
	v_add_nc_u32_e32 v24, s8, v36
	v_lshlrev_b64 v[20:21], 4, v[26:27]
	v_ashrrev_i32_e32 v37, 31, v36
	s_delay_alu instid0(VALU_DEP_4) | instskip(NEXT) | instid1(VALU_DEP_4)
	v_lshlrev_b64 v[22:23], 4, v[30:31]
	v_add_nc_u32_e32 v28, s8, v24
	v_ashrrev_i32_e32 v25, 31, v24
	v_add_co_u32 v20, vcc_lo, v51, v20
	v_lshlrev_b64 v[26:27], 4, v[36:37]
	s_delay_alu instid0(VALU_DEP_4)
	v_ashrrev_i32_e32 v29, 31, v28
	v_add_co_ci_u32_e32 v21, vcc_lo, v52, v21, vcc_lo
	v_add_co_u32 v22, vcc_lo, v51, v22
	v_lshlrev_b64 v[24:25], 4, v[24:25]
	v_add_co_ci_u32_e32 v23, vcc_lo, v52, v23, vcc_lo
	v_add_co_u32 v26, vcc_lo, v51, v26
	v_lshlrev_b64 v[28:29], 4, v[28:29]
	v_add_co_ci_u32_e32 v27, vcc_lo, v52, v27, vcc_lo
	v_add_co_u32 v24, vcc_lo, v51, v24
	v_add_co_ci_u32_e32 v25, vcc_lo, v52, v25, vcc_lo
	s_delay_alu instid0(VALU_DEP_4)
	v_add_co_u32 v28, vcc_lo, v51, v28
	v_add_co_ci_u32_e32 v29, vcc_lo, v52, v29, vcc_lo
	s_clause 0x4
	global_store_b128 v[20:21], v[16:19], off
	global_store_b128 v[22:23], v[12:15], off
	global_store_b128 v[26:27], v[8:11], off
	global_store_b128 v[24:25], v[4:7], off
	global_store_b128 v[28:29], v[0:3], off
.LBB18_213:
	s_nop 0
	s_sendmsg sendmsg(MSG_DEALLOC_VGPRS)
	s_endpgm
	.section	.rodata,"a",@progbits
	.p2align	6, 0x0
	.amdhsa_kernel _ZN9rocsolver6v33100L18getf2_small_kernelILi10E19rocblas_complex_numIdEiiPKPS3_EEvT1_T3_lS7_lPS7_llPT2_S7_S7_S9_l
		.amdhsa_group_segment_fixed_size 0
		.amdhsa_private_segment_fixed_size 0
		.amdhsa_kernarg_size 352
		.amdhsa_user_sgpr_count 14
		.amdhsa_user_sgpr_dispatch_ptr 0
		.amdhsa_user_sgpr_queue_ptr 0
		.amdhsa_user_sgpr_kernarg_segment_ptr 1
		.amdhsa_user_sgpr_dispatch_id 0
		.amdhsa_user_sgpr_private_segment_size 0
		.amdhsa_wavefront_size32 1
		.amdhsa_uses_dynamic_stack 0
		.amdhsa_enable_private_segment 0
		.amdhsa_system_sgpr_workgroup_id_x 1
		.amdhsa_system_sgpr_workgroup_id_y 1
		.amdhsa_system_sgpr_workgroup_id_z 0
		.amdhsa_system_sgpr_workgroup_info 0
		.amdhsa_system_vgpr_workitem_id 1
		.amdhsa_next_free_vgpr 124
		.amdhsa_next_free_sgpr 16
		.amdhsa_reserve_vcc 1
		.amdhsa_float_round_mode_32 0
		.amdhsa_float_round_mode_16_64 0
		.amdhsa_float_denorm_mode_32 3
		.amdhsa_float_denorm_mode_16_64 3
		.amdhsa_dx10_clamp 1
		.amdhsa_ieee_mode 1
		.amdhsa_fp16_overflow 0
		.amdhsa_workgroup_processor_mode 1
		.amdhsa_memory_ordered 1
		.amdhsa_forward_progress 0
		.amdhsa_shared_vgpr_count 0
		.amdhsa_exception_fp_ieee_invalid_op 0
		.amdhsa_exception_fp_denorm_src 0
		.amdhsa_exception_fp_ieee_div_zero 0
		.amdhsa_exception_fp_ieee_overflow 0
		.amdhsa_exception_fp_ieee_underflow 0
		.amdhsa_exception_fp_ieee_inexact 0
		.amdhsa_exception_int_div_zero 0
	.end_amdhsa_kernel
	.section	.text._ZN9rocsolver6v33100L18getf2_small_kernelILi10E19rocblas_complex_numIdEiiPKPS3_EEvT1_T3_lS7_lPS7_llPT2_S7_S7_S9_l,"axG",@progbits,_ZN9rocsolver6v33100L18getf2_small_kernelILi10E19rocblas_complex_numIdEiiPKPS3_EEvT1_T3_lS7_lPS7_llPT2_S7_S7_S9_l,comdat
.Lfunc_end18:
	.size	_ZN9rocsolver6v33100L18getf2_small_kernelILi10E19rocblas_complex_numIdEiiPKPS3_EEvT1_T3_lS7_lPS7_llPT2_S7_S7_S9_l, .Lfunc_end18-_ZN9rocsolver6v33100L18getf2_small_kernelILi10E19rocblas_complex_numIdEiiPKPS3_EEvT1_T3_lS7_lPS7_llPT2_S7_S7_S9_l
                                        ; -- End function
	.section	.AMDGPU.csdata,"",@progbits
; Kernel info:
; codeLenInByte = 15956
; NumSgprs: 18
; NumVgprs: 124
; ScratchSize: 0
; MemoryBound: 0
; FloatMode: 240
; IeeeMode: 1
; LDSByteSize: 0 bytes/workgroup (compile time only)
; SGPRBlocks: 2
; VGPRBlocks: 15
; NumSGPRsForWavesPerEU: 18
; NumVGPRsForWavesPerEU: 124
; Occupancy: 10
; WaveLimiterHint : 1
; COMPUTE_PGM_RSRC2:SCRATCH_EN: 0
; COMPUTE_PGM_RSRC2:USER_SGPR: 14
; COMPUTE_PGM_RSRC2:TRAP_HANDLER: 0
; COMPUTE_PGM_RSRC2:TGID_X_EN: 1
; COMPUTE_PGM_RSRC2:TGID_Y_EN: 1
; COMPUTE_PGM_RSRC2:TGID_Z_EN: 0
; COMPUTE_PGM_RSRC2:TIDIG_COMP_CNT: 1
	.section	.text._ZN9rocsolver6v33100L23getf2_npvt_small_kernelILi10E19rocblas_complex_numIdEiiPKPS3_EEvT1_T3_lS7_lPT2_S7_S7_,"axG",@progbits,_ZN9rocsolver6v33100L23getf2_npvt_small_kernelILi10E19rocblas_complex_numIdEiiPKPS3_EEvT1_T3_lS7_lPT2_S7_S7_,comdat
	.globl	_ZN9rocsolver6v33100L23getf2_npvt_small_kernelILi10E19rocblas_complex_numIdEiiPKPS3_EEvT1_T3_lS7_lPT2_S7_S7_ ; -- Begin function _ZN9rocsolver6v33100L23getf2_npvt_small_kernelILi10E19rocblas_complex_numIdEiiPKPS3_EEvT1_T3_lS7_lPT2_S7_S7_
	.p2align	8
	.type	_ZN9rocsolver6v33100L23getf2_npvt_small_kernelILi10E19rocblas_complex_numIdEiiPKPS3_EEvT1_T3_lS7_lPT2_S7_S7_,@function
_ZN9rocsolver6v33100L23getf2_npvt_small_kernelILi10E19rocblas_complex_numIdEiiPKPS3_EEvT1_T3_lS7_lPT2_S7_S7_: ; @_ZN9rocsolver6v33100L23getf2_npvt_small_kernelILi10E19rocblas_complex_numIdEiiPKPS3_EEvT1_T3_lS7_lPT2_S7_S7_
; %bb.0:
	s_clause 0x1
	s_load_b32 s2, s[0:1], 0x44
	s_load_b64 s[8:9], s[0:1], 0x30
	v_bfe_u32 v40, v0, 10, 10
	s_waitcnt lgkmcnt(0)
	s_lshr_b32 s10, s2, 16
	s_mov_b32 s2, exec_lo
	s_delay_alu instid0(VALU_DEP_1) | instskip(NEXT) | instid1(VALU_DEP_1)
	v_mad_u64_u32 v[80:81], null, s15, s10, v[40:41]
	v_cmpx_gt_i32_e64 s8, v80
	s_cbranch_execz .LBB19_95
; %bb.1:
	s_clause 0x1
	s_load_b128 s[4:7], s[0:1], 0x8
	s_load_b32 s2, s[0:1], 0x18
	v_ashrrev_i32_e32 v81, 31, v80
	v_and_b32_e32 v104, 0x3ff, v0
	v_lshlrev_b32_e32 v41, 4, v40
	s_mulk_i32 s10, 0xa0
	v_mad_u32_u24 v106, 0xa0, v40, 0
	v_lshlrev_b64 v[1:2], 3, v[80:81]
	v_lshlrev_b32_e32 v19, 4, v104
	v_add3_u32 v105, 0, s10, v41
	s_waitcnt lgkmcnt(0)
	s_delay_alu instid0(VALU_DEP_3) | instskip(NEXT) | instid1(VALU_DEP_4)
	v_add_co_u32 v1, vcc_lo, s4, v1
	v_add_co_ci_u32_e32 v2, vcc_lo, s5, v2, vcc_lo
	v_add3_u32 v3, s2, s2, v104
	s_lshl_b64 s[4:5], s[6:7], 4
	s_ashr_i32 s3, s2, 31
	global_load_b64 v[1:2], v[1:2], off
	s_lshl_b64 s[6:7], s[2:3], 4
	v_add_nc_u32_e32 v5, s2, v3
	v_ashrrev_i32_e32 v4, 31, v3
	v_cmp_ne_u32_e64 s3, 0, v104
	s_delay_alu instid0(VALU_DEP_3) | instskip(SKIP_1) | instid1(VALU_DEP_4)
	v_add_nc_u32_e32 v7, s2, v5
	v_ashrrev_i32_e32 v6, 31, v5
	v_lshlrev_b64 v[3:4], 4, v[3:4]
	s_delay_alu instid0(VALU_DEP_3) | instskip(SKIP_1) | instid1(VALU_DEP_4)
	v_add_nc_u32_e32 v9, s2, v7
	v_ashrrev_i32_e32 v8, 31, v7
	v_lshlrev_b64 v[5:6], 4, v[5:6]
	s_delay_alu instid0(VALU_DEP_3) | instskip(SKIP_1) | instid1(VALU_DEP_4)
	v_add_nc_u32_e32 v11, s2, v9
	v_ashrrev_i32_e32 v10, 31, v9
	v_lshlrev_b64 v[7:8], 4, v[7:8]
	s_delay_alu instid0(VALU_DEP_3) | instskip(SKIP_1) | instid1(VALU_DEP_4)
	v_add_nc_u32_e32 v13, s2, v11
	v_ashrrev_i32_e32 v12, 31, v11
	v_lshlrev_b64 v[9:10], 4, v[9:10]
	s_delay_alu instid0(VALU_DEP_3) | instskip(SKIP_1) | instid1(VALU_DEP_4)
	v_add_nc_u32_e32 v15, s2, v13
	v_ashrrev_i32_e32 v14, 31, v13
	v_lshlrev_b64 v[11:12], 4, v[11:12]
	s_delay_alu instid0(VALU_DEP_3) | instskip(SKIP_1) | instid1(VALU_DEP_4)
	v_add_nc_u32_e32 v17, s2, v15
	v_ashrrev_i32_e32 v16, 31, v15
	v_lshlrev_b64 v[13:14], 4, v[13:14]
	v_cmp_eq_u32_e64 s2, 0, v104
	s_delay_alu instid0(VALU_DEP_4) | instskip(NEXT) | instid1(VALU_DEP_4)
	v_ashrrev_i32_e32 v18, 31, v17
	v_lshlrev_b64 v[15:16], 4, v[15:16]
	s_waitcnt vmcnt(0)
	v_add_co_u32 v20, vcc_lo, v1, s4
	v_add_co_ci_u32_e32 v2, vcc_lo, s5, v2, vcc_lo
	v_lshlrev_b64 v[0:1], 4, v[17:18]
	s_delay_alu instid0(VALU_DEP_3) | instskip(NEXT) | instid1(VALU_DEP_3)
	v_add_co_u32 v98, vcc_lo, v20, v19
	v_add_co_ci_u32_e32 v99, vcc_lo, 0, v2, vcc_lo
	v_add_co_u32 v96, vcc_lo, v20, v3
	v_add_co_ci_u32_e32 v97, vcc_lo, v2, v4, vcc_lo
	;; [unrolled: 2-line block ×10, first 2 shown]
	s_clause 0x9
	global_load_b128 v[28:31], v[96:97], off
	global_load_b128 v[24:27], v[94:95], off
	;; [unrolled: 1-line block ×10, first 2 shown]
	s_and_saveexec_b32 s5, s2
	s_cbranch_execz .LBB19_8
; %bb.2:
	s_waitcnt vmcnt(3)
	ds_store_2addr_b64 v105, v[36:37], v[38:39] offset1:1
	s_waitcnt vmcnt(2)
	ds_store_2addr_b64 v106, v[32:33], v[34:35] offset0:2 offset1:3
	ds_store_2addr_b64 v106, v[28:29], v[30:31] offset0:4 offset1:5
	;; [unrolled: 1-line block ×7, first 2 shown]
	s_waitcnt vmcnt(1)
	ds_store_2addr_b64 v106, v[4:5], v[6:7] offset0:16 offset1:17
	s_waitcnt vmcnt(0)
	ds_store_2addr_b64 v106, v[0:1], v[2:3] offset0:18 offset1:19
	ds_load_2addr_b64 v[40:43], v105 offset1:1
	s_waitcnt lgkmcnt(0)
	v_cmp_neq_f64_e32 vcc_lo, 0, v[40:41]
	v_cmp_neq_f64_e64 s4, 0, v[42:43]
	s_delay_alu instid0(VALU_DEP_1) | instskip(NEXT) | instid1(SALU_CYCLE_1)
	s_or_b32 s4, vcc_lo, s4
	s_and_b32 exec_lo, exec_lo, s4
	s_cbranch_execz .LBB19_8
; %bb.3:
	v_cmp_gt_f64_e32 vcc_lo, 0, v[40:41]
	v_cmp_gt_f64_e64 s4, 0, v[42:43]
	v_xor_b32_e32 v44, 0x80000000, v41
	v_xor_b32_e32 v46, 0x80000000, v43
                                        ; implicit-def: $vgpr48_vgpr49
	s_delay_alu instid0(VALU_DEP_2) | instskip(NEXT) | instid1(VALU_DEP_2)
	v_cndmask_b32_e32 v45, v41, v44, vcc_lo
	v_cndmask_b32_e64 v47, v43, v46, s4
	v_cndmask_b32_e32 v44, v40, v40, vcc_lo
	v_cndmask_b32_e64 v46, v42, v42, s4
	s_mov_b32 s4, exec_lo
	s_delay_alu instid0(VALU_DEP_1)
	v_cmpx_ngt_f64_e32 v[44:45], v[46:47]
	s_xor_b32 s4, exec_lo, s4
                                        ; implicit-def: $vgpr44_vgpr45_vgpr46_vgpr47
	s_cbranch_execz .LBB19_5
; %bb.4:
	v_div_scale_f64 v[44:45], null, v[42:43], v[42:43], v[40:41]
	v_div_scale_f64 v[50:51], vcc_lo, v[40:41], v[42:43], v[40:41]
	s_delay_alu instid0(VALU_DEP_2) | instskip(SKIP_2) | instid1(VALU_DEP_1)
	v_rcp_f64_e32 v[46:47], v[44:45]
	s_waitcnt_depctr 0xfff
	v_fma_f64 v[48:49], -v[44:45], v[46:47], 1.0
	v_fma_f64 v[46:47], v[46:47], v[48:49], v[46:47]
	s_delay_alu instid0(VALU_DEP_1) | instskip(NEXT) | instid1(VALU_DEP_1)
	v_fma_f64 v[48:49], -v[44:45], v[46:47], 1.0
	v_fma_f64 v[46:47], v[46:47], v[48:49], v[46:47]
	s_delay_alu instid0(VALU_DEP_1) | instskip(NEXT) | instid1(VALU_DEP_1)
	v_mul_f64 v[48:49], v[50:51], v[46:47]
	v_fma_f64 v[44:45], -v[44:45], v[48:49], v[50:51]
	s_delay_alu instid0(VALU_DEP_1) | instskip(NEXT) | instid1(VALU_DEP_1)
	v_div_fmas_f64 v[44:45], v[44:45], v[46:47], v[48:49]
	v_div_fixup_f64 v[44:45], v[44:45], v[42:43], v[40:41]
	s_delay_alu instid0(VALU_DEP_1) | instskip(NEXT) | instid1(VALU_DEP_1)
	v_fma_f64 v[40:41], v[40:41], v[44:45], v[42:43]
	v_div_scale_f64 v[42:43], null, v[40:41], v[40:41], 1.0
	s_delay_alu instid0(VALU_DEP_1) | instskip(SKIP_2) | instid1(VALU_DEP_1)
	v_rcp_f64_e32 v[46:47], v[42:43]
	s_waitcnt_depctr 0xfff
	v_fma_f64 v[48:49], -v[42:43], v[46:47], 1.0
	v_fma_f64 v[46:47], v[46:47], v[48:49], v[46:47]
	s_delay_alu instid0(VALU_DEP_1) | instskip(NEXT) | instid1(VALU_DEP_1)
	v_fma_f64 v[48:49], -v[42:43], v[46:47], 1.0
	v_fma_f64 v[46:47], v[46:47], v[48:49], v[46:47]
	v_div_scale_f64 v[48:49], vcc_lo, 1.0, v[40:41], 1.0
	s_delay_alu instid0(VALU_DEP_1) | instskip(NEXT) | instid1(VALU_DEP_1)
	v_mul_f64 v[50:51], v[48:49], v[46:47]
	v_fma_f64 v[42:43], -v[42:43], v[50:51], v[48:49]
	s_delay_alu instid0(VALU_DEP_1) | instskip(NEXT) | instid1(VALU_DEP_1)
	v_div_fmas_f64 v[42:43], v[42:43], v[46:47], v[50:51]
	v_div_fixup_f64 v[46:47], v[42:43], v[40:41], 1.0
                                        ; implicit-def: $vgpr40_vgpr41
	s_delay_alu instid0(VALU_DEP_1)
	v_mul_f64 v[48:49], v[44:45], v[46:47]
	v_xor_b32_e32 v47, 0x80000000, v47
.LBB19_5:
	s_and_not1_saveexec_b32 s4, s4
	s_cbranch_execz .LBB19_7
; %bb.6:
	v_div_scale_f64 v[44:45], null, v[40:41], v[40:41], v[42:43]
	v_div_scale_f64 v[50:51], vcc_lo, v[42:43], v[40:41], v[42:43]
	s_delay_alu instid0(VALU_DEP_2) | instskip(SKIP_2) | instid1(VALU_DEP_1)
	v_rcp_f64_e32 v[46:47], v[44:45]
	s_waitcnt_depctr 0xfff
	v_fma_f64 v[48:49], -v[44:45], v[46:47], 1.0
	v_fma_f64 v[46:47], v[46:47], v[48:49], v[46:47]
	s_delay_alu instid0(VALU_DEP_1) | instskip(NEXT) | instid1(VALU_DEP_1)
	v_fma_f64 v[48:49], -v[44:45], v[46:47], 1.0
	v_fma_f64 v[46:47], v[46:47], v[48:49], v[46:47]
	s_delay_alu instid0(VALU_DEP_1) | instskip(NEXT) | instid1(VALU_DEP_1)
	v_mul_f64 v[48:49], v[50:51], v[46:47]
	v_fma_f64 v[44:45], -v[44:45], v[48:49], v[50:51]
	s_delay_alu instid0(VALU_DEP_1) | instskip(NEXT) | instid1(VALU_DEP_1)
	v_div_fmas_f64 v[44:45], v[44:45], v[46:47], v[48:49]
	v_div_fixup_f64 v[44:45], v[44:45], v[40:41], v[42:43]
	s_delay_alu instid0(VALU_DEP_1) | instskip(NEXT) | instid1(VALU_DEP_1)
	v_fma_f64 v[40:41], v[42:43], v[44:45], v[40:41]
	v_div_scale_f64 v[42:43], null, v[40:41], v[40:41], 1.0
	s_delay_alu instid0(VALU_DEP_1) | instskip(SKIP_2) | instid1(VALU_DEP_1)
	v_rcp_f64_e32 v[46:47], v[42:43]
	s_waitcnt_depctr 0xfff
	v_fma_f64 v[48:49], -v[42:43], v[46:47], 1.0
	v_fma_f64 v[46:47], v[46:47], v[48:49], v[46:47]
	s_delay_alu instid0(VALU_DEP_1) | instskip(NEXT) | instid1(VALU_DEP_1)
	v_fma_f64 v[48:49], -v[42:43], v[46:47], 1.0
	v_fma_f64 v[46:47], v[46:47], v[48:49], v[46:47]
	v_div_scale_f64 v[48:49], vcc_lo, 1.0, v[40:41], 1.0
	s_delay_alu instid0(VALU_DEP_1) | instskip(NEXT) | instid1(VALU_DEP_1)
	v_mul_f64 v[50:51], v[48:49], v[46:47]
	v_fma_f64 v[42:43], -v[42:43], v[50:51], v[48:49]
	s_delay_alu instid0(VALU_DEP_1) | instskip(NEXT) | instid1(VALU_DEP_1)
	v_div_fmas_f64 v[42:43], v[42:43], v[46:47], v[50:51]
	v_div_fixup_f64 v[48:49], v[42:43], v[40:41], 1.0
	s_delay_alu instid0(VALU_DEP_1)
	v_mul_f64 v[46:47], v[44:45], -v[48:49]
.LBB19_7:
	s_or_b32 exec_lo, exec_lo, s4
	ds_store_2addr_b64 v105, v[48:49], v[46:47] offset1:1
.LBB19_8:
	s_or_b32 exec_lo, exec_lo, s5
	s_waitcnt vmcnt(0) lgkmcnt(0)
	s_barrier
	buffer_gl0_inv
	ds_load_2addr_b64 v[40:43], v105 offset1:1
	s_and_saveexec_b32 s4, s3
	s_cbranch_execz .LBB19_10
; %bb.9:
	s_waitcnt lgkmcnt(0)
	v_mul_f64 v[44:45], v[40:41], v[38:39]
	v_mul_f64 v[38:39], v[42:43], v[38:39]
	s_delay_alu instid0(VALU_DEP_2)
	v_fma_f64 v[102:103], v[42:43], v[36:37], v[44:45]
	ds_load_2addr_b64 v[44:47], v106 offset0:2 offset1:3
	ds_load_2addr_b64 v[48:51], v106 offset0:4 offset1:5
	;; [unrolled: 1-line block ×9, first 2 shown]
	v_fma_f64 v[36:37], v[40:41], v[36:37], -v[38:39]
	s_waitcnt lgkmcnt(8)
	v_mul_f64 v[38:39], v[46:47], v[102:103]
	v_mul_f64 v[107:108], v[44:45], v[102:103]
	s_waitcnt lgkmcnt(7)
	v_mul_f64 v[109:110], v[50:51], v[102:103]
	v_mul_f64 v[111:112], v[48:49], v[102:103]
	;; [unrolled: 3-line block ×9, first 2 shown]
	v_fma_f64 v[38:39], v[44:45], v[36:37], -v[38:39]
	v_fma_f64 v[44:45], v[46:47], v[36:37], v[107:108]
	v_fma_f64 v[46:47], v[48:49], v[36:37], -v[109:110]
	v_fma_f64 v[48:49], v[50:51], v[36:37], v[111:112]
	;; [unrolled: 2-line block ×9, first 2 shown]
	v_add_f64 v[32:33], v[32:33], -v[38:39]
	v_add_f64 v[34:35], v[34:35], -v[44:45]
	;; [unrolled: 1-line block ×18, first 2 shown]
	v_dual_mov_b32 v38, v102 :: v_dual_mov_b32 v39, v103
.LBB19_10:
	s_or_b32 exec_lo, exec_lo, s4
	s_delay_alu instid0(SALU_CYCLE_1)
	s_mov_b32 s4, exec_lo
	s_waitcnt lgkmcnt(0)
	s_barrier
	buffer_gl0_inv
	v_cmpx_eq_u32_e32 1, v104
	s_cbranch_execz .LBB19_17
; %bb.11:
	ds_store_2addr_b64 v105, v[32:33], v[34:35] offset1:1
	ds_store_2addr_b64 v106, v[28:29], v[30:31] offset0:4 offset1:5
	ds_store_2addr_b64 v106, v[24:25], v[26:27] offset0:6 offset1:7
	;; [unrolled: 1-line block ×8, first 2 shown]
	ds_load_2addr_b64 v[44:47], v105 offset1:1
	s_waitcnt lgkmcnt(0)
	v_cmp_neq_f64_e32 vcc_lo, 0, v[44:45]
	v_cmp_neq_f64_e64 s3, 0, v[46:47]
	s_delay_alu instid0(VALU_DEP_1) | instskip(NEXT) | instid1(SALU_CYCLE_1)
	s_or_b32 s3, vcc_lo, s3
	s_and_b32 exec_lo, exec_lo, s3
	s_cbranch_execz .LBB19_17
; %bb.12:
	v_cmp_gt_f64_e32 vcc_lo, 0, v[44:45]
	v_cmp_gt_f64_e64 s3, 0, v[46:47]
	v_xor_b32_e32 v48, 0x80000000, v45
	v_xor_b32_e32 v50, 0x80000000, v47
                                        ; implicit-def: $vgpr52_vgpr53
	s_delay_alu instid0(VALU_DEP_2) | instskip(NEXT) | instid1(VALU_DEP_2)
	v_cndmask_b32_e32 v49, v45, v48, vcc_lo
	v_cndmask_b32_e64 v51, v47, v50, s3
	v_cndmask_b32_e32 v48, v44, v44, vcc_lo
	v_cndmask_b32_e64 v50, v46, v46, s3
	s_mov_b32 s3, exec_lo
	s_delay_alu instid0(VALU_DEP_1)
	v_cmpx_ngt_f64_e32 v[48:49], v[50:51]
	s_xor_b32 s3, exec_lo, s3
                                        ; implicit-def: $vgpr48_vgpr49_vgpr50_vgpr51
	s_cbranch_execz .LBB19_14
; %bb.13:
	v_div_scale_f64 v[48:49], null, v[46:47], v[46:47], v[44:45]
	v_div_scale_f64 v[54:55], vcc_lo, v[44:45], v[46:47], v[44:45]
	s_delay_alu instid0(VALU_DEP_2) | instskip(SKIP_2) | instid1(VALU_DEP_1)
	v_rcp_f64_e32 v[50:51], v[48:49]
	s_waitcnt_depctr 0xfff
	v_fma_f64 v[52:53], -v[48:49], v[50:51], 1.0
	v_fma_f64 v[50:51], v[50:51], v[52:53], v[50:51]
	s_delay_alu instid0(VALU_DEP_1) | instskip(NEXT) | instid1(VALU_DEP_1)
	v_fma_f64 v[52:53], -v[48:49], v[50:51], 1.0
	v_fma_f64 v[50:51], v[50:51], v[52:53], v[50:51]
	s_delay_alu instid0(VALU_DEP_1) | instskip(NEXT) | instid1(VALU_DEP_1)
	v_mul_f64 v[52:53], v[54:55], v[50:51]
	v_fma_f64 v[48:49], -v[48:49], v[52:53], v[54:55]
	s_delay_alu instid0(VALU_DEP_1) | instskip(NEXT) | instid1(VALU_DEP_1)
	v_div_fmas_f64 v[48:49], v[48:49], v[50:51], v[52:53]
	v_div_fixup_f64 v[48:49], v[48:49], v[46:47], v[44:45]
	s_delay_alu instid0(VALU_DEP_1) | instskip(NEXT) | instid1(VALU_DEP_1)
	v_fma_f64 v[44:45], v[44:45], v[48:49], v[46:47]
	v_div_scale_f64 v[46:47], null, v[44:45], v[44:45], 1.0
	s_delay_alu instid0(VALU_DEP_1) | instskip(SKIP_2) | instid1(VALU_DEP_1)
	v_rcp_f64_e32 v[50:51], v[46:47]
	s_waitcnt_depctr 0xfff
	v_fma_f64 v[52:53], -v[46:47], v[50:51], 1.0
	v_fma_f64 v[50:51], v[50:51], v[52:53], v[50:51]
	s_delay_alu instid0(VALU_DEP_1) | instskip(NEXT) | instid1(VALU_DEP_1)
	v_fma_f64 v[52:53], -v[46:47], v[50:51], 1.0
	v_fma_f64 v[50:51], v[50:51], v[52:53], v[50:51]
	v_div_scale_f64 v[52:53], vcc_lo, 1.0, v[44:45], 1.0
	s_delay_alu instid0(VALU_DEP_1) | instskip(NEXT) | instid1(VALU_DEP_1)
	v_mul_f64 v[54:55], v[52:53], v[50:51]
	v_fma_f64 v[46:47], -v[46:47], v[54:55], v[52:53]
	s_delay_alu instid0(VALU_DEP_1) | instskip(NEXT) | instid1(VALU_DEP_1)
	v_div_fmas_f64 v[46:47], v[46:47], v[50:51], v[54:55]
	v_div_fixup_f64 v[50:51], v[46:47], v[44:45], 1.0
                                        ; implicit-def: $vgpr44_vgpr45
	s_delay_alu instid0(VALU_DEP_1)
	v_mul_f64 v[52:53], v[48:49], v[50:51]
	v_xor_b32_e32 v51, 0x80000000, v51
.LBB19_14:
	s_and_not1_saveexec_b32 s3, s3
	s_cbranch_execz .LBB19_16
; %bb.15:
	v_div_scale_f64 v[48:49], null, v[44:45], v[44:45], v[46:47]
	v_div_scale_f64 v[54:55], vcc_lo, v[46:47], v[44:45], v[46:47]
	s_delay_alu instid0(VALU_DEP_2) | instskip(SKIP_2) | instid1(VALU_DEP_1)
	v_rcp_f64_e32 v[50:51], v[48:49]
	s_waitcnt_depctr 0xfff
	v_fma_f64 v[52:53], -v[48:49], v[50:51], 1.0
	v_fma_f64 v[50:51], v[50:51], v[52:53], v[50:51]
	s_delay_alu instid0(VALU_DEP_1) | instskip(NEXT) | instid1(VALU_DEP_1)
	v_fma_f64 v[52:53], -v[48:49], v[50:51], 1.0
	v_fma_f64 v[50:51], v[50:51], v[52:53], v[50:51]
	s_delay_alu instid0(VALU_DEP_1) | instskip(NEXT) | instid1(VALU_DEP_1)
	v_mul_f64 v[52:53], v[54:55], v[50:51]
	v_fma_f64 v[48:49], -v[48:49], v[52:53], v[54:55]
	s_delay_alu instid0(VALU_DEP_1) | instskip(NEXT) | instid1(VALU_DEP_1)
	v_div_fmas_f64 v[48:49], v[48:49], v[50:51], v[52:53]
	v_div_fixup_f64 v[48:49], v[48:49], v[44:45], v[46:47]
	s_delay_alu instid0(VALU_DEP_1) | instskip(NEXT) | instid1(VALU_DEP_1)
	v_fma_f64 v[44:45], v[46:47], v[48:49], v[44:45]
	v_div_scale_f64 v[46:47], null, v[44:45], v[44:45], 1.0
	s_delay_alu instid0(VALU_DEP_1) | instskip(SKIP_2) | instid1(VALU_DEP_1)
	v_rcp_f64_e32 v[50:51], v[46:47]
	s_waitcnt_depctr 0xfff
	v_fma_f64 v[52:53], -v[46:47], v[50:51], 1.0
	v_fma_f64 v[50:51], v[50:51], v[52:53], v[50:51]
	s_delay_alu instid0(VALU_DEP_1) | instskip(NEXT) | instid1(VALU_DEP_1)
	v_fma_f64 v[52:53], -v[46:47], v[50:51], 1.0
	v_fma_f64 v[50:51], v[50:51], v[52:53], v[50:51]
	v_div_scale_f64 v[52:53], vcc_lo, 1.0, v[44:45], 1.0
	s_delay_alu instid0(VALU_DEP_1) | instskip(NEXT) | instid1(VALU_DEP_1)
	v_mul_f64 v[54:55], v[52:53], v[50:51]
	v_fma_f64 v[46:47], -v[46:47], v[54:55], v[52:53]
	s_delay_alu instid0(VALU_DEP_1) | instskip(NEXT) | instid1(VALU_DEP_1)
	v_div_fmas_f64 v[46:47], v[46:47], v[50:51], v[54:55]
	v_div_fixup_f64 v[52:53], v[46:47], v[44:45], 1.0
	s_delay_alu instid0(VALU_DEP_1)
	v_mul_f64 v[50:51], v[48:49], -v[52:53]
.LBB19_16:
	s_or_b32 exec_lo, exec_lo, s3
	ds_store_2addr_b64 v105, v[52:53], v[50:51] offset1:1
.LBB19_17:
	s_or_b32 exec_lo, exec_lo, s4
	s_waitcnt lgkmcnt(0)
	s_barrier
	buffer_gl0_inv
	ds_load_2addr_b64 v[44:47], v105 offset1:1
	s_mov_b32 s3, exec_lo
	v_cmpx_lt_u32_e32 1, v104
	s_cbranch_execz .LBB19_19
; %bb.18:
	s_waitcnt lgkmcnt(0)
	v_mul_f64 v[48:49], v[44:45], v[34:35]
	v_mul_f64 v[34:35], v[46:47], v[34:35]
	s_delay_alu instid0(VALU_DEP_2)
	v_fma_f64 v[102:103], v[46:47], v[32:33], v[48:49]
	ds_load_2addr_b64 v[48:51], v106 offset0:4 offset1:5
	ds_load_2addr_b64 v[52:55], v106 offset0:6 offset1:7
	;; [unrolled: 1-line block ×8, first 2 shown]
	v_fma_f64 v[32:33], v[44:45], v[32:33], -v[34:35]
	s_waitcnt lgkmcnt(7)
	v_mul_f64 v[34:35], v[50:51], v[102:103]
	v_mul_f64 v[107:108], v[48:49], v[102:103]
	s_waitcnt lgkmcnt(6)
	v_mul_f64 v[109:110], v[54:55], v[102:103]
	v_mul_f64 v[111:112], v[52:53], v[102:103]
	;; [unrolled: 3-line block ×8, first 2 shown]
	v_fma_f64 v[34:35], v[48:49], v[32:33], -v[34:35]
	v_fma_f64 v[48:49], v[50:51], v[32:33], v[107:108]
	v_fma_f64 v[50:51], v[52:53], v[32:33], -v[109:110]
	v_fma_f64 v[52:53], v[54:55], v[32:33], v[111:112]
	;; [unrolled: 2-line block ×8, first 2 shown]
	v_add_f64 v[28:29], v[28:29], -v[34:35]
	v_add_f64 v[30:31], v[30:31], -v[48:49]
	;; [unrolled: 1-line block ×16, first 2 shown]
	v_dual_mov_b32 v34, v102 :: v_dual_mov_b32 v35, v103
.LBB19_19:
	s_or_b32 exec_lo, exec_lo, s3
	s_delay_alu instid0(SALU_CYCLE_1)
	s_mov_b32 s4, exec_lo
	s_waitcnt lgkmcnt(0)
	s_barrier
	buffer_gl0_inv
	v_cmpx_eq_u32_e32 2, v104
	s_cbranch_execz .LBB19_26
; %bb.20:
	ds_store_2addr_b64 v105, v[28:29], v[30:31] offset1:1
	ds_store_2addr_b64 v106, v[24:25], v[26:27] offset0:6 offset1:7
	ds_store_2addr_b64 v106, v[20:21], v[22:23] offset0:8 offset1:9
	;; [unrolled: 1-line block ×7, first 2 shown]
	ds_load_2addr_b64 v[48:51], v105 offset1:1
	s_waitcnt lgkmcnt(0)
	v_cmp_neq_f64_e32 vcc_lo, 0, v[48:49]
	v_cmp_neq_f64_e64 s3, 0, v[50:51]
	s_delay_alu instid0(VALU_DEP_1) | instskip(NEXT) | instid1(SALU_CYCLE_1)
	s_or_b32 s3, vcc_lo, s3
	s_and_b32 exec_lo, exec_lo, s3
	s_cbranch_execz .LBB19_26
; %bb.21:
	v_cmp_gt_f64_e32 vcc_lo, 0, v[48:49]
	v_cmp_gt_f64_e64 s3, 0, v[50:51]
	v_xor_b32_e32 v52, 0x80000000, v49
	v_xor_b32_e32 v54, 0x80000000, v51
                                        ; implicit-def: $vgpr56_vgpr57
	s_delay_alu instid0(VALU_DEP_2) | instskip(NEXT) | instid1(VALU_DEP_2)
	v_cndmask_b32_e32 v53, v49, v52, vcc_lo
	v_cndmask_b32_e64 v55, v51, v54, s3
	v_cndmask_b32_e32 v52, v48, v48, vcc_lo
	v_cndmask_b32_e64 v54, v50, v50, s3
	s_mov_b32 s3, exec_lo
	s_delay_alu instid0(VALU_DEP_1)
	v_cmpx_ngt_f64_e32 v[52:53], v[54:55]
	s_xor_b32 s3, exec_lo, s3
                                        ; implicit-def: $vgpr52_vgpr53_vgpr54_vgpr55
	s_cbranch_execz .LBB19_23
; %bb.22:
	v_div_scale_f64 v[52:53], null, v[50:51], v[50:51], v[48:49]
	v_div_scale_f64 v[58:59], vcc_lo, v[48:49], v[50:51], v[48:49]
	s_delay_alu instid0(VALU_DEP_2) | instskip(SKIP_2) | instid1(VALU_DEP_1)
	v_rcp_f64_e32 v[54:55], v[52:53]
	s_waitcnt_depctr 0xfff
	v_fma_f64 v[56:57], -v[52:53], v[54:55], 1.0
	v_fma_f64 v[54:55], v[54:55], v[56:57], v[54:55]
	s_delay_alu instid0(VALU_DEP_1) | instskip(NEXT) | instid1(VALU_DEP_1)
	v_fma_f64 v[56:57], -v[52:53], v[54:55], 1.0
	v_fma_f64 v[54:55], v[54:55], v[56:57], v[54:55]
	s_delay_alu instid0(VALU_DEP_1) | instskip(NEXT) | instid1(VALU_DEP_1)
	v_mul_f64 v[56:57], v[58:59], v[54:55]
	v_fma_f64 v[52:53], -v[52:53], v[56:57], v[58:59]
	s_delay_alu instid0(VALU_DEP_1) | instskip(NEXT) | instid1(VALU_DEP_1)
	v_div_fmas_f64 v[52:53], v[52:53], v[54:55], v[56:57]
	v_div_fixup_f64 v[52:53], v[52:53], v[50:51], v[48:49]
	s_delay_alu instid0(VALU_DEP_1) | instskip(NEXT) | instid1(VALU_DEP_1)
	v_fma_f64 v[48:49], v[48:49], v[52:53], v[50:51]
	v_div_scale_f64 v[50:51], null, v[48:49], v[48:49], 1.0
	s_delay_alu instid0(VALU_DEP_1) | instskip(SKIP_2) | instid1(VALU_DEP_1)
	v_rcp_f64_e32 v[54:55], v[50:51]
	s_waitcnt_depctr 0xfff
	v_fma_f64 v[56:57], -v[50:51], v[54:55], 1.0
	v_fma_f64 v[54:55], v[54:55], v[56:57], v[54:55]
	s_delay_alu instid0(VALU_DEP_1) | instskip(NEXT) | instid1(VALU_DEP_1)
	v_fma_f64 v[56:57], -v[50:51], v[54:55], 1.0
	v_fma_f64 v[54:55], v[54:55], v[56:57], v[54:55]
	v_div_scale_f64 v[56:57], vcc_lo, 1.0, v[48:49], 1.0
	s_delay_alu instid0(VALU_DEP_1) | instskip(NEXT) | instid1(VALU_DEP_1)
	v_mul_f64 v[58:59], v[56:57], v[54:55]
	v_fma_f64 v[50:51], -v[50:51], v[58:59], v[56:57]
	s_delay_alu instid0(VALU_DEP_1) | instskip(NEXT) | instid1(VALU_DEP_1)
	v_div_fmas_f64 v[50:51], v[50:51], v[54:55], v[58:59]
	v_div_fixup_f64 v[54:55], v[50:51], v[48:49], 1.0
                                        ; implicit-def: $vgpr48_vgpr49
	s_delay_alu instid0(VALU_DEP_1)
	v_mul_f64 v[56:57], v[52:53], v[54:55]
	v_xor_b32_e32 v55, 0x80000000, v55
.LBB19_23:
	s_and_not1_saveexec_b32 s3, s3
	s_cbranch_execz .LBB19_25
; %bb.24:
	v_div_scale_f64 v[52:53], null, v[48:49], v[48:49], v[50:51]
	v_div_scale_f64 v[58:59], vcc_lo, v[50:51], v[48:49], v[50:51]
	s_delay_alu instid0(VALU_DEP_2) | instskip(SKIP_2) | instid1(VALU_DEP_1)
	v_rcp_f64_e32 v[54:55], v[52:53]
	s_waitcnt_depctr 0xfff
	v_fma_f64 v[56:57], -v[52:53], v[54:55], 1.0
	v_fma_f64 v[54:55], v[54:55], v[56:57], v[54:55]
	s_delay_alu instid0(VALU_DEP_1) | instskip(NEXT) | instid1(VALU_DEP_1)
	v_fma_f64 v[56:57], -v[52:53], v[54:55], 1.0
	v_fma_f64 v[54:55], v[54:55], v[56:57], v[54:55]
	s_delay_alu instid0(VALU_DEP_1) | instskip(NEXT) | instid1(VALU_DEP_1)
	v_mul_f64 v[56:57], v[58:59], v[54:55]
	v_fma_f64 v[52:53], -v[52:53], v[56:57], v[58:59]
	s_delay_alu instid0(VALU_DEP_1) | instskip(NEXT) | instid1(VALU_DEP_1)
	v_div_fmas_f64 v[52:53], v[52:53], v[54:55], v[56:57]
	v_div_fixup_f64 v[52:53], v[52:53], v[48:49], v[50:51]
	s_delay_alu instid0(VALU_DEP_1) | instskip(NEXT) | instid1(VALU_DEP_1)
	v_fma_f64 v[48:49], v[50:51], v[52:53], v[48:49]
	v_div_scale_f64 v[50:51], null, v[48:49], v[48:49], 1.0
	s_delay_alu instid0(VALU_DEP_1) | instskip(SKIP_2) | instid1(VALU_DEP_1)
	v_rcp_f64_e32 v[54:55], v[50:51]
	s_waitcnt_depctr 0xfff
	v_fma_f64 v[56:57], -v[50:51], v[54:55], 1.0
	v_fma_f64 v[54:55], v[54:55], v[56:57], v[54:55]
	s_delay_alu instid0(VALU_DEP_1) | instskip(NEXT) | instid1(VALU_DEP_1)
	v_fma_f64 v[56:57], -v[50:51], v[54:55], 1.0
	v_fma_f64 v[54:55], v[54:55], v[56:57], v[54:55]
	v_div_scale_f64 v[56:57], vcc_lo, 1.0, v[48:49], 1.0
	s_delay_alu instid0(VALU_DEP_1) | instskip(NEXT) | instid1(VALU_DEP_1)
	v_mul_f64 v[58:59], v[56:57], v[54:55]
	v_fma_f64 v[50:51], -v[50:51], v[58:59], v[56:57]
	s_delay_alu instid0(VALU_DEP_1) | instskip(NEXT) | instid1(VALU_DEP_1)
	v_div_fmas_f64 v[50:51], v[50:51], v[54:55], v[58:59]
	v_div_fixup_f64 v[56:57], v[50:51], v[48:49], 1.0
	s_delay_alu instid0(VALU_DEP_1)
	v_mul_f64 v[54:55], v[52:53], -v[56:57]
.LBB19_25:
	s_or_b32 exec_lo, exec_lo, s3
	ds_store_2addr_b64 v105, v[56:57], v[54:55] offset1:1
.LBB19_26:
	s_or_b32 exec_lo, exec_lo, s4
	s_waitcnt lgkmcnt(0)
	s_barrier
	buffer_gl0_inv
	ds_load_2addr_b64 v[48:51], v105 offset1:1
	s_mov_b32 s3, exec_lo
	v_cmpx_lt_u32_e32 2, v104
	s_cbranch_execz .LBB19_28
; %bb.27:
	s_waitcnt lgkmcnt(0)
	v_mul_f64 v[52:53], v[48:49], v[30:31]
	v_mul_f64 v[30:31], v[50:51], v[30:31]
	s_delay_alu instid0(VALU_DEP_2)
	v_fma_f64 v[102:103], v[50:51], v[28:29], v[52:53]
	ds_load_2addr_b64 v[52:55], v106 offset0:6 offset1:7
	ds_load_2addr_b64 v[56:59], v106 offset0:8 offset1:9
	;; [unrolled: 1-line block ×7, first 2 shown]
	v_fma_f64 v[28:29], v[48:49], v[28:29], -v[30:31]
	s_waitcnt lgkmcnt(6)
	v_mul_f64 v[30:31], v[54:55], v[102:103]
	v_mul_f64 v[107:108], v[52:53], v[102:103]
	s_waitcnt lgkmcnt(5)
	v_mul_f64 v[109:110], v[58:59], v[102:103]
	v_mul_f64 v[111:112], v[56:57], v[102:103]
	;; [unrolled: 3-line block ×7, first 2 shown]
	v_fma_f64 v[30:31], v[52:53], v[28:29], -v[30:31]
	v_fma_f64 v[52:53], v[54:55], v[28:29], v[107:108]
	v_fma_f64 v[54:55], v[56:57], v[28:29], -v[109:110]
	v_fma_f64 v[56:57], v[58:59], v[28:29], v[111:112]
	;; [unrolled: 2-line block ×7, first 2 shown]
	v_add_f64 v[24:25], v[24:25], -v[30:31]
	v_add_f64 v[26:27], v[26:27], -v[52:53]
	;; [unrolled: 1-line block ×14, first 2 shown]
	v_dual_mov_b32 v30, v102 :: v_dual_mov_b32 v31, v103
.LBB19_28:
	s_or_b32 exec_lo, exec_lo, s3
	s_delay_alu instid0(SALU_CYCLE_1)
	s_mov_b32 s4, exec_lo
	s_waitcnt lgkmcnt(0)
	s_barrier
	buffer_gl0_inv
	v_cmpx_eq_u32_e32 3, v104
	s_cbranch_execz .LBB19_35
; %bb.29:
	ds_store_2addr_b64 v105, v[24:25], v[26:27] offset1:1
	ds_store_2addr_b64 v106, v[20:21], v[22:23] offset0:8 offset1:9
	ds_store_2addr_b64 v106, v[16:17], v[18:19] offset0:10 offset1:11
	;; [unrolled: 1-line block ×6, first 2 shown]
	ds_load_2addr_b64 v[52:55], v105 offset1:1
	s_waitcnt lgkmcnt(0)
	v_cmp_neq_f64_e32 vcc_lo, 0, v[52:53]
	v_cmp_neq_f64_e64 s3, 0, v[54:55]
	s_delay_alu instid0(VALU_DEP_1) | instskip(NEXT) | instid1(SALU_CYCLE_1)
	s_or_b32 s3, vcc_lo, s3
	s_and_b32 exec_lo, exec_lo, s3
	s_cbranch_execz .LBB19_35
; %bb.30:
	v_cmp_gt_f64_e32 vcc_lo, 0, v[52:53]
	v_cmp_gt_f64_e64 s3, 0, v[54:55]
	v_xor_b32_e32 v56, 0x80000000, v53
	v_xor_b32_e32 v58, 0x80000000, v55
                                        ; implicit-def: $vgpr60_vgpr61
	s_delay_alu instid0(VALU_DEP_2) | instskip(NEXT) | instid1(VALU_DEP_2)
	v_cndmask_b32_e32 v57, v53, v56, vcc_lo
	v_cndmask_b32_e64 v59, v55, v58, s3
	v_cndmask_b32_e32 v56, v52, v52, vcc_lo
	v_cndmask_b32_e64 v58, v54, v54, s3
	s_mov_b32 s3, exec_lo
	s_delay_alu instid0(VALU_DEP_1)
	v_cmpx_ngt_f64_e32 v[56:57], v[58:59]
	s_xor_b32 s3, exec_lo, s3
                                        ; implicit-def: $vgpr56_vgpr57_vgpr58_vgpr59
	s_cbranch_execz .LBB19_32
; %bb.31:
	v_div_scale_f64 v[56:57], null, v[54:55], v[54:55], v[52:53]
	v_div_scale_f64 v[62:63], vcc_lo, v[52:53], v[54:55], v[52:53]
	s_delay_alu instid0(VALU_DEP_2) | instskip(SKIP_2) | instid1(VALU_DEP_1)
	v_rcp_f64_e32 v[58:59], v[56:57]
	s_waitcnt_depctr 0xfff
	v_fma_f64 v[60:61], -v[56:57], v[58:59], 1.0
	v_fma_f64 v[58:59], v[58:59], v[60:61], v[58:59]
	s_delay_alu instid0(VALU_DEP_1) | instskip(NEXT) | instid1(VALU_DEP_1)
	v_fma_f64 v[60:61], -v[56:57], v[58:59], 1.0
	v_fma_f64 v[58:59], v[58:59], v[60:61], v[58:59]
	s_delay_alu instid0(VALU_DEP_1) | instskip(NEXT) | instid1(VALU_DEP_1)
	v_mul_f64 v[60:61], v[62:63], v[58:59]
	v_fma_f64 v[56:57], -v[56:57], v[60:61], v[62:63]
	s_delay_alu instid0(VALU_DEP_1) | instskip(NEXT) | instid1(VALU_DEP_1)
	v_div_fmas_f64 v[56:57], v[56:57], v[58:59], v[60:61]
	v_div_fixup_f64 v[56:57], v[56:57], v[54:55], v[52:53]
	s_delay_alu instid0(VALU_DEP_1) | instskip(NEXT) | instid1(VALU_DEP_1)
	v_fma_f64 v[52:53], v[52:53], v[56:57], v[54:55]
	v_div_scale_f64 v[54:55], null, v[52:53], v[52:53], 1.0
	s_delay_alu instid0(VALU_DEP_1) | instskip(SKIP_2) | instid1(VALU_DEP_1)
	v_rcp_f64_e32 v[58:59], v[54:55]
	s_waitcnt_depctr 0xfff
	v_fma_f64 v[60:61], -v[54:55], v[58:59], 1.0
	v_fma_f64 v[58:59], v[58:59], v[60:61], v[58:59]
	s_delay_alu instid0(VALU_DEP_1) | instskip(NEXT) | instid1(VALU_DEP_1)
	v_fma_f64 v[60:61], -v[54:55], v[58:59], 1.0
	v_fma_f64 v[58:59], v[58:59], v[60:61], v[58:59]
	v_div_scale_f64 v[60:61], vcc_lo, 1.0, v[52:53], 1.0
	s_delay_alu instid0(VALU_DEP_1) | instskip(NEXT) | instid1(VALU_DEP_1)
	v_mul_f64 v[62:63], v[60:61], v[58:59]
	v_fma_f64 v[54:55], -v[54:55], v[62:63], v[60:61]
	s_delay_alu instid0(VALU_DEP_1) | instskip(NEXT) | instid1(VALU_DEP_1)
	v_div_fmas_f64 v[54:55], v[54:55], v[58:59], v[62:63]
	v_div_fixup_f64 v[58:59], v[54:55], v[52:53], 1.0
                                        ; implicit-def: $vgpr52_vgpr53
	s_delay_alu instid0(VALU_DEP_1)
	v_mul_f64 v[60:61], v[56:57], v[58:59]
	v_xor_b32_e32 v59, 0x80000000, v59
.LBB19_32:
	s_and_not1_saveexec_b32 s3, s3
	s_cbranch_execz .LBB19_34
; %bb.33:
	v_div_scale_f64 v[56:57], null, v[52:53], v[52:53], v[54:55]
	v_div_scale_f64 v[62:63], vcc_lo, v[54:55], v[52:53], v[54:55]
	s_delay_alu instid0(VALU_DEP_2) | instskip(SKIP_2) | instid1(VALU_DEP_1)
	v_rcp_f64_e32 v[58:59], v[56:57]
	s_waitcnt_depctr 0xfff
	v_fma_f64 v[60:61], -v[56:57], v[58:59], 1.0
	v_fma_f64 v[58:59], v[58:59], v[60:61], v[58:59]
	s_delay_alu instid0(VALU_DEP_1) | instskip(NEXT) | instid1(VALU_DEP_1)
	v_fma_f64 v[60:61], -v[56:57], v[58:59], 1.0
	v_fma_f64 v[58:59], v[58:59], v[60:61], v[58:59]
	s_delay_alu instid0(VALU_DEP_1) | instskip(NEXT) | instid1(VALU_DEP_1)
	v_mul_f64 v[60:61], v[62:63], v[58:59]
	v_fma_f64 v[56:57], -v[56:57], v[60:61], v[62:63]
	s_delay_alu instid0(VALU_DEP_1) | instskip(NEXT) | instid1(VALU_DEP_1)
	v_div_fmas_f64 v[56:57], v[56:57], v[58:59], v[60:61]
	v_div_fixup_f64 v[56:57], v[56:57], v[52:53], v[54:55]
	s_delay_alu instid0(VALU_DEP_1) | instskip(NEXT) | instid1(VALU_DEP_1)
	v_fma_f64 v[52:53], v[54:55], v[56:57], v[52:53]
	v_div_scale_f64 v[54:55], null, v[52:53], v[52:53], 1.0
	s_delay_alu instid0(VALU_DEP_1) | instskip(SKIP_2) | instid1(VALU_DEP_1)
	v_rcp_f64_e32 v[58:59], v[54:55]
	s_waitcnt_depctr 0xfff
	v_fma_f64 v[60:61], -v[54:55], v[58:59], 1.0
	v_fma_f64 v[58:59], v[58:59], v[60:61], v[58:59]
	s_delay_alu instid0(VALU_DEP_1) | instskip(NEXT) | instid1(VALU_DEP_1)
	v_fma_f64 v[60:61], -v[54:55], v[58:59], 1.0
	v_fma_f64 v[58:59], v[58:59], v[60:61], v[58:59]
	v_div_scale_f64 v[60:61], vcc_lo, 1.0, v[52:53], 1.0
	s_delay_alu instid0(VALU_DEP_1) | instskip(NEXT) | instid1(VALU_DEP_1)
	v_mul_f64 v[62:63], v[60:61], v[58:59]
	v_fma_f64 v[54:55], -v[54:55], v[62:63], v[60:61]
	s_delay_alu instid0(VALU_DEP_1) | instskip(NEXT) | instid1(VALU_DEP_1)
	v_div_fmas_f64 v[54:55], v[54:55], v[58:59], v[62:63]
	v_div_fixup_f64 v[60:61], v[54:55], v[52:53], 1.0
	s_delay_alu instid0(VALU_DEP_1)
	v_mul_f64 v[58:59], v[56:57], -v[60:61]
.LBB19_34:
	s_or_b32 exec_lo, exec_lo, s3
	ds_store_2addr_b64 v105, v[60:61], v[58:59] offset1:1
.LBB19_35:
	s_or_b32 exec_lo, exec_lo, s4
	s_waitcnt lgkmcnt(0)
	s_barrier
	buffer_gl0_inv
	ds_load_2addr_b64 v[52:55], v105 offset1:1
	s_mov_b32 s3, exec_lo
	v_cmpx_lt_u32_e32 3, v104
	s_cbranch_execz .LBB19_37
; %bb.36:
	s_waitcnt lgkmcnt(0)
	v_mul_f64 v[56:57], v[52:53], v[26:27]
	v_mul_f64 v[26:27], v[54:55], v[26:27]
	s_delay_alu instid0(VALU_DEP_2)
	v_fma_f64 v[102:103], v[54:55], v[24:25], v[56:57]
	ds_load_2addr_b64 v[56:59], v106 offset0:8 offset1:9
	ds_load_2addr_b64 v[60:63], v106 offset0:10 offset1:11
	;; [unrolled: 1-line block ×6, first 2 shown]
	v_fma_f64 v[24:25], v[52:53], v[24:25], -v[26:27]
	s_waitcnt lgkmcnt(5)
	v_mul_f64 v[26:27], v[58:59], v[102:103]
	v_mul_f64 v[107:108], v[56:57], v[102:103]
	s_waitcnt lgkmcnt(4)
	v_mul_f64 v[109:110], v[62:63], v[102:103]
	v_mul_f64 v[111:112], v[60:61], v[102:103]
	;; [unrolled: 3-line block ×6, first 2 shown]
	v_fma_f64 v[26:27], v[56:57], v[24:25], -v[26:27]
	v_fma_f64 v[56:57], v[58:59], v[24:25], v[107:108]
	v_fma_f64 v[58:59], v[60:61], v[24:25], -v[109:110]
	v_fma_f64 v[60:61], v[62:63], v[24:25], v[111:112]
	;; [unrolled: 2-line block ×6, first 2 shown]
	v_add_f64 v[20:21], v[20:21], -v[26:27]
	v_add_f64 v[22:23], v[22:23], -v[56:57]
	;; [unrolled: 1-line block ×12, first 2 shown]
	v_dual_mov_b32 v26, v102 :: v_dual_mov_b32 v27, v103
.LBB19_37:
	s_or_b32 exec_lo, exec_lo, s3
	s_delay_alu instid0(SALU_CYCLE_1)
	s_mov_b32 s4, exec_lo
	s_waitcnt lgkmcnt(0)
	s_barrier
	buffer_gl0_inv
	v_cmpx_eq_u32_e32 4, v104
	s_cbranch_execz .LBB19_44
; %bb.38:
	ds_store_2addr_b64 v105, v[20:21], v[22:23] offset1:1
	ds_store_2addr_b64 v106, v[16:17], v[18:19] offset0:10 offset1:11
	ds_store_2addr_b64 v106, v[12:13], v[14:15] offset0:12 offset1:13
	;; [unrolled: 1-line block ×5, first 2 shown]
	ds_load_2addr_b64 v[56:59], v105 offset1:1
	s_waitcnt lgkmcnt(0)
	v_cmp_neq_f64_e32 vcc_lo, 0, v[56:57]
	v_cmp_neq_f64_e64 s3, 0, v[58:59]
	s_delay_alu instid0(VALU_DEP_1) | instskip(NEXT) | instid1(SALU_CYCLE_1)
	s_or_b32 s3, vcc_lo, s3
	s_and_b32 exec_lo, exec_lo, s3
	s_cbranch_execz .LBB19_44
; %bb.39:
	v_cmp_gt_f64_e32 vcc_lo, 0, v[56:57]
	v_cmp_gt_f64_e64 s3, 0, v[58:59]
	v_xor_b32_e32 v60, 0x80000000, v57
	v_xor_b32_e32 v62, 0x80000000, v59
                                        ; implicit-def: $vgpr64_vgpr65
	s_delay_alu instid0(VALU_DEP_2) | instskip(NEXT) | instid1(VALU_DEP_2)
	v_cndmask_b32_e32 v61, v57, v60, vcc_lo
	v_cndmask_b32_e64 v63, v59, v62, s3
	v_cndmask_b32_e32 v60, v56, v56, vcc_lo
	v_cndmask_b32_e64 v62, v58, v58, s3
	s_mov_b32 s3, exec_lo
	s_delay_alu instid0(VALU_DEP_1)
	v_cmpx_ngt_f64_e32 v[60:61], v[62:63]
	s_xor_b32 s3, exec_lo, s3
                                        ; implicit-def: $vgpr60_vgpr61_vgpr62_vgpr63
	s_cbranch_execz .LBB19_41
; %bb.40:
	v_div_scale_f64 v[60:61], null, v[58:59], v[58:59], v[56:57]
	v_div_scale_f64 v[66:67], vcc_lo, v[56:57], v[58:59], v[56:57]
	s_delay_alu instid0(VALU_DEP_2) | instskip(SKIP_2) | instid1(VALU_DEP_1)
	v_rcp_f64_e32 v[62:63], v[60:61]
	s_waitcnt_depctr 0xfff
	v_fma_f64 v[64:65], -v[60:61], v[62:63], 1.0
	v_fma_f64 v[62:63], v[62:63], v[64:65], v[62:63]
	s_delay_alu instid0(VALU_DEP_1) | instskip(NEXT) | instid1(VALU_DEP_1)
	v_fma_f64 v[64:65], -v[60:61], v[62:63], 1.0
	v_fma_f64 v[62:63], v[62:63], v[64:65], v[62:63]
	s_delay_alu instid0(VALU_DEP_1) | instskip(NEXT) | instid1(VALU_DEP_1)
	v_mul_f64 v[64:65], v[66:67], v[62:63]
	v_fma_f64 v[60:61], -v[60:61], v[64:65], v[66:67]
	s_delay_alu instid0(VALU_DEP_1) | instskip(NEXT) | instid1(VALU_DEP_1)
	v_div_fmas_f64 v[60:61], v[60:61], v[62:63], v[64:65]
	v_div_fixup_f64 v[60:61], v[60:61], v[58:59], v[56:57]
	s_delay_alu instid0(VALU_DEP_1) | instskip(NEXT) | instid1(VALU_DEP_1)
	v_fma_f64 v[56:57], v[56:57], v[60:61], v[58:59]
	v_div_scale_f64 v[58:59], null, v[56:57], v[56:57], 1.0
	s_delay_alu instid0(VALU_DEP_1) | instskip(SKIP_2) | instid1(VALU_DEP_1)
	v_rcp_f64_e32 v[62:63], v[58:59]
	s_waitcnt_depctr 0xfff
	v_fma_f64 v[64:65], -v[58:59], v[62:63], 1.0
	v_fma_f64 v[62:63], v[62:63], v[64:65], v[62:63]
	s_delay_alu instid0(VALU_DEP_1) | instskip(NEXT) | instid1(VALU_DEP_1)
	v_fma_f64 v[64:65], -v[58:59], v[62:63], 1.0
	v_fma_f64 v[62:63], v[62:63], v[64:65], v[62:63]
	v_div_scale_f64 v[64:65], vcc_lo, 1.0, v[56:57], 1.0
	s_delay_alu instid0(VALU_DEP_1) | instskip(NEXT) | instid1(VALU_DEP_1)
	v_mul_f64 v[66:67], v[64:65], v[62:63]
	v_fma_f64 v[58:59], -v[58:59], v[66:67], v[64:65]
	s_delay_alu instid0(VALU_DEP_1) | instskip(NEXT) | instid1(VALU_DEP_1)
	v_div_fmas_f64 v[58:59], v[58:59], v[62:63], v[66:67]
	v_div_fixup_f64 v[62:63], v[58:59], v[56:57], 1.0
                                        ; implicit-def: $vgpr56_vgpr57
	s_delay_alu instid0(VALU_DEP_1)
	v_mul_f64 v[64:65], v[60:61], v[62:63]
	v_xor_b32_e32 v63, 0x80000000, v63
.LBB19_41:
	s_and_not1_saveexec_b32 s3, s3
	s_cbranch_execz .LBB19_43
; %bb.42:
	v_div_scale_f64 v[60:61], null, v[56:57], v[56:57], v[58:59]
	v_div_scale_f64 v[66:67], vcc_lo, v[58:59], v[56:57], v[58:59]
	s_delay_alu instid0(VALU_DEP_2) | instskip(SKIP_2) | instid1(VALU_DEP_1)
	v_rcp_f64_e32 v[62:63], v[60:61]
	s_waitcnt_depctr 0xfff
	v_fma_f64 v[64:65], -v[60:61], v[62:63], 1.0
	v_fma_f64 v[62:63], v[62:63], v[64:65], v[62:63]
	s_delay_alu instid0(VALU_DEP_1) | instskip(NEXT) | instid1(VALU_DEP_1)
	v_fma_f64 v[64:65], -v[60:61], v[62:63], 1.0
	v_fma_f64 v[62:63], v[62:63], v[64:65], v[62:63]
	s_delay_alu instid0(VALU_DEP_1) | instskip(NEXT) | instid1(VALU_DEP_1)
	v_mul_f64 v[64:65], v[66:67], v[62:63]
	v_fma_f64 v[60:61], -v[60:61], v[64:65], v[66:67]
	s_delay_alu instid0(VALU_DEP_1) | instskip(NEXT) | instid1(VALU_DEP_1)
	v_div_fmas_f64 v[60:61], v[60:61], v[62:63], v[64:65]
	v_div_fixup_f64 v[60:61], v[60:61], v[56:57], v[58:59]
	s_delay_alu instid0(VALU_DEP_1) | instskip(NEXT) | instid1(VALU_DEP_1)
	v_fma_f64 v[56:57], v[58:59], v[60:61], v[56:57]
	v_div_scale_f64 v[58:59], null, v[56:57], v[56:57], 1.0
	s_delay_alu instid0(VALU_DEP_1) | instskip(SKIP_2) | instid1(VALU_DEP_1)
	v_rcp_f64_e32 v[62:63], v[58:59]
	s_waitcnt_depctr 0xfff
	v_fma_f64 v[64:65], -v[58:59], v[62:63], 1.0
	v_fma_f64 v[62:63], v[62:63], v[64:65], v[62:63]
	s_delay_alu instid0(VALU_DEP_1) | instskip(NEXT) | instid1(VALU_DEP_1)
	v_fma_f64 v[64:65], -v[58:59], v[62:63], 1.0
	v_fma_f64 v[62:63], v[62:63], v[64:65], v[62:63]
	v_div_scale_f64 v[64:65], vcc_lo, 1.0, v[56:57], 1.0
	s_delay_alu instid0(VALU_DEP_1) | instskip(NEXT) | instid1(VALU_DEP_1)
	v_mul_f64 v[66:67], v[64:65], v[62:63]
	v_fma_f64 v[58:59], -v[58:59], v[66:67], v[64:65]
	s_delay_alu instid0(VALU_DEP_1) | instskip(NEXT) | instid1(VALU_DEP_1)
	v_div_fmas_f64 v[58:59], v[58:59], v[62:63], v[66:67]
	v_div_fixup_f64 v[64:65], v[58:59], v[56:57], 1.0
	s_delay_alu instid0(VALU_DEP_1)
	v_mul_f64 v[62:63], v[60:61], -v[64:65]
.LBB19_43:
	s_or_b32 exec_lo, exec_lo, s3
	ds_store_2addr_b64 v105, v[64:65], v[62:63] offset1:1
.LBB19_44:
	s_or_b32 exec_lo, exec_lo, s4
	s_waitcnt lgkmcnt(0)
	s_barrier
	buffer_gl0_inv
	ds_load_2addr_b64 v[56:59], v105 offset1:1
	s_mov_b32 s3, exec_lo
	v_cmpx_lt_u32_e32 4, v104
	s_cbranch_execz .LBB19_46
; %bb.45:
	s_waitcnt lgkmcnt(0)
	v_mul_f64 v[60:61], v[56:57], v[22:23]
	v_mul_f64 v[22:23], v[58:59], v[22:23]
	s_delay_alu instid0(VALU_DEP_2)
	v_fma_f64 v[102:103], v[58:59], v[20:21], v[60:61]
	ds_load_2addr_b64 v[60:63], v106 offset0:10 offset1:11
	ds_load_2addr_b64 v[64:67], v106 offset0:12 offset1:13
	;; [unrolled: 1-line block ×5, first 2 shown]
	v_fma_f64 v[20:21], v[56:57], v[20:21], -v[22:23]
	s_waitcnt lgkmcnt(4)
	v_mul_f64 v[22:23], v[62:63], v[102:103]
	v_mul_f64 v[107:108], v[60:61], v[102:103]
	s_waitcnt lgkmcnt(3)
	v_mul_f64 v[109:110], v[66:67], v[102:103]
	v_mul_f64 v[111:112], v[64:65], v[102:103]
	s_waitcnt lgkmcnt(2)
	v_mul_f64 v[113:114], v[70:71], v[102:103]
	v_mul_f64 v[115:116], v[68:69], v[102:103]
	s_waitcnt lgkmcnt(1)
	v_mul_f64 v[117:118], v[74:75], v[102:103]
	v_mul_f64 v[119:120], v[72:73], v[102:103]
	s_waitcnt lgkmcnt(0)
	v_mul_f64 v[121:122], v[78:79], v[102:103]
	v_mul_f64 v[123:124], v[76:77], v[102:103]
	v_fma_f64 v[22:23], v[60:61], v[20:21], -v[22:23]
	v_fma_f64 v[60:61], v[62:63], v[20:21], v[107:108]
	v_fma_f64 v[62:63], v[64:65], v[20:21], -v[109:110]
	v_fma_f64 v[64:65], v[66:67], v[20:21], v[111:112]
	;; [unrolled: 2-line block ×5, first 2 shown]
	v_add_f64 v[16:17], v[16:17], -v[22:23]
	v_add_f64 v[18:19], v[18:19], -v[60:61]
	;; [unrolled: 1-line block ×10, first 2 shown]
	v_dual_mov_b32 v22, v102 :: v_dual_mov_b32 v23, v103
.LBB19_46:
	s_or_b32 exec_lo, exec_lo, s3
	s_delay_alu instid0(SALU_CYCLE_1)
	s_mov_b32 s4, exec_lo
	s_waitcnt lgkmcnt(0)
	s_barrier
	buffer_gl0_inv
	v_cmpx_eq_u32_e32 5, v104
	s_cbranch_execz .LBB19_53
; %bb.47:
	ds_store_2addr_b64 v105, v[16:17], v[18:19] offset1:1
	ds_store_2addr_b64 v106, v[12:13], v[14:15] offset0:12 offset1:13
	ds_store_2addr_b64 v106, v[8:9], v[10:11] offset0:14 offset1:15
	;; [unrolled: 1-line block ×4, first 2 shown]
	ds_load_2addr_b64 v[60:63], v105 offset1:1
	s_waitcnt lgkmcnt(0)
	v_cmp_neq_f64_e32 vcc_lo, 0, v[60:61]
	v_cmp_neq_f64_e64 s3, 0, v[62:63]
	s_delay_alu instid0(VALU_DEP_1) | instskip(NEXT) | instid1(SALU_CYCLE_1)
	s_or_b32 s3, vcc_lo, s3
	s_and_b32 exec_lo, exec_lo, s3
	s_cbranch_execz .LBB19_53
; %bb.48:
	v_cmp_gt_f64_e32 vcc_lo, 0, v[60:61]
	v_cmp_gt_f64_e64 s3, 0, v[62:63]
	v_xor_b32_e32 v64, 0x80000000, v61
	v_xor_b32_e32 v66, 0x80000000, v63
                                        ; implicit-def: $vgpr68_vgpr69
	s_delay_alu instid0(VALU_DEP_2) | instskip(NEXT) | instid1(VALU_DEP_2)
	v_cndmask_b32_e32 v65, v61, v64, vcc_lo
	v_cndmask_b32_e64 v67, v63, v66, s3
	v_cndmask_b32_e32 v64, v60, v60, vcc_lo
	v_cndmask_b32_e64 v66, v62, v62, s3
	s_mov_b32 s3, exec_lo
	s_delay_alu instid0(VALU_DEP_1)
	v_cmpx_ngt_f64_e32 v[64:65], v[66:67]
	s_xor_b32 s3, exec_lo, s3
                                        ; implicit-def: $vgpr64_vgpr65_vgpr66_vgpr67
	s_cbranch_execz .LBB19_50
; %bb.49:
	v_div_scale_f64 v[64:65], null, v[62:63], v[62:63], v[60:61]
	v_div_scale_f64 v[70:71], vcc_lo, v[60:61], v[62:63], v[60:61]
	s_delay_alu instid0(VALU_DEP_2) | instskip(SKIP_2) | instid1(VALU_DEP_1)
	v_rcp_f64_e32 v[66:67], v[64:65]
	s_waitcnt_depctr 0xfff
	v_fma_f64 v[68:69], -v[64:65], v[66:67], 1.0
	v_fma_f64 v[66:67], v[66:67], v[68:69], v[66:67]
	s_delay_alu instid0(VALU_DEP_1) | instskip(NEXT) | instid1(VALU_DEP_1)
	v_fma_f64 v[68:69], -v[64:65], v[66:67], 1.0
	v_fma_f64 v[66:67], v[66:67], v[68:69], v[66:67]
	s_delay_alu instid0(VALU_DEP_1) | instskip(NEXT) | instid1(VALU_DEP_1)
	v_mul_f64 v[68:69], v[70:71], v[66:67]
	v_fma_f64 v[64:65], -v[64:65], v[68:69], v[70:71]
	s_delay_alu instid0(VALU_DEP_1) | instskip(NEXT) | instid1(VALU_DEP_1)
	v_div_fmas_f64 v[64:65], v[64:65], v[66:67], v[68:69]
	v_div_fixup_f64 v[64:65], v[64:65], v[62:63], v[60:61]
	s_delay_alu instid0(VALU_DEP_1) | instskip(NEXT) | instid1(VALU_DEP_1)
	v_fma_f64 v[60:61], v[60:61], v[64:65], v[62:63]
	v_div_scale_f64 v[62:63], null, v[60:61], v[60:61], 1.0
	s_delay_alu instid0(VALU_DEP_1) | instskip(SKIP_2) | instid1(VALU_DEP_1)
	v_rcp_f64_e32 v[66:67], v[62:63]
	s_waitcnt_depctr 0xfff
	v_fma_f64 v[68:69], -v[62:63], v[66:67], 1.0
	v_fma_f64 v[66:67], v[66:67], v[68:69], v[66:67]
	s_delay_alu instid0(VALU_DEP_1) | instskip(NEXT) | instid1(VALU_DEP_1)
	v_fma_f64 v[68:69], -v[62:63], v[66:67], 1.0
	v_fma_f64 v[66:67], v[66:67], v[68:69], v[66:67]
	v_div_scale_f64 v[68:69], vcc_lo, 1.0, v[60:61], 1.0
	s_delay_alu instid0(VALU_DEP_1) | instskip(NEXT) | instid1(VALU_DEP_1)
	v_mul_f64 v[70:71], v[68:69], v[66:67]
	v_fma_f64 v[62:63], -v[62:63], v[70:71], v[68:69]
	s_delay_alu instid0(VALU_DEP_1) | instskip(NEXT) | instid1(VALU_DEP_1)
	v_div_fmas_f64 v[62:63], v[62:63], v[66:67], v[70:71]
	v_div_fixup_f64 v[66:67], v[62:63], v[60:61], 1.0
                                        ; implicit-def: $vgpr60_vgpr61
	s_delay_alu instid0(VALU_DEP_1)
	v_mul_f64 v[68:69], v[64:65], v[66:67]
	v_xor_b32_e32 v67, 0x80000000, v67
.LBB19_50:
	s_and_not1_saveexec_b32 s3, s3
	s_cbranch_execz .LBB19_52
; %bb.51:
	v_div_scale_f64 v[64:65], null, v[60:61], v[60:61], v[62:63]
	v_div_scale_f64 v[70:71], vcc_lo, v[62:63], v[60:61], v[62:63]
	s_delay_alu instid0(VALU_DEP_2) | instskip(SKIP_2) | instid1(VALU_DEP_1)
	v_rcp_f64_e32 v[66:67], v[64:65]
	s_waitcnt_depctr 0xfff
	v_fma_f64 v[68:69], -v[64:65], v[66:67], 1.0
	v_fma_f64 v[66:67], v[66:67], v[68:69], v[66:67]
	s_delay_alu instid0(VALU_DEP_1) | instskip(NEXT) | instid1(VALU_DEP_1)
	v_fma_f64 v[68:69], -v[64:65], v[66:67], 1.0
	v_fma_f64 v[66:67], v[66:67], v[68:69], v[66:67]
	s_delay_alu instid0(VALU_DEP_1) | instskip(NEXT) | instid1(VALU_DEP_1)
	v_mul_f64 v[68:69], v[70:71], v[66:67]
	v_fma_f64 v[64:65], -v[64:65], v[68:69], v[70:71]
	s_delay_alu instid0(VALU_DEP_1) | instskip(NEXT) | instid1(VALU_DEP_1)
	v_div_fmas_f64 v[64:65], v[64:65], v[66:67], v[68:69]
	v_div_fixup_f64 v[64:65], v[64:65], v[60:61], v[62:63]
	s_delay_alu instid0(VALU_DEP_1) | instskip(NEXT) | instid1(VALU_DEP_1)
	v_fma_f64 v[60:61], v[62:63], v[64:65], v[60:61]
	v_div_scale_f64 v[62:63], null, v[60:61], v[60:61], 1.0
	s_delay_alu instid0(VALU_DEP_1) | instskip(SKIP_2) | instid1(VALU_DEP_1)
	v_rcp_f64_e32 v[66:67], v[62:63]
	s_waitcnt_depctr 0xfff
	v_fma_f64 v[68:69], -v[62:63], v[66:67], 1.0
	v_fma_f64 v[66:67], v[66:67], v[68:69], v[66:67]
	s_delay_alu instid0(VALU_DEP_1) | instskip(NEXT) | instid1(VALU_DEP_1)
	v_fma_f64 v[68:69], -v[62:63], v[66:67], 1.0
	v_fma_f64 v[66:67], v[66:67], v[68:69], v[66:67]
	v_div_scale_f64 v[68:69], vcc_lo, 1.0, v[60:61], 1.0
	s_delay_alu instid0(VALU_DEP_1) | instskip(NEXT) | instid1(VALU_DEP_1)
	v_mul_f64 v[70:71], v[68:69], v[66:67]
	v_fma_f64 v[62:63], -v[62:63], v[70:71], v[68:69]
	s_delay_alu instid0(VALU_DEP_1) | instskip(NEXT) | instid1(VALU_DEP_1)
	v_div_fmas_f64 v[62:63], v[62:63], v[66:67], v[70:71]
	v_div_fixup_f64 v[68:69], v[62:63], v[60:61], 1.0
	s_delay_alu instid0(VALU_DEP_1)
	v_mul_f64 v[66:67], v[64:65], -v[68:69]
.LBB19_52:
	s_or_b32 exec_lo, exec_lo, s3
	ds_store_2addr_b64 v105, v[68:69], v[66:67] offset1:1
.LBB19_53:
	s_or_b32 exec_lo, exec_lo, s4
	s_waitcnt lgkmcnt(0)
	s_barrier
	buffer_gl0_inv
	ds_load_2addr_b64 v[60:63], v105 offset1:1
	s_mov_b32 s3, exec_lo
	v_cmpx_lt_u32_e32 5, v104
	s_cbranch_execz .LBB19_55
; %bb.54:
	s_waitcnt lgkmcnt(0)
	v_mul_f64 v[64:65], v[60:61], v[18:19]
	v_mul_f64 v[18:19], v[62:63], v[18:19]
	s_delay_alu instid0(VALU_DEP_2)
	v_fma_f64 v[102:103], v[62:63], v[16:17], v[64:65]
	ds_load_2addr_b64 v[64:67], v106 offset0:12 offset1:13
	ds_load_2addr_b64 v[68:71], v106 offset0:14 offset1:15
	;; [unrolled: 1-line block ×4, first 2 shown]
	v_fma_f64 v[16:17], v[60:61], v[16:17], -v[18:19]
	s_waitcnt lgkmcnt(3)
	v_mul_f64 v[18:19], v[66:67], v[102:103]
	v_mul_f64 v[107:108], v[64:65], v[102:103]
	s_waitcnt lgkmcnt(2)
	v_mul_f64 v[109:110], v[70:71], v[102:103]
	v_mul_f64 v[111:112], v[68:69], v[102:103]
	;; [unrolled: 3-line block ×4, first 2 shown]
	v_fma_f64 v[18:19], v[64:65], v[16:17], -v[18:19]
	v_fma_f64 v[64:65], v[66:67], v[16:17], v[107:108]
	v_fma_f64 v[66:67], v[68:69], v[16:17], -v[109:110]
	v_fma_f64 v[68:69], v[70:71], v[16:17], v[111:112]
	;; [unrolled: 2-line block ×4, first 2 shown]
	v_add_f64 v[12:13], v[12:13], -v[18:19]
	v_add_f64 v[14:15], v[14:15], -v[64:65]
	v_add_f64 v[8:9], v[8:9], -v[66:67]
	v_add_f64 v[10:11], v[10:11], -v[68:69]
	v_add_f64 v[4:5], v[4:5], -v[70:71]
	v_add_f64 v[6:7], v[6:7], -v[72:73]
	v_add_f64 v[0:1], v[0:1], -v[74:75]
	v_add_f64 v[2:3], v[2:3], -v[76:77]
	v_dual_mov_b32 v18, v102 :: v_dual_mov_b32 v19, v103
.LBB19_55:
	s_or_b32 exec_lo, exec_lo, s3
	s_delay_alu instid0(SALU_CYCLE_1)
	s_mov_b32 s4, exec_lo
	s_waitcnt lgkmcnt(0)
	s_barrier
	buffer_gl0_inv
	v_cmpx_eq_u32_e32 6, v104
	s_cbranch_execz .LBB19_62
; %bb.56:
	ds_store_2addr_b64 v105, v[12:13], v[14:15] offset1:1
	ds_store_2addr_b64 v106, v[8:9], v[10:11] offset0:14 offset1:15
	ds_store_2addr_b64 v106, v[4:5], v[6:7] offset0:16 offset1:17
	ds_store_2addr_b64 v106, v[0:1], v[2:3] offset0:18 offset1:19
	ds_load_2addr_b64 v[64:67], v105 offset1:1
	s_waitcnt lgkmcnt(0)
	v_cmp_neq_f64_e32 vcc_lo, 0, v[64:65]
	v_cmp_neq_f64_e64 s3, 0, v[66:67]
	s_delay_alu instid0(VALU_DEP_1) | instskip(NEXT) | instid1(SALU_CYCLE_1)
	s_or_b32 s3, vcc_lo, s3
	s_and_b32 exec_lo, exec_lo, s3
	s_cbranch_execz .LBB19_62
; %bb.57:
	v_cmp_gt_f64_e32 vcc_lo, 0, v[64:65]
	v_cmp_gt_f64_e64 s3, 0, v[66:67]
	v_xor_b32_e32 v68, 0x80000000, v65
	v_xor_b32_e32 v70, 0x80000000, v67
                                        ; implicit-def: $vgpr72_vgpr73
	s_delay_alu instid0(VALU_DEP_2) | instskip(NEXT) | instid1(VALU_DEP_2)
	v_cndmask_b32_e32 v69, v65, v68, vcc_lo
	v_cndmask_b32_e64 v71, v67, v70, s3
	v_cndmask_b32_e32 v68, v64, v64, vcc_lo
	v_cndmask_b32_e64 v70, v66, v66, s3
	s_mov_b32 s3, exec_lo
	s_delay_alu instid0(VALU_DEP_1)
	v_cmpx_ngt_f64_e32 v[68:69], v[70:71]
	s_xor_b32 s3, exec_lo, s3
                                        ; implicit-def: $vgpr68_vgpr69_vgpr70_vgpr71
	s_cbranch_execz .LBB19_59
; %bb.58:
	v_div_scale_f64 v[68:69], null, v[66:67], v[66:67], v[64:65]
	v_div_scale_f64 v[74:75], vcc_lo, v[64:65], v[66:67], v[64:65]
	s_delay_alu instid0(VALU_DEP_2) | instskip(SKIP_2) | instid1(VALU_DEP_1)
	v_rcp_f64_e32 v[70:71], v[68:69]
	s_waitcnt_depctr 0xfff
	v_fma_f64 v[72:73], -v[68:69], v[70:71], 1.0
	v_fma_f64 v[70:71], v[70:71], v[72:73], v[70:71]
	s_delay_alu instid0(VALU_DEP_1) | instskip(NEXT) | instid1(VALU_DEP_1)
	v_fma_f64 v[72:73], -v[68:69], v[70:71], 1.0
	v_fma_f64 v[70:71], v[70:71], v[72:73], v[70:71]
	s_delay_alu instid0(VALU_DEP_1) | instskip(NEXT) | instid1(VALU_DEP_1)
	v_mul_f64 v[72:73], v[74:75], v[70:71]
	v_fma_f64 v[68:69], -v[68:69], v[72:73], v[74:75]
	s_delay_alu instid0(VALU_DEP_1) | instskip(NEXT) | instid1(VALU_DEP_1)
	v_div_fmas_f64 v[68:69], v[68:69], v[70:71], v[72:73]
	v_div_fixup_f64 v[68:69], v[68:69], v[66:67], v[64:65]
	s_delay_alu instid0(VALU_DEP_1) | instskip(NEXT) | instid1(VALU_DEP_1)
	v_fma_f64 v[64:65], v[64:65], v[68:69], v[66:67]
	v_div_scale_f64 v[66:67], null, v[64:65], v[64:65], 1.0
	s_delay_alu instid0(VALU_DEP_1) | instskip(SKIP_2) | instid1(VALU_DEP_1)
	v_rcp_f64_e32 v[70:71], v[66:67]
	s_waitcnt_depctr 0xfff
	v_fma_f64 v[72:73], -v[66:67], v[70:71], 1.0
	v_fma_f64 v[70:71], v[70:71], v[72:73], v[70:71]
	s_delay_alu instid0(VALU_DEP_1) | instskip(NEXT) | instid1(VALU_DEP_1)
	v_fma_f64 v[72:73], -v[66:67], v[70:71], 1.0
	v_fma_f64 v[70:71], v[70:71], v[72:73], v[70:71]
	v_div_scale_f64 v[72:73], vcc_lo, 1.0, v[64:65], 1.0
	s_delay_alu instid0(VALU_DEP_1) | instskip(NEXT) | instid1(VALU_DEP_1)
	v_mul_f64 v[74:75], v[72:73], v[70:71]
	v_fma_f64 v[66:67], -v[66:67], v[74:75], v[72:73]
	s_delay_alu instid0(VALU_DEP_1) | instskip(NEXT) | instid1(VALU_DEP_1)
	v_div_fmas_f64 v[66:67], v[66:67], v[70:71], v[74:75]
	v_div_fixup_f64 v[70:71], v[66:67], v[64:65], 1.0
                                        ; implicit-def: $vgpr64_vgpr65
	s_delay_alu instid0(VALU_DEP_1)
	v_mul_f64 v[72:73], v[68:69], v[70:71]
	v_xor_b32_e32 v71, 0x80000000, v71
.LBB19_59:
	s_and_not1_saveexec_b32 s3, s3
	s_cbranch_execz .LBB19_61
; %bb.60:
	v_div_scale_f64 v[68:69], null, v[64:65], v[64:65], v[66:67]
	v_div_scale_f64 v[74:75], vcc_lo, v[66:67], v[64:65], v[66:67]
	s_delay_alu instid0(VALU_DEP_2) | instskip(SKIP_2) | instid1(VALU_DEP_1)
	v_rcp_f64_e32 v[70:71], v[68:69]
	s_waitcnt_depctr 0xfff
	v_fma_f64 v[72:73], -v[68:69], v[70:71], 1.0
	v_fma_f64 v[70:71], v[70:71], v[72:73], v[70:71]
	s_delay_alu instid0(VALU_DEP_1) | instskip(NEXT) | instid1(VALU_DEP_1)
	v_fma_f64 v[72:73], -v[68:69], v[70:71], 1.0
	v_fma_f64 v[70:71], v[70:71], v[72:73], v[70:71]
	s_delay_alu instid0(VALU_DEP_1) | instskip(NEXT) | instid1(VALU_DEP_1)
	v_mul_f64 v[72:73], v[74:75], v[70:71]
	v_fma_f64 v[68:69], -v[68:69], v[72:73], v[74:75]
	s_delay_alu instid0(VALU_DEP_1) | instskip(NEXT) | instid1(VALU_DEP_1)
	v_div_fmas_f64 v[68:69], v[68:69], v[70:71], v[72:73]
	v_div_fixup_f64 v[68:69], v[68:69], v[64:65], v[66:67]
	s_delay_alu instid0(VALU_DEP_1) | instskip(NEXT) | instid1(VALU_DEP_1)
	v_fma_f64 v[64:65], v[66:67], v[68:69], v[64:65]
	v_div_scale_f64 v[66:67], null, v[64:65], v[64:65], 1.0
	s_delay_alu instid0(VALU_DEP_1) | instskip(SKIP_2) | instid1(VALU_DEP_1)
	v_rcp_f64_e32 v[70:71], v[66:67]
	s_waitcnt_depctr 0xfff
	v_fma_f64 v[72:73], -v[66:67], v[70:71], 1.0
	v_fma_f64 v[70:71], v[70:71], v[72:73], v[70:71]
	s_delay_alu instid0(VALU_DEP_1) | instskip(NEXT) | instid1(VALU_DEP_1)
	v_fma_f64 v[72:73], -v[66:67], v[70:71], 1.0
	v_fma_f64 v[70:71], v[70:71], v[72:73], v[70:71]
	v_div_scale_f64 v[72:73], vcc_lo, 1.0, v[64:65], 1.0
	s_delay_alu instid0(VALU_DEP_1) | instskip(NEXT) | instid1(VALU_DEP_1)
	v_mul_f64 v[74:75], v[72:73], v[70:71]
	v_fma_f64 v[66:67], -v[66:67], v[74:75], v[72:73]
	s_delay_alu instid0(VALU_DEP_1) | instskip(NEXT) | instid1(VALU_DEP_1)
	v_div_fmas_f64 v[66:67], v[66:67], v[70:71], v[74:75]
	v_div_fixup_f64 v[72:73], v[66:67], v[64:65], 1.0
	s_delay_alu instid0(VALU_DEP_1)
	v_mul_f64 v[70:71], v[68:69], -v[72:73]
.LBB19_61:
	s_or_b32 exec_lo, exec_lo, s3
	ds_store_2addr_b64 v105, v[72:73], v[70:71] offset1:1
.LBB19_62:
	s_or_b32 exec_lo, exec_lo, s4
	s_waitcnt lgkmcnt(0)
	s_barrier
	buffer_gl0_inv
	ds_load_2addr_b64 v[64:67], v105 offset1:1
	s_mov_b32 s3, exec_lo
	v_cmpx_lt_u32_e32 6, v104
	s_cbranch_execz .LBB19_64
; %bb.63:
	s_waitcnt lgkmcnt(0)
	v_mul_f64 v[68:69], v[64:65], v[14:15]
	v_mul_f64 v[14:15], v[66:67], v[14:15]
	s_delay_alu instid0(VALU_DEP_2)
	v_fma_f64 v[102:103], v[66:67], v[12:13], v[68:69]
	ds_load_2addr_b64 v[68:71], v106 offset0:14 offset1:15
	ds_load_2addr_b64 v[72:75], v106 offset0:16 offset1:17
	;; [unrolled: 1-line block ×3, first 2 shown]
	v_fma_f64 v[12:13], v[64:65], v[12:13], -v[14:15]
	s_waitcnt lgkmcnt(2)
	v_mul_f64 v[14:15], v[70:71], v[102:103]
	v_mul_f64 v[107:108], v[68:69], v[102:103]
	s_waitcnt lgkmcnt(1)
	v_mul_f64 v[109:110], v[74:75], v[102:103]
	v_mul_f64 v[111:112], v[72:73], v[102:103]
	;; [unrolled: 3-line block ×3, first 2 shown]
	v_fma_f64 v[14:15], v[68:69], v[12:13], -v[14:15]
	v_fma_f64 v[68:69], v[70:71], v[12:13], v[107:108]
	v_fma_f64 v[70:71], v[72:73], v[12:13], -v[109:110]
	v_fma_f64 v[72:73], v[74:75], v[12:13], v[111:112]
	;; [unrolled: 2-line block ×3, first 2 shown]
	v_add_f64 v[8:9], v[8:9], -v[14:15]
	v_add_f64 v[10:11], v[10:11], -v[68:69]
	;; [unrolled: 1-line block ×6, first 2 shown]
	v_dual_mov_b32 v14, v102 :: v_dual_mov_b32 v15, v103
.LBB19_64:
	s_or_b32 exec_lo, exec_lo, s3
	s_delay_alu instid0(SALU_CYCLE_1)
	s_mov_b32 s4, exec_lo
	s_waitcnt lgkmcnt(0)
	s_barrier
	buffer_gl0_inv
	v_cmpx_eq_u32_e32 7, v104
	s_cbranch_execz .LBB19_71
; %bb.65:
	ds_store_2addr_b64 v105, v[8:9], v[10:11] offset1:1
	ds_store_2addr_b64 v106, v[4:5], v[6:7] offset0:16 offset1:17
	ds_store_2addr_b64 v106, v[0:1], v[2:3] offset0:18 offset1:19
	ds_load_2addr_b64 v[68:71], v105 offset1:1
	s_waitcnt lgkmcnt(0)
	v_cmp_neq_f64_e32 vcc_lo, 0, v[68:69]
	v_cmp_neq_f64_e64 s3, 0, v[70:71]
	s_delay_alu instid0(VALU_DEP_1) | instskip(NEXT) | instid1(SALU_CYCLE_1)
	s_or_b32 s3, vcc_lo, s3
	s_and_b32 exec_lo, exec_lo, s3
	s_cbranch_execz .LBB19_71
; %bb.66:
	v_cmp_gt_f64_e32 vcc_lo, 0, v[68:69]
	v_cmp_gt_f64_e64 s3, 0, v[70:71]
	v_xor_b32_e32 v72, 0x80000000, v69
	v_xor_b32_e32 v74, 0x80000000, v71
                                        ; implicit-def: $vgpr76_vgpr77
	s_delay_alu instid0(VALU_DEP_2) | instskip(NEXT) | instid1(VALU_DEP_2)
	v_cndmask_b32_e32 v73, v69, v72, vcc_lo
	v_cndmask_b32_e64 v75, v71, v74, s3
	v_cndmask_b32_e32 v72, v68, v68, vcc_lo
	v_cndmask_b32_e64 v74, v70, v70, s3
	s_mov_b32 s3, exec_lo
	s_delay_alu instid0(VALU_DEP_1)
	v_cmpx_ngt_f64_e32 v[72:73], v[74:75]
	s_xor_b32 s3, exec_lo, s3
                                        ; implicit-def: $vgpr72_vgpr73_vgpr74_vgpr75
	s_cbranch_execz .LBB19_68
; %bb.67:
	v_div_scale_f64 v[72:73], null, v[70:71], v[70:71], v[68:69]
	v_div_scale_f64 v[78:79], vcc_lo, v[68:69], v[70:71], v[68:69]
	s_delay_alu instid0(VALU_DEP_2) | instskip(SKIP_2) | instid1(VALU_DEP_1)
	v_rcp_f64_e32 v[74:75], v[72:73]
	s_waitcnt_depctr 0xfff
	v_fma_f64 v[76:77], -v[72:73], v[74:75], 1.0
	v_fma_f64 v[74:75], v[74:75], v[76:77], v[74:75]
	s_delay_alu instid0(VALU_DEP_1) | instskip(NEXT) | instid1(VALU_DEP_1)
	v_fma_f64 v[76:77], -v[72:73], v[74:75], 1.0
	v_fma_f64 v[74:75], v[74:75], v[76:77], v[74:75]
	s_delay_alu instid0(VALU_DEP_1) | instskip(NEXT) | instid1(VALU_DEP_1)
	v_mul_f64 v[76:77], v[78:79], v[74:75]
	v_fma_f64 v[72:73], -v[72:73], v[76:77], v[78:79]
	s_delay_alu instid0(VALU_DEP_1) | instskip(NEXT) | instid1(VALU_DEP_1)
	v_div_fmas_f64 v[72:73], v[72:73], v[74:75], v[76:77]
	v_div_fixup_f64 v[72:73], v[72:73], v[70:71], v[68:69]
	s_delay_alu instid0(VALU_DEP_1) | instskip(NEXT) | instid1(VALU_DEP_1)
	v_fma_f64 v[68:69], v[68:69], v[72:73], v[70:71]
	v_div_scale_f64 v[70:71], null, v[68:69], v[68:69], 1.0
	s_delay_alu instid0(VALU_DEP_1) | instskip(SKIP_2) | instid1(VALU_DEP_1)
	v_rcp_f64_e32 v[74:75], v[70:71]
	s_waitcnt_depctr 0xfff
	v_fma_f64 v[76:77], -v[70:71], v[74:75], 1.0
	v_fma_f64 v[74:75], v[74:75], v[76:77], v[74:75]
	s_delay_alu instid0(VALU_DEP_1) | instskip(NEXT) | instid1(VALU_DEP_1)
	v_fma_f64 v[76:77], -v[70:71], v[74:75], 1.0
	v_fma_f64 v[74:75], v[74:75], v[76:77], v[74:75]
	v_div_scale_f64 v[76:77], vcc_lo, 1.0, v[68:69], 1.0
	s_delay_alu instid0(VALU_DEP_1) | instskip(NEXT) | instid1(VALU_DEP_1)
	v_mul_f64 v[78:79], v[76:77], v[74:75]
	v_fma_f64 v[70:71], -v[70:71], v[78:79], v[76:77]
	s_delay_alu instid0(VALU_DEP_1) | instskip(NEXT) | instid1(VALU_DEP_1)
	v_div_fmas_f64 v[70:71], v[70:71], v[74:75], v[78:79]
	v_div_fixup_f64 v[74:75], v[70:71], v[68:69], 1.0
                                        ; implicit-def: $vgpr68_vgpr69
	s_delay_alu instid0(VALU_DEP_1)
	v_mul_f64 v[76:77], v[72:73], v[74:75]
	v_xor_b32_e32 v75, 0x80000000, v75
.LBB19_68:
	s_and_not1_saveexec_b32 s3, s3
	s_cbranch_execz .LBB19_70
; %bb.69:
	v_div_scale_f64 v[72:73], null, v[68:69], v[68:69], v[70:71]
	v_div_scale_f64 v[78:79], vcc_lo, v[70:71], v[68:69], v[70:71]
	s_delay_alu instid0(VALU_DEP_2) | instskip(SKIP_2) | instid1(VALU_DEP_1)
	v_rcp_f64_e32 v[74:75], v[72:73]
	s_waitcnt_depctr 0xfff
	v_fma_f64 v[76:77], -v[72:73], v[74:75], 1.0
	v_fma_f64 v[74:75], v[74:75], v[76:77], v[74:75]
	s_delay_alu instid0(VALU_DEP_1) | instskip(NEXT) | instid1(VALU_DEP_1)
	v_fma_f64 v[76:77], -v[72:73], v[74:75], 1.0
	v_fma_f64 v[74:75], v[74:75], v[76:77], v[74:75]
	s_delay_alu instid0(VALU_DEP_1) | instskip(NEXT) | instid1(VALU_DEP_1)
	v_mul_f64 v[76:77], v[78:79], v[74:75]
	v_fma_f64 v[72:73], -v[72:73], v[76:77], v[78:79]
	s_delay_alu instid0(VALU_DEP_1) | instskip(NEXT) | instid1(VALU_DEP_1)
	v_div_fmas_f64 v[72:73], v[72:73], v[74:75], v[76:77]
	v_div_fixup_f64 v[72:73], v[72:73], v[68:69], v[70:71]
	s_delay_alu instid0(VALU_DEP_1) | instskip(NEXT) | instid1(VALU_DEP_1)
	v_fma_f64 v[68:69], v[70:71], v[72:73], v[68:69]
	v_div_scale_f64 v[70:71], null, v[68:69], v[68:69], 1.0
	s_delay_alu instid0(VALU_DEP_1) | instskip(SKIP_2) | instid1(VALU_DEP_1)
	v_rcp_f64_e32 v[74:75], v[70:71]
	s_waitcnt_depctr 0xfff
	v_fma_f64 v[76:77], -v[70:71], v[74:75], 1.0
	v_fma_f64 v[74:75], v[74:75], v[76:77], v[74:75]
	s_delay_alu instid0(VALU_DEP_1) | instskip(NEXT) | instid1(VALU_DEP_1)
	v_fma_f64 v[76:77], -v[70:71], v[74:75], 1.0
	v_fma_f64 v[74:75], v[74:75], v[76:77], v[74:75]
	v_div_scale_f64 v[76:77], vcc_lo, 1.0, v[68:69], 1.0
	s_delay_alu instid0(VALU_DEP_1) | instskip(NEXT) | instid1(VALU_DEP_1)
	v_mul_f64 v[78:79], v[76:77], v[74:75]
	v_fma_f64 v[70:71], -v[70:71], v[78:79], v[76:77]
	s_delay_alu instid0(VALU_DEP_1) | instskip(NEXT) | instid1(VALU_DEP_1)
	v_div_fmas_f64 v[70:71], v[70:71], v[74:75], v[78:79]
	v_div_fixup_f64 v[76:77], v[70:71], v[68:69], 1.0
	s_delay_alu instid0(VALU_DEP_1)
	v_mul_f64 v[74:75], v[72:73], -v[76:77]
.LBB19_70:
	s_or_b32 exec_lo, exec_lo, s3
	ds_store_2addr_b64 v105, v[76:77], v[74:75] offset1:1
.LBB19_71:
	s_or_b32 exec_lo, exec_lo, s4
	s_waitcnt lgkmcnt(0)
	s_barrier
	buffer_gl0_inv
	ds_load_2addr_b64 v[68:71], v105 offset1:1
	s_mov_b32 s3, exec_lo
	v_cmpx_lt_u32_e32 7, v104
	s_cbranch_execz .LBB19_73
; %bb.72:
	s_waitcnt lgkmcnt(0)
	v_mul_f64 v[72:73], v[68:69], v[10:11]
	v_mul_f64 v[10:11], v[70:71], v[10:11]
	s_delay_alu instid0(VALU_DEP_2)
	v_fma_f64 v[102:103], v[70:71], v[8:9], v[72:73]
	ds_load_2addr_b64 v[72:75], v106 offset0:16 offset1:17
	ds_load_2addr_b64 v[76:79], v106 offset0:18 offset1:19
	v_fma_f64 v[8:9], v[68:69], v[8:9], -v[10:11]
	s_waitcnt lgkmcnt(1)
	v_mul_f64 v[10:11], v[74:75], v[102:103]
	v_mul_f64 v[107:108], v[72:73], v[102:103]
	s_waitcnt lgkmcnt(0)
	v_mul_f64 v[109:110], v[78:79], v[102:103]
	v_mul_f64 v[111:112], v[76:77], v[102:103]
	s_delay_alu instid0(VALU_DEP_4) | instskip(NEXT) | instid1(VALU_DEP_4)
	v_fma_f64 v[10:11], v[72:73], v[8:9], -v[10:11]
	v_fma_f64 v[72:73], v[74:75], v[8:9], v[107:108]
	s_delay_alu instid0(VALU_DEP_4) | instskip(NEXT) | instid1(VALU_DEP_4)
	v_fma_f64 v[74:75], v[76:77], v[8:9], -v[109:110]
	v_fma_f64 v[76:77], v[78:79], v[8:9], v[111:112]
	s_delay_alu instid0(VALU_DEP_4) | instskip(NEXT) | instid1(VALU_DEP_4)
	v_add_f64 v[4:5], v[4:5], -v[10:11]
	v_add_f64 v[6:7], v[6:7], -v[72:73]
	s_delay_alu instid0(VALU_DEP_4) | instskip(NEXT) | instid1(VALU_DEP_4)
	v_add_f64 v[0:1], v[0:1], -v[74:75]
	v_add_f64 v[2:3], v[2:3], -v[76:77]
	v_dual_mov_b32 v10, v102 :: v_dual_mov_b32 v11, v103
.LBB19_73:
	s_or_b32 exec_lo, exec_lo, s3
	s_delay_alu instid0(SALU_CYCLE_1)
	s_mov_b32 s4, exec_lo
	s_waitcnt lgkmcnt(0)
	s_barrier
	buffer_gl0_inv
	v_cmpx_eq_u32_e32 8, v104
	s_cbranch_execz .LBB19_80
; %bb.74:
	ds_store_2addr_b64 v105, v[4:5], v[6:7] offset1:1
	ds_store_2addr_b64 v106, v[0:1], v[2:3] offset0:18 offset1:19
	ds_load_2addr_b64 v[72:75], v105 offset1:1
	s_waitcnt lgkmcnt(0)
	v_cmp_neq_f64_e32 vcc_lo, 0, v[72:73]
	v_cmp_neq_f64_e64 s3, 0, v[74:75]
	s_delay_alu instid0(VALU_DEP_1) | instskip(NEXT) | instid1(SALU_CYCLE_1)
	s_or_b32 s3, vcc_lo, s3
	s_and_b32 exec_lo, exec_lo, s3
	s_cbranch_execz .LBB19_80
; %bb.75:
	v_cmp_gt_f64_e32 vcc_lo, 0, v[72:73]
	v_cmp_gt_f64_e64 s3, 0, v[74:75]
	v_xor_b32_e32 v76, 0x80000000, v73
	v_xor_b32_e32 v78, 0x80000000, v75
                                        ; implicit-def: $vgpr102_vgpr103
	s_delay_alu instid0(VALU_DEP_2) | instskip(NEXT) | instid1(VALU_DEP_2)
	v_cndmask_b32_e32 v77, v73, v76, vcc_lo
	v_cndmask_b32_e64 v79, v75, v78, s3
	v_cndmask_b32_e32 v76, v72, v72, vcc_lo
	v_cndmask_b32_e64 v78, v74, v74, s3
	s_mov_b32 s3, exec_lo
	s_delay_alu instid0(VALU_DEP_1)
	v_cmpx_ngt_f64_e32 v[76:77], v[78:79]
	s_xor_b32 s3, exec_lo, s3
                                        ; implicit-def: $vgpr76_vgpr77_vgpr78_vgpr79
	s_cbranch_execz .LBB19_77
; %bb.76:
	v_div_scale_f64 v[76:77], null, v[74:75], v[74:75], v[72:73]
	v_div_scale_f64 v[107:108], vcc_lo, v[72:73], v[74:75], v[72:73]
	s_delay_alu instid0(VALU_DEP_2) | instskip(SKIP_2) | instid1(VALU_DEP_1)
	v_rcp_f64_e32 v[78:79], v[76:77]
	s_waitcnt_depctr 0xfff
	v_fma_f64 v[102:103], -v[76:77], v[78:79], 1.0
	v_fma_f64 v[78:79], v[78:79], v[102:103], v[78:79]
	s_delay_alu instid0(VALU_DEP_1) | instskip(NEXT) | instid1(VALU_DEP_1)
	v_fma_f64 v[102:103], -v[76:77], v[78:79], 1.0
	v_fma_f64 v[78:79], v[78:79], v[102:103], v[78:79]
	s_delay_alu instid0(VALU_DEP_1) | instskip(NEXT) | instid1(VALU_DEP_1)
	v_mul_f64 v[102:103], v[107:108], v[78:79]
	v_fma_f64 v[76:77], -v[76:77], v[102:103], v[107:108]
	s_delay_alu instid0(VALU_DEP_1) | instskip(NEXT) | instid1(VALU_DEP_1)
	v_div_fmas_f64 v[76:77], v[76:77], v[78:79], v[102:103]
	v_div_fixup_f64 v[76:77], v[76:77], v[74:75], v[72:73]
	s_delay_alu instid0(VALU_DEP_1) | instskip(NEXT) | instid1(VALU_DEP_1)
	v_fma_f64 v[72:73], v[72:73], v[76:77], v[74:75]
	v_div_scale_f64 v[74:75], null, v[72:73], v[72:73], 1.0
	s_delay_alu instid0(VALU_DEP_1) | instskip(SKIP_2) | instid1(VALU_DEP_1)
	v_rcp_f64_e32 v[78:79], v[74:75]
	s_waitcnt_depctr 0xfff
	v_fma_f64 v[102:103], -v[74:75], v[78:79], 1.0
	v_fma_f64 v[78:79], v[78:79], v[102:103], v[78:79]
	s_delay_alu instid0(VALU_DEP_1) | instskip(NEXT) | instid1(VALU_DEP_1)
	v_fma_f64 v[102:103], -v[74:75], v[78:79], 1.0
	v_fma_f64 v[78:79], v[78:79], v[102:103], v[78:79]
	v_div_scale_f64 v[102:103], vcc_lo, 1.0, v[72:73], 1.0
	s_delay_alu instid0(VALU_DEP_1) | instskip(NEXT) | instid1(VALU_DEP_1)
	v_mul_f64 v[107:108], v[102:103], v[78:79]
	v_fma_f64 v[74:75], -v[74:75], v[107:108], v[102:103]
	s_delay_alu instid0(VALU_DEP_1) | instskip(NEXT) | instid1(VALU_DEP_1)
	v_div_fmas_f64 v[74:75], v[74:75], v[78:79], v[107:108]
	v_div_fixup_f64 v[78:79], v[74:75], v[72:73], 1.0
                                        ; implicit-def: $vgpr72_vgpr73
	s_delay_alu instid0(VALU_DEP_1)
	v_mul_f64 v[102:103], v[76:77], v[78:79]
	v_xor_b32_e32 v79, 0x80000000, v79
.LBB19_77:
	s_and_not1_saveexec_b32 s3, s3
	s_cbranch_execz .LBB19_79
; %bb.78:
	v_div_scale_f64 v[76:77], null, v[72:73], v[72:73], v[74:75]
	v_div_scale_f64 v[107:108], vcc_lo, v[74:75], v[72:73], v[74:75]
	s_delay_alu instid0(VALU_DEP_2) | instskip(SKIP_2) | instid1(VALU_DEP_1)
	v_rcp_f64_e32 v[78:79], v[76:77]
	s_waitcnt_depctr 0xfff
	v_fma_f64 v[102:103], -v[76:77], v[78:79], 1.0
	v_fma_f64 v[78:79], v[78:79], v[102:103], v[78:79]
	s_delay_alu instid0(VALU_DEP_1) | instskip(NEXT) | instid1(VALU_DEP_1)
	v_fma_f64 v[102:103], -v[76:77], v[78:79], 1.0
	v_fma_f64 v[78:79], v[78:79], v[102:103], v[78:79]
	s_delay_alu instid0(VALU_DEP_1) | instskip(NEXT) | instid1(VALU_DEP_1)
	v_mul_f64 v[102:103], v[107:108], v[78:79]
	v_fma_f64 v[76:77], -v[76:77], v[102:103], v[107:108]
	s_delay_alu instid0(VALU_DEP_1) | instskip(NEXT) | instid1(VALU_DEP_1)
	v_div_fmas_f64 v[76:77], v[76:77], v[78:79], v[102:103]
	v_div_fixup_f64 v[76:77], v[76:77], v[72:73], v[74:75]
	s_delay_alu instid0(VALU_DEP_1) | instskip(NEXT) | instid1(VALU_DEP_1)
	v_fma_f64 v[72:73], v[74:75], v[76:77], v[72:73]
	v_div_scale_f64 v[74:75], null, v[72:73], v[72:73], 1.0
	s_delay_alu instid0(VALU_DEP_1) | instskip(SKIP_2) | instid1(VALU_DEP_1)
	v_rcp_f64_e32 v[78:79], v[74:75]
	s_waitcnt_depctr 0xfff
	v_fma_f64 v[102:103], -v[74:75], v[78:79], 1.0
	v_fma_f64 v[78:79], v[78:79], v[102:103], v[78:79]
	s_delay_alu instid0(VALU_DEP_1) | instskip(NEXT) | instid1(VALU_DEP_1)
	v_fma_f64 v[102:103], -v[74:75], v[78:79], 1.0
	v_fma_f64 v[78:79], v[78:79], v[102:103], v[78:79]
	v_div_scale_f64 v[102:103], vcc_lo, 1.0, v[72:73], 1.0
	s_delay_alu instid0(VALU_DEP_1) | instskip(NEXT) | instid1(VALU_DEP_1)
	v_mul_f64 v[107:108], v[102:103], v[78:79]
	v_fma_f64 v[74:75], -v[74:75], v[107:108], v[102:103]
	s_delay_alu instid0(VALU_DEP_1) | instskip(NEXT) | instid1(VALU_DEP_1)
	v_div_fmas_f64 v[74:75], v[74:75], v[78:79], v[107:108]
	v_div_fixup_f64 v[102:103], v[74:75], v[72:73], 1.0
	s_delay_alu instid0(VALU_DEP_1)
	v_mul_f64 v[78:79], v[76:77], -v[102:103]
.LBB19_79:
	s_or_b32 exec_lo, exec_lo, s3
	ds_store_2addr_b64 v105, v[102:103], v[78:79] offset1:1
.LBB19_80:
	s_or_b32 exec_lo, exec_lo, s4
	s_waitcnt lgkmcnt(0)
	s_barrier
	buffer_gl0_inv
	ds_load_2addr_b64 v[72:75], v105 offset1:1
	s_mov_b32 s3, exec_lo
	v_cmpx_lt_u32_e32 8, v104
	s_cbranch_execz .LBB19_82
; %bb.81:
	s_waitcnt lgkmcnt(0)
	v_mul_f64 v[76:77], v[72:73], v[6:7]
	v_mul_f64 v[6:7], v[74:75], v[6:7]
	s_delay_alu instid0(VALU_DEP_2)
	v_fma_f64 v[102:103], v[74:75], v[4:5], v[76:77]
	ds_load_2addr_b64 v[76:79], v106 offset0:18 offset1:19
	v_fma_f64 v[4:5], v[72:73], v[4:5], -v[6:7]
	s_waitcnt lgkmcnt(0)
	v_mul_f64 v[6:7], v[78:79], v[102:103]
	v_mul_f64 v[106:107], v[76:77], v[102:103]
	s_delay_alu instid0(VALU_DEP_2) | instskip(NEXT) | instid1(VALU_DEP_2)
	v_fma_f64 v[6:7], v[76:77], v[4:5], -v[6:7]
	v_fma_f64 v[76:77], v[78:79], v[4:5], v[106:107]
	s_delay_alu instid0(VALU_DEP_2) | instskip(NEXT) | instid1(VALU_DEP_2)
	v_add_f64 v[0:1], v[0:1], -v[6:7]
	v_add_f64 v[2:3], v[2:3], -v[76:77]
	v_dual_mov_b32 v6, v102 :: v_dual_mov_b32 v7, v103
.LBB19_82:
	s_or_b32 exec_lo, exec_lo, s3
	s_delay_alu instid0(SALU_CYCLE_1)
	s_mov_b32 s4, exec_lo
	s_waitcnt lgkmcnt(0)
	s_barrier
	buffer_gl0_inv
	v_cmpx_eq_u32_e32 9, v104
	s_cbranch_execz .LBB19_89
; %bb.83:
	v_cmp_neq_f64_e32 vcc_lo, 0, v[0:1]
	v_cmp_neq_f64_e64 s3, 0, v[2:3]
	ds_store_2addr_b64 v105, v[0:1], v[2:3] offset1:1
	s_or_b32 s3, vcc_lo, s3
	s_delay_alu instid0(SALU_CYCLE_1)
	s_and_b32 exec_lo, exec_lo, s3
	s_cbranch_execz .LBB19_89
; %bb.84:
	v_cmp_gt_f64_e32 vcc_lo, 0, v[0:1]
	v_cmp_gt_f64_e64 s3, 0, v[2:3]
	v_xor_b32_e32 v76, 0x80000000, v1
	v_xor_b32_e32 v78, 0x80000000, v3
                                        ; implicit-def: $vgpr102_vgpr103
	s_delay_alu instid0(VALU_DEP_2) | instskip(NEXT) | instid1(VALU_DEP_2)
	v_cndmask_b32_e32 v77, v1, v76, vcc_lo
	v_cndmask_b32_e64 v79, v3, v78, s3
	v_cndmask_b32_e32 v76, v0, v0, vcc_lo
	v_cndmask_b32_e64 v78, v2, v2, s3
	s_mov_b32 s3, exec_lo
	s_delay_alu instid0(VALU_DEP_1)
	v_cmpx_ngt_f64_e32 v[76:77], v[78:79]
	s_xor_b32 s3, exec_lo, s3
                                        ; implicit-def: $vgpr76_vgpr77_vgpr78_vgpr79
	s_cbranch_execz .LBB19_86
; %bb.85:
	v_div_scale_f64 v[76:77], null, v[2:3], v[2:3], v[0:1]
	v_div_scale_f64 v[106:107], vcc_lo, v[0:1], v[2:3], v[0:1]
	s_delay_alu instid0(VALU_DEP_2) | instskip(SKIP_2) | instid1(VALU_DEP_1)
	v_rcp_f64_e32 v[78:79], v[76:77]
	s_waitcnt_depctr 0xfff
	v_fma_f64 v[102:103], -v[76:77], v[78:79], 1.0
	v_fma_f64 v[78:79], v[78:79], v[102:103], v[78:79]
	s_delay_alu instid0(VALU_DEP_1) | instskip(NEXT) | instid1(VALU_DEP_1)
	v_fma_f64 v[102:103], -v[76:77], v[78:79], 1.0
	v_fma_f64 v[78:79], v[78:79], v[102:103], v[78:79]
	s_delay_alu instid0(VALU_DEP_1) | instskip(NEXT) | instid1(VALU_DEP_1)
	v_mul_f64 v[102:103], v[106:107], v[78:79]
	v_fma_f64 v[76:77], -v[76:77], v[102:103], v[106:107]
	s_delay_alu instid0(VALU_DEP_1) | instskip(NEXT) | instid1(VALU_DEP_1)
	v_div_fmas_f64 v[76:77], v[76:77], v[78:79], v[102:103]
	v_div_fixup_f64 v[76:77], v[76:77], v[2:3], v[0:1]
	s_delay_alu instid0(VALU_DEP_1) | instskip(NEXT) | instid1(VALU_DEP_1)
	v_fma_f64 v[78:79], v[0:1], v[76:77], v[2:3]
	v_div_scale_f64 v[102:103], null, v[78:79], v[78:79], 1.0
	s_delay_alu instid0(VALU_DEP_1) | instskip(SKIP_2) | instid1(VALU_DEP_1)
	v_rcp_f64_e32 v[106:107], v[102:103]
	s_waitcnt_depctr 0xfff
	v_fma_f64 v[108:109], -v[102:103], v[106:107], 1.0
	v_fma_f64 v[106:107], v[106:107], v[108:109], v[106:107]
	s_delay_alu instid0(VALU_DEP_1) | instskip(NEXT) | instid1(VALU_DEP_1)
	v_fma_f64 v[108:109], -v[102:103], v[106:107], 1.0
	v_fma_f64 v[106:107], v[106:107], v[108:109], v[106:107]
	v_div_scale_f64 v[108:109], vcc_lo, 1.0, v[78:79], 1.0
	s_delay_alu instid0(VALU_DEP_1) | instskip(NEXT) | instid1(VALU_DEP_1)
	v_mul_f64 v[110:111], v[108:109], v[106:107]
	v_fma_f64 v[102:103], -v[102:103], v[110:111], v[108:109]
	s_delay_alu instid0(VALU_DEP_1) | instskip(NEXT) | instid1(VALU_DEP_1)
	v_div_fmas_f64 v[102:103], v[102:103], v[106:107], v[110:111]
	v_div_fixup_f64 v[78:79], v[102:103], v[78:79], 1.0
	s_delay_alu instid0(VALU_DEP_1)
	v_mul_f64 v[102:103], v[76:77], v[78:79]
	v_xor_b32_e32 v79, 0x80000000, v79
.LBB19_86:
	s_and_not1_saveexec_b32 s3, s3
	s_cbranch_execz .LBB19_88
; %bb.87:
	v_div_scale_f64 v[76:77], null, v[0:1], v[0:1], v[2:3]
	v_div_scale_f64 v[106:107], vcc_lo, v[2:3], v[0:1], v[2:3]
	s_delay_alu instid0(VALU_DEP_2) | instskip(SKIP_2) | instid1(VALU_DEP_1)
	v_rcp_f64_e32 v[78:79], v[76:77]
	s_waitcnt_depctr 0xfff
	v_fma_f64 v[102:103], -v[76:77], v[78:79], 1.0
	v_fma_f64 v[78:79], v[78:79], v[102:103], v[78:79]
	s_delay_alu instid0(VALU_DEP_1) | instskip(NEXT) | instid1(VALU_DEP_1)
	v_fma_f64 v[102:103], -v[76:77], v[78:79], 1.0
	v_fma_f64 v[78:79], v[78:79], v[102:103], v[78:79]
	s_delay_alu instid0(VALU_DEP_1) | instskip(NEXT) | instid1(VALU_DEP_1)
	v_mul_f64 v[102:103], v[106:107], v[78:79]
	v_fma_f64 v[76:77], -v[76:77], v[102:103], v[106:107]
	s_delay_alu instid0(VALU_DEP_1) | instskip(NEXT) | instid1(VALU_DEP_1)
	v_div_fmas_f64 v[76:77], v[76:77], v[78:79], v[102:103]
	v_div_fixup_f64 v[76:77], v[76:77], v[0:1], v[2:3]
	s_delay_alu instid0(VALU_DEP_1) | instskip(NEXT) | instid1(VALU_DEP_1)
	v_fma_f64 v[78:79], v[2:3], v[76:77], v[0:1]
	v_div_scale_f64 v[102:103], null, v[78:79], v[78:79], 1.0
	s_delay_alu instid0(VALU_DEP_1) | instskip(SKIP_2) | instid1(VALU_DEP_1)
	v_rcp_f64_e32 v[106:107], v[102:103]
	s_waitcnt_depctr 0xfff
	v_fma_f64 v[108:109], -v[102:103], v[106:107], 1.0
	v_fma_f64 v[106:107], v[106:107], v[108:109], v[106:107]
	s_delay_alu instid0(VALU_DEP_1) | instskip(NEXT) | instid1(VALU_DEP_1)
	v_fma_f64 v[108:109], -v[102:103], v[106:107], 1.0
	v_fma_f64 v[106:107], v[106:107], v[108:109], v[106:107]
	v_div_scale_f64 v[108:109], vcc_lo, 1.0, v[78:79], 1.0
	s_delay_alu instid0(VALU_DEP_1) | instskip(NEXT) | instid1(VALU_DEP_1)
	v_mul_f64 v[110:111], v[108:109], v[106:107]
	v_fma_f64 v[102:103], -v[102:103], v[110:111], v[108:109]
	s_delay_alu instid0(VALU_DEP_1) | instskip(NEXT) | instid1(VALU_DEP_1)
	v_div_fmas_f64 v[102:103], v[102:103], v[106:107], v[110:111]
	v_div_fixup_f64 v[102:103], v[102:103], v[78:79], 1.0
	s_delay_alu instid0(VALU_DEP_1)
	v_mul_f64 v[78:79], v[76:77], -v[102:103]
.LBB19_88:
	s_or_b32 exec_lo, exec_lo, s3
	ds_store_2addr_b64 v105, v[102:103], v[78:79] offset1:1
.LBB19_89:
	s_or_b32 exec_lo, exec_lo, s4
	s_waitcnt lgkmcnt(0)
	s_barrier
	buffer_gl0_inv
	ds_load_2addr_b64 v[76:79], v105 offset1:1
	s_mov_b32 s3, exec_lo
	v_cmpx_lt_u32_e32 9, v104
	s_cbranch_execz .LBB19_91
; %bb.90:
	s_waitcnt lgkmcnt(0)
	v_mul_f64 v[102:103], v[78:79], v[2:3]
	v_mul_f64 v[2:3], v[76:77], v[2:3]
	s_delay_alu instid0(VALU_DEP_2) | instskip(NEXT) | instid1(VALU_DEP_2)
	v_fma_f64 v[102:103], v[76:77], v[0:1], -v[102:103]
	v_fma_f64 v[2:3], v[78:79], v[0:1], v[2:3]
	s_delay_alu instid0(VALU_DEP_2)
	v_dual_mov_b32 v0, v102 :: v_dual_mov_b32 v1, v103
.LBB19_91:
	s_or_b32 exec_lo, exec_lo, s3
	s_waitcnt lgkmcnt(0)
	s_barrier
	buffer_gl0_inv
	s_and_saveexec_b32 s10, s2
	s_cbranch_execz .LBB19_94
; %bb.92:
	s_load_b64 s[0:1], s[0:1], 0x28
	v_lshlrev_b64 v[80:81], 2, v[80:81]
	v_cmp_neq_f64_e64 s2, 0, v[46:47]
	v_cmp_eq_f64_e64 s3, 0, v[48:49]
	v_cmp_eq_f64_e64 s4, 0, v[50:51]
	;; [unrolled: 1-line block ×6, first 2 shown]
	s_waitcnt lgkmcnt(0)
	v_add_co_u32 v80, vcc_lo, s0, v80
	v_add_co_ci_u32_e32 v81, vcc_lo, s1, v81, vcc_lo
	v_cmp_eq_f64_e32 vcc_lo, 0, v[40:41]
	v_cmp_eq_f64_e64 s0, 0, v[42:43]
	v_cmp_neq_f64_e64 s1, 0, v[44:45]
	global_load_b32 v102, v[80:81], off
	s_and_b32 s0, vcc_lo, s0
	s_or_b32 s1, s1, s2
	v_cndmask_b32_e64 v40, 0, 1, s0
	s_or_b32 vcc_lo, s1, s0
	v_cmp_eq_f64_e64 s0, 0, v[62:63]
	s_and_b32 s2, s3, s4
	s_and_b32 s4, s5, s6
	v_cndmask_b32_e32 v40, 2, v40, vcc_lo
	v_cmp_eq_f64_e32 vcc_lo, 0, v[60:61]
	s_and_b32 s6, s7, s8
	s_delay_alu instid0(VALU_DEP_2) | instskip(NEXT) | instid1(VALU_DEP_1)
	v_cmp_eq_u32_e64 s1, 0, v40
	s_and_b32 s1, s2, s1
	v_cmp_eq_f64_e64 s2, 0, v[66:67]
	v_cndmask_b32_e64 v40, v40, 3, s1
	v_cmp_eq_f64_e64 s1, 0, v[64:65]
	s_delay_alu instid0(VALU_DEP_2) | instskip(NEXT) | instid1(VALU_DEP_1)
	v_cmp_eq_u32_e64 s3, 0, v40
	s_and_b32 s3, s4, s3
	v_cmp_eq_f64_e64 s4, 0, v[70:71]
	v_cndmask_b32_e64 v40, v40, 4, s3
	v_cmp_eq_f64_e64 s3, 0, v[68:69]
	;; [unrolled: 6-line block ×3, first 2 shown]
	s_and_b32 s0, vcc_lo, s0
	v_cmp_eq_f64_e32 vcc_lo, 0, v[76:77]
	s_delay_alu instid0(VALU_DEP_3) | instskip(NEXT) | instid1(VALU_DEP_1)
	v_cmp_eq_u32_e64 s7, 0, v40
	s_and_b32 s0, s0, s7
	s_delay_alu instid0(SALU_CYCLE_1) | instskip(SKIP_2) | instid1(VALU_DEP_2)
	v_cndmask_b32_e64 v40, v40, 6, s0
	v_cmp_eq_f64_e64 s0, 0, v[78:79]
	s_and_b32 s1, s1, s2
	v_cmp_eq_u32_e64 s7, 0, v40
	s_delay_alu instid0(VALU_DEP_1) | instskip(NEXT) | instid1(SALU_CYCLE_1)
	s_and_b32 s1, s1, s7
	v_cndmask_b32_e64 v40, v40, 7, s1
	s_and_b32 s2, s3, s4
	s_delay_alu instid0(VALU_DEP_1) | instskip(NEXT) | instid1(VALU_DEP_1)
	v_cmp_eq_u32_e64 s1, 0, v40
	s_and_b32 s1, s2, s1
	s_delay_alu instid0(SALU_CYCLE_1) | instskip(SKIP_1) | instid1(VALU_DEP_1)
	v_cndmask_b32_e64 v40, v40, 8, s1
	s_and_b32 s2, s5, s6
	v_cmp_eq_u32_e64 s1, 0, v40
	s_delay_alu instid0(VALU_DEP_1) | instskip(NEXT) | instid1(SALU_CYCLE_1)
	s_and_b32 s1, s2, s1
	v_cndmask_b32_e64 v40, v40, 9, s1
	s_and_b32 s0, vcc_lo, s0
	s_delay_alu instid0(VALU_DEP_1) | instskip(NEXT) | instid1(VALU_DEP_1)
	v_cmp_eq_u32_e64 s1, 0, v40
	s_and_b32 s0, s0, s1
	s_delay_alu instid0(SALU_CYCLE_1) | instskip(NEXT) | instid1(VALU_DEP_1)
	v_cndmask_b32_e64 v40, v40, 10, s0
	v_cmp_ne_u32_e64 s0, 0, v40
	s_waitcnt vmcnt(0)
	v_cmp_eq_u32_e32 vcc_lo, 0, v102
	s_delay_alu instid0(VALU_DEP_2) | instskip(NEXT) | instid1(SALU_CYCLE_1)
	s_and_b32 s0, vcc_lo, s0
	s_and_b32 exec_lo, exec_lo, s0
	s_cbranch_execz .LBB19_94
; %bb.93:
	v_add_nc_u32_e32 v40, s9, v40
	global_store_b32 v[80:81], v40, off
.LBB19_94:
	s_or_b32 exec_lo, exec_lo, s10
	s_clause 0x9
	global_store_b128 v[98:99], v[36:39], off
	global_store_b128 v[100:101], v[32:35], off
	;; [unrolled: 1-line block ×10, first 2 shown]
.LBB19_95:
	s_nop 0
	s_sendmsg sendmsg(MSG_DEALLOC_VGPRS)
	s_endpgm
	.section	.rodata,"a",@progbits
	.p2align	6, 0x0
	.amdhsa_kernel _ZN9rocsolver6v33100L23getf2_npvt_small_kernelILi10E19rocblas_complex_numIdEiiPKPS3_EEvT1_T3_lS7_lPT2_S7_S7_
		.amdhsa_group_segment_fixed_size 0
		.amdhsa_private_segment_fixed_size 0
		.amdhsa_kernarg_size 312
		.amdhsa_user_sgpr_count 14
		.amdhsa_user_sgpr_dispatch_ptr 0
		.amdhsa_user_sgpr_queue_ptr 0
		.amdhsa_user_sgpr_kernarg_segment_ptr 1
		.amdhsa_user_sgpr_dispatch_id 0
		.amdhsa_user_sgpr_private_segment_size 0
		.amdhsa_wavefront_size32 1
		.amdhsa_uses_dynamic_stack 0
		.amdhsa_enable_private_segment 0
		.amdhsa_system_sgpr_workgroup_id_x 1
		.amdhsa_system_sgpr_workgroup_id_y 1
		.amdhsa_system_sgpr_workgroup_id_z 0
		.amdhsa_system_sgpr_workgroup_info 0
		.amdhsa_system_vgpr_workitem_id 1
		.amdhsa_next_free_vgpr 141
		.amdhsa_next_free_sgpr 16
		.amdhsa_reserve_vcc 1
		.amdhsa_float_round_mode_32 0
		.amdhsa_float_round_mode_16_64 0
		.amdhsa_float_denorm_mode_32 3
		.amdhsa_float_denorm_mode_16_64 3
		.amdhsa_dx10_clamp 1
		.amdhsa_ieee_mode 1
		.amdhsa_fp16_overflow 0
		.amdhsa_workgroup_processor_mode 1
		.amdhsa_memory_ordered 1
		.amdhsa_forward_progress 0
		.amdhsa_shared_vgpr_count 0
		.amdhsa_exception_fp_ieee_invalid_op 0
		.amdhsa_exception_fp_denorm_src 0
		.amdhsa_exception_fp_ieee_div_zero 0
		.amdhsa_exception_fp_ieee_overflow 0
		.amdhsa_exception_fp_ieee_underflow 0
		.amdhsa_exception_fp_ieee_inexact 0
		.amdhsa_exception_int_div_zero 0
	.end_amdhsa_kernel
	.section	.text._ZN9rocsolver6v33100L23getf2_npvt_small_kernelILi10E19rocblas_complex_numIdEiiPKPS3_EEvT1_T3_lS7_lPT2_S7_S7_,"axG",@progbits,_ZN9rocsolver6v33100L23getf2_npvt_small_kernelILi10E19rocblas_complex_numIdEiiPKPS3_EEvT1_T3_lS7_lPT2_S7_S7_,comdat
.Lfunc_end19:
	.size	_ZN9rocsolver6v33100L23getf2_npvt_small_kernelILi10E19rocblas_complex_numIdEiiPKPS3_EEvT1_T3_lS7_lPT2_S7_S7_, .Lfunc_end19-_ZN9rocsolver6v33100L23getf2_npvt_small_kernelILi10E19rocblas_complex_numIdEiiPKPS3_EEvT1_T3_lS7_lPT2_S7_S7_
                                        ; -- End function
	.section	.AMDGPU.csdata,"",@progbits
; Kernel info:
; codeLenInByte = 11656
; NumSgprs: 18
; NumVgprs: 141
; ScratchSize: 0
; MemoryBound: 0
; FloatMode: 240
; IeeeMode: 1
; LDSByteSize: 0 bytes/workgroup (compile time only)
; SGPRBlocks: 2
; VGPRBlocks: 17
; NumSGPRsForWavesPerEU: 18
; NumVGPRsForWavesPerEU: 141
; Occupancy: 10
; WaveLimiterHint : 1
; COMPUTE_PGM_RSRC2:SCRATCH_EN: 0
; COMPUTE_PGM_RSRC2:USER_SGPR: 14
; COMPUTE_PGM_RSRC2:TRAP_HANDLER: 0
; COMPUTE_PGM_RSRC2:TGID_X_EN: 1
; COMPUTE_PGM_RSRC2:TGID_Y_EN: 1
; COMPUTE_PGM_RSRC2:TGID_Z_EN: 0
; COMPUTE_PGM_RSRC2:TIDIG_COMP_CNT: 1
	.section	.text._ZN9rocsolver6v33100L18getf2_small_kernelILi11E19rocblas_complex_numIdEiiPKPS3_EEvT1_T3_lS7_lPS7_llPT2_S7_S7_S9_l,"axG",@progbits,_ZN9rocsolver6v33100L18getf2_small_kernelILi11E19rocblas_complex_numIdEiiPKPS3_EEvT1_T3_lS7_lPS7_llPT2_S7_S7_S9_l,comdat
	.globl	_ZN9rocsolver6v33100L18getf2_small_kernelILi11E19rocblas_complex_numIdEiiPKPS3_EEvT1_T3_lS7_lPS7_llPT2_S7_S7_S9_l ; -- Begin function _ZN9rocsolver6v33100L18getf2_small_kernelILi11E19rocblas_complex_numIdEiiPKPS3_EEvT1_T3_lS7_lPS7_llPT2_S7_S7_S9_l
	.p2align	8
	.type	_ZN9rocsolver6v33100L18getf2_small_kernelILi11E19rocblas_complex_numIdEiiPKPS3_EEvT1_T3_lS7_lPS7_llPT2_S7_S7_S9_l,@function
_ZN9rocsolver6v33100L18getf2_small_kernelILi11E19rocblas_complex_numIdEiiPKPS3_EEvT1_T3_lS7_lPS7_llPT2_S7_S7_S9_l: ; @_ZN9rocsolver6v33100L18getf2_small_kernelILi11E19rocblas_complex_numIdEiiPKPS3_EEvT1_T3_lS7_lPS7_llPT2_S7_S7_S9_l
; %bb.0:
	s_clause 0x1
	s_load_b32 s2, s[0:1], 0x6c
	s_load_b64 s[12:13], s[0:1], 0x48
	v_bfe_u32 v44, v0, 10, 10
	s_waitcnt lgkmcnt(0)
	s_lshr_b32 s2, s2, 16
	s_delay_alu instid0(VALU_DEP_1) | instid1(SALU_CYCLE_1)
	v_mad_u64_u32 v[48:49], null, s15, s2, v[44:45]
	s_mov_b32 s2, exec_lo
	s_delay_alu instid0(VALU_DEP_1)
	v_cmpx_gt_i32_e64 s12, v48
	s_cbranch_execz .LBB20_234
; %bb.1:
	s_clause 0x1
	s_load_b128 s[4:7], s[0:1], 0x8
	s_load_b128 s[8:11], s[0:1], 0x50
	v_ashrrev_i32_e32 v49, 31, v48
	v_mov_b32_e32 v50, 0
	v_mov_b32_e32 v51, 0
	s_delay_alu instid0(VALU_DEP_3) | instskip(SKIP_1) | instid1(VALU_DEP_1)
	v_lshlrev_b64 v[1:2], 3, v[48:49]
	s_waitcnt lgkmcnt(0)
	v_add_co_u32 v1, vcc_lo, s4, v1
	s_delay_alu instid0(VALU_DEP_2)
	v_add_co_ci_u32_e32 v2, vcc_lo, s5, v2, vcc_lo
	s_cmp_eq_u64 s[8:9], 0
	s_cselect_b32 s4, -1, 0
	global_load_b64 v[1:2], v[1:2], off
	s_and_b32 vcc_lo, exec_lo, s4
	s_cbranch_vccnz .LBB20_3
; %bb.2:
	v_mul_lo_u32 v5, v49, s10
	v_mul_lo_u32 v6, v48, s11
	v_mad_u64_u32 v[3:4], null, v48, s10, 0
	s_delay_alu instid0(VALU_DEP_1) | instskip(NEXT) | instid1(VALU_DEP_1)
	v_add3_u32 v4, v4, v6, v5
	v_lshlrev_b64 v[3:4], 2, v[3:4]
	s_delay_alu instid0(VALU_DEP_1) | instskip(NEXT) | instid1(VALU_DEP_2)
	v_add_co_u32 v50, vcc_lo, s8, v3
	v_add_co_ci_u32_e32 v51, vcc_lo, s9, v4, vcc_lo
.LBB20_3:
	s_clause 0x1
	s_load_b32 s8, s[0:1], 0x18
	s_load_b32 s5, s[0:1], 0x0
	v_dual_mov_b32 v52, 0 :: v_dual_and_b32 v57, 0x3ff, v0
	s_lshl_b64 s[2:3], s[6:7], 4
	s_waitcnt vmcnt(0)
	v_add_co_u32 v55, vcc_lo, v1, s2
	s_delay_alu instid0(VALU_DEP_2) | instskip(SKIP_1) | instid1(VALU_DEP_2)
	v_lshlrev_b32_e32 v47, 4, v57
	v_add_co_ci_u32_e32 v56, vcc_lo, s3, v2, vcc_lo
	v_add_co_u32 v2, vcc_lo, v55, v47
	s_delay_alu instid0(VALU_DEP_2)
	v_add_co_ci_u32_e32 v3, vcc_lo, 0, v56, vcc_lo
	s_waitcnt lgkmcnt(0)
	v_add3_u32 v0, s8, s8, v57
	s_ashr_i32 s9, s8, 31
	s_max_i32 s2, s5, 11
	s_lshl_b64 s[10:11], s[8:9], 4
	v_mul_lo_u32 v53, s2, v44
	v_add_nc_u32_e32 v4, s8, v0
	v_ashrrev_i32_e32 v1, 31, v0
	v_add_co_u32 v6, vcc_lo, v2, s10
	v_add_co_ci_u32_e32 v7, vcc_lo, s11, v3, vcc_lo
	s_delay_alu instid0(VALU_DEP_4)
	v_ashrrev_i32_e32 v5, 31, v4
	v_add_nc_u32_e32 v8, s8, v4
	v_lshlrev_b64 v[0:1], 4, v[0:1]
	s_clause 0x1
	global_load_b128 v[40:43], v[2:3], off
	global_load_b128 v[28:31], v[6:7], off
	v_lshl_add_u32 v54, v53, 4, 0
	v_lshlrev_b64 v[2:3], 4, v[4:5]
	v_add_nc_u32_e32 v4, s8, v8
	v_ashrrev_i32_e32 v9, 31, v8
	v_add_co_u32 v0, vcc_lo, v55, v0
	v_add_co_ci_u32_e32 v1, vcc_lo, v56, v1, vcc_lo
	s_delay_alu instid0(VALU_DEP_4) | instskip(NEXT) | instid1(VALU_DEP_4)
	v_ashrrev_i32_e32 v5, 31, v4
	v_lshlrev_b64 v[6:7], 4, v[8:9]
	v_add_nc_u32_e32 v8, s8, v4
	v_add_co_u32 v2, vcc_lo, v55, v2
	v_add_co_ci_u32_e32 v3, vcc_lo, v56, v3, vcc_lo
	v_lshlrev_b64 v[4:5], 4, v[4:5]
	s_delay_alu instid0(VALU_DEP_4)
	v_add_nc_u32_e32 v10, s8, v8
	s_clause 0x1
	global_load_b128 v[36:39], v[0:1], off
	global_load_b128 v[32:35], v[2:3], off
	v_add_co_u32 v0, vcc_lo, v55, v6
	v_add_co_ci_u32_e32 v1, vcc_lo, v56, v7, vcc_lo
	v_add_co_u32 v2, vcc_lo, v55, v4
	v_add_nc_u32_e32 v4, s8, v10
	v_add_co_ci_u32_e32 v3, vcc_lo, v56, v5, vcc_lo
	v_ashrrev_i32_e32 v9, 31, v8
	s_clause 0x1
	global_load_b128 v[24:27], v[0:1], off
	global_load_b128 v[20:23], v[2:3], off
	v_add_nc_u32_e32 v2, s8, v4
	v_ashrrev_i32_e32 v11, 31, v10
	v_lshlrev_b64 v[6:7], 4, v[8:9]
	v_ashrrev_i32_e32 v5, 31, v4
	v_add_nc_u32_e32 v44, v54, v47
	v_add_nc_u32_e32 v8, s8, v2
	v_lshlrev_b64 v[0:1], 4, v[10:11]
	v_ashrrev_i32_e32 v3, 31, v2
	v_add_co_u32 v6, vcc_lo, v55, v6
	v_lshlrev_b64 v[4:5], 4, v[4:5]
	v_ashrrev_i32_e32 v9, 31, v8
	v_add_co_ci_u32_e32 v7, vcc_lo, v56, v7, vcc_lo
	v_add_co_u32 v0, vcc_lo, v55, v0
	v_lshlrev_b64 v[2:3], 4, v[2:3]
	v_add_co_ci_u32_e32 v1, vcc_lo, v56, v1, vcc_lo
	v_add_co_u32 v4, vcc_lo, v55, v4
	v_lshlrev_b64 v[8:9], 4, v[8:9]
	v_add_co_ci_u32_e32 v5, vcc_lo, v56, v5, vcc_lo
	v_add_co_u32 v2, vcc_lo, v55, v2
	v_add_co_ci_u32_e32 v3, vcc_lo, v56, v3, vcc_lo
	s_delay_alu instid0(VALU_DEP_4)
	v_add_co_u32 v45, vcc_lo, v55, v8
	v_add_co_ci_u32_e32 v46, vcc_lo, v56, v9, vcc_lo
	s_clause 0x4
	global_load_b128 v[16:19], v[6:7], off
	global_load_b128 v[12:15], v[0:1], off
	;; [unrolled: 1-line block ×5, first 2 shown]
	v_lshlrev_b32_e32 v59, 4, v53
	s_cmp_lt_i32 s5, 2
	s_waitcnt vmcnt(10)
	ds_store_2addr_b64 v44, v[40:41], v[42:43] offset1:1
	s_waitcnt vmcnt(0) lgkmcnt(0)
	s_barrier
	buffer_gl0_inv
	ds_load_2addr_b64 v[44:47], v54 offset1:1
	s_cbranch_scc1 .LBB20_6
; %bb.4:
	v_add3_u32 v53, v59, 0, 16
	v_mov_b32_e32 v52, 0
	s_mov_b32 s6, 1
	s_set_inst_prefetch_distance 0x1
	.p2align	6
.LBB20_5:                               ; =>This Inner Loop Header: Depth=1
	ds_load_2addr_b64 v[60:63], v53 offset1:1
	s_waitcnt lgkmcnt(1)
	v_cmp_gt_f64_e32 vcc_lo, 0, v[44:45]
	v_xor_b32_e32 v58, 0x80000000, v45
	v_cmp_gt_f64_e64 s2, 0, v[46:47]
	v_xor_b32_e32 v64, 0x80000000, v47
	v_add_nc_u32_e32 v53, 16, v53
	s_waitcnt lgkmcnt(0)
	v_cmp_gt_f64_e64 s3, 0, v[60:61]
	v_mov_b32_e32 v68, v60
	v_dual_mov_b32 v70, v62 :: v_dual_cndmask_b32 v65, v45, v58
	v_xor_b32_e32 v58, 0x80000000, v61
	v_cndmask_b32_e64 v67, v47, v64, s2
	v_xor_b32_e32 v64, 0x80000000, v63
	v_cndmask_b32_e64 v66, v46, v46, s2
	s_delay_alu instid0(VALU_DEP_4) | instskip(SKIP_1) | instid1(VALU_DEP_1)
	v_cndmask_b32_e64 v69, v61, v58, s3
	v_cmp_gt_f64_e64 s3, 0, v[62:63]
	v_cndmask_b32_e64 v71, v63, v64, s3
	v_cndmask_b32_e32 v64, v44, v44, vcc_lo
	s_delay_alu instid0(VALU_DEP_2) | instskip(NEXT) | instid1(VALU_DEP_2)
	v_add_f64 v[68:69], v[68:69], v[70:71]
	v_add_f64 v[64:65], v[64:65], v[66:67]
	s_delay_alu instid0(VALU_DEP_1)
	v_cmp_lt_f64_e32 vcc_lo, v[64:65], v[68:69]
	v_cndmask_b32_e32 v47, v47, v63, vcc_lo
	v_dual_cndmask_b32 v45, v45, v61 :: v_dual_cndmask_b32 v44, v44, v60
	v_cndmask_b32_e32 v46, v46, v62, vcc_lo
	v_cndmask_b32_e64 v52, v52, s6, vcc_lo
	s_add_i32 s6, s6, 1
	s_delay_alu instid0(SALU_CYCLE_1)
	s_cmp_eq_u32 s5, s6
	s_cbranch_scc0 .LBB20_5
.LBB20_6:
	s_set_inst_prefetch_distance 0x2
	s_waitcnt lgkmcnt(0)
	v_cmp_neq_f64_e32 vcc_lo, 0, v[44:45]
	v_cmp_neq_f64_e64 s2, 0, v[46:47]
	v_dual_mov_b32 v58, 1 :: v_dual_mov_b32 v61, 1
	s_delay_alu instid0(VALU_DEP_2) | instskip(NEXT) | instid1(SALU_CYCLE_1)
	s_or_b32 s2, vcc_lo, s2
	s_and_saveexec_b32 s3, s2
	s_cbranch_execz .LBB20_12
; %bb.7:
	v_cmp_gt_f64_e32 vcc_lo, 0, v[44:45]
	v_cmp_gt_f64_e64 s2, 0, v[46:47]
	v_xor_b32_e32 v53, 0x80000000, v45
	v_xor_b32_e32 v58, 0x80000000, v47
                                        ; implicit-def: $sgpr6
                                        ; implicit-def: $sgpr7
	s_delay_alu instid0(VALU_DEP_2) | instskip(NEXT) | instid1(VALU_DEP_2)
	v_dual_cndmask_b32 v61, v45, v53 :: v_dual_cndmask_b32 v60, v44, v44
	v_cndmask_b32_e64 v63, v47, v58, s2
	v_cndmask_b32_e64 v62, v46, v46, s2
	s_mov_b32 s2, exec_lo
	s_delay_alu instid0(VALU_DEP_1)
	v_cmpx_ngt_f64_e32 v[60:61], v[62:63]
	s_xor_b32 s2, exec_lo, s2
	s_cbranch_execz .LBB20_9
; %bb.8:
	v_div_scale_f64 v[60:61], null, v[46:47], v[46:47], v[44:45]
	v_div_scale_f64 v[66:67], vcc_lo, v[44:45], v[46:47], v[44:45]
	s_mov_b32 s7, 2
	s_mov_b32 s6, 0
	s_delay_alu instid0(VALU_DEP_2) | instskip(SKIP_2) | instid1(VALU_DEP_1)
	v_rcp_f64_e32 v[62:63], v[60:61]
	s_waitcnt_depctr 0xfff
	v_fma_f64 v[64:65], -v[60:61], v[62:63], 1.0
	v_fma_f64 v[62:63], v[62:63], v[64:65], v[62:63]
	s_delay_alu instid0(VALU_DEP_1) | instskip(NEXT) | instid1(VALU_DEP_1)
	v_fma_f64 v[64:65], -v[60:61], v[62:63], 1.0
	v_fma_f64 v[62:63], v[62:63], v[64:65], v[62:63]
	s_delay_alu instid0(VALU_DEP_1) | instskip(NEXT) | instid1(VALU_DEP_1)
	v_mul_f64 v[64:65], v[66:67], v[62:63]
	v_fma_f64 v[60:61], -v[60:61], v[64:65], v[66:67]
	s_delay_alu instid0(VALU_DEP_1) | instskip(NEXT) | instid1(VALU_DEP_1)
	v_div_fmas_f64 v[60:61], v[60:61], v[62:63], v[64:65]
	v_div_fixup_f64 v[60:61], v[60:61], v[46:47], v[44:45]
	s_delay_alu instid0(VALU_DEP_1) | instskip(NEXT) | instid1(VALU_DEP_1)
	v_fma_f64 v[44:45], v[44:45], v[60:61], v[46:47]
	v_div_scale_f64 v[46:47], null, v[44:45], v[44:45], 1.0
	s_delay_alu instid0(VALU_DEP_1) | instskip(SKIP_2) | instid1(VALU_DEP_1)
	v_rcp_f64_e32 v[62:63], v[46:47]
	s_waitcnt_depctr 0xfff
	v_fma_f64 v[64:65], -v[46:47], v[62:63], 1.0
	v_fma_f64 v[62:63], v[62:63], v[64:65], v[62:63]
	s_delay_alu instid0(VALU_DEP_1) | instskip(NEXT) | instid1(VALU_DEP_1)
	v_fma_f64 v[64:65], -v[46:47], v[62:63], 1.0
	v_fma_f64 v[62:63], v[62:63], v[64:65], v[62:63]
	v_div_scale_f64 v[64:65], vcc_lo, 1.0, v[44:45], 1.0
	s_delay_alu instid0(VALU_DEP_1) | instskip(NEXT) | instid1(VALU_DEP_1)
	v_mul_f64 v[66:67], v[64:65], v[62:63]
	v_fma_f64 v[46:47], -v[46:47], v[66:67], v[64:65]
	s_delay_alu instid0(VALU_DEP_1) | instskip(NEXT) | instid1(VALU_DEP_1)
	v_div_fmas_f64 v[46:47], v[46:47], v[62:63], v[66:67]
	v_div_fixup_f64 v[46:47], v[46:47], v[44:45], 1.0
	s_delay_alu instid0(VALU_DEP_1)
	v_mul_f64 v[44:45], v[60:61], v[46:47]
	v_xor_b32_e32 v47, 0x80000000, v47
.LBB20_9:
	s_or_saveexec_b32 s2, s2
	v_dual_mov_b32 v61, s6 :: v_dual_mov_b32 v58, s7
	s_xor_b32 exec_lo, exec_lo, s2
	s_cbranch_execz .LBB20_11
; %bb.10:
	s_delay_alu instid0(VALU_DEP_3) | instskip(SKIP_2) | instid1(VALU_DEP_3)
	v_div_scale_f64 v[60:61], null, v[44:45], v[44:45], v[46:47]
	v_div_scale_f64 v[66:67], vcc_lo, v[46:47], v[44:45], v[46:47]
	v_mov_b32_e32 v58, 2
	v_rcp_f64_e32 v[62:63], v[60:61]
	s_waitcnt_depctr 0xfff
	v_fma_f64 v[64:65], -v[60:61], v[62:63], 1.0
	s_delay_alu instid0(VALU_DEP_1) | instskip(NEXT) | instid1(VALU_DEP_1)
	v_fma_f64 v[62:63], v[62:63], v[64:65], v[62:63]
	v_fma_f64 v[64:65], -v[60:61], v[62:63], 1.0
	s_delay_alu instid0(VALU_DEP_1) | instskip(NEXT) | instid1(VALU_DEP_1)
	v_fma_f64 v[62:63], v[62:63], v[64:65], v[62:63]
	v_mul_f64 v[64:65], v[66:67], v[62:63]
	s_delay_alu instid0(VALU_DEP_1) | instskip(NEXT) | instid1(VALU_DEP_1)
	v_fma_f64 v[60:61], -v[60:61], v[64:65], v[66:67]
	v_div_fmas_f64 v[60:61], v[60:61], v[62:63], v[64:65]
	s_delay_alu instid0(VALU_DEP_1) | instskip(NEXT) | instid1(VALU_DEP_1)
	v_div_fixup_f64 v[60:61], v[60:61], v[44:45], v[46:47]
	v_fma_f64 v[44:45], v[46:47], v[60:61], v[44:45]
	s_delay_alu instid0(VALU_DEP_1) | instskip(NEXT) | instid1(VALU_DEP_1)
	v_div_scale_f64 v[46:47], null, v[44:45], v[44:45], 1.0
	v_rcp_f64_e32 v[62:63], v[46:47]
	s_waitcnt_depctr 0xfff
	v_fma_f64 v[64:65], -v[46:47], v[62:63], 1.0
	s_delay_alu instid0(VALU_DEP_1) | instskip(NEXT) | instid1(VALU_DEP_1)
	v_fma_f64 v[62:63], v[62:63], v[64:65], v[62:63]
	v_fma_f64 v[64:65], -v[46:47], v[62:63], 1.0
	s_delay_alu instid0(VALU_DEP_1) | instskip(SKIP_1) | instid1(VALU_DEP_1)
	v_fma_f64 v[62:63], v[62:63], v[64:65], v[62:63]
	v_div_scale_f64 v[64:65], vcc_lo, 1.0, v[44:45], 1.0
	v_mul_f64 v[66:67], v[64:65], v[62:63]
	s_delay_alu instid0(VALU_DEP_1) | instskip(NEXT) | instid1(VALU_DEP_1)
	v_fma_f64 v[46:47], -v[46:47], v[66:67], v[64:65]
	v_div_fmas_f64 v[46:47], v[46:47], v[62:63], v[66:67]
	s_delay_alu instid0(VALU_DEP_1) | instskip(NEXT) | instid1(VALU_DEP_1)
	v_div_fixup_f64 v[44:45], v[46:47], v[44:45], 1.0
	v_mul_f64 v[46:47], v[60:61], -v[44:45]
	v_mov_b32_e32 v61, 0
.LBB20_11:
	s_or_b32 exec_lo, exec_lo, s2
.LBB20_12:
	s_delay_alu instid0(SALU_CYCLE_1) | instskip(NEXT) | instid1(SALU_CYCLE_1)
	s_or_b32 exec_lo, exec_lo, s3
	s_mov_b32 s2, exec_lo
	v_cmpx_ne_u32_e64 v57, v52
	s_xor_b32 s2, exec_lo, s2
	s_cbranch_execz .LBB20_18
; %bb.13:
	s_mov_b32 s3, exec_lo
	v_cmpx_eq_u32_e32 0, v57
	s_cbranch_execz .LBB20_17
; %bb.14:
	v_cmp_ne_u32_e32 vcc_lo, 0, v52
	s_xor_b32 s6, s4, -1
	s_delay_alu instid0(SALU_CYCLE_1) | instskip(NEXT) | instid1(SALU_CYCLE_1)
	s_and_b32 s7, s6, vcc_lo
	s_and_saveexec_b32 s6, s7
	s_cbranch_execz .LBB20_16
; %bb.15:
	v_ashrrev_i32_e32 v53, 31, v52
	s_delay_alu instid0(VALU_DEP_1) | instskip(NEXT) | instid1(VALU_DEP_1)
	v_lshlrev_b64 v[62:63], 2, v[52:53]
	v_add_co_u32 v62, vcc_lo, v50, v62
	s_delay_alu instid0(VALU_DEP_2)
	v_add_co_ci_u32_e32 v63, vcc_lo, v51, v63, vcc_lo
	s_clause 0x1
	flat_load_b32 v53, v[62:63]
	flat_load_b32 v57, v[50:51]
	s_waitcnt vmcnt(1) lgkmcnt(1)
	flat_store_b32 v[50:51], v53
	s_waitcnt vmcnt(0) lgkmcnt(1)
	flat_store_b32 v[62:63], v57
.LBB20_16:
	s_or_b32 exec_lo, exec_lo, s6
	v_mov_b32_e32 v57, v52
.LBB20_17:
	s_or_b32 exec_lo, exec_lo, s3
.LBB20_18:
	s_or_saveexec_b32 s2, s2
	s_delay_alu instid0(VALU_DEP_1)
	v_mov_b32_e32 v60, v57
	s_xor_b32 exec_lo, exec_lo, s2
	s_cbranch_execz .LBB20_20
; %bb.19:
	v_mov_b32_e32 v60, 0
	ds_store_2addr_b64 v54, v[28:29], v[30:31] offset0:2 offset1:3
	ds_store_2addr_b64 v54, v[36:37], v[38:39] offset0:4 offset1:5
	;; [unrolled: 1-line block ×10, first 2 shown]
.LBB20_20:
	s_or_b32 exec_lo, exec_lo, s2
	s_delay_alu instid0(SALU_CYCLE_1)
	s_mov_b32 s2, exec_lo
	s_waitcnt lgkmcnt(0)
	s_waitcnt_vscnt null, 0x0
	s_barrier
	buffer_gl0_inv
	v_cmpx_lt_i32_e32 0, v60
	s_cbranch_execz .LBB20_22
; %bb.21:
	v_mul_f64 v[52:53], v[44:45], v[42:43]
	v_mul_f64 v[42:43], v[46:47], v[42:43]
	ds_load_2addr_b64 v[62:65], v54 offset0:2 offset1:3
	ds_load_2addr_b64 v[66:69], v54 offset0:4 offset1:5
	;; [unrolled: 1-line block ×10, first 2 shown]
	v_fma_f64 v[46:47], v[46:47], v[40:41], v[52:53]
	v_fma_f64 v[40:41], v[44:45], v[40:41], -v[42:43]
	s_waitcnt lgkmcnt(9)
	s_delay_alu instid0(VALU_DEP_2)
	v_mul_f64 v[42:43], v[64:65], v[46:47]
	v_mul_f64 v[44:45], v[62:63], v[46:47]
	s_waitcnt lgkmcnt(8)
	v_mul_f64 v[52:53], v[68:69], v[46:47]
	v_mul_f64 v[102:103], v[66:67], v[46:47]
	s_waitcnt lgkmcnt(7)
	;; [unrolled: 3-line block ×9, first 2 shown]
	v_mul_f64 v[132:133], v[100:101], v[46:47]
	v_mul_f64 v[134:135], v[98:99], v[46:47]
	v_fma_f64 v[42:43], v[62:63], v[40:41], -v[42:43]
	v_fma_f64 v[44:45], v[64:65], v[40:41], v[44:45]
	v_fma_f64 v[52:53], v[66:67], v[40:41], -v[52:53]
	v_fma_f64 v[62:63], v[68:69], v[40:41], v[102:103]
	;; [unrolled: 2-line block ×10, first 2 shown]
	v_add_f64 v[28:29], v[28:29], -v[42:43]
	v_add_f64 v[30:31], v[30:31], -v[44:45]
	;; [unrolled: 1-line block ×20, first 2 shown]
	v_dual_mov_b32 v42, v46 :: v_dual_mov_b32 v43, v47
.LBB20_22:
	s_or_b32 exec_lo, exec_lo, s2
	v_lshl_add_u32 v44, v60, 4, v54
	s_barrier
	buffer_gl0_inv
	v_mov_b32_e32 v52, 1
	ds_store_2addr_b64 v44, v[28:29], v[30:31] offset1:1
	s_waitcnt lgkmcnt(0)
	s_barrier
	buffer_gl0_inv
	ds_load_2addr_b64 v[44:47], v54 offset0:2 offset1:3
	s_cmp_lt_i32 s5, 3
	s_cbranch_scc1 .LBB20_25
; %bb.23:
	v_add3_u32 v53, v59, 0, 32
	v_mov_b32_e32 v52, 1
	s_mov_b32 s6, 2
	s_set_inst_prefetch_distance 0x1
	.p2align	6
.LBB20_24:                              ; =>This Inner Loop Header: Depth=1
	ds_load_2addr_b64 v[62:65], v53 offset1:1
	s_waitcnt lgkmcnt(1)
	v_cmp_gt_f64_e32 vcc_lo, 0, v[44:45]
	v_xor_b32_e32 v66, 0x80000000, v45
	v_cmp_gt_f64_e64 s2, 0, v[46:47]
	v_xor_b32_e32 v68, 0x80000000, v47
	v_add_nc_u32_e32 v53, 16, v53
	s_waitcnt lgkmcnt(0)
	v_cmp_gt_f64_e64 s3, 0, v[62:63]
	v_mov_b32_e32 v70, v62
	v_dual_mov_b32 v72, v64 :: v_dual_cndmask_b32 v67, v45, v66
	v_xor_b32_e32 v66, 0x80000000, v63
	v_cndmask_b32_e64 v69, v47, v68, s2
	v_xor_b32_e32 v68, 0x80000000, v65
	s_delay_alu instid0(VALU_DEP_3) | instskip(SKIP_2) | instid1(VALU_DEP_2)
	v_cndmask_b32_e64 v71, v63, v66, s3
	v_cmp_gt_f64_e64 s3, 0, v[64:65]
	v_cndmask_b32_e32 v66, v44, v44, vcc_lo
	v_cndmask_b32_e64 v73, v65, v68, s3
	v_cndmask_b32_e64 v68, v46, v46, s2
	s_delay_alu instid0(VALU_DEP_2) | instskip(NEXT) | instid1(VALU_DEP_2)
	v_add_f64 v[70:71], v[70:71], v[72:73]
	v_add_f64 v[66:67], v[66:67], v[68:69]
	s_delay_alu instid0(VALU_DEP_1)
	v_cmp_lt_f64_e32 vcc_lo, v[66:67], v[70:71]
	v_cndmask_b32_e32 v47, v47, v65, vcc_lo
	v_dual_cndmask_b32 v45, v45, v63 :: v_dual_cndmask_b32 v44, v44, v62
	v_cndmask_b32_e32 v46, v46, v64, vcc_lo
	v_cndmask_b32_e64 v52, v52, s6, vcc_lo
	s_add_i32 s6, s6, 1
	s_delay_alu instid0(SALU_CYCLE_1)
	s_cmp_lg_u32 s5, s6
	s_cbranch_scc1 .LBB20_24
.LBB20_25:
	s_set_inst_prefetch_distance 0x2
	s_waitcnt lgkmcnt(0)
	v_cmp_neq_f64_e32 vcc_lo, 0, v[44:45]
	v_cmp_neq_f64_e64 s2, 0, v[46:47]
	s_delay_alu instid0(VALU_DEP_1) | instskip(NEXT) | instid1(SALU_CYCLE_1)
	s_or_b32 s2, vcc_lo, s2
	s_and_saveexec_b32 s3, s2
	s_cbranch_execz .LBB20_31
; %bb.26:
	v_cmp_gt_f64_e32 vcc_lo, 0, v[44:45]
	v_cmp_gt_f64_e64 s2, 0, v[46:47]
	v_xor_b32_e32 v53, 0x80000000, v45
	v_xor_b32_e32 v58, 0x80000000, v47
	s_delay_alu instid0(VALU_DEP_2) | instskip(NEXT) | instid1(VALU_DEP_2)
	v_dual_cndmask_b32 v63, v45, v53 :: v_dual_cndmask_b32 v62, v44, v44
	v_cndmask_b32_e64 v65, v47, v58, s2
	v_cndmask_b32_e64 v64, v46, v46, s2
	s_mov_b32 s2, exec_lo
	s_delay_alu instid0(VALU_DEP_1)
	v_cmpx_ngt_f64_e32 v[62:63], v[64:65]
	s_xor_b32 s2, exec_lo, s2
	s_cbranch_execz .LBB20_28
; %bb.27:
	v_div_scale_f64 v[62:63], null, v[46:47], v[46:47], v[44:45]
	v_div_scale_f64 v[68:69], vcc_lo, v[44:45], v[46:47], v[44:45]
	s_delay_alu instid0(VALU_DEP_2) | instskip(SKIP_2) | instid1(VALU_DEP_1)
	v_rcp_f64_e32 v[64:65], v[62:63]
	s_waitcnt_depctr 0xfff
	v_fma_f64 v[66:67], -v[62:63], v[64:65], 1.0
	v_fma_f64 v[64:65], v[64:65], v[66:67], v[64:65]
	s_delay_alu instid0(VALU_DEP_1) | instskip(NEXT) | instid1(VALU_DEP_1)
	v_fma_f64 v[66:67], -v[62:63], v[64:65], 1.0
	v_fma_f64 v[64:65], v[64:65], v[66:67], v[64:65]
	s_delay_alu instid0(VALU_DEP_1) | instskip(NEXT) | instid1(VALU_DEP_1)
	v_mul_f64 v[66:67], v[68:69], v[64:65]
	v_fma_f64 v[62:63], -v[62:63], v[66:67], v[68:69]
	s_delay_alu instid0(VALU_DEP_1) | instskip(NEXT) | instid1(VALU_DEP_1)
	v_div_fmas_f64 v[62:63], v[62:63], v[64:65], v[66:67]
	v_div_fixup_f64 v[62:63], v[62:63], v[46:47], v[44:45]
	s_delay_alu instid0(VALU_DEP_1) | instskip(NEXT) | instid1(VALU_DEP_1)
	v_fma_f64 v[44:45], v[44:45], v[62:63], v[46:47]
	v_div_scale_f64 v[46:47], null, v[44:45], v[44:45], 1.0
	s_delay_alu instid0(VALU_DEP_1) | instskip(SKIP_2) | instid1(VALU_DEP_1)
	v_rcp_f64_e32 v[64:65], v[46:47]
	s_waitcnt_depctr 0xfff
	v_fma_f64 v[66:67], -v[46:47], v[64:65], 1.0
	v_fma_f64 v[64:65], v[64:65], v[66:67], v[64:65]
	s_delay_alu instid0(VALU_DEP_1) | instskip(NEXT) | instid1(VALU_DEP_1)
	v_fma_f64 v[66:67], -v[46:47], v[64:65], 1.0
	v_fma_f64 v[64:65], v[64:65], v[66:67], v[64:65]
	v_div_scale_f64 v[66:67], vcc_lo, 1.0, v[44:45], 1.0
	s_delay_alu instid0(VALU_DEP_1) | instskip(NEXT) | instid1(VALU_DEP_1)
	v_mul_f64 v[68:69], v[66:67], v[64:65]
	v_fma_f64 v[46:47], -v[46:47], v[68:69], v[66:67]
	s_delay_alu instid0(VALU_DEP_1) | instskip(NEXT) | instid1(VALU_DEP_1)
	v_div_fmas_f64 v[46:47], v[46:47], v[64:65], v[68:69]
	v_div_fixup_f64 v[46:47], v[46:47], v[44:45], 1.0
	s_delay_alu instid0(VALU_DEP_1)
	v_mul_f64 v[44:45], v[62:63], v[46:47]
	v_xor_b32_e32 v47, 0x80000000, v47
.LBB20_28:
	s_and_not1_saveexec_b32 s2, s2
	s_cbranch_execz .LBB20_30
; %bb.29:
	s_delay_alu instid0(VALU_DEP_1) | instskip(SKIP_1) | instid1(VALU_DEP_2)
	v_div_scale_f64 v[62:63], null, v[44:45], v[44:45], v[46:47]
	v_div_scale_f64 v[68:69], vcc_lo, v[46:47], v[44:45], v[46:47]
	v_rcp_f64_e32 v[64:65], v[62:63]
	s_waitcnt_depctr 0xfff
	v_fma_f64 v[66:67], -v[62:63], v[64:65], 1.0
	s_delay_alu instid0(VALU_DEP_1) | instskip(NEXT) | instid1(VALU_DEP_1)
	v_fma_f64 v[64:65], v[64:65], v[66:67], v[64:65]
	v_fma_f64 v[66:67], -v[62:63], v[64:65], 1.0
	s_delay_alu instid0(VALU_DEP_1) | instskip(NEXT) | instid1(VALU_DEP_1)
	v_fma_f64 v[64:65], v[64:65], v[66:67], v[64:65]
	v_mul_f64 v[66:67], v[68:69], v[64:65]
	s_delay_alu instid0(VALU_DEP_1) | instskip(NEXT) | instid1(VALU_DEP_1)
	v_fma_f64 v[62:63], -v[62:63], v[66:67], v[68:69]
	v_div_fmas_f64 v[62:63], v[62:63], v[64:65], v[66:67]
	s_delay_alu instid0(VALU_DEP_1) | instskip(NEXT) | instid1(VALU_DEP_1)
	v_div_fixup_f64 v[62:63], v[62:63], v[44:45], v[46:47]
	v_fma_f64 v[44:45], v[46:47], v[62:63], v[44:45]
	s_delay_alu instid0(VALU_DEP_1) | instskip(NEXT) | instid1(VALU_DEP_1)
	v_div_scale_f64 v[46:47], null, v[44:45], v[44:45], 1.0
	v_rcp_f64_e32 v[64:65], v[46:47]
	s_waitcnt_depctr 0xfff
	v_fma_f64 v[66:67], -v[46:47], v[64:65], 1.0
	s_delay_alu instid0(VALU_DEP_1) | instskip(NEXT) | instid1(VALU_DEP_1)
	v_fma_f64 v[64:65], v[64:65], v[66:67], v[64:65]
	v_fma_f64 v[66:67], -v[46:47], v[64:65], 1.0
	s_delay_alu instid0(VALU_DEP_1) | instskip(SKIP_1) | instid1(VALU_DEP_1)
	v_fma_f64 v[64:65], v[64:65], v[66:67], v[64:65]
	v_div_scale_f64 v[66:67], vcc_lo, 1.0, v[44:45], 1.0
	v_mul_f64 v[68:69], v[66:67], v[64:65]
	s_delay_alu instid0(VALU_DEP_1) | instskip(NEXT) | instid1(VALU_DEP_1)
	v_fma_f64 v[46:47], -v[46:47], v[68:69], v[66:67]
	v_div_fmas_f64 v[46:47], v[46:47], v[64:65], v[68:69]
	s_delay_alu instid0(VALU_DEP_1) | instskip(NEXT) | instid1(VALU_DEP_1)
	v_div_fixup_f64 v[44:45], v[46:47], v[44:45], 1.0
	v_mul_f64 v[46:47], v[62:63], -v[44:45]
.LBB20_30:
	s_or_b32 exec_lo, exec_lo, s2
	v_mov_b32_e32 v58, v61
.LBB20_31:
	s_or_b32 exec_lo, exec_lo, s3
	s_delay_alu instid0(SALU_CYCLE_1)
	s_mov_b32 s2, exec_lo
	v_cmpx_ne_u32_e64 v60, v52
	s_xor_b32 s2, exec_lo, s2
	s_cbranch_execz .LBB20_37
; %bb.32:
	s_mov_b32 s3, exec_lo
	v_cmpx_eq_u32_e32 1, v60
	s_cbranch_execz .LBB20_36
; %bb.33:
	v_cmp_ne_u32_e32 vcc_lo, 1, v52
	s_xor_b32 s6, s4, -1
	s_delay_alu instid0(SALU_CYCLE_1) | instskip(NEXT) | instid1(SALU_CYCLE_1)
	s_and_b32 s7, s6, vcc_lo
	s_and_saveexec_b32 s6, s7
	s_cbranch_execz .LBB20_35
; %bb.34:
	v_ashrrev_i32_e32 v53, 31, v52
	s_delay_alu instid0(VALU_DEP_1) | instskip(NEXT) | instid1(VALU_DEP_1)
	v_lshlrev_b64 v[60:61], 2, v[52:53]
	v_add_co_u32 v60, vcc_lo, v50, v60
	s_delay_alu instid0(VALU_DEP_2)
	v_add_co_ci_u32_e32 v61, vcc_lo, v51, v61, vcc_lo
	s_clause 0x1
	flat_load_b32 v53, v[60:61]
	flat_load_b32 v57, v[50:51] offset:4
	s_waitcnt vmcnt(1) lgkmcnt(1)
	flat_store_b32 v[50:51], v53 offset:4
	s_waitcnt vmcnt(0) lgkmcnt(1)
	flat_store_b32 v[60:61], v57
.LBB20_35:
	s_or_b32 exec_lo, exec_lo, s6
	v_mov_b32_e32 v60, v52
	v_mov_b32_e32 v57, v52
.LBB20_36:
	s_or_b32 exec_lo, exec_lo, s3
.LBB20_37:
	s_and_not1_saveexec_b32 s2, s2
	s_cbranch_execz .LBB20_39
; %bb.38:
	v_mov_b32_e32 v60, 1
	ds_store_2addr_b64 v54, v[36:37], v[38:39] offset0:4 offset1:5
	ds_store_2addr_b64 v54, v[32:33], v[34:35] offset0:6 offset1:7
	;; [unrolled: 1-line block ×9, first 2 shown]
.LBB20_39:
	s_or_b32 exec_lo, exec_lo, s2
	s_delay_alu instid0(SALU_CYCLE_1)
	s_mov_b32 s2, exec_lo
	s_waitcnt lgkmcnt(0)
	s_waitcnt_vscnt null, 0x0
	s_barrier
	buffer_gl0_inv
	v_cmpx_lt_i32_e32 1, v60
	s_cbranch_execz .LBB20_41
; %bb.40:
	v_mul_f64 v[52:53], v[44:45], v[30:31]
	v_mul_f64 v[30:31], v[46:47], v[30:31]
	ds_load_2addr_b64 v[61:64], v54 offset0:4 offset1:5
	ds_load_2addr_b64 v[65:68], v54 offset0:6 offset1:7
	;; [unrolled: 1-line block ×9, first 2 shown]
	v_fma_f64 v[46:47], v[46:47], v[28:29], v[52:53]
	v_fma_f64 v[28:29], v[44:45], v[28:29], -v[30:31]
	s_waitcnt lgkmcnt(8)
	s_delay_alu instid0(VALU_DEP_2)
	v_mul_f64 v[30:31], v[63:64], v[46:47]
	v_mul_f64 v[44:45], v[61:62], v[46:47]
	s_waitcnt lgkmcnt(7)
	v_mul_f64 v[52:53], v[67:68], v[46:47]
	v_mul_f64 v[97:98], v[65:66], v[46:47]
	s_waitcnt lgkmcnt(6)
	;; [unrolled: 3-line block ×8, first 2 shown]
	v_mul_f64 v[123:124], v[95:96], v[46:47]
	v_mul_f64 v[125:126], v[93:94], v[46:47]
	v_fma_f64 v[30:31], v[61:62], v[28:29], -v[30:31]
	v_fma_f64 v[44:45], v[63:64], v[28:29], v[44:45]
	v_fma_f64 v[52:53], v[65:66], v[28:29], -v[52:53]
	v_fma_f64 v[61:62], v[67:68], v[28:29], v[97:98]
	;; [unrolled: 2-line block ×9, first 2 shown]
	v_add_f64 v[36:37], v[36:37], -v[30:31]
	v_add_f64 v[38:39], v[38:39], -v[44:45]
	;; [unrolled: 1-line block ×18, first 2 shown]
	v_dual_mov_b32 v30, v46 :: v_dual_mov_b32 v31, v47
.LBB20_41:
	s_or_b32 exec_lo, exec_lo, s2
	v_lshl_add_u32 v44, v60, 4, v54
	s_barrier
	buffer_gl0_inv
	v_mov_b32_e32 v52, 2
	ds_store_2addr_b64 v44, v[36:37], v[38:39] offset1:1
	s_waitcnt lgkmcnt(0)
	s_barrier
	buffer_gl0_inv
	ds_load_2addr_b64 v[44:47], v54 offset0:4 offset1:5
	s_cmp_lt_i32 s5, 4
	s_cbranch_scc1 .LBB20_44
; %bb.42:
	v_add3_u32 v53, v59, 0, 48
	v_mov_b32_e32 v52, 2
	s_mov_b32 s6, 3
	s_set_inst_prefetch_distance 0x1
	.p2align	6
.LBB20_43:                              ; =>This Inner Loop Header: Depth=1
	ds_load_2addr_b64 v[61:64], v53 offset1:1
	s_waitcnt lgkmcnt(1)
	v_cmp_gt_f64_e32 vcc_lo, 0, v[44:45]
	v_xor_b32_e32 v65, 0x80000000, v45
	v_cmp_gt_f64_e64 s2, 0, v[46:47]
	v_xor_b32_e32 v67, 0x80000000, v47
	v_add_nc_u32_e32 v53, 16, v53
	s_waitcnt lgkmcnt(0)
	v_cmp_gt_f64_e64 s3, 0, v[61:62]
	v_mov_b32_e32 v69, v61
	v_dual_mov_b32 v71, v63 :: v_dual_cndmask_b32 v66, v45, v65
	v_xor_b32_e32 v65, 0x80000000, v62
	v_cndmask_b32_e64 v68, v47, v67, s2
	v_xor_b32_e32 v67, 0x80000000, v64
	s_delay_alu instid0(VALU_DEP_3) | instskip(SKIP_2) | instid1(VALU_DEP_2)
	v_cndmask_b32_e64 v70, v62, v65, s3
	v_cmp_gt_f64_e64 s3, 0, v[63:64]
	v_cndmask_b32_e32 v65, v44, v44, vcc_lo
	v_cndmask_b32_e64 v72, v64, v67, s3
	v_cndmask_b32_e64 v67, v46, v46, s2
	s_delay_alu instid0(VALU_DEP_2) | instskip(NEXT) | instid1(VALU_DEP_2)
	v_add_f64 v[69:70], v[69:70], v[71:72]
	v_add_f64 v[65:66], v[65:66], v[67:68]
	s_delay_alu instid0(VALU_DEP_1) | instskip(SKIP_4) | instid1(SALU_CYCLE_1)
	v_cmp_lt_f64_e32 vcc_lo, v[65:66], v[69:70]
	v_dual_cndmask_b32 v46, v46, v63 :: v_dual_cndmask_b32 v45, v45, v62
	v_dual_cndmask_b32 v44, v44, v61 :: v_dual_cndmask_b32 v47, v47, v64
	v_cndmask_b32_e64 v52, v52, s6, vcc_lo
	s_add_i32 s6, s6, 1
	s_cmp_lg_u32 s5, s6
	s_cbranch_scc1 .LBB20_43
.LBB20_44:
	s_set_inst_prefetch_distance 0x2
	s_waitcnt lgkmcnt(0)
	v_cmp_eq_f64_e32 vcc_lo, 0, v[44:45]
	v_cmp_eq_f64_e64 s2, 0, v[46:47]
	s_delay_alu instid0(VALU_DEP_1) | instskip(NEXT) | instid1(SALU_CYCLE_1)
	s_and_b32 s2, vcc_lo, s2
	s_and_saveexec_b32 s3, s2
	s_delay_alu instid0(SALU_CYCLE_1)
	s_xor_b32 s2, exec_lo, s3
; %bb.45:
	v_cmp_ne_u32_e32 vcc_lo, 0, v58
	v_cndmask_b32_e32 v58, 3, v58, vcc_lo
; %bb.46:
	s_and_not1_saveexec_b32 s3, s2
	s_cbranch_execz .LBB20_52
; %bb.47:
	v_cmp_gt_f64_e32 vcc_lo, 0, v[44:45]
	v_cmp_gt_f64_e64 s2, 0, v[46:47]
	v_xor_b32_e32 v53, 0x80000000, v45
	v_xor_b32_e32 v61, 0x80000000, v47
	s_delay_alu instid0(VALU_DEP_2) | instskip(NEXT) | instid1(VALU_DEP_2)
	v_cndmask_b32_e32 v62, v45, v53, vcc_lo
	v_cndmask_b32_e64 v64, v47, v61, s2
	v_cndmask_b32_e32 v61, v44, v44, vcc_lo
	v_cndmask_b32_e64 v63, v46, v46, s2
	s_mov_b32 s2, exec_lo
	s_delay_alu instid0(VALU_DEP_1)
	v_cmpx_ngt_f64_e32 v[61:62], v[63:64]
	s_xor_b32 s2, exec_lo, s2
	s_cbranch_execz .LBB20_49
; %bb.48:
	v_div_scale_f64 v[61:62], null, v[46:47], v[46:47], v[44:45]
	v_div_scale_f64 v[67:68], vcc_lo, v[44:45], v[46:47], v[44:45]
	s_delay_alu instid0(VALU_DEP_2) | instskip(SKIP_2) | instid1(VALU_DEP_1)
	v_rcp_f64_e32 v[63:64], v[61:62]
	s_waitcnt_depctr 0xfff
	v_fma_f64 v[65:66], -v[61:62], v[63:64], 1.0
	v_fma_f64 v[63:64], v[63:64], v[65:66], v[63:64]
	s_delay_alu instid0(VALU_DEP_1) | instskip(NEXT) | instid1(VALU_DEP_1)
	v_fma_f64 v[65:66], -v[61:62], v[63:64], 1.0
	v_fma_f64 v[63:64], v[63:64], v[65:66], v[63:64]
	s_delay_alu instid0(VALU_DEP_1) | instskip(NEXT) | instid1(VALU_DEP_1)
	v_mul_f64 v[65:66], v[67:68], v[63:64]
	v_fma_f64 v[61:62], -v[61:62], v[65:66], v[67:68]
	s_delay_alu instid0(VALU_DEP_1) | instskip(NEXT) | instid1(VALU_DEP_1)
	v_div_fmas_f64 v[61:62], v[61:62], v[63:64], v[65:66]
	v_div_fixup_f64 v[61:62], v[61:62], v[46:47], v[44:45]
	s_delay_alu instid0(VALU_DEP_1) | instskip(NEXT) | instid1(VALU_DEP_1)
	v_fma_f64 v[44:45], v[44:45], v[61:62], v[46:47]
	v_div_scale_f64 v[46:47], null, v[44:45], v[44:45], 1.0
	s_delay_alu instid0(VALU_DEP_1) | instskip(SKIP_2) | instid1(VALU_DEP_1)
	v_rcp_f64_e32 v[63:64], v[46:47]
	s_waitcnt_depctr 0xfff
	v_fma_f64 v[65:66], -v[46:47], v[63:64], 1.0
	v_fma_f64 v[63:64], v[63:64], v[65:66], v[63:64]
	s_delay_alu instid0(VALU_DEP_1) | instskip(NEXT) | instid1(VALU_DEP_1)
	v_fma_f64 v[65:66], -v[46:47], v[63:64], 1.0
	v_fma_f64 v[63:64], v[63:64], v[65:66], v[63:64]
	v_div_scale_f64 v[65:66], vcc_lo, 1.0, v[44:45], 1.0
	s_delay_alu instid0(VALU_DEP_1) | instskip(NEXT) | instid1(VALU_DEP_1)
	v_mul_f64 v[67:68], v[65:66], v[63:64]
	v_fma_f64 v[46:47], -v[46:47], v[67:68], v[65:66]
	s_delay_alu instid0(VALU_DEP_1) | instskip(NEXT) | instid1(VALU_DEP_1)
	v_div_fmas_f64 v[46:47], v[46:47], v[63:64], v[67:68]
	v_div_fixup_f64 v[46:47], v[46:47], v[44:45], 1.0
	s_delay_alu instid0(VALU_DEP_1)
	v_mul_f64 v[44:45], v[61:62], v[46:47]
	v_xor_b32_e32 v47, 0x80000000, v47
.LBB20_49:
	s_and_not1_saveexec_b32 s2, s2
	s_cbranch_execz .LBB20_51
; %bb.50:
	s_delay_alu instid0(VALU_DEP_1) | instskip(SKIP_1) | instid1(VALU_DEP_2)
	v_div_scale_f64 v[61:62], null, v[44:45], v[44:45], v[46:47]
	v_div_scale_f64 v[67:68], vcc_lo, v[46:47], v[44:45], v[46:47]
	v_rcp_f64_e32 v[63:64], v[61:62]
	s_waitcnt_depctr 0xfff
	v_fma_f64 v[65:66], -v[61:62], v[63:64], 1.0
	s_delay_alu instid0(VALU_DEP_1) | instskip(NEXT) | instid1(VALU_DEP_1)
	v_fma_f64 v[63:64], v[63:64], v[65:66], v[63:64]
	v_fma_f64 v[65:66], -v[61:62], v[63:64], 1.0
	s_delay_alu instid0(VALU_DEP_1) | instskip(NEXT) | instid1(VALU_DEP_1)
	v_fma_f64 v[63:64], v[63:64], v[65:66], v[63:64]
	v_mul_f64 v[65:66], v[67:68], v[63:64]
	s_delay_alu instid0(VALU_DEP_1) | instskip(NEXT) | instid1(VALU_DEP_1)
	v_fma_f64 v[61:62], -v[61:62], v[65:66], v[67:68]
	v_div_fmas_f64 v[61:62], v[61:62], v[63:64], v[65:66]
	s_delay_alu instid0(VALU_DEP_1) | instskip(NEXT) | instid1(VALU_DEP_1)
	v_div_fixup_f64 v[61:62], v[61:62], v[44:45], v[46:47]
	v_fma_f64 v[44:45], v[46:47], v[61:62], v[44:45]
	s_delay_alu instid0(VALU_DEP_1) | instskip(NEXT) | instid1(VALU_DEP_1)
	v_div_scale_f64 v[46:47], null, v[44:45], v[44:45], 1.0
	v_rcp_f64_e32 v[63:64], v[46:47]
	s_waitcnt_depctr 0xfff
	v_fma_f64 v[65:66], -v[46:47], v[63:64], 1.0
	s_delay_alu instid0(VALU_DEP_1) | instskip(NEXT) | instid1(VALU_DEP_1)
	v_fma_f64 v[63:64], v[63:64], v[65:66], v[63:64]
	v_fma_f64 v[65:66], -v[46:47], v[63:64], 1.0
	s_delay_alu instid0(VALU_DEP_1) | instskip(SKIP_1) | instid1(VALU_DEP_1)
	v_fma_f64 v[63:64], v[63:64], v[65:66], v[63:64]
	v_div_scale_f64 v[65:66], vcc_lo, 1.0, v[44:45], 1.0
	v_mul_f64 v[67:68], v[65:66], v[63:64]
	s_delay_alu instid0(VALU_DEP_1) | instskip(NEXT) | instid1(VALU_DEP_1)
	v_fma_f64 v[46:47], -v[46:47], v[67:68], v[65:66]
	v_div_fmas_f64 v[46:47], v[46:47], v[63:64], v[67:68]
	s_delay_alu instid0(VALU_DEP_1) | instskip(NEXT) | instid1(VALU_DEP_1)
	v_div_fixup_f64 v[44:45], v[46:47], v[44:45], 1.0
	v_mul_f64 v[46:47], v[61:62], -v[44:45]
.LBB20_51:
	s_or_b32 exec_lo, exec_lo, s2
.LBB20_52:
	s_delay_alu instid0(SALU_CYCLE_1) | instskip(NEXT) | instid1(SALU_CYCLE_1)
	s_or_b32 exec_lo, exec_lo, s3
	s_mov_b32 s2, exec_lo
	v_cmpx_ne_u32_e64 v60, v52
	s_xor_b32 s2, exec_lo, s2
	s_cbranch_execz .LBB20_58
; %bb.53:
	s_mov_b32 s3, exec_lo
	v_cmpx_eq_u32_e32 2, v60
	s_cbranch_execz .LBB20_57
; %bb.54:
	v_cmp_ne_u32_e32 vcc_lo, 2, v52
	s_xor_b32 s6, s4, -1
	s_delay_alu instid0(SALU_CYCLE_1) | instskip(NEXT) | instid1(SALU_CYCLE_1)
	s_and_b32 s7, s6, vcc_lo
	s_and_saveexec_b32 s6, s7
	s_cbranch_execz .LBB20_56
; %bb.55:
	v_ashrrev_i32_e32 v53, 31, v52
	s_delay_alu instid0(VALU_DEP_1) | instskip(NEXT) | instid1(VALU_DEP_1)
	v_lshlrev_b64 v[60:61], 2, v[52:53]
	v_add_co_u32 v60, vcc_lo, v50, v60
	s_delay_alu instid0(VALU_DEP_2)
	v_add_co_ci_u32_e32 v61, vcc_lo, v51, v61, vcc_lo
	s_clause 0x1
	flat_load_b32 v53, v[60:61]
	flat_load_b32 v57, v[50:51] offset:8
	s_waitcnt vmcnt(1) lgkmcnt(1)
	flat_store_b32 v[50:51], v53 offset:8
	s_waitcnt vmcnt(0) lgkmcnt(1)
	flat_store_b32 v[60:61], v57
.LBB20_56:
	s_or_b32 exec_lo, exec_lo, s6
	v_mov_b32_e32 v60, v52
	v_mov_b32_e32 v57, v52
.LBB20_57:
	s_or_b32 exec_lo, exec_lo, s3
.LBB20_58:
	s_and_not1_saveexec_b32 s2, s2
	s_cbranch_execz .LBB20_60
; %bb.59:
	v_mov_b32_e32 v60, 2
	ds_store_2addr_b64 v54, v[32:33], v[34:35] offset0:6 offset1:7
	ds_store_2addr_b64 v54, v[24:25], v[26:27] offset0:8 offset1:9
	ds_store_2addr_b64 v54, v[20:21], v[22:23] offset0:10 offset1:11
	ds_store_2addr_b64 v54, v[16:17], v[18:19] offset0:12 offset1:13
	ds_store_2addr_b64 v54, v[12:13], v[14:15] offset0:14 offset1:15
	ds_store_2addr_b64 v54, v[8:9], v[10:11] offset0:16 offset1:17
	ds_store_2addr_b64 v54, v[4:5], v[6:7] offset0:18 offset1:19
	ds_store_2addr_b64 v54, v[0:1], v[2:3] offset0:20 offset1:21
.LBB20_60:
	s_or_b32 exec_lo, exec_lo, s2
	s_delay_alu instid0(SALU_CYCLE_1)
	s_mov_b32 s2, exec_lo
	s_waitcnt lgkmcnt(0)
	s_waitcnt_vscnt null, 0x0
	s_barrier
	buffer_gl0_inv
	v_cmpx_lt_i32_e32 2, v60
	s_cbranch_execz .LBB20_62
; %bb.61:
	v_mul_f64 v[52:53], v[44:45], v[38:39]
	v_mul_f64 v[38:39], v[46:47], v[38:39]
	ds_load_2addr_b64 v[61:64], v54 offset0:6 offset1:7
	ds_load_2addr_b64 v[65:68], v54 offset0:8 offset1:9
	;; [unrolled: 1-line block ×8, first 2 shown]
	v_fma_f64 v[46:47], v[46:47], v[36:37], v[52:53]
	v_fma_f64 v[36:37], v[44:45], v[36:37], -v[38:39]
	s_waitcnt lgkmcnt(7)
	s_delay_alu instid0(VALU_DEP_2)
	v_mul_f64 v[38:39], v[63:64], v[46:47]
	v_mul_f64 v[44:45], v[61:62], v[46:47]
	s_waitcnt lgkmcnt(6)
	v_mul_f64 v[52:53], v[67:68], v[46:47]
	v_mul_f64 v[93:94], v[65:66], v[46:47]
	s_waitcnt lgkmcnt(5)
	;; [unrolled: 3-line block ×7, first 2 shown]
	v_mul_f64 v[115:116], v[91:92], v[46:47]
	v_mul_f64 v[117:118], v[89:90], v[46:47]
	v_fma_f64 v[38:39], v[61:62], v[36:37], -v[38:39]
	v_fma_f64 v[44:45], v[63:64], v[36:37], v[44:45]
	v_fma_f64 v[52:53], v[65:66], v[36:37], -v[52:53]
	v_fma_f64 v[61:62], v[67:68], v[36:37], v[93:94]
	;; [unrolled: 2-line block ×8, first 2 shown]
	v_add_f64 v[32:33], v[32:33], -v[38:39]
	v_add_f64 v[34:35], v[34:35], -v[44:45]
	;; [unrolled: 1-line block ×16, first 2 shown]
	v_dual_mov_b32 v38, v46 :: v_dual_mov_b32 v39, v47
.LBB20_62:
	s_or_b32 exec_lo, exec_lo, s2
	v_lshl_add_u32 v44, v60, 4, v54
	s_barrier
	buffer_gl0_inv
	v_mov_b32_e32 v52, 3
	ds_store_2addr_b64 v44, v[32:33], v[34:35] offset1:1
	s_waitcnt lgkmcnt(0)
	s_barrier
	buffer_gl0_inv
	ds_load_2addr_b64 v[44:47], v54 offset0:6 offset1:7
	s_cmp_lt_i32 s5, 5
	s_mov_b32 s6, 4
	s_cbranch_scc1 .LBB20_65
; %bb.63:
	v_add3_u32 v53, v59, 0, 64
	v_mov_b32_e32 v52, 3
	s_set_inst_prefetch_distance 0x1
	.p2align	6
.LBB20_64:                              ; =>This Inner Loop Header: Depth=1
	ds_load_2addr_b64 v[61:64], v53 offset1:1
	s_waitcnt lgkmcnt(1)
	v_cmp_gt_f64_e32 vcc_lo, 0, v[44:45]
	v_xor_b32_e32 v65, 0x80000000, v45
	v_cmp_gt_f64_e64 s2, 0, v[46:47]
	v_xor_b32_e32 v67, 0x80000000, v47
	v_add_nc_u32_e32 v53, 16, v53
	s_waitcnt lgkmcnt(0)
	v_cmp_gt_f64_e64 s3, 0, v[61:62]
	v_mov_b32_e32 v69, v61
	v_dual_mov_b32 v71, v63 :: v_dual_cndmask_b32 v66, v45, v65
	v_xor_b32_e32 v65, 0x80000000, v62
	v_cndmask_b32_e64 v68, v47, v67, s2
	v_xor_b32_e32 v67, 0x80000000, v64
	s_delay_alu instid0(VALU_DEP_3) | instskip(SKIP_2) | instid1(VALU_DEP_2)
	v_cndmask_b32_e64 v70, v62, v65, s3
	v_cmp_gt_f64_e64 s3, 0, v[63:64]
	v_cndmask_b32_e32 v65, v44, v44, vcc_lo
	v_cndmask_b32_e64 v72, v64, v67, s3
	v_cndmask_b32_e64 v67, v46, v46, s2
	s_delay_alu instid0(VALU_DEP_2) | instskip(NEXT) | instid1(VALU_DEP_2)
	v_add_f64 v[69:70], v[69:70], v[71:72]
	v_add_f64 v[65:66], v[65:66], v[67:68]
	s_delay_alu instid0(VALU_DEP_1) | instskip(SKIP_4) | instid1(SALU_CYCLE_1)
	v_cmp_lt_f64_e32 vcc_lo, v[65:66], v[69:70]
	v_dual_cndmask_b32 v46, v46, v63 :: v_dual_cndmask_b32 v45, v45, v62
	v_dual_cndmask_b32 v44, v44, v61 :: v_dual_cndmask_b32 v47, v47, v64
	v_cndmask_b32_e64 v52, v52, s6, vcc_lo
	s_add_i32 s6, s6, 1
	s_cmp_lg_u32 s5, s6
	s_cbranch_scc1 .LBB20_64
.LBB20_65:
	s_set_inst_prefetch_distance 0x2
	s_waitcnt lgkmcnt(0)
	v_cmp_eq_f64_e32 vcc_lo, 0, v[44:45]
	v_cmp_eq_f64_e64 s2, 0, v[46:47]
	s_delay_alu instid0(VALU_DEP_1) | instskip(NEXT) | instid1(SALU_CYCLE_1)
	s_and_b32 s2, vcc_lo, s2
	s_and_saveexec_b32 s3, s2
	s_delay_alu instid0(SALU_CYCLE_1)
	s_xor_b32 s2, exec_lo, s3
; %bb.66:
	v_cmp_ne_u32_e32 vcc_lo, 0, v58
	v_cndmask_b32_e32 v58, 4, v58, vcc_lo
; %bb.67:
	s_and_not1_saveexec_b32 s3, s2
	s_cbranch_execz .LBB20_73
; %bb.68:
	v_cmp_gt_f64_e32 vcc_lo, 0, v[44:45]
	v_cmp_gt_f64_e64 s2, 0, v[46:47]
	v_xor_b32_e32 v53, 0x80000000, v45
	v_xor_b32_e32 v61, 0x80000000, v47
	s_delay_alu instid0(VALU_DEP_2) | instskip(NEXT) | instid1(VALU_DEP_2)
	v_cndmask_b32_e32 v62, v45, v53, vcc_lo
	v_cndmask_b32_e64 v64, v47, v61, s2
	v_cndmask_b32_e32 v61, v44, v44, vcc_lo
	v_cndmask_b32_e64 v63, v46, v46, s2
	s_mov_b32 s2, exec_lo
	s_delay_alu instid0(VALU_DEP_1)
	v_cmpx_ngt_f64_e32 v[61:62], v[63:64]
	s_xor_b32 s2, exec_lo, s2
	s_cbranch_execz .LBB20_70
; %bb.69:
	v_div_scale_f64 v[61:62], null, v[46:47], v[46:47], v[44:45]
	v_div_scale_f64 v[67:68], vcc_lo, v[44:45], v[46:47], v[44:45]
	s_delay_alu instid0(VALU_DEP_2) | instskip(SKIP_2) | instid1(VALU_DEP_1)
	v_rcp_f64_e32 v[63:64], v[61:62]
	s_waitcnt_depctr 0xfff
	v_fma_f64 v[65:66], -v[61:62], v[63:64], 1.0
	v_fma_f64 v[63:64], v[63:64], v[65:66], v[63:64]
	s_delay_alu instid0(VALU_DEP_1) | instskip(NEXT) | instid1(VALU_DEP_1)
	v_fma_f64 v[65:66], -v[61:62], v[63:64], 1.0
	v_fma_f64 v[63:64], v[63:64], v[65:66], v[63:64]
	s_delay_alu instid0(VALU_DEP_1) | instskip(NEXT) | instid1(VALU_DEP_1)
	v_mul_f64 v[65:66], v[67:68], v[63:64]
	v_fma_f64 v[61:62], -v[61:62], v[65:66], v[67:68]
	s_delay_alu instid0(VALU_DEP_1) | instskip(NEXT) | instid1(VALU_DEP_1)
	v_div_fmas_f64 v[61:62], v[61:62], v[63:64], v[65:66]
	v_div_fixup_f64 v[61:62], v[61:62], v[46:47], v[44:45]
	s_delay_alu instid0(VALU_DEP_1) | instskip(NEXT) | instid1(VALU_DEP_1)
	v_fma_f64 v[44:45], v[44:45], v[61:62], v[46:47]
	v_div_scale_f64 v[46:47], null, v[44:45], v[44:45], 1.0
	s_delay_alu instid0(VALU_DEP_1) | instskip(SKIP_2) | instid1(VALU_DEP_1)
	v_rcp_f64_e32 v[63:64], v[46:47]
	s_waitcnt_depctr 0xfff
	v_fma_f64 v[65:66], -v[46:47], v[63:64], 1.0
	v_fma_f64 v[63:64], v[63:64], v[65:66], v[63:64]
	s_delay_alu instid0(VALU_DEP_1) | instskip(NEXT) | instid1(VALU_DEP_1)
	v_fma_f64 v[65:66], -v[46:47], v[63:64], 1.0
	v_fma_f64 v[63:64], v[63:64], v[65:66], v[63:64]
	v_div_scale_f64 v[65:66], vcc_lo, 1.0, v[44:45], 1.0
	s_delay_alu instid0(VALU_DEP_1) | instskip(NEXT) | instid1(VALU_DEP_1)
	v_mul_f64 v[67:68], v[65:66], v[63:64]
	v_fma_f64 v[46:47], -v[46:47], v[67:68], v[65:66]
	s_delay_alu instid0(VALU_DEP_1) | instskip(NEXT) | instid1(VALU_DEP_1)
	v_div_fmas_f64 v[46:47], v[46:47], v[63:64], v[67:68]
	v_div_fixup_f64 v[46:47], v[46:47], v[44:45], 1.0
	s_delay_alu instid0(VALU_DEP_1)
	v_mul_f64 v[44:45], v[61:62], v[46:47]
	v_xor_b32_e32 v47, 0x80000000, v47
.LBB20_70:
	s_and_not1_saveexec_b32 s2, s2
	s_cbranch_execz .LBB20_72
; %bb.71:
	s_delay_alu instid0(VALU_DEP_1) | instskip(SKIP_1) | instid1(VALU_DEP_2)
	v_div_scale_f64 v[61:62], null, v[44:45], v[44:45], v[46:47]
	v_div_scale_f64 v[67:68], vcc_lo, v[46:47], v[44:45], v[46:47]
	v_rcp_f64_e32 v[63:64], v[61:62]
	s_waitcnt_depctr 0xfff
	v_fma_f64 v[65:66], -v[61:62], v[63:64], 1.0
	s_delay_alu instid0(VALU_DEP_1) | instskip(NEXT) | instid1(VALU_DEP_1)
	v_fma_f64 v[63:64], v[63:64], v[65:66], v[63:64]
	v_fma_f64 v[65:66], -v[61:62], v[63:64], 1.0
	s_delay_alu instid0(VALU_DEP_1) | instskip(NEXT) | instid1(VALU_DEP_1)
	v_fma_f64 v[63:64], v[63:64], v[65:66], v[63:64]
	v_mul_f64 v[65:66], v[67:68], v[63:64]
	s_delay_alu instid0(VALU_DEP_1) | instskip(NEXT) | instid1(VALU_DEP_1)
	v_fma_f64 v[61:62], -v[61:62], v[65:66], v[67:68]
	v_div_fmas_f64 v[61:62], v[61:62], v[63:64], v[65:66]
	s_delay_alu instid0(VALU_DEP_1) | instskip(NEXT) | instid1(VALU_DEP_1)
	v_div_fixup_f64 v[61:62], v[61:62], v[44:45], v[46:47]
	v_fma_f64 v[44:45], v[46:47], v[61:62], v[44:45]
	s_delay_alu instid0(VALU_DEP_1) | instskip(NEXT) | instid1(VALU_DEP_1)
	v_div_scale_f64 v[46:47], null, v[44:45], v[44:45], 1.0
	v_rcp_f64_e32 v[63:64], v[46:47]
	s_waitcnt_depctr 0xfff
	v_fma_f64 v[65:66], -v[46:47], v[63:64], 1.0
	s_delay_alu instid0(VALU_DEP_1) | instskip(NEXT) | instid1(VALU_DEP_1)
	v_fma_f64 v[63:64], v[63:64], v[65:66], v[63:64]
	v_fma_f64 v[65:66], -v[46:47], v[63:64], 1.0
	s_delay_alu instid0(VALU_DEP_1) | instskip(SKIP_1) | instid1(VALU_DEP_1)
	v_fma_f64 v[63:64], v[63:64], v[65:66], v[63:64]
	v_div_scale_f64 v[65:66], vcc_lo, 1.0, v[44:45], 1.0
	v_mul_f64 v[67:68], v[65:66], v[63:64]
	s_delay_alu instid0(VALU_DEP_1) | instskip(NEXT) | instid1(VALU_DEP_1)
	v_fma_f64 v[46:47], -v[46:47], v[67:68], v[65:66]
	v_div_fmas_f64 v[46:47], v[46:47], v[63:64], v[67:68]
	s_delay_alu instid0(VALU_DEP_1) | instskip(NEXT) | instid1(VALU_DEP_1)
	v_div_fixup_f64 v[44:45], v[46:47], v[44:45], 1.0
	v_mul_f64 v[46:47], v[61:62], -v[44:45]
.LBB20_72:
	s_or_b32 exec_lo, exec_lo, s2
.LBB20_73:
	s_delay_alu instid0(SALU_CYCLE_1) | instskip(NEXT) | instid1(SALU_CYCLE_1)
	s_or_b32 exec_lo, exec_lo, s3
	s_mov_b32 s2, exec_lo
	v_cmpx_ne_u32_e64 v60, v52
	s_xor_b32 s2, exec_lo, s2
	s_cbranch_execz .LBB20_79
; %bb.74:
	s_mov_b32 s3, exec_lo
	v_cmpx_eq_u32_e32 3, v60
	s_cbranch_execz .LBB20_78
; %bb.75:
	v_cmp_ne_u32_e32 vcc_lo, 3, v52
	s_xor_b32 s6, s4, -1
	s_delay_alu instid0(SALU_CYCLE_1) | instskip(NEXT) | instid1(SALU_CYCLE_1)
	s_and_b32 s7, s6, vcc_lo
	s_and_saveexec_b32 s6, s7
	s_cbranch_execz .LBB20_77
; %bb.76:
	v_ashrrev_i32_e32 v53, 31, v52
	s_delay_alu instid0(VALU_DEP_1) | instskip(NEXT) | instid1(VALU_DEP_1)
	v_lshlrev_b64 v[60:61], 2, v[52:53]
	v_add_co_u32 v60, vcc_lo, v50, v60
	s_delay_alu instid0(VALU_DEP_2)
	v_add_co_ci_u32_e32 v61, vcc_lo, v51, v61, vcc_lo
	s_clause 0x1
	flat_load_b32 v53, v[60:61]
	flat_load_b32 v57, v[50:51] offset:12
	s_waitcnt vmcnt(1) lgkmcnt(1)
	flat_store_b32 v[50:51], v53 offset:12
	s_waitcnt vmcnt(0) lgkmcnt(1)
	flat_store_b32 v[60:61], v57
.LBB20_77:
	s_or_b32 exec_lo, exec_lo, s6
	v_mov_b32_e32 v60, v52
	v_mov_b32_e32 v57, v52
.LBB20_78:
	s_or_b32 exec_lo, exec_lo, s3
.LBB20_79:
	s_and_not1_saveexec_b32 s2, s2
	s_cbranch_execz .LBB20_81
; %bb.80:
	v_mov_b32_e32 v60, 3
	ds_store_2addr_b64 v54, v[24:25], v[26:27] offset0:8 offset1:9
	ds_store_2addr_b64 v54, v[20:21], v[22:23] offset0:10 offset1:11
	;; [unrolled: 1-line block ×7, first 2 shown]
.LBB20_81:
	s_or_b32 exec_lo, exec_lo, s2
	s_delay_alu instid0(SALU_CYCLE_1)
	s_mov_b32 s2, exec_lo
	s_waitcnt lgkmcnt(0)
	s_waitcnt_vscnt null, 0x0
	s_barrier
	buffer_gl0_inv
	v_cmpx_lt_i32_e32 3, v60
	s_cbranch_execz .LBB20_83
; %bb.82:
	v_mul_f64 v[52:53], v[44:45], v[34:35]
	v_mul_f64 v[34:35], v[46:47], v[34:35]
	ds_load_2addr_b64 v[61:64], v54 offset0:8 offset1:9
	ds_load_2addr_b64 v[65:68], v54 offset0:10 offset1:11
	;; [unrolled: 1-line block ×7, first 2 shown]
	v_fma_f64 v[46:47], v[46:47], v[32:33], v[52:53]
	v_fma_f64 v[32:33], v[44:45], v[32:33], -v[34:35]
	s_waitcnt lgkmcnt(6)
	s_delay_alu instid0(VALU_DEP_2)
	v_mul_f64 v[34:35], v[63:64], v[46:47]
	v_mul_f64 v[44:45], v[61:62], v[46:47]
	s_waitcnt lgkmcnt(5)
	v_mul_f64 v[52:53], v[67:68], v[46:47]
	v_mul_f64 v[89:90], v[65:66], v[46:47]
	s_waitcnt lgkmcnt(4)
	v_mul_f64 v[91:92], v[71:72], v[46:47]
	v_mul_f64 v[93:94], v[69:70], v[46:47]
	s_waitcnt lgkmcnt(3)
	v_mul_f64 v[95:96], v[75:76], v[46:47]
	v_mul_f64 v[97:98], v[73:74], v[46:47]
	s_waitcnt lgkmcnt(2)
	v_mul_f64 v[99:100], v[79:80], v[46:47]
	v_mul_f64 v[101:102], v[77:78], v[46:47]
	s_waitcnt lgkmcnt(1)
	v_mul_f64 v[103:104], v[83:84], v[46:47]
	v_mul_f64 v[105:106], v[81:82], v[46:47]
	s_waitcnt lgkmcnt(0)
	v_mul_f64 v[107:108], v[87:88], v[46:47]
	v_mul_f64 v[109:110], v[85:86], v[46:47]
	v_fma_f64 v[34:35], v[61:62], v[32:33], -v[34:35]
	v_fma_f64 v[44:45], v[63:64], v[32:33], v[44:45]
	v_fma_f64 v[52:53], v[65:66], v[32:33], -v[52:53]
	v_fma_f64 v[61:62], v[67:68], v[32:33], v[89:90]
	v_fma_f64 v[63:64], v[69:70], v[32:33], -v[91:92]
	v_fma_f64 v[65:66], v[71:72], v[32:33], v[93:94]
	v_fma_f64 v[67:68], v[73:74], v[32:33], -v[95:96]
	v_fma_f64 v[69:70], v[75:76], v[32:33], v[97:98]
	v_fma_f64 v[71:72], v[77:78], v[32:33], -v[99:100]
	v_fma_f64 v[73:74], v[79:80], v[32:33], v[101:102]
	v_fma_f64 v[75:76], v[81:82], v[32:33], -v[103:104]
	v_fma_f64 v[77:78], v[83:84], v[32:33], v[105:106]
	v_fma_f64 v[79:80], v[85:86], v[32:33], -v[107:108]
	v_fma_f64 v[81:82], v[87:88], v[32:33], v[109:110]
	v_add_f64 v[24:25], v[24:25], -v[34:35]
	v_add_f64 v[26:27], v[26:27], -v[44:45]
	;; [unrolled: 1-line block ×14, first 2 shown]
	v_dual_mov_b32 v34, v46 :: v_dual_mov_b32 v35, v47
.LBB20_83:
	s_or_b32 exec_lo, exec_lo, s2
	v_lshl_add_u32 v44, v60, 4, v54
	s_barrier
	buffer_gl0_inv
	v_mov_b32_e32 v52, 4
	ds_store_2addr_b64 v44, v[24:25], v[26:27] offset1:1
	s_waitcnt lgkmcnt(0)
	s_barrier
	buffer_gl0_inv
	ds_load_2addr_b64 v[44:47], v54 offset0:8 offset1:9
	s_cmp_lt_i32 s5, 6
	s_cbranch_scc1 .LBB20_86
; %bb.84:
	v_add3_u32 v53, v59, 0, 0x50
	v_mov_b32_e32 v52, 4
	s_mov_b32 s6, 5
	s_set_inst_prefetch_distance 0x1
	.p2align	6
.LBB20_85:                              ; =>This Inner Loop Header: Depth=1
	ds_load_2addr_b64 v[61:64], v53 offset1:1
	s_waitcnt lgkmcnt(1)
	v_cmp_gt_f64_e32 vcc_lo, 0, v[44:45]
	v_xor_b32_e32 v65, 0x80000000, v45
	v_cmp_gt_f64_e64 s2, 0, v[46:47]
	v_xor_b32_e32 v67, 0x80000000, v47
	v_add_nc_u32_e32 v53, 16, v53
	s_waitcnt lgkmcnt(0)
	v_cmp_gt_f64_e64 s3, 0, v[61:62]
	v_mov_b32_e32 v69, v61
	v_dual_mov_b32 v71, v63 :: v_dual_cndmask_b32 v66, v45, v65
	v_xor_b32_e32 v65, 0x80000000, v62
	v_cndmask_b32_e64 v68, v47, v67, s2
	v_xor_b32_e32 v67, 0x80000000, v64
	s_delay_alu instid0(VALU_DEP_3) | instskip(SKIP_2) | instid1(VALU_DEP_2)
	v_cndmask_b32_e64 v70, v62, v65, s3
	v_cmp_gt_f64_e64 s3, 0, v[63:64]
	v_cndmask_b32_e32 v65, v44, v44, vcc_lo
	v_cndmask_b32_e64 v72, v64, v67, s3
	v_cndmask_b32_e64 v67, v46, v46, s2
	s_delay_alu instid0(VALU_DEP_2) | instskip(NEXT) | instid1(VALU_DEP_2)
	v_add_f64 v[69:70], v[69:70], v[71:72]
	v_add_f64 v[65:66], v[65:66], v[67:68]
	s_delay_alu instid0(VALU_DEP_1) | instskip(SKIP_4) | instid1(SALU_CYCLE_1)
	v_cmp_lt_f64_e32 vcc_lo, v[65:66], v[69:70]
	v_dual_cndmask_b32 v46, v46, v63 :: v_dual_cndmask_b32 v45, v45, v62
	v_dual_cndmask_b32 v44, v44, v61 :: v_dual_cndmask_b32 v47, v47, v64
	v_cndmask_b32_e64 v52, v52, s6, vcc_lo
	s_add_i32 s6, s6, 1
	s_cmp_lg_u32 s5, s6
	s_cbranch_scc1 .LBB20_85
.LBB20_86:
	s_set_inst_prefetch_distance 0x2
	s_waitcnt lgkmcnt(0)
	v_cmp_eq_f64_e32 vcc_lo, 0, v[44:45]
	v_cmp_eq_f64_e64 s2, 0, v[46:47]
	s_delay_alu instid0(VALU_DEP_1) | instskip(NEXT) | instid1(SALU_CYCLE_1)
	s_and_b32 s2, vcc_lo, s2
	s_and_saveexec_b32 s3, s2
	s_delay_alu instid0(SALU_CYCLE_1)
	s_xor_b32 s2, exec_lo, s3
; %bb.87:
	v_cmp_ne_u32_e32 vcc_lo, 0, v58
	v_cndmask_b32_e32 v58, 5, v58, vcc_lo
; %bb.88:
	s_and_not1_saveexec_b32 s3, s2
	s_cbranch_execz .LBB20_94
; %bb.89:
	v_cmp_gt_f64_e32 vcc_lo, 0, v[44:45]
	v_cmp_gt_f64_e64 s2, 0, v[46:47]
	v_xor_b32_e32 v53, 0x80000000, v45
	v_xor_b32_e32 v61, 0x80000000, v47
	s_delay_alu instid0(VALU_DEP_2) | instskip(NEXT) | instid1(VALU_DEP_2)
	v_cndmask_b32_e32 v62, v45, v53, vcc_lo
	v_cndmask_b32_e64 v64, v47, v61, s2
	v_cndmask_b32_e32 v61, v44, v44, vcc_lo
	v_cndmask_b32_e64 v63, v46, v46, s2
	s_mov_b32 s2, exec_lo
	s_delay_alu instid0(VALU_DEP_1)
	v_cmpx_ngt_f64_e32 v[61:62], v[63:64]
	s_xor_b32 s2, exec_lo, s2
	s_cbranch_execz .LBB20_91
; %bb.90:
	v_div_scale_f64 v[61:62], null, v[46:47], v[46:47], v[44:45]
	v_div_scale_f64 v[67:68], vcc_lo, v[44:45], v[46:47], v[44:45]
	s_delay_alu instid0(VALU_DEP_2) | instskip(SKIP_2) | instid1(VALU_DEP_1)
	v_rcp_f64_e32 v[63:64], v[61:62]
	s_waitcnt_depctr 0xfff
	v_fma_f64 v[65:66], -v[61:62], v[63:64], 1.0
	v_fma_f64 v[63:64], v[63:64], v[65:66], v[63:64]
	s_delay_alu instid0(VALU_DEP_1) | instskip(NEXT) | instid1(VALU_DEP_1)
	v_fma_f64 v[65:66], -v[61:62], v[63:64], 1.0
	v_fma_f64 v[63:64], v[63:64], v[65:66], v[63:64]
	s_delay_alu instid0(VALU_DEP_1) | instskip(NEXT) | instid1(VALU_DEP_1)
	v_mul_f64 v[65:66], v[67:68], v[63:64]
	v_fma_f64 v[61:62], -v[61:62], v[65:66], v[67:68]
	s_delay_alu instid0(VALU_DEP_1) | instskip(NEXT) | instid1(VALU_DEP_1)
	v_div_fmas_f64 v[61:62], v[61:62], v[63:64], v[65:66]
	v_div_fixup_f64 v[61:62], v[61:62], v[46:47], v[44:45]
	s_delay_alu instid0(VALU_DEP_1) | instskip(NEXT) | instid1(VALU_DEP_1)
	v_fma_f64 v[44:45], v[44:45], v[61:62], v[46:47]
	v_div_scale_f64 v[46:47], null, v[44:45], v[44:45], 1.0
	s_delay_alu instid0(VALU_DEP_1) | instskip(SKIP_2) | instid1(VALU_DEP_1)
	v_rcp_f64_e32 v[63:64], v[46:47]
	s_waitcnt_depctr 0xfff
	v_fma_f64 v[65:66], -v[46:47], v[63:64], 1.0
	v_fma_f64 v[63:64], v[63:64], v[65:66], v[63:64]
	s_delay_alu instid0(VALU_DEP_1) | instskip(NEXT) | instid1(VALU_DEP_1)
	v_fma_f64 v[65:66], -v[46:47], v[63:64], 1.0
	v_fma_f64 v[63:64], v[63:64], v[65:66], v[63:64]
	v_div_scale_f64 v[65:66], vcc_lo, 1.0, v[44:45], 1.0
	s_delay_alu instid0(VALU_DEP_1) | instskip(NEXT) | instid1(VALU_DEP_1)
	v_mul_f64 v[67:68], v[65:66], v[63:64]
	v_fma_f64 v[46:47], -v[46:47], v[67:68], v[65:66]
	s_delay_alu instid0(VALU_DEP_1) | instskip(NEXT) | instid1(VALU_DEP_1)
	v_div_fmas_f64 v[46:47], v[46:47], v[63:64], v[67:68]
	v_div_fixup_f64 v[46:47], v[46:47], v[44:45], 1.0
	s_delay_alu instid0(VALU_DEP_1)
	v_mul_f64 v[44:45], v[61:62], v[46:47]
	v_xor_b32_e32 v47, 0x80000000, v47
.LBB20_91:
	s_and_not1_saveexec_b32 s2, s2
	s_cbranch_execz .LBB20_93
; %bb.92:
	s_delay_alu instid0(VALU_DEP_1) | instskip(SKIP_1) | instid1(VALU_DEP_2)
	v_div_scale_f64 v[61:62], null, v[44:45], v[44:45], v[46:47]
	v_div_scale_f64 v[67:68], vcc_lo, v[46:47], v[44:45], v[46:47]
	v_rcp_f64_e32 v[63:64], v[61:62]
	s_waitcnt_depctr 0xfff
	v_fma_f64 v[65:66], -v[61:62], v[63:64], 1.0
	s_delay_alu instid0(VALU_DEP_1) | instskip(NEXT) | instid1(VALU_DEP_1)
	v_fma_f64 v[63:64], v[63:64], v[65:66], v[63:64]
	v_fma_f64 v[65:66], -v[61:62], v[63:64], 1.0
	s_delay_alu instid0(VALU_DEP_1) | instskip(NEXT) | instid1(VALU_DEP_1)
	v_fma_f64 v[63:64], v[63:64], v[65:66], v[63:64]
	v_mul_f64 v[65:66], v[67:68], v[63:64]
	s_delay_alu instid0(VALU_DEP_1) | instskip(NEXT) | instid1(VALU_DEP_1)
	v_fma_f64 v[61:62], -v[61:62], v[65:66], v[67:68]
	v_div_fmas_f64 v[61:62], v[61:62], v[63:64], v[65:66]
	s_delay_alu instid0(VALU_DEP_1) | instskip(NEXT) | instid1(VALU_DEP_1)
	v_div_fixup_f64 v[61:62], v[61:62], v[44:45], v[46:47]
	v_fma_f64 v[44:45], v[46:47], v[61:62], v[44:45]
	s_delay_alu instid0(VALU_DEP_1) | instskip(NEXT) | instid1(VALU_DEP_1)
	v_div_scale_f64 v[46:47], null, v[44:45], v[44:45], 1.0
	v_rcp_f64_e32 v[63:64], v[46:47]
	s_waitcnt_depctr 0xfff
	v_fma_f64 v[65:66], -v[46:47], v[63:64], 1.0
	s_delay_alu instid0(VALU_DEP_1) | instskip(NEXT) | instid1(VALU_DEP_1)
	v_fma_f64 v[63:64], v[63:64], v[65:66], v[63:64]
	v_fma_f64 v[65:66], -v[46:47], v[63:64], 1.0
	s_delay_alu instid0(VALU_DEP_1) | instskip(SKIP_1) | instid1(VALU_DEP_1)
	v_fma_f64 v[63:64], v[63:64], v[65:66], v[63:64]
	v_div_scale_f64 v[65:66], vcc_lo, 1.0, v[44:45], 1.0
	v_mul_f64 v[67:68], v[65:66], v[63:64]
	s_delay_alu instid0(VALU_DEP_1) | instskip(NEXT) | instid1(VALU_DEP_1)
	v_fma_f64 v[46:47], -v[46:47], v[67:68], v[65:66]
	v_div_fmas_f64 v[46:47], v[46:47], v[63:64], v[67:68]
	s_delay_alu instid0(VALU_DEP_1) | instskip(NEXT) | instid1(VALU_DEP_1)
	v_div_fixup_f64 v[44:45], v[46:47], v[44:45], 1.0
	v_mul_f64 v[46:47], v[61:62], -v[44:45]
.LBB20_93:
	s_or_b32 exec_lo, exec_lo, s2
.LBB20_94:
	s_delay_alu instid0(SALU_CYCLE_1) | instskip(NEXT) | instid1(SALU_CYCLE_1)
	s_or_b32 exec_lo, exec_lo, s3
	s_mov_b32 s2, exec_lo
	v_cmpx_ne_u32_e64 v60, v52
	s_xor_b32 s2, exec_lo, s2
	s_cbranch_execz .LBB20_100
; %bb.95:
	s_mov_b32 s3, exec_lo
	v_cmpx_eq_u32_e32 4, v60
	s_cbranch_execz .LBB20_99
; %bb.96:
	v_cmp_ne_u32_e32 vcc_lo, 4, v52
	s_xor_b32 s6, s4, -1
	s_delay_alu instid0(SALU_CYCLE_1) | instskip(NEXT) | instid1(SALU_CYCLE_1)
	s_and_b32 s7, s6, vcc_lo
	s_and_saveexec_b32 s6, s7
	s_cbranch_execz .LBB20_98
; %bb.97:
	v_ashrrev_i32_e32 v53, 31, v52
	s_delay_alu instid0(VALU_DEP_1) | instskip(NEXT) | instid1(VALU_DEP_1)
	v_lshlrev_b64 v[60:61], 2, v[52:53]
	v_add_co_u32 v60, vcc_lo, v50, v60
	s_delay_alu instid0(VALU_DEP_2)
	v_add_co_ci_u32_e32 v61, vcc_lo, v51, v61, vcc_lo
	s_clause 0x1
	flat_load_b32 v53, v[60:61]
	flat_load_b32 v57, v[50:51] offset:16
	s_waitcnt vmcnt(1) lgkmcnt(1)
	flat_store_b32 v[50:51], v53 offset:16
	s_waitcnt vmcnt(0) lgkmcnt(1)
	flat_store_b32 v[60:61], v57
.LBB20_98:
	s_or_b32 exec_lo, exec_lo, s6
	v_mov_b32_e32 v60, v52
	v_mov_b32_e32 v57, v52
.LBB20_99:
	s_or_b32 exec_lo, exec_lo, s3
.LBB20_100:
	s_and_not1_saveexec_b32 s2, s2
	s_cbranch_execz .LBB20_102
; %bb.101:
	v_mov_b32_e32 v60, 4
	ds_store_2addr_b64 v54, v[20:21], v[22:23] offset0:10 offset1:11
	ds_store_2addr_b64 v54, v[16:17], v[18:19] offset0:12 offset1:13
	;; [unrolled: 1-line block ×6, first 2 shown]
.LBB20_102:
	s_or_b32 exec_lo, exec_lo, s2
	s_delay_alu instid0(SALU_CYCLE_1)
	s_mov_b32 s2, exec_lo
	s_waitcnt lgkmcnt(0)
	s_waitcnt_vscnt null, 0x0
	s_barrier
	buffer_gl0_inv
	v_cmpx_lt_i32_e32 4, v60
	s_cbranch_execz .LBB20_104
; %bb.103:
	v_mul_f64 v[52:53], v[44:45], v[26:27]
	v_mul_f64 v[26:27], v[46:47], v[26:27]
	ds_load_2addr_b64 v[61:64], v54 offset0:10 offset1:11
	ds_load_2addr_b64 v[65:68], v54 offset0:12 offset1:13
	;; [unrolled: 1-line block ×6, first 2 shown]
	v_fma_f64 v[46:47], v[46:47], v[24:25], v[52:53]
	v_fma_f64 v[24:25], v[44:45], v[24:25], -v[26:27]
	s_waitcnt lgkmcnt(5)
	s_delay_alu instid0(VALU_DEP_2)
	v_mul_f64 v[26:27], v[63:64], v[46:47]
	v_mul_f64 v[44:45], v[61:62], v[46:47]
	s_waitcnt lgkmcnt(4)
	v_mul_f64 v[52:53], v[67:68], v[46:47]
	v_mul_f64 v[85:86], v[65:66], v[46:47]
	s_waitcnt lgkmcnt(3)
	;; [unrolled: 3-line block ×5, first 2 shown]
	v_mul_f64 v[99:100], v[83:84], v[46:47]
	v_mul_f64 v[101:102], v[81:82], v[46:47]
	v_fma_f64 v[26:27], v[61:62], v[24:25], -v[26:27]
	v_fma_f64 v[44:45], v[63:64], v[24:25], v[44:45]
	v_fma_f64 v[52:53], v[65:66], v[24:25], -v[52:53]
	v_fma_f64 v[61:62], v[67:68], v[24:25], v[85:86]
	;; [unrolled: 2-line block ×6, first 2 shown]
	v_add_f64 v[20:21], v[20:21], -v[26:27]
	v_add_f64 v[22:23], v[22:23], -v[44:45]
	;; [unrolled: 1-line block ×12, first 2 shown]
	v_dual_mov_b32 v26, v46 :: v_dual_mov_b32 v27, v47
.LBB20_104:
	s_or_b32 exec_lo, exec_lo, s2
	v_lshl_add_u32 v44, v60, 4, v54
	s_barrier
	buffer_gl0_inv
	v_mov_b32_e32 v52, 5
	ds_store_2addr_b64 v44, v[20:21], v[22:23] offset1:1
	s_waitcnt lgkmcnt(0)
	s_barrier
	buffer_gl0_inv
	ds_load_2addr_b64 v[44:47], v54 offset0:10 offset1:11
	s_cmp_lt_i32 s5, 7
	s_cbranch_scc1 .LBB20_107
; %bb.105:
	v_add3_u32 v53, v59, 0, 0x60
	v_mov_b32_e32 v52, 5
	s_mov_b32 s6, 6
	s_set_inst_prefetch_distance 0x1
	.p2align	6
.LBB20_106:                             ; =>This Inner Loop Header: Depth=1
	ds_load_2addr_b64 v[61:64], v53 offset1:1
	s_waitcnt lgkmcnt(1)
	v_cmp_gt_f64_e32 vcc_lo, 0, v[44:45]
	v_xor_b32_e32 v65, 0x80000000, v45
	v_cmp_gt_f64_e64 s2, 0, v[46:47]
	v_xor_b32_e32 v67, 0x80000000, v47
	v_add_nc_u32_e32 v53, 16, v53
	s_waitcnt lgkmcnt(0)
	v_cmp_gt_f64_e64 s3, 0, v[61:62]
	v_mov_b32_e32 v69, v61
	v_dual_mov_b32 v71, v63 :: v_dual_cndmask_b32 v66, v45, v65
	v_xor_b32_e32 v65, 0x80000000, v62
	v_cndmask_b32_e64 v68, v47, v67, s2
	v_xor_b32_e32 v67, 0x80000000, v64
	s_delay_alu instid0(VALU_DEP_3) | instskip(SKIP_2) | instid1(VALU_DEP_2)
	v_cndmask_b32_e64 v70, v62, v65, s3
	v_cmp_gt_f64_e64 s3, 0, v[63:64]
	v_cndmask_b32_e32 v65, v44, v44, vcc_lo
	v_cndmask_b32_e64 v72, v64, v67, s3
	v_cndmask_b32_e64 v67, v46, v46, s2
	s_delay_alu instid0(VALU_DEP_2) | instskip(NEXT) | instid1(VALU_DEP_2)
	v_add_f64 v[69:70], v[69:70], v[71:72]
	v_add_f64 v[65:66], v[65:66], v[67:68]
	s_delay_alu instid0(VALU_DEP_1) | instskip(SKIP_4) | instid1(SALU_CYCLE_1)
	v_cmp_lt_f64_e32 vcc_lo, v[65:66], v[69:70]
	v_dual_cndmask_b32 v46, v46, v63 :: v_dual_cndmask_b32 v45, v45, v62
	v_dual_cndmask_b32 v44, v44, v61 :: v_dual_cndmask_b32 v47, v47, v64
	v_cndmask_b32_e64 v52, v52, s6, vcc_lo
	s_add_i32 s6, s6, 1
	s_cmp_lg_u32 s5, s6
	s_cbranch_scc1 .LBB20_106
.LBB20_107:
	s_set_inst_prefetch_distance 0x2
	s_waitcnt lgkmcnt(0)
	v_cmp_eq_f64_e32 vcc_lo, 0, v[44:45]
	v_cmp_eq_f64_e64 s2, 0, v[46:47]
	s_delay_alu instid0(VALU_DEP_1) | instskip(NEXT) | instid1(SALU_CYCLE_1)
	s_and_b32 s2, vcc_lo, s2
	s_and_saveexec_b32 s3, s2
	s_delay_alu instid0(SALU_CYCLE_1)
	s_xor_b32 s2, exec_lo, s3
; %bb.108:
	v_cmp_ne_u32_e32 vcc_lo, 0, v58
	v_cndmask_b32_e32 v58, 6, v58, vcc_lo
; %bb.109:
	s_and_not1_saveexec_b32 s3, s2
	s_cbranch_execz .LBB20_115
; %bb.110:
	v_cmp_gt_f64_e32 vcc_lo, 0, v[44:45]
	v_cmp_gt_f64_e64 s2, 0, v[46:47]
	v_xor_b32_e32 v53, 0x80000000, v45
	v_xor_b32_e32 v61, 0x80000000, v47
	s_delay_alu instid0(VALU_DEP_2) | instskip(NEXT) | instid1(VALU_DEP_2)
	v_cndmask_b32_e32 v62, v45, v53, vcc_lo
	v_cndmask_b32_e64 v64, v47, v61, s2
	v_cndmask_b32_e32 v61, v44, v44, vcc_lo
	v_cndmask_b32_e64 v63, v46, v46, s2
	s_mov_b32 s2, exec_lo
	s_delay_alu instid0(VALU_DEP_1)
	v_cmpx_ngt_f64_e32 v[61:62], v[63:64]
	s_xor_b32 s2, exec_lo, s2
	s_cbranch_execz .LBB20_112
; %bb.111:
	v_div_scale_f64 v[61:62], null, v[46:47], v[46:47], v[44:45]
	v_div_scale_f64 v[67:68], vcc_lo, v[44:45], v[46:47], v[44:45]
	s_delay_alu instid0(VALU_DEP_2) | instskip(SKIP_2) | instid1(VALU_DEP_1)
	v_rcp_f64_e32 v[63:64], v[61:62]
	s_waitcnt_depctr 0xfff
	v_fma_f64 v[65:66], -v[61:62], v[63:64], 1.0
	v_fma_f64 v[63:64], v[63:64], v[65:66], v[63:64]
	s_delay_alu instid0(VALU_DEP_1) | instskip(NEXT) | instid1(VALU_DEP_1)
	v_fma_f64 v[65:66], -v[61:62], v[63:64], 1.0
	v_fma_f64 v[63:64], v[63:64], v[65:66], v[63:64]
	s_delay_alu instid0(VALU_DEP_1) | instskip(NEXT) | instid1(VALU_DEP_1)
	v_mul_f64 v[65:66], v[67:68], v[63:64]
	v_fma_f64 v[61:62], -v[61:62], v[65:66], v[67:68]
	s_delay_alu instid0(VALU_DEP_1) | instskip(NEXT) | instid1(VALU_DEP_1)
	v_div_fmas_f64 v[61:62], v[61:62], v[63:64], v[65:66]
	v_div_fixup_f64 v[61:62], v[61:62], v[46:47], v[44:45]
	s_delay_alu instid0(VALU_DEP_1) | instskip(NEXT) | instid1(VALU_DEP_1)
	v_fma_f64 v[44:45], v[44:45], v[61:62], v[46:47]
	v_div_scale_f64 v[46:47], null, v[44:45], v[44:45], 1.0
	s_delay_alu instid0(VALU_DEP_1) | instskip(SKIP_2) | instid1(VALU_DEP_1)
	v_rcp_f64_e32 v[63:64], v[46:47]
	s_waitcnt_depctr 0xfff
	v_fma_f64 v[65:66], -v[46:47], v[63:64], 1.0
	v_fma_f64 v[63:64], v[63:64], v[65:66], v[63:64]
	s_delay_alu instid0(VALU_DEP_1) | instskip(NEXT) | instid1(VALU_DEP_1)
	v_fma_f64 v[65:66], -v[46:47], v[63:64], 1.0
	v_fma_f64 v[63:64], v[63:64], v[65:66], v[63:64]
	v_div_scale_f64 v[65:66], vcc_lo, 1.0, v[44:45], 1.0
	s_delay_alu instid0(VALU_DEP_1) | instskip(NEXT) | instid1(VALU_DEP_1)
	v_mul_f64 v[67:68], v[65:66], v[63:64]
	v_fma_f64 v[46:47], -v[46:47], v[67:68], v[65:66]
	s_delay_alu instid0(VALU_DEP_1) | instskip(NEXT) | instid1(VALU_DEP_1)
	v_div_fmas_f64 v[46:47], v[46:47], v[63:64], v[67:68]
	v_div_fixup_f64 v[46:47], v[46:47], v[44:45], 1.0
	s_delay_alu instid0(VALU_DEP_1)
	v_mul_f64 v[44:45], v[61:62], v[46:47]
	v_xor_b32_e32 v47, 0x80000000, v47
.LBB20_112:
	s_and_not1_saveexec_b32 s2, s2
	s_cbranch_execz .LBB20_114
; %bb.113:
	s_delay_alu instid0(VALU_DEP_1) | instskip(SKIP_1) | instid1(VALU_DEP_2)
	v_div_scale_f64 v[61:62], null, v[44:45], v[44:45], v[46:47]
	v_div_scale_f64 v[67:68], vcc_lo, v[46:47], v[44:45], v[46:47]
	v_rcp_f64_e32 v[63:64], v[61:62]
	s_waitcnt_depctr 0xfff
	v_fma_f64 v[65:66], -v[61:62], v[63:64], 1.0
	s_delay_alu instid0(VALU_DEP_1) | instskip(NEXT) | instid1(VALU_DEP_1)
	v_fma_f64 v[63:64], v[63:64], v[65:66], v[63:64]
	v_fma_f64 v[65:66], -v[61:62], v[63:64], 1.0
	s_delay_alu instid0(VALU_DEP_1) | instskip(NEXT) | instid1(VALU_DEP_1)
	v_fma_f64 v[63:64], v[63:64], v[65:66], v[63:64]
	v_mul_f64 v[65:66], v[67:68], v[63:64]
	s_delay_alu instid0(VALU_DEP_1) | instskip(NEXT) | instid1(VALU_DEP_1)
	v_fma_f64 v[61:62], -v[61:62], v[65:66], v[67:68]
	v_div_fmas_f64 v[61:62], v[61:62], v[63:64], v[65:66]
	s_delay_alu instid0(VALU_DEP_1) | instskip(NEXT) | instid1(VALU_DEP_1)
	v_div_fixup_f64 v[61:62], v[61:62], v[44:45], v[46:47]
	v_fma_f64 v[44:45], v[46:47], v[61:62], v[44:45]
	s_delay_alu instid0(VALU_DEP_1) | instskip(NEXT) | instid1(VALU_DEP_1)
	v_div_scale_f64 v[46:47], null, v[44:45], v[44:45], 1.0
	v_rcp_f64_e32 v[63:64], v[46:47]
	s_waitcnt_depctr 0xfff
	v_fma_f64 v[65:66], -v[46:47], v[63:64], 1.0
	s_delay_alu instid0(VALU_DEP_1) | instskip(NEXT) | instid1(VALU_DEP_1)
	v_fma_f64 v[63:64], v[63:64], v[65:66], v[63:64]
	v_fma_f64 v[65:66], -v[46:47], v[63:64], 1.0
	s_delay_alu instid0(VALU_DEP_1) | instskip(SKIP_1) | instid1(VALU_DEP_1)
	v_fma_f64 v[63:64], v[63:64], v[65:66], v[63:64]
	v_div_scale_f64 v[65:66], vcc_lo, 1.0, v[44:45], 1.0
	v_mul_f64 v[67:68], v[65:66], v[63:64]
	s_delay_alu instid0(VALU_DEP_1) | instskip(NEXT) | instid1(VALU_DEP_1)
	v_fma_f64 v[46:47], -v[46:47], v[67:68], v[65:66]
	v_div_fmas_f64 v[46:47], v[46:47], v[63:64], v[67:68]
	s_delay_alu instid0(VALU_DEP_1) | instskip(NEXT) | instid1(VALU_DEP_1)
	v_div_fixup_f64 v[44:45], v[46:47], v[44:45], 1.0
	v_mul_f64 v[46:47], v[61:62], -v[44:45]
.LBB20_114:
	s_or_b32 exec_lo, exec_lo, s2
.LBB20_115:
	s_delay_alu instid0(SALU_CYCLE_1) | instskip(NEXT) | instid1(SALU_CYCLE_1)
	s_or_b32 exec_lo, exec_lo, s3
	s_mov_b32 s2, exec_lo
	v_cmpx_ne_u32_e64 v60, v52
	s_xor_b32 s2, exec_lo, s2
	s_cbranch_execz .LBB20_121
; %bb.116:
	s_mov_b32 s3, exec_lo
	v_cmpx_eq_u32_e32 5, v60
	s_cbranch_execz .LBB20_120
; %bb.117:
	v_cmp_ne_u32_e32 vcc_lo, 5, v52
	s_xor_b32 s6, s4, -1
	s_delay_alu instid0(SALU_CYCLE_1) | instskip(NEXT) | instid1(SALU_CYCLE_1)
	s_and_b32 s7, s6, vcc_lo
	s_and_saveexec_b32 s6, s7
	s_cbranch_execz .LBB20_119
; %bb.118:
	v_ashrrev_i32_e32 v53, 31, v52
	s_delay_alu instid0(VALU_DEP_1) | instskip(NEXT) | instid1(VALU_DEP_1)
	v_lshlrev_b64 v[60:61], 2, v[52:53]
	v_add_co_u32 v60, vcc_lo, v50, v60
	s_delay_alu instid0(VALU_DEP_2)
	v_add_co_ci_u32_e32 v61, vcc_lo, v51, v61, vcc_lo
	s_clause 0x1
	flat_load_b32 v53, v[60:61]
	flat_load_b32 v57, v[50:51] offset:20
	s_waitcnt vmcnt(1) lgkmcnt(1)
	flat_store_b32 v[50:51], v53 offset:20
	s_waitcnt vmcnt(0) lgkmcnt(1)
	flat_store_b32 v[60:61], v57
.LBB20_119:
	s_or_b32 exec_lo, exec_lo, s6
	v_mov_b32_e32 v60, v52
	v_mov_b32_e32 v57, v52
.LBB20_120:
	s_or_b32 exec_lo, exec_lo, s3
.LBB20_121:
	s_and_not1_saveexec_b32 s2, s2
	s_cbranch_execz .LBB20_123
; %bb.122:
	v_mov_b32_e32 v60, 5
	ds_store_2addr_b64 v54, v[16:17], v[18:19] offset0:12 offset1:13
	ds_store_2addr_b64 v54, v[12:13], v[14:15] offset0:14 offset1:15
	;; [unrolled: 1-line block ×5, first 2 shown]
.LBB20_123:
	s_or_b32 exec_lo, exec_lo, s2
	s_delay_alu instid0(SALU_CYCLE_1)
	s_mov_b32 s2, exec_lo
	s_waitcnt lgkmcnt(0)
	s_waitcnt_vscnt null, 0x0
	s_barrier
	buffer_gl0_inv
	v_cmpx_lt_i32_e32 5, v60
	s_cbranch_execz .LBB20_125
; %bb.124:
	v_mul_f64 v[52:53], v[44:45], v[22:23]
	v_mul_f64 v[22:23], v[46:47], v[22:23]
	ds_load_2addr_b64 v[61:64], v54 offset0:12 offset1:13
	ds_load_2addr_b64 v[65:68], v54 offset0:14 offset1:15
	;; [unrolled: 1-line block ×5, first 2 shown]
	v_fma_f64 v[46:47], v[46:47], v[20:21], v[52:53]
	v_fma_f64 v[20:21], v[44:45], v[20:21], -v[22:23]
	s_waitcnt lgkmcnt(4)
	s_delay_alu instid0(VALU_DEP_2)
	v_mul_f64 v[22:23], v[63:64], v[46:47]
	v_mul_f64 v[44:45], v[61:62], v[46:47]
	s_waitcnt lgkmcnt(3)
	v_mul_f64 v[52:53], v[67:68], v[46:47]
	v_mul_f64 v[81:82], v[65:66], v[46:47]
	s_waitcnt lgkmcnt(2)
	;; [unrolled: 3-line block ×4, first 2 shown]
	v_mul_f64 v[91:92], v[79:80], v[46:47]
	v_mul_f64 v[93:94], v[77:78], v[46:47]
	v_fma_f64 v[22:23], v[61:62], v[20:21], -v[22:23]
	v_fma_f64 v[44:45], v[63:64], v[20:21], v[44:45]
	v_fma_f64 v[52:53], v[65:66], v[20:21], -v[52:53]
	v_fma_f64 v[61:62], v[67:68], v[20:21], v[81:82]
	;; [unrolled: 2-line block ×5, first 2 shown]
	v_add_f64 v[16:17], v[16:17], -v[22:23]
	v_add_f64 v[18:19], v[18:19], -v[44:45]
	;; [unrolled: 1-line block ×10, first 2 shown]
	v_dual_mov_b32 v22, v46 :: v_dual_mov_b32 v23, v47
.LBB20_125:
	s_or_b32 exec_lo, exec_lo, s2
	v_lshl_add_u32 v44, v60, 4, v54
	s_barrier
	buffer_gl0_inv
	v_mov_b32_e32 v52, 6
	ds_store_2addr_b64 v44, v[16:17], v[18:19] offset1:1
	s_waitcnt lgkmcnt(0)
	s_barrier
	buffer_gl0_inv
	ds_load_2addr_b64 v[44:47], v54 offset0:12 offset1:13
	s_cmp_lt_i32 s5, 8
	s_cbranch_scc1 .LBB20_128
; %bb.126:
	v_add3_u32 v53, v59, 0, 0x70
	v_mov_b32_e32 v52, 6
	s_mov_b32 s6, 7
	s_set_inst_prefetch_distance 0x1
	.p2align	6
.LBB20_127:                             ; =>This Inner Loop Header: Depth=1
	ds_load_2addr_b64 v[61:64], v53 offset1:1
	s_waitcnt lgkmcnt(1)
	v_cmp_gt_f64_e32 vcc_lo, 0, v[44:45]
	v_xor_b32_e32 v65, 0x80000000, v45
	v_cmp_gt_f64_e64 s2, 0, v[46:47]
	v_xor_b32_e32 v67, 0x80000000, v47
	v_add_nc_u32_e32 v53, 16, v53
	s_waitcnt lgkmcnt(0)
	v_cmp_gt_f64_e64 s3, 0, v[61:62]
	v_mov_b32_e32 v69, v61
	v_dual_mov_b32 v71, v63 :: v_dual_cndmask_b32 v66, v45, v65
	v_xor_b32_e32 v65, 0x80000000, v62
	v_cndmask_b32_e64 v68, v47, v67, s2
	v_xor_b32_e32 v67, 0x80000000, v64
	s_delay_alu instid0(VALU_DEP_3) | instskip(SKIP_2) | instid1(VALU_DEP_2)
	v_cndmask_b32_e64 v70, v62, v65, s3
	v_cmp_gt_f64_e64 s3, 0, v[63:64]
	v_cndmask_b32_e32 v65, v44, v44, vcc_lo
	v_cndmask_b32_e64 v72, v64, v67, s3
	v_cndmask_b32_e64 v67, v46, v46, s2
	s_delay_alu instid0(VALU_DEP_2) | instskip(NEXT) | instid1(VALU_DEP_2)
	v_add_f64 v[69:70], v[69:70], v[71:72]
	v_add_f64 v[65:66], v[65:66], v[67:68]
	s_delay_alu instid0(VALU_DEP_1) | instskip(SKIP_4) | instid1(SALU_CYCLE_1)
	v_cmp_lt_f64_e32 vcc_lo, v[65:66], v[69:70]
	v_dual_cndmask_b32 v46, v46, v63 :: v_dual_cndmask_b32 v45, v45, v62
	v_dual_cndmask_b32 v44, v44, v61 :: v_dual_cndmask_b32 v47, v47, v64
	v_cndmask_b32_e64 v52, v52, s6, vcc_lo
	s_add_i32 s6, s6, 1
	s_cmp_lg_u32 s5, s6
	s_cbranch_scc1 .LBB20_127
.LBB20_128:
	s_set_inst_prefetch_distance 0x2
	s_waitcnt lgkmcnt(0)
	v_cmp_eq_f64_e32 vcc_lo, 0, v[44:45]
	v_cmp_eq_f64_e64 s2, 0, v[46:47]
	s_delay_alu instid0(VALU_DEP_1) | instskip(NEXT) | instid1(SALU_CYCLE_1)
	s_and_b32 s2, vcc_lo, s2
	s_and_saveexec_b32 s3, s2
	s_delay_alu instid0(SALU_CYCLE_1)
	s_xor_b32 s2, exec_lo, s3
; %bb.129:
	v_cmp_ne_u32_e32 vcc_lo, 0, v58
	v_cndmask_b32_e32 v58, 7, v58, vcc_lo
; %bb.130:
	s_and_not1_saveexec_b32 s3, s2
	s_cbranch_execz .LBB20_136
; %bb.131:
	v_cmp_gt_f64_e32 vcc_lo, 0, v[44:45]
	v_cmp_gt_f64_e64 s2, 0, v[46:47]
	v_xor_b32_e32 v53, 0x80000000, v45
	v_xor_b32_e32 v61, 0x80000000, v47
	s_delay_alu instid0(VALU_DEP_2) | instskip(NEXT) | instid1(VALU_DEP_2)
	v_cndmask_b32_e32 v62, v45, v53, vcc_lo
	v_cndmask_b32_e64 v64, v47, v61, s2
	v_cndmask_b32_e32 v61, v44, v44, vcc_lo
	v_cndmask_b32_e64 v63, v46, v46, s2
	s_mov_b32 s2, exec_lo
	s_delay_alu instid0(VALU_DEP_1)
	v_cmpx_ngt_f64_e32 v[61:62], v[63:64]
	s_xor_b32 s2, exec_lo, s2
	s_cbranch_execz .LBB20_133
; %bb.132:
	v_div_scale_f64 v[61:62], null, v[46:47], v[46:47], v[44:45]
	v_div_scale_f64 v[67:68], vcc_lo, v[44:45], v[46:47], v[44:45]
	s_delay_alu instid0(VALU_DEP_2) | instskip(SKIP_2) | instid1(VALU_DEP_1)
	v_rcp_f64_e32 v[63:64], v[61:62]
	s_waitcnt_depctr 0xfff
	v_fma_f64 v[65:66], -v[61:62], v[63:64], 1.0
	v_fma_f64 v[63:64], v[63:64], v[65:66], v[63:64]
	s_delay_alu instid0(VALU_DEP_1) | instskip(NEXT) | instid1(VALU_DEP_1)
	v_fma_f64 v[65:66], -v[61:62], v[63:64], 1.0
	v_fma_f64 v[63:64], v[63:64], v[65:66], v[63:64]
	s_delay_alu instid0(VALU_DEP_1) | instskip(NEXT) | instid1(VALU_DEP_1)
	v_mul_f64 v[65:66], v[67:68], v[63:64]
	v_fma_f64 v[61:62], -v[61:62], v[65:66], v[67:68]
	s_delay_alu instid0(VALU_DEP_1) | instskip(NEXT) | instid1(VALU_DEP_1)
	v_div_fmas_f64 v[61:62], v[61:62], v[63:64], v[65:66]
	v_div_fixup_f64 v[61:62], v[61:62], v[46:47], v[44:45]
	s_delay_alu instid0(VALU_DEP_1) | instskip(NEXT) | instid1(VALU_DEP_1)
	v_fma_f64 v[44:45], v[44:45], v[61:62], v[46:47]
	v_div_scale_f64 v[46:47], null, v[44:45], v[44:45], 1.0
	s_delay_alu instid0(VALU_DEP_1) | instskip(SKIP_2) | instid1(VALU_DEP_1)
	v_rcp_f64_e32 v[63:64], v[46:47]
	s_waitcnt_depctr 0xfff
	v_fma_f64 v[65:66], -v[46:47], v[63:64], 1.0
	v_fma_f64 v[63:64], v[63:64], v[65:66], v[63:64]
	s_delay_alu instid0(VALU_DEP_1) | instskip(NEXT) | instid1(VALU_DEP_1)
	v_fma_f64 v[65:66], -v[46:47], v[63:64], 1.0
	v_fma_f64 v[63:64], v[63:64], v[65:66], v[63:64]
	v_div_scale_f64 v[65:66], vcc_lo, 1.0, v[44:45], 1.0
	s_delay_alu instid0(VALU_DEP_1) | instskip(NEXT) | instid1(VALU_DEP_1)
	v_mul_f64 v[67:68], v[65:66], v[63:64]
	v_fma_f64 v[46:47], -v[46:47], v[67:68], v[65:66]
	s_delay_alu instid0(VALU_DEP_1) | instskip(NEXT) | instid1(VALU_DEP_1)
	v_div_fmas_f64 v[46:47], v[46:47], v[63:64], v[67:68]
	v_div_fixup_f64 v[46:47], v[46:47], v[44:45], 1.0
	s_delay_alu instid0(VALU_DEP_1)
	v_mul_f64 v[44:45], v[61:62], v[46:47]
	v_xor_b32_e32 v47, 0x80000000, v47
.LBB20_133:
	s_and_not1_saveexec_b32 s2, s2
	s_cbranch_execz .LBB20_135
; %bb.134:
	s_delay_alu instid0(VALU_DEP_1) | instskip(SKIP_1) | instid1(VALU_DEP_2)
	v_div_scale_f64 v[61:62], null, v[44:45], v[44:45], v[46:47]
	v_div_scale_f64 v[67:68], vcc_lo, v[46:47], v[44:45], v[46:47]
	v_rcp_f64_e32 v[63:64], v[61:62]
	s_waitcnt_depctr 0xfff
	v_fma_f64 v[65:66], -v[61:62], v[63:64], 1.0
	s_delay_alu instid0(VALU_DEP_1) | instskip(NEXT) | instid1(VALU_DEP_1)
	v_fma_f64 v[63:64], v[63:64], v[65:66], v[63:64]
	v_fma_f64 v[65:66], -v[61:62], v[63:64], 1.0
	s_delay_alu instid0(VALU_DEP_1) | instskip(NEXT) | instid1(VALU_DEP_1)
	v_fma_f64 v[63:64], v[63:64], v[65:66], v[63:64]
	v_mul_f64 v[65:66], v[67:68], v[63:64]
	s_delay_alu instid0(VALU_DEP_1) | instskip(NEXT) | instid1(VALU_DEP_1)
	v_fma_f64 v[61:62], -v[61:62], v[65:66], v[67:68]
	v_div_fmas_f64 v[61:62], v[61:62], v[63:64], v[65:66]
	s_delay_alu instid0(VALU_DEP_1) | instskip(NEXT) | instid1(VALU_DEP_1)
	v_div_fixup_f64 v[61:62], v[61:62], v[44:45], v[46:47]
	v_fma_f64 v[44:45], v[46:47], v[61:62], v[44:45]
	s_delay_alu instid0(VALU_DEP_1) | instskip(NEXT) | instid1(VALU_DEP_1)
	v_div_scale_f64 v[46:47], null, v[44:45], v[44:45], 1.0
	v_rcp_f64_e32 v[63:64], v[46:47]
	s_waitcnt_depctr 0xfff
	v_fma_f64 v[65:66], -v[46:47], v[63:64], 1.0
	s_delay_alu instid0(VALU_DEP_1) | instskip(NEXT) | instid1(VALU_DEP_1)
	v_fma_f64 v[63:64], v[63:64], v[65:66], v[63:64]
	v_fma_f64 v[65:66], -v[46:47], v[63:64], 1.0
	s_delay_alu instid0(VALU_DEP_1) | instskip(SKIP_1) | instid1(VALU_DEP_1)
	v_fma_f64 v[63:64], v[63:64], v[65:66], v[63:64]
	v_div_scale_f64 v[65:66], vcc_lo, 1.0, v[44:45], 1.0
	v_mul_f64 v[67:68], v[65:66], v[63:64]
	s_delay_alu instid0(VALU_DEP_1) | instskip(NEXT) | instid1(VALU_DEP_1)
	v_fma_f64 v[46:47], -v[46:47], v[67:68], v[65:66]
	v_div_fmas_f64 v[46:47], v[46:47], v[63:64], v[67:68]
	s_delay_alu instid0(VALU_DEP_1) | instskip(NEXT) | instid1(VALU_DEP_1)
	v_div_fixup_f64 v[44:45], v[46:47], v[44:45], 1.0
	v_mul_f64 v[46:47], v[61:62], -v[44:45]
.LBB20_135:
	s_or_b32 exec_lo, exec_lo, s2
.LBB20_136:
	s_delay_alu instid0(SALU_CYCLE_1) | instskip(NEXT) | instid1(SALU_CYCLE_1)
	s_or_b32 exec_lo, exec_lo, s3
	s_mov_b32 s2, exec_lo
	v_cmpx_ne_u32_e64 v60, v52
	s_xor_b32 s2, exec_lo, s2
	s_cbranch_execz .LBB20_142
; %bb.137:
	s_mov_b32 s3, exec_lo
	v_cmpx_eq_u32_e32 6, v60
	s_cbranch_execz .LBB20_141
; %bb.138:
	v_cmp_ne_u32_e32 vcc_lo, 6, v52
	s_xor_b32 s6, s4, -1
	s_delay_alu instid0(SALU_CYCLE_1) | instskip(NEXT) | instid1(SALU_CYCLE_1)
	s_and_b32 s7, s6, vcc_lo
	s_and_saveexec_b32 s6, s7
	s_cbranch_execz .LBB20_140
; %bb.139:
	v_ashrrev_i32_e32 v53, 31, v52
	s_delay_alu instid0(VALU_DEP_1) | instskip(NEXT) | instid1(VALU_DEP_1)
	v_lshlrev_b64 v[60:61], 2, v[52:53]
	v_add_co_u32 v60, vcc_lo, v50, v60
	s_delay_alu instid0(VALU_DEP_2)
	v_add_co_ci_u32_e32 v61, vcc_lo, v51, v61, vcc_lo
	s_clause 0x1
	flat_load_b32 v53, v[60:61]
	flat_load_b32 v57, v[50:51] offset:24
	s_waitcnt vmcnt(1) lgkmcnt(1)
	flat_store_b32 v[50:51], v53 offset:24
	s_waitcnt vmcnt(0) lgkmcnt(1)
	flat_store_b32 v[60:61], v57
.LBB20_140:
	s_or_b32 exec_lo, exec_lo, s6
	v_mov_b32_e32 v60, v52
	v_mov_b32_e32 v57, v52
.LBB20_141:
	s_or_b32 exec_lo, exec_lo, s3
.LBB20_142:
	s_and_not1_saveexec_b32 s2, s2
	s_cbranch_execz .LBB20_144
; %bb.143:
	v_mov_b32_e32 v60, 6
	ds_store_2addr_b64 v54, v[12:13], v[14:15] offset0:14 offset1:15
	ds_store_2addr_b64 v54, v[8:9], v[10:11] offset0:16 offset1:17
	;; [unrolled: 1-line block ×4, first 2 shown]
.LBB20_144:
	s_or_b32 exec_lo, exec_lo, s2
	s_delay_alu instid0(SALU_CYCLE_1)
	s_mov_b32 s2, exec_lo
	s_waitcnt lgkmcnt(0)
	s_waitcnt_vscnt null, 0x0
	s_barrier
	buffer_gl0_inv
	v_cmpx_lt_i32_e32 6, v60
	s_cbranch_execz .LBB20_146
; %bb.145:
	v_mul_f64 v[52:53], v[44:45], v[18:19]
	v_mul_f64 v[18:19], v[46:47], v[18:19]
	ds_load_2addr_b64 v[61:64], v54 offset0:14 offset1:15
	ds_load_2addr_b64 v[65:68], v54 offset0:16 offset1:17
	;; [unrolled: 1-line block ×4, first 2 shown]
	v_fma_f64 v[46:47], v[46:47], v[16:17], v[52:53]
	v_fma_f64 v[16:17], v[44:45], v[16:17], -v[18:19]
	s_waitcnt lgkmcnt(3)
	s_delay_alu instid0(VALU_DEP_2)
	v_mul_f64 v[18:19], v[63:64], v[46:47]
	v_mul_f64 v[44:45], v[61:62], v[46:47]
	s_waitcnt lgkmcnt(2)
	v_mul_f64 v[52:53], v[67:68], v[46:47]
	v_mul_f64 v[77:78], v[65:66], v[46:47]
	s_waitcnt lgkmcnt(1)
	;; [unrolled: 3-line block ×3, first 2 shown]
	v_mul_f64 v[83:84], v[75:76], v[46:47]
	v_mul_f64 v[85:86], v[73:74], v[46:47]
	v_fma_f64 v[18:19], v[61:62], v[16:17], -v[18:19]
	v_fma_f64 v[44:45], v[63:64], v[16:17], v[44:45]
	v_fma_f64 v[52:53], v[65:66], v[16:17], -v[52:53]
	v_fma_f64 v[61:62], v[67:68], v[16:17], v[77:78]
	;; [unrolled: 2-line block ×4, first 2 shown]
	v_add_f64 v[12:13], v[12:13], -v[18:19]
	v_add_f64 v[14:15], v[14:15], -v[44:45]
	;; [unrolled: 1-line block ×8, first 2 shown]
	v_dual_mov_b32 v18, v46 :: v_dual_mov_b32 v19, v47
.LBB20_146:
	s_or_b32 exec_lo, exec_lo, s2
	v_lshl_add_u32 v44, v60, 4, v54
	s_barrier
	buffer_gl0_inv
	v_mov_b32_e32 v52, 7
	ds_store_2addr_b64 v44, v[12:13], v[14:15] offset1:1
	s_waitcnt lgkmcnt(0)
	s_barrier
	buffer_gl0_inv
	ds_load_2addr_b64 v[44:47], v54 offset0:14 offset1:15
	s_cmp_lt_i32 s5, 9
	s_cbranch_scc1 .LBB20_149
; %bb.147:
	v_add3_u32 v53, v59, 0, 0x80
	v_mov_b32_e32 v52, 7
	s_mov_b32 s6, 8
	s_set_inst_prefetch_distance 0x1
	.p2align	6
.LBB20_148:                             ; =>This Inner Loop Header: Depth=1
	ds_load_2addr_b64 v[61:64], v53 offset1:1
	s_waitcnt lgkmcnt(1)
	v_cmp_gt_f64_e32 vcc_lo, 0, v[44:45]
	v_xor_b32_e32 v65, 0x80000000, v45
	v_cmp_gt_f64_e64 s2, 0, v[46:47]
	v_xor_b32_e32 v67, 0x80000000, v47
	v_add_nc_u32_e32 v53, 16, v53
	s_waitcnt lgkmcnt(0)
	v_cmp_gt_f64_e64 s3, 0, v[61:62]
	v_mov_b32_e32 v69, v61
	v_dual_mov_b32 v71, v63 :: v_dual_cndmask_b32 v66, v45, v65
	v_xor_b32_e32 v65, 0x80000000, v62
	v_cndmask_b32_e64 v68, v47, v67, s2
	v_xor_b32_e32 v67, 0x80000000, v64
	s_delay_alu instid0(VALU_DEP_3) | instskip(SKIP_2) | instid1(VALU_DEP_2)
	v_cndmask_b32_e64 v70, v62, v65, s3
	v_cmp_gt_f64_e64 s3, 0, v[63:64]
	v_cndmask_b32_e32 v65, v44, v44, vcc_lo
	v_cndmask_b32_e64 v72, v64, v67, s3
	v_cndmask_b32_e64 v67, v46, v46, s2
	s_delay_alu instid0(VALU_DEP_2) | instskip(NEXT) | instid1(VALU_DEP_2)
	v_add_f64 v[69:70], v[69:70], v[71:72]
	v_add_f64 v[65:66], v[65:66], v[67:68]
	s_delay_alu instid0(VALU_DEP_1) | instskip(SKIP_4) | instid1(SALU_CYCLE_1)
	v_cmp_lt_f64_e32 vcc_lo, v[65:66], v[69:70]
	v_dual_cndmask_b32 v46, v46, v63 :: v_dual_cndmask_b32 v45, v45, v62
	v_dual_cndmask_b32 v44, v44, v61 :: v_dual_cndmask_b32 v47, v47, v64
	v_cndmask_b32_e64 v52, v52, s6, vcc_lo
	s_add_i32 s6, s6, 1
	s_cmp_lg_u32 s5, s6
	s_cbranch_scc1 .LBB20_148
.LBB20_149:
	s_set_inst_prefetch_distance 0x2
	s_waitcnt lgkmcnt(0)
	v_cmp_eq_f64_e32 vcc_lo, 0, v[44:45]
	v_cmp_eq_f64_e64 s2, 0, v[46:47]
	s_delay_alu instid0(VALU_DEP_1) | instskip(NEXT) | instid1(SALU_CYCLE_1)
	s_and_b32 s2, vcc_lo, s2
	s_and_saveexec_b32 s3, s2
	s_delay_alu instid0(SALU_CYCLE_1)
	s_xor_b32 s2, exec_lo, s3
; %bb.150:
	v_cmp_ne_u32_e32 vcc_lo, 0, v58
	v_cndmask_b32_e32 v58, 8, v58, vcc_lo
; %bb.151:
	s_and_not1_saveexec_b32 s3, s2
	s_cbranch_execz .LBB20_157
; %bb.152:
	v_cmp_gt_f64_e32 vcc_lo, 0, v[44:45]
	v_cmp_gt_f64_e64 s2, 0, v[46:47]
	v_xor_b32_e32 v53, 0x80000000, v45
	v_xor_b32_e32 v61, 0x80000000, v47
	s_delay_alu instid0(VALU_DEP_2) | instskip(NEXT) | instid1(VALU_DEP_2)
	v_cndmask_b32_e32 v62, v45, v53, vcc_lo
	v_cndmask_b32_e64 v64, v47, v61, s2
	v_cndmask_b32_e32 v61, v44, v44, vcc_lo
	v_cndmask_b32_e64 v63, v46, v46, s2
	s_mov_b32 s2, exec_lo
	s_delay_alu instid0(VALU_DEP_1)
	v_cmpx_ngt_f64_e32 v[61:62], v[63:64]
	s_xor_b32 s2, exec_lo, s2
	s_cbranch_execz .LBB20_154
; %bb.153:
	v_div_scale_f64 v[61:62], null, v[46:47], v[46:47], v[44:45]
	v_div_scale_f64 v[67:68], vcc_lo, v[44:45], v[46:47], v[44:45]
	s_delay_alu instid0(VALU_DEP_2) | instskip(SKIP_2) | instid1(VALU_DEP_1)
	v_rcp_f64_e32 v[63:64], v[61:62]
	s_waitcnt_depctr 0xfff
	v_fma_f64 v[65:66], -v[61:62], v[63:64], 1.0
	v_fma_f64 v[63:64], v[63:64], v[65:66], v[63:64]
	s_delay_alu instid0(VALU_DEP_1) | instskip(NEXT) | instid1(VALU_DEP_1)
	v_fma_f64 v[65:66], -v[61:62], v[63:64], 1.0
	v_fma_f64 v[63:64], v[63:64], v[65:66], v[63:64]
	s_delay_alu instid0(VALU_DEP_1) | instskip(NEXT) | instid1(VALU_DEP_1)
	v_mul_f64 v[65:66], v[67:68], v[63:64]
	v_fma_f64 v[61:62], -v[61:62], v[65:66], v[67:68]
	s_delay_alu instid0(VALU_DEP_1) | instskip(NEXT) | instid1(VALU_DEP_1)
	v_div_fmas_f64 v[61:62], v[61:62], v[63:64], v[65:66]
	v_div_fixup_f64 v[61:62], v[61:62], v[46:47], v[44:45]
	s_delay_alu instid0(VALU_DEP_1) | instskip(NEXT) | instid1(VALU_DEP_1)
	v_fma_f64 v[44:45], v[44:45], v[61:62], v[46:47]
	v_div_scale_f64 v[46:47], null, v[44:45], v[44:45], 1.0
	s_delay_alu instid0(VALU_DEP_1) | instskip(SKIP_2) | instid1(VALU_DEP_1)
	v_rcp_f64_e32 v[63:64], v[46:47]
	s_waitcnt_depctr 0xfff
	v_fma_f64 v[65:66], -v[46:47], v[63:64], 1.0
	v_fma_f64 v[63:64], v[63:64], v[65:66], v[63:64]
	s_delay_alu instid0(VALU_DEP_1) | instskip(NEXT) | instid1(VALU_DEP_1)
	v_fma_f64 v[65:66], -v[46:47], v[63:64], 1.0
	v_fma_f64 v[63:64], v[63:64], v[65:66], v[63:64]
	v_div_scale_f64 v[65:66], vcc_lo, 1.0, v[44:45], 1.0
	s_delay_alu instid0(VALU_DEP_1) | instskip(NEXT) | instid1(VALU_DEP_1)
	v_mul_f64 v[67:68], v[65:66], v[63:64]
	v_fma_f64 v[46:47], -v[46:47], v[67:68], v[65:66]
	s_delay_alu instid0(VALU_DEP_1) | instskip(NEXT) | instid1(VALU_DEP_1)
	v_div_fmas_f64 v[46:47], v[46:47], v[63:64], v[67:68]
	v_div_fixup_f64 v[46:47], v[46:47], v[44:45], 1.0
	s_delay_alu instid0(VALU_DEP_1)
	v_mul_f64 v[44:45], v[61:62], v[46:47]
	v_xor_b32_e32 v47, 0x80000000, v47
.LBB20_154:
	s_and_not1_saveexec_b32 s2, s2
	s_cbranch_execz .LBB20_156
; %bb.155:
	s_delay_alu instid0(VALU_DEP_1) | instskip(SKIP_1) | instid1(VALU_DEP_2)
	v_div_scale_f64 v[61:62], null, v[44:45], v[44:45], v[46:47]
	v_div_scale_f64 v[67:68], vcc_lo, v[46:47], v[44:45], v[46:47]
	v_rcp_f64_e32 v[63:64], v[61:62]
	s_waitcnt_depctr 0xfff
	v_fma_f64 v[65:66], -v[61:62], v[63:64], 1.0
	s_delay_alu instid0(VALU_DEP_1) | instskip(NEXT) | instid1(VALU_DEP_1)
	v_fma_f64 v[63:64], v[63:64], v[65:66], v[63:64]
	v_fma_f64 v[65:66], -v[61:62], v[63:64], 1.0
	s_delay_alu instid0(VALU_DEP_1) | instskip(NEXT) | instid1(VALU_DEP_1)
	v_fma_f64 v[63:64], v[63:64], v[65:66], v[63:64]
	v_mul_f64 v[65:66], v[67:68], v[63:64]
	s_delay_alu instid0(VALU_DEP_1) | instskip(NEXT) | instid1(VALU_DEP_1)
	v_fma_f64 v[61:62], -v[61:62], v[65:66], v[67:68]
	v_div_fmas_f64 v[61:62], v[61:62], v[63:64], v[65:66]
	s_delay_alu instid0(VALU_DEP_1) | instskip(NEXT) | instid1(VALU_DEP_1)
	v_div_fixup_f64 v[61:62], v[61:62], v[44:45], v[46:47]
	v_fma_f64 v[44:45], v[46:47], v[61:62], v[44:45]
	s_delay_alu instid0(VALU_DEP_1) | instskip(NEXT) | instid1(VALU_DEP_1)
	v_div_scale_f64 v[46:47], null, v[44:45], v[44:45], 1.0
	v_rcp_f64_e32 v[63:64], v[46:47]
	s_waitcnt_depctr 0xfff
	v_fma_f64 v[65:66], -v[46:47], v[63:64], 1.0
	s_delay_alu instid0(VALU_DEP_1) | instskip(NEXT) | instid1(VALU_DEP_1)
	v_fma_f64 v[63:64], v[63:64], v[65:66], v[63:64]
	v_fma_f64 v[65:66], -v[46:47], v[63:64], 1.0
	s_delay_alu instid0(VALU_DEP_1) | instskip(SKIP_1) | instid1(VALU_DEP_1)
	v_fma_f64 v[63:64], v[63:64], v[65:66], v[63:64]
	v_div_scale_f64 v[65:66], vcc_lo, 1.0, v[44:45], 1.0
	v_mul_f64 v[67:68], v[65:66], v[63:64]
	s_delay_alu instid0(VALU_DEP_1) | instskip(NEXT) | instid1(VALU_DEP_1)
	v_fma_f64 v[46:47], -v[46:47], v[67:68], v[65:66]
	v_div_fmas_f64 v[46:47], v[46:47], v[63:64], v[67:68]
	s_delay_alu instid0(VALU_DEP_1) | instskip(NEXT) | instid1(VALU_DEP_1)
	v_div_fixup_f64 v[44:45], v[46:47], v[44:45], 1.0
	v_mul_f64 v[46:47], v[61:62], -v[44:45]
.LBB20_156:
	s_or_b32 exec_lo, exec_lo, s2
.LBB20_157:
	s_delay_alu instid0(SALU_CYCLE_1) | instskip(NEXT) | instid1(SALU_CYCLE_1)
	s_or_b32 exec_lo, exec_lo, s3
	s_mov_b32 s2, exec_lo
	v_cmpx_ne_u32_e64 v60, v52
	s_xor_b32 s2, exec_lo, s2
	s_cbranch_execz .LBB20_163
; %bb.158:
	s_mov_b32 s3, exec_lo
	v_cmpx_eq_u32_e32 7, v60
	s_cbranch_execz .LBB20_162
; %bb.159:
	v_cmp_ne_u32_e32 vcc_lo, 7, v52
	s_xor_b32 s6, s4, -1
	s_delay_alu instid0(SALU_CYCLE_1) | instskip(NEXT) | instid1(SALU_CYCLE_1)
	s_and_b32 s7, s6, vcc_lo
	s_and_saveexec_b32 s6, s7
	s_cbranch_execz .LBB20_161
; %bb.160:
	v_ashrrev_i32_e32 v53, 31, v52
	s_delay_alu instid0(VALU_DEP_1) | instskip(NEXT) | instid1(VALU_DEP_1)
	v_lshlrev_b64 v[60:61], 2, v[52:53]
	v_add_co_u32 v60, vcc_lo, v50, v60
	s_delay_alu instid0(VALU_DEP_2)
	v_add_co_ci_u32_e32 v61, vcc_lo, v51, v61, vcc_lo
	s_clause 0x1
	flat_load_b32 v53, v[60:61]
	flat_load_b32 v57, v[50:51] offset:28
	s_waitcnt vmcnt(1) lgkmcnt(1)
	flat_store_b32 v[50:51], v53 offset:28
	s_waitcnt vmcnt(0) lgkmcnt(1)
	flat_store_b32 v[60:61], v57
.LBB20_161:
	s_or_b32 exec_lo, exec_lo, s6
	v_mov_b32_e32 v60, v52
	v_mov_b32_e32 v57, v52
.LBB20_162:
	s_or_b32 exec_lo, exec_lo, s3
.LBB20_163:
	s_and_not1_saveexec_b32 s2, s2
	s_cbranch_execz .LBB20_165
; %bb.164:
	v_mov_b32_e32 v60, 7
	ds_store_2addr_b64 v54, v[8:9], v[10:11] offset0:16 offset1:17
	ds_store_2addr_b64 v54, v[4:5], v[6:7] offset0:18 offset1:19
	;; [unrolled: 1-line block ×3, first 2 shown]
.LBB20_165:
	s_or_b32 exec_lo, exec_lo, s2
	s_delay_alu instid0(SALU_CYCLE_1)
	s_mov_b32 s2, exec_lo
	s_waitcnt lgkmcnt(0)
	s_waitcnt_vscnt null, 0x0
	s_barrier
	buffer_gl0_inv
	v_cmpx_lt_i32_e32 7, v60
	s_cbranch_execz .LBB20_167
; %bb.166:
	v_mul_f64 v[52:53], v[44:45], v[14:15]
	v_mul_f64 v[14:15], v[46:47], v[14:15]
	ds_load_2addr_b64 v[61:64], v54 offset0:16 offset1:17
	ds_load_2addr_b64 v[65:68], v54 offset0:18 offset1:19
	;; [unrolled: 1-line block ×3, first 2 shown]
	v_fma_f64 v[46:47], v[46:47], v[12:13], v[52:53]
	v_fma_f64 v[12:13], v[44:45], v[12:13], -v[14:15]
	s_waitcnt lgkmcnt(2)
	s_delay_alu instid0(VALU_DEP_2)
	v_mul_f64 v[14:15], v[63:64], v[46:47]
	v_mul_f64 v[44:45], v[61:62], v[46:47]
	s_waitcnt lgkmcnt(1)
	v_mul_f64 v[52:53], v[67:68], v[46:47]
	v_mul_f64 v[73:74], v[65:66], v[46:47]
	s_waitcnt lgkmcnt(0)
	v_mul_f64 v[75:76], v[71:72], v[46:47]
	v_mul_f64 v[77:78], v[69:70], v[46:47]
	v_fma_f64 v[14:15], v[61:62], v[12:13], -v[14:15]
	v_fma_f64 v[44:45], v[63:64], v[12:13], v[44:45]
	v_fma_f64 v[52:53], v[65:66], v[12:13], -v[52:53]
	v_fma_f64 v[61:62], v[67:68], v[12:13], v[73:74]
	;; [unrolled: 2-line block ×3, first 2 shown]
	v_add_f64 v[8:9], v[8:9], -v[14:15]
	v_add_f64 v[10:11], v[10:11], -v[44:45]
	;; [unrolled: 1-line block ×6, first 2 shown]
	v_dual_mov_b32 v14, v46 :: v_dual_mov_b32 v15, v47
.LBB20_167:
	s_or_b32 exec_lo, exec_lo, s2
	v_lshl_add_u32 v44, v60, 4, v54
	s_barrier
	buffer_gl0_inv
	v_mov_b32_e32 v52, 8
	ds_store_2addr_b64 v44, v[8:9], v[10:11] offset1:1
	s_waitcnt lgkmcnt(0)
	s_barrier
	buffer_gl0_inv
	ds_load_2addr_b64 v[44:47], v54 offset0:16 offset1:17
	s_cmp_lt_i32 s5, 10
	s_cbranch_scc1 .LBB20_170
; %bb.168:
	v_add3_u32 v53, v59, 0, 0x90
	v_mov_b32_e32 v52, 8
	s_mov_b32 s6, 9
	s_set_inst_prefetch_distance 0x1
	.p2align	6
.LBB20_169:                             ; =>This Inner Loop Header: Depth=1
	ds_load_2addr_b64 v[61:64], v53 offset1:1
	s_waitcnt lgkmcnt(1)
	v_cmp_gt_f64_e32 vcc_lo, 0, v[44:45]
	v_xor_b32_e32 v65, 0x80000000, v45
	v_cmp_gt_f64_e64 s2, 0, v[46:47]
	v_xor_b32_e32 v67, 0x80000000, v47
	v_add_nc_u32_e32 v53, 16, v53
	s_waitcnt lgkmcnt(0)
	v_cmp_gt_f64_e64 s3, 0, v[61:62]
	v_mov_b32_e32 v69, v61
	v_dual_mov_b32 v71, v63 :: v_dual_cndmask_b32 v66, v45, v65
	v_xor_b32_e32 v65, 0x80000000, v62
	v_cndmask_b32_e64 v68, v47, v67, s2
	v_xor_b32_e32 v67, 0x80000000, v64
	s_delay_alu instid0(VALU_DEP_3) | instskip(SKIP_2) | instid1(VALU_DEP_2)
	v_cndmask_b32_e64 v70, v62, v65, s3
	v_cmp_gt_f64_e64 s3, 0, v[63:64]
	v_cndmask_b32_e32 v65, v44, v44, vcc_lo
	v_cndmask_b32_e64 v72, v64, v67, s3
	v_cndmask_b32_e64 v67, v46, v46, s2
	s_delay_alu instid0(VALU_DEP_2) | instskip(NEXT) | instid1(VALU_DEP_2)
	v_add_f64 v[69:70], v[69:70], v[71:72]
	v_add_f64 v[65:66], v[65:66], v[67:68]
	s_delay_alu instid0(VALU_DEP_1) | instskip(SKIP_4) | instid1(SALU_CYCLE_1)
	v_cmp_lt_f64_e32 vcc_lo, v[65:66], v[69:70]
	v_dual_cndmask_b32 v46, v46, v63 :: v_dual_cndmask_b32 v45, v45, v62
	v_dual_cndmask_b32 v44, v44, v61 :: v_dual_cndmask_b32 v47, v47, v64
	v_cndmask_b32_e64 v52, v52, s6, vcc_lo
	s_add_i32 s6, s6, 1
	s_cmp_lg_u32 s5, s6
	s_cbranch_scc1 .LBB20_169
.LBB20_170:
	s_set_inst_prefetch_distance 0x2
	s_waitcnt lgkmcnt(0)
	v_cmp_eq_f64_e32 vcc_lo, 0, v[44:45]
	v_cmp_eq_f64_e64 s2, 0, v[46:47]
	s_delay_alu instid0(VALU_DEP_1) | instskip(NEXT) | instid1(SALU_CYCLE_1)
	s_and_b32 s2, vcc_lo, s2
	s_and_saveexec_b32 s3, s2
	s_delay_alu instid0(SALU_CYCLE_1)
	s_xor_b32 s2, exec_lo, s3
; %bb.171:
	v_cmp_ne_u32_e32 vcc_lo, 0, v58
	v_cndmask_b32_e32 v58, 9, v58, vcc_lo
; %bb.172:
	s_and_not1_saveexec_b32 s3, s2
	s_cbranch_execz .LBB20_178
; %bb.173:
	v_cmp_gt_f64_e32 vcc_lo, 0, v[44:45]
	v_cmp_gt_f64_e64 s2, 0, v[46:47]
	v_xor_b32_e32 v53, 0x80000000, v45
	v_xor_b32_e32 v61, 0x80000000, v47
	s_delay_alu instid0(VALU_DEP_2) | instskip(NEXT) | instid1(VALU_DEP_2)
	v_cndmask_b32_e32 v62, v45, v53, vcc_lo
	v_cndmask_b32_e64 v64, v47, v61, s2
	v_cndmask_b32_e32 v61, v44, v44, vcc_lo
	v_cndmask_b32_e64 v63, v46, v46, s2
	s_mov_b32 s2, exec_lo
	s_delay_alu instid0(VALU_DEP_1)
	v_cmpx_ngt_f64_e32 v[61:62], v[63:64]
	s_xor_b32 s2, exec_lo, s2
	s_cbranch_execz .LBB20_175
; %bb.174:
	v_div_scale_f64 v[61:62], null, v[46:47], v[46:47], v[44:45]
	v_div_scale_f64 v[67:68], vcc_lo, v[44:45], v[46:47], v[44:45]
	s_delay_alu instid0(VALU_DEP_2) | instskip(SKIP_2) | instid1(VALU_DEP_1)
	v_rcp_f64_e32 v[63:64], v[61:62]
	s_waitcnt_depctr 0xfff
	v_fma_f64 v[65:66], -v[61:62], v[63:64], 1.0
	v_fma_f64 v[63:64], v[63:64], v[65:66], v[63:64]
	s_delay_alu instid0(VALU_DEP_1) | instskip(NEXT) | instid1(VALU_DEP_1)
	v_fma_f64 v[65:66], -v[61:62], v[63:64], 1.0
	v_fma_f64 v[63:64], v[63:64], v[65:66], v[63:64]
	s_delay_alu instid0(VALU_DEP_1) | instskip(NEXT) | instid1(VALU_DEP_1)
	v_mul_f64 v[65:66], v[67:68], v[63:64]
	v_fma_f64 v[61:62], -v[61:62], v[65:66], v[67:68]
	s_delay_alu instid0(VALU_DEP_1) | instskip(NEXT) | instid1(VALU_DEP_1)
	v_div_fmas_f64 v[61:62], v[61:62], v[63:64], v[65:66]
	v_div_fixup_f64 v[61:62], v[61:62], v[46:47], v[44:45]
	s_delay_alu instid0(VALU_DEP_1) | instskip(NEXT) | instid1(VALU_DEP_1)
	v_fma_f64 v[44:45], v[44:45], v[61:62], v[46:47]
	v_div_scale_f64 v[46:47], null, v[44:45], v[44:45], 1.0
	s_delay_alu instid0(VALU_DEP_1) | instskip(SKIP_2) | instid1(VALU_DEP_1)
	v_rcp_f64_e32 v[63:64], v[46:47]
	s_waitcnt_depctr 0xfff
	v_fma_f64 v[65:66], -v[46:47], v[63:64], 1.0
	v_fma_f64 v[63:64], v[63:64], v[65:66], v[63:64]
	s_delay_alu instid0(VALU_DEP_1) | instskip(NEXT) | instid1(VALU_DEP_1)
	v_fma_f64 v[65:66], -v[46:47], v[63:64], 1.0
	v_fma_f64 v[63:64], v[63:64], v[65:66], v[63:64]
	v_div_scale_f64 v[65:66], vcc_lo, 1.0, v[44:45], 1.0
	s_delay_alu instid0(VALU_DEP_1) | instskip(NEXT) | instid1(VALU_DEP_1)
	v_mul_f64 v[67:68], v[65:66], v[63:64]
	v_fma_f64 v[46:47], -v[46:47], v[67:68], v[65:66]
	s_delay_alu instid0(VALU_DEP_1) | instskip(NEXT) | instid1(VALU_DEP_1)
	v_div_fmas_f64 v[46:47], v[46:47], v[63:64], v[67:68]
	v_div_fixup_f64 v[46:47], v[46:47], v[44:45], 1.0
	s_delay_alu instid0(VALU_DEP_1)
	v_mul_f64 v[44:45], v[61:62], v[46:47]
	v_xor_b32_e32 v47, 0x80000000, v47
.LBB20_175:
	s_and_not1_saveexec_b32 s2, s2
	s_cbranch_execz .LBB20_177
; %bb.176:
	s_delay_alu instid0(VALU_DEP_1) | instskip(SKIP_1) | instid1(VALU_DEP_2)
	v_div_scale_f64 v[61:62], null, v[44:45], v[44:45], v[46:47]
	v_div_scale_f64 v[67:68], vcc_lo, v[46:47], v[44:45], v[46:47]
	v_rcp_f64_e32 v[63:64], v[61:62]
	s_waitcnt_depctr 0xfff
	v_fma_f64 v[65:66], -v[61:62], v[63:64], 1.0
	s_delay_alu instid0(VALU_DEP_1) | instskip(NEXT) | instid1(VALU_DEP_1)
	v_fma_f64 v[63:64], v[63:64], v[65:66], v[63:64]
	v_fma_f64 v[65:66], -v[61:62], v[63:64], 1.0
	s_delay_alu instid0(VALU_DEP_1) | instskip(NEXT) | instid1(VALU_DEP_1)
	v_fma_f64 v[63:64], v[63:64], v[65:66], v[63:64]
	v_mul_f64 v[65:66], v[67:68], v[63:64]
	s_delay_alu instid0(VALU_DEP_1) | instskip(NEXT) | instid1(VALU_DEP_1)
	v_fma_f64 v[61:62], -v[61:62], v[65:66], v[67:68]
	v_div_fmas_f64 v[61:62], v[61:62], v[63:64], v[65:66]
	s_delay_alu instid0(VALU_DEP_1) | instskip(NEXT) | instid1(VALU_DEP_1)
	v_div_fixup_f64 v[61:62], v[61:62], v[44:45], v[46:47]
	v_fma_f64 v[44:45], v[46:47], v[61:62], v[44:45]
	s_delay_alu instid0(VALU_DEP_1) | instskip(NEXT) | instid1(VALU_DEP_1)
	v_div_scale_f64 v[46:47], null, v[44:45], v[44:45], 1.0
	v_rcp_f64_e32 v[63:64], v[46:47]
	s_waitcnt_depctr 0xfff
	v_fma_f64 v[65:66], -v[46:47], v[63:64], 1.0
	s_delay_alu instid0(VALU_DEP_1) | instskip(NEXT) | instid1(VALU_DEP_1)
	v_fma_f64 v[63:64], v[63:64], v[65:66], v[63:64]
	v_fma_f64 v[65:66], -v[46:47], v[63:64], 1.0
	s_delay_alu instid0(VALU_DEP_1) | instskip(SKIP_1) | instid1(VALU_DEP_1)
	v_fma_f64 v[63:64], v[63:64], v[65:66], v[63:64]
	v_div_scale_f64 v[65:66], vcc_lo, 1.0, v[44:45], 1.0
	v_mul_f64 v[67:68], v[65:66], v[63:64]
	s_delay_alu instid0(VALU_DEP_1) | instskip(NEXT) | instid1(VALU_DEP_1)
	v_fma_f64 v[46:47], -v[46:47], v[67:68], v[65:66]
	v_div_fmas_f64 v[46:47], v[46:47], v[63:64], v[67:68]
	s_delay_alu instid0(VALU_DEP_1) | instskip(NEXT) | instid1(VALU_DEP_1)
	v_div_fixup_f64 v[44:45], v[46:47], v[44:45], 1.0
	v_mul_f64 v[46:47], v[61:62], -v[44:45]
.LBB20_177:
	s_or_b32 exec_lo, exec_lo, s2
.LBB20_178:
	s_delay_alu instid0(SALU_CYCLE_1) | instskip(NEXT) | instid1(SALU_CYCLE_1)
	s_or_b32 exec_lo, exec_lo, s3
	s_mov_b32 s2, exec_lo
	v_cmpx_ne_u32_e64 v60, v52
	s_xor_b32 s2, exec_lo, s2
	s_cbranch_execz .LBB20_184
; %bb.179:
	s_mov_b32 s3, exec_lo
	v_cmpx_eq_u32_e32 8, v60
	s_cbranch_execz .LBB20_183
; %bb.180:
	v_cmp_ne_u32_e32 vcc_lo, 8, v52
	s_xor_b32 s6, s4, -1
	s_delay_alu instid0(SALU_CYCLE_1) | instskip(NEXT) | instid1(SALU_CYCLE_1)
	s_and_b32 s7, s6, vcc_lo
	s_and_saveexec_b32 s6, s7
	s_cbranch_execz .LBB20_182
; %bb.181:
	v_ashrrev_i32_e32 v53, 31, v52
	s_delay_alu instid0(VALU_DEP_1) | instskip(NEXT) | instid1(VALU_DEP_1)
	v_lshlrev_b64 v[60:61], 2, v[52:53]
	v_add_co_u32 v60, vcc_lo, v50, v60
	s_delay_alu instid0(VALU_DEP_2)
	v_add_co_ci_u32_e32 v61, vcc_lo, v51, v61, vcc_lo
	s_clause 0x1
	flat_load_b32 v53, v[60:61]
	flat_load_b32 v57, v[50:51] offset:32
	s_waitcnt vmcnt(1) lgkmcnt(1)
	flat_store_b32 v[50:51], v53 offset:32
	s_waitcnt vmcnt(0) lgkmcnt(1)
	flat_store_b32 v[60:61], v57
.LBB20_182:
	s_or_b32 exec_lo, exec_lo, s6
	v_mov_b32_e32 v60, v52
	v_mov_b32_e32 v57, v52
.LBB20_183:
	s_or_b32 exec_lo, exec_lo, s3
.LBB20_184:
	s_and_not1_saveexec_b32 s2, s2
	s_cbranch_execz .LBB20_186
; %bb.185:
	v_mov_b32_e32 v60, 8
	ds_store_2addr_b64 v54, v[4:5], v[6:7] offset0:18 offset1:19
	ds_store_2addr_b64 v54, v[0:1], v[2:3] offset0:20 offset1:21
.LBB20_186:
	s_or_b32 exec_lo, exec_lo, s2
	s_delay_alu instid0(SALU_CYCLE_1)
	s_mov_b32 s2, exec_lo
	s_waitcnt lgkmcnt(0)
	s_waitcnt_vscnt null, 0x0
	s_barrier
	buffer_gl0_inv
	v_cmpx_lt_i32_e32 8, v60
	s_cbranch_execz .LBB20_188
; %bb.187:
	v_mul_f64 v[52:53], v[44:45], v[10:11]
	v_mul_f64 v[10:11], v[46:47], v[10:11]
	ds_load_2addr_b64 v[61:64], v54 offset0:18 offset1:19
	ds_load_2addr_b64 v[65:68], v54 offset0:20 offset1:21
	v_fma_f64 v[46:47], v[46:47], v[8:9], v[52:53]
	v_fma_f64 v[8:9], v[44:45], v[8:9], -v[10:11]
	s_waitcnt lgkmcnt(1)
	s_delay_alu instid0(VALU_DEP_2) | instskip(SKIP_4) | instid1(VALU_DEP_4)
	v_mul_f64 v[10:11], v[63:64], v[46:47]
	v_mul_f64 v[44:45], v[61:62], v[46:47]
	s_waitcnt lgkmcnt(0)
	v_mul_f64 v[52:53], v[67:68], v[46:47]
	v_mul_f64 v[69:70], v[65:66], v[46:47]
	v_fma_f64 v[10:11], v[61:62], v[8:9], -v[10:11]
	s_delay_alu instid0(VALU_DEP_4) | instskip(NEXT) | instid1(VALU_DEP_4)
	v_fma_f64 v[44:45], v[63:64], v[8:9], v[44:45]
	v_fma_f64 v[52:53], v[65:66], v[8:9], -v[52:53]
	s_delay_alu instid0(VALU_DEP_4) | instskip(NEXT) | instid1(VALU_DEP_4)
	v_fma_f64 v[61:62], v[67:68], v[8:9], v[69:70]
	v_add_f64 v[4:5], v[4:5], -v[10:11]
	s_delay_alu instid0(VALU_DEP_4) | instskip(NEXT) | instid1(VALU_DEP_4)
	v_add_f64 v[6:7], v[6:7], -v[44:45]
	v_add_f64 v[0:1], v[0:1], -v[52:53]
	s_delay_alu instid0(VALU_DEP_4)
	v_add_f64 v[2:3], v[2:3], -v[61:62]
	v_dual_mov_b32 v10, v46 :: v_dual_mov_b32 v11, v47
.LBB20_188:
	s_or_b32 exec_lo, exec_lo, s2
	v_lshl_add_u32 v44, v60, 4, v54
	s_barrier
	buffer_gl0_inv
	v_mov_b32_e32 v52, 9
	ds_store_2addr_b64 v44, v[4:5], v[6:7] offset1:1
	s_waitcnt lgkmcnt(0)
	s_barrier
	buffer_gl0_inv
	ds_load_2addr_b64 v[44:47], v54 offset0:18 offset1:19
	s_cmp_lt_i32 s5, 11
	s_cbranch_scc1 .LBB20_191
; %bb.189:
	v_add3_u32 v53, v59, 0, 0xa0
	v_mov_b32_e32 v52, 9
	s_mov_b32 s6, 10
	s_set_inst_prefetch_distance 0x1
	.p2align	6
.LBB20_190:                             ; =>This Inner Loop Header: Depth=1
	ds_load_2addr_b64 v[61:64], v53 offset1:1
	s_waitcnt lgkmcnt(1)
	v_cmp_gt_f64_e32 vcc_lo, 0, v[44:45]
	v_xor_b32_e32 v65, 0x80000000, v45
	v_cmp_gt_f64_e64 s2, 0, v[46:47]
	v_xor_b32_e32 v67, 0x80000000, v47
	v_add_nc_u32_e32 v53, 16, v53
	s_waitcnt lgkmcnt(0)
	v_cmp_gt_f64_e64 s3, 0, v[61:62]
	v_mov_b32_e32 v69, v61
	v_dual_mov_b32 v71, v63 :: v_dual_cndmask_b32 v66, v45, v65
	v_xor_b32_e32 v65, 0x80000000, v62
	v_cndmask_b32_e64 v68, v47, v67, s2
	v_xor_b32_e32 v67, 0x80000000, v64
	s_delay_alu instid0(VALU_DEP_3) | instskip(SKIP_2) | instid1(VALU_DEP_2)
	v_cndmask_b32_e64 v70, v62, v65, s3
	v_cmp_gt_f64_e64 s3, 0, v[63:64]
	v_cndmask_b32_e32 v65, v44, v44, vcc_lo
	v_cndmask_b32_e64 v72, v64, v67, s3
	v_cndmask_b32_e64 v67, v46, v46, s2
	s_delay_alu instid0(VALU_DEP_2) | instskip(NEXT) | instid1(VALU_DEP_2)
	v_add_f64 v[69:70], v[69:70], v[71:72]
	v_add_f64 v[65:66], v[65:66], v[67:68]
	s_delay_alu instid0(VALU_DEP_1) | instskip(SKIP_4) | instid1(SALU_CYCLE_1)
	v_cmp_lt_f64_e32 vcc_lo, v[65:66], v[69:70]
	v_dual_cndmask_b32 v46, v46, v63 :: v_dual_cndmask_b32 v45, v45, v62
	v_dual_cndmask_b32 v44, v44, v61 :: v_dual_cndmask_b32 v47, v47, v64
	v_cndmask_b32_e64 v52, v52, s6, vcc_lo
	s_add_i32 s6, s6, 1
	s_cmp_lg_u32 s5, s6
	s_cbranch_scc1 .LBB20_190
.LBB20_191:
	s_set_inst_prefetch_distance 0x2
	s_waitcnt lgkmcnt(0)
	v_cmp_eq_f64_e32 vcc_lo, 0, v[44:45]
	v_cmp_eq_f64_e64 s2, 0, v[46:47]
	s_delay_alu instid0(VALU_DEP_1) | instskip(NEXT) | instid1(SALU_CYCLE_1)
	s_and_b32 s2, vcc_lo, s2
	s_and_saveexec_b32 s3, s2
	s_delay_alu instid0(SALU_CYCLE_1)
	s_xor_b32 s2, exec_lo, s3
; %bb.192:
	v_cmp_ne_u32_e32 vcc_lo, 0, v58
	v_cndmask_b32_e32 v58, 10, v58, vcc_lo
; %bb.193:
	s_and_not1_saveexec_b32 s3, s2
	s_cbranch_execz .LBB20_199
; %bb.194:
	v_cmp_gt_f64_e32 vcc_lo, 0, v[44:45]
	v_cmp_gt_f64_e64 s2, 0, v[46:47]
	v_xor_b32_e32 v53, 0x80000000, v45
	v_xor_b32_e32 v61, 0x80000000, v47
	s_delay_alu instid0(VALU_DEP_2) | instskip(NEXT) | instid1(VALU_DEP_2)
	v_cndmask_b32_e32 v62, v45, v53, vcc_lo
	v_cndmask_b32_e64 v64, v47, v61, s2
	v_cndmask_b32_e32 v61, v44, v44, vcc_lo
	v_cndmask_b32_e64 v63, v46, v46, s2
	s_mov_b32 s2, exec_lo
	s_delay_alu instid0(VALU_DEP_1)
	v_cmpx_ngt_f64_e32 v[61:62], v[63:64]
	s_xor_b32 s2, exec_lo, s2
	s_cbranch_execz .LBB20_196
; %bb.195:
	v_div_scale_f64 v[61:62], null, v[46:47], v[46:47], v[44:45]
	v_div_scale_f64 v[67:68], vcc_lo, v[44:45], v[46:47], v[44:45]
	s_delay_alu instid0(VALU_DEP_2) | instskip(SKIP_2) | instid1(VALU_DEP_1)
	v_rcp_f64_e32 v[63:64], v[61:62]
	s_waitcnt_depctr 0xfff
	v_fma_f64 v[65:66], -v[61:62], v[63:64], 1.0
	v_fma_f64 v[63:64], v[63:64], v[65:66], v[63:64]
	s_delay_alu instid0(VALU_DEP_1) | instskip(NEXT) | instid1(VALU_DEP_1)
	v_fma_f64 v[65:66], -v[61:62], v[63:64], 1.0
	v_fma_f64 v[63:64], v[63:64], v[65:66], v[63:64]
	s_delay_alu instid0(VALU_DEP_1) | instskip(NEXT) | instid1(VALU_DEP_1)
	v_mul_f64 v[65:66], v[67:68], v[63:64]
	v_fma_f64 v[61:62], -v[61:62], v[65:66], v[67:68]
	s_delay_alu instid0(VALU_DEP_1) | instskip(NEXT) | instid1(VALU_DEP_1)
	v_div_fmas_f64 v[61:62], v[61:62], v[63:64], v[65:66]
	v_div_fixup_f64 v[61:62], v[61:62], v[46:47], v[44:45]
	s_delay_alu instid0(VALU_DEP_1) | instskip(NEXT) | instid1(VALU_DEP_1)
	v_fma_f64 v[44:45], v[44:45], v[61:62], v[46:47]
	v_div_scale_f64 v[46:47], null, v[44:45], v[44:45], 1.0
	s_delay_alu instid0(VALU_DEP_1) | instskip(SKIP_2) | instid1(VALU_DEP_1)
	v_rcp_f64_e32 v[63:64], v[46:47]
	s_waitcnt_depctr 0xfff
	v_fma_f64 v[65:66], -v[46:47], v[63:64], 1.0
	v_fma_f64 v[63:64], v[63:64], v[65:66], v[63:64]
	s_delay_alu instid0(VALU_DEP_1) | instskip(NEXT) | instid1(VALU_DEP_1)
	v_fma_f64 v[65:66], -v[46:47], v[63:64], 1.0
	v_fma_f64 v[63:64], v[63:64], v[65:66], v[63:64]
	v_div_scale_f64 v[65:66], vcc_lo, 1.0, v[44:45], 1.0
	s_delay_alu instid0(VALU_DEP_1) | instskip(NEXT) | instid1(VALU_DEP_1)
	v_mul_f64 v[67:68], v[65:66], v[63:64]
	v_fma_f64 v[46:47], -v[46:47], v[67:68], v[65:66]
	s_delay_alu instid0(VALU_DEP_1) | instskip(NEXT) | instid1(VALU_DEP_1)
	v_div_fmas_f64 v[46:47], v[46:47], v[63:64], v[67:68]
	v_div_fixup_f64 v[46:47], v[46:47], v[44:45], 1.0
	s_delay_alu instid0(VALU_DEP_1)
	v_mul_f64 v[44:45], v[61:62], v[46:47]
	v_xor_b32_e32 v47, 0x80000000, v47
.LBB20_196:
	s_and_not1_saveexec_b32 s2, s2
	s_cbranch_execz .LBB20_198
; %bb.197:
	s_delay_alu instid0(VALU_DEP_1) | instskip(SKIP_1) | instid1(VALU_DEP_2)
	v_div_scale_f64 v[61:62], null, v[44:45], v[44:45], v[46:47]
	v_div_scale_f64 v[67:68], vcc_lo, v[46:47], v[44:45], v[46:47]
	v_rcp_f64_e32 v[63:64], v[61:62]
	s_waitcnt_depctr 0xfff
	v_fma_f64 v[65:66], -v[61:62], v[63:64], 1.0
	s_delay_alu instid0(VALU_DEP_1) | instskip(NEXT) | instid1(VALU_DEP_1)
	v_fma_f64 v[63:64], v[63:64], v[65:66], v[63:64]
	v_fma_f64 v[65:66], -v[61:62], v[63:64], 1.0
	s_delay_alu instid0(VALU_DEP_1) | instskip(NEXT) | instid1(VALU_DEP_1)
	v_fma_f64 v[63:64], v[63:64], v[65:66], v[63:64]
	v_mul_f64 v[65:66], v[67:68], v[63:64]
	s_delay_alu instid0(VALU_DEP_1) | instskip(NEXT) | instid1(VALU_DEP_1)
	v_fma_f64 v[61:62], -v[61:62], v[65:66], v[67:68]
	v_div_fmas_f64 v[61:62], v[61:62], v[63:64], v[65:66]
	s_delay_alu instid0(VALU_DEP_1) | instskip(NEXT) | instid1(VALU_DEP_1)
	v_div_fixup_f64 v[61:62], v[61:62], v[44:45], v[46:47]
	v_fma_f64 v[44:45], v[46:47], v[61:62], v[44:45]
	s_delay_alu instid0(VALU_DEP_1) | instskip(NEXT) | instid1(VALU_DEP_1)
	v_div_scale_f64 v[46:47], null, v[44:45], v[44:45], 1.0
	v_rcp_f64_e32 v[63:64], v[46:47]
	s_waitcnt_depctr 0xfff
	v_fma_f64 v[65:66], -v[46:47], v[63:64], 1.0
	s_delay_alu instid0(VALU_DEP_1) | instskip(NEXT) | instid1(VALU_DEP_1)
	v_fma_f64 v[63:64], v[63:64], v[65:66], v[63:64]
	v_fma_f64 v[65:66], -v[46:47], v[63:64], 1.0
	s_delay_alu instid0(VALU_DEP_1) | instskip(SKIP_1) | instid1(VALU_DEP_1)
	v_fma_f64 v[63:64], v[63:64], v[65:66], v[63:64]
	v_div_scale_f64 v[65:66], vcc_lo, 1.0, v[44:45], 1.0
	v_mul_f64 v[67:68], v[65:66], v[63:64]
	s_delay_alu instid0(VALU_DEP_1) | instskip(NEXT) | instid1(VALU_DEP_1)
	v_fma_f64 v[46:47], -v[46:47], v[67:68], v[65:66]
	v_div_fmas_f64 v[46:47], v[46:47], v[63:64], v[67:68]
	s_delay_alu instid0(VALU_DEP_1) | instskip(NEXT) | instid1(VALU_DEP_1)
	v_div_fixup_f64 v[44:45], v[46:47], v[44:45], 1.0
	v_mul_f64 v[46:47], v[61:62], -v[44:45]
.LBB20_198:
	s_or_b32 exec_lo, exec_lo, s2
.LBB20_199:
	s_delay_alu instid0(SALU_CYCLE_1) | instskip(NEXT) | instid1(SALU_CYCLE_1)
	s_or_b32 exec_lo, exec_lo, s3
	s_mov_b32 s2, exec_lo
	v_cmpx_ne_u32_e64 v60, v52
	s_xor_b32 s2, exec_lo, s2
	s_cbranch_execz .LBB20_205
; %bb.200:
	s_mov_b32 s3, exec_lo
	v_cmpx_eq_u32_e32 9, v60
	s_cbranch_execz .LBB20_204
; %bb.201:
	v_cmp_ne_u32_e32 vcc_lo, 9, v52
	s_xor_b32 s6, s4, -1
	s_delay_alu instid0(SALU_CYCLE_1) | instskip(NEXT) | instid1(SALU_CYCLE_1)
	s_and_b32 s7, s6, vcc_lo
	s_and_saveexec_b32 s6, s7
	s_cbranch_execz .LBB20_203
; %bb.202:
	v_ashrrev_i32_e32 v53, 31, v52
	s_delay_alu instid0(VALU_DEP_1) | instskip(NEXT) | instid1(VALU_DEP_1)
	v_lshlrev_b64 v[60:61], 2, v[52:53]
	v_add_co_u32 v60, vcc_lo, v50, v60
	s_delay_alu instid0(VALU_DEP_2)
	v_add_co_ci_u32_e32 v61, vcc_lo, v51, v61, vcc_lo
	s_clause 0x1
	flat_load_b32 v53, v[60:61]
	flat_load_b32 v57, v[50:51] offset:36
	s_waitcnt vmcnt(1) lgkmcnt(1)
	flat_store_b32 v[50:51], v53 offset:36
	s_waitcnt vmcnt(0) lgkmcnt(1)
	flat_store_b32 v[60:61], v57
.LBB20_203:
	s_or_b32 exec_lo, exec_lo, s6
	v_mov_b32_e32 v60, v52
	v_mov_b32_e32 v57, v52
.LBB20_204:
	s_or_b32 exec_lo, exec_lo, s3
.LBB20_205:
	s_and_not1_saveexec_b32 s2, s2
	s_cbranch_execz .LBB20_207
; %bb.206:
	v_mov_b32_e32 v60, 9
	ds_store_2addr_b64 v54, v[0:1], v[2:3] offset0:20 offset1:21
.LBB20_207:
	s_or_b32 exec_lo, exec_lo, s2
	s_delay_alu instid0(SALU_CYCLE_1)
	s_mov_b32 s2, exec_lo
	s_waitcnt lgkmcnt(0)
	s_waitcnt_vscnt null, 0x0
	s_barrier
	buffer_gl0_inv
	v_cmpx_lt_i32_e32 9, v60
	s_cbranch_execz .LBB20_209
; %bb.208:
	v_mul_f64 v[52:53], v[44:45], v[6:7]
	v_mul_f64 v[6:7], v[46:47], v[6:7]
	ds_load_2addr_b64 v[61:64], v54 offset0:20 offset1:21
	v_fma_f64 v[46:47], v[46:47], v[4:5], v[52:53]
	v_fma_f64 v[4:5], v[44:45], v[4:5], -v[6:7]
	s_waitcnt lgkmcnt(0)
	s_delay_alu instid0(VALU_DEP_2) | instskip(SKIP_1) | instid1(VALU_DEP_2)
	v_mul_f64 v[6:7], v[63:64], v[46:47]
	v_mul_f64 v[44:45], v[61:62], v[46:47]
	v_fma_f64 v[6:7], v[61:62], v[4:5], -v[6:7]
	s_delay_alu instid0(VALU_DEP_2) | instskip(NEXT) | instid1(VALU_DEP_2)
	v_fma_f64 v[44:45], v[63:64], v[4:5], v[44:45]
	v_add_f64 v[0:1], v[0:1], -v[6:7]
	s_delay_alu instid0(VALU_DEP_2)
	v_add_f64 v[2:3], v[2:3], -v[44:45]
	v_dual_mov_b32 v6, v46 :: v_dual_mov_b32 v7, v47
.LBB20_209:
	s_or_b32 exec_lo, exec_lo, s2
	v_lshl_add_u32 v44, v60, 4, v54
	s_barrier
	buffer_gl0_inv
	v_mov_b32_e32 v52, 10
	ds_store_2addr_b64 v44, v[0:1], v[2:3] offset1:1
	s_waitcnt lgkmcnt(0)
	s_barrier
	buffer_gl0_inv
	ds_load_2addr_b64 v[44:47], v54 offset0:20 offset1:21
	s_cmp_lt_i32 s5, 12
	s_cbranch_scc1 .LBB20_212
; %bb.210:
	v_add3_u32 v53, v59, 0, 0xb0
	v_mov_b32_e32 v52, 10
	s_mov_b32 s6, 11
	s_set_inst_prefetch_distance 0x1
	.p2align	6
.LBB20_211:                             ; =>This Inner Loop Header: Depth=1
	ds_load_2addr_b64 v[61:64], v53 offset1:1
	s_waitcnt lgkmcnt(1)
	v_cmp_gt_f64_e32 vcc_lo, 0, v[44:45]
	v_xor_b32_e32 v54, 0x80000000, v45
	v_cmp_gt_f64_e64 s2, 0, v[46:47]
	v_xor_b32_e32 v59, 0x80000000, v47
	v_add_nc_u32_e32 v53, 16, v53
	s_waitcnt lgkmcnt(0)
	v_cmp_gt_f64_e64 s3, 0, v[61:62]
	v_mov_b32_e32 v69, v61
	v_dual_mov_b32 v71, v63 :: v_dual_cndmask_b32 v66, v45, v54
	v_xor_b32_e32 v54, 0x80000000, v62
	v_cndmask_b32_e64 v68, v47, v59, s2
	v_xor_b32_e32 v59, 0x80000000, v64
	v_cndmask_b32_e32 v65, v44, v44, vcc_lo
	v_cndmask_b32_e64 v67, v46, v46, s2
	s_delay_alu instid0(VALU_DEP_1) | instskip(SKIP_2) | instid1(VALU_DEP_1)
	v_add_f64 v[65:66], v[65:66], v[67:68]
	v_cndmask_b32_e64 v70, v62, v54, s3
	v_cmp_gt_f64_e64 s3, 0, v[63:64]
	v_cndmask_b32_e64 v72, v64, v59, s3
	s_delay_alu instid0(VALU_DEP_1) | instskip(NEXT) | instid1(VALU_DEP_1)
	v_add_f64 v[69:70], v[69:70], v[71:72]
	v_cmp_lt_f64_e32 vcc_lo, v[65:66], v[69:70]
	v_dual_cndmask_b32 v46, v46, v63 :: v_dual_cndmask_b32 v45, v45, v62
	v_dual_cndmask_b32 v44, v44, v61 :: v_dual_cndmask_b32 v47, v47, v64
	v_cndmask_b32_e64 v52, v52, s6, vcc_lo
	s_add_i32 s6, s6, 1
	s_delay_alu instid0(SALU_CYCLE_1)
	s_cmp_lg_u32 s5, s6
	s_cbranch_scc1 .LBB20_211
.LBB20_212:
	s_set_inst_prefetch_distance 0x2
	s_waitcnt lgkmcnt(0)
	v_cmp_eq_f64_e32 vcc_lo, 0, v[44:45]
	v_cmp_eq_f64_e64 s2, 0, v[46:47]
	s_delay_alu instid0(VALU_DEP_1) | instskip(NEXT) | instid1(SALU_CYCLE_1)
	s_and_b32 s2, vcc_lo, s2
	s_and_saveexec_b32 s3, s2
	s_delay_alu instid0(SALU_CYCLE_1)
	s_xor_b32 s2, exec_lo, s3
; %bb.213:
	v_cmp_ne_u32_e32 vcc_lo, 0, v58
	v_cndmask_b32_e32 v58, 11, v58, vcc_lo
; %bb.214:
	s_and_not1_saveexec_b32 s3, s2
	s_cbranch_execz .LBB20_220
; %bb.215:
	v_cmp_gt_f64_e32 vcc_lo, 0, v[44:45]
	v_cmp_gt_f64_e64 s2, 0, v[46:47]
	v_xor_b32_e32 v53, 0x80000000, v45
	v_xor_b32_e32 v59, 0x80000000, v47
	s_delay_alu instid0(VALU_DEP_2) | instskip(NEXT) | instid1(VALU_DEP_2)
	v_dual_cndmask_b32 v54, v45, v53 :: v_dual_cndmask_b32 v53, v44, v44
	v_cndmask_b32_e64 v62, v47, v59, s2
	v_cndmask_b32_e64 v61, v46, v46, s2
	s_mov_b32 s2, exec_lo
	s_delay_alu instid0(VALU_DEP_1)
	v_cmpx_ngt_f64_e32 v[53:54], v[61:62]
	s_xor_b32 s2, exec_lo, s2
	s_cbranch_execz .LBB20_217
; %bb.216:
	v_div_scale_f64 v[53:54], null, v[46:47], v[46:47], v[44:45]
	v_div_scale_f64 v[65:66], vcc_lo, v[44:45], v[46:47], v[44:45]
	s_delay_alu instid0(VALU_DEP_2) | instskip(SKIP_2) | instid1(VALU_DEP_1)
	v_rcp_f64_e32 v[61:62], v[53:54]
	s_waitcnt_depctr 0xfff
	v_fma_f64 v[63:64], -v[53:54], v[61:62], 1.0
	v_fma_f64 v[61:62], v[61:62], v[63:64], v[61:62]
	s_delay_alu instid0(VALU_DEP_1) | instskip(NEXT) | instid1(VALU_DEP_1)
	v_fma_f64 v[63:64], -v[53:54], v[61:62], 1.0
	v_fma_f64 v[61:62], v[61:62], v[63:64], v[61:62]
	s_delay_alu instid0(VALU_DEP_1) | instskip(NEXT) | instid1(VALU_DEP_1)
	v_mul_f64 v[63:64], v[65:66], v[61:62]
	v_fma_f64 v[53:54], -v[53:54], v[63:64], v[65:66]
	s_delay_alu instid0(VALU_DEP_1) | instskip(NEXT) | instid1(VALU_DEP_1)
	v_div_fmas_f64 v[53:54], v[53:54], v[61:62], v[63:64]
	v_div_fixup_f64 v[53:54], v[53:54], v[46:47], v[44:45]
	s_delay_alu instid0(VALU_DEP_1) | instskip(NEXT) | instid1(VALU_DEP_1)
	v_fma_f64 v[44:45], v[44:45], v[53:54], v[46:47]
	v_div_scale_f64 v[46:47], null, v[44:45], v[44:45], 1.0
	s_delay_alu instid0(VALU_DEP_1) | instskip(SKIP_2) | instid1(VALU_DEP_1)
	v_rcp_f64_e32 v[61:62], v[46:47]
	s_waitcnt_depctr 0xfff
	v_fma_f64 v[63:64], -v[46:47], v[61:62], 1.0
	v_fma_f64 v[61:62], v[61:62], v[63:64], v[61:62]
	s_delay_alu instid0(VALU_DEP_1) | instskip(NEXT) | instid1(VALU_DEP_1)
	v_fma_f64 v[63:64], -v[46:47], v[61:62], 1.0
	v_fma_f64 v[61:62], v[61:62], v[63:64], v[61:62]
	v_div_scale_f64 v[63:64], vcc_lo, 1.0, v[44:45], 1.0
	s_delay_alu instid0(VALU_DEP_1) | instskip(NEXT) | instid1(VALU_DEP_1)
	v_mul_f64 v[65:66], v[63:64], v[61:62]
	v_fma_f64 v[46:47], -v[46:47], v[65:66], v[63:64]
	s_delay_alu instid0(VALU_DEP_1) | instskip(NEXT) | instid1(VALU_DEP_1)
	v_div_fmas_f64 v[46:47], v[46:47], v[61:62], v[65:66]
	v_div_fixup_f64 v[46:47], v[46:47], v[44:45], 1.0
	s_delay_alu instid0(VALU_DEP_1)
	v_mul_f64 v[44:45], v[53:54], v[46:47]
	v_xor_b32_e32 v47, 0x80000000, v47
.LBB20_217:
	s_and_not1_saveexec_b32 s2, s2
	s_cbranch_execz .LBB20_219
; %bb.218:
	s_delay_alu instid0(VALU_DEP_1) | instskip(SKIP_1) | instid1(VALU_DEP_2)
	v_div_scale_f64 v[53:54], null, v[44:45], v[44:45], v[46:47]
	v_div_scale_f64 v[65:66], vcc_lo, v[46:47], v[44:45], v[46:47]
	v_rcp_f64_e32 v[61:62], v[53:54]
	s_waitcnt_depctr 0xfff
	v_fma_f64 v[63:64], -v[53:54], v[61:62], 1.0
	s_delay_alu instid0(VALU_DEP_1) | instskip(NEXT) | instid1(VALU_DEP_1)
	v_fma_f64 v[61:62], v[61:62], v[63:64], v[61:62]
	v_fma_f64 v[63:64], -v[53:54], v[61:62], 1.0
	s_delay_alu instid0(VALU_DEP_1) | instskip(NEXT) | instid1(VALU_DEP_1)
	v_fma_f64 v[61:62], v[61:62], v[63:64], v[61:62]
	v_mul_f64 v[63:64], v[65:66], v[61:62]
	s_delay_alu instid0(VALU_DEP_1) | instskip(NEXT) | instid1(VALU_DEP_1)
	v_fma_f64 v[53:54], -v[53:54], v[63:64], v[65:66]
	v_div_fmas_f64 v[53:54], v[53:54], v[61:62], v[63:64]
	s_delay_alu instid0(VALU_DEP_1) | instskip(NEXT) | instid1(VALU_DEP_1)
	v_div_fixup_f64 v[53:54], v[53:54], v[44:45], v[46:47]
	v_fma_f64 v[44:45], v[46:47], v[53:54], v[44:45]
	s_delay_alu instid0(VALU_DEP_1) | instskip(NEXT) | instid1(VALU_DEP_1)
	v_div_scale_f64 v[46:47], null, v[44:45], v[44:45], 1.0
	v_rcp_f64_e32 v[61:62], v[46:47]
	s_waitcnt_depctr 0xfff
	v_fma_f64 v[63:64], -v[46:47], v[61:62], 1.0
	s_delay_alu instid0(VALU_DEP_1) | instskip(NEXT) | instid1(VALU_DEP_1)
	v_fma_f64 v[61:62], v[61:62], v[63:64], v[61:62]
	v_fma_f64 v[63:64], -v[46:47], v[61:62], 1.0
	s_delay_alu instid0(VALU_DEP_1) | instskip(SKIP_1) | instid1(VALU_DEP_1)
	v_fma_f64 v[61:62], v[61:62], v[63:64], v[61:62]
	v_div_scale_f64 v[63:64], vcc_lo, 1.0, v[44:45], 1.0
	v_mul_f64 v[65:66], v[63:64], v[61:62]
	s_delay_alu instid0(VALU_DEP_1) | instskip(NEXT) | instid1(VALU_DEP_1)
	v_fma_f64 v[46:47], -v[46:47], v[65:66], v[63:64]
	v_div_fmas_f64 v[46:47], v[46:47], v[61:62], v[65:66]
	s_delay_alu instid0(VALU_DEP_1) | instskip(NEXT) | instid1(VALU_DEP_1)
	v_div_fixup_f64 v[44:45], v[46:47], v[44:45], 1.0
	v_mul_f64 v[46:47], v[53:54], -v[44:45]
.LBB20_219:
	s_or_b32 exec_lo, exec_lo, s2
.LBB20_220:
	s_delay_alu instid0(SALU_CYCLE_1)
	s_or_b32 exec_lo, exec_lo, s3
	v_mov_b32_e32 v53, 10
	s_mov_b32 s2, exec_lo
	v_cmpx_ne_u32_e64 v60, v52
	s_cbranch_execz .LBB20_226
; %bb.221:
	s_mov_b32 s3, exec_lo
	v_cmpx_eq_u32_e32 10, v60
	s_cbranch_execz .LBB20_225
; %bb.222:
	v_cmp_ne_u32_e32 vcc_lo, 10, v52
	s_xor_b32 s4, s4, -1
	s_delay_alu instid0(SALU_CYCLE_1) | instskip(NEXT) | instid1(SALU_CYCLE_1)
	s_and_b32 s5, s4, vcc_lo
	s_and_saveexec_b32 s4, s5
	s_cbranch_execz .LBB20_224
; %bb.223:
	v_ashrrev_i32_e32 v53, 31, v52
	s_delay_alu instid0(VALU_DEP_1) | instskip(NEXT) | instid1(VALU_DEP_1)
	v_lshlrev_b64 v[53:54], 2, v[52:53]
	v_add_co_u32 v53, vcc_lo, v50, v53
	s_delay_alu instid0(VALU_DEP_2)
	v_add_co_ci_u32_e32 v54, vcc_lo, v51, v54, vcc_lo
	s_clause 0x1
	flat_load_b32 v57, v[53:54]
	flat_load_b32 v59, v[50:51] offset:40
	s_waitcnt vmcnt(1) lgkmcnt(1)
	flat_store_b32 v[50:51], v57 offset:40
	s_waitcnt vmcnt(0) lgkmcnt(1)
	flat_store_b32 v[53:54], v59
.LBB20_224:
	s_or_b32 exec_lo, exec_lo, s4
	v_mov_b32_e32 v60, v52
	v_mov_b32_e32 v57, v52
.LBB20_225:
	s_or_b32 exec_lo, exec_lo, s3
	s_delay_alu instid0(VALU_DEP_2)
	v_mov_b32_e32 v53, v60
.LBB20_226:
	s_or_b32 exec_lo, exec_lo, s2
	s_delay_alu instid0(SALU_CYCLE_1)
	s_mov_b32 s2, exec_lo
	s_waitcnt lgkmcnt(0)
	s_waitcnt_vscnt null, 0x0
	s_barrier
	buffer_gl0_inv
	v_cmpx_lt_i32_e32 10, v53
; %bb.227:
	v_mul_f64 v[50:51], v[46:47], v[2:3]
	v_mul_f64 v[2:3], v[44:45], v[2:3]
	s_delay_alu instid0(VALU_DEP_2) | instskip(NEXT) | instid1(VALU_DEP_2)
	v_fma_f64 v[44:45], v[44:45], v[0:1], -v[50:51]
	v_fma_f64 v[2:3], v[46:47], v[0:1], v[2:3]
	s_delay_alu instid0(VALU_DEP_2)
	v_dual_mov_b32 v0, v44 :: v_dual_mov_b32 v1, v45
; %bb.228:
	s_or_b32 exec_lo, exec_lo, s2
	s_load_b256 s[0:7], s[0:1], 0x28
	v_ashrrev_i32_e32 v54, 31, v53
	s_mov_b32 s9, exec_lo
	s_waitcnt lgkmcnt(0)
	s_barrier
	buffer_gl0_inv
	v_cmpx_gt_i32_e32 11, v53
	s_cbranch_execz .LBB20_230
; %bb.229:
	v_mul_lo_u32 v46, v49, s4
	v_mul_lo_u32 v47, v48, s5
	v_mad_u64_u32 v[44:45], null, v48, s4, 0
	s_lshl_b64 s[2:3], s[2:3], 2
	s_delay_alu instid0(SALU_CYCLE_1) | instskip(SKIP_1) | instid1(VALU_DEP_1)
	s_add_u32 s0, s2, s0
	s_addc_u32 s1, s3, s1
	v_add3_u32 v45, v45, v47, v46
	v_lshlrev_b64 v[46:47], 2, v[53:54]
	s_delay_alu instid0(VALU_DEP_2) | instskip(NEXT) | instid1(VALU_DEP_1)
	v_lshlrev_b64 v[44:45], 2, v[44:45]
	v_add_co_u32 v44, vcc_lo, s0, v44
	s_delay_alu instid0(VALU_DEP_2) | instskip(NEXT) | instid1(VALU_DEP_2)
	v_add_co_ci_u32_e32 v45, vcc_lo, s1, v45, vcc_lo
	v_add_co_u32 v44, vcc_lo, v44, v46
	s_delay_alu instid0(VALU_DEP_2)
	v_add_co_ci_u32_e32 v45, vcc_lo, v45, v47, vcc_lo
	v_add3_u32 v46, v57, s13, 1
	global_store_b32 v[44:45], v46, off
.LBB20_230:
	s_or_b32 exec_lo, exec_lo, s9
	s_delay_alu instid0(SALU_CYCLE_1)
	s_mov_b32 s1, exec_lo
	v_cmpx_eq_u32_e32 0, v53
	s_cbranch_execz .LBB20_233
; %bb.231:
	v_lshlrev_b64 v[44:45], 2, v[48:49]
	v_cmp_lt_i32_e64 s0, 0, v58
	s_delay_alu instid0(VALU_DEP_2) | instskip(NEXT) | instid1(VALU_DEP_3)
	v_add_co_u32 v44, vcc_lo, s6, v44
	v_add_co_ci_u32_e32 v45, vcc_lo, s7, v45, vcc_lo
	global_load_b32 v46, v[44:45], off
	s_waitcnt vmcnt(0)
	v_cmp_eq_u32_e32 vcc_lo, 0, v46
	s_and_b32 s0, vcc_lo, s0
	s_delay_alu instid0(SALU_CYCLE_1)
	s_and_b32 exec_lo, exec_lo, s0
	s_cbranch_execz .LBB20_233
; %bb.232:
	v_add_nc_u32_e32 v46, s13, v58
	global_store_b32 v[44:45], v46, off
.LBB20_233:
	s_or_b32 exec_lo, exec_lo, s1
	v_add3_u32 v44, s8, s8, v53
	v_lshlrev_b64 v[46:47], 4, v[53:54]
	s_delay_alu instid0(VALU_DEP_2) | instskip(SKIP_1) | instid1(VALU_DEP_3)
	v_add_nc_u32_e32 v48, s8, v44
	v_ashrrev_i32_e32 v45, 31, v44
	v_add_co_u32 v46, vcc_lo, v55, v46
	s_delay_alu instid0(VALU_DEP_4) | instskip(NEXT) | instid1(VALU_DEP_4)
	v_add_co_ci_u32_e32 v47, vcc_lo, v56, v47, vcc_lo
	v_ashrrev_i32_e32 v49, 31, v48
	s_delay_alu instid0(VALU_DEP_4)
	v_lshlrev_b64 v[44:45], 4, v[44:45]
	global_store_b128 v[46:47], v[40:43], off
	v_add_co_u32 v40, vcc_lo, v46, s10
	v_add_nc_u32_e32 v46, s8, v48
	v_lshlrev_b64 v[42:43], 4, v[48:49]
	v_add_co_ci_u32_e32 v41, vcc_lo, s11, v47, vcc_lo
	v_add_co_u32 v44, vcc_lo, v55, v44
	s_delay_alu instid0(VALU_DEP_4)
	v_add_nc_u32_e32 v48, s8, v46
	v_add_co_ci_u32_e32 v45, vcc_lo, v56, v45, vcc_lo
	v_ashrrev_i32_e32 v47, 31, v46
	v_add_co_u32 v42, vcc_lo, v55, v42
	v_add_co_ci_u32_e32 v43, vcc_lo, v56, v43, vcc_lo
	v_ashrrev_i32_e32 v49, 31, v48
	global_store_b128 v[40:41], v[28:31], off
	v_lshlrev_b64 v[28:29], 4, v[46:47]
	s_clause 0x1
	global_store_b128 v[44:45], v[36:39], off
	global_store_b128 v[42:43], v[32:35], off
	v_add_nc_u32_e32 v32, s8, v48
	v_lshlrev_b64 v[30:31], 4, v[48:49]
	v_add_co_u32 v28, vcc_lo, v55, v28
	s_delay_alu instid0(VALU_DEP_3) | instskip(SKIP_1) | instid1(VALU_DEP_4)
	v_add_nc_u32_e32 v34, s8, v32
	v_add_co_ci_u32_e32 v29, vcc_lo, v56, v29, vcc_lo
	v_add_co_u32 v30, vcc_lo, v55, v30
	v_add_co_ci_u32_e32 v31, vcc_lo, v56, v31, vcc_lo
	s_delay_alu instid0(VALU_DEP_4)
	v_add_nc_u32_e32 v36, s8, v34
	v_ashrrev_i32_e32 v33, 31, v32
	s_clause 0x1
	global_store_b128 v[28:29], v[24:27], off
	global_store_b128 v[30:31], v[20:23], off
	v_ashrrev_i32_e32 v35, 31, v34
	v_add_nc_u32_e32 v22, s8, v36
	v_lshlrev_b64 v[24:25], 4, v[32:33]
	v_ashrrev_i32_e32 v37, 31, v36
	s_delay_alu instid0(VALU_DEP_4) | instskip(NEXT) | instid1(VALU_DEP_4)
	v_lshlrev_b64 v[20:21], 4, v[34:35]
	v_add_nc_u32_e32 v28, s8, v22
	v_ashrrev_i32_e32 v23, 31, v22
	v_add_co_u32 v24, vcc_lo, v55, v24
	v_lshlrev_b64 v[26:27], 4, v[36:37]
	s_delay_alu instid0(VALU_DEP_4)
	v_ashrrev_i32_e32 v29, 31, v28
	v_add_co_ci_u32_e32 v25, vcc_lo, v56, v25, vcc_lo
	v_add_co_u32 v20, vcc_lo, v55, v20
	v_lshlrev_b64 v[22:23], 4, v[22:23]
	v_add_co_ci_u32_e32 v21, vcc_lo, v56, v21, vcc_lo
	v_add_co_u32 v26, vcc_lo, v55, v26
	v_lshlrev_b64 v[28:29], 4, v[28:29]
	v_add_co_ci_u32_e32 v27, vcc_lo, v56, v27, vcc_lo
	v_add_co_u32 v22, vcc_lo, v55, v22
	v_add_co_ci_u32_e32 v23, vcc_lo, v56, v23, vcc_lo
	s_delay_alu instid0(VALU_DEP_4)
	v_add_co_u32 v28, vcc_lo, v55, v28
	v_add_co_ci_u32_e32 v29, vcc_lo, v56, v29, vcc_lo
	s_clause 0x4
	global_store_b128 v[24:25], v[16:19], off
	global_store_b128 v[20:21], v[12:15], off
	;; [unrolled: 1-line block ×5, first 2 shown]
.LBB20_234:
	s_nop 0
	s_sendmsg sendmsg(MSG_DEALLOC_VGPRS)
	s_endpgm
	.section	.rodata,"a",@progbits
	.p2align	6, 0x0
	.amdhsa_kernel _ZN9rocsolver6v33100L18getf2_small_kernelILi11E19rocblas_complex_numIdEiiPKPS3_EEvT1_T3_lS7_lPS7_llPT2_S7_S7_S9_l
		.amdhsa_group_segment_fixed_size 0
		.amdhsa_private_segment_fixed_size 0
		.amdhsa_kernarg_size 352
		.amdhsa_user_sgpr_count 14
		.amdhsa_user_sgpr_dispatch_ptr 0
		.amdhsa_user_sgpr_queue_ptr 0
		.amdhsa_user_sgpr_kernarg_segment_ptr 1
		.amdhsa_user_sgpr_dispatch_id 0
		.amdhsa_user_sgpr_private_segment_size 0
		.amdhsa_wavefront_size32 1
		.amdhsa_uses_dynamic_stack 0
		.amdhsa_enable_private_segment 0
		.amdhsa_system_sgpr_workgroup_id_x 1
		.amdhsa_system_sgpr_workgroup_id_y 1
		.amdhsa_system_sgpr_workgroup_id_z 0
		.amdhsa_system_sgpr_workgroup_info 0
		.amdhsa_system_vgpr_workitem_id 1
		.amdhsa_next_free_vgpr 136
		.amdhsa_next_free_sgpr 16
		.amdhsa_reserve_vcc 1
		.amdhsa_float_round_mode_32 0
		.amdhsa_float_round_mode_16_64 0
		.amdhsa_float_denorm_mode_32 3
		.amdhsa_float_denorm_mode_16_64 3
		.amdhsa_dx10_clamp 1
		.amdhsa_ieee_mode 1
		.amdhsa_fp16_overflow 0
		.amdhsa_workgroup_processor_mode 1
		.amdhsa_memory_ordered 1
		.amdhsa_forward_progress 0
		.amdhsa_shared_vgpr_count 0
		.amdhsa_exception_fp_ieee_invalid_op 0
		.amdhsa_exception_fp_denorm_src 0
		.amdhsa_exception_fp_ieee_div_zero 0
		.amdhsa_exception_fp_ieee_overflow 0
		.amdhsa_exception_fp_ieee_underflow 0
		.amdhsa_exception_fp_ieee_inexact 0
		.amdhsa_exception_int_div_zero 0
	.end_amdhsa_kernel
	.section	.text._ZN9rocsolver6v33100L18getf2_small_kernelILi11E19rocblas_complex_numIdEiiPKPS3_EEvT1_T3_lS7_lPS7_llPT2_S7_S7_S9_l,"axG",@progbits,_ZN9rocsolver6v33100L18getf2_small_kernelILi11E19rocblas_complex_numIdEiiPKPS3_EEvT1_T3_lS7_lPS7_llPT2_S7_S7_S9_l,comdat
.Lfunc_end20:
	.size	_ZN9rocsolver6v33100L18getf2_small_kernelILi11E19rocblas_complex_numIdEiiPKPS3_EEvT1_T3_lS7_lPS7_llPT2_S7_S7_S9_l, .Lfunc_end20-_ZN9rocsolver6v33100L18getf2_small_kernelILi11E19rocblas_complex_numIdEiiPKPS3_EEvT1_T3_lS7_lPS7_llPT2_S7_S7_S9_l
                                        ; -- End function
	.section	.AMDGPU.csdata,"",@progbits
; Kernel info:
; codeLenInByte = 17868
; NumSgprs: 18
; NumVgprs: 136
; ScratchSize: 0
; MemoryBound: 0
; FloatMode: 240
; IeeeMode: 1
; LDSByteSize: 0 bytes/workgroup (compile time only)
; SGPRBlocks: 2
; VGPRBlocks: 16
; NumSGPRsForWavesPerEU: 18
; NumVGPRsForWavesPerEU: 136
; Occupancy: 10
; WaveLimiterHint : 1
; COMPUTE_PGM_RSRC2:SCRATCH_EN: 0
; COMPUTE_PGM_RSRC2:USER_SGPR: 14
; COMPUTE_PGM_RSRC2:TRAP_HANDLER: 0
; COMPUTE_PGM_RSRC2:TGID_X_EN: 1
; COMPUTE_PGM_RSRC2:TGID_Y_EN: 1
; COMPUTE_PGM_RSRC2:TGID_Z_EN: 0
; COMPUTE_PGM_RSRC2:TIDIG_COMP_CNT: 1
	.section	.text._ZN9rocsolver6v33100L23getf2_npvt_small_kernelILi11E19rocblas_complex_numIdEiiPKPS3_EEvT1_T3_lS7_lPT2_S7_S7_,"axG",@progbits,_ZN9rocsolver6v33100L23getf2_npvt_small_kernelILi11E19rocblas_complex_numIdEiiPKPS3_EEvT1_T3_lS7_lPT2_S7_S7_,comdat
	.globl	_ZN9rocsolver6v33100L23getf2_npvt_small_kernelILi11E19rocblas_complex_numIdEiiPKPS3_EEvT1_T3_lS7_lPT2_S7_S7_ ; -- Begin function _ZN9rocsolver6v33100L23getf2_npvt_small_kernelILi11E19rocblas_complex_numIdEiiPKPS3_EEvT1_T3_lS7_lPT2_S7_S7_
	.p2align	8
	.type	_ZN9rocsolver6v33100L23getf2_npvt_small_kernelILi11E19rocblas_complex_numIdEiiPKPS3_EEvT1_T3_lS7_lPT2_S7_S7_,@function
_ZN9rocsolver6v33100L23getf2_npvt_small_kernelILi11E19rocblas_complex_numIdEiiPKPS3_EEvT1_T3_lS7_lPT2_S7_S7_: ; @_ZN9rocsolver6v33100L23getf2_npvt_small_kernelILi11E19rocblas_complex_numIdEiiPKPS3_EEvT1_T3_lS7_lPT2_S7_S7_
; %bb.0:
	s_clause 0x1
	s_load_b32 s2, s[0:1], 0x44
	s_load_b64 s[8:9], s[0:1], 0x30
	v_bfe_u32 v44, v0, 10, 10
	s_waitcnt lgkmcnt(0)
	s_lshr_b32 s10, s2, 16
	s_mov_b32 s2, exec_lo
	s_delay_alu instid0(VALU_DEP_1) | instskip(NEXT) | instid1(VALU_DEP_1)
	v_mad_u64_u32 v[88:89], null, s15, s10, v[44:45]
	v_cmpx_gt_i32_e64 s8, v88
	s_cbranch_execz .LBB21_104
; %bb.1:
	s_clause 0x1
	s_load_b128 s[4:7], s[0:1], 0x8
	s_load_b32 s2, s[0:1], 0x18
	v_ashrrev_i32_e32 v89, 31, v88
	v_and_b32_e32 v114, 0x3ff, v0
	v_lshlrev_b32_e32 v45, 4, v44
	s_mulk_i32 s10, 0xb0
	v_mad_u32_u24 v116, 0xb0, v44, 0
	v_lshlrev_b64 v[1:2], 3, v[88:89]
	v_lshlrev_b32_e32 v21, 4, v114
	v_add3_u32 v115, 0, s10, v45
	s_waitcnt lgkmcnt(0)
	s_delay_alu instid0(VALU_DEP_3) | instskip(NEXT) | instid1(VALU_DEP_4)
	v_add_co_u32 v1, vcc_lo, s4, v1
	v_add_co_ci_u32_e32 v2, vcc_lo, s5, v2, vcc_lo
	v_add3_u32 v3, s2, s2, v114
	s_lshl_b64 s[4:5], s[6:7], 4
	s_ashr_i32 s3, s2, 31
	global_load_b64 v[1:2], v[1:2], off
	s_lshl_b64 s[6:7], s[2:3], 4
	v_add_nc_u32_e32 v5, s2, v3
	v_ashrrev_i32_e32 v4, 31, v3
	v_cmp_ne_u32_e64 s3, 0, v114
	s_delay_alu instid0(VALU_DEP_3) | instskip(SKIP_1) | instid1(VALU_DEP_4)
	v_add_nc_u32_e32 v7, s2, v5
	v_ashrrev_i32_e32 v6, 31, v5
	v_lshlrev_b64 v[3:4], 4, v[3:4]
	s_delay_alu instid0(VALU_DEP_3) | instskip(SKIP_1) | instid1(VALU_DEP_4)
	v_add_nc_u32_e32 v9, s2, v7
	v_ashrrev_i32_e32 v8, 31, v7
	v_lshlrev_b64 v[5:6], 4, v[5:6]
	;; [unrolled: 4-line block ×7, first 2 shown]
	v_cmp_eq_u32_e64 s2, 0, v114
	s_delay_alu instid0(VALU_DEP_4) | instskip(NEXT) | instid1(VALU_DEP_4)
	v_ashrrev_i32_e32 v20, 31, v19
	v_lshlrev_b64 v[17:18], 4, v[17:18]
	s_waitcnt vmcnt(0)
	v_add_co_u32 v22, vcc_lo, v1, s4
	v_add_co_ci_u32_e32 v2, vcc_lo, s5, v2, vcc_lo
	v_lshlrev_b64 v[0:1], 4, v[19:20]
	s_delay_alu instid0(VALU_DEP_3) | instskip(NEXT) | instid1(VALU_DEP_3)
	v_add_co_u32 v108, vcc_lo, v22, v21
	v_add_co_ci_u32_e32 v109, vcc_lo, 0, v2, vcc_lo
	v_add_co_u32 v106, vcc_lo, v22, v3
	v_add_co_ci_u32_e32 v107, vcc_lo, v2, v4, vcc_lo
	;; [unrolled: 2-line block ×11, first 2 shown]
	s_clause 0xa
	global_load_b128 v[32:35], v[106:107], off
	global_load_b128 v[28:31], v[104:105], off
	;; [unrolled: 1-line block ×11, first 2 shown]
	s_and_saveexec_b32 s5, s2
	s_cbranch_execz .LBB21_8
; %bb.2:
	s_waitcnt vmcnt(2)
	ds_store_2addr_b64 v115, v[40:41], v[42:43] offset1:1
	s_waitcnt vmcnt(1)
	ds_store_2addr_b64 v116, v[36:37], v[38:39] offset0:2 offset1:3
	ds_store_2addr_b64 v116, v[32:33], v[34:35] offset0:4 offset1:5
	ds_store_2addr_b64 v116, v[28:29], v[30:31] offset0:6 offset1:7
	ds_store_2addr_b64 v116, v[24:25], v[26:27] offset0:8 offset1:9
	ds_store_2addr_b64 v116, v[20:21], v[22:23] offset0:10 offset1:11
	ds_store_2addr_b64 v116, v[16:17], v[18:19] offset0:12 offset1:13
	ds_store_2addr_b64 v116, v[12:13], v[14:15] offset0:14 offset1:15
	ds_store_2addr_b64 v116, v[8:9], v[10:11] offset0:16 offset1:17
	ds_store_2addr_b64 v116, v[4:5], v[6:7] offset0:18 offset1:19
	s_waitcnt vmcnt(0)
	ds_store_2addr_b64 v116, v[0:1], v[2:3] offset0:20 offset1:21
	ds_load_2addr_b64 v[44:47], v115 offset1:1
	s_waitcnt lgkmcnt(0)
	v_cmp_neq_f64_e32 vcc_lo, 0, v[44:45]
	v_cmp_neq_f64_e64 s4, 0, v[46:47]
	s_delay_alu instid0(VALU_DEP_1) | instskip(NEXT) | instid1(SALU_CYCLE_1)
	s_or_b32 s4, vcc_lo, s4
	s_and_b32 exec_lo, exec_lo, s4
	s_cbranch_execz .LBB21_8
; %bb.3:
	v_cmp_gt_f64_e32 vcc_lo, 0, v[44:45]
	v_cmp_gt_f64_e64 s4, 0, v[46:47]
	v_xor_b32_e32 v48, 0x80000000, v45
	v_xor_b32_e32 v50, 0x80000000, v47
                                        ; implicit-def: $vgpr52_vgpr53
	s_delay_alu instid0(VALU_DEP_2) | instskip(NEXT) | instid1(VALU_DEP_2)
	v_cndmask_b32_e32 v49, v45, v48, vcc_lo
	v_cndmask_b32_e64 v51, v47, v50, s4
	v_cndmask_b32_e32 v48, v44, v44, vcc_lo
	v_cndmask_b32_e64 v50, v46, v46, s4
	s_mov_b32 s4, exec_lo
	s_delay_alu instid0(VALU_DEP_1)
	v_cmpx_ngt_f64_e32 v[48:49], v[50:51]
	s_xor_b32 s4, exec_lo, s4
                                        ; implicit-def: $vgpr48_vgpr49_vgpr50_vgpr51
	s_cbranch_execz .LBB21_5
; %bb.4:
	v_div_scale_f64 v[48:49], null, v[46:47], v[46:47], v[44:45]
	v_div_scale_f64 v[54:55], vcc_lo, v[44:45], v[46:47], v[44:45]
	s_delay_alu instid0(VALU_DEP_2) | instskip(SKIP_2) | instid1(VALU_DEP_1)
	v_rcp_f64_e32 v[50:51], v[48:49]
	s_waitcnt_depctr 0xfff
	v_fma_f64 v[52:53], -v[48:49], v[50:51], 1.0
	v_fma_f64 v[50:51], v[50:51], v[52:53], v[50:51]
	s_delay_alu instid0(VALU_DEP_1) | instskip(NEXT) | instid1(VALU_DEP_1)
	v_fma_f64 v[52:53], -v[48:49], v[50:51], 1.0
	v_fma_f64 v[50:51], v[50:51], v[52:53], v[50:51]
	s_delay_alu instid0(VALU_DEP_1) | instskip(NEXT) | instid1(VALU_DEP_1)
	v_mul_f64 v[52:53], v[54:55], v[50:51]
	v_fma_f64 v[48:49], -v[48:49], v[52:53], v[54:55]
	s_delay_alu instid0(VALU_DEP_1) | instskip(NEXT) | instid1(VALU_DEP_1)
	v_div_fmas_f64 v[48:49], v[48:49], v[50:51], v[52:53]
	v_div_fixup_f64 v[48:49], v[48:49], v[46:47], v[44:45]
	s_delay_alu instid0(VALU_DEP_1) | instskip(NEXT) | instid1(VALU_DEP_1)
	v_fma_f64 v[44:45], v[44:45], v[48:49], v[46:47]
	v_div_scale_f64 v[46:47], null, v[44:45], v[44:45], 1.0
	s_delay_alu instid0(VALU_DEP_1) | instskip(SKIP_2) | instid1(VALU_DEP_1)
	v_rcp_f64_e32 v[50:51], v[46:47]
	s_waitcnt_depctr 0xfff
	v_fma_f64 v[52:53], -v[46:47], v[50:51], 1.0
	v_fma_f64 v[50:51], v[50:51], v[52:53], v[50:51]
	s_delay_alu instid0(VALU_DEP_1) | instskip(NEXT) | instid1(VALU_DEP_1)
	v_fma_f64 v[52:53], -v[46:47], v[50:51], 1.0
	v_fma_f64 v[50:51], v[50:51], v[52:53], v[50:51]
	v_div_scale_f64 v[52:53], vcc_lo, 1.0, v[44:45], 1.0
	s_delay_alu instid0(VALU_DEP_1) | instskip(NEXT) | instid1(VALU_DEP_1)
	v_mul_f64 v[54:55], v[52:53], v[50:51]
	v_fma_f64 v[46:47], -v[46:47], v[54:55], v[52:53]
	s_delay_alu instid0(VALU_DEP_1) | instskip(NEXT) | instid1(VALU_DEP_1)
	v_div_fmas_f64 v[46:47], v[46:47], v[50:51], v[54:55]
	v_div_fixup_f64 v[50:51], v[46:47], v[44:45], 1.0
                                        ; implicit-def: $vgpr44_vgpr45
	s_delay_alu instid0(VALU_DEP_1)
	v_mul_f64 v[52:53], v[48:49], v[50:51]
	v_xor_b32_e32 v51, 0x80000000, v51
.LBB21_5:
	s_and_not1_saveexec_b32 s4, s4
	s_cbranch_execz .LBB21_7
; %bb.6:
	v_div_scale_f64 v[48:49], null, v[44:45], v[44:45], v[46:47]
	v_div_scale_f64 v[54:55], vcc_lo, v[46:47], v[44:45], v[46:47]
	s_delay_alu instid0(VALU_DEP_2) | instskip(SKIP_2) | instid1(VALU_DEP_1)
	v_rcp_f64_e32 v[50:51], v[48:49]
	s_waitcnt_depctr 0xfff
	v_fma_f64 v[52:53], -v[48:49], v[50:51], 1.0
	v_fma_f64 v[50:51], v[50:51], v[52:53], v[50:51]
	s_delay_alu instid0(VALU_DEP_1) | instskip(NEXT) | instid1(VALU_DEP_1)
	v_fma_f64 v[52:53], -v[48:49], v[50:51], 1.0
	v_fma_f64 v[50:51], v[50:51], v[52:53], v[50:51]
	s_delay_alu instid0(VALU_DEP_1) | instskip(NEXT) | instid1(VALU_DEP_1)
	v_mul_f64 v[52:53], v[54:55], v[50:51]
	v_fma_f64 v[48:49], -v[48:49], v[52:53], v[54:55]
	s_delay_alu instid0(VALU_DEP_1) | instskip(NEXT) | instid1(VALU_DEP_1)
	v_div_fmas_f64 v[48:49], v[48:49], v[50:51], v[52:53]
	v_div_fixup_f64 v[48:49], v[48:49], v[44:45], v[46:47]
	s_delay_alu instid0(VALU_DEP_1) | instskip(NEXT) | instid1(VALU_DEP_1)
	v_fma_f64 v[44:45], v[46:47], v[48:49], v[44:45]
	v_div_scale_f64 v[46:47], null, v[44:45], v[44:45], 1.0
	s_delay_alu instid0(VALU_DEP_1) | instskip(SKIP_2) | instid1(VALU_DEP_1)
	v_rcp_f64_e32 v[50:51], v[46:47]
	s_waitcnt_depctr 0xfff
	v_fma_f64 v[52:53], -v[46:47], v[50:51], 1.0
	v_fma_f64 v[50:51], v[50:51], v[52:53], v[50:51]
	s_delay_alu instid0(VALU_DEP_1) | instskip(NEXT) | instid1(VALU_DEP_1)
	v_fma_f64 v[52:53], -v[46:47], v[50:51], 1.0
	v_fma_f64 v[50:51], v[50:51], v[52:53], v[50:51]
	v_div_scale_f64 v[52:53], vcc_lo, 1.0, v[44:45], 1.0
	s_delay_alu instid0(VALU_DEP_1) | instskip(NEXT) | instid1(VALU_DEP_1)
	v_mul_f64 v[54:55], v[52:53], v[50:51]
	v_fma_f64 v[46:47], -v[46:47], v[54:55], v[52:53]
	s_delay_alu instid0(VALU_DEP_1) | instskip(NEXT) | instid1(VALU_DEP_1)
	v_div_fmas_f64 v[46:47], v[46:47], v[50:51], v[54:55]
	v_div_fixup_f64 v[52:53], v[46:47], v[44:45], 1.0
	s_delay_alu instid0(VALU_DEP_1)
	v_mul_f64 v[50:51], v[48:49], -v[52:53]
.LBB21_7:
	s_or_b32 exec_lo, exec_lo, s4
	ds_store_2addr_b64 v115, v[52:53], v[50:51] offset1:1
.LBB21_8:
	s_or_b32 exec_lo, exec_lo, s5
	s_waitcnt vmcnt(0) lgkmcnt(0)
	s_barrier
	buffer_gl0_inv
	ds_load_2addr_b64 v[44:47], v115 offset1:1
	s_and_saveexec_b32 s4, s3
	s_cbranch_execz .LBB21_10
; %bb.9:
	s_waitcnt lgkmcnt(0)
	v_mul_f64 v[48:49], v[44:45], v[42:43]
	v_mul_f64 v[42:43], v[46:47], v[42:43]
	s_delay_alu instid0(VALU_DEP_2)
	v_fma_f64 v[112:113], v[46:47], v[40:41], v[48:49]
	ds_load_2addr_b64 v[48:51], v116 offset0:2 offset1:3
	ds_load_2addr_b64 v[52:55], v116 offset0:4 offset1:5
	;; [unrolled: 1-line block ×10, first 2 shown]
	v_fma_f64 v[40:41], v[44:45], v[40:41], -v[42:43]
	s_waitcnt lgkmcnt(9)
	v_mul_f64 v[42:43], v[50:51], v[112:113]
	v_mul_f64 v[117:118], v[48:49], v[112:113]
	s_waitcnt lgkmcnt(8)
	v_mul_f64 v[119:120], v[54:55], v[112:113]
	v_mul_f64 v[121:122], v[52:53], v[112:113]
	s_waitcnt lgkmcnt(7)
	v_mul_f64 v[123:124], v[58:59], v[112:113]
	v_mul_f64 v[125:126], v[56:57], v[112:113]
	s_waitcnt lgkmcnt(6)
	v_mul_f64 v[127:128], v[62:63], v[112:113]
	v_mul_f64 v[129:130], v[60:61], v[112:113]
	s_waitcnt lgkmcnt(5)
	v_mul_f64 v[131:132], v[66:67], v[112:113]
	v_mul_f64 v[133:134], v[64:65], v[112:113]
	s_waitcnt lgkmcnt(4)
	v_mul_f64 v[135:136], v[70:71], v[112:113]
	v_mul_f64 v[137:138], v[68:69], v[112:113]
	s_waitcnt lgkmcnt(3)
	v_mul_f64 v[139:140], v[74:75], v[112:113]
	v_mul_f64 v[141:142], v[72:73], v[112:113]
	s_waitcnt lgkmcnt(2)
	v_mul_f64 v[143:144], v[78:79], v[112:113]
	v_mul_f64 v[145:146], v[76:77], v[112:113]
	s_waitcnt lgkmcnt(1)
	v_mul_f64 v[147:148], v[82:83], v[112:113]
	v_mul_f64 v[149:150], v[80:81], v[112:113]
	s_waitcnt lgkmcnt(0)
	v_mul_f64 v[151:152], v[86:87], v[112:113]
	v_mul_f64 v[153:154], v[84:85], v[112:113]
	v_fma_f64 v[42:43], v[48:49], v[40:41], -v[42:43]
	v_fma_f64 v[48:49], v[50:51], v[40:41], v[117:118]
	v_fma_f64 v[50:51], v[52:53], v[40:41], -v[119:120]
	v_fma_f64 v[52:53], v[54:55], v[40:41], v[121:122]
	v_fma_f64 v[54:55], v[56:57], v[40:41], -v[123:124]
	v_fma_f64 v[56:57], v[58:59], v[40:41], v[125:126]
	v_fma_f64 v[58:59], v[60:61], v[40:41], -v[127:128]
	v_fma_f64 v[60:61], v[62:63], v[40:41], v[129:130]
	v_fma_f64 v[62:63], v[64:65], v[40:41], -v[131:132]
	v_fma_f64 v[64:65], v[66:67], v[40:41], v[133:134]
	v_fma_f64 v[66:67], v[68:69], v[40:41], -v[135:136]
	v_fma_f64 v[68:69], v[70:71], v[40:41], v[137:138]
	v_fma_f64 v[70:71], v[72:73], v[40:41], -v[139:140]
	v_fma_f64 v[72:73], v[74:75], v[40:41], v[141:142]
	v_fma_f64 v[74:75], v[76:77], v[40:41], -v[143:144]
	v_fma_f64 v[76:77], v[78:79], v[40:41], v[145:146]
	v_fma_f64 v[78:79], v[80:81], v[40:41], -v[147:148]
	v_fma_f64 v[80:81], v[82:83], v[40:41], v[149:150]
	v_fma_f64 v[82:83], v[84:85], v[40:41], -v[151:152]
	v_fma_f64 v[84:85], v[86:87], v[40:41], v[153:154]
	v_add_f64 v[36:37], v[36:37], -v[42:43]
	v_add_f64 v[38:39], v[38:39], -v[48:49]
	;; [unrolled: 1-line block ×20, first 2 shown]
	v_dual_mov_b32 v42, v112 :: v_dual_mov_b32 v43, v113
.LBB21_10:
	s_or_b32 exec_lo, exec_lo, s4
	s_delay_alu instid0(SALU_CYCLE_1)
	s_mov_b32 s4, exec_lo
	s_waitcnt lgkmcnt(0)
	s_barrier
	buffer_gl0_inv
	v_cmpx_eq_u32_e32 1, v114
	s_cbranch_execz .LBB21_17
; %bb.11:
	ds_store_2addr_b64 v115, v[36:37], v[38:39] offset1:1
	ds_store_2addr_b64 v116, v[32:33], v[34:35] offset0:4 offset1:5
	ds_store_2addr_b64 v116, v[28:29], v[30:31] offset0:6 offset1:7
	;; [unrolled: 1-line block ×9, first 2 shown]
	ds_load_2addr_b64 v[48:51], v115 offset1:1
	s_waitcnt lgkmcnt(0)
	v_cmp_neq_f64_e32 vcc_lo, 0, v[48:49]
	v_cmp_neq_f64_e64 s3, 0, v[50:51]
	s_delay_alu instid0(VALU_DEP_1) | instskip(NEXT) | instid1(SALU_CYCLE_1)
	s_or_b32 s3, vcc_lo, s3
	s_and_b32 exec_lo, exec_lo, s3
	s_cbranch_execz .LBB21_17
; %bb.12:
	v_cmp_gt_f64_e32 vcc_lo, 0, v[48:49]
	v_cmp_gt_f64_e64 s3, 0, v[50:51]
	v_xor_b32_e32 v52, 0x80000000, v49
	v_xor_b32_e32 v54, 0x80000000, v51
                                        ; implicit-def: $vgpr56_vgpr57
	s_delay_alu instid0(VALU_DEP_2) | instskip(NEXT) | instid1(VALU_DEP_2)
	v_cndmask_b32_e32 v53, v49, v52, vcc_lo
	v_cndmask_b32_e64 v55, v51, v54, s3
	v_cndmask_b32_e32 v52, v48, v48, vcc_lo
	v_cndmask_b32_e64 v54, v50, v50, s3
	s_mov_b32 s3, exec_lo
	s_delay_alu instid0(VALU_DEP_1)
	v_cmpx_ngt_f64_e32 v[52:53], v[54:55]
	s_xor_b32 s3, exec_lo, s3
                                        ; implicit-def: $vgpr52_vgpr53_vgpr54_vgpr55
	s_cbranch_execz .LBB21_14
; %bb.13:
	v_div_scale_f64 v[52:53], null, v[50:51], v[50:51], v[48:49]
	v_div_scale_f64 v[58:59], vcc_lo, v[48:49], v[50:51], v[48:49]
	s_delay_alu instid0(VALU_DEP_2) | instskip(SKIP_2) | instid1(VALU_DEP_1)
	v_rcp_f64_e32 v[54:55], v[52:53]
	s_waitcnt_depctr 0xfff
	v_fma_f64 v[56:57], -v[52:53], v[54:55], 1.0
	v_fma_f64 v[54:55], v[54:55], v[56:57], v[54:55]
	s_delay_alu instid0(VALU_DEP_1) | instskip(NEXT) | instid1(VALU_DEP_1)
	v_fma_f64 v[56:57], -v[52:53], v[54:55], 1.0
	v_fma_f64 v[54:55], v[54:55], v[56:57], v[54:55]
	s_delay_alu instid0(VALU_DEP_1) | instskip(NEXT) | instid1(VALU_DEP_1)
	v_mul_f64 v[56:57], v[58:59], v[54:55]
	v_fma_f64 v[52:53], -v[52:53], v[56:57], v[58:59]
	s_delay_alu instid0(VALU_DEP_1) | instskip(NEXT) | instid1(VALU_DEP_1)
	v_div_fmas_f64 v[52:53], v[52:53], v[54:55], v[56:57]
	v_div_fixup_f64 v[52:53], v[52:53], v[50:51], v[48:49]
	s_delay_alu instid0(VALU_DEP_1) | instskip(NEXT) | instid1(VALU_DEP_1)
	v_fma_f64 v[48:49], v[48:49], v[52:53], v[50:51]
	v_div_scale_f64 v[50:51], null, v[48:49], v[48:49], 1.0
	s_delay_alu instid0(VALU_DEP_1) | instskip(SKIP_2) | instid1(VALU_DEP_1)
	v_rcp_f64_e32 v[54:55], v[50:51]
	s_waitcnt_depctr 0xfff
	v_fma_f64 v[56:57], -v[50:51], v[54:55], 1.0
	v_fma_f64 v[54:55], v[54:55], v[56:57], v[54:55]
	s_delay_alu instid0(VALU_DEP_1) | instskip(NEXT) | instid1(VALU_DEP_1)
	v_fma_f64 v[56:57], -v[50:51], v[54:55], 1.0
	v_fma_f64 v[54:55], v[54:55], v[56:57], v[54:55]
	v_div_scale_f64 v[56:57], vcc_lo, 1.0, v[48:49], 1.0
	s_delay_alu instid0(VALU_DEP_1) | instskip(NEXT) | instid1(VALU_DEP_1)
	v_mul_f64 v[58:59], v[56:57], v[54:55]
	v_fma_f64 v[50:51], -v[50:51], v[58:59], v[56:57]
	s_delay_alu instid0(VALU_DEP_1) | instskip(NEXT) | instid1(VALU_DEP_1)
	v_div_fmas_f64 v[50:51], v[50:51], v[54:55], v[58:59]
	v_div_fixup_f64 v[54:55], v[50:51], v[48:49], 1.0
                                        ; implicit-def: $vgpr48_vgpr49
	s_delay_alu instid0(VALU_DEP_1)
	v_mul_f64 v[56:57], v[52:53], v[54:55]
	v_xor_b32_e32 v55, 0x80000000, v55
.LBB21_14:
	s_and_not1_saveexec_b32 s3, s3
	s_cbranch_execz .LBB21_16
; %bb.15:
	v_div_scale_f64 v[52:53], null, v[48:49], v[48:49], v[50:51]
	v_div_scale_f64 v[58:59], vcc_lo, v[50:51], v[48:49], v[50:51]
	s_delay_alu instid0(VALU_DEP_2) | instskip(SKIP_2) | instid1(VALU_DEP_1)
	v_rcp_f64_e32 v[54:55], v[52:53]
	s_waitcnt_depctr 0xfff
	v_fma_f64 v[56:57], -v[52:53], v[54:55], 1.0
	v_fma_f64 v[54:55], v[54:55], v[56:57], v[54:55]
	s_delay_alu instid0(VALU_DEP_1) | instskip(NEXT) | instid1(VALU_DEP_1)
	v_fma_f64 v[56:57], -v[52:53], v[54:55], 1.0
	v_fma_f64 v[54:55], v[54:55], v[56:57], v[54:55]
	s_delay_alu instid0(VALU_DEP_1) | instskip(NEXT) | instid1(VALU_DEP_1)
	v_mul_f64 v[56:57], v[58:59], v[54:55]
	v_fma_f64 v[52:53], -v[52:53], v[56:57], v[58:59]
	s_delay_alu instid0(VALU_DEP_1) | instskip(NEXT) | instid1(VALU_DEP_1)
	v_div_fmas_f64 v[52:53], v[52:53], v[54:55], v[56:57]
	v_div_fixup_f64 v[52:53], v[52:53], v[48:49], v[50:51]
	s_delay_alu instid0(VALU_DEP_1) | instskip(NEXT) | instid1(VALU_DEP_1)
	v_fma_f64 v[48:49], v[50:51], v[52:53], v[48:49]
	v_div_scale_f64 v[50:51], null, v[48:49], v[48:49], 1.0
	s_delay_alu instid0(VALU_DEP_1) | instskip(SKIP_2) | instid1(VALU_DEP_1)
	v_rcp_f64_e32 v[54:55], v[50:51]
	s_waitcnt_depctr 0xfff
	v_fma_f64 v[56:57], -v[50:51], v[54:55], 1.0
	v_fma_f64 v[54:55], v[54:55], v[56:57], v[54:55]
	s_delay_alu instid0(VALU_DEP_1) | instskip(NEXT) | instid1(VALU_DEP_1)
	v_fma_f64 v[56:57], -v[50:51], v[54:55], 1.0
	v_fma_f64 v[54:55], v[54:55], v[56:57], v[54:55]
	v_div_scale_f64 v[56:57], vcc_lo, 1.0, v[48:49], 1.0
	s_delay_alu instid0(VALU_DEP_1) | instskip(NEXT) | instid1(VALU_DEP_1)
	v_mul_f64 v[58:59], v[56:57], v[54:55]
	v_fma_f64 v[50:51], -v[50:51], v[58:59], v[56:57]
	s_delay_alu instid0(VALU_DEP_1) | instskip(NEXT) | instid1(VALU_DEP_1)
	v_div_fmas_f64 v[50:51], v[50:51], v[54:55], v[58:59]
	v_div_fixup_f64 v[56:57], v[50:51], v[48:49], 1.0
	s_delay_alu instid0(VALU_DEP_1)
	v_mul_f64 v[54:55], v[52:53], -v[56:57]
.LBB21_16:
	s_or_b32 exec_lo, exec_lo, s3
	ds_store_2addr_b64 v115, v[56:57], v[54:55] offset1:1
.LBB21_17:
	s_or_b32 exec_lo, exec_lo, s4
	s_waitcnt lgkmcnt(0)
	s_barrier
	buffer_gl0_inv
	ds_load_2addr_b64 v[48:51], v115 offset1:1
	s_mov_b32 s3, exec_lo
	v_cmpx_lt_u32_e32 1, v114
	s_cbranch_execz .LBB21_19
; %bb.18:
	s_waitcnt lgkmcnt(0)
	v_mul_f64 v[52:53], v[48:49], v[38:39]
	v_mul_f64 v[38:39], v[50:51], v[38:39]
	s_delay_alu instid0(VALU_DEP_2)
	v_fma_f64 v[112:113], v[50:51], v[36:37], v[52:53]
	ds_load_2addr_b64 v[52:55], v116 offset0:4 offset1:5
	ds_load_2addr_b64 v[56:59], v116 offset0:6 offset1:7
	;; [unrolled: 1-line block ×9, first 2 shown]
	v_fma_f64 v[36:37], v[48:49], v[36:37], -v[38:39]
	s_waitcnt lgkmcnt(8)
	v_mul_f64 v[38:39], v[54:55], v[112:113]
	v_mul_f64 v[117:118], v[52:53], v[112:113]
	s_waitcnt lgkmcnt(7)
	v_mul_f64 v[119:120], v[58:59], v[112:113]
	v_mul_f64 v[121:122], v[56:57], v[112:113]
	;; [unrolled: 3-line block ×9, first 2 shown]
	v_fma_f64 v[38:39], v[52:53], v[36:37], -v[38:39]
	v_fma_f64 v[52:53], v[54:55], v[36:37], v[117:118]
	v_fma_f64 v[54:55], v[56:57], v[36:37], -v[119:120]
	v_fma_f64 v[56:57], v[58:59], v[36:37], v[121:122]
	;; [unrolled: 2-line block ×9, first 2 shown]
	v_add_f64 v[32:33], v[32:33], -v[38:39]
	v_add_f64 v[34:35], v[34:35], -v[52:53]
	;; [unrolled: 1-line block ×18, first 2 shown]
	v_dual_mov_b32 v38, v112 :: v_dual_mov_b32 v39, v113
.LBB21_19:
	s_or_b32 exec_lo, exec_lo, s3
	s_delay_alu instid0(SALU_CYCLE_1)
	s_mov_b32 s4, exec_lo
	s_waitcnt lgkmcnt(0)
	s_barrier
	buffer_gl0_inv
	v_cmpx_eq_u32_e32 2, v114
	s_cbranch_execz .LBB21_26
; %bb.20:
	ds_store_2addr_b64 v115, v[32:33], v[34:35] offset1:1
	ds_store_2addr_b64 v116, v[28:29], v[30:31] offset0:6 offset1:7
	ds_store_2addr_b64 v116, v[24:25], v[26:27] offset0:8 offset1:9
	;; [unrolled: 1-line block ×8, first 2 shown]
	ds_load_2addr_b64 v[52:55], v115 offset1:1
	s_waitcnt lgkmcnt(0)
	v_cmp_neq_f64_e32 vcc_lo, 0, v[52:53]
	v_cmp_neq_f64_e64 s3, 0, v[54:55]
	s_delay_alu instid0(VALU_DEP_1) | instskip(NEXT) | instid1(SALU_CYCLE_1)
	s_or_b32 s3, vcc_lo, s3
	s_and_b32 exec_lo, exec_lo, s3
	s_cbranch_execz .LBB21_26
; %bb.21:
	v_cmp_gt_f64_e32 vcc_lo, 0, v[52:53]
	v_cmp_gt_f64_e64 s3, 0, v[54:55]
	v_xor_b32_e32 v56, 0x80000000, v53
	v_xor_b32_e32 v58, 0x80000000, v55
                                        ; implicit-def: $vgpr60_vgpr61
	s_delay_alu instid0(VALU_DEP_2) | instskip(NEXT) | instid1(VALU_DEP_2)
	v_cndmask_b32_e32 v57, v53, v56, vcc_lo
	v_cndmask_b32_e64 v59, v55, v58, s3
	v_cndmask_b32_e32 v56, v52, v52, vcc_lo
	v_cndmask_b32_e64 v58, v54, v54, s3
	s_mov_b32 s3, exec_lo
	s_delay_alu instid0(VALU_DEP_1)
	v_cmpx_ngt_f64_e32 v[56:57], v[58:59]
	s_xor_b32 s3, exec_lo, s3
                                        ; implicit-def: $vgpr56_vgpr57_vgpr58_vgpr59
	s_cbranch_execz .LBB21_23
; %bb.22:
	v_div_scale_f64 v[56:57], null, v[54:55], v[54:55], v[52:53]
	v_div_scale_f64 v[62:63], vcc_lo, v[52:53], v[54:55], v[52:53]
	s_delay_alu instid0(VALU_DEP_2) | instskip(SKIP_2) | instid1(VALU_DEP_1)
	v_rcp_f64_e32 v[58:59], v[56:57]
	s_waitcnt_depctr 0xfff
	v_fma_f64 v[60:61], -v[56:57], v[58:59], 1.0
	v_fma_f64 v[58:59], v[58:59], v[60:61], v[58:59]
	s_delay_alu instid0(VALU_DEP_1) | instskip(NEXT) | instid1(VALU_DEP_1)
	v_fma_f64 v[60:61], -v[56:57], v[58:59], 1.0
	v_fma_f64 v[58:59], v[58:59], v[60:61], v[58:59]
	s_delay_alu instid0(VALU_DEP_1) | instskip(NEXT) | instid1(VALU_DEP_1)
	v_mul_f64 v[60:61], v[62:63], v[58:59]
	v_fma_f64 v[56:57], -v[56:57], v[60:61], v[62:63]
	s_delay_alu instid0(VALU_DEP_1) | instskip(NEXT) | instid1(VALU_DEP_1)
	v_div_fmas_f64 v[56:57], v[56:57], v[58:59], v[60:61]
	v_div_fixup_f64 v[56:57], v[56:57], v[54:55], v[52:53]
	s_delay_alu instid0(VALU_DEP_1) | instskip(NEXT) | instid1(VALU_DEP_1)
	v_fma_f64 v[52:53], v[52:53], v[56:57], v[54:55]
	v_div_scale_f64 v[54:55], null, v[52:53], v[52:53], 1.0
	s_delay_alu instid0(VALU_DEP_1) | instskip(SKIP_2) | instid1(VALU_DEP_1)
	v_rcp_f64_e32 v[58:59], v[54:55]
	s_waitcnt_depctr 0xfff
	v_fma_f64 v[60:61], -v[54:55], v[58:59], 1.0
	v_fma_f64 v[58:59], v[58:59], v[60:61], v[58:59]
	s_delay_alu instid0(VALU_DEP_1) | instskip(NEXT) | instid1(VALU_DEP_1)
	v_fma_f64 v[60:61], -v[54:55], v[58:59], 1.0
	v_fma_f64 v[58:59], v[58:59], v[60:61], v[58:59]
	v_div_scale_f64 v[60:61], vcc_lo, 1.0, v[52:53], 1.0
	s_delay_alu instid0(VALU_DEP_1) | instskip(NEXT) | instid1(VALU_DEP_1)
	v_mul_f64 v[62:63], v[60:61], v[58:59]
	v_fma_f64 v[54:55], -v[54:55], v[62:63], v[60:61]
	s_delay_alu instid0(VALU_DEP_1) | instskip(NEXT) | instid1(VALU_DEP_1)
	v_div_fmas_f64 v[54:55], v[54:55], v[58:59], v[62:63]
	v_div_fixup_f64 v[58:59], v[54:55], v[52:53], 1.0
                                        ; implicit-def: $vgpr52_vgpr53
	s_delay_alu instid0(VALU_DEP_1)
	v_mul_f64 v[60:61], v[56:57], v[58:59]
	v_xor_b32_e32 v59, 0x80000000, v59
.LBB21_23:
	s_and_not1_saveexec_b32 s3, s3
	s_cbranch_execz .LBB21_25
; %bb.24:
	v_div_scale_f64 v[56:57], null, v[52:53], v[52:53], v[54:55]
	v_div_scale_f64 v[62:63], vcc_lo, v[54:55], v[52:53], v[54:55]
	s_delay_alu instid0(VALU_DEP_2) | instskip(SKIP_2) | instid1(VALU_DEP_1)
	v_rcp_f64_e32 v[58:59], v[56:57]
	s_waitcnt_depctr 0xfff
	v_fma_f64 v[60:61], -v[56:57], v[58:59], 1.0
	v_fma_f64 v[58:59], v[58:59], v[60:61], v[58:59]
	s_delay_alu instid0(VALU_DEP_1) | instskip(NEXT) | instid1(VALU_DEP_1)
	v_fma_f64 v[60:61], -v[56:57], v[58:59], 1.0
	v_fma_f64 v[58:59], v[58:59], v[60:61], v[58:59]
	s_delay_alu instid0(VALU_DEP_1) | instskip(NEXT) | instid1(VALU_DEP_1)
	v_mul_f64 v[60:61], v[62:63], v[58:59]
	v_fma_f64 v[56:57], -v[56:57], v[60:61], v[62:63]
	s_delay_alu instid0(VALU_DEP_1) | instskip(NEXT) | instid1(VALU_DEP_1)
	v_div_fmas_f64 v[56:57], v[56:57], v[58:59], v[60:61]
	v_div_fixup_f64 v[56:57], v[56:57], v[52:53], v[54:55]
	s_delay_alu instid0(VALU_DEP_1) | instskip(NEXT) | instid1(VALU_DEP_1)
	v_fma_f64 v[52:53], v[54:55], v[56:57], v[52:53]
	v_div_scale_f64 v[54:55], null, v[52:53], v[52:53], 1.0
	s_delay_alu instid0(VALU_DEP_1) | instskip(SKIP_2) | instid1(VALU_DEP_1)
	v_rcp_f64_e32 v[58:59], v[54:55]
	s_waitcnt_depctr 0xfff
	v_fma_f64 v[60:61], -v[54:55], v[58:59], 1.0
	v_fma_f64 v[58:59], v[58:59], v[60:61], v[58:59]
	s_delay_alu instid0(VALU_DEP_1) | instskip(NEXT) | instid1(VALU_DEP_1)
	v_fma_f64 v[60:61], -v[54:55], v[58:59], 1.0
	v_fma_f64 v[58:59], v[58:59], v[60:61], v[58:59]
	v_div_scale_f64 v[60:61], vcc_lo, 1.0, v[52:53], 1.0
	s_delay_alu instid0(VALU_DEP_1) | instskip(NEXT) | instid1(VALU_DEP_1)
	v_mul_f64 v[62:63], v[60:61], v[58:59]
	v_fma_f64 v[54:55], -v[54:55], v[62:63], v[60:61]
	s_delay_alu instid0(VALU_DEP_1) | instskip(NEXT) | instid1(VALU_DEP_1)
	v_div_fmas_f64 v[54:55], v[54:55], v[58:59], v[62:63]
	v_div_fixup_f64 v[60:61], v[54:55], v[52:53], 1.0
	s_delay_alu instid0(VALU_DEP_1)
	v_mul_f64 v[58:59], v[56:57], -v[60:61]
.LBB21_25:
	s_or_b32 exec_lo, exec_lo, s3
	ds_store_2addr_b64 v115, v[60:61], v[58:59] offset1:1
.LBB21_26:
	s_or_b32 exec_lo, exec_lo, s4
	s_waitcnt lgkmcnt(0)
	s_barrier
	buffer_gl0_inv
	ds_load_2addr_b64 v[52:55], v115 offset1:1
	s_mov_b32 s3, exec_lo
	v_cmpx_lt_u32_e32 2, v114
	s_cbranch_execz .LBB21_28
; %bb.27:
	s_waitcnt lgkmcnt(0)
	v_mul_f64 v[56:57], v[52:53], v[34:35]
	v_mul_f64 v[34:35], v[54:55], v[34:35]
	s_delay_alu instid0(VALU_DEP_2)
	v_fma_f64 v[112:113], v[54:55], v[32:33], v[56:57]
	ds_load_2addr_b64 v[56:59], v116 offset0:6 offset1:7
	ds_load_2addr_b64 v[60:63], v116 offset0:8 offset1:9
	;; [unrolled: 1-line block ×8, first 2 shown]
	v_fma_f64 v[32:33], v[52:53], v[32:33], -v[34:35]
	s_waitcnt lgkmcnt(7)
	v_mul_f64 v[34:35], v[58:59], v[112:113]
	v_mul_f64 v[117:118], v[56:57], v[112:113]
	s_waitcnt lgkmcnt(6)
	v_mul_f64 v[119:120], v[62:63], v[112:113]
	v_mul_f64 v[121:122], v[60:61], v[112:113]
	;; [unrolled: 3-line block ×8, first 2 shown]
	v_fma_f64 v[34:35], v[56:57], v[32:33], -v[34:35]
	v_fma_f64 v[56:57], v[58:59], v[32:33], v[117:118]
	v_fma_f64 v[58:59], v[60:61], v[32:33], -v[119:120]
	v_fma_f64 v[60:61], v[62:63], v[32:33], v[121:122]
	;; [unrolled: 2-line block ×8, first 2 shown]
	v_add_f64 v[28:29], v[28:29], -v[34:35]
	v_add_f64 v[30:31], v[30:31], -v[56:57]
	;; [unrolled: 1-line block ×16, first 2 shown]
	v_dual_mov_b32 v34, v112 :: v_dual_mov_b32 v35, v113
.LBB21_28:
	s_or_b32 exec_lo, exec_lo, s3
	s_delay_alu instid0(SALU_CYCLE_1)
	s_mov_b32 s4, exec_lo
	s_waitcnt lgkmcnt(0)
	s_barrier
	buffer_gl0_inv
	v_cmpx_eq_u32_e32 3, v114
	s_cbranch_execz .LBB21_35
; %bb.29:
	ds_store_2addr_b64 v115, v[28:29], v[30:31] offset1:1
	ds_store_2addr_b64 v116, v[24:25], v[26:27] offset0:8 offset1:9
	ds_store_2addr_b64 v116, v[20:21], v[22:23] offset0:10 offset1:11
	ds_store_2addr_b64 v116, v[16:17], v[18:19] offset0:12 offset1:13
	ds_store_2addr_b64 v116, v[12:13], v[14:15] offset0:14 offset1:15
	ds_store_2addr_b64 v116, v[8:9], v[10:11] offset0:16 offset1:17
	ds_store_2addr_b64 v116, v[4:5], v[6:7] offset0:18 offset1:19
	ds_store_2addr_b64 v116, v[0:1], v[2:3] offset0:20 offset1:21
	ds_load_2addr_b64 v[56:59], v115 offset1:1
	s_waitcnt lgkmcnt(0)
	v_cmp_neq_f64_e32 vcc_lo, 0, v[56:57]
	v_cmp_neq_f64_e64 s3, 0, v[58:59]
	s_delay_alu instid0(VALU_DEP_1) | instskip(NEXT) | instid1(SALU_CYCLE_1)
	s_or_b32 s3, vcc_lo, s3
	s_and_b32 exec_lo, exec_lo, s3
	s_cbranch_execz .LBB21_35
; %bb.30:
	v_cmp_gt_f64_e32 vcc_lo, 0, v[56:57]
	v_cmp_gt_f64_e64 s3, 0, v[58:59]
	v_xor_b32_e32 v60, 0x80000000, v57
	v_xor_b32_e32 v62, 0x80000000, v59
                                        ; implicit-def: $vgpr64_vgpr65
	s_delay_alu instid0(VALU_DEP_2) | instskip(NEXT) | instid1(VALU_DEP_2)
	v_cndmask_b32_e32 v61, v57, v60, vcc_lo
	v_cndmask_b32_e64 v63, v59, v62, s3
	v_cndmask_b32_e32 v60, v56, v56, vcc_lo
	v_cndmask_b32_e64 v62, v58, v58, s3
	s_mov_b32 s3, exec_lo
	s_delay_alu instid0(VALU_DEP_1)
	v_cmpx_ngt_f64_e32 v[60:61], v[62:63]
	s_xor_b32 s3, exec_lo, s3
                                        ; implicit-def: $vgpr60_vgpr61_vgpr62_vgpr63
	s_cbranch_execz .LBB21_32
; %bb.31:
	v_div_scale_f64 v[60:61], null, v[58:59], v[58:59], v[56:57]
	v_div_scale_f64 v[66:67], vcc_lo, v[56:57], v[58:59], v[56:57]
	s_delay_alu instid0(VALU_DEP_2) | instskip(SKIP_2) | instid1(VALU_DEP_1)
	v_rcp_f64_e32 v[62:63], v[60:61]
	s_waitcnt_depctr 0xfff
	v_fma_f64 v[64:65], -v[60:61], v[62:63], 1.0
	v_fma_f64 v[62:63], v[62:63], v[64:65], v[62:63]
	s_delay_alu instid0(VALU_DEP_1) | instskip(NEXT) | instid1(VALU_DEP_1)
	v_fma_f64 v[64:65], -v[60:61], v[62:63], 1.0
	v_fma_f64 v[62:63], v[62:63], v[64:65], v[62:63]
	s_delay_alu instid0(VALU_DEP_1) | instskip(NEXT) | instid1(VALU_DEP_1)
	v_mul_f64 v[64:65], v[66:67], v[62:63]
	v_fma_f64 v[60:61], -v[60:61], v[64:65], v[66:67]
	s_delay_alu instid0(VALU_DEP_1) | instskip(NEXT) | instid1(VALU_DEP_1)
	v_div_fmas_f64 v[60:61], v[60:61], v[62:63], v[64:65]
	v_div_fixup_f64 v[60:61], v[60:61], v[58:59], v[56:57]
	s_delay_alu instid0(VALU_DEP_1) | instskip(NEXT) | instid1(VALU_DEP_1)
	v_fma_f64 v[56:57], v[56:57], v[60:61], v[58:59]
	v_div_scale_f64 v[58:59], null, v[56:57], v[56:57], 1.0
	s_delay_alu instid0(VALU_DEP_1) | instskip(SKIP_2) | instid1(VALU_DEP_1)
	v_rcp_f64_e32 v[62:63], v[58:59]
	s_waitcnt_depctr 0xfff
	v_fma_f64 v[64:65], -v[58:59], v[62:63], 1.0
	v_fma_f64 v[62:63], v[62:63], v[64:65], v[62:63]
	s_delay_alu instid0(VALU_DEP_1) | instskip(NEXT) | instid1(VALU_DEP_1)
	v_fma_f64 v[64:65], -v[58:59], v[62:63], 1.0
	v_fma_f64 v[62:63], v[62:63], v[64:65], v[62:63]
	v_div_scale_f64 v[64:65], vcc_lo, 1.0, v[56:57], 1.0
	s_delay_alu instid0(VALU_DEP_1) | instskip(NEXT) | instid1(VALU_DEP_1)
	v_mul_f64 v[66:67], v[64:65], v[62:63]
	v_fma_f64 v[58:59], -v[58:59], v[66:67], v[64:65]
	s_delay_alu instid0(VALU_DEP_1) | instskip(NEXT) | instid1(VALU_DEP_1)
	v_div_fmas_f64 v[58:59], v[58:59], v[62:63], v[66:67]
	v_div_fixup_f64 v[62:63], v[58:59], v[56:57], 1.0
                                        ; implicit-def: $vgpr56_vgpr57
	s_delay_alu instid0(VALU_DEP_1)
	v_mul_f64 v[64:65], v[60:61], v[62:63]
	v_xor_b32_e32 v63, 0x80000000, v63
.LBB21_32:
	s_and_not1_saveexec_b32 s3, s3
	s_cbranch_execz .LBB21_34
; %bb.33:
	v_div_scale_f64 v[60:61], null, v[56:57], v[56:57], v[58:59]
	v_div_scale_f64 v[66:67], vcc_lo, v[58:59], v[56:57], v[58:59]
	s_delay_alu instid0(VALU_DEP_2) | instskip(SKIP_2) | instid1(VALU_DEP_1)
	v_rcp_f64_e32 v[62:63], v[60:61]
	s_waitcnt_depctr 0xfff
	v_fma_f64 v[64:65], -v[60:61], v[62:63], 1.0
	v_fma_f64 v[62:63], v[62:63], v[64:65], v[62:63]
	s_delay_alu instid0(VALU_DEP_1) | instskip(NEXT) | instid1(VALU_DEP_1)
	v_fma_f64 v[64:65], -v[60:61], v[62:63], 1.0
	v_fma_f64 v[62:63], v[62:63], v[64:65], v[62:63]
	s_delay_alu instid0(VALU_DEP_1) | instskip(NEXT) | instid1(VALU_DEP_1)
	v_mul_f64 v[64:65], v[66:67], v[62:63]
	v_fma_f64 v[60:61], -v[60:61], v[64:65], v[66:67]
	s_delay_alu instid0(VALU_DEP_1) | instskip(NEXT) | instid1(VALU_DEP_1)
	v_div_fmas_f64 v[60:61], v[60:61], v[62:63], v[64:65]
	v_div_fixup_f64 v[60:61], v[60:61], v[56:57], v[58:59]
	s_delay_alu instid0(VALU_DEP_1) | instskip(NEXT) | instid1(VALU_DEP_1)
	v_fma_f64 v[56:57], v[58:59], v[60:61], v[56:57]
	v_div_scale_f64 v[58:59], null, v[56:57], v[56:57], 1.0
	s_delay_alu instid0(VALU_DEP_1) | instskip(SKIP_2) | instid1(VALU_DEP_1)
	v_rcp_f64_e32 v[62:63], v[58:59]
	s_waitcnt_depctr 0xfff
	v_fma_f64 v[64:65], -v[58:59], v[62:63], 1.0
	v_fma_f64 v[62:63], v[62:63], v[64:65], v[62:63]
	s_delay_alu instid0(VALU_DEP_1) | instskip(NEXT) | instid1(VALU_DEP_1)
	v_fma_f64 v[64:65], -v[58:59], v[62:63], 1.0
	v_fma_f64 v[62:63], v[62:63], v[64:65], v[62:63]
	v_div_scale_f64 v[64:65], vcc_lo, 1.0, v[56:57], 1.0
	s_delay_alu instid0(VALU_DEP_1) | instskip(NEXT) | instid1(VALU_DEP_1)
	v_mul_f64 v[66:67], v[64:65], v[62:63]
	v_fma_f64 v[58:59], -v[58:59], v[66:67], v[64:65]
	s_delay_alu instid0(VALU_DEP_1) | instskip(NEXT) | instid1(VALU_DEP_1)
	v_div_fmas_f64 v[58:59], v[58:59], v[62:63], v[66:67]
	v_div_fixup_f64 v[64:65], v[58:59], v[56:57], 1.0
	s_delay_alu instid0(VALU_DEP_1)
	v_mul_f64 v[62:63], v[60:61], -v[64:65]
.LBB21_34:
	s_or_b32 exec_lo, exec_lo, s3
	ds_store_2addr_b64 v115, v[64:65], v[62:63] offset1:1
.LBB21_35:
	s_or_b32 exec_lo, exec_lo, s4
	s_waitcnt lgkmcnt(0)
	s_barrier
	buffer_gl0_inv
	ds_load_2addr_b64 v[56:59], v115 offset1:1
	s_mov_b32 s3, exec_lo
	v_cmpx_lt_u32_e32 3, v114
	s_cbranch_execz .LBB21_37
; %bb.36:
	s_waitcnt lgkmcnt(0)
	v_mul_f64 v[60:61], v[56:57], v[30:31]
	v_mul_f64 v[30:31], v[58:59], v[30:31]
	s_delay_alu instid0(VALU_DEP_2)
	v_fma_f64 v[112:113], v[58:59], v[28:29], v[60:61]
	ds_load_2addr_b64 v[60:63], v116 offset0:8 offset1:9
	ds_load_2addr_b64 v[64:67], v116 offset0:10 offset1:11
	;; [unrolled: 1-line block ×7, first 2 shown]
	v_fma_f64 v[28:29], v[56:57], v[28:29], -v[30:31]
	s_waitcnt lgkmcnt(6)
	v_mul_f64 v[30:31], v[62:63], v[112:113]
	v_mul_f64 v[117:118], v[60:61], v[112:113]
	s_waitcnt lgkmcnt(5)
	v_mul_f64 v[119:120], v[66:67], v[112:113]
	v_mul_f64 v[121:122], v[64:65], v[112:113]
	;; [unrolled: 3-line block ×7, first 2 shown]
	v_fma_f64 v[30:31], v[60:61], v[28:29], -v[30:31]
	v_fma_f64 v[60:61], v[62:63], v[28:29], v[117:118]
	v_fma_f64 v[62:63], v[64:65], v[28:29], -v[119:120]
	v_fma_f64 v[64:65], v[66:67], v[28:29], v[121:122]
	;; [unrolled: 2-line block ×7, first 2 shown]
	v_add_f64 v[24:25], v[24:25], -v[30:31]
	v_add_f64 v[26:27], v[26:27], -v[60:61]
	;; [unrolled: 1-line block ×14, first 2 shown]
	v_dual_mov_b32 v30, v112 :: v_dual_mov_b32 v31, v113
.LBB21_37:
	s_or_b32 exec_lo, exec_lo, s3
	s_delay_alu instid0(SALU_CYCLE_1)
	s_mov_b32 s4, exec_lo
	s_waitcnt lgkmcnt(0)
	s_barrier
	buffer_gl0_inv
	v_cmpx_eq_u32_e32 4, v114
	s_cbranch_execz .LBB21_44
; %bb.38:
	ds_store_2addr_b64 v115, v[24:25], v[26:27] offset1:1
	ds_store_2addr_b64 v116, v[20:21], v[22:23] offset0:10 offset1:11
	ds_store_2addr_b64 v116, v[16:17], v[18:19] offset0:12 offset1:13
	;; [unrolled: 1-line block ×6, first 2 shown]
	ds_load_2addr_b64 v[60:63], v115 offset1:1
	s_waitcnt lgkmcnt(0)
	v_cmp_neq_f64_e32 vcc_lo, 0, v[60:61]
	v_cmp_neq_f64_e64 s3, 0, v[62:63]
	s_delay_alu instid0(VALU_DEP_1) | instskip(NEXT) | instid1(SALU_CYCLE_1)
	s_or_b32 s3, vcc_lo, s3
	s_and_b32 exec_lo, exec_lo, s3
	s_cbranch_execz .LBB21_44
; %bb.39:
	v_cmp_gt_f64_e32 vcc_lo, 0, v[60:61]
	v_cmp_gt_f64_e64 s3, 0, v[62:63]
	v_xor_b32_e32 v64, 0x80000000, v61
	v_xor_b32_e32 v66, 0x80000000, v63
                                        ; implicit-def: $vgpr68_vgpr69
	s_delay_alu instid0(VALU_DEP_2) | instskip(NEXT) | instid1(VALU_DEP_2)
	v_cndmask_b32_e32 v65, v61, v64, vcc_lo
	v_cndmask_b32_e64 v67, v63, v66, s3
	v_cndmask_b32_e32 v64, v60, v60, vcc_lo
	v_cndmask_b32_e64 v66, v62, v62, s3
	s_mov_b32 s3, exec_lo
	s_delay_alu instid0(VALU_DEP_1)
	v_cmpx_ngt_f64_e32 v[64:65], v[66:67]
	s_xor_b32 s3, exec_lo, s3
                                        ; implicit-def: $vgpr64_vgpr65_vgpr66_vgpr67
	s_cbranch_execz .LBB21_41
; %bb.40:
	v_div_scale_f64 v[64:65], null, v[62:63], v[62:63], v[60:61]
	v_div_scale_f64 v[70:71], vcc_lo, v[60:61], v[62:63], v[60:61]
	s_delay_alu instid0(VALU_DEP_2) | instskip(SKIP_2) | instid1(VALU_DEP_1)
	v_rcp_f64_e32 v[66:67], v[64:65]
	s_waitcnt_depctr 0xfff
	v_fma_f64 v[68:69], -v[64:65], v[66:67], 1.0
	v_fma_f64 v[66:67], v[66:67], v[68:69], v[66:67]
	s_delay_alu instid0(VALU_DEP_1) | instskip(NEXT) | instid1(VALU_DEP_1)
	v_fma_f64 v[68:69], -v[64:65], v[66:67], 1.0
	v_fma_f64 v[66:67], v[66:67], v[68:69], v[66:67]
	s_delay_alu instid0(VALU_DEP_1) | instskip(NEXT) | instid1(VALU_DEP_1)
	v_mul_f64 v[68:69], v[70:71], v[66:67]
	v_fma_f64 v[64:65], -v[64:65], v[68:69], v[70:71]
	s_delay_alu instid0(VALU_DEP_1) | instskip(NEXT) | instid1(VALU_DEP_1)
	v_div_fmas_f64 v[64:65], v[64:65], v[66:67], v[68:69]
	v_div_fixup_f64 v[64:65], v[64:65], v[62:63], v[60:61]
	s_delay_alu instid0(VALU_DEP_1) | instskip(NEXT) | instid1(VALU_DEP_1)
	v_fma_f64 v[60:61], v[60:61], v[64:65], v[62:63]
	v_div_scale_f64 v[62:63], null, v[60:61], v[60:61], 1.0
	s_delay_alu instid0(VALU_DEP_1) | instskip(SKIP_2) | instid1(VALU_DEP_1)
	v_rcp_f64_e32 v[66:67], v[62:63]
	s_waitcnt_depctr 0xfff
	v_fma_f64 v[68:69], -v[62:63], v[66:67], 1.0
	v_fma_f64 v[66:67], v[66:67], v[68:69], v[66:67]
	s_delay_alu instid0(VALU_DEP_1) | instskip(NEXT) | instid1(VALU_DEP_1)
	v_fma_f64 v[68:69], -v[62:63], v[66:67], 1.0
	v_fma_f64 v[66:67], v[66:67], v[68:69], v[66:67]
	v_div_scale_f64 v[68:69], vcc_lo, 1.0, v[60:61], 1.0
	s_delay_alu instid0(VALU_DEP_1) | instskip(NEXT) | instid1(VALU_DEP_1)
	v_mul_f64 v[70:71], v[68:69], v[66:67]
	v_fma_f64 v[62:63], -v[62:63], v[70:71], v[68:69]
	s_delay_alu instid0(VALU_DEP_1) | instskip(NEXT) | instid1(VALU_DEP_1)
	v_div_fmas_f64 v[62:63], v[62:63], v[66:67], v[70:71]
	v_div_fixup_f64 v[66:67], v[62:63], v[60:61], 1.0
                                        ; implicit-def: $vgpr60_vgpr61
	s_delay_alu instid0(VALU_DEP_1)
	v_mul_f64 v[68:69], v[64:65], v[66:67]
	v_xor_b32_e32 v67, 0x80000000, v67
.LBB21_41:
	s_and_not1_saveexec_b32 s3, s3
	s_cbranch_execz .LBB21_43
; %bb.42:
	v_div_scale_f64 v[64:65], null, v[60:61], v[60:61], v[62:63]
	v_div_scale_f64 v[70:71], vcc_lo, v[62:63], v[60:61], v[62:63]
	s_delay_alu instid0(VALU_DEP_2) | instskip(SKIP_2) | instid1(VALU_DEP_1)
	v_rcp_f64_e32 v[66:67], v[64:65]
	s_waitcnt_depctr 0xfff
	v_fma_f64 v[68:69], -v[64:65], v[66:67], 1.0
	v_fma_f64 v[66:67], v[66:67], v[68:69], v[66:67]
	s_delay_alu instid0(VALU_DEP_1) | instskip(NEXT) | instid1(VALU_DEP_1)
	v_fma_f64 v[68:69], -v[64:65], v[66:67], 1.0
	v_fma_f64 v[66:67], v[66:67], v[68:69], v[66:67]
	s_delay_alu instid0(VALU_DEP_1) | instskip(NEXT) | instid1(VALU_DEP_1)
	v_mul_f64 v[68:69], v[70:71], v[66:67]
	v_fma_f64 v[64:65], -v[64:65], v[68:69], v[70:71]
	s_delay_alu instid0(VALU_DEP_1) | instskip(NEXT) | instid1(VALU_DEP_1)
	v_div_fmas_f64 v[64:65], v[64:65], v[66:67], v[68:69]
	v_div_fixup_f64 v[64:65], v[64:65], v[60:61], v[62:63]
	s_delay_alu instid0(VALU_DEP_1) | instskip(NEXT) | instid1(VALU_DEP_1)
	v_fma_f64 v[60:61], v[62:63], v[64:65], v[60:61]
	v_div_scale_f64 v[62:63], null, v[60:61], v[60:61], 1.0
	s_delay_alu instid0(VALU_DEP_1) | instskip(SKIP_2) | instid1(VALU_DEP_1)
	v_rcp_f64_e32 v[66:67], v[62:63]
	s_waitcnt_depctr 0xfff
	v_fma_f64 v[68:69], -v[62:63], v[66:67], 1.0
	v_fma_f64 v[66:67], v[66:67], v[68:69], v[66:67]
	s_delay_alu instid0(VALU_DEP_1) | instskip(NEXT) | instid1(VALU_DEP_1)
	v_fma_f64 v[68:69], -v[62:63], v[66:67], 1.0
	v_fma_f64 v[66:67], v[66:67], v[68:69], v[66:67]
	v_div_scale_f64 v[68:69], vcc_lo, 1.0, v[60:61], 1.0
	s_delay_alu instid0(VALU_DEP_1) | instskip(NEXT) | instid1(VALU_DEP_1)
	v_mul_f64 v[70:71], v[68:69], v[66:67]
	v_fma_f64 v[62:63], -v[62:63], v[70:71], v[68:69]
	s_delay_alu instid0(VALU_DEP_1) | instskip(NEXT) | instid1(VALU_DEP_1)
	v_div_fmas_f64 v[62:63], v[62:63], v[66:67], v[70:71]
	v_div_fixup_f64 v[68:69], v[62:63], v[60:61], 1.0
	s_delay_alu instid0(VALU_DEP_1)
	v_mul_f64 v[66:67], v[64:65], -v[68:69]
.LBB21_43:
	s_or_b32 exec_lo, exec_lo, s3
	ds_store_2addr_b64 v115, v[68:69], v[66:67] offset1:1
.LBB21_44:
	s_or_b32 exec_lo, exec_lo, s4
	s_waitcnt lgkmcnt(0)
	s_barrier
	buffer_gl0_inv
	ds_load_2addr_b64 v[60:63], v115 offset1:1
	s_mov_b32 s3, exec_lo
	v_cmpx_lt_u32_e32 4, v114
	s_cbranch_execz .LBB21_46
; %bb.45:
	s_waitcnt lgkmcnt(0)
	v_mul_f64 v[64:65], v[60:61], v[26:27]
	v_mul_f64 v[26:27], v[62:63], v[26:27]
	s_delay_alu instid0(VALU_DEP_2)
	v_fma_f64 v[112:113], v[62:63], v[24:25], v[64:65]
	ds_load_2addr_b64 v[64:67], v116 offset0:10 offset1:11
	ds_load_2addr_b64 v[68:71], v116 offset0:12 offset1:13
	;; [unrolled: 1-line block ×6, first 2 shown]
	v_fma_f64 v[24:25], v[60:61], v[24:25], -v[26:27]
	s_waitcnt lgkmcnt(5)
	v_mul_f64 v[26:27], v[66:67], v[112:113]
	v_mul_f64 v[117:118], v[64:65], v[112:113]
	s_waitcnt lgkmcnt(4)
	v_mul_f64 v[119:120], v[70:71], v[112:113]
	v_mul_f64 v[121:122], v[68:69], v[112:113]
	;; [unrolled: 3-line block ×6, first 2 shown]
	v_fma_f64 v[26:27], v[64:65], v[24:25], -v[26:27]
	v_fma_f64 v[64:65], v[66:67], v[24:25], v[117:118]
	v_fma_f64 v[66:67], v[68:69], v[24:25], -v[119:120]
	v_fma_f64 v[68:69], v[70:71], v[24:25], v[121:122]
	;; [unrolled: 2-line block ×6, first 2 shown]
	v_add_f64 v[20:21], v[20:21], -v[26:27]
	v_add_f64 v[22:23], v[22:23], -v[64:65]
	;; [unrolled: 1-line block ×12, first 2 shown]
	v_dual_mov_b32 v26, v112 :: v_dual_mov_b32 v27, v113
.LBB21_46:
	s_or_b32 exec_lo, exec_lo, s3
	s_delay_alu instid0(SALU_CYCLE_1)
	s_mov_b32 s4, exec_lo
	s_waitcnt lgkmcnt(0)
	s_barrier
	buffer_gl0_inv
	v_cmpx_eq_u32_e32 5, v114
	s_cbranch_execz .LBB21_53
; %bb.47:
	ds_store_2addr_b64 v115, v[20:21], v[22:23] offset1:1
	ds_store_2addr_b64 v116, v[16:17], v[18:19] offset0:12 offset1:13
	ds_store_2addr_b64 v116, v[12:13], v[14:15] offset0:14 offset1:15
	;; [unrolled: 1-line block ×5, first 2 shown]
	ds_load_2addr_b64 v[64:67], v115 offset1:1
	s_waitcnt lgkmcnt(0)
	v_cmp_neq_f64_e32 vcc_lo, 0, v[64:65]
	v_cmp_neq_f64_e64 s3, 0, v[66:67]
	s_delay_alu instid0(VALU_DEP_1) | instskip(NEXT) | instid1(SALU_CYCLE_1)
	s_or_b32 s3, vcc_lo, s3
	s_and_b32 exec_lo, exec_lo, s3
	s_cbranch_execz .LBB21_53
; %bb.48:
	v_cmp_gt_f64_e32 vcc_lo, 0, v[64:65]
	v_cmp_gt_f64_e64 s3, 0, v[66:67]
	v_xor_b32_e32 v68, 0x80000000, v65
	v_xor_b32_e32 v70, 0x80000000, v67
                                        ; implicit-def: $vgpr72_vgpr73
	s_delay_alu instid0(VALU_DEP_2) | instskip(NEXT) | instid1(VALU_DEP_2)
	v_cndmask_b32_e32 v69, v65, v68, vcc_lo
	v_cndmask_b32_e64 v71, v67, v70, s3
	v_cndmask_b32_e32 v68, v64, v64, vcc_lo
	v_cndmask_b32_e64 v70, v66, v66, s3
	s_mov_b32 s3, exec_lo
	s_delay_alu instid0(VALU_DEP_1)
	v_cmpx_ngt_f64_e32 v[68:69], v[70:71]
	s_xor_b32 s3, exec_lo, s3
                                        ; implicit-def: $vgpr68_vgpr69_vgpr70_vgpr71
	s_cbranch_execz .LBB21_50
; %bb.49:
	v_div_scale_f64 v[68:69], null, v[66:67], v[66:67], v[64:65]
	v_div_scale_f64 v[74:75], vcc_lo, v[64:65], v[66:67], v[64:65]
	s_delay_alu instid0(VALU_DEP_2) | instskip(SKIP_2) | instid1(VALU_DEP_1)
	v_rcp_f64_e32 v[70:71], v[68:69]
	s_waitcnt_depctr 0xfff
	v_fma_f64 v[72:73], -v[68:69], v[70:71], 1.0
	v_fma_f64 v[70:71], v[70:71], v[72:73], v[70:71]
	s_delay_alu instid0(VALU_DEP_1) | instskip(NEXT) | instid1(VALU_DEP_1)
	v_fma_f64 v[72:73], -v[68:69], v[70:71], 1.0
	v_fma_f64 v[70:71], v[70:71], v[72:73], v[70:71]
	s_delay_alu instid0(VALU_DEP_1) | instskip(NEXT) | instid1(VALU_DEP_1)
	v_mul_f64 v[72:73], v[74:75], v[70:71]
	v_fma_f64 v[68:69], -v[68:69], v[72:73], v[74:75]
	s_delay_alu instid0(VALU_DEP_1) | instskip(NEXT) | instid1(VALU_DEP_1)
	v_div_fmas_f64 v[68:69], v[68:69], v[70:71], v[72:73]
	v_div_fixup_f64 v[68:69], v[68:69], v[66:67], v[64:65]
	s_delay_alu instid0(VALU_DEP_1) | instskip(NEXT) | instid1(VALU_DEP_1)
	v_fma_f64 v[64:65], v[64:65], v[68:69], v[66:67]
	v_div_scale_f64 v[66:67], null, v[64:65], v[64:65], 1.0
	s_delay_alu instid0(VALU_DEP_1) | instskip(SKIP_2) | instid1(VALU_DEP_1)
	v_rcp_f64_e32 v[70:71], v[66:67]
	s_waitcnt_depctr 0xfff
	v_fma_f64 v[72:73], -v[66:67], v[70:71], 1.0
	v_fma_f64 v[70:71], v[70:71], v[72:73], v[70:71]
	s_delay_alu instid0(VALU_DEP_1) | instskip(NEXT) | instid1(VALU_DEP_1)
	v_fma_f64 v[72:73], -v[66:67], v[70:71], 1.0
	v_fma_f64 v[70:71], v[70:71], v[72:73], v[70:71]
	v_div_scale_f64 v[72:73], vcc_lo, 1.0, v[64:65], 1.0
	s_delay_alu instid0(VALU_DEP_1) | instskip(NEXT) | instid1(VALU_DEP_1)
	v_mul_f64 v[74:75], v[72:73], v[70:71]
	v_fma_f64 v[66:67], -v[66:67], v[74:75], v[72:73]
	s_delay_alu instid0(VALU_DEP_1) | instskip(NEXT) | instid1(VALU_DEP_1)
	v_div_fmas_f64 v[66:67], v[66:67], v[70:71], v[74:75]
	v_div_fixup_f64 v[70:71], v[66:67], v[64:65], 1.0
                                        ; implicit-def: $vgpr64_vgpr65
	s_delay_alu instid0(VALU_DEP_1)
	v_mul_f64 v[72:73], v[68:69], v[70:71]
	v_xor_b32_e32 v71, 0x80000000, v71
.LBB21_50:
	s_and_not1_saveexec_b32 s3, s3
	s_cbranch_execz .LBB21_52
; %bb.51:
	v_div_scale_f64 v[68:69], null, v[64:65], v[64:65], v[66:67]
	v_div_scale_f64 v[74:75], vcc_lo, v[66:67], v[64:65], v[66:67]
	s_delay_alu instid0(VALU_DEP_2) | instskip(SKIP_2) | instid1(VALU_DEP_1)
	v_rcp_f64_e32 v[70:71], v[68:69]
	s_waitcnt_depctr 0xfff
	v_fma_f64 v[72:73], -v[68:69], v[70:71], 1.0
	v_fma_f64 v[70:71], v[70:71], v[72:73], v[70:71]
	s_delay_alu instid0(VALU_DEP_1) | instskip(NEXT) | instid1(VALU_DEP_1)
	v_fma_f64 v[72:73], -v[68:69], v[70:71], 1.0
	v_fma_f64 v[70:71], v[70:71], v[72:73], v[70:71]
	s_delay_alu instid0(VALU_DEP_1) | instskip(NEXT) | instid1(VALU_DEP_1)
	v_mul_f64 v[72:73], v[74:75], v[70:71]
	v_fma_f64 v[68:69], -v[68:69], v[72:73], v[74:75]
	s_delay_alu instid0(VALU_DEP_1) | instskip(NEXT) | instid1(VALU_DEP_1)
	v_div_fmas_f64 v[68:69], v[68:69], v[70:71], v[72:73]
	v_div_fixup_f64 v[68:69], v[68:69], v[64:65], v[66:67]
	s_delay_alu instid0(VALU_DEP_1) | instskip(NEXT) | instid1(VALU_DEP_1)
	v_fma_f64 v[64:65], v[66:67], v[68:69], v[64:65]
	v_div_scale_f64 v[66:67], null, v[64:65], v[64:65], 1.0
	s_delay_alu instid0(VALU_DEP_1) | instskip(SKIP_2) | instid1(VALU_DEP_1)
	v_rcp_f64_e32 v[70:71], v[66:67]
	s_waitcnt_depctr 0xfff
	v_fma_f64 v[72:73], -v[66:67], v[70:71], 1.0
	v_fma_f64 v[70:71], v[70:71], v[72:73], v[70:71]
	s_delay_alu instid0(VALU_DEP_1) | instskip(NEXT) | instid1(VALU_DEP_1)
	v_fma_f64 v[72:73], -v[66:67], v[70:71], 1.0
	v_fma_f64 v[70:71], v[70:71], v[72:73], v[70:71]
	v_div_scale_f64 v[72:73], vcc_lo, 1.0, v[64:65], 1.0
	s_delay_alu instid0(VALU_DEP_1) | instskip(NEXT) | instid1(VALU_DEP_1)
	v_mul_f64 v[74:75], v[72:73], v[70:71]
	v_fma_f64 v[66:67], -v[66:67], v[74:75], v[72:73]
	s_delay_alu instid0(VALU_DEP_1) | instskip(NEXT) | instid1(VALU_DEP_1)
	v_div_fmas_f64 v[66:67], v[66:67], v[70:71], v[74:75]
	v_div_fixup_f64 v[72:73], v[66:67], v[64:65], 1.0
	s_delay_alu instid0(VALU_DEP_1)
	v_mul_f64 v[70:71], v[68:69], -v[72:73]
.LBB21_52:
	s_or_b32 exec_lo, exec_lo, s3
	ds_store_2addr_b64 v115, v[72:73], v[70:71] offset1:1
.LBB21_53:
	s_or_b32 exec_lo, exec_lo, s4
	s_waitcnt lgkmcnt(0)
	s_barrier
	buffer_gl0_inv
	ds_load_2addr_b64 v[64:67], v115 offset1:1
	s_mov_b32 s3, exec_lo
	v_cmpx_lt_u32_e32 5, v114
	s_cbranch_execz .LBB21_55
; %bb.54:
	s_waitcnt lgkmcnt(0)
	v_mul_f64 v[68:69], v[64:65], v[22:23]
	v_mul_f64 v[22:23], v[66:67], v[22:23]
	s_delay_alu instid0(VALU_DEP_2)
	v_fma_f64 v[112:113], v[66:67], v[20:21], v[68:69]
	ds_load_2addr_b64 v[68:71], v116 offset0:12 offset1:13
	ds_load_2addr_b64 v[72:75], v116 offset0:14 offset1:15
	;; [unrolled: 1-line block ×5, first 2 shown]
	v_fma_f64 v[20:21], v[64:65], v[20:21], -v[22:23]
	s_waitcnt lgkmcnt(4)
	v_mul_f64 v[22:23], v[70:71], v[112:113]
	v_mul_f64 v[117:118], v[68:69], v[112:113]
	s_waitcnt lgkmcnt(3)
	v_mul_f64 v[119:120], v[74:75], v[112:113]
	v_mul_f64 v[121:122], v[72:73], v[112:113]
	s_waitcnt lgkmcnt(2)
	v_mul_f64 v[123:124], v[78:79], v[112:113]
	v_mul_f64 v[125:126], v[76:77], v[112:113]
	s_waitcnt lgkmcnt(1)
	v_mul_f64 v[127:128], v[82:83], v[112:113]
	v_mul_f64 v[129:130], v[80:81], v[112:113]
	s_waitcnt lgkmcnt(0)
	v_mul_f64 v[131:132], v[86:87], v[112:113]
	v_mul_f64 v[133:134], v[84:85], v[112:113]
	v_fma_f64 v[22:23], v[68:69], v[20:21], -v[22:23]
	v_fma_f64 v[68:69], v[70:71], v[20:21], v[117:118]
	v_fma_f64 v[70:71], v[72:73], v[20:21], -v[119:120]
	v_fma_f64 v[72:73], v[74:75], v[20:21], v[121:122]
	;; [unrolled: 2-line block ×5, first 2 shown]
	v_add_f64 v[16:17], v[16:17], -v[22:23]
	v_add_f64 v[18:19], v[18:19], -v[68:69]
	;; [unrolled: 1-line block ×10, first 2 shown]
	v_dual_mov_b32 v22, v112 :: v_dual_mov_b32 v23, v113
.LBB21_55:
	s_or_b32 exec_lo, exec_lo, s3
	s_delay_alu instid0(SALU_CYCLE_1)
	s_mov_b32 s4, exec_lo
	s_waitcnt lgkmcnt(0)
	s_barrier
	buffer_gl0_inv
	v_cmpx_eq_u32_e32 6, v114
	s_cbranch_execz .LBB21_62
; %bb.56:
	ds_store_2addr_b64 v115, v[16:17], v[18:19] offset1:1
	ds_store_2addr_b64 v116, v[12:13], v[14:15] offset0:14 offset1:15
	ds_store_2addr_b64 v116, v[8:9], v[10:11] offset0:16 offset1:17
	;; [unrolled: 1-line block ×4, first 2 shown]
	ds_load_2addr_b64 v[68:71], v115 offset1:1
	s_waitcnt lgkmcnt(0)
	v_cmp_neq_f64_e32 vcc_lo, 0, v[68:69]
	v_cmp_neq_f64_e64 s3, 0, v[70:71]
	s_delay_alu instid0(VALU_DEP_1) | instskip(NEXT) | instid1(SALU_CYCLE_1)
	s_or_b32 s3, vcc_lo, s3
	s_and_b32 exec_lo, exec_lo, s3
	s_cbranch_execz .LBB21_62
; %bb.57:
	v_cmp_gt_f64_e32 vcc_lo, 0, v[68:69]
	v_cmp_gt_f64_e64 s3, 0, v[70:71]
	v_xor_b32_e32 v72, 0x80000000, v69
	v_xor_b32_e32 v74, 0x80000000, v71
                                        ; implicit-def: $vgpr76_vgpr77
	s_delay_alu instid0(VALU_DEP_2) | instskip(NEXT) | instid1(VALU_DEP_2)
	v_cndmask_b32_e32 v73, v69, v72, vcc_lo
	v_cndmask_b32_e64 v75, v71, v74, s3
	v_cndmask_b32_e32 v72, v68, v68, vcc_lo
	v_cndmask_b32_e64 v74, v70, v70, s3
	s_mov_b32 s3, exec_lo
	s_delay_alu instid0(VALU_DEP_1)
	v_cmpx_ngt_f64_e32 v[72:73], v[74:75]
	s_xor_b32 s3, exec_lo, s3
                                        ; implicit-def: $vgpr72_vgpr73_vgpr74_vgpr75
	s_cbranch_execz .LBB21_59
; %bb.58:
	v_div_scale_f64 v[72:73], null, v[70:71], v[70:71], v[68:69]
	v_div_scale_f64 v[78:79], vcc_lo, v[68:69], v[70:71], v[68:69]
	s_delay_alu instid0(VALU_DEP_2) | instskip(SKIP_2) | instid1(VALU_DEP_1)
	v_rcp_f64_e32 v[74:75], v[72:73]
	s_waitcnt_depctr 0xfff
	v_fma_f64 v[76:77], -v[72:73], v[74:75], 1.0
	v_fma_f64 v[74:75], v[74:75], v[76:77], v[74:75]
	s_delay_alu instid0(VALU_DEP_1) | instskip(NEXT) | instid1(VALU_DEP_1)
	v_fma_f64 v[76:77], -v[72:73], v[74:75], 1.0
	v_fma_f64 v[74:75], v[74:75], v[76:77], v[74:75]
	s_delay_alu instid0(VALU_DEP_1) | instskip(NEXT) | instid1(VALU_DEP_1)
	v_mul_f64 v[76:77], v[78:79], v[74:75]
	v_fma_f64 v[72:73], -v[72:73], v[76:77], v[78:79]
	s_delay_alu instid0(VALU_DEP_1) | instskip(NEXT) | instid1(VALU_DEP_1)
	v_div_fmas_f64 v[72:73], v[72:73], v[74:75], v[76:77]
	v_div_fixup_f64 v[72:73], v[72:73], v[70:71], v[68:69]
	s_delay_alu instid0(VALU_DEP_1) | instskip(NEXT) | instid1(VALU_DEP_1)
	v_fma_f64 v[68:69], v[68:69], v[72:73], v[70:71]
	v_div_scale_f64 v[70:71], null, v[68:69], v[68:69], 1.0
	s_delay_alu instid0(VALU_DEP_1) | instskip(SKIP_2) | instid1(VALU_DEP_1)
	v_rcp_f64_e32 v[74:75], v[70:71]
	s_waitcnt_depctr 0xfff
	v_fma_f64 v[76:77], -v[70:71], v[74:75], 1.0
	v_fma_f64 v[74:75], v[74:75], v[76:77], v[74:75]
	s_delay_alu instid0(VALU_DEP_1) | instskip(NEXT) | instid1(VALU_DEP_1)
	v_fma_f64 v[76:77], -v[70:71], v[74:75], 1.0
	v_fma_f64 v[74:75], v[74:75], v[76:77], v[74:75]
	v_div_scale_f64 v[76:77], vcc_lo, 1.0, v[68:69], 1.0
	s_delay_alu instid0(VALU_DEP_1) | instskip(NEXT) | instid1(VALU_DEP_1)
	v_mul_f64 v[78:79], v[76:77], v[74:75]
	v_fma_f64 v[70:71], -v[70:71], v[78:79], v[76:77]
	s_delay_alu instid0(VALU_DEP_1) | instskip(NEXT) | instid1(VALU_DEP_1)
	v_div_fmas_f64 v[70:71], v[70:71], v[74:75], v[78:79]
	v_div_fixup_f64 v[74:75], v[70:71], v[68:69], 1.0
                                        ; implicit-def: $vgpr68_vgpr69
	s_delay_alu instid0(VALU_DEP_1)
	v_mul_f64 v[76:77], v[72:73], v[74:75]
	v_xor_b32_e32 v75, 0x80000000, v75
.LBB21_59:
	s_and_not1_saveexec_b32 s3, s3
	s_cbranch_execz .LBB21_61
; %bb.60:
	v_div_scale_f64 v[72:73], null, v[68:69], v[68:69], v[70:71]
	v_div_scale_f64 v[78:79], vcc_lo, v[70:71], v[68:69], v[70:71]
	s_delay_alu instid0(VALU_DEP_2) | instskip(SKIP_2) | instid1(VALU_DEP_1)
	v_rcp_f64_e32 v[74:75], v[72:73]
	s_waitcnt_depctr 0xfff
	v_fma_f64 v[76:77], -v[72:73], v[74:75], 1.0
	v_fma_f64 v[74:75], v[74:75], v[76:77], v[74:75]
	s_delay_alu instid0(VALU_DEP_1) | instskip(NEXT) | instid1(VALU_DEP_1)
	v_fma_f64 v[76:77], -v[72:73], v[74:75], 1.0
	v_fma_f64 v[74:75], v[74:75], v[76:77], v[74:75]
	s_delay_alu instid0(VALU_DEP_1) | instskip(NEXT) | instid1(VALU_DEP_1)
	v_mul_f64 v[76:77], v[78:79], v[74:75]
	v_fma_f64 v[72:73], -v[72:73], v[76:77], v[78:79]
	s_delay_alu instid0(VALU_DEP_1) | instskip(NEXT) | instid1(VALU_DEP_1)
	v_div_fmas_f64 v[72:73], v[72:73], v[74:75], v[76:77]
	v_div_fixup_f64 v[72:73], v[72:73], v[68:69], v[70:71]
	s_delay_alu instid0(VALU_DEP_1) | instskip(NEXT) | instid1(VALU_DEP_1)
	v_fma_f64 v[68:69], v[70:71], v[72:73], v[68:69]
	v_div_scale_f64 v[70:71], null, v[68:69], v[68:69], 1.0
	s_delay_alu instid0(VALU_DEP_1) | instskip(SKIP_2) | instid1(VALU_DEP_1)
	v_rcp_f64_e32 v[74:75], v[70:71]
	s_waitcnt_depctr 0xfff
	v_fma_f64 v[76:77], -v[70:71], v[74:75], 1.0
	v_fma_f64 v[74:75], v[74:75], v[76:77], v[74:75]
	s_delay_alu instid0(VALU_DEP_1) | instskip(NEXT) | instid1(VALU_DEP_1)
	v_fma_f64 v[76:77], -v[70:71], v[74:75], 1.0
	v_fma_f64 v[74:75], v[74:75], v[76:77], v[74:75]
	v_div_scale_f64 v[76:77], vcc_lo, 1.0, v[68:69], 1.0
	s_delay_alu instid0(VALU_DEP_1) | instskip(NEXT) | instid1(VALU_DEP_1)
	v_mul_f64 v[78:79], v[76:77], v[74:75]
	v_fma_f64 v[70:71], -v[70:71], v[78:79], v[76:77]
	s_delay_alu instid0(VALU_DEP_1) | instskip(NEXT) | instid1(VALU_DEP_1)
	v_div_fmas_f64 v[70:71], v[70:71], v[74:75], v[78:79]
	v_div_fixup_f64 v[76:77], v[70:71], v[68:69], 1.0
	s_delay_alu instid0(VALU_DEP_1)
	v_mul_f64 v[74:75], v[72:73], -v[76:77]
.LBB21_61:
	s_or_b32 exec_lo, exec_lo, s3
	ds_store_2addr_b64 v115, v[76:77], v[74:75] offset1:1
.LBB21_62:
	s_or_b32 exec_lo, exec_lo, s4
	s_waitcnt lgkmcnt(0)
	s_barrier
	buffer_gl0_inv
	ds_load_2addr_b64 v[68:71], v115 offset1:1
	s_mov_b32 s3, exec_lo
	v_cmpx_lt_u32_e32 6, v114
	s_cbranch_execz .LBB21_64
; %bb.63:
	s_waitcnt lgkmcnt(0)
	v_mul_f64 v[72:73], v[68:69], v[18:19]
	v_mul_f64 v[18:19], v[70:71], v[18:19]
	s_delay_alu instid0(VALU_DEP_2)
	v_fma_f64 v[112:113], v[70:71], v[16:17], v[72:73]
	ds_load_2addr_b64 v[72:75], v116 offset0:14 offset1:15
	ds_load_2addr_b64 v[76:79], v116 offset0:16 offset1:17
	;; [unrolled: 1-line block ×4, first 2 shown]
	v_fma_f64 v[16:17], v[68:69], v[16:17], -v[18:19]
	s_waitcnt lgkmcnt(3)
	v_mul_f64 v[18:19], v[74:75], v[112:113]
	v_mul_f64 v[117:118], v[72:73], v[112:113]
	s_waitcnt lgkmcnt(2)
	v_mul_f64 v[119:120], v[78:79], v[112:113]
	v_mul_f64 v[121:122], v[76:77], v[112:113]
	s_waitcnt lgkmcnt(1)
	v_mul_f64 v[123:124], v[82:83], v[112:113]
	v_mul_f64 v[125:126], v[80:81], v[112:113]
	s_waitcnt lgkmcnt(0)
	v_mul_f64 v[127:128], v[86:87], v[112:113]
	v_mul_f64 v[129:130], v[84:85], v[112:113]
	v_fma_f64 v[18:19], v[72:73], v[16:17], -v[18:19]
	v_fma_f64 v[72:73], v[74:75], v[16:17], v[117:118]
	v_fma_f64 v[74:75], v[76:77], v[16:17], -v[119:120]
	v_fma_f64 v[76:77], v[78:79], v[16:17], v[121:122]
	;; [unrolled: 2-line block ×4, first 2 shown]
	v_add_f64 v[12:13], v[12:13], -v[18:19]
	v_add_f64 v[14:15], v[14:15], -v[72:73]
	;; [unrolled: 1-line block ×8, first 2 shown]
	v_dual_mov_b32 v18, v112 :: v_dual_mov_b32 v19, v113
.LBB21_64:
	s_or_b32 exec_lo, exec_lo, s3
	s_delay_alu instid0(SALU_CYCLE_1)
	s_mov_b32 s4, exec_lo
	s_waitcnt lgkmcnt(0)
	s_barrier
	buffer_gl0_inv
	v_cmpx_eq_u32_e32 7, v114
	s_cbranch_execz .LBB21_71
; %bb.65:
	ds_store_2addr_b64 v115, v[12:13], v[14:15] offset1:1
	ds_store_2addr_b64 v116, v[8:9], v[10:11] offset0:16 offset1:17
	ds_store_2addr_b64 v116, v[4:5], v[6:7] offset0:18 offset1:19
	;; [unrolled: 1-line block ×3, first 2 shown]
	ds_load_2addr_b64 v[72:75], v115 offset1:1
	s_waitcnt lgkmcnt(0)
	v_cmp_neq_f64_e32 vcc_lo, 0, v[72:73]
	v_cmp_neq_f64_e64 s3, 0, v[74:75]
	s_delay_alu instid0(VALU_DEP_1) | instskip(NEXT) | instid1(SALU_CYCLE_1)
	s_or_b32 s3, vcc_lo, s3
	s_and_b32 exec_lo, exec_lo, s3
	s_cbranch_execz .LBB21_71
; %bb.66:
	v_cmp_gt_f64_e32 vcc_lo, 0, v[72:73]
	v_cmp_gt_f64_e64 s3, 0, v[74:75]
	v_xor_b32_e32 v76, 0x80000000, v73
	v_xor_b32_e32 v78, 0x80000000, v75
                                        ; implicit-def: $vgpr80_vgpr81
	s_delay_alu instid0(VALU_DEP_2) | instskip(NEXT) | instid1(VALU_DEP_2)
	v_cndmask_b32_e32 v77, v73, v76, vcc_lo
	v_cndmask_b32_e64 v79, v75, v78, s3
	v_cndmask_b32_e32 v76, v72, v72, vcc_lo
	v_cndmask_b32_e64 v78, v74, v74, s3
	s_mov_b32 s3, exec_lo
	s_delay_alu instid0(VALU_DEP_1)
	v_cmpx_ngt_f64_e32 v[76:77], v[78:79]
	s_xor_b32 s3, exec_lo, s3
                                        ; implicit-def: $vgpr76_vgpr77_vgpr78_vgpr79
	s_cbranch_execz .LBB21_68
; %bb.67:
	v_div_scale_f64 v[76:77], null, v[74:75], v[74:75], v[72:73]
	v_div_scale_f64 v[82:83], vcc_lo, v[72:73], v[74:75], v[72:73]
	s_delay_alu instid0(VALU_DEP_2) | instskip(SKIP_2) | instid1(VALU_DEP_1)
	v_rcp_f64_e32 v[78:79], v[76:77]
	s_waitcnt_depctr 0xfff
	v_fma_f64 v[80:81], -v[76:77], v[78:79], 1.0
	v_fma_f64 v[78:79], v[78:79], v[80:81], v[78:79]
	s_delay_alu instid0(VALU_DEP_1) | instskip(NEXT) | instid1(VALU_DEP_1)
	v_fma_f64 v[80:81], -v[76:77], v[78:79], 1.0
	v_fma_f64 v[78:79], v[78:79], v[80:81], v[78:79]
	s_delay_alu instid0(VALU_DEP_1) | instskip(NEXT) | instid1(VALU_DEP_1)
	v_mul_f64 v[80:81], v[82:83], v[78:79]
	v_fma_f64 v[76:77], -v[76:77], v[80:81], v[82:83]
	s_delay_alu instid0(VALU_DEP_1) | instskip(NEXT) | instid1(VALU_DEP_1)
	v_div_fmas_f64 v[76:77], v[76:77], v[78:79], v[80:81]
	v_div_fixup_f64 v[76:77], v[76:77], v[74:75], v[72:73]
	s_delay_alu instid0(VALU_DEP_1) | instskip(NEXT) | instid1(VALU_DEP_1)
	v_fma_f64 v[72:73], v[72:73], v[76:77], v[74:75]
	v_div_scale_f64 v[74:75], null, v[72:73], v[72:73], 1.0
	s_delay_alu instid0(VALU_DEP_1) | instskip(SKIP_2) | instid1(VALU_DEP_1)
	v_rcp_f64_e32 v[78:79], v[74:75]
	s_waitcnt_depctr 0xfff
	v_fma_f64 v[80:81], -v[74:75], v[78:79], 1.0
	v_fma_f64 v[78:79], v[78:79], v[80:81], v[78:79]
	s_delay_alu instid0(VALU_DEP_1) | instskip(NEXT) | instid1(VALU_DEP_1)
	v_fma_f64 v[80:81], -v[74:75], v[78:79], 1.0
	v_fma_f64 v[78:79], v[78:79], v[80:81], v[78:79]
	v_div_scale_f64 v[80:81], vcc_lo, 1.0, v[72:73], 1.0
	s_delay_alu instid0(VALU_DEP_1) | instskip(NEXT) | instid1(VALU_DEP_1)
	v_mul_f64 v[82:83], v[80:81], v[78:79]
	v_fma_f64 v[74:75], -v[74:75], v[82:83], v[80:81]
	s_delay_alu instid0(VALU_DEP_1) | instskip(NEXT) | instid1(VALU_DEP_1)
	v_div_fmas_f64 v[74:75], v[74:75], v[78:79], v[82:83]
	v_div_fixup_f64 v[78:79], v[74:75], v[72:73], 1.0
                                        ; implicit-def: $vgpr72_vgpr73
	s_delay_alu instid0(VALU_DEP_1)
	v_mul_f64 v[80:81], v[76:77], v[78:79]
	v_xor_b32_e32 v79, 0x80000000, v79
.LBB21_68:
	s_and_not1_saveexec_b32 s3, s3
	s_cbranch_execz .LBB21_70
; %bb.69:
	v_div_scale_f64 v[76:77], null, v[72:73], v[72:73], v[74:75]
	v_div_scale_f64 v[82:83], vcc_lo, v[74:75], v[72:73], v[74:75]
	s_delay_alu instid0(VALU_DEP_2) | instskip(SKIP_2) | instid1(VALU_DEP_1)
	v_rcp_f64_e32 v[78:79], v[76:77]
	s_waitcnt_depctr 0xfff
	v_fma_f64 v[80:81], -v[76:77], v[78:79], 1.0
	v_fma_f64 v[78:79], v[78:79], v[80:81], v[78:79]
	s_delay_alu instid0(VALU_DEP_1) | instskip(NEXT) | instid1(VALU_DEP_1)
	v_fma_f64 v[80:81], -v[76:77], v[78:79], 1.0
	v_fma_f64 v[78:79], v[78:79], v[80:81], v[78:79]
	s_delay_alu instid0(VALU_DEP_1) | instskip(NEXT) | instid1(VALU_DEP_1)
	v_mul_f64 v[80:81], v[82:83], v[78:79]
	v_fma_f64 v[76:77], -v[76:77], v[80:81], v[82:83]
	s_delay_alu instid0(VALU_DEP_1) | instskip(NEXT) | instid1(VALU_DEP_1)
	v_div_fmas_f64 v[76:77], v[76:77], v[78:79], v[80:81]
	v_div_fixup_f64 v[76:77], v[76:77], v[72:73], v[74:75]
	s_delay_alu instid0(VALU_DEP_1) | instskip(NEXT) | instid1(VALU_DEP_1)
	v_fma_f64 v[72:73], v[74:75], v[76:77], v[72:73]
	v_div_scale_f64 v[74:75], null, v[72:73], v[72:73], 1.0
	s_delay_alu instid0(VALU_DEP_1) | instskip(SKIP_2) | instid1(VALU_DEP_1)
	v_rcp_f64_e32 v[78:79], v[74:75]
	s_waitcnt_depctr 0xfff
	v_fma_f64 v[80:81], -v[74:75], v[78:79], 1.0
	v_fma_f64 v[78:79], v[78:79], v[80:81], v[78:79]
	s_delay_alu instid0(VALU_DEP_1) | instskip(NEXT) | instid1(VALU_DEP_1)
	v_fma_f64 v[80:81], -v[74:75], v[78:79], 1.0
	v_fma_f64 v[78:79], v[78:79], v[80:81], v[78:79]
	v_div_scale_f64 v[80:81], vcc_lo, 1.0, v[72:73], 1.0
	s_delay_alu instid0(VALU_DEP_1) | instskip(NEXT) | instid1(VALU_DEP_1)
	v_mul_f64 v[82:83], v[80:81], v[78:79]
	v_fma_f64 v[74:75], -v[74:75], v[82:83], v[80:81]
	s_delay_alu instid0(VALU_DEP_1) | instskip(NEXT) | instid1(VALU_DEP_1)
	v_div_fmas_f64 v[74:75], v[74:75], v[78:79], v[82:83]
	v_div_fixup_f64 v[80:81], v[74:75], v[72:73], 1.0
	s_delay_alu instid0(VALU_DEP_1)
	v_mul_f64 v[78:79], v[76:77], -v[80:81]
.LBB21_70:
	s_or_b32 exec_lo, exec_lo, s3
	ds_store_2addr_b64 v115, v[80:81], v[78:79] offset1:1
.LBB21_71:
	s_or_b32 exec_lo, exec_lo, s4
	s_waitcnt lgkmcnt(0)
	s_barrier
	buffer_gl0_inv
	ds_load_2addr_b64 v[72:75], v115 offset1:1
	s_mov_b32 s3, exec_lo
	v_cmpx_lt_u32_e32 7, v114
	s_cbranch_execz .LBB21_73
; %bb.72:
	s_waitcnt lgkmcnt(0)
	v_mul_f64 v[76:77], v[72:73], v[14:15]
	v_mul_f64 v[14:15], v[74:75], v[14:15]
	s_delay_alu instid0(VALU_DEP_2)
	v_fma_f64 v[112:113], v[74:75], v[12:13], v[76:77]
	ds_load_2addr_b64 v[76:79], v116 offset0:16 offset1:17
	ds_load_2addr_b64 v[80:83], v116 offset0:18 offset1:19
	;; [unrolled: 1-line block ×3, first 2 shown]
	v_fma_f64 v[12:13], v[72:73], v[12:13], -v[14:15]
	s_waitcnt lgkmcnt(2)
	v_mul_f64 v[14:15], v[78:79], v[112:113]
	v_mul_f64 v[117:118], v[76:77], v[112:113]
	s_waitcnt lgkmcnt(1)
	v_mul_f64 v[119:120], v[82:83], v[112:113]
	v_mul_f64 v[121:122], v[80:81], v[112:113]
	s_waitcnt lgkmcnt(0)
	v_mul_f64 v[123:124], v[86:87], v[112:113]
	v_mul_f64 v[125:126], v[84:85], v[112:113]
	v_fma_f64 v[14:15], v[76:77], v[12:13], -v[14:15]
	v_fma_f64 v[76:77], v[78:79], v[12:13], v[117:118]
	v_fma_f64 v[78:79], v[80:81], v[12:13], -v[119:120]
	v_fma_f64 v[80:81], v[82:83], v[12:13], v[121:122]
	;; [unrolled: 2-line block ×3, first 2 shown]
	v_add_f64 v[8:9], v[8:9], -v[14:15]
	v_add_f64 v[10:11], v[10:11], -v[76:77]
	;; [unrolled: 1-line block ×6, first 2 shown]
	v_dual_mov_b32 v14, v112 :: v_dual_mov_b32 v15, v113
.LBB21_73:
	s_or_b32 exec_lo, exec_lo, s3
	s_delay_alu instid0(SALU_CYCLE_1)
	s_mov_b32 s4, exec_lo
	s_waitcnt lgkmcnt(0)
	s_barrier
	buffer_gl0_inv
	v_cmpx_eq_u32_e32 8, v114
	s_cbranch_execz .LBB21_80
; %bb.74:
	ds_store_2addr_b64 v115, v[8:9], v[10:11] offset1:1
	ds_store_2addr_b64 v116, v[4:5], v[6:7] offset0:18 offset1:19
	ds_store_2addr_b64 v116, v[0:1], v[2:3] offset0:20 offset1:21
	ds_load_2addr_b64 v[76:79], v115 offset1:1
	s_waitcnt lgkmcnt(0)
	v_cmp_neq_f64_e32 vcc_lo, 0, v[76:77]
	v_cmp_neq_f64_e64 s3, 0, v[78:79]
	s_delay_alu instid0(VALU_DEP_1) | instskip(NEXT) | instid1(SALU_CYCLE_1)
	s_or_b32 s3, vcc_lo, s3
	s_and_b32 exec_lo, exec_lo, s3
	s_cbranch_execz .LBB21_80
; %bb.75:
	v_cmp_gt_f64_e32 vcc_lo, 0, v[76:77]
	v_cmp_gt_f64_e64 s3, 0, v[78:79]
	v_xor_b32_e32 v80, 0x80000000, v77
	v_xor_b32_e32 v82, 0x80000000, v79
                                        ; implicit-def: $vgpr84_vgpr85
	s_delay_alu instid0(VALU_DEP_2) | instskip(NEXT) | instid1(VALU_DEP_2)
	v_cndmask_b32_e32 v81, v77, v80, vcc_lo
	v_cndmask_b32_e64 v83, v79, v82, s3
	v_cndmask_b32_e32 v80, v76, v76, vcc_lo
	v_cndmask_b32_e64 v82, v78, v78, s3
	s_mov_b32 s3, exec_lo
	s_delay_alu instid0(VALU_DEP_1)
	v_cmpx_ngt_f64_e32 v[80:81], v[82:83]
	s_xor_b32 s3, exec_lo, s3
                                        ; implicit-def: $vgpr80_vgpr81_vgpr82_vgpr83
	s_cbranch_execz .LBB21_77
; %bb.76:
	v_div_scale_f64 v[80:81], null, v[78:79], v[78:79], v[76:77]
	v_div_scale_f64 v[86:87], vcc_lo, v[76:77], v[78:79], v[76:77]
	s_delay_alu instid0(VALU_DEP_2) | instskip(SKIP_2) | instid1(VALU_DEP_1)
	v_rcp_f64_e32 v[82:83], v[80:81]
	s_waitcnt_depctr 0xfff
	v_fma_f64 v[84:85], -v[80:81], v[82:83], 1.0
	v_fma_f64 v[82:83], v[82:83], v[84:85], v[82:83]
	s_delay_alu instid0(VALU_DEP_1) | instskip(NEXT) | instid1(VALU_DEP_1)
	v_fma_f64 v[84:85], -v[80:81], v[82:83], 1.0
	v_fma_f64 v[82:83], v[82:83], v[84:85], v[82:83]
	s_delay_alu instid0(VALU_DEP_1) | instskip(NEXT) | instid1(VALU_DEP_1)
	v_mul_f64 v[84:85], v[86:87], v[82:83]
	v_fma_f64 v[80:81], -v[80:81], v[84:85], v[86:87]
	s_delay_alu instid0(VALU_DEP_1) | instskip(NEXT) | instid1(VALU_DEP_1)
	v_div_fmas_f64 v[80:81], v[80:81], v[82:83], v[84:85]
	v_div_fixup_f64 v[80:81], v[80:81], v[78:79], v[76:77]
	s_delay_alu instid0(VALU_DEP_1) | instskip(NEXT) | instid1(VALU_DEP_1)
	v_fma_f64 v[76:77], v[76:77], v[80:81], v[78:79]
	v_div_scale_f64 v[78:79], null, v[76:77], v[76:77], 1.0
	s_delay_alu instid0(VALU_DEP_1) | instskip(SKIP_2) | instid1(VALU_DEP_1)
	v_rcp_f64_e32 v[82:83], v[78:79]
	s_waitcnt_depctr 0xfff
	v_fma_f64 v[84:85], -v[78:79], v[82:83], 1.0
	v_fma_f64 v[82:83], v[82:83], v[84:85], v[82:83]
	s_delay_alu instid0(VALU_DEP_1) | instskip(NEXT) | instid1(VALU_DEP_1)
	v_fma_f64 v[84:85], -v[78:79], v[82:83], 1.0
	v_fma_f64 v[82:83], v[82:83], v[84:85], v[82:83]
	v_div_scale_f64 v[84:85], vcc_lo, 1.0, v[76:77], 1.0
	s_delay_alu instid0(VALU_DEP_1) | instskip(NEXT) | instid1(VALU_DEP_1)
	v_mul_f64 v[86:87], v[84:85], v[82:83]
	v_fma_f64 v[78:79], -v[78:79], v[86:87], v[84:85]
	s_delay_alu instid0(VALU_DEP_1) | instskip(NEXT) | instid1(VALU_DEP_1)
	v_div_fmas_f64 v[78:79], v[78:79], v[82:83], v[86:87]
	v_div_fixup_f64 v[82:83], v[78:79], v[76:77], 1.0
                                        ; implicit-def: $vgpr76_vgpr77
	s_delay_alu instid0(VALU_DEP_1)
	v_mul_f64 v[84:85], v[80:81], v[82:83]
	v_xor_b32_e32 v83, 0x80000000, v83
.LBB21_77:
	s_and_not1_saveexec_b32 s3, s3
	s_cbranch_execz .LBB21_79
; %bb.78:
	v_div_scale_f64 v[80:81], null, v[76:77], v[76:77], v[78:79]
	v_div_scale_f64 v[86:87], vcc_lo, v[78:79], v[76:77], v[78:79]
	s_delay_alu instid0(VALU_DEP_2) | instskip(SKIP_2) | instid1(VALU_DEP_1)
	v_rcp_f64_e32 v[82:83], v[80:81]
	s_waitcnt_depctr 0xfff
	v_fma_f64 v[84:85], -v[80:81], v[82:83], 1.0
	v_fma_f64 v[82:83], v[82:83], v[84:85], v[82:83]
	s_delay_alu instid0(VALU_DEP_1) | instskip(NEXT) | instid1(VALU_DEP_1)
	v_fma_f64 v[84:85], -v[80:81], v[82:83], 1.0
	v_fma_f64 v[82:83], v[82:83], v[84:85], v[82:83]
	s_delay_alu instid0(VALU_DEP_1) | instskip(NEXT) | instid1(VALU_DEP_1)
	v_mul_f64 v[84:85], v[86:87], v[82:83]
	v_fma_f64 v[80:81], -v[80:81], v[84:85], v[86:87]
	s_delay_alu instid0(VALU_DEP_1) | instskip(NEXT) | instid1(VALU_DEP_1)
	v_div_fmas_f64 v[80:81], v[80:81], v[82:83], v[84:85]
	v_div_fixup_f64 v[80:81], v[80:81], v[76:77], v[78:79]
	s_delay_alu instid0(VALU_DEP_1) | instskip(NEXT) | instid1(VALU_DEP_1)
	v_fma_f64 v[76:77], v[78:79], v[80:81], v[76:77]
	v_div_scale_f64 v[78:79], null, v[76:77], v[76:77], 1.0
	s_delay_alu instid0(VALU_DEP_1) | instskip(SKIP_2) | instid1(VALU_DEP_1)
	v_rcp_f64_e32 v[82:83], v[78:79]
	s_waitcnt_depctr 0xfff
	v_fma_f64 v[84:85], -v[78:79], v[82:83], 1.0
	v_fma_f64 v[82:83], v[82:83], v[84:85], v[82:83]
	s_delay_alu instid0(VALU_DEP_1) | instskip(NEXT) | instid1(VALU_DEP_1)
	v_fma_f64 v[84:85], -v[78:79], v[82:83], 1.0
	v_fma_f64 v[82:83], v[82:83], v[84:85], v[82:83]
	v_div_scale_f64 v[84:85], vcc_lo, 1.0, v[76:77], 1.0
	s_delay_alu instid0(VALU_DEP_1) | instskip(NEXT) | instid1(VALU_DEP_1)
	v_mul_f64 v[86:87], v[84:85], v[82:83]
	v_fma_f64 v[78:79], -v[78:79], v[86:87], v[84:85]
	s_delay_alu instid0(VALU_DEP_1) | instskip(NEXT) | instid1(VALU_DEP_1)
	v_div_fmas_f64 v[78:79], v[78:79], v[82:83], v[86:87]
	v_div_fixup_f64 v[84:85], v[78:79], v[76:77], 1.0
	s_delay_alu instid0(VALU_DEP_1)
	v_mul_f64 v[82:83], v[80:81], -v[84:85]
.LBB21_79:
	s_or_b32 exec_lo, exec_lo, s3
	ds_store_2addr_b64 v115, v[84:85], v[82:83] offset1:1
.LBB21_80:
	s_or_b32 exec_lo, exec_lo, s4
	s_waitcnt lgkmcnt(0)
	s_barrier
	buffer_gl0_inv
	ds_load_2addr_b64 v[76:79], v115 offset1:1
	s_mov_b32 s3, exec_lo
	v_cmpx_lt_u32_e32 8, v114
	s_cbranch_execz .LBB21_82
; %bb.81:
	s_waitcnt lgkmcnt(0)
	v_mul_f64 v[80:81], v[76:77], v[10:11]
	v_mul_f64 v[10:11], v[78:79], v[10:11]
	s_delay_alu instid0(VALU_DEP_2)
	v_fma_f64 v[112:113], v[78:79], v[8:9], v[80:81]
	ds_load_2addr_b64 v[80:83], v116 offset0:18 offset1:19
	ds_load_2addr_b64 v[84:87], v116 offset0:20 offset1:21
	v_fma_f64 v[8:9], v[76:77], v[8:9], -v[10:11]
	s_waitcnt lgkmcnt(1)
	v_mul_f64 v[10:11], v[82:83], v[112:113]
	v_mul_f64 v[117:118], v[80:81], v[112:113]
	s_waitcnt lgkmcnt(0)
	v_mul_f64 v[119:120], v[86:87], v[112:113]
	v_mul_f64 v[121:122], v[84:85], v[112:113]
	s_delay_alu instid0(VALU_DEP_4) | instskip(NEXT) | instid1(VALU_DEP_4)
	v_fma_f64 v[10:11], v[80:81], v[8:9], -v[10:11]
	v_fma_f64 v[80:81], v[82:83], v[8:9], v[117:118]
	s_delay_alu instid0(VALU_DEP_4) | instskip(NEXT) | instid1(VALU_DEP_4)
	v_fma_f64 v[82:83], v[84:85], v[8:9], -v[119:120]
	v_fma_f64 v[84:85], v[86:87], v[8:9], v[121:122]
	s_delay_alu instid0(VALU_DEP_4) | instskip(NEXT) | instid1(VALU_DEP_4)
	v_add_f64 v[4:5], v[4:5], -v[10:11]
	v_add_f64 v[6:7], v[6:7], -v[80:81]
	s_delay_alu instid0(VALU_DEP_4) | instskip(NEXT) | instid1(VALU_DEP_4)
	v_add_f64 v[0:1], v[0:1], -v[82:83]
	v_add_f64 v[2:3], v[2:3], -v[84:85]
	v_dual_mov_b32 v10, v112 :: v_dual_mov_b32 v11, v113
.LBB21_82:
	s_or_b32 exec_lo, exec_lo, s3
	s_delay_alu instid0(SALU_CYCLE_1)
	s_mov_b32 s4, exec_lo
	s_waitcnt lgkmcnt(0)
	s_barrier
	buffer_gl0_inv
	v_cmpx_eq_u32_e32 9, v114
	s_cbranch_execz .LBB21_89
; %bb.83:
	ds_store_2addr_b64 v115, v[4:5], v[6:7] offset1:1
	ds_store_2addr_b64 v116, v[0:1], v[2:3] offset0:20 offset1:21
	ds_load_2addr_b64 v[80:83], v115 offset1:1
	s_waitcnt lgkmcnt(0)
	v_cmp_neq_f64_e32 vcc_lo, 0, v[80:81]
	v_cmp_neq_f64_e64 s3, 0, v[82:83]
	s_delay_alu instid0(VALU_DEP_1) | instskip(NEXT) | instid1(SALU_CYCLE_1)
	s_or_b32 s3, vcc_lo, s3
	s_and_b32 exec_lo, exec_lo, s3
	s_cbranch_execz .LBB21_89
; %bb.84:
	v_cmp_gt_f64_e32 vcc_lo, 0, v[80:81]
	v_cmp_gt_f64_e64 s3, 0, v[82:83]
	v_xor_b32_e32 v84, 0x80000000, v81
	v_xor_b32_e32 v86, 0x80000000, v83
                                        ; implicit-def: $vgpr112_vgpr113
	s_delay_alu instid0(VALU_DEP_2) | instskip(NEXT) | instid1(VALU_DEP_2)
	v_cndmask_b32_e32 v85, v81, v84, vcc_lo
	v_cndmask_b32_e64 v87, v83, v86, s3
	v_cndmask_b32_e32 v84, v80, v80, vcc_lo
	v_cndmask_b32_e64 v86, v82, v82, s3
	s_mov_b32 s3, exec_lo
	s_delay_alu instid0(VALU_DEP_1)
	v_cmpx_ngt_f64_e32 v[84:85], v[86:87]
	s_xor_b32 s3, exec_lo, s3
                                        ; implicit-def: $vgpr84_vgpr85_vgpr86_vgpr87
	s_cbranch_execz .LBB21_86
; %bb.85:
	v_div_scale_f64 v[84:85], null, v[82:83], v[82:83], v[80:81]
	v_div_scale_f64 v[117:118], vcc_lo, v[80:81], v[82:83], v[80:81]
	s_delay_alu instid0(VALU_DEP_2) | instskip(SKIP_2) | instid1(VALU_DEP_1)
	v_rcp_f64_e32 v[86:87], v[84:85]
	s_waitcnt_depctr 0xfff
	v_fma_f64 v[112:113], -v[84:85], v[86:87], 1.0
	v_fma_f64 v[86:87], v[86:87], v[112:113], v[86:87]
	s_delay_alu instid0(VALU_DEP_1) | instskip(NEXT) | instid1(VALU_DEP_1)
	v_fma_f64 v[112:113], -v[84:85], v[86:87], 1.0
	v_fma_f64 v[86:87], v[86:87], v[112:113], v[86:87]
	s_delay_alu instid0(VALU_DEP_1) | instskip(NEXT) | instid1(VALU_DEP_1)
	v_mul_f64 v[112:113], v[117:118], v[86:87]
	v_fma_f64 v[84:85], -v[84:85], v[112:113], v[117:118]
	s_delay_alu instid0(VALU_DEP_1) | instskip(NEXT) | instid1(VALU_DEP_1)
	v_div_fmas_f64 v[84:85], v[84:85], v[86:87], v[112:113]
	v_div_fixup_f64 v[84:85], v[84:85], v[82:83], v[80:81]
	s_delay_alu instid0(VALU_DEP_1) | instskip(NEXT) | instid1(VALU_DEP_1)
	v_fma_f64 v[80:81], v[80:81], v[84:85], v[82:83]
	v_div_scale_f64 v[82:83], null, v[80:81], v[80:81], 1.0
	s_delay_alu instid0(VALU_DEP_1) | instskip(SKIP_2) | instid1(VALU_DEP_1)
	v_rcp_f64_e32 v[86:87], v[82:83]
	s_waitcnt_depctr 0xfff
	v_fma_f64 v[112:113], -v[82:83], v[86:87], 1.0
	v_fma_f64 v[86:87], v[86:87], v[112:113], v[86:87]
	s_delay_alu instid0(VALU_DEP_1) | instskip(NEXT) | instid1(VALU_DEP_1)
	v_fma_f64 v[112:113], -v[82:83], v[86:87], 1.0
	v_fma_f64 v[86:87], v[86:87], v[112:113], v[86:87]
	v_div_scale_f64 v[112:113], vcc_lo, 1.0, v[80:81], 1.0
	s_delay_alu instid0(VALU_DEP_1) | instskip(NEXT) | instid1(VALU_DEP_1)
	v_mul_f64 v[117:118], v[112:113], v[86:87]
	v_fma_f64 v[82:83], -v[82:83], v[117:118], v[112:113]
	s_delay_alu instid0(VALU_DEP_1) | instskip(NEXT) | instid1(VALU_DEP_1)
	v_div_fmas_f64 v[82:83], v[82:83], v[86:87], v[117:118]
	v_div_fixup_f64 v[86:87], v[82:83], v[80:81], 1.0
                                        ; implicit-def: $vgpr80_vgpr81
	s_delay_alu instid0(VALU_DEP_1)
	v_mul_f64 v[112:113], v[84:85], v[86:87]
	v_xor_b32_e32 v87, 0x80000000, v87
.LBB21_86:
	s_and_not1_saveexec_b32 s3, s3
	s_cbranch_execz .LBB21_88
; %bb.87:
	v_div_scale_f64 v[84:85], null, v[80:81], v[80:81], v[82:83]
	v_div_scale_f64 v[117:118], vcc_lo, v[82:83], v[80:81], v[82:83]
	s_delay_alu instid0(VALU_DEP_2) | instskip(SKIP_2) | instid1(VALU_DEP_1)
	v_rcp_f64_e32 v[86:87], v[84:85]
	s_waitcnt_depctr 0xfff
	v_fma_f64 v[112:113], -v[84:85], v[86:87], 1.0
	v_fma_f64 v[86:87], v[86:87], v[112:113], v[86:87]
	s_delay_alu instid0(VALU_DEP_1) | instskip(NEXT) | instid1(VALU_DEP_1)
	v_fma_f64 v[112:113], -v[84:85], v[86:87], 1.0
	v_fma_f64 v[86:87], v[86:87], v[112:113], v[86:87]
	s_delay_alu instid0(VALU_DEP_1) | instskip(NEXT) | instid1(VALU_DEP_1)
	v_mul_f64 v[112:113], v[117:118], v[86:87]
	v_fma_f64 v[84:85], -v[84:85], v[112:113], v[117:118]
	s_delay_alu instid0(VALU_DEP_1) | instskip(NEXT) | instid1(VALU_DEP_1)
	v_div_fmas_f64 v[84:85], v[84:85], v[86:87], v[112:113]
	v_div_fixup_f64 v[84:85], v[84:85], v[80:81], v[82:83]
	s_delay_alu instid0(VALU_DEP_1) | instskip(NEXT) | instid1(VALU_DEP_1)
	v_fma_f64 v[80:81], v[82:83], v[84:85], v[80:81]
	v_div_scale_f64 v[82:83], null, v[80:81], v[80:81], 1.0
	s_delay_alu instid0(VALU_DEP_1) | instskip(SKIP_2) | instid1(VALU_DEP_1)
	v_rcp_f64_e32 v[86:87], v[82:83]
	s_waitcnt_depctr 0xfff
	v_fma_f64 v[112:113], -v[82:83], v[86:87], 1.0
	v_fma_f64 v[86:87], v[86:87], v[112:113], v[86:87]
	s_delay_alu instid0(VALU_DEP_1) | instskip(NEXT) | instid1(VALU_DEP_1)
	v_fma_f64 v[112:113], -v[82:83], v[86:87], 1.0
	v_fma_f64 v[86:87], v[86:87], v[112:113], v[86:87]
	v_div_scale_f64 v[112:113], vcc_lo, 1.0, v[80:81], 1.0
	s_delay_alu instid0(VALU_DEP_1) | instskip(NEXT) | instid1(VALU_DEP_1)
	v_mul_f64 v[117:118], v[112:113], v[86:87]
	v_fma_f64 v[82:83], -v[82:83], v[117:118], v[112:113]
	s_delay_alu instid0(VALU_DEP_1) | instskip(NEXT) | instid1(VALU_DEP_1)
	v_div_fmas_f64 v[82:83], v[82:83], v[86:87], v[117:118]
	v_div_fixup_f64 v[112:113], v[82:83], v[80:81], 1.0
	s_delay_alu instid0(VALU_DEP_1)
	v_mul_f64 v[86:87], v[84:85], -v[112:113]
.LBB21_88:
	s_or_b32 exec_lo, exec_lo, s3
	ds_store_2addr_b64 v115, v[112:113], v[86:87] offset1:1
.LBB21_89:
	s_or_b32 exec_lo, exec_lo, s4
	s_waitcnt lgkmcnt(0)
	s_barrier
	buffer_gl0_inv
	ds_load_2addr_b64 v[80:83], v115 offset1:1
	s_mov_b32 s3, exec_lo
	v_cmpx_lt_u32_e32 9, v114
	s_cbranch_execz .LBB21_91
; %bb.90:
	s_waitcnt lgkmcnt(0)
	v_mul_f64 v[84:85], v[80:81], v[6:7]
	v_mul_f64 v[6:7], v[82:83], v[6:7]
	s_delay_alu instid0(VALU_DEP_2)
	v_fma_f64 v[112:113], v[82:83], v[4:5], v[84:85]
	ds_load_2addr_b64 v[84:87], v116 offset0:20 offset1:21
	v_fma_f64 v[4:5], v[80:81], v[4:5], -v[6:7]
	s_waitcnt lgkmcnt(0)
	v_mul_f64 v[6:7], v[86:87], v[112:113]
	v_mul_f64 v[116:117], v[84:85], v[112:113]
	s_delay_alu instid0(VALU_DEP_2) | instskip(NEXT) | instid1(VALU_DEP_2)
	v_fma_f64 v[6:7], v[84:85], v[4:5], -v[6:7]
	v_fma_f64 v[84:85], v[86:87], v[4:5], v[116:117]
	s_delay_alu instid0(VALU_DEP_2) | instskip(NEXT) | instid1(VALU_DEP_2)
	v_add_f64 v[0:1], v[0:1], -v[6:7]
	v_add_f64 v[2:3], v[2:3], -v[84:85]
	v_dual_mov_b32 v6, v112 :: v_dual_mov_b32 v7, v113
.LBB21_91:
	s_or_b32 exec_lo, exec_lo, s3
	s_delay_alu instid0(SALU_CYCLE_1)
	s_mov_b32 s4, exec_lo
	s_waitcnt lgkmcnt(0)
	s_barrier
	buffer_gl0_inv
	v_cmpx_eq_u32_e32 10, v114
	s_cbranch_execz .LBB21_98
; %bb.92:
	v_cmp_neq_f64_e32 vcc_lo, 0, v[0:1]
	v_cmp_neq_f64_e64 s3, 0, v[2:3]
	ds_store_2addr_b64 v115, v[0:1], v[2:3] offset1:1
	s_or_b32 s3, vcc_lo, s3
	s_delay_alu instid0(SALU_CYCLE_1)
	s_and_b32 exec_lo, exec_lo, s3
	s_cbranch_execz .LBB21_98
; %bb.93:
	v_cmp_gt_f64_e32 vcc_lo, 0, v[0:1]
	v_cmp_gt_f64_e64 s3, 0, v[2:3]
	v_xor_b32_e32 v84, 0x80000000, v1
	v_xor_b32_e32 v86, 0x80000000, v3
                                        ; implicit-def: $vgpr112_vgpr113
	s_delay_alu instid0(VALU_DEP_2) | instskip(NEXT) | instid1(VALU_DEP_2)
	v_cndmask_b32_e32 v85, v1, v84, vcc_lo
	v_cndmask_b32_e64 v87, v3, v86, s3
	v_cndmask_b32_e32 v84, v0, v0, vcc_lo
	v_cndmask_b32_e64 v86, v2, v2, s3
	s_mov_b32 s3, exec_lo
	s_delay_alu instid0(VALU_DEP_1)
	v_cmpx_ngt_f64_e32 v[84:85], v[86:87]
	s_xor_b32 s3, exec_lo, s3
                                        ; implicit-def: $vgpr84_vgpr85_vgpr86_vgpr87
	s_cbranch_execz .LBB21_95
; %bb.94:
	v_div_scale_f64 v[84:85], null, v[2:3], v[2:3], v[0:1]
	v_div_scale_f64 v[116:117], vcc_lo, v[0:1], v[2:3], v[0:1]
	s_delay_alu instid0(VALU_DEP_2) | instskip(SKIP_2) | instid1(VALU_DEP_1)
	v_rcp_f64_e32 v[86:87], v[84:85]
	s_waitcnt_depctr 0xfff
	v_fma_f64 v[112:113], -v[84:85], v[86:87], 1.0
	v_fma_f64 v[86:87], v[86:87], v[112:113], v[86:87]
	s_delay_alu instid0(VALU_DEP_1) | instskip(NEXT) | instid1(VALU_DEP_1)
	v_fma_f64 v[112:113], -v[84:85], v[86:87], 1.0
	v_fma_f64 v[86:87], v[86:87], v[112:113], v[86:87]
	s_delay_alu instid0(VALU_DEP_1) | instskip(NEXT) | instid1(VALU_DEP_1)
	v_mul_f64 v[112:113], v[116:117], v[86:87]
	v_fma_f64 v[84:85], -v[84:85], v[112:113], v[116:117]
	s_delay_alu instid0(VALU_DEP_1) | instskip(NEXT) | instid1(VALU_DEP_1)
	v_div_fmas_f64 v[84:85], v[84:85], v[86:87], v[112:113]
	v_div_fixup_f64 v[84:85], v[84:85], v[2:3], v[0:1]
	s_delay_alu instid0(VALU_DEP_1) | instskip(NEXT) | instid1(VALU_DEP_1)
	v_fma_f64 v[86:87], v[0:1], v[84:85], v[2:3]
	v_div_scale_f64 v[112:113], null, v[86:87], v[86:87], 1.0
	s_delay_alu instid0(VALU_DEP_1) | instskip(SKIP_2) | instid1(VALU_DEP_1)
	v_rcp_f64_e32 v[116:117], v[112:113]
	s_waitcnt_depctr 0xfff
	v_fma_f64 v[118:119], -v[112:113], v[116:117], 1.0
	v_fma_f64 v[116:117], v[116:117], v[118:119], v[116:117]
	s_delay_alu instid0(VALU_DEP_1) | instskip(NEXT) | instid1(VALU_DEP_1)
	v_fma_f64 v[118:119], -v[112:113], v[116:117], 1.0
	v_fma_f64 v[116:117], v[116:117], v[118:119], v[116:117]
	v_div_scale_f64 v[118:119], vcc_lo, 1.0, v[86:87], 1.0
	s_delay_alu instid0(VALU_DEP_1) | instskip(NEXT) | instid1(VALU_DEP_1)
	v_mul_f64 v[120:121], v[118:119], v[116:117]
	v_fma_f64 v[112:113], -v[112:113], v[120:121], v[118:119]
	s_delay_alu instid0(VALU_DEP_1) | instskip(NEXT) | instid1(VALU_DEP_1)
	v_div_fmas_f64 v[112:113], v[112:113], v[116:117], v[120:121]
	v_div_fixup_f64 v[86:87], v[112:113], v[86:87], 1.0
	s_delay_alu instid0(VALU_DEP_1)
	v_mul_f64 v[112:113], v[84:85], v[86:87]
	v_xor_b32_e32 v87, 0x80000000, v87
.LBB21_95:
	s_and_not1_saveexec_b32 s3, s3
	s_cbranch_execz .LBB21_97
; %bb.96:
	v_div_scale_f64 v[84:85], null, v[0:1], v[0:1], v[2:3]
	v_div_scale_f64 v[116:117], vcc_lo, v[2:3], v[0:1], v[2:3]
	s_delay_alu instid0(VALU_DEP_2) | instskip(SKIP_2) | instid1(VALU_DEP_1)
	v_rcp_f64_e32 v[86:87], v[84:85]
	s_waitcnt_depctr 0xfff
	v_fma_f64 v[112:113], -v[84:85], v[86:87], 1.0
	v_fma_f64 v[86:87], v[86:87], v[112:113], v[86:87]
	s_delay_alu instid0(VALU_DEP_1) | instskip(NEXT) | instid1(VALU_DEP_1)
	v_fma_f64 v[112:113], -v[84:85], v[86:87], 1.0
	v_fma_f64 v[86:87], v[86:87], v[112:113], v[86:87]
	s_delay_alu instid0(VALU_DEP_1) | instskip(NEXT) | instid1(VALU_DEP_1)
	v_mul_f64 v[112:113], v[116:117], v[86:87]
	v_fma_f64 v[84:85], -v[84:85], v[112:113], v[116:117]
	s_delay_alu instid0(VALU_DEP_1) | instskip(NEXT) | instid1(VALU_DEP_1)
	v_div_fmas_f64 v[84:85], v[84:85], v[86:87], v[112:113]
	v_div_fixup_f64 v[84:85], v[84:85], v[0:1], v[2:3]
	s_delay_alu instid0(VALU_DEP_1) | instskip(NEXT) | instid1(VALU_DEP_1)
	v_fma_f64 v[86:87], v[2:3], v[84:85], v[0:1]
	v_div_scale_f64 v[112:113], null, v[86:87], v[86:87], 1.0
	s_delay_alu instid0(VALU_DEP_1) | instskip(SKIP_2) | instid1(VALU_DEP_1)
	v_rcp_f64_e32 v[116:117], v[112:113]
	s_waitcnt_depctr 0xfff
	v_fma_f64 v[118:119], -v[112:113], v[116:117], 1.0
	v_fma_f64 v[116:117], v[116:117], v[118:119], v[116:117]
	s_delay_alu instid0(VALU_DEP_1) | instskip(NEXT) | instid1(VALU_DEP_1)
	v_fma_f64 v[118:119], -v[112:113], v[116:117], 1.0
	v_fma_f64 v[116:117], v[116:117], v[118:119], v[116:117]
	v_div_scale_f64 v[118:119], vcc_lo, 1.0, v[86:87], 1.0
	s_delay_alu instid0(VALU_DEP_1) | instskip(NEXT) | instid1(VALU_DEP_1)
	v_mul_f64 v[120:121], v[118:119], v[116:117]
	v_fma_f64 v[112:113], -v[112:113], v[120:121], v[118:119]
	s_delay_alu instid0(VALU_DEP_1) | instskip(NEXT) | instid1(VALU_DEP_1)
	v_div_fmas_f64 v[112:113], v[112:113], v[116:117], v[120:121]
	v_div_fixup_f64 v[112:113], v[112:113], v[86:87], 1.0
	s_delay_alu instid0(VALU_DEP_1)
	v_mul_f64 v[86:87], v[84:85], -v[112:113]
.LBB21_97:
	s_or_b32 exec_lo, exec_lo, s3
	ds_store_2addr_b64 v115, v[112:113], v[86:87] offset1:1
.LBB21_98:
	s_or_b32 exec_lo, exec_lo, s4
	s_waitcnt lgkmcnt(0)
	s_barrier
	buffer_gl0_inv
	ds_load_2addr_b64 v[84:87], v115 offset1:1
	s_mov_b32 s3, exec_lo
	v_cmpx_lt_u32_e32 10, v114
	s_cbranch_execz .LBB21_100
; %bb.99:
	s_waitcnt lgkmcnt(0)
	v_mul_f64 v[112:113], v[86:87], v[2:3]
	v_mul_f64 v[2:3], v[84:85], v[2:3]
	s_delay_alu instid0(VALU_DEP_2) | instskip(NEXT) | instid1(VALU_DEP_2)
	v_fma_f64 v[112:113], v[84:85], v[0:1], -v[112:113]
	v_fma_f64 v[2:3], v[86:87], v[0:1], v[2:3]
	s_delay_alu instid0(VALU_DEP_2)
	v_dual_mov_b32 v0, v112 :: v_dual_mov_b32 v1, v113
.LBB21_100:
	s_or_b32 exec_lo, exec_lo, s3
	s_waitcnt lgkmcnt(0)
	s_barrier
	buffer_gl0_inv
	s_and_saveexec_b32 s10, s2
	s_cbranch_execz .LBB21_103
; %bb.101:
	s_load_b64 s[0:1], s[0:1], 0x28
	v_lshlrev_b64 v[88:89], 2, v[88:89]
	v_cmp_neq_f64_e64 s2, 0, v[50:51]
	v_cmp_eq_f64_e64 s3, 0, v[52:53]
	v_cmp_eq_f64_e64 s4, 0, v[54:55]
	;; [unrolled: 1-line block ×6, first 2 shown]
	s_waitcnt lgkmcnt(0)
	v_add_co_u32 v88, vcc_lo, s0, v88
	v_add_co_ci_u32_e32 v89, vcc_lo, s1, v89, vcc_lo
	v_cmp_eq_f64_e32 vcc_lo, 0, v[44:45]
	v_cmp_eq_f64_e64 s0, 0, v[46:47]
	v_cmp_neq_f64_e64 s1, 0, v[48:49]
	global_load_b32 v112, v[88:89], off
	s_and_b32 s0, vcc_lo, s0
	s_or_b32 s1, s1, s2
	v_cndmask_b32_e64 v44, 0, 1, s0
	s_or_b32 vcc_lo, s1, s0
	v_cmp_eq_f64_e64 s0, 0, v[66:67]
	s_and_b32 s2, s3, s4
	s_and_b32 s4, s5, s6
	v_cndmask_b32_e32 v44, 2, v44, vcc_lo
	v_cmp_eq_f64_e32 vcc_lo, 0, v[64:65]
	s_and_b32 s6, s7, s8
	s_delay_alu instid0(VALU_DEP_2) | instskip(NEXT) | instid1(VALU_DEP_1)
	v_cmp_eq_u32_e64 s1, 0, v44
	s_and_b32 s1, s2, s1
	v_cmp_eq_f64_e64 s2, 0, v[70:71]
	v_cndmask_b32_e64 v44, v44, 3, s1
	v_cmp_eq_f64_e64 s1, 0, v[68:69]
	s_delay_alu instid0(VALU_DEP_2) | instskip(NEXT) | instid1(VALU_DEP_1)
	v_cmp_eq_u32_e64 s3, 0, v44
	s_and_b32 s3, s4, s3
	v_cmp_eq_f64_e64 s4, 0, v[74:75]
	v_cndmask_b32_e64 v44, v44, 4, s3
	v_cmp_eq_f64_e64 s3, 0, v[72:73]
	;; [unrolled: 6-line block ×3, first 2 shown]
	s_and_b32 s0, vcc_lo, s0
	v_cmp_eq_f64_e32 vcc_lo, 0, v[80:81]
	s_delay_alu instid0(VALU_DEP_3) | instskip(NEXT) | instid1(VALU_DEP_1)
	v_cmp_eq_u32_e64 s7, 0, v44
	s_and_b32 s0, s0, s7
	s_delay_alu instid0(SALU_CYCLE_1) | instskip(SKIP_3) | instid1(VALU_DEP_3)
	v_cndmask_b32_e64 v44, v44, 6, s0
	v_cmp_eq_f64_e64 s0, 0, v[82:83]
	s_and_b32 s1, s1, s2
	v_cmp_eq_f64_e64 s2, 0, v[86:87]
	v_cmp_eq_u32_e64 s7, 0, v44
	s_delay_alu instid0(VALU_DEP_1) | instskip(NEXT) | instid1(SALU_CYCLE_1)
	s_and_b32 s1, s1, s7
	v_cndmask_b32_e64 v44, v44, 7, s1
	v_cmp_eq_f64_e64 s1, 0, v[84:85]
	s_and_b32 s3, s3, s4
	s_delay_alu instid0(VALU_DEP_2) | instskip(NEXT) | instid1(VALU_DEP_1)
	v_cmp_eq_u32_e64 s7, 0, v44
	s_and_b32 s3, s3, s7
	s_delay_alu instid0(SALU_CYCLE_1) | instskip(SKIP_1) | instid1(VALU_DEP_1)
	v_cndmask_b32_e64 v44, v44, 8, s3
	s_and_b32 s4, s5, s6
	v_cmp_eq_u32_e64 s3, 0, v44
	s_delay_alu instid0(VALU_DEP_1) | instskip(NEXT) | instid1(SALU_CYCLE_1)
	s_and_b32 s3, s4, s3
	v_cndmask_b32_e64 v44, v44, 9, s3
	s_and_b32 s0, vcc_lo, s0
	s_delay_alu instid0(VALU_DEP_1) | instskip(NEXT) | instid1(VALU_DEP_1)
	v_cmp_eq_u32_e64 s3, 0, v44
	s_and_b32 s0, s0, s3
	s_delay_alu instid0(SALU_CYCLE_1) | instskip(SKIP_1) | instid1(VALU_DEP_1)
	v_cndmask_b32_e64 v44, v44, 10, s0
	s_and_b32 s0, s1, s2
	v_cmp_eq_u32_e32 vcc_lo, 0, v44
	s_and_b32 s0, s0, vcc_lo
	s_delay_alu instid0(SALU_CYCLE_1) | instskip(NEXT) | instid1(VALU_DEP_1)
	v_cndmask_b32_e64 v44, v44, 11, s0
	v_cmp_ne_u32_e64 s0, 0, v44
	s_waitcnt vmcnt(0)
	v_cmp_eq_u32_e32 vcc_lo, 0, v112
	s_delay_alu instid0(VALU_DEP_2) | instskip(NEXT) | instid1(SALU_CYCLE_1)
	s_and_b32 s0, vcc_lo, s0
	s_and_b32 exec_lo, exec_lo, s0
	s_cbranch_execz .LBB21_103
; %bb.102:
	v_add_nc_u32_e32 v44, s9, v44
	global_store_b32 v[88:89], v44, off
.LBB21_103:
	s_or_b32 exec_lo, exec_lo, s10
	s_clause 0xa
	global_store_b128 v[108:109], v[40:43], off
	global_store_b128 v[110:111], v[36:39], off
	;; [unrolled: 1-line block ×11, first 2 shown]
.LBB21_104:
	s_nop 0
	s_sendmsg sendmsg(MSG_DEALLOC_VGPRS)
	s_endpgm
	.section	.rodata,"a",@progbits
	.p2align	6, 0x0
	.amdhsa_kernel _ZN9rocsolver6v33100L23getf2_npvt_small_kernelILi11E19rocblas_complex_numIdEiiPKPS3_EEvT1_T3_lS7_lPT2_S7_S7_
		.amdhsa_group_segment_fixed_size 0
		.amdhsa_private_segment_fixed_size 0
		.amdhsa_kernarg_size 312
		.amdhsa_user_sgpr_count 14
		.amdhsa_user_sgpr_dispatch_ptr 0
		.amdhsa_user_sgpr_queue_ptr 0
		.amdhsa_user_sgpr_kernarg_segment_ptr 1
		.amdhsa_user_sgpr_dispatch_id 0
		.amdhsa_user_sgpr_private_segment_size 0
		.amdhsa_wavefront_size32 1
		.amdhsa_uses_dynamic_stack 0
		.amdhsa_enable_private_segment 0
		.amdhsa_system_sgpr_workgroup_id_x 1
		.amdhsa_system_sgpr_workgroup_id_y 1
		.amdhsa_system_sgpr_workgroup_id_z 0
		.amdhsa_system_sgpr_workgroup_info 0
		.amdhsa_system_vgpr_workitem_id 1
		.amdhsa_next_free_vgpr 155
		.amdhsa_next_free_sgpr 16
		.amdhsa_reserve_vcc 1
		.amdhsa_float_round_mode_32 0
		.amdhsa_float_round_mode_16_64 0
		.amdhsa_float_denorm_mode_32 3
		.amdhsa_float_denorm_mode_16_64 3
		.amdhsa_dx10_clamp 1
		.amdhsa_ieee_mode 1
		.amdhsa_fp16_overflow 0
		.amdhsa_workgroup_processor_mode 1
		.amdhsa_memory_ordered 1
		.amdhsa_forward_progress 0
		.amdhsa_shared_vgpr_count 0
		.amdhsa_exception_fp_ieee_invalid_op 0
		.amdhsa_exception_fp_denorm_src 0
		.amdhsa_exception_fp_ieee_div_zero 0
		.amdhsa_exception_fp_ieee_overflow 0
		.amdhsa_exception_fp_ieee_underflow 0
		.amdhsa_exception_fp_ieee_inexact 0
		.amdhsa_exception_int_div_zero 0
	.end_amdhsa_kernel
	.section	.text._ZN9rocsolver6v33100L23getf2_npvt_small_kernelILi11E19rocblas_complex_numIdEiiPKPS3_EEvT1_T3_lS7_lPT2_S7_S7_,"axG",@progbits,_ZN9rocsolver6v33100L23getf2_npvt_small_kernelILi11E19rocblas_complex_numIdEiiPKPS3_EEvT1_T3_lS7_lPT2_S7_S7_,comdat
.Lfunc_end21:
	.size	_ZN9rocsolver6v33100L23getf2_npvt_small_kernelILi11E19rocblas_complex_numIdEiiPKPS3_EEvT1_T3_lS7_lPT2_S7_S7_, .Lfunc_end21-_ZN9rocsolver6v33100L23getf2_npvt_small_kernelILi11E19rocblas_complex_numIdEiiPKPS3_EEvT1_T3_lS7_lPT2_S7_S7_
                                        ; -- End function
	.section	.AMDGPU.csdata,"",@progbits
; Kernel info:
; codeLenInByte = 13160
; NumSgprs: 18
; NumVgprs: 155
; ScratchSize: 0
; MemoryBound: 0
; FloatMode: 240
; IeeeMode: 1
; LDSByteSize: 0 bytes/workgroup (compile time only)
; SGPRBlocks: 2
; VGPRBlocks: 19
; NumSGPRsForWavesPerEU: 18
; NumVGPRsForWavesPerEU: 155
; Occupancy: 9
; WaveLimiterHint : 1
; COMPUTE_PGM_RSRC2:SCRATCH_EN: 0
; COMPUTE_PGM_RSRC2:USER_SGPR: 14
; COMPUTE_PGM_RSRC2:TRAP_HANDLER: 0
; COMPUTE_PGM_RSRC2:TGID_X_EN: 1
; COMPUTE_PGM_RSRC2:TGID_Y_EN: 1
; COMPUTE_PGM_RSRC2:TGID_Z_EN: 0
; COMPUTE_PGM_RSRC2:TIDIG_COMP_CNT: 1
	.section	.text._ZN9rocsolver6v33100L18getf2_small_kernelILi12E19rocblas_complex_numIdEiiPKPS3_EEvT1_T3_lS7_lPS7_llPT2_S7_S7_S9_l,"axG",@progbits,_ZN9rocsolver6v33100L18getf2_small_kernelILi12E19rocblas_complex_numIdEiiPKPS3_EEvT1_T3_lS7_lPS7_llPT2_S7_S7_S9_l,comdat
	.globl	_ZN9rocsolver6v33100L18getf2_small_kernelILi12E19rocblas_complex_numIdEiiPKPS3_EEvT1_T3_lS7_lPS7_llPT2_S7_S7_S9_l ; -- Begin function _ZN9rocsolver6v33100L18getf2_small_kernelILi12E19rocblas_complex_numIdEiiPKPS3_EEvT1_T3_lS7_lPS7_llPT2_S7_S7_S9_l
	.p2align	8
	.type	_ZN9rocsolver6v33100L18getf2_small_kernelILi12E19rocblas_complex_numIdEiiPKPS3_EEvT1_T3_lS7_lPS7_llPT2_S7_S7_S9_l,@function
_ZN9rocsolver6v33100L18getf2_small_kernelILi12E19rocblas_complex_numIdEiiPKPS3_EEvT1_T3_lS7_lPS7_llPT2_S7_S7_S9_l: ; @_ZN9rocsolver6v33100L18getf2_small_kernelILi12E19rocblas_complex_numIdEiiPKPS3_EEvT1_T3_lS7_lPS7_llPT2_S7_S7_S9_l
; %bb.0:
	s_clause 0x1
	s_load_b32 s2, s[0:1], 0x6c
	s_load_b64 s[12:13], s[0:1], 0x48
	v_bfe_u32 v48, v0, 10, 10
	s_waitcnt lgkmcnt(0)
	s_lshr_b32 s2, s2, 16
	s_delay_alu instid0(VALU_DEP_1) | instid1(SALU_CYCLE_1)
	v_mad_u64_u32 v[52:53], null, s15, s2, v[48:49]
	s_mov_b32 s2, exec_lo
	s_delay_alu instid0(VALU_DEP_1)
	v_cmpx_gt_i32_e64 s12, v52
	s_cbranch_execz .LBB22_255
; %bb.1:
	s_clause 0x1
	s_load_b128 s[4:7], s[0:1], 0x8
	s_load_b128 s[8:11], s[0:1], 0x50
	v_ashrrev_i32_e32 v53, 31, v52
	v_mov_b32_e32 v54, 0
	v_mov_b32_e32 v55, 0
	s_delay_alu instid0(VALU_DEP_3) | instskip(SKIP_1) | instid1(VALU_DEP_1)
	v_lshlrev_b64 v[1:2], 3, v[52:53]
	s_waitcnt lgkmcnt(0)
	v_add_co_u32 v1, vcc_lo, s4, v1
	s_delay_alu instid0(VALU_DEP_2)
	v_add_co_ci_u32_e32 v2, vcc_lo, s5, v2, vcc_lo
	s_cmp_eq_u64 s[8:9], 0
	s_cselect_b32 s4, -1, 0
	global_load_b64 v[1:2], v[1:2], off
	s_and_b32 vcc_lo, exec_lo, s4
	s_cbranch_vccnz .LBB22_3
; %bb.2:
	v_mul_lo_u32 v5, v53, s10
	v_mul_lo_u32 v6, v52, s11
	v_mad_u64_u32 v[3:4], null, v52, s10, 0
	s_delay_alu instid0(VALU_DEP_1) | instskip(NEXT) | instid1(VALU_DEP_1)
	v_add3_u32 v4, v4, v6, v5
	v_lshlrev_b64 v[3:4], 2, v[3:4]
	s_delay_alu instid0(VALU_DEP_1) | instskip(NEXT) | instid1(VALU_DEP_2)
	v_add_co_u32 v54, vcc_lo, s8, v3
	v_add_co_ci_u32_e32 v55, vcc_lo, s9, v4, vcc_lo
.LBB22_3:
	s_clause 0x1
	s_load_b32 s8, s[0:1], 0x18
	s_load_b32 s5, s[0:1], 0x0
	v_and_b32_e32 v61, 0x3ff, v0
	s_lshl_b64 s[2:3], s[6:7], 4
	s_waitcnt vmcnt(0)
	v_add_co_u32 v59, vcc_lo, v1, s2
	s_delay_alu instid0(VALU_DEP_2) | instskip(SKIP_1) | instid1(VALU_DEP_2)
	v_lshlrev_b32_e32 v51, 4, v61
	v_add_co_ci_u32_e32 v60, vcc_lo, s3, v2, vcc_lo
	v_add_co_u32 v2, vcc_lo, v59, v51
	s_delay_alu instid0(VALU_DEP_2)
	v_add_co_ci_u32_e32 v3, vcc_lo, 0, v60, vcc_lo
	s_waitcnt lgkmcnt(0)
	v_add3_u32 v0, s8, s8, v61
	s_ashr_i32 s9, s8, 31
	s_max_i32 s2, s5, 12
	s_lshl_b64 s[10:11], s[8:9], 4
	s_cmp_lt_i32 s5, 2
	v_add_nc_u32_e32 v4, s8, v0
	v_ashrrev_i32_e32 v1, 31, v0
	v_add_co_u32 v6, vcc_lo, v2, s10
	v_add_co_ci_u32_e32 v7, vcc_lo, s11, v3, vcc_lo
	s_delay_alu instid0(VALU_DEP_4)
	v_ashrrev_i32_e32 v5, 31, v4
	v_add_nc_u32_e32 v8, s8, v4
	v_lshlrev_b64 v[0:1], 4, v[0:1]
	s_clause 0x1
	global_load_b128 v[36:39], v[2:3], off
	global_load_b128 v[40:43], v[6:7], off
	v_lshlrev_b64 v[2:3], 4, v[4:5]
	v_add_nc_u32_e32 v4, s8, v8
	v_ashrrev_i32_e32 v9, 31, v8
	v_add_co_u32 v0, vcc_lo, v59, v0
	v_add_co_ci_u32_e32 v1, vcc_lo, v60, v1, vcc_lo
	s_delay_alu instid0(VALU_DEP_4) | instskip(NEXT) | instid1(VALU_DEP_4)
	v_ashrrev_i32_e32 v5, 31, v4
	v_lshlrev_b64 v[6:7], 4, v[8:9]
	v_add_nc_u32_e32 v8, s8, v4
	v_add_co_u32 v2, vcc_lo, v59, v2
	v_add_co_ci_u32_e32 v3, vcc_lo, v60, v3, vcc_lo
	v_lshlrev_b64 v[4:5], 4, v[4:5]
	s_delay_alu instid0(VALU_DEP_4)
	v_add_nc_u32_e32 v10, s8, v8
	s_clause 0x1
	global_load_b128 v[28:31], v[0:1], off
	global_load_b128 v[24:27], v[2:3], off
	v_add_co_u32 v0, vcc_lo, v59, v6
	v_add_co_ci_u32_e32 v1, vcc_lo, v60, v7, vcc_lo
	v_add_co_u32 v2, vcc_lo, v59, v4
	v_add_nc_u32_e32 v4, s8, v10
	v_add_co_ci_u32_e32 v3, vcc_lo, v60, v5, vcc_lo
	v_ashrrev_i32_e32 v9, 31, v8
	s_clause 0x1
	global_load_b128 v[44:47], v[0:1], off
	global_load_b128 v[20:23], v[2:3], off
	v_add_nc_u32_e32 v2, s8, v4
	v_ashrrev_i32_e32 v11, 31, v10
	v_lshlrev_b64 v[6:7], 4, v[8:9]
	v_ashrrev_i32_e32 v5, 31, v4
	s_delay_alu instid0(VALU_DEP_4) | instskip(NEXT) | instid1(VALU_DEP_4)
	v_add_nc_u32_e32 v8, s8, v2
	v_lshlrev_b64 v[0:1], 4, v[10:11]
	v_ashrrev_i32_e32 v3, 31, v2
	v_add_co_u32 v6, vcc_lo, v59, v6
	s_delay_alu instid0(VALU_DEP_4)
	v_add_nc_u32_e32 v10, s8, v8
	v_lshlrev_b64 v[4:5], 4, v[4:5]
	v_ashrrev_i32_e32 v9, 31, v8
	v_add_co_ci_u32_e32 v7, vcc_lo, v60, v7, vcc_lo
	v_add_co_u32 v0, vcc_lo, v59, v0
	v_lshlrev_b64 v[2:3], 4, v[2:3]
	v_ashrrev_i32_e32 v11, 31, v10
	v_add_co_ci_u32_e32 v1, vcc_lo, v60, v1, vcc_lo
	v_add_co_u32 v4, vcc_lo, v59, v4
	v_lshlrev_b64 v[8:9], 4, v[8:9]
	v_add_co_ci_u32_e32 v5, vcc_lo, v60, v5, vcc_lo
	v_add_co_u32 v2, vcc_lo, v59, v2
	v_lshlrev_b64 v[10:11], 4, v[10:11]
	v_add_co_ci_u32_e32 v3, vcc_lo, v60, v3, vcc_lo
	v_add_co_u32 v49, vcc_lo, v59, v8
	v_add_co_ci_u32_e32 v50, vcc_lo, v60, v9, vcc_lo
	s_delay_alu instid0(VALU_DEP_4)
	v_add_co_u32 v56, vcc_lo, v59, v10
	v_add_co_ci_u32_e32 v57, vcc_lo, v60, v11, vcc_lo
	s_clause 0x5
	global_load_b128 v[32:35], v[6:7], off
	global_load_b128 v[16:19], v[0:1], off
	;; [unrolled: 1-line block ×6, first 2 shown]
	v_mov_b32_e32 v56, 0
	v_mul_lo_u32 v57, s2, v48
	s_delay_alu instid0(VALU_DEP_1) | instskip(SKIP_1) | instid1(VALU_DEP_2)
	v_lshl_add_u32 v58, v57, 4, 0
	v_lshlrev_b32_e32 v63, 4, v57
	v_add_nc_u32_e32 v48, v58, v51
	s_waitcnt vmcnt(11)
	ds_store_2addr_b64 v48, v[36:37], v[38:39] offset1:1
	s_waitcnt vmcnt(0) lgkmcnt(0)
	s_barrier
	buffer_gl0_inv
	ds_load_2addr_b64 v[48:51], v58 offset1:1
	s_cbranch_scc1 .LBB22_6
; %bb.4:
	v_add3_u32 v57, v63, 0, 16
	v_mov_b32_e32 v56, 0
	s_mov_b32 s6, 1
	s_set_inst_prefetch_distance 0x1
	.p2align	6
.LBB22_5:                               ; =>This Inner Loop Header: Depth=1
	ds_load_2addr_b64 v[64:67], v57 offset1:1
	s_waitcnt lgkmcnt(1)
	v_cmp_gt_f64_e32 vcc_lo, 0, v[48:49]
	v_xor_b32_e32 v62, 0x80000000, v49
	v_cmp_gt_f64_e64 s2, 0, v[50:51]
	v_xor_b32_e32 v68, 0x80000000, v51
	v_add_nc_u32_e32 v57, 16, v57
	s_waitcnt lgkmcnt(0)
	v_cmp_gt_f64_e64 s3, 0, v[64:65]
	v_mov_b32_e32 v72, v64
	v_dual_mov_b32 v74, v66 :: v_dual_cndmask_b32 v69, v49, v62
	v_xor_b32_e32 v62, 0x80000000, v65
	v_cndmask_b32_e64 v71, v51, v68, s2
	v_xor_b32_e32 v68, 0x80000000, v67
	v_cndmask_b32_e64 v70, v50, v50, s2
	s_delay_alu instid0(VALU_DEP_4) | instskip(SKIP_1) | instid1(VALU_DEP_1)
	v_cndmask_b32_e64 v73, v65, v62, s3
	v_cmp_gt_f64_e64 s3, 0, v[66:67]
	v_cndmask_b32_e64 v75, v67, v68, s3
	v_cndmask_b32_e32 v68, v48, v48, vcc_lo
	s_delay_alu instid0(VALU_DEP_2) | instskip(NEXT) | instid1(VALU_DEP_2)
	v_add_f64 v[72:73], v[72:73], v[74:75]
	v_add_f64 v[68:69], v[68:69], v[70:71]
	s_delay_alu instid0(VALU_DEP_1)
	v_cmp_lt_f64_e32 vcc_lo, v[68:69], v[72:73]
	v_cndmask_b32_e32 v51, v51, v67, vcc_lo
	v_dual_cndmask_b32 v49, v49, v65 :: v_dual_cndmask_b32 v48, v48, v64
	v_cndmask_b32_e32 v50, v50, v66, vcc_lo
	v_cndmask_b32_e64 v56, v56, s6, vcc_lo
	s_add_i32 s6, s6, 1
	s_delay_alu instid0(SALU_CYCLE_1)
	s_cmp_eq_u32 s5, s6
	s_cbranch_scc0 .LBB22_5
.LBB22_6:
	s_set_inst_prefetch_distance 0x2
	s_waitcnt lgkmcnt(0)
	v_cmp_neq_f64_e32 vcc_lo, 0, v[48:49]
	v_cmp_neq_f64_e64 s2, 0, v[50:51]
	v_dual_mov_b32 v62, 1 :: v_dual_mov_b32 v65, 1
	s_delay_alu instid0(VALU_DEP_2) | instskip(NEXT) | instid1(SALU_CYCLE_1)
	s_or_b32 s2, vcc_lo, s2
	s_and_saveexec_b32 s3, s2
	s_cbranch_execz .LBB22_12
; %bb.7:
	v_cmp_gt_f64_e32 vcc_lo, 0, v[48:49]
	v_cmp_gt_f64_e64 s2, 0, v[50:51]
	v_xor_b32_e32 v57, 0x80000000, v49
	v_xor_b32_e32 v62, 0x80000000, v51
                                        ; implicit-def: $sgpr6
                                        ; implicit-def: $sgpr7
	s_delay_alu instid0(VALU_DEP_2) | instskip(NEXT) | instid1(VALU_DEP_2)
	v_dual_cndmask_b32 v65, v49, v57 :: v_dual_cndmask_b32 v64, v48, v48
	v_cndmask_b32_e64 v67, v51, v62, s2
	v_cndmask_b32_e64 v66, v50, v50, s2
	s_mov_b32 s2, exec_lo
	s_delay_alu instid0(VALU_DEP_1)
	v_cmpx_ngt_f64_e32 v[64:65], v[66:67]
	s_xor_b32 s2, exec_lo, s2
	s_cbranch_execz .LBB22_9
; %bb.8:
	v_div_scale_f64 v[64:65], null, v[50:51], v[50:51], v[48:49]
	v_div_scale_f64 v[70:71], vcc_lo, v[48:49], v[50:51], v[48:49]
	s_mov_b32 s7, 2
	s_mov_b32 s6, 0
	s_delay_alu instid0(VALU_DEP_2) | instskip(SKIP_2) | instid1(VALU_DEP_1)
	v_rcp_f64_e32 v[66:67], v[64:65]
	s_waitcnt_depctr 0xfff
	v_fma_f64 v[68:69], -v[64:65], v[66:67], 1.0
	v_fma_f64 v[66:67], v[66:67], v[68:69], v[66:67]
	s_delay_alu instid0(VALU_DEP_1) | instskip(NEXT) | instid1(VALU_DEP_1)
	v_fma_f64 v[68:69], -v[64:65], v[66:67], 1.0
	v_fma_f64 v[66:67], v[66:67], v[68:69], v[66:67]
	s_delay_alu instid0(VALU_DEP_1) | instskip(NEXT) | instid1(VALU_DEP_1)
	v_mul_f64 v[68:69], v[70:71], v[66:67]
	v_fma_f64 v[64:65], -v[64:65], v[68:69], v[70:71]
	s_delay_alu instid0(VALU_DEP_1) | instskip(NEXT) | instid1(VALU_DEP_1)
	v_div_fmas_f64 v[64:65], v[64:65], v[66:67], v[68:69]
	v_div_fixup_f64 v[64:65], v[64:65], v[50:51], v[48:49]
	s_delay_alu instid0(VALU_DEP_1) | instskip(NEXT) | instid1(VALU_DEP_1)
	v_fma_f64 v[48:49], v[48:49], v[64:65], v[50:51]
	v_div_scale_f64 v[50:51], null, v[48:49], v[48:49], 1.0
	s_delay_alu instid0(VALU_DEP_1) | instskip(SKIP_2) | instid1(VALU_DEP_1)
	v_rcp_f64_e32 v[66:67], v[50:51]
	s_waitcnt_depctr 0xfff
	v_fma_f64 v[68:69], -v[50:51], v[66:67], 1.0
	v_fma_f64 v[66:67], v[66:67], v[68:69], v[66:67]
	s_delay_alu instid0(VALU_DEP_1) | instskip(NEXT) | instid1(VALU_DEP_1)
	v_fma_f64 v[68:69], -v[50:51], v[66:67], 1.0
	v_fma_f64 v[66:67], v[66:67], v[68:69], v[66:67]
	v_div_scale_f64 v[68:69], vcc_lo, 1.0, v[48:49], 1.0
	s_delay_alu instid0(VALU_DEP_1) | instskip(NEXT) | instid1(VALU_DEP_1)
	v_mul_f64 v[70:71], v[68:69], v[66:67]
	v_fma_f64 v[50:51], -v[50:51], v[70:71], v[68:69]
	s_delay_alu instid0(VALU_DEP_1) | instskip(NEXT) | instid1(VALU_DEP_1)
	v_div_fmas_f64 v[50:51], v[50:51], v[66:67], v[70:71]
	v_div_fixup_f64 v[50:51], v[50:51], v[48:49], 1.0
	s_delay_alu instid0(VALU_DEP_1)
	v_mul_f64 v[48:49], v[64:65], v[50:51]
	v_xor_b32_e32 v51, 0x80000000, v51
.LBB22_9:
	s_or_saveexec_b32 s2, s2
	v_dual_mov_b32 v65, s6 :: v_dual_mov_b32 v62, s7
	s_xor_b32 exec_lo, exec_lo, s2
	s_cbranch_execz .LBB22_11
; %bb.10:
	s_delay_alu instid0(VALU_DEP_3) | instskip(SKIP_2) | instid1(VALU_DEP_3)
	v_div_scale_f64 v[64:65], null, v[48:49], v[48:49], v[50:51]
	v_div_scale_f64 v[70:71], vcc_lo, v[50:51], v[48:49], v[50:51]
	v_mov_b32_e32 v62, 2
	v_rcp_f64_e32 v[66:67], v[64:65]
	s_waitcnt_depctr 0xfff
	v_fma_f64 v[68:69], -v[64:65], v[66:67], 1.0
	s_delay_alu instid0(VALU_DEP_1) | instskip(NEXT) | instid1(VALU_DEP_1)
	v_fma_f64 v[66:67], v[66:67], v[68:69], v[66:67]
	v_fma_f64 v[68:69], -v[64:65], v[66:67], 1.0
	s_delay_alu instid0(VALU_DEP_1) | instskip(NEXT) | instid1(VALU_DEP_1)
	v_fma_f64 v[66:67], v[66:67], v[68:69], v[66:67]
	v_mul_f64 v[68:69], v[70:71], v[66:67]
	s_delay_alu instid0(VALU_DEP_1) | instskip(NEXT) | instid1(VALU_DEP_1)
	v_fma_f64 v[64:65], -v[64:65], v[68:69], v[70:71]
	v_div_fmas_f64 v[64:65], v[64:65], v[66:67], v[68:69]
	s_delay_alu instid0(VALU_DEP_1) | instskip(NEXT) | instid1(VALU_DEP_1)
	v_div_fixup_f64 v[64:65], v[64:65], v[48:49], v[50:51]
	v_fma_f64 v[48:49], v[50:51], v[64:65], v[48:49]
	s_delay_alu instid0(VALU_DEP_1) | instskip(NEXT) | instid1(VALU_DEP_1)
	v_div_scale_f64 v[50:51], null, v[48:49], v[48:49], 1.0
	v_rcp_f64_e32 v[66:67], v[50:51]
	s_waitcnt_depctr 0xfff
	v_fma_f64 v[68:69], -v[50:51], v[66:67], 1.0
	s_delay_alu instid0(VALU_DEP_1) | instskip(NEXT) | instid1(VALU_DEP_1)
	v_fma_f64 v[66:67], v[66:67], v[68:69], v[66:67]
	v_fma_f64 v[68:69], -v[50:51], v[66:67], 1.0
	s_delay_alu instid0(VALU_DEP_1) | instskip(SKIP_1) | instid1(VALU_DEP_1)
	v_fma_f64 v[66:67], v[66:67], v[68:69], v[66:67]
	v_div_scale_f64 v[68:69], vcc_lo, 1.0, v[48:49], 1.0
	v_mul_f64 v[70:71], v[68:69], v[66:67]
	s_delay_alu instid0(VALU_DEP_1) | instskip(NEXT) | instid1(VALU_DEP_1)
	v_fma_f64 v[50:51], -v[50:51], v[70:71], v[68:69]
	v_div_fmas_f64 v[50:51], v[50:51], v[66:67], v[70:71]
	s_delay_alu instid0(VALU_DEP_1) | instskip(NEXT) | instid1(VALU_DEP_1)
	v_div_fixup_f64 v[48:49], v[50:51], v[48:49], 1.0
	v_mul_f64 v[50:51], v[64:65], -v[48:49]
	v_mov_b32_e32 v65, 0
.LBB22_11:
	s_or_b32 exec_lo, exec_lo, s2
.LBB22_12:
	s_delay_alu instid0(SALU_CYCLE_1) | instskip(NEXT) | instid1(SALU_CYCLE_1)
	s_or_b32 exec_lo, exec_lo, s3
	s_mov_b32 s2, exec_lo
	v_cmpx_ne_u32_e64 v61, v56
	s_xor_b32 s2, exec_lo, s2
	s_cbranch_execz .LBB22_18
; %bb.13:
	s_mov_b32 s3, exec_lo
	v_cmpx_eq_u32_e32 0, v61
	s_cbranch_execz .LBB22_17
; %bb.14:
	v_cmp_ne_u32_e32 vcc_lo, 0, v56
	s_xor_b32 s6, s4, -1
	s_delay_alu instid0(SALU_CYCLE_1) | instskip(NEXT) | instid1(SALU_CYCLE_1)
	s_and_b32 s7, s6, vcc_lo
	s_and_saveexec_b32 s6, s7
	s_cbranch_execz .LBB22_16
; %bb.15:
	v_ashrrev_i32_e32 v57, 31, v56
	s_delay_alu instid0(VALU_DEP_1) | instskip(NEXT) | instid1(VALU_DEP_1)
	v_lshlrev_b64 v[66:67], 2, v[56:57]
	v_add_co_u32 v66, vcc_lo, v54, v66
	s_delay_alu instid0(VALU_DEP_2)
	v_add_co_ci_u32_e32 v67, vcc_lo, v55, v67, vcc_lo
	s_clause 0x1
	flat_load_b32 v57, v[66:67]
	flat_load_b32 v61, v[54:55]
	s_waitcnt vmcnt(1) lgkmcnt(1)
	flat_store_b32 v[54:55], v57
	s_waitcnt vmcnt(0) lgkmcnt(1)
	flat_store_b32 v[66:67], v61
.LBB22_16:
	s_or_b32 exec_lo, exec_lo, s6
	v_mov_b32_e32 v61, v56
.LBB22_17:
	s_or_b32 exec_lo, exec_lo, s3
.LBB22_18:
	s_or_saveexec_b32 s2, s2
	s_delay_alu instid0(VALU_DEP_1)
	v_mov_b32_e32 v64, v61
	s_xor_b32 exec_lo, exec_lo, s2
	s_cbranch_execz .LBB22_20
; %bb.19:
	v_mov_b32_e32 v64, 0
	ds_store_2addr_b64 v58, v[40:41], v[42:43] offset0:2 offset1:3
	ds_store_2addr_b64 v58, v[28:29], v[30:31] offset0:4 offset1:5
	ds_store_2addr_b64 v58, v[24:25], v[26:27] offset0:6 offset1:7
	ds_store_2addr_b64 v58, v[44:45], v[46:47] offset0:8 offset1:9
	ds_store_2addr_b64 v58, v[20:21], v[22:23] offset0:10 offset1:11
	ds_store_2addr_b64 v58, v[32:33], v[34:35] offset0:12 offset1:13
	ds_store_2addr_b64 v58, v[16:17], v[18:19] offset0:14 offset1:15
	ds_store_2addr_b64 v58, v[12:13], v[14:15] offset0:16 offset1:17
	ds_store_2addr_b64 v58, v[8:9], v[10:11] offset0:18 offset1:19
	ds_store_2addr_b64 v58, v[4:5], v[6:7] offset0:20 offset1:21
	ds_store_2addr_b64 v58, v[0:1], v[2:3] offset0:22 offset1:23
.LBB22_20:
	s_or_b32 exec_lo, exec_lo, s2
	s_delay_alu instid0(SALU_CYCLE_1)
	s_mov_b32 s2, exec_lo
	s_waitcnt lgkmcnt(0)
	s_waitcnt_vscnt null, 0x0
	s_barrier
	buffer_gl0_inv
	v_cmpx_lt_i32_e32 0, v64
	s_cbranch_execz .LBB22_22
; %bb.21:
	v_mul_f64 v[56:57], v[48:49], v[38:39]
	v_mul_f64 v[38:39], v[50:51], v[38:39]
	ds_load_2addr_b64 v[66:69], v58 offset0:2 offset1:3
	ds_load_2addr_b64 v[70:73], v58 offset0:4 offset1:5
	;; [unrolled: 1-line block ×11, first 2 shown]
	v_fma_f64 v[50:51], v[50:51], v[36:37], v[56:57]
	v_fma_f64 v[36:37], v[48:49], v[36:37], -v[38:39]
	s_waitcnt lgkmcnt(10)
	s_delay_alu instid0(VALU_DEP_2)
	v_mul_f64 v[38:39], v[68:69], v[50:51]
	v_mul_f64 v[48:49], v[66:67], v[50:51]
	s_waitcnt lgkmcnt(9)
	v_mul_f64 v[56:57], v[72:73], v[50:51]
	v_mul_f64 v[110:111], v[70:71], v[50:51]
	s_waitcnt lgkmcnt(8)
	;; [unrolled: 3-line block ×10, first 2 shown]
	v_mul_f64 v[144:145], v[108:109], v[50:51]
	v_mul_f64 v[146:147], v[106:107], v[50:51]
	v_fma_f64 v[38:39], v[66:67], v[36:37], -v[38:39]
	v_fma_f64 v[48:49], v[68:69], v[36:37], v[48:49]
	v_fma_f64 v[56:57], v[70:71], v[36:37], -v[56:57]
	v_fma_f64 v[66:67], v[72:73], v[36:37], v[110:111]
	;; [unrolled: 2-line block ×11, first 2 shown]
	v_add_f64 v[40:41], v[40:41], -v[38:39]
	v_add_f64 v[42:43], v[42:43], -v[48:49]
	;; [unrolled: 1-line block ×22, first 2 shown]
	v_dual_mov_b32 v38, v50 :: v_dual_mov_b32 v39, v51
.LBB22_22:
	s_or_b32 exec_lo, exec_lo, s2
	v_lshl_add_u32 v48, v64, 4, v58
	s_barrier
	buffer_gl0_inv
	v_mov_b32_e32 v56, 1
	ds_store_2addr_b64 v48, v[40:41], v[42:43] offset1:1
	s_waitcnt lgkmcnt(0)
	s_barrier
	buffer_gl0_inv
	ds_load_2addr_b64 v[48:51], v58 offset0:2 offset1:3
	s_cmp_lt_i32 s5, 3
	s_cbranch_scc1 .LBB22_25
; %bb.23:
	v_add3_u32 v57, v63, 0, 32
	v_mov_b32_e32 v56, 1
	s_mov_b32 s6, 2
	s_set_inst_prefetch_distance 0x1
	.p2align	6
.LBB22_24:                              ; =>This Inner Loop Header: Depth=1
	ds_load_2addr_b64 v[66:69], v57 offset1:1
	s_waitcnt lgkmcnt(1)
	v_cmp_gt_f64_e32 vcc_lo, 0, v[48:49]
	v_xor_b32_e32 v70, 0x80000000, v49
	v_cmp_gt_f64_e64 s2, 0, v[50:51]
	v_xor_b32_e32 v72, 0x80000000, v51
	v_add_nc_u32_e32 v57, 16, v57
	s_waitcnt lgkmcnt(0)
	v_cmp_gt_f64_e64 s3, 0, v[66:67]
	v_mov_b32_e32 v74, v66
	v_dual_mov_b32 v76, v68 :: v_dual_cndmask_b32 v71, v49, v70
	v_xor_b32_e32 v70, 0x80000000, v67
	v_cndmask_b32_e64 v73, v51, v72, s2
	v_xor_b32_e32 v72, 0x80000000, v69
	s_delay_alu instid0(VALU_DEP_3) | instskip(SKIP_2) | instid1(VALU_DEP_2)
	v_cndmask_b32_e64 v75, v67, v70, s3
	v_cmp_gt_f64_e64 s3, 0, v[68:69]
	v_cndmask_b32_e32 v70, v48, v48, vcc_lo
	v_cndmask_b32_e64 v77, v69, v72, s3
	v_cndmask_b32_e64 v72, v50, v50, s2
	s_delay_alu instid0(VALU_DEP_2) | instskip(NEXT) | instid1(VALU_DEP_2)
	v_add_f64 v[74:75], v[74:75], v[76:77]
	v_add_f64 v[70:71], v[70:71], v[72:73]
	s_delay_alu instid0(VALU_DEP_1)
	v_cmp_lt_f64_e32 vcc_lo, v[70:71], v[74:75]
	v_cndmask_b32_e32 v51, v51, v69, vcc_lo
	v_dual_cndmask_b32 v49, v49, v67 :: v_dual_cndmask_b32 v48, v48, v66
	v_cndmask_b32_e32 v50, v50, v68, vcc_lo
	v_cndmask_b32_e64 v56, v56, s6, vcc_lo
	s_add_i32 s6, s6, 1
	s_delay_alu instid0(SALU_CYCLE_1)
	s_cmp_lg_u32 s5, s6
	s_cbranch_scc1 .LBB22_24
.LBB22_25:
	s_set_inst_prefetch_distance 0x2
	s_waitcnt lgkmcnt(0)
	v_cmp_neq_f64_e32 vcc_lo, 0, v[48:49]
	v_cmp_neq_f64_e64 s2, 0, v[50:51]
	s_delay_alu instid0(VALU_DEP_1) | instskip(NEXT) | instid1(SALU_CYCLE_1)
	s_or_b32 s2, vcc_lo, s2
	s_and_saveexec_b32 s3, s2
	s_cbranch_execz .LBB22_31
; %bb.26:
	v_cmp_gt_f64_e32 vcc_lo, 0, v[48:49]
	v_cmp_gt_f64_e64 s2, 0, v[50:51]
	v_xor_b32_e32 v57, 0x80000000, v49
	v_xor_b32_e32 v62, 0x80000000, v51
	s_delay_alu instid0(VALU_DEP_2) | instskip(NEXT) | instid1(VALU_DEP_2)
	v_dual_cndmask_b32 v67, v49, v57 :: v_dual_cndmask_b32 v66, v48, v48
	v_cndmask_b32_e64 v69, v51, v62, s2
	v_cndmask_b32_e64 v68, v50, v50, s2
	s_mov_b32 s2, exec_lo
	s_delay_alu instid0(VALU_DEP_1)
	v_cmpx_ngt_f64_e32 v[66:67], v[68:69]
	s_xor_b32 s2, exec_lo, s2
	s_cbranch_execz .LBB22_28
; %bb.27:
	v_div_scale_f64 v[66:67], null, v[50:51], v[50:51], v[48:49]
	v_div_scale_f64 v[72:73], vcc_lo, v[48:49], v[50:51], v[48:49]
	s_delay_alu instid0(VALU_DEP_2) | instskip(SKIP_2) | instid1(VALU_DEP_1)
	v_rcp_f64_e32 v[68:69], v[66:67]
	s_waitcnt_depctr 0xfff
	v_fma_f64 v[70:71], -v[66:67], v[68:69], 1.0
	v_fma_f64 v[68:69], v[68:69], v[70:71], v[68:69]
	s_delay_alu instid0(VALU_DEP_1) | instskip(NEXT) | instid1(VALU_DEP_1)
	v_fma_f64 v[70:71], -v[66:67], v[68:69], 1.0
	v_fma_f64 v[68:69], v[68:69], v[70:71], v[68:69]
	s_delay_alu instid0(VALU_DEP_1) | instskip(NEXT) | instid1(VALU_DEP_1)
	v_mul_f64 v[70:71], v[72:73], v[68:69]
	v_fma_f64 v[66:67], -v[66:67], v[70:71], v[72:73]
	s_delay_alu instid0(VALU_DEP_1) | instskip(NEXT) | instid1(VALU_DEP_1)
	v_div_fmas_f64 v[66:67], v[66:67], v[68:69], v[70:71]
	v_div_fixup_f64 v[66:67], v[66:67], v[50:51], v[48:49]
	s_delay_alu instid0(VALU_DEP_1) | instskip(NEXT) | instid1(VALU_DEP_1)
	v_fma_f64 v[48:49], v[48:49], v[66:67], v[50:51]
	v_div_scale_f64 v[50:51], null, v[48:49], v[48:49], 1.0
	s_delay_alu instid0(VALU_DEP_1) | instskip(SKIP_2) | instid1(VALU_DEP_1)
	v_rcp_f64_e32 v[68:69], v[50:51]
	s_waitcnt_depctr 0xfff
	v_fma_f64 v[70:71], -v[50:51], v[68:69], 1.0
	v_fma_f64 v[68:69], v[68:69], v[70:71], v[68:69]
	s_delay_alu instid0(VALU_DEP_1) | instskip(NEXT) | instid1(VALU_DEP_1)
	v_fma_f64 v[70:71], -v[50:51], v[68:69], 1.0
	v_fma_f64 v[68:69], v[68:69], v[70:71], v[68:69]
	v_div_scale_f64 v[70:71], vcc_lo, 1.0, v[48:49], 1.0
	s_delay_alu instid0(VALU_DEP_1) | instskip(NEXT) | instid1(VALU_DEP_1)
	v_mul_f64 v[72:73], v[70:71], v[68:69]
	v_fma_f64 v[50:51], -v[50:51], v[72:73], v[70:71]
	s_delay_alu instid0(VALU_DEP_1) | instskip(NEXT) | instid1(VALU_DEP_1)
	v_div_fmas_f64 v[50:51], v[50:51], v[68:69], v[72:73]
	v_div_fixup_f64 v[50:51], v[50:51], v[48:49], 1.0
	s_delay_alu instid0(VALU_DEP_1)
	v_mul_f64 v[48:49], v[66:67], v[50:51]
	v_xor_b32_e32 v51, 0x80000000, v51
.LBB22_28:
	s_and_not1_saveexec_b32 s2, s2
	s_cbranch_execz .LBB22_30
; %bb.29:
	s_delay_alu instid0(VALU_DEP_1) | instskip(SKIP_1) | instid1(VALU_DEP_2)
	v_div_scale_f64 v[66:67], null, v[48:49], v[48:49], v[50:51]
	v_div_scale_f64 v[72:73], vcc_lo, v[50:51], v[48:49], v[50:51]
	v_rcp_f64_e32 v[68:69], v[66:67]
	s_waitcnt_depctr 0xfff
	v_fma_f64 v[70:71], -v[66:67], v[68:69], 1.0
	s_delay_alu instid0(VALU_DEP_1) | instskip(NEXT) | instid1(VALU_DEP_1)
	v_fma_f64 v[68:69], v[68:69], v[70:71], v[68:69]
	v_fma_f64 v[70:71], -v[66:67], v[68:69], 1.0
	s_delay_alu instid0(VALU_DEP_1) | instskip(NEXT) | instid1(VALU_DEP_1)
	v_fma_f64 v[68:69], v[68:69], v[70:71], v[68:69]
	v_mul_f64 v[70:71], v[72:73], v[68:69]
	s_delay_alu instid0(VALU_DEP_1) | instskip(NEXT) | instid1(VALU_DEP_1)
	v_fma_f64 v[66:67], -v[66:67], v[70:71], v[72:73]
	v_div_fmas_f64 v[66:67], v[66:67], v[68:69], v[70:71]
	s_delay_alu instid0(VALU_DEP_1) | instskip(NEXT) | instid1(VALU_DEP_1)
	v_div_fixup_f64 v[66:67], v[66:67], v[48:49], v[50:51]
	v_fma_f64 v[48:49], v[50:51], v[66:67], v[48:49]
	s_delay_alu instid0(VALU_DEP_1) | instskip(NEXT) | instid1(VALU_DEP_1)
	v_div_scale_f64 v[50:51], null, v[48:49], v[48:49], 1.0
	v_rcp_f64_e32 v[68:69], v[50:51]
	s_waitcnt_depctr 0xfff
	v_fma_f64 v[70:71], -v[50:51], v[68:69], 1.0
	s_delay_alu instid0(VALU_DEP_1) | instskip(NEXT) | instid1(VALU_DEP_1)
	v_fma_f64 v[68:69], v[68:69], v[70:71], v[68:69]
	v_fma_f64 v[70:71], -v[50:51], v[68:69], 1.0
	s_delay_alu instid0(VALU_DEP_1) | instskip(SKIP_1) | instid1(VALU_DEP_1)
	v_fma_f64 v[68:69], v[68:69], v[70:71], v[68:69]
	v_div_scale_f64 v[70:71], vcc_lo, 1.0, v[48:49], 1.0
	v_mul_f64 v[72:73], v[70:71], v[68:69]
	s_delay_alu instid0(VALU_DEP_1) | instskip(NEXT) | instid1(VALU_DEP_1)
	v_fma_f64 v[50:51], -v[50:51], v[72:73], v[70:71]
	v_div_fmas_f64 v[50:51], v[50:51], v[68:69], v[72:73]
	s_delay_alu instid0(VALU_DEP_1) | instskip(NEXT) | instid1(VALU_DEP_1)
	v_div_fixup_f64 v[48:49], v[50:51], v[48:49], 1.0
	v_mul_f64 v[50:51], v[66:67], -v[48:49]
.LBB22_30:
	s_or_b32 exec_lo, exec_lo, s2
	v_mov_b32_e32 v62, v65
.LBB22_31:
	s_or_b32 exec_lo, exec_lo, s3
	s_delay_alu instid0(SALU_CYCLE_1)
	s_mov_b32 s2, exec_lo
	v_cmpx_ne_u32_e64 v64, v56
	s_xor_b32 s2, exec_lo, s2
	s_cbranch_execz .LBB22_37
; %bb.32:
	s_mov_b32 s3, exec_lo
	v_cmpx_eq_u32_e32 1, v64
	s_cbranch_execz .LBB22_36
; %bb.33:
	v_cmp_ne_u32_e32 vcc_lo, 1, v56
	s_xor_b32 s6, s4, -1
	s_delay_alu instid0(SALU_CYCLE_1) | instskip(NEXT) | instid1(SALU_CYCLE_1)
	s_and_b32 s7, s6, vcc_lo
	s_and_saveexec_b32 s6, s7
	s_cbranch_execz .LBB22_35
; %bb.34:
	v_ashrrev_i32_e32 v57, 31, v56
	s_delay_alu instid0(VALU_DEP_1) | instskip(NEXT) | instid1(VALU_DEP_1)
	v_lshlrev_b64 v[64:65], 2, v[56:57]
	v_add_co_u32 v64, vcc_lo, v54, v64
	s_delay_alu instid0(VALU_DEP_2)
	v_add_co_ci_u32_e32 v65, vcc_lo, v55, v65, vcc_lo
	s_clause 0x1
	flat_load_b32 v57, v[64:65]
	flat_load_b32 v61, v[54:55] offset:4
	s_waitcnt vmcnt(1) lgkmcnt(1)
	flat_store_b32 v[54:55], v57 offset:4
	s_waitcnt vmcnt(0) lgkmcnt(1)
	flat_store_b32 v[64:65], v61
.LBB22_35:
	s_or_b32 exec_lo, exec_lo, s6
	v_mov_b32_e32 v64, v56
	v_mov_b32_e32 v61, v56
.LBB22_36:
	s_or_b32 exec_lo, exec_lo, s3
.LBB22_37:
	s_and_not1_saveexec_b32 s2, s2
	s_cbranch_execz .LBB22_39
; %bb.38:
	v_mov_b32_e32 v64, 1
	ds_store_2addr_b64 v58, v[28:29], v[30:31] offset0:4 offset1:5
	ds_store_2addr_b64 v58, v[24:25], v[26:27] offset0:6 offset1:7
	;; [unrolled: 1-line block ×10, first 2 shown]
.LBB22_39:
	s_or_b32 exec_lo, exec_lo, s2
	s_delay_alu instid0(SALU_CYCLE_1)
	s_mov_b32 s2, exec_lo
	s_waitcnt lgkmcnt(0)
	s_waitcnt_vscnt null, 0x0
	s_barrier
	buffer_gl0_inv
	v_cmpx_lt_i32_e32 1, v64
	s_cbranch_execz .LBB22_41
; %bb.40:
	v_mul_f64 v[56:57], v[48:49], v[42:43]
	v_mul_f64 v[42:43], v[50:51], v[42:43]
	ds_load_2addr_b64 v[65:68], v58 offset0:4 offset1:5
	ds_load_2addr_b64 v[69:72], v58 offset0:6 offset1:7
	;; [unrolled: 1-line block ×10, first 2 shown]
	v_fma_f64 v[50:51], v[50:51], v[40:41], v[56:57]
	v_fma_f64 v[40:41], v[48:49], v[40:41], -v[42:43]
	s_waitcnt lgkmcnt(9)
	s_delay_alu instid0(VALU_DEP_2)
	v_mul_f64 v[42:43], v[67:68], v[50:51]
	v_mul_f64 v[48:49], v[65:66], v[50:51]
	s_waitcnt lgkmcnt(8)
	v_mul_f64 v[56:57], v[71:72], v[50:51]
	v_mul_f64 v[105:106], v[69:70], v[50:51]
	s_waitcnt lgkmcnt(7)
	;; [unrolled: 3-line block ×9, first 2 shown]
	v_mul_f64 v[135:136], v[103:104], v[50:51]
	v_mul_f64 v[137:138], v[101:102], v[50:51]
	v_fma_f64 v[42:43], v[65:66], v[40:41], -v[42:43]
	v_fma_f64 v[48:49], v[67:68], v[40:41], v[48:49]
	v_fma_f64 v[56:57], v[69:70], v[40:41], -v[56:57]
	v_fma_f64 v[65:66], v[71:72], v[40:41], v[105:106]
	;; [unrolled: 2-line block ×10, first 2 shown]
	v_add_f64 v[28:29], v[28:29], -v[42:43]
	v_add_f64 v[30:31], v[30:31], -v[48:49]
	;; [unrolled: 1-line block ×20, first 2 shown]
	v_dual_mov_b32 v42, v50 :: v_dual_mov_b32 v43, v51
.LBB22_41:
	s_or_b32 exec_lo, exec_lo, s2
	v_lshl_add_u32 v48, v64, 4, v58
	s_barrier
	buffer_gl0_inv
	v_mov_b32_e32 v56, 2
	ds_store_2addr_b64 v48, v[28:29], v[30:31] offset1:1
	s_waitcnt lgkmcnt(0)
	s_barrier
	buffer_gl0_inv
	ds_load_2addr_b64 v[48:51], v58 offset0:4 offset1:5
	s_cmp_lt_i32 s5, 4
	s_cbranch_scc1 .LBB22_44
; %bb.42:
	v_add3_u32 v57, v63, 0, 48
	v_mov_b32_e32 v56, 2
	s_mov_b32 s6, 3
	s_set_inst_prefetch_distance 0x1
	.p2align	6
.LBB22_43:                              ; =>This Inner Loop Header: Depth=1
	ds_load_2addr_b64 v[65:68], v57 offset1:1
	s_waitcnt lgkmcnt(1)
	v_cmp_gt_f64_e32 vcc_lo, 0, v[48:49]
	v_xor_b32_e32 v69, 0x80000000, v49
	v_cmp_gt_f64_e64 s2, 0, v[50:51]
	v_xor_b32_e32 v71, 0x80000000, v51
	v_add_nc_u32_e32 v57, 16, v57
	s_waitcnt lgkmcnt(0)
	v_cmp_gt_f64_e64 s3, 0, v[65:66]
	v_mov_b32_e32 v73, v65
	v_dual_mov_b32 v75, v67 :: v_dual_cndmask_b32 v70, v49, v69
	v_xor_b32_e32 v69, 0x80000000, v66
	v_cndmask_b32_e64 v72, v51, v71, s2
	v_xor_b32_e32 v71, 0x80000000, v68
	s_delay_alu instid0(VALU_DEP_3) | instskip(SKIP_2) | instid1(VALU_DEP_2)
	v_cndmask_b32_e64 v74, v66, v69, s3
	v_cmp_gt_f64_e64 s3, 0, v[67:68]
	v_cndmask_b32_e32 v69, v48, v48, vcc_lo
	v_cndmask_b32_e64 v76, v68, v71, s3
	v_cndmask_b32_e64 v71, v50, v50, s2
	s_delay_alu instid0(VALU_DEP_2) | instskip(NEXT) | instid1(VALU_DEP_2)
	v_add_f64 v[73:74], v[73:74], v[75:76]
	v_add_f64 v[69:70], v[69:70], v[71:72]
	s_delay_alu instid0(VALU_DEP_1) | instskip(SKIP_4) | instid1(SALU_CYCLE_1)
	v_cmp_lt_f64_e32 vcc_lo, v[69:70], v[73:74]
	v_dual_cndmask_b32 v50, v50, v67 :: v_dual_cndmask_b32 v49, v49, v66
	v_dual_cndmask_b32 v48, v48, v65 :: v_dual_cndmask_b32 v51, v51, v68
	v_cndmask_b32_e64 v56, v56, s6, vcc_lo
	s_add_i32 s6, s6, 1
	s_cmp_lg_u32 s5, s6
	s_cbranch_scc1 .LBB22_43
.LBB22_44:
	s_set_inst_prefetch_distance 0x2
	s_waitcnt lgkmcnt(0)
	v_cmp_eq_f64_e32 vcc_lo, 0, v[48:49]
	v_cmp_eq_f64_e64 s2, 0, v[50:51]
	s_delay_alu instid0(VALU_DEP_1) | instskip(NEXT) | instid1(SALU_CYCLE_1)
	s_and_b32 s2, vcc_lo, s2
	s_and_saveexec_b32 s3, s2
	s_delay_alu instid0(SALU_CYCLE_1)
	s_xor_b32 s2, exec_lo, s3
; %bb.45:
	v_cmp_ne_u32_e32 vcc_lo, 0, v62
	v_cndmask_b32_e32 v62, 3, v62, vcc_lo
; %bb.46:
	s_and_not1_saveexec_b32 s3, s2
	s_cbranch_execz .LBB22_52
; %bb.47:
	v_cmp_gt_f64_e32 vcc_lo, 0, v[48:49]
	v_cmp_gt_f64_e64 s2, 0, v[50:51]
	v_xor_b32_e32 v57, 0x80000000, v49
	v_xor_b32_e32 v65, 0x80000000, v51
	s_delay_alu instid0(VALU_DEP_2) | instskip(NEXT) | instid1(VALU_DEP_2)
	v_cndmask_b32_e32 v66, v49, v57, vcc_lo
	v_cndmask_b32_e64 v68, v51, v65, s2
	v_cndmask_b32_e32 v65, v48, v48, vcc_lo
	v_cndmask_b32_e64 v67, v50, v50, s2
	s_mov_b32 s2, exec_lo
	s_delay_alu instid0(VALU_DEP_1)
	v_cmpx_ngt_f64_e32 v[65:66], v[67:68]
	s_xor_b32 s2, exec_lo, s2
	s_cbranch_execz .LBB22_49
; %bb.48:
	v_div_scale_f64 v[65:66], null, v[50:51], v[50:51], v[48:49]
	v_div_scale_f64 v[71:72], vcc_lo, v[48:49], v[50:51], v[48:49]
	s_delay_alu instid0(VALU_DEP_2) | instskip(SKIP_2) | instid1(VALU_DEP_1)
	v_rcp_f64_e32 v[67:68], v[65:66]
	s_waitcnt_depctr 0xfff
	v_fma_f64 v[69:70], -v[65:66], v[67:68], 1.0
	v_fma_f64 v[67:68], v[67:68], v[69:70], v[67:68]
	s_delay_alu instid0(VALU_DEP_1) | instskip(NEXT) | instid1(VALU_DEP_1)
	v_fma_f64 v[69:70], -v[65:66], v[67:68], 1.0
	v_fma_f64 v[67:68], v[67:68], v[69:70], v[67:68]
	s_delay_alu instid0(VALU_DEP_1) | instskip(NEXT) | instid1(VALU_DEP_1)
	v_mul_f64 v[69:70], v[71:72], v[67:68]
	v_fma_f64 v[65:66], -v[65:66], v[69:70], v[71:72]
	s_delay_alu instid0(VALU_DEP_1) | instskip(NEXT) | instid1(VALU_DEP_1)
	v_div_fmas_f64 v[65:66], v[65:66], v[67:68], v[69:70]
	v_div_fixup_f64 v[65:66], v[65:66], v[50:51], v[48:49]
	s_delay_alu instid0(VALU_DEP_1) | instskip(NEXT) | instid1(VALU_DEP_1)
	v_fma_f64 v[48:49], v[48:49], v[65:66], v[50:51]
	v_div_scale_f64 v[50:51], null, v[48:49], v[48:49], 1.0
	s_delay_alu instid0(VALU_DEP_1) | instskip(SKIP_2) | instid1(VALU_DEP_1)
	v_rcp_f64_e32 v[67:68], v[50:51]
	s_waitcnt_depctr 0xfff
	v_fma_f64 v[69:70], -v[50:51], v[67:68], 1.0
	v_fma_f64 v[67:68], v[67:68], v[69:70], v[67:68]
	s_delay_alu instid0(VALU_DEP_1) | instskip(NEXT) | instid1(VALU_DEP_1)
	v_fma_f64 v[69:70], -v[50:51], v[67:68], 1.0
	v_fma_f64 v[67:68], v[67:68], v[69:70], v[67:68]
	v_div_scale_f64 v[69:70], vcc_lo, 1.0, v[48:49], 1.0
	s_delay_alu instid0(VALU_DEP_1) | instskip(NEXT) | instid1(VALU_DEP_1)
	v_mul_f64 v[71:72], v[69:70], v[67:68]
	v_fma_f64 v[50:51], -v[50:51], v[71:72], v[69:70]
	s_delay_alu instid0(VALU_DEP_1) | instskip(NEXT) | instid1(VALU_DEP_1)
	v_div_fmas_f64 v[50:51], v[50:51], v[67:68], v[71:72]
	v_div_fixup_f64 v[50:51], v[50:51], v[48:49], 1.0
	s_delay_alu instid0(VALU_DEP_1)
	v_mul_f64 v[48:49], v[65:66], v[50:51]
	v_xor_b32_e32 v51, 0x80000000, v51
.LBB22_49:
	s_and_not1_saveexec_b32 s2, s2
	s_cbranch_execz .LBB22_51
; %bb.50:
	s_delay_alu instid0(VALU_DEP_1) | instskip(SKIP_1) | instid1(VALU_DEP_2)
	v_div_scale_f64 v[65:66], null, v[48:49], v[48:49], v[50:51]
	v_div_scale_f64 v[71:72], vcc_lo, v[50:51], v[48:49], v[50:51]
	v_rcp_f64_e32 v[67:68], v[65:66]
	s_waitcnt_depctr 0xfff
	v_fma_f64 v[69:70], -v[65:66], v[67:68], 1.0
	s_delay_alu instid0(VALU_DEP_1) | instskip(NEXT) | instid1(VALU_DEP_1)
	v_fma_f64 v[67:68], v[67:68], v[69:70], v[67:68]
	v_fma_f64 v[69:70], -v[65:66], v[67:68], 1.0
	s_delay_alu instid0(VALU_DEP_1) | instskip(NEXT) | instid1(VALU_DEP_1)
	v_fma_f64 v[67:68], v[67:68], v[69:70], v[67:68]
	v_mul_f64 v[69:70], v[71:72], v[67:68]
	s_delay_alu instid0(VALU_DEP_1) | instskip(NEXT) | instid1(VALU_DEP_1)
	v_fma_f64 v[65:66], -v[65:66], v[69:70], v[71:72]
	v_div_fmas_f64 v[65:66], v[65:66], v[67:68], v[69:70]
	s_delay_alu instid0(VALU_DEP_1) | instskip(NEXT) | instid1(VALU_DEP_1)
	v_div_fixup_f64 v[65:66], v[65:66], v[48:49], v[50:51]
	v_fma_f64 v[48:49], v[50:51], v[65:66], v[48:49]
	s_delay_alu instid0(VALU_DEP_1) | instskip(NEXT) | instid1(VALU_DEP_1)
	v_div_scale_f64 v[50:51], null, v[48:49], v[48:49], 1.0
	v_rcp_f64_e32 v[67:68], v[50:51]
	s_waitcnt_depctr 0xfff
	v_fma_f64 v[69:70], -v[50:51], v[67:68], 1.0
	s_delay_alu instid0(VALU_DEP_1) | instskip(NEXT) | instid1(VALU_DEP_1)
	v_fma_f64 v[67:68], v[67:68], v[69:70], v[67:68]
	v_fma_f64 v[69:70], -v[50:51], v[67:68], 1.0
	s_delay_alu instid0(VALU_DEP_1) | instskip(SKIP_1) | instid1(VALU_DEP_1)
	v_fma_f64 v[67:68], v[67:68], v[69:70], v[67:68]
	v_div_scale_f64 v[69:70], vcc_lo, 1.0, v[48:49], 1.0
	v_mul_f64 v[71:72], v[69:70], v[67:68]
	s_delay_alu instid0(VALU_DEP_1) | instskip(NEXT) | instid1(VALU_DEP_1)
	v_fma_f64 v[50:51], -v[50:51], v[71:72], v[69:70]
	v_div_fmas_f64 v[50:51], v[50:51], v[67:68], v[71:72]
	s_delay_alu instid0(VALU_DEP_1) | instskip(NEXT) | instid1(VALU_DEP_1)
	v_div_fixup_f64 v[48:49], v[50:51], v[48:49], 1.0
	v_mul_f64 v[50:51], v[65:66], -v[48:49]
.LBB22_51:
	s_or_b32 exec_lo, exec_lo, s2
.LBB22_52:
	s_delay_alu instid0(SALU_CYCLE_1) | instskip(NEXT) | instid1(SALU_CYCLE_1)
	s_or_b32 exec_lo, exec_lo, s3
	s_mov_b32 s2, exec_lo
	v_cmpx_ne_u32_e64 v64, v56
	s_xor_b32 s2, exec_lo, s2
	s_cbranch_execz .LBB22_58
; %bb.53:
	s_mov_b32 s3, exec_lo
	v_cmpx_eq_u32_e32 2, v64
	s_cbranch_execz .LBB22_57
; %bb.54:
	v_cmp_ne_u32_e32 vcc_lo, 2, v56
	s_xor_b32 s6, s4, -1
	s_delay_alu instid0(SALU_CYCLE_1) | instskip(NEXT) | instid1(SALU_CYCLE_1)
	s_and_b32 s7, s6, vcc_lo
	s_and_saveexec_b32 s6, s7
	s_cbranch_execz .LBB22_56
; %bb.55:
	v_ashrrev_i32_e32 v57, 31, v56
	s_delay_alu instid0(VALU_DEP_1) | instskip(NEXT) | instid1(VALU_DEP_1)
	v_lshlrev_b64 v[64:65], 2, v[56:57]
	v_add_co_u32 v64, vcc_lo, v54, v64
	s_delay_alu instid0(VALU_DEP_2)
	v_add_co_ci_u32_e32 v65, vcc_lo, v55, v65, vcc_lo
	s_clause 0x1
	flat_load_b32 v57, v[64:65]
	flat_load_b32 v61, v[54:55] offset:8
	s_waitcnt vmcnt(1) lgkmcnt(1)
	flat_store_b32 v[54:55], v57 offset:8
	s_waitcnt vmcnt(0) lgkmcnt(1)
	flat_store_b32 v[64:65], v61
.LBB22_56:
	s_or_b32 exec_lo, exec_lo, s6
	v_mov_b32_e32 v64, v56
	v_mov_b32_e32 v61, v56
.LBB22_57:
	s_or_b32 exec_lo, exec_lo, s3
.LBB22_58:
	s_and_not1_saveexec_b32 s2, s2
	s_cbranch_execz .LBB22_60
; %bb.59:
	v_mov_b32_e32 v64, 2
	ds_store_2addr_b64 v58, v[24:25], v[26:27] offset0:6 offset1:7
	ds_store_2addr_b64 v58, v[44:45], v[46:47] offset0:8 offset1:9
	ds_store_2addr_b64 v58, v[20:21], v[22:23] offset0:10 offset1:11
	ds_store_2addr_b64 v58, v[32:33], v[34:35] offset0:12 offset1:13
	ds_store_2addr_b64 v58, v[16:17], v[18:19] offset0:14 offset1:15
	ds_store_2addr_b64 v58, v[12:13], v[14:15] offset0:16 offset1:17
	ds_store_2addr_b64 v58, v[8:9], v[10:11] offset0:18 offset1:19
	ds_store_2addr_b64 v58, v[4:5], v[6:7] offset0:20 offset1:21
	ds_store_2addr_b64 v58, v[0:1], v[2:3] offset0:22 offset1:23
.LBB22_60:
	s_or_b32 exec_lo, exec_lo, s2
	s_delay_alu instid0(SALU_CYCLE_1)
	s_mov_b32 s2, exec_lo
	s_waitcnt lgkmcnt(0)
	s_waitcnt_vscnt null, 0x0
	s_barrier
	buffer_gl0_inv
	v_cmpx_lt_i32_e32 2, v64
	s_cbranch_execz .LBB22_62
; %bb.61:
	v_mul_f64 v[56:57], v[48:49], v[30:31]
	v_mul_f64 v[30:31], v[50:51], v[30:31]
	ds_load_2addr_b64 v[65:68], v58 offset0:6 offset1:7
	ds_load_2addr_b64 v[69:72], v58 offset0:8 offset1:9
	;; [unrolled: 1-line block ×9, first 2 shown]
	v_fma_f64 v[50:51], v[50:51], v[28:29], v[56:57]
	v_fma_f64 v[28:29], v[48:49], v[28:29], -v[30:31]
	s_waitcnt lgkmcnt(8)
	s_delay_alu instid0(VALU_DEP_2)
	v_mul_f64 v[30:31], v[67:68], v[50:51]
	v_mul_f64 v[48:49], v[65:66], v[50:51]
	s_waitcnt lgkmcnt(7)
	v_mul_f64 v[56:57], v[71:72], v[50:51]
	v_mul_f64 v[101:102], v[69:70], v[50:51]
	s_waitcnt lgkmcnt(6)
	;; [unrolled: 3-line block ×8, first 2 shown]
	v_mul_f64 v[127:128], v[99:100], v[50:51]
	v_mul_f64 v[129:130], v[97:98], v[50:51]
	v_fma_f64 v[30:31], v[65:66], v[28:29], -v[30:31]
	v_fma_f64 v[48:49], v[67:68], v[28:29], v[48:49]
	v_fma_f64 v[56:57], v[69:70], v[28:29], -v[56:57]
	v_fma_f64 v[65:66], v[71:72], v[28:29], v[101:102]
	;; [unrolled: 2-line block ×9, first 2 shown]
	v_add_f64 v[24:25], v[24:25], -v[30:31]
	v_add_f64 v[26:27], v[26:27], -v[48:49]
	;; [unrolled: 1-line block ×18, first 2 shown]
	v_dual_mov_b32 v30, v50 :: v_dual_mov_b32 v31, v51
.LBB22_62:
	s_or_b32 exec_lo, exec_lo, s2
	v_lshl_add_u32 v48, v64, 4, v58
	s_barrier
	buffer_gl0_inv
	v_mov_b32_e32 v56, 3
	ds_store_2addr_b64 v48, v[24:25], v[26:27] offset1:1
	s_waitcnt lgkmcnt(0)
	s_barrier
	buffer_gl0_inv
	ds_load_2addr_b64 v[48:51], v58 offset0:6 offset1:7
	s_cmp_lt_i32 s5, 5
	s_mov_b32 s6, 4
	s_cbranch_scc1 .LBB22_65
; %bb.63:
	v_add3_u32 v57, v63, 0, 64
	v_mov_b32_e32 v56, 3
	s_set_inst_prefetch_distance 0x1
	.p2align	6
.LBB22_64:                              ; =>This Inner Loop Header: Depth=1
	ds_load_2addr_b64 v[65:68], v57 offset1:1
	s_waitcnt lgkmcnt(1)
	v_cmp_gt_f64_e32 vcc_lo, 0, v[48:49]
	v_xor_b32_e32 v69, 0x80000000, v49
	v_cmp_gt_f64_e64 s2, 0, v[50:51]
	v_xor_b32_e32 v71, 0x80000000, v51
	v_add_nc_u32_e32 v57, 16, v57
	s_waitcnt lgkmcnt(0)
	v_cmp_gt_f64_e64 s3, 0, v[65:66]
	v_mov_b32_e32 v73, v65
	v_dual_mov_b32 v75, v67 :: v_dual_cndmask_b32 v70, v49, v69
	v_xor_b32_e32 v69, 0x80000000, v66
	v_cndmask_b32_e64 v72, v51, v71, s2
	v_xor_b32_e32 v71, 0x80000000, v68
	s_delay_alu instid0(VALU_DEP_3) | instskip(SKIP_2) | instid1(VALU_DEP_2)
	v_cndmask_b32_e64 v74, v66, v69, s3
	v_cmp_gt_f64_e64 s3, 0, v[67:68]
	v_cndmask_b32_e32 v69, v48, v48, vcc_lo
	v_cndmask_b32_e64 v76, v68, v71, s3
	v_cndmask_b32_e64 v71, v50, v50, s2
	s_delay_alu instid0(VALU_DEP_2) | instskip(NEXT) | instid1(VALU_DEP_2)
	v_add_f64 v[73:74], v[73:74], v[75:76]
	v_add_f64 v[69:70], v[69:70], v[71:72]
	s_delay_alu instid0(VALU_DEP_1) | instskip(SKIP_4) | instid1(SALU_CYCLE_1)
	v_cmp_lt_f64_e32 vcc_lo, v[69:70], v[73:74]
	v_dual_cndmask_b32 v50, v50, v67 :: v_dual_cndmask_b32 v49, v49, v66
	v_dual_cndmask_b32 v48, v48, v65 :: v_dual_cndmask_b32 v51, v51, v68
	v_cndmask_b32_e64 v56, v56, s6, vcc_lo
	s_add_i32 s6, s6, 1
	s_cmp_lg_u32 s5, s6
	s_cbranch_scc1 .LBB22_64
.LBB22_65:
	s_set_inst_prefetch_distance 0x2
	s_waitcnt lgkmcnt(0)
	v_cmp_eq_f64_e32 vcc_lo, 0, v[48:49]
	v_cmp_eq_f64_e64 s2, 0, v[50:51]
	s_delay_alu instid0(VALU_DEP_1) | instskip(NEXT) | instid1(SALU_CYCLE_1)
	s_and_b32 s2, vcc_lo, s2
	s_and_saveexec_b32 s3, s2
	s_delay_alu instid0(SALU_CYCLE_1)
	s_xor_b32 s2, exec_lo, s3
; %bb.66:
	v_cmp_ne_u32_e32 vcc_lo, 0, v62
	v_cndmask_b32_e32 v62, 4, v62, vcc_lo
; %bb.67:
	s_and_not1_saveexec_b32 s3, s2
	s_cbranch_execz .LBB22_73
; %bb.68:
	v_cmp_gt_f64_e32 vcc_lo, 0, v[48:49]
	v_cmp_gt_f64_e64 s2, 0, v[50:51]
	v_xor_b32_e32 v57, 0x80000000, v49
	v_xor_b32_e32 v65, 0x80000000, v51
	s_delay_alu instid0(VALU_DEP_2) | instskip(NEXT) | instid1(VALU_DEP_2)
	v_cndmask_b32_e32 v66, v49, v57, vcc_lo
	v_cndmask_b32_e64 v68, v51, v65, s2
	v_cndmask_b32_e32 v65, v48, v48, vcc_lo
	v_cndmask_b32_e64 v67, v50, v50, s2
	s_mov_b32 s2, exec_lo
	s_delay_alu instid0(VALU_DEP_1)
	v_cmpx_ngt_f64_e32 v[65:66], v[67:68]
	s_xor_b32 s2, exec_lo, s2
	s_cbranch_execz .LBB22_70
; %bb.69:
	v_div_scale_f64 v[65:66], null, v[50:51], v[50:51], v[48:49]
	v_div_scale_f64 v[71:72], vcc_lo, v[48:49], v[50:51], v[48:49]
	s_delay_alu instid0(VALU_DEP_2) | instskip(SKIP_2) | instid1(VALU_DEP_1)
	v_rcp_f64_e32 v[67:68], v[65:66]
	s_waitcnt_depctr 0xfff
	v_fma_f64 v[69:70], -v[65:66], v[67:68], 1.0
	v_fma_f64 v[67:68], v[67:68], v[69:70], v[67:68]
	s_delay_alu instid0(VALU_DEP_1) | instskip(NEXT) | instid1(VALU_DEP_1)
	v_fma_f64 v[69:70], -v[65:66], v[67:68], 1.0
	v_fma_f64 v[67:68], v[67:68], v[69:70], v[67:68]
	s_delay_alu instid0(VALU_DEP_1) | instskip(NEXT) | instid1(VALU_DEP_1)
	v_mul_f64 v[69:70], v[71:72], v[67:68]
	v_fma_f64 v[65:66], -v[65:66], v[69:70], v[71:72]
	s_delay_alu instid0(VALU_DEP_1) | instskip(NEXT) | instid1(VALU_DEP_1)
	v_div_fmas_f64 v[65:66], v[65:66], v[67:68], v[69:70]
	v_div_fixup_f64 v[65:66], v[65:66], v[50:51], v[48:49]
	s_delay_alu instid0(VALU_DEP_1) | instskip(NEXT) | instid1(VALU_DEP_1)
	v_fma_f64 v[48:49], v[48:49], v[65:66], v[50:51]
	v_div_scale_f64 v[50:51], null, v[48:49], v[48:49], 1.0
	s_delay_alu instid0(VALU_DEP_1) | instskip(SKIP_2) | instid1(VALU_DEP_1)
	v_rcp_f64_e32 v[67:68], v[50:51]
	s_waitcnt_depctr 0xfff
	v_fma_f64 v[69:70], -v[50:51], v[67:68], 1.0
	v_fma_f64 v[67:68], v[67:68], v[69:70], v[67:68]
	s_delay_alu instid0(VALU_DEP_1) | instskip(NEXT) | instid1(VALU_DEP_1)
	v_fma_f64 v[69:70], -v[50:51], v[67:68], 1.0
	v_fma_f64 v[67:68], v[67:68], v[69:70], v[67:68]
	v_div_scale_f64 v[69:70], vcc_lo, 1.0, v[48:49], 1.0
	s_delay_alu instid0(VALU_DEP_1) | instskip(NEXT) | instid1(VALU_DEP_1)
	v_mul_f64 v[71:72], v[69:70], v[67:68]
	v_fma_f64 v[50:51], -v[50:51], v[71:72], v[69:70]
	s_delay_alu instid0(VALU_DEP_1) | instskip(NEXT) | instid1(VALU_DEP_1)
	v_div_fmas_f64 v[50:51], v[50:51], v[67:68], v[71:72]
	v_div_fixup_f64 v[50:51], v[50:51], v[48:49], 1.0
	s_delay_alu instid0(VALU_DEP_1)
	v_mul_f64 v[48:49], v[65:66], v[50:51]
	v_xor_b32_e32 v51, 0x80000000, v51
.LBB22_70:
	s_and_not1_saveexec_b32 s2, s2
	s_cbranch_execz .LBB22_72
; %bb.71:
	s_delay_alu instid0(VALU_DEP_1) | instskip(SKIP_1) | instid1(VALU_DEP_2)
	v_div_scale_f64 v[65:66], null, v[48:49], v[48:49], v[50:51]
	v_div_scale_f64 v[71:72], vcc_lo, v[50:51], v[48:49], v[50:51]
	v_rcp_f64_e32 v[67:68], v[65:66]
	s_waitcnt_depctr 0xfff
	v_fma_f64 v[69:70], -v[65:66], v[67:68], 1.0
	s_delay_alu instid0(VALU_DEP_1) | instskip(NEXT) | instid1(VALU_DEP_1)
	v_fma_f64 v[67:68], v[67:68], v[69:70], v[67:68]
	v_fma_f64 v[69:70], -v[65:66], v[67:68], 1.0
	s_delay_alu instid0(VALU_DEP_1) | instskip(NEXT) | instid1(VALU_DEP_1)
	v_fma_f64 v[67:68], v[67:68], v[69:70], v[67:68]
	v_mul_f64 v[69:70], v[71:72], v[67:68]
	s_delay_alu instid0(VALU_DEP_1) | instskip(NEXT) | instid1(VALU_DEP_1)
	v_fma_f64 v[65:66], -v[65:66], v[69:70], v[71:72]
	v_div_fmas_f64 v[65:66], v[65:66], v[67:68], v[69:70]
	s_delay_alu instid0(VALU_DEP_1) | instskip(NEXT) | instid1(VALU_DEP_1)
	v_div_fixup_f64 v[65:66], v[65:66], v[48:49], v[50:51]
	v_fma_f64 v[48:49], v[50:51], v[65:66], v[48:49]
	s_delay_alu instid0(VALU_DEP_1) | instskip(NEXT) | instid1(VALU_DEP_1)
	v_div_scale_f64 v[50:51], null, v[48:49], v[48:49], 1.0
	v_rcp_f64_e32 v[67:68], v[50:51]
	s_waitcnt_depctr 0xfff
	v_fma_f64 v[69:70], -v[50:51], v[67:68], 1.0
	s_delay_alu instid0(VALU_DEP_1) | instskip(NEXT) | instid1(VALU_DEP_1)
	v_fma_f64 v[67:68], v[67:68], v[69:70], v[67:68]
	v_fma_f64 v[69:70], -v[50:51], v[67:68], 1.0
	s_delay_alu instid0(VALU_DEP_1) | instskip(SKIP_1) | instid1(VALU_DEP_1)
	v_fma_f64 v[67:68], v[67:68], v[69:70], v[67:68]
	v_div_scale_f64 v[69:70], vcc_lo, 1.0, v[48:49], 1.0
	v_mul_f64 v[71:72], v[69:70], v[67:68]
	s_delay_alu instid0(VALU_DEP_1) | instskip(NEXT) | instid1(VALU_DEP_1)
	v_fma_f64 v[50:51], -v[50:51], v[71:72], v[69:70]
	v_div_fmas_f64 v[50:51], v[50:51], v[67:68], v[71:72]
	s_delay_alu instid0(VALU_DEP_1) | instskip(NEXT) | instid1(VALU_DEP_1)
	v_div_fixup_f64 v[48:49], v[50:51], v[48:49], 1.0
	v_mul_f64 v[50:51], v[65:66], -v[48:49]
.LBB22_72:
	s_or_b32 exec_lo, exec_lo, s2
.LBB22_73:
	s_delay_alu instid0(SALU_CYCLE_1) | instskip(NEXT) | instid1(SALU_CYCLE_1)
	s_or_b32 exec_lo, exec_lo, s3
	s_mov_b32 s2, exec_lo
	v_cmpx_ne_u32_e64 v64, v56
	s_xor_b32 s2, exec_lo, s2
	s_cbranch_execz .LBB22_79
; %bb.74:
	s_mov_b32 s3, exec_lo
	v_cmpx_eq_u32_e32 3, v64
	s_cbranch_execz .LBB22_78
; %bb.75:
	v_cmp_ne_u32_e32 vcc_lo, 3, v56
	s_xor_b32 s6, s4, -1
	s_delay_alu instid0(SALU_CYCLE_1) | instskip(NEXT) | instid1(SALU_CYCLE_1)
	s_and_b32 s7, s6, vcc_lo
	s_and_saveexec_b32 s6, s7
	s_cbranch_execz .LBB22_77
; %bb.76:
	v_ashrrev_i32_e32 v57, 31, v56
	s_delay_alu instid0(VALU_DEP_1) | instskip(NEXT) | instid1(VALU_DEP_1)
	v_lshlrev_b64 v[64:65], 2, v[56:57]
	v_add_co_u32 v64, vcc_lo, v54, v64
	s_delay_alu instid0(VALU_DEP_2)
	v_add_co_ci_u32_e32 v65, vcc_lo, v55, v65, vcc_lo
	s_clause 0x1
	flat_load_b32 v57, v[64:65]
	flat_load_b32 v61, v[54:55] offset:12
	s_waitcnt vmcnt(1) lgkmcnt(1)
	flat_store_b32 v[54:55], v57 offset:12
	s_waitcnt vmcnt(0) lgkmcnt(1)
	flat_store_b32 v[64:65], v61
.LBB22_77:
	s_or_b32 exec_lo, exec_lo, s6
	v_mov_b32_e32 v64, v56
	v_mov_b32_e32 v61, v56
.LBB22_78:
	s_or_b32 exec_lo, exec_lo, s3
.LBB22_79:
	s_and_not1_saveexec_b32 s2, s2
	s_cbranch_execz .LBB22_81
; %bb.80:
	v_mov_b32_e32 v64, 3
	ds_store_2addr_b64 v58, v[44:45], v[46:47] offset0:8 offset1:9
	ds_store_2addr_b64 v58, v[20:21], v[22:23] offset0:10 offset1:11
	;; [unrolled: 1-line block ×8, first 2 shown]
.LBB22_81:
	s_or_b32 exec_lo, exec_lo, s2
	s_delay_alu instid0(SALU_CYCLE_1)
	s_mov_b32 s2, exec_lo
	s_waitcnt lgkmcnt(0)
	s_waitcnt_vscnt null, 0x0
	s_barrier
	buffer_gl0_inv
	v_cmpx_lt_i32_e32 3, v64
	s_cbranch_execz .LBB22_83
; %bb.82:
	v_mul_f64 v[56:57], v[48:49], v[26:27]
	v_mul_f64 v[26:27], v[50:51], v[26:27]
	ds_load_2addr_b64 v[65:68], v58 offset0:8 offset1:9
	ds_load_2addr_b64 v[69:72], v58 offset0:10 offset1:11
	;; [unrolled: 1-line block ×8, first 2 shown]
	v_fma_f64 v[50:51], v[50:51], v[24:25], v[56:57]
	v_fma_f64 v[24:25], v[48:49], v[24:25], -v[26:27]
	s_waitcnt lgkmcnt(7)
	s_delay_alu instid0(VALU_DEP_2)
	v_mul_f64 v[26:27], v[67:68], v[50:51]
	v_mul_f64 v[48:49], v[65:66], v[50:51]
	s_waitcnt lgkmcnt(6)
	v_mul_f64 v[56:57], v[71:72], v[50:51]
	v_mul_f64 v[97:98], v[69:70], v[50:51]
	s_waitcnt lgkmcnt(5)
	;; [unrolled: 3-line block ×7, first 2 shown]
	v_mul_f64 v[119:120], v[95:96], v[50:51]
	v_mul_f64 v[121:122], v[93:94], v[50:51]
	v_fma_f64 v[26:27], v[65:66], v[24:25], -v[26:27]
	v_fma_f64 v[48:49], v[67:68], v[24:25], v[48:49]
	v_fma_f64 v[56:57], v[69:70], v[24:25], -v[56:57]
	v_fma_f64 v[65:66], v[71:72], v[24:25], v[97:98]
	v_fma_f64 v[67:68], v[73:74], v[24:25], -v[99:100]
	v_fma_f64 v[69:70], v[75:76], v[24:25], v[101:102]
	v_fma_f64 v[71:72], v[77:78], v[24:25], -v[103:104]
	v_fma_f64 v[73:74], v[79:80], v[24:25], v[105:106]
	v_fma_f64 v[75:76], v[81:82], v[24:25], -v[107:108]
	v_fma_f64 v[77:78], v[83:84], v[24:25], v[109:110]
	v_fma_f64 v[79:80], v[85:86], v[24:25], -v[111:112]
	v_fma_f64 v[81:82], v[87:88], v[24:25], v[113:114]
	v_fma_f64 v[83:84], v[89:90], v[24:25], -v[115:116]
	v_fma_f64 v[85:86], v[91:92], v[24:25], v[117:118]
	v_fma_f64 v[87:88], v[93:94], v[24:25], -v[119:120]
	v_fma_f64 v[89:90], v[95:96], v[24:25], v[121:122]
	v_add_f64 v[44:45], v[44:45], -v[26:27]
	v_add_f64 v[46:47], v[46:47], -v[48:49]
	v_add_f64 v[20:21], v[20:21], -v[56:57]
	v_add_f64 v[22:23], v[22:23], -v[65:66]
	v_add_f64 v[32:33], v[32:33], -v[67:68]
	v_add_f64 v[34:35], v[34:35], -v[69:70]
	v_add_f64 v[16:17], v[16:17], -v[71:72]
	v_add_f64 v[18:19], v[18:19], -v[73:74]
	v_add_f64 v[12:13], v[12:13], -v[75:76]
	v_add_f64 v[14:15], v[14:15], -v[77:78]
	v_add_f64 v[8:9], v[8:9], -v[79:80]
	v_add_f64 v[10:11], v[10:11], -v[81:82]
	v_add_f64 v[4:5], v[4:5], -v[83:84]
	v_add_f64 v[6:7], v[6:7], -v[85:86]
	v_add_f64 v[0:1], v[0:1], -v[87:88]
	v_add_f64 v[2:3], v[2:3], -v[89:90]
	v_dual_mov_b32 v26, v50 :: v_dual_mov_b32 v27, v51
.LBB22_83:
	s_or_b32 exec_lo, exec_lo, s2
	v_lshl_add_u32 v48, v64, 4, v58
	s_barrier
	buffer_gl0_inv
	v_mov_b32_e32 v56, 4
	ds_store_2addr_b64 v48, v[44:45], v[46:47] offset1:1
	s_waitcnt lgkmcnt(0)
	s_barrier
	buffer_gl0_inv
	ds_load_2addr_b64 v[48:51], v58 offset0:8 offset1:9
	s_cmp_lt_i32 s5, 6
	s_cbranch_scc1 .LBB22_86
; %bb.84:
	v_add3_u32 v57, v63, 0, 0x50
	v_mov_b32_e32 v56, 4
	s_mov_b32 s6, 5
	s_set_inst_prefetch_distance 0x1
	.p2align	6
.LBB22_85:                              ; =>This Inner Loop Header: Depth=1
	ds_load_2addr_b64 v[65:68], v57 offset1:1
	s_waitcnt lgkmcnt(1)
	v_cmp_gt_f64_e32 vcc_lo, 0, v[48:49]
	v_xor_b32_e32 v69, 0x80000000, v49
	v_cmp_gt_f64_e64 s2, 0, v[50:51]
	v_xor_b32_e32 v71, 0x80000000, v51
	v_add_nc_u32_e32 v57, 16, v57
	s_waitcnt lgkmcnt(0)
	v_cmp_gt_f64_e64 s3, 0, v[65:66]
	v_mov_b32_e32 v73, v65
	v_dual_mov_b32 v75, v67 :: v_dual_cndmask_b32 v70, v49, v69
	v_xor_b32_e32 v69, 0x80000000, v66
	v_cndmask_b32_e64 v72, v51, v71, s2
	v_xor_b32_e32 v71, 0x80000000, v68
	s_delay_alu instid0(VALU_DEP_3) | instskip(SKIP_2) | instid1(VALU_DEP_2)
	v_cndmask_b32_e64 v74, v66, v69, s3
	v_cmp_gt_f64_e64 s3, 0, v[67:68]
	v_cndmask_b32_e32 v69, v48, v48, vcc_lo
	v_cndmask_b32_e64 v76, v68, v71, s3
	v_cndmask_b32_e64 v71, v50, v50, s2
	s_delay_alu instid0(VALU_DEP_2) | instskip(NEXT) | instid1(VALU_DEP_2)
	v_add_f64 v[73:74], v[73:74], v[75:76]
	v_add_f64 v[69:70], v[69:70], v[71:72]
	s_delay_alu instid0(VALU_DEP_1) | instskip(SKIP_4) | instid1(SALU_CYCLE_1)
	v_cmp_lt_f64_e32 vcc_lo, v[69:70], v[73:74]
	v_dual_cndmask_b32 v50, v50, v67 :: v_dual_cndmask_b32 v49, v49, v66
	v_dual_cndmask_b32 v48, v48, v65 :: v_dual_cndmask_b32 v51, v51, v68
	v_cndmask_b32_e64 v56, v56, s6, vcc_lo
	s_add_i32 s6, s6, 1
	s_cmp_lg_u32 s5, s6
	s_cbranch_scc1 .LBB22_85
.LBB22_86:
	s_set_inst_prefetch_distance 0x2
	s_waitcnt lgkmcnt(0)
	v_cmp_eq_f64_e32 vcc_lo, 0, v[48:49]
	v_cmp_eq_f64_e64 s2, 0, v[50:51]
	s_delay_alu instid0(VALU_DEP_1) | instskip(NEXT) | instid1(SALU_CYCLE_1)
	s_and_b32 s2, vcc_lo, s2
	s_and_saveexec_b32 s3, s2
	s_delay_alu instid0(SALU_CYCLE_1)
	s_xor_b32 s2, exec_lo, s3
; %bb.87:
	v_cmp_ne_u32_e32 vcc_lo, 0, v62
	v_cndmask_b32_e32 v62, 5, v62, vcc_lo
; %bb.88:
	s_and_not1_saveexec_b32 s3, s2
	s_cbranch_execz .LBB22_94
; %bb.89:
	v_cmp_gt_f64_e32 vcc_lo, 0, v[48:49]
	v_cmp_gt_f64_e64 s2, 0, v[50:51]
	v_xor_b32_e32 v57, 0x80000000, v49
	v_xor_b32_e32 v65, 0x80000000, v51
	s_delay_alu instid0(VALU_DEP_2) | instskip(NEXT) | instid1(VALU_DEP_2)
	v_cndmask_b32_e32 v66, v49, v57, vcc_lo
	v_cndmask_b32_e64 v68, v51, v65, s2
	v_cndmask_b32_e32 v65, v48, v48, vcc_lo
	v_cndmask_b32_e64 v67, v50, v50, s2
	s_mov_b32 s2, exec_lo
	s_delay_alu instid0(VALU_DEP_1)
	v_cmpx_ngt_f64_e32 v[65:66], v[67:68]
	s_xor_b32 s2, exec_lo, s2
	s_cbranch_execz .LBB22_91
; %bb.90:
	v_div_scale_f64 v[65:66], null, v[50:51], v[50:51], v[48:49]
	v_div_scale_f64 v[71:72], vcc_lo, v[48:49], v[50:51], v[48:49]
	s_delay_alu instid0(VALU_DEP_2) | instskip(SKIP_2) | instid1(VALU_DEP_1)
	v_rcp_f64_e32 v[67:68], v[65:66]
	s_waitcnt_depctr 0xfff
	v_fma_f64 v[69:70], -v[65:66], v[67:68], 1.0
	v_fma_f64 v[67:68], v[67:68], v[69:70], v[67:68]
	s_delay_alu instid0(VALU_DEP_1) | instskip(NEXT) | instid1(VALU_DEP_1)
	v_fma_f64 v[69:70], -v[65:66], v[67:68], 1.0
	v_fma_f64 v[67:68], v[67:68], v[69:70], v[67:68]
	s_delay_alu instid0(VALU_DEP_1) | instskip(NEXT) | instid1(VALU_DEP_1)
	v_mul_f64 v[69:70], v[71:72], v[67:68]
	v_fma_f64 v[65:66], -v[65:66], v[69:70], v[71:72]
	s_delay_alu instid0(VALU_DEP_1) | instskip(NEXT) | instid1(VALU_DEP_1)
	v_div_fmas_f64 v[65:66], v[65:66], v[67:68], v[69:70]
	v_div_fixup_f64 v[65:66], v[65:66], v[50:51], v[48:49]
	s_delay_alu instid0(VALU_DEP_1) | instskip(NEXT) | instid1(VALU_DEP_1)
	v_fma_f64 v[48:49], v[48:49], v[65:66], v[50:51]
	v_div_scale_f64 v[50:51], null, v[48:49], v[48:49], 1.0
	s_delay_alu instid0(VALU_DEP_1) | instskip(SKIP_2) | instid1(VALU_DEP_1)
	v_rcp_f64_e32 v[67:68], v[50:51]
	s_waitcnt_depctr 0xfff
	v_fma_f64 v[69:70], -v[50:51], v[67:68], 1.0
	v_fma_f64 v[67:68], v[67:68], v[69:70], v[67:68]
	s_delay_alu instid0(VALU_DEP_1) | instskip(NEXT) | instid1(VALU_DEP_1)
	v_fma_f64 v[69:70], -v[50:51], v[67:68], 1.0
	v_fma_f64 v[67:68], v[67:68], v[69:70], v[67:68]
	v_div_scale_f64 v[69:70], vcc_lo, 1.0, v[48:49], 1.0
	s_delay_alu instid0(VALU_DEP_1) | instskip(NEXT) | instid1(VALU_DEP_1)
	v_mul_f64 v[71:72], v[69:70], v[67:68]
	v_fma_f64 v[50:51], -v[50:51], v[71:72], v[69:70]
	s_delay_alu instid0(VALU_DEP_1) | instskip(NEXT) | instid1(VALU_DEP_1)
	v_div_fmas_f64 v[50:51], v[50:51], v[67:68], v[71:72]
	v_div_fixup_f64 v[50:51], v[50:51], v[48:49], 1.0
	s_delay_alu instid0(VALU_DEP_1)
	v_mul_f64 v[48:49], v[65:66], v[50:51]
	v_xor_b32_e32 v51, 0x80000000, v51
.LBB22_91:
	s_and_not1_saveexec_b32 s2, s2
	s_cbranch_execz .LBB22_93
; %bb.92:
	s_delay_alu instid0(VALU_DEP_1) | instskip(SKIP_1) | instid1(VALU_DEP_2)
	v_div_scale_f64 v[65:66], null, v[48:49], v[48:49], v[50:51]
	v_div_scale_f64 v[71:72], vcc_lo, v[50:51], v[48:49], v[50:51]
	v_rcp_f64_e32 v[67:68], v[65:66]
	s_waitcnt_depctr 0xfff
	v_fma_f64 v[69:70], -v[65:66], v[67:68], 1.0
	s_delay_alu instid0(VALU_DEP_1) | instskip(NEXT) | instid1(VALU_DEP_1)
	v_fma_f64 v[67:68], v[67:68], v[69:70], v[67:68]
	v_fma_f64 v[69:70], -v[65:66], v[67:68], 1.0
	s_delay_alu instid0(VALU_DEP_1) | instskip(NEXT) | instid1(VALU_DEP_1)
	v_fma_f64 v[67:68], v[67:68], v[69:70], v[67:68]
	v_mul_f64 v[69:70], v[71:72], v[67:68]
	s_delay_alu instid0(VALU_DEP_1) | instskip(NEXT) | instid1(VALU_DEP_1)
	v_fma_f64 v[65:66], -v[65:66], v[69:70], v[71:72]
	v_div_fmas_f64 v[65:66], v[65:66], v[67:68], v[69:70]
	s_delay_alu instid0(VALU_DEP_1) | instskip(NEXT) | instid1(VALU_DEP_1)
	v_div_fixup_f64 v[65:66], v[65:66], v[48:49], v[50:51]
	v_fma_f64 v[48:49], v[50:51], v[65:66], v[48:49]
	s_delay_alu instid0(VALU_DEP_1) | instskip(NEXT) | instid1(VALU_DEP_1)
	v_div_scale_f64 v[50:51], null, v[48:49], v[48:49], 1.0
	v_rcp_f64_e32 v[67:68], v[50:51]
	s_waitcnt_depctr 0xfff
	v_fma_f64 v[69:70], -v[50:51], v[67:68], 1.0
	s_delay_alu instid0(VALU_DEP_1) | instskip(NEXT) | instid1(VALU_DEP_1)
	v_fma_f64 v[67:68], v[67:68], v[69:70], v[67:68]
	v_fma_f64 v[69:70], -v[50:51], v[67:68], 1.0
	s_delay_alu instid0(VALU_DEP_1) | instskip(SKIP_1) | instid1(VALU_DEP_1)
	v_fma_f64 v[67:68], v[67:68], v[69:70], v[67:68]
	v_div_scale_f64 v[69:70], vcc_lo, 1.0, v[48:49], 1.0
	v_mul_f64 v[71:72], v[69:70], v[67:68]
	s_delay_alu instid0(VALU_DEP_1) | instskip(NEXT) | instid1(VALU_DEP_1)
	v_fma_f64 v[50:51], -v[50:51], v[71:72], v[69:70]
	v_div_fmas_f64 v[50:51], v[50:51], v[67:68], v[71:72]
	s_delay_alu instid0(VALU_DEP_1) | instskip(NEXT) | instid1(VALU_DEP_1)
	v_div_fixup_f64 v[48:49], v[50:51], v[48:49], 1.0
	v_mul_f64 v[50:51], v[65:66], -v[48:49]
.LBB22_93:
	s_or_b32 exec_lo, exec_lo, s2
.LBB22_94:
	s_delay_alu instid0(SALU_CYCLE_1) | instskip(NEXT) | instid1(SALU_CYCLE_1)
	s_or_b32 exec_lo, exec_lo, s3
	s_mov_b32 s2, exec_lo
	v_cmpx_ne_u32_e64 v64, v56
	s_xor_b32 s2, exec_lo, s2
	s_cbranch_execz .LBB22_100
; %bb.95:
	s_mov_b32 s3, exec_lo
	v_cmpx_eq_u32_e32 4, v64
	s_cbranch_execz .LBB22_99
; %bb.96:
	v_cmp_ne_u32_e32 vcc_lo, 4, v56
	s_xor_b32 s6, s4, -1
	s_delay_alu instid0(SALU_CYCLE_1) | instskip(NEXT) | instid1(SALU_CYCLE_1)
	s_and_b32 s7, s6, vcc_lo
	s_and_saveexec_b32 s6, s7
	s_cbranch_execz .LBB22_98
; %bb.97:
	v_ashrrev_i32_e32 v57, 31, v56
	s_delay_alu instid0(VALU_DEP_1) | instskip(NEXT) | instid1(VALU_DEP_1)
	v_lshlrev_b64 v[64:65], 2, v[56:57]
	v_add_co_u32 v64, vcc_lo, v54, v64
	s_delay_alu instid0(VALU_DEP_2)
	v_add_co_ci_u32_e32 v65, vcc_lo, v55, v65, vcc_lo
	s_clause 0x1
	flat_load_b32 v57, v[64:65]
	flat_load_b32 v61, v[54:55] offset:16
	s_waitcnt vmcnt(1) lgkmcnt(1)
	flat_store_b32 v[54:55], v57 offset:16
	s_waitcnt vmcnt(0) lgkmcnt(1)
	flat_store_b32 v[64:65], v61
.LBB22_98:
	s_or_b32 exec_lo, exec_lo, s6
	v_mov_b32_e32 v64, v56
	v_mov_b32_e32 v61, v56
.LBB22_99:
	s_or_b32 exec_lo, exec_lo, s3
.LBB22_100:
	s_and_not1_saveexec_b32 s2, s2
	s_cbranch_execz .LBB22_102
; %bb.101:
	v_mov_b32_e32 v64, 4
	ds_store_2addr_b64 v58, v[20:21], v[22:23] offset0:10 offset1:11
	ds_store_2addr_b64 v58, v[32:33], v[34:35] offset0:12 offset1:13
	;; [unrolled: 1-line block ×7, first 2 shown]
.LBB22_102:
	s_or_b32 exec_lo, exec_lo, s2
	s_delay_alu instid0(SALU_CYCLE_1)
	s_mov_b32 s2, exec_lo
	s_waitcnt lgkmcnt(0)
	s_waitcnt_vscnt null, 0x0
	s_barrier
	buffer_gl0_inv
	v_cmpx_lt_i32_e32 4, v64
	s_cbranch_execz .LBB22_104
; %bb.103:
	v_mul_f64 v[56:57], v[48:49], v[46:47]
	v_mul_f64 v[46:47], v[50:51], v[46:47]
	ds_load_2addr_b64 v[65:68], v58 offset0:10 offset1:11
	ds_load_2addr_b64 v[69:72], v58 offset0:12 offset1:13
	;; [unrolled: 1-line block ×7, first 2 shown]
	v_fma_f64 v[50:51], v[50:51], v[44:45], v[56:57]
	v_fma_f64 v[44:45], v[48:49], v[44:45], -v[46:47]
	s_waitcnt lgkmcnt(6)
	s_delay_alu instid0(VALU_DEP_2)
	v_mul_f64 v[46:47], v[67:68], v[50:51]
	v_mul_f64 v[48:49], v[65:66], v[50:51]
	s_waitcnt lgkmcnt(5)
	v_mul_f64 v[56:57], v[71:72], v[50:51]
	v_mul_f64 v[93:94], v[69:70], v[50:51]
	s_waitcnt lgkmcnt(4)
	;; [unrolled: 3-line block ×6, first 2 shown]
	v_mul_f64 v[111:112], v[91:92], v[50:51]
	v_mul_f64 v[113:114], v[89:90], v[50:51]
	v_fma_f64 v[46:47], v[65:66], v[44:45], -v[46:47]
	v_fma_f64 v[48:49], v[67:68], v[44:45], v[48:49]
	v_fma_f64 v[56:57], v[69:70], v[44:45], -v[56:57]
	v_fma_f64 v[65:66], v[71:72], v[44:45], v[93:94]
	;; [unrolled: 2-line block ×7, first 2 shown]
	v_add_f64 v[20:21], v[20:21], -v[46:47]
	v_add_f64 v[22:23], v[22:23], -v[48:49]
	;; [unrolled: 1-line block ×14, first 2 shown]
	v_dual_mov_b32 v46, v50 :: v_dual_mov_b32 v47, v51
.LBB22_104:
	s_or_b32 exec_lo, exec_lo, s2
	v_lshl_add_u32 v48, v64, 4, v58
	s_barrier
	buffer_gl0_inv
	v_mov_b32_e32 v56, 5
	ds_store_2addr_b64 v48, v[20:21], v[22:23] offset1:1
	s_waitcnt lgkmcnt(0)
	s_barrier
	buffer_gl0_inv
	ds_load_2addr_b64 v[48:51], v58 offset0:10 offset1:11
	s_cmp_lt_i32 s5, 7
	s_cbranch_scc1 .LBB22_107
; %bb.105:
	v_add3_u32 v57, v63, 0, 0x60
	v_mov_b32_e32 v56, 5
	s_mov_b32 s6, 6
	s_set_inst_prefetch_distance 0x1
	.p2align	6
.LBB22_106:                             ; =>This Inner Loop Header: Depth=1
	ds_load_2addr_b64 v[65:68], v57 offset1:1
	s_waitcnt lgkmcnt(1)
	v_cmp_gt_f64_e32 vcc_lo, 0, v[48:49]
	v_xor_b32_e32 v69, 0x80000000, v49
	v_cmp_gt_f64_e64 s2, 0, v[50:51]
	v_xor_b32_e32 v71, 0x80000000, v51
	v_add_nc_u32_e32 v57, 16, v57
	s_waitcnt lgkmcnt(0)
	v_cmp_gt_f64_e64 s3, 0, v[65:66]
	v_mov_b32_e32 v73, v65
	v_dual_mov_b32 v75, v67 :: v_dual_cndmask_b32 v70, v49, v69
	v_xor_b32_e32 v69, 0x80000000, v66
	v_cndmask_b32_e64 v72, v51, v71, s2
	v_xor_b32_e32 v71, 0x80000000, v68
	s_delay_alu instid0(VALU_DEP_3) | instskip(SKIP_2) | instid1(VALU_DEP_2)
	v_cndmask_b32_e64 v74, v66, v69, s3
	v_cmp_gt_f64_e64 s3, 0, v[67:68]
	v_cndmask_b32_e32 v69, v48, v48, vcc_lo
	v_cndmask_b32_e64 v76, v68, v71, s3
	v_cndmask_b32_e64 v71, v50, v50, s2
	s_delay_alu instid0(VALU_DEP_2) | instskip(NEXT) | instid1(VALU_DEP_2)
	v_add_f64 v[73:74], v[73:74], v[75:76]
	v_add_f64 v[69:70], v[69:70], v[71:72]
	s_delay_alu instid0(VALU_DEP_1) | instskip(SKIP_4) | instid1(SALU_CYCLE_1)
	v_cmp_lt_f64_e32 vcc_lo, v[69:70], v[73:74]
	v_dual_cndmask_b32 v50, v50, v67 :: v_dual_cndmask_b32 v49, v49, v66
	v_dual_cndmask_b32 v48, v48, v65 :: v_dual_cndmask_b32 v51, v51, v68
	v_cndmask_b32_e64 v56, v56, s6, vcc_lo
	s_add_i32 s6, s6, 1
	s_cmp_lg_u32 s5, s6
	s_cbranch_scc1 .LBB22_106
.LBB22_107:
	s_set_inst_prefetch_distance 0x2
	s_waitcnt lgkmcnt(0)
	v_cmp_eq_f64_e32 vcc_lo, 0, v[48:49]
	v_cmp_eq_f64_e64 s2, 0, v[50:51]
	s_delay_alu instid0(VALU_DEP_1) | instskip(NEXT) | instid1(SALU_CYCLE_1)
	s_and_b32 s2, vcc_lo, s2
	s_and_saveexec_b32 s3, s2
	s_delay_alu instid0(SALU_CYCLE_1)
	s_xor_b32 s2, exec_lo, s3
; %bb.108:
	v_cmp_ne_u32_e32 vcc_lo, 0, v62
	v_cndmask_b32_e32 v62, 6, v62, vcc_lo
; %bb.109:
	s_and_not1_saveexec_b32 s3, s2
	s_cbranch_execz .LBB22_115
; %bb.110:
	v_cmp_gt_f64_e32 vcc_lo, 0, v[48:49]
	v_cmp_gt_f64_e64 s2, 0, v[50:51]
	v_xor_b32_e32 v57, 0x80000000, v49
	v_xor_b32_e32 v65, 0x80000000, v51
	s_delay_alu instid0(VALU_DEP_2) | instskip(NEXT) | instid1(VALU_DEP_2)
	v_cndmask_b32_e32 v66, v49, v57, vcc_lo
	v_cndmask_b32_e64 v68, v51, v65, s2
	v_cndmask_b32_e32 v65, v48, v48, vcc_lo
	v_cndmask_b32_e64 v67, v50, v50, s2
	s_mov_b32 s2, exec_lo
	s_delay_alu instid0(VALU_DEP_1)
	v_cmpx_ngt_f64_e32 v[65:66], v[67:68]
	s_xor_b32 s2, exec_lo, s2
	s_cbranch_execz .LBB22_112
; %bb.111:
	v_div_scale_f64 v[65:66], null, v[50:51], v[50:51], v[48:49]
	v_div_scale_f64 v[71:72], vcc_lo, v[48:49], v[50:51], v[48:49]
	s_delay_alu instid0(VALU_DEP_2) | instskip(SKIP_2) | instid1(VALU_DEP_1)
	v_rcp_f64_e32 v[67:68], v[65:66]
	s_waitcnt_depctr 0xfff
	v_fma_f64 v[69:70], -v[65:66], v[67:68], 1.0
	v_fma_f64 v[67:68], v[67:68], v[69:70], v[67:68]
	s_delay_alu instid0(VALU_DEP_1) | instskip(NEXT) | instid1(VALU_DEP_1)
	v_fma_f64 v[69:70], -v[65:66], v[67:68], 1.0
	v_fma_f64 v[67:68], v[67:68], v[69:70], v[67:68]
	s_delay_alu instid0(VALU_DEP_1) | instskip(NEXT) | instid1(VALU_DEP_1)
	v_mul_f64 v[69:70], v[71:72], v[67:68]
	v_fma_f64 v[65:66], -v[65:66], v[69:70], v[71:72]
	s_delay_alu instid0(VALU_DEP_1) | instskip(NEXT) | instid1(VALU_DEP_1)
	v_div_fmas_f64 v[65:66], v[65:66], v[67:68], v[69:70]
	v_div_fixup_f64 v[65:66], v[65:66], v[50:51], v[48:49]
	s_delay_alu instid0(VALU_DEP_1) | instskip(NEXT) | instid1(VALU_DEP_1)
	v_fma_f64 v[48:49], v[48:49], v[65:66], v[50:51]
	v_div_scale_f64 v[50:51], null, v[48:49], v[48:49], 1.0
	s_delay_alu instid0(VALU_DEP_1) | instskip(SKIP_2) | instid1(VALU_DEP_1)
	v_rcp_f64_e32 v[67:68], v[50:51]
	s_waitcnt_depctr 0xfff
	v_fma_f64 v[69:70], -v[50:51], v[67:68], 1.0
	v_fma_f64 v[67:68], v[67:68], v[69:70], v[67:68]
	s_delay_alu instid0(VALU_DEP_1) | instskip(NEXT) | instid1(VALU_DEP_1)
	v_fma_f64 v[69:70], -v[50:51], v[67:68], 1.0
	v_fma_f64 v[67:68], v[67:68], v[69:70], v[67:68]
	v_div_scale_f64 v[69:70], vcc_lo, 1.0, v[48:49], 1.0
	s_delay_alu instid0(VALU_DEP_1) | instskip(NEXT) | instid1(VALU_DEP_1)
	v_mul_f64 v[71:72], v[69:70], v[67:68]
	v_fma_f64 v[50:51], -v[50:51], v[71:72], v[69:70]
	s_delay_alu instid0(VALU_DEP_1) | instskip(NEXT) | instid1(VALU_DEP_1)
	v_div_fmas_f64 v[50:51], v[50:51], v[67:68], v[71:72]
	v_div_fixup_f64 v[50:51], v[50:51], v[48:49], 1.0
	s_delay_alu instid0(VALU_DEP_1)
	v_mul_f64 v[48:49], v[65:66], v[50:51]
	v_xor_b32_e32 v51, 0x80000000, v51
.LBB22_112:
	s_and_not1_saveexec_b32 s2, s2
	s_cbranch_execz .LBB22_114
; %bb.113:
	s_delay_alu instid0(VALU_DEP_1) | instskip(SKIP_1) | instid1(VALU_DEP_2)
	v_div_scale_f64 v[65:66], null, v[48:49], v[48:49], v[50:51]
	v_div_scale_f64 v[71:72], vcc_lo, v[50:51], v[48:49], v[50:51]
	v_rcp_f64_e32 v[67:68], v[65:66]
	s_waitcnt_depctr 0xfff
	v_fma_f64 v[69:70], -v[65:66], v[67:68], 1.0
	s_delay_alu instid0(VALU_DEP_1) | instskip(NEXT) | instid1(VALU_DEP_1)
	v_fma_f64 v[67:68], v[67:68], v[69:70], v[67:68]
	v_fma_f64 v[69:70], -v[65:66], v[67:68], 1.0
	s_delay_alu instid0(VALU_DEP_1) | instskip(NEXT) | instid1(VALU_DEP_1)
	v_fma_f64 v[67:68], v[67:68], v[69:70], v[67:68]
	v_mul_f64 v[69:70], v[71:72], v[67:68]
	s_delay_alu instid0(VALU_DEP_1) | instskip(NEXT) | instid1(VALU_DEP_1)
	v_fma_f64 v[65:66], -v[65:66], v[69:70], v[71:72]
	v_div_fmas_f64 v[65:66], v[65:66], v[67:68], v[69:70]
	s_delay_alu instid0(VALU_DEP_1) | instskip(NEXT) | instid1(VALU_DEP_1)
	v_div_fixup_f64 v[65:66], v[65:66], v[48:49], v[50:51]
	v_fma_f64 v[48:49], v[50:51], v[65:66], v[48:49]
	s_delay_alu instid0(VALU_DEP_1) | instskip(NEXT) | instid1(VALU_DEP_1)
	v_div_scale_f64 v[50:51], null, v[48:49], v[48:49], 1.0
	v_rcp_f64_e32 v[67:68], v[50:51]
	s_waitcnt_depctr 0xfff
	v_fma_f64 v[69:70], -v[50:51], v[67:68], 1.0
	s_delay_alu instid0(VALU_DEP_1) | instskip(NEXT) | instid1(VALU_DEP_1)
	v_fma_f64 v[67:68], v[67:68], v[69:70], v[67:68]
	v_fma_f64 v[69:70], -v[50:51], v[67:68], 1.0
	s_delay_alu instid0(VALU_DEP_1) | instskip(SKIP_1) | instid1(VALU_DEP_1)
	v_fma_f64 v[67:68], v[67:68], v[69:70], v[67:68]
	v_div_scale_f64 v[69:70], vcc_lo, 1.0, v[48:49], 1.0
	v_mul_f64 v[71:72], v[69:70], v[67:68]
	s_delay_alu instid0(VALU_DEP_1) | instskip(NEXT) | instid1(VALU_DEP_1)
	v_fma_f64 v[50:51], -v[50:51], v[71:72], v[69:70]
	v_div_fmas_f64 v[50:51], v[50:51], v[67:68], v[71:72]
	s_delay_alu instid0(VALU_DEP_1) | instskip(NEXT) | instid1(VALU_DEP_1)
	v_div_fixup_f64 v[48:49], v[50:51], v[48:49], 1.0
	v_mul_f64 v[50:51], v[65:66], -v[48:49]
.LBB22_114:
	s_or_b32 exec_lo, exec_lo, s2
.LBB22_115:
	s_delay_alu instid0(SALU_CYCLE_1) | instskip(NEXT) | instid1(SALU_CYCLE_1)
	s_or_b32 exec_lo, exec_lo, s3
	s_mov_b32 s2, exec_lo
	v_cmpx_ne_u32_e64 v64, v56
	s_xor_b32 s2, exec_lo, s2
	s_cbranch_execz .LBB22_121
; %bb.116:
	s_mov_b32 s3, exec_lo
	v_cmpx_eq_u32_e32 5, v64
	s_cbranch_execz .LBB22_120
; %bb.117:
	v_cmp_ne_u32_e32 vcc_lo, 5, v56
	s_xor_b32 s6, s4, -1
	s_delay_alu instid0(SALU_CYCLE_1) | instskip(NEXT) | instid1(SALU_CYCLE_1)
	s_and_b32 s7, s6, vcc_lo
	s_and_saveexec_b32 s6, s7
	s_cbranch_execz .LBB22_119
; %bb.118:
	v_ashrrev_i32_e32 v57, 31, v56
	s_delay_alu instid0(VALU_DEP_1) | instskip(NEXT) | instid1(VALU_DEP_1)
	v_lshlrev_b64 v[64:65], 2, v[56:57]
	v_add_co_u32 v64, vcc_lo, v54, v64
	s_delay_alu instid0(VALU_DEP_2)
	v_add_co_ci_u32_e32 v65, vcc_lo, v55, v65, vcc_lo
	s_clause 0x1
	flat_load_b32 v57, v[64:65]
	flat_load_b32 v61, v[54:55] offset:20
	s_waitcnt vmcnt(1) lgkmcnt(1)
	flat_store_b32 v[54:55], v57 offset:20
	s_waitcnt vmcnt(0) lgkmcnt(1)
	flat_store_b32 v[64:65], v61
.LBB22_119:
	s_or_b32 exec_lo, exec_lo, s6
	v_mov_b32_e32 v64, v56
	v_mov_b32_e32 v61, v56
.LBB22_120:
	s_or_b32 exec_lo, exec_lo, s3
.LBB22_121:
	s_and_not1_saveexec_b32 s2, s2
	s_cbranch_execz .LBB22_123
; %bb.122:
	v_mov_b32_e32 v64, 5
	ds_store_2addr_b64 v58, v[32:33], v[34:35] offset0:12 offset1:13
	ds_store_2addr_b64 v58, v[16:17], v[18:19] offset0:14 offset1:15
	;; [unrolled: 1-line block ×6, first 2 shown]
.LBB22_123:
	s_or_b32 exec_lo, exec_lo, s2
	s_delay_alu instid0(SALU_CYCLE_1)
	s_mov_b32 s2, exec_lo
	s_waitcnt lgkmcnt(0)
	s_waitcnt_vscnt null, 0x0
	s_barrier
	buffer_gl0_inv
	v_cmpx_lt_i32_e32 5, v64
	s_cbranch_execz .LBB22_125
; %bb.124:
	v_mul_f64 v[56:57], v[48:49], v[22:23]
	v_mul_f64 v[22:23], v[50:51], v[22:23]
	ds_load_2addr_b64 v[65:68], v58 offset0:12 offset1:13
	ds_load_2addr_b64 v[69:72], v58 offset0:14 offset1:15
	;; [unrolled: 1-line block ×6, first 2 shown]
	v_fma_f64 v[50:51], v[50:51], v[20:21], v[56:57]
	v_fma_f64 v[20:21], v[48:49], v[20:21], -v[22:23]
	s_waitcnt lgkmcnt(5)
	s_delay_alu instid0(VALU_DEP_2)
	v_mul_f64 v[22:23], v[67:68], v[50:51]
	v_mul_f64 v[48:49], v[65:66], v[50:51]
	s_waitcnt lgkmcnt(4)
	v_mul_f64 v[56:57], v[71:72], v[50:51]
	v_mul_f64 v[89:90], v[69:70], v[50:51]
	s_waitcnt lgkmcnt(3)
	;; [unrolled: 3-line block ×5, first 2 shown]
	v_mul_f64 v[103:104], v[87:88], v[50:51]
	v_mul_f64 v[105:106], v[85:86], v[50:51]
	v_fma_f64 v[22:23], v[65:66], v[20:21], -v[22:23]
	v_fma_f64 v[48:49], v[67:68], v[20:21], v[48:49]
	v_fma_f64 v[56:57], v[69:70], v[20:21], -v[56:57]
	v_fma_f64 v[65:66], v[71:72], v[20:21], v[89:90]
	;; [unrolled: 2-line block ×6, first 2 shown]
	v_add_f64 v[32:33], v[32:33], -v[22:23]
	v_add_f64 v[34:35], v[34:35], -v[48:49]
	;; [unrolled: 1-line block ×12, first 2 shown]
	v_dual_mov_b32 v22, v50 :: v_dual_mov_b32 v23, v51
.LBB22_125:
	s_or_b32 exec_lo, exec_lo, s2
	v_lshl_add_u32 v48, v64, 4, v58
	s_barrier
	buffer_gl0_inv
	v_mov_b32_e32 v56, 6
	ds_store_2addr_b64 v48, v[32:33], v[34:35] offset1:1
	s_waitcnt lgkmcnt(0)
	s_barrier
	buffer_gl0_inv
	ds_load_2addr_b64 v[48:51], v58 offset0:12 offset1:13
	s_cmp_lt_i32 s5, 8
	s_cbranch_scc1 .LBB22_128
; %bb.126:
	v_add3_u32 v57, v63, 0, 0x70
	v_mov_b32_e32 v56, 6
	s_mov_b32 s6, 7
	s_set_inst_prefetch_distance 0x1
	.p2align	6
.LBB22_127:                             ; =>This Inner Loop Header: Depth=1
	ds_load_2addr_b64 v[65:68], v57 offset1:1
	s_waitcnt lgkmcnt(1)
	v_cmp_gt_f64_e32 vcc_lo, 0, v[48:49]
	v_xor_b32_e32 v69, 0x80000000, v49
	v_cmp_gt_f64_e64 s2, 0, v[50:51]
	v_xor_b32_e32 v71, 0x80000000, v51
	v_add_nc_u32_e32 v57, 16, v57
	s_waitcnt lgkmcnt(0)
	v_cmp_gt_f64_e64 s3, 0, v[65:66]
	v_mov_b32_e32 v73, v65
	v_dual_mov_b32 v75, v67 :: v_dual_cndmask_b32 v70, v49, v69
	v_xor_b32_e32 v69, 0x80000000, v66
	v_cndmask_b32_e64 v72, v51, v71, s2
	v_xor_b32_e32 v71, 0x80000000, v68
	s_delay_alu instid0(VALU_DEP_3) | instskip(SKIP_2) | instid1(VALU_DEP_2)
	v_cndmask_b32_e64 v74, v66, v69, s3
	v_cmp_gt_f64_e64 s3, 0, v[67:68]
	v_cndmask_b32_e32 v69, v48, v48, vcc_lo
	v_cndmask_b32_e64 v76, v68, v71, s3
	v_cndmask_b32_e64 v71, v50, v50, s2
	s_delay_alu instid0(VALU_DEP_2) | instskip(NEXT) | instid1(VALU_DEP_2)
	v_add_f64 v[73:74], v[73:74], v[75:76]
	v_add_f64 v[69:70], v[69:70], v[71:72]
	s_delay_alu instid0(VALU_DEP_1) | instskip(SKIP_4) | instid1(SALU_CYCLE_1)
	v_cmp_lt_f64_e32 vcc_lo, v[69:70], v[73:74]
	v_dual_cndmask_b32 v50, v50, v67 :: v_dual_cndmask_b32 v49, v49, v66
	v_dual_cndmask_b32 v48, v48, v65 :: v_dual_cndmask_b32 v51, v51, v68
	v_cndmask_b32_e64 v56, v56, s6, vcc_lo
	s_add_i32 s6, s6, 1
	s_cmp_lg_u32 s5, s6
	s_cbranch_scc1 .LBB22_127
.LBB22_128:
	s_set_inst_prefetch_distance 0x2
	s_waitcnt lgkmcnt(0)
	v_cmp_eq_f64_e32 vcc_lo, 0, v[48:49]
	v_cmp_eq_f64_e64 s2, 0, v[50:51]
	s_delay_alu instid0(VALU_DEP_1) | instskip(NEXT) | instid1(SALU_CYCLE_1)
	s_and_b32 s2, vcc_lo, s2
	s_and_saveexec_b32 s3, s2
	s_delay_alu instid0(SALU_CYCLE_1)
	s_xor_b32 s2, exec_lo, s3
; %bb.129:
	v_cmp_ne_u32_e32 vcc_lo, 0, v62
	v_cndmask_b32_e32 v62, 7, v62, vcc_lo
; %bb.130:
	s_and_not1_saveexec_b32 s3, s2
	s_cbranch_execz .LBB22_136
; %bb.131:
	v_cmp_gt_f64_e32 vcc_lo, 0, v[48:49]
	v_cmp_gt_f64_e64 s2, 0, v[50:51]
	v_xor_b32_e32 v57, 0x80000000, v49
	v_xor_b32_e32 v65, 0x80000000, v51
	s_delay_alu instid0(VALU_DEP_2) | instskip(NEXT) | instid1(VALU_DEP_2)
	v_cndmask_b32_e32 v66, v49, v57, vcc_lo
	v_cndmask_b32_e64 v68, v51, v65, s2
	v_cndmask_b32_e32 v65, v48, v48, vcc_lo
	v_cndmask_b32_e64 v67, v50, v50, s2
	s_mov_b32 s2, exec_lo
	s_delay_alu instid0(VALU_DEP_1)
	v_cmpx_ngt_f64_e32 v[65:66], v[67:68]
	s_xor_b32 s2, exec_lo, s2
	s_cbranch_execz .LBB22_133
; %bb.132:
	v_div_scale_f64 v[65:66], null, v[50:51], v[50:51], v[48:49]
	v_div_scale_f64 v[71:72], vcc_lo, v[48:49], v[50:51], v[48:49]
	s_delay_alu instid0(VALU_DEP_2) | instskip(SKIP_2) | instid1(VALU_DEP_1)
	v_rcp_f64_e32 v[67:68], v[65:66]
	s_waitcnt_depctr 0xfff
	v_fma_f64 v[69:70], -v[65:66], v[67:68], 1.0
	v_fma_f64 v[67:68], v[67:68], v[69:70], v[67:68]
	s_delay_alu instid0(VALU_DEP_1) | instskip(NEXT) | instid1(VALU_DEP_1)
	v_fma_f64 v[69:70], -v[65:66], v[67:68], 1.0
	v_fma_f64 v[67:68], v[67:68], v[69:70], v[67:68]
	s_delay_alu instid0(VALU_DEP_1) | instskip(NEXT) | instid1(VALU_DEP_1)
	v_mul_f64 v[69:70], v[71:72], v[67:68]
	v_fma_f64 v[65:66], -v[65:66], v[69:70], v[71:72]
	s_delay_alu instid0(VALU_DEP_1) | instskip(NEXT) | instid1(VALU_DEP_1)
	v_div_fmas_f64 v[65:66], v[65:66], v[67:68], v[69:70]
	v_div_fixup_f64 v[65:66], v[65:66], v[50:51], v[48:49]
	s_delay_alu instid0(VALU_DEP_1) | instskip(NEXT) | instid1(VALU_DEP_1)
	v_fma_f64 v[48:49], v[48:49], v[65:66], v[50:51]
	v_div_scale_f64 v[50:51], null, v[48:49], v[48:49], 1.0
	s_delay_alu instid0(VALU_DEP_1) | instskip(SKIP_2) | instid1(VALU_DEP_1)
	v_rcp_f64_e32 v[67:68], v[50:51]
	s_waitcnt_depctr 0xfff
	v_fma_f64 v[69:70], -v[50:51], v[67:68], 1.0
	v_fma_f64 v[67:68], v[67:68], v[69:70], v[67:68]
	s_delay_alu instid0(VALU_DEP_1) | instskip(NEXT) | instid1(VALU_DEP_1)
	v_fma_f64 v[69:70], -v[50:51], v[67:68], 1.0
	v_fma_f64 v[67:68], v[67:68], v[69:70], v[67:68]
	v_div_scale_f64 v[69:70], vcc_lo, 1.0, v[48:49], 1.0
	s_delay_alu instid0(VALU_DEP_1) | instskip(NEXT) | instid1(VALU_DEP_1)
	v_mul_f64 v[71:72], v[69:70], v[67:68]
	v_fma_f64 v[50:51], -v[50:51], v[71:72], v[69:70]
	s_delay_alu instid0(VALU_DEP_1) | instskip(NEXT) | instid1(VALU_DEP_1)
	v_div_fmas_f64 v[50:51], v[50:51], v[67:68], v[71:72]
	v_div_fixup_f64 v[50:51], v[50:51], v[48:49], 1.0
	s_delay_alu instid0(VALU_DEP_1)
	v_mul_f64 v[48:49], v[65:66], v[50:51]
	v_xor_b32_e32 v51, 0x80000000, v51
.LBB22_133:
	s_and_not1_saveexec_b32 s2, s2
	s_cbranch_execz .LBB22_135
; %bb.134:
	s_delay_alu instid0(VALU_DEP_1) | instskip(SKIP_1) | instid1(VALU_DEP_2)
	v_div_scale_f64 v[65:66], null, v[48:49], v[48:49], v[50:51]
	v_div_scale_f64 v[71:72], vcc_lo, v[50:51], v[48:49], v[50:51]
	v_rcp_f64_e32 v[67:68], v[65:66]
	s_waitcnt_depctr 0xfff
	v_fma_f64 v[69:70], -v[65:66], v[67:68], 1.0
	s_delay_alu instid0(VALU_DEP_1) | instskip(NEXT) | instid1(VALU_DEP_1)
	v_fma_f64 v[67:68], v[67:68], v[69:70], v[67:68]
	v_fma_f64 v[69:70], -v[65:66], v[67:68], 1.0
	s_delay_alu instid0(VALU_DEP_1) | instskip(NEXT) | instid1(VALU_DEP_1)
	v_fma_f64 v[67:68], v[67:68], v[69:70], v[67:68]
	v_mul_f64 v[69:70], v[71:72], v[67:68]
	s_delay_alu instid0(VALU_DEP_1) | instskip(NEXT) | instid1(VALU_DEP_1)
	v_fma_f64 v[65:66], -v[65:66], v[69:70], v[71:72]
	v_div_fmas_f64 v[65:66], v[65:66], v[67:68], v[69:70]
	s_delay_alu instid0(VALU_DEP_1) | instskip(NEXT) | instid1(VALU_DEP_1)
	v_div_fixup_f64 v[65:66], v[65:66], v[48:49], v[50:51]
	v_fma_f64 v[48:49], v[50:51], v[65:66], v[48:49]
	s_delay_alu instid0(VALU_DEP_1) | instskip(NEXT) | instid1(VALU_DEP_1)
	v_div_scale_f64 v[50:51], null, v[48:49], v[48:49], 1.0
	v_rcp_f64_e32 v[67:68], v[50:51]
	s_waitcnt_depctr 0xfff
	v_fma_f64 v[69:70], -v[50:51], v[67:68], 1.0
	s_delay_alu instid0(VALU_DEP_1) | instskip(NEXT) | instid1(VALU_DEP_1)
	v_fma_f64 v[67:68], v[67:68], v[69:70], v[67:68]
	v_fma_f64 v[69:70], -v[50:51], v[67:68], 1.0
	s_delay_alu instid0(VALU_DEP_1) | instskip(SKIP_1) | instid1(VALU_DEP_1)
	v_fma_f64 v[67:68], v[67:68], v[69:70], v[67:68]
	v_div_scale_f64 v[69:70], vcc_lo, 1.0, v[48:49], 1.0
	v_mul_f64 v[71:72], v[69:70], v[67:68]
	s_delay_alu instid0(VALU_DEP_1) | instskip(NEXT) | instid1(VALU_DEP_1)
	v_fma_f64 v[50:51], -v[50:51], v[71:72], v[69:70]
	v_div_fmas_f64 v[50:51], v[50:51], v[67:68], v[71:72]
	s_delay_alu instid0(VALU_DEP_1) | instskip(NEXT) | instid1(VALU_DEP_1)
	v_div_fixup_f64 v[48:49], v[50:51], v[48:49], 1.0
	v_mul_f64 v[50:51], v[65:66], -v[48:49]
.LBB22_135:
	s_or_b32 exec_lo, exec_lo, s2
.LBB22_136:
	s_delay_alu instid0(SALU_CYCLE_1) | instskip(NEXT) | instid1(SALU_CYCLE_1)
	s_or_b32 exec_lo, exec_lo, s3
	s_mov_b32 s2, exec_lo
	v_cmpx_ne_u32_e64 v64, v56
	s_xor_b32 s2, exec_lo, s2
	s_cbranch_execz .LBB22_142
; %bb.137:
	s_mov_b32 s3, exec_lo
	v_cmpx_eq_u32_e32 6, v64
	s_cbranch_execz .LBB22_141
; %bb.138:
	v_cmp_ne_u32_e32 vcc_lo, 6, v56
	s_xor_b32 s6, s4, -1
	s_delay_alu instid0(SALU_CYCLE_1) | instskip(NEXT) | instid1(SALU_CYCLE_1)
	s_and_b32 s7, s6, vcc_lo
	s_and_saveexec_b32 s6, s7
	s_cbranch_execz .LBB22_140
; %bb.139:
	v_ashrrev_i32_e32 v57, 31, v56
	s_delay_alu instid0(VALU_DEP_1) | instskip(NEXT) | instid1(VALU_DEP_1)
	v_lshlrev_b64 v[64:65], 2, v[56:57]
	v_add_co_u32 v64, vcc_lo, v54, v64
	s_delay_alu instid0(VALU_DEP_2)
	v_add_co_ci_u32_e32 v65, vcc_lo, v55, v65, vcc_lo
	s_clause 0x1
	flat_load_b32 v57, v[64:65]
	flat_load_b32 v61, v[54:55] offset:24
	s_waitcnt vmcnt(1) lgkmcnt(1)
	flat_store_b32 v[54:55], v57 offset:24
	s_waitcnt vmcnt(0) lgkmcnt(1)
	flat_store_b32 v[64:65], v61
.LBB22_140:
	s_or_b32 exec_lo, exec_lo, s6
	v_mov_b32_e32 v64, v56
	v_mov_b32_e32 v61, v56
.LBB22_141:
	s_or_b32 exec_lo, exec_lo, s3
.LBB22_142:
	s_and_not1_saveexec_b32 s2, s2
	s_cbranch_execz .LBB22_144
; %bb.143:
	v_mov_b32_e32 v64, 6
	ds_store_2addr_b64 v58, v[16:17], v[18:19] offset0:14 offset1:15
	ds_store_2addr_b64 v58, v[12:13], v[14:15] offset0:16 offset1:17
	;; [unrolled: 1-line block ×5, first 2 shown]
.LBB22_144:
	s_or_b32 exec_lo, exec_lo, s2
	s_delay_alu instid0(SALU_CYCLE_1)
	s_mov_b32 s2, exec_lo
	s_waitcnt lgkmcnt(0)
	s_waitcnt_vscnt null, 0x0
	s_barrier
	buffer_gl0_inv
	v_cmpx_lt_i32_e32 6, v64
	s_cbranch_execz .LBB22_146
; %bb.145:
	v_mul_f64 v[56:57], v[48:49], v[34:35]
	v_mul_f64 v[34:35], v[50:51], v[34:35]
	ds_load_2addr_b64 v[65:68], v58 offset0:14 offset1:15
	ds_load_2addr_b64 v[69:72], v58 offset0:16 offset1:17
	;; [unrolled: 1-line block ×5, first 2 shown]
	v_fma_f64 v[50:51], v[50:51], v[32:33], v[56:57]
	v_fma_f64 v[32:33], v[48:49], v[32:33], -v[34:35]
	s_waitcnt lgkmcnt(4)
	s_delay_alu instid0(VALU_DEP_2)
	v_mul_f64 v[34:35], v[67:68], v[50:51]
	v_mul_f64 v[48:49], v[65:66], v[50:51]
	s_waitcnt lgkmcnt(3)
	v_mul_f64 v[56:57], v[71:72], v[50:51]
	v_mul_f64 v[85:86], v[69:70], v[50:51]
	s_waitcnt lgkmcnt(2)
	;; [unrolled: 3-line block ×4, first 2 shown]
	v_mul_f64 v[95:96], v[83:84], v[50:51]
	v_mul_f64 v[97:98], v[81:82], v[50:51]
	v_fma_f64 v[34:35], v[65:66], v[32:33], -v[34:35]
	v_fma_f64 v[48:49], v[67:68], v[32:33], v[48:49]
	v_fma_f64 v[56:57], v[69:70], v[32:33], -v[56:57]
	v_fma_f64 v[65:66], v[71:72], v[32:33], v[85:86]
	;; [unrolled: 2-line block ×5, first 2 shown]
	v_add_f64 v[16:17], v[16:17], -v[34:35]
	v_add_f64 v[18:19], v[18:19], -v[48:49]
	v_add_f64 v[12:13], v[12:13], -v[56:57]
	v_add_f64 v[14:15], v[14:15], -v[65:66]
	v_add_f64 v[8:9], v[8:9], -v[67:68]
	v_add_f64 v[10:11], v[10:11], -v[69:70]
	v_add_f64 v[4:5], v[4:5], -v[71:72]
	v_add_f64 v[6:7], v[6:7], -v[73:74]
	v_add_f64 v[0:1], v[0:1], -v[75:76]
	v_add_f64 v[2:3], v[2:3], -v[77:78]
	v_dual_mov_b32 v34, v50 :: v_dual_mov_b32 v35, v51
.LBB22_146:
	s_or_b32 exec_lo, exec_lo, s2
	v_lshl_add_u32 v48, v64, 4, v58
	s_barrier
	buffer_gl0_inv
	v_mov_b32_e32 v56, 7
	ds_store_2addr_b64 v48, v[16:17], v[18:19] offset1:1
	s_waitcnt lgkmcnt(0)
	s_barrier
	buffer_gl0_inv
	ds_load_2addr_b64 v[48:51], v58 offset0:14 offset1:15
	s_cmp_lt_i32 s5, 9
	s_cbranch_scc1 .LBB22_149
; %bb.147:
	v_add3_u32 v57, v63, 0, 0x80
	v_mov_b32_e32 v56, 7
	s_mov_b32 s6, 8
	s_set_inst_prefetch_distance 0x1
	.p2align	6
.LBB22_148:                             ; =>This Inner Loop Header: Depth=1
	ds_load_2addr_b64 v[65:68], v57 offset1:1
	s_waitcnt lgkmcnt(1)
	v_cmp_gt_f64_e32 vcc_lo, 0, v[48:49]
	v_xor_b32_e32 v69, 0x80000000, v49
	v_cmp_gt_f64_e64 s2, 0, v[50:51]
	v_xor_b32_e32 v71, 0x80000000, v51
	v_add_nc_u32_e32 v57, 16, v57
	s_waitcnt lgkmcnt(0)
	v_cmp_gt_f64_e64 s3, 0, v[65:66]
	v_mov_b32_e32 v73, v65
	v_dual_mov_b32 v75, v67 :: v_dual_cndmask_b32 v70, v49, v69
	v_xor_b32_e32 v69, 0x80000000, v66
	v_cndmask_b32_e64 v72, v51, v71, s2
	v_xor_b32_e32 v71, 0x80000000, v68
	s_delay_alu instid0(VALU_DEP_3) | instskip(SKIP_2) | instid1(VALU_DEP_2)
	v_cndmask_b32_e64 v74, v66, v69, s3
	v_cmp_gt_f64_e64 s3, 0, v[67:68]
	v_cndmask_b32_e32 v69, v48, v48, vcc_lo
	v_cndmask_b32_e64 v76, v68, v71, s3
	v_cndmask_b32_e64 v71, v50, v50, s2
	s_delay_alu instid0(VALU_DEP_2) | instskip(NEXT) | instid1(VALU_DEP_2)
	v_add_f64 v[73:74], v[73:74], v[75:76]
	v_add_f64 v[69:70], v[69:70], v[71:72]
	s_delay_alu instid0(VALU_DEP_1) | instskip(SKIP_4) | instid1(SALU_CYCLE_1)
	v_cmp_lt_f64_e32 vcc_lo, v[69:70], v[73:74]
	v_dual_cndmask_b32 v50, v50, v67 :: v_dual_cndmask_b32 v49, v49, v66
	v_dual_cndmask_b32 v48, v48, v65 :: v_dual_cndmask_b32 v51, v51, v68
	v_cndmask_b32_e64 v56, v56, s6, vcc_lo
	s_add_i32 s6, s6, 1
	s_cmp_lg_u32 s5, s6
	s_cbranch_scc1 .LBB22_148
.LBB22_149:
	s_set_inst_prefetch_distance 0x2
	s_waitcnt lgkmcnt(0)
	v_cmp_eq_f64_e32 vcc_lo, 0, v[48:49]
	v_cmp_eq_f64_e64 s2, 0, v[50:51]
	s_delay_alu instid0(VALU_DEP_1) | instskip(NEXT) | instid1(SALU_CYCLE_1)
	s_and_b32 s2, vcc_lo, s2
	s_and_saveexec_b32 s3, s2
	s_delay_alu instid0(SALU_CYCLE_1)
	s_xor_b32 s2, exec_lo, s3
; %bb.150:
	v_cmp_ne_u32_e32 vcc_lo, 0, v62
	v_cndmask_b32_e32 v62, 8, v62, vcc_lo
; %bb.151:
	s_and_not1_saveexec_b32 s3, s2
	s_cbranch_execz .LBB22_157
; %bb.152:
	v_cmp_gt_f64_e32 vcc_lo, 0, v[48:49]
	v_cmp_gt_f64_e64 s2, 0, v[50:51]
	v_xor_b32_e32 v57, 0x80000000, v49
	v_xor_b32_e32 v65, 0x80000000, v51
	s_delay_alu instid0(VALU_DEP_2) | instskip(NEXT) | instid1(VALU_DEP_2)
	v_cndmask_b32_e32 v66, v49, v57, vcc_lo
	v_cndmask_b32_e64 v68, v51, v65, s2
	v_cndmask_b32_e32 v65, v48, v48, vcc_lo
	v_cndmask_b32_e64 v67, v50, v50, s2
	s_mov_b32 s2, exec_lo
	s_delay_alu instid0(VALU_DEP_1)
	v_cmpx_ngt_f64_e32 v[65:66], v[67:68]
	s_xor_b32 s2, exec_lo, s2
	s_cbranch_execz .LBB22_154
; %bb.153:
	v_div_scale_f64 v[65:66], null, v[50:51], v[50:51], v[48:49]
	v_div_scale_f64 v[71:72], vcc_lo, v[48:49], v[50:51], v[48:49]
	s_delay_alu instid0(VALU_DEP_2) | instskip(SKIP_2) | instid1(VALU_DEP_1)
	v_rcp_f64_e32 v[67:68], v[65:66]
	s_waitcnt_depctr 0xfff
	v_fma_f64 v[69:70], -v[65:66], v[67:68], 1.0
	v_fma_f64 v[67:68], v[67:68], v[69:70], v[67:68]
	s_delay_alu instid0(VALU_DEP_1) | instskip(NEXT) | instid1(VALU_DEP_1)
	v_fma_f64 v[69:70], -v[65:66], v[67:68], 1.0
	v_fma_f64 v[67:68], v[67:68], v[69:70], v[67:68]
	s_delay_alu instid0(VALU_DEP_1) | instskip(NEXT) | instid1(VALU_DEP_1)
	v_mul_f64 v[69:70], v[71:72], v[67:68]
	v_fma_f64 v[65:66], -v[65:66], v[69:70], v[71:72]
	s_delay_alu instid0(VALU_DEP_1) | instskip(NEXT) | instid1(VALU_DEP_1)
	v_div_fmas_f64 v[65:66], v[65:66], v[67:68], v[69:70]
	v_div_fixup_f64 v[65:66], v[65:66], v[50:51], v[48:49]
	s_delay_alu instid0(VALU_DEP_1) | instskip(NEXT) | instid1(VALU_DEP_1)
	v_fma_f64 v[48:49], v[48:49], v[65:66], v[50:51]
	v_div_scale_f64 v[50:51], null, v[48:49], v[48:49], 1.0
	s_delay_alu instid0(VALU_DEP_1) | instskip(SKIP_2) | instid1(VALU_DEP_1)
	v_rcp_f64_e32 v[67:68], v[50:51]
	s_waitcnt_depctr 0xfff
	v_fma_f64 v[69:70], -v[50:51], v[67:68], 1.0
	v_fma_f64 v[67:68], v[67:68], v[69:70], v[67:68]
	s_delay_alu instid0(VALU_DEP_1) | instskip(NEXT) | instid1(VALU_DEP_1)
	v_fma_f64 v[69:70], -v[50:51], v[67:68], 1.0
	v_fma_f64 v[67:68], v[67:68], v[69:70], v[67:68]
	v_div_scale_f64 v[69:70], vcc_lo, 1.0, v[48:49], 1.0
	s_delay_alu instid0(VALU_DEP_1) | instskip(NEXT) | instid1(VALU_DEP_1)
	v_mul_f64 v[71:72], v[69:70], v[67:68]
	v_fma_f64 v[50:51], -v[50:51], v[71:72], v[69:70]
	s_delay_alu instid0(VALU_DEP_1) | instskip(NEXT) | instid1(VALU_DEP_1)
	v_div_fmas_f64 v[50:51], v[50:51], v[67:68], v[71:72]
	v_div_fixup_f64 v[50:51], v[50:51], v[48:49], 1.0
	s_delay_alu instid0(VALU_DEP_1)
	v_mul_f64 v[48:49], v[65:66], v[50:51]
	v_xor_b32_e32 v51, 0x80000000, v51
.LBB22_154:
	s_and_not1_saveexec_b32 s2, s2
	s_cbranch_execz .LBB22_156
; %bb.155:
	s_delay_alu instid0(VALU_DEP_1) | instskip(SKIP_1) | instid1(VALU_DEP_2)
	v_div_scale_f64 v[65:66], null, v[48:49], v[48:49], v[50:51]
	v_div_scale_f64 v[71:72], vcc_lo, v[50:51], v[48:49], v[50:51]
	v_rcp_f64_e32 v[67:68], v[65:66]
	s_waitcnt_depctr 0xfff
	v_fma_f64 v[69:70], -v[65:66], v[67:68], 1.0
	s_delay_alu instid0(VALU_DEP_1) | instskip(NEXT) | instid1(VALU_DEP_1)
	v_fma_f64 v[67:68], v[67:68], v[69:70], v[67:68]
	v_fma_f64 v[69:70], -v[65:66], v[67:68], 1.0
	s_delay_alu instid0(VALU_DEP_1) | instskip(NEXT) | instid1(VALU_DEP_1)
	v_fma_f64 v[67:68], v[67:68], v[69:70], v[67:68]
	v_mul_f64 v[69:70], v[71:72], v[67:68]
	s_delay_alu instid0(VALU_DEP_1) | instskip(NEXT) | instid1(VALU_DEP_1)
	v_fma_f64 v[65:66], -v[65:66], v[69:70], v[71:72]
	v_div_fmas_f64 v[65:66], v[65:66], v[67:68], v[69:70]
	s_delay_alu instid0(VALU_DEP_1) | instskip(NEXT) | instid1(VALU_DEP_1)
	v_div_fixup_f64 v[65:66], v[65:66], v[48:49], v[50:51]
	v_fma_f64 v[48:49], v[50:51], v[65:66], v[48:49]
	s_delay_alu instid0(VALU_DEP_1) | instskip(NEXT) | instid1(VALU_DEP_1)
	v_div_scale_f64 v[50:51], null, v[48:49], v[48:49], 1.0
	v_rcp_f64_e32 v[67:68], v[50:51]
	s_waitcnt_depctr 0xfff
	v_fma_f64 v[69:70], -v[50:51], v[67:68], 1.0
	s_delay_alu instid0(VALU_DEP_1) | instskip(NEXT) | instid1(VALU_DEP_1)
	v_fma_f64 v[67:68], v[67:68], v[69:70], v[67:68]
	v_fma_f64 v[69:70], -v[50:51], v[67:68], 1.0
	s_delay_alu instid0(VALU_DEP_1) | instskip(SKIP_1) | instid1(VALU_DEP_1)
	v_fma_f64 v[67:68], v[67:68], v[69:70], v[67:68]
	v_div_scale_f64 v[69:70], vcc_lo, 1.0, v[48:49], 1.0
	v_mul_f64 v[71:72], v[69:70], v[67:68]
	s_delay_alu instid0(VALU_DEP_1) | instskip(NEXT) | instid1(VALU_DEP_1)
	v_fma_f64 v[50:51], -v[50:51], v[71:72], v[69:70]
	v_div_fmas_f64 v[50:51], v[50:51], v[67:68], v[71:72]
	s_delay_alu instid0(VALU_DEP_1) | instskip(NEXT) | instid1(VALU_DEP_1)
	v_div_fixup_f64 v[48:49], v[50:51], v[48:49], 1.0
	v_mul_f64 v[50:51], v[65:66], -v[48:49]
.LBB22_156:
	s_or_b32 exec_lo, exec_lo, s2
.LBB22_157:
	s_delay_alu instid0(SALU_CYCLE_1) | instskip(NEXT) | instid1(SALU_CYCLE_1)
	s_or_b32 exec_lo, exec_lo, s3
	s_mov_b32 s2, exec_lo
	v_cmpx_ne_u32_e64 v64, v56
	s_xor_b32 s2, exec_lo, s2
	s_cbranch_execz .LBB22_163
; %bb.158:
	s_mov_b32 s3, exec_lo
	v_cmpx_eq_u32_e32 7, v64
	s_cbranch_execz .LBB22_162
; %bb.159:
	v_cmp_ne_u32_e32 vcc_lo, 7, v56
	s_xor_b32 s6, s4, -1
	s_delay_alu instid0(SALU_CYCLE_1) | instskip(NEXT) | instid1(SALU_CYCLE_1)
	s_and_b32 s7, s6, vcc_lo
	s_and_saveexec_b32 s6, s7
	s_cbranch_execz .LBB22_161
; %bb.160:
	v_ashrrev_i32_e32 v57, 31, v56
	s_delay_alu instid0(VALU_DEP_1) | instskip(NEXT) | instid1(VALU_DEP_1)
	v_lshlrev_b64 v[64:65], 2, v[56:57]
	v_add_co_u32 v64, vcc_lo, v54, v64
	s_delay_alu instid0(VALU_DEP_2)
	v_add_co_ci_u32_e32 v65, vcc_lo, v55, v65, vcc_lo
	s_clause 0x1
	flat_load_b32 v57, v[64:65]
	flat_load_b32 v61, v[54:55] offset:28
	s_waitcnt vmcnt(1) lgkmcnt(1)
	flat_store_b32 v[54:55], v57 offset:28
	s_waitcnt vmcnt(0) lgkmcnt(1)
	flat_store_b32 v[64:65], v61
.LBB22_161:
	s_or_b32 exec_lo, exec_lo, s6
	v_mov_b32_e32 v64, v56
	v_mov_b32_e32 v61, v56
.LBB22_162:
	s_or_b32 exec_lo, exec_lo, s3
.LBB22_163:
	s_and_not1_saveexec_b32 s2, s2
	s_cbranch_execz .LBB22_165
; %bb.164:
	v_mov_b32_e32 v64, 7
	ds_store_2addr_b64 v58, v[12:13], v[14:15] offset0:16 offset1:17
	ds_store_2addr_b64 v58, v[8:9], v[10:11] offset0:18 offset1:19
	ds_store_2addr_b64 v58, v[4:5], v[6:7] offset0:20 offset1:21
	ds_store_2addr_b64 v58, v[0:1], v[2:3] offset0:22 offset1:23
.LBB22_165:
	s_or_b32 exec_lo, exec_lo, s2
	s_delay_alu instid0(SALU_CYCLE_1)
	s_mov_b32 s2, exec_lo
	s_waitcnt lgkmcnt(0)
	s_waitcnt_vscnt null, 0x0
	s_barrier
	buffer_gl0_inv
	v_cmpx_lt_i32_e32 7, v64
	s_cbranch_execz .LBB22_167
; %bb.166:
	v_mul_f64 v[56:57], v[48:49], v[18:19]
	v_mul_f64 v[18:19], v[50:51], v[18:19]
	ds_load_2addr_b64 v[65:68], v58 offset0:16 offset1:17
	ds_load_2addr_b64 v[69:72], v58 offset0:18 offset1:19
	;; [unrolled: 1-line block ×4, first 2 shown]
	v_fma_f64 v[50:51], v[50:51], v[16:17], v[56:57]
	v_fma_f64 v[16:17], v[48:49], v[16:17], -v[18:19]
	s_waitcnt lgkmcnt(3)
	s_delay_alu instid0(VALU_DEP_2)
	v_mul_f64 v[18:19], v[67:68], v[50:51]
	v_mul_f64 v[48:49], v[65:66], v[50:51]
	s_waitcnt lgkmcnt(2)
	v_mul_f64 v[56:57], v[71:72], v[50:51]
	v_mul_f64 v[81:82], v[69:70], v[50:51]
	s_waitcnt lgkmcnt(1)
	v_mul_f64 v[83:84], v[75:76], v[50:51]
	v_mul_f64 v[85:86], v[73:74], v[50:51]
	s_waitcnt lgkmcnt(0)
	v_mul_f64 v[87:88], v[79:80], v[50:51]
	v_mul_f64 v[89:90], v[77:78], v[50:51]
	v_fma_f64 v[18:19], v[65:66], v[16:17], -v[18:19]
	v_fma_f64 v[48:49], v[67:68], v[16:17], v[48:49]
	v_fma_f64 v[56:57], v[69:70], v[16:17], -v[56:57]
	v_fma_f64 v[65:66], v[71:72], v[16:17], v[81:82]
	;; [unrolled: 2-line block ×4, first 2 shown]
	v_add_f64 v[12:13], v[12:13], -v[18:19]
	v_add_f64 v[14:15], v[14:15], -v[48:49]
	v_add_f64 v[8:9], v[8:9], -v[56:57]
	v_add_f64 v[10:11], v[10:11], -v[65:66]
	v_add_f64 v[4:5], v[4:5], -v[67:68]
	v_add_f64 v[6:7], v[6:7], -v[69:70]
	v_add_f64 v[0:1], v[0:1], -v[71:72]
	v_add_f64 v[2:3], v[2:3], -v[73:74]
	v_dual_mov_b32 v18, v50 :: v_dual_mov_b32 v19, v51
.LBB22_167:
	s_or_b32 exec_lo, exec_lo, s2
	v_lshl_add_u32 v48, v64, 4, v58
	s_barrier
	buffer_gl0_inv
	v_mov_b32_e32 v56, 8
	ds_store_2addr_b64 v48, v[12:13], v[14:15] offset1:1
	s_waitcnt lgkmcnt(0)
	s_barrier
	buffer_gl0_inv
	ds_load_2addr_b64 v[48:51], v58 offset0:16 offset1:17
	s_cmp_lt_i32 s5, 10
	s_cbranch_scc1 .LBB22_170
; %bb.168:
	v_add3_u32 v57, v63, 0, 0x90
	v_mov_b32_e32 v56, 8
	s_mov_b32 s6, 9
	s_set_inst_prefetch_distance 0x1
	.p2align	6
.LBB22_169:                             ; =>This Inner Loop Header: Depth=1
	ds_load_2addr_b64 v[65:68], v57 offset1:1
	s_waitcnt lgkmcnt(1)
	v_cmp_gt_f64_e32 vcc_lo, 0, v[48:49]
	v_xor_b32_e32 v69, 0x80000000, v49
	v_cmp_gt_f64_e64 s2, 0, v[50:51]
	v_xor_b32_e32 v71, 0x80000000, v51
	v_add_nc_u32_e32 v57, 16, v57
	s_waitcnt lgkmcnt(0)
	v_cmp_gt_f64_e64 s3, 0, v[65:66]
	v_mov_b32_e32 v73, v65
	v_dual_mov_b32 v75, v67 :: v_dual_cndmask_b32 v70, v49, v69
	v_xor_b32_e32 v69, 0x80000000, v66
	v_cndmask_b32_e64 v72, v51, v71, s2
	v_xor_b32_e32 v71, 0x80000000, v68
	s_delay_alu instid0(VALU_DEP_3) | instskip(SKIP_2) | instid1(VALU_DEP_2)
	v_cndmask_b32_e64 v74, v66, v69, s3
	v_cmp_gt_f64_e64 s3, 0, v[67:68]
	v_cndmask_b32_e32 v69, v48, v48, vcc_lo
	v_cndmask_b32_e64 v76, v68, v71, s3
	v_cndmask_b32_e64 v71, v50, v50, s2
	s_delay_alu instid0(VALU_DEP_2) | instskip(NEXT) | instid1(VALU_DEP_2)
	v_add_f64 v[73:74], v[73:74], v[75:76]
	v_add_f64 v[69:70], v[69:70], v[71:72]
	s_delay_alu instid0(VALU_DEP_1) | instskip(SKIP_4) | instid1(SALU_CYCLE_1)
	v_cmp_lt_f64_e32 vcc_lo, v[69:70], v[73:74]
	v_dual_cndmask_b32 v50, v50, v67 :: v_dual_cndmask_b32 v49, v49, v66
	v_dual_cndmask_b32 v48, v48, v65 :: v_dual_cndmask_b32 v51, v51, v68
	v_cndmask_b32_e64 v56, v56, s6, vcc_lo
	s_add_i32 s6, s6, 1
	s_cmp_lg_u32 s5, s6
	s_cbranch_scc1 .LBB22_169
.LBB22_170:
	s_set_inst_prefetch_distance 0x2
	s_waitcnt lgkmcnt(0)
	v_cmp_eq_f64_e32 vcc_lo, 0, v[48:49]
	v_cmp_eq_f64_e64 s2, 0, v[50:51]
	s_delay_alu instid0(VALU_DEP_1) | instskip(NEXT) | instid1(SALU_CYCLE_1)
	s_and_b32 s2, vcc_lo, s2
	s_and_saveexec_b32 s3, s2
	s_delay_alu instid0(SALU_CYCLE_1)
	s_xor_b32 s2, exec_lo, s3
; %bb.171:
	v_cmp_ne_u32_e32 vcc_lo, 0, v62
	v_cndmask_b32_e32 v62, 9, v62, vcc_lo
; %bb.172:
	s_and_not1_saveexec_b32 s3, s2
	s_cbranch_execz .LBB22_178
; %bb.173:
	v_cmp_gt_f64_e32 vcc_lo, 0, v[48:49]
	v_cmp_gt_f64_e64 s2, 0, v[50:51]
	v_xor_b32_e32 v57, 0x80000000, v49
	v_xor_b32_e32 v65, 0x80000000, v51
	s_delay_alu instid0(VALU_DEP_2) | instskip(NEXT) | instid1(VALU_DEP_2)
	v_cndmask_b32_e32 v66, v49, v57, vcc_lo
	v_cndmask_b32_e64 v68, v51, v65, s2
	v_cndmask_b32_e32 v65, v48, v48, vcc_lo
	v_cndmask_b32_e64 v67, v50, v50, s2
	s_mov_b32 s2, exec_lo
	s_delay_alu instid0(VALU_DEP_1)
	v_cmpx_ngt_f64_e32 v[65:66], v[67:68]
	s_xor_b32 s2, exec_lo, s2
	s_cbranch_execz .LBB22_175
; %bb.174:
	v_div_scale_f64 v[65:66], null, v[50:51], v[50:51], v[48:49]
	v_div_scale_f64 v[71:72], vcc_lo, v[48:49], v[50:51], v[48:49]
	s_delay_alu instid0(VALU_DEP_2) | instskip(SKIP_2) | instid1(VALU_DEP_1)
	v_rcp_f64_e32 v[67:68], v[65:66]
	s_waitcnt_depctr 0xfff
	v_fma_f64 v[69:70], -v[65:66], v[67:68], 1.0
	v_fma_f64 v[67:68], v[67:68], v[69:70], v[67:68]
	s_delay_alu instid0(VALU_DEP_1) | instskip(NEXT) | instid1(VALU_DEP_1)
	v_fma_f64 v[69:70], -v[65:66], v[67:68], 1.0
	v_fma_f64 v[67:68], v[67:68], v[69:70], v[67:68]
	s_delay_alu instid0(VALU_DEP_1) | instskip(NEXT) | instid1(VALU_DEP_1)
	v_mul_f64 v[69:70], v[71:72], v[67:68]
	v_fma_f64 v[65:66], -v[65:66], v[69:70], v[71:72]
	s_delay_alu instid0(VALU_DEP_1) | instskip(NEXT) | instid1(VALU_DEP_1)
	v_div_fmas_f64 v[65:66], v[65:66], v[67:68], v[69:70]
	v_div_fixup_f64 v[65:66], v[65:66], v[50:51], v[48:49]
	s_delay_alu instid0(VALU_DEP_1) | instskip(NEXT) | instid1(VALU_DEP_1)
	v_fma_f64 v[48:49], v[48:49], v[65:66], v[50:51]
	v_div_scale_f64 v[50:51], null, v[48:49], v[48:49], 1.0
	s_delay_alu instid0(VALU_DEP_1) | instskip(SKIP_2) | instid1(VALU_DEP_1)
	v_rcp_f64_e32 v[67:68], v[50:51]
	s_waitcnt_depctr 0xfff
	v_fma_f64 v[69:70], -v[50:51], v[67:68], 1.0
	v_fma_f64 v[67:68], v[67:68], v[69:70], v[67:68]
	s_delay_alu instid0(VALU_DEP_1) | instskip(NEXT) | instid1(VALU_DEP_1)
	v_fma_f64 v[69:70], -v[50:51], v[67:68], 1.0
	v_fma_f64 v[67:68], v[67:68], v[69:70], v[67:68]
	v_div_scale_f64 v[69:70], vcc_lo, 1.0, v[48:49], 1.0
	s_delay_alu instid0(VALU_DEP_1) | instskip(NEXT) | instid1(VALU_DEP_1)
	v_mul_f64 v[71:72], v[69:70], v[67:68]
	v_fma_f64 v[50:51], -v[50:51], v[71:72], v[69:70]
	s_delay_alu instid0(VALU_DEP_1) | instskip(NEXT) | instid1(VALU_DEP_1)
	v_div_fmas_f64 v[50:51], v[50:51], v[67:68], v[71:72]
	v_div_fixup_f64 v[50:51], v[50:51], v[48:49], 1.0
	s_delay_alu instid0(VALU_DEP_1)
	v_mul_f64 v[48:49], v[65:66], v[50:51]
	v_xor_b32_e32 v51, 0x80000000, v51
.LBB22_175:
	s_and_not1_saveexec_b32 s2, s2
	s_cbranch_execz .LBB22_177
; %bb.176:
	s_delay_alu instid0(VALU_DEP_1) | instskip(SKIP_1) | instid1(VALU_DEP_2)
	v_div_scale_f64 v[65:66], null, v[48:49], v[48:49], v[50:51]
	v_div_scale_f64 v[71:72], vcc_lo, v[50:51], v[48:49], v[50:51]
	v_rcp_f64_e32 v[67:68], v[65:66]
	s_waitcnt_depctr 0xfff
	v_fma_f64 v[69:70], -v[65:66], v[67:68], 1.0
	s_delay_alu instid0(VALU_DEP_1) | instskip(NEXT) | instid1(VALU_DEP_1)
	v_fma_f64 v[67:68], v[67:68], v[69:70], v[67:68]
	v_fma_f64 v[69:70], -v[65:66], v[67:68], 1.0
	s_delay_alu instid0(VALU_DEP_1) | instskip(NEXT) | instid1(VALU_DEP_1)
	v_fma_f64 v[67:68], v[67:68], v[69:70], v[67:68]
	v_mul_f64 v[69:70], v[71:72], v[67:68]
	s_delay_alu instid0(VALU_DEP_1) | instskip(NEXT) | instid1(VALU_DEP_1)
	v_fma_f64 v[65:66], -v[65:66], v[69:70], v[71:72]
	v_div_fmas_f64 v[65:66], v[65:66], v[67:68], v[69:70]
	s_delay_alu instid0(VALU_DEP_1) | instskip(NEXT) | instid1(VALU_DEP_1)
	v_div_fixup_f64 v[65:66], v[65:66], v[48:49], v[50:51]
	v_fma_f64 v[48:49], v[50:51], v[65:66], v[48:49]
	s_delay_alu instid0(VALU_DEP_1) | instskip(NEXT) | instid1(VALU_DEP_1)
	v_div_scale_f64 v[50:51], null, v[48:49], v[48:49], 1.0
	v_rcp_f64_e32 v[67:68], v[50:51]
	s_waitcnt_depctr 0xfff
	v_fma_f64 v[69:70], -v[50:51], v[67:68], 1.0
	s_delay_alu instid0(VALU_DEP_1) | instskip(NEXT) | instid1(VALU_DEP_1)
	v_fma_f64 v[67:68], v[67:68], v[69:70], v[67:68]
	v_fma_f64 v[69:70], -v[50:51], v[67:68], 1.0
	s_delay_alu instid0(VALU_DEP_1) | instskip(SKIP_1) | instid1(VALU_DEP_1)
	v_fma_f64 v[67:68], v[67:68], v[69:70], v[67:68]
	v_div_scale_f64 v[69:70], vcc_lo, 1.0, v[48:49], 1.0
	v_mul_f64 v[71:72], v[69:70], v[67:68]
	s_delay_alu instid0(VALU_DEP_1) | instskip(NEXT) | instid1(VALU_DEP_1)
	v_fma_f64 v[50:51], -v[50:51], v[71:72], v[69:70]
	v_div_fmas_f64 v[50:51], v[50:51], v[67:68], v[71:72]
	s_delay_alu instid0(VALU_DEP_1) | instskip(NEXT) | instid1(VALU_DEP_1)
	v_div_fixup_f64 v[48:49], v[50:51], v[48:49], 1.0
	v_mul_f64 v[50:51], v[65:66], -v[48:49]
.LBB22_177:
	s_or_b32 exec_lo, exec_lo, s2
.LBB22_178:
	s_delay_alu instid0(SALU_CYCLE_1) | instskip(NEXT) | instid1(SALU_CYCLE_1)
	s_or_b32 exec_lo, exec_lo, s3
	s_mov_b32 s2, exec_lo
	v_cmpx_ne_u32_e64 v64, v56
	s_xor_b32 s2, exec_lo, s2
	s_cbranch_execz .LBB22_184
; %bb.179:
	s_mov_b32 s3, exec_lo
	v_cmpx_eq_u32_e32 8, v64
	s_cbranch_execz .LBB22_183
; %bb.180:
	v_cmp_ne_u32_e32 vcc_lo, 8, v56
	s_xor_b32 s6, s4, -1
	s_delay_alu instid0(SALU_CYCLE_1) | instskip(NEXT) | instid1(SALU_CYCLE_1)
	s_and_b32 s7, s6, vcc_lo
	s_and_saveexec_b32 s6, s7
	s_cbranch_execz .LBB22_182
; %bb.181:
	v_ashrrev_i32_e32 v57, 31, v56
	s_delay_alu instid0(VALU_DEP_1) | instskip(NEXT) | instid1(VALU_DEP_1)
	v_lshlrev_b64 v[64:65], 2, v[56:57]
	v_add_co_u32 v64, vcc_lo, v54, v64
	s_delay_alu instid0(VALU_DEP_2)
	v_add_co_ci_u32_e32 v65, vcc_lo, v55, v65, vcc_lo
	s_clause 0x1
	flat_load_b32 v57, v[64:65]
	flat_load_b32 v61, v[54:55] offset:32
	s_waitcnt vmcnt(1) lgkmcnt(1)
	flat_store_b32 v[54:55], v57 offset:32
	s_waitcnt vmcnt(0) lgkmcnt(1)
	flat_store_b32 v[64:65], v61
.LBB22_182:
	s_or_b32 exec_lo, exec_lo, s6
	v_mov_b32_e32 v64, v56
	v_mov_b32_e32 v61, v56
.LBB22_183:
	s_or_b32 exec_lo, exec_lo, s3
.LBB22_184:
	s_and_not1_saveexec_b32 s2, s2
	s_cbranch_execz .LBB22_186
; %bb.185:
	v_mov_b32_e32 v64, 8
	ds_store_2addr_b64 v58, v[8:9], v[10:11] offset0:18 offset1:19
	ds_store_2addr_b64 v58, v[4:5], v[6:7] offset0:20 offset1:21
	;; [unrolled: 1-line block ×3, first 2 shown]
.LBB22_186:
	s_or_b32 exec_lo, exec_lo, s2
	s_delay_alu instid0(SALU_CYCLE_1)
	s_mov_b32 s2, exec_lo
	s_waitcnt lgkmcnt(0)
	s_waitcnt_vscnt null, 0x0
	s_barrier
	buffer_gl0_inv
	v_cmpx_lt_i32_e32 8, v64
	s_cbranch_execz .LBB22_188
; %bb.187:
	v_mul_f64 v[56:57], v[48:49], v[14:15]
	v_mul_f64 v[14:15], v[50:51], v[14:15]
	ds_load_2addr_b64 v[65:68], v58 offset0:18 offset1:19
	ds_load_2addr_b64 v[69:72], v58 offset0:20 offset1:21
	;; [unrolled: 1-line block ×3, first 2 shown]
	v_fma_f64 v[50:51], v[50:51], v[12:13], v[56:57]
	v_fma_f64 v[12:13], v[48:49], v[12:13], -v[14:15]
	s_waitcnt lgkmcnt(2)
	s_delay_alu instid0(VALU_DEP_2)
	v_mul_f64 v[14:15], v[67:68], v[50:51]
	v_mul_f64 v[48:49], v[65:66], v[50:51]
	s_waitcnt lgkmcnt(1)
	v_mul_f64 v[56:57], v[71:72], v[50:51]
	v_mul_f64 v[77:78], v[69:70], v[50:51]
	s_waitcnt lgkmcnt(0)
	v_mul_f64 v[79:80], v[75:76], v[50:51]
	v_mul_f64 v[81:82], v[73:74], v[50:51]
	v_fma_f64 v[14:15], v[65:66], v[12:13], -v[14:15]
	v_fma_f64 v[48:49], v[67:68], v[12:13], v[48:49]
	v_fma_f64 v[56:57], v[69:70], v[12:13], -v[56:57]
	v_fma_f64 v[65:66], v[71:72], v[12:13], v[77:78]
	;; [unrolled: 2-line block ×3, first 2 shown]
	v_add_f64 v[8:9], v[8:9], -v[14:15]
	v_add_f64 v[10:11], v[10:11], -v[48:49]
	;; [unrolled: 1-line block ×6, first 2 shown]
	v_dual_mov_b32 v14, v50 :: v_dual_mov_b32 v15, v51
.LBB22_188:
	s_or_b32 exec_lo, exec_lo, s2
	v_lshl_add_u32 v48, v64, 4, v58
	s_barrier
	buffer_gl0_inv
	v_mov_b32_e32 v56, 9
	ds_store_2addr_b64 v48, v[8:9], v[10:11] offset1:1
	s_waitcnt lgkmcnt(0)
	s_barrier
	buffer_gl0_inv
	ds_load_2addr_b64 v[48:51], v58 offset0:18 offset1:19
	s_cmp_lt_i32 s5, 11
	s_cbranch_scc1 .LBB22_191
; %bb.189:
	v_add3_u32 v57, v63, 0, 0xa0
	v_mov_b32_e32 v56, 9
	s_mov_b32 s6, 10
	s_set_inst_prefetch_distance 0x1
	.p2align	6
.LBB22_190:                             ; =>This Inner Loop Header: Depth=1
	ds_load_2addr_b64 v[65:68], v57 offset1:1
	s_waitcnt lgkmcnt(1)
	v_cmp_gt_f64_e32 vcc_lo, 0, v[48:49]
	v_xor_b32_e32 v69, 0x80000000, v49
	v_cmp_gt_f64_e64 s2, 0, v[50:51]
	v_xor_b32_e32 v71, 0x80000000, v51
	v_add_nc_u32_e32 v57, 16, v57
	s_waitcnt lgkmcnt(0)
	v_cmp_gt_f64_e64 s3, 0, v[65:66]
	v_mov_b32_e32 v73, v65
	v_dual_mov_b32 v75, v67 :: v_dual_cndmask_b32 v70, v49, v69
	v_xor_b32_e32 v69, 0x80000000, v66
	v_cndmask_b32_e64 v72, v51, v71, s2
	v_xor_b32_e32 v71, 0x80000000, v68
	s_delay_alu instid0(VALU_DEP_3) | instskip(SKIP_2) | instid1(VALU_DEP_2)
	v_cndmask_b32_e64 v74, v66, v69, s3
	v_cmp_gt_f64_e64 s3, 0, v[67:68]
	v_cndmask_b32_e32 v69, v48, v48, vcc_lo
	v_cndmask_b32_e64 v76, v68, v71, s3
	v_cndmask_b32_e64 v71, v50, v50, s2
	s_delay_alu instid0(VALU_DEP_2) | instskip(NEXT) | instid1(VALU_DEP_2)
	v_add_f64 v[73:74], v[73:74], v[75:76]
	v_add_f64 v[69:70], v[69:70], v[71:72]
	s_delay_alu instid0(VALU_DEP_1) | instskip(SKIP_4) | instid1(SALU_CYCLE_1)
	v_cmp_lt_f64_e32 vcc_lo, v[69:70], v[73:74]
	v_dual_cndmask_b32 v50, v50, v67 :: v_dual_cndmask_b32 v49, v49, v66
	v_dual_cndmask_b32 v48, v48, v65 :: v_dual_cndmask_b32 v51, v51, v68
	v_cndmask_b32_e64 v56, v56, s6, vcc_lo
	s_add_i32 s6, s6, 1
	s_cmp_lg_u32 s5, s6
	s_cbranch_scc1 .LBB22_190
.LBB22_191:
	s_set_inst_prefetch_distance 0x2
	s_waitcnt lgkmcnt(0)
	v_cmp_eq_f64_e32 vcc_lo, 0, v[48:49]
	v_cmp_eq_f64_e64 s2, 0, v[50:51]
	s_delay_alu instid0(VALU_DEP_1) | instskip(NEXT) | instid1(SALU_CYCLE_1)
	s_and_b32 s2, vcc_lo, s2
	s_and_saveexec_b32 s3, s2
	s_delay_alu instid0(SALU_CYCLE_1)
	s_xor_b32 s2, exec_lo, s3
; %bb.192:
	v_cmp_ne_u32_e32 vcc_lo, 0, v62
	v_cndmask_b32_e32 v62, 10, v62, vcc_lo
; %bb.193:
	s_and_not1_saveexec_b32 s3, s2
	s_cbranch_execz .LBB22_199
; %bb.194:
	v_cmp_gt_f64_e32 vcc_lo, 0, v[48:49]
	v_cmp_gt_f64_e64 s2, 0, v[50:51]
	v_xor_b32_e32 v57, 0x80000000, v49
	v_xor_b32_e32 v65, 0x80000000, v51
	s_delay_alu instid0(VALU_DEP_2) | instskip(NEXT) | instid1(VALU_DEP_2)
	v_cndmask_b32_e32 v66, v49, v57, vcc_lo
	v_cndmask_b32_e64 v68, v51, v65, s2
	v_cndmask_b32_e32 v65, v48, v48, vcc_lo
	v_cndmask_b32_e64 v67, v50, v50, s2
	s_mov_b32 s2, exec_lo
	s_delay_alu instid0(VALU_DEP_1)
	v_cmpx_ngt_f64_e32 v[65:66], v[67:68]
	s_xor_b32 s2, exec_lo, s2
	s_cbranch_execz .LBB22_196
; %bb.195:
	v_div_scale_f64 v[65:66], null, v[50:51], v[50:51], v[48:49]
	v_div_scale_f64 v[71:72], vcc_lo, v[48:49], v[50:51], v[48:49]
	s_delay_alu instid0(VALU_DEP_2) | instskip(SKIP_2) | instid1(VALU_DEP_1)
	v_rcp_f64_e32 v[67:68], v[65:66]
	s_waitcnt_depctr 0xfff
	v_fma_f64 v[69:70], -v[65:66], v[67:68], 1.0
	v_fma_f64 v[67:68], v[67:68], v[69:70], v[67:68]
	s_delay_alu instid0(VALU_DEP_1) | instskip(NEXT) | instid1(VALU_DEP_1)
	v_fma_f64 v[69:70], -v[65:66], v[67:68], 1.0
	v_fma_f64 v[67:68], v[67:68], v[69:70], v[67:68]
	s_delay_alu instid0(VALU_DEP_1) | instskip(NEXT) | instid1(VALU_DEP_1)
	v_mul_f64 v[69:70], v[71:72], v[67:68]
	v_fma_f64 v[65:66], -v[65:66], v[69:70], v[71:72]
	s_delay_alu instid0(VALU_DEP_1) | instskip(NEXT) | instid1(VALU_DEP_1)
	v_div_fmas_f64 v[65:66], v[65:66], v[67:68], v[69:70]
	v_div_fixup_f64 v[65:66], v[65:66], v[50:51], v[48:49]
	s_delay_alu instid0(VALU_DEP_1) | instskip(NEXT) | instid1(VALU_DEP_1)
	v_fma_f64 v[48:49], v[48:49], v[65:66], v[50:51]
	v_div_scale_f64 v[50:51], null, v[48:49], v[48:49], 1.0
	s_delay_alu instid0(VALU_DEP_1) | instskip(SKIP_2) | instid1(VALU_DEP_1)
	v_rcp_f64_e32 v[67:68], v[50:51]
	s_waitcnt_depctr 0xfff
	v_fma_f64 v[69:70], -v[50:51], v[67:68], 1.0
	v_fma_f64 v[67:68], v[67:68], v[69:70], v[67:68]
	s_delay_alu instid0(VALU_DEP_1) | instskip(NEXT) | instid1(VALU_DEP_1)
	v_fma_f64 v[69:70], -v[50:51], v[67:68], 1.0
	v_fma_f64 v[67:68], v[67:68], v[69:70], v[67:68]
	v_div_scale_f64 v[69:70], vcc_lo, 1.0, v[48:49], 1.0
	s_delay_alu instid0(VALU_DEP_1) | instskip(NEXT) | instid1(VALU_DEP_1)
	v_mul_f64 v[71:72], v[69:70], v[67:68]
	v_fma_f64 v[50:51], -v[50:51], v[71:72], v[69:70]
	s_delay_alu instid0(VALU_DEP_1) | instskip(NEXT) | instid1(VALU_DEP_1)
	v_div_fmas_f64 v[50:51], v[50:51], v[67:68], v[71:72]
	v_div_fixup_f64 v[50:51], v[50:51], v[48:49], 1.0
	s_delay_alu instid0(VALU_DEP_1)
	v_mul_f64 v[48:49], v[65:66], v[50:51]
	v_xor_b32_e32 v51, 0x80000000, v51
.LBB22_196:
	s_and_not1_saveexec_b32 s2, s2
	s_cbranch_execz .LBB22_198
; %bb.197:
	s_delay_alu instid0(VALU_DEP_1) | instskip(SKIP_1) | instid1(VALU_DEP_2)
	v_div_scale_f64 v[65:66], null, v[48:49], v[48:49], v[50:51]
	v_div_scale_f64 v[71:72], vcc_lo, v[50:51], v[48:49], v[50:51]
	v_rcp_f64_e32 v[67:68], v[65:66]
	s_waitcnt_depctr 0xfff
	v_fma_f64 v[69:70], -v[65:66], v[67:68], 1.0
	s_delay_alu instid0(VALU_DEP_1) | instskip(NEXT) | instid1(VALU_DEP_1)
	v_fma_f64 v[67:68], v[67:68], v[69:70], v[67:68]
	v_fma_f64 v[69:70], -v[65:66], v[67:68], 1.0
	s_delay_alu instid0(VALU_DEP_1) | instskip(NEXT) | instid1(VALU_DEP_1)
	v_fma_f64 v[67:68], v[67:68], v[69:70], v[67:68]
	v_mul_f64 v[69:70], v[71:72], v[67:68]
	s_delay_alu instid0(VALU_DEP_1) | instskip(NEXT) | instid1(VALU_DEP_1)
	v_fma_f64 v[65:66], -v[65:66], v[69:70], v[71:72]
	v_div_fmas_f64 v[65:66], v[65:66], v[67:68], v[69:70]
	s_delay_alu instid0(VALU_DEP_1) | instskip(NEXT) | instid1(VALU_DEP_1)
	v_div_fixup_f64 v[65:66], v[65:66], v[48:49], v[50:51]
	v_fma_f64 v[48:49], v[50:51], v[65:66], v[48:49]
	s_delay_alu instid0(VALU_DEP_1) | instskip(NEXT) | instid1(VALU_DEP_1)
	v_div_scale_f64 v[50:51], null, v[48:49], v[48:49], 1.0
	v_rcp_f64_e32 v[67:68], v[50:51]
	s_waitcnt_depctr 0xfff
	v_fma_f64 v[69:70], -v[50:51], v[67:68], 1.0
	s_delay_alu instid0(VALU_DEP_1) | instskip(NEXT) | instid1(VALU_DEP_1)
	v_fma_f64 v[67:68], v[67:68], v[69:70], v[67:68]
	v_fma_f64 v[69:70], -v[50:51], v[67:68], 1.0
	s_delay_alu instid0(VALU_DEP_1) | instskip(SKIP_1) | instid1(VALU_DEP_1)
	v_fma_f64 v[67:68], v[67:68], v[69:70], v[67:68]
	v_div_scale_f64 v[69:70], vcc_lo, 1.0, v[48:49], 1.0
	v_mul_f64 v[71:72], v[69:70], v[67:68]
	s_delay_alu instid0(VALU_DEP_1) | instskip(NEXT) | instid1(VALU_DEP_1)
	v_fma_f64 v[50:51], -v[50:51], v[71:72], v[69:70]
	v_div_fmas_f64 v[50:51], v[50:51], v[67:68], v[71:72]
	s_delay_alu instid0(VALU_DEP_1) | instskip(NEXT) | instid1(VALU_DEP_1)
	v_div_fixup_f64 v[48:49], v[50:51], v[48:49], 1.0
	v_mul_f64 v[50:51], v[65:66], -v[48:49]
.LBB22_198:
	s_or_b32 exec_lo, exec_lo, s2
.LBB22_199:
	s_delay_alu instid0(SALU_CYCLE_1) | instskip(NEXT) | instid1(SALU_CYCLE_1)
	s_or_b32 exec_lo, exec_lo, s3
	s_mov_b32 s2, exec_lo
	v_cmpx_ne_u32_e64 v64, v56
	s_xor_b32 s2, exec_lo, s2
	s_cbranch_execz .LBB22_205
; %bb.200:
	s_mov_b32 s3, exec_lo
	v_cmpx_eq_u32_e32 9, v64
	s_cbranch_execz .LBB22_204
; %bb.201:
	v_cmp_ne_u32_e32 vcc_lo, 9, v56
	s_xor_b32 s6, s4, -1
	s_delay_alu instid0(SALU_CYCLE_1) | instskip(NEXT) | instid1(SALU_CYCLE_1)
	s_and_b32 s7, s6, vcc_lo
	s_and_saveexec_b32 s6, s7
	s_cbranch_execz .LBB22_203
; %bb.202:
	v_ashrrev_i32_e32 v57, 31, v56
	s_delay_alu instid0(VALU_DEP_1) | instskip(NEXT) | instid1(VALU_DEP_1)
	v_lshlrev_b64 v[64:65], 2, v[56:57]
	v_add_co_u32 v64, vcc_lo, v54, v64
	s_delay_alu instid0(VALU_DEP_2)
	v_add_co_ci_u32_e32 v65, vcc_lo, v55, v65, vcc_lo
	s_clause 0x1
	flat_load_b32 v57, v[64:65]
	flat_load_b32 v61, v[54:55] offset:36
	s_waitcnt vmcnt(1) lgkmcnt(1)
	flat_store_b32 v[54:55], v57 offset:36
	s_waitcnt vmcnt(0) lgkmcnt(1)
	flat_store_b32 v[64:65], v61
.LBB22_203:
	s_or_b32 exec_lo, exec_lo, s6
	v_mov_b32_e32 v64, v56
	v_mov_b32_e32 v61, v56
.LBB22_204:
	s_or_b32 exec_lo, exec_lo, s3
.LBB22_205:
	s_and_not1_saveexec_b32 s2, s2
	s_cbranch_execz .LBB22_207
; %bb.206:
	v_mov_b32_e32 v64, 9
	ds_store_2addr_b64 v58, v[4:5], v[6:7] offset0:20 offset1:21
	ds_store_2addr_b64 v58, v[0:1], v[2:3] offset0:22 offset1:23
.LBB22_207:
	s_or_b32 exec_lo, exec_lo, s2
	s_delay_alu instid0(SALU_CYCLE_1)
	s_mov_b32 s2, exec_lo
	s_waitcnt lgkmcnt(0)
	s_waitcnt_vscnt null, 0x0
	s_barrier
	buffer_gl0_inv
	v_cmpx_lt_i32_e32 9, v64
	s_cbranch_execz .LBB22_209
; %bb.208:
	v_mul_f64 v[56:57], v[48:49], v[10:11]
	v_mul_f64 v[10:11], v[50:51], v[10:11]
	ds_load_2addr_b64 v[65:68], v58 offset0:20 offset1:21
	ds_load_2addr_b64 v[69:72], v58 offset0:22 offset1:23
	v_fma_f64 v[50:51], v[50:51], v[8:9], v[56:57]
	v_fma_f64 v[8:9], v[48:49], v[8:9], -v[10:11]
	s_waitcnt lgkmcnt(1)
	s_delay_alu instid0(VALU_DEP_2) | instskip(SKIP_4) | instid1(VALU_DEP_4)
	v_mul_f64 v[10:11], v[67:68], v[50:51]
	v_mul_f64 v[48:49], v[65:66], v[50:51]
	s_waitcnt lgkmcnt(0)
	v_mul_f64 v[56:57], v[71:72], v[50:51]
	v_mul_f64 v[73:74], v[69:70], v[50:51]
	v_fma_f64 v[10:11], v[65:66], v[8:9], -v[10:11]
	s_delay_alu instid0(VALU_DEP_4) | instskip(NEXT) | instid1(VALU_DEP_4)
	v_fma_f64 v[48:49], v[67:68], v[8:9], v[48:49]
	v_fma_f64 v[56:57], v[69:70], v[8:9], -v[56:57]
	s_delay_alu instid0(VALU_DEP_4) | instskip(NEXT) | instid1(VALU_DEP_4)
	v_fma_f64 v[65:66], v[71:72], v[8:9], v[73:74]
	v_add_f64 v[4:5], v[4:5], -v[10:11]
	s_delay_alu instid0(VALU_DEP_4) | instskip(NEXT) | instid1(VALU_DEP_4)
	v_add_f64 v[6:7], v[6:7], -v[48:49]
	v_add_f64 v[0:1], v[0:1], -v[56:57]
	s_delay_alu instid0(VALU_DEP_4)
	v_add_f64 v[2:3], v[2:3], -v[65:66]
	v_dual_mov_b32 v10, v50 :: v_dual_mov_b32 v11, v51
.LBB22_209:
	s_or_b32 exec_lo, exec_lo, s2
	v_lshl_add_u32 v48, v64, 4, v58
	s_barrier
	buffer_gl0_inv
	v_mov_b32_e32 v56, 10
	ds_store_2addr_b64 v48, v[4:5], v[6:7] offset1:1
	s_waitcnt lgkmcnt(0)
	s_barrier
	buffer_gl0_inv
	ds_load_2addr_b64 v[48:51], v58 offset0:20 offset1:21
	s_cmp_lt_i32 s5, 12
	s_cbranch_scc1 .LBB22_212
; %bb.210:
	v_add3_u32 v57, v63, 0, 0xb0
	v_mov_b32_e32 v56, 10
	s_mov_b32 s6, 11
	s_set_inst_prefetch_distance 0x1
	.p2align	6
.LBB22_211:                             ; =>This Inner Loop Header: Depth=1
	ds_load_2addr_b64 v[65:68], v57 offset1:1
	s_waitcnt lgkmcnt(1)
	v_cmp_gt_f64_e32 vcc_lo, 0, v[48:49]
	v_xor_b32_e32 v69, 0x80000000, v49
	v_cmp_gt_f64_e64 s2, 0, v[50:51]
	v_xor_b32_e32 v71, 0x80000000, v51
	v_add_nc_u32_e32 v57, 16, v57
	s_waitcnt lgkmcnt(0)
	v_cmp_gt_f64_e64 s3, 0, v[65:66]
	v_mov_b32_e32 v73, v65
	v_dual_mov_b32 v75, v67 :: v_dual_cndmask_b32 v70, v49, v69
	v_xor_b32_e32 v69, 0x80000000, v66
	v_cndmask_b32_e64 v72, v51, v71, s2
	v_xor_b32_e32 v71, 0x80000000, v68
	s_delay_alu instid0(VALU_DEP_3) | instskip(SKIP_2) | instid1(VALU_DEP_2)
	v_cndmask_b32_e64 v74, v66, v69, s3
	v_cmp_gt_f64_e64 s3, 0, v[67:68]
	v_cndmask_b32_e32 v69, v48, v48, vcc_lo
	v_cndmask_b32_e64 v76, v68, v71, s3
	v_cndmask_b32_e64 v71, v50, v50, s2
	s_delay_alu instid0(VALU_DEP_2) | instskip(NEXT) | instid1(VALU_DEP_2)
	v_add_f64 v[73:74], v[73:74], v[75:76]
	v_add_f64 v[69:70], v[69:70], v[71:72]
	s_delay_alu instid0(VALU_DEP_1) | instskip(SKIP_4) | instid1(SALU_CYCLE_1)
	v_cmp_lt_f64_e32 vcc_lo, v[69:70], v[73:74]
	v_dual_cndmask_b32 v50, v50, v67 :: v_dual_cndmask_b32 v49, v49, v66
	v_dual_cndmask_b32 v48, v48, v65 :: v_dual_cndmask_b32 v51, v51, v68
	v_cndmask_b32_e64 v56, v56, s6, vcc_lo
	s_add_i32 s6, s6, 1
	s_cmp_lg_u32 s5, s6
	s_cbranch_scc1 .LBB22_211
.LBB22_212:
	s_set_inst_prefetch_distance 0x2
	s_waitcnt lgkmcnt(0)
	v_cmp_eq_f64_e32 vcc_lo, 0, v[48:49]
	v_cmp_eq_f64_e64 s2, 0, v[50:51]
	s_delay_alu instid0(VALU_DEP_1) | instskip(NEXT) | instid1(SALU_CYCLE_1)
	s_and_b32 s2, vcc_lo, s2
	s_and_saveexec_b32 s3, s2
	s_delay_alu instid0(SALU_CYCLE_1)
	s_xor_b32 s2, exec_lo, s3
; %bb.213:
	v_cmp_ne_u32_e32 vcc_lo, 0, v62
	v_cndmask_b32_e32 v62, 11, v62, vcc_lo
; %bb.214:
	s_and_not1_saveexec_b32 s3, s2
	s_cbranch_execz .LBB22_220
; %bb.215:
	v_cmp_gt_f64_e32 vcc_lo, 0, v[48:49]
	v_cmp_gt_f64_e64 s2, 0, v[50:51]
	v_xor_b32_e32 v57, 0x80000000, v49
	v_xor_b32_e32 v65, 0x80000000, v51
	s_delay_alu instid0(VALU_DEP_2) | instskip(NEXT) | instid1(VALU_DEP_2)
	v_cndmask_b32_e32 v66, v49, v57, vcc_lo
	v_cndmask_b32_e64 v68, v51, v65, s2
	v_cndmask_b32_e32 v65, v48, v48, vcc_lo
	v_cndmask_b32_e64 v67, v50, v50, s2
	s_mov_b32 s2, exec_lo
	s_delay_alu instid0(VALU_DEP_1)
	v_cmpx_ngt_f64_e32 v[65:66], v[67:68]
	s_xor_b32 s2, exec_lo, s2
	s_cbranch_execz .LBB22_217
; %bb.216:
	v_div_scale_f64 v[65:66], null, v[50:51], v[50:51], v[48:49]
	v_div_scale_f64 v[71:72], vcc_lo, v[48:49], v[50:51], v[48:49]
	s_delay_alu instid0(VALU_DEP_2) | instskip(SKIP_2) | instid1(VALU_DEP_1)
	v_rcp_f64_e32 v[67:68], v[65:66]
	s_waitcnt_depctr 0xfff
	v_fma_f64 v[69:70], -v[65:66], v[67:68], 1.0
	v_fma_f64 v[67:68], v[67:68], v[69:70], v[67:68]
	s_delay_alu instid0(VALU_DEP_1) | instskip(NEXT) | instid1(VALU_DEP_1)
	v_fma_f64 v[69:70], -v[65:66], v[67:68], 1.0
	v_fma_f64 v[67:68], v[67:68], v[69:70], v[67:68]
	s_delay_alu instid0(VALU_DEP_1) | instskip(NEXT) | instid1(VALU_DEP_1)
	v_mul_f64 v[69:70], v[71:72], v[67:68]
	v_fma_f64 v[65:66], -v[65:66], v[69:70], v[71:72]
	s_delay_alu instid0(VALU_DEP_1) | instskip(NEXT) | instid1(VALU_DEP_1)
	v_div_fmas_f64 v[65:66], v[65:66], v[67:68], v[69:70]
	v_div_fixup_f64 v[65:66], v[65:66], v[50:51], v[48:49]
	s_delay_alu instid0(VALU_DEP_1) | instskip(NEXT) | instid1(VALU_DEP_1)
	v_fma_f64 v[48:49], v[48:49], v[65:66], v[50:51]
	v_div_scale_f64 v[50:51], null, v[48:49], v[48:49], 1.0
	s_delay_alu instid0(VALU_DEP_1) | instskip(SKIP_2) | instid1(VALU_DEP_1)
	v_rcp_f64_e32 v[67:68], v[50:51]
	s_waitcnt_depctr 0xfff
	v_fma_f64 v[69:70], -v[50:51], v[67:68], 1.0
	v_fma_f64 v[67:68], v[67:68], v[69:70], v[67:68]
	s_delay_alu instid0(VALU_DEP_1) | instskip(NEXT) | instid1(VALU_DEP_1)
	v_fma_f64 v[69:70], -v[50:51], v[67:68], 1.0
	v_fma_f64 v[67:68], v[67:68], v[69:70], v[67:68]
	v_div_scale_f64 v[69:70], vcc_lo, 1.0, v[48:49], 1.0
	s_delay_alu instid0(VALU_DEP_1) | instskip(NEXT) | instid1(VALU_DEP_1)
	v_mul_f64 v[71:72], v[69:70], v[67:68]
	v_fma_f64 v[50:51], -v[50:51], v[71:72], v[69:70]
	s_delay_alu instid0(VALU_DEP_1) | instskip(NEXT) | instid1(VALU_DEP_1)
	v_div_fmas_f64 v[50:51], v[50:51], v[67:68], v[71:72]
	v_div_fixup_f64 v[50:51], v[50:51], v[48:49], 1.0
	s_delay_alu instid0(VALU_DEP_1)
	v_mul_f64 v[48:49], v[65:66], v[50:51]
	v_xor_b32_e32 v51, 0x80000000, v51
.LBB22_217:
	s_and_not1_saveexec_b32 s2, s2
	s_cbranch_execz .LBB22_219
; %bb.218:
	s_delay_alu instid0(VALU_DEP_1) | instskip(SKIP_1) | instid1(VALU_DEP_2)
	v_div_scale_f64 v[65:66], null, v[48:49], v[48:49], v[50:51]
	v_div_scale_f64 v[71:72], vcc_lo, v[50:51], v[48:49], v[50:51]
	v_rcp_f64_e32 v[67:68], v[65:66]
	s_waitcnt_depctr 0xfff
	v_fma_f64 v[69:70], -v[65:66], v[67:68], 1.0
	s_delay_alu instid0(VALU_DEP_1) | instskip(NEXT) | instid1(VALU_DEP_1)
	v_fma_f64 v[67:68], v[67:68], v[69:70], v[67:68]
	v_fma_f64 v[69:70], -v[65:66], v[67:68], 1.0
	s_delay_alu instid0(VALU_DEP_1) | instskip(NEXT) | instid1(VALU_DEP_1)
	v_fma_f64 v[67:68], v[67:68], v[69:70], v[67:68]
	v_mul_f64 v[69:70], v[71:72], v[67:68]
	s_delay_alu instid0(VALU_DEP_1) | instskip(NEXT) | instid1(VALU_DEP_1)
	v_fma_f64 v[65:66], -v[65:66], v[69:70], v[71:72]
	v_div_fmas_f64 v[65:66], v[65:66], v[67:68], v[69:70]
	s_delay_alu instid0(VALU_DEP_1) | instskip(NEXT) | instid1(VALU_DEP_1)
	v_div_fixup_f64 v[65:66], v[65:66], v[48:49], v[50:51]
	v_fma_f64 v[48:49], v[50:51], v[65:66], v[48:49]
	s_delay_alu instid0(VALU_DEP_1) | instskip(NEXT) | instid1(VALU_DEP_1)
	v_div_scale_f64 v[50:51], null, v[48:49], v[48:49], 1.0
	v_rcp_f64_e32 v[67:68], v[50:51]
	s_waitcnt_depctr 0xfff
	v_fma_f64 v[69:70], -v[50:51], v[67:68], 1.0
	s_delay_alu instid0(VALU_DEP_1) | instskip(NEXT) | instid1(VALU_DEP_1)
	v_fma_f64 v[67:68], v[67:68], v[69:70], v[67:68]
	v_fma_f64 v[69:70], -v[50:51], v[67:68], 1.0
	s_delay_alu instid0(VALU_DEP_1) | instskip(SKIP_1) | instid1(VALU_DEP_1)
	v_fma_f64 v[67:68], v[67:68], v[69:70], v[67:68]
	v_div_scale_f64 v[69:70], vcc_lo, 1.0, v[48:49], 1.0
	v_mul_f64 v[71:72], v[69:70], v[67:68]
	s_delay_alu instid0(VALU_DEP_1) | instskip(NEXT) | instid1(VALU_DEP_1)
	v_fma_f64 v[50:51], -v[50:51], v[71:72], v[69:70]
	v_div_fmas_f64 v[50:51], v[50:51], v[67:68], v[71:72]
	s_delay_alu instid0(VALU_DEP_1) | instskip(NEXT) | instid1(VALU_DEP_1)
	v_div_fixup_f64 v[48:49], v[50:51], v[48:49], 1.0
	v_mul_f64 v[50:51], v[65:66], -v[48:49]
.LBB22_219:
	s_or_b32 exec_lo, exec_lo, s2
.LBB22_220:
	s_delay_alu instid0(SALU_CYCLE_1) | instskip(NEXT) | instid1(SALU_CYCLE_1)
	s_or_b32 exec_lo, exec_lo, s3
	s_mov_b32 s2, exec_lo
	v_cmpx_ne_u32_e64 v64, v56
	s_xor_b32 s2, exec_lo, s2
	s_cbranch_execz .LBB22_226
; %bb.221:
	s_mov_b32 s3, exec_lo
	v_cmpx_eq_u32_e32 10, v64
	s_cbranch_execz .LBB22_225
; %bb.222:
	v_cmp_ne_u32_e32 vcc_lo, 10, v56
	s_xor_b32 s6, s4, -1
	s_delay_alu instid0(SALU_CYCLE_1) | instskip(NEXT) | instid1(SALU_CYCLE_1)
	s_and_b32 s7, s6, vcc_lo
	s_and_saveexec_b32 s6, s7
	s_cbranch_execz .LBB22_224
; %bb.223:
	v_ashrrev_i32_e32 v57, 31, v56
	s_delay_alu instid0(VALU_DEP_1) | instskip(NEXT) | instid1(VALU_DEP_1)
	v_lshlrev_b64 v[64:65], 2, v[56:57]
	v_add_co_u32 v64, vcc_lo, v54, v64
	s_delay_alu instid0(VALU_DEP_2)
	v_add_co_ci_u32_e32 v65, vcc_lo, v55, v65, vcc_lo
	s_clause 0x1
	flat_load_b32 v57, v[64:65]
	flat_load_b32 v61, v[54:55] offset:40
	s_waitcnt vmcnt(1) lgkmcnt(1)
	flat_store_b32 v[54:55], v57 offset:40
	s_waitcnt vmcnt(0) lgkmcnt(1)
	flat_store_b32 v[64:65], v61
.LBB22_224:
	s_or_b32 exec_lo, exec_lo, s6
	v_mov_b32_e32 v64, v56
	v_mov_b32_e32 v61, v56
.LBB22_225:
	s_or_b32 exec_lo, exec_lo, s3
.LBB22_226:
	s_and_not1_saveexec_b32 s2, s2
	s_cbranch_execz .LBB22_228
; %bb.227:
	v_mov_b32_e32 v64, 10
	ds_store_2addr_b64 v58, v[0:1], v[2:3] offset0:22 offset1:23
.LBB22_228:
	s_or_b32 exec_lo, exec_lo, s2
	s_delay_alu instid0(SALU_CYCLE_1)
	s_mov_b32 s2, exec_lo
	s_waitcnt lgkmcnt(0)
	s_waitcnt_vscnt null, 0x0
	s_barrier
	buffer_gl0_inv
	v_cmpx_lt_i32_e32 10, v64
	s_cbranch_execz .LBB22_230
; %bb.229:
	v_mul_f64 v[56:57], v[48:49], v[6:7]
	v_mul_f64 v[6:7], v[50:51], v[6:7]
	ds_load_2addr_b64 v[65:68], v58 offset0:22 offset1:23
	v_fma_f64 v[50:51], v[50:51], v[4:5], v[56:57]
	v_fma_f64 v[4:5], v[48:49], v[4:5], -v[6:7]
	s_waitcnt lgkmcnt(0)
	s_delay_alu instid0(VALU_DEP_2) | instskip(SKIP_1) | instid1(VALU_DEP_2)
	v_mul_f64 v[6:7], v[67:68], v[50:51]
	v_mul_f64 v[48:49], v[65:66], v[50:51]
	v_fma_f64 v[6:7], v[65:66], v[4:5], -v[6:7]
	s_delay_alu instid0(VALU_DEP_2) | instskip(NEXT) | instid1(VALU_DEP_2)
	v_fma_f64 v[48:49], v[67:68], v[4:5], v[48:49]
	v_add_f64 v[0:1], v[0:1], -v[6:7]
	s_delay_alu instid0(VALU_DEP_2)
	v_add_f64 v[2:3], v[2:3], -v[48:49]
	v_dual_mov_b32 v6, v50 :: v_dual_mov_b32 v7, v51
.LBB22_230:
	s_or_b32 exec_lo, exec_lo, s2
	v_lshl_add_u32 v48, v64, 4, v58
	s_barrier
	buffer_gl0_inv
	v_mov_b32_e32 v56, 11
	ds_store_2addr_b64 v48, v[0:1], v[2:3] offset1:1
	s_waitcnt lgkmcnt(0)
	s_barrier
	buffer_gl0_inv
	ds_load_2addr_b64 v[48:51], v58 offset0:22 offset1:23
	s_cmp_lt_i32 s5, 13
	s_cbranch_scc1 .LBB22_233
; %bb.231:
	v_add3_u32 v57, v63, 0, 0xc0
	v_mov_b32_e32 v56, 11
	s_mov_b32 s6, 12
	s_set_inst_prefetch_distance 0x1
	.p2align	6
.LBB22_232:                             ; =>This Inner Loop Header: Depth=1
	ds_load_2addr_b64 v[65:68], v57 offset1:1
	s_waitcnt lgkmcnt(1)
	v_cmp_gt_f64_e32 vcc_lo, 0, v[48:49]
	v_xor_b32_e32 v58, 0x80000000, v49
	v_cmp_gt_f64_e64 s2, 0, v[50:51]
	v_xor_b32_e32 v63, 0x80000000, v51
	v_add_nc_u32_e32 v57, 16, v57
	s_waitcnt lgkmcnt(0)
	v_cmp_gt_f64_e64 s3, 0, v[65:66]
	v_mov_b32_e32 v73, v65
	v_dual_mov_b32 v75, v67 :: v_dual_cndmask_b32 v70, v49, v58
	v_xor_b32_e32 v58, 0x80000000, v66
	v_cndmask_b32_e64 v72, v51, v63, s2
	v_xor_b32_e32 v63, 0x80000000, v68
	v_cndmask_b32_e32 v69, v48, v48, vcc_lo
	v_cndmask_b32_e64 v71, v50, v50, s2
	s_delay_alu instid0(VALU_DEP_1) | instskip(SKIP_2) | instid1(VALU_DEP_1)
	v_add_f64 v[69:70], v[69:70], v[71:72]
	v_cndmask_b32_e64 v74, v66, v58, s3
	v_cmp_gt_f64_e64 s3, 0, v[67:68]
	v_cndmask_b32_e64 v76, v68, v63, s3
	s_delay_alu instid0(VALU_DEP_1) | instskip(NEXT) | instid1(VALU_DEP_1)
	v_add_f64 v[73:74], v[73:74], v[75:76]
	v_cmp_lt_f64_e32 vcc_lo, v[69:70], v[73:74]
	v_dual_cndmask_b32 v50, v50, v67 :: v_dual_cndmask_b32 v49, v49, v66
	v_dual_cndmask_b32 v48, v48, v65 :: v_dual_cndmask_b32 v51, v51, v68
	v_cndmask_b32_e64 v56, v56, s6, vcc_lo
	s_add_i32 s6, s6, 1
	s_delay_alu instid0(SALU_CYCLE_1)
	s_cmp_lg_u32 s5, s6
	s_cbranch_scc1 .LBB22_232
.LBB22_233:
	s_set_inst_prefetch_distance 0x2
	s_waitcnt lgkmcnt(0)
	v_cmp_eq_f64_e32 vcc_lo, 0, v[48:49]
	v_cmp_eq_f64_e64 s2, 0, v[50:51]
	s_delay_alu instid0(VALU_DEP_1) | instskip(NEXT) | instid1(SALU_CYCLE_1)
	s_and_b32 s2, vcc_lo, s2
	s_and_saveexec_b32 s3, s2
	s_delay_alu instid0(SALU_CYCLE_1)
	s_xor_b32 s2, exec_lo, s3
; %bb.234:
	v_cmp_ne_u32_e32 vcc_lo, 0, v62
	v_cndmask_b32_e32 v62, 12, v62, vcc_lo
; %bb.235:
	s_and_not1_saveexec_b32 s3, s2
	s_cbranch_execz .LBB22_241
; %bb.236:
	v_cmp_gt_f64_e32 vcc_lo, 0, v[48:49]
	v_cmp_gt_f64_e64 s2, 0, v[50:51]
	v_xor_b32_e32 v57, 0x80000000, v49
	v_xor_b32_e32 v63, 0x80000000, v51
	s_delay_alu instid0(VALU_DEP_2) | instskip(NEXT) | instid1(VALU_DEP_2)
	v_dual_cndmask_b32 v58, v49, v57 :: v_dual_cndmask_b32 v57, v48, v48
	v_cndmask_b32_e64 v66, v51, v63, s2
	v_cndmask_b32_e64 v65, v50, v50, s2
	s_mov_b32 s2, exec_lo
	s_delay_alu instid0(VALU_DEP_1)
	v_cmpx_ngt_f64_e32 v[57:58], v[65:66]
	s_xor_b32 s2, exec_lo, s2
	s_cbranch_execz .LBB22_238
; %bb.237:
	v_div_scale_f64 v[57:58], null, v[50:51], v[50:51], v[48:49]
	v_div_scale_f64 v[69:70], vcc_lo, v[48:49], v[50:51], v[48:49]
	s_delay_alu instid0(VALU_DEP_2) | instskip(SKIP_2) | instid1(VALU_DEP_1)
	v_rcp_f64_e32 v[65:66], v[57:58]
	s_waitcnt_depctr 0xfff
	v_fma_f64 v[67:68], -v[57:58], v[65:66], 1.0
	v_fma_f64 v[65:66], v[65:66], v[67:68], v[65:66]
	s_delay_alu instid0(VALU_DEP_1) | instskip(NEXT) | instid1(VALU_DEP_1)
	v_fma_f64 v[67:68], -v[57:58], v[65:66], 1.0
	v_fma_f64 v[65:66], v[65:66], v[67:68], v[65:66]
	s_delay_alu instid0(VALU_DEP_1) | instskip(NEXT) | instid1(VALU_DEP_1)
	v_mul_f64 v[67:68], v[69:70], v[65:66]
	v_fma_f64 v[57:58], -v[57:58], v[67:68], v[69:70]
	s_delay_alu instid0(VALU_DEP_1) | instskip(NEXT) | instid1(VALU_DEP_1)
	v_div_fmas_f64 v[57:58], v[57:58], v[65:66], v[67:68]
	v_div_fixup_f64 v[57:58], v[57:58], v[50:51], v[48:49]
	s_delay_alu instid0(VALU_DEP_1) | instskip(NEXT) | instid1(VALU_DEP_1)
	v_fma_f64 v[48:49], v[48:49], v[57:58], v[50:51]
	v_div_scale_f64 v[50:51], null, v[48:49], v[48:49], 1.0
	s_delay_alu instid0(VALU_DEP_1) | instskip(SKIP_2) | instid1(VALU_DEP_1)
	v_rcp_f64_e32 v[65:66], v[50:51]
	s_waitcnt_depctr 0xfff
	v_fma_f64 v[67:68], -v[50:51], v[65:66], 1.0
	v_fma_f64 v[65:66], v[65:66], v[67:68], v[65:66]
	s_delay_alu instid0(VALU_DEP_1) | instskip(NEXT) | instid1(VALU_DEP_1)
	v_fma_f64 v[67:68], -v[50:51], v[65:66], 1.0
	v_fma_f64 v[65:66], v[65:66], v[67:68], v[65:66]
	v_div_scale_f64 v[67:68], vcc_lo, 1.0, v[48:49], 1.0
	s_delay_alu instid0(VALU_DEP_1) | instskip(NEXT) | instid1(VALU_DEP_1)
	v_mul_f64 v[69:70], v[67:68], v[65:66]
	v_fma_f64 v[50:51], -v[50:51], v[69:70], v[67:68]
	s_delay_alu instid0(VALU_DEP_1) | instskip(NEXT) | instid1(VALU_DEP_1)
	v_div_fmas_f64 v[50:51], v[50:51], v[65:66], v[69:70]
	v_div_fixup_f64 v[50:51], v[50:51], v[48:49], 1.0
	s_delay_alu instid0(VALU_DEP_1)
	v_mul_f64 v[48:49], v[57:58], v[50:51]
	v_xor_b32_e32 v51, 0x80000000, v51
.LBB22_238:
	s_and_not1_saveexec_b32 s2, s2
	s_cbranch_execz .LBB22_240
; %bb.239:
	s_delay_alu instid0(VALU_DEP_1) | instskip(SKIP_1) | instid1(VALU_DEP_2)
	v_div_scale_f64 v[57:58], null, v[48:49], v[48:49], v[50:51]
	v_div_scale_f64 v[69:70], vcc_lo, v[50:51], v[48:49], v[50:51]
	v_rcp_f64_e32 v[65:66], v[57:58]
	s_waitcnt_depctr 0xfff
	v_fma_f64 v[67:68], -v[57:58], v[65:66], 1.0
	s_delay_alu instid0(VALU_DEP_1) | instskip(NEXT) | instid1(VALU_DEP_1)
	v_fma_f64 v[65:66], v[65:66], v[67:68], v[65:66]
	v_fma_f64 v[67:68], -v[57:58], v[65:66], 1.0
	s_delay_alu instid0(VALU_DEP_1) | instskip(NEXT) | instid1(VALU_DEP_1)
	v_fma_f64 v[65:66], v[65:66], v[67:68], v[65:66]
	v_mul_f64 v[67:68], v[69:70], v[65:66]
	s_delay_alu instid0(VALU_DEP_1) | instskip(NEXT) | instid1(VALU_DEP_1)
	v_fma_f64 v[57:58], -v[57:58], v[67:68], v[69:70]
	v_div_fmas_f64 v[57:58], v[57:58], v[65:66], v[67:68]
	s_delay_alu instid0(VALU_DEP_1) | instskip(NEXT) | instid1(VALU_DEP_1)
	v_div_fixup_f64 v[57:58], v[57:58], v[48:49], v[50:51]
	v_fma_f64 v[48:49], v[50:51], v[57:58], v[48:49]
	s_delay_alu instid0(VALU_DEP_1) | instskip(NEXT) | instid1(VALU_DEP_1)
	v_div_scale_f64 v[50:51], null, v[48:49], v[48:49], 1.0
	v_rcp_f64_e32 v[65:66], v[50:51]
	s_waitcnt_depctr 0xfff
	v_fma_f64 v[67:68], -v[50:51], v[65:66], 1.0
	s_delay_alu instid0(VALU_DEP_1) | instskip(NEXT) | instid1(VALU_DEP_1)
	v_fma_f64 v[65:66], v[65:66], v[67:68], v[65:66]
	v_fma_f64 v[67:68], -v[50:51], v[65:66], 1.0
	s_delay_alu instid0(VALU_DEP_1) | instskip(SKIP_1) | instid1(VALU_DEP_1)
	v_fma_f64 v[65:66], v[65:66], v[67:68], v[65:66]
	v_div_scale_f64 v[67:68], vcc_lo, 1.0, v[48:49], 1.0
	v_mul_f64 v[69:70], v[67:68], v[65:66]
	s_delay_alu instid0(VALU_DEP_1) | instskip(NEXT) | instid1(VALU_DEP_1)
	v_fma_f64 v[50:51], -v[50:51], v[69:70], v[67:68]
	v_div_fmas_f64 v[50:51], v[50:51], v[65:66], v[69:70]
	s_delay_alu instid0(VALU_DEP_1) | instskip(NEXT) | instid1(VALU_DEP_1)
	v_div_fixup_f64 v[48:49], v[50:51], v[48:49], 1.0
	v_mul_f64 v[50:51], v[57:58], -v[48:49]
.LBB22_240:
	s_or_b32 exec_lo, exec_lo, s2
.LBB22_241:
	s_delay_alu instid0(SALU_CYCLE_1)
	s_or_b32 exec_lo, exec_lo, s3
	v_mov_b32_e32 v57, 11
	s_mov_b32 s2, exec_lo
	v_cmpx_ne_u32_e64 v64, v56
	s_cbranch_execz .LBB22_247
; %bb.242:
	s_mov_b32 s3, exec_lo
	v_cmpx_eq_u32_e32 11, v64
	s_cbranch_execz .LBB22_246
; %bb.243:
	v_cmp_ne_u32_e32 vcc_lo, 11, v56
	s_xor_b32 s4, s4, -1
	s_delay_alu instid0(SALU_CYCLE_1) | instskip(NEXT) | instid1(SALU_CYCLE_1)
	s_and_b32 s5, s4, vcc_lo
	s_and_saveexec_b32 s4, s5
	s_cbranch_execz .LBB22_245
; %bb.244:
	v_ashrrev_i32_e32 v57, 31, v56
	s_delay_alu instid0(VALU_DEP_1) | instskip(NEXT) | instid1(VALU_DEP_1)
	v_lshlrev_b64 v[57:58], 2, v[56:57]
	v_add_co_u32 v57, vcc_lo, v54, v57
	s_delay_alu instid0(VALU_DEP_2)
	v_add_co_ci_u32_e32 v58, vcc_lo, v55, v58, vcc_lo
	s_clause 0x1
	flat_load_b32 v61, v[57:58]
	flat_load_b32 v63, v[54:55] offset:44
	s_waitcnt vmcnt(1) lgkmcnt(1)
	flat_store_b32 v[54:55], v61 offset:44
	s_waitcnt vmcnt(0) lgkmcnt(1)
	flat_store_b32 v[57:58], v63
.LBB22_245:
	s_or_b32 exec_lo, exec_lo, s4
	v_mov_b32_e32 v64, v56
	v_mov_b32_e32 v61, v56
.LBB22_246:
	s_or_b32 exec_lo, exec_lo, s3
	s_delay_alu instid0(VALU_DEP_2)
	v_mov_b32_e32 v57, v64
.LBB22_247:
	s_or_b32 exec_lo, exec_lo, s2
	s_delay_alu instid0(SALU_CYCLE_1)
	s_mov_b32 s2, exec_lo
	s_waitcnt lgkmcnt(0)
	s_waitcnt_vscnt null, 0x0
	s_barrier
	buffer_gl0_inv
	v_cmpx_lt_i32_e32 11, v57
; %bb.248:
	v_mul_f64 v[54:55], v[50:51], v[2:3]
	v_mul_f64 v[2:3], v[48:49], v[2:3]
	s_delay_alu instid0(VALU_DEP_2) | instskip(NEXT) | instid1(VALU_DEP_2)
	v_fma_f64 v[48:49], v[48:49], v[0:1], -v[54:55]
	v_fma_f64 v[2:3], v[50:51], v[0:1], v[2:3]
	s_delay_alu instid0(VALU_DEP_2)
	v_dual_mov_b32 v0, v48 :: v_dual_mov_b32 v1, v49
; %bb.249:
	s_or_b32 exec_lo, exec_lo, s2
	s_load_b256 s[0:7], s[0:1], 0x28
	v_ashrrev_i32_e32 v58, 31, v57
	s_mov_b32 s9, exec_lo
	s_waitcnt lgkmcnt(0)
	s_barrier
	buffer_gl0_inv
	v_cmpx_gt_i32_e32 12, v57
	s_cbranch_execz .LBB22_251
; %bb.250:
	v_mul_lo_u32 v50, v53, s4
	v_mul_lo_u32 v51, v52, s5
	v_mad_u64_u32 v[48:49], null, v52, s4, 0
	s_lshl_b64 s[2:3], s[2:3], 2
	s_delay_alu instid0(SALU_CYCLE_1) | instskip(SKIP_1) | instid1(VALU_DEP_1)
	s_add_u32 s0, s2, s0
	s_addc_u32 s1, s3, s1
	v_add3_u32 v49, v49, v51, v50
	v_lshlrev_b64 v[50:51], 2, v[57:58]
	s_delay_alu instid0(VALU_DEP_2) | instskip(NEXT) | instid1(VALU_DEP_1)
	v_lshlrev_b64 v[48:49], 2, v[48:49]
	v_add_co_u32 v48, vcc_lo, s0, v48
	s_delay_alu instid0(VALU_DEP_2) | instskip(NEXT) | instid1(VALU_DEP_2)
	v_add_co_ci_u32_e32 v49, vcc_lo, s1, v49, vcc_lo
	v_add_co_u32 v48, vcc_lo, v48, v50
	s_delay_alu instid0(VALU_DEP_2)
	v_add_co_ci_u32_e32 v49, vcc_lo, v49, v51, vcc_lo
	v_add3_u32 v50, v61, s13, 1
	global_store_b32 v[48:49], v50, off
.LBB22_251:
	s_or_b32 exec_lo, exec_lo, s9
	s_delay_alu instid0(SALU_CYCLE_1)
	s_mov_b32 s1, exec_lo
	v_cmpx_eq_u32_e32 0, v57
	s_cbranch_execz .LBB22_254
; %bb.252:
	v_lshlrev_b64 v[48:49], 2, v[52:53]
	v_cmp_lt_i32_e64 s0, 0, v62
	s_delay_alu instid0(VALU_DEP_2) | instskip(NEXT) | instid1(VALU_DEP_3)
	v_add_co_u32 v48, vcc_lo, s6, v48
	v_add_co_ci_u32_e32 v49, vcc_lo, s7, v49, vcc_lo
	global_load_b32 v50, v[48:49], off
	s_waitcnt vmcnt(0)
	v_cmp_eq_u32_e32 vcc_lo, 0, v50
	s_and_b32 s0, vcc_lo, s0
	s_delay_alu instid0(SALU_CYCLE_1)
	s_and_b32 exec_lo, exec_lo, s0
	s_cbranch_execz .LBB22_254
; %bb.253:
	v_add_nc_u32_e32 v50, s13, v62
	global_store_b32 v[48:49], v50, off
.LBB22_254:
	s_or_b32 exec_lo, exec_lo, s1
	v_add3_u32 v48, s8, s8, v57
	v_lshlrev_b64 v[50:51], 4, v[57:58]
	s_delay_alu instid0(VALU_DEP_2) | instskip(SKIP_1) | instid1(VALU_DEP_3)
	v_add_nc_u32_e32 v52, s8, v48
	v_ashrrev_i32_e32 v49, 31, v48
	v_add_co_u32 v50, vcc_lo, v59, v50
	s_delay_alu instid0(VALU_DEP_4) | instskip(NEXT) | instid1(VALU_DEP_4)
	v_add_co_ci_u32_e32 v51, vcc_lo, v60, v51, vcc_lo
	v_add_nc_u32_e32 v56, s8, v52
	s_delay_alu instid0(VALU_DEP_3) | instskip(SKIP_1) | instid1(VALU_DEP_4)
	v_add_co_u32 v54, vcc_lo, v50, s10
	v_ashrrev_i32_e32 v53, 31, v52
	v_add_co_ci_u32_e32 v55, vcc_lo, s11, v51, vcc_lo
	v_lshlrev_b64 v[48:49], 4, v[48:49]
	v_ashrrev_i32_e32 v57, 31, v56
	s_clause 0x1
	global_store_b128 v[50:51], v[36:39], off
	global_store_b128 v[54:55], v[40:43], off
	v_lshlrev_b64 v[36:37], 4, v[52:53]
	v_add_nc_u32_e32 v42, s8, v56
	v_add_co_u32 v38, vcc_lo, v59, v48
	v_lshlrev_b64 v[40:41], 4, v[56:57]
	v_add_co_ci_u32_e32 v39, vcc_lo, v60, v49, vcc_lo
	v_add_co_u32 v36, vcc_lo, v59, v36
	v_add_nc_u32_e32 v48, s8, v42
	v_add_co_ci_u32_e32 v37, vcc_lo, v60, v37, vcc_lo
	v_ashrrev_i32_e32 v43, 31, v42
	v_add_co_u32 v40, vcc_lo, v59, v40
	v_add_co_ci_u32_e32 v41, vcc_lo, v60, v41, vcc_lo
	v_ashrrev_i32_e32 v49, 31, v48
	global_store_b128 v[38:39], v[28:31], off
	v_lshlrev_b64 v[28:29], 4, v[42:43]
	s_clause 0x1
	global_store_b128 v[36:37], v[24:27], off
	global_store_b128 v[40:41], v[44:47], off
	v_add_nc_u32_e32 v26, s8, v48
	v_lshlrev_b64 v[24:25], 4, v[48:49]
	v_add_co_u32 v28, vcc_lo, v59, v28
	s_delay_alu instid0(VALU_DEP_3) | instskip(SKIP_1) | instid1(VALU_DEP_4)
	v_add_nc_u32_e32 v30, s8, v26
	v_add_co_ci_u32_e32 v29, vcc_lo, v60, v29, vcc_lo
	v_add_co_u32 v24, vcc_lo, v59, v24
	v_add_co_ci_u32_e32 v25, vcc_lo, v60, v25, vcc_lo
	s_delay_alu instid0(VALU_DEP_4)
	v_add_nc_u32_e32 v36, s8, v30
	v_ashrrev_i32_e32 v27, 31, v26
	s_clause 0x1
	global_store_b128 v[28:29], v[20:23], off
	global_store_b128 v[24:25], v[32:35], off
	v_ashrrev_i32_e32 v31, 31, v30
	v_add_nc_u32_e32 v24, s8, v36
	v_lshlrev_b64 v[20:21], 4, v[26:27]
	v_ashrrev_i32_e32 v37, 31, v36
	s_delay_alu instid0(VALU_DEP_4) | instskip(NEXT) | instid1(VALU_DEP_4)
	v_lshlrev_b64 v[22:23], 4, v[30:31]
	v_add_nc_u32_e32 v28, s8, v24
	v_ashrrev_i32_e32 v25, 31, v24
	v_add_co_u32 v20, vcc_lo, v59, v20
	v_lshlrev_b64 v[26:27], 4, v[36:37]
	s_delay_alu instid0(VALU_DEP_4)
	v_ashrrev_i32_e32 v29, 31, v28
	v_add_co_ci_u32_e32 v21, vcc_lo, v60, v21, vcc_lo
	v_add_co_u32 v22, vcc_lo, v59, v22
	v_lshlrev_b64 v[24:25], 4, v[24:25]
	v_add_co_ci_u32_e32 v23, vcc_lo, v60, v23, vcc_lo
	v_add_co_u32 v26, vcc_lo, v59, v26
	v_lshlrev_b64 v[28:29], 4, v[28:29]
	v_add_co_ci_u32_e32 v27, vcc_lo, v60, v27, vcc_lo
	v_add_co_u32 v24, vcc_lo, v59, v24
	v_add_co_ci_u32_e32 v25, vcc_lo, v60, v25, vcc_lo
	s_delay_alu instid0(VALU_DEP_4)
	v_add_co_u32 v28, vcc_lo, v59, v28
	v_add_co_ci_u32_e32 v29, vcc_lo, v60, v29, vcc_lo
	s_clause 0x4
	global_store_b128 v[20:21], v[16:19], off
	global_store_b128 v[22:23], v[12:15], off
	;; [unrolled: 1-line block ×5, first 2 shown]
.LBB22_255:
	s_nop 0
	s_sendmsg sendmsg(MSG_DEALLOC_VGPRS)
	s_endpgm
	.section	.rodata,"a",@progbits
	.p2align	6, 0x0
	.amdhsa_kernel _ZN9rocsolver6v33100L18getf2_small_kernelILi12E19rocblas_complex_numIdEiiPKPS3_EEvT1_T3_lS7_lPS7_llPT2_S7_S7_S9_l
		.amdhsa_group_segment_fixed_size 0
		.amdhsa_private_segment_fixed_size 0
		.amdhsa_kernarg_size 352
		.amdhsa_user_sgpr_count 14
		.amdhsa_user_sgpr_dispatch_ptr 0
		.amdhsa_user_sgpr_queue_ptr 0
		.amdhsa_user_sgpr_kernarg_segment_ptr 1
		.amdhsa_user_sgpr_dispatch_id 0
		.amdhsa_user_sgpr_private_segment_size 0
		.amdhsa_wavefront_size32 1
		.amdhsa_uses_dynamic_stack 0
		.amdhsa_enable_private_segment 0
		.amdhsa_system_sgpr_workgroup_id_x 1
		.amdhsa_system_sgpr_workgroup_id_y 1
		.amdhsa_system_sgpr_workgroup_id_z 0
		.amdhsa_system_sgpr_workgroup_info 0
		.amdhsa_system_vgpr_workitem_id 1
		.amdhsa_next_free_vgpr 148
		.amdhsa_next_free_sgpr 16
		.amdhsa_reserve_vcc 1
		.amdhsa_float_round_mode_32 0
		.amdhsa_float_round_mode_16_64 0
		.amdhsa_float_denorm_mode_32 3
		.amdhsa_float_denorm_mode_16_64 3
		.amdhsa_dx10_clamp 1
		.amdhsa_ieee_mode 1
		.amdhsa_fp16_overflow 0
		.amdhsa_workgroup_processor_mode 1
		.amdhsa_memory_ordered 1
		.amdhsa_forward_progress 0
		.amdhsa_shared_vgpr_count 0
		.amdhsa_exception_fp_ieee_invalid_op 0
		.amdhsa_exception_fp_denorm_src 0
		.amdhsa_exception_fp_ieee_div_zero 0
		.amdhsa_exception_fp_ieee_overflow 0
		.amdhsa_exception_fp_ieee_underflow 0
		.amdhsa_exception_fp_ieee_inexact 0
		.amdhsa_exception_int_div_zero 0
	.end_amdhsa_kernel
	.section	.text._ZN9rocsolver6v33100L18getf2_small_kernelILi12E19rocblas_complex_numIdEiiPKPS3_EEvT1_T3_lS7_lPS7_llPT2_S7_S7_S9_l,"axG",@progbits,_ZN9rocsolver6v33100L18getf2_small_kernelILi12E19rocblas_complex_numIdEiiPKPS3_EEvT1_T3_lS7_lPS7_llPT2_S7_S7_S9_l,comdat
.Lfunc_end22:
	.size	_ZN9rocsolver6v33100L18getf2_small_kernelILi12E19rocblas_complex_numIdEiiPKPS3_EEvT1_T3_lS7_lPS7_llPT2_S7_S7_S9_l, .Lfunc_end22-_ZN9rocsolver6v33100L18getf2_small_kernelILi12E19rocblas_complex_numIdEiiPKPS3_EEvT1_T3_lS7_lPS7_llPT2_S7_S7_S9_l
                                        ; -- End function
	.section	.AMDGPU.csdata,"",@progbits
; Kernel info:
; codeLenInByte = 19856
; NumSgprs: 18
; NumVgprs: 148
; ScratchSize: 0
; MemoryBound: 0
; FloatMode: 240
; IeeeMode: 1
; LDSByteSize: 0 bytes/workgroup (compile time only)
; SGPRBlocks: 2
; VGPRBlocks: 18
; NumSGPRsForWavesPerEU: 18
; NumVGPRsForWavesPerEU: 148
; Occupancy: 9
; WaveLimiterHint : 1
; COMPUTE_PGM_RSRC2:SCRATCH_EN: 0
; COMPUTE_PGM_RSRC2:USER_SGPR: 14
; COMPUTE_PGM_RSRC2:TRAP_HANDLER: 0
; COMPUTE_PGM_RSRC2:TGID_X_EN: 1
; COMPUTE_PGM_RSRC2:TGID_Y_EN: 1
; COMPUTE_PGM_RSRC2:TGID_Z_EN: 0
; COMPUTE_PGM_RSRC2:TIDIG_COMP_CNT: 1
	.section	.text._ZN9rocsolver6v33100L23getf2_npvt_small_kernelILi12E19rocblas_complex_numIdEiiPKPS3_EEvT1_T3_lS7_lPT2_S7_S7_,"axG",@progbits,_ZN9rocsolver6v33100L23getf2_npvt_small_kernelILi12E19rocblas_complex_numIdEiiPKPS3_EEvT1_T3_lS7_lPT2_S7_S7_,comdat
	.globl	_ZN9rocsolver6v33100L23getf2_npvt_small_kernelILi12E19rocblas_complex_numIdEiiPKPS3_EEvT1_T3_lS7_lPT2_S7_S7_ ; -- Begin function _ZN9rocsolver6v33100L23getf2_npvt_small_kernelILi12E19rocblas_complex_numIdEiiPKPS3_EEvT1_T3_lS7_lPT2_S7_S7_
	.p2align	8
	.type	_ZN9rocsolver6v33100L23getf2_npvt_small_kernelILi12E19rocblas_complex_numIdEiiPKPS3_EEvT1_T3_lS7_lPT2_S7_S7_,@function
_ZN9rocsolver6v33100L23getf2_npvt_small_kernelILi12E19rocblas_complex_numIdEiiPKPS3_EEvT1_T3_lS7_lPT2_S7_S7_: ; @_ZN9rocsolver6v33100L23getf2_npvt_small_kernelILi12E19rocblas_complex_numIdEiiPKPS3_EEvT1_T3_lS7_lPT2_S7_S7_
; %bb.0:
	s_clause 0x1
	s_load_b32 s2, s[0:1], 0x44
	s_load_b64 s[8:9], s[0:1], 0x30
	v_bfe_u32 v48, v0, 10, 10
	s_waitcnt lgkmcnt(0)
	s_lshr_b32 s10, s2, 16
	s_mov_b32 s2, exec_lo
	s_delay_alu instid0(VALU_DEP_1) | instskip(NEXT) | instid1(VALU_DEP_1)
	v_mad_u64_u32 v[96:97], null, s15, s10, v[48:49]
	v_cmpx_gt_i32_e64 s8, v96
	s_cbranch_execz .LBB23_113
; %bb.1:
	s_clause 0x1
	s_load_b128 s[4:7], s[0:1], 0x8
	s_load_b32 s2, s[0:1], 0x18
	v_ashrrev_i32_e32 v97, 31, v96
	v_and_b32_e32 v124, 0x3ff, v0
	v_lshlrev_b32_e32 v49, 4, v48
	s_mulk_i32 s10, 0xc0
	v_mad_u32_u24 v126, 0xc0, v48, 0
	v_lshlrev_b64 v[1:2], 3, v[96:97]
	v_lshlrev_b32_e32 v23, 4, v124
	v_add3_u32 v125, 0, s10, v49
	s_waitcnt lgkmcnt(0)
	s_delay_alu instid0(VALU_DEP_3) | instskip(NEXT) | instid1(VALU_DEP_4)
	v_add_co_u32 v1, vcc_lo, s4, v1
	v_add_co_ci_u32_e32 v2, vcc_lo, s5, v2, vcc_lo
	v_add3_u32 v3, s2, s2, v124
	s_lshl_b64 s[6:7], s[6:7], 4
	s_ashr_i32 s3, s2, 31
	global_load_b64 v[1:2], v[1:2], off
	s_lshl_b64 s[4:5], s[2:3], 4
	v_add_nc_u32_e32 v5, s2, v3
	v_ashrrev_i32_e32 v4, 31, v3
	v_cmp_ne_u32_e64 s3, 0, v124
	s_delay_alu instid0(VALU_DEP_3) | instskip(SKIP_1) | instid1(VALU_DEP_4)
	v_add_nc_u32_e32 v7, s2, v5
	v_ashrrev_i32_e32 v6, 31, v5
	v_lshlrev_b64 v[3:4], 4, v[3:4]
	s_delay_alu instid0(VALU_DEP_3) | instskip(SKIP_1) | instid1(VALU_DEP_4)
	v_add_nc_u32_e32 v9, s2, v7
	v_ashrrev_i32_e32 v8, 31, v7
	v_lshlrev_b64 v[5:6], 4, v[5:6]
	;; [unrolled: 4-line block ×8, first 2 shown]
	v_cmp_eq_u32_e64 s2, 0, v124
	s_delay_alu instid0(VALU_DEP_4) | instskip(NEXT) | instid1(VALU_DEP_4)
	v_ashrrev_i32_e32 v22, 31, v21
	v_lshlrev_b64 v[19:20], 4, v[19:20]
	s_waitcnt vmcnt(0)
	v_add_co_u32 v24, vcc_lo, v1, s6
	v_add_co_ci_u32_e32 v2, vcc_lo, s7, v2, vcc_lo
	v_lshlrev_b64 v[0:1], 4, v[21:22]
	s_delay_alu instid0(VALU_DEP_3) | instskip(NEXT) | instid1(VALU_DEP_3)
	v_add_co_u32 v118, vcc_lo, v24, v23
	v_add_co_ci_u32_e32 v119, vcc_lo, 0, v2, vcc_lo
	v_add_co_u32 v116, vcc_lo, v24, v3
	v_add_co_ci_u32_e32 v117, vcc_lo, v2, v4, vcc_lo
	;; [unrolled: 2-line block ×12, first 2 shown]
	s_clause 0xb
	global_load_b128 v[36:39], v[116:117], off
	global_load_b128 v[32:35], v[114:115], off
	;; [unrolled: 1-line block ×12, first 2 shown]
	s_and_saveexec_b32 s5, s2
	s_cbranch_execz .LBB23_8
; %bb.2:
	s_waitcnt vmcnt(3)
	ds_store_2addr_b64 v125, v[44:45], v[46:47] offset1:1
	s_waitcnt vmcnt(2)
	ds_store_2addr_b64 v126, v[40:41], v[42:43] offset0:2 offset1:3
	ds_store_2addr_b64 v126, v[36:37], v[38:39] offset0:4 offset1:5
	;; [unrolled: 1-line block ×9, first 2 shown]
	s_waitcnt vmcnt(1)
	ds_store_2addr_b64 v126, v[4:5], v[6:7] offset0:20 offset1:21
	s_waitcnt vmcnt(0)
	ds_store_2addr_b64 v126, v[0:1], v[2:3] offset0:22 offset1:23
	ds_load_2addr_b64 v[48:51], v125 offset1:1
	s_waitcnt lgkmcnt(0)
	v_cmp_neq_f64_e32 vcc_lo, 0, v[48:49]
	v_cmp_neq_f64_e64 s4, 0, v[50:51]
	s_delay_alu instid0(VALU_DEP_1) | instskip(NEXT) | instid1(SALU_CYCLE_1)
	s_or_b32 s4, vcc_lo, s4
	s_and_b32 exec_lo, exec_lo, s4
	s_cbranch_execz .LBB23_8
; %bb.3:
	v_cmp_gt_f64_e32 vcc_lo, 0, v[48:49]
	v_cmp_gt_f64_e64 s4, 0, v[50:51]
	v_xor_b32_e32 v52, 0x80000000, v49
	v_xor_b32_e32 v54, 0x80000000, v51
                                        ; implicit-def: $vgpr56_vgpr57
	s_delay_alu instid0(VALU_DEP_2) | instskip(NEXT) | instid1(VALU_DEP_2)
	v_cndmask_b32_e32 v53, v49, v52, vcc_lo
	v_cndmask_b32_e64 v55, v51, v54, s4
	v_cndmask_b32_e32 v52, v48, v48, vcc_lo
	v_cndmask_b32_e64 v54, v50, v50, s4
	s_mov_b32 s4, exec_lo
	s_delay_alu instid0(VALU_DEP_1)
	v_cmpx_ngt_f64_e32 v[52:53], v[54:55]
	s_xor_b32 s4, exec_lo, s4
                                        ; implicit-def: $vgpr52_vgpr53_vgpr54_vgpr55
	s_cbranch_execz .LBB23_5
; %bb.4:
	v_div_scale_f64 v[52:53], null, v[50:51], v[50:51], v[48:49]
	v_div_scale_f64 v[58:59], vcc_lo, v[48:49], v[50:51], v[48:49]
	s_delay_alu instid0(VALU_DEP_2) | instskip(SKIP_2) | instid1(VALU_DEP_1)
	v_rcp_f64_e32 v[54:55], v[52:53]
	s_waitcnt_depctr 0xfff
	v_fma_f64 v[56:57], -v[52:53], v[54:55], 1.0
	v_fma_f64 v[54:55], v[54:55], v[56:57], v[54:55]
	s_delay_alu instid0(VALU_DEP_1) | instskip(NEXT) | instid1(VALU_DEP_1)
	v_fma_f64 v[56:57], -v[52:53], v[54:55], 1.0
	v_fma_f64 v[54:55], v[54:55], v[56:57], v[54:55]
	s_delay_alu instid0(VALU_DEP_1) | instskip(NEXT) | instid1(VALU_DEP_1)
	v_mul_f64 v[56:57], v[58:59], v[54:55]
	v_fma_f64 v[52:53], -v[52:53], v[56:57], v[58:59]
	s_delay_alu instid0(VALU_DEP_1) | instskip(NEXT) | instid1(VALU_DEP_1)
	v_div_fmas_f64 v[52:53], v[52:53], v[54:55], v[56:57]
	v_div_fixup_f64 v[52:53], v[52:53], v[50:51], v[48:49]
	s_delay_alu instid0(VALU_DEP_1) | instskip(NEXT) | instid1(VALU_DEP_1)
	v_fma_f64 v[48:49], v[48:49], v[52:53], v[50:51]
	v_div_scale_f64 v[50:51], null, v[48:49], v[48:49], 1.0
	s_delay_alu instid0(VALU_DEP_1) | instskip(SKIP_2) | instid1(VALU_DEP_1)
	v_rcp_f64_e32 v[54:55], v[50:51]
	s_waitcnt_depctr 0xfff
	v_fma_f64 v[56:57], -v[50:51], v[54:55], 1.0
	v_fma_f64 v[54:55], v[54:55], v[56:57], v[54:55]
	s_delay_alu instid0(VALU_DEP_1) | instskip(NEXT) | instid1(VALU_DEP_1)
	v_fma_f64 v[56:57], -v[50:51], v[54:55], 1.0
	v_fma_f64 v[54:55], v[54:55], v[56:57], v[54:55]
	v_div_scale_f64 v[56:57], vcc_lo, 1.0, v[48:49], 1.0
	s_delay_alu instid0(VALU_DEP_1) | instskip(NEXT) | instid1(VALU_DEP_1)
	v_mul_f64 v[58:59], v[56:57], v[54:55]
	v_fma_f64 v[50:51], -v[50:51], v[58:59], v[56:57]
	s_delay_alu instid0(VALU_DEP_1) | instskip(NEXT) | instid1(VALU_DEP_1)
	v_div_fmas_f64 v[50:51], v[50:51], v[54:55], v[58:59]
	v_div_fixup_f64 v[54:55], v[50:51], v[48:49], 1.0
                                        ; implicit-def: $vgpr48_vgpr49
	s_delay_alu instid0(VALU_DEP_1)
	v_mul_f64 v[56:57], v[52:53], v[54:55]
	v_xor_b32_e32 v55, 0x80000000, v55
.LBB23_5:
	s_and_not1_saveexec_b32 s4, s4
	s_cbranch_execz .LBB23_7
; %bb.6:
	v_div_scale_f64 v[52:53], null, v[48:49], v[48:49], v[50:51]
	v_div_scale_f64 v[58:59], vcc_lo, v[50:51], v[48:49], v[50:51]
	s_delay_alu instid0(VALU_DEP_2) | instskip(SKIP_2) | instid1(VALU_DEP_1)
	v_rcp_f64_e32 v[54:55], v[52:53]
	s_waitcnt_depctr 0xfff
	v_fma_f64 v[56:57], -v[52:53], v[54:55], 1.0
	v_fma_f64 v[54:55], v[54:55], v[56:57], v[54:55]
	s_delay_alu instid0(VALU_DEP_1) | instskip(NEXT) | instid1(VALU_DEP_1)
	v_fma_f64 v[56:57], -v[52:53], v[54:55], 1.0
	v_fma_f64 v[54:55], v[54:55], v[56:57], v[54:55]
	s_delay_alu instid0(VALU_DEP_1) | instskip(NEXT) | instid1(VALU_DEP_1)
	v_mul_f64 v[56:57], v[58:59], v[54:55]
	v_fma_f64 v[52:53], -v[52:53], v[56:57], v[58:59]
	s_delay_alu instid0(VALU_DEP_1) | instskip(NEXT) | instid1(VALU_DEP_1)
	v_div_fmas_f64 v[52:53], v[52:53], v[54:55], v[56:57]
	v_div_fixup_f64 v[52:53], v[52:53], v[48:49], v[50:51]
	s_delay_alu instid0(VALU_DEP_1) | instskip(NEXT) | instid1(VALU_DEP_1)
	v_fma_f64 v[48:49], v[50:51], v[52:53], v[48:49]
	v_div_scale_f64 v[50:51], null, v[48:49], v[48:49], 1.0
	s_delay_alu instid0(VALU_DEP_1) | instskip(SKIP_2) | instid1(VALU_DEP_1)
	v_rcp_f64_e32 v[54:55], v[50:51]
	s_waitcnt_depctr 0xfff
	v_fma_f64 v[56:57], -v[50:51], v[54:55], 1.0
	v_fma_f64 v[54:55], v[54:55], v[56:57], v[54:55]
	s_delay_alu instid0(VALU_DEP_1) | instskip(NEXT) | instid1(VALU_DEP_1)
	v_fma_f64 v[56:57], -v[50:51], v[54:55], 1.0
	v_fma_f64 v[54:55], v[54:55], v[56:57], v[54:55]
	v_div_scale_f64 v[56:57], vcc_lo, 1.0, v[48:49], 1.0
	s_delay_alu instid0(VALU_DEP_1) | instskip(NEXT) | instid1(VALU_DEP_1)
	v_mul_f64 v[58:59], v[56:57], v[54:55]
	v_fma_f64 v[50:51], -v[50:51], v[58:59], v[56:57]
	s_delay_alu instid0(VALU_DEP_1) | instskip(NEXT) | instid1(VALU_DEP_1)
	v_div_fmas_f64 v[50:51], v[50:51], v[54:55], v[58:59]
	v_div_fixup_f64 v[56:57], v[50:51], v[48:49], 1.0
	s_delay_alu instid0(VALU_DEP_1)
	v_mul_f64 v[54:55], v[52:53], -v[56:57]
.LBB23_7:
	s_or_b32 exec_lo, exec_lo, s4
	ds_store_2addr_b64 v125, v[56:57], v[54:55] offset1:1
.LBB23_8:
	s_or_b32 exec_lo, exec_lo, s5
	s_waitcnt vmcnt(0) lgkmcnt(0)
	s_barrier
	buffer_gl0_inv
	ds_load_2addr_b64 v[48:51], v125 offset1:1
	s_and_saveexec_b32 s4, s3
	s_cbranch_execz .LBB23_10
; %bb.9:
	s_waitcnt lgkmcnt(0)
	v_mul_f64 v[52:53], v[48:49], v[46:47]
	v_mul_f64 v[46:47], v[50:51], v[46:47]
	s_delay_alu instid0(VALU_DEP_2)
	v_fma_f64 v[122:123], v[50:51], v[44:45], v[52:53]
	ds_load_2addr_b64 v[52:55], v126 offset0:2 offset1:3
	ds_load_2addr_b64 v[56:59], v126 offset0:4 offset1:5
	;; [unrolled: 1-line block ×11, first 2 shown]
	v_fma_f64 v[44:45], v[48:49], v[44:45], -v[46:47]
	s_waitcnt lgkmcnt(10)
	v_mul_f64 v[46:47], v[54:55], v[122:123]
	v_mul_f64 v[127:128], v[52:53], v[122:123]
	s_waitcnt lgkmcnt(9)
	v_mul_f64 v[129:130], v[58:59], v[122:123]
	v_mul_f64 v[131:132], v[56:57], v[122:123]
	;; [unrolled: 3-line block ×11, first 2 shown]
	v_fma_f64 v[46:47], v[52:53], v[44:45], -v[46:47]
	v_fma_f64 v[52:53], v[54:55], v[44:45], v[127:128]
	v_fma_f64 v[54:55], v[56:57], v[44:45], -v[129:130]
	v_fma_f64 v[56:57], v[58:59], v[44:45], v[131:132]
	;; [unrolled: 2-line block ×11, first 2 shown]
	v_add_f64 v[40:41], v[40:41], -v[46:47]
	v_add_f64 v[42:43], v[42:43], -v[52:53]
	;; [unrolled: 1-line block ×22, first 2 shown]
	v_dual_mov_b32 v46, v122 :: v_dual_mov_b32 v47, v123
.LBB23_10:
	s_or_b32 exec_lo, exec_lo, s4
	s_delay_alu instid0(SALU_CYCLE_1)
	s_mov_b32 s4, exec_lo
	s_waitcnt lgkmcnt(0)
	s_barrier
	buffer_gl0_inv
	v_cmpx_eq_u32_e32 1, v124
	s_cbranch_execz .LBB23_17
; %bb.11:
	ds_store_2addr_b64 v125, v[40:41], v[42:43] offset1:1
	ds_store_2addr_b64 v126, v[36:37], v[38:39] offset0:4 offset1:5
	ds_store_2addr_b64 v126, v[32:33], v[34:35] offset0:6 offset1:7
	;; [unrolled: 1-line block ×10, first 2 shown]
	ds_load_2addr_b64 v[52:55], v125 offset1:1
	s_waitcnt lgkmcnt(0)
	v_cmp_neq_f64_e32 vcc_lo, 0, v[52:53]
	v_cmp_neq_f64_e64 s3, 0, v[54:55]
	s_delay_alu instid0(VALU_DEP_1) | instskip(NEXT) | instid1(SALU_CYCLE_1)
	s_or_b32 s3, vcc_lo, s3
	s_and_b32 exec_lo, exec_lo, s3
	s_cbranch_execz .LBB23_17
; %bb.12:
	v_cmp_gt_f64_e32 vcc_lo, 0, v[52:53]
	v_cmp_gt_f64_e64 s3, 0, v[54:55]
	v_xor_b32_e32 v56, 0x80000000, v53
	v_xor_b32_e32 v58, 0x80000000, v55
                                        ; implicit-def: $vgpr60_vgpr61
	s_delay_alu instid0(VALU_DEP_2) | instskip(NEXT) | instid1(VALU_DEP_2)
	v_cndmask_b32_e32 v57, v53, v56, vcc_lo
	v_cndmask_b32_e64 v59, v55, v58, s3
	v_cndmask_b32_e32 v56, v52, v52, vcc_lo
	v_cndmask_b32_e64 v58, v54, v54, s3
	s_mov_b32 s3, exec_lo
	s_delay_alu instid0(VALU_DEP_1)
	v_cmpx_ngt_f64_e32 v[56:57], v[58:59]
	s_xor_b32 s3, exec_lo, s3
                                        ; implicit-def: $vgpr56_vgpr57_vgpr58_vgpr59
	s_cbranch_execz .LBB23_14
; %bb.13:
	v_div_scale_f64 v[56:57], null, v[54:55], v[54:55], v[52:53]
	v_div_scale_f64 v[62:63], vcc_lo, v[52:53], v[54:55], v[52:53]
	s_delay_alu instid0(VALU_DEP_2) | instskip(SKIP_2) | instid1(VALU_DEP_1)
	v_rcp_f64_e32 v[58:59], v[56:57]
	s_waitcnt_depctr 0xfff
	v_fma_f64 v[60:61], -v[56:57], v[58:59], 1.0
	v_fma_f64 v[58:59], v[58:59], v[60:61], v[58:59]
	s_delay_alu instid0(VALU_DEP_1) | instskip(NEXT) | instid1(VALU_DEP_1)
	v_fma_f64 v[60:61], -v[56:57], v[58:59], 1.0
	v_fma_f64 v[58:59], v[58:59], v[60:61], v[58:59]
	s_delay_alu instid0(VALU_DEP_1) | instskip(NEXT) | instid1(VALU_DEP_1)
	v_mul_f64 v[60:61], v[62:63], v[58:59]
	v_fma_f64 v[56:57], -v[56:57], v[60:61], v[62:63]
	s_delay_alu instid0(VALU_DEP_1) | instskip(NEXT) | instid1(VALU_DEP_1)
	v_div_fmas_f64 v[56:57], v[56:57], v[58:59], v[60:61]
	v_div_fixup_f64 v[56:57], v[56:57], v[54:55], v[52:53]
	s_delay_alu instid0(VALU_DEP_1) | instskip(NEXT) | instid1(VALU_DEP_1)
	v_fma_f64 v[52:53], v[52:53], v[56:57], v[54:55]
	v_div_scale_f64 v[54:55], null, v[52:53], v[52:53], 1.0
	s_delay_alu instid0(VALU_DEP_1) | instskip(SKIP_2) | instid1(VALU_DEP_1)
	v_rcp_f64_e32 v[58:59], v[54:55]
	s_waitcnt_depctr 0xfff
	v_fma_f64 v[60:61], -v[54:55], v[58:59], 1.0
	v_fma_f64 v[58:59], v[58:59], v[60:61], v[58:59]
	s_delay_alu instid0(VALU_DEP_1) | instskip(NEXT) | instid1(VALU_DEP_1)
	v_fma_f64 v[60:61], -v[54:55], v[58:59], 1.0
	v_fma_f64 v[58:59], v[58:59], v[60:61], v[58:59]
	v_div_scale_f64 v[60:61], vcc_lo, 1.0, v[52:53], 1.0
	s_delay_alu instid0(VALU_DEP_1) | instskip(NEXT) | instid1(VALU_DEP_1)
	v_mul_f64 v[62:63], v[60:61], v[58:59]
	v_fma_f64 v[54:55], -v[54:55], v[62:63], v[60:61]
	s_delay_alu instid0(VALU_DEP_1) | instskip(NEXT) | instid1(VALU_DEP_1)
	v_div_fmas_f64 v[54:55], v[54:55], v[58:59], v[62:63]
	v_div_fixup_f64 v[58:59], v[54:55], v[52:53], 1.0
                                        ; implicit-def: $vgpr52_vgpr53
	s_delay_alu instid0(VALU_DEP_1)
	v_mul_f64 v[60:61], v[56:57], v[58:59]
	v_xor_b32_e32 v59, 0x80000000, v59
.LBB23_14:
	s_and_not1_saveexec_b32 s3, s3
	s_cbranch_execz .LBB23_16
; %bb.15:
	v_div_scale_f64 v[56:57], null, v[52:53], v[52:53], v[54:55]
	v_div_scale_f64 v[62:63], vcc_lo, v[54:55], v[52:53], v[54:55]
	s_delay_alu instid0(VALU_DEP_2) | instskip(SKIP_2) | instid1(VALU_DEP_1)
	v_rcp_f64_e32 v[58:59], v[56:57]
	s_waitcnt_depctr 0xfff
	v_fma_f64 v[60:61], -v[56:57], v[58:59], 1.0
	v_fma_f64 v[58:59], v[58:59], v[60:61], v[58:59]
	s_delay_alu instid0(VALU_DEP_1) | instskip(NEXT) | instid1(VALU_DEP_1)
	v_fma_f64 v[60:61], -v[56:57], v[58:59], 1.0
	v_fma_f64 v[58:59], v[58:59], v[60:61], v[58:59]
	s_delay_alu instid0(VALU_DEP_1) | instskip(NEXT) | instid1(VALU_DEP_1)
	v_mul_f64 v[60:61], v[62:63], v[58:59]
	v_fma_f64 v[56:57], -v[56:57], v[60:61], v[62:63]
	s_delay_alu instid0(VALU_DEP_1) | instskip(NEXT) | instid1(VALU_DEP_1)
	v_div_fmas_f64 v[56:57], v[56:57], v[58:59], v[60:61]
	v_div_fixup_f64 v[56:57], v[56:57], v[52:53], v[54:55]
	s_delay_alu instid0(VALU_DEP_1) | instskip(NEXT) | instid1(VALU_DEP_1)
	v_fma_f64 v[52:53], v[54:55], v[56:57], v[52:53]
	v_div_scale_f64 v[54:55], null, v[52:53], v[52:53], 1.0
	s_delay_alu instid0(VALU_DEP_1) | instskip(SKIP_2) | instid1(VALU_DEP_1)
	v_rcp_f64_e32 v[58:59], v[54:55]
	s_waitcnt_depctr 0xfff
	v_fma_f64 v[60:61], -v[54:55], v[58:59], 1.0
	v_fma_f64 v[58:59], v[58:59], v[60:61], v[58:59]
	s_delay_alu instid0(VALU_DEP_1) | instskip(NEXT) | instid1(VALU_DEP_1)
	v_fma_f64 v[60:61], -v[54:55], v[58:59], 1.0
	v_fma_f64 v[58:59], v[58:59], v[60:61], v[58:59]
	v_div_scale_f64 v[60:61], vcc_lo, 1.0, v[52:53], 1.0
	s_delay_alu instid0(VALU_DEP_1) | instskip(NEXT) | instid1(VALU_DEP_1)
	v_mul_f64 v[62:63], v[60:61], v[58:59]
	v_fma_f64 v[54:55], -v[54:55], v[62:63], v[60:61]
	s_delay_alu instid0(VALU_DEP_1) | instskip(NEXT) | instid1(VALU_DEP_1)
	v_div_fmas_f64 v[54:55], v[54:55], v[58:59], v[62:63]
	v_div_fixup_f64 v[60:61], v[54:55], v[52:53], 1.0
	s_delay_alu instid0(VALU_DEP_1)
	v_mul_f64 v[58:59], v[56:57], -v[60:61]
.LBB23_16:
	s_or_b32 exec_lo, exec_lo, s3
	ds_store_2addr_b64 v125, v[60:61], v[58:59] offset1:1
.LBB23_17:
	s_or_b32 exec_lo, exec_lo, s4
	s_waitcnt lgkmcnt(0)
	s_barrier
	buffer_gl0_inv
	ds_load_2addr_b64 v[52:55], v125 offset1:1
	s_mov_b32 s3, exec_lo
	v_cmpx_lt_u32_e32 1, v124
	s_cbranch_execz .LBB23_19
; %bb.18:
	s_waitcnt lgkmcnt(0)
	v_mul_f64 v[56:57], v[52:53], v[42:43]
	v_mul_f64 v[42:43], v[54:55], v[42:43]
	s_delay_alu instid0(VALU_DEP_2)
	v_fma_f64 v[122:123], v[54:55], v[40:41], v[56:57]
	ds_load_2addr_b64 v[56:59], v126 offset0:4 offset1:5
	ds_load_2addr_b64 v[60:63], v126 offset0:6 offset1:7
	;; [unrolled: 1-line block ×10, first 2 shown]
	v_fma_f64 v[40:41], v[52:53], v[40:41], -v[42:43]
	s_waitcnt lgkmcnt(9)
	v_mul_f64 v[42:43], v[58:59], v[122:123]
	v_mul_f64 v[127:128], v[56:57], v[122:123]
	s_waitcnt lgkmcnt(8)
	v_mul_f64 v[129:130], v[62:63], v[122:123]
	v_mul_f64 v[131:132], v[60:61], v[122:123]
	;; [unrolled: 3-line block ×10, first 2 shown]
	v_fma_f64 v[42:43], v[56:57], v[40:41], -v[42:43]
	v_fma_f64 v[56:57], v[58:59], v[40:41], v[127:128]
	v_fma_f64 v[58:59], v[60:61], v[40:41], -v[129:130]
	v_fma_f64 v[60:61], v[62:63], v[40:41], v[131:132]
	;; [unrolled: 2-line block ×10, first 2 shown]
	v_add_f64 v[36:37], v[36:37], -v[42:43]
	v_add_f64 v[38:39], v[38:39], -v[56:57]
	;; [unrolled: 1-line block ×20, first 2 shown]
	v_dual_mov_b32 v42, v122 :: v_dual_mov_b32 v43, v123
.LBB23_19:
	s_or_b32 exec_lo, exec_lo, s3
	s_delay_alu instid0(SALU_CYCLE_1)
	s_mov_b32 s4, exec_lo
	s_waitcnt lgkmcnt(0)
	s_barrier
	buffer_gl0_inv
	v_cmpx_eq_u32_e32 2, v124
	s_cbranch_execz .LBB23_26
; %bb.20:
	ds_store_2addr_b64 v125, v[36:37], v[38:39] offset1:1
	ds_store_2addr_b64 v126, v[32:33], v[34:35] offset0:6 offset1:7
	ds_store_2addr_b64 v126, v[28:29], v[30:31] offset0:8 offset1:9
	;; [unrolled: 1-line block ×9, first 2 shown]
	ds_load_2addr_b64 v[56:59], v125 offset1:1
	s_waitcnt lgkmcnt(0)
	v_cmp_neq_f64_e32 vcc_lo, 0, v[56:57]
	v_cmp_neq_f64_e64 s3, 0, v[58:59]
	s_delay_alu instid0(VALU_DEP_1) | instskip(NEXT) | instid1(SALU_CYCLE_1)
	s_or_b32 s3, vcc_lo, s3
	s_and_b32 exec_lo, exec_lo, s3
	s_cbranch_execz .LBB23_26
; %bb.21:
	v_cmp_gt_f64_e32 vcc_lo, 0, v[56:57]
	v_cmp_gt_f64_e64 s3, 0, v[58:59]
	v_xor_b32_e32 v60, 0x80000000, v57
	v_xor_b32_e32 v62, 0x80000000, v59
                                        ; implicit-def: $vgpr64_vgpr65
	s_delay_alu instid0(VALU_DEP_2) | instskip(NEXT) | instid1(VALU_DEP_2)
	v_cndmask_b32_e32 v61, v57, v60, vcc_lo
	v_cndmask_b32_e64 v63, v59, v62, s3
	v_cndmask_b32_e32 v60, v56, v56, vcc_lo
	v_cndmask_b32_e64 v62, v58, v58, s3
	s_mov_b32 s3, exec_lo
	s_delay_alu instid0(VALU_DEP_1)
	v_cmpx_ngt_f64_e32 v[60:61], v[62:63]
	s_xor_b32 s3, exec_lo, s3
                                        ; implicit-def: $vgpr60_vgpr61_vgpr62_vgpr63
	s_cbranch_execz .LBB23_23
; %bb.22:
	v_div_scale_f64 v[60:61], null, v[58:59], v[58:59], v[56:57]
	v_div_scale_f64 v[66:67], vcc_lo, v[56:57], v[58:59], v[56:57]
	s_delay_alu instid0(VALU_DEP_2) | instskip(SKIP_2) | instid1(VALU_DEP_1)
	v_rcp_f64_e32 v[62:63], v[60:61]
	s_waitcnt_depctr 0xfff
	v_fma_f64 v[64:65], -v[60:61], v[62:63], 1.0
	v_fma_f64 v[62:63], v[62:63], v[64:65], v[62:63]
	s_delay_alu instid0(VALU_DEP_1) | instskip(NEXT) | instid1(VALU_DEP_1)
	v_fma_f64 v[64:65], -v[60:61], v[62:63], 1.0
	v_fma_f64 v[62:63], v[62:63], v[64:65], v[62:63]
	s_delay_alu instid0(VALU_DEP_1) | instskip(NEXT) | instid1(VALU_DEP_1)
	v_mul_f64 v[64:65], v[66:67], v[62:63]
	v_fma_f64 v[60:61], -v[60:61], v[64:65], v[66:67]
	s_delay_alu instid0(VALU_DEP_1) | instskip(NEXT) | instid1(VALU_DEP_1)
	v_div_fmas_f64 v[60:61], v[60:61], v[62:63], v[64:65]
	v_div_fixup_f64 v[60:61], v[60:61], v[58:59], v[56:57]
	s_delay_alu instid0(VALU_DEP_1) | instskip(NEXT) | instid1(VALU_DEP_1)
	v_fma_f64 v[56:57], v[56:57], v[60:61], v[58:59]
	v_div_scale_f64 v[58:59], null, v[56:57], v[56:57], 1.0
	s_delay_alu instid0(VALU_DEP_1) | instskip(SKIP_2) | instid1(VALU_DEP_1)
	v_rcp_f64_e32 v[62:63], v[58:59]
	s_waitcnt_depctr 0xfff
	v_fma_f64 v[64:65], -v[58:59], v[62:63], 1.0
	v_fma_f64 v[62:63], v[62:63], v[64:65], v[62:63]
	s_delay_alu instid0(VALU_DEP_1) | instskip(NEXT) | instid1(VALU_DEP_1)
	v_fma_f64 v[64:65], -v[58:59], v[62:63], 1.0
	v_fma_f64 v[62:63], v[62:63], v[64:65], v[62:63]
	v_div_scale_f64 v[64:65], vcc_lo, 1.0, v[56:57], 1.0
	s_delay_alu instid0(VALU_DEP_1) | instskip(NEXT) | instid1(VALU_DEP_1)
	v_mul_f64 v[66:67], v[64:65], v[62:63]
	v_fma_f64 v[58:59], -v[58:59], v[66:67], v[64:65]
	s_delay_alu instid0(VALU_DEP_1) | instskip(NEXT) | instid1(VALU_DEP_1)
	v_div_fmas_f64 v[58:59], v[58:59], v[62:63], v[66:67]
	v_div_fixup_f64 v[62:63], v[58:59], v[56:57], 1.0
                                        ; implicit-def: $vgpr56_vgpr57
	s_delay_alu instid0(VALU_DEP_1)
	v_mul_f64 v[64:65], v[60:61], v[62:63]
	v_xor_b32_e32 v63, 0x80000000, v63
.LBB23_23:
	s_and_not1_saveexec_b32 s3, s3
	s_cbranch_execz .LBB23_25
; %bb.24:
	v_div_scale_f64 v[60:61], null, v[56:57], v[56:57], v[58:59]
	v_div_scale_f64 v[66:67], vcc_lo, v[58:59], v[56:57], v[58:59]
	s_delay_alu instid0(VALU_DEP_2) | instskip(SKIP_2) | instid1(VALU_DEP_1)
	v_rcp_f64_e32 v[62:63], v[60:61]
	s_waitcnt_depctr 0xfff
	v_fma_f64 v[64:65], -v[60:61], v[62:63], 1.0
	v_fma_f64 v[62:63], v[62:63], v[64:65], v[62:63]
	s_delay_alu instid0(VALU_DEP_1) | instskip(NEXT) | instid1(VALU_DEP_1)
	v_fma_f64 v[64:65], -v[60:61], v[62:63], 1.0
	v_fma_f64 v[62:63], v[62:63], v[64:65], v[62:63]
	s_delay_alu instid0(VALU_DEP_1) | instskip(NEXT) | instid1(VALU_DEP_1)
	v_mul_f64 v[64:65], v[66:67], v[62:63]
	v_fma_f64 v[60:61], -v[60:61], v[64:65], v[66:67]
	s_delay_alu instid0(VALU_DEP_1) | instskip(NEXT) | instid1(VALU_DEP_1)
	v_div_fmas_f64 v[60:61], v[60:61], v[62:63], v[64:65]
	v_div_fixup_f64 v[60:61], v[60:61], v[56:57], v[58:59]
	s_delay_alu instid0(VALU_DEP_1) | instskip(NEXT) | instid1(VALU_DEP_1)
	v_fma_f64 v[56:57], v[58:59], v[60:61], v[56:57]
	v_div_scale_f64 v[58:59], null, v[56:57], v[56:57], 1.0
	s_delay_alu instid0(VALU_DEP_1) | instskip(SKIP_2) | instid1(VALU_DEP_1)
	v_rcp_f64_e32 v[62:63], v[58:59]
	s_waitcnt_depctr 0xfff
	v_fma_f64 v[64:65], -v[58:59], v[62:63], 1.0
	v_fma_f64 v[62:63], v[62:63], v[64:65], v[62:63]
	s_delay_alu instid0(VALU_DEP_1) | instskip(NEXT) | instid1(VALU_DEP_1)
	v_fma_f64 v[64:65], -v[58:59], v[62:63], 1.0
	v_fma_f64 v[62:63], v[62:63], v[64:65], v[62:63]
	v_div_scale_f64 v[64:65], vcc_lo, 1.0, v[56:57], 1.0
	s_delay_alu instid0(VALU_DEP_1) | instskip(NEXT) | instid1(VALU_DEP_1)
	v_mul_f64 v[66:67], v[64:65], v[62:63]
	v_fma_f64 v[58:59], -v[58:59], v[66:67], v[64:65]
	s_delay_alu instid0(VALU_DEP_1) | instskip(NEXT) | instid1(VALU_DEP_1)
	v_div_fmas_f64 v[58:59], v[58:59], v[62:63], v[66:67]
	v_div_fixup_f64 v[64:65], v[58:59], v[56:57], 1.0
	s_delay_alu instid0(VALU_DEP_1)
	v_mul_f64 v[62:63], v[60:61], -v[64:65]
.LBB23_25:
	s_or_b32 exec_lo, exec_lo, s3
	ds_store_2addr_b64 v125, v[64:65], v[62:63] offset1:1
.LBB23_26:
	s_or_b32 exec_lo, exec_lo, s4
	s_waitcnt lgkmcnt(0)
	s_barrier
	buffer_gl0_inv
	ds_load_2addr_b64 v[56:59], v125 offset1:1
	s_mov_b32 s3, exec_lo
	v_cmpx_lt_u32_e32 2, v124
	s_cbranch_execz .LBB23_28
; %bb.27:
	s_waitcnt lgkmcnt(0)
	v_mul_f64 v[60:61], v[56:57], v[38:39]
	v_mul_f64 v[38:39], v[58:59], v[38:39]
	s_delay_alu instid0(VALU_DEP_2)
	v_fma_f64 v[122:123], v[58:59], v[36:37], v[60:61]
	ds_load_2addr_b64 v[60:63], v126 offset0:6 offset1:7
	ds_load_2addr_b64 v[64:67], v126 offset0:8 offset1:9
	;; [unrolled: 1-line block ×9, first 2 shown]
	v_fma_f64 v[36:37], v[56:57], v[36:37], -v[38:39]
	s_waitcnt lgkmcnt(8)
	v_mul_f64 v[38:39], v[62:63], v[122:123]
	v_mul_f64 v[127:128], v[60:61], v[122:123]
	s_waitcnt lgkmcnt(7)
	v_mul_f64 v[129:130], v[66:67], v[122:123]
	v_mul_f64 v[131:132], v[64:65], v[122:123]
	;; [unrolled: 3-line block ×9, first 2 shown]
	v_fma_f64 v[38:39], v[60:61], v[36:37], -v[38:39]
	v_fma_f64 v[60:61], v[62:63], v[36:37], v[127:128]
	v_fma_f64 v[62:63], v[64:65], v[36:37], -v[129:130]
	v_fma_f64 v[64:65], v[66:67], v[36:37], v[131:132]
	;; [unrolled: 2-line block ×9, first 2 shown]
	v_add_f64 v[32:33], v[32:33], -v[38:39]
	v_add_f64 v[34:35], v[34:35], -v[60:61]
	;; [unrolled: 1-line block ×18, first 2 shown]
	v_dual_mov_b32 v38, v122 :: v_dual_mov_b32 v39, v123
.LBB23_28:
	s_or_b32 exec_lo, exec_lo, s3
	s_delay_alu instid0(SALU_CYCLE_1)
	s_mov_b32 s4, exec_lo
	s_waitcnt lgkmcnt(0)
	s_barrier
	buffer_gl0_inv
	v_cmpx_eq_u32_e32 3, v124
	s_cbranch_execz .LBB23_35
; %bb.29:
	ds_store_2addr_b64 v125, v[32:33], v[34:35] offset1:1
	ds_store_2addr_b64 v126, v[28:29], v[30:31] offset0:8 offset1:9
	ds_store_2addr_b64 v126, v[24:25], v[26:27] offset0:10 offset1:11
	;; [unrolled: 1-line block ×8, first 2 shown]
	ds_load_2addr_b64 v[60:63], v125 offset1:1
	s_waitcnt lgkmcnt(0)
	v_cmp_neq_f64_e32 vcc_lo, 0, v[60:61]
	v_cmp_neq_f64_e64 s3, 0, v[62:63]
	s_delay_alu instid0(VALU_DEP_1) | instskip(NEXT) | instid1(SALU_CYCLE_1)
	s_or_b32 s3, vcc_lo, s3
	s_and_b32 exec_lo, exec_lo, s3
	s_cbranch_execz .LBB23_35
; %bb.30:
	v_cmp_gt_f64_e32 vcc_lo, 0, v[60:61]
	v_cmp_gt_f64_e64 s3, 0, v[62:63]
	v_xor_b32_e32 v64, 0x80000000, v61
	v_xor_b32_e32 v66, 0x80000000, v63
                                        ; implicit-def: $vgpr68_vgpr69
	s_delay_alu instid0(VALU_DEP_2) | instskip(NEXT) | instid1(VALU_DEP_2)
	v_cndmask_b32_e32 v65, v61, v64, vcc_lo
	v_cndmask_b32_e64 v67, v63, v66, s3
	v_cndmask_b32_e32 v64, v60, v60, vcc_lo
	v_cndmask_b32_e64 v66, v62, v62, s3
	s_mov_b32 s3, exec_lo
	s_delay_alu instid0(VALU_DEP_1)
	v_cmpx_ngt_f64_e32 v[64:65], v[66:67]
	s_xor_b32 s3, exec_lo, s3
                                        ; implicit-def: $vgpr64_vgpr65_vgpr66_vgpr67
	s_cbranch_execz .LBB23_32
; %bb.31:
	v_div_scale_f64 v[64:65], null, v[62:63], v[62:63], v[60:61]
	v_div_scale_f64 v[70:71], vcc_lo, v[60:61], v[62:63], v[60:61]
	s_delay_alu instid0(VALU_DEP_2) | instskip(SKIP_2) | instid1(VALU_DEP_1)
	v_rcp_f64_e32 v[66:67], v[64:65]
	s_waitcnt_depctr 0xfff
	v_fma_f64 v[68:69], -v[64:65], v[66:67], 1.0
	v_fma_f64 v[66:67], v[66:67], v[68:69], v[66:67]
	s_delay_alu instid0(VALU_DEP_1) | instskip(NEXT) | instid1(VALU_DEP_1)
	v_fma_f64 v[68:69], -v[64:65], v[66:67], 1.0
	v_fma_f64 v[66:67], v[66:67], v[68:69], v[66:67]
	s_delay_alu instid0(VALU_DEP_1) | instskip(NEXT) | instid1(VALU_DEP_1)
	v_mul_f64 v[68:69], v[70:71], v[66:67]
	v_fma_f64 v[64:65], -v[64:65], v[68:69], v[70:71]
	s_delay_alu instid0(VALU_DEP_1) | instskip(NEXT) | instid1(VALU_DEP_1)
	v_div_fmas_f64 v[64:65], v[64:65], v[66:67], v[68:69]
	v_div_fixup_f64 v[64:65], v[64:65], v[62:63], v[60:61]
	s_delay_alu instid0(VALU_DEP_1) | instskip(NEXT) | instid1(VALU_DEP_1)
	v_fma_f64 v[60:61], v[60:61], v[64:65], v[62:63]
	v_div_scale_f64 v[62:63], null, v[60:61], v[60:61], 1.0
	s_delay_alu instid0(VALU_DEP_1) | instskip(SKIP_2) | instid1(VALU_DEP_1)
	v_rcp_f64_e32 v[66:67], v[62:63]
	s_waitcnt_depctr 0xfff
	v_fma_f64 v[68:69], -v[62:63], v[66:67], 1.0
	v_fma_f64 v[66:67], v[66:67], v[68:69], v[66:67]
	s_delay_alu instid0(VALU_DEP_1) | instskip(NEXT) | instid1(VALU_DEP_1)
	v_fma_f64 v[68:69], -v[62:63], v[66:67], 1.0
	v_fma_f64 v[66:67], v[66:67], v[68:69], v[66:67]
	v_div_scale_f64 v[68:69], vcc_lo, 1.0, v[60:61], 1.0
	s_delay_alu instid0(VALU_DEP_1) | instskip(NEXT) | instid1(VALU_DEP_1)
	v_mul_f64 v[70:71], v[68:69], v[66:67]
	v_fma_f64 v[62:63], -v[62:63], v[70:71], v[68:69]
	s_delay_alu instid0(VALU_DEP_1) | instskip(NEXT) | instid1(VALU_DEP_1)
	v_div_fmas_f64 v[62:63], v[62:63], v[66:67], v[70:71]
	v_div_fixup_f64 v[66:67], v[62:63], v[60:61], 1.0
                                        ; implicit-def: $vgpr60_vgpr61
	s_delay_alu instid0(VALU_DEP_1)
	v_mul_f64 v[68:69], v[64:65], v[66:67]
	v_xor_b32_e32 v67, 0x80000000, v67
.LBB23_32:
	s_and_not1_saveexec_b32 s3, s3
	s_cbranch_execz .LBB23_34
; %bb.33:
	v_div_scale_f64 v[64:65], null, v[60:61], v[60:61], v[62:63]
	v_div_scale_f64 v[70:71], vcc_lo, v[62:63], v[60:61], v[62:63]
	s_delay_alu instid0(VALU_DEP_2) | instskip(SKIP_2) | instid1(VALU_DEP_1)
	v_rcp_f64_e32 v[66:67], v[64:65]
	s_waitcnt_depctr 0xfff
	v_fma_f64 v[68:69], -v[64:65], v[66:67], 1.0
	v_fma_f64 v[66:67], v[66:67], v[68:69], v[66:67]
	s_delay_alu instid0(VALU_DEP_1) | instskip(NEXT) | instid1(VALU_DEP_1)
	v_fma_f64 v[68:69], -v[64:65], v[66:67], 1.0
	v_fma_f64 v[66:67], v[66:67], v[68:69], v[66:67]
	s_delay_alu instid0(VALU_DEP_1) | instskip(NEXT) | instid1(VALU_DEP_1)
	v_mul_f64 v[68:69], v[70:71], v[66:67]
	v_fma_f64 v[64:65], -v[64:65], v[68:69], v[70:71]
	s_delay_alu instid0(VALU_DEP_1) | instskip(NEXT) | instid1(VALU_DEP_1)
	v_div_fmas_f64 v[64:65], v[64:65], v[66:67], v[68:69]
	v_div_fixup_f64 v[64:65], v[64:65], v[60:61], v[62:63]
	s_delay_alu instid0(VALU_DEP_1) | instskip(NEXT) | instid1(VALU_DEP_1)
	v_fma_f64 v[60:61], v[62:63], v[64:65], v[60:61]
	v_div_scale_f64 v[62:63], null, v[60:61], v[60:61], 1.0
	s_delay_alu instid0(VALU_DEP_1) | instskip(SKIP_2) | instid1(VALU_DEP_1)
	v_rcp_f64_e32 v[66:67], v[62:63]
	s_waitcnt_depctr 0xfff
	v_fma_f64 v[68:69], -v[62:63], v[66:67], 1.0
	v_fma_f64 v[66:67], v[66:67], v[68:69], v[66:67]
	s_delay_alu instid0(VALU_DEP_1) | instskip(NEXT) | instid1(VALU_DEP_1)
	v_fma_f64 v[68:69], -v[62:63], v[66:67], 1.0
	v_fma_f64 v[66:67], v[66:67], v[68:69], v[66:67]
	v_div_scale_f64 v[68:69], vcc_lo, 1.0, v[60:61], 1.0
	s_delay_alu instid0(VALU_DEP_1) | instskip(NEXT) | instid1(VALU_DEP_1)
	v_mul_f64 v[70:71], v[68:69], v[66:67]
	v_fma_f64 v[62:63], -v[62:63], v[70:71], v[68:69]
	s_delay_alu instid0(VALU_DEP_1) | instskip(NEXT) | instid1(VALU_DEP_1)
	v_div_fmas_f64 v[62:63], v[62:63], v[66:67], v[70:71]
	v_div_fixup_f64 v[68:69], v[62:63], v[60:61], 1.0
	s_delay_alu instid0(VALU_DEP_1)
	v_mul_f64 v[66:67], v[64:65], -v[68:69]
.LBB23_34:
	s_or_b32 exec_lo, exec_lo, s3
	ds_store_2addr_b64 v125, v[68:69], v[66:67] offset1:1
.LBB23_35:
	s_or_b32 exec_lo, exec_lo, s4
	s_waitcnt lgkmcnt(0)
	s_barrier
	buffer_gl0_inv
	ds_load_2addr_b64 v[60:63], v125 offset1:1
	s_mov_b32 s3, exec_lo
	v_cmpx_lt_u32_e32 3, v124
	s_cbranch_execz .LBB23_37
; %bb.36:
	s_waitcnt lgkmcnt(0)
	v_mul_f64 v[64:65], v[60:61], v[34:35]
	v_mul_f64 v[34:35], v[62:63], v[34:35]
	s_delay_alu instid0(VALU_DEP_2)
	v_fma_f64 v[122:123], v[62:63], v[32:33], v[64:65]
	ds_load_2addr_b64 v[64:67], v126 offset0:8 offset1:9
	ds_load_2addr_b64 v[68:71], v126 offset0:10 offset1:11
	;; [unrolled: 1-line block ×8, first 2 shown]
	v_fma_f64 v[32:33], v[60:61], v[32:33], -v[34:35]
	s_waitcnt lgkmcnt(7)
	v_mul_f64 v[34:35], v[66:67], v[122:123]
	v_mul_f64 v[127:128], v[64:65], v[122:123]
	s_waitcnt lgkmcnt(6)
	v_mul_f64 v[129:130], v[70:71], v[122:123]
	v_mul_f64 v[131:132], v[68:69], v[122:123]
	;; [unrolled: 3-line block ×8, first 2 shown]
	v_fma_f64 v[34:35], v[64:65], v[32:33], -v[34:35]
	v_fma_f64 v[64:65], v[66:67], v[32:33], v[127:128]
	v_fma_f64 v[66:67], v[68:69], v[32:33], -v[129:130]
	v_fma_f64 v[68:69], v[70:71], v[32:33], v[131:132]
	;; [unrolled: 2-line block ×8, first 2 shown]
	v_add_f64 v[28:29], v[28:29], -v[34:35]
	v_add_f64 v[30:31], v[30:31], -v[64:65]
	;; [unrolled: 1-line block ×16, first 2 shown]
	v_dual_mov_b32 v34, v122 :: v_dual_mov_b32 v35, v123
.LBB23_37:
	s_or_b32 exec_lo, exec_lo, s3
	s_delay_alu instid0(SALU_CYCLE_1)
	s_mov_b32 s4, exec_lo
	s_waitcnt lgkmcnt(0)
	s_barrier
	buffer_gl0_inv
	v_cmpx_eq_u32_e32 4, v124
	s_cbranch_execz .LBB23_44
; %bb.38:
	ds_store_2addr_b64 v125, v[28:29], v[30:31] offset1:1
	ds_store_2addr_b64 v126, v[24:25], v[26:27] offset0:10 offset1:11
	ds_store_2addr_b64 v126, v[20:21], v[22:23] offset0:12 offset1:13
	;; [unrolled: 1-line block ×7, first 2 shown]
	ds_load_2addr_b64 v[64:67], v125 offset1:1
	s_waitcnt lgkmcnt(0)
	v_cmp_neq_f64_e32 vcc_lo, 0, v[64:65]
	v_cmp_neq_f64_e64 s3, 0, v[66:67]
	s_delay_alu instid0(VALU_DEP_1) | instskip(NEXT) | instid1(SALU_CYCLE_1)
	s_or_b32 s3, vcc_lo, s3
	s_and_b32 exec_lo, exec_lo, s3
	s_cbranch_execz .LBB23_44
; %bb.39:
	v_cmp_gt_f64_e32 vcc_lo, 0, v[64:65]
	v_cmp_gt_f64_e64 s3, 0, v[66:67]
	v_xor_b32_e32 v68, 0x80000000, v65
	v_xor_b32_e32 v70, 0x80000000, v67
                                        ; implicit-def: $vgpr72_vgpr73
	s_delay_alu instid0(VALU_DEP_2) | instskip(NEXT) | instid1(VALU_DEP_2)
	v_cndmask_b32_e32 v69, v65, v68, vcc_lo
	v_cndmask_b32_e64 v71, v67, v70, s3
	v_cndmask_b32_e32 v68, v64, v64, vcc_lo
	v_cndmask_b32_e64 v70, v66, v66, s3
	s_mov_b32 s3, exec_lo
	s_delay_alu instid0(VALU_DEP_1)
	v_cmpx_ngt_f64_e32 v[68:69], v[70:71]
	s_xor_b32 s3, exec_lo, s3
                                        ; implicit-def: $vgpr68_vgpr69_vgpr70_vgpr71
	s_cbranch_execz .LBB23_41
; %bb.40:
	v_div_scale_f64 v[68:69], null, v[66:67], v[66:67], v[64:65]
	v_div_scale_f64 v[74:75], vcc_lo, v[64:65], v[66:67], v[64:65]
	s_delay_alu instid0(VALU_DEP_2) | instskip(SKIP_2) | instid1(VALU_DEP_1)
	v_rcp_f64_e32 v[70:71], v[68:69]
	s_waitcnt_depctr 0xfff
	v_fma_f64 v[72:73], -v[68:69], v[70:71], 1.0
	v_fma_f64 v[70:71], v[70:71], v[72:73], v[70:71]
	s_delay_alu instid0(VALU_DEP_1) | instskip(NEXT) | instid1(VALU_DEP_1)
	v_fma_f64 v[72:73], -v[68:69], v[70:71], 1.0
	v_fma_f64 v[70:71], v[70:71], v[72:73], v[70:71]
	s_delay_alu instid0(VALU_DEP_1) | instskip(NEXT) | instid1(VALU_DEP_1)
	v_mul_f64 v[72:73], v[74:75], v[70:71]
	v_fma_f64 v[68:69], -v[68:69], v[72:73], v[74:75]
	s_delay_alu instid0(VALU_DEP_1) | instskip(NEXT) | instid1(VALU_DEP_1)
	v_div_fmas_f64 v[68:69], v[68:69], v[70:71], v[72:73]
	v_div_fixup_f64 v[68:69], v[68:69], v[66:67], v[64:65]
	s_delay_alu instid0(VALU_DEP_1) | instskip(NEXT) | instid1(VALU_DEP_1)
	v_fma_f64 v[64:65], v[64:65], v[68:69], v[66:67]
	v_div_scale_f64 v[66:67], null, v[64:65], v[64:65], 1.0
	s_delay_alu instid0(VALU_DEP_1) | instskip(SKIP_2) | instid1(VALU_DEP_1)
	v_rcp_f64_e32 v[70:71], v[66:67]
	s_waitcnt_depctr 0xfff
	v_fma_f64 v[72:73], -v[66:67], v[70:71], 1.0
	v_fma_f64 v[70:71], v[70:71], v[72:73], v[70:71]
	s_delay_alu instid0(VALU_DEP_1) | instskip(NEXT) | instid1(VALU_DEP_1)
	v_fma_f64 v[72:73], -v[66:67], v[70:71], 1.0
	v_fma_f64 v[70:71], v[70:71], v[72:73], v[70:71]
	v_div_scale_f64 v[72:73], vcc_lo, 1.0, v[64:65], 1.0
	s_delay_alu instid0(VALU_DEP_1) | instskip(NEXT) | instid1(VALU_DEP_1)
	v_mul_f64 v[74:75], v[72:73], v[70:71]
	v_fma_f64 v[66:67], -v[66:67], v[74:75], v[72:73]
	s_delay_alu instid0(VALU_DEP_1) | instskip(NEXT) | instid1(VALU_DEP_1)
	v_div_fmas_f64 v[66:67], v[66:67], v[70:71], v[74:75]
	v_div_fixup_f64 v[70:71], v[66:67], v[64:65], 1.0
                                        ; implicit-def: $vgpr64_vgpr65
	s_delay_alu instid0(VALU_DEP_1)
	v_mul_f64 v[72:73], v[68:69], v[70:71]
	v_xor_b32_e32 v71, 0x80000000, v71
.LBB23_41:
	s_and_not1_saveexec_b32 s3, s3
	s_cbranch_execz .LBB23_43
; %bb.42:
	v_div_scale_f64 v[68:69], null, v[64:65], v[64:65], v[66:67]
	v_div_scale_f64 v[74:75], vcc_lo, v[66:67], v[64:65], v[66:67]
	s_delay_alu instid0(VALU_DEP_2) | instskip(SKIP_2) | instid1(VALU_DEP_1)
	v_rcp_f64_e32 v[70:71], v[68:69]
	s_waitcnt_depctr 0xfff
	v_fma_f64 v[72:73], -v[68:69], v[70:71], 1.0
	v_fma_f64 v[70:71], v[70:71], v[72:73], v[70:71]
	s_delay_alu instid0(VALU_DEP_1) | instskip(NEXT) | instid1(VALU_DEP_1)
	v_fma_f64 v[72:73], -v[68:69], v[70:71], 1.0
	v_fma_f64 v[70:71], v[70:71], v[72:73], v[70:71]
	s_delay_alu instid0(VALU_DEP_1) | instskip(NEXT) | instid1(VALU_DEP_1)
	v_mul_f64 v[72:73], v[74:75], v[70:71]
	v_fma_f64 v[68:69], -v[68:69], v[72:73], v[74:75]
	s_delay_alu instid0(VALU_DEP_1) | instskip(NEXT) | instid1(VALU_DEP_1)
	v_div_fmas_f64 v[68:69], v[68:69], v[70:71], v[72:73]
	v_div_fixup_f64 v[68:69], v[68:69], v[64:65], v[66:67]
	s_delay_alu instid0(VALU_DEP_1) | instskip(NEXT) | instid1(VALU_DEP_1)
	v_fma_f64 v[64:65], v[66:67], v[68:69], v[64:65]
	v_div_scale_f64 v[66:67], null, v[64:65], v[64:65], 1.0
	s_delay_alu instid0(VALU_DEP_1) | instskip(SKIP_2) | instid1(VALU_DEP_1)
	v_rcp_f64_e32 v[70:71], v[66:67]
	s_waitcnt_depctr 0xfff
	v_fma_f64 v[72:73], -v[66:67], v[70:71], 1.0
	v_fma_f64 v[70:71], v[70:71], v[72:73], v[70:71]
	s_delay_alu instid0(VALU_DEP_1) | instskip(NEXT) | instid1(VALU_DEP_1)
	v_fma_f64 v[72:73], -v[66:67], v[70:71], 1.0
	v_fma_f64 v[70:71], v[70:71], v[72:73], v[70:71]
	v_div_scale_f64 v[72:73], vcc_lo, 1.0, v[64:65], 1.0
	s_delay_alu instid0(VALU_DEP_1) | instskip(NEXT) | instid1(VALU_DEP_1)
	v_mul_f64 v[74:75], v[72:73], v[70:71]
	v_fma_f64 v[66:67], -v[66:67], v[74:75], v[72:73]
	s_delay_alu instid0(VALU_DEP_1) | instskip(NEXT) | instid1(VALU_DEP_1)
	v_div_fmas_f64 v[66:67], v[66:67], v[70:71], v[74:75]
	v_div_fixup_f64 v[72:73], v[66:67], v[64:65], 1.0
	s_delay_alu instid0(VALU_DEP_1)
	v_mul_f64 v[70:71], v[68:69], -v[72:73]
.LBB23_43:
	s_or_b32 exec_lo, exec_lo, s3
	ds_store_2addr_b64 v125, v[72:73], v[70:71] offset1:1
.LBB23_44:
	s_or_b32 exec_lo, exec_lo, s4
	s_waitcnt lgkmcnt(0)
	s_barrier
	buffer_gl0_inv
	ds_load_2addr_b64 v[64:67], v125 offset1:1
	s_mov_b32 s3, exec_lo
	v_cmpx_lt_u32_e32 4, v124
	s_cbranch_execz .LBB23_46
; %bb.45:
	s_waitcnt lgkmcnt(0)
	v_mul_f64 v[68:69], v[64:65], v[30:31]
	v_mul_f64 v[30:31], v[66:67], v[30:31]
	s_delay_alu instid0(VALU_DEP_2)
	v_fma_f64 v[122:123], v[66:67], v[28:29], v[68:69]
	ds_load_2addr_b64 v[68:71], v126 offset0:10 offset1:11
	ds_load_2addr_b64 v[72:75], v126 offset0:12 offset1:13
	;; [unrolled: 1-line block ×7, first 2 shown]
	v_fma_f64 v[28:29], v[64:65], v[28:29], -v[30:31]
	s_waitcnt lgkmcnt(6)
	v_mul_f64 v[30:31], v[70:71], v[122:123]
	v_mul_f64 v[127:128], v[68:69], v[122:123]
	s_waitcnt lgkmcnt(5)
	v_mul_f64 v[129:130], v[74:75], v[122:123]
	v_mul_f64 v[131:132], v[72:73], v[122:123]
	s_waitcnt lgkmcnt(4)
	v_mul_f64 v[133:134], v[78:79], v[122:123]
	v_mul_f64 v[135:136], v[76:77], v[122:123]
	s_waitcnt lgkmcnt(3)
	v_mul_f64 v[137:138], v[82:83], v[122:123]
	v_mul_f64 v[139:140], v[80:81], v[122:123]
	s_waitcnt lgkmcnt(2)
	v_mul_f64 v[141:142], v[86:87], v[122:123]
	v_mul_f64 v[143:144], v[84:85], v[122:123]
	s_waitcnt lgkmcnt(1)
	v_mul_f64 v[145:146], v[90:91], v[122:123]
	v_mul_f64 v[147:148], v[88:89], v[122:123]
	s_waitcnt lgkmcnt(0)
	v_mul_f64 v[149:150], v[94:95], v[122:123]
	v_mul_f64 v[151:152], v[92:93], v[122:123]
	v_fma_f64 v[30:31], v[68:69], v[28:29], -v[30:31]
	v_fma_f64 v[68:69], v[70:71], v[28:29], v[127:128]
	v_fma_f64 v[70:71], v[72:73], v[28:29], -v[129:130]
	v_fma_f64 v[72:73], v[74:75], v[28:29], v[131:132]
	;; [unrolled: 2-line block ×7, first 2 shown]
	v_add_f64 v[24:25], v[24:25], -v[30:31]
	v_add_f64 v[26:27], v[26:27], -v[68:69]
	v_add_f64 v[20:21], v[20:21], -v[70:71]
	v_add_f64 v[22:23], v[22:23], -v[72:73]
	v_add_f64 v[16:17], v[16:17], -v[74:75]
	v_add_f64 v[18:19], v[18:19], -v[76:77]
	v_add_f64 v[12:13], v[12:13], -v[78:79]
	v_add_f64 v[14:15], v[14:15], -v[80:81]
	v_add_f64 v[8:9], v[8:9], -v[82:83]
	v_add_f64 v[10:11], v[10:11], -v[84:85]
	v_add_f64 v[4:5], v[4:5], -v[86:87]
	v_add_f64 v[6:7], v[6:7], -v[88:89]
	v_add_f64 v[0:1], v[0:1], -v[90:91]
	v_add_f64 v[2:3], v[2:3], -v[92:93]
	v_dual_mov_b32 v30, v122 :: v_dual_mov_b32 v31, v123
.LBB23_46:
	s_or_b32 exec_lo, exec_lo, s3
	s_delay_alu instid0(SALU_CYCLE_1)
	s_mov_b32 s4, exec_lo
	s_waitcnt lgkmcnt(0)
	s_barrier
	buffer_gl0_inv
	v_cmpx_eq_u32_e32 5, v124
	s_cbranch_execz .LBB23_53
; %bb.47:
	ds_store_2addr_b64 v125, v[24:25], v[26:27] offset1:1
	ds_store_2addr_b64 v126, v[20:21], v[22:23] offset0:12 offset1:13
	ds_store_2addr_b64 v126, v[16:17], v[18:19] offset0:14 offset1:15
	;; [unrolled: 1-line block ×6, first 2 shown]
	ds_load_2addr_b64 v[68:71], v125 offset1:1
	s_waitcnt lgkmcnt(0)
	v_cmp_neq_f64_e32 vcc_lo, 0, v[68:69]
	v_cmp_neq_f64_e64 s3, 0, v[70:71]
	s_delay_alu instid0(VALU_DEP_1) | instskip(NEXT) | instid1(SALU_CYCLE_1)
	s_or_b32 s3, vcc_lo, s3
	s_and_b32 exec_lo, exec_lo, s3
	s_cbranch_execz .LBB23_53
; %bb.48:
	v_cmp_gt_f64_e32 vcc_lo, 0, v[68:69]
	v_cmp_gt_f64_e64 s3, 0, v[70:71]
	v_xor_b32_e32 v72, 0x80000000, v69
	v_xor_b32_e32 v74, 0x80000000, v71
                                        ; implicit-def: $vgpr76_vgpr77
	s_delay_alu instid0(VALU_DEP_2) | instskip(NEXT) | instid1(VALU_DEP_2)
	v_cndmask_b32_e32 v73, v69, v72, vcc_lo
	v_cndmask_b32_e64 v75, v71, v74, s3
	v_cndmask_b32_e32 v72, v68, v68, vcc_lo
	v_cndmask_b32_e64 v74, v70, v70, s3
	s_mov_b32 s3, exec_lo
	s_delay_alu instid0(VALU_DEP_1)
	v_cmpx_ngt_f64_e32 v[72:73], v[74:75]
	s_xor_b32 s3, exec_lo, s3
                                        ; implicit-def: $vgpr72_vgpr73_vgpr74_vgpr75
	s_cbranch_execz .LBB23_50
; %bb.49:
	v_div_scale_f64 v[72:73], null, v[70:71], v[70:71], v[68:69]
	v_div_scale_f64 v[78:79], vcc_lo, v[68:69], v[70:71], v[68:69]
	s_delay_alu instid0(VALU_DEP_2) | instskip(SKIP_2) | instid1(VALU_DEP_1)
	v_rcp_f64_e32 v[74:75], v[72:73]
	s_waitcnt_depctr 0xfff
	v_fma_f64 v[76:77], -v[72:73], v[74:75], 1.0
	v_fma_f64 v[74:75], v[74:75], v[76:77], v[74:75]
	s_delay_alu instid0(VALU_DEP_1) | instskip(NEXT) | instid1(VALU_DEP_1)
	v_fma_f64 v[76:77], -v[72:73], v[74:75], 1.0
	v_fma_f64 v[74:75], v[74:75], v[76:77], v[74:75]
	s_delay_alu instid0(VALU_DEP_1) | instskip(NEXT) | instid1(VALU_DEP_1)
	v_mul_f64 v[76:77], v[78:79], v[74:75]
	v_fma_f64 v[72:73], -v[72:73], v[76:77], v[78:79]
	s_delay_alu instid0(VALU_DEP_1) | instskip(NEXT) | instid1(VALU_DEP_1)
	v_div_fmas_f64 v[72:73], v[72:73], v[74:75], v[76:77]
	v_div_fixup_f64 v[72:73], v[72:73], v[70:71], v[68:69]
	s_delay_alu instid0(VALU_DEP_1) | instskip(NEXT) | instid1(VALU_DEP_1)
	v_fma_f64 v[68:69], v[68:69], v[72:73], v[70:71]
	v_div_scale_f64 v[70:71], null, v[68:69], v[68:69], 1.0
	s_delay_alu instid0(VALU_DEP_1) | instskip(SKIP_2) | instid1(VALU_DEP_1)
	v_rcp_f64_e32 v[74:75], v[70:71]
	s_waitcnt_depctr 0xfff
	v_fma_f64 v[76:77], -v[70:71], v[74:75], 1.0
	v_fma_f64 v[74:75], v[74:75], v[76:77], v[74:75]
	s_delay_alu instid0(VALU_DEP_1) | instskip(NEXT) | instid1(VALU_DEP_1)
	v_fma_f64 v[76:77], -v[70:71], v[74:75], 1.0
	v_fma_f64 v[74:75], v[74:75], v[76:77], v[74:75]
	v_div_scale_f64 v[76:77], vcc_lo, 1.0, v[68:69], 1.0
	s_delay_alu instid0(VALU_DEP_1) | instskip(NEXT) | instid1(VALU_DEP_1)
	v_mul_f64 v[78:79], v[76:77], v[74:75]
	v_fma_f64 v[70:71], -v[70:71], v[78:79], v[76:77]
	s_delay_alu instid0(VALU_DEP_1) | instskip(NEXT) | instid1(VALU_DEP_1)
	v_div_fmas_f64 v[70:71], v[70:71], v[74:75], v[78:79]
	v_div_fixup_f64 v[74:75], v[70:71], v[68:69], 1.0
                                        ; implicit-def: $vgpr68_vgpr69
	s_delay_alu instid0(VALU_DEP_1)
	v_mul_f64 v[76:77], v[72:73], v[74:75]
	v_xor_b32_e32 v75, 0x80000000, v75
.LBB23_50:
	s_and_not1_saveexec_b32 s3, s3
	s_cbranch_execz .LBB23_52
; %bb.51:
	v_div_scale_f64 v[72:73], null, v[68:69], v[68:69], v[70:71]
	v_div_scale_f64 v[78:79], vcc_lo, v[70:71], v[68:69], v[70:71]
	s_delay_alu instid0(VALU_DEP_2) | instskip(SKIP_2) | instid1(VALU_DEP_1)
	v_rcp_f64_e32 v[74:75], v[72:73]
	s_waitcnt_depctr 0xfff
	v_fma_f64 v[76:77], -v[72:73], v[74:75], 1.0
	v_fma_f64 v[74:75], v[74:75], v[76:77], v[74:75]
	s_delay_alu instid0(VALU_DEP_1) | instskip(NEXT) | instid1(VALU_DEP_1)
	v_fma_f64 v[76:77], -v[72:73], v[74:75], 1.0
	v_fma_f64 v[74:75], v[74:75], v[76:77], v[74:75]
	s_delay_alu instid0(VALU_DEP_1) | instskip(NEXT) | instid1(VALU_DEP_1)
	v_mul_f64 v[76:77], v[78:79], v[74:75]
	v_fma_f64 v[72:73], -v[72:73], v[76:77], v[78:79]
	s_delay_alu instid0(VALU_DEP_1) | instskip(NEXT) | instid1(VALU_DEP_1)
	v_div_fmas_f64 v[72:73], v[72:73], v[74:75], v[76:77]
	v_div_fixup_f64 v[72:73], v[72:73], v[68:69], v[70:71]
	s_delay_alu instid0(VALU_DEP_1) | instskip(NEXT) | instid1(VALU_DEP_1)
	v_fma_f64 v[68:69], v[70:71], v[72:73], v[68:69]
	v_div_scale_f64 v[70:71], null, v[68:69], v[68:69], 1.0
	s_delay_alu instid0(VALU_DEP_1) | instskip(SKIP_2) | instid1(VALU_DEP_1)
	v_rcp_f64_e32 v[74:75], v[70:71]
	s_waitcnt_depctr 0xfff
	v_fma_f64 v[76:77], -v[70:71], v[74:75], 1.0
	v_fma_f64 v[74:75], v[74:75], v[76:77], v[74:75]
	s_delay_alu instid0(VALU_DEP_1) | instskip(NEXT) | instid1(VALU_DEP_1)
	v_fma_f64 v[76:77], -v[70:71], v[74:75], 1.0
	v_fma_f64 v[74:75], v[74:75], v[76:77], v[74:75]
	v_div_scale_f64 v[76:77], vcc_lo, 1.0, v[68:69], 1.0
	s_delay_alu instid0(VALU_DEP_1) | instskip(NEXT) | instid1(VALU_DEP_1)
	v_mul_f64 v[78:79], v[76:77], v[74:75]
	v_fma_f64 v[70:71], -v[70:71], v[78:79], v[76:77]
	s_delay_alu instid0(VALU_DEP_1) | instskip(NEXT) | instid1(VALU_DEP_1)
	v_div_fmas_f64 v[70:71], v[70:71], v[74:75], v[78:79]
	v_div_fixup_f64 v[76:77], v[70:71], v[68:69], 1.0
	s_delay_alu instid0(VALU_DEP_1)
	v_mul_f64 v[74:75], v[72:73], -v[76:77]
.LBB23_52:
	s_or_b32 exec_lo, exec_lo, s3
	ds_store_2addr_b64 v125, v[76:77], v[74:75] offset1:1
.LBB23_53:
	s_or_b32 exec_lo, exec_lo, s4
	s_waitcnt lgkmcnt(0)
	s_barrier
	buffer_gl0_inv
	ds_load_2addr_b64 v[68:71], v125 offset1:1
	s_mov_b32 s3, exec_lo
	v_cmpx_lt_u32_e32 5, v124
	s_cbranch_execz .LBB23_55
; %bb.54:
	s_waitcnt lgkmcnt(0)
	v_mul_f64 v[72:73], v[68:69], v[26:27]
	v_mul_f64 v[26:27], v[70:71], v[26:27]
	s_delay_alu instid0(VALU_DEP_2)
	v_fma_f64 v[122:123], v[70:71], v[24:25], v[72:73]
	ds_load_2addr_b64 v[72:75], v126 offset0:12 offset1:13
	ds_load_2addr_b64 v[76:79], v126 offset0:14 offset1:15
	ds_load_2addr_b64 v[80:83], v126 offset0:16 offset1:17
	ds_load_2addr_b64 v[84:87], v126 offset0:18 offset1:19
	ds_load_2addr_b64 v[88:91], v126 offset0:20 offset1:21
	ds_load_2addr_b64 v[92:95], v126 offset0:22 offset1:23
	v_fma_f64 v[24:25], v[68:69], v[24:25], -v[26:27]
	s_waitcnt lgkmcnt(5)
	v_mul_f64 v[26:27], v[74:75], v[122:123]
	v_mul_f64 v[127:128], v[72:73], v[122:123]
	s_waitcnt lgkmcnt(4)
	v_mul_f64 v[129:130], v[78:79], v[122:123]
	v_mul_f64 v[131:132], v[76:77], v[122:123]
	;; [unrolled: 3-line block ×6, first 2 shown]
	v_fma_f64 v[26:27], v[72:73], v[24:25], -v[26:27]
	v_fma_f64 v[72:73], v[74:75], v[24:25], v[127:128]
	v_fma_f64 v[74:75], v[76:77], v[24:25], -v[129:130]
	v_fma_f64 v[76:77], v[78:79], v[24:25], v[131:132]
	;; [unrolled: 2-line block ×6, first 2 shown]
	v_add_f64 v[20:21], v[20:21], -v[26:27]
	v_add_f64 v[22:23], v[22:23], -v[72:73]
	;; [unrolled: 1-line block ×12, first 2 shown]
	v_dual_mov_b32 v26, v122 :: v_dual_mov_b32 v27, v123
.LBB23_55:
	s_or_b32 exec_lo, exec_lo, s3
	s_delay_alu instid0(SALU_CYCLE_1)
	s_mov_b32 s4, exec_lo
	s_waitcnt lgkmcnt(0)
	s_barrier
	buffer_gl0_inv
	v_cmpx_eq_u32_e32 6, v124
	s_cbranch_execz .LBB23_62
; %bb.56:
	ds_store_2addr_b64 v125, v[20:21], v[22:23] offset1:1
	ds_store_2addr_b64 v126, v[16:17], v[18:19] offset0:14 offset1:15
	ds_store_2addr_b64 v126, v[12:13], v[14:15] offset0:16 offset1:17
	ds_store_2addr_b64 v126, v[8:9], v[10:11] offset0:18 offset1:19
	ds_store_2addr_b64 v126, v[4:5], v[6:7] offset0:20 offset1:21
	ds_store_2addr_b64 v126, v[0:1], v[2:3] offset0:22 offset1:23
	ds_load_2addr_b64 v[72:75], v125 offset1:1
	s_waitcnt lgkmcnt(0)
	v_cmp_neq_f64_e32 vcc_lo, 0, v[72:73]
	v_cmp_neq_f64_e64 s3, 0, v[74:75]
	s_delay_alu instid0(VALU_DEP_1) | instskip(NEXT) | instid1(SALU_CYCLE_1)
	s_or_b32 s3, vcc_lo, s3
	s_and_b32 exec_lo, exec_lo, s3
	s_cbranch_execz .LBB23_62
; %bb.57:
	v_cmp_gt_f64_e32 vcc_lo, 0, v[72:73]
	v_cmp_gt_f64_e64 s3, 0, v[74:75]
	v_xor_b32_e32 v76, 0x80000000, v73
	v_xor_b32_e32 v78, 0x80000000, v75
                                        ; implicit-def: $vgpr80_vgpr81
	s_delay_alu instid0(VALU_DEP_2) | instskip(NEXT) | instid1(VALU_DEP_2)
	v_cndmask_b32_e32 v77, v73, v76, vcc_lo
	v_cndmask_b32_e64 v79, v75, v78, s3
	v_cndmask_b32_e32 v76, v72, v72, vcc_lo
	v_cndmask_b32_e64 v78, v74, v74, s3
	s_mov_b32 s3, exec_lo
	s_delay_alu instid0(VALU_DEP_1)
	v_cmpx_ngt_f64_e32 v[76:77], v[78:79]
	s_xor_b32 s3, exec_lo, s3
                                        ; implicit-def: $vgpr76_vgpr77_vgpr78_vgpr79
	s_cbranch_execz .LBB23_59
; %bb.58:
	v_div_scale_f64 v[76:77], null, v[74:75], v[74:75], v[72:73]
	v_div_scale_f64 v[82:83], vcc_lo, v[72:73], v[74:75], v[72:73]
	s_delay_alu instid0(VALU_DEP_2) | instskip(SKIP_2) | instid1(VALU_DEP_1)
	v_rcp_f64_e32 v[78:79], v[76:77]
	s_waitcnt_depctr 0xfff
	v_fma_f64 v[80:81], -v[76:77], v[78:79], 1.0
	v_fma_f64 v[78:79], v[78:79], v[80:81], v[78:79]
	s_delay_alu instid0(VALU_DEP_1) | instskip(NEXT) | instid1(VALU_DEP_1)
	v_fma_f64 v[80:81], -v[76:77], v[78:79], 1.0
	v_fma_f64 v[78:79], v[78:79], v[80:81], v[78:79]
	s_delay_alu instid0(VALU_DEP_1) | instskip(NEXT) | instid1(VALU_DEP_1)
	v_mul_f64 v[80:81], v[82:83], v[78:79]
	v_fma_f64 v[76:77], -v[76:77], v[80:81], v[82:83]
	s_delay_alu instid0(VALU_DEP_1) | instskip(NEXT) | instid1(VALU_DEP_1)
	v_div_fmas_f64 v[76:77], v[76:77], v[78:79], v[80:81]
	v_div_fixup_f64 v[76:77], v[76:77], v[74:75], v[72:73]
	s_delay_alu instid0(VALU_DEP_1) | instskip(NEXT) | instid1(VALU_DEP_1)
	v_fma_f64 v[72:73], v[72:73], v[76:77], v[74:75]
	v_div_scale_f64 v[74:75], null, v[72:73], v[72:73], 1.0
	s_delay_alu instid0(VALU_DEP_1) | instskip(SKIP_2) | instid1(VALU_DEP_1)
	v_rcp_f64_e32 v[78:79], v[74:75]
	s_waitcnt_depctr 0xfff
	v_fma_f64 v[80:81], -v[74:75], v[78:79], 1.0
	v_fma_f64 v[78:79], v[78:79], v[80:81], v[78:79]
	s_delay_alu instid0(VALU_DEP_1) | instskip(NEXT) | instid1(VALU_DEP_1)
	v_fma_f64 v[80:81], -v[74:75], v[78:79], 1.0
	v_fma_f64 v[78:79], v[78:79], v[80:81], v[78:79]
	v_div_scale_f64 v[80:81], vcc_lo, 1.0, v[72:73], 1.0
	s_delay_alu instid0(VALU_DEP_1) | instskip(NEXT) | instid1(VALU_DEP_1)
	v_mul_f64 v[82:83], v[80:81], v[78:79]
	v_fma_f64 v[74:75], -v[74:75], v[82:83], v[80:81]
	s_delay_alu instid0(VALU_DEP_1) | instskip(NEXT) | instid1(VALU_DEP_1)
	v_div_fmas_f64 v[74:75], v[74:75], v[78:79], v[82:83]
	v_div_fixup_f64 v[78:79], v[74:75], v[72:73], 1.0
                                        ; implicit-def: $vgpr72_vgpr73
	s_delay_alu instid0(VALU_DEP_1)
	v_mul_f64 v[80:81], v[76:77], v[78:79]
	v_xor_b32_e32 v79, 0x80000000, v79
.LBB23_59:
	s_and_not1_saveexec_b32 s3, s3
	s_cbranch_execz .LBB23_61
; %bb.60:
	v_div_scale_f64 v[76:77], null, v[72:73], v[72:73], v[74:75]
	v_div_scale_f64 v[82:83], vcc_lo, v[74:75], v[72:73], v[74:75]
	s_delay_alu instid0(VALU_DEP_2) | instskip(SKIP_2) | instid1(VALU_DEP_1)
	v_rcp_f64_e32 v[78:79], v[76:77]
	s_waitcnt_depctr 0xfff
	v_fma_f64 v[80:81], -v[76:77], v[78:79], 1.0
	v_fma_f64 v[78:79], v[78:79], v[80:81], v[78:79]
	s_delay_alu instid0(VALU_DEP_1) | instskip(NEXT) | instid1(VALU_DEP_1)
	v_fma_f64 v[80:81], -v[76:77], v[78:79], 1.0
	v_fma_f64 v[78:79], v[78:79], v[80:81], v[78:79]
	s_delay_alu instid0(VALU_DEP_1) | instskip(NEXT) | instid1(VALU_DEP_1)
	v_mul_f64 v[80:81], v[82:83], v[78:79]
	v_fma_f64 v[76:77], -v[76:77], v[80:81], v[82:83]
	s_delay_alu instid0(VALU_DEP_1) | instskip(NEXT) | instid1(VALU_DEP_1)
	v_div_fmas_f64 v[76:77], v[76:77], v[78:79], v[80:81]
	v_div_fixup_f64 v[76:77], v[76:77], v[72:73], v[74:75]
	s_delay_alu instid0(VALU_DEP_1) | instskip(NEXT) | instid1(VALU_DEP_1)
	v_fma_f64 v[72:73], v[74:75], v[76:77], v[72:73]
	v_div_scale_f64 v[74:75], null, v[72:73], v[72:73], 1.0
	s_delay_alu instid0(VALU_DEP_1) | instskip(SKIP_2) | instid1(VALU_DEP_1)
	v_rcp_f64_e32 v[78:79], v[74:75]
	s_waitcnt_depctr 0xfff
	v_fma_f64 v[80:81], -v[74:75], v[78:79], 1.0
	v_fma_f64 v[78:79], v[78:79], v[80:81], v[78:79]
	s_delay_alu instid0(VALU_DEP_1) | instskip(NEXT) | instid1(VALU_DEP_1)
	v_fma_f64 v[80:81], -v[74:75], v[78:79], 1.0
	v_fma_f64 v[78:79], v[78:79], v[80:81], v[78:79]
	v_div_scale_f64 v[80:81], vcc_lo, 1.0, v[72:73], 1.0
	s_delay_alu instid0(VALU_DEP_1) | instskip(NEXT) | instid1(VALU_DEP_1)
	v_mul_f64 v[82:83], v[80:81], v[78:79]
	v_fma_f64 v[74:75], -v[74:75], v[82:83], v[80:81]
	s_delay_alu instid0(VALU_DEP_1) | instskip(NEXT) | instid1(VALU_DEP_1)
	v_div_fmas_f64 v[74:75], v[74:75], v[78:79], v[82:83]
	v_div_fixup_f64 v[80:81], v[74:75], v[72:73], 1.0
	s_delay_alu instid0(VALU_DEP_1)
	v_mul_f64 v[78:79], v[76:77], -v[80:81]
.LBB23_61:
	s_or_b32 exec_lo, exec_lo, s3
	ds_store_2addr_b64 v125, v[80:81], v[78:79] offset1:1
.LBB23_62:
	s_or_b32 exec_lo, exec_lo, s4
	s_waitcnt lgkmcnt(0)
	s_barrier
	buffer_gl0_inv
	ds_load_2addr_b64 v[72:75], v125 offset1:1
	s_mov_b32 s3, exec_lo
	v_cmpx_lt_u32_e32 6, v124
	s_cbranch_execz .LBB23_64
; %bb.63:
	s_waitcnt lgkmcnt(0)
	v_mul_f64 v[76:77], v[72:73], v[22:23]
	v_mul_f64 v[22:23], v[74:75], v[22:23]
	s_delay_alu instid0(VALU_DEP_2)
	v_fma_f64 v[122:123], v[74:75], v[20:21], v[76:77]
	ds_load_2addr_b64 v[76:79], v126 offset0:14 offset1:15
	ds_load_2addr_b64 v[80:83], v126 offset0:16 offset1:17
	;; [unrolled: 1-line block ×5, first 2 shown]
	v_fma_f64 v[20:21], v[72:73], v[20:21], -v[22:23]
	s_waitcnt lgkmcnt(4)
	v_mul_f64 v[22:23], v[78:79], v[122:123]
	v_mul_f64 v[127:128], v[76:77], v[122:123]
	s_waitcnt lgkmcnt(3)
	v_mul_f64 v[129:130], v[82:83], v[122:123]
	v_mul_f64 v[131:132], v[80:81], v[122:123]
	;; [unrolled: 3-line block ×5, first 2 shown]
	v_fma_f64 v[22:23], v[76:77], v[20:21], -v[22:23]
	v_fma_f64 v[76:77], v[78:79], v[20:21], v[127:128]
	v_fma_f64 v[78:79], v[80:81], v[20:21], -v[129:130]
	v_fma_f64 v[80:81], v[82:83], v[20:21], v[131:132]
	v_fma_f64 v[82:83], v[84:85], v[20:21], -v[133:134]
	v_fma_f64 v[84:85], v[86:87], v[20:21], v[135:136]
	v_fma_f64 v[86:87], v[88:89], v[20:21], -v[137:138]
	v_fma_f64 v[88:89], v[90:91], v[20:21], v[139:140]
	v_fma_f64 v[90:91], v[92:93], v[20:21], -v[141:142]
	v_fma_f64 v[92:93], v[94:95], v[20:21], v[143:144]
	v_add_f64 v[16:17], v[16:17], -v[22:23]
	v_add_f64 v[18:19], v[18:19], -v[76:77]
	;; [unrolled: 1-line block ×10, first 2 shown]
	v_dual_mov_b32 v22, v122 :: v_dual_mov_b32 v23, v123
.LBB23_64:
	s_or_b32 exec_lo, exec_lo, s3
	s_delay_alu instid0(SALU_CYCLE_1)
	s_mov_b32 s4, exec_lo
	s_waitcnt lgkmcnt(0)
	s_barrier
	buffer_gl0_inv
	v_cmpx_eq_u32_e32 7, v124
	s_cbranch_execz .LBB23_71
; %bb.65:
	ds_store_2addr_b64 v125, v[16:17], v[18:19] offset1:1
	ds_store_2addr_b64 v126, v[12:13], v[14:15] offset0:16 offset1:17
	ds_store_2addr_b64 v126, v[8:9], v[10:11] offset0:18 offset1:19
	;; [unrolled: 1-line block ×4, first 2 shown]
	ds_load_2addr_b64 v[76:79], v125 offset1:1
	s_waitcnt lgkmcnt(0)
	v_cmp_neq_f64_e32 vcc_lo, 0, v[76:77]
	v_cmp_neq_f64_e64 s3, 0, v[78:79]
	s_delay_alu instid0(VALU_DEP_1) | instskip(NEXT) | instid1(SALU_CYCLE_1)
	s_or_b32 s3, vcc_lo, s3
	s_and_b32 exec_lo, exec_lo, s3
	s_cbranch_execz .LBB23_71
; %bb.66:
	v_cmp_gt_f64_e32 vcc_lo, 0, v[76:77]
	v_cmp_gt_f64_e64 s3, 0, v[78:79]
	v_xor_b32_e32 v80, 0x80000000, v77
	v_xor_b32_e32 v82, 0x80000000, v79
                                        ; implicit-def: $vgpr84_vgpr85
	s_delay_alu instid0(VALU_DEP_2) | instskip(NEXT) | instid1(VALU_DEP_2)
	v_cndmask_b32_e32 v81, v77, v80, vcc_lo
	v_cndmask_b32_e64 v83, v79, v82, s3
	v_cndmask_b32_e32 v80, v76, v76, vcc_lo
	v_cndmask_b32_e64 v82, v78, v78, s3
	s_mov_b32 s3, exec_lo
	s_delay_alu instid0(VALU_DEP_1)
	v_cmpx_ngt_f64_e32 v[80:81], v[82:83]
	s_xor_b32 s3, exec_lo, s3
                                        ; implicit-def: $vgpr80_vgpr81_vgpr82_vgpr83
	s_cbranch_execz .LBB23_68
; %bb.67:
	v_div_scale_f64 v[80:81], null, v[78:79], v[78:79], v[76:77]
	v_div_scale_f64 v[86:87], vcc_lo, v[76:77], v[78:79], v[76:77]
	s_delay_alu instid0(VALU_DEP_2) | instskip(SKIP_2) | instid1(VALU_DEP_1)
	v_rcp_f64_e32 v[82:83], v[80:81]
	s_waitcnt_depctr 0xfff
	v_fma_f64 v[84:85], -v[80:81], v[82:83], 1.0
	v_fma_f64 v[82:83], v[82:83], v[84:85], v[82:83]
	s_delay_alu instid0(VALU_DEP_1) | instskip(NEXT) | instid1(VALU_DEP_1)
	v_fma_f64 v[84:85], -v[80:81], v[82:83], 1.0
	v_fma_f64 v[82:83], v[82:83], v[84:85], v[82:83]
	s_delay_alu instid0(VALU_DEP_1) | instskip(NEXT) | instid1(VALU_DEP_1)
	v_mul_f64 v[84:85], v[86:87], v[82:83]
	v_fma_f64 v[80:81], -v[80:81], v[84:85], v[86:87]
	s_delay_alu instid0(VALU_DEP_1) | instskip(NEXT) | instid1(VALU_DEP_1)
	v_div_fmas_f64 v[80:81], v[80:81], v[82:83], v[84:85]
	v_div_fixup_f64 v[80:81], v[80:81], v[78:79], v[76:77]
	s_delay_alu instid0(VALU_DEP_1) | instskip(NEXT) | instid1(VALU_DEP_1)
	v_fma_f64 v[76:77], v[76:77], v[80:81], v[78:79]
	v_div_scale_f64 v[78:79], null, v[76:77], v[76:77], 1.0
	s_delay_alu instid0(VALU_DEP_1) | instskip(SKIP_2) | instid1(VALU_DEP_1)
	v_rcp_f64_e32 v[82:83], v[78:79]
	s_waitcnt_depctr 0xfff
	v_fma_f64 v[84:85], -v[78:79], v[82:83], 1.0
	v_fma_f64 v[82:83], v[82:83], v[84:85], v[82:83]
	s_delay_alu instid0(VALU_DEP_1) | instskip(NEXT) | instid1(VALU_DEP_1)
	v_fma_f64 v[84:85], -v[78:79], v[82:83], 1.0
	v_fma_f64 v[82:83], v[82:83], v[84:85], v[82:83]
	v_div_scale_f64 v[84:85], vcc_lo, 1.0, v[76:77], 1.0
	s_delay_alu instid0(VALU_DEP_1) | instskip(NEXT) | instid1(VALU_DEP_1)
	v_mul_f64 v[86:87], v[84:85], v[82:83]
	v_fma_f64 v[78:79], -v[78:79], v[86:87], v[84:85]
	s_delay_alu instid0(VALU_DEP_1) | instskip(NEXT) | instid1(VALU_DEP_1)
	v_div_fmas_f64 v[78:79], v[78:79], v[82:83], v[86:87]
	v_div_fixup_f64 v[82:83], v[78:79], v[76:77], 1.0
                                        ; implicit-def: $vgpr76_vgpr77
	s_delay_alu instid0(VALU_DEP_1)
	v_mul_f64 v[84:85], v[80:81], v[82:83]
	v_xor_b32_e32 v83, 0x80000000, v83
.LBB23_68:
	s_and_not1_saveexec_b32 s3, s3
	s_cbranch_execz .LBB23_70
; %bb.69:
	v_div_scale_f64 v[80:81], null, v[76:77], v[76:77], v[78:79]
	v_div_scale_f64 v[86:87], vcc_lo, v[78:79], v[76:77], v[78:79]
	s_delay_alu instid0(VALU_DEP_2) | instskip(SKIP_2) | instid1(VALU_DEP_1)
	v_rcp_f64_e32 v[82:83], v[80:81]
	s_waitcnt_depctr 0xfff
	v_fma_f64 v[84:85], -v[80:81], v[82:83], 1.0
	v_fma_f64 v[82:83], v[82:83], v[84:85], v[82:83]
	s_delay_alu instid0(VALU_DEP_1) | instskip(NEXT) | instid1(VALU_DEP_1)
	v_fma_f64 v[84:85], -v[80:81], v[82:83], 1.0
	v_fma_f64 v[82:83], v[82:83], v[84:85], v[82:83]
	s_delay_alu instid0(VALU_DEP_1) | instskip(NEXT) | instid1(VALU_DEP_1)
	v_mul_f64 v[84:85], v[86:87], v[82:83]
	v_fma_f64 v[80:81], -v[80:81], v[84:85], v[86:87]
	s_delay_alu instid0(VALU_DEP_1) | instskip(NEXT) | instid1(VALU_DEP_1)
	v_div_fmas_f64 v[80:81], v[80:81], v[82:83], v[84:85]
	v_div_fixup_f64 v[80:81], v[80:81], v[76:77], v[78:79]
	s_delay_alu instid0(VALU_DEP_1) | instskip(NEXT) | instid1(VALU_DEP_1)
	v_fma_f64 v[76:77], v[78:79], v[80:81], v[76:77]
	v_div_scale_f64 v[78:79], null, v[76:77], v[76:77], 1.0
	s_delay_alu instid0(VALU_DEP_1) | instskip(SKIP_2) | instid1(VALU_DEP_1)
	v_rcp_f64_e32 v[82:83], v[78:79]
	s_waitcnt_depctr 0xfff
	v_fma_f64 v[84:85], -v[78:79], v[82:83], 1.0
	v_fma_f64 v[82:83], v[82:83], v[84:85], v[82:83]
	s_delay_alu instid0(VALU_DEP_1) | instskip(NEXT) | instid1(VALU_DEP_1)
	v_fma_f64 v[84:85], -v[78:79], v[82:83], 1.0
	v_fma_f64 v[82:83], v[82:83], v[84:85], v[82:83]
	v_div_scale_f64 v[84:85], vcc_lo, 1.0, v[76:77], 1.0
	s_delay_alu instid0(VALU_DEP_1) | instskip(NEXT) | instid1(VALU_DEP_1)
	v_mul_f64 v[86:87], v[84:85], v[82:83]
	v_fma_f64 v[78:79], -v[78:79], v[86:87], v[84:85]
	s_delay_alu instid0(VALU_DEP_1) | instskip(NEXT) | instid1(VALU_DEP_1)
	v_div_fmas_f64 v[78:79], v[78:79], v[82:83], v[86:87]
	v_div_fixup_f64 v[84:85], v[78:79], v[76:77], 1.0
	s_delay_alu instid0(VALU_DEP_1)
	v_mul_f64 v[82:83], v[80:81], -v[84:85]
.LBB23_70:
	s_or_b32 exec_lo, exec_lo, s3
	ds_store_2addr_b64 v125, v[84:85], v[82:83] offset1:1
.LBB23_71:
	s_or_b32 exec_lo, exec_lo, s4
	s_waitcnt lgkmcnt(0)
	s_barrier
	buffer_gl0_inv
	ds_load_2addr_b64 v[76:79], v125 offset1:1
	s_mov_b32 s3, exec_lo
	v_cmpx_lt_u32_e32 7, v124
	s_cbranch_execz .LBB23_73
; %bb.72:
	s_waitcnt lgkmcnt(0)
	v_mul_f64 v[80:81], v[76:77], v[18:19]
	v_mul_f64 v[18:19], v[78:79], v[18:19]
	s_delay_alu instid0(VALU_DEP_2)
	v_fma_f64 v[122:123], v[78:79], v[16:17], v[80:81]
	ds_load_2addr_b64 v[80:83], v126 offset0:16 offset1:17
	ds_load_2addr_b64 v[84:87], v126 offset0:18 offset1:19
	;; [unrolled: 1-line block ×4, first 2 shown]
	v_fma_f64 v[16:17], v[76:77], v[16:17], -v[18:19]
	s_waitcnt lgkmcnt(3)
	v_mul_f64 v[18:19], v[82:83], v[122:123]
	v_mul_f64 v[127:128], v[80:81], v[122:123]
	s_waitcnt lgkmcnt(2)
	v_mul_f64 v[129:130], v[86:87], v[122:123]
	v_mul_f64 v[131:132], v[84:85], v[122:123]
	;; [unrolled: 3-line block ×4, first 2 shown]
	v_fma_f64 v[18:19], v[80:81], v[16:17], -v[18:19]
	v_fma_f64 v[80:81], v[82:83], v[16:17], v[127:128]
	v_fma_f64 v[82:83], v[84:85], v[16:17], -v[129:130]
	v_fma_f64 v[84:85], v[86:87], v[16:17], v[131:132]
	;; [unrolled: 2-line block ×4, first 2 shown]
	v_add_f64 v[12:13], v[12:13], -v[18:19]
	v_add_f64 v[14:15], v[14:15], -v[80:81]
	;; [unrolled: 1-line block ×8, first 2 shown]
	v_dual_mov_b32 v18, v122 :: v_dual_mov_b32 v19, v123
.LBB23_73:
	s_or_b32 exec_lo, exec_lo, s3
	s_delay_alu instid0(SALU_CYCLE_1)
	s_mov_b32 s4, exec_lo
	s_waitcnt lgkmcnt(0)
	s_barrier
	buffer_gl0_inv
	v_cmpx_eq_u32_e32 8, v124
	s_cbranch_execz .LBB23_80
; %bb.74:
	ds_store_2addr_b64 v125, v[12:13], v[14:15] offset1:1
	ds_store_2addr_b64 v126, v[8:9], v[10:11] offset0:18 offset1:19
	ds_store_2addr_b64 v126, v[4:5], v[6:7] offset0:20 offset1:21
	;; [unrolled: 1-line block ×3, first 2 shown]
	ds_load_2addr_b64 v[80:83], v125 offset1:1
	s_waitcnt lgkmcnt(0)
	v_cmp_neq_f64_e32 vcc_lo, 0, v[80:81]
	v_cmp_neq_f64_e64 s3, 0, v[82:83]
	s_delay_alu instid0(VALU_DEP_1) | instskip(NEXT) | instid1(SALU_CYCLE_1)
	s_or_b32 s3, vcc_lo, s3
	s_and_b32 exec_lo, exec_lo, s3
	s_cbranch_execz .LBB23_80
; %bb.75:
	v_cmp_gt_f64_e32 vcc_lo, 0, v[80:81]
	v_cmp_gt_f64_e64 s3, 0, v[82:83]
	v_xor_b32_e32 v84, 0x80000000, v81
	v_xor_b32_e32 v86, 0x80000000, v83
                                        ; implicit-def: $vgpr88_vgpr89
	s_delay_alu instid0(VALU_DEP_2) | instskip(NEXT) | instid1(VALU_DEP_2)
	v_cndmask_b32_e32 v85, v81, v84, vcc_lo
	v_cndmask_b32_e64 v87, v83, v86, s3
	v_cndmask_b32_e32 v84, v80, v80, vcc_lo
	v_cndmask_b32_e64 v86, v82, v82, s3
	s_mov_b32 s3, exec_lo
	s_delay_alu instid0(VALU_DEP_1)
	v_cmpx_ngt_f64_e32 v[84:85], v[86:87]
	s_xor_b32 s3, exec_lo, s3
                                        ; implicit-def: $vgpr84_vgpr85_vgpr86_vgpr87
	s_cbranch_execz .LBB23_77
; %bb.76:
	v_div_scale_f64 v[84:85], null, v[82:83], v[82:83], v[80:81]
	v_div_scale_f64 v[90:91], vcc_lo, v[80:81], v[82:83], v[80:81]
	s_delay_alu instid0(VALU_DEP_2) | instskip(SKIP_2) | instid1(VALU_DEP_1)
	v_rcp_f64_e32 v[86:87], v[84:85]
	s_waitcnt_depctr 0xfff
	v_fma_f64 v[88:89], -v[84:85], v[86:87], 1.0
	v_fma_f64 v[86:87], v[86:87], v[88:89], v[86:87]
	s_delay_alu instid0(VALU_DEP_1) | instskip(NEXT) | instid1(VALU_DEP_1)
	v_fma_f64 v[88:89], -v[84:85], v[86:87], 1.0
	v_fma_f64 v[86:87], v[86:87], v[88:89], v[86:87]
	s_delay_alu instid0(VALU_DEP_1) | instskip(NEXT) | instid1(VALU_DEP_1)
	v_mul_f64 v[88:89], v[90:91], v[86:87]
	v_fma_f64 v[84:85], -v[84:85], v[88:89], v[90:91]
	s_delay_alu instid0(VALU_DEP_1) | instskip(NEXT) | instid1(VALU_DEP_1)
	v_div_fmas_f64 v[84:85], v[84:85], v[86:87], v[88:89]
	v_div_fixup_f64 v[84:85], v[84:85], v[82:83], v[80:81]
	s_delay_alu instid0(VALU_DEP_1) | instskip(NEXT) | instid1(VALU_DEP_1)
	v_fma_f64 v[80:81], v[80:81], v[84:85], v[82:83]
	v_div_scale_f64 v[82:83], null, v[80:81], v[80:81], 1.0
	s_delay_alu instid0(VALU_DEP_1) | instskip(SKIP_2) | instid1(VALU_DEP_1)
	v_rcp_f64_e32 v[86:87], v[82:83]
	s_waitcnt_depctr 0xfff
	v_fma_f64 v[88:89], -v[82:83], v[86:87], 1.0
	v_fma_f64 v[86:87], v[86:87], v[88:89], v[86:87]
	s_delay_alu instid0(VALU_DEP_1) | instskip(NEXT) | instid1(VALU_DEP_1)
	v_fma_f64 v[88:89], -v[82:83], v[86:87], 1.0
	v_fma_f64 v[86:87], v[86:87], v[88:89], v[86:87]
	v_div_scale_f64 v[88:89], vcc_lo, 1.0, v[80:81], 1.0
	s_delay_alu instid0(VALU_DEP_1) | instskip(NEXT) | instid1(VALU_DEP_1)
	v_mul_f64 v[90:91], v[88:89], v[86:87]
	v_fma_f64 v[82:83], -v[82:83], v[90:91], v[88:89]
	s_delay_alu instid0(VALU_DEP_1) | instskip(NEXT) | instid1(VALU_DEP_1)
	v_div_fmas_f64 v[82:83], v[82:83], v[86:87], v[90:91]
	v_div_fixup_f64 v[86:87], v[82:83], v[80:81], 1.0
                                        ; implicit-def: $vgpr80_vgpr81
	s_delay_alu instid0(VALU_DEP_1)
	v_mul_f64 v[88:89], v[84:85], v[86:87]
	v_xor_b32_e32 v87, 0x80000000, v87
.LBB23_77:
	s_and_not1_saveexec_b32 s3, s3
	s_cbranch_execz .LBB23_79
; %bb.78:
	v_div_scale_f64 v[84:85], null, v[80:81], v[80:81], v[82:83]
	v_div_scale_f64 v[90:91], vcc_lo, v[82:83], v[80:81], v[82:83]
	s_delay_alu instid0(VALU_DEP_2) | instskip(SKIP_2) | instid1(VALU_DEP_1)
	v_rcp_f64_e32 v[86:87], v[84:85]
	s_waitcnt_depctr 0xfff
	v_fma_f64 v[88:89], -v[84:85], v[86:87], 1.0
	v_fma_f64 v[86:87], v[86:87], v[88:89], v[86:87]
	s_delay_alu instid0(VALU_DEP_1) | instskip(NEXT) | instid1(VALU_DEP_1)
	v_fma_f64 v[88:89], -v[84:85], v[86:87], 1.0
	v_fma_f64 v[86:87], v[86:87], v[88:89], v[86:87]
	s_delay_alu instid0(VALU_DEP_1) | instskip(NEXT) | instid1(VALU_DEP_1)
	v_mul_f64 v[88:89], v[90:91], v[86:87]
	v_fma_f64 v[84:85], -v[84:85], v[88:89], v[90:91]
	s_delay_alu instid0(VALU_DEP_1) | instskip(NEXT) | instid1(VALU_DEP_1)
	v_div_fmas_f64 v[84:85], v[84:85], v[86:87], v[88:89]
	v_div_fixup_f64 v[84:85], v[84:85], v[80:81], v[82:83]
	s_delay_alu instid0(VALU_DEP_1) | instskip(NEXT) | instid1(VALU_DEP_1)
	v_fma_f64 v[80:81], v[82:83], v[84:85], v[80:81]
	v_div_scale_f64 v[82:83], null, v[80:81], v[80:81], 1.0
	s_delay_alu instid0(VALU_DEP_1) | instskip(SKIP_2) | instid1(VALU_DEP_1)
	v_rcp_f64_e32 v[86:87], v[82:83]
	s_waitcnt_depctr 0xfff
	v_fma_f64 v[88:89], -v[82:83], v[86:87], 1.0
	v_fma_f64 v[86:87], v[86:87], v[88:89], v[86:87]
	s_delay_alu instid0(VALU_DEP_1) | instskip(NEXT) | instid1(VALU_DEP_1)
	v_fma_f64 v[88:89], -v[82:83], v[86:87], 1.0
	v_fma_f64 v[86:87], v[86:87], v[88:89], v[86:87]
	v_div_scale_f64 v[88:89], vcc_lo, 1.0, v[80:81], 1.0
	s_delay_alu instid0(VALU_DEP_1) | instskip(NEXT) | instid1(VALU_DEP_1)
	v_mul_f64 v[90:91], v[88:89], v[86:87]
	v_fma_f64 v[82:83], -v[82:83], v[90:91], v[88:89]
	s_delay_alu instid0(VALU_DEP_1) | instskip(NEXT) | instid1(VALU_DEP_1)
	v_div_fmas_f64 v[82:83], v[82:83], v[86:87], v[90:91]
	v_div_fixup_f64 v[88:89], v[82:83], v[80:81], 1.0
	s_delay_alu instid0(VALU_DEP_1)
	v_mul_f64 v[86:87], v[84:85], -v[88:89]
.LBB23_79:
	s_or_b32 exec_lo, exec_lo, s3
	ds_store_2addr_b64 v125, v[88:89], v[86:87] offset1:1
.LBB23_80:
	s_or_b32 exec_lo, exec_lo, s4
	s_waitcnt lgkmcnt(0)
	s_barrier
	buffer_gl0_inv
	ds_load_2addr_b64 v[80:83], v125 offset1:1
	s_mov_b32 s3, exec_lo
	v_cmpx_lt_u32_e32 8, v124
	s_cbranch_execz .LBB23_82
; %bb.81:
	s_waitcnt lgkmcnt(0)
	v_mul_f64 v[84:85], v[80:81], v[14:15]
	v_mul_f64 v[14:15], v[82:83], v[14:15]
	s_delay_alu instid0(VALU_DEP_2)
	v_fma_f64 v[122:123], v[82:83], v[12:13], v[84:85]
	ds_load_2addr_b64 v[84:87], v126 offset0:18 offset1:19
	ds_load_2addr_b64 v[88:91], v126 offset0:20 offset1:21
	;; [unrolled: 1-line block ×3, first 2 shown]
	v_fma_f64 v[12:13], v[80:81], v[12:13], -v[14:15]
	s_waitcnt lgkmcnt(2)
	v_mul_f64 v[14:15], v[86:87], v[122:123]
	v_mul_f64 v[127:128], v[84:85], v[122:123]
	s_waitcnt lgkmcnt(1)
	v_mul_f64 v[129:130], v[90:91], v[122:123]
	v_mul_f64 v[131:132], v[88:89], v[122:123]
	s_waitcnt lgkmcnt(0)
	v_mul_f64 v[133:134], v[94:95], v[122:123]
	v_mul_f64 v[135:136], v[92:93], v[122:123]
	v_fma_f64 v[14:15], v[84:85], v[12:13], -v[14:15]
	v_fma_f64 v[84:85], v[86:87], v[12:13], v[127:128]
	v_fma_f64 v[86:87], v[88:89], v[12:13], -v[129:130]
	v_fma_f64 v[88:89], v[90:91], v[12:13], v[131:132]
	;; [unrolled: 2-line block ×3, first 2 shown]
	v_add_f64 v[8:9], v[8:9], -v[14:15]
	v_add_f64 v[10:11], v[10:11], -v[84:85]
	;; [unrolled: 1-line block ×6, first 2 shown]
	v_dual_mov_b32 v14, v122 :: v_dual_mov_b32 v15, v123
.LBB23_82:
	s_or_b32 exec_lo, exec_lo, s3
	s_delay_alu instid0(SALU_CYCLE_1)
	s_mov_b32 s4, exec_lo
	s_waitcnt lgkmcnt(0)
	s_barrier
	buffer_gl0_inv
	v_cmpx_eq_u32_e32 9, v124
	s_cbranch_execz .LBB23_89
; %bb.83:
	ds_store_2addr_b64 v125, v[8:9], v[10:11] offset1:1
	ds_store_2addr_b64 v126, v[4:5], v[6:7] offset0:20 offset1:21
	ds_store_2addr_b64 v126, v[0:1], v[2:3] offset0:22 offset1:23
	ds_load_2addr_b64 v[84:87], v125 offset1:1
	s_waitcnt lgkmcnt(0)
	v_cmp_neq_f64_e32 vcc_lo, 0, v[84:85]
	v_cmp_neq_f64_e64 s3, 0, v[86:87]
	s_delay_alu instid0(VALU_DEP_1) | instskip(NEXT) | instid1(SALU_CYCLE_1)
	s_or_b32 s3, vcc_lo, s3
	s_and_b32 exec_lo, exec_lo, s3
	s_cbranch_execz .LBB23_89
; %bb.84:
	v_cmp_gt_f64_e32 vcc_lo, 0, v[84:85]
	v_cmp_gt_f64_e64 s3, 0, v[86:87]
	v_xor_b32_e32 v88, 0x80000000, v85
	v_xor_b32_e32 v90, 0x80000000, v87
                                        ; implicit-def: $vgpr92_vgpr93
	s_delay_alu instid0(VALU_DEP_2) | instskip(NEXT) | instid1(VALU_DEP_2)
	v_cndmask_b32_e32 v89, v85, v88, vcc_lo
	v_cndmask_b32_e64 v91, v87, v90, s3
	v_cndmask_b32_e32 v88, v84, v84, vcc_lo
	v_cndmask_b32_e64 v90, v86, v86, s3
	s_mov_b32 s3, exec_lo
	s_delay_alu instid0(VALU_DEP_1)
	v_cmpx_ngt_f64_e32 v[88:89], v[90:91]
	s_xor_b32 s3, exec_lo, s3
                                        ; implicit-def: $vgpr88_vgpr89_vgpr90_vgpr91
	s_cbranch_execz .LBB23_86
; %bb.85:
	v_div_scale_f64 v[88:89], null, v[86:87], v[86:87], v[84:85]
	v_div_scale_f64 v[94:95], vcc_lo, v[84:85], v[86:87], v[84:85]
	s_delay_alu instid0(VALU_DEP_2) | instskip(SKIP_2) | instid1(VALU_DEP_1)
	v_rcp_f64_e32 v[90:91], v[88:89]
	s_waitcnt_depctr 0xfff
	v_fma_f64 v[92:93], -v[88:89], v[90:91], 1.0
	v_fma_f64 v[90:91], v[90:91], v[92:93], v[90:91]
	s_delay_alu instid0(VALU_DEP_1) | instskip(NEXT) | instid1(VALU_DEP_1)
	v_fma_f64 v[92:93], -v[88:89], v[90:91], 1.0
	v_fma_f64 v[90:91], v[90:91], v[92:93], v[90:91]
	s_delay_alu instid0(VALU_DEP_1) | instskip(NEXT) | instid1(VALU_DEP_1)
	v_mul_f64 v[92:93], v[94:95], v[90:91]
	v_fma_f64 v[88:89], -v[88:89], v[92:93], v[94:95]
	s_delay_alu instid0(VALU_DEP_1) | instskip(NEXT) | instid1(VALU_DEP_1)
	v_div_fmas_f64 v[88:89], v[88:89], v[90:91], v[92:93]
	v_div_fixup_f64 v[88:89], v[88:89], v[86:87], v[84:85]
	s_delay_alu instid0(VALU_DEP_1) | instskip(NEXT) | instid1(VALU_DEP_1)
	v_fma_f64 v[84:85], v[84:85], v[88:89], v[86:87]
	v_div_scale_f64 v[86:87], null, v[84:85], v[84:85], 1.0
	s_delay_alu instid0(VALU_DEP_1) | instskip(SKIP_2) | instid1(VALU_DEP_1)
	v_rcp_f64_e32 v[90:91], v[86:87]
	s_waitcnt_depctr 0xfff
	v_fma_f64 v[92:93], -v[86:87], v[90:91], 1.0
	v_fma_f64 v[90:91], v[90:91], v[92:93], v[90:91]
	s_delay_alu instid0(VALU_DEP_1) | instskip(NEXT) | instid1(VALU_DEP_1)
	v_fma_f64 v[92:93], -v[86:87], v[90:91], 1.0
	v_fma_f64 v[90:91], v[90:91], v[92:93], v[90:91]
	v_div_scale_f64 v[92:93], vcc_lo, 1.0, v[84:85], 1.0
	s_delay_alu instid0(VALU_DEP_1) | instskip(NEXT) | instid1(VALU_DEP_1)
	v_mul_f64 v[94:95], v[92:93], v[90:91]
	v_fma_f64 v[86:87], -v[86:87], v[94:95], v[92:93]
	s_delay_alu instid0(VALU_DEP_1) | instskip(NEXT) | instid1(VALU_DEP_1)
	v_div_fmas_f64 v[86:87], v[86:87], v[90:91], v[94:95]
	v_div_fixup_f64 v[90:91], v[86:87], v[84:85], 1.0
                                        ; implicit-def: $vgpr84_vgpr85
	s_delay_alu instid0(VALU_DEP_1)
	v_mul_f64 v[92:93], v[88:89], v[90:91]
	v_xor_b32_e32 v91, 0x80000000, v91
.LBB23_86:
	s_and_not1_saveexec_b32 s3, s3
	s_cbranch_execz .LBB23_88
; %bb.87:
	v_div_scale_f64 v[88:89], null, v[84:85], v[84:85], v[86:87]
	v_div_scale_f64 v[94:95], vcc_lo, v[86:87], v[84:85], v[86:87]
	s_delay_alu instid0(VALU_DEP_2) | instskip(SKIP_2) | instid1(VALU_DEP_1)
	v_rcp_f64_e32 v[90:91], v[88:89]
	s_waitcnt_depctr 0xfff
	v_fma_f64 v[92:93], -v[88:89], v[90:91], 1.0
	v_fma_f64 v[90:91], v[90:91], v[92:93], v[90:91]
	s_delay_alu instid0(VALU_DEP_1) | instskip(NEXT) | instid1(VALU_DEP_1)
	v_fma_f64 v[92:93], -v[88:89], v[90:91], 1.0
	v_fma_f64 v[90:91], v[90:91], v[92:93], v[90:91]
	s_delay_alu instid0(VALU_DEP_1) | instskip(NEXT) | instid1(VALU_DEP_1)
	v_mul_f64 v[92:93], v[94:95], v[90:91]
	v_fma_f64 v[88:89], -v[88:89], v[92:93], v[94:95]
	s_delay_alu instid0(VALU_DEP_1) | instskip(NEXT) | instid1(VALU_DEP_1)
	v_div_fmas_f64 v[88:89], v[88:89], v[90:91], v[92:93]
	v_div_fixup_f64 v[88:89], v[88:89], v[84:85], v[86:87]
	s_delay_alu instid0(VALU_DEP_1) | instskip(NEXT) | instid1(VALU_DEP_1)
	v_fma_f64 v[84:85], v[86:87], v[88:89], v[84:85]
	v_div_scale_f64 v[86:87], null, v[84:85], v[84:85], 1.0
	s_delay_alu instid0(VALU_DEP_1) | instskip(SKIP_2) | instid1(VALU_DEP_1)
	v_rcp_f64_e32 v[90:91], v[86:87]
	s_waitcnt_depctr 0xfff
	v_fma_f64 v[92:93], -v[86:87], v[90:91], 1.0
	v_fma_f64 v[90:91], v[90:91], v[92:93], v[90:91]
	s_delay_alu instid0(VALU_DEP_1) | instskip(NEXT) | instid1(VALU_DEP_1)
	v_fma_f64 v[92:93], -v[86:87], v[90:91], 1.0
	v_fma_f64 v[90:91], v[90:91], v[92:93], v[90:91]
	v_div_scale_f64 v[92:93], vcc_lo, 1.0, v[84:85], 1.0
	s_delay_alu instid0(VALU_DEP_1) | instskip(NEXT) | instid1(VALU_DEP_1)
	v_mul_f64 v[94:95], v[92:93], v[90:91]
	v_fma_f64 v[86:87], -v[86:87], v[94:95], v[92:93]
	s_delay_alu instid0(VALU_DEP_1) | instskip(NEXT) | instid1(VALU_DEP_1)
	v_div_fmas_f64 v[86:87], v[86:87], v[90:91], v[94:95]
	v_div_fixup_f64 v[92:93], v[86:87], v[84:85], 1.0
	s_delay_alu instid0(VALU_DEP_1)
	v_mul_f64 v[90:91], v[88:89], -v[92:93]
.LBB23_88:
	s_or_b32 exec_lo, exec_lo, s3
	ds_store_2addr_b64 v125, v[92:93], v[90:91] offset1:1
.LBB23_89:
	s_or_b32 exec_lo, exec_lo, s4
	s_waitcnt lgkmcnt(0)
	s_barrier
	buffer_gl0_inv
	ds_load_2addr_b64 v[84:87], v125 offset1:1
	s_mov_b32 s3, exec_lo
	v_cmpx_lt_u32_e32 9, v124
	s_cbranch_execz .LBB23_91
; %bb.90:
	s_waitcnt lgkmcnt(0)
	v_mul_f64 v[88:89], v[84:85], v[10:11]
	v_mul_f64 v[10:11], v[86:87], v[10:11]
	s_delay_alu instid0(VALU_DEP_2)
	v_fma_f64 v[122:123], v[86:87], v[8:9], v[88:89]
	ds_load_2addr_b64 v[88:91], v126 offset0:20 offset1:21
	ds_load_2addr_b64 v[92:95], v126 offset0:22 offset1:23
	v_fma_f64 v[8:9], v[84:85], v[8:9], -v[10:11]
	s_waitcnt lgkmcnt(1)
	v_mul_f64 v[10:11], v[90:91], v[122:123]
	v_mul_f64 v[127:128], v[88:89], v[122:123]
	s_waitcnt lgkmcnt(0)
	v_mul_f64 v[129:130], v[94:95], v[122:123]
	v_mul_f64 v[131:132], v[92:93], v[122:123]
	s_delay_alu instid0(VALU_DEP_4) | instskip(NEXT) | instid1(VALU_DEP_4)
	v_fma_f64 v[10:11], v[88:89], v[8:9], -v[10:11]
	v_fma_f64 v[88:89], v[90:91], v[8:9], v[127:128]
	s_delay_alu instid0(VALU_DEP_4) | instskip(NEXT) | instid1(VALU_DEP_4)
	v_fma_f64 v[90:91], v[92:93], v[8:9], -v[129:130]
	v_fma_f64 v[92:93], v[94:95], v[8:9], v[131:132]
	s_delay_alu instid0(VALU_DEP_4) | instskip(NEXT) | instid1(VALU_DEP_4)
	v_add_f64 v[4:5], v[4:5], -v[10:11]
	v_add_f64 v[6:7], v[6:7], -v[88:89]
	s_delay_alu instid0(VALU_DEP_4) | instskip(NEXT) | instid1(VALU_DEP_4)
	v_add_f64 v[0:1], v[0:1], -v[90:91]
	v_add_f64 v[2:3], v[2:3], -v[92:93]
	v_dual_mov_b32 v10, v122 :: v_dual_mov_b32 v11, v123
.LBB23_91:
	s_or_b32 exec_lo, exec_lo, s3
	s_delay_alu instid0(SALU_CYCLE_1)
	s_mov_b32 s4, exec_lo
	s_waitcnt lgkmcnt(0)
	s_barrier
	buffer_gl0_inv
	v_cmpx_eq_u32_e32 10, v124
	s_cbranch_execz .LBB23_98
; %bb.92:
	ds_store_2addr_b64 v125, v[4:5], v[6:7] offset1:1
	ds_store_2addr_b64 v126, v[0:1], v[2:3] offset0:22 offset1:23
	ds_load_2addr_b64 v[88:91], v125 offset1:1
	s_waitcnt lgkmcnt(0)
	v_cmp_neq_f64_e32 vcc_lo, 0, v[88:89]
	v_cmp_neq_f64_e64 s3, 0, v[90:91]
	s_delay_alu instid0(VALU_DEP_1) | instskip(NEXT) | instid1(SALU_CYCLE_1)
	s_or_b32 s3, vcc_lo, s3
	s_and_b32 exec_lo, exec_lo, s3
	s_cbranch_execz .LBB23_98
; %bb.93:
	v_cmp_gt_f64_e32 vcc_lo, 0, v[88:89]
	v_cmp_gt_f64_e64 s3, 0, v[90:91]
	v_xor_b32_e32 v92, 0x80000000, v89
	v_xor_b32_e32 v94, 0x80000000, v91
                                        ; implicit-def: $vgpr122_vgpr123
	s_delay_alu instid0(VALU_DEP_2) | instskip(NEXT) | instid1(VALU_DEP_2)
	v_cndmask_b32_e32 v93, v89, v92, vcc_lo
	v_cndmask_b32_e64 v95, v91, v94, s3
	v_cndmask_b32_e32 v92, v88, v88, vcc_lo
	v_cndmask_b32_e64 v94, v90, v90, s3
	s_mov_b32 s3, exec_lo
	s_delay_alu instid0(VALU_DEP_1)
	v_cmpx_ngt_f64_e32 v[92:93], v[94:95]
	s_xor_b32 s3, exec_lo, s3
                                        ; implicit-def: $vgpr92_vgpr93_vgpr94_vgpr95
	s_cbranch_execz .LBB23_95
; %bb.94:
	v_div_scale_f64 v[92:93], null, v[90:91], v[90:91], v[88:89]
	v_div_scale_f64 v[127:128], vcc_lo, v[88:89], v[90:91], v[88:89]
	s_delay_alu instid0(VALU_DEP_2) | instskip(SKIP_2) | instid1(VALU_DEP_1)
	v_rcp_f64_e32 v[94:95], v[92:93]
	s_waitcnt_depctr 0xfff
	v_fma_f64 v[122:123], -v[92:93], v[94:95], 1.0
	v_fma_f64 v[94:95], v[94:95], v[122:123], v[94:95]
	s_delay_alu instid0(VALU_DEP_1) | instskip(NEXT) | instid1(VALU_DEP_1)
	v_fma_f64 v[122:123], -v[92:93], v[94:95], 1.0
	v_fma_f64 v[94:95], v[94:95], v[122:123], v[94:95]
	s_delay_alu instid0(VALU_DEP_1) | instskip(NEXT) | instid1(VALU_DEP_1)
	v_mul_f64 v[122:123], v[127:128], v[94:95]
	v_fma_f64 v[92:93], -v[92:93], v[122:123], v[127:128]
	s_delay_alu instid0(VALU_DEP_1) | instskip(NEXT) | instid1(VALU_DEP_1)
	v_div_fmas_f64 v[92:93], v[92:93], v[94:95], v[122:123]
	v_div_fixup_f64 v[92:93], v[92:93], v[90:91], v[88:89]
	s_delay_alu instid0(VALU_DEP_1) | instskip(NEXT) | instid1(VALU_DEP_1)
	v_fma_f64 v[88:89], v[88:89], v[92:93], v[90:91]
	v_div_scale_f64 v[90:91], null, v[88:89], v[88:89], 1.0
	s_delay_alu instid0(VALU_DEP_1) | instskip(SKIP_2) | instid1(VALU_DEP_1)
	v_rcp_f64_e32 v[94:95], v[90:91]
	s_waitcnt_depctr 0xfff
	v_fma_f64 v[122:123], -v[90:91], v[94:95], 1.0
	v_fma_f64 v[94:95], v[94:95], v[122:123], v[94:95]
	s_delay_alu instid0(VALU_DEP_1) | instskip(NEXT) | instid1(VALU_DEP_1)
	v_fma_f64 v[122:123], -v[90:91], v[94:95], 1.0
	v_fma_f64 v[94:95], v[94:95], v[122:123], v[94:95]
	v_div_scale_f64 v[122:123], vcc_lo, 1.0, v[88:89], 1.0
	s_delay_alu instid0(VALU_DEP_1) | instskip(NEXT) | instid1(VALU_DEP_1)
	v_mul_f64 v[127:128], v[122:123], v[94:95]
	v_fma_f64 v[90:91], -v[90:91], v[127:128], v[122:123]
	s_delay_alu instid0(VALU_DEP_1) | instskip(NEXT) | instid1(VALU_DEP_1)
	v_div_fmas_f64 v[90:91], v[90:91], v[94:95], v[127:128]
	v_div_fixup_f64 v[94:95], v[90:91], v[88:89], 1.0
                                        ; implicit-def: $vgpr88_vgpr89
	s_delay_alu instid0(VALU_DEP_1)
	v_mul_f64 v[122:123], v[92:93], v[94:95]
	v_xor_b32_e32 v95, 0x80000000, v95
.LBB23_95:
	s_and_not1_saveexec_b32 s3, s3
	s_cbranch_execz .LBB23_97
; %bb.96:
	v_div_scale_f64 v[92:93], null, v[88:89], v[88:89], v[90:91]
	v_div_scale_f64 v[127:128], vcc_lo, v[90:91], v[88:89], v[90:91]
	s_delay_alu instid0(VALU_DEP_2) | instskip(SKIP_2) | instid1(VALU_DEP_1)
	v_rcp_f64_e32 v[94:95], v[92:93]
	s_waitcnt_depctr 0xfff
	v_fma_f64 v[122:123], -v[92:93], v[94:95], 1.0
	v_fma_f64 v[94:95], v[94:95], v[122:123], v[94:95]
	s_delay_alu instid0(VALU_DEP_1) | instskip(NEXT) | instid1(VALU_DEP_1)
	v_fma_f64 v[122:123], -v[92:93], v[94:95], 1.0
	v_fma_f64 v[94:95], v[94:95], v[122:123], v[94:95]
	s_delay_alu instid0(VALU_DEP_1) | instskip(NEXT) | instid1(VALU_DEP_1)
	v_mul_f64 v[122:123], v[127:128], v[94:95]
	v_fma_f64 v[92:93], -v[92:93], v[122:123], v[127:128]
	s_delay_alu instid0(VALU_DEP_1) | instskip(NEXT) | instid1(VALU_DEP_1)
	v_div_fmas_f64 v[92:93], v[92:93], v[94:95], v[122:123]
	v_div_fixup_f64 v[92:93], v[92:93], v[88:89], v[90:91]
	s_delay_alu instid0(VALU_DEP_1) | instskip(NEXT) | instid1(VALU_DEP_1)
	v_fma_f64 v[88:89], v[90:91], v[92:93], v[88:89]
	v_div_scale_f64 v[90:91], null, v[88:89], v[88:89], 1.0
	s_delay_alu instid0(VALU_DEP_1) | instskip(SKIP_2) | instid1(VALU_DEP_1)
	v_rcp_f64_e32 v[94:95], v[90:91]
	s_waitcnt_depctr 0xfff
	v_fma_f64 v[122:123], -v[90:91], v[94:95], 1.0
	v_fma_f64 v[94:95], v[94:95], v[122:123], v[94:95]
	s_delay_alu instid0(VALU_DEP_1) | instskip(NEXT) | instid1(VALU_DEP_1)
	v_fma_f64 v[122:123], -v[90:91], v[94:95], 1.0
	v_fma_f64 v[94:95], v[94:95], v[122:123], v[94:95]
	v_div_scale_f64 v[122:123], vcc_lo, 1.0, v[88:89], 1.0
	s_delay_alu instid0(VALU_DEP_1) | instskip(NEXT) | instid1(VALU_DEP_1)
	v_mul_f64 v[127:128], v[122:123], v[94:95]
	v_fma_f64 v[90:91], -v[90:91], v[127:128], v[122:123]
	s_delay_alu instid0(VALU_DEP_1) | instskip(NEXT) | instid1(VALU_DEP_1)
	v_div_fmas_f64 v[90:91], v[90:91], v[94:95], v[127:128]
	v_div_fixup_f64 v[122:123], v[90:91], v[88:89], 1.0
	s_delay_alu instid0(VALU_DEP_1)
	v_mul_f64 v[94:95], v[92:93], -v[122:123]
.LBB23_97:
	s_or_b32 exec_lo, exec_lo, s3
	ds_store_2addr_b64 v125, v[122:123], v[94:95] offset1:1
.LBB23_98:
	s_or_b32 exec_lo, exec_lo, s4
	s_waitcnt lgkmcnt(0)
	s_barrier
	buffer_gl0_inv
	ds_load_2addr_b64 v[88:91], v125 offset1:1
	s_mov_b32 s3, exec_lo
	v_cmpx_lt_u32_e32 10, v124
	s_cbranch_execz .LBB23_100
; %bb.99:
	s_waitcnt lgkmcnt(0)
	v_mul_f64 v[92:93], v[88:89], v[6:7]
	v_mul_f64 v[6:7], v[90:91], v[6:7]
	s_delay_alu instid0(VALU_DEP_2)
	v_fma_f64 v[122:123], v[90:91], v[4:5], v[92:93]
	ds_load_2addr_b64 v[92:95], v126 offset0:22 offset1:23
	v_fma_f64 v[4:5], v[88:89], v[4:5], -v[6:7]
	s_waitcnt lgkmcnt(0)
	v_mul_f64 v[6:7], v[94:95], v[122:123]
	v_mul_f64 v[126:127], v[92:93], v[122:123]
	s_delay_alu instid0(VALU_DEP_2) | instskip(NEXT) | instid1(VALU_DEP_2)
	v_fma_f64 v[6:7], v[92:93], v[4:5], -v[6:7]
	v_fma_f64 v[92:93], v[94:95], v[4:5], v[126:127]
	s_delay_alu instid0(VALU_DEP_2) | instskip(NEXT) | instid1(VALU_DEP_2)
	v_add_f64 v[0:1], v[0:1], -v[6:7]
	v_add_f64 v[2:3], v[2:3], -v[92:93]
	v_dual_mov_b32 v6, v122 :: v_dual_mov_b32 v7, v123
.LBB23_100:
	s_or_b32 exec_lo, exec_lo, s3
	s_delay_alu instid0(SALU_CYCLE_1)
	s_mov_b32 s4, exec_lo
	s_waitcnt lgkmcnt(0)
	s_barrier
	buffer_gl0_inv
	v_cmpx_eq_u32_e32 11, v124
	s_cbranch_execz .LBB23_107
; %bb.101:
	v_cmp_neq_f64_e32 vcc_lo, 0, v[0:1]
	v_cmp_neq_f64_e64 s3, 0, v[2:3]
	ds_store_2addr_b64 v125, v[0:1], v[2:3] offset1:1
	s_or_b32 s3, vcc_lo, s3
	s_delay_alu instid0(SALU_CYCLE_1)
	s_and_b32 exec_lo, exec_lo, s3
	s_cbranch_execz .LBB23_107
; %bb.102:
	v_cmp_gt_f64_e32 vcc_lo, 0, v[0:1]
	v_cmp_gt_f64_e64 s3, 0, v[2:3]
	v_xor_b32_e32 v92, 0x80000000, v1
	v_xor_b32_e32 v94, 0x80000000, v3
                                        ; implicit-def: $vgpr122_vgpr123
	s_delay_alu instid0(VALU_DEP_2) | instskip(NEXT) | instid1(VALU_DEP_2)
	v_cndmask_b32_e32 v93, v1, v92, vcc_lo
	v_cndmask_b32_e64 v95, v3, v94, s3
	v_cndmask_b32_e32 v92, v0, v0, vcc_lo
	v_cndmask_b32_e64 v94, v2, v2, s3
	s_mov_b32 s3, exec_lo
	s_delay_alu instid0(VALU_DEP_1)
	v_cmpx_ngt_f64_e32 v[92:93], v[94:95]
	s_xor_b32 s3, exec_lo, s3
                                        ; implicit-def: $vgpr92_vgpr93_vgpr94_vgpr95
	s_cbranch_execz .LBB23_104
; %bb.103:
	v_div_scale_f64 v[92:93], null, v[2:3], v[2:3], v[0:1]
	v_div_scale_f64 v[126:127], vcc_lo, v[0:1], v[2:3], v[0:1]
	s_delay_alu instid0(VALU_DEP_2) | instskip(SKIP_2) | instid1(VALU_DEP_1)
	v_rcp_f64_e32 v[94:95], v[92:93]
	s_waitcnt_depctr 0xfff
	v_fma_f64 v[122:123], -v[92:93], v[94:95], 1.0
	v_fma_f64 v[94:95], v[94:95], v[122:123], v[94:95]
	s_delay_alu instid0(VALU_DEP_1) | instskip(NEXT) | instid1(VALU_DEP_1)
	v_fma_f64 v[122:123], -v[92:93], v[94:95], 1.0
	v_fma_f64 v[94:95], v[94:95], v[122:123], v[94:95]
	s_delay_alu instid0(VALU_DEP_1) | instskip(NEXT) | instid1(VALU_DEP_1)
	v_mul_f64 v[122:123], v[126:127], v[94:95]
	v_fma_f64 v[92:93], -v[92:93], v[122:123], v[126:127]
	s_delay_alu instid0(VALU_DEP_1) | instskip(NEXT) | instid1(VALU_DEP_1)
	v_div_fmas_f64 v[92:93], v[92:93], v[94:95], v[122:123]
	v_div_fixup_f64 v[92:93], v[92:93], v[2:3], v[0:1]
	s_delay_alu instid0(VALU_DEP_1) | instskip(NEXT) | instid1(VALU_DEP_1)
	v_fma_f64 v[94:95], v[0:1], v[92:93], v[2:3]
	v_div_scale_f64 v[122:123], null, v[94:95], v[94:95], 1.0
	s_delay_alu instid0(VALU_DEP_1) | instskip(SKIP_2) | instid1(VALU_DEP_1)
	v_rcp_f64_e32 v[126:127], v[122:123]
	s_waitcnt_depctr 0xfff
	v_fma_f64 v[128:129], -v[122:123], v[126:127], 1.0
	v_fma_f64 v[126:127], v[126:127], v[128:129], v[126:127]
	s_delay_alu instid0(VALU_DEP_1) | instskip(NEXT) | instid1(VALU_DEP_1)
	v_fma_f64 v[128:129], -v[122:123], v[126:127], 1.0
	v_fma_f64 v[126:127], v[126:127], v[128:129], v[126:127]
	v_div_scale_f64 v[128:129], vcc_lo, 1.0, v[94:95], 1.0
	s_delay_alu instid0(VALU_DEP_1) | instskip(NEXT) | instid1(VALU_DEP_1)
	v_mul_f64 v[130:131], v[128:129], v[126:127]
	v_fma_f64 v[122:123], -v[122:123], v[130:131], v[128:129]
	s_delay_alu instid0(VALU_DEP_1) | instskip(NEXT) | instid1(VALU_DEP_1)
	v_div_fmas_f64 v[122:123], v[122:123], v[126:127], v[130:131]
	v_div_fixup_f64 v[94:95], v[122:123], v[94:95], 1.0
	s_delay_alu instid0(VALU_DEP_1)
	v_mul_f64 v[122:123], v[92:93], v[94:95]
	v_xor_b32_e32 v95, 0x80000000, v95
.LBB23_104:
	s_and_not1_saveexec_b32 s3, s3
	s_cbranch_execz .LBB23_106
; %bb.105:
	v_div_scale_f64 v[92:93], null, v[0:1], v[0:1], v[2:3]
	v_div_scale_f64 v[126:127], vcc_lo, v[2:3], v[0:1], v[2:3]
	s_delay_alu instid0(VALU_DEP_2) | instskip(SKIP_2) | instid1(VALU_DEP_1)
	v_rcp_f64_e32 v[94:95], v[92:93]
	s_waitcnt_depctr 0xfff
	v_fma_f64 v[122:123], -v[92:93], v[94:95], 1.0
	v_fma_f64 v[94:95], v[94:95], v[122:123], v[94:95]
	s_delay_alu instid0(VALU_DEP_1) | instskip(NEXT) | instid1(VALU_DEP_1)
	v_fma_f64 v[122:123], -v[92:93], v[94:95], 1.0
	v_fma_f64 v[94:95], v[94:95], v[122:123], v[94:95]
	s_delay_alu instid0(VALU_DEP_1) | instskip(NEXT) | instid1(VALU_DEP_1)
	v_mul_f64 v[122:123], v[126:127], v[94:95]
	v_fma_f64 v[92:93], -v[92:93], v[122:123], v[126:127]
	s_delay_alu instid0(VALU_DEP_1) | instskip(NEXT) | instid1(VALU_DEP_1)
	v_div_fmas_f64 v[92:93], v[92:93], v[94:95], v[122:123]
	v_div_fixup_f64 v[92:93], v[92:93], v[0:1], v[2:3]
	s_delay_alu instid0(VALU_DEP_1) | instskip(NEXT) | instid1(VALU_DEP_1)
	v_fma_f64 v[94:95], v[2:3], v[92:93], v[0:1]
	v_div_scale_f64 v[122:123], null, v[94:95], v[94:95], 1.0
	s_delay_alu instid0(VALU_DEP_1) | instskip(SKIP_2) | instid1(VALU_DEP_1)
	v_rcp_f64_e32 v[126:127], v[122:123]
	s_waitcnt_depctr 0xfff
	v_fma_f64 v[128:129], -v[122:123], v[126:127], 1.0
	v_fma_f64 v[126:127], v[126:127], v[128:129], v[126:127]
	s_delay_alu instid0(VALU_DEP_1) | instskip(NEXT) | instid1(VALU_DEP_1)
	v_fma_f64 v[128:129], -v[122:123], v[126:127], 1.0
	v_fma_f64 v[126:127], v[126:127], v[128:129], v[126:127]
	v_div_scale_f64 v[128:129], vcc_lo, 1.0, v[94:95], 1.0
	s_delay_alu instid0(VALU_DEP_1) | instskip(NEXT) | instid1(VALU_DEP_1)
	v_mul_f64 v[130:131], v[128:129], v[126:127]
	v_fma_f64 v[122:123], -v[122:123], v[130:131], v[128:129]
	s_delay_alu instid0(VALU_DEP_1) | instskip(NEXT) | instid1(VALU_DEP_1)
	v_div_fmas_f64 v[122:123], v[122:123], v[126:127], v[130:131]
	v_div_fixup_f64 v[122:123], v[122:123], v[94:95], 1.0
	s_delay_alu instid0(VALU_DEP_1)
	v_mul_f64 v[94:95], v[92:93], -v[122:123]
.LBB23_106:
	s_or_b32 exec_lo, exec_lo, s3
	ds_store_2addr_b64 v125, v[122:123], v[94:95] offset1:1
.LBB23_107:
	s_or_b32 exec_lo, exec_lo, s4
	s_waitcnt lgkmcnt(0)
	s_barrier
	buffer_gl0_inv
	ds_load_2addr_b64 v[92:95], v125 offset1:1
	s_mov_b32 s3, exec_lo
	v_cmpx_lt_u32_e32 11, v124
	s_cbranch_execz .LBB23_109
; %bb.108:
	s_waitcnt lgkmcnt(0)
	v_mul_f64 v[122:123], v[94:95], v[2:3]
	v_mul_f64 v[2:3], v[92:93], v[2:3]
	s_delay_alu instid0(VALU_DEP_2) | instskip(NEXT) | instid1(VALU_DEP_2)
	v_fma_f64 v[122:123], v[92:93], v[0:1], -v[122:123]
	v_fma_f64 v[2:3], v[94:95], v[0:1], v[2:3]
	s_delay_alu instid0(VALU_DEP_2)
	v_dual_mov_b32 v0, v122 :: v_dual_mov_b32 v1, v123
.LBB23_109:
	s_or_b32 exec_lo, exec_lo, s3
	s_waitcnt lgkmcnt(0)
	s_barrier
	buffer_gl0_inv
	s_and_saveexec_b32 s10, s2
	s_cbranch_execz .LBB23_112
; %bb.110:
	s_load_b64 s[0:1], s[0:1], 0x28
	v_lshlrev_b64 v[96:97], 2, v[96:97]
	v_cmp_neq_f64_e64 s2, 0, v[54:55]
	v_cmp_eq_f64_e64 s3, 0, v[56:57]
	v_cmp_eq_f64_e64 s4, 0, v[58:59]
	;; [unrolled: 1-line block ×6, first 2 shown]
	s_waitcnt lgkmcnt(0)
	v_add_co_u32 v96, vcc_lo, s0, v96
	v_add_co_ci_u32_e32 v97, vcc_lo, s1, v97, vcc_lo
	v_cmp_eq_f64_e32 vcc_lo, 0, v[48:49]
	v_cmp_eq_f64_e64 s0, 0, v[50:51]
	v_cmp_neq_f64_e64 s1, 0, v[52:53]
	global_load_b32 v122, v[96:97], off
	s_and_b32 s0, vcc_lo, s0
	s_or_b32 s1, s1, s2
	v_cndmask_b32_e64 v48, 0, 1, s0
	s_or_b32 vcc_lo, s1, s0
	v_cmp_eq_f64_e64 s0, 0, v[70:71]
	s_and_b32 s2, s3, s4
	s_and_b32 s4, s5, s6
	v_cndmask_b32_e32 v48, 2, v48, vcc_lo
	v_cmp_eq_f64_e32 vcc_lo, 0, v[68:69]
	s_and_b32 s6, s7, s8
	s_delay_alu instid0(VALU_DEP_2) | instskip(NEXT) | instid1(VALU_DEP_1)
	v_cmp_eq_u32_e64 s1, 0, v48
	s_and_b32 s1, s2, s1
	v_cmp_eq_f64_e64 s2, 0, v[74:75]
	v_cndmask_b32_e64 v48, v48, 3, s1
	v_cmp_eq_f64_e64 s1, 0, v[72:73]
	s_delay_alu instid0(VALU_DEP_2) | instskip(NEXT) | instid1(VALU_DEP_1)
	v_cmp_eq_u32_e64 s3, 0, v48
	s_and_b32 s3, s4, s3
	v_cmp_eq_f64_e64 s4, 0, v[78:79]
	v_cndmask_b32_e64 v48, v48, 4, s3
	v_cmp_eq_f64_e64 s3, 0, v[76:77]
	;; [unrolled: 6-line block ×3, first 2 shown]
	s_and_b32 s0, vcc_lo, s0
	v_cmp_eq_f64_e32 vcc_lo, 0, v[84:85]
	s_delay_alu instid0(VALU_DEP_3) | instskip(NEXT) | instid1(VALU_DEP_1)
	v_cmp_eq_u32_e64 s7, 0, v48
	s_and_b32 s0, s0, s7
	s_delay_alu instid0(SALU_CYCLE_1) | instskip(SKIP_3) | instid1(VALU_DEP_3)
	v_cndmask_b32_e64 v48, v48, 6, s0
	v_cmp_eq_f64_e64 s0, 0, v[86:87]
	s_and_b32 s1, s1, s2
	v_cmp_eq_f64_e64 s2, 0, v[90:91]
	v_cmp_eq_u32_e64 s7, 0, v48
	s_delay_alu instid0(VALU_DEP_1) | instskip(NEXT) | instid1(SALU_CYCLE_1)
	s_and_b32 s1, s1, s7
	v_cndmask_b32_e64 v48, v48, 7, s1
	v_cmp_eq_f64_e64 s1, 0, v[88:89]
	s_and_b32 s3, s3, s4
	v_cmp_eq_f64_e64 s4, 0, v[94:95]
	s_delay_alu instid0(VALU_DEP_3) | instskip(NEXT) | instid1(VALU_DEP_1)
	v_cmp_eq_u32_e64 s7, 0, v48
	s_and_b32 s3, s3, s7
	s_delay_alu instid0(SALU_CYCLE_1) | instskip(SKIP_2) | instid1(VALU_DEP_2)
	v_cndmask_b32_e64 v48, v48, 8, s3
	v_cmp_eq_f64_e64 s3, 0, v[92:93]
	s_and_b32 s5, s5, s6
	v_cmp_eq_u32_e64 s7, 0, v48
	s_delay_alu instid0(VALU_DEP_1) | instskip(NEXT) | instid1(SALU_CYCLE_1)
	s_and_b32 s5, s5, s7
	v_cndmask_b32_e64 v48, v48, 9, s5
	s_and_b32 s0, vcc_lo, s0
	s_delay_alu instid0(VALU_DEP_1) | instskip(NEXT) | instid1(VALU_DEP_1)
	v_cmp_eq_u32_e64 s5, 0, v48
	s_and_b32 s0, s0, s5
	s_delay_alu instid0(SALU_CYCLE_1) | instskip(SKIP_1) | instid1(VALU_DEP_1)
	v_cndmask_b32_e64 v48, v48, 10, s0
	s_and_b32 s0, s1, s2
	v_cmp_eq_u32_e32 vcc_lo, 0, v48
	s_and_b32 s0, s0, vcc_lo
	s_delay_alu instid0(SALU_CYCLE_1) | instskip(SKIP_1) | instid1(VALU_DEP_1)
	v_cndmask_b32_e64 v48, v48, 11, s0
	s_and_b32 s0, s3, s4
	v_cmp_eq_u32_e32 vcc_lo, 0, v48
	s_and_b32 s0, s0, vcc_lo
	s_delay_alu instid0(SALU_CYCLE_1) | instskip(NEXT) | instid1(VALU_DEP_1)
	v_cndmask_b32_e64 v48, v48, 12, s0
	v_cmp_ne_u32_e64 s0, 0, v48
	s_waitcnt vmcnt(0)
	v_cmp_eq_u32_e32 vcc_lo, 0, v122
	s_delay_alu instid0(VALU_DEP_2) | instskip(NEXT) | instid1(SALU_CYCLE_1)
	s_and_b32 s0, vcc_lo, s0
	s_and_b32 exec_lo, exec_lo, s0
	s_cbranch_execz .LBB23_112
; %bb.111:
	v_add_nc_u32_e32 v48, s9, v48
	global_store_b32 v[96:97], v48, off
.LBB23_112:
	s_or_b32 exec_lo, exec_lo, s10
	s_clause 0xb
	global_store_b128 v[118:119], v[44:47], off
	global_store_b128 v[120:121], v[40:43], off
	;; [unrolled: 1-line block ×12, first 2 shown]
.LBB23_113:
	s_nop 0
	s_sendmsg sendmsg(MSG_DEALLOC_VGPRS)
	s_endpgm
	.section	.rodata,"a",@progbits
	.p2align	6, 0x0
	.amdhsa_kernel _ZN9rocsolver6v33100L23getf2_npvt_small_kernelILi12E19rocblas_complex_numIdEiiPKPS3_EEvT1_T3_lS7_lPT2_S7_S7_
		.amdhsa_group_segment_fixed_size 0
		.amdhsa_private_segment_fixed_size 0
		.amdhsa_kernarg_size 312
		.amdhsa_user_sgpr_count 14
		.amdhsa_user_sgpr_dispatch_ptr 0
		.amdhsa_user_sgpr_queue_ptr 0
		.amdhsa_user_sgpr_kernarg_segment_ptr 1
		.amdhsa_user_sgpr_dispatch_id 0
		.amdhsa_user_sgpr_private_segment_size 0
		.amdhsa_wavefront_size32 1
		.amdhsa_uses_dynamic_stack 0
		.amdhsa_enable_private_segment 0
		.amdhsa_system_sgpr_workgroup_id_x 1
		.amdhsa_system_sgpr_workgroup_id_y 1
		.amdhsa_system_sgpr_workgroup_id_z 0
		.amdhsa_system_sgpr_workgroup_info 0
		.amdhsa_system_vgpr_workitem_id 1
		.amdhsa_next_free_vgpr 169
		.amdhsa_next_free_sgpr 16
		.amdhsa_reserve_vcc 1
		.amdhsa_float_round_mode_32 0
		.amdhsa_float_round_mode_16_64 0
		.amdhsa_float_denorm_mode_32 3
		.amdhsa_float_denorm_mode_16_64 3
		.amdhsa_dx10_clamp 1
		.amdhsa_ieee_mode 1
		.amdhsa_fp16_overflow 0
		.amdhsa_workgroup_processor_mode 1
		.amdhsa_memory_ordered 1
		.amdhsa_forward_progress 0
		.amdhsa_shared_vgpr_count 0
		.amdhsa_exception_fp_ieee_invalid_op 0
		.amdhsa_exception_fp_denorm_src 0
		.amdhsa_exception_fp_ieee_div_zero 0
		.amdhsa_exception_fp_ieee_overflow 0
		.amdhsa_exception_fp_ieee_underflow 0
		.amdhsa_exception_fp_ieee_inexact 0
		.amdhsa_exception_int_div_zero 0
	.end_amdhsa_kernel
	.section	.text._ZN9rocsolver6v33100L23getf2_npvt_small_kernelILi12E19rocblas_complex_numIdEiiPKPS3_EEvT1_T3_lS7_lPT2_S7_S7_,"axG",@progbits,_ZN9rocsolver6v33100L23getf2_npvt_small_kernelILi12E19rocblas_complex_numIdEiiPKPS3_EEvT1_T3_lS7_lPT2_S7_S7_,comdat
.Lfunc_end23:
	.size	_ZN9rocsolver6v33100L23getf2_npvt_small_kernelILi12E19rocblas_complex_numIdEiiPKPS3_EEvT1_T3_lS7_lPT2_S7_S7_, .Lfunc_end23-_ZN9rocsolver6v33100L23getf2_npvt_small_kernelILi12E19rocblas_complex_numIdEiiPKPS3_EEvT1_T3_lS7_lPT2_S7_S7_
                                        ; -- End function
	.section	.AMDGPU.csdata,"",@progbits
; Kernel info:
; codeLenInByte = 14740
; NumSgprs: 18
; NumVgprs: 169
; ScratchSize: 0
; MemoryBound: 0
; FloatMode: 240
; IeeeMode: 1
; LDSByteSize: 0 bytes/workgroup (compile time only)
; SGPRBlocks: 2
; VGPRBlocks: 21
; NumSGPRsForWavesPerEU: 18
; NumVGPRsForWavesPerEU: 169
; Occupancy: 8
; WaveLimiterHint : 1
; COMPUTE_PGM_RSRC2:SCRATCH_EN: 0
; COMPUTE_PGM_RSRC2:USER_SGPR: 14
; COMPUTE_PGM_RSRC2:TRAP_HANDLER: 0
; COMPUTE_PGM_RSRC2:TGID_X_EN: 1
; COMPUTE_PGM_RSRC2:TGID_Y_EN: 1
; COMPUTE_PGM_RSRC2:TGID_Z_EN: 0
; COMPUTE_PGM_RSRC2:TIDIG_COMP_CNT: 1
	.section	.text._ZN9rocsolver6v33100L18getf2_small_kernelILi13E19rocblas_complex_numIdEiiPKPS3_EEvT1_T3_lS7_lPS7_llPT2_S7_S7_S9_l,"axG",@progbits,_ZN9rocsolver6v33100L18getf2_small_kernelILi13E19rocblas_complex_numIdEiiPKPS3_EEvT1_T3_lS7_lPS7_llPT2_S7_S7_S9_l,comdat
	.globl	_ZN9rocsolver6v33100L18getf2_small_kernelILi13E19rocblas_complex_numIdEiiPKPS3_EEvT1_T3_lS7_lPS7_llPT2_S7_S7_S9_l ; -- Begin function _ZN9rocsolver6v33100L18getf2_small_kernelILi13E19rocblas_complex_numIdEiiPKPS3_EEvT1_T3_lS7_lPS7_llPT2_S7_S7_S9_l
	.p2align	8
	.type	_ZN9rocsolver6v33100L18getf2_small_kernelILi13E19rocblas_complex_numIdEiiPKPS3_EEvT1_T3_lS7_lPS7_llPT2_S7_S7_S9_l,@function
_ZN9rocsolver6v33100L18getf2_small_kernelILi13E19rocblas_complex_numIdEiiPKPS3_EEvT1_T3_lS7_lPS7_llPT2_S7_S7_S9_l: ; @_ZN9rocsolver6v33100L18getf2_small_kernelILi13E19rocblas_complex_numIdEiiPKPS3_EEvT1_T3_lS7_lPS7_llPT2_S7_S7_S9_l
; %bb.0:
	s_clause 0x1
	s_load_b32 s2, s[0:1], 0x6c
	s_load_b64 s[12:13], s[0:1], 0x48
	v_bfe_u32 v52, v0, 10, 10
	s_waitcnt lgkmcnt(0)
	s_lshr_b32 s2, s2, 16
	s_delay_alu instid0(VALU_DEP_1) | instid1(SALU_CYCLE_1)
	v_mad_u64_u32 v[56:57], null, s15, s2, v[52:53]
	s_mov_b32 s2, exec_lo
	s_delay_alu instid0(VALU_DEP_1)
	v_cmpx_gt_i32_e64 s12, v56
	s_cbranch_execz .LBB24_276
; %bb.1:
	s_clause 0x1
	s_load_b128 s[4:7], s[0:1], 0x8
	s_load_b128 s[8:11], s[0:1], 0x50
	v_ashrrev_i32_e32 v57, 31, v56
	v_mov_b32_e32 v58, 0
	v_mov_b32_e32 v59, 0
	s_delay_alu instid0(VALU_DEP_3) | instskip(SKIP_1) | instid1(VALU_DEP_1)
	v_lshlrev_b64 v[1:2], 3, v[56:57]
	s_waitcnt lgkmcnt(0)
	v_add_co_u32 v1, vcc_lo, s4, v1
	s_delay_alu instid0(VALU_DEP_2)
	v_add_co_ci_u32_e32 v2, vcc_lo, s5, v2, vcc_lo
	s_cmp_eq_u64 s[8:9], 0
	s_cselect_b32 s4, -1, 0
	global_load_b64 v[1:2], v[1:2], off
	s_and_b32 vcc_lo, exec_lo, s4
	s_cbranch_vccnz .LBB24_3
; %bb.2:
	v_mul_lo_u32 v5, v57, s10
	v_mul_lo_u32 v6, v56, s11
	v_mad_u64_u32 v[3:4], null, v56, s10, 0
	s_delay_alu instid0(VALU_DEP_1) | instskip(NEXT) | instid1(VALU_DEP_1)
	v_add3_u32 v4, v4, v6, v5
	v_lshlrev_b64 v[3:4], 2, v[3:4]
	s_delay_alu instid0(VALU_DEP_1) | instskip(NEXT) | instid1(VALU_DEP_2)
	v_add_co_u32 v58, vcc_lo, s8, v3
	v_add_co_ci_u32_e32 v59, vcc_lo, s9, v4, vcc_lo
.LBB24_3:
	s_clause 0x1
	s_load_b32 s8, s[0:1], 0x18
	s_load_b32 s5, s[0:1], 0x0
	v_dual_mov_b32 v60, 0 :: v_dual_and_b32 v65, 0x3ff, v0
	s_lshl_b64 s[2:3], s[6:7], 4
	s_waitcnt vmcnt(0)
	v_add_co_u32 v63, vcc_lo, v1, s2
	s_delay_alu instid0(VALU_DEP_2) | instskip(SKIP_1) | instid1(VALU_DEP_2)
	v_lshlrev_b32_e32 v55, 4, v65
	v_add_co_ci_u32_e32 v64, vcc_lo, s3, v2, vcc_lo
	v_add_co_u32 v2, vcc_lo, v63, v55
	s_delay_alu instid0(VALU_DEP_2)
	v_add_co_ci_u32_e32 v3, vcc_lo, 0, v64, vcc_lo
	s_waitcnt lgkmcnt(0)
	v_add3_u32 v0, s8, s8, v65
	s_ashr_i32 s9, s8, 31
	s_max_i32 s2, s5, 13
	s_lshl_b64 s[10:11], s[8:9], 4
	v_mul_lo_u32 v61, s2, v52
	v_add_nc_u32_e32 v4, s8, v0
	v_add_co_u32 v6, vcc_lo, v2, s10
	v_ashrrev_i32_e32 v1, 31, v0
	v_add_co_ci_u32_e32 v7, vcc_lo, s11, v3, vcc_lo
	s_delay_alu instid0(VALU_DEP_4)
	v_ashrrev_i32_e32 v5, 31, v4
	v_add_nc_u32_e32 v8, s8, v4
	s_clause 0x1
	global_load_b128 v[44:47], v[2:3], off
	global_load_b128 v[40:43], v[6:7], off
	v_lshlrev_b64 v[0:1], 4, v[0:1]
	v_lshl_add_u32 v62, v61, 4, 0
	v_lshlrev_b64 v[2:3], 4, v[4:5]
	v_add_nc_u32_e32 v4, s8, v8
	v_ashrrev_i32_e32 v9, 31, v8
	v_lshlrev_b32_e32 v67, 4, v61
	v_add_co_u32 v0, vcc_lo, v63, v0
	s_delay_alu instid0(VALU_DEP_4) | instskip(NEXT) | instid1(VALU_DEP_4)
	v_ashrrev_i32_e32 v5, 31, v4
	v_lshlrev_b64 v[6:7], 4, v[8:9]
	v_add_co_ci_u32_e32 v1, vcc_lo, v64, v1, vcc_lo
	v_add_nc_u32_e32 v8, s8, v4
	v_add_co_u32 v2, vcc_lo, v63, v2
	v_lshlrev_b64 v[4:5], 4, v[4:5]
	v_add_co_ci_u32_e32 v3, vcc_lo, v64, v3, vcc_lo
	v_add_co_u32 v6, vcc_lo, v63, v6
	v_add_nc_u32_e32 v10, s8, v8
	v_add_co_ci_u32_e32 v7, vcc_lo, v64, v7, vcc_lo
	v_add_co_u32 v4, vcc_lo, v63, v4
	v_ashrrev_i32_e32 v9, 31, v8
	v_add_co_ci_u32_e32 v5, vcc_lo, v64, v5, vcc_lo
	v_ashrrev_i32_e32 v11, 31, v10
	s_clause 0x1
	global_load_b128 v[48:51], v[0:1], off
	global_load_b128 v[36:39], v[2:3], off
	v_lshlrev_b64 v[0:1], 4, v[8:9]
	s_clause 0x1
	global_load_b128 v[32:35], v[6:7], off
	global_load_b128 v[28:31], v[4:5], off
	v_add_nc_u32_e32 v4, s8, v10
	v_lshlrev_b64 v[2:3], 4, v[10:11]
	v_add_nc_u32_e32 v52, v62, v55
	s_cmp_lt_i32 s5, 2
	v_add_co_u32 v0, vcc_lo, v63, v0
	v_add_nc_u32_e32 v6, s8, v4
	v_add_co_ci_u32_e32 v1, vcc_lo, v64, v1, vcc_lo
	v_add_co_u32 v2, vcc_lo, v63, v2
	s_delay_alu instid0(VALU_DEP_3)
	v_add_nc_u32_e32 v8, s8, v6
	v_add_co_ci_u32_e32 v3, vcc_lo, v64, v3, vcc_lo
	v_ashrrev_i32_e32 v5, 31, v4
	v_ashrrev_i32_e32 v7, 31, v6
	s_clause 0x1
	global_load_b128 v[24:27], v[0:1], off
	global_load_b128 v[20:23], v[2:3], off
	v_ashrrev_i32_e32 v9, 31, v8
	v_add_nc_u32_e32 v2, s8, v8
	v_lshlrev_b64 v[4:5], 4, v[4:5]
	v_lshlrev_b64 v[0:1], 4, v[6:7]
	s_delay_alu instid0(VALU_DEP_4) | instskip(NEXT) | instid1(VALU_DEP_4)
	v_lshlrev_b64 v[6:7], 4, v[8:9]
	v_add_nc_u32_e32 v8, s8, v2
	v_ashrrev_i32_e32 v3, 31, v2
	v_add_co_u32 v4, vcc_lo, v63, v4
	v_add_co_ci_u32_e32 v5, vcc_lo, v64, v5, vcc_lo
	s_delay_alu instid0(VALU_DEP_4)
	v_ashrrev_i32_e32 v9, 31, v8
	v_add_co_u32 v0, vcc_lo, v63, v0
	v_lshlrev_b64 v[2:3], 4, v[2:3]
	v_add_co_ci_u32_e32 v1, vcc_lo, v64, v1, vcc_lo
	v_add_co_u32 v6, vcc_lo, v63, v6
	v_lshlrev_b64 v[8:9], 4, v[8:9]
	v_add_co_ci_u32_e32 v7, vcc_lo, v64, v7, vcc_lo
	v_add_co_u32 v2, vcc_lo, v63, v2
	v_add_co_ci_u32_e32 v3, vcc_lo, v64, v3, vcc_lo
	s_delay_alu instid0(VALU_DEP_4)
	v_add_co_u32 v53, vcc_lo, v63, v8
	v_add_co_ci_u32_e32 v54, vcc_lo, v64, v9, vcc_lo
	s_clause 0x4
	global_load_b128 v[16:19], v[4:5], off
	global_load_b128 v[12:15], v[0:1], off
	;; [unrolled: 1-line block ×5, first 2 shown]
	s_waitcnt vmcnt(12)
	ds_store_2addr_b64 v52, v[44:45], v[46:47] offset1:1
	s_waitcnt vmcnt(0) lgkmcnt(0)
	s_barrier
	buffer_gl0_inv
	ds_load_2addr_b64 v[52:55], v62 offset1:1
	s_cbranch_scc1 .LBB24_6
; %bb.4:
	v_add3_u32 v61, v67, 0, 16
	v_mov_b32_e32 v60, 0
	s_mov_b32 s6, 1
	s_set_inst_prefetch_distance 0x1
	.p2align	6
.LBB24_5:                               ; =>This Inner Loop Header: Depth=1
	ds_load_2addr_b64 v[68:71], v61 offset1:1
	s_waitcnt lgkmcnt(1)
	v_cmp_gt_f64_e32 vcc_lo, 0, v[52:53]
	v_xor_b32_e32 v66, 0x80000000, v53
	v_cmp_gt_f64_e64 s2, 0, v[54:55]
	v_xor_b32_e32 v72, 0x80000000, v55
	v_add_nc_u32_e32 v61, 16, v61
	s_waitcnt lgkmcnt(0)
	v_cmp_gt_f64_e64 s3, 0, v[68:69]
	v_mov_b32_e32 v76, v68
	v_dual_mov_b32 v78, v70 :: v_dual_cndmask_b32 v73, v53, v66
	v_xor_b32_e32 v66, 0x80000000, v69
	v_cndmask_b32_e64 v75, v55, v72, s2
	v_xor_b32_e32 v72, 0x80000000, v71
	v_cndmask_b32_e64 v74, v54, v54, s2
	s_delay_alu instid0(VALU_DEP_4) | instskip(SKIP_1) | instid1(VALU_DEP_1)
	v_cndmask_b32_e64 v77, v69, v66, s3
	v_cmp_gt_f64_e64 s3, 0, v[70:71]
	v_cndmask_b32_e64 v79, v71, v72, s3
	v_cndmask_b32_e32 v72, v52, v52, vcc_lo
	s_delay_alu instid0(VALU_DEP_2) | instskip(NEXT) | instid1(VALU_DEP_2)
	v_add_f64 v[76:77], v[76:77], v[78:79]
	v_add_f64 v[72:73], v[72:73], v[74:75]
	s_delay_alu instid0(VALU_DEP_1)
	v_cmp_lt_f64_e32 vcc_lo, v[72:73], v[76:77]
	v_cndmask_b32_e32 v55, v55, v71, vcc_lo
	v_dual_cndmask_b32 v53, v53, v69 :: v_dual_cndmask_b32 v52, v52, v68
	v_cndmask_b32_e32 v54, v54, v70, vcc_lo
	v_cndmask_b32_e64 v60, v60, s6, vcc_lo
	s_add_i32 s6, s6, 1
	s_delay_alu instid0(SALU_CYCLE_1)
	s_cmp_eq_u32 s5, s6
	s_cbranch_scc0 .LBB24_5
.LBB24_6:
	s_set_inst_prefetch_distance 0x2
	s_waitcnt lgkmcnt(0)
	v_cmp_neq_f64_e32 vcc_lo, 0, v[52:53]
	v_cmp_neq_f64_e64 s2, 0, v[54:55]
	v_dual_mov_b32 v66, 1 :: v_dual_mov_b32 v69, 1
	s_delay_alu instid0(VALU_DEP_2) | instskip(NEXT) | instid1(SALU_CYCLE_1)
	s_or_b32 s2, vcc_lo, s2
	s_and_saveexec_b32 s3, s2
	s_cbranch_execz .LBB24_12
; %bb.7:
	v_cmp_gt_f64_e32 vcc_lo, 0, v[52:53]
	v_cmp_gt_f64_e64 s2, 0, v[54:55]
	v_xor_b32_e32 v61, 0x80000000, v53
	v_xor_b32_e32 v66, 0x80000000, v55
                                        ; implicit-def: $sgpr6
                                        ; implicit-def: $sgpr7
	s_delay_alu instid0(VALU_DEP_2) | instskip(NEXT) | instid1(VALU_DEP_2)
	v_dual_cndmask_b32 v69, v53, v61 :: v_dual_cndmask_b32 v68, v52, v52
	v_cndmask_b32_e64 v71, v55, v66, s2
	v_cndmask_b32_e64 v70, v54, v54, s2
	s_mov_b32 s2, exec_lo
	s_delay_alu instid0(VALU_DEP_1)
	v_cmpx_ngt_f64_e32 v[68:69], v[70:71]
	s_xor_b32 s2, exec_lo, s2
	s_cbranch_execz .LBB24_9
; %bb.8:
	v_div_scale_f64 v[68:69], null, v[54:55], v[54:55], v[52:53]
	v_div_scale_f64 v[74:75], vcc_lo, v[52:53], v[54:55], v[52:53]
	s_mov_b32 s7, 2
	s_mov_b32 s6, 0
	s_delay_alu instid0(VALU_DEP_2) | instskip(SKIP_2) | instid1(VALU_DEP_1)
	v_rcp_f64_e32 v[70:71], v[68:69]
	s_waitcnt_depctr 0xfff
	v_fma_f64 v[72:73], -v[68:69], v[70:71], 1.0
	v_fma_f64 v[70:71], v[70:71], v[72:73], v[70:71]
	s_delay_alu instid0(VALU_DEP_1) | instskip(NEXT) | instid1(VALU_DEP_1)
	v_fma_f64 v[72:73], -v[68:69], v[70:71], 1.0
	v_fma_f64 v[70:71], v[70:71], v[72:73], v[70:71]
	s_delay_alu instid0(VALU_DEP_1) | instskip(NEXT) | instid1(VALU_DEP_1)
	v_mul_f64 v[72:73], v[74:75], v[70:71]
	v_fma_f64 v[68:69], -v[68:69], v[72:73], v[74:75]
	s_delay_alu instid0(VALU_DEP_1) | instskip(NEXT) | instid1(VALU_DEP_1)
	v_div_fmas_f64 v[68:69], v[68:69], v[70:71], v[72:73]
	v_div_fixup_f64 v[68:69], v[68:69], v[54:55], v[52:53]
	s_delay_alu instid0(VALU_DEP_1) | instskip(NEXT) | instid1(VALU_DEP_1)
	v_fma_f64 v[52:53], v[52:53], v[68:69], v[54:55]
	v_div_scale_f64 v[54:55], null, v[52:53], v[52:53], 1.0
	s_delay_alu instid0(VALU_DEP_1) | instskip(SKIP_2) | instid1(VALU_DEP_1)
	v_rcp_f64_e32 v[70:71], v[54:55]
	s_waitcnt_depctr 0xfff
	v_fma_f64 v[72:73], -v[54:55], v[70:71], 1.0
	v_fma_f64 v[70:71], v[70:71], v[72:73], v[70:71]
	s_delay_alu instid0(VALU_DEP_1) | instskip(NEXT) | instid1(VALU_DEP_1)
	v_fma_f64 v[72:73], -v[54:55], v[70:71], 1.0
	v_fma_f64 v[70:71], v[70:71], v[72:73], v[70:71]
	v_div_scale_f64 v[72:73], vcc_lo, 1.0, v[52:53], 1.0
	s_delay_alu instid0(VALU_DEP_1) | instskip(NEXT) | instid1(VALU_DEP_1)
	v_mul_f64 v[74:75], v[72:73], v[70:71]
	v_fma_f64 v[54:55], -v[54:55], v[74:75], v[72:73]
	s_delay_alu instid0(VALU_DEP_1) | instskip(NEXT) | instid1(VALU_DEP_1)
	v_div_fmas_f64 v[54:55], v[54:55], v[70:71], v[74:75]
	v_div_fixup_f64 v[54:55], v[54:55], v[52:53], 1.0
	s_delay_alu instid0(VALU_DEP_1)
	v_mul_f64 v[52:53], v[68:69], v[54:55]
	v_xor_b32_e32 v55, 0x80000000, v55
.LBB24_9:
	s_or_saveexec_b32 s2, s2
	v_dual_mov_b32 v69, s6 :: v_dual_mov_b32 v66, s7
	s_xor_b32 exec_lo, exec_lo, s2
	s_cbranch_execz .LBB24_11
; %bb.10:
	s_delay_alu instid0(VALU_DEP_3) | instskip(SKIP_2) | instid1(VALU_DEP_3)
	v_div_scale_f64 v[68:69], null, v[52:53], v[52:53], v[54:55]
	v_div_scale_f64 v[74:75], vcc_lo, v[54:55], v[52:53], v[54:55]
	v_mov_b32_e32 v66, 2
	v_rcp_f64_e32 v[70:71], v[68:69]
	s_waitcnt_depctr 0xfff
	v_fma_f64 v[72:73], -v[68:69], v[70:71], 1.0
	s_delay_alu instid0(VALU_DEP_1) | instskip(NEXT) | instid1(VALU_DEP_1)
	v_fma_f64 v[70:71], v[70:71], v[72:73], v[70:71]
	v_fma_f64 v[72:73], -v[68:69], v[70:71], 1.0
	s_delay_alu instid0(VALU_DEP_1) | instskip(NEXT) | instid1(VALU_DEP_1)
	v_fma_f64 v[70:71], v[70:71], v[72:73], v[70:71]
	v_mul_f64 v[72:73], v[74:75], v[70:71]
	s_delay_alu instid0(VALU_DEP_1) | instskip(NEXT) | instid1(VALU_DEP_1)
	v_fma_f64 v[68:69], -v[68:69], v[72:73], v[74:75]
	v_div_fmas_f64 v[68:69], v[68:69], v[70:71], v[72:73]
	s_delay_alu instid0(VALU_DEP_1) | instskip(NEXT) | instid1(VALU_DEP_1)
	v_div_fixup_f64 v[68:69], v[68:69], v[52:53], v[54:55]
	v_fma_f64 v[52:53], v[54:55], v[68:69], v[52:53]
	s_delay_alu instid0(VALU_DEP_1) | instskip(NEXT) | instid1(VALU_DEP_1)
	v_div_scale_f64 v[54:55], null, v[52:53], v[52:53], 1.0
	v_rcp_f64_e32 v[70:71], v[54:55]
	s_waitcnt_depctr 0xfff
	v_fma_f64 v[72:73], -v[54:55], v[70:71], 1.0
	s_delay_alu instid0(VALU_DEP_1) | instskip(NEXT) | instid1(VALU_DEP_1)
	v_fma_f64 v[70:71], v[70:71], v[72:73], v[70:71]
	v_fma_f64 v[72:73], -v[54:55], v[70:71], 1.0
	s_delay_alu instid0(VALU_DEP_1) | instskip(SKIP_1) | instid1(VALU_DEP_1)
	v_fma_f64 v[70:71], v[70:71], v[72:73], v[70:71]
	v_div_scale_f64 v[72:73], vcc_lo, 1.0, v[52:53], 1.0
	v_mul_f64 v[74:75], v[72:73], v[70:71]
	s_delay_alu instid0(VALU_DEP_1) | instskip(NEXT) | instid1(VALU_DEP_1)
	v_fma_f64 v[54:55], -v[54:55], v[74:75], v[72:73]
	v_div_fmas_f64 v[54:55], v[54:55], v[70:71], v[74:75]
	s_delay_alu instid0(VALU_DEP_1) | instskip(NEXT) | instid1(VALU_DEP_1)
	v_div_fixup_f64 v[52:53], v[54:55], v[52:53], 1.0
	v_mul_f64 v[54:55], v[68:69], -v[52:53]
	v_mov_b32_e32 v69, 0
.LBB24_11:
	s_or_b32 exec_lo, exec_lo, s2
.LBB24_12:
	s_delay_alu instid0(SALU_CYCLE_1) | instskip(NEXT) | instid1(SALU_CYCLE_1)
	s_or_b32 exec_lo, exec_lo, s3
	s_mov_b32 s2, exec_lo
	v_cmpx_ne_u32_e64 v65, v60
	s_xor_b32 s2, exec_lo, s2
	s_cbranch_execz .LBB24_18
; %bb.13:
	s_mov_b32 s3, exec_lo
	v_cmpx_eq_u32_e32 0, v65
	s_cbranch_execz .LBB24_17
; %bb.14:
	v_cmp_ne_u32_e32 vcc_lo, 0, v60
	s_xor_b32 s6, s4, -1
	s_delay_alu instid0(SALU_CYCLE_1) | instskip(NEXT) | instid1(SALU_CYCLE_1)
	s_and_b32 s7, s6, vcc_lo
	s_and_saveexec_b32 s6, s7
	s_cbranch_execz .LBB24_16
; %bb.15:
	v_ashrrev_i32_e32 v61, 31, v60
	s_delay_alu instid0(VALU_DEP_1) | instskip(NEXT) | instid1(VALU_DEP_1)
	v_lshlrev_b64 v[70:71], 2, v[60:61]
	v_add_co_u32 v70, vcc_lo, v58, v70
	s_delay_alu instid0(VALU_DEP_2)
	v_add_co_ci_u32_e32 v71, vcc_lo, v59, v71, vcc_lo
	s_clause 0x1
	flat_load_b32 v61, v[70:71]
	flat_load_b32 v65, v[58:59]
	s_waitcnt vmcnt(1) lgkmcnt(1)
	flat_store_b32 v[58:59], v61
	s_waitcnt vmcnt(0) lgkmcnt(1)
	flat_store_b32 v[70:71], v65
.LBB24_16:
	s_or_b32 exec_lo, exec_lo, s6
	v_mov_b32_e32 v65, v60
.LBB24_17:
	s_or_b32 exec_lo, exec_lo, s3
.LBB24_18:
	s_or_saveexec_b32 s2, s2
	s_delay_alu instid0(VALU_DEP_1)
	v_mov_b32_e32 v68, v65
	s_xor_b32 exec_lo, exec_lo, s2
	s_cbranch_execz .LBB24_20
; %bb.19:
	v_mov_b32_e32 v68, 0
	ds_store_2addr_b64 v62, v[40:41], v[42:43] offset0:2 offset1:3
	ds_store_2addr_b64 v62, v[48:49], v[50:51] offset0:4 offset1:5
	;; [unrolled: 1-line block ×12, first 2 shown]
.LBB24_20:
	s_or_b32 exec_lo, exec_lo, s2
	s_delay_alu instid0(SALU_CYCLE_1)
	s_mov_b32 s2, exec_lo
	s_waitcnt lgkmcnt(0)
	s_waitcnt_vscnt null, 0x0
	s_barrier
	buffer_gl0_inv
	v_cmpx_lt_i32_e32 0, v68
	s_cbranch_execz .LBB24_22
; %bb.21:
	v_mul_f64 v[60:61], v[52:53], v[46:47]
	v_mul_f64 v[46:47], v[54:55], v[46:47]
	ds_load_2addr_b64 v[70:73], v62 offset0:2 offset1:3
	ds_load_2addr_b64 v[74:77], v62 offset0:4 offset1:5
	;; [unrolled: 1-line block ×12, first 2 shown]
	v_fma_f64 v[54:55], v[54:55], v[44:45], v[60:61]
	v_fma_f64 v[44:45], v[52:53], v[44:45], -v[46:47]
	s_waitcnt lgkmcnt(11)
	s_delay_alu instid0(VALU_DEP_2)
	v_mul_f64 v[46:47], v[72:73], v[54:55]
	v_mul_f64 v[52:53], v[70:71], v[54:55]
	s_waitcnt lgkmcnt(10)
	v_mul_f64 v[60:61], v[76:77], v[54:55]
	v_mul_f64 v[118:119], v[74:75], v[54:55]
	s_waitcnt lgkmcnt(9)
	;; [unrolled: 3-line block ×11, first 2 shown]
	v_mul_f64 v[156:157], v[116:117], v[54:55]
	v_mul_f64 v[158:159], v[114:115], v[54:55]
	v_fma_f64 v[46:47], v[70:71], v[44:45], -v[46:47]
	v_fma_f64 v[52:53], v[72:73], v[44:45], v[52:53]
	v_fma_f64 v[60:61], v[74:75], v[44:45], -v[60:61]
	v_fma_f64 v[70:71], v[76:77], v[44:45], v[118:119]
	;; [unrolled: 2-line block ×12, first 2 shown]
	v_add_f64 v[40:41], v[40:41], -v[46:47]
	v_add_f64 v[42:43], v[42:43], -v[52:53]
	;; [unrolled: 1-line block ×24, first 2 shown]
	v_dual_mov_b32 v46, v54 :: v_dual_mov_b32 v47, v55
.LBB24_22:
	s_or_b32 exec_lo, exec_lo, s2
	v_lshl_add_u32 v52, v68, 4, v62
	s_barrier
	buffer_gl0_inv
	v_mov_b32_e32 v60, 1
	ds_store_2addr_b64 v52, v[40:41], v[42:43] offset1:1
	s_waitcnt lgkmcnt(0)
	s_barrier
	buffer_gl0_inv
	ds_load_2addr_b64 v[52:55], v62 offset0:2 offset1:3
	s_cmp_lt_i32 s5, 3
	s_cbranch_scc1 .LBB24_25
; %bb.23:
	v_add3_u32 v61, v67, 0, 32
	v_mov_b32_e32 v60, 1
	s_mov_b32 s6, 2
	s_set_inst_prefetch_distance 0x1
	.p2align	6
.LBB24_24:                              ; =>This Inner Loop Header: Depth=1
	ds_load_2addr_b64 v[70:73], v61 offset1:1
	s_waitcnt lgkmcnt(1)
	v_cmp_gt_f64_e32 vcc_lo, 0, v[52:53]
	v_xor_b32_e32 v74, 0x80000000, v53
	v_cmp_gt_f64_e64 s2, 0, v[54:55]
	v_xor_b32_e32 v76, 0x80000000, v55
	v_add_nc_u32_e32 v61, 16, v61
	s_waitcnt lgkmcnt(0)
	v_cmp_gt_f64_e64 s3, 0, v[70:71]
	v_mov_b32_e32 v78, v70
	v_dual_mov_b32 v80, v72 :: v_dual_cndmask_b32 v75, v53, v74
	v_xor_b32_e32 v74, 0x80000000, v71
	v_cndmask_b32_e64 v77, v55, v76, s2
	v_xor_b32_e32 v76, 0x80000000, v73
	s_delay_alu instid0(VALU_DEP_3) | instskip(SKIP_2) | instid1(VALU_DEP_2)
	v_cndmask_b32_e64 v79, v71, v74, s3
	v_cmp_gt_f64_e64 s3, 0, v[72:73]
	v_cndmask_b32_e32 v74, v52, v52, vcc_lo
	v_cndmask_b32_e64 v81, v73, v76, s3
	v_cndmask_b32_e64 v76, v54, v54, s2
	s_delay_alu instid0(VALU_DEP_2) | instskip(NEXT) | instid1(VALU_DEP_2)
	v_add_f64 v[78:79], v[78:79], v[80:81]
	v_add_f64 v[74:75], v[74:75], v[76:77]
	s_delay_alu instid0(VALU_DEP_1)
	v_cmp_lt_f64_e32 vcc_lo, v[74:75], v[78:79]
	v_cndmask_b32_e32 v55, v55, v73, vcc_lo
	v_dual_cndmask_b32 v53, v53, v71 :: v_dual_cndmask_b32 v52, v52, v70
	v_cndmask_b32_e32 v54, v54, v72, vcc_lo
	v_cndmask_b32_e64 v60, v60, s6, vcc_lo
	s_add_i32 s6, s6, 1
	s_delay_alu instid0(SALU_CYCLE_1)
	s_cmp_lg_u32 s5, s6
	s_cbranch_scc1 .LBB24_24
.LBB24_25:
	s_set_inst_prefetch_distance 0x2
	s_waitcnt lgkmcnt(0)
	v_cmp_neq_f64_e32 vcc_lo, 0, v[52:53]
	v_cmp_neq_f64_e64 s2, 0, v[54:55]
	s_delay_alu instid0(VALU_DEP_1) | instskip(NEXT) | instid1(SALU_CYCLE_1)
	s_or_b32 s2, vcc_lo, s2
	s_and_saveexec_b32 s3, s2
	s_cbranch_execz .LBB24_31
; %bb.26:
	v_cmp_gt_f64_e32 vcc_lo, 0, v[52:53]
	v_cmp_gt_f64_e64 s2, 0, v[54:55]
	v_xor_b32_e32 v61, 0x80000000, v53
	v_xor_b32_e32 v66, 0x80000000, v55
	s_delay_alu instid0(VALU_DEP_2) | instskip(NEXT) | instid1(VALU_DEP_2)
	v_dual_cndmask_b32 v71, v53, v61 :: v_dual_cndmask_b32 v70, v52, v52
	v_cndmask_b32_e64 v73, v55, v66, s2
	v_cndmask_b32_e64 v72, v54, v54, s2
	s_mov_b32 s2, exec_lo
	s_delay_alu instid0(VALU_DEP_1)
	v_cmpx_ngt_f64_e32 v[70:71], v[72:73]
	s_xor_b32 s2, exec_lo, s2
	s_cbranch_execz .LBB24_28
; %bb.27:
	v_div_scale_f64 v[70:71], null, v[54:55], v[54:55], v[52:53]
	v_div_scale_f64 v[76:77], vcc_lo, v[52:53], v[54:55], v[52:53]
	s_delay_alu instid0(VALU_DEP_2) | instskip(SKIP_2) | instid1(VALU_DEP_1)
	v_rcp_f64_e32 v[72:73], v[70:71]
	s_waitcnt_depctr 0xfff
	v_fma_f64 v[74:75], -v[70:71], v[72:73], 1.0
	v_fma_f64 v[72:73], v[72:73], v[74:75], v[72:73]
	s_delay_alu instid0(VALU_DEP_1) | instskip(NEXT) | instid1(VALU_DEP_1)
	v_fma_f64 v[74:75], -v[70:71], v[72:73], 1.0
	v_fma_f64 v[72:73], v[72:73], v[74:75], v[72:73]
	s_delay_alu instid0(VALU_DEP_1) | instskip(NEXT) | instid1(VALU_DEP_1)
	v_mul_f64 v[74:75], v[76:77], v[72:73]
	v_fma_f64 v[70:71], -v[70:71], v[74:75], v[76:77]
	s_delay_alu instid0(VALU_DEP_1) | instskip(NEXT) | instid1(VALU_DEP_1)
	v_div_fmas_f64 v[70:71], v[70:71], v[72:73], v[74:75]
	v_div_fixup_f64 v[70:71], v[70:71], v[54:55], v[52:53]
	s_delay_alu instid0(VALU_DEP_1) | instskip(NEXT) | instid1(VALU_DEP_1)
	v_fma_f64 v[52:53], v[52:53], v[70:71], v[54:55]
	v_div_scale_f64 v[54:55], null, v[52:53], v[52:53], 1.0
	s_delay_alu instid0(VALU_DEP_1) | instskip(SKIP_2) | instid1(VALU_DEP_1)
	v_rcp_f64_e32 v[72:73], v[54:55]
	s_waitcnt_depctr 0xfff
	v_fma_f64 v[74:75], -v[54:55], v[72:73], 1.0
	v_fma_f64 v[72:73], v[72:73], v[74:75], v[72:73]
	s_delay_alu instid0(VALU_DEP_1) | instskip(NEXT) | instid1(VALU_DEP_1)
	v_fma_f64 v[74:75], -v[54:55], v[72:73], 1.0
	v_fma_f64 v[72:73], v[72:73], v[74:75], v[72:73]
	v_div_scale_f64 v[74:75], vcc_lo, 1.0, v[52:53], 1.0
	s_delay_alu instid0(VALU_DEP_1) | instskip(NEXT) | instid1(VALU_DEP_1)
	v_mul_f64 v[76:77], v[74:75], v[72:73]
	v_fma_f64 v[54:55], -v[54:55], v[76:77], v[74:75]
	s_delay_alu instid0(VALU_DEP_1) | instskip(NEXT) | instid1(VALU_DEP_1)
	v_div_fmas_f64 v[54:55], v[54:55], v[72:73], v[76:77]
	v_div_fixup_f64 v[54:55], v[54:55], v[52:53], 1.0
	s_delay_alu instid0(VALU_DEP_1)
	v_mul_f64 v[52:53], v[70:71], v[54:55]
	v_xor_b32_e32 v55, 0x80000000, v55
.LBB24_28:
	s_and_not1_saveexec_b32 s2, s2
	s_cbranch_execz .LBB24_30
; %bb.29:
	s_delay_alu instid0(VALU_DEP_1) | instskip(SKIP_1) | instid1(VALU_DEP_2)
	v_div_scale_f64 v[70:71], null, v[52:53], v[52:53], v[54:55]
	v_div_scale_f64 v[76:77], vcc_lo, v[54:55], v[52:53], v[54:55]
	v_rcp_f64_e32 v[72:73], v[70:71]
	s_waitcnt_depctr 0xfff
	v_fma_f64 v[74:75], -v[70:71], v[72:73], 1.0
	s_delay_alu instid0(VALU_DEP_1) | instskip(NEXT) | instid1(VALU_DEP_1)
	v_fma_f64 v[72:73], v[72:73], v[74:75], v[72:73]
	v_fma_f64 v[74:75], -v[70:71], v[72:73], 1.0
	s_delay_alu instid0(VALU_DEP_1) | instskip(NEXT) | instid1(VALU_DEP_1)
	v_fma_f64 v[72:73], v[72:73], v[74:75], v[72:73]
	v_mul_f64 v[74:75], v[76:77], v[72:73]
	s_delay_alu instid0(VALU_DEP_1) | instskip(NEXT) | instid1(VALU_DEP_1)
	v_fma_f64 v[70:71], -v[70:71], v[74:75], v[76:77]
	v_div_fmas_f64 v[70:71], v[70:71], v[72:73], v[74:75]
	s_delay_alu instid0(VALU_DEP_1) | instskip(NEXT) | instid1(VALU_DEP_1)
	v_div_fixup_f64 v[70:71], v[70:71], v[52:53], v[54:55]
	v_fma_f64 v[52:53], v[54:55], v[70:71], v[52:53]
	s_delay_alu instid0(VALU_DEP_1) | instskip(NEXT) | instid1(VALU_DEP_1)
	v_div_scale_f64 v[54:55], null, v[52:53], v[52:53], 1.0
	v_rcp_f64_e32 v[72:73], v[54:55]
	s_waitcnt_depctr 0xfff
	v_fma_f64 v[74:75], -v[54:55], v[72:73], 1.0
	s_delay_alu instid0(VALU_DEP_1) | instskip(NEXT) | instid1(VALU_DEP_1)
	v_fma_f64 v[72:73], v[72:73], v[74:75], v[72:73]
	v_fma_f64 v[74:75], -v[54:55], v[72:73], 1.0
	s_delay_alu instid0(VALU_DEP_1) | instskip(SKIP_1) | instid1(VALU_DEP_1)
	v_fma_f64 v[72:73], v[72:73], v[74:75], v[72:73]
	v_div_scale_f64 v[74:75], vcc_lo, 1.0, v[52:53], 1.0
	v_mul_f64 v[76:77], v[74:75], v[72:73]
	s_delay_alu instid0(VALU_DEP_1) | instskip(NEXT) | instid1(VALU_DEP_1)
	v_fma_f64 v[54:55], -v[54:55], v[76:77], v[74:75]
	v_div_fmas_f64 v[54:55], v[54:55], v[72:73], v[76:77]
	s_delay_alu instid0(VALU_DEP_1) | instskip(NEXT) | instid1(VALU_DEP_1)
	v_div_fixup_f64 v[52:53], v[54:55], v[52:53], 1.0
	v_mul_f64 v[54:55], v[70:71], -v[52:53]
.LBB24_30:
	s_or_b32 exec_lo, exec_lo, s2
	v_mov_b32_e32 v66, v69
.LBB24_31:
	s_or_b32 exec_lo, exec_lo, s3
	s_delay_alu instid0(SALU_CYCLE_1)
	s_mov_b32 s2, exec_lo
	v_cmpx_ne_u32_e64 v68, v60
	s_xor_b32 s2, exec_lo, s2
	s_cbranch_execz .LBB24_37
; %bb.32:
	s_mov_b32 s3, exec_lo
	v_cmpx_eq_u32_e32 1, v68
	s_cbranch_execz .LBB24_36
; %bb.33:
	v_cmp_ne_u32_e32 vcc_lo, 1, v60
	s_xor_b32 s6, s4, -1
	s_delay_alu instid0(SALU_CYCLE_1) | instskip(NEXT) | instid1(SALU_CYCLE_1)
	s_and_b32 s7, s6, vcc_lo
	s_and_saveexec_b32 s6, s7
	s_cbranch_execz .LBB24_35
; %bb.34:
	v_ashrrev_i32_e32 v61, 31, v60
	s_delay_alu instid0(VALU_DEP_1) | instskip(NEXT) | instid1(VALU_DEP_1)
	v_lshlrev_b64 v[68:69], 2, v[60:61]
	v_add_co_u32 v68, vcc_lo, v58, v68
	s_delay_alu instid0(VALU_DEP_2)
	v_add_co_ci_u32_e32 v69, vcc_lo, v59, v69, vcc_lo
	s_clause 0x1
	flat_load_b32 v61, v[68:69]
	flat_load_b32 v65, v[58:59] offset:4
	s_waitcnt vmcnt(1) lgkmcnt(1)
	flat_store_b32 v[58:59], v61 offset:4
	s_waitcnt vmcnt(0) lgkmcnt(1)
	flat_store_b32 v[68:69], v65
.LBB24_35:
	s_or_b32 exec_lo, exec_lo, s6
	v_mov_b32_e32 v68, v60
	v_mov_b32_e32 v65, v60
.LBB24_36:
	s_or_b32 exec_lo, exec_lo, s3
.LBB24_37:
	s_and_not1_saveexec_b32 s2, s2
	s_cbranch_execz .LBB24_39
; %bb.38:
	v_mov_b32_e32 v68, 1
	ds_store_2addr_b64 v62, v[48:49], v[50:51] offset0:4 offset1:5
	ds_store_2addr_b64 v62, v[36:37], v[38:39] offset0:6 offset1:7
	ds_store_2addr_b64 v62, v[32:33], v[34:35] offset0:8 offset1:9
	ds_store_2addr_b64 v62, v[28:29], v[30:31] offset0:10 offset1:11
	ds_store_2addr_b64 v62, v[24:25], v[26:27] offset0:12 offset1:13
	ds_store_2addr_b64 v62, v[20:21], v[22:23] offset0:14 offset1:15
	ds_store_2addr_b64 v62, v[16:17], v[18:19] offset0:16 offset1:17
	ds_store_2addr_b64 v62, v[12:13], v[14:15] offset0:18 offset1:19
	ds_store_2addr_b64 v62, v[8:9], v[10:11] offset0:20 offset1:21
	ds_store_2addr_b64 v62, v[4:5], v[6:7] offset0:22 offset1:23
	ds_store_2addr_b64 v62, v[0:1], v[2:3] offset0:24 offset1:25
.LBB24_39:
	s_or_b32 exec_lo, exec_lo, s2
	s_delay_alu instid0(SALU_CYCLE_1)
	s_mov_b32 s2, exec_lo
	s_waitcnt lgkmcnt(0)
	s_waitcnt_vscnt null, 0x0
	s_barrier
	buffer_gl0_inv
	v_cmpx_lt_i32_e32 1, v68
	s_cbranch_execz .LBB24_41
; %bb.40:
	v_mul_f64 v[60:61], v[52:53], v[42:43]
	v_mul_f64 v[42:43], v[54:55], v[42:43]
	ds_load_2addr_b64 v[69:72], v62 offset0:4 offset1:5
	ds_load_2addr_b64 v[73:76], v62 offset0:6 offset1:7
	;; [unrolled: 1-line block ×11, first 2 shown]
	v_fma_f64 v[54:55], v[54:55], v[40:41], v[60:61]
	v_fma_f64 v[40:41], v[52:53], v[40:41], -v[42:43]
	s_waitcnt lgkmcnt(10)
	s_delay_alu instid0(VALU_DEP_2)
	v_mul_f64 v[42:43], v[71:72], v[54:55]
	v_mul_f64 v[52:53], v[69:70], v[54:55]
	s_waitcnt lgkmcnt(9)
	v_mul_f64 v[60:61], v[75:76], v[54:55]
	v_mul_f64 v[113:114], v[73:74], v[54:55]
	s_waitcnt lgkmcnt(8)
	;; [unrolled: 3-line block ×10, first 2 shown]
	v_mul_f64 v[147:148], v[111:112], v[54:55]
	v_mul_f64 v[149:150], v[109:110], v[54:55]
	v_fma_f64 v[42:43], v[69:70], v[40:41], -v[42:43]
	v_fma_f64 v[52:53], v[71:72], v[40:41], v[52:53]
	v_fma_f64 v[60:61], v[73:74], v[40:41], -v[60:61]
	v_fma_f64 v[69:70], v[75:76], v[40:41], v[113:114]
	v_fma_f64 v[71:72], v[77:78], v[40:41], -v[115:116]
	v_fma_f64 v[73:74], v[79:80], v[40:41], v[117:118]
	v_fma_f64 v[75:76], v[81:82], v[40:41], -v[119:120]
	v_fma_f64 v[77:78], v[83:84], v[40:41], v[121:122]
	v_fma_f64 v[79:80], v[85:86], v[40:41], -v[123:124]
	v_fma_f64 v[81:82], v[87:88], v[40:41], v[125:126]
	v_fma_f64 v[83:84], v[89:90], v[40:41], -v[127:128]
	v_fma_f64 v[85:86], v[91:92], v[40:41], v[129:130]
	v_fma_f64 v[87:88], v[93:94], v[40:41], -v[131:132]
	v_fma_f64 v[89:90], v[95:96], v[40:41], v[133:134]
	v_fma_f64 v[91:92], v[97:98], v[40:41], -v[135:136]
	v_fma_f64 v[93:94], v[99:100], v[40:41], v[137:138]
	v_fma_f64 v[95:96], v[101:102], v[40:41], -v[139:140]
	v_fma_f64 v[97:98], v[103:104], v[40:41], v[141:142]
	v_fma_f64 v[99:100], v[105:106], v[40:41], -v[143:144]
	v_fma_f64 v[101:102], v[107:108], v[40:41], v[145:146]
	v_fma_f64 v[103:104], v[109:110], v[40:41], -v[147:148]
	v_fma_f64 v[105:106], v[111:112], v[40:41], v[149:150]
	v_add_f64 v[48:49], v[48:49], -v[42:43]
	v_add_f64 v[50:51], v[50:51], -v[52:53]
	;; [unrolled: 1-line block ×22, first 2 shown]
	v_dual_mov_b32 v42, v54 :: v_dual_mov_b32 v43, v55
.LBB24_41:
	s_or_b32 exec_lo, exec_lo, s2
	v_lshl_add_u32 v52, v68, 4, v62
	s_barrier
	buffer_gl0_inv
	v_mov_b32_e32 v60, 2
	ds_store_2addr_b64 v52, v[48:49], v[50:51] offset1:1
	s_waitcnt lgkmcnt(0)
	s_barrier
	buffer_gl0_inv
	ds_load_2addr_b64 v[52:55], v62 offset0:4 offset1:5
	s_cmp_lt_i32 s5, 4
	s_cbranch_scc1 .LBB24_44
; %bb.42:
	v_add3_u32 v61, v67, 0, 48
	v_mov_b32_e32 v60, 2
	s_mov_b32 s6, 3
	s_set_inst_prefetch_distance 0x1
	.p2align	6
.LBB24_43:                              ; =>This Inner Loop Header: Depth=1
	ds_load_2addr_b64 v[69:72], v61 offset1:1
	s_waitcnt lgkmcnt(1)
	v_cmp_gt_f64_e32 vcc_lo, 0, v[52:53]
	v_xor_b32_e32 v73, 0x80000000, v53
	v_cmp_gt_f64_e64 s2, 0, v[54:55]
	v_xor_b32_e32 v75, 0x80000000, v55
	v_add_nc_u32_e32 v61, 16, v61
	s_waitcnt lgkmcnt(0)
	v_cmp_gt_f64_e64 s3, 0, v[69:70]
	v_mov_b32_e32 v77, v69
	v_dual_mov_b32 v79, v71 :: v_dual_cndmask_b32 v74, v53, v73
	v_xor_b32_e32 v73, 0x80000000, v70
	v_cndmask_b32_e64 v76, v55, v75, s2
	v_xor_b32_e32 v75, 0x80000000, v72
	s_delay_alu instid0(VALU_DEP_3) | instskip(SKIP_2) | instid1(VALU_DEP_2)
	v_cndmask_b32_e64 v78, v70, v73, s3
	v_cmp_gt_f64_e64 s3, 0, v[71:72]
	v_cndmask_b32_e32 v73, v52, v52, vcc_lo
	v_cndmask_b32_e64 v80, v72, v75, s3
	v_cndmask_b32_e64 v75, v54, v54, s2
	s_delay_alu instid0(VALU_DEP_2) | instskip(NEXT) | instid1(VALU_DEP_2)
	v_add_f64 v[77:78], v[77:78], v[79:80]
	v_add_f64 v[73:74], v[73:74], v[75:76]
	s_delay_alu instid0(VALU_DEP_1) | instskip(SKIP_4) | instid1(SALU_CYCLE_1)
	v_cmp_lt_f64_e32 vcc_lo, v[73:74], v[77:78]
	v_dual_cndmask_b32 v54, v54, v71 :: v_dual_cndmask_b32 v53, v53, v70
	v_dual_cndmask_b32 v52, v52, v69 :: v_dual_cndmask_b32 v55, v55, v72
	v_cndmask_b32_e64 v60, v60, s6, vcc_lo
	s_add_i32 s6, s6, 1
	s_cmp_lg_u32 s5, s6
	s_cbranch_scc1 .LBB24_43
.LBB24_44:
	s_set_inst_prefetch_distance 0x2
	s_waitcnt lgkmcnt(0)
	v_cmp_eq_f64_e32 vcc_lo, 0, v[52:53]
	v_cmp_eq_f64_e64 s2, 0, v[54:55]
	s_delay_alu instid0(VALU_DEP_1) | instskip(NEXT) | instid1(SALU_CYCLE_1)
	s_and_b32 s2, vcc_lo, s2
	s_and_saveexec_b32 s3, s2
	s_delay_alu instid0(SALU_CYCLE_1)
	s_xor_b32 s2, exec_lo, s3
; %bb.45:
	v_cmp_ne_u32_e32 vcc_lo, 0, v66
	v_cndmask_b32_e32 v66, 3, v66, vcc_lo
; %bb.46:
	s_and_not1_saveexec_b32 s3, s2
	s_cbranch_execz .LBB24_52
; %bb.47:
	v_cmp_gt_f64_e32 vcc_lo, 0, v[52:53]
	v_cmp_gt_f64_e64 s2, 0, v[54:55]
	v_xor_b32_e32 v61, 0x80000000, v53
	v_xor_b32_e32 v69, 0x80000000, v55
	s_delay_alu instid0(VALU_DEP_2) | instskip(NEXT) | instid1(VALU_DEP_2)
	v_cndmask_b32_e32 v70, v53, v61, vcc_lo
	v_cndmask_b32_e64 v72, v55, v69, s2
	v_cndmask_b32_e32 v69, v52, v52, vcc_lo
	v_cndmask_b32_e64 v71, v54, v54, s2
	s_mov_b32 s2, exec_lo
	s_delay_alu instid0(VALU_DEP_1)
	v_cmpx_ngt_f64_e32 v[69:70], v[71:72]
	s_xor_b32 s2, exec_lo, s2
	s_cbranch_execz .LBB24_49
; %bb.48:
	v_div_scale_f64 v[69:70], null, v[54:55], v[54:55], v[52:53]
	v_div_scale_f64 v[75:76], vcc_lo, v[52:53], v[54:55], v[52:53]
	s_delay_alu instid0(VALU_DEP_2) | instskip(SKIP_2) | instid1(VALU_DEP_1)
	v_rcp_f64_e32 v[71:72], v[69:70]
	s_waitcnt_depctr 0xfff
	v_fma_f64 v[73:74], -v[69:70], v[71:72], 1.0
	v_fma_f64 v[71:72], v[71:72], v[73:74], v[71:72]
	s_delay_alu instid0(VALU_DEP_1) | instskip(NEXT) | instid1(VALU_DEP_1)
	v_fma_f64 v[73:74], -v[69:70], v[71:72], 1.0
	v_fma_f64 v[71:72], v[71:72], v[73:74], v[71:72]
	s_delay_alu instid0(VALU_DEP_1) | instskip(NEXT) | instid1(VALU_DEP_1)
	v_mul_f64 v[73:74], v[75:76], v[71:72]
	v_fma_f64 v[69:70], -v[69:70], v[73:74], v[75:76]
	s_delay_alu instid0(VALU_DEP_1) | instskip(NEXT) | instid1(VALU_DEP_1)
	v_div_fmas_f64 v[69:70], v[69:70], v[71:72], v[73:74]
	v_div_fixup_f64 v[69:70], v[69:70], v[54:55], v[52:53]
	s_delay_alu instid0(VALU_DEP_1) | instskip(NEXT) | instid1(VALU_DEP_1)
	v_fma_f64 v[52:53], v[52:53], v[69:70], v[54:55]
	v_div_scale_f64 v[54:55], null, v[52:53], v[52:53], 1.0
	s_delay_alu instid0(VALU_DEP_1) | instskip(SKIP_2) | instid1(VALU_DEP_1)
	v_rcp_f64_e32 v[71:72], v[54:55]
	s_waitcnt_depctr 0xfff
	v_fma_f64 v[73:74], -v[54:55], v[71:72], 1.0
	v_fma_f64 v[71:72], v[71:72], v[73:74], v[71:72]
	s_delay_alu instid0(VALU_DEP_1) | instskip(NEXT) | instid1(VALU_DEP_1)
	v_fma_f64 v[73:74], -v[54:55], v[71:72], 1.0
	v_fma_f64 v[71:72], v[71:72], v[73:74], v[71:72]
	v_div_scale_f64 v[73:74], vcc_lo, 1.0, v[52:53], 1.0
	s_delay_alu instid0(VALU_DEP_1) | instskip(NEXT) | instid1(VALU_DEP_1)
	v_mul_f64 v[75:76], v[73:74], v[71:72]
	v_fma_f64 v[54:55], -v[54:55], v[75:76], v[73:74]
	s_delay_alu instid0(VALU_DEP_1) | instskip(NEXT) | instid1(VALU_DEP_1)
	v_div_fmas_f64 v[54:55], v[54:55], v[71:72], v[75:76]
	v_div_fixup_f64 v[54:55], v[54:55], v[52:53], 1.0
	s_delay_alu instid0(VALU_DEP_1)
	v_mul_f64 v[52:53], v[69:70], v[54:55]
	v_xor_b32_e32 v55, 0x80000000, v55
.LBB24_49:
	s_and_not1_saveexec_b32 s2, s2
	s_cbranch_execz .LBB24_51
; %bb.50:
	s_delay_alu instid0(VALU_DEP_1) | instskip(SKIP_1) | instid1(VALU_DEP_2)
	v_div_scale_f64 v[69:70], null, v[52:53], v[52:53], v[54:55]
	v_div_scale_f64 v[75:76], vcc_lo, v[54:55], v[52:53], v[54:55]
	v_rcp_f64_e32 v[71:72], v[69:70]
	s_waitcnt_depctr 0xfff
	v_fma_f64 v[73:74], -v[69:70], v[71:72], 1.0
	s_delay_alu instid0(VALU_DEP_1) | instskip(NEXT) | instid1(VALU_DEP_1)
	v_fma_f64 v[71:72], v[71:72], v[73:74], v[71:72]
	v_fma_f64 v[73:74], -v[69:70], v[71:72], 1.0
	s_delay_alu instid0(VALU_DEP_1) | instskip(NEXT) | instid1(VALU_DEP_1)
	v_fma_f64 v[71:72], v[71:72], v[73:74], v[71:72]
	v_mul_f64 v[73:74], v[75:76], v[71:72]
	s_delay_alu instid0(VALU_DEP_1) | instskip(NEXT) | instid1(VALU_DEP_1)
	v_fma_f64 v[69:70], -v[69:70], v[73:74], v[75:76]
	v_div_fmas_f64 v[69:70], v[69:70], v[71:72], v[73:74]
	s_delay_alu instid0(VALU_DEP_1) | instskip(NEXT) | instid1(VALU_DEP_1)
	v_div_fixup_f64 v[69:70], v[69:70], v[52:53], v[54:55]
	v_fma_f64 v[52:53], v[54:55], v[69:70], v[52:53]
	s_delay_alu instid0(VALU_DEP_1) | instskip(NEXT) | instid1(VALU_DEP_1)
	v_div_scale_f64 v[54:55], null, v[52:53], v[52:53], 1.0
	v_rcp_f64_e32 v[71:72], v[54:55]
	s_waitcnt_depctr 0xfff
	v_fma_f64 v[73:74], -v[54:55], v[71:72], 1.0
	s_delay_alu instid0(VALU_DEP_1) | instskip(NEXT) | instid1(VALU_DEP_1)
	v_fma_f64 v[71:72], v[71:72], v[73:74], v[71:72]
	v_fma_f64 v[73:74], -v[54:55], v[71:72], 1.0
	s_delay_alu instid0(VALU_DEP_1) | instskip(SKIP_1) | instid1(VALU_DEP_1)
	v_fma_f64 v[71:72], v[71:72], v[73:74], v[71:72]
	v_div_scale_f64 v[73:74], vcc_lo, 1.0, v[52:53], 1.0
	v_mul_f64 v[75:76], v[73:74], v[71:72]
	s_delay_alu instid0(VALU_DEP_1) | instskip(NEXT) | instid1(VALU_DEP_1)
	v_fma_f64 v[54:55], -v[54:55], v[75:76], v[73:74]
	v_div_fmas_f64 v[54:55], v[54:55], v[71:72], v[75:76]
	s_delay_alu instid0(VALU_DEP_1) | instskip(NEXT) | instid1(VALU_DEP_1)
	v_div_fixup_f64 v[52:53], v[54:55], v[52:53], 1.0
	v_mul_f64 v[54:55], v[69:70], -v[52:53]
.LBB24_51:
	s_or_b32 exec_lo, exec_lo, s2
.LBB24_52:
	s_delay_alu instid0(SALU_CYCLE_1) | instskip(NEXT) | instid1(SALU_CYCLE_1)
	s_or_b32 exec_lo, exec_lo, s3
	s_mov_b32 s2, exec_lo
	v_cmpx_ne_u32_e64 v68, v60
	s_xor_b32 s2, exec_lo, s2
	s_cbranch_execz .LBB24_58
; %bb.53:
	s_mov_b32 s3, exec_lo
	v_cmpx_eq_u32_e32 2, v68
	s_cbranch_execz .LBB24_57
; %bb.54:
	v_cmp_ne_u32_e32 vcc_lo, 2, v60
	s_xor_b32 s6, s4, -1
	s_delay_alu instid0(SALU_CYCLE_1) | instskip(NEXT) | instid1(SALU_CYCLE_1)
	s_and_b32 s7, s6, vcc_lo
	s_and_saveexec_b32 s6, s7
	s_cbranch_execz .LBB24_56
; %bb.55:
	v_ashrrev_i32_e32 v61, 31, v60
	s_delay_alu instid0(VALU_DEP_1) | instskip(NEXT) | instid1(VALU_DEP_1)
	v_lshlrev_b64 v[68:69], 2, v[60:61]
	v_add_co_u32 v68, vcc_lo, v58, v68
	s_delay_alu instid0(VALU_DEP_2)
	v_add_co_ci_u32_e32 v69, vcc_lo, v59, v69, vcc_lo
	s_clause 0x1
	flat_load_b32 v61, v[68:69]
	flat_load_b32 v65, v[58:59] offset:8
	s_waitcnt vmcnt(1) lgkmcnt(1)
	flat_store_b32 v[58:59], v61 offset:8
	s_waitcnt vmcnt(0) lgkmcnt(1)
	flat_store_b32 v[68:69], v65
.LBB24_56:
	s_or_b32 exec_lo, exec_lo, s6
	v_mov_b32_e32 v68, v60
	v_mov_b32_e32 v65, v60
.LBB24_57:
	s_or_b32 exec_lo, exec_lo, s3
.LBB24_58:
	s_and_not1_saveexec_b32 s2, s2
	s_cbranch_execz .LBB24_60
; %bb.59:
	v_mov_b32_e32 v68, 2
	ds_store_2addr_b64 v62, v[36:37], v[38:39] offset0:6 offset1:7
	ds_store_2addr_b64 v62, v[32:33], v[34:35] offset0:8 offset1:9
	ds_store_2addr_b64 v62, v[28:29], v[30:31] offset0:10 offset1:11
	ds_store_2addr_b64 v62, v[24:25], v[26:27] offset0:12 offset1:13
	ds_store_2addr_b64 v62, v[20:21], v[22:23] offset0:14 offset1:15
	ds_store_2addr_b64 v62, v[16:17], v[18:19] offset0:16 offset1:17
	ds_store_2addr_b64 v62, v[12:13], v[14:15] offset0:18 offset1:19
	ds_store_2addr_b64 v62, v[8:9], v[10:11] offset0:20 offset1:21
	ds_store_2addr_b64 v62, v[4:5], v[6:7] offset0:22 offset1:23
	ds_store_2addr_b64 v62, v[0:1], v[2:3] offset0:24 offset1:25
.LBB24_60:
	s_or_b32 exec_lo, exec_lo, s2
	s_delay_alu instid0(SALU_CYCLE_1)
	s_mov_b32 s2, exec_lo
	s_waitcnt lgkmcnt(0)
	s_waitcnt_vscnt null, 0x0
	s_barrier
	buffer_gl0_inv
	v_cmpx_lt_i32_e32 2, v68
	s_cbranch_execz .LBB24_62
; %bb.61:
	v_mul_f64 v[60:61], v[52:53], v[50:51]
	v_mul_f64 v[50:51], v[54:55], v[50:51]
	ds_load_2addr_b64 v[69:72], v62 offset0:6 offset1:7
	ds_load_2addr_b64 v[73:76], v62 offset0:8 offset1:9
	ds_load_2addr_b64 v[77:80], v62 offset0:10 offset1:11
	ds_load_2addr_b64 v[81:84], v62 offset0:12 offset1:13
	ds_load_2addr_b64 v[85:88], v62 offset0:14 offset1:15
	ds_load_2addr_b64 v[89:92], v62 offset0:16 offset1:17
	ds_load_2addr_b64 v[93:96], v62 offset0:18 offset1:19
	ds_load_2addr_b64 v[97:100], v62 offset0:20 offset1:21
	ds_load_2addr_b64 v[101:104], v62 offset0:22 offset1:23
	ds_load_2addr_b64 v[105:108], v62 offset0:24 offset1:25
	v_fma_f64 v[54:55], v[54:55], v[48:49], v[60:61]
	v_fma_f64 v[48:49], v[52:53], v[48:49], -v[50:51]
	s_waitcnt lgkmcnt(9)
	s_delay_alu instid0(VALU_DEP_2)
	v_mul_f64 v[50:51], v[71:72], v[54:55]
	v_mul_f64 v[52:53], v[69:70], v[54:55]
	s_waitcnt lgkmcnt(8)
	v_mul_f64 v[60:61], v[75:76], v[54:55]
	v_mul_f64 v[109:110], v[73:74], v[54:55]
	s_waitcnt lgkmcnt(7)
	;; [unrolled: 3-line block ×9, first 2 shown]
	v_mul_f64 v[139:140], v[107:108], v[54:55]
	v_mul_f64 v[141:142], v[105:106], v[54:55]
	v_fma_f64 v[50:51], v[69:70], v[48:49], -v[50:51]
	v_fma_f64 v[52:53], v[71:72], v[48:49], v[52:53]
	v_fma_f64 v[60:61], v[73:74], v[48:49], -v[60:61]
	v_fma_f64 v[69:70], v[75:76], v[48:49], v[109:110]
	;; [unrolled: 2-line block ×10, first 2 shown]
	v_add_f64 v[36:37], v[36:37], -v[50:51]
	v_add_f64 v[38:39], v[38:39], -v[52:53]
	;; [unrolled: 1-line block ×20, first 2 shown]
	v_dual_mov_b32 v50, v54 :: v_dual_mov_b32 v51, v55
.LBB24_62:
	s_or_b32 exec_lo, exec_lo, s2
	v_lshl_add_u32 v52, v68, 4, v62
	s_barrier
	buffer_gl0_inv
	v_mov_b32_e32 v60, 3
	ds_store_2addr_b64 v52, v[36:37], v[38:39] offset1:1
	s_waitcnt lgkmcnt(0)
	s_barrier
	buffer_gl0_inv
	ds_load_2addr_b64 v[52:55], v62 offset0:6 offset1:7
	s_cmp_lt_i32 s5, 5
	s_mov_b32 s6, 4
	s_cbranch_scc1 .LBB24_65
; %bb.63:
	v_add3_u32 v61, v67, 0, 64
	v_mov_b32_e32 v60, 3
	s_set_inst_prefetch_distance 0x1
	.p2align	6
.LBB24_64:                              ; =>This Inner Loop Header: Depth=1
	ds_load_2addr_b64 v[69:72], v61 offset1:1
	s_waitcnt lgkmcnt(1)
	v_cmp_gt_f64_e32 vcc_lo, 0, v[52:53]
	v_xor_b32_e32 v73, 0x80000000, v53
	v_cmp_gt_f64_e64 s2, 0, v[54:55]
	v_xor_b32_e32 v75, 0x80000000, v55
	v_add_nc_u32_e32 v61, 16, v61
	s_waitcnt lgkmcnt(0)
	v_cmp_gt_f64_e64 s3, 0, v[69:70]
	v_mov_b32_e32 v77, v69
	v_dual_mov_b32 v79, v71 :: v_dual_cndmask_b32 v74, v53, v73
	v_xor_b32_e32 v73, 0x80000000, v70
	v_cndmask_b32_e64 v76, v55, v75, s2
	v_xor_b32_e32 v75, 0x80000000, v72
	s_delay_alu instid0(VALU_DEP_3) | instskip(SKIP_2) | instid1(VALU_DEP_2)
	v_cndmask_b32_e64 v78, v70, v73, s3
	v_cmp_gt_f64_e64 s3, 0, v[71:72]
	v_cndmask_b32_e32 v73, v52, v52, vcc_lo
	v_cndmask_b32_e64 v80, v72, v75, s3
	v_cndmask_b32_e64 v75, v54, v54, s2
	s_delay_alu instid0(VALU_DEP_2) | instskip(NEXT) | instid1(VALU_DEP_2)
	v_add_f64 v[77:78], v[77:78], v[79:80]
	v_add_f64 v[73:74], v[73:74], v[75:76]
	s_delay_alu instid0(VALU_DEP_1) | instskip(SKIP_4) | instid1(SALU_CYCLE_1)
	v_cmp_lt_f64_e32 vcc_lo, v[73:74], v[77:78]
	v_dual_cndmask_b32 v54, v54, v71 :: v_dual_cndmask_b32 v53, v53, v70
	v_dual_cndmask_b32 v52, v52, v69 :: v_dual_cndmask_b32 v55, v55, v72
	v_cndmask_b32_e64 v60, v60, s6, vcc_lo
	s_add_i32 s6, s6, 1
	s_cmp_lg_u32 s5, s6
	s_cbranch_scc1 .LBB24_64
.LBB24_65:
	s_set_inst_prefetch_distance 0x2
	s_waitcnt lgkmcnt(0)
	v_cmp_eq_f64_e32 vcc_lo, 0, v[52:53]
	v_cmp_eq_f64_e64 s2, 0, v[54:55]
	s_delay_alu instid0(VALU_DEP_1) | instskip(NEXT) | instid1(SALU_CYCLE_1)
	s_and_b32 s2, vcc_lo, s2
	s_and_saveexec_b32 s3, s2
	s_delay_alu instid0(SALU_CYCLE_1)
	s_xor_b32 s2, exec_lo, s3
; %bb.66:
	v_cmp_ne_u32_e32 vcc_lo, 0, v66
	v_cndmask_b32_e32 v66, 4, v66, vcc_lo
; %bb.67:
	s_and_not1_saveexec_b32 s3, s2
	s_cbranch_execz .LBB24_73
; %bb.68:
	v_cmp_gt_f64_e32 vcc_lo, 0, v[52:53]
	v_cmp_gt_f64_e64 s2, 0, v[54:55]
	v_xor_b32_e32 v61, 0x80000000, v53
	v_xor_b32_e32 v69, 0x80000000, v55
	s_delay_alu instid0(VALU_DEP_2) | instskip(NEXT) | instid1(VALU_DEP_2)
	v_cndmask_b32_e32 v70, v53, v61, vcc_lo
	v_cndmask_b32_e64 v72, v55, v69, s2
	v_cndmask_b32_e32 v69, v52, v52, vcc_lo
	v_cndmask_b32_e64 v71, v54, v54, s2
	s_mov_b32 s2, exec_lo
	s_delay_alu instid0(VALU_DEP_1)
	v_cmpx_ngt_f64_e32 v[69:70], v[71:72]
	s_xor_b32 s2, exec_lo, s2
	s_cbranch_execz .LBB24_70
; %bb.69:
	v_div_scale_f64 v[69:70], null, v[54:55], v[54:55], v[52:53]
	v_div_scale_f64 v[75:76], vcc_lo, v[52:53], v[54:55], v[52:53]
	s_delay_alu instid0(VALU_DEP_2) | instskip(SKIP_2) | instid1(VALU_DEP_1)
	v_rcp_f64_e32 v[71:72], v[69:70]
	s_waitcnt_depctr 0xfff
	v_fma_f64 v[73:74], -v[69:70], v[71:72], 1.0
	v_fma_f64 v[71:72], v[71:72], v[73:74], v[71:72]
	s_delay_alu instid0(VALU_DEP_1) | instskip(NEXT) | instid1(VALU_DEP_1)
	v_fma_f64 v[73:74], -v[69:70], v[71:72], 1.0
	v_fma_f64 v[71:72], v[71:72], v[73:74], v[71:72]
	s_delay_alu instid0(VALU_DEP_1) | instskip(NEXT) | instid1(VALU_DEP_1)
	v_mul_f64 v[73:74], v[75:76], v[71:72]
	v_fma_f64 v[69:70], -v[69:70], v[73:74], v[75:76]
	s_delay_alu instid0(VALU_DEP_1) | instskip(NEXT) | instid1(VALU_DEP_1)
	v_div_fmas_f64 v[69:70], v[69:70], v[71:72], v[73:74]
	v_div_fixup_f64 v[69:70], v[69:70], v[54:55], v[52:53]
	s_delay_alu instid0(VALU_DEP_1) | instskip(NEXT) | instid1(VALU_DEP_1)
	v_fma_f64 v[52:53], v[52:53], v[69:70], v[54:55]
	v_div_scale_f64 v[54:55], null, v[52:53], v[52:53], 1.0
	s_delay_alu instid0(VALU_DEP_1) | instskip(SKIP_2) | instid1(VALU_DEP_1)
	v_rcp_f64_e32 v[71:72], v[54:55]
	s_waitcnt_depctr 0xfff
	v_fma_f64 v[73:74], -v[54:55], v[71:72], 1.0
	v_fma_f64 v[71:72], v[71:72], v[73:74], v[71:72]
	s_delay_alu instid0(VALU_DEP_1) | instskip(NEXT) | instid1(VALU_DEP_1)
	v_fma_f64 v[73:74], -v[54:55], v[71:72], 1.0
	v_fma_f64 v[71:72], v[71:72], v[73:74], v[71:72]
	v_div_scale_f64 v[73:74], vcc_lo, 1.0, v[52:53], 1.0
	s_delay_alu instid0(VALU_DEP_1) | instskip(NEXT) | instid1(VALU_DEP_1)
	v_mul_f64 v[75:76], v[73:74], v[71:72]
	v_fma_f64 v[54:55], -v[54:55], v[75:76], v[73:74]
	s_delay_alu instid0(VALU_DEP_1) | instskip(NEXT) | instid1(VALU_DEP_1)
	v_div_fmas_f64 v[54:55], v[54:55], v[71:72], v[75:76]
	v_div_fixup_f64 v[54:55], v[54:55], v[52:53], 1.0
	s_delay_alu instid0(VALU_DEP_1)
	v_mul_f64 v[52:53], v[69:70], v[54:55]
	v_xor_b32_e32 v55, 0x80000000, v55
.LBB24_70:
	s_and_not1_saveexec_b32 s2, s2
	s_cbranch_execz .LBB24_72
; %bb.71:
	s_delay_alu instid0(VALU_DEP_1) | instskip(SKIP_1) | instid1(VALU_DEP_2)
	v_div_scale_f64 v[69:70], null, v[52:53], v[52:53], v[54:55]
	v_div_scale_f64 v[75:76], vcc_lo, v[54:55], v[52:53], v[54:55]
	v_rcp_f64_e32 v[71:72], v[69:70]
	s_waitcnt_depctr 0xfff
	v_fma_f64 v[73:74], -v[69:70], v[71:72], 1.0
	s_delay_alu instid0(VALU_DEP_1) | instskip(NEXT) | instid1(VALU_DEP_1)
	v_fma_f64 v[71:72], v[71:72], v[73:74], v[71:72]
	v_fma_f64 v[73:74], -v[69:70], v[71:72], 1.0
	s_delay_alu instid0(VALU_DEP_1) | instskip(NEXT) | instid1(VALU_DEP_1)
	v_fma_f64 v[71:72], v[71:72], v[73:74], v[71:72]
	v_mul_f64 v[73:74], v[75:76], v[71:72]
	s_delay_alu instid0(VALU_DEP_1) | instskip(NEXT) | instid1(VALU_DEP_1)
	v_fma_f64 v[69:70], -v[69:70], v[73:74], v[75:76]
	v_div_fmas_f64 v[69:70], v[69:70], v[71:72], v[73:74]
	s_delay_alu instid0(VALU_DEP_1) | instskip(NEXT) | instid1(VALU_DEP_1)
	v_div_fixup_f64 v[69:70], v[69:70], v[52:53], v[54:55]
	v_fma_f64 v[52:53], v[54:55], v[69:70], v[52:53]
	s_delay_alu instid0(VALU_DEP_1) | instskip(NEXT) | instid1(VALU_DEP_1)
	v_div_scale_f64 v[54:55], null, v[52:53], v[52:53], 1.0
	v_rcp_f64_e32 v[71:72], v[54:55]
	s_waitcnt_depctr 0xfff
	v_fma_f64 v[73:74], -v[54:55], v[71:72], 1.0
	s_delay_alu instid0(VALU_DEP_1) | instskip(NEXT) | instid1(VALU_DEP_1)
	v_fma_f64 v[71:72], v[71:72], v[73:74], v[71:72]
	v_fma_f64 v[73:74], -v[54:55], v[71:72], 1.0
	s_delay_alu instid0(VALU_DEP_1) | instskip(SKIP_1) | instid1(VALU_DEP_1)
	v_fma_f64 v[71:72], v[71:72], v[73:74], v[71:72]
	v_div_scale_f64 v[73:74], vcc_lo, 1.0, v[52:53], 1.0
	v_mul_f64 v[75:76], v[73:74], v[71:72]
	s_delay_alu instid0(VALU_DEP_1) | instskip(NEXT) | instid1(VALU_DEP_1)
	v_fma_f64 v[54:55], -v[54:55], v[75:76], v[73:74]
	v_div_fmas_f64 v[54:55], v[54:55], v[71:72], v[75:76]
	s_delay_alu instid0(VALU_DEP_1) | instskip(NEXT) | instid1(VALU_DEP_1)
	v_div_fixup_f64 v[52:53], v[54:55], v[52:53], 1.0
	v_mul_f64 v[54:55], v[69:70], -v[52:53]
.LBB24_72:
	s_or_b32 exec_lo, exec_lo, s2
.LBB24_73:
	s_delay_alu instid0(SALU_CYCLE_1) | instskip(NEXT) | instid1(SALU_CYCLE_1)
	s_or_b32 exec_lo, exec_lo, s3
	s_mov_b32 s2, exec_lo
	v_cmpx_ne_u32_e64 v68, v60
	s_xor_b32 s2, exec_lo, s2
	s_cbranch_execz .LBB24_79
; %bb.74:
	s_mov_b32 s3, exec_lo
	v_cmpx_eq_u32_e32 3, v68
	s_cbranch_execz .LBB24_78
; %bb.75:
	v_cmp_ne_u32_e32 vcc_lo, 3, v60
	s_xor_b32 s6, s4, -1
	s_delay_alu instid0(SALU_CYCLE_1) | instskip(NEXT) | instid1(SALU_CYCLE_1)
	s_and_b32 s7, s6, vcc_lo
	s_and_saveexec_b32 s6, s7
	s_cbranch_execz .LBB24_77
; %bb.76:
	v_ashrrev_i32_e32 v61, 31, v60
	s_delay_alu instid0(VALU_DEP_1) | instskip(NEXT) | instid1(VALU_DEP_1)
	v_lshlrev_b64 v[68:69], 2, v[60:61]
	v_add_co_u32 v68, vcc_lo, v58, v68
	s_delay_alu instid0(VALU_DEP_2)
	v_add_co_ci_u32_e32 v69, vcc_lo, v59, v69, vcc_lo
	s_clause 0x1
	flat_load_b32 v61, v[68:69]
	flat_load_b32 v65, v[58:59] offset:12
	s_waitcnt vmcnt(1) lgkmcnt(1)
	flat_store_b32 v[58:59], v61 offset:12
	s_waitcnt vmcnt(0) lgkmcnt(1)
	flat_store_b32 v[68:69], v65
.LBB24_77:
	s_or_b32 exec_lo, exec_lo, s6
	v_mov_b32_e32 v68, v60
	v_mov_b32_e32 v65, v60
.LBB24_78:
	s_or_b32 exec_lo, exec_lo, s3
.LBB24_79:
	s_and_not1_saveexec_b32 s2, s2
	s_cbranch_execz .LBB24_81
; %bb.80:
	v_mov_b32_e32 v68, 3
	ds_store_2addr_b64 v62, v[32:33], v[34:35] offset0:8 offset1:9
	ds_store_2addr_b64 v62, v[28:29], v[30:31] offset0:10 offset1:11
	;; [unrolled: 1-line block ×9, first 2 shown]
.LBB24_81:
	s_or_b32 exec_lo, exec_lo, s2
	s_delay_alu instid0(SALU_CYCLE_1)
	s_mov_b32 s2, exec_lo
	s_waitcnt lgkmcnt(0)
	s_waitcnt_vscnt null, 0x0
	s_barrier
	buffer_gl0_inv
	v_cmpx_lt_i32_e32 3, v68
	s_cbranch_execz .LBB24_83
; %bb.82:
	v_mul_f64 v[60:61], v[52:53], v[38:39]
	v_mul_f64 v[38:39], v[54:55], v[38:39]
	ds_load_2addr_b64 v[69:72], v62 offset0:8 offset1:9
	ds_load_2addr_b64 v[73:76], v62 offset0:10 offset1:11
	;; [unrolled: 1-line block ×9, first 2 shown]
	v_fma_f64 v[54:55], v[54:55], v[36:37], v[60:61]
	v_fma_f64 v[36:37], v[52:53], v[36:37], -v[38:39]
	s_waitcnt lgkmcnt(8)
	s_delay_alu instid0(VALU_DEP_2)
	v_mul_f64 v[38:39], v[71:72], v[54:55]
	v_mul_f64 v[52:53], v[69:70], v[54:55]
	s_waitcnt lgkmcnt(7)
	v_mul_f64 v[60:61], v[75:76], v[54:55]
	v_mul_f64 v[105:106], v[73:74], v[54:55]
	s_waitcnt lgkmcnt(6)
	v_mul_f64 v[107:108], v[79:80], v[54:55]
	v_mul_f64 v[109:110], v[77:78], v[54:55]
	s_waitcnt lgkmcnt(5)
	v_mul_f64 v[111:112], v[83:84], v[54:55]
	v_mul_f64 v[113:114], v[81:82], v[54:55]
	s_waitcnt lgkmcnt(4)
	v_mul_f64 v[115:116], v[87:88], v[54:55]
	v_mul_f64 v[117:118], v[85:86], v[54:55]
	s_waitcnt lgkmcnt(3)
	v_mul_f64 v[119:120], v[91:92], v[54:55]
	v_mul_f64 v[121:122], v[89:90], v[54:55]
	s_waitcnt lgkmcnt(2)
	v_mul_f64 v[123:124], v[95:96], v[54:55]
	v_mul_f64 v[125:126], v[93:94], v[54:55]
	s_waitcnt lgkmcnt(1)
	v_mul_f64 v[127:128], v[99:100], v[54:55]
	v_mul_f64 v[129:130], v[97:98], v[54:55]
	s_waitcnt lgkmcnt(0)
	v_mul_f64 v[131:132], v[103:104], v[54:55]
	v_mul_f64 v[133:134], v[101:102], v[54:55]
	v_fma_f64 v[38:39], v[69:70], v[36:37], -v[38:39]
	v_fma_f64 v[52:53], v[71:72], v[36:37], v[52:53]
	v_fma_f64 v[60:61], v[73:74], v[36:37], -v[60:61]
	v_fma_f64 v[69:70], v[75:76], v[36:37], v[105:106]
	;; [unrolled: 2-line block ×9, first 2 shown]
	v_add_f64 v[32:33], v[32:33], -v[38:39]
	v_add_f64 v[34:35], v[34:35], -v[52:53]
	;; [unrolled: 1-line block ×18, first 2 shown]
	v_dual_mov_b32 v38, v54 :: v_dual_mov_b32 v39, v55
.LBB24_83:
	s_or_b32 exec_lo, exec_lo, s2
	v_lshl_add_u32 v52, v68, 4, v62
	s_barrier
	buffer_gl0_inv
	v_mov_b32_e32 v60, 4
	ds_store_2addr_b64 v52, v[32:33], v[34:35] offset1:1
	s_waitcnt lgkmcnt(0)
	s_barrier
	buffer_gl0_inv
	ds_load_2addr_b64 v[52:55], v62 offset0:8 offset1:9
	s_cmp_lt_i32 s5, 6
	s_cbranch_scc1 .LBB24_86
; %bb.84:
	v_add3_u32 v61, v67, 0, 0x50
	v_mov_b32_e32 v60, 4
	s_mov_b32 s6, 5
	s_set_inst_prefetch_distance 0x1
	.p2align	6
.LBB24_85:                              ; =>This Inner Loop Header: Depth=1
	ds_load_2addr_b64 v[69:72], v61 offset1:1
	s_waitcnt lgkmcnt(1)
	v_cmp_gt_f64_e32 vcc_lo, 0, v[52:53]
	v_xor_b32_e32 v73, 0x80000000, v53
	v_cmp_gt_f64_e64 s2, 0, v[54:55]
	v_xor_b32_e32 v75, 0x80000000, v55
	v_add_nc_u32_e32 v61, 16, v61
	s_waitcnt lgkmcnt(0)
	v_cmp_gt_f64_e64 s3, 0, v[69:70]
	v_mov_b32_e32 v77, v69
	v_dual_mov_b32 v79, v71 :: v_dual_cndmask_b32 v74, v53, v73
	v_xor_b32_e32 v73, 0x80000000, v70
	v_cndmask_b32_e64 v76, v55, v75, s2
	v_xor_b32_e32 v75, 0x80000000, v72
	s_delay_alu instid0(VALU_DEP_3) | instskip(SKIP_2) | instid1(VALU_DEP_2)
	v_cndmask_b32_e64 v78, v70, v73, s3
	v_cmp_gt_f64_e64 s3, 0, v[71:72]
	v_cndmask_b32_e32 v73, v52, v52, vcc_lo
	v_cndmask_b32_e64 v80, v72, v75, s3
	v_cndmask_b32_e64 v75, v54, v54, s2
	s_delay_alu instid0(VALU_DEP_2) | instskip(NEXT) | instid1(VALU_DEP_2)
	v_add_f64 v[77:78], v[77:78], v[79:80]
	v_add_f64 v[73:74], v[73:74], v[75:76]
	s_delay_alu instid0(VALU_DEP_1) | instskip(SKIP_4) | instid1(SALU_CYCLE_1)
	v_cmp_lt_f64_e32 vcc_lo, v[73:74], v[77:78]
	v_dual_cndmask_b32 v54, v54, v71 :: v_dual_cndmask_b32 v53, v53, v70
	v_dual_cndmask_b32 v52, v52, v69 :: v_dual_cndmask_b32 v55, v55, v72
	v_cndmask_b32_e64 v60, v60, s6, vcc_lo
	s_add_i32 s6, s6, 1
	s_cmp_lg_u32 s5, s6
	s_cbranch_scc1 .LBB24_85
.LBB24_86:
	s_set_inst_prefetch_distance 0x2
	s_waitcnt lgkmcnt(0)
	v_cmp_eq_f64_e32 vcc_lo, 0, v[52:53]
	v_cmp_eq_f64_e64 s2, 0, v[54:55]
	s_delay_alu instid0(VALU_DEP_1) | instskip(NEXT) | instid1(SALU_CYCLE_1)
	s_and_b32 s2, vcc_lo, s2
	s_and_saveexec_b32 s3, s2
	s_delay_alu instid0(SALU_CYCLE_1)
	s_xor_b32 s2, exec_lo, s3
; %bb.87:
	v_cmp_ne_u32_e32 vcc_lo, 0, v66
	v_cndmask_b32_e32 v66, 5, v66, vcc_lo
; %bb.88:
	s_and_not1_saveexec_b32 s3, s2
	s_cbranch_execz .LBB24_94
; %bb.89:
	v_cmp_gt_f64_e32 vcc_lo, 0, v[52:53]
	v_cmp_gt_f64_e64 s2, 0, v[54:55]
	v_xor_b32_e32 v61, 0x80000000, v53
	v_xor_b32_e32 v69, 0x80000000, v55
	s_delay_alu instid0(VALU_DEP_2) | instskip(NEXT) | instid1(VALU_DEP_2)
	v_cndmask_b32_e32 v70, v53, v61, vcc_lo
	v_cndmask_b32_e64 v72, v55, v69, s2
	v_cndmask_b32_e32 v69, v52, v52, vcc_lo
	v_cndmask_b32_e64 v71, v54, v54, s2
	s_mov_b32 s2, exec_lo
	s_delay_alu instid0(VALU_DEP_1)
	v_cmpx_ngt_f64_e32 v[69:70], v[71:72]
	s_xor_b32 s2, exec_lo, s2
	s_cbranch_execz .LBB24_91
; %bb.90:
	v_div_scale_f64 v[69:70], null, v[54:55], v[54:55], v[52:53]
	v_div_scale_f64 v[75:76], vcc_lo, v[52:53], v[54:55], v[52:53]
	s_delay_alu instid0(VALU_DEP_2) | instskip(SKIP_2) | instid1(VALU_DEP_1)
	v_rcp_f64_e32 v[71:72], v[69:70]
	s_waitcnt_depctr 0xfff
	v_fma_f64 v[73:74], -v[69:70], v[71:72], 1.0
	v_fma_f64 v[71:72], v[71:72], v[73:74], v[71:72]
	s_delay_alu instid0(VALU_DEP_1) | instskip(NEXT) | instid1(VALU_DEP_1)
	v_fma_f64 v[73:74], -v[69:70], v[71:72], 1.0
	v_fma_f64 v[71:72], v[71:72], v[73:74], v[71:72]
	s_delay_alu instid0(VALU_DEP_1) | instskip(NEXT) | instid1(VALU_DEP_1)
	v_mul_f64 v[73:74], v[75:76], v[71:72]
	v_fma_f64 v[69:70], -v[69:70], v[73:74], v[75:76]
	s_delay_alu instid0(VALU_DEP_1) | instskip(NEXT) | instid1(VALU_DEP_1)
	v_div_fmas_f64 v[69:70], v[69:70], v[71:72], v[73:74]
	v_div_fixup_f64 v[69:70], v[69:70], v[54:55], v[52:53]
	s_delay_alu instid0(VALU_DEP_1) | instskip(NEXT) | instid1(VALU_DEP_1)
	v_fma_f64 v[52:53], v[52:53], v[69:70], v[54:55]
	v_div_scale_f64 v[54:55], null, v[52:53], v[52:53], 1.0
	s_delay_alu instid0(VALU_DEP_1) | instskip(SKIP_2) | instid1(VALU_DEP_1)
	v_rcp_f64_e32 v[71:72], v[54:55]
	s_waitcnt_depctr 0xfff
	v_fma_f64 v[73:74], -v[54:55], v[71:72], 1.0
	v_fma_f64 v[71:72], v[71:72], v[73:74], v[71:72]
	s_delay_alu instid0(VALU_DEP_1) | instskip(NEXT) | instid1(VALU_DEP_1)
	v_fma_f64 v[73:74], -v[54:55], v[71:72], 1.0
	v_fma_f64 v[71:72], v[71:72], v[73:74], v[71:72]
	v_div_scale_f64 v[73:74], vcc_lo, 1.0, v[52:53], 1.0
	s_delay_alu instid0(VALU_DEP_1) | instskip(NEXT) | instid1(VALU_DEP_1)
	v_mul_f64 v[75:76], v[73:74], v[71:72]
	v_fma_f64 v[54:55], -v[54:55], v[75:76], v[73:74]
	s_delay_alu instid0(VALU_DEP_1) | instskip(NEXT) | instid1(VALU_DEP_1)
	v_div_fmas_f64 v[54:55], v[54:55], v[71:72], v[75:76]
	v_div_fixup_f64 v[54:55], v[54:55], v[52:53], 1.0
	s_delay_alu instid0(VALU_DEP_1)
	v_mul_f64 v[52:53], v[69:70], v[54:55]
	v_xor_b32_e32 v55, 0x80000000, v55
.LBB24_91:
	s_and_not1_saveexec_b32 s2, s2
	s_cbranch_execz .LBB24_93
; %bb.92:
	s_delay_alu instid0(VALU_DEP_1) | instskip(SKIP_1) | instid1(VALU_DEP_2)
	v_div_scale_f64 v[69:70], null, v[52:53], v[52:53], v[54:55]
	v_div_scale_f64 v[75:76], vcc_lo, v[54:55], v[52:53], v[54:55]
	v_rcp_f64_e32 v[71:72], v[69:70]
	s_waitcnt_depctr 0xfff
	v_fma_f64 v[73:74], -v[69:70], v[71:72], 1.0
	s_delay_alu instid0(VALU_DEP_1) | instskip(NEXT) | instid1(VALU_DEP_1)
	v_fma_f64 v[71:72], v[71:72], v[73:74], v[71:72]
	v_fma_f64 v[73:74], -v[69:70], v[71:72], 1.0
	s_delay_alu instid0(VALU_DEP_1) | instskip(NEXT) | instid1(VALU_DEP_1)
	v_fma_f64 v[71:72], v[71:72], v[73:74], v[71:72]
	v_mul_f64 v[73:74], v[75:76], v[71:72]
	s_delay_alu instid0(VALU_DEP_1) | instskip(NEXT) | instid1(VALU_DEP_1)
	v_fma_f64 v[69:70], -v[69:70], v[73:74], v[75:76]
	v_div_fmas_f64 v[69:70], v[69:70], v[71:72], v[73:74]
	s_delay_alu instid0(VALU_DEP_1) | instskip(NEXT) | instid1(VALU_DEP_1)
	v_div_fixup_f64 v[69:70], v[69:70], v[52:53], v[54:55]
	v_fma_f64 v[52:53], v[54:55], v[69:70], v[52:53]
	s_delay_alu instid0(VALU_DEP_1) | instskip(NEXT) | instid1(VALU_DEP_1)
	v_div_scale_f64 v[54:55], null, v[52:53], v[52:53], 1.0
	v_rcp_f64_e32 v[71:72], v[54:55]
	s_waitcnt_depctr 0xfff
	v_fma_f64 v[73:74], -v[54:55], v[71:72], 1.0
	s_delay_alu instid0(VALU_DEP_1) | instskip(NEXT) | instid1(VALU_DEP_1)
	v_fma_f64 v[71:72], v[71:72], v[73:74], v[71:72]
	v_fma_f64 v[73:74], -v[54:55], v[71:72], 1.0
	s_delay_alu instid0(VALU_DEP_1) | instskip(SKIP_1) | instid1(VALU_DEP_1)
	v_fma_f64 v[71:72], v[71:72], v[73:74], v[71:72]
	v_div_scale_f64 v[73:74], vcc_lo, 1.0, v[52:53], 1.0
	v_mul_f64 v[75:76], v[73:74], v[71:72]
	s_delay_alu instid0(VALU_DEP_1) | instskip(NEXT) | instid1(VALU_DEP_1)
	v_fma_f64 v[54:55], -v[54:55], v[75:76], v[73:74]
	v_div_fmas_f64 v[54:55], v[54:55], v[71:72], v[75:76]
	s_delay_alu instid0(VALU_DEP_1) | instskip(NEXT) | instid1(VALU_DEP_1)
	v_div_fixup_f64 v[52:53], v[54:55], v[52:53], 1.0
	v_mul_f64 v[54:55], v[69:70], -v[52:53]
.LBB24_93:
	s_or_b32 exec_lo, exec_lo, s2
.LBB24_94:
	s_delay_alu instid0(SALU_CYCLE_1) | instskip(NEXT) | instid1(SALU_CYCLE_1)
	s_or_b32 exec_lo, exec_lo, s3
	s_mov_b32 s2, exec_lo
	v_cmpx_ne_u32_e64 v68, v60
	s_xor_b32 s2, exec_lo, s2
	s_cbranch_execz .LBB24_100
; %bb.95:
	s_mov_b32 s3, exec_lo
	v_cmpx_eq_u32_e32 4, v68
	s_cbranch_execz .LBB24_99
; %bb.96:
	v_cmp_ne_u32_e32 vcc_lo, 4, v60
	s_xor_b32 s6, s4, -1
	s_delay_alu instid0(SALU_CYCLE_1) | instskip(NEXT) | instid1(SALU_CYCLE_1)
	s_and_b32 s7, s6, vcc_lo
	s_and_saveexec_b32 s6, s7
	s_cbranch_execz .LBB24_98
; %bb.97:
	v_ashrrev_i32_e32 v61, 31, v60
	s_delay_alu instid0(VALU_DEP_1) | instskip(NEXT) | instid1(VALU_DEP_1)
	v_lshlrev_b64 v[68:69], 2, v[60:61]
	v_add_co_u32 v68, vcc_lo, v58, v68
	s_delay_alu instid0(VALU_DEP_2)
	v_add_co_ci_u32_e32 v69, vcc_lo, v59, v69, vcc_lo
	s_clause 0x1
	flat_load_b32 v61, v[68:69]
	flat_load_b32 v65, v[58:59] offset:16
	s_waitcnt vmcnt(1) lgkmcnt(1)
	flat_store_b32 v[58:59], v61 offset:16
	s_waitcnt vmcnt(0) lgkmcnt(1)
	flat_store_b32 v[68:69], v65
.LBB24_98:
	s_or_b32 exec_lo, exec_lo, s6
	v_mov_b32_e32 v68, v60
	v_mov_b32_e32 v65, v60
.LBB24_99:
	s_or_b32 exec_lo, exec_lo, s3
.LBB24_100:
	s_and_not1_saveexec_b32 s2, s2
	s_cbranch_execz .LBB24_102
; %bb.101:
	v_mov_b32_e32 v68, 4
	ds_store_2addr_b64 v62, v[28:29], v[30:31] offset0:10 offset1:11
	ds_store_2addr_b64 v62, v[24:25], v[26:27] offset0:12 offset1:13
	;; [unrolled: 1-line block ×8, first 2 shown]
.LBB24_102:
	s_or_b32 exec_lo, exec_lo, s2
	s_delay_alu instid0(SALU_CYCLE_1)
	s_mov_b32 s2, exec_lo
	s_waitcnt lgkmcnt(0)
	s_waitcnt_vscnt null, 0x0
	s_barrier
	buffer_gl0_inv
	v_cmpx_lt_i32_e32 4, v68
	s_cbranch_execz .LBB24_104
; %bb.103:
	v_mul_f64 v[60:61], v[52:53], v[34:35]
	v_mul_f64 v[34:35], v[54:55], v[34:35]
	ds_load_2addr_b64 v[69:72], v62 offset0:10 offset1:11
	ds_load_2addr_b64 v[73:76], v62 offset0:12 offset1:13
	;; [unrolled: 1-line block ×8, first 2 shown]
	v_fma_f64 v[54:55], v[54:55], v[32:33], v[60:61]
	v_fma_f64 v[32:33], v[52:53], v[32:33], -v[34:35]
	s_waitcnt lgkmcnt(7)
	s_delay_alu instid0(VALU_DEP_2)
	v_mul_f64 v[34:35], v[71:72], v[54:55]
	v_mul_f64 v[52:53], v[69:70], v[54:55]
	s_waitcnt lgkmcnt(6)
	v_mul_f64 v[60:61], v[75:76], v[54:55]
	v_mul_f64 v[101:102], v[73:74], v[54:55]
	s_waitcnt lgkmcnt(5)
	;; [unrolled: 3-line block ×7, first 2 shown]
	v_mul_f64 v[123:124], v[99:100], v[54:55]
	v_mul_f64 v[125:126], v[97:98], v[54:55]
	v_fma_f64 v[34:35], v[69:70], v[32:33], -v[34:35]
	v_fma_f64 v[52:53], v[71:72], v[32:33], v[52:53]
	v_fma_f64 v[60:61], v[73:74], v[32:33], -v[60:61]
	v_fma_f64 v[69:70], v[75:76], v[32:33], v[101:102]
	;; [unrolled: 2-line block ×8, first 2 shown]
	v_add_f64 v[28:29], v[28:29], -v[34:35]
	v_add_f64 v[30:31], v[30:31], -v[52:53]
	;; [unrolled: 1-line block ×16, first 2 shown]
	v_dual_mov_b32 v34, v54 :: v_dual_mov_b32 v35, v55
.LBB24_104:
	s_or_b32 exec_lo, exec_lo, s2
	v_lshl_add_u32 v52, v68, 4, v62
	s_barrier
	buffer_gl0_inv
	v_mov_b32_e32 v60, 5
	ds_store_2addr_b64 v52, v[28:29], v[30:31] offset1:1
	s_waitcnt lgkmcnt(0)
	s_barrier
	buffer_gl0_inv
	ds_load_2addr_b64 v[52:55], v62 offset0:10 offset1:11
	s_cmp_lt_i32 s5, 7
	s_cbranch_scc1 .LBB24_107
; %bb.105:
	v_add3_u32 v61, v67, 0, 0x60
	v_mov_b32_e32 v60, 5
	s_mov_b32 s6, 6
	s_set_inst_prefetch_distance 0x1
	.p2align	6
.LBB24_106:                             ; =>This Inner Loop Header: Depth=1
	ds_load_2addr_b64 v[69:72], v61 offset1:1
	s_waitcnt lgkmcnt(1)
	v_cmp_gt_f64_e32 vcc_lo, 0, v[52:53]
	v_xor_b32_e32 v73, 0x80000000, v53
	v_cmp_gt_f64_e64 s2, 0, v[54:55]
	v_xor_b32_e32 v75, 0x80000000, v55
	v_add_nc_u32_e32 v61, 16, v61
	s_waitcnt lgkmcnt(0)
	v_cmp_gt_f64_e64 s3, 0, v[69:70]
	v_mov_b32_e32 v77, v69
	v_dual_mov_b32 v79, v71 :: v_dual_cndmask_b32 v74, v53, v73
	v_xor_b32_e32 v73, 0x80000000, v70
	v_cndmask_b32_e64 v76, v55, v75, s2
	v_xor_b32_e32 v75, 0x80000000, v72
	s_delay_alu instid0(VALU_DEP_3) | instskip(SKIP_2) | instid1(VALU_DEP_2)
	v_cndmask_b32_e64 v78, v70, v73, s3
	v_cmp_gt_f64_e64 s3, 0, v[71:72]
	v_cndmask_b32_e32 v73, v52, v52, vcc_lo
	v_cndmask_b32_e64 v80, v72, v75, s3
	v_cndmask_b32_e64 v75, v54, v54, s2
	s_delay_alu instid0(VALU_DEP_2) | instskip(NEXT) | instid1(VALU_DEP_2)
	v_add_f64 v[77:78], v[77:78], v[79:80]
	v_add_f64 v[73:74], v[73:74], v[75:76]
	s_delay_alu instid0(VALU_DEP_1) | instskip(SKIP_4) | instid1(SALU_CYCLE_1)
	v_cmp_lt_f64_e32 vcc_lo, v[73:74], v[77:78]
	v_dual_cndmask_b32 v54, v54, v71 :: v_dual_cndmask_b32 v53, v53, v70
	v_dual_cndmask_b32 v52, v52, v69 :: v_dual_cndmask_b32 v55, v55, v72
	v_cndmask_b32_e64 v60, v60, s6, vcc_lo
	s_add_i32 s6, s6, 1
	s_cmp_lg_u32 s5, s6
	s_cbranch_scc1 .LBB24_106
.LBB24_107:
	s_set_inst_prefetch_distance 0x2
	s_waitcnt lgkmcnt(0)
	v_cmp_eq_f64_e32 vcc_lo, 0, v[52:53]
	v_cmp_eq_f64_e64 s2, 0, v[54:55]
	s_delay_alu instid0(VALU_DEP_1) | instskip(NEXT) | instid1(SALU_CYCLE_1)
	s_and_b32 s2, vcc_lo, s2
	s_and_saveexec_b32 s3, s2
	s_delay_alu instid0(SALU_CYCLE_1)
	s_xor_b32 s2, exec_lo, s3
; %bb.108:
	v_cmp_ne_u32_e32 vcc_lo, 0, v66
	v_cndmask_b32_e32 v66, 6, v66, vcc_lo
; %bb.109:
	s_and_not1_saveexec_b32 s3, s2
	s_cbranch_execz .LBB24_115
; %bb.110:
	v_cmp_gt_f64_e32 vcc_lo, 0, v[52:53]
	v_cmp_gt_f64_e64 s2, 0, v[54:55]
	v_xor_b32_e32 v61, 0x80000000, v53
	v_xor_b32_e32 v69, 0x80000000, v55
	s_delay_alu instid0(VALU_DEP_2) | instskip(NEXT) | instid1(VALU_DEP_2)
	v_cndmask_b32_e32 v70, v53, v61, vcc_lo
	v_cndmask_b32_e64 v72, v55, v69, s2
	v_cndmask_b32_e32 v69, v52, v52, vcc_lo
	v_cndmask_b32_e64 v71, v54, v54, s2
	s_mov_b32 s2, exec_lo
	s_delay_alu instid0(VALU_DEP_1)
	v_cmpx_ngt_f64_e32 v[69:70], v[71:72]
	s_xor_b32 s2, exec_lo, s2
	s_cbranch_execz .LBB24_112
; %bb.111:
	v_div_scale_f64 v[69:70], null, v[54:55], v[54:55], v[52:53]
	v_div_scale_f64 v[75:76], vcc_lo, v[52:53], v[54:55], v[52:53]
	s_delay_alu instid0(VALU_DEP_2) | instskip(SKIP_2) | instid1(VALU_DEP_1)
	v_rcp_f64_e32 v[71:72], v[69:70]
	s_waitcnt_depctr 0xfff
	v_fma_f64 v[73:74], -v[69:70], v[71:72], 1.0
	v_fma_f64 v[71:72], v[71:72], v[73:74], v[71:72]
	s_delay_alu instid0(VALU_DEP_1) | instskip(NEXT) | instid1(VALU_DEP_1)
	v_fma_f64 v[73:74], -v[69:70], v[71:72], 1.0
	v_fma_f64 v[71:72], v[71:72], v[73:74], v[71:72]
	s_delay_alu instid0(VALU_DEP_1) | instskip(NEXT) | instid1(VALU_DEP_1)
	v_mul_f64 v[73:74], v[75:76], v[71:72]
	v_fma_f64 v[69:70], -v[69:70], v[73:74], v[75:76]
	s_delay_alu instid0(VALU_DEP_1) | instskip(NEXT) | instid1(VALU_DEP_1)
	v_div_fmas_f64 v[69:70], v[69:70], v[71:72], v[73:74]
	v_div_fixup_f64 v[69:70], v[69:70], v[54:55], v[52:53]
	s_delay_alu instid0(VALU_DEP_1) | instskip(NEXT) | instid1(VALU_DEP_1)
	v_fma_f64 v[52:53], v[52:53], v[69:70], v[54:55]
	v_div_scale_f64 v[54:55], null, v[52:53], v[52:53], 1.0
	s_delay_alu instid0(VALU_DEP_1) | instskip(SKIP_2) | instid1(VALU_DEP_1)
	v_rcp_f64_e32 v[71:72], v[54:55]
	s_waitcnt_depctr 0xfff
	v_fma_f64 v[73:74], -v[54:55], v[71:72], 1.0
	v_fma_f64 v[71:72], v[71:72], v[73:74], v[71:72]
	s_delay_alu instid0(VALU_DEP_1) | instskip(NEXT) | instid1(VALU_DEP_1)
	v_fma_f64 v[73:74], -v[54:55], v[71:72], 1.0
	v_fma_f64 v[71:72], v[71:72], v[73:74], v[71:72]
	v_div_scale_f64 v[73:74], vcc_lo, 1.0, v[52:53], 1.0
	s_delay_alu instid0(VALU_DEP_1) | instskip(NEXT) | instid1(VALU_DEP_1)
	v_mul_f64 v[75:76], v[73:74], v[71:72]
	v_fma_f64 v[54:55], -v[54:55], v[75:76], v[73:74]
	s_delay_alu instid0(VALU_DEP_1) | instskip(NEXT) | instid1(VALU_DEP_1)
	v_div_fmas_f64 v[54:55], v[54:55], v[71:72], v[75:76]
	v_div_fixup_f64 v[54:55], v[54:55], v[52:53], 1.0
	s_delay_alu instid0(VALU_DEP_1)
	v_mul_f64 v[52:53], v[69:70], v[54:55]
	v_xor_b32_e32 v55, 0x80000000, v55
.LBB24_112:
	s_and_not1_saveexec_b32 s2, s2
	s_cbranch_execz .LBB24_114
; %bb.113:
	s_delay_alu instid0(VALU_DEP_1) | instskip(SKIP_1) | instid1(VALU_DEP_2)
	v_div_scale_f64 v[69:70], null, v[52:53], v[52:53], v[54:55]
	v_div_scale_f64 v[75:76], vcc_lo, v[54:55], v[52:53], v[54:55]
	v_rcp_f64_e32 v[71:72], v[69:70]
	s_waitcnt_depctr 0xfff
	v_fma_f64 v[73:74], -v[69:70], v[71:72], 1.0
	s_delay_alu instid0(VALU_DEP_1) | instskip(NEXT) | instid1(VALU_DEP_1)
	v_fma_f64 v[71:72], v[71:72], v[73:74], v[71:72]
	v_fma_f64 v[73:74], -v[69:70], v[71:72], 1.0
	s_delay_alu instid0(VALU_DEP_1) | instskip(NEXT) | instid1(VALU_DEP_1)
	v_fma_f64 v[71:72], v[71:72], v[73:74], v[71:72]
	v_mul_f64 v[73:74], v[75:76], v[71:72]
	s_delay_alu instid0(VALU_DEP_1) | instskip(NEXT) | instid1(VALU_DEP_1)
	v_fma_f64 v[69:70], -v[69:70], v[73:74], v[75:76]
	v_div_fmas_f64 v[69:70], v[69:70], v[71:72], v[73:74]
	s_delay_alu instid0(VALU_DEP_1) | instskip(NEXT) | instid1(VALU_DEP_1)
	v_div_fixup_f64 v[69:70], v[69:70], v[52:53], v[54:55]
	v_fma_f64 v[52:53], v[54:55], v[69:70], v[52:53]
	s_delay_alu instid0(VALU_DEP_1) | instskip(NEXT) | instid1(VALU_DEP_1)
	v_div_scale_f64 v[54:55], null, v[52:53], v[52:53], 1.0
	v_rcp_f64_e32 v[71:72], v[54:55]
	s_waitcnt_depctr 0xfff
	v_fma_f64 v[73:74], -v[54:55], v[71:72], 1.0
	s_delay_alu instid0(VALU_DEP_1) | instskip(NEXT) | instid1(VALU_DEP_1)
	v_fma_f64 v[71:72], v[71:72], v[73:74], v[71:72]
	v_fma_f64 v[73:74], -v[54:55], v[71:72], 1.0
	s_delay_alu instid0(VALU_DEP_1) | instskip(SKIP_1) | instid1(VALU_DEP_1)
	v_fma_f64 v[71:72], v[71:72], v[73:74], v[71:72]
	v_div_scale_f64 v[73:74], vcc_lo, 1.0, v[52:53], 1.0
	v_mul_f64 v[75:76], v[73:74], v[71:72]
	s_delay_alu instid0(VALU_DEP_1) | instskip(NEXT) | instid1(VALU_DEP_1)
	v_fma_f64 v[54:55], -v[54:55], v[75:76], v[73:74]
	v_div_fmas_f64 v[54:55], v[54:55], v[71:72], v[75:76]
	s_delay_alu instid0(VALU_DEP_1) | instskip(NEXT) | instid1(VALU_DEP_1)
	v_div_fixup_f64 v[52:53], v[54:55], v[52:53], 1.0
	v_mul_f64 v[54:55], v[69:70], -v[52:53]
.LBB24_114:
	s_or_b32 exec_lo, exec_lo, s2
.LBB24_115:
	s_delay_alu instid0(SALU_CYCLE_1) | instskip(NEXT) | instid1(SALU_CYCLE_1)
	s_or_b32 exec_lo, exec_lo, s3
	s_mov_b32 s2, exec_lo
	v_cmpx_ne_u32_e64 v68, v60
	s_xor_b32 s2, exec_lo, s2
	s_cbranch_execz .LBB24_121
; %bb.116:
	s_mov_b32 s3, exec_lo
	v_cmpx_eq_u32_e32 5, v68
	s_cbranch_execz .LBB24_120
; %bb.117:
	v_cmp_ne_u32_e32 vcc_lo, 5, v60
	s_xor_b32 s6, s4, -1
	s_delay_alu instid0(SALU_CYCLE_1) | instskip(NEXT) | instid1(SALU_CYCLE_1)
	s_and_b32 s7, s6, vcc_lo
	s_and_saveexec_b32 s6, s7
	s_cbranch_execz .LBB24_119
; %bb.118:
	v_ashrrev_i32_e32 v61, 31, v60
	s_delay_alu instid0(VALU_DEP_1) | instskip(NEXT) | instid1(VALU_DEP_1)
	v_lshlrev_b64 v[68:69], 2, v[60:61]
	v_add_co_u32 v68, vcc_lo, v58, v68
	s_delay_alu instid0(VALU_DEP_2)
	v_add_co_ci_u32_e32 v69, vcc_lo, v59, v69, vcc_lo
	s_clause 0x1
	flat_load_b32 v61, v[68:69]
	flat_load_b32 v65, v[58:59] offset:20
	s_waitcnt vmcnt(1) lgkmcnt(1)
	flat_store_b32 v[58:59], v61 offset:20
	s_waitcnt vmcnt(0) lgkmcnt(1)
	flat_store_b32 v[68:69], v65
.LBB24_119:
	s_or_b32 exec_lo, exec_lo, s6
	v_mov_b32_e32 v68, v60
	v_mov_b32_e32 v65, v60
.LBB24_120:
	s_or_b32 exec_lo, exec_lo, s3
.LBB24_121:
	s_and_not1_saveexec_b32 s2, s2
	s_cbranch_execz .LBB24_123
; %bb.122:
	v_mov_b32_e32 v68, 5
	ds_store_2addr_b64 v62, v[24:25], v[26:27] offset0:12 offset1:13
	ds_store_2addr_b64 v62, v[20:21], v[22:23] offset0:14 offset1:15
	;; [unrolled: 1-line block ×7, first 2 shown]
.LBB24_123:
	s_or_b32 exec_lo, exec_lo, s2
	s_delay_alu instid0(SALU_CYCLE_1)
	s_mov_b32 s2, exec_lo
	s_waitcnt lgkmcnt(0)
	s_waitcnt_vscnt null, 0x0
	s_barrier
	buffer_gl0_inv
	v_cmpx_lt_i32_e32 5, v68
	s_cbranch_execz .LBB24_125
; %bb.124:
	v_mul_f64 v[60:61], v[52:53], v[30:31]
	v_mul_f64 v[30:31], v[54:55], v[30:31]
	ds_load_2addr_b64 v[69:72], v62 offset0:12 offset1:13
	ds_load_2addr_b64 v[73:76], v62 offset0:14 offset1:15
	;; [unrolled: 1-line block ×7, first 2 shown]
	v_fma_f64 v[54:55], v[54:55], v[28:29], v[60:61]
	v_fma_f64 v[28:29], v[52:53], v[28:29], -v[30:31]
	s_waitcnt lgkmcnt(6)
	s_delay_alu instid0(VALU_DEP_2)
	v_mul_f64 v[30:31], v[71:72], v[54:55]
	v_mul_f64 v[52:53], v[69:70], v[54:55]
	s_waitcnt lgkmcnt(5)
	v_mul_f64 v[60:61], v[75:76], v[54:55]
	v_mul_f64 v[97:98], v[73:74], v[54:55]
	s_waitcnt lgkmcnt(4)
	;; [unrolled: 3-line block ×6, first 2 shown]
	v_mul_f64 v[115:116], v[95:96], v[54:55]
	v_mul_f64 v[117:118], v[93:94], v[54:55]
	v_fma_f64 v[30:31], v[69:70], v[28:29], -v[30:31]
	v_fma_f64 v[52:53], v[71:72], v[28:29], v[52:53]
	v_fma_f64 v[60:61], v[73:74], v[28:29], -v[60:61]
	v_fma_f64 v[69:70], v[75:76], v[28:29], v[97:98]
	;; [unrolled: 2-line block ×7, first 2 shown]
	v_add_f64 v[24:25], v[24:25], -v[30:31]
	v_add_f64 v[26:27], v[26:27], -v[52:53]
	;; [unrolled: 1-line block ×14, first 2 shown]
	v_dual_mov_b32 v30, v54 :: v_dual_mov_b32 v31, v55
.LBB24_125:
	s_or_b32 exec_lo, exec_lo, s2
	v_lshl_add_u32 v52, v68, 4, v62
	s_barrier
	buffer_gl0_inv
	v_mov_b32_e32 v60, 6
	ds_store_2addr_b64 v52, v[24:25], v[26:27] offset1:1
	s_waitcnt lgkmcnt(0)
	s_barrier
	buffer_gl0_inv
	ds_load_2addr_b64 v[52:55], v62 offset0:12 offset1:13
	s_cmp_lt_i32 s5, 8
	s_cbranch_scc1 .LBB24_128
; %bb.126:
	v_add3_u32 v61, v67, 0, 0x70
	v_mov_b32_e32 v60, 6
	s_mov_b32 s6, 7
	s_set_inst_prefetch_distance 0x1
	.p2align	6
.LBB24_127:                             ; =>This Inner Loop Header: Depth=1
	ds_load_2addr_b64 v[69:72], v61 offset1:1
	s_waitcnt lgkmcnt(1)
	v_cmp_gt_f64_e32 vcc_lo, 0, v[52:53]
	v_xor_b32_e32 v73, 0x80000000, v53
	v_cmp_gt_f64_e64 s2, 0, v[54:55]
	v_xor_b32_e32 v75, 0x80000000, v55
	v_add_nc_u32_e32 v61, 16, v61
	s_waitcnt lgkmcnt(0)
	v_cmp_gt_f64_e64 s3, 0, v[69:70]
	v_mov_b32_e32 v77, v69
	v_dual_mov_b32 v79, v71 :: v_dual_cndmask_b32 v74, v53, v73
	v_xor_b32_e32 v73, 0x80000000, v70
	v_cndmask_b32_e64 v76, v55, v75, s2
	v_xor_b32_e32 v75, 0x80000000, v72
	s_delay_alu instid0(VALU_DEP_3) | instskip(SKIP_2) | instid1(VALU_DEP_2)
	v_cndmask_b32_e64 v78, v70, v73, s3
	v_cmp_gt_f64_e64 s3, 0, v[71:72]
	v_cndmask_b32_e32 v73, v52, v52, vcc_lo
	v_cndmask_b32_e64 v80, v72, v75, s3
	v_cndmask_b32_e64 v75, v54, v54, s2
	s_delay_alu instid0(VALU_DEP_2) | instskip(NEXT) | instid1(VALU_DEP_2)
	v_add_f64 v[77:78], v[77:78], v[79:80]
	v_add_f64 v[73:74], v[73:74], v[75:76]
	s_delay_alu instid0(VALU_DEP_1) | instskip(SKIP_4) | instid1(SALU_CYCLE_1)
	v_cmp_lt_f64_e32 vcc_lo, v[73:74], v[77:78]
	v_dual_cndmask_b32 v54, v54, v71 :: v_dual_cndmask_b32 v53, v53, v70
	v_dual_cndmask_b32 v52, v52, v69 :: v_dual_cndmask_b32 v55, v55, v72
	v_cndmask_b32_e64 v60, v60, s6, vcc_lo
	s_add_i32 s6, s6, 1
	s_cmp_lg_u32 s5, s6
	s_cbranch_scc1 .LBB24_127
.LBB24_128:
	s_set_inst_prefetch_distance 0x2
	s_waitcnt lgkmcnt(0)
	v_cmp_eq_f64_e32 vcc_lo, 0, v[52:53]
	v_cmp_eq_f64_e64 s2, 0, v[54:55]
	s_delay_alu instid0(VALU_DEP_1) | instskip(NEXT) | instid1(SALU_CYCLE_1)
	s_and_b32 s2, vcc_lo, s2
	s_and_saveexec_b32 s3, s2
	s_delay_alu instid0(SALU_CYCLE_1)
	s_xor_b32 s2, exec_lo, s3
; %bb.129:
	v_cmp_ne_u32_e32 vcc_lo, 0, v66
	v_cndmask_b32_e32 v66, 7, v66, vcc_lo
; %bb.130:
	s_and_not1_saveexec_b32 s3, s2
	s_cbranch_execz .LBB24_136
; %bb.131:
	v_cmp_gt_f64_e32 vcc_lo, 0, v[52:53]
	v_cmp_gt_f64_e64 s2, 0, v[54:55]
	v_xor_b32_e32 v61, 0x80000000, v53
	v_xor_b32_e32 v69, 0x80000000, v55
	s_delay_alu instid0(VALU_DEP_2) | instskip(NEXT) | instid1(VALU_DEP_2)
	v_cndmask_b32_e32 v70, v53, v61, vcc_lo
	v_cndmask_b32_e64 v72, v55, v69, s2
	v_cndmask_b32_e32 v69, v52, v52, vcc_lo
	v_cndmask_b32_e64 v71, v54, v54, s2
	s_mov_b32 s2, exec_lo
	s_delay_alu instid0(VALU_DEP_1)
	v_cmpx_ngt_f64_e32 v[69:70], v[71:72]
	s_xor_b32 s2, exec_lo, s2
	s_cbranch_execz .LBB24_133
; %bb.132:
	v_div_scale_f64 v[69:70], null, v[54:55], v[54:55], v[52:53]
	v_div_scale_f64 v[75:76], vcc_lo, v[52:53], v[54:55], v[52:53]
	s_delay_alu instid0(VALU_DEP_2) | instskip(SKIP_2) | instid1(VALU_DEP_1)
	v_rcp_f64_e32 v[71:72], v[69:70]
	s_waitcnt_depctr 0xfff
	v_fma_f64 v[73:74], -v[69:70], v[71:72], 1.0
	v_fma_f64 v[71:72], v[71:72], v[73:74], v[71:72]
	s_delay_alu instid0(VALU_DEP_1) | instskip(NEXT) | instid1(VALU_DEP_1)
	v_fma_f64 v[73:74], -v[69:70], v[71:72], 1.0
	v_fma_f64 v[71:72], v[71:72], v[73:74], v[71:72]
	s_delay_alu instid0(VALU_DEP_1) | instskip(NEXT) | instid1(VALU_DEP_1)
	v_mul_f64 v[73:74], v[75:76], v[71:72]
	v_fma_f64 v[69:70], -v[69:70], v[73:74], v[75:76]
	s_delay_alu instid0(VALU_DEP_1) | instskip(NEXT) | instid1(VALU_DEP_1)
	v_div_fmas_f64 v[69:70], v[69:70], v[71:72], v[73:74]
	v_div_fixup_f64 v[69:70], v[69:70], v[54:55], v[52:53]
	s_delay_alu instid0(VALU_DEP_1) | instskip(NEXT) | instid1(VALU_DEP_1)
	v_fma_f64 v[52:53], v[52:53], v[69:70], v[54:55]
	v_div_scale_f64 v[54:55], null, v[52:53], v[52:53], 1.0
	s_delay_alu instid0(VALU_DEP_1) | instskip(SKIP_2) | instid1(VALU_DEP_1)
	v_rcp_f64_e32 v[71:72], v[54:55]
	s_waitcnt_depctr 0xfff
	v_fma_f64 v[73:74], -v[54:55], v[71:72], 1.0
	v_fma_f64 v[71:72], v[71:72], v[73:74], v[71:72]
	s_delay_alu instid0(VALU_DEP_1) | instskip(NEXT) | instid1(VALU_DEP_1)
	v_fma_f64 v[73:74], -v[54:55], v[71:72], 1.0
	v_fma_f64 v[71:72], v[71:72], v[73:74], v[71:72]
	v_div_scale_f64 v[73:74], vcc_lo, 1.0, v[52:53], 1.0
	s_delay_alu instid0(VALU_DEP_1) | instskip(NEXT) | instid1(VALU_DEP_1)
	v_mul_f64 v[75:76], v[73:74], v[71:72]
	v_fma_f64 v[54:55], -v[54:55], v[75:76], v[73:74]
	s_delay_alu instid0(VALU_DEP_1) | instskip(NEXT) | instid1(VALU_DEP_1)
	v_div_fmas_f64 v[54:55], v[54:55], v[71:72], v[75:76]
	v_div_fixup_f64 v[54:55], v[54:55], v[52:53], 1.0
	s_delay_alu instid0(VALU_DEP_1)
	v_mul_f64 v[52:53], v[69:70], v[54:55]
	v_xor_b32_e32 v55, 0x80000000, v55
.LBB24_133:
	s_and_not1_saveexec_b32 s2, s2
	s_cbranch_execz .LBB24_135
; %bb.134:
	s_delay_alu instid0(VALU_DEP_1) | instskip(SKIP_1) | instid1(VALU_DEP_2)
	v_div_scale_f64 v[69:70], null, v[52:53], v[52:53], v[54:55]
	v_div_scale_f64 v[75:76], vcc_lo, v[54:55], v[52:53], v[54:55]
	v_rcp_f64_e32 v[71:72], v[69:70]
	s_waitcnt_depctr 0xfff
	v_fma_f64 v[73:74], -v[69:70], v[71:72], 1.0
	s_delay_alu instid0(VALU_DEP_1) | instskip(NEXT) | instid1(VALU_DEP_1)
	v_fma_f64 v[71:72], v[71:72], v[73:74], v[71:72]
	v_fma_f64 v[73:74], -v[69:70], v[71:72], 1.0
	s_delay_alu instid0(VALU_DEP_1) | instskip(NEXT) | instid1(VALU_DEP_1)
	v_fma_f64 v[71:72], v[71:72], v[73:74], v[71:72]
	v_mul_f64 v[73:74], v[75:76], v[71:72]
	s_delay_alu instid0(VALU_DEP_1) | instskip(NEXT) | instid1(VALU_DEP_1)
	v_fma_f64 v[69:70], -v[69:70], v[73:74], v[75:76]
	v_div_fmas_f64 v[69:70], v[69:70], v[71:72], v[73:74]
	s_delay_alu instid0(VALU_DEP_1) | instskip(NEXT) | instid1(VALU_DEP_1)
	v_div_fixup_f64 v[69:70], v[69:70], v[52:53], v[54:55]
	v_fma_f64 v[52:53], v[54:55], v[69:70], v[52:53]
	s_delay_alu instid0(VALU_DEP_1) | instskip(NEXT) | instid1(VALU_DEP_1)
	v_div_scale_f64 v[54:55], null, v[52:53], v[52:53], 1.0
	v_rcp_f64_e32 v[71:72], v[54:55]
	s_waitcnt_depctr 0xfff
	v_fma_f64 v[73:74], -v[54:55], v[71:72], 1.0
	s_delay_alu instid0(VALU_DEP_1) | instskip(NEXT) | instid1(VALU_DEP_1)
	v_fma_f64 v[71:72], v[71:72], v[73:74], v[71:72]
	v_fma_f64 v[73:74], -v[54:55], v[71:72], 1.0
	s_delay_alu instid0(VALU_DEP_1) | instskip(SKIP_1) | instid1(VALU_DEP_1)
	v_fma_f64 v[71:72], v[71:72], v[73:74], v[71:72]
	v_div_scale_f64 v[73:74], vcc_lo, 1.0, v[52:53], 1.0
	v_mul_f64 v[75:76], v[73:74], v[71:72]
	s_delay_alu instid0(VALU_DEP_1) | instskip(NEXT) | instid1(VALU_DEP_1)
	v_fma_f64 v[54:55], -v[54:55], v[75:76], v[73:74]
	v_div_fmas_f64 v[54:55], v[54:55], v[71:72], v[75:76]
	s_delay_alu instid0(VALU_DEP_1) | instskip(NEXT) | instid1(VALU_DEP_1)
	v_div_fixup_f64 v[52:53], v[54:55], v[52:53], 1.0
	v_mul_f64 v[54:55], v[69:70], -v[52:53]
.LBB24_135:
	s_or_b32 exec_lo, exec_lo, s2
.LBB24_136:
	s_delay_alu instid0(SALU_CYCLE_1) | instskip(NEXT) | instid1(SALU_CYCLE_1)
	s_or_b32 exec_lo, exec_lo, s3
	s_mov_b32 s2, exec_lo
	v_cmpx_ne_u32_e64 v68, v60
	s_xor_b32 s2, exec_lo, s2
	s_cbranch_execz .LBB24_142
; %bb.137:
	s_mov_b32 s3, exec_lo
	v_cmpx_eq_u32_e32 6, v68
	s_cbranch_execz .LBB24_141
; %bb.138:
	v_cmp_ne_u32_e32 vcc_lo, 6, v60
	s_xor_b32 s6, s4, -1
	s_delay_alu instid0(SALU_CYCLE_1) | instskip(NEXT) | instid1(SALU_CYCLE_1)
	s_and_b32 s7, s6, vcc_lo
	s_and_saveexec_b32 s6, s7
	s_cbranch_execz .LBB24_140
; %bb.139:
	v_ashrrev_i32_e32 v61, 31, v60
	s_delay_alu instid0(VALU_DEP_1) | instskip(NEXT) | instid1(VALU_DEP_1)
	v_lshlrev_b64 v[68:69], 2, v[60:61]
	v_add_co_u32 v68, vcc_lo, v58, v68
	s_delay_alu instid0(VALU_DEP_2)
	v_add_co_ci_u32_e32 v69, vcc_lo, v59, v69, vcc_lo
	s_clause 0x1
	flat_load_b32 v61, v[68:69]
	flat_load_b32 v65, v[58:59] offset:24
	s_waitcnt vmcnt(1) lgkmcnt(1)
	flat_store_b32 v[58:59], v61 offset:24
	s_waitcnt vmcnt(0) lgkmcnt(1)
	flat_store_b32 v[68:69], v65
.LBB24_140:
	s_or_b32 exec_lo, exec_lo, s6
	v_mov_b32_e32 v68, v60
	v_mov_b32_e32 v65, v60
.LBB24_141:
	s_or_b32 exec_lo, exec_lo, s3
.LBB24_142:
	s_and_not1_saveexec_b32 s2, s2
	s_cbranch_execz .LBB24_144
; %bb.143:
	v_mov_b32_e32 v68, 6
	ds_store_2addr_b64 v62, v[20:21], v[22:23] offset0:14 offset1:15
	ds_store_2addr_b64 v62, v[16:17], v[18:19] offset0:16 offset1:17
	ds_store_2addr_b64 v62, v[12:13], v[14:15] offset0:18 offset1:19
	ds_store_2addr_b64 v62, v[8:9], v[10:11] offset0:20 offset1:21
	ds_store_2addr_b64 v62, v[4:5], v[6:7] offset0:22 offset1:23
	ds_store_2addr_b64 v62, v[0:1], v[2:3] offset0:24 offset1:25
.LBB24_144:
	s_or_b32 exec_lo, exec_lo, s2
	s_delay_alu instid0(SALU_CYCLE_1)
	s_mov_b32 s2, exec_lo
	s_waitcnt lgkmcnt(0)
	s_waitcnt_vscnt null, 0x0
	s_barrier
	buffer_gl0_inv
	v_cmpx_lt_i32_e32 6, v68
	s_cbranch_execz .LBB24_146
; %bb.145:
	v_mul_f64 v[60:61], v[52:53], v[26:27]
	v_mul_f64 v[26:27], v[54:55], v[26:27]
	ds_load_2addr_b64 v[69:72], v62 offset0:14 offset1:15
	ds_load_2addr_b64 v[73:76], v62 offset0:16 offset1:17
	;; [unrolled: 1-line block ×6, first 2 shown]
	v_fma_f64 v[54:55], v[54:55], v[24:25], v[60:61]
	v_fma_f64 v[24:25], v[52:53], v[24:25], -v[26:27]
	s_waitcnt lgkmcnt(5)
	s_delay_alu instid0(VALU_DEP_2)
	v_mul_f64 v[26:27], v[71:72], v[54:55]
	v_mul_f64 v[52:53], v[69:70], v[54:55]
	s_waitcnt lgkmcnt(4)
	v_mul_f64 v[60:61], v[75:76], v[54:55]
	v_mul_f64 v[93:94], v[73:74], v[54:55]
	s_waitcnt lgkmcnt(3)
	;; [unrolled: 3-line block ×5, first 2 shown]
	v_mul_f64 v[107:108], v[91:92], v[54:55]
	v_mul_f64 v[109:110], v[89:90], v[54:55]
	v_fma_f64 v[26:27], v[69:70], v[24:25], -v[26:27]
	v_fma_f64 v[52:53], v[71:72], v[24:25], v[52:53]
	v_fma_f64 v[60:61], v[73:74], v[24:25], -v[60:61]
	v_fma_f64 v[69:70], v[75:76], v[24:25], v[93:94]
	;; [unrolled: 2-line block ×6, first 2 shown]
	v_add_f64 v[20:21], v[20:21], -v[26:27]
	v_add_f64 v[22:23], v[22:23], -v[52:53]
	;; [unrolled: 1-line block ×12, first 2 shown]
	v_dual_mov_b32 v26, v54 :: v_dual_mov_b32 v27, v55
.LBB24_146:
	s_or_b32 exec_lo, exec_lo, s2
	v_lshl_add_u32 v52, v68, 4, v62
	s_barrier
	buffer_gl0_inv
	v_mov_b32_e32 v60, 7
	ds_store_2addr_b64 v52, v[20:21], v[22:23] offset1:1
	s_waitcnt lgkmcnt(0)
	s_barrier
	buffer_gl0_inv
	ds_load_2addr_b64 v[52:55], v62 offset0:14 offset1:15
	s_cmp_lt_i32 s5, 9
	s_cbranch_scc1 .LBB24_149
; %bb.147:
	v_add3_u32 v61, v67, 0, 0x80
	v_mov_b32_e32 v60, 7
	s_mov_b32 s6, 8
	s_set_inst_prefetch_distance 0x1
	.p2align	6
.LBB24_148:                             ; =>This Inner Loop Header: Depth=1
	ds_load_2addr_b64 v[69:72], v61 offset1:1
	s_waitcnt lgkmcnt(1)
	v_cmp_gt_f64_e32 vcc_lo, 0, v[52:53]
	v_xor_b32_e32 v73, 0x80000000, v53
	v_cmp_gt_f64_e64 s2, 0, v[54:55]
	v_xor_b32_e32 v75, 0x80000000, v55
	v_add_nc_u32_e32 v61, 16, v61
	s_waitcnt lgkmcnt(0)
	v_cmp_gt_f64_e64 s3, 0, v[69:70]
	v_mov_b32_e32 v77, v69
	v_dual_mov_b32 v79, v71 :: v_dual_cndmask_b32 v74, v53, v73
	v_xor_b32_e32 v73, 0x80000000, v70
	v_cndmask_b32_e64 v76, v55, v75, s2
	v_xor_b32_e32 v75, 0x80000000, v72
	s_delay_alu instid0(VALU_DEP_3) | instskip(SKIP_2) | instid1(VALU_DEP_2)
	v_cndmask_b32_e64 v78, v70, v73, s3
	v_cmp_gt_f64_e64 s3, 0, v[71:72]
	v_cndmask_b32_e32 v73, v52, v52, vcc_lo
	v_cndmask_b32_e64 v80, v72, v75, s3
	v_cndmask_b32_e64 v75, v54, v54, s2
	s_delay_alu instid0(VALU_DEP_2) | instskip(NEXT) | instid1(VALU_DEP_2)
	v_add_f64 v[77:78], v[77:78], v[79:80]
	v_add_f64 v[73:74], v[73:74], v[75:76]
	s_delay_alu instid0(VALU_DEP_1) | instskip(SKIP_4) | instid1(SALU_CYCLE_1)
	v_cmp_lt_f64_e32 vcc_lo, v[73:74], v[77:78]
	v_dual_cndmask_b32 v54, v54, v71 :: v_dual_cndmask_b32 v53, v53, v70
	v_dual_cndmask_b32 v52, v52, v69 :: v_dual_cndmask_b32 v55, v55, v72
	v_cndmask_b32_e64 v60, v60, s6, vcc_lo
	s_add_i32 s6, s6, 1
	s_cmp_lg_u32 s5, s6
	s_cbranch_scc1 .LBB24_148
.LBB24_149:
	s_set_inst_prefetch_distance 0x2
	s_waitcnt lgkmcnt(0)
	v_cmp_eq_f64_e32 vcc_lo, 0, v[52:53]
	v_cmp_eq_f64_e64 s2, 0, v[54:55]
	s_delay_alu instid0(VALU_DEP_1) | instskip(NEXT) | instid1(SALU_CYCLE_1)
	s_and_b32 s2, vcc_lo, s2
	s_and_saveexec_b32 s3, s2
	s_delay_alu instid0(SALU_CYCLE_1)
	s_xor_b32 s2, exec_lo, s3
; %bb.150:
	v_cmp_ne_u32_e32 vcc_lo, 0, v66
	v_cndmask_b32_e32 v66, 8, v66, vcc_lo
; %bb.151:
	s_and_not1_saveexec_b32 s3, s2
	s_cbranch_execz .LBB24_157
; %bb.152:
	v_cmp_gt_f64_e32 vcc_lo, 0, v[52:53]
	v_cmp_gt_f64_e64 s2, 0, v[54:55]
	v_xor_b32_e32 v61, 0x80000000, v53
	v_xor_b32_e32 v69, 0x80000000, v55
	s_delay_alu instid0(VALU_DEP_2) | instskip(NEXT) | instid1(VALU_DEP_2)
	v_cndmask_b32_e32 v70, v53, v61, vcc_lo
	v_cndmask_b32_e64 v72, v55, v69, s2
	v_cndmask_b32_e32 v69, v52, v52, vcc_lo
	v_cndmask_b32_e64 v71, v54, v54, s2
	s_mov_b32 s2, exec_lo
	s_delay_alu instid0(VALU_DEP_1)
	v_cmpx_ngt_f64_e32 v[69:70], v[71:72]
	s_xor_b32 s2, exec_lo, s2
	s_cbranch_execz .LBB24_154
; %bb.153:
	v_div_scale_f64 v[69:70], null, v[54:55], v[54:55], v[52:53]
	v_div_scale_f64 v[75:76], vcc_lo, v[52:53], v[54:55], v[52:53]
	s_delay_alu instid0(VALU_DEP_2) | instskip(SKIP_2) | instid1(VALU_DEP_1)
	v_rcp_f64_e32 v[71:72], v[69:70]
	s_waitcnt_depctr 0xfff
	v_fma_f64 v[73:74], -v[69:70], v[71:72], 1.0
	v_fma_f64 v[71:72], v[71:72], v[73:74], v[71:72]
	s_delay_alu instid0(VALU_DEP_1) | instskip(NEXT) | instid1(VALU_DEP_1)
	v_fma_f64 v[73:74], -v[69:70], v[71:72], 1.0
	v_fma_f64 v[71:72], v[71:72], v[73:74], v[71:72]
	s_delay_alu instid0(VALU_DEP_1) | instskip(NEXT) | instid1(VALU_DEP_1)
	v_mul_f64 v[73:74], v[75:76], v[71:72]
	v_fma_f64 v[69:70], -v[69:70], v[73:74], v[75:76]
	s_delay_alu instid0(VALU_DEP_1) | instskip(NEXT) | instid1(VALU_DEP_1)
	v_div_fmas_f64 v[69:70], v[69:70], v[71:72], v[73:74]
	v_div_fixup_f64 v[69:70], v[69:70], v[54:55], v[52:53]
	s_delay_alu instid0(VALU_DEP_1) | instskip(NEXT) | instid1(VALU_DEP_1)
	v_fma_f64 v[52:53], v[52:53], v[69:70], v[54:55]
	v_div_scale_f64 v[54:55], null, v[52:53], v[52:53], 1.0
	s_delay_alu instid0(VALU_DEP_1) | instskip(SKIP_2) | instid1(VALU_DEP_1)
	v_rcp_f64_e32 v[71:72], v[54:55]
	s_waitcnt_depctr 0xfff
	v_fma_f64 v[73:74], -v[54:55], v[71:72], 1.0
	v_fma_f64 v[71:72], v[71:72], v[73:74], v[71:72]
	s_delay_alu instid0(VALU_DEP_1) | instskip(NEXT) | instid1(VALU_DEP_1)
	v_fma_f64 v[73:74], -v[54:55], v[71:72], 1.0
	v_fma_f64 v[71:72], v[71:72], v[73:74], v[71:72]
	v_div_scale_f64 v[73:74], vcc_lo, 1.0, v[52:53], 1.0
	s_delay_alu instid0(VALU_DEP_1) | instskip(NEXT) | instid1(VALU_DEP_1)
	v_mul_f64 v[75:76], v[73:74], v[71:72]
	v_fma_f64 v[54:55], -v[54:55], v[75:76], v[73:74]
	s_delay_alu instid0(VALU_DEP_1) | instskip(NEXT) | instid1(VALU_DEP_1)
	v_div_fmas_f64 v[54:55], v[54:55], v[71:72], v[75:76]
	v_div_fixup_f64 v[54:55], v[54:55], v[52:53], 1.0
	s_delay_alu instid0(VALU_DEP_1)
	v_mul_f64 v[52:53], v[69:70], v[54:55]
	v_xor_b32_e32 v55, 0x80000000, v55
.LBB24_154:
	s_and_not1_saveexec_b32 s2, s2
	s_cbranch_execz .LBB24_156
; %bb.155:
	s_delay_alu instid0(VALU_DEP_1) | instskip(SKIP_1) | instid1(VALU_DEP_2)
	v_div_scale_f64 v[69:70], null, v[52:53], v[52:53], v[54:55]
	v_div_scale_f64 v[75:76], vcc_lo, v[54:55], v[52:53], v[54:55]
	v_rcp_f64_e32 v[71:72], v[69:70]
	s_waitcnt_depctr 0xfff
	v_fma_f64 v[73:74], -v[69:70], v[71:72], 1.0
	s_delay_alu instid0(VALU_DEP_1) | instskip(NEXT) | instid1(VALU_DEP_1)
	v_fma_f64 v[71:72], v[71:72], v[73:74], v[71:72]
	v_fma_f64 v[73:74], -v[69:70], v[71:72], 1.0
	s_delay_alu instid0(VALU_DEP_1) | instskip(NEXT) | instid1(VALU_DEP_1)
	v_fma_f64 v[71:72], v[71:72], v[73:74], v[71:72]
	v_mul_f64 v[73:74], v[75:76], v[71:72]
	s_delay_alu instid0(VALU_DEP_1) | instskip(NEXT) | instid1(VALU_DEP_1)
	v_fma_f64 v[69:70], -v[69:70], v[73:74], v[75:76]
	v_div_fmas_f64 v[69:70], v[69:70], v[71:72], v[73:74]
	s_delay_alu instid0(VALU_DEP_1) | instskip(NEXT) | instid1(VALU_DEP_1)
	v_div_fixup_f64 v[69:70], v[69:70], v[52:53], v[54:55]
	v_fma_f64 v[52:53], v[54:55], v[69:70], v[52:53]
	s_delay_alu instid0(VALU_DEP_1) | instskip(NEXT) | instid1(VALU_DEP_1)
	v_div_scale_f64 v[54:55], null, v[52:53], v[52:53], 1.0
	v_rcp_f64_e32 v[71:72], v[54:55]
	s_waitcnt_depctr 0xfff
	v_fma_f64 v[73:74], -v[54:55], v[71:72], 1.0
	s_delay_alu instid0(VALU_DEP_1) | instskip(NEXT) | instid1(VALU_DEP_1)
	v_fma_f64 v[71:72], v[71:72], v[73:74], v[71:72]
	v_fma_f64 v[73:74], -v[54:55], v[71:72], 1.0
	s_delay_alu instid0(VALU_DEP_1) | instskip(SKIP_1) | instid1(VALU_DEP_1)
	v_fma_f64 v[71:72], v[71:72], v[73:74], v[71:72]
	v_div_scale_f64 v[73:74], vcc_lo, 1.0, v[52:53], 1.0
	v_mul_f64 v[75:76], v[73:74], v[71:72]
	s_delay_alu instid0(VALU_DEP_1) | instskip(NEXT) | instid1(VALU_DEP_1)
	v_fma_f64 v[54:55], -v[54:55], v[75:76], v[73:74]
	v_div_fmas_f64 v[54:55], v[54:55], v[71:72], v[75:76]
	s_delay_alu instid0(VALU_DEP_1) | instskip(NEXT) | instid1(VALU_DEP_1)
	v_div_fixup_f64 v[52:53], v[54:55], v[52:53], 1.0
	v_mul_f64 v[54:55], v[69:70], -v[52:53]
.LBB24_156:
	s_or_b32 exec_lo, exec_lo, s2
.LBB24_157:
	s_delay_alu instid0(SALU_CYCLE_1) | instskip(NEXT) | instid1(SALU_CYCLE_1)
	s_or_b32 exec_lo, exec_lo, s3
	s_mov_b32 s2, exec_lo
	v_cmpx_ne_u32_e64 v68, v60
	s_xor_b32 s2, exec_lo, s2
	s_cbranch_execz .LBB24_163
; %bb.158:
	s_mov_b32 s3, exec_lo
	v_cmpx_eq_u32_e32 7, v68
	s_cbranch_execz .LBB24_162
; %bb.159:
	v_cmp_ne_u32_e32 vcc_lo, 7, v60
	s_xor_b32 s6, s4, -1
	s_delay_alu instid0(SALU_CYCLE_1) | instskip(NEXT) | instid1(SALU_CYCLE_1)
	s_and_b32 s7, s6, vcc_lo
	s_and_saveexec_b32 s6, s7
	s_cbranch_execz .LBB24_161
; %bb.160:
	v_ashrrev_i32_e32 v61, 31, v60
	s_delay_alu instid0(VALU_DEP_1) | instskip(NEXT) | instid1(VALU_DEP_1)
	v_lshlrev_b64 v[68:69], 2, v[60:61]
	v_add_co_u32 v68, vcc_lo, v58, v68
	s_delay_alu instid0(VALU_DEP_2)
	v_add_co_ci_u32_e32 v69, vcc_lo, v59, v69, vcc_lo
	s_clause 0x1
	flat_load_b32 v61, v[68:69]
	flat_load_b32 v65, v[58:59] offset:28
	s_waitcnt vmcnt(1) lgkmcnt(1)
	flat_store_b32 v[58:59], v61 offset:28
	s_waitcnt vmcnt(0) lgkmcnt(1)
	flat_store_b32 v[68:69], v65
.LBB24_161:
	s_or_b32 exec_lo, exec_lo, s6
	v_mov_b32_e32 v68, v60
	v_mov_b32_e32 v65, v60
.LBB24_162:
	s_or_b32 exec_lo, exec_lo, s3
.LBB24_163:
	s_and_not1_saveexec_b32 s2, s2
	s_cbranch_execz .LBB24_165
; %bb.164:
	v_mov_b32_e32 v68, 7
	ds_store_2addr_b64 v62, v[16:17], v[18:19] offset0:16 offset1:17
	ds_store_2addr_b64 v62, v[12:13], v[14:15] offset0:18 offset1:19
	;; [unrolled: 1-line block ×5, first 2 shown]
.LBB24_165:
	s_or_b32 exec_lo, exec_lo, s2
	s_delay_alu instid0(SALU_CYCLE_1)
	s_mov_b32 s2, exec_lo
	s_waitcnt lgkmcnt(0)
	s_waitcnt_vscnt null, 0x0
	s_barrier
	buffer_gl0_inv
	v_cmpx_lt_i32_e32 7, v68
	s_cbranch_execz .LBB24_167
; %bb.166:
	v_mul_f64 v[60:61], v[52:53], v[22:23]
	v_mul_f64 v[22:23], v[54:55], v[22:23]
	ds_load_2addr_b64 v[69:72], v62 offset0:16 offset1:17
	ds_load_2addr_b64 v[73:76], v62 offset0:18 offset1:19
	;; [unrolled: 1-line block ×5, first 2 shown]
	v_fma_f64 v[54:55], v[54:55], v[20:21], v[60:61]
	v_fma_f64 v[20:21], v[52:53], v[20:21], -v[22:23]
	s_waitcnt lgkmcnt(4)
	s_delay_alu instid0(VALU_DEP_2)
	v_mul_f64 v[22:23], v[71:72], v[54:55]
	v_mul_f64 v[52:53], v[69:70], v[54:55]
	s_waitcnt lgkmcnt(3)
	v_mul_f64 v[60:61], v[75:76], v[54:55]
	v_mul_f64 v[89:90], v[73:74], v[54:55]
	s_waitcnt lgkmcnt(2)
	;; [unrolled: 3-line block ×4, first 2 shown]
	v_mul_f64 v[99:100], v[87:88], v[54:55]
	v_mul_f64 v[101:102], v[85:86], v[54:55]
	v_fma_f64 v[22:23], v[69:70], v[20:21], -v[22:23]
	v_fma_f64 v[52:53], v[71:72], v[20:21], v[52:53]
	v_fma_f64 v[60:61], v[73:74], v[20:21], -v[60:61]
	v_fma_f64 v[69:70], v[75:76], v[20:21], v[89:90]
	;; [unrolled: 2-line block ×5, first 2 shown]
	v_add_f64 v[16:17], v[16:17], -v[22:23]
	v_add_f64 v[18:19], v[18:19], -v[52:53]
	;; [unrolled: 1-line block ×10, first 2 shown]
	v_dual_mov_b32 v22, v54 :: v_dual_mov_b32 v23, v55
.LBB24_167:
	s_or_b32 exec_lo, exec_lo, s2
	v_lshl_add_u32 v52, v68, 4, v62
	s_barrier
	buffer_gl0_inv
	v_mov_b32_e32 v60, 8
	ds_store_2addr_b64 v52, v[16:17], v[18:19] offset1:1
	s_waitcnt lgkmcnt(0)
	s_barrier
	buffer_gl0_inv
	ds_load_2addr_b64 v[52:55], v62 offset0:16 offset1:17
	s_cmp_lt_i32 s5, 10
	s_cbranch_scc1 .LBB24_170
; %bb.168:
	v_add3_u32 v61, v67, 0, 0x90
	v_mov_b32_e32 v60, 8
	s_mov_b32 s6, 9
	s_set_inst_prefetch_distance 0x1
	.p2align	6
.LBB24_169:                             ; =>This Inner Loop Header: Depth=1
	ds_load_2addr_b64 v[69:72], v61 offset1:1
	s_waitcnt lgkmcnt(1)
	v_cmp_gt_f64_e32 vcc_lo, 0, v[52:53]
	v_xor_b32_e32 v73, 0x80000000, v53
	v_cmp_gt_f64_e64 s2, 0, v[54:55]
	v_xor_b32_e32 v75, 0x80000000, v55
	v_add_nc_u32_e32 v61, 16, v61
	s_waitcnt lgkmcnt(0)
	v_cmp_gt_f64_e64 s3, 0, v[69:70]
	v_mov_b32_e32 v77, v69
	v_dual_mov_b32 v79, v71 :: v_dual_cndmask_b32 v74, v53, v73
	v_xor_b32_e32 v73, 0x80000000, v70
	v_cndmask_b32_e64 v76, v55, v75, s2
	v_xor_b32_e32 v75, 0x80000000, v72
	s_delay_alu instid0(VALU_DEP_3) | instskip(SKIP_2) | instid1(VALU_DEP_2)
	v_cndmask_b32_e64 v78, v70, v73, s3
	v_cmp_gt_f64_e64 s3, 0, v[71:72]
	v_cndmask_b32_e32 v73, v52, v52, vcc_lo
	v_cndmask_b32_e64 v80, v72, v75, s3
	v_cndmask_b32_e64 v75, v54, v54, s2
	s_delay_alu instid0(VALU_DEP_2) | instskip(NEXT) | instid1(VALU_DEP_2)
	v_add_f64 v[77:78], v[77:78], v[79:80]
	v_add_f64 v[73:74], v[73:74], v[75:76]
	s_delay_alu instid0(VALU_DEP_1) | instskip(SKIP_4) | instid1(SALU_CYCLE_1)
	v_cmp_lt_f64_e32 vcc_lo, v[73:74], v[77:78]
	v_dual_cndmask_b32 v54, v54, v71 :: v_dual_cndmask_b32 v53, v53, v70
	v_dual_cndmask_b32 v52, v52, v69 :: v_dual_cndmask_b32 v55, v55, v72
	v_cndmask_b32_e64 v60, v60, s6, vcc_lo
	s_add_i32 s6, s6, 1
	s_cmp_lg_u32 s5, s6
	s_cbranch_scc1 .LBB24_169
.LBB24_170:
	s_set_inst_prefetch_distance 0x2
	s_waitcnt lgkmcnt(0)
	v_cmp_eq_f64_e32 vcc_lo, 0, v[52:53]
	v_cmp_eq_f64_e64 s2, 0, v[54:55]
	s_delay_alu instid0(VALU_DEP_1) | instskip(NEXT) | instid1(SALU_CYCLE_1)
	s_and_b32 s2, vcc_lo, s2
	s_and_saveexec_b32 s3, s2
	s_delay_alu instid0(SALU_CYCLE_1)
	s_xor_b32 s2, exec_lo, s3
; %bb.171:
	v_cmp_ne_u32_e32 vcc_lo, 0, v66
	v_cndmask_b32_e32 v66, 9, v66, vcc_lo
; %bb.172:
	s_and_not1_saveexec_b32 s3, s2
	s_cbranch_execz .LBB24_178
; %bb.173:
	v_cmp_gt_f64_e32 vcc_lo, 0, v[52:53]
	v_cmp_gt_f64_e64 s2, 0, v[54:55]
	v_xor_b32_e32 v61, 0x80000000, v53
	v_xor_b32_e32 v69, 0x80000000, v55
	s_delay_alu instid0(VALU_DEP_2) | instskip(NEXT) | instid1(VALU_DEP_2)
	v_cndmask_b32_e32 v70, v53, v61, vcc_lo
	v_cndmask_b32_e64 v72, v55, v69, s2
	v_cndmask_b32_e32 v69, v52, v52, vcc_lo
	v_cndmask_b32_e64 v71, v54, v54, s2
	s_mov_b32 s2, exec_lo
	s_delay_alu instid0(VALU_DEP_1)
	v_cmpx_ngt_f64_e32 v[69:70], v[71:72]
	s_xor_b32 s2, exec_lo, s2
	s_cbranch_execz .LBB24_175
; %bb.174:
	v_div_scale_f64 v[69:70], null, v[54:55], v[54:55], v[52:53]
	v_div_scale_f64 v[75:76], vcc_lo, v[52:53], v[54:55], v[52:53]
	s_delay_alu instid0(VALU_DEP_2) | instskip(SKIP_2) | instid1(VALU_DEP_1)
	v_rcp_f64_e32 v[71:72], v[69:70]
	s_waitcnt_depctr 0xfff
	v_fma_f64 v[73:74], -v[69:70], v[71:72], 1.0
	v_fma_f64 v[71:72], v[71:72], v[73:74], v[71:72]
	s_delay_alu instid0(VALU_DEP_1) | instskip(NEXT) | instid1(VALU_DEP_1)
	v_fma_f64 v[73:74], -v[69:70], v[71:72], 1.0
	v_fma_f64 v[71:72], v[71:72], v[73:74], v[71:72]
	s_delay_alu instid0(VALU_DEP_1) | instskip(NEXT) | instid1(VALU_DEP_1)
	v_mul_f64 v[73:74], v[75:76], v[71:72]
	v_fma_f64 v[69:70], -v[69:70], v[73:74], v[75:76]
	s_delay_alu instid0(VALU_DEP_1) | instskip(NEXT) | instid1(VALU_DEP_1)
	v_div_fmas_f64 v[69:70], v[69:70], v[71:72], v[73:74]
	v_div_fixup_f64 v[69:70], v[69:70], v[54:55], v[52:53]
	s_delay_alu instid0(VALU_DEP_1) | instskip(NEXT) | instid1(VALU_DEP_1)
	v_fma_f64 v[52:53], v[52:53], v[69:70], v[54:55]
	v_div_scale_f64 v[54:55], null, v[52:53], v[52:53], 1.0
	s_delay_alu instid0(VALU_DEP_1) | instskip(SKIP_2) | instid1(VALU_DEP_1)
	v_rcp_f64_e32 v[71:72], v[54:55]
	s_waitcnt_depctr 0xfff
	v_fma_f64 v[73:74], -v[54:55], v[71:72], 1.0
	v_fma_f64 v[71:72], v[71:72], v[73:74], v[71:72]
	s_delay_alu instid0(VALU_DEP_1) | instskip(NEXT) | instid1(VALU_DEP_1)
	v_fma_f64 v[73:74], -v[54:55], v[71:72], 1.0
	v_fma_f64 v[71:72], v[71:72], v[73:74], v[71:72]
	v_div_scale_f64 v[73:74], vcc_lo, 1.0, v[52:53], 1.0
	s_delay_alu instid0(VALU_DEP_1) | instskip(NEXT) | instid1(VALU_DEP_1)
	v_mul_f64 v[75:76], v[73:74], v[71:72]
	v_fma_f64 v[54:55], -v[54:55], v[75:76], v[73:74]
	s_delay_alu instid0(VALU_DEP_1) | instskip(NEXT) | instid1(VALU_DEP_1)
	v_div_fmas_f64 v[54:55], v[54:55], v[71:72], v[75:76]
	v_div_fixup_f64 v[54:55], v[54:55], v[52:53], 1.0
	s_delay_alu instid0(VALU_DEP_1)
	v_mul_f64 v[52:53], v[69:70], v[54:55]
	v_xor_b32_e32 v55, 0x80000000, v55
.LBB24_175:
	s_and_not1_saveexec_b32 s2, s2
	s_cbranch_execz .LBB24_177
; %bb.176:
	s_delay_alu instid0(VALU_DEP_1) | instskip(SKIP_1) | instid1(VALU_DEP_2)
	v_div_scale_f64 v[69:70], null, v[52:53], v[52:53], v[54:55]
	v_div_scale_f64 v[75:76], vcc_lo, v[54:55], v[52:53], v[54:55]
	v_rcp_f64_e32 v[71:72], v[69:70]
	s_waitcnt_depctr 0xfff
	v_fma_f64 v[73:74], -v[69:70], v[71:72], 1.0
	s_delay_alu instid0(VALU_DEP_1) | instskip(NEXT) | instid1(VALU_DEP_1)
	v_fma_f64 v[71:72], v[71:72], v[73:74], v[71:72]
	v_fma_f64 v[73:74], -v[69:70], v[71:72], 1.0
	s_delay_alu instid0(VALU_DEP_1) | instskip(NEXT) | instid1(VALU_DEP_1)
	v_fma_f64 v[71:72], v[71:72], v[73:74], v[71:72]
	v_mul_f64 v[73:74], v[75:76], v[71:72]
	s_delay_alu instid0(VALU_DEP_1) | instskip(NEXT) | instid1(VALU_DEP_1)
	v_fma_f64 v[69:70], -v[69:70], v[73:74], v[75:76]
	v_div_fmas_f64 v[69:70], v[69:70], v[71:72], v[73:74]
	s_delay_alu instid0(VALU_DEP_1) | instskip(NEXT) | instid1(VALU_DEP_1)
	v_div_fixup_f64 v[69:70], v[69:70], v[52:53], v[54:55]
	v_fma_f64 v[52:53], v[54:55], v[69:70], v[52:53]
	s_delay_alu instid0(VALU_DEP_1) | instskip(NEXT) | instid1(VALU_DEP_1)
	v_div_scale_f64 v[54:55], null, v[52:53], v[52:53], 1.0
	v_rcp_f64_e32 v[71:72], v[54:55]
	s_waitcnt_depctr 0xfff
	v_fma_f64 v[73:74], -v[54:55], v[71:72], 1.0
	s_delay_alu instid0(VALU_DEP_1) | instskip(NEXT) | instid1(VALU_DEP_1)
	v_fma_f64 v[71:72], v[71:72], v[73:74], v[71:72]
	v_fma_f64 v[73:74], -v[54:55], v[71:72], 1.0
	s_delay_alu instid0(VALU_DEP_1) | instskip(SKIP_1) | instid1(VALU_DEP_1)
	v_fma_f64 v[71:72], v[71:72], v[73:74], v[71:72]
	v_div_scale_f64 v[73:74], vcc_lo, 1.0, v[52:53], 1.0
	v_mul_f64 v[75:76], v[73:74], v[71:72]
	s_delay_alu instid0(VALU_DEP_1) | instskip(NEXT) | instid1(VALU_DEP_1)
	v_fma_f64 v[54:55], -v[54:55], v[75:76], v[73:74]
	v_div_fmas_f64 v[54:55], v[54:55], v[71:72], v[75:76]
	s_delay_alu instid0(VALU_DEP_1) | instskip(NEXT) | instid1(VALU_DEP_1)
	v_div_fixup_f64 v[52:53], v[54:55], v[52:53], 1.0
	v_mul_f64 v[54:55], v[69:70], -v[52:53]
.LBB24_177:
	s_or_b32 exec_lo, exec_lo, s2
.LBB24_178:
	s_delay_alu instid0(SALU_CYCLE_1) | instskip(NEXT) | instid1(SALU_CYCLE_1)
	s_or_b32 exec_lo, exec_lo, s3
	s_mov_b32 s2, exec_lo
	v_cmpx_ne_u32_e64 v68, v60
	s_xor_b32 s2, exec_lo, s2
	s_cbranch_execz .LBB24_184
; %bb.179:
	s_mov_b32 s3, exec_lo
	v_cmpx_eq_u32_e32 8, v68
	s_cbranch_execz .LBB24_183
; %bb.180:
	v_cmp_ne_u32_e32 vcc_lo, 8, v60
	s_xor_b32 s6, s4, -1
	s_delay_alu instid0(SALU_CYCLE_1) | instskip(NEXT) | instid1(SALU_CYCLE_1)
	s_and_b32 s7, s6, vcc_lo
	s_and_saveexec_b32 s6, s7
	s_cbranch_execz .LBB24_182
; %bb.181:
	v_ashrrev_i32_e32 v61, 31, v60
	s_delay_alu instid0(VALU_DEP_1) | instskip(NEXT) | instid1(VALU_DEP_1)
	v_lshlrev_b64 v[68:69], 2, v[60:61]
	v_add_co_u32 v68, vcc_lo, v58, v68
	s_delay_alu instid0(VALU_DEP_2)
	v_add_co_ci_u32_e32 v69, vcc_lo, v59, v69, vcc_lo
	s_clause 0x1
	flat_load_b32 v61, v[68:69]
	flat_load_b32 v65, v[58:59] offset:32
	s_waitcnt vmcnt(1) lgkmcnt(1)
	flat_store_b32 v[58:59], v61 offset:32
	s_waitcnt vmcnt(0) lgkmcnt(1)
	flat_store_b32 v[68:69], v65
.LBB24_182:
	s_or_b32 exec_lo, exec_lo, s6
	v_mov_b32_e32 v68, v60
	v_mov_b32_e32 v65, v60
.LBB24_183:
	s_or_b32 exec_lo, exec_lo, s3
.LBB24_184:
	s_and_not1_saveexec_b32 s2, s2
	s_cbranch_execz .LBB24_186
; %bb.185:
	v_mov_b32_e32 v68, 8
	ds_store_2addr_b64 v62, v[12:13], v[14:15] offset0:18 offset1:19
	ds_store_2addr_b64 v62, v[8:9], v[10:11] offset0:20 offset1:21
	;; [unrolled: 1-line block ×4, first 2 shown]
.LBB24_186:
	s_or_b32 exec_lo, exec_lo, s2
	s_delay_alu instid0(SALU_CYCLE_1)
	s_mov_b32 s2, exec_lo
	s_waitcnt lgkmcnt(0)
	s_waitcnt_vscnt null, 0x0
	s_barrier
	buffer_gl0_inv
	v_cmpx_lt_i32_e32 8, v68
	s_cbranch_execz .LBB24_188
; %bb.187:
	v_mul_f64 v[60:61], v[52:53], v[18:19]
	v_mul_f64 v[18:19], v[54:55], v[18:19]
	ds_load_2addr_b64 v[69:72], v62 offset0:18 offset1:19
	ds_load_2addr_b64 v[73:76], v62 offset0:20 offset1:21
	;; [unrolled: 1-line block ×4, first 2 shown]
	v_fma_f64 v[54:55], v[54:55], v[16:17], v[60:61]
	v_fma_f64 v[16:17], v[52:53], v[16:17], -v[18:19]
	s_waitcnt lgkmcnt(3)
	s_delay_alu instid0(VALU_DEP_2)
	v_mul_f64 v[18:19], v[71:72], v[54:55]
	v_mul_f64 v[52:53], v[69:70], v[54:55]
	s_waitcnt lgkmcnt(2)
	v_mul_f64 v[60:61], v[75:76], v[54:55]
	v_mul_f64 v[85:86], v[73:74], v[54:55]
	s_waitcnt lgkmcnt(1)
	;; [unrolled: 3-line block ×3, first 2 shown]
	v_mul_f64 v[91:92], v[83:84], v[54:55]
	v_mul_f64 v[93:94], v[81:82], v[54:55]
	v_fma_f64 v[18:19], v[69:70], v[16:17], -v[18:19]
	v_fma_f64 v[52:53], v[71:72], v[16:17], v[52:53]
	v_fma_f64 v[60:61], v[73:74], v[16:17], -v[60:61]
	v_fma_f64 v[69:70], v[75:76], v[16:17], v[85:86]
	;; [unrolled: 2-line block ×4, first 2 shown]
	v_add_f64 v[12:13], v[12:13], -v[18:19]
	v_add_f64 v[14:15], v[14:15], -v[52:53]
	;; [unrolled: 1-line block ×8, first 2 shown]
	v_dual_mov_b32 v18, v54 :: v_dual_mov_b32 v19, v55
.LBB24_188:
	s_or_b32 exec_lo, exec_lo, s2
	v_lshl_add_u32 v52, v68, 4, v62
	s_barrier
	buffer_gl0_inv
	v_mov_b32_e32 v60, 9
	ds_store_2addr_b64 v52, v[12:13], v[14:15] offset1:1
	s_waitcnt lgkmcnt(0)
	s_barrier
	buffer_gl0_inv
	ds_load_2addr_b64 v[52:55], v62 offset0:18 offset1:19
	s_cmp_lt_i32 s5, 11
	s_cbranch_scc1 .LBB24_191
; %bb.189:
	v_add3_u32 v61, v67, 0, 0xa0
	v_mov_b32_e32 v60, 9
	s_mov_b32 s6, 10
	s_set_inst_prefetch_distance 0x1
	.p2align	6
.LBB24_190:                             ; =>This Inner Loop Header: Depth=1
	ds_load_2addr_b64 v[69:72], v61 offset1:1
	s_waitcnt lgkmcnt(1)
	v_cmp_gt_f64_e32 vcc_lo, 0, v[52:53]
	v_xor_b32_e32 v73, 0x80000000, v53
	v_cmp_gt_f64_e64 s2, 0, v[54:55]
	v_xor_b32_e32 v75, 0x80000000, v55
	v_add_nc_u32_e32 v61, 16, v61
	s_waitcnt lgkmcnt(0)
	v_cmp_gt_f64_e64 s3, 0, v[69:70]
	v_mov_b32_e32 v77, v69
	v_dual_mov_b32 v79, v71 :: v_dual_cndmask_b32 v74, v53, v73
	v_xor_b32_e32 v73, 0x80000000, v70
	v_cndmask_b32_e64 v76, v55, v75, s2
	v_xor_b32_e32 v75, 0x80000000, v72
	s_delay_alu instid0(VALU_DEP_3) | instskip(SKIP_2) | instid1(VALU_DEP_2)
	v_cndmask_b32_e64 v78, v70, v73, s3
	v_cmp_gt_f64_e64 s3, 0, v[71:72]
	v_cndmask_b32_e32 v73, v52, v52, vcc_lo
	v_cndmask_b32_e64 v80, v72, v75, s3
	v_cndmask_b32_e64 v75, v54, v54, s2
	s_delay_alu instid0(VALU_DEP_2) | instskip(NEXT) | instid1(VALU_DEP_2)
	v_add_f64 v[77:78], v[77:78], v[79:80]
	v_add_f64 v[73:74], v[73:74], v[75:76]
	s_delay_alu instid0(VALU_DEP_1) | instskip(SKIP_4) | instid1(SALU_CYCLE_1)
	v_cmp_lt_f64_e32 vcc_lo, v[73:74], v[77:78]
	v_dual_cndmask_b32 v54, v54, v71 :: v_dual_cndmask_b32 v53, v53, v70
	v_dual_cndmask_b32 v52, v52, v69 :: v_dual_cndmask_b32 v55, v55, v72
	v_cndmask_b32_e64 v60, v60, s6, vcc_lo
	s_add_i32 s6, s6, 1
	s_cmp_lg_u32 s5, s6
	s_cbranch_scc1 .LBB24_190
.LBB24_191:
	s_set_inst_prefetch_distance 0x2
	s_waitcnt lgkmcnt(0)
	v_cmp_eq_f64_e32 vcc_lo, 0, v[52:53]
	v_cmp_eq_f64_e64 s2, 0, v[54:55]
	s_delay_alu instid0(VALU_DEP_1) | instskip(NEXT) | instid1(SALU_CYCLE_1)
	s_and_b32 s2, vcc_lo, s2
	s_and_saveexec_b32 s3, s2
	s_delay_alu instid0(SALU_CYCLE_1)
	s_xor_b32 s2, exec_lo, s3
; %bb.192:
	v_cmp_ne_u32_e32 vcc_lo, 0, v66
	v_cndmask_b32_e32 v66, 10, v66, vcc_lo
; %bb.193:
	s_and_not1_saveexec_b32 s3, s2
	s_cbranch_execz .LBB24_199
; %bb.194:
	v_cmp_gt_f64_e32 vcc_lo, 0, v[52:53]
	v_cmp_gt_f64_e64 s2, 0, v[54:55]
	v_xor_b32_e32 v61, 0x80000000, v53
	v_xor_b32_e32 v69, 0x80000000, v55
	s_delay_alu instid0(VALU_DEP_2) | instskip(NEXT) | instid1(VALU_DEP_2)
	v_cndmask_b32_e32 v70, v53, v61, vcc_lo
	v_cndmask_b32_e64 v72, v55, v69, s2
	v_cndmask_b32_e32 v69, v52, v52, vcc_lo
	v_cndmask_b32_e64 v71, v54, v54, s2
	s_mov_b32 s2, exec_lo
	s_delay_alu instid0(VALU_DEP_1)
	v_cmpx_ngt_f64_e32 v[69:70], v[71:72]
	s_xor_b32 s2, exec_lo, s2
	s_cbranch_execz .LBB24_196
; %bb.195:
	v_div_scale_f64 v[69:70], null, v[54:55], v[54:55], v[52:53]
	v_div_scale_f64 v[75:76], vcc_lo, v[52:53], v[54:55], v[52:53]
	s_delay_alu instid0(VALU_DEP_2) | instskip(SKIP_2) | instid1(VALU_DEP_1)
	v_rcp_f64_e32 v[71:72], v[69:70]
	s_waitcnt_depctr 0xfff
	v_fma_f64 v[73:74], -v[69:70], v[71:72], 1.0
	v_fma_f64 v[71:72], v[71:72], v[73:74], v[71:72]
	s_delay_alu instid0(VALU_DEP_1) | instskip(NEXT) | instid1(VALU_DEP_1)
	v_fma_f64 v[73:74], -v[69:70], v[71:72], 1.0
	v_fma_f64 v[71:72], v[71:72], v[73:74], v[71:72]
	s_delay_alu instid0(VALU_DEP_1) | instskip(NEXT) | instid1(VALU_DEP_1)
	v_mul_f64 v[73:74], v[75:76], v[71:72]
	v_fma_f64 v[69:70], -v[69:70], v[73:74], v[75:76]
	s_delay_alu instid0(VALU_DEP_1) | instskip(NEXT) | instid1(VALU_DEP_1)
	v_div_fmas_f64 v[69:70], v[69:70], v[71:72], v[73:74]
	v_div_fixup_f64 v[69:70], v[69:70], v[54:55], v[52:53]
	s_delay_alu instid0(VALU_DEP_1) | instskip(NEXT) | instid1(VALU_DEP_1)
	v_fma_f64 v[52:53], v[52:53], v[69:70], v[54:55]
	v_div_scale_f64 v[54:55], null, v[52:53], v[52:53], 1.0
	s_delay_alu instid0(VALU_DEP_1) | instskip(SKIP_2) | instid1(VALU_DEP_1)
	v_rcp_f64_e32 v[71:72], v[54:55]
	s_waitcnt_depctr 0xfff
	v_fma_f64 v[73:74], -v[54:55], v[71:72], 1.0
	v_fma_f64 v[71:72], v[71:72], v[73:74], v[71:72]
	s_delay_alu instid0(VALU_DEP_1) | instskip(NEXT) | instid1(VALU_DEP_1)
	v_fma_f64 v[73:74], -v[54:55], v[71:72], 1.0
	v_fma_f64 v[71:72], v[71:72], v[73:74], v[71:72]
	v_div_scale_f64 v[73:74], vcc_lo, 1.0, v[52:53], 1.0
	s_delay_alu instid0(VALU_DEP_1) | instskip(NEXT) | instid1(VALU_DEP_1)
	v_mul_f64 v[75:76], v[73:74], v[71:72]
	v_fma_f64 v[54:55], -v[54:55], v[75:76], v[73:74]
	s_delay_alu instid0(VALU_DEP_1) | instskip(NEXT) | instid1(VALU_DEP_1)
	v_div_fmas_f64 v[54:55], v[54:55], v[71:72], v[75:76]
	v_div_fixup_f64 v[54:55], v[54:55], v[52:53], 1.0
	s_delay_alu instid0(VALU_DEP_1)
	v_mul_f64 v[52:53], v[69:70], v[54:55]
	v_xor_b32_e32 v55, 0x80000000, v55
.LBB24_196:
	s_and_not1_saveexec_b32 s2, s2
	s_cbranch_execz .LBB24_198
; %bb.197:
	s_delay_alu instid0(VALU_DEP_1) | instskip(SKIP_1) | instid1(VALU_DEP_2)
	v_div_scale_f64 v[69:70], null, v[52:53], v[52:53], v[54:55]
	v_div_scale_f64 v[75:76], vcc_lo, v[54:55], v[52:53], v[54:55]
	v_rcp_f64_e32 v[71:72], v[69:70]
	s_waitcnt_depctr 0xfff
	v_fma_f64 v[73:74], -v[69:70], v[71:72], 1.0
	s_delay_alu instid0(VALU_DEP_1) | instskip(NEXT) | instid1(VALU_DEP_1)
	v_fma_f64 v[71:72], v[71:72], v[73:74], v[71:72]
	v_fma_f64 v[73:74], -v[69:70], v[71:72], 1.0
	s_delay_alu instid0(VALU_DEP_1) | instskip(NEXT) | instid1(VALU_DEP_1)
	v_fma_f64 v[71:72], v[71:72], v[73:74], v[71:72]
	v_mul_f64 v[73:74], v[75:76], v[71:72]
	s_delay_alu instid0(VALU_DEP_1) | instskip(NEXT) | instid1(VALU_DEP_1)
	v_fma_f64 v[69:70], -v[69:70], v[73:74], v[75:76]
	v_div_fmas_f64 v[69:70], v[69:70], v[71:72], v[73:74]
	s_delay_alu instid0(VALU_DEP_1) | instskip(NEXT) | instid1(VALU_DEP_1)
	v_div_fixup_f64 v[69:70], v[69:70], v[52:53], v[54:55]
	v_fma_f64 v[52:53], v[54:55], v[69:70], v[52:53]
	s_delay_alu instid0(VALU_DEP_1) | instskip(NEXT) | instid1(VALU_DEP_1)
	v_div_scale_f64 v[54:55], null, v[52:53], v[52:53], 1.0
	v_rcp_f64_e32 v[71:72], v[54:55]
	s_waitcnt_depctr 0xfff
	v_fma_f64 v[73:74], -v[54:55], v[71:72], 1.0
	s_delay_alu instid0(VALU_DEP_1) | instskip(NEXT) | instid1(VALU_DEP_1)
	v_fma_f64 v[71:72], v[71:72], v[73:74], v[71:72]
	v_fma_f64 v[73:74], -v[54:55], v[71:72], 1.0
	s_delay_alu instid0(VALU_DEP_1) | instskip(SKIP_1) | instid1(VALU_DEP_1)
	v_fma_f64 v[71:72], v[71:72], v[73:74], v[71:72]
	v_div_scale_f64 v[73:74], vcc_lo, 1.0, v[52:53], 1.0
	v_mul_f64 v[75:76], v[73:74], v[71:72]
	s_delay_alu instid0(VALU_DEP_1) | instskip(NEXT) | instid1(VALU_DEP_1)
	v_fma_f64 v[54:55], -v[54:55], v[75:76], v[73:74]
	v_div_fmas_f64 v[54:55], v[54:55], v[71:72], v[75:76]
	s_delay_alu instid0(VALU_DEP_1) | instskip(NEXT) | instid1(VALU_DEP_1)
	v_div_fixup_f64 v[52:53], v[54:55], v[52:53], 1.0
	v_mul_f64 v[54:55], v[69:70], -v[52:53]
.LBB24_198:
	s_or_b32 exec_lo, exec_lo, s2
.LBB24_199:
	s_delay_alu instid0(SALU_CYCLE_1) | instskip(NEXT) | instid1(SALU_CYCLE_1)
	s_or_b32 exec_lo, exec_lo, s3
	s_mov_b32 s2, exec_lo
	v_cmpx_ne_u32_e64 v68, v60
	s_xor_b32 s2, exec_lo, s2
	s_cbranch_execz .LBB24_205
; %bb.200:
	s_mov_b32 s3, exec_lo
	v_cmpx_eq_u32_e32 9, v68
	s_cbranch_execz .LBB24_204
; %bb.201:
	v_cmp_ne_u32_e32 vcc_lo, 9, v60
	s_xor_b32 s6, s4, -1
	s_delay_alu instid0(SALU_CYCLE_1) | instskip(NEXT) | instid1(SALU_CYCLE_1)
	s_and_b32 s7, s6, vcc_lo
	s_and_saveexec_b32 s6, s7
	s_cbranch_execz .LBB24_203
; %bb.202:
	v_ashrrev_i32_e32 v61, 31, v60
	s_delay_alu instid0(VALU_DEP_1) | instskip(NEXT) | instid1(VALU_DEP_1)
	v_lshlrev_b64 v[68:69], 2, v[60:61]
	v_add_co_u32 v68, vcc_lo, v58, v68
	s_delay_alu instid0(VALU_DEP_2)
	v_add_co_ci_u32_e32 v69, vcc_lo, v59, v69, vcc_lo
	s_clause 0x1
	flat_load_b32 v61, v[68:69]
	flat_load_b32 v65, v[58:59] offset:36
	s_waitcnt vmcnt(1) lgkmcnt(1)
	flat_store_b32 v[58:59], v61 offset:36
	s_waitcnt vmcnt(0) lgkmcnt(1)
	flat_store_b32 v[68:69], v65
.LBB24_203:
	s_or_b32 exec_lo, exec_lo, s6
	v_mov_b32_e32 v68, v60
	v_mov_b32_e32 v65, v60
.LBB24_204:
	s_or_b32 exec_lo, exec_lo, s3
.LBB24_205:
	s_and_not1_saveexec_b32 s2, s2
	s_cbranch_execz .LBB24_207
; %bb.206:
	v_mov_b32_e32 v68, 9
	ds_store_2addr_b64 v62, v[8:9], v[10:11] offset0:20 offset1:21
	ds_store_2addr_b64 v62, v[4:5], v[6:7] offset0:22 offset1:23
	;; [unrolled: 1-line block ×3, first 2 shown]
.LBB24_207:
	s_or_b32 exec_lo, exec_lo, s2
	s_delay_alu instid0(SALU_CYCLE_1)
	s_mov_b32 s2, exec_lo
	s_waitcnt lgkmcnt(0)
	s_waitcnt_vscnt null, 0x0
	s_barrier
	buffer_gl0_inv
	v_cmpx_lt_i32_e32 9, v68
	s_cbranch_execz .LBB24_209
; %bb.208:
	v_mul_f64 v[60:61], v[52:53], v[14:15]
	v_mul_f64 v[14:15], v[54:55], v[14:15]
	ds_load_2addr_b64 v[69:72], v62 offset0:20 offset1:21
	ds_load_2addr_b64 v[73:76], v62 offset0:22 offset1:23
	;; [unrolled: 1-line block ×3, first 2 shown]
	v_fma_f64 v[54:55], v[54:55], v[12:13], v[60:61]
	v_fma_f64 v[12:13], v[52:53], v[12:13], -v[14:15]
	s_waitcnt lgkmcnt(2)
	s_delay_alu instid0(VALU_DEP_2)
	v_mul_f64 v[14:15], v[71:72], v[54:55]
	v_mul_f64 v[52:53], v[69:70], v[54:55]
	s_waitcnt lgkmcnt(1)
	v_mul_f64 v[60:61], v[75:76], v[54:55]
	v_mul_f64 v[81:82], v[73:74], v[54:55]
	s_waitcnt lgkmcnt(0)
	v_mul_f64 v[83:84], v[79:80], v[54:55]
	v_mul_f64 v[85:86], v[77:78], v[54:55]
	v_fma_f64 v[14:15], v[69:70], v[12:13], -v[14:15]
	v_fma_f64 v[52:53], v[71:72], v[12:13], v[52:53]
	v_fma_f64 v[60:61], v[73:74], v[12:13], -v[60:61]
	v_fma_f64 v[69:70], v[75:76], v[12:13], v[81:82]
	;; [unrolled: 2-line block ×3, first 2 shown]
	v_add_f64 v[8:9], v[8:9], -v[14:15]
	v_add_f64 v[10:11], v[10:11], -v[52:53]
	;; [unrolled: 1-line block ×6, first 2 shown]
	v_dual_mov_b32 v14, v54 :: v_dual_mov_b32 v15, v55
.LBB24_209:
	s_or_b32 exec_lo, exec_lo, s2
	v_lshl_add_u32 v52, v68, 4, v62
	s_barrier
	buffer_gl0_inv
	v_mov_b32_e32 v60, 10
	ds_store_2addr_b64 v52, v[8:9], v[10:11] offset1:1
	s_waitcnt lgkmcnt(0)
	s_barrier
	buffer_gl0_inv
	ds_load_2addr_b64 v[52:55], v62 offset0:20 offset1:21
	s_cmp_lt_i32 s5, 12
	s_cbranch_scc1 .LBB24_212
; %bb.210:
	v_add3_u32 v61, v67, 0, 0xb0
	v_mov_b32_e32 v60, 10
	s_mov_b32 s6, 11
	s_set_inst_prefetch_distance 0x1
	.p2align	6
.LBB24_211:                             ; =>This Inner Loop Header: Depth=1
	ds_load_2addr_b64 v[69:72], v61 offset1:1
	s_waitcnt lgkmcnt(1)
	v_cmp_gt_f64_e32 vcc_lo, 0, v[52:53]
	v_xor_b32_e32 v73, 0x80000000, v53
	v_cmp_gt_f64_e64 s2, 0, v[54:55]
	v_xor_b32_e32 v75, 0x80000000, v55
	v_add_nc_u32_e32 v61, 16, v61
	s_waitcnt lgkmcnt(0)
	v_cmp_gt_f64_e64 s3, 0, v[69:70]
	v_mov_b32_e32 v77, v69
	v_dual_mov_b32 v79, v71 :: v_dual_cndmask_b32 v74, v53, v73
	v_xor_b32_e32 v73, 0x80000000, v70
	v_cndmask_b32_e64 v76, v55, v75, s2
	v_xor_b32_e32 v75, 0x80000000, v72
	s_delay_alu instid0(VALU_DEP_3) | instskip(SKIP_2) | instid1(VALU_DEP_2)
	v_cndmask_b32_e64 v78, v70, v73, s3
	v_cmp_gt_f64_e64 s3, 0, v[71:72]
	v_cndmask_b32_e32 v73, v52, v52, vcc_lo
	v_cndmask_b32_e64 v80, v72, v75, s3
	v_cndmask_b32_e64 v75, v54, v54, s2
	s_delay_alu instid0(VALU_DEP_2) | instskip(NEXT) | instid1(VALU_DEP_2)
	v_add_f64 v[77:78], v[77:78], v[79:80]
	v_add_f64 v[73:74], v[73:74], v[75:76]
	s_delay_alu instid0(VALU_DEP_1) | instskip(SKIP_4) | instid1(SALU_CYCLE_1)
	v_cmp_lt_f64_e32 vcc_lo, v[73:74], v[77:78]
	v_dual_cndmask_b32 v54, v54, v71 :: v_dual_cndmask_b32 v53, v53, v70
	v_dual_cndmask_b32 v52, v52, v69 :: v_dual_cndmask_b32 v55, v55, v72
	v_cndmask_b32_e64 v60, v60, s6, vcc_lo
	s_add_i32 s6, s6, 1
	s_cmp_lg_u32 s5, s6
	s_cbranch_scc1 .LBB24_211
.LBB24_212:
	s_set_inst_prefetch_distance 0x2
	s_waitcnt lgkmcnt(0)
	v_cmp_eq_f64_e32 vcc_lo, 0, v[52:53]
	v_cmp_eq_f64_e64 s2, 0, v[54:55]
	s_delay_alu instid0(VALU_DEP_1) | instskip(NEXT) | instid1(SALU_CYCLE_1)
	s_and_b32 s2, vcc_lo, s2
	s_and_saveexec_b32 s3, s2
	s_delay_alu instid0(SALU_CYCLE_1)
	s_xor_b32 s2, exec_lo, s3
; %bb.213:
	v_cmp_ne_u32_e32 vcc_lo, 0, v66
	v_cndmask_b32_e32 v66, 11, v66, vcc_lo
; %bb.214:
	s_and_not1_saveexec_b32 s3, s2
	s_cbranch_execz .LBB24_220
; %bb.215:
	v_cmp_gt_f64_e32 vcc_lo, 0, v[52:53]
	v_cmp_gt_f64_e64 s2, 0, v[54:55]
	v_xor_b32_e32 v61, 0x80000000, v53
	v_xor_b32_e32 v69, 0x80000000, v55
	s_delay_alu instid0(VALU_DEP_2) | instskip(NEXT) | instid1(VALU_DEP_2)
	v_cndmask_b32_e32 v70, v53, v61, vcc_lo
	v_cndmask_b32_e64 v72, v55, v69, s2
	v_cndmask_b32_e32 v69, v52, v52, vcc_lo
	v_cndmask_b32_e64 v71, v54, v54, s2
	s_mov_b32 s2, exec_lo
	s_delay_alu instid0(VALU_DEP_1)
	v_cmpx_ngt_f64_e32 v[69:70], v[71:72]
	s_xor_b32 s2, exec_lo, s2
	s_cbranch_execz .LBB24_217
; %bb.216:
	v_div_scale_f64 v[69:70], null, v[54:55], v[54:55], v[52:53]
	v_div_scale_f64 v[75:76], vcc_lo, v[52:53], v[54:55], v[52:53]
	s_delay_alu instid0(VALU_DEP_2) | instskip(SKIP_2) | instid1(VALU_DEP_1)
	v_rcp_f64_e32 v[71:72], v[69:70]
	s_waitcnt_depctr 0xfff
	v_fma_f64 v[73:74], -v[69:70], v[71:72], 1.0
	v_fma_f64 v[71:72], v[71:72], v[73:74], v[71:72]
	s_delay_alu instid0(VALU_DEP_1) | instskip(NEXT) | instid1(VALU_DEP_1)
	v_fma_f64 v[73:74], -v[69:70], v[71:72], 1.0
	v_fma_f64 v[71:72], v[71:72], v[73:74], v[71:72]
	s_delay_alu instid0(VALU_DEP_1) | instskip(NEXT) | instid1(VALU_DEP_1)
	v_mul_f64 v[73:74], v[75:76], v[71:72]
	v_fma_f64 v[69:70], -v[69:70], v[73:74], v[75:76]
	s_delay_alu instid0(VALU_DEP_1) | instskip(NEXT) | instid1(VALU_DEP_1)
	v_div_fmas_f64 v[69:70], v[69:70], v[71:72], v[73:74]
	v_div_fixup_f64 v[69:70], v[69:70], v[54:55], v[52:53]
	s_delay_alu instid0(VALU_DEP_1) | instskip(NEXT) | instid1(VALU_DEP_1)
	v_fma_f64 v[52:53], v[52:53], v[69:70], v[54:55]
	v_div_scale_f64 v[54:55], null, v[52:53], v[52:53], 1.0
	s_delay_alu instid0(VALU_DEP_1) | instskip(SKIP_2) | instid1(VALU_DEP_1)
	v_rcp_f64_e32 v[71:72], v[54:55]
	s_waitcnt_depctr 0xfff
	v_fma_f64 v[73:74], -v[54:55], v[71:72], 1.0
	v_fma_f64 v[71:72], v[71:72], v[73:74], v[71:72]
	s_delay_alu instid0(VALU_DEP_1) | instskip(NEXT) | instid1(VALU_DEP_1)
	v_fma_f64 v[73:74], -v[54:55], v[71:72], 1.0
	v_fma_f64 v[71:72], v[71:72], v[73:74], v[71:72]
	v_div_scale_f64 v[73:74], vcc_lo, 1.0, v[52:53], 1.0
	s_delay_alu instid0(VALU_DEP_1) | instskip(NEXT) | instid1(VALU_DEP_1)
	v_mul_f64 v[75:76], v[73:74], v[71:72]
	v_fma_f64 v[54:55], -v[54:55], v[75:76], v[73:74]
	s_delay_alu instid0(VALU_DEP_1) | instskip(NEXT) | instid1(VALU_DEP_1)
	v_div_fmas_f64 v[54:55], v[54:55], v[71:72], v[75:76]
	v_div_fixup_f64 v[54:55], v[54:55], v[52:53], 1.0
	s_delay_alu instid0(VALU_DEP_1)
	v_mul_f64 v[52:53], v[69:70], v[54:55]
	v_xor_b32_e32 v55, 0x80000000, v55
.LBB24_217:
	s_and_not1_saveexec_b32 s2, s2
	s_cbranch_execz .LBB24_219
; %bb.218:
	s_delay_alu instid0(VALU_DEP_1) | instskip(SKIP_1) | instid1(VALU_DEP_2)
	v_div_scale_f64 v[69:70], null, v[52:53], v[52:53], v[54:55]
	v_div_scale_f64 v[75:76], vcc_lo, v[54:55], v[52:53], v[54:55]
	v_rcp_f64_e32 v[71:72], v[69:70]
	s_waitcnt_depctr 0xfff
	v_fma_f64 v[73:74], -v[69:70], v[71:72], 1.0
	s_delay_alu instid0(VALU_DEP_1) | instskip(NEXT) | instid1(VALU_DEP_1)
	v_fma_f64 v[71:72], v[71:72], v[73:74], v[71:72]
	v_fma_f64 v[73:74], -v[69:70], v[71:72], 1.0
	s_delay_alu instid0(VALU_DEP_1) | instskip(NEXT) | instid1(VALU_DEP_1)
	v_fma_f64 v[71:72], v[71:72], v[73:74], v[71:72]
	v_mul_f64 v[73:74], v[75:76], v[71:72]
	s_delay_alu instid0(VALU_DEP_1) | instskip(NEXT) | instid1(VALU_DEP_1)
	v_fma_f64 v[69:70], -v[69:70], v[73:74], v[75:76]
	v_div_fmas_f64 v[69:70], v[69:70], v[71:72], v[73:74]
	s_delay_alu instid0(VALU_DEP_1) | instskip(NEXT) | instid1(VALU_DEP_1)
	v_div_fixup_f64 v[69:70], v[69:70], v[52:53], v[54:55]
	v_fma_f64 v[52:53], v[54:55], v[69:70], v[52:53]
	s_delay_alu instid0(VALU_DEP_1) | instskip(NEXT) | instid1(VALU_DEP_1)
	v_div_scale_f64 v[54:55], null, v[52:53], v[52:53], 1.0
	v_rcp_f64_e32 v[71:72], v[54:55]
	s_waitcnt_depctr 0xfff
	v_fma_f64 v[73:74], -v[54:55], v[71:72], 1.0
	s_delay_alu instid0(VALU_DEP_1) | instskip(NEXT) | instid1(VALU_DEP_1)
	v_fma_f64 v[71:72], v[71:72], v[73:74], v[71:72]
	v_fma_f64 v[73:74], -v[54:55], v[71:72], 1.0
	s_delay_alu instid0(VALU_DEP_1) | instskip(SKIP_1) | instid1(VALU_DEP_1)
	v_fma_f64 v[71:72], v[71:72], v[73:74], v[71:72]
	v_div_scale_f64 v[73:74], vcc_lo, 1.0, v[52:53], 1.0
	v_mul_f64 v[75:76], v[73:74], v[71:72]
	s_delay_alu instid0(VALU_DEP_1) | instskip(NEXT) | instid1(VALU_DEP_1)
	v_fma_f64 v[54:55], -v[54:55], v[75:76], v[73:74]
	v_div_fmas_f64 v[54:55], v[54:55], v[71:72], v[75:76]
	s_delay_alu instid0(VALU_DEP_1) | instskip(NEXT) | instid1(VALU_DEP_1)
	v_div_fixup_f64 v[52:53], v[54:55], v[52:53], 1.0
	v_mul_f64 v[54:55], v[69:70], -v[52:53]
.LBB24_219:
	s_or_b32 exec_lo, exec_lo, s2
.LBB24_220:
	s_delay_alu instid0(SALU_CYCLE_1) | instskip(NEXT) | instid1(SALU_CYCLE_1)
	s_or_b32 exec_lo, exec_lo, s3
	s_mov_b32 s2, exec_lo
	v_cmpx_ne_u32_e64 v68, v60
	s_xor_b32 s2, exec_lo, s2
	s_cbranch_execz .LBB24_226
; %bb.221:
	s_mov_b32 s3, exec_lo
	v_cmpx_eq_u32_e32 10, v68
	s_cbranch_execz .LBB24_225
; %bb.222:
	v_cmp_ne_u32_e32 vcc_lo, 10, v60
	s_xor_b32 s6, s4, -1
	s_delay_alu instid0(SALU_CYCLE_1) | instskip(NEXT) | instid1(SALU_CYCLE_1)
	s_and_b32 s7, s6, vcc_lo
	s_and_saveexec_b32 s6, s7
	s_cbranch_execz .LBB24_224
; %bb.223:
	v_ashrrev_i32_e32 v61, 31, v60
	s_delay_alu instid0(VALU_DEP_1) | instskip(NEXT) | instid1(VALU_DEP_1)
	v_lshlrev_b64 v[68:69], 2, v[60:61]
	v_add_co_u32 v68, vcc_lo, v58, v68
	s_delay_alu instid0(VALU_DEP_2)
	v_add_co_ci_u32_e32 v69, vcc_lo, v59, v69, vcc_lo
	s_clause 0x1
	flat_load_b32 v61, v[68:69]
	flat_load_b32 v65, v[58:59] offset:40
	s_waitcnt vmcnt(1) lgkmcnt(1)
	flat_store_b32 v[58:59], v61 offset:40
	s_waitcnt vmcnt(0) lgkmcnt(1)
	flat_store_b32 v[68:69], v65
.LBB24_224:
	s_or_b32 exec_lo, exec_lo, s6
	v_mov_b32_e32 v68, v60
	v_mov_b32_e32 v65, v60
.LBB24_225:
	s_or_b32 exec_lo, exec_lo, s3
.LBB24_226:
	s_and_not1_saveexec_b32 s2, s2
	s_cbranch_execz .LBB24_228
; %bb.227:
	v_mov_b32_e32 v68, 10
	ds_store_2addr_b64 v62, v[4:5], v[6:7] offset0:22 offset1:23
	ds_store_2addr_b64 v62, v[0:1], v[2:3] offset0:24 offset1:25
.LBB24_228:
	s_or_b32 exec_lo, exec_lo, s2
	s_delay_alu instid0(SALU_CYCLE_1)
	s_mov_b32 s2, exec_lo
	s_waitcnt lgkmcnt(0)
	s_waitcnt_vscnt null, 0x0
	s_barrier
	buffer_gl0_inv
	v_cmpx_lt_i32_e32 10, v68
	s_cbranch_execz .LBB24_230
; %bb.229:
	v_mul_f64 v[60:61], v[52:53], v[10:11]
	v_mul_f64 v[10:11], v[54:55], v[10:11]
	ds_load_2addr_b64 v[69:72], v62 offset0:22 offset1:23
	ds_load_2addr_b64 v[73:76], v62 offset0:24 offset1:25
	v_fma_f64 v[54:55], v[54:55], v[8:9], v[60:61]
	v_fma_f64 v[8:9], v[52:53], v[8:9], -v[10:11]
	s_waitcnt lgkmcnt(1)
	s_delay_alu instid0(VALU_DEP_2) | instskip(SKIP_4) | instid1(VALU_DEP_4)
	v_mul_f64 v[10:11], v[71:72], v[54:55]
	v_mul_f64 v[52:53], v[69:70], v[54:55]
	s_waitcnt lgkmcnt(0)
	v_mul_f64 v[60:61], v[75:76], v[54:55]
	v_mul_f64 v[77:78], v[73:74], v[54:55]
	v_fma_f64 v[10:11], v[69:70], v[8:9], -v[10:11]
	s_delay_alu instid0(VALU_DEP_4) | instskip(NEXT) | instid1(VALU_DEP_4)
	v_fma_f64 v[52:53], v[71:72], v[8:9], v[52:53]
	v_fma_f64 v[60:61], v[73:74], v[8:9], -v[60:61]
	s_delay_alu instid0(VALU_DEP_4) | instskip(NEXT) | instid1(VALU_DEP_4)
	v_fma_f64 v[69:70], v[75:76], v[8:9], v[77:78]
	v_add_f64 v[4:5], v[4:5], -v[10:11]
	s_delay_alu instid0(VALU_DEP_4) | instskip(NEXT) | instid1(VALU_DEP_4)
	v_add_f64 v[6:7], v[6:7], -v[52:53]
	v_add_f64 v[0:1], v[0:1], -v[60:61]
	s_delay_alu instid0(VALU_DEP_4)
	v_add_f64 v[2:3], v[2:3], -v[69:70]
	v_dual_mov_b32 v10, v54 :: v_dual_mov_b32 v11, v55
.LBB24_230:
	s_or_b32 exec_lo, exec_lo, s2
	v_lshl_add_u32 v52, v68, 4, v62
	s_barrier
	buffer_gl0_inv
	v_mov_b32_e32 v60, 11
	ds_store_2addr_b64 v52, v[4:5], v[6:7] offset1:1
	s_waitcnt lgkmcnt(0)
	s_barrier
	buffer_gl0_inv
	ds_load_2addr_b64 v[52:55], v62 offset0:22 offset1:23
	s_cmp_lt_i32 s5, 13
	s_cbranch_scc1 .LBB24_233
; %bb.231:
	v_add3_u32 v61, v67, 0, 0xc0
	v_mov_b32_e32 v60, 11
	s_mov_b32 s6, 12
	s_set_inst_prefetch_distance 0x1
	.p2align	6
.LBB24_232:                             ; =>This Inner Loop Header: Depth=1
	ds_load_2addr_b64 v[69:72], v61 offset1:1
	s_waitcnt lgkmcnt(1)
	v_cmp_gt_f64_e32 vcc_lo, 0, v[52:53]
	v_xor_b32_e32 v73, 0x80000000, v53
	v_cmp_gt_f64_e64 s2, 0, v[54:55]
	v_xor_b32_e32 v75, 0x80000000, v55
	v_add_nc_u32_e32 v61, 16, v61
	s_waitcnt lgkmcnt(0)
	v_cmp_gt_f64_e64 s3, 0, v[69:70]
	v_mov_b32_e32 v77, v69
	v_dual_mov_b32 v79, v71 :: v_dual_cndmask_b32 v74, v53, v73
	v_xor_b32_e32 v73, 0x80000000, v70
	v_cndmask_b32_e64 v76, v55, v75, s2
	v_xor_b32_e32 v75, 0x80000000, v72
	s_delay_alu instid0(VALU_DEP_3) | instskip(SKIP_2) | instid1(VALU_DEP_2)
	v_cndmask_b32_e64 v78, v70, v73, s3
	v_cmp_gt_f64_e64 s3, 0, v[71:72]
	v_cndmask_b32_e32 v73, v52, v52, vcc_lo
	v_cndmask_b32_e64 v80, v72, v75, s3
	v_cndmask_b32_e64 v75, v54, v54, s2
	s_delay_alu instid0(VALU_DEP_2) | instskip(NEXT) | instid1(VALU_DEP_2)
	v_add_f64 v[77:78], v[77:78], v[79:80]
	v_add_f64 v[73:74], v[73:74], v[75:76]
	s_delay_alu instid0(VALU_DEP_1) | instskip(SKIP_4) | instid1(SALU_CYCLE_1)
	v_cmp_lt_f64_e32 vcc_lo, v[73:74], v[77:78]
	v_dual_cndmask_b32 v54, v54, v71 :: v_dual_cndmask_b32 v53, v53, v70
	v_dual_cndmask_b32 v52, v52, v69 :: v_dual_cndmask_b32 v55, v55, v72
	v_cndmask_b32_e64 v60, v60, s6, vcc_lo
	s_add_i32 s6, s6, 1
	s_cmp_lg_u32 s5, s6
	s_cbranch_scc1 .LBB24_232
.LBB24_233:
	s_set_inst_prefetch_distance 0x2
	s_waitcnt lgkmcnt(0)
	v_cmp_eq_f64_e32 vcc_lo, 0, v[52:53]
	v_cmp_eq_f64_e64 s2, 0, v[54:55]
	s_delay_alu instid0(VALU_DEP_1) | instskip(NEXT) | instid1(SALU_CYCLE_1)
	s_and_b32 s2, vcc_lo, s2
	s_and_saveexec_b32 s3, s2
	s_delay_alu instid0(SALU_CYCLE_1)
	s_xor_b32 s2, exec_lo, s3
; %bb.234:
	v_cmp_ne_u32_e32 vcc_lo, 0, v66
	v_cndmask_b32_e32 v66, 12, v66, vcc_lo
; %bb.235:
	s_and_not1_saveexec_b32 s3, s2
	s_cbranch_execz .LBB24_241
; %bb.236:
	v_cmp_gt_f64_e32 vcc_lo, 0, v[52:53]
	v_cmp_gt_f64_e64 s2, 0, v[54:55]
	v_xor_b32_e32 v61, 0x80000000, v53
	v_xor_b32_e32 v69, 0x80000000, v55
	s_delay_alu instid0(VALU_DEP_2) | instskip(NEXT) | instid1(VALU_DEP_2)
	v_cndmask_b32_e32 v70, v53, v61, vcc_lo
	v_cndmask_b32_e64 v72, v55, v69, s2
	v_cndmask_b32_e32 v69, v52, v52, vcc_lo
	v_cndmask_b32_e64 v71, v54, v54, s2
	s_mov_b32 s2, exec_lo
	s_delay_alu instid0(VALU_DEP_1)
	v_cmpx_ngt_f64_e32 v[69:70], v[71:72]
	s_xor_b32 s2, exec_lo, s2
	s_cbranch_execz .LBB24_238
; %bb.237:
	v_div_scale_f64 v[69:70], null, v[54:55], v[54:55], v[52:53]
	v_div_scale_f64 v[75:76], vcc_lo, v[52:53], v[54:55], v[52:53]
	s_delay_alu instid0(VALU_DEP_2) | instskip(SKIP_2) | instid1(VALU_DEP_1)
	v_rcp_f64_e32 v[71:72], v[69:70]
	s_waitcnt_depctr 0xfff
	v_fma_f64 v[73:74], -v[69:70], v[71:72], 1.0
	v_fma_f64 v[71:72], v[71:72], v[73:74], v[71:72]
	s_delay_alu instid0(VALU_DEP_1) | instskip(NEXT) | instid1(VALU_DEP_1)
	v_fma_f64 v[73:74], -v[69:70], v[71:72], 1.0
	v_fma_f64 v[71:72], v[71:72], v[73:74], v[71:72]
	s_delay_alu instid0(VALU_DEP_1) | instskip(NEXT) | instid1(VALU_DEP_1)
	v_mul_f64 v[73:74], v[75:76], v[71:72]
	v_fma_f64 v[69:70], -v[69:70], v[73:74], v[75:76]
	s_delay_alu instid0(VALU_DEP_1) | instskip(NEXT) | instid1(VALU_DEP_1)
	v_div_fmas_f64 v[69:70], v[69:70], v[71:72], v[73:74]
	v_div_fixup_f64 v[69:70], v[69:70], v[54:55], v[52:53]
	s_delay_alu instid0(VALU_DEP_1) | instskip(NEXT) | instid1(VALU_DEP_1)
	v_fma_f64 v[52:53], v[52:53], v[69:70], v[54:55]
	v_div_scale_f64 v[54:55], null, v[52:53], v[52:53], 1.0
	s_delay_alu instid0(VALU_DEP_1) | instskip(SKIP_2) | instid1(VALU_DEP_1)
	v_rcp_f64_e32 v[71:72], v[54:55]
	s_waitcnt_depctr 0xfff
	v_fma_f64 v[73:74], -v[54:55], v[71:72], 1.0
	v_fma_f64 v[71:72], v[71:72], v[73:74], v[71:72]
	s_delay_alu instid0(VALU_DEP_1) | instskip(NEXT) | instid1(VALU_DEP_1)
	v_fma_f64 v[73:74], -v[54:55], v[71:72], 1.0
	v_fma_f64 v[71:72], v[71:72], v[73:74], v[71:72]
	v_div_scale_f64 v[73:74], vcc_lo, 1.0, v[52:53], 1.0
	s_delay_alu instid0(VALU_DEP_1) | instskip(NEXT) | instid1(VALU_DEP_1)
	v_mul_f64 v[75:76], v[73:74], v[71:72]
	v_fma_f64 v[54:55], -v[54:55], v[75:76], v[73:74]
	s_delay_alu instid0(VALU_DEP_1) | instskip(NEXT) | instid1(VALU_DEP_1)
	v_div_fmas_f64 v[54:55], v[54:55], v[71:72], v[75:76]
	v_div_fixup_f64 v[54:55], v[54:55], v[52:53], 1.0
	s_delay_alu instid0(VALU_DEP_1)
	v_mul_f64 v[52:53], v[69:70], v[54:55]
	v_xor_b32_e32 v55, 0x80000000, v55
.LBB24_238:
	s_and_not1_saveexec_b32 s2, s2
	s_cbranch_execz .LBB24_240
; %bb.239:
	s_delay_alu instid0(VALU_DEP_1) | instskip(SKIP_1) | instid1(VALU_DEP_2)
	v_div_scale_f64 v[69:70], null, v[52:53], v[52:53], v[54:55]
	v_div_scale_f64 v[75:76], vcc_lo, v[54:55], v[52:53], v[54:55]
	v_rcp_f64_e32 v[71:72], v[69:70]
	s_waitcnt_depctr 0xfff
	v_fma_f64 v[73:74], -v[69:70], v[71:72], 1.0
	s_delay_alu instid0(VALU_DEP_1) | instskip(NEXT) | instid1(VALU_DEP_1)
	v_fma_f64 v[71:72], v[71:72], v[73:74], v[71:72]
	v_fma_f64 v[73:74], -v[69:70], v[71:72], 1.0
	s_delay_alu instid0(VALU_DEP_1) | instskip(NEXT) | instid1(VALU_DEP_1)
	v_fma_f64 v[71:72], v[71:72], v[73:74], v[71:72]
	v_mul_f64 v[73:74], v[75:76], v[71:72]
	s_delay_alu instid0(VALU_DEP_1) | instskip(NEXT) | instid1(VALU_DEP_1)
	v_fma_f64 v[69:70], -v[69:70], v[73:74], v[75:76]
	v_div_fmas_f64 v[69:70], v[69:70], v[71:72], v[73:74]
	s_delay_alu instid0(VALU_DEP_1) | instskip(NEXT) | instid1(VALU_DEP_1)
	v_div_fixup_f64 v[69:70], v[69:70], v[52:53], v[54:55]
	v_fma_f64 v[52:53], v[54:55], v[69:70], v[52:53]
	s_delay_alu instid0(VALU_DEP_1) | instskip(NEXT) | instid1(VALU_DEP_1)
	v_div_scale_f64 v[54:55], null, v[52:53], v[52:53], 1.0
	v_rcp_f64_e32 v[71:72], v[54:55]
	s_waitcnt_depctr 0xfff
	v_fma_f64 v[73:74], -v[54:55], v[71:72], 1.0
	s_delay_alu instid0(VALU_DEP_1) | instskip(NEXT) | instid1(VALU_DEP_1)
	v_fma_f64 v[71:72], v[71:72], v[73:74], v[71:72]
	v_fma_f64 v[73:74], -v[54:55], v[71:72], 1.0
	s_delay_alu instid0(VALU_DEP_1) | instskip(SKIP_1) | instid1(VALU_DEP_1)
	v_fma_f64 v[71:72], v[71:72], v[73:74], v[71:72]
	v_div_scale_f64 v[73:74], vcc_lo, 1.0, v[52:53], 1.0
	v_mul_f64 v[75:76], v[73:74], v[71:72]
	s_delay_alu instid0(VALU_DEP_1) | instskip(NEXT) | instid1(VALU_DEP_1)
	v_fma_f64 v[54:55], -v[54:55], v[75:76], v[73:74]
	v_div_fmas_f64 v[54:55], v[54:55], v[71:72], v[75:76]
	s_delay_alu instid0(VALU_DEP_1) | instskip(NEXT) | instid1(VALU_DEP_1)
	v_div_fixup_f64 v[52:53], v[54:55], v[52:53], 1.0
	v_mul_f64 v[54:55], v[69:70], -v[52:53]
.LBB24_240:
	s_or_b32 exec_lo, exec_lo, s2
.LBB24_241:
	s_delay_alu instid0(SALU_CYCLE_1) | instskip(NEXT) | instid1(SALU_CYCLE_1)
	s_or_b32 exec_lo, exec_lo, s3
	s_mov_b32 s2, exec_lo
	v_cmpx_ne_u32_e64 v68, v60
	s_xor_b32 s2, exec_lo, s2
	s_cbranch_execz .LBB24_247
; %bb.242:
	s_mov_b32 s3, exec_lo
	v_cmpx_eq_u32_e32 11, v68
	s_cbranch_execz .LBB24_246
; %bb.243:
	v_cmp_ne_u32_e32 vcc_lo, 11, v60
	s_xor_b32 s6, s4, -1
	s_delay_alu instid0(SALU_CYCLE_1) | instskip(NEXT) | instid1(SALU_CYCLE_1)
	s_and_b32 s7, s6, vcc_lo
	s_and_saveexec_b32 s6, s7
	s_cbranch_execz .LBB24_245
; %bb.244:
	v_ashrrev_i32_e32 v61, 31, v60
	s_delay_alu instid0(VALU_DEP_1) | instskip(NEXT) | instid1(VALU_DEP_1)
	v_lshlrev_b64 v[68:69], 2, v[60:61]
	v_add_co_u32 v68, vcc_lo, v58, v68
	s_delay_alu instid0(VALU_DEP_2)
	v_add_co_ci_u32_e32 v69, vcc_lo, v59, v69, vcc_lo
	s_clause 0x1
	flat_load_b32 v61, v[68:69]
	flat_load_b32 v65, v[58:59] offset:44
	s_waitcnt vmcnt(1) lgkmcnt(1)
	flat_store_b32 v[58:59], v61 offset:44
	s_waitcnt vmcnt(0) lgkmcnt(1)
	flat_store_b32 v[68:69], v65
.LBB24_245:
	s_or_b32 exec_lo, exec_lo, s6
	v_mov_b32_e32 v68, v60
	v_mov_b32_e32 v65, v60
.LBB24_246:
	s_or_b32 exec_lo, exec_lo, s3
.LBB24_247:
	s_and_not1_saveexec_b32 s2, s2
	s_cbranch_execz .LBB24_249
; %bb.248:
	v_mov_b32_e32 v68, 11
	ds_store_2addr_b64 v62, v[0:1], v[2:3] offset0:24 offset1:25
.LBB24_249:
	s_or_b32 exec_lo, exec_lo, s2
	s_delay_alu instid0(SALU_CYCLE_1)
	s_mov_b32 s2, exec_lo
	s_waitcnt lgkmcnt(0)
	s_waitcnt_vscnt null, 0x0
	s_barrier
	buffer_gl0_inv
	v_cmpx_lt_i32_e32 11, v68
	s_cbranch_execz .LBB24_251
; %bb.250:
	v_mul_f64 v[60:61], v[52:53], v[6:7]
	v_mul_f64 v[6:7], v[54:55], v[6:7]
	ds_load_2addr_b64 v[69:72], v62 offset0:24 offset1:25
	v_fma_f64 v[54:55], v[54:55], v[4:5], v[60:61]
	v_fma_f64 v[4:5], v[52:53], v[4:5], -v[6:7]
	s_waitcnt lgkmcnt(0)
	s_delay_alu instid0(VALU_DEP_2) | instskip(SKIP_1) | instid1(VALU_DEP_2)
	v_mul_f64 v[6:7], v[71:72], v[54:55]
	v_mul_f64 v[52:53], v[69:70], v[54:55]
	v_fma_f64 v[6:7], v[69:70], v[4:5], -v[6:7]
	s_delay_alu instid0(VALU_DEP_2) | instskip(NEXT) | instid1(VALU_DEP_2)
	v_fma_f64 v[52:53], v[71:72], v[4:5], v[52:53]
	v_add_f64 v[0:1], v[0:1], -v[6:7]
	s_delay_alu instid0(VALU_DEP_2)
	v_add_f64 v[2:3], v[2:3], -v[52:53]
	v_dual_mov_b32 v6, v54 :: v_dual_mov_b32 v7, v55
.LBB24_251:
	s_or_b32 exec_lo, exec_lo, s2
	v_lshl_add_u32 v52, v68, 4, v62
	s_barrier
	buffer_gl0_inv
	v_mov_b32_e32 v60, 12
	ds_store_2addr_b64 v52, v[0:1], v[2:3] offset1:1
	s_waitcnt lgkmcnt(0)
	s_barrier
	buffer_gl0_inv
	ds_load_2addr_b64 v[52:55], v62 offset0:24 offset1:25
	s_cmp_lt_i32 s5, 14
	s_cbranch_scc1 .LBB24_254
; %bb.252:
	v_add3_u32 v61, v67, 0, 0xd0
	v_mov_b32_e32 v60, 12
	s_mov_b32 s6, 13
	s_set_inst_prefetch_distance 0x1
	.p2align	6
.LBB24_253:                             ; =>This Inner Loop Header: Depth=1
	ds_load_2addr_b64 v[69:72], v61 offset1:1
	s_waitcnt lgkmcnt(1)
	v_cmp_gt_f64_e32 vcc_lo, 0, v[52:53]
	v_xor_b32_e32 v62, 0x80000000, v53
	v_cmp_gt_f64_e64 s2, 0, v[54:55]
	v_xor_b32_e32 v67, 0x80000000, v55
	v_add_nc_u32_e32 v61, 16, v61
	s_waitcnt lgkmcnt(0)
	v_cmp_gt_f64_e64 s3, 0, v[69:70]
	v_mov_b32_e32 v77, v69
	v_dual_mov_b32 v79, v71 :: v_dual_cndmask_b32 v74, v53, v62
	v_xor_b32_e32 v62, 0x80000000, v70
	v_cndmask_b32_e64 v76, v55, v67, s2
	v_xor_b32_e32 v67, 0x80000000, v72
	v_cndmask_b32_e32 v73, v52, v52, vcc_lo
	v_cndmask_b32_e64 v75, v54, v54, s2
	s_delay_alu instid0(VALU_DEP_1) | instskip(SKIP_2) | instid1(VALU_DEP_1)
	v_add_f64 v[73:74], v[73:74], v[75:76]
	v_cndmask_b32_e64 v78, v70, v62, s3
	v_cmp_gt_f64_e64 s3, 0, v[71:72]
	v_cndmask_b32_e64 v80, v72, v67, s3
	s_delay_alu instid0(VALU_DEP_1) | instskip(NEXT) | instid1(VALU_DEP_1)
	v_add_f64 v[77:78], v[77:78], v[79:80]
	v_cmp_lt_f64_e32 vcc_lo, v[73:74], v[77:78]
	v_dual_cndmask_b32 v54, v54, v71 :: v_dual_cndmask_b32 v53, v53, v70
	v_dual_cndmask_b32 v52, v52, v69 :: v_dual_cndmask_b32 v55, v55, v72
	v_cndmask_b32_e64 v60, v60, s6, vcc_lo
	s_add_i32 s6, s6, 1
	s_delay_alu instid0(SALU_CYCLE_1)
	s_cmp_lg_u32 s5, s6
	s_cbranch_scc1 .LBB24_253
.LBB24_254:
	s_set_inst_prefetch_distance 0x2
	s_waitcnt lgkmcnt(0)
	v_cmp_eq_f64_e32 vcc_lo, 0, v[52:53]
	v_cmp_eq_f64_e64 s2, 0, v[54:55]
	s_delay_alu instid0(VALU_DEP_1) | instskip(NEXT) | instid1(SALU_CYCLE_1)
	s_and_b32 s2, vcc_lo, s2
	s_and_saveexec_b32 s3, s2
	s_delay_alu instid0(SALU_CYCLE_1)
	s_xor_b32 s2, exec_lo, s3
; %bb.255:
	v_cmp_ne_u32_e32 vcc_lo, 0, v66
	v_cndmask_b32_e32 v66, 13, v66, vcc_lo
; %bb.256:
	s_and_not1_saveexec_b32 s3, s2
	s_cbranch_execz .LBB24_262
; %bb.257:
	v_cmp_gt_f64_e32 vcc_lo, 0, v[52:53]
	v_cmp_gt_f64_e64 s2, 0, v[54:55]
	v_xor_b32_e32 v61, 0x80000000, v53
	v_xor_b32_e32 v67, 0x80000000, v55
	s_delay_alu instid0(VALU_DEP_2) | instskip(NEXT) | instid1(VALU_DEP_2)
	v_dual_cndmask_b32 v62, v53, v61 :: v_dual_cndmask_b32 v61, v52, v52
	v_cndmask_b32_e64 v70, v55, v67, s2
	v_cndmask_b32_e64 v69, v54, v54, s2
	s_mov_b32 s2, exec_lo
	s_delay_alu instid0(VALU_DEP_1)
	v_cmpx_ngt_f64_e32 v[61:62], v[69:70]
	s_xor_b32 s2, exec_lo, s2
	s_cbranch_execz .LBB24_259
; %bb.258:
	v_div_scale_f64 v[61:62], null, v[54:55], v[54:55], v[52:53]
	v_div_scale_f64 v[73:74], vcc_lo, v[52:53], v[54:55], v[52:53]
	s_delay_alu instid0(VALU_DEP_2) | instskip(SKIP_2) | instid1(VALU_DEP_1)
	v_rcp_f64_e32 v[69:70], v[61:62]
	s_waitcnt_depctr 0xfff
	v_fma_f64 v[71:72], -v[61:62], v[69:70], 1.0
	v_fma_f64 v[69:70], v[69:70], v[71:72], v[69:70]
	s_delay_alu instid0(VALU_DEP_1) | instskip(NEXT) | instid1(VALU_DEP_1)
	v_fma_f64 v[71:72], -v[61:62], v[69:70], 1.0
	v_fma_f64 v[69:70], v[69:70], v[71:72], v[69:70]
	s_delay_alu instid0(VALU_DEP_1) | instskip(NEXT) | instid1(VALU_DEP_1)
	v_mul_f64 v[71:72], v[73:74], v[69:70]
	v_fma_f64 v[61:62], -v[61:62], v[71:72], v[73:74]
	s_delay_alu instid0(VALU_DEP_1) | instskip(NEXT) | instid1(VALU_DEP_1)
	v_div_fmas_f64 v[61:62], v[61:62], v[69:70], v[71:72]
	v_div_fixup_f64 v[61:62], v[61:62], v[54:55], v[52:53]
	s_delay_alu instid0(VALU_DEP_1) | instskip(NEXT) | instid1(VALU_DEP_1)
	v_fma_f64 v[52:53], v[52:53], v[61:62], v[54:55]
	v_div_scale_f64 v[54:55], null, v[52:53], v[52:53], 1.0
	s_delay_alu instid0(VALU_DEP_1) | instskip(SKIP_2) | instid1(VALU_DEP_1)
	v_rcp_f64_e32 v[69:70], v[54:55]
	s_waitcnt_depctr 0xfff
	v_fma_f64 v[71:72], -v[54:55], v[69:70], 1.0
	v_fma_f64 v[69:70], v[69:70], v[71:72], v[69:70]
	s_delay_alu instid0(VALU_DEP_1) | instskip(NEXT) | instid1(VALU_DEP_1)
	v_fma_f64 v[71:72], -v[54:55], v[69:70], 1.0
	v_fma_f64 v[69:70], v[69:70], v[71:72], v[69:70]
	v_div_scale_f64 v[71:72], vcc_lo, 1.0, v[52:53], 1.0
	s_delay_alu instid0(VALU_DEP_1) | instskip(NEXT) | instid1(VALU_DEP_1)
	v_mul_f64 v[73:74], v[71:72], v[69:70]
	v_fma_f64 v[54:55], -v[54:55], v[73:74], v[71:72]
	s_delay_alu instid0(VALU_DEP_1) | instskip(NEXT) | instid1(VALU_DEP_1)
	v_div_fmas_f64 v[54:55], v[54:55], v[69:70], v[73:74]
	v_div_fixup_f64 v[54:55], v[54:55], v[52:53], 1.0
	s_delay_alu instid0(VALU_DEP_1)
	v_mul_f64 v[52:53], v[61:62], v[54:55]
	v_xor_b32_e32 v55, 0x80000000, v55
.LBB24_259:
	s_and_not1_saveexec_b32 s2, s2
	s_cbranch_execz .LBB24_261
; %bb.260:
	s_delay_alu instid0(VALU_DEP_1) | instskip(SKIP_1) | instid1(VALU_DEP_2)
	v_div_scale_f64 v[61:62], null, v[52:53], v[52:53], v[54:55]
	v_div_scale_f64 v[73:74], vcc_lo, v[54:55], v[52:53], v[54:55]
	v_rcp_f64_e32 v[69:70], v[61:62]
	s_waitcnt_depctr 0xfff
	v_fma_f64 v[71:72], -v[61:62], v[69:70], 1.0
	s_delay_alu instid0(VALU_DEP_1) | instskip(NEXT) | instid1(VALU_DEP_1)
	v_fma_f64 v[69:70], v[69:70], v[71:72], v[69:70]
	v_fma_f64 v[71:72], -v[61:62], v[69:70], 1.0
	s_delay_alu instid0(VALU_DEP_1) | instskip(NEXT) | instid1(VALU_DEP_1)
	v_fma_f64 v[69:70], v[69:70], v[71:72], v[69:70]
	v_mul_f64 v[71:72], v[73:74], v[69:70]
	s_delay_alu instid0(VALU_DEP_1) | instskip(NEXT) | instid1(VALU_DEP_1)
	v_fma_f64 v[61:62], -v[61:62], v[71:72], v[73:74]
	v_div_fmas_f64 v[61:62], v[61:62], v[69:70], v[71:72]
	s_delay_alu instid0(VALU_DEP_1) | instskip(NEXT) | instid1(VALU_DEP_1)
	v_div_fixup_f64 v[61:62], v[61:62], v[52:53], v[54:55]
	v_fma_f64 v[52:53], v[54:55], v[61:62], v[52:53]
	s_delay_alu instid0(VALU_DEP_1) | instskip(NEXT) | instid1(VALU_DEP_1)
	v_div_scale_f64 v[54:55], null, v[52:53], v[52:53], 1.0
	v_rcp_f64_e32 v[69:70], v[54:55]
	s_waitcnt_depctr 0xfff
	v_fma_f64 v[71:72], -v[54:55], v[69:70], 1.0
	s_delay_alu instid0(VALU_DEP_1) | instskip(NEXT) | instid1(VALU_DEP_1)
	v_fma_f64 v[69:70], v[69:70], v[71:72], v[69:70]
	v_fma_f64 v[71:72], -v[54:55], v[69:70], 1.0
	s_delay_alu instid0(VALU_DEP_1) | instskip(SKIP_1) | instid1(VALU_DEP_1)
	v_fma_f64 v[69:70], v[69:70], v[71:72], v[69:70]
	v_div_scale_f64 v[71:72], vcc_lo, 1.0, v[52:53], 1.0
	v_mul_f64 v[73:74], v[71:72], v[69:70]
	s_delay_alu instid0(VALU_DEP_1) | instskip(NEXT) | instid1(VALU_DEP_1)
	v_fma_f64 v[54:55], -v[54:55], v[73:74], v[71:72]
	v_div_fmas_f64 v[54:55], v[54:55], v[69:70], v[73:74]
	s_delay_alu instid0(VALU_DEP_1) | instskip(NEXT) | instid1(VALU_DEP_1)
	v_div_fixup_f64 v[52:53], v[54:55], v[52:53], 1.0
	v_mul_f64 v[54:55], v[61:62], -v[52:53]
.LBB24_261:
	s_or_b32 exec_lo, exec_lo, s2
.LBB24_262:
	s_delay_alu instid0(SALU_CYCLE_1)
	s_or_b32 exec_lo, exec_lo, s3
	v_mov_b32_e32 v61, 12
	s_mov_b32 s2, exec_lo
	v_cmpx_ne_u32_e64 v68, v60
	s_cbranch_execz .LBB24_268
; %bb.263:
	s_mov_b32 s3, exec_lo
	v_cmpx_eq_u32_e32 12, v68
	s_cbranch_execz .LBB24_267
; %bb.264:
	v_cmp_ne_u32_e32 vcc_lo, 12, v60
	s_xor_b32 s4, s4, -1
	s_delay_alu instid0(SALU_CYCLE_1) | instskip(NEXT) | instid1(SALU_CYCLE_1)
	s_and_b32 s5, s4, vcc_lo
	s_and_saveexec_b32 s4, s5
	s_cbranch_execz .LBB24_266
; %bb.265:
	v_ashrrev_i32_e32 v61, 31, v60
	s_delay_alu instid0(VALU_DEP_1) | instskip(NEXT) | instid1(VALU_DEP_1)
	v_lshlrev_b64 v[61:62], 2, v[60:61]
	v_add_co_u32 v61, vcc_lo, v58, v61
	s_delay_alu instid0(VALU_DEP_2)
	v_add_co_ci_u32_e32 v62, vcc_lo, v59, v62, vcc_lo
	s_clause 0x1
	flat_load_b32 v65, v[61:62]
	flat_load_b32 v67, v[58:59] offset:48
	s_waitcnt vmcnt(1) lgkmcnt(1)
	flat_store_b32 v[58:59], v65 offset:48
	s_waitcnt vmcnt(0) lgkmcnt(1)
	flat_store_b32 v[61:62], v67
.LBB24_266:
	s_or_b32 exec_lo, exec_lo, s4
	v_mov_b32_e32 v68, v60
	v_mov_b32_e32 v65, v60
.LBB24_267:
	s_or_b32 exec_lo, exec_lo, s3
	s_delay_alu instid0(VALU_DEP_2)
	v_mov_b32_e32 v61, v68
.LBB24_268:
	s_or_b32 exec_lo, exec_lo, s2
	s_delay_alu instid0(SALU_CYCLE_1)
	s_mov_b32 s2, exec_lo
	s_waitcnt lgkmcnt(0)
	s_waitcnt_vscnt null, 0x0
	s_barrier
	buffer_gl0_inv
	v_cmpx_lt_i32_e32 12, v61
; %bb.269:
	v_mul_f64 v[58:59], v[54:55], v[2:3]
	v_mul_f64 v[2:3], v[52:53], v[2:3]
	s_delay_alu instid0(VALU_DEP_2) | instskip(NEXT) | instid1(VALU_DEP_2)
	v_fma_f64 v[52:53], v[52:53], v[0:1], -v[58:59]
	v_fma_f64 v[2:3], v[54:55], v[0:1], v[2:3]
	s_delay_alu instid0(VALU_DEP_2)
	v_dual_mov_b32 v0, v52 :: v_dual_mov_b32 v1, v53
; %bb.270:
	s_or_b32 exec_lo, exec_lo, s2
	s_load_b256 s[0:7], s[0:1], 0x28
	v_ashrrev_i32_e32 v62, 31, v61
	s_mov_b32 s9, exec_lo
	s_waitcnt lgkmcnt(0)
	s_barrier
	buffer_gl0_inv
	v_cmpx_gt_i32_e32 13, v61
	s_cbranch_execz .LBB24_272
; %bb.271:
	v_mul_lo_u32 v54, v57, s4
	v_mul_lo_u32 v55, v56, s5
	v_mad_u64_u32 v[52:53], null, v56, s4, 0
	s_lshl_b64 s[2:3], s[2:3], 2
	s_delay_alu instid0(SALU_CYCLE_1) | instskip(SKIP_1) | instid1(VALU_DEP_1)
	s_add_u32 s0, s2, s0
	s_addc_u32 s1, s3, s1
	v_add3_u32 v53, v53, v55, v54
	v_lshlrev_b64 v[54:55], 2, v[61:62]
	s_delay_alu instid0(VALU_DEP_2) | instskip(NEXT) | instid1(VALU_DEP_1)
	v_lshlrev_b64 v[52:53], 2, v[52:53]
	v_add_co_u32 v52, vcc_lo, s0, v52
	s_delay_alu instid0(VALU_DEP_2) | instskip(NEXT) | instid1(VALU_DEP_2)
	v_add_co_ci_u32_e32 v53, vcc_lo, s1, v53, vcc_lo
	v_add_co_u32 v52, vcc_lo, v52, v54
	s_delay_alu instid0(VALU_DEP_2)
	v_add_co_ci_u32_e32 v53, vcc_lo, v53, v55, vcc_lo
	v_add3_u32 v54, v65, s13, 1
	global_store_b32 v[52:53], v54, off
.LBB24_272:
	s_or_b32 exec_lo, exec_lo, s9
	s_delay_alu instid0(SALU_CYCLE_1)
	s_mov_b32 s1, exec_lo
	v_cmpx_eq_u32_e32 0, v61
	s_cbranch_execz .LBB24_275
; %bb.273:
	v_lshlrev_b64 v[52:53], 2, v[56:57]
	v_cmp_lt_i32_e64 s0, 0, v66
	s_delay_alu instid0(VALU_DEP_2) | instskip(NEXT) | instid1(VALU_DEP_3)
	v_add_co_u32 v52, vcc_lo, s6, v52
	v_add_co_ci_u32_e32 v53, vcc_lo, s7, v53, vcc_lo
	global_load_b32 v54, v[52:53], off
	s_waitcnt vmcnt(0)
	v_cmp_eq_u32_e32 vcc_lo, 0, v54
	s_and_b32 s0, vcc_lo, s0
	s_delay_alu instid0(SALU_CYCLE_1)
	s_and_b32 exec_lo, exec_lo, s0
	s_cbranch_execz .LBB24_275
; %bb.274:
	v_add_nc_u32_e32 v54, s13, v66
	global_store_b32 v[52:53], v54, off
.LBB24_275:
	s_or_b32 exec_lo, exec_lo, s1
	v_lshlrev_b64 v[54:55], 4, v[61:62]
	v_add3_u32 v52, s8, s8, v61
	s_delay_alu instid0(VALU_DEP_1) | instskip(NEXT) | instid1(VALU_DEP_3)
	v_ashrrev_i32_e32 v53, 31, v52
	v_add_co_u32 v54, vcc_lo, v63, v54
	s_delay_alu instid0(VALU_DEP_4) | instskip(SKIP_1) | instid1(VALU_DEP_4)
	v_add_co_ci_u32_e32 v55, vcc_lo, v64, v55, vcc_lo
	v_add_nc_u32_e32 v56, s8, v52
	v_lshlrev_b64 v[52:53], 4, v[52:53]
	global_store_b128 v[54:55], v[44:47], off
	v_add_co_u32 v44, vcc_lo, v54, s10
	v_add_nc_u32_e32 v46, s8, v56
	v_ashrrev_i32_e32 v57, 31, v56
	v_add_co_ci_u32_e32 v45, vcc_lo, s11, v55, vcc_lo
	v_add_co_u32 v52, vcc_lo, v63, v52
	s_delay_alu instid0(VALU_DEP_4) | instskip(SKIP_3) | instid1(VALU_DEP_4)
	v_add_nc_u32_e32 v54, s8, v46
	v_ashrrev_i32_e32 v47, 31, v46
	v_add_co_ci_u32_e32 v53, vcc_lo, v64, v53, vcc_lo
	v_lshlrev_b64 v[56:57], 4, v[56:57]
	v_ashrrev_i32_e32 v55, 31, v54
	s_clause 0x1
	global_store_b128 v[44:45], v[40:43], off
	global_store_b128 v[52:53], v[48:51], off
	v_lshlrev_b64 v[40:41], 4, v[46:47]
	v_add_nc_u32_e32 v46, s8, v54
	v_add_co_u32 v42, vcc_lo, v63, v56
	v_lshlrev_b64 v[44:45], 4, v[54:55]
	v_add_co_ci_u32_e32 v43, vcc_lo, v64, v57, vcc_lo
	v_add_co_u32 v40, vcc_lo, v63, v40
	v_add_nc_u32_e32 v48, s8, v46
	v_add_co_ci_u32_e32 v41, vcc_lo, v64, v41, vcc_lo
	v_ashrrev_i32_e32 v47, 31, v46
	v_add_co_u32 v44, vcc_lo, v63, v44
	v_add_co_ci_u32_e32 v45, vcc_lo, v64, v45, vcc_lo
	v_ashrrev_i32_e32 v49, 31, v48
	global_store_b128 v[42:43], v[36:39], off
	v_lshlrev_b64 v[36:37], 4, v[46:47]
	s_clause 0x1
	global_store_b128 v[40:41], v[32:35], off
	global_store_b128 v[44:45], v[28:31], off
	v_add_nc_u32_e32 v30, s8, v48
	v_lshlrev_b64 v[28:29], 4, v[48:49]
	v_add_co_u32 v32, vcc_lo, v63, v36
	s_delay_alu instid0(VALU_DEP_3) | instskip(SKIP_1) | instid1(VALU_DEP_4)
	v_add_nc_u32_e32 v34, s8, v30
	v_add_co_ci_u32_e32 v33, vcc_lo, v64, v37, vcc_lo
	v_add_co_u32 v28, vcc_lo, v63, v28
	v_add_co_ci_u32_e32 v29, vcc_lo, v64, v29, vcc_lo
	s_delay_alu instid0(VALU_DEP_4)
	v_add_nc_u32_e32 v36, s8, v34
	v_ashrrev_i32_e32 v31, 31, v30
	s_clause 0x1
	global_store_b128 v[32:33], v[24:27], off
	global_store_b128 v[28:29], v[20:23], off
	v_ashrrev_i32_e32 v35, 31, v34
	v_add_nc_u32_e32 v22, s8, v36
	v_lshlrev_b64 v[24:25], 4, v[30:31]
	v_ashrrev_i32_e32 v37, 31, v36
	s_delay_alu instid0(VALU_DEP_4) | instskip(NEXT) | instid1(VALU_DEP_4)
	v_lshlrev_b64 v[20:21], 4, v[34:35]
	v_add_nc_u32_e32 v28, s8, v22
	v_ashrrev_i32_e32 v23, 31, v22
	v_add_co_u32 v24, vcc_lo, v63, v24
	v_lshlrev_b64 v[26:27], 4, v[36:37]
	s_delay_alu instid0(VALU_DEP_4)
	v_ashrrev_i32_e32 v29, 31, v28
	v_add_co_ci_u32_e32 v25, vcc_lo, v64, v25, vcc_lo
	v_add_co_u32 v20, vcc_lo, v63, v20
	v_lshlrev_b64 v[22:23], 4, v[22:23]
	v_add_co_ci_u32_e32 v21, vcc_lo, v64, v21, vcc_lo
	v_add_co_u32 v26, vcc_lo, v63, v26
	v_lshlrev_b64 v[28:29], 4, v[28:29]
	v_add_co_ci_u32_e32 v27, vcc_lo, v64, v27, vcc_lo
	v_add_co_u32 v22, vcc_lo, v63, v22
	v_add_co_ci_u32_e32 v23, vcc_lo, v64, v23, vcc_lo
	s_delay_alu instid0(VALU_DEP_4)
	v_add_co_u32 v28, vcc_lo, v63, v28
	v_add_co_ci_u32_e32 v29, vcc_lo, v64, v29, vcc_lo
	s_clause 0x4
	global_store_b128 v[24:25], v[16:19], off
	global_store_b128 v[20:21], v[12:15], off
	;; [unrolled: 1-line block ×5, first 2 shown]
.LBB24_276:
	s_nop 0
	s_sendmsg sendmsg(MSG_DEALLOC_VGPRS)
	s_endpgm
	.section	.rodata,"a",@progbits
	.p2align	6, 0x0
	.amdhsa_kernel _ZN9rocsolver6v33100L18getf2_small_kernelILi13E19rocblas_complex_numIdEiiPKPS3_EEvT1_T3_lS7_lPS7_llPT2_S7_S7_S9_l
		.amdhsa_group_segment_fixed_size 0
		.amdhsa_private_segment_fixed_size 0
		.amdhsa_kernarg_size 352
		.amdhsa_user_sgpr_count 14
		.amdhsa_user_sgpr_dispatch_ptr 0
		.amdhsa_user_sgpr_queue_ptr 0
		.amdhsa_user_sgpr_kernarg_segment_ptr 1
		.amdhsa_user_sgpr_dispatch_id 0
		.amdhsa_user_sgpr_private_segment_size 0
		.amdhsa_wavefront_size32 1
		.amdhsa_uses_dynamic_stack 0
		.amdhsa_enable_private_segment 0
		.amdhsa_system_sgpr_workgroup_id_x 1
		.amdhsa_system_sgpr_workgroup_id_y 1
		.amdhsa_system_sgpr_workgroup_id_z 0
		.amdhsa_system_sgpr_workgroup_info 0
		.amdhsa_system_vgpr_workitem_id 1
		.amdhsa_next_free_vgpr 160
		.amdhsa_next_free_sgpr 16
		.amdhsa_reserve_vcc 1
		.amdhsa_float_round_mode_32 0
		.amdhsa_float_round_mode_16_64 0
		.amdhsa_float_denorm_mode_32 3
		.amdhsa_float_denorm_mode_16_64 3
		.amdhsa_dx10_clamp 1
		.amdhsa_ieee_mode 1
		.amdhsa_fp16_overflow 0
		.amdhsa_workgroup_processor_mode 1
		.amdhsa_memory_ordered 1
		.amdhsa_forward_progress 0
		.amdhsa_shared_vgpr_count 0
		.amdhsa_exception_fp_ieee_invalid_op 0
		.amdhsa_exception_fp_denorm_src 0
		.amdhsa_exception_fp_ieee_div_zero 0
		.amdhsa_exception_fp_ieee_overflow 0
		.amdhsa_exception_fp_ieee_underflow 0
		.amdhsa_exception_fp_ieee_inexact 0
		.amdhsa_exception_int_div_zero 0
	.end_amdhsa_kernel
	.section	.text._ZN9rocsolver6v33100L18getf2_small_kernelILi13E19rocblas_complex_numIdEiiPKPS3_EEvT1_T3_lS7_lPS7_llPT2_S7_S7_S9_l,"axG",@progbits,_ZN9rocsolver6v33100L18getf2_small_kernelILi13E19rocblas_complex_numIdEiiPKPS3_EEvT1_T3_lS7_lPS7_llPT2_S7_S7_S9_l,comdat
.Lfunc_end24:
	.size	_ZN9rocsolver6v33100L18getf2_small_kernelILi13E19rocblas_complex_numIdEiiPKPS3_EEvT1_T3_lS7_lPS7_llPT2_S7_S7_S9_l, .Lfunc_end24-_ZN9rocsolver6v33100L18getf2_small_kernelILi13E19rocblas_complex_numIdEiiPKPS3_EEvT1_T3_lS7_lPS7_llPT2_S7_S7_S9_l
                                        ; -- End function
	.section	.AMDGPU.csdata,"",@progbits
; Kernel info:
; codeLenInByte = 21900
; NumSgprs: 18
; NumVgprs: 160
; ScratchSize: 0
; MemoryBound: 0
; FloatMode: 240
; IeeeMode: 1
; LDSByteSize: 0 bytes/workgroup (compile time only)
; SGPRBlocks: 2
; VGPRBlocks: 19
; NumSGPRsForWavesPerEU: 18
; NumVGPRsForWavesPerEU: 160
; Occupancy: 9
; WaveLimiterHint : 1
; COMPUTE_PGM_RSRC2:SCRATCH_EN: 0
; COMPUTE_PGM_RSRC2:USER_SGPR: 14
; COMPUTE_PGM_RSRC2:TRAP_HANDLER: 0
; COMPUTE_PGM_RSRC2:TGID_X_EN: 1
; COMPUTE_PGM_RSRC2:TGID_Y_EN: 1
; COMPUTE_PGM_RSRC2:TGID_Z_EN: 0
; COMPUTE_PGM_RSRC2:TIDIG_COMP_CNT: 1
	.section	.text._ZN9rocsolver6v33100L23getf2_npvt_small_kernelILi13E19rocblas_complex_numIdEiiPKPS3_EEvT1_T3_lS7_lPT2_S7_S7_,"axG",@progbits,_ZN9rocsolver6v33100L23getf2_npvt_small_kernelILi13E19rocblas_complex_numIdEiiPKPS3_EEvT1_T3_lS7_lPT2_S7_S7_,comdat
	.globl	_ZN9rocsolver6v33100L23getf2_npvt_small_kernelILi13E19rocblas_complex_numIdEiiPKPS3_EEvT1_T3_lS7_lPT2_S7_S7_ ; -- Begin function _ZN9rocsolver6v33100L23getf2_npvt_small_kernelILi13E19rocblas_complex_numIdEiiPKPS3_EEvT1_T3_lS7_lPT2_S7_S7_
	.p2align	8
	.type	_ZN9rocsolver6v33100L23getf2_npvt_small_kernelILi13E19rocblas_complex_numIdEiiPKPS3_EEvT1_T3_lS7_lPT2_S7_S7_,@function
_ZN9rocsolver6v33100L23getf2_npvt_small_kernelILi13E19rocblas_complex_numIdEiiPKPS3_EEvT1_T3_lS7_lPT2_S7_S7_: ; @_ZN9rocsolver6v33100L23getf2_npvt_small_kernelILi13E19rocblas_complex_numIdEiiPKPS3_EEvT1_T3_lS7_lPT2_S7_S7_
; %bb.0:
	s_clause 0x1
	s_load_b32 s2, s[0:1], 0x44
	s_load_b64 s[8:9], s[0:1], 0x30
	v_bfe_u32 v52, v0, 10, 10
	s_waitcnt lgkmcnt(0)
	s_lshr_b32 s10, s2, 16
	s_mov_b32 s2, exec_lo
	s_delay_alu instid0(VALU_DEP_1) | instskip(NEXT) | instid1(VALU_DEP_1)
	v_mad_u64_u32 v[104:105], null, s15, s10, v[52:53]
	v_cmpx_gt_i32_e64 s8, v104
	s_cbranch_execz .LBB25_122
; %bb.1:
	s_clause 0x1
	s_load_b128 s[4:7], s[0:1], 0x8
	s_load_b32 s2, s[0:1], 0x18
	v_ashrrev_i32_e32 v105, 31, v104
	v_and_b32_e32 v134, 0x3ff, v0
	v_lshlrev_b32_e32 v53, 4, v52
	s_mulk_i32 s10, 0xd0
	v_mad_u32_u24 v136, 0xd0, v52, 0
	v_lshlrev_b64 v[1:2], 3, v[104:105]
	v_lshlrev_b32_e32 v25, 4, v134
	v_add3_u32 v135, 0, s10, v53
	s_waitcnt lgkmcnt(0)
	s_delay_alu instid0(VALU_DEP_3) | instskip(NEXT) | instid1(VALU_DEP_4)
	v_add_co_u32 v1, vcc_lo, s4, v1
	v_add_co_ci_u32_e32 v2, vcc_lo, s5, v2, vcc_lo
	v_add3_u32 v3, s2, s2, v134
	s_lshl_b64 s[6:7], s[6:7], 4
	s_ashr_i32 s3, s2, 31
	global_load_b64 v[1:2], v[1:2], off
	s_lshl_b64 s[4:5], s[2:3], 4
	v_add_nc_u32_e32 v5, s2, v3
	v_ashrrev_i32_e32 v4, 31, v3
	v_cmp_ne_u32_e64 s3, 0, v134
	s_delay_alu instid0(VALU_DEP_3) | instskip(SKIP_1) | instid1(VALU_DEP_4)
	v_add_nc_u32_e32 v7, s2, v5
	v_ashrrev_i32_e32 v6, 31, v5
	v_lshlrev_b64 v[3:4], 4, v[3:4]
	s_delay_alu instid0(VALU_DEP_3) | instskip(SKIP_1) | instid1(VALU_DEP_4)
	v_add_nc_u32_e32 v9, s2, v7
	v_ashrrev_i32_e32 v8, 31, v7
	v_lshlrev_b64 v[5:6], 4, v[5:6]
	;; [unrolled: 4-line block ×9, first 2 shown]
	v_cmp_eq_u32_e64 s2, 0, v134
	s_delay_alu instid0(VALU_DEP_4) | instskip(NEXT) | instid1(VALU_DEP_4)
	v_ashrrev_i32_e32 v24, 31, v23
	v_lshlrev_b64 v[21:22], 4, v[21:22]
	s_waitcnt vmcnt(0)
	v_add_co_u32 v26, vcc_lo, v1, s6
	v_add_co_ci_u32_e32 v2, vcc_lo, s7, v2, vcc_lo
	v_lshlrev_b64 v[0:1], 4, v[23:24]
	s_delay_alu instid0(VALU_DEP_3) | instskip(NEXT) | instid1(VALU_DEP_3)
	v_add_co_u32 v128, vcc_lo, v26, v25
	v_add_co_ci_u32_e32 v129, vcc_lo, 0, v2, vcc_lo
	v_add_co_u32 v126, vcc_lo, v26, v3
	v_add_co_ci_u32_e32 v127, vcc_lo, v2, v4, vcc_lo
	;; [unrolled: 2-line block ×13, first 2 shown]
	s_clause 0xc
	global_load_b128 v[40:43], v[126:127], off
	global_load_b128 v[36:39], v[124:125], off
	;; [unrolled: 1-line block ×13, first 2 shown]
	s_and_saveexec_b32 s5, s2
	s_cbranch_execz .LBB25_8
; %bb.2:
	s_waitcnt vmcnt(2)
	ds_store_2addr_b64 v135, v[48:49], v[50:51] offset1:1
	s_waitcnt vmcnt(1)
	ds_store_2addr_b64 v136, v[44:45], v[46:47] offset0:2 offset1:3
	ds_store_2addr_b64 v136, v[40:41], v[42:43] offset0:4 offset1:5
	;; [unrolled: 1-line block ×11, first 2 shown]
	s_waitcnt vmcnt(0)
	ds_store_2addr_b64 v136, v[0:1], v[2:3] offset0:24 offset1:25
	ds_load_2addr_b64 v[52:55], v135 offset1:1
	s_waitcnt lgkmcnt(0)
	v_cmp_neq_f64_e32 vcc_lo, 0, v[52:53]
	v_cmp_neq_f64_e64 s4, 0, v[54:55]
	s_delay_alu instid0(VALU_DEP_1) | instskip(NEXT) | instid1(SALU_CYCLE_1)
	s_or_b32 s4, vcc_lo, s4
	s_and_b32 exec_lo, exec_lo, s4
	s_cbranch_execz .LBB25_8
; %bb.3:
	v_cmp_gt_f64_e32 vcc_lo, 0, v[52:53]
	v_cmp_gt_f64_e64 s4, 0, v[54:55]
	v_xor_b32_e32 v56, 0x80000000, v53
	v_xor_b32_e32 v58, 0x80000000, v55
                                        ; implicit-def: $vgpr60_vgpr61
	s_delay_alu instid0(VALU_DEP_2) | instskip(NEXT) | instid1(VALU_DEP_2)
	v_cndmask_b32_e32 v57, v53, v56, vcc_lo
	v_cndmask_b32_e64 v59, v55, v58, s4
	v_cndmask_b32_e32 v56, v52, v52, vcc_lo
	v_cndmask_b32_e64 v58, v54, v54, s4
	s_mov_b32 s4, exec_lo
	s_delay_alu instid0(VALU_DEP_1)
	v_cmpx_ngt_f64_e32 v[56:57], v[58:59]
	s_xor_b32 s4, exec_lo, s4
                                        ; implicit-def: $vgpr56_vgpr57_vgpr58_vgpr59
	s_cbranch_execz .LBB25_5
; %bb.4:
	v_div_scale_f64 v[56:57], null, v[54:55], v[54:55], v[52:53]
	v_div_scale_f64 v[62:63], vcc_lo, v[52:53], v[54:55], v[52:53]
	s_delay_alu instid0(VALU_DEP_2) | instskip(SKIP_2) | instid1(VALU_DEP_1)
	v_rcp_f64_e32 v[58:59], v[56:57]
	s_waitcnt_depctr 0xfff
	v_fma_f64 v[60:61], -v[56:57], v[58:59], 1.0
	v_fma_f64 v[58:59], v[58:59], v[60:61], v[58:59]
	s_delay_alu instid0(VALU_DEP_1) | instskip(NEXT) | instid1(VALU_DEP_1)
	v_fma_f64 v[60:61], -v[56:57], v[58:59], 1.0
	v_fma_f64 v[58:59], v[58:59], v[60:61], v[58:59]
	s_delay_alu instid0(VALU_DEP_1) | instskip(NEXT) | instid1(VALU_DEP_1)
	v_mul_f64 v[60:61], v[62:63], v[58:59]
	v_fma_f64 v[56:57], -v[56:57], v[60:61], v[62:63]
	s_delay_alu instid0(VALU_DEP_1) | instskip(NEXT) | instid1(VALU_DEP_1)
	v_div_fmas_f64 v[56:57], v[56:57], v[58:59], v[60:61]
	v_div_fixup_f64 v[56:57], v[56:57], v[54:55], v[52:53]
	s_delay_alu instid0(VALU_DEP_1) | instskip(NEXT) | instid1(VALU_DEP_1)
	v_fma_f64 v[52:53], v[52:53], v[56:57], v[54:55]
	v_div_scale_f64 v[54:55], null, v[52:53], v[52:53], 1.0
	s_delay_alu instid0(VALU_DEP_1) | instskip(SKIP_2) | instid1(VALU_DEP_1)
	v_rcp_f64_e32 v[58:59], v[54:55]
	s_waitcnt_depctr 0xfff
	v_fma_f64 v[60:61], -v[54:55], v[58:59], 1.0
	v_fma_f64 v[58:59], v[58:59], v[60:61], v[58:59]
	s_delay_alu instid0(VALU_DEP_1) | instskip(NEXT) | instid1(VALU_DEP_1)
	v_fma_f64 v[60:61], -v[54:55], v[58:59], 1.0
	v_fma_f64 v[58:59], v[58:59], v[60:61], v[58:59]
	v_div_scale_f64 v[60:61], vcc_lo, 1.0, v[52:53], 1.0
	s_delay_alu instid0(VALU_DEP_1) | instskip(NEXT) | instid1(VALU_DEP_1)
	v_mul_f64 v[62:63], v[60:61], v[58:59]
	v_fma_f64 v[54:55], -v[54:55], v[62:63], v[60:61]
	s_delay_alu instid0(VALU_DEP_1) | instskip(NEXT) | instid1(VALU_DEP_1)
	v_div_fmas_f64 v[54:55], v[54:55], v[58:59], v[62:63]
	v_div_fixup_f64 v[58:59], v[54:55], v[52:53], 1.0
                                        ; implicit-def: $vgpr52_vgpr53
	s_delay_alu instid0(VALU_DEP_1)
	v_mul_f64 v[60:61], v[56:57], v[58:59]
	v_xor_b32_e32 v59, 0x80000000, v59
.LBB25_5:
	s_and_not1_saveexec_b32 s4, s4
	s_cbranch_execz .LBB25_7
; %bb.6:
	v_div_scale_f64 v[56:57], null, v[52:53], v[52:53], v[54:55]
	v_div_scale_f64 v[62:63], vcc_lo, v[54:55], v[52:53], v[54:55]
	s_delay_alu instid0(VALU_DEP_2) | instskip(SKIP_2) | instid1(VALU_DEP_1)
	v_rcp_f64_e32 v[58:59], v[56:57]
	s_waitcnt_depctr 0xfff
	v_fma_f64 v[60:61], -v[56:57], v[58:59], 1.0
	v_fma_f64 v[58:59], v[58:59], v[60:61], v[58:59]
	s_delay_alu instid0(VALU_DEP_1) | instskip(NEXT) | instid1(VALU_DEP_1)
	v_fma_f64 v[60:61], -v[56:57], v[58:59], 1.0
	v_fma_f64 v[58:59], v[58:59], v[60:61], v[58:59]
	s_delay_alu instid0(VALU_DEP_1) | instskip(NEXT) | instid1(VALU_DEP_1)
	v_mul_f64 v[60:61], v[62:63], v[58:59]
	v_fma_f64 v[56:57], -v[56:57], v[60:61], v[62:63]
	s_delay_alu instid0(VALU_DEP_1) | instskip(NEXT) | instid1(VALU_DEP_1)
	v_div_fmas_f64 v[56:57], v[56:57], v[58:59], v[60:61]
	v_div_fixup_f64 v[56:57], v[56:57], v[52:53], v[54:55]
	s_delay_alu instid0(VALU_DEP_1) | instskip(NEXT) | instid1(VALU_DEP_1)
	v_fma_f64 v[52:53], v[54:55], v[56:57], v[52:53]
	v_div_scale_f64 v[54:55], null, v[52:53], v[52:53], 1.0
	s_delay_alu instid0(VALU_DEP_1) | instskip(SKIP_2) | instid1(VALU_DEP_1)
	v_rcp_f64_e32 v[58:59], v[54:55]
	s_waitcnt_depctr 0xfff
	v_fma_f64 v[60:61], -v[54:55], v[58:59], 1.0
	v_fma_f64 v[58:59], v[58:59], v[60:61], v[58:59]
	s_delay_alu instid0(VALU_DEP_1) | instskip(NEXT) | instid1(VALU_DEP_1)
	v_fma_f64 v[60:61], -v[54:55], v[58:59], 1.0
	v_fma_f64 v[58:59], v[58:59], v[60:61], v[58:59]
	v_div_scale_f64 v[60:61], vcc_lo, 1.0, v[52:53], 1.0
	s_delay_alu instid0(VALU_DEP_1) | instskip(NEXT) | instid1(VALU_DEP_1)
	v_mul_f64 v[62:63], v[60:61], v[58:59]
	v_fma_f64 v[54:55], -v[54:55], v[62:63], v[60:61]
	s_delay_alu instid0(VALU_DEP_1) | instskip(NEXT) | instid1(VALU_DEP_1)
	v_div_fmas_f64 v[54:55], v[54:55], v[58:59], v[62:63]
	v_div_fixup_f64 v[60:61], v[54:55], v[52:53], 1.0
	s_delay_alu instid0(VALU_DEP_1)
	v_mul_f64 v[58:59], v[56:57], -v[60:61]
.LBB25_7:
	s_or_b32 exec_lo, exec_lo, s4
	ds_store_2addr_b64 v135, v[60:61], v[58:59] offset1:1
.LBB25_8:
	s_or_b32 exec_lo, exec_lo, s5
	s_waitcnt vmcnt(0) lgkmcnt(0)
	s_barrier
	buffer_gl0_inv
	ds_load_2addr_b64 v[52:55], v135 offset1:1
	s_and_saveexec_b32 s4, s3
	s_cbranch_execz .LBB25_10
; %bb.9:
	s_waitcnt lgkmcnt(0)
	v_mul_f64 v[56:57], v[52:53], v[50:51]
	v_mul_f64 v[50:51], v[54:55], v[50:51]
	s_delay_alu instid0(VALU_DEP_2)
	v_fma_f64 v[132:133], v[54:55], v[48:49], v[56:57]
	ds_load_2addr_b64 v[56:59], v136 offset0:2 offset1:3
	ds_load_2addr_b64 v[60:63], v136 offset0:4 offset1:5
	;; [unrolled: 1-line block ×12, first 2 shown]
	v_fma_f64 v[48:49], v[52:53], v[48:49], -v[50:51]
	s_waitcnt lgkmcnt(11)
	v_mul_f64 v[50:51], v[58:59], v[132:133]
	v_mul_f64 v[137:138], v[56:57], v[132:133]
	s_waitcnt lgkmcnt(10)
	v_mul_f64 v[139:140], v[62:63], v[132:133]
	v_mul_f64 v[141:142], v[60:61], v[132:133]
	;; [unrolled: 3-line block ×12, first 2 shown]
	v_fma_f64 v[50:51], v[56:57], v[48:49], -v[50:51]
	v_fma_f64 v[56:57], v[58:59], v[48:49], v[137:138]
	v_fma_f64 v[58:59], v[60:61], v[48:49], -v[139:140]
	v_fma_f64 v[60:61], v[62:63], v[48:49], v[141:142]
	;; [unrolled: 2-line block ×12, first 2 shown]
	v_add_f64 v[44:45], v[44:45], -v[50:51]
	v_add_f64 v[46:47], v[46:47], -v[56:57]
	;; [unrolled: 1-line block ×24, first 2 shown]
	v_dual_mov_b32 v50, v132 :: v_dual_mov_b32 v51, v133
.LBB25_10:
	s_or_b32 exec_lo, exec_lo, s4
	s_delay_alu instid0(SALU_CYCLE_1)
	s_mov_b32 s4, exec_lo
	s_waitcnt lgkmcnt(0)
	s_barrier
	buffer_gl0_inv
	v_cmpx_eq_u32_e32 1, v134
	s_cbranch_execz .LBB25_17
; %bb.11:
	ds_store_2addr_b64 v135, v[44:45], v[46:47] offset1:1
	ds_store_2addr_b64 v136, v[40:41], v[42:43] offset0:4 offset1:5
	ds_store_2addr_b64 v136, v[36:37], v[38:39] offset0:6 offset1:7
	;; [unrolled: 1-line block ×11, first 2 shown]
	ds_load_2addr_b64 v[56:59], v135 offset1:1
	s_waitcnt lgkmcnt(0)
	v_cmp_neq_f64_e32 vcc_lo, 0, v[56:57]
	v_cmp_neq_f64_e64 s3, 0, v[58:59]
	s_delay_alu instid0(VALU_DEP_1) | instskip(NEXT) | instid1(SALU_CYCLE_1)
	s_or_b32 s3, vcc_lo, s3
	s_and_b32 exec_lo, exec_lo, s3
	s_cbranch_execz .LBB25_17
; %bb.12:
	v_cmp_gt_f64_e32 vcc_lo, 0, v[56:57]
	v_cmp_gt_f64_e64 s3, 0, v[58:59]
	v_xor_b32_e32 v60, 0x80000000, v57
	v_xor_b32_e32 v62, 0x80000000, v59
                                        ; implicit-def: $vgpr64_vgpr65
	s_delay_alu instid0(VALU_DEP_2) | instskip(NEXT) | instid1(VALU_DEP_2)
	v_cndmask_b32_e32 v61, v57, v60, vcc_lo
	v_cndmask_b32_e64 v63, v59, v62, s3
	v_cndmask_b32_e32 v60, v56, v56, vcc_lo
	v_cndmask_b32_e64 v62, v58, v58, s3
	s_mov_b32 s3, exec_lo
	s_delay_alu instid0(VALU_DEP_1)
	v_cmpx_ngt_f64_e32 v[60:61], v[62:63]
	s_xor_b32 s3, exec_lo, s3
                                        ; implicit-def: $vgpr60_vgpr61_vgpr62_vgpr63
	s_cbranch_execz .LBB25_14
; %bb.13:
	v_div_scale_f64 v[60:61], null, v[58:59], v[58:59], v[56:57]
	v_div_scale_f64 v[66:67], vcc_lo, v[56:57], v[58:59], v[56:57]
	s_delay_alu instid0(VALU_DEP_2) | instskip(SKIP_2) | instid1(VALU_DEP_1)
	v_rcp_f64_e32 v[62:63], v[60:61]
	s_waitcnt_depctr 0xfff
	v_fma_f64 v[64:65], -v[60:61], v[62:63], 1.0
	v_fma_f64 v[62:63], v[62:63], v[64:65], v[62:63]
	s_delay_alu instid0(VALU_DEP_1) | instskip(NEXT) | instid1(VALU_DEP_1)
	v_fma_f64 v[64:65], -v[60:61], v[62:63], 1.0
	v_fma_f64 v[62:63], v[62:63], v[64:65], v[62:63]
	s_delay_alu instid0(VALU_DEP_1) | instskip(NEXT) | instid1(VALU_DEP_1)
	v_mul_f64 v[64:65], v[66:67], v[62:63]
	v_fma_f64 v[60:61], -v[60:61], v[64:65], v[66:67]
	s_delay_alu instid0(VALU_DEP_1) | instskip(NEXT) | instid1(VALU_DEP_1)
	v_div_fmas_f64 v[60:61], v[60:61], v[62:63], v[64:65]
	v_div_fixup_f64 v[60:61], v[60:61], v[58:59], v[56:57]
	s_delay_alu instid0(VALU_DEP_1) | instskip(NEXT) | instid1(VALU_DEP_1)
	v_fma_f64 v[56:57], v[56:57], v[60:61], v[58:59]
	v_div_scale_f64 v[58:59], null, v[56:57], v[56:57], 1.0
	s_delay_alu instid0(VALU_DEP_1) | instskip(SKIP_2) | instid1(VALU_DEP_1)
	v_rcp_f64_e32 v[62:63], v[58:59]
	s_waitcnt_depctr 0xfff
	v_fma_f64 v[64:65], -v[58:59], v[62:63], 1.0
	v_fma_f64 v[62:63], v[62:63], v[64:65], v[62:63]
	s_delay_alu instid0(VALU_DEP_1) | instskip(NEXT) | instid1(VALU_DEP_1)
	v_fma_f64 v[64:65], -v[58:59], v[62:63], 1.0
	v_fma_f64 v[62:63], v[62:63], v[64:65], v[62:63]
	v_div_scale_f64 v[64:65], vcc_lo, 1.0, v[56:57], 1.0
	s_delay_alu instid0(VALU_DEP_1) | instskip(NEXT) | instid1(VALU_DEP_1)
	v_mul_f64 v[66:67], v[64:65], v[62:63]
	v_fma_f64 v[58:59], -v[58:59], v[66:67], v[64:65]
	s_delay_alu instid0(VALU_DEP_1) | instskip(NEXT) | instid1(VALU_DEP_1)
	v_div_fmas_f64 v[58:59], v[58:59], v[62:63], v[66:67]
	v_div_fixup_f64 v[62:63], v[58:59], v[56:57], 1.0
                                        ; implicit-def: $vgpr56_vgpr57
	s_delay_alu instid0(VALU_DEP_1)
	v_mul_f64 v[64:65], v[60:61], v[62:63]
	v_xor_b32_e32 v63, 0x80000000, v63
.LBB25_14:
	s_and_not1_saveexec_b32 s3, s3
	s_cbranch_execz .LBB25_16
; %bb.15:
	v_div_scale_f64 v[60:61], null, v[56:57], v[56:57], v[58:59]
	v_div_scale_f64 v[66:67], vcc_lo, v[58:59], v[56:57], v[58:59]
	s_delay_alu instid0(VALU_DEP_2) | instskip(SKIP_2) | instid1(VALU_DEP_1)
	v_rcp_f64_e32 v[62:63], v[60:61]
	s_waitcnt_depctr 0xfff
	v_fma_f64 v[64:65], -v[60:61], v[62:63], 1.0
	v_fma_f64 v[62:63], v[62:63], v[64:65], v[62:63]
	s_delay_alu instid0(VALU_DEP_1) | instskip(NEXT) | instid1(VALU_DEP_1)
	v_fma_f64 v[64:65], -v[60:61], v[62:63], 1.0
	v_fma_f64 v[62:63], v[62:63], v[64:65], v[62:63]
	s_delay_alu instid0(VALU_DEP_1) | instskip(NEXT) | instid1(VALU_DEP_1)
	v_mul_f64 v[64:65], v[66:67], v[62:63]
	v_fma_f64 v[60:61], -v[60:61], v[64:65], v[66:67]
	s_delay_alu instid0(VALU_DEP_1) | instskip(NEXT) | instid1(VALU_DEP_1)
	v_div_fmas_f64 v[60:61], v[60:61], v[62:63], v[64:65]
	v_div_fixup_f64 v[60:61], v[60:61], v[56:57], v[58:59]
	s_delay_alu instid0(VALU_DEP_1) | instskip(NEXT) | instid1(VALU_DEP_1)
	v_fma_f64 v[56:57], v[58:59], v[60:61], v[56:57]
	v_div_scale_f64 v[58:59], null, v[56:57], v[56:57], 1.0
	s_delay_alu instid0(VALU_DEP_1) | instskip(SKIP_2) | instid1(VALU_DEP_1)
	v_rcp_f64_e32 v[62:63], v[58:59]
	s_waitcnt_depctr 0xfff
	v_fma_f64 v[64:65], -v[58:59], v[62:63], 1.0
	v_fma_f64 v[62:63], v[62:63], v[64:65], v[62:63]
	s_delay_alu instid0(VALU_DEP_1) | instskip(NEXT) | instid1(VALU_DEP_1)
	v_fma_f64 v[64:65], -v[58:59], v[62:63], 1.0
	v_fma_f64 v[62:63], v[62:63], v[64:65], v[62:63]
	v_div_scale_f64 v[64:65], vcc_lo, 1.0, v[56:57], 1.0
	s_delay_alu instid0(VALU_DEP_1) | instskip(NEXT) | instid1(VALU_DEP_1)
	v_mul_f64 v[66:67], v[64:65], v[62:63]
	v_fma_f64 v[58:59], -v[58:59], v[66:67], v[64:65]
	s_delay_alu instid0(VALU_DEP_1) | instskip(NEXT) | instid1(VALU_DEP_1)
	v_div_fmas_f64 v[58:59], v[58:59], v[62:63], v[66:67]
	v_div_fixup_f64 v[64:65], v[58:59], v[56:57], 1.0
	s_delay_alu instid0(VALU_DEP_1)
	v_mul_f64 v[62:63], v[60:61], -v[64:65]
.LBB25_16:
	s_or_b32 exec_lo, exec_lo, s3
	ds_store_2addr_b64 v135, v[64:65], v[62:63] offset1:1
.LBB25_17:
	s_or_b32 exec_lo, exec_lo, s4
	s_waitcnt lgkmcnt(0)
	s_barrier
	buffer_gl0_inv
	ds_load_2addr_b64 v[56:59], v135 offset1:1
	s_mov_b32 s3, exec_lo
	v_cmpx_lt_u32_e32 1, v134
	s_cbranch_execz .LBB25_19
; %bb.18:
	s_waitcnt lgkmcnt(0)
	v_mul_f64 v[60:61], v[56:57], v[46:47]
	v_mul_f64 v[46:47], v[58:59], v[46:47]
	s_delay_alu instid0(VALU_DEP_2)
	v_fma_f64 v[132:133], v[58:59], v[44:45], v[60:61]
	ds_load_2addr_b64 v[60:63], v136 offset0:4 offset1:5
	ds_load_2addr_b64 v[64:67], v136 offset0:6 offset1:7
	;; [unrolled: 1-line block ×11, first 2 shown]
	v_fma_f64 v[44:45], v[56:57], v[44:45], -v[46:47]
	s_waitcnt lgkmcnt(10)
	v_mul_f64 v[46:47], v[62:63], v[132:133]
	v_mul_f64 v[137:138], v[60:61], v[132:133]
	s_waitcnt lgkmcnt(9)
	v_mul_f64 v[139:140], v[66:67], v[132:133]
	v_mul_f64 v[141:142], v[64:65], v[132:133]
	;; [unrolled: 3-line block ×11, first 2 shown]
	v_fma_f64 v[46:47], v[60:61], v[44:45], -v[46:47]
	v_fma_f64 v[60:61], v[62:63], v[44:45], v[137:138]
	v_fma_f64 v[62:63], v[64:65], v[44:45], -v[139:140]
	v_fma_f64 v[64:65], v[66:67], v[44:45], v[141:142]
	;; [unrolled: 2-line block ×11, first 2 shown]
	v_add_f64 v[40:41], v[40:41], -v[46:47]
	v_add_f64 v[42:43], v[42:43], -v[60:61]
	;; [unrolled: 1-line block ×22, first 2 shown]
	v_dual_mov_b32 v46, v132 :: v_dual_mov_b32 v47, v133
.LBB25_19:
	s_or_b32 exec_lo, exec_lo, s3
	s_delay_alu instid0(SALU_CYCLE_1)
	s_mov_b32 s4, exec_lo
	s_waitcnt lgkmcnt(0)
	s_barrier
	buffer_gl0_inv
	v_cmpx_eq_u32_e32 2, v134
	s_cbranch_execz .LBB25_26
; %bb.20:
	ds_store_2addr_b64 v135, v[40:41], v[42:43] offset1:1
	ds_store_2addr_b64 v136, v[36:37], v[38:39] offset0:6 offset1:7
	ds_store_2addr_b64 v136, v[32:33], v[34:35] offset0:8 offset1:9
	;; [unrolled: 1-line block ×10, first 2 shown]
	ds_load_2addr_b64 v[60:63], v135 offset1:1
	s_waitcnt lgkmcnt(0)
	v_cmp_neq_f64_e32 vcc_lo, 0, v[60:61]
	v_cmp_neq_f64_e64 s3, 0, v[62:63]
	s_delay_alu instid0(VALU_DEP_1) | instskip(NEXT) | instid1(SALU_CYCLE_1)
	s_or_b32 s3, vcc_lo, s3
	s_and_b32 exec_lo, exec_lo, s3
	s_cbranch_execz .LBB25_26
; %bb.21:
	v_cmp_gt_f64_e32 vcc_lo, 0, v[60:61]
	v_cmp_gt_f64_e64 s3, 0, v[62:63]
	v_xor_b32_e32 v64, 0x80000000, v61
	v_xor_b32_e32 v66, 0x80000000, v63
                                        ; implicit-def: $vgpr68_vgpr69
	s_delay_alu instid0(VALU_DEP_2) | instskip(NEXT) | instid1(VALU_DEP_2)
	v_cndmask_b32_e32 v65, v61, v64, vcc_lo
	v_cndmask_b32_e64 v67, v63, v66, s3
	v_cndmask_b32_e32 v64, v60, v60, vcc_lo
	v_cndmask_b32_e64 v66, v62, v62, s3
	s_mov_b32 s3, exec_lo
	s_delay_alu instid0(VALU_DEP_1)
	v_cmpx_ngt_f64_e32 v[64:65], v[66:67]
	s_xor_b32 s3, exec_lo, s3
                                        ; implicit-def: $vgpr64_vgpr65_vgpr66_vgpr67
	s_cbranch_execz .LBB25_23
; %bb.22:
	v_div_scale_f64 v[64:65], null, v[62:63], v[62:63], v[60:61]
	v_div_scale_f64 v[70:71], vcc_lo, v[60:61], v[62:63], v[60:61]
	s_delay_alu instid0(VALU_DEP_2) | instskip(SKIP_2) | instid1(VALU_DEP_1)
	v_rcp_f64_e32 v[66:67], v[64:65]
	s_waitcnt_depctr 0xfff
	v_fma_f64 v[68:69], -v[64:65], v[66:67], 1.0
	v_fma_f64 v[66:67], v[66:67], v[68:69], v[66:67]
	s_delay_alu instid0(VALU_DEP_1) | instskip(NEXT) | instid1(VALU_DEP_1)
	v_fma_f64 v[68:69], -v[64:65], v[66:67], 1.0
	v_fma_f64 v[66:67], v[66:67], v[68:69], v[66:67]
	s_delay_alu instid0(VALU_DEP_1) | instskip(NEXT) | instid1(VALU_DEP_1)
	v_mul_f64 v[68:69], v[70:71], v[66:67]
	v_fma_f64 v[64:65], -v[64:65], v[68:69], v[70:71]
	s_delay_alu instid0(VALU_DEP_1) | instskip(NEXT) | instid1(VALU_DEP_1)
	v_div_fmas_f64 v[64:65], v[64:65], v[66:67], v[68:69]
	v_div_fixup_f64 v[64:65], v[64:65], v[62:63], v[60:61]
	s_delay_alu instid0(VALU_DEP_1) | instskip(NEXT) | instid1(VALU_DEP_1)
	v_fma_f64 v[60:61], v[60:61], v[64:65], v[62:63]
	v_div_scale_f64 v[62:63], null, v[60:61], v[60:61], 1.0
	s_delay_alu instid0(VALU_DEP_1) | instskip(SKIP_2) | instid1(VALU_DEP_1)
	v_rcp_f64_e32 v[66:67], v[62:63]
	s_waitcnt_depctr 0xfff
	v_fma_f64 v[68:69], -v[62:63], v[66:67], 1.0
	v_fma_f64 v[66:67], v[66:67], v[68:69], v[66:67]
	s_delay_alu instid0(VALU_DEP_1) | instskip(NEXT) | instid1(VALU_DEP_1)
	v_fma_f64 v[68:69], -v[62:63], v[66:67], 1.0
	v_fma_f64 v[66:67], v[66:67], v[68:69], v[66:67]
	v_div_scale_f64 v[68:69], vcc_lo, 1.0, v[60:61], 1.0
	s_delay_alu instid0(VALU_DEP_1) | instskip(NEXT) | instid1(VALU_DEP_1)
	v_mul_f64 v[70:71], v[68:69], v[66:67]
	v_fma_f64 v[62:63], -v[62:63], v[70:71], v[68:69]
	s_delay_alu instid0(VALU_DEP_1) | instskip(NEXT) | instid1(VALU_DEP_1)
	v_div_fmas_f64 v[62:63], v[62:63], v[66:67], v[70:71]
	v_div_fixup_f64 v[66:67], v[62:63], v[60:61], 1.0
                                        ; implicit-def: $vgpr60_vgpr61
	s_delay_alu instid0(VALU_DEP_1)
	v_mul_f64 v[68:69], v[64:65], v[66:67]
	v_xor_b32_e32 v67, 0x80000000, v67
.LBB25_23:
	s_and_not1_saveexec_b32 s3, s3
	s_cbranch_execz .LBB25_25
; %bb.24:
	v_div_scale_f64 v[64:65], null, v[60:61], v[60:61], v[62:63]
	v_div_scale_f64 v[70:71], vcc_lo, v[62:63], v[60:61], v[62:63]
	s_delay_alu instid0(VALU_DEP_2) | instskip(SKIP_2) | instid1(VALU_DEP_1)
	v_rcp_f64_e32 v[66:67], v[64:65]
	s_waitcnt_depctr 0xfff
	v_fma_f64 v[68:69], -v[64:65], v[66:67], 1.0
	v_fma_f64 v[66:67], v[66:67], v[68:69], v[66:67]
	s_delay_alu instid0(VALU_DEP_1) | instskip(NEXT) | instid1(VALU_DEP_1)
	v_fma_f64 v[68:69], -v[64:65], v[66:67], 1.0
	v_fma_f64 v[66:67], v[66:67], v[68:69], v[66:67]
	s_delay_alu instid0(VALU_DEP_1) | instskip(NEXT) | instid1(VALU_DEP_1)
	v_mul_f64 v[68:69], v[70:71], v[66:67]
	v_fma_f64 v[64:65], -v[64:65], v[68:69], v[70:71]
	s_delay_alu instid0(VALU_DEP_1) | instskip(NEXT) | instid1(VALU_DEP_1)
	v_div_fmas_f64 v[64:65], v[64:65], v[66:67], v[68:69]
	v_div_fixup_f64 v[64:65], v[64:65], v[60:61], v[62:63]
	s_delay_alu instid0(VALU_DEP_1) | instskip(NEXT) | instid1(VALU_DEP_1)
	v_fma_f64 v[60:61], v[62:63], v[64:65], v[60:61]
	v_div_scale_f64 v[62:63], null, v[60:61], v[60:61], 1.0
	s_delay_alu instid0(VALU_DEP_1) | instskip(SKIP_2) | instid1(VALU_DEP_1)
	v_rcp_f64_e32 v[66:67], v[62:63]
	s_waitcnt_depctr 0xfff
	v_fma_f64 v[68:69], -v[62:63], v[66:67], 1.0
	v_fma_f64 v[66:67], v[66:67], v[68:69], v[66:67]
	s_delay_alu instid0(VALU_DEP_1) | instskip(NEXT) | instid1(VALU_DEP_1)
	v_fma_f64 v[68:69], -v[62:63], v[66:67], 1.0
	v_fma_f64 v[66:67], v[66:67], v[68:69], v[66:67]
	v_div_scale_f64 v[68:69], vcc_lo, 1.0, v[60:61], 1.0
	s_delay_alu instid0(VALU_DEP_1) | instskip(NEXT) | instid1(VALU_DEP_1)
	v_mul_f64 v[70:71], v[68:69], v[66:67]
	v_fma_f64 v[62:63], -v[62:63], v[70:71], v[68:69]
	s_delay_alu instid0(VALU_DEP_1) | instskip(NEXT) | instid1(VALU_DEP_1)
	v_div_fmas_f64 v[62:63], v[62:63], v[66:67], v[70:71]
	v_div_fixup_f64 v[68:69], v[62:63], v[60:61], 1.0
	s_delay_alu instid0(VALU_DEP_1)
	v_mul_f64 v[66:67], v[64:65], -v[68:69]
.LBB25_25:
	s_or_b32 exec_lo, exec_lo, s3
	ds_store_2addr_b64 v135, v[68:69], v[66:67] offset1:1
.LBB25_26:
	s_or_b32 exec_lo, exec_lo, s4
	s_waitcnt lgkmcnt(0)
	s_barrier
	buffer_gl0_inv
	ds_load_2addr_b64 v[60:63], v135 offset1:1
	s_mov_b32 s3, exec_lo
	v_cmpx_lt_u32_e32 2, v134
	s_cbranch_execz .LBB25_28
; %bb.27:
	s_waitcnt lgkmcnt(0)
	v_mul_f64 v[64:65], v[60:61], v[42:43]
	v_mul_f64 v[42:43], v[62:63], v[42:43]
	s_delay_alu instid0(VALU_DEP_2)
	v_fma_f64 v[132:133], v[62:63], v[40:41], v[64:65]
	ds_load_2addr_b64 v[64:67], v136 offset0:6 offset1:7
	ds_load_2addr_b64 v[68:71], v136 offset0:8 offset1:9
	;; [unrolled: 1-line block ×10, first 2 shown]
	v_fma_f64 v[40:41], v[60:61], v[40:41], -v[42:43]
	s_waitcnt lgkmcnt(9)
	v_mul_f64 v[42:43], v[66:67], v[132:133]
	v_mul_f64 v[137:138], v[64:65], v[132:133]
	s_waitcnt lgkmcnt(8)
	v_mul_f64 v[139:140], v[70:71], v[132:133]
	v_mul_f64 v[141:142], v[68:69], v[132:133]
	;; [unrolled: 3-line block ×10, first 2 shown]
	v_fma_f64 v[42:43], v[64:65], v[40:41], -v[42:43]
	v_fma_f64 v[64:65], v[66:67], v[40:41], v[137:138]
	v_fma_f64 v[66:67], v[68:69], v[40:41], -v[139:140]
	v_fma_f64 v[68:69], v[70:71], v[40:41], v[141:142]
	;; [unrolled: 2-line block ×10, first 2 shown]
	v_add_f64 v[36:37], v[36:37], -v[42:43]
	v_add_f64 v[38:39], v[38:39], -v[64:65]
	;; [unrolled: 1-line block ×20, first 2 shown]
	v_dual_mov_b32 v42, v132 :: v_dual_mov_b32 v43, v133
.LBB25_28:
	s_or_b32 exec_lo, exec_lo, s3
	s_delay_alu instid0(SALU_CYCLE_1)
	s_mov_b32 s4, exec_lo
	s_waitcnt lgkmcnt(0)
	s_barrier
	buffer_gl0_inv
	v_cmpx_eq_u32_e32 3, v134
	s_cbranch_execz .LBB25_35
; %bb.29:
	ds_store_2addr_b64 v135, v[36:37], v[38:39] offset1:1
	ds_store_2addr_b64 v136, v[32:33], v[34:35] offset0:8 offset1:9
	ds_store_2addr_b64 v136, v[28:29], v[30:31] offset0:10 offset1:11
	;; [unrolled: 1-line block ×9, first 2 shown]
	ds_load_2addr_b64 v[64:67], v135 offset1:1
	s_waitcnt lgkmcnt(0)
	v_cmp_neq_f64_e32 vcc_lo, 0, v[64:65]
	v_cmp_neq_f64_e64 s3, 0, v[66:67]
	s_delay_alu instid0(VALU_DEP_1) | instskip(NEXT) | instid1(SALU_CYCLE_1)
	s_or_b32 s3, vcc_lo, s3
	s_and_b32 exec_lo, exec_lo, s3
	s_cbranch_execz .LBB25_35
; %bb.30:
	v_cmp_gt_f64_e32 vcc_lo, 0, v[64:65]
	v_cmp_gt_f64_e64 s3, 0, v[66:67]
	v_xor_b32_e32 v68, 0x80000000, v65
	v_xor_b32_e32 v70, 0x80000000, v67
                                        ; implicit-def: $vgpr72_vgpr73
	s_delay_alu instid0(VALU_DEP_2) | instskip(NEXT) | instid1(VALU_DEP_2)
	v_cndmask_b32_e32 v69, v65, v68, vcc_lo
	v_cndmask_b32_e64 v71, v67, v70, s3
	v_cndmask_b32_e32 v68, v64, v64, vcc_lo
	v_cndmask_b32_e64 v70, v66, v66, s3
	s_mov_b32 s3, exec_lo
	s_delay_alu instid0(VALU_DEP_1)
	v_cmpx_ngt_f64_e32 v[68:69], v[70:71]
	s_xor_b32 s3, exec_lo, s3
                                        ; implicit-def: $vgpr68_vgpr69_vgpr70_vgpr71
	s_cbranch_execz .LBB25_32
; %bb.31:
	v_div_scale_f64 v[68:69], null, v[66:67], v[66:67], v[64:65]
	v_div_scale_f64 v[74:75], vcc_lo, v[64:65], v[66:67], v[64:65]
	s_delay_alu instid0(VALU_DEP_2) | instskip(SKIP_2) | instid1(VALU_DEP_1)
	v_rcp_f64_e32 v[70:71], v[68:69]
	s_waitcnt_depctr 0xfff
	v_fma_f64 v[72:73], -v[68:69], v[70:71], 1.0
	v_fma_f64 v[70:71], v[70:71], v[72:73], v[70:71]
	s_delay_alu instid0(VALU_DEP_1) | instskip(NEXT) | instid1(VALU_DEP_1)
	v_fma_f64 v[72:73], -v[68:69], v[70:71], 1.0
	v_fma_f64 v[70:71], v[70:71], v[72:73], v[70:71]
	s_delay_alu instid0(VALU_DEP_1) | instskip(NEXT) | instid1(VALU_DEP_1)
	v_mul_f64 v[72:73], v[74:75], v[70:71]
	v_fma_f64 v[68:69], -v[68:69], v[72:73], v[74:75]
	s_delay_alu instid0(VALU_DEP_1) | instskip(NEXT) | instid1(VALU_DEP_1)
	v_div_fmas_f64 v[68:69], v[68:69], v[70:71], v[72:73]
	v_div_fixup_f64 v[68:69], v[68:69], v[66:67], v[64:65]
	s_delay_alu instid0(VALU_DEP_1) | instskip(NEXT) | instid1(VALU_DEP_1)
	v_fma_f64 v[64:65], v[64:65], v[68:69], v[66:67]
	v_div_scale_f64 v[66:67], null, v[64:65], v[64:65], 1.0
	s_delay_alu instid0(VALU_DEP_1) | instskip(SKIP_2) | instid1(VALU_DEP_1)
	v_rcp_f64_e32 v[70:71], v[66:67]
	s_waitcnt_depctr 0xfff
	v_fma_f64 v[72:73], -v[66:67], v[70:71], 1.0
	v_fma_f64 v[70:71], v[70:71], v[72:73], v[70:71]
	s_delay_alu instid0(VALU_DEP_1) | instskip(NEXT) | instid1(VALU_DEP_1)
	v_fma_f64 v[72:73], -v[66:67], v[70:71], 1.0
	v_fma_f64 v[70:71], v[70:71], v[72:73], v[70:71]
	v_div_scale_f64 v[72:73], vcc_lo, 1.0, v[64:65], 1.0
	s_delay_alu instid0(VALU_DEP_1) | instskip(NEXT) | instid1(VALU_DEP_1)
	v_mul_f64 v[74:75], v[72:73], v[70:71]
	v_fma_f64 v[66:67], -v[66:67], v[74:75], v[72:73]
	s_delay_alu instid0(VALU_DEP_1) | instskip(NEXT) | instid1(VALU_DEP_1)
	v_div_fmas_f64 v[66:67], v[66:67], v[70:71], v[74:75]
	v_div_fixup_f64 v[70:71], v[66:67], v[64:65], 1.0
                                        ; implicit-def: $vgpr64_vgpr65
	s_delay_alu instid0(VALU_DEP_1)
	v_mul_f64 v[72:73], v[68:69], v[70:71]
	v_xor_b32_e32 v71, 0x80000000, v71
.LBB25_32:
	s_and_not1_saveexec_b32 s3, s3
	s_cbranch_execz .LBB25_34
; %bb.33:
	v_div_scale_f64 v[68:69], null, v[64:65], v[64:65], v[66:67]
	v_div_scale_f64 v[74:75], vcc_lo, v[66:67], v[64:65], v[66:67]
	s_delay_alu instid0(VALU_DEP_2) | instskip(SKIP_2) | instid1(VALU_DEP_1)
	v_rcp_f64_e32 v[70:71], v[68:69]
	s_waitcnt_depctr 0xfff
	v_fma_f64 v[72:73], -v[68:69], v[70:71], 1.0
	v_fma_f64 v[70:71], v[70:71], v[72:73], v[70:71]
	s_delay_alu instid0(VALU_DEP_1) | instskip(NEXT) | instid1(VALU_DEP_1)
	v_fma_f64 v[72:73], -v[68:69], v[70:71], 1.0
	v_fma_f64 v[70:71], v[70:71], v[72:73], v[70:71]
	s_delay_alu instid0(VALU_DEP_1) | instskip(NEXT) | instid1(VALU_DEP_1)
	v_mul_f64 v[72:73], v[74:75], v[70:71]
	v_fma_f64 v[68:69], -v[68:69], v[72:73], v[74:75]
	s_delay_alu instid0(VALU_DEP_1) | instskip(NEXT) | instid1(VALU_DEP_1)
	v_div_fmas_f64 v[68:69], v[68:69], v[70:71], v[72:73]
	v_div_fixup_f64 v[68:69], v[68:69], v[64:65], v[66:67]
	s_delay_alu instid0(VALU_DEP_1) | instskip(NEXT) | instid1(VALU_DEP_1)
	v_fma_f64 v[64:65], v[66:67], v[68:69], v[64:65]
	v_div_scale_f64 v[66:67], null, v[64:65], v[64:65], 1.0
	s_delay_alu instid0(VALU_DEP_1) | instskip(SKIP_2) | instid1(VALU_DEP_1)
	v_rcp_f64_e32 v[70:71], v[66:67]
	s_waitcnt_depctr 0xfff
	v_fma_f64 v[72:73], -v[66:67], v[70:71], 1.0
	v_fma_f64 v[70:71], v[70:71], v[72:73], v[70:71]
	s_delay_alu instid0(VALU_DEP_1) | instskip(NEXT) | instid1(VALU_DEP_1)
	v_fma_f64 v[72:73], -v[66:67], v[70:71], 1.0
	v_fma_f64 v[70:71], v[70:71], v[72:73], v[70:71]
	v_div_scale_f64 v[72:73], vcc_lo, 1.0, v[64:65], 1.0
	s_delay_alu instid0(VALU_DEP_1) | instskip(NEXT) | instid1(VALU_DEP_1)
	v_mul_f64 v[74:75], v[72:73], v[70:71]
	v_fma_f64 v[66:67], -v[66:67], v[74:75], v[72:73]
	s_delay_alu instid0(VALU_DEP_1) | instskip(NEXT) | instid1(VALU_DEP_1)
	v_div_fmas_f64 v[66:67], v[66:67], v[70:71], v[74:75]
	v_div_fixup_f64 v[72:73], v[66:67], v[64:65], 1.0
	s_delay_alu instid0(VALU_DEP_1)
	v_mul_f64 v[70:71], v[68:69], -v[72:73]
.LBB25_34:
	s_or_b32 exec_lo, exec_lo, s3
	ds_store_2addr_b64 v135, v[72:73], v[70:71] offset1:1
.LBB25_35:
	s_or_b32 exec_lo, exec_lo, s4
	s_waitcnt lgkmcnt(0)
	s_barrier
	buffer_gl0_inv
	ds_load_2addr_b64 v[64:67], v135 offset1:1
	s_mov_b32 s3, exec_lo
	v_cmpx_lt_u32_e32 3, v134
	s_cbranch_execz .LBB25_37
; %bb.36:
	s_waitcnt lgkmcnt(0)
	v_mul_f64 v[68:69], v[64:65], v[38:39]
	v_mul_f64 v[38:39], v[66:67], v[38:39]
	s_delay_alu instid0(VALU_DEP_2)
	v_fma_f64 v[132:133], v[66:67], v[36:37], v[68:69]
	ds_load_2addr_b64 v[68:71], v136 offset0:8 offset1:9
	ds_load_2addr_b64 v[72:75], v136 offset0:10 offset1:11
	;; [unrolled: 1-line block ×9, first 2 shown]
	v_fma_f64 v[36:37], v[64:65], v[36:37], -v[38:39]
	s_waitcnt lgkmcnt(8)
	v_mul_f64 v[38:39], v[70:71], v[132:133]
	v_mul_f64 v[137:138], v[68:69], v[132:133]
	s_waitcnt lgkmcnt(7)
	v_mul_f64 v[139:140], v[74:75], v[132:133]
	v_mul_f64 v[141:142], v[72:73], v[132:133]
	;; [unrolled: 3-line block ×9, first 2 shown]
	v_fma_f64 v[38:39], v[68:69], v[36:37], -v[38:39]
	v_fma_f64 v[68:69], v[70:71], v[36:37], v[137:138]
	v_fma_f64 v[70:71], v[72:73], v[36:37], -v[139:140]
	v_fma_f64 v[72:73], v[74:75], v[36:37], v[141:142]
	;; [unrolled: 2-line block ×9, first 2 shown]
	v_add_f64 v[32:33], v[32:33], -v[38:39]
	v_add_f64 v[34:35], v[34:35], -v[68:69]
	;; [unrolled: 1-line block ×18, first 2 shown]
	v_dual_mov_b32 v38, v132 :: v_dual_mov_b32 v39, v133
.LBB25_37:
	s_or_b32 exec_lo, exec_lo, s3
	s_delay_alu instid0(SALU_CYCLE_1)
	s_mov_b32 s4, exec_lo
	s_waitcnt lgkmcnt(0)
	s_barrier
	buffer_gl0_inv
	v_cmpx_eq_u32_e32 4, v134
	s_cbranch_execz .LBB25_44
; %bb.38:
	ds_store_2addr_b64 v135, v[32:33], v[34:35] offset1:1
	ds_store_2addr_b64 v136, v[28:29], v[30:31] offset0:10 offset1:11
	ds_store_2addr_b64 v136, v[24:25], v[26:27] offset0:12 offset1:13
	ds_store_2addr_b64 v136, v[20:21], v[22:23] offset0:14 offset1:15
	ds_store_2addr_b64 v136, v[16:17], v[18:19] offset0:16 offset1:17
	ds_store_2addr_b64 v136, v[12:13], v[14:15] offset0:18 offset1:19
	ds_store_2addr_b64 v136, v[8:9], v[10:11] offset0:20 offset1:21
	ds_store_2addr_b64 v136, v[4:5], v[6:7] offset0:22 offset1:23
	ds_store_2addr_b64 v136, v[0:1], v[2:3] offset0:24 offset1:25
	ds_load_2addr_b64 v[68:71], v135 offset1:1
	s_waitcnt lgkmcnt(0)
	v_cmp_neq_f64_e32 vcc_lo, 0, v[68:69]
	v_cmp_neq_f64_e64 s3, 0, v[70:71]
	s_delay_alu instid0(VALU_DEP_1) | instskip(NEXT) | instid1(SALU_CYCLE_1)
	s_or_b32 s3, vcc_lo, s3
	s_and_b32 exec_lo, exec_lo, s3
	s_cbranch_execz .LBB25_44
; %bb.39:
	v_cmp_gt_f64_e32 vcc_lo, 0, v[68:69]
	v_cmp_gt_f64_e64 s3, 0, v[70:71]
	v_xor_b32_e32 v72, 0x80000000, v69
	v_xor_b32_e32 v74, 0x80000000, v71
                                        ; implicit-def: $vgpr76_vgpr77
	s_delay_alu instid0(VALU_DEP_2) | instskip(NEXT) | instid1(VALU_DEP_2)
	v_cndmask_b32_e32 v73, v69, v72, vcc_lo
	v_cndmask_b32_e64 v75, v71, v74, s3
	v_cndmask_b32_e32 v72, v68, v68, vcc_lo
	v_cndmask_b32_e64 v74, v70, v70, s3
	s_mov_b32 s3, exec_lo
	s_delay_alu instid0(VALU_DEP_1)
	v_cmpx_ngt_f64_e32 v[72:73], v[74:75]
	s_xor_b32 s3, exec_lo, s3
                                        ; implicit-def: $vgpr72_vgpr73_vgpr74_vgpr75
	s_cbranch_execz .LBB25_41
; %bb.40:
	v_div_scale_f64 v[72:73], null, v[70:71], v[70:71], v[68:69]
	v_div_scale_f64 v[78:79], vcc_lo, v[68:69], v[70:71], v[68:69]
	s_delay_alu instid0(VALU_DEP_2) | instskip(SKIP_2) | instid1(VALU_DEP_1)
	v_rcp_f64_e32 v[74:75], v[72:73]
	s_waitcnt_depctr 0xfff
	v_fma_f64 v[76:77], -v[72:73], v[74:75], 1.0
	v_fma_f64 v[74:75], v[74:75], v[76:77], v[74:75]
	s_delay_alu instid0(VALU_DEP_1) | instskip(NEXT) | instid1(VALU_DEP_1)
	v_fma_f64 v[76:77], -v[72:73], v[74:75], 1.0
	v_fma_f64 v[74:75], v[74:75], v[76:77], v[74:75]
	s_delay_alu instid0(VALU_DEP_1) | instskip(NEXT) | instid1(VALU_DEP_1)
	v_mul_f64 v[76:77], v[78:79], v[74:75]
	v_fma_f64 v[72:73], -v[72:73], v[76:77], v[78:79]
	s_delay_alu instid0(VALU_DEP_1) | instskip(NEXT) | instid1(VALU_DEP_1)
	v_div_fmas_f64 v[72:73], v[72:73], v[74:75], v[76:77]
	v_div_fixup_f64 v[72:73], v[72:73], v[70:71], v[68:69]
	s_delay_alu instid0(VALU_DEP_1) | instskip(NEXT) | instid1(VALU_DEP_1)
	v_fma_f64 v[68:69], v[68:69], v[72:73], v[70:71]
	v_div_scale_f64 v[70:71], null, v[68:69], v[68:69], 1.0
	s_delay_alu instid0(VALU_DEP_1) | instskip(SKIP_2) | instid1(VALU_DEP_1)
	v_rcp_f64_e32 v[74:75], v[70:71]
	s_waitcnt_depctr 0xfff
	v_fma_f64 v[76:77], -v[70:71], v[74:75], 1.0
	v_fma_f64 v[74:75], v[74:75], v[76:77], v[74:75]
	s_delay_alu instid0(VALU_DEP_1) | instskip(NEXT) | instid1(VALU_DEP_1)
	v_fma_f64 v[76:77], -v[70:71], v[74:75], 1.0
	v_fma_f64 v[74:75], v[74:75], v[76:77], v[74:75]
	v_div_scale_f64 v[76:77], vcc_lo, 1.0, v[68:69], 1.0
	s_delay_alu instid0(VALU_DEP_1) | instskip(NEXT) | instid1(VALU_DEP_1)
	v_mul_f64 v[78:79], v[76:77], v[74:75]
	v_fma_f64 v[70:71], -v[70:71], v[78:79], v[76:77]
	s_delay_alu instid0(VALU_DEP_1) | instskip(NEXT) | instid1(VALU_DEP_1)
	v_div_fmas_f64 v[70:71], v[70:71], v[74:75], v[78:79]
	v_div_fixup_f64 v[74:75], v[70:71], v[68:69], 1.0
                                        ; implicit-def: $vgpr68_vgpr69
	s_delay_alu instid0(VALU_DEP_1)
	v_mul_f64 v[76:77], v[72:73], v[74:75]
	v_xor_b32_e32 v75, 0x80000000, v75
.LBB25_41:
	s_and_not1_saveexec_b32 s3, s3
	s_cbranch_execz .LBB25_43
; %bb.42:
	v_div_scale_f64 v[72:73], null, v[68:69], v[68:69], v[70:71]
	v_div_scale_f64 v[78:79], vcc_lo, v[70:71], v[68:69], v[70:71]
	s_delay_alu instid0(VALU_DEP_2) | instskip(SKIP_2) | instid1(VALU_DEP_1)
	v_rcp_f64_e32 v[74:75], v[72:73]
	s_waitcnt_depctr 0xfff
	v_fma_f64 v[76:77], -v[72:73], v[74:75], 1.0
	v_fma_f64 v[74:75], v[74:75], v[76:77], v[74:75]
	s_delay_alu instid0(VALU_DEP_1) | instskip(NEXT) | instid1(VALU_DEP_1)
	v_fma_f64 v[76:77], -v[72:73], v[74:75], 1.0
	v_fma_f64 v[74:75], v[74:75], v[76:77], v[74:75]
	s_delay_alu instid0(VALU_DEP_1) | instskip(NEXT) | instid1(VALU_DEP_1)
	v_mul_f64 v[76:77], v[78:79], v[74:75]
	v_fma_f64 v[72:73], -v[72:73], v[76:77], v[78:79]
	s_delay_alu instid0(VALU_DEP_1) | instskip(NEXT) | instid1(VALU_DEP_1)
	v_div_fmas_f64 v[72:73], v[72:73], v[74:75], v[76:77]
	v_div_fixup_f64 v[72:73], v[72:73], v[68:69], v[70:71]
	s_delay_alu instid0(VALU_DEP_1) | instskip(NEXT) | instid1(VALU_DEP_1)
	v_fma_f64 v[68:69], v[70:71], v[72:73], v[68:69]
	v_div_scale_f64 v[70:71], null, v[68:69], v[68:69], 1.0
	s_delay_alu instid0(VALU_DEP_1) | instskip(SKIP_2) | instid1(VALU_DEP_1)
	v_rcp_f64_e32 v[74:75], v[70:71]
	s_waitcnt_depctr 0xfff
	v_fma_f64 v[76:77], -v[70:71], v[74:75], 1.0
	v_fma_f64 v[74:75], v[74:75], v[76:77], v[74:75]
	s_delay_alu instid0(VALU_DEP_1) | instskip(NEXT) | instid1(VALU_DEP_1)
	v_fma_f64 v[76:77], -v[70:71], v[74:75], 1.0
	v_fma_f64 v[74:75], v[74:75], v[76:77], v[74:75]
	v_div_scale_f64 v[76:77], vcc_lo, 1.0, v[68:69], 1.0
	s_delay_alu instid0(VALU_DEP_1) | instskip(NEXT) | instid1(VALU_DEP_1)
	v_mul_f64 v[78:79], v[76:77], v[74:75]
	v_fma_f64 v[70:71], -v[70:71], v[78:79], v[76:77]
	s_delay_alu instid0(VALU_DEP_1) | instskip(NEXT) | instid1(VALU_DEP_1)
	v_div_fmas_f64 v[70:71], v[70:71], v[74:75], v[78:79]
	v_div_fixup_f64 v[76:77], v[70:71], v[68:69], 1.0
	s_delay_alu instid0(VALU_DEP_1)
	v_mul_f64 v[74:75], v[72:73], -v[76:77]
.LBB25_43:
	s_or_b32 exec_lo, exec_lo, s3
	ds_store_2addr_b64 v135, v[76:77], v[74:75] offset1:1
.LBB25_44:
	s_or_b32 exec_lo, exec_lo, s4
	s_waitcnt lgkmcnt(0)
	s_barrier
	buffer_gl0_inv
	ds_load_2addr_b64 v[68:71], v135 offset1:1
	s_mov_b32 s3, exec_lo
	v_cmpx_lt_u32_e32 4, v134
	s_cbranch_execz .LBB25_46
; %bb.45:
	s_waitcnt lgkmcnt(0)
	v_mul_f64 v[72:73], v[68:69], v[34:35]
	v_mul_f64 v[34:35], v[70:71], v[34:35]
	s_delay_alu instid0(VALU_DEP_2)
	v_fma_f64 v[132:133], v[70:71], v[32:33], v[72:73]
	ds_load_2addr_b64 v[72:75], v136 offset0:10 offset1:11
	ds_load_2addr_b64 v[76:79], v136 offset0:12 offset1:13
	;; [unrolled: 1-line block ×8, first 2 shown]
	v_fma_f64 v[32:33], v[68:69], v[32:33], -v[34:35]
	s_waitcnt lgkmcnt(7)
	v_mul_f64 v[34:35], v[74:75], v[132:133]
	v_mul_f64 v[137:138], v[72:73], v[132:133]
	s_waitcnt lgkmcnt(6)
	v_mul_f64 v[139:140], v[78:79], v[132:133]
	v_mul_f64 v[141:142], v[76:77], v[132:133]
	;; [unrolled: 3-line block ×8, first 2 shown]
	v_fma_f64 v[34:35], v[72:73], v[32:33], -v[34:35]
	v_fma_f64 v[72:73], v[74:75], v[32:33], v[137:138]
	v_fma_f64 v[74:75], v[76:77], v[32:33], -v[139:140]
	v_fma_f64 v[76:77], v[78:79], v[32:33], v[141:142]
	;; [unrolled: 2-line block ×8, first 2 shown]
	v_add_f64 v[28:29], v[28:29], -v[34:35]
	v_add_f64 v[30:31], v[30:31], -v[72:73]
	;; [unrolled: 1-line block ×16, first 2 shown]
	v_dual_mov_b32 v34, v132 :: v_dual_mov_b32 v35, v133
.LBB25_46:
	s_or_b32 exec_lo, exec_lo, s3
	s_delay_alu instid0(SALU_CYCLE_1)
	s_mov_b32 s4, exec_lo
	s_waitcnt lgkmcnt(0)
	s_barrier
	buffer_gl0_inv
	v_cmpx_eq_u32_e32 5, v134
	s_cbranch_execz .LBB25_53
; %bb.47:
	ds_store_2addr_b64 v135, v[28:29], v[30:31] offset1:1
	ds_store_2addr_b64 v136, v[24:25], v[26:27] offset0:12 offset1:13
	ds_store_2addr_b64 v136, v[20:21], v[22:23] offset0:14 offset1:15
	;; [unrolled: 1-line block ×7, first 2 shown]
	ds_load_2addr_b64 v[72:75], v135 offset1:1
	s_waitcnt lgkmcnt(0)
	v_cmp_neq_f64_e32 vcc_lo, 0, v[72:73]
	v_cmp_neq_f64_e64 s3, 0, v[74:75]
	s_delay_alu instid0(VALU_DEP_1) | instskip(NEXT) | instid1(SALU_CYCLE_1)
	s_or_b32 s3, vcc_lo, s3
	s_and_b32 exec_lo, exec_lo, s3
	s_cbranch_execz .LBB25_53
; %bb.48:
	v_cmp_gt_f64_e32 vcc_lo, 0, v[72:73]
	v_cmp_gt_f64_e64 s3, 0, v[74:75]
	v_xor_b32_e32 v76, 0x80000000, v73
	v_xor_b32_e32 v78, 0x80000000, v75
                                        ; implicit-def: $vgpr80_vgpr81
	s_delay_alu instid0(VALU_DEP_2) | instskip(NEXT) | instid1(VALU_DEP_2)
	v_cndmask_b32_e32 v77, v73, v76, vcc_lo
	v_cndmask_b32_e64 v79, v75, v78, s3
	v_cndmask_b32_e32 v76, v72, v72, vcc_lo
	v_cndmask_b32_e64 v78, v74, v74, s3
	s_mov_b32 s3, exec_lo
	s_delay_alu instid0(VALU_DEP_1)
	v_cmpx_ngt_f64_e32 v[76:77], v[78:79]
	s_xor_b32 s3, exec_lo, s3
                                        ; implicit-def: $vgpr76_vgpr77_vgpr78_vgpr79
	s_cbranch_execz .LBB25_50
; %bb.49:
	v_div_scale_f64 v[76:77], null, v[74:75], v[74:75], v[72:73]
	v_div_scale_f64 v[82:83], vcc_lo, v[72:73], v[74:75], v[72:73]
	s_delay_alu instid0(VALU_DEP_2) | instskip(SKIP_2) | instid1(VALU_DEP_1)
	v_rcp_f64_e32 v[78:79], v[76:77]
	s_waitcnt_depctr 0xfff
	v_fma_f64 v[80:81], -v[76:77], v[78:79], 1.0
	v_fma_f64 v[78:79], v[78:79], v[80:81], v[78:79]
	s_delay_alu instid0(VALU_DEP_1) | instskip(NEXT) | instid1(VALU_DEP_1)
	v_fma_f64 v[80:81], -v[76:77], v[78:79], 1.0
	v_fma_f64 v[78:79], v[78:79], v[80:81], v[78:79]
	s_delay_alu instid0(VALU_DEP_1) | instskip(NEXT) | instid1(VALU_DEP_1)
	v_mul_f64 v[80:81], v[82:83], v[78:79]
	v_fma_f64 v[76:77], -v[76:77], v[80:81], v[82:83]
	s_delay_alu instid0(VALU_DEP_1) | instskip(NEXT) | instid1(VALU_DEP_1)
	v_div_fmas_f64 v[76:77], v[76:77], v[78:79], v[80:81]
	v_div_fixup_f64 v[76:77], v[76:77], v[74:75], v[72:73]
	s_delay_alu instid0(VALU_DEP_1) | instskip(NEXT) | instid1(VALU_DEP_1)
	v_fma_f64 v[72:73], v[72:73], v[76:77], v[74:75]
	v_div_scale_f64 v[74:75], null, v[72:73], v[72:73], 1.0
	s_delay_alu instid0(VALU_DEP_1) | instskip(SKIP_2) | instid1(VALU_DEP_1)
	v_rcp_f64_e32 v[78:79], v[74:75]
	s_waitcnt_depctr 0xfff
	v_fma_f64 v[80:81], -v[74:75], v[78:79], 1.0
	v_fma_f64 v[78:79], v[78:79], v[80:81], v[78:79]
	s_delay_alu instid0(VALU_DEP_1) | instskip(NEXT) | instid1(VALU_DEP_1)
	v_fma_f64 v[80:81], -v[74:75], v[78:79], 1.0
	v_fma_f64 v[78:79], v[78:79], v[80:81], v[78:79]
	v_div_scale_f64 v[80:81], vcc_lo, 1.0, v[72:73], 1.0
	s_delay_alu instid0(VALU_DEP_1) | instskip(NEXT) | instid1(VALU_DEP_1)
	v_mul_f64 v[82:83], v[80:81], v[78:79]
	v_fma_f64 v[74:75], -v[74:75], v[82:83], v[80:81]
	s_delay_alu instid0(VALU_DEP_1) | instskip(NEXT) | instid1(VALU_DEP_1)
	v_div_fmas_f64 v[74:75], v[74:75], v[78:79], v[82:83]
	v_div_fixup_f64 v[78:79], v[74:75], v[72:73], 1.0
                                        ; implicit-def: $vgpr72_vgpr73
	s_delay_alu instid0(VALU_DEP_1)
	v_mul_f64 v[80:81], v[76:77], v[78:79]
	v_xor_b32_e32 v79, 0x80000000, v79
.LBB25_50:
	s_and_not1_saveexec_b32 s3, s3
	s_cbranch_execz .LBB25_52
; %bb.51:
	v_div_scale_f64 v[76:77], null, v[72:73], v[72:73], v[74:75]
	v_div_scale_f64 v[82:83], vcc_lo, v[74:75], v[72:73], v[74:75]
	s_delay_alu instid0(VALU_DEP_2) | instskip(SKIP_2) | instid1(VALU_DEP_1)
	v_rcp_f64_e32 v[78:79], v[76:77]
	s_waitcnt_depctr 0xfff
	v_fma_f64 v[80:81], -v[76:77], v[78:79], 1.0
	v_fma_f64 v[78:79], v[78:79], v[80:81], v[78:79]
	s_delay_alu instid0(VALU_DEP_1) | instskip(NEXT) | instid1(VALU_DEP_1)
	v_fma_f64 v[80:81], -v[76:77], v[78:79], 1.0
	v_fma_f64 v[78:79], v[78:79], v[80:81], v[78:79]
	s_delay_alu instid0(VALU_DEP_1) | instskip(NEXT) | instid1(VALU_DEP_1)
	v_mul_f64 v[80:81], v[82:83], v[78:79]
	v_fma_f64 v[76:77], -v[76:77], v[80:81], v[82:83]
	s_delay_alu instid0(VALU_DEP_1) | instskip(NEXT) | instid1(VALU_DEP_1)
	v_div_fmas_f64 v[76:77], v[76:77], v[78:79], v[80:81]
	v_div_fixup_f64 v[76:77], v[76:77], v[72:73], v[74:75]
	s_delay_alu instid0(VALU_DEP_1) | instskip(NEXT) | instid1(VALU_DEP_1)
	v_fma_f64 v[72:73], v[74:75], v[76:77], v[72:73]
	v_div_scale_f64 v[74:75], null, v[72:73], v[72:73], 1.0
	s_delay_alu instid0(VALU_DEP_1) | instskip(SKIP_2) | instid1(VALU_DEP_1)
	v_rcp_f64_e32 v[78:79], v[74:75]
	s_waitcnt_depctr 0xfff
	v_fma_f64 v[80:81], -v[74:75], v[78:79], 1.0
	v_fma_f64 v[78:79], v[78:79], v[80:81], v[78:79]
	s_delay_alu instid0(VALU_DEP_1) | instskip(NEXT) | instid1(VALU_DEP_1)
	v_fma_f64 v[80:81], -v[74:75], v[78:79], 1.0
	v_fma_f64 v[78:79], v[78:79], v[80:81], v[78:79]
	v_div_scale_f64 v[80:81], vcc_lo, 1.0, v[72:73], 1.0
	s_delay_alu instid0(VALU_DEP_1) | instskip(NEXT) | instid1(VALU_DEP_1)
	v_mul_f64 v[82:83], v[80:81], v[78:79]
	v_fma_f64 v[74:75], -v[74:75], v[82:83], v[80:81]
	s_delay_alu instid0(VALU_DEP_1) | instskip(NEXT) | instid1(VALU_DEP_1)
	v_div_fmas_f64 v[74:75], v[74:75], v[78:79], v[82:83]
	v_div_fixup_f64 v[80:81], v[74:75], v[72:73], 1.0
	s_delay_alu instid0(VALU_DEP_1)
	v_mul_f64 v[78:79], v[76:77], -v[80:81]
.LBB25_52:
	s_or_b32 exec_lo, exec_lo, s3
	ds_store_2addr_b64 v135, v[80:81], v[78:79] offset1:1
.LBB25_53:
	s_or_b32 exec_lo, exec_lo, s4
	s_waitcnt lgkmcnt(0)
	s_barrier
	buffer_gl0_inv
	ds_load_2addr_b64 v[72:75], v135 offset1:1
	s_mov_b32 s3, exec_lo
	v_cmpx_lt_u32_e32 5, v134
	s_cbranch_execz .LBB25_55
; %bb.54:
	s_waitcnt lgkmcnt(0)
	v_mul_f64 v[76:77], v[72:73], v[30:31]
	v_mul_f64 v[30:31], v[74:75], v[30:31]
	s_delay_alu instid0(VALU_DEP_2)
	v_fma_f64 v[132:133], v[74:75], v[28:29], v[76:77]
	ds_load_2addr_b64 v[76:79], v136 offset0:12 offset1:13
	ds_load_2addr_b64 v[80:83], v136 offset0:14 offset1:15
	ds_load_2addr_b64 v[84:87], v136 offset0:16 offset1:17
	ds_load_2addr_b64 v[88:91], v136 offset0:18 offset1:19
	ds_load_2addr_b64 v[92:95], v136 offset0:20 offset1:21
	ds_load_2addr_b64 v[96:99], v136 offset0:22 offset1:23
	ds_load_2addr_b64 v[100:103], v136 offset0:24 offset1:25
	v_fma_f64 v[28:29], v[72:73], v[28:29], -v[30:31]
	s_waitcnt lgkmcnt(6)
	v_mul_f64 v[30:31], v[78:79], v[132:133]
	v_mul_f64 v[137:138], v[76:77], v[132:133]
	s_waitcnt lgkmcnt(5)
	v_mul_f64 v[139:140], v[82:83], v[132:133]
	v_mul_f64 v[141:142], v[80:81], v[132:133]
	;; [unrolled: 3-line block ×7, first 2 shown]
	v_fma_f64 v[30:31], v[76:77], v[28:29], -v[30:31]
	v_fma_f64 v[76:77], v[78:79], v[28:29], v[137:138]
	v_fma_f64 v[78:79], v[80:81], v[28:29], -v[139:140]
	v_fma_f64 v[80:81], v[82:83], v[28:29], v[141:142]
	;; [unrolled: 2-line block ×7, first 2 shown]
	v_add_f64 v[24:25], v[24:25], -v[30:31]
	v_add_f64 v[26:27], v[26:27], -v[76:77]
	;; [unrolled: 1-line block ×14, first 2 shown]
	v_dual_mov_b32 v30, v132 :: v_dual_mov_b32 v31, v133
.LBB25_55:
	s_or_b32 exec_lo, exec_lo, s3
	s_delay_alu instid0(SALU_CYCLE_1)
	s_mov_b32 s4, exec_lo
	s_waitcnt lgkmcnt(0)
	s_barrier
	buffer_gl0_inv
	v_cmpx_eq_u32_e32 6, v134
	s_cbranch_execz .LBB25_62
; %bb.56:
	ds_store_2addr_b64 v135, v[24:25], v[26:27] offset1:1
	ds_store_2addr_b64 v136, v[20:21], v[22:23] offset0:14 offset1:15
	ds_store_2addr_b64 v136, v[16:17], v[18:19] offset0:16 offset1:17
	;; [unrolled: 1-line block ×6, first 2 shown]
	ds_load_2addr_b64 v[76:79], v135 offset1:1
	s_waitcnt lgkmcnt(0)
	v_cmp_neq_f64_e32 vcc_lo, 0, v[76:77]
	v_cmp_neq_f64_e64 s3, 0, v[78:79]
	s_delay_alu instid0(VALU_DEP_1) | instskip(NEXT) | instid1(SALU_CYCLE_1)
	s_or_b32 s3, vcc_lo, s3
	s_and_b32 exec_lo, exec_lo, s3
	s_cbranch_execz .LBB25_62
; %bb.57:
	v_cmp_gt_f64_e32 vcc_lo, 0, v[76:77]
	v_cmp_gt_f64_e64 s3, 0, v[78:79]
	v_xor_b32_e32 v80, 0x80000000, v77
	v_xor_b32_e32 v82, 0x80000000, v79
                                        ; implicit-def: $vgpr84_vgpr85
	s_delay_alu instid0(VALU_DEP_2) | instskip(NEXT) | instid1(VALU_DEP_2)
	v_cndmask_b32_e32 v81, v77, v80, vcc_lo
	v_cndmask_b32_e64 v83, v79, v82, s3
	v_cndmask_b32_e32 v80, v76, v76, vcc_lo
	v_cndmask_b32_e64 v82, v78, v78, s3
	s_mov_b32 s3, exec_lo
	s_delay_alu instid0(VALU_DEP_1)
	v_cmpx_ngt_f64_e32 v[80:81], v[82:83]
	s_xor_b32 s3, exec_lo, s3
                                        ; implicit-def: $vgpr80_vgpr81_vgpr82_vgpr83
	s_cbranch_execz .LBB25_59
; %bb.58:
	v_div_scale_f64 v[80:81], null, v[78:79], v[78:79], v[76:77]
	v_div_scale_f64 v[86:87], vcc_lo, v[76:77], v[78:79], v[76:77]
	s_delay_alu instid0(VALU_DEP_2) | instskip(SKIP_2) | instid1(VALU_DEP_1)
	v_rcp_f64_e32 v[82:83], v[80:81]
	s_waitcnt_depctr 0xfff
	v_fma_f64 v[84:85], -v[80:81], v[82:83], 1.0
	v_fma_f64 v[82:83], v[82:83], v[84:85], v[82:83]
	s_delay_alu instid0(VALU_DEP_1) | instskip(NEXT) | instid1(VALU_DEP_1)
	v_fma_f64 v[84:85], -v[80:81], v[82:83], 1.0
	v_fma_f64 v[82:83], v[82:83], v[84:85], v[82:83]
	s_delay_alu instid0(VALU_DEP_1) | instskip(NEXT) | instid1(VALU_DEP_1)
	v_mul_f64 v[84:85], v[86:87], v[82:83]
	v_fma_f64 v[80:81], -v[80:81], v[84:85], v[86:87]
	s_delay_alu instid0(VALU_DEP_1) | instskip(NEXT) | instid1(VALU_DEP_1)
	v_div_fmas_f64 v[80:81], v[80:81], v[82:83], v[84:85]
	v_div_fixup_f64 v[80:81], v[80:81], v[78:79], v[76:77]
	s_delay_alu instid0(VALU_DEP_1) | instskip(NEXT) | instid1(VALU_DEP_1)
	v_fma_f64 v[76:77], v[76:77], v[80:81], v[78:79]
	v_div_scale_f64 v[78:79], null, v[76:77], v[76:77], 1.0
	s_delay_alu instid0(VALU_DEP_1) | instskip(SKIP_2) | instid1(VALU_DEP_1)
	v_rcp_f64_e32 v[82:83], v[78:79]
	s_waitcnt_depctr 0xfff
	v_fma_f64 v[84:85], -v[78:79], v[82:83], 1.0
	v_fma_f64 v[82:83], v[82:83], v[84:85], v[82:83]
	s_delay_alu instid0(VALU_DEP_1) | instskip(NEXT) | instid1(VALU_DEP_1)
	v_fma_f64 v[84:85], -v[78:79], v[82:83], 1.0
	v_fma_f64 v[82:83], v[82:83], v[84:85], v[82:83]
	v_div_scale_f64 v[84:85], vcc_lo, 1.0, v[76:77], 1.0
	s_delay_alu instid0(VALU_DEP_1) | instskip(NEXT) | instid1(VALU_DEP_1)
	v_mul_f64 v[86:87], v[84:85], v[82:83]
	v_fma_f64 v[78:79], -v[78:79], v[86:87], v[84:85]
	s_delay_alu instid0(VALU_DEP_1) | instskip(NEXT) | instid1(VALU_DEP_1)
	v_div_fmas_f64 v[78:79], v[78:79], v[82:83], v[86:87]
	v_div_fixup_f64 v[82:83], v[78:79], v[76:77], 1.0
                                        ; implicit-def: $vgpr76_vgpr77
	s_delay_alu instid0(VALU_DEP_1)
	v_mul_f64 v[84:85], v[80:81], v[82:83]
	v_xor_b32_e32 v83, 0x80000000, v83
.LBB25_59:
	s_and_not1_saveexec_b32 s3, s3
	s_cbranch_execz .LBB25_61
; %bb.60:
	v_div_scale_f64 v[80:81], null, v[76:77], v[76:77], v[78:79]
	v_div_scale_f64 v[86:87], vcc_lo, v[78:79], v[76:77], v[78:79]
	s_delay_alu instid0(VALU_DEP_2) | instskip(SKIP_2) | instid1(VALU_DEP_1)
	v_rcp_f64_e32 v[82:83], v[80:81]
	s_waitcnt_depctr 0xfff
	v_fma_f64 v[84:85], -v[80:81], v[82:83], 1.0
	v_fma_f64 v[82:83], v[82:83], v[84:85], v[82:83]
	s_delay_alu instid0(VALU_DEP_1) | instskip(NEXT) | instid1(VALU_DEP_1)
	v_fma_f64 v[84:85], -v[80:81], v[82:83], 1.0
	v_fma_f64 v[82:83], v[82:83], v[84:85], v[82:83]
	s_delay_alu instid0(VALU_DEP_1) | instskip(NEXT) | instid1(VALU_DEP_1)
	v_mul_f64 v[84:85], v[86:87], v[82:83]
	v_fma_f64 v[80:81], -v[80:81], v[84:85], v[86:87]
	s_delay_alu instid0(VALU_DEP_1) | instskip(NEXT) | instid1(VALU_DEP_1)
	v_div_fmas_f64 v[80:81], v[80:81], v[82:83], v[84:85]
	v_div_fixup_f64 v[80:81], v[80:81], v[76:77], v[78:79]
	s_delay_alu instid0(VALU_DEP_1) | instskip(NEXT) | instid1(VALU_DEP_1)
	v_fma_f64 v[76:77], v[78:79], v[80:81], v[76:77]
	v_div_scale_f64 v[78:79], null, v[76:77], v[76:77], 1.0
	s_delay_alu instid0(VALU_DEP_1) | instskip(SKIP_2) | instid1(VALU_DEP_1)
	v_rcp_f64_e32 v[82:83], v[78:79]
	s_waitcnt_depctr 0xfff
	v_fma_f64 v[84:85], -v[78:79], v[82:83], 1.0
	v_fma_f64 v[82:83], v[82:83], v[84:85], v[82:83]
	s_delay_alu instid0(VALU_DEP_1) | instskip(NEXT) | instid1(VALU_DEP_1)
	v_fma_f64 v[84:85], -v[78:79], v[82:83], 1.0
	v_fma_f64 v[82:83], v[82:83], v[84:85], v[82:83]
	v_div_scale_f64 v[84:85], vcc_lo, 1.0, v[76:77], 1.0
	s_delay_alu instid0(VALU_DEP_1) | instskip(NEXT) | instid1(VALU_DEP_1)
	v_mul_f64 v[86:87], v[84:85], v[82:83]
	v_fma_f64 v[78:79], -v[78:79], v[86:87], v[84:85]
	s_delay_alu instid0(VALU_DEP_1) | instskip(NEXT) | instid1(VALU_DEP_1)
	v_div_fmas_f64 v[78:79], v[78:79], v[82:83], v[86:87]
	v_div_fixup_f64 v[84:85], v[78:79], v[76:77], 1.0
	s_delay_alu instid0(VALU_DEP_1)
	v_mul_f64 v[82:83], v[80:81], -v[84:85]
.LBB25_61:
	s_or_b32 exec_lo, exec_lo, s3
	ds_store_2addr_b64 v135, v[84:85], v[82:83] offset1:1
.LBB25_62:
	s_or_b32 exec_lo, exec_lo, s4
	s_waitcnt lgkmcnt(0)
	s_barrier
	buffer_gl0_inv
	ds_load_2addr_b64 v[76:79], v135 offset1:1
	s_mov_b32 s3, exec_lo
	v_cmpx_lt_u32_e32 6, v134
	s_cbranch_execz .LBB25_64
; %bb.63:
	s_waitcnt lgkmcnt(0)
	v_mul_f64 v[80:81], v[76:77], v[26:27]
	v_mul_f64 v[26:27], v[78:79], v[26:27]
	s_delay_alu instid0(VALU_DEP_2)
	v_fma_f64 v[132:133], v[78:79], v[24:25], v[80:81]
	ds_load_2addr_b64 v[80:83], v136 offset0:14 offset1:15
	ds_load_2addr_b64 v[84:87], v136 offset0:16 offset1:17
	;; [unrolled: 1-line block ×6, first 2 shown]
	v_fma_f64 v[24:25], v[76:77], v[24:25], -v[26:27]
	s_waitcnt lgkmcnt(5)
	v_mul_f64 v[26:27], v[82:83], v[132:133]
	v_mul_f64 v[137:138], v[80:81], v[132:133]
	s_waitcnt lgkmcnt(4)
	v_mul_f64 v[139:140], v[86:87], v[132:133]
	v_mul_f64 v[141:142], v[84:85], v[132:133]
	;; [unrolled: 3-line block ×6, first 2 shown]
	v_fma_f64 v[26:27], v[80:81], v[24:25], -v[26:27]
	v_fma_f64 v[80:81], v[82:83], v[24:25], v[137:138]
	v_fma_f64 v[82:83], v[84:85], v[24:25], -v[139:140]
	v_fma_f64 v[84:85], v[86:87], v[24:25], v[141:142]
	;; [unrolled: 2-line block ×6, first 2 shown]
	v_add_f64 v[20:21], v[20:21], -v[26:27]
	v_add_f64 v[22:23], v[22:23], -v[80:81]
	;; [unrolled: 1-line block ×12, first 2 shown]
	v_dual_mov_b32 v26, v132 :: v_dual_mov_b32 v27, v133
.LBB25_64:
	s_or_b32 exec_lo, exec_lo, s3
	s_delay_alu instid0(SALU_CYCLE_1)
	s_mov_b32 s4, exec_lo
	s_waitcnt lgkmcnt(0)
	s_barrier
	buffer_gl0_inv
	v_cmpx_eq_u32_e32 7, v134
	s_cbranch_execz .LBB25_71
; %bb.65:
	ds_store_2addr_b64 v135, v[20:21], v[22:23] offset1:1
	ds_store_2addr_b64 v136, v[16:17], v[18:19] offset0:16 offset1:17
	ds_store_2addr_b64 v136, v[12:13], v[14:15] offset0:18 offset1:19
	;; [unrolled: 1-line block ×5, first 2 shown]
	ds_load_2addr_b64 v[80:83], v135 offset1:1
	s_waitcnt lgkmcnt(0)
	v_cmp_neq_f64_e32 vcc_lo, 0, v[80:81]
	v_cmp_neq_f64_e64 s3, 0, v[82:83]
	s_delay_alu instid0(VALU_DEP_1) | instskip(NEXT) | instid1(SALU_CYCLE_1)
	s_or_b32 s3, vcc_lo, s3
	s_and_b32 exec_lo, exec_lo, s3
	s_cbranch_execz .LBB25_71
; %bb.66:
	v_cmp_gt_f64_e32 vcc_lo, 0, v[80:81]
	v_cmp_gt_f64_e64 s3, 0, v[82:83]
	v_xor_b32_e32 v84, 0x80000000, v81
	v_xor_b32_e32 v86, 0x80000000, v83
                                        ; implicit-def: $vgpr88_vgpr89
	s_delay_alu instid0(VALU_DEP_2) | instskip(NEXT) | instid1(VALU_DEP_2)
	v_cndmask_b32_e32 v85, v81, v84, vcc_lo
	v_cndmask_b32_e64 v87, v83, v86, s3
	v_cndmask_b32_e32 v84, v80, v80, vcc_lo
	v_cndmask_b32_e64 v86, v82, v82, s3
	s_mov_b32 s3, exec_lo
	s_delay_alu instid0(VALU_DEP_1)
	v_cmpx_ngt_f64_e32 v[84:85], v[86:87]
	s_xor_b32 s3, exec_lo, s3
                                        ; implicit-def: $vgpr84_vgpr85_vgpr86_vgpr87
	s_cbranch_execz .LBB25_68
; %bb.67:
	v_div_scale_f64 v[84:85], null, v[82:83], v[82:83], v[80:81]
	v_div_scale_f64 v[90:91], vcc_lo, v[80:81], v[82:83], v[80:81]
	s_delay_alu instid0(VALU_DEP_2) | instskip(SKIP_2) | instid1(VALU_DEP_1)
	v_rcp_f64_e32 v[86:87], v[84:85]
	s_waitcnt_depctr 0xfff
	v_fma_f64 v[88:89], -v[84:85], v[86:87], 1.0
	v_fma_f64 v[86:87], v[86:87], v[88:89], v[86:87]
	s_delay_alu instid0(VALU_DEP_1) | instskip(NEXT) | instid1(VALU_DEP_1)
	v_fma_f64 v[88:89], -v[84:85], v[86:87], 1.0
	v_fma_f64 v[86:87], v[86:87], v[88:89], v[86:87]
	s_delay_alu instid0(VALU_DEP_1) | instskip(NEXT) | instid1(VALU_DEP_1)
	v_mul_f64 v[88:89], v[90:91], v[86:87]
	v_fma_f64 v[84:85], -v[84:85], v[88:89], v[90:91]
	s_delay_alu instid0(VALU_DEP_1) | instskip(NEXT) | instid1(VALU_DEP_1)
	v_div_fmas_f64 v[84:85], v[84:85], v[86:87], v[88:89]
	v_div_fixup_f64 v[84:85], v[84:85], v[82:83], v[80:81]
	s_delay_alu instid0(VALU_DEP_1) | instskip(NEXT) | instid1(VALU_DEP_1)
	v_fma_f64 v[80:81], v[80:81], v[84:85], v[82:83]
	v_div_scale_f64 v[82:83], null, v[80:81], v[80:81], 1.0
	s_delay_alu instid0(VALU_DEP_1) | instskip(SKIP_2) | instid1(VALU_DEP_1)
	v_rcp_f64_e32 v[86:87], v[82:83]
	s_waitcnt_depctr 0xfff
	v_fma_f64 v[88:89], -v[82:83], v[86:87], 1.0
	v_fma_f64 v[86:87], v[86:87], v[88:89], v[86:87]
	s_delay_alu instid0(VALU_DEP_1) | instskip(NEXT) | instid1(VALU_DEP_1)
	v_fma_f64 v[88:89], -v[82:83], v[86:87], 1.0
	v_fma_f64 v[86:87], v[86:87], v[88:89], v[86:87]
	v_div_scale_f64 v[88:89], vcc_lo, 1.0, v[80:81], 1.0
	s_delay_alu instid0(VALU_DEP_1) | instskip(NEXT) | instid1(VALU_DEP_1)
	v_mul_f64 v[90:91], v[88:89], v[86:87]
	v_fma_f64 v[82:83], -v[82:83], v[90:91], v[88:89]
	s_delay_alu instid0(VALU_DEP_1) | instskip(NEXT) | instid1(VALU_DEP_1)
	v_div_fmas_f64 v[82:83], v[82:83], v[86:87], v[90:91]
	v_div_fixup_f64 v[86:87], v[82:83], v[80:81], 1.0
                                        ; implicit-def: $vgpr80_vgpr81
	s_delay_alu instid0(VALU_DEP_1)
	v_mul_f64 v[88:89], v[84:85], v[86:87]
	v_xor_b32_e32 v87, 0x80000000, v87
.LBB25_68:
	s_and_not1_saveexec_b32 s3, s3
	s_cbranch_execz .LBB25_70
; %bb.69:
	v_div_scale_f64 v[84:85], null, v[80:81], v[80:81], v[82:83]
	v_div_scale_f64 v[90:91], vcc_lo, v[82:83], v[80:81], v[82:83]
	s_delay_alu instid0(VALU_DEP_2) | instskip(SKIP_2) | instid1(VALU_DEP_1)
	v_rcp_f64_e32 v[86:87], v[84:85]
	s_waitcnt_depctr 0xfff
	v_fma_f64 v[88:89], -v[84:85], v[86:87], 1.0
	v_fma_f64 v[86:87], v[86:87], v[88:89], v[86:87]
	s_delay_alu instid0(VALU_DEP_1) | instskip(NEXT) | instid1(VALU_DEP_1)
	v_fma_f64 v[88:89], -v[84:85], v[86:87], 1.0
	v_fma_f64 v[86:87], v[86:87], v[88:89], v[86:87]
	s_delay_alu instid0(VALU_DEP_1) | instskip(NEXT) | instid1(VALU_DEP_1)
	v_mul_f64 v[88:89], v[90:91], v[86:87]
	v_fma_f64 v[84:85], -v[84:85], v[88:89], v[90:91]
	s_delay_alu instid0(VALU_DEP_1) | instskip(NEXT) | instid1(VALU_DEP_1)
	v_div_fmas_f64 v[84:85], v[84:85], v[86:87], v[88:89]
	v_div_fixup_f64 v[84:85], v[84:85], v[80:81], v[82:83]
	s_delay_alu instid0(VALU_DEP_1) | instskip(NEXT) | instid1(VALU_DEP_1)
	v_fma_f64 v[80:81], v[82:83], v[84:85], v[80:81]
	v_div_scale_f64 v[82:83], null, v[80:81], v[80:81], 1.0
	s_delay_alu instid0(VALU_DEP_1) | instskip(SKIP_2) | instid1(VALU_DEP_1)
	v_rcp_f64_e32 v[86:87], v[82:83]
	s_waitcnt_depctr 0xfff
	v_fma_f64 v[88:89], -v[82:83], v[86:87], 1.0
	v_fma_f64 v[86:87], v[86:87], v[88:89], v[86:87]
	s_delay_alu instid0(VALU_DEP_1) | instskip(NEXT) | instid1(VALU_DEP_1)
	v_fma_f64 v[88:89], -v[82:83], v[86:87], 1.0
	v_fma_f64 v[86:87], v[86:87], v[88:89], v[86:87]
	v_div_scale_f64 v[88:89], vcc_lo, 1.0, v[80:81], 1.0
	s_delay_alu instid0(VALU_DEP_1) | instskip(NEXT) | instid1(VALU_DEP_1)
	v_mul_f64 v[90:91], v[88:89], v[86:87]
	v_fma_f64 v[82:83], -v[82:83], v[90:91], v[88:89]
	s_delay_alu instid0(VALU_DEP_1) | instskip(NEXT) | instid1(VALU_DEP_1)
	v_div_fmas_f64 v[82:83], v[82:83], v[86:87], v[90:91]
	v_div_fixup_f64 v[88:89], v[82:83], v[80:81], 1.0
	s_delay_alu instid0(VALU_DEP_1)
	v_mul_f64 v[86:87], v[84:85], -v[88:89]
.LBB25_70:
	s_or_b32 exec_lo, exec_lo, s3
	ds_store_2addr_b64 v135, v[88:89], v[86:87] offset1:1
.LBB25_71:
	s_or_b32 exec_lo, exec_lo, s4
	s_waitcnt lgkmcnt(0)
	s_barrier
	buffer_gl0_inv
	ds_load_2addr_b64 v[80:83], v135 offset1:1
	s_mov_b32 s3, exec_lo
	v_cmpx_lt_u32_e32 7, v134
	s_cbranch_execz .LBB25_73
; %bb.72:
	s_waitcnt lgkmcnt(0)
	v_mul_f64 v[84:85], v[80:81], v[22:23]
	v_mul_f64 v[22:23], v[82:83], v[22:23]
	s_delay_alu instid0(VALU_DEP_2)
	v_fma_f64 v[132:133], v[82:83], v[20:21], v[84:85]
	ds_load_2addr_b64 v[84:87], v136 offset0:16 offset1:17
	ds_load_2addr_b64 v[88:91], v136 offset0:18 offset1:19
	;; [unrolled: 1-line block ×5, first 2 shown]
	v_fma_f64 v[20:21], v[80:81], v[20:21], -v[22:23]
	s_waitcnt lgkmcnt(4)
	v_mul_f64 v[22:23], v[86:87], v[132:133]
	v_mul_f64 v[137:138], v[84:85], v[132:133]
	s_waitcnt lgkmcnt(3)
	v_mul_f64 v[139:140], v[90:91], v[132:133]
	v_mul_f64 v[141:142], v[88:89], v[132:133]
	;; [unrolled: 3-line block ×5, first 2 shown]
	v_fma_f64 v[22:23], v[84:85], v[20:21], -v[22:23]
	v_fma_f64 v[84:85], v[86:87], v[20:21], v[137:138]
	v_fma_f64 v[86:87], v[88:89], v[20:21], -v[139:140]
	v_fma_f64 v[88:89], v[90:91], v[20:21], v[141:142]
	;; [unrolled: 2-line block ×5, first 2 shown]
	v_add_f64 v[16:17], v[16:17], -v[22:23]
	v_add_f64 v[18:19], v[18:19], -v[84:85]
	;; [unrolled: 1-line block ×10, first 2 shown]
	v_dual_mov_b32 v22, v132 :: v_dual_mov_b32 v23, v133
.LBB25_73:
	s_or_b32 exec_lo, exec_lo, s3
	s_delay_alu instid0(SALU_CYCLE_1)
	s_mov_b32 s4, exec_lo
	s_waitcnt lgkmcnt(0)
	s_barrier
	buffer_gl0_inv
	v_cmpx_eq_u32_e32 8, v134
	s_cbranch_execz .LBB25_80
; %bb.74:
	ds_store_2addr_b64 v135, v[16:17], v[18:19] offset1:1
	ds_store_2addr_b64 v136, v[12:13], v[14:15] offset0:18 offset1:19
	ds_store_2addr_b64 v136, v[8:9], v[10:11] offset0:20 offset1:21
	;; [unrolled: 1-line block ×4, first 2 shown]
	ds_load_2addr_b64 v[84:87], v135 offset1:1
	s_waitcnt lgkmcnt(0)
	v_cmp_neq_f64_e32 vcc_lo, 0, v[84:85]
	v_cmp_neq_f64_e64 s3, 0, v[86:87]
	s_delay_alu instid0(VALU_DEP_1) | instskip(NEXT) | instid1(SALU_CYCLE_1)
	s_or_b32 s3, vcc_lo, s3
	s_and_b32 exec_lo, exec_lo, s3
	s_cbranch_execz .LBB25_80
; %bb.75:
	v_cmp_gt_f64_e32 vcc_lo, 0, v[84:85]
	v_cmp_gt_f64_e64 s3, 0, v[86:87]
	v_xor_b32_e32 v88, 0x80000000, v85
	v_xor_b32_e32 v90, 0x80000000, v87
                                        ; implicit-def: $vgpr92_vgpr93
	s_delay_alu instid0(VALU_DEP_2) | instskip(NEXT) | instid1(VALU_DEP_2)
	v_cndmask_b32_e32 v89, v85, v88, vcc_lo
	v_cndmask_b32_e64 v91, v87, v90, s3
	v_cndmask_b32_e32 v88, v84, v84, vcc_lo
	v_cndmask_b32_e64 v90, v86, v86, s3
	s_mov_b32 s3, exec_lo
	s_delay_alu instid0(VALU_DEP_1)
	v_cmpx_ngt_f64_e32 v[88:89], v[90:91]
	s_xor_b32 s3, exec_lo, s3
                                        ; implicit-def: $vgpr88_vgpr89_vgpr90_vgpr91
	s_cbranch_execz .LBB25_77
; %bb.76:
	v_div_scale_f64 v[88:89], null, v[86:87], v[86:87], v[84:85]
	v_div_scale_f64 v[94:95], vcc_lo, v[84:85], v[86:87], v[84:85]
	s_delay_alu instid0(VALU_DEP_2) | instskip(SKIP_2) | instid1(VALU_DEP_1)
	v_rcp_f64_e32 v[90:91], v[88:89]
	s_waitcnt_depctr 0xfff
	v_fma_f64 v[92:93], -v[88:89], v[90:91], 1.0
	v_fma_f64 v[90:91], v[90:91], v[92:93], v[90:91]
	s_delay_alu instid0(VALU_DEP_1) | instskip(NEXT) | instid1(VALU_DEP_1)
	v_fma_f64 v[92:93], -v[88:89], v[90:91], 1.0
	v_fma_f64 v[90:91], v[90:91], v[92:93], v[90:91]
	s_delay_alu instid0(VALU_DEP_1) | instskip(NEXT) | instid1(VALU_DEP_1)
	v_mul_f64 v[92:93], v[94:95], v[90:91]
	v_fma_f64 v[88:89], -v[88:89], v[92:93], v[94:95]
	s_delay_alu instid0(VALU_DEP_1) | instskip(NEXT) | instid1(VALU_DEP_1)
	v_div_fmas_f64 v[88:89], v[88:89], v[90:91], v[92:93]
	v_div_fixup_f64 v[88:89], v[88:89], v[86:87], v[84:85]
	s_delay_alu instid0(VALU_DEP_1) | instskip(NEXT) | instid1(VALU_DEP_1)
	v_fma_f64 v[84:85], v[84:85], v[88:89], v[86:87]
	v_div_scale_f64 v[86:87], null, v[84:85], v[84:85], 1.0
	s_delay_alu instid0(VALU_DEP_1) | instskip(SKIP_2) | instid1(VALU_DEP_1)
	v_rcp_f64_e32 v[90:91], v[86:87]
	s_waitcnt_depctr 0xfff
	v_fma_f64 v[92:93], -v[86:87], v[90:91], 1.0
	v_fma_f64 v[90:91], v[90:91], v[92:93], v[90:91]
	s_delay_alu instid0(VALU_DEP_1) | instskip(NEXT) | instid1(VALU_DEP_1)
	v_fma_f64 v[92:93], -v[86:87], v[90:91], 1.0
	v_fma_f64 v[90:91], v[90:91], v[92:93], v[90:91]
	v_div_scale_f64 v[92:93], vcc_lo, 1.0, v[84:85], 1.0
	s_delay_alu instid0(VALU_DEP_1) | instskip(NEXT) | instid1(VALU_DEP_1)
	v_mul_f64 v[94:95], v[92:93], v[90:91]
	v_fma_f64 v[86:87], -v[86:87], v[94:95], v[92:93]
	s_delay_alu instid0(VALU_DEP_1) | instskip(NEXT) | instid1(VALU_DEP_1)
	v_div_fmas_f64 v[86:87], v[86:87], v[90:91], v[94:95]
	v_div_fixup_f64 v[90:91], v[86:87], v[84:85], 1.0
                                        ; implicit-def: $vgpr84_vgpr85
	s_delay_alu instid0(VALU_DEP_1)
	v_mul_f64 v[92:93], v[88:89], v[90:91]
	v_xor_b32_e32 v91, 0x80000000, v91
.LBB25_77:
	s_and_not1_saveexec_b32 s3, s3
	s_cbranch_execz .LBB25_79
; %bb.78:
	v_div_scale_f64 v[88:89], null, v[84:85], v[84:85], v[86:87]
	v_div_scale_f64 v[94:95], vcc_lo, v[86:87], v[84:85], v[86:87]
	s_delay_alu instid0(VALU_DEP_2) | instskip(SKIP_2) | instid1(VALU_DEP_1)
	v_rcp_f64_e32 v[90:91], v[88:89]
	s_waitcnt_depctr 0xfff
	v_fma_f64 v[92:93], -v[88:89], v[90:91], 1.0
	v_fma_f64 v[90:91], v[90:91], v[92:93], v[90:91]
	s_delay_alu instid0(VALU_DEP_1) | instskip(NEXT) | instid1(VALU_DEP_1)
	v_fma_f64 v[92:93], -v[88:89], v[90:91], 1.0
	v_fma_f64 v[90:91], v[90:91], v[92:93], v[90:91]
	s_delay_alu instid0(VALU_DEP_1) | instskip(NEXT) | instid1(VALU_DEP_1)
	v_mul_f64 v[92:93], v[94:95], v[90:91]
	v_fma_f64 v[88:89], -v[88:89], v[92:93], v[94:95]
	s_delay_alu instid0(VALU_DEP_1) | instskip(NEXT) | instid1(VALU_DEP_1)
	v_div_fmas_f64 v[88:89], v[88:89], v[90:91], v[92:93]
	v_div_fixup_f64 v[88:89], v[88:89], v[84:85], v[86:87]
	s_delay_alu instid0(VALU_DEP_1) | instskip(NEXT) | instid1(VALU_DEP_1)
	v_fma_f64 v[84:85], v[86:87], v[88:89], v[84:85]
	v_div_scale_f64 v[86:87], null, v[84:85], v[84:85], 1.0
	s_delay_alu instid0(VALU_DEP_1) | instskip(SKIP_2) | instid1(VALU_DEP_1)
	v_rcp_f64_e32 v[90:91], v[86:87]
	s_waitcnt_depctr 0xfff
	v_fma_f64 v[92:93], -v[86:87], v[90:91], 1.0
	v_fma_f64 v[90:91], v[90:91], v[92:93], v[90:91]
	s_delay_alu instid0(VALU_DEP_1) | instskip(NEXT) | instid1(VALU_DEP_1)
	v_fma_f64 v[92:93], -v[86:87], v[90:91], 1.0
	v_fma_f64 v[90:91], v[90:91], v[92:93], v[90:91]
	v_div_scale_f64 v[92:93], vcc_lo, 1.0, v[84:85], 1.0
	s_delay_alu instid0(VALU_DEP_1) | instskip(NEXT) | instid1(VALU_DEP_1)
	v_mul_f64 v[94:95], v[92:93], v[90:91]
	v_fma_f64 v[86:87], -v[86:87], v[94:95], v[92:93]
	s_delay_alu instid0(VALU_DEP_1) | instskip(NEXT) | instid1(VALU_DEP_1)
	v_div_fmas_f64 v[86:87], v[86:87], v[90:91], v[94:95]
	v_div_fixup_f64 v[92:93], v[86:87], v[84:85], 1.0
	s_delay_alu instid0(VALU_DEP_1)
	v_mul_f64 v[90:91], v[88:89], -v[92:93]
.LBB25_79:
	s_or_b32 exec_lo, exec_lo, s3
	ds_store_2addr_b64 v135, v[92:93], v[90:91] offset1:1
.LBB25_80:
	s_or_b32 exec_lo, exec_lo, s4
	s_waitcnt lgkmcnt(0)
	s_barrier
	buffer_gl0_inv
	ds_load_2addr_b64 v[84:87], v135 offset1:1
	s_mov_b32 s3, exec_lo
	v_cmpx_lt_u32_e32 8, v134
	s_cbranch_execz .LBB25_82
; %bb.81:
	s_waitcnt lgkmcnt(0)
	v_mul_f64 v[88:89], v[84:85], v[18:19]
	v_mul_f64 v[18:19], v[86:87], v[18:19]
	s_delay_alu instid0(VALU_DEP_2)
	v_fma_f64 v[132:133], v[86:87], v[16:17], v[88:89]
	ds_load_2addr_b64 v[88:91], v136 offset0:18 offset1:19
	ds_load_2addr_b64 v[92:95], v136 offset0:20 offset1:21
	;; [unrolled: 1-line block ×4, first 2 shown]
	v_fma_f64 v[16:17], v[84:85], v[16:17], -v[18:19]
	s_waitcnt lgkmcnt(3)
	v_mul_f64 v[18:19], v[90:91], v[132:133]
	v_mul_f64 v[137:138], v[88:89], v[132:133]
	s_waitcnt lgkmcnt(2)
	v_mul_f64 v[139:140], v[94:95], v[132:133]
	v_mul_f64 v[141:142], v[92:93], v[132:133]
	;; [unrolled: 3-line block ×4, first 2 shown]
	v_fma_f64 v[18:19], v[88:89], v[16:17], -v[18:19]
	v_fma_f64 v[88:89], v[90:91], v[16:17], v[137:138]
	v_fma_f64 v[90:91], v[92:93], v[16:17], -v[139:140]
	v_fma_f64 v[92:93], v[94:95], v[16:17], v[141:142]
	;; [unrolled: 2-line block ×4, first 2 shown]
	v_add_f64 v[12:13], v[12:13], -v[18:19]
	v_add_f64 v[14:15], v[14:15], -v[88:89]
	;; [unrolled: 1-line block ×8, first 2 shown]
	v_dual_mov_b32 v18, v132 :: v_dual_mov_b32 v19, v133
.LBB25_82:
	s_or_b32 exec_lo, exec_lo, s3
	s_delay_alu instid0(SALU_CYCLE_1)
	s_mov_b32 s4, exec_lo
	s_waitcnt lgkmcnt(0)
	s_barrier
	buffer_gl0_inv
	v_cmpx_eq_u32_e32 9, v134
	s_cbranch_execz .LBB25_89
; %bb.83:
	ds_store_2addr_b64 v135, v[12:13], v[14:15] offset1:1
	ds_store_2addr_b64 v136, v[8:9], v[10:11] offset0:20 offset1:21
	ds_store_2addr_b64 v136, v[4:5], v[6:7] offset0:22 offset1:23
	;; [unrolled: 1-line block ×3, first 2 shown]
	ds_load_2addr_b64 v[88:91], v135 offset1:1
	s_waitcnt lgkmcnt(0)
	v_cmp_neq_f64_e32 vcc_lo, 0, v[88:89]
	v_cmp_neq_f64_e64 s3, 0, v[90:91]
	s_delay_alu instid0(VALU_DEP_1) | instskip(NEXT) | instid1(SALU_CYCLE_1)
	s_or_b32 s3, vcc_lo, s3
	s_and_b32 exec_lo, exec_lo, s3
	s_cbranch_execz .LBB25_89
; %bb.84:
	v_cmp_gt_f64_e32 vcc_lo, 0, v[88:89]
	v_cmp_gt_f64_e64 s3, 0, v[90:91]
	v_xor_b32_e32 v92, 0x80000000, v89
	v_xor_b32_e32 v94, 0x80000000, v91
                                        ; implicit-def: $vgpr96_vgpr97
	s_delay_alu instid0(VALU_DEP_2) | instskip(NEXT) | instid1(VALU_DEP_2)
	v_cndmask_b32_e32 v93, v89, v92, vcc_lo
	v_cndmask_b32_e64 v95, v91, v94, s3
	v_cndmask_b32_e32 v92, v88, v88, vcc_lo
	v_cndmask_b32_e64 v94, v90, v90, s3
	s_mov_b32 s3, exec_lo
	s_delay_alu instid0(VALU_DEP_1)
	v_cmpx_ngt_f64_e32 v[92:93], v[94:95]
	s_xor_b32 s3, exec_lo, s3
                                        ; implicit-def: $vgpr92_vgpr93_vgpr94_vgpr95
	s_cbranch_execz .LBB25_86
; %bb.85:
	v_div_scale_f64 v[92:93], null, v[90:91], v[90:91], v[88:89]
	v_div_scale_f64 v[98:99], vcc_lo, v[88:89], v[90:91], v[88:89]
	s_delay_alu instid0(VALU_DEP_2) | instskip(SKIP_2) | instid1(VALU_DEP_1)
	v_rcp_f64_e32 v[94:95], v[92:93]
	s_waitcnt_depctr 0xfff
	v_fma_f64 v[96:97], -v[92:93], v[94:95], 1.0
	v_fma_f64 v[94:95], v[94:95], v[96:97], v[94:95]
	s_delay_alu instid0(VALU_DEP_1) | instskip(NEXT) | instid1(VALU_DEP_1)
	v_fma_f64 v[96:97], -v[92:93], v[94:95], 1.0
	v_fma_f64 v[94:95], v[94:95], v[96:97], v[94:95]
	s_delay_alu instid0(VALU_DEP_1) | instskip(NEXT) | instid1(VALU_DEP_1)
	v_mul_f64 v[96:97], v[98:99], v[94:95]
	v_fma_f64 v[92:93], -v[92:93], v[96:97], v[98:99]
	s_delay_alu instid0(VALU_DEP_1) | instskip(NEXT) | instid1(VALU_DEP_1)
	v_div_fmas_f64 v[92:93], v[92:93], v[94:95], v[96:97]
	v_div_fixup_f64 v[92:93], v[92:93], v[90:91], v[88:89]
	s_delay_alu instid0(VALU_DEP_1) | instskip(NEXT) | instid1(VALU_DEP_1)
	v_fma_f64 v[88:89], v[88:89], v[92:93], v[90:91]
	v_div_scale_f64 v[90:91], null, v[88:89], v[88:89], 1.0
	s_delay_alu instid0(VALU_DEP_1) | instskip(SKIP_2) | instid1(VALU_DEP_1)
	v_rcp_f64_e32 v[94:95], v[90:91]
	s_waitcnt_depctr 0xfff
	v_fma_f64 v[96:97], -v[90:91], v[94:95], 1.0
	v_fma_f64 v[94:95], v[94:95], v[96:97], v[94:95]
	s_delay_alu instid0(VALU_DEP_1) | instskip(NEXT) | instid1(VALU_DEP_1)
	v_fma_f64 v[96:97], -v[90:91], v[94:95], 1.0
	v_fma_f64 v[94:95], v[94:95], v[96:97], v[94:95]
	v_div_scale_f64 v[96:97], vcc_lo, 1.0, v[88:89], 1.0
	s_delay_alu instid0(VALU_DEP_1) | instskip(NEXT) | instid1(VALU_DEP_1)
	v_mul_f64 v[98:99], v[96:97], v[94:95]
	v_fma_f64 v[90:91], -v[90:91], v[98:99], v[96:97]
	s_delay_alu instid0(VALU_DEP_1) | instskip(NEXT) | instid1(VALU_DEP_1)
	v_div_fmas_f64 v[90:91], v[90:91], v[94:95], v[98:99]
	v_div_fixup_f64 v[94:95], v[90:91], v[88:89], 1.0
                                        ; implicit-def: $vgpr88_vgpr89
	s_delay_alu instid0(VALU_DEP_1)
	v_mul_f64 v[96:97], v[92:93], v[94:95]
	v_xor_b32_e32 v95, 0x80000000, v95
.LBB25_86:
	s_and_not1_saveexec_b32 s3, s3
	s_cbranch_execz .LBB25_88
; %bb.87:
	v_div_scale_f64 v[92:93], null, v[88:89], v[88:89], v[90:91]
	v_div_scale_f64 v[98:99], vcc_lo, v[90:91], v[88:89], v[90:91]
	s_delay_alu instid0(VALU_DEP_2) | instskip(SKIP_2) | instid1(VALU_DEP_1)
	v_rcp_f64_e32 v[94:95], v[92:93]
	s_waitcnt_depctr 0xfff
	v_fma_f64 v[96:97], -v[92:93], v[94:95], 1.0
	v_fma_f64 v[94:95], v[94:95], v[96:97], v[94:95]
	s_delay_alu instid0(VALU_DEP_1) | instskip(NEXT) | instid1(VALU_DEP_1)
	v_fma_f64 v[96:97], -v[92:93], v[94:95], 1.0
	v_fma_f64 v[94:95], v[94:95], v[96:97], v[94:95]
	s_delay_alu instid0(VALU_DEP_1) | instskip(NEXT) | instid1(VALU_DEP_1)
	v_mul_f64 v[96:97], v[98:99], v[94:95]
	v_fma_f64 v[92:93], -v[92:93], v[96:97], v[98:99]
	s_delay_alu instid0(VALU_DEP_1) | instskip(NEXT) | instid1(VALU_DEP_1)
	v_div_fmas_f64 v[92:93], v[92:93], v[94:95], v[96:97]
	v_div_fixup_f64 v[92:93], v[92:93], v[88:89], v[90:91]
	s_delay_alu instid0(VALU_DEP_1) | instskip(NEXT) | instid1(VALU_DEP_1)
	v_fma_f64 v[88:89], v[90:91], v[92:93], v[88:89]
	v_div_scale_f64 v[90:91], null, v[88:89], v[88:89], 1.0
	s_delay_alu instid0(VALU_DEP_1) | instskip(SKIP_2) | instid1(VALU_DEP_1)
	v_rcp_f64_e32 v[94:95], v[90:91]
	s_waitcnt_depctr 0xfff
	v_fma_f64 v[96:97], -v[90:91], v[94:95], 1.0
	v_fma_f64 v[94:95], v[94:95], v[96:97], v[94:95]
	s_delay_alu instid0(VALU_DEP_1) | instskip(NEXT) | instid1(VALU_DEP_1)
	v_fma_f64 v[96:97], -v[90:91], v[94:95], 1.0
	v_fma_f64 v[94:95], v[94:95], v[96:97], v[94:95]
	v_div_scale_f64 v[96:97], vcc_lo, 1.0, v[88:89], 1.0
	s_delay_alu instid0(VALU_DEP_1) | instskip(NEXT) | instid1(VALU_DEP_1)
	v_mul_f64 v[98:99], v[96:97], v[94:95]
	v_fma_f64 v[90:91], -v[90:91], v[98:99], v[96:97]
	s_delay_alu instid0(VALU_DEP_1) | instskip(NEXT) | instid1(VALU_DEP_1)
	v_div_fmas_f64 v[90:91], v[90:91], v[94:95], v[98:99]
	v_div_fixup_f64 v[96:97], v[90:91], v[88:89], 1.0
	s_delay_alu instid0(VALU_DEP_1)
	v_mul_f64 v[94:95], v[92:93], -v[96:97]
.LBB25_88:
	s_or_b32 exec_lo, exec_lo, s3
	ds_store_2addr_b64 v135, v[96:97], v[94:95] offset1:1
.LBB25_89:
	s_or_b32 exec_lo, exec_lo, s4
	s_waitcnt lgkmcnt(0)
	s_barrier
	buffer_gl0_inv
	ds_load_2addr_b64 v[88:91], v135 offset1:1
	s_mov_b32 s3, exec_lo
	v_cmpx_lt_u32_e32 9, v134
	s_cbranch_execz .LBB25_91
; %bb.90:
	s_waitcnt lgkmcnt(0)
	v_mul_f64 v[92:93], v[88:89], v[14:15]
	v_mul_f64 v[14:15], v[90:91], v[14:15]
	s_delay_alu instid0(VALU_DEP_2)
	v_fma_f64 v[132:133], v[90:91], v[12:13], v[92:93]
	ds_load_2addr_b64 v[92:95], v136 offset0:20 offset1:21
	ds_load_2addr_b64 v[96:99], v136 offset0:22 offset1:23
	;; [unrolled: 1-line block ×3, first 2 shown]
	v_fma_f64 v[12:13], v[88:89], v[12:13], -v[14:15]
	s_waitcnt lgkmcnt(2)
	v_mul_f64 v[14:15], v[94:95], v[132:133]
	v_mul_f64 v[137:138], v[92:93], v[132:133]
	s_waitcnt lgkmcnt(1)
	v_mul_f64 v[139:140], v[98:99], v[132:133]
	v_mul_f64 v[141:142], v[96:97], v[132:133]
	;; [unrolled: 3-line block ×3, first 2 shown]
	v_fma_f64 v[14:15], v[92:93], v[12:13], -v[14:15]
	v_fma_f64 v[92:93], v[94:95], v[12:13], v[137:138]
	v_fma_f64 v[94:95], v[96:97], v[12:13], -v[139:140]
	v_fma_f64 v[96:97], v[98:99], v[12:13], v[141:142]
	;; [unrolled: 2-line block ×3, first 2 shown]
	v_add_f64 v[8:9], v[8:9], -v[14:15]
	v_add_f64 v[10:11], v[10:11], -v[92:93]
	;; [unrolled: 1-line block ×6, first 2 shown]
	v_dual_mov_b32 v14, v132 :: v_dual_mov_b32 v15, v133
.LBB25_91:
	s_or_b32 exec_lo, exec_lo, s3
	s_delay_alu instid0(SALU_CYCLE_1)
	s_mov_b32 s4, exec_lo
	s_waitcnt lgkmcnt(0)
	s_barrier
	buffer_gl0_inv
	v_cmpx_eq_u32_e32 10, v134
	s_cbranch_execz .LBB25_98
; %bb.92:
	ds_store_2addr_b64 v135, v[8:9], v[10:11] offset1:1
	ds_store_2addr_b64 v136, v[4:5], v[6:7] offset0:22 offset1:23
	ds_store_2addr_b64 v136, v[0:1], v[2:3] offset0:24 offset1:25
	ds_load_2addr_b64 v[92:95], v135 offset1:1
	s_waitcnt lgkmcnt(0)
	v_cmp_neq_f64_e32 vcc_lo, 0, v[92:93]
	v_cmp_neq_f64_e64 s3, 0, v[94:95]
	s_delay_alu instid0(VALU_DEP_1) | instskip(NEXT) | instid1(SALU_CYCLE_1)
	s_or_b32 s3, vcc_lo, s3
	s_and_b32 exec_lo, exec_lo, s3
	s_cbranch_execz .LBB25_98
; %bb.93:
	v_cmp_gt_f64_e32 vcc_lo, 0, v[92:93]
	v_cmp_gt_f64_e64 s3, 0, v[94:95]
	v_xor_b32_e32 v96, 0x80000000, v93
	v_xor_b32_e32 v98, 0x80000000, v95
                                        ; implicit-def: $vgpr100_vgpr101
	s_delay_alu instid0(VALU_DEP_2) | instskip(NEXT) | instid1(VALU_DEP_2)
	v_cndmask_b32_e32 v97, v93, v96, vcc_lo
	v_cndmask_b32_e64 v99, v95, v98, s3
	v_cndmask_b32_e32 v96, v92, v92, vcc_lo
	v_cndmask_b32_e64 v98, v94, v94, s3
	s_mov_b32 s3, exec_lo
	s_delay_alu instid0(VALU_DEP_1)
	v_cmpx_ngt_f64_e32 v[96:97], v[98:99]
	s_xor_b32 s3, exec_lo, s3
                                        ; implicit-def: $vgpr96_vgpr97_vgpr98_vgpr99
	s_cbranch_execz .LBB25_95
; %bb.94:
	v_div_scale_f64 v[96:97], null, v[94:95], v[94:95], v[92:93]
	v_div_scale_f64 v[102:103], vcc_lo, v[92:93], v[94:95], v[92:93]
	s_delay_alu instid0(VALU_DEP_2) | instskip(SKIP_2) | instid1(VALU_DEP_1)
	v_rcp_f64_e32 v[98:99], v[96:97]
	s_waitcnt_depctr 0xfff
	v_fma_f64 v[100:101], -v[96:97], v[98:99], 1.0
	v_fma_f64 v[98:99], v[98:99], v[100:101], v[98:99]
	s_delay_alu instid0(VALU_DEP_1) | instskip(NEXT) | instid1(VALU_DEP_1)
	v_fma_f64 v[100:101], -v[96:97], v[98:99], 1.0
	v_fma_f64 v[98:99], v[98:99], v[100:101], v[98:99]
	s_delay_alu instid0(VALU_DEP_1) | instskip(NEXT) | instid1(VALU_DEP_1)
	v_mul_f64 v[100:101], v[102:103], v[98:99]
	v_fma_f64 v[96:97], -v[96:97], v[100:101], v[102:103]
	s_delay_alu instid0(VALU_DEP_1) | instskip(NEXT) | instid1(VALU_DEP_1)
	v_div_fmas_f64 v[96:97], v[96:97], v[98:99], v[100:101]
	v_div_fixup_f64 v[96:97], v[96:97], v[94:95], v[92:93]
	s_delay_alu instid0(VALU_DEP_1) | instskip(NEXT) | instid1(VALU_DEP_1)
	v_fma_f64 v[92:93], v[92:93], v[96:97], v[94:95]
	v_div_scale_f64 v[94:95], null, v[92:93], v[92:93], 1.0
	s_delay_alu instid0(VALU_DEP_1) | instskip(SKIP_2) | instid1(VALU_DEP_1)
	v_rcp_f64_e32 v[98:99], v[94:95]
	s_waitcnt_depctr 0xfff
	v_fma_f64 v[100:101], -v[94:95], v[98:99], 1.0
	v_fma_f64 v[98:99], v[98:99], v[100:101], v[98:99]
	s_delay_alu instid0(VALU_DEP_1) | instskip(NEXT) | instid1(VALU_DEP_1)
	v_fma_f64 v[100:101], -v[94:95], v[98:99], 1.0
	v_fma_f64 v[98:99], v[98:99], v[100:101], v[98:99]
	v_div_scale_f64 v[100:101], vcc_lo, 1.0, v[92:93], 1.0
	s_delay_alu instid0(VALU_DEP_1) | instskip(NEXT) | instid1(VALU_DEP_1)
	v_mul_f64 v[102:103], v[100:101], v[98:99]
	v_fma_f64 v[94:95], -v[94:95], v[102:103], v[100:101]
	s_delay_alu instid0(VALU_DEP_1) | instskip(NEXT) | instid1(VALU_DEP_1)
	v_div_fmas_f64 v[94:95], v[94:95], v[98:99], v[102:103]
	v_div_fixup_f64 v[98:99], v[94:95], v[92:93], 1.0
                                        ; implicit-def: $vgpr92_vgpr93
	s_delay_alu instid0(VALU_DEP_1)
	v_mul_f64 v[100:101], v[96:97], v[98:99]
	v_xor_b32_e32 v99, 0x80000000, v99
.LBB25_95:
	s_and_not1_saveexec_b32 s3, s3
	s_cbranch_execz .LBB25_97
; %bb.96:
	v_div_scale_f64 v[96:97], null, v[92:93], v[92:93], v[94:95]
	v_div_scale_f64 v[102:103], vcc_lo, v[94:95], v[92:93], v[94:95]
	s_delay_alu instid0(VALU_DEP_2) | instskip(SKIP_2) | instid1(VALU_DEP_1)
	v_rcp_f64_e32 v[98:99], v[96:97]
	s_waitcnt_depctr 0xfff
	v_fma_f64 v[100:101], -v[96:97], v[98:99], 1.0
	v_fma_f64 v[98:99], v[98:99], v[100:101], v[98:99]
	s_delay_alu instid0(VALU_DEP_1) | instskip(NEXT) | instid1(VALU_DEP_1)
	v_fma_f64 v[100:101], -v[96:97], v[98:99], 1.0
	v_fma_f64 v[98:99], v[98:99], v[100:101], v[98:99]
	s_delay_alu instid0(VALU_DEP_1) | instskip(NEXT) | instid1(VALU_DEP_1)
	v_mul_f64 v[100:101], v[102:103], v[98:99]
	v_fma_f64 v[96:97], -v[96:97], v[100:101], v[102:103]
	s_delay_alu instid0(VALU_DEP_1) | instskip(NEXT) | instid1(VALU_DEP_1)
	v_div_fmas_f64 v[96:97], v[96:97], v[98:99], v[100:101]
	v_div_fixup_f64 v[96:97], v[96:97], v[92:93], v[94:95]
	s_delay_alu instid0(VALU_DEP_1) | instskip(NEXT) | instid1(VALU_DEP_1)
	v_fma_f64 v[92:93], v[94:95], v[96:97], v[92:93]
	v_div_scale_f64 v[94:95], null, v[92:93], v[92:93], 1.0
	s_delay_alu instid0(VALU_DEP_1) | instskip(SKIP_2) | instid1(VALU_DEP_1)
	v_rcp_f64_e32 v[98:99], v[94:95]
	s_waitcnt_depctr 0xfff
	v_fma_f64 v[100:101], -v[94:95], v[98:99], 1.0
	v_fma_f64 v[98:99], v[98:99], v[100:101], v[98:99]
	s_delay_alu instid0(VALU_DEP_1) | instskip(NEXT) | instid1(VALU_DEP_1)
	v_fma_f64 v[100:101], -v[94:95], v[98:99], 1.0
	v_fma_f64 v[98:99], v[98:99], v[100:101], v[98:99]
	v_div_scale_f64 v[100:101], vcc_lo, 1.0, v[92:93], 1.0
	s_delay_alu instid0(VALU_DEP_1) | instskip(NEXT) | instid1(VALU_DEP_1)
	v_mul_f64 v[102:103], v[100:101], v[98:99]
	v_fma_f64 v[94:95], -v[94:95], v[102:103], v[100:101]
	s_delay_alu instid0(VALU_DEP_1) | instskip(NEXT) | instid1(VALU_DEP_1)
	v_div_fmas_f64 v[94:95], v[94:95], v[98:99], v[102:103]
	v_div_fixup_f64 v[100:101], v[94:95], v[92:93], 1.0
	s_delay_alu instid0(VALU_DEP_1)
	v_mul_f64 v[98:99], v[96:97], -v[100:101]
.LBB25_97:
	s_or_b32 exec_lo, exec_lo, s3
	ds_store_2addr_b64 v135, v[100:101], v[98:99] offset1:1
.LBB25_98:
	s_or_b32 exec_lo, exec_lo, s4
	s_waitcnt lgkmcnt(0)
	s_barrier
	buffer_gl0_inv
	ds_load_2addr_b64 v[92:95], v135 offset1:1
	s_mov_b32 s3, exec_lo
	v_cmpx_lt_u32_e32 10, v134
	s_cbranch_execz .LBB25_100
; %bb.99:
	s_waitcnt lgkmcnt(0)
	v_mul_f64 v[96:97], v[92:93], v[10:11]
	v_mul_f64 v[10:11], v[94:95], v[10:11]
	s_delay_alu instid0(VALU_DEP_2)
	v_fma_f64 v[132:133], v[94:95], v[8:9], v[96:97]
	ds_load_2addr_b64 v[96:99], v136 offset0:22 offset1:23
	ds_load_2addr_b64 v[100:103], v136 offset0:24 offset1:25
	v_fma_f64 v[8:9], v[92:93], v[8:9], -v[10:11]
	s_waitcnt lgkmcnt(1)
	v_mul_f64 v[10:11], v[98:99], v[132:133]
	v_mul_f64 v[137:138], v[96:97], v[132:133]
	s_waitcnt lgkmcnt(0)
	v_mul_f64 v[139:140], v[102:103], v[132:133]
	v_mul_f64 v[141:142], v[100:101], v[132:133]
	s_delay_alu instid0(VALU_DEP_4) | instskip(NEXT) | instid1(VALU_DEP_4)
	v_fma_f64 v[10:11], v[96:97], v[8:9], -v[10:11]
	v_fma_f64 v[96:97], v[98:99], v[8:9], v[137:138]
	s_delay_alu instid0(VALU_DEP_4) | instskip(NEXT) | instid1(VALU_DEP_4)
	v_fma_f64 v[98:99], v[100:101], v[8:9], -v[139:140]
	v_fma_f64 v[100:101], v[102:103], v[8:9], v[141:142]
	s_delay_alu instid0(VALU_DEP_4) | instskip(NEXT) | instid1(VALU_DEP_4)
	v_add_f64 v[4:5], v[4:5], -v[10:11]
	v_add_f64 v[6:7], v[6:7], -v[96:97]
	s_delay_alu instid0(VALU_DEP_4) | instskip(NEXT) | instid1(VALU_DEP_4)
	v_add_f64 v[0:1], v[0:1], -v[98:99]
	v_add_f64 v[2:3], v[2:3], -v[100:101]
	v_dual_mov_b32 v10, v132 :: v_dual_mov_b32 v11, v133
.LBB25_100:
	s_or_b32 exec_lo, exec_lo, s3
	s_delay_alu instid0(SALU_CYCLE_1)
	s_mov_b32 s4, exec_lo
	s_waitcnt lgkmcnt(0)
	s_barrier
	buffer_gl0_inv
	v_cmpx_eq_u32_e32 11, v134
	s_cbranch_execz .LBB25_107
; %bb.101:
	ds_store_2addr_b64 v135, v[4:5], v[6:7] offset1:1
	ds_store_2addr_b64 v136, v[0:1], v[2:3] offset0:24 offset1:25
	ds_load_2addr_b64 v[96:99], v135 offset1:1
	s_waitcnt lgkmcnt(0)
	v_cmp_neq_f64_e32 vcc_lo, 0, v[96:97]
	v_cmp_neq_f64_e64 s3, 0, v[98:99]
	s_delay_alu instid0(VALU_DEP_1) | instskip(NEXT) | instid1(SALU_CYCLE_1)
	s_or_b32 s3, vcc_lo, s3
	s_and_b32 exec_lo, exec_lo, s3
	s_cbranch_execz .LBB25_107
; %bb.102:
	v_cmp_gt_f64_e32 vcc_lo, 0, v[96:97]
	v_cmp_gt_f64_e64 s3, 0, v[98:99]
	v_xor_b32_e32 v100, 0x80000000, v97
	v_xor_b32_e32 v102, 0x80000000, v99
                                        ; implicit-def: $vgpr132_vgpr133
	s_delay_alu instid0(VALU_DEP_2) | instskip(NEXT) | instid1(VALU_DEP_2)
	v_cndmask_b32_e32 v101, v97, v100, vcc_lo
	v_cndmask_b32_e64 v103, v99, v102, s3
	v_cndmask_b32_e32 v100, v96, v96, vcc_lo
	v_cndmask_b32_e64 v102, v98, v98, s3
	s_mov_b32 s3, exec_lo
	s_delay_alu instid0(VALU_DEP_1)
	v_cmpx_ngt_f64_e32 v[100:101], v[102:103]
	s_xor_b32 s3, exec_lo, s3
                                        ; implicit-def: $vgpr100_vgpr101_vgpr102_vgpr103
	s_cbranch_execz .LBB25_104
; %bb.103:
	v_div_scale_f64 v[100:101], null, v[98:99], v[98:99], v[96:97]
	v_div_scale_f64 v[137:138], vcc_lo, v[96:97], v[98:99], v[96:97]
	s_delay_alu instid0(VALU_DEP_2) | instskip(SKIP_2) | instid1(VALU_DEP_1)
	v_rcp_f64_e32 v[102:103], v[100:101]
	s_waitcnt_depctr 0xfff
	v_fma_f64 v[132:133], -v[100:101], v[102:103], 1.0
	v_fma_f64 v[102:103], v[102:103], v[132:133], v[102:103]
	s_delay_alu instid0(VALU_DEP_1) | instskip(NEXT) | instid1(VALU_DEP_1)
	v_fma_f64 v[132:133], -v[100:101], v[102:103], 1.0
	v_fma_f64 v[102:103], v[102:103], v[132:133], v[102:103]
	s_delay_alu instid0(VALU_DEP_1) | instskip(NEXT) | instid1(VALU_DEP_1)
	v_mul_f64 v[132:133], v[137:138], v[102:103]
	v_fma_f64 v[100:101], -v[100:101], v[132:133], v[137:138]
	s_delay_alu instid0(VALU_DEP_1) | instskip(NEXT) | instid1(VALU_DEP_1)
	v_div_fmas_f64 v[100:101], v[100:101], v[102:103], v[132:133]
	v_div_fixup_f64 v[100:101], v[100:101], v[98:99], v[96:97]
	s_delay_alu instid0(VALU_DEP_1) | instskip(NEXT) | instid1(VALU_DEP_1)
	v_fma_f64 v[96:97], v[96:97], v[100:101], v[98:99]
	v_div_scale_f64 v[98:99], null, v[96:97], v[96:97], 1.0
	s_delay_alu instid0(VALU_DEP_1) | instskip(SKIP_2) | instid1(VALU_DEP_1)
	v_rcp_f64_e32 v[102:103], v[98:99]
	s_waitcnt_depctr 0xfff
	v_fma_f64 v[132:133], -v[98:99], v[102:103], 1.0
	v_fma_f64 v[102:103], v[102:103], v[132:133], v[102:103]
	s_delay_alu instid0(VALU_DEP_1) | instskip(NEXT) | instid1(VALU_DEP_1)
	v_fma_f64 v[132:133], -v[98:99], v[102:103], 1.0
	v_fma_f64 v[102:103], v[102:103], v[132:133], v[102:103]
	v_div_scale_f64 v[132:133], vcc_lo, 1.0, v[96:97], 1.0
	s_delay_alu instid0(VALU_DEP_1) | instskip(NEXT) | instid1(VALU_DEP_1)
	v_mul_f64 v[137:138], v[132:133], v[102:103]
	v_fma_f64 v[98:99], -v[98:99], v[137:138], v[132:133]
	s_delay_alu instid0(VALU_DEP_1) | instskip(NEXT) | instid1(VALU_DEP_1)
	v_div_fmas_f64 v[98:99], v[98:99], v[102:103], v[137:138]
	v_div_fixup_f64 v[102:103], v[98:99], v[96:97], 1.0
                                        ; implicit-def: $vgpr96_vgpr97
	s_delay_alu instid0(VALU_DEP_1)
	v_mul_f64 v[132:133], v[100:101], v[102:103]
	v_xor_b32_e32 v103, 0x80000000, v103
.LBB25_104:
	s_and_not1_saveexec_b32 s3, s3
	s_cbranch_execz .LBB25_106
; %bb.105:
	v_div_scale_f64 v[100:101], null, v[96:97], v[96:97], v[98:99]
	v_div_scale_f64 v[137:138], vcc_lo, v[98:99], v[96:97], v[98:99]
	s_delay_alu instid0(VALU_DEP_2) | instskip(SKIP_2) | instid1(VALU_DEP_1)
	v_rcp_f64_e32 v[102:103], v[100:101]
	s_waitcnt_depctr 0xfff
	v_fma_f64 v[132:133], -v[100:101], v[102:103], 1.0
	v_fma_f64 v[102:103], v[102:103], v[132:133], v[102:103]
	s_delay_alu instid0(VALU_DEP_1) | instskip(NEXT) | instid1(VALU_DEP_1)
	v_fma_f64 v[132:133], -v[100:101], v[102:103], 1.0
	v_fma_f64 v[102:103], v[102:103], v[132:133], v[102:103]
	s_delay_alu instid0(VALU_DEP_1) | instskip(NEXT) | instid1(VALU_DEP_1)
	v_mul_f64 v[132:133], v[137:138], v[102:103]
	v_fma_f64 v[100:101], -v[100:101], v[132:133], v[137:138]
	s_delay_alu instid0(VALU_DEP_1) | instskip(NEXT) | instid1(VALU_DEP_1)
	v_div_fmas_f64 v[100:101], v[100:101], v[102:103], v[132:133]
	v_div_fixup_f64 v[100:101], v[100:101], v[96:97], v[98:99]
	s_delay_alu instid0(VALU_DEP_1) | instskip(NEXT) | instid1(VALU_DEP_1)
	v_fma_f64 v[96:97], v[98:99], v[100:101], v[96:97]
	v_div_scale_f64 v[98:99], null, v[96:97], v[96:97], 1.0
	s_delay_alu instid0(VALU_DEP_1) | instskip(SKIP_2) | instid1(VALU_DEP_1)
	v_rcp_f64_e32 v[102:103], v[98:99]
	s_waitcnt_depctr 0xfff
	v_fma_f64 v[132:133], -v[98:99], v[102:103], 1.0
	v_fma_f64 v[102:103], v[102:103], v[132:133], v[102:103]
	s_delay_alu instid0(VALU_DEP_1) | instskip(NEXT) | instid1(VALU_DEP_1)
	v_fma_f64 v[132:133], -v[98:99], v[102:103], 1.0
	v_fma_f64 v[102:103], v[102:103], v[132:133], v[102:103]
	v_div_scale_f64 v[132:133], vcc_lo, 1.0, v[96:97], 1.0
	s_delay_alu instid0(VALU_DEP_1) | instskip(NEXT) | instid1(VALU_DEP_1)
	v_mul_f64 v[137:138], v[132:133], v[102:103]
	v_fma_f64 v[98:99], -v[98:99], v[137:138], v[132:133]
	s_delay_alu instid0(VALU_DEP_1) | instskip(NEXT) | instid1(VALU_DEP_1)
	v_div_fmas_f64 v[98:99], v[98:99], v[102:103], v[137:138]
	v_div_fixup_f64 v[132:133], v[98:99], v[96:97], 1.0
	s_delay_alu instid0(VALU_DEP_1)
	v_mul_f64 v[102:103], v[100:101], -v[132:133]
.LBB25_106:
	s_or_b32 exec_lo, exec_lo, s3
	ds_store_2addr_b64 v135, v[132:133], v[102:103] offset1:1
.LBB25_107:
	s_or_b32 exec_lo, exec_lo, s4
	s_waitcnt lgkmcnt(0)
	s_barrier
	buffer_gl0_inv
	ds_load_2addr_b64 v[96:99], v135 offset1:1
	s_mov_b32 s3, exec_lo
	v_cmpx_lt_u32_e32 11, v134
	s_cbranch_execz .LBB25_109
; %bb.108:
	s_waitcnt lgkmcnt(0)
	v_mul_f64 v[100:101], v[96:97], v[6:7]
	v_mul_f64 v[6:7], v[98:99], v[6:7]
	s_delay_alu instid0(VALU_DEP_2)
	v_fma_f64 v[132:133], v[98:99], v[4:5], v[100:101]
	ds_load_2addr_b64 v[100:103], v136 offset0:24 offset1:25
	v_fma_f64 v[4:5], v[96:97], v[4:5], -v[6:7]
	s_waitcnt lgkmcnt(0)
	v_mul_f64 v[6:7], v[102:103], v[132:133]
	v_mul_f64 v[136:137], v[100:101], v[132:133]
	s_delay_alu instid0(VALU_DEP_2) | instskip(NEXT) | instid1(VALU_DEP_2)
	v_fma_f64 v[6:7], v[100:101], v[4:5], -v[6:7]
	v_fma_f64 v[100:101], v[102:103], v[4:5], v[136:137]
	s_delay_alu instid0(VALU_DEP_2) | instskip(NEXT) | instid1(VALU_DEP_2)
	v_add_f64 v[0:1], v[0:1], -v[6:7]
	v_add_f64 v[2:3], v[2:3], -v[100:101]
	v_dual_mov_b32 v6, v132 :: v_dual_mov_b32 v7, v133
.LBB25_109:
	s_or_b32 exec_lo, exec_lo, s3
	s_delay_alu instid0(SALU_CYCLE_1)
	s_mov_b32 s4, exec_lo
	s_waitcnt lgkmcnt(0)
	s_barrier
	buffer_gl0_inv
	v_cmpx_eq_u32_e32 12, v134
	s_cbranch_execz .LBB25_116
; %bb.110:
	v_cmp_neq_f64_e32 vcc_lo, 0, v[0:1]
	v_cmp_neq_f64_e64 s3, 0, v[2:3]
	ds_store_2addr_b64 v135, v[0:1], v[2:3] offset1:1
	s_or_b32 s3, vcc_lo, s3
	s_delay_alu instid0(SALU_CYCLE_1)
	s_and_b32 exec_lo, exec_lo, s3
	s_cbranch_execz .LBB25_116
; %bb.111:
	v_cmp_gt_f64_e32 vcc_lo, 0, v[0:1]
	v_cmp_gt_f64_e64 s3, 0, v[2:3]
	v_xor_b32_e32 v100, 0x80000000, v1
	v_xor_b32_e32 v102, 0x80000000, v3
                                        ; implicit-def: $vgpr132_vgpr133
	s_delay_alu instid0(VALU_DEP_2) | instskip(NEXT) | instid1(VALU_DEP_2)
	v_cndmask_b32_e32 v101, v1, v100, vcc_lo
	v_cndmask_b32_e64 v103, v3, v102, s3
	v_cndmask_b32_e32 v100, v0, v0, vcc_lo
	v_cndmask_b32_e64 v102, v2, v2, s3
	s_mov_b32 s3, exec_lo
	s_delay_alu instid0(VALU_DEP_1)
	v_cmpx_ngt_f64_e32 v[100:101], v[102:103]
	s_xor_b32 s3, exec_lo, s3
                                        ; implicit-def: $vgpr100_vgpr101_vgpr102_vgpr103
	s_cbranch_execz .LBB25_113
; %bb.112:
	v_div_scale_f64 v[100:101], null, v[2:3], v[2:3], v[0:1]
	v_div_scale_f64 v[136:137], vcc_lo, v[0:1], v[2:3], v[0:1]
	s_delay_alu instid0(VALU_DEP_2) | instskip(SKIP_2) | instid1(VALU_DEP_1)
	v_rcp_f64_e32 v[102:103], v[100:101]
	s_waitcnt_depctr 0xfff
	v_fma_f64 v[132:133], -v[100:101], v[102:103], 1.0
	v_fma_f64 v[102:103], v[102:103], v[132:133], v[102:103]
	s_delay_alu instid0(VALU_DEP_1) | instskip(NEXT) | instid1(VALU_DEP_1)
	v_fma_f64 v[132:133], -v[100:101], v[102:103], 1.0
	v_fma_f64 v[102:103], v[102:103], v[132:133], v[102:103]
	s_delay_alu instid0(VALU_DEP_1) | instskip(NEXT) | instid1(VALU_DEP_1)
	v_mul_f64 v[132:133], v[136:137], v[102:103]
	v_fma_f64 v[100:101], -v[100:101], v[132:133], v[136:137]
	s_delay_alu instid0(VALU_DEP_1) | instskip(NEXT) | instid1(VALU_DEP_1)
	v_div_fmas_f64 v[100:101], v[100:101], v[102:103], v[132:133]
	v_div_fixup_f64 v[100:101], v[100:101], v[2:3], v[0:1]
	s_delay_alu instid0(VALU_DEP_1) | instskip(NEXT) | instid1(VALU_DEP_1)
	v_fma_f64 v[102:103], v[0:1], v[100:101], v[2:3]
	v_div_scale_f64 v[132:133], null, v[102:103], v[102:103], 1.0
	s_delay_alu instid0(VALU_DEP_1) | instskip(SKIP_2) | instid1(VALU_DEP_1)
	v_rcp_f64_e32 v[136:137], v[132:133]
	s_waitcnt_depctr 0xfff
	v_fma_f64 v[138:139], -v[132:133], v[136:137], 1.0
	v_fma_f64 v[136:137], v[136:137], v[138:139], v[136:137]
	s_delay_alu instid0(VALU_DEP_1) | instskip(NEXT) | instid1(VALU_DEP_1)
	v_fma_f64 v[138:139], -v[132:133], v[136:137], 1.0
	v_fma_f64 v[136:137], v[136:137], v[138:139], v[136:137]
	v_div_scale_f64 v[138:139], vcc_lo, 1.0, v[102:103], 1.0
	s_delay_alu instid0(VALU_DEP_1) | instskip(NEXT) | instid1(VALU_DEP_1)
	v_mul_f64 v[140:141], v[138:139], v[136:137]
	v_fma_f64 v[132:133], -v[132:133], v[140:141], v[138:139]
	s_delay_alu instid0(VALU_DEP_1) | instskip(NEXT) | instid1(VALU_DEP_1)
	v_div_fmas_f64 v[132:133], v[132:133], v[136:137], v[140:141]
	v_div_fixup_f64 v[102:103], v[132:133], v[102:103], 1.0
	s_delay_alu instid0(VALU_DEP_1)
	v_mul_f64 v[132:133], v[100:101], v[102:103]
	v_xor_b32_e32 v103, 0x80000000, v103
.LBB25_113:
	s_and_not1_saveexec_b32 s3, s3
	s_cbranch_execz .LBB25_115
; %bb.114:
	v_div_scale_f64 v[100:101], null, v[0:1], v[0:1], v[2:3]
	v_div_scale_f64 v[136:137], vcc_lo, v[2:3], v[0:1], v[2:3]
	s_delay_alu instid0(VALU_DEP_2) | instskip(SKIP_2) | instid1(VALU_DEP_1)
	v_rcp_f64_e32 v[102:103], v[100:101]
	s_waitcnt_depctr 0xfff
	v_fma_f64 v[132:133], -v[100:101], v[102:103], 1.0
	v_fma_f64 v[102:103], v[102:103], v[132:133], v[102:103]
	s_delay_alu instid0(VALU_DEP_1) | instskip(NEXT) | instid1(VALU_DEP_1)
	v_fma_f64 v[132:133], -v[100:101], v[102:103], 1.0
	v_fma_f64 v[102:103], v[102:103], v[132:133], v[102:103]
	s_delay_alu instid0(VALU_DEP_1) | instskip(NEXT) | instid1(VALU_DEP_1)
	v_mul_f64 v[132:133], v[136:137], v[102:103]
	v_fma_f64 v[100:101], -v[100:101], v[132:133], v[136:137]
	s_delay_alu instid0(VALU_DEP_1) | instskip(NEXT) | instid1(VALU_DEP_1)
	v_div_fmas_f64 v[100:101], v[100:101], v[102:103], v[132:133]
	v_div_fixup_f64 v[100:101], v[100:101], v[0:1], v[2:3]
	s_delay_alu instid0(VALU_DEP_1) | instskip(NEXT) | instid1(VALU_DEP_1)
	v_fma_f64 v[102:103], v[2:3], v[100:101], v[0:1]
	v_div_scale_f64 v[132:133], null, v[102:103], v[102:103], 1.0
	s_delay_alu instid0(VALU_DEP_1) | instskip(SKIP_2) | instid1(VALU_DEP_1)
	v_rcp_f64_e32 v[136:137], v[132:133]
	s_waitcnt_depctr 0xfff
	v_fma_f64 v[138:139], -v[132:133], v[136:137], 1.0
	v_fma_f64 v[136:137], v[136:137], v[138:139], v[136:137]
	s_delay_alu instid0(VALU_DEP_1) | instskip(NEXT) | instid1(VALU_DEP_1)
	v_fma_f64 v[138:139], -v[132:133], v[136:137], 1.0
	v_fma_f64 v[136:137], v[136:137], v[138:139], v[136:137]
	v_div_scale_f64 v[138:139], vcc_lo, 1.0, v[102:103], 1.0
	s_delay_alu instid0(VALU_DEP_1) | instskip(NEXT) | instid1(VALU_DEP_1)
	v_mul_f64 v[140:141], v[138:139], v[136:137]
	v_fma_f64 v[132:133], -v[132:133], v[140:141], v[138:139]
	s_delay_alu instid0(VALU_DEP_1) | instskip(NEXT) | instid1(VALU_DEP_1)
	v_div_fmas_f64 v[132:133], v[132:133], v[136:137], v[140:141]
	v_div_fixup_f64 v[132:133], v[132:133], v[102:103], 1.0
	s_delay_alu instid0(VALU_DEP_1)
	v_mul_f64 v[102:103], v[100:101], -v[132:133]
.LBB25_115:
	s_or_b32 exec_lo, exec_lo, s3
	ds_store_2addr_b64 v135, v[132:133], v[102:103] offset1:1
.LBB25_116:
	s_or_b32 exec_lo, exec_lo, s4
	s_waitcnt lgkmcnt(0)
	s_barrier
	buffer_gl0_inv
	ds_load_2addr_b64 v[100:103], v135 offset1:1
	s_mov_b32 s3, exec_lo
	v_cmpx_lt_u32_e32 12, v134
	s_cbranch_execz .LBB25_118
; %bb.117:
	s_waitcnt lgkmcnt(0)
	v_mul_f64 v[132:133], v[102:103], v[2:3]
	v_mul_f64 v[2:3], v[100:101], v[2:3]
	s_delay_alu instid0(VALU_DEP_2) | instskip(NEXT) | instid1(VALU_DEP_2)
	v_fma_f64 v[132:133], v[100:101], v[0:1], -v[132:133]
	v_fma_f64 v[2:3], v[102:103], v[0:1], v[2:3]
	s_delay_alu instid0(VALU_DEP_2)
	v_dual_mov_b32 v0, v132 :: v_dual_mov_b32 v1, v133
.LBB25_118:
	s_or_b32 exec_lo, exec_lo, s3
	s_waitcnt lgkmcnt(0)
	s_barrier
	buffer_gl0_inv
	s_and_saveexec_b32 s10, s2
	s_cbranch_execz .LBB25_121
; %bb.119:
	s_load_b64 s[0:1], s[0:1], 0x28
	v_lshlrev_b64 v[104:105], 2, v[104:105]
	v_cmp_neq_f64_e64 s2, 0, v[58:59]
	v_cmp_eq_f64_e64 s3, 0, v[60:61]
	v_cmp_eq_f64_e64 s4, 0, v[62:63]
	v_cmp_eq_f64_e64 s5, 0, v[64:65]
	v_cmp_eq_f64_e64 s6, 0, v[66:67]
	v_cmp_eq_f64_e64 s7, 0, v[68:69]
	v_cmp_eq_f64_e64 s8, 0, v[70:71]
	s_waitcnt lgkmcnt(0)
	v_add_co_u32 v104, vcc_lo, s0, v104
	v_add_co_ci_u32_e32 v105, vcc_lo, s1, v105, vcc_lo
	v_cmp_eq_f64_e32 vcc_lo, 0, v[52:53]
	v_cmp_eq_f64_e64 s0, 0, v[54:55]
	v_cmp_neq_f64_e64 s1, 0, v[56:57]
	global_load_b32 v132, v[104:105], off
	s_and_b32 s0, vcc_lo, s0
	s_or_b32 s1, s1, s2
	v_cndmask_b32_e64 v52, 0, 1, s0
	s_or_b32 vcc_lo, s1, s0
	v_cmp_eq_f64_e64 s0, 0, v[74:75]
	s_and_b32 s2, s3, s4
	s_and_b32 s4, s5, s6
	v_cndmask_b32_e32 v52, 2, v52, vcc_lo
	v_cmp_eq_f64_e32 vcc_lo, 0, v[72:73]
	s_and_b32 s6, s7, s8
	s_delay_alu instid0(VALU_DEP_2) | instskip(NEXT) | instid1(VALU_DEP_1)
	v_cmp_eq_u32_e64 s1, 0, v52
	s_and_b32 s1, s2, s1
	v_cmp_eq_f64_e64 s2, 0, v[78:79]
	v_cndmask_b32_e64 v52, v52, 3, s1
	v_cmp_eq_f64_e64 s1, 0, v[76:77]
	s_delay_alu instid0(VALU_DEP_2) | instskip(NEXT) | instid1(VALU_DEP_1)
	v_cmp_eq_u32_e64 s3, 0, v52
	s_and_b32 s3, s4, s3
	v_cmp_eq_f64_e64 s4, 0, v[82:83]
	v_cndmask_b32_e64 v52, v52, 4, s3
	v_cmp_eq_f64_e64 s3, 0, v[80:81]
	;; [unrolled: 6-line block ×3, first 2 shown]
	s_and_b32 s0, vcc_lo, s0
	v_cmp_eq_f64_e32 vcc_lo, 0, v[88:89]
	s_delay_alu instid0(VALU_DEP_3) | instskip(NEXT) | instid1(VALU_DEP_1)
	v_cmp_eq_u32_e64 s7, 0, v52
	s_and_b32 s0, s0, s7
	s_delay_alu instid0(SALU_CYCLE_1) | instskip(SKIP_3) | instid1(VALU_DEP_3)
	v_cndmask_b32_e64 v52, v52, 6, s0
	v_cmp_eq_f64_e64 s0, 0, v[90:91]
	s_and_b32 s1, s1, s2
	v_cmp_eq_f64_e64 s2, 0, v[94:95]
	v_cmp_eq_u32_e64 s7, 0, v52
	s_delay_alu instid0(VALU_DEP_1) | instskip(NEXT) | instid1(SALU_CYCLE_1)
	s_and_b32 s1, s1, s7
	v_cndmask_b32_e64 v52, v52, 7, s1
	v_cmp_eq_f64_e64 s1, 0, v[92:93]
	s_and_b32 s3, s3, s4
	v_cmp_eq_f64_e64 s4, 0, v[98:99]
	s_delay_alu instid0(VALU_DEP_3) | instskip(NEXT) | instid1(VALU_DEP_1)
	v_cmp_eq_u32_e64 s7, 0, v52
	s_and_b32 s3, s3, s7
	s_delay_alu instid0(SALU_CYCLE_1) | instskip(SKIP_3) | instid1(VALU_DEP_3)
	v_cndmask_b32_e64 v52, v52, 8, s3
	v_cmp_eq_f64_e64 s3, 0, v[96:97]
	s_and_b32 s5, s5, s6
	v_cmp_eq_f64_e64 s6, 0, v[102:103]
	v_cmp_eq_u32_e64 s7, 0, v52
	s_delay_alu instid0(VALU_DEP_1) | instskip(NEXT) | instid1(SALU_CYCLE_1)
	s_and_b32 s5, s5, s7
	v_cndmask_b32_e64 v52, v52, 9, s5
	v_cmp_eq_f64_e64 s5, 0, v[100:101]
	s_and_b32 s0, vcc_lo, s0
	s_delay_alu instid0(VALU_DEP_2) | instskip(NEXT) | instid1(VALU_DEP_1)
	v_cmp_eq_u32_e64 s7, 0, v52
	s_and_b32 s0, s0, s7
	s_delay_alu instid0(SALU_CYCLE_1) | instskip(SKIP_1) | instid1(VALU_DEP_1)
	v_cndmask_b32_e64 v52, v52, 10, s0
	s_and_b32 s0, s1, s2
	v_cmp_eq_u32_e32 vcc_lo, 0, v52
	s_and_b32 s0, s0, vcc_lo
	s_delay_alu instid0(SALU_CYCLE_1) | instskip(SKIP_1) | instid1(VALU_DEP_1)
	v_cndmask_b32_e64 v52, v52, 11, s0
	s_and_b32 s0, s3, s4
	v_cmp_eq_u32_e32 vcc_lo, 0, v52
	s_and_b32 s0, s0, vcc_lo
	;; [unrolled: 5-line block ×3, first 2 shown]
	s_delay_alu instid0(SALU_CYCLE_1) | instskip(NEXT) | instid1(VALU_DEP_1)
	v_cndmask_b32_e64 v52, v52, 13, s0
	v_cmp_ne_u32_e64 s0, 0, v52
	s_waitcnt vmcnt(0)
	v_cmp_eq_u32_e32 vcc_lo, 0, v132
	s_delay_alu instid0(VALU_DEP_2) | instskip(NEXT) | instid1(SALU_CYCLE_1)
	s_and_b32 s0, vcc_lo, s0
	s_and_b32 exec_lo, exec_lo, s0
	s_cbranch_execz .LBB25_121
; %bb.120:
	v_add_nc_u32_e32 v52, s9, v52
	global_store_b32 v[104:105], v52, off
.LBB25_121:
	s_or_b32 exec_lo, exec_lo, s10
	s_clause 0xc
	global_store_b128 v[128:129], v[48:51], off
	global_store_b128 v[130:131], v[44:47], off
	;; [unrolled: 1-line block ×13, first 2 shown]
.LBB25_122:
	s_nop 0
	s_sendmsg sendmsg(MSG_DEALLOC_VGPRS)
	s_endpgm
	.section	.rodata,"a",@progbits
	.p2align	6, 0x0
	.amdhsa_kernel _ZN9rocsolver6v33100L23getf2_npvt_small_kernelILi13E19rocblas_complex_numIdEiiPKPS3_EEvT1_T3_lS7_lPT2_S7_S7_
		.amdhsa_group_segment_fixed_size 0
		.amdhsa_private_segment_fixed_size 0
		.amdhsa_kernarg_size 312
		.amdhsa_user_sgpr_count 14
		.amdhsa_user_sgpr_dispatch_ptr 0
		.amdhsa_user_sgpr_queue_ptr 0
		.amdhsa_user_sgpr_kernarg_segment_ptr 1
		.amdhsa_user_sgpr_dispatch_id 0
		.amdhsa_user_sgpr_private_segment_size 0
		.amdhsa_wavefront_size32 1
		.amdhsa_uses_dynamic_stack 0
		.amdhsa_enable_private_segment 0
		.amdhsa_system_sgpr_workgroup_id_x 1
		.amdhsa_system_sgpr_workgroup_id_y 1
		.amdhsa_system_sgpr_workgroup_id_z 0
		.amdhsa_system_sgpr_workgroup_info 0
		.amdhsa_system_vgpr_workitem_id 1
		.amdhsa_next_free_vgpr 183
		.amdhsa_next_free_sgpr 16
		.amdhsa_reserve_vcc 1
		.amdhsa_float_round_mode_32 0
		.amdhsa_float_round_mode_16_64 0
		.amdhsa_float_denorm_mode_32 3
		.amdhsa_float_denorm_mode_16_64 3
		.amdhsa_dx10_clamp 1
		.amdhsa_ieee_mode 1
		.amdhsa_fp16_overflow 0
		.amdhsa_workgroup_processor_mode 1
		.amdhsa_memory_ordered 1
		.amdhsa_forward_progress 0
		.amdhsa_shared_vgpr_count 0
		.amdhsa_exception_fp_ieee_invalid_op 0
		.amdhsa_exception_fp_denorm_src 0
		.amdhsa_exception_fp_ieee_div_zero 0
		.amdhsa_exception_fp_ieee_overflow 0
		.amdhsa_exception_fp_ieee_underflow 0
		.amdhsa_exception_fp_ieee_inexact 0
		.amdhsa_exception_int_div_zero 0
	.end_amdhsa_kernel
	.section	.text._ZN9rocsolver6v33100L23getf2_npvt_small_kernelILi13E19rocblas_complex_numIdEiiPKPS3_EEvT1_T3_lS7_lPT2_S7_S7_,"axG",@progbits,_ZN9rocsolver6v33100L23getf2_npvt_small_kernelILi13E19rocblas_complex_numIdEiiPKPS3_EEvT1_T3_lS7_lPT2_S7_S7_,comdat
.Lfunc_end25:
	.size	_ZN9rocsolver6v33100L23getf2_npvt_small_kernelILi13E19rocblas_complex_numIdEiiPKPS3_EEvT1_T3_lS7_lPT2_S7_S7_, .Lfunc_end25-_ZN9rocsolver6v33100L23getf2_npvt_small_kernelILi13E19rocblas_complex_numIdEiiPKPS3_EEvT1_T3_lS7_lPT2_S7_S7_
                                        ; -- End function
	.section	.AMDGPU.csdata,"",@progbits
; Kernel info:
; codeLenInByte = 16380
; NumSgprs: 18
; NumVgprs: 183
; ScratchSize: 0
; MemoryBound: 1
; FloatMode: 240
; IeeeMode: 1
; LDSByteSize: 0 bytes/workgroup (compile time only)
; SGPRBlocks: 2
; VGPRBlocks: 22
; NumSGPRsForWavesPerEU: 18
; NumVGPRsForWavesPerEU: 183
; Occupancy: 8
; WaveLimiterHint : 1
; COMPUTE_PGM_RSRC2:SCRATCH_EN: 0
; COMPUTE_PGM_RSRC2:USER_SGPR: 14
; COMPUTE_PGM_RSRC2:TRAP_HANDLER: 0
; COMPUTE_PGM_RSRC2:TGID_X_EN: 1
; COMPUTE_PGM_RSRC2:TGID_Y_EN: 1
; COMPUTE_PGM_RSRC2:TGID_Z_EN: 0
; COMPUTE_PGM_RSRC2:TIDIG_COMP_CNT: 1
	.section	.text._ZN9rocsolver6v33100L18getf2_small_kernelILi14E19rocblas_complex_numIdEiiPKPS3_EEvT1_T3_lS7_lPS7_llPT2_S7_S7_S9_l,"axG",@progbits,_ZN9rocsolver6v33100L18getf2_small_kernelILi14E19rocblas_complex_numIdEiiPKPS3_EEvT1_T3_lS7_lPS7_llPT2_S7_S7_S9_l,comdat
	.globl	_ZN9rocsolver6v33100L18getf2_small_kernelILi14E19rocblas_complex_numIdEiiPKPS3_EEvT1_T3_lS7_lPS7_llPT2_S7_S7_S9_l ; -- Begin function _ZN9rocsolver6v33100L18getf2_small_kernelILi14E19rocblas_complex_numIdEiiPKPS3_EEvT1_T3_lS7_lPS7_llPT2_S7_S7_S9_l
	.p2align	8
	.type	_ZN9rocsolver6v33100L18getf2_small_kernelILi14E19rocblas_complex_numIdEiiPKPS3_EEvT1_T3_lS7_lPS7_llPT2_S7_S7_S9_l,@function
_ZN9rocsolver6v33100L18getf2_small_kernelILi14E19rocblas_complex_numIdEiiPKPS3_EEvT1_T3_lS7_lPS7_llPT2_S7_S7_S9_l: ; @_ZN9rocsolver6v33100L18getf2_small_kernelILi14E19rocblas_complex_numIdEiiPKPS3_EEvT1_T3_lS7_lPS7_llPT2_S7_S7_S9_l
; %bb.0:
	s_clause 0x1
	s_load_b32 s2, s[0:1], 0x6c
	s_load_b64 s[12:13], s[0:1], 0x48
	v_bfe_u32 v56, v0, 10, 10
	s_waitcnt lgkmcnt(0)
	s_lshr_b32 s2, s2, 16
	s_delay_alu instid0(VALU_DEP_1) | instid1(SALU_CYCLE_1)
	v_mad_u64_u32 v[60:61], null, s15, s2, v[56:57]
	s_mov_b32 s2, exec_lo
	s_delay_alu instid0(VALU_DEP_1)
	v_cmpx_gt_i32_e64 s12, v60
	s_cbranch_execz .LBB26_297
; %bb.1:
	s_clause 0x1
	s_load_b128 s[4:7], s[0:1], 0x8
	s_load_b128 s[8:11], s[0:1], 0x50
	v_ashrrev_i32_e32 v61, 31, v60
	v_mov_b32_e32 v62, 0
	v_mov_b32_e32 v63, 0
	s_delay_alu instid0(VALU_DEP_3) | instskip(SKIP_1) | instid1(VALU_DEP_1)
	v_lshlrev_b64 v[1:2], 3, v[60:61]
	s_waitcnt lgkmcnt(0)
	v_add_co_u32 v1, vcc_lo, s4, v1
	s_delay_alu instid0(VALU_DEP_2)
	v_add_co_ci_u32_e32 v2, vcc_lo, s5, v2, vcc_lo
	s_cmp_eq_u64 s[8:9], 0
	s_cselect_b32 s4, -1, 0
	global_load_b64 v[1:2], v[1:2], off
	s_and_b32 vcc_lo, exec_lo, s4
	s_cbranch_vccnz .LBB26_3
; %bb.2:
	v_mul_lo_u32 v5, v61, s10
	v_mul_lo_u32 v6, v60, s11
	v_mad_u64_u32 v[3:4], null, v60, s10, 0
	s_delay_alu instid0(VALU_DEP_1) | instskip(NEXT) | instid1(VALU_DEP_1)
	v_add3_u32 v4, v4, v6, v5
	v_lshlrev_b64 v[3:4], 2, v[3:4]
	s_delay_alu instid0(VALU_DEP_1) | instskip(NEXT) | instid1(VALU_DEP_2)
	v_add_co_u32 v62, vcc_lo, s8, v3
	v_add_co_ci_u32_e32 v63, vcc_lo, s9, v4, vcc_lo
.LBB26_3:
	s_clause 0x1
	s_load_b32 s8, s[0:1], 0x18
	s_load_b32 s5, s[0:1], 0x0
	v_and_b32_e32 v69, 0x3ff, v0
	s_lshl_b64 s[2:3], s[6:7], 4
	s_waitcnt vmcnt(0)
	v_add_co_u32 v67, vcc_lo, v1, s2
	s_delay_alu instid0(VALU_DEP_2) | instskip(SKIP_1) | instid1(VALU_DEP_2)
	v_lshlrev_b32_e32 v59, 4, v69
	v_add_co_ci_u32_e32 v68, vcc_lo, s3, v2, vcc_lo
	v_add_co_u32 v2, vcc_lo, v67, v59
	s_delay_alu instid0(VALU_DEP_2)
	v_add_co_ci_u32_e32 v3, vcc_lo, 0, v68, vcc_lo
	s_waitcnt lgkmcnt(0)
	v_add3_u32 v0, s8, s8, v69
	s_ashr_i32 s9, s8, 31
	s_max_i32 s2, s5, 14
	s_lshl_b64 s[10:11], s[8:9], 4
	s_cmp_lt_i32 s5, 2
	v_add_nc_u32_e32 v4, s8, v0
	v_add_co_u32 v6, vcc_lo, v2, s10
	v_ashrrev_i32_e32 v1, 31, v0
	v_add_co_ci_u32_e32 v7, vcc_lo, s11, v3, vcc_lo
	s_delay_alu instid0(VALU_DEP_4)
	v_ashrrev_i32_e32 v5, 31, v4
	v_add_nc_u32_e32 v8, s8, v4
	s_clause 0x1
	global_load_b128 v[52:55], v[2:3], off
	global_load_b128 v[48:51], v[6:7], off
	v_lshlrev_b64 v[0:1], 4, v[0:1]
	v_lshlrev_b64 v[2:3], 4, v[4:5]
	v_add_nc_u32_e32 v4, s8, v8
	v_ashrrev_i32_e32 v9, 31, v8
	s_delay_alu instid0(VALU_DEP_4) | instskip(NEXT) | instid1(VALU_DEP_3)
	v_add_co_u32 v0, vcc_lo, v67, v0
	v_ashrrev_i32_e32 v5, 31, v4
	s_delay_alu instid0(VALU_DEP_3)
	v_lshlrev_b64 v[6:7], 4, v[8:9]
	v_add_co_ci_u32_e32 v1, vcc_lo, v68, v1, vcc_lo
	v_add_nc_u32_e32 v8, s8, v4
	v_add_co_u32 v2, vcc_lo, v67, v2
	v_lshlrev_b64 v[4:5], 4, v[4:5]
	v_add_co_ci_u32_e32 v3, vcc_lo, v68, v3, vcc_lo
	v_add_co_u32 v6, vcc_lo, v67, v6
	v_add_nc_u32_e32 v10, s8, v8
	v_add_co_ci_u32_e32 v7, vcc_lo, v68, v7, vcc_lo
	v_add_co_u32 v4, vcc_lo, v67, v4
	v_ashrrev_i32_e32 v9, 31, v8
	v_add_co_ci_u32_e32 v5, vcc_lo, v68, v5, vcc_lo
	v_ashrrev_i32_e32 v11, 31, v10
	s_clause 0x1
	global_load_b128 v[44:47], v[0:1], off
	global_load_b128 v[40:43], v[2:3], off
	v_lshlrev_b64 v[0:1], 4, v[8:9]
	s_clause 0x1
	global_load_b128 v[28:31], v[6:7], off
	global_load_b128 v[24:27], v[4:5], off
	v_add_nc_u32_e32 v4, s8, v10
	v_lshlrev_b64 v[2:3], 4, v[10:11]
	v_add_co_u32 v0, vcc_lo, v67, v0
	s_delay_alu instid0(VALU_DEP_3) | instskip(SKIP_1) | instid1(VALU_DEP_4)
	v_add_nc_u32_e32 v6, s8, v4
	v_add_co_ci_u32_e32 v1, vcc_lo, v68, v1, vcc_lo
	v_add_co_u32 v2, vcc_lo, v67, v2
	s_delay_alu instid0(VALU_DEP_3)
	v_add_nc_u32_e32 v8, s8, v6
	v_add_co_ci_u32_e32 v3, vcc_lo, v68, v3, vcc_lo
	v_ashrrev_i32_e32 v5, 31, v4
	v_ashrrev_i32_e32 v7, 31, v6
	s_clause 0x1
	global_load_b128 v[36:39], v[0:1], off
	global_load_b128 v[20:23], v[2:3], off
	v_ashrrev_i32_e32 v9, 31, v8
	v_add_nc_u32_e32 v2, s8, v8
	v_lshlrev_b64 v[4:5], 4, v[4:5]
	v_lshlrev_b64 v[0:1], 4, v[6:7]
	s_delay_alu instid0(VALU_DEP_4) | instskip(NEXT) | instid1(VALU_DEP_4)
	v_lshlrev_b64 v[6:7], 4, v[8:9]
	v_add_nc_u32_e32 v8, s8, v2
	v_ashrrev_i32_e32 v3, 31, v2
	v_add_co_u32 v4, vcc_lo, v67, v4
	v_add_co_ci_u32_e32 v5, vcc_lo, v68, v5, vcc_lo
	s_delay_alu instid0(VALU_DEP_4) | instskip(SKIP_3) | instid1(VALU_DEP_4)
	v_add_nc_u32_e32 v10, s8, v8
	v_ashrrev_i32_e32 v9, 31, v8
	v_add_co_u32 v0, vcc_lo, v67, v0
	v_lshlrev_b64 v[2:3], 4, v[2:3]
	v_ashrrev_i32_e32 v11, 31, v10
	v_add_co_ci_u32_e32 v1, vcc_lo, v68, v1, vcc_lo
	v_add_co_u32 v6, vcc_lo, v67, v6
	v_lshlrev_b64 v[8:9], 4, v[8:9]
	v_add_co_ci_u32_e32 v7, vcc_lo, v68, v7, vcc_lo
	v_add_co_u32 v2, vcc_lo, v67, v2
	v_lshlrev_b64 v[10:11], 4, v[10:11]
	v_add_co_ci_u32_e32 v3, vcc_lo, v68, v3, vcc_lo
	v_add_co_u32 v57, vcc_lo, v67, v8
	v_add_co_ci_u32_e32 v58, vcc_lo, v68, v9, vcc_lo
	s_delay_alu instid0(VALU_DEP_4)
	v_add_co_u32 v64, vcc_lo, v67, v10
	v_add_co_ci_u32_e32 v65, vcc_lo, v68, v11, vcc_lo
	s_clause 0x5
	global_load_b128 v[32:35], v[4:5], off
	global_load_b128 v[16:19], v[0:1], off
	;; [unrolled: 1-line block ×6, first 2 shown]
	v_mov_b32_e32 v64, 0
	v_mul_lo_u32 v65, s2, v56
	s_delay_alu instid0(VALU_DEP_1) | instskip(SKIP_1) | instid1(VALU_DEP_2)
	v_lshl_add_u32 v66, v65, 4, 0
	v_lshlrev_b32_e32 v71, 4, v65
	v_add_nc_u32_e32 v56, v66, v59
	s_waitcnt vmcnt(13)
	ds_store_2addr_b64 v56, v[52:53], v[54:55] offset1:1
	s_waitcnt vmcnt(0) lgkmcnt(0)
	s_barrier
	buffer_gl0_inv
	ds_load_2addr_b64 v[56:59], v66 offset1:1
	s_cbranch_scc1 .LBB26_6
; %bb.4:
	v_add3_u32 v65, v71, 0, 16
	v_mov_b32_e32 v64, 0
	s_mov_b32 s6, 1
	s_set_inst_prefetch_distance 0x1
	.p2align	6
.LBB26_5:                               ; =>This Inner Loop Header: Depth=1
	ds_load_2addr_b64 v[72:75], v65 offset1:1
	s_waitcnt lgkmcnt(1)
	v_cmp_gt_f64_e32 vcc_lo, 0, v[56:57]
	v_xor_b32_e32 v70, 0x80000000, v57
	v_cmp_gt_f64_e64 s2, 0, v[58:59]
	v_xor_b32_e32 v76, 0x80000000, v59
	v_add_nc_u32_e32 v65, 16, v65
	s_waitcnt lgkmcnt(0)
	v_cmp_gt_f64_e64 s3, 0, v[72:73]
	v_mov_b32_e32 v80, v72
	v_dual_mov_b32 v82, v74 :: v_dual_cndmask_b32 v77, v57, v70
	v_xor_b32_e32 v70, 0x80000000, v73
	v_cndmask_b32_e64 v79, v59, v76, s2
	v_xor_b32_e32 v76, 0x80000000, v75
	v_cndmask_b32_e64 v78, v58, v58, s2
	s_delay_alu instid0(VALU_DEP_4) | instskip(SKIP_1) | instid1(VALU_DEP_1)
	v_cndmask_b32_e64 v81, v73, v70, s3
	v_cmp_gt_f64_e64 s3, 0, v[74:75]
	v_cndmask_b32_e64 v83, v75, v76, s3
	v_cndmask_b32_e32 v76, v56, v56, vcc_lo
	s_delay_alu instid0(VALU_DEP_2) | instskip(NEXT) | instid1(VALU_DEP_2)
	v_add_f64 v[80:81], v[80:81], v[82:83]
	v_add_f64 v[76:77], v[76:77], v[78:79]
	s_delay_alu instid0(VALU_DEP_1)
	v_cmp_lt_f64_e32 vcc_lo, v[76:77], v[80:81]
	v_cndmask_b32_e32 v59, v59, v75, vcc_lo
	v_dual_cndmask_b32 v57, v57, v73 :: v_dual_cndmask_b32 v56, v56, v72
	v_cndmask_b32_e32 v58, v58, v74, vcc_lo
	v_cndmask_b32_e64 v64, v64, s6, vcc_lo
	s_add_i32 s6, s6, 1
	s_delay_alu instid0(SALU_CYCLE_1)
	s_cmp_eq_u32 s5, s6
	s_cbranch_scc0 .LBB26_5
.LBB26_6:
	s_set_inst_prefetch_distance 0x2
	s_waitcnt lgkmcnt(0)
	v_cmp_neq_f64_e32 vcc_lo, 0, v[56:57]
	v_cmp_neq_f64_e64 s2, 0, v[58:59]
	v_dual_mov_b32 v70, 1 :: v_dual_mov_b32 v73, 1
	s_delay_alu instid0(VALU_DEP_2) | instskip(NEXT) | instid1(SALU_CYCLE_1)
	s_or_b32 s2, vcc_lo, s2
	s_and_saveexec_b32 s3, s2
	s_cbranch_execz .LBB26_12
; %bb.7:
	v_cmp_gt_f64_e32 vcc_lo, 0, v[56:57]
	v_cmp_gt_f64_e64 s2, 0, v[58:59]
	v_xor_b32_e32 v65, 0x80000000, v57
	v_xor_b32_e32 v70, 0x80000000, v59
                                        ; implicit-def: $sgpr6
                                        ; implicit-def: $sgpr7
	s_delay_alu instid0(VALU_DEP_2) | instskip(NEXT) | instid1(VALU_DEP_2)
	v_dual_cndmask_b32 v73, v57, v65 :: v_dual_cndmask_b32 v72, v56, v56
	v_cndmask_b32_e64 v75, v59, v70, s2
	v_cndmask_b32_e64 v74, v58, v58, s2
	s_mov_b32 s2, exec_lo
	s_delay_alu instid0(VALU_DEP_1)
	v_cmpx_ngt_f64_e32 v[72:73], v[74:75]
	s_xor_b32 s2, exec_lo, s2
	s_cbranch_execz .LBB26_9
; %bb.8:
	v_div_scale_f64 v[72:73], null, v[58:59], v[58:59], v[56:57]
	v_div_scale_f64 v[78:79], vcc_lo, v[56:57], v[58:59], v[56:57]
	s_mov_b32 s7, 2
	s_mov_b32 s6, 0
	s_delay_alu instid0(VALU_DEP_2) | instskip(SKIP_2) | instid1(VALU_DEP_1)
	v_rcp_f64_e32 v[74:75], v[72:73]
	s_waitcnt_depctr 0xfff
	v_fma_f64 v[76:77], -v[72:73], v[74:75], 1.0
	v_fma_f64 v[74:75], v[74:75], v[76:77], v[74:75]
	s_delay_alu instid0(VALU_DEP_1) | instskip(NEXT) | instid1(VALU_DEP_1)
	v_fma_f64 v[76:77], -v[72:73], v[74:75], 1.0
	v_fma_f64 v[74:75], v[74:75], v[76:77], v[74:75]
	s_delay_alu instid0(VALU_DEP_1) | instskip(NEXT) | instid1(VALU_DEP_1)
	v_mul_f64 v[76:77], v[78:79], v[74:75]
	v_fma_f64 v[72:73], -v[72:73], v[76:77], v[78:79]
	s_delay_alu instid0(VALU_DEP_1) | instskip(NEXT) | instid1(VALU_DEP_1)
	v_div_fmas_f64 v[72:73], v[72:73], v[74:75], v[76:77]
	v_div_fixup_f64 v[72:73], v[72:73], v[58:59], v[56:57]
	s_delay_alu instid0(VALU_DEP_1) | instskip(NEXT) | instid1(VALU_DEP_1)
	v_fma_f64 v[56:57], v[56:57], v[72:73], v[58:59]
	v_div_scale_f64 v[58:59], null, v[56:57], v[56:57], 1.0
	s_delay_alu instid0(VALU_DEP_1) | instskip(SKIP_2) | instid1(VALU_DEP_1)
	v_rcp_f64_e32 v[74:75], v[58:59]
	s_waitcnt_depctr 0xfff
	v_fma_f64 v[76:77], -v[58:59], v[74:75], 1.0
	v_fma_f64 v[74:75], v[74:75], v[76:77], v[74:75]
	s_delay_alu instid0(VALU_DEP_1) | instskip(NEXT) | instid1(VALU_DEP_1)
	v_fma_f64 v[76:77], -v[58:59], v[74:75], 1.0
	v_fma_f64 v[74:75], v[74:75], v[76:77], v[74:75]
	v_div_scale_f64 v[76:77], vcc_lo, 1.0, v[56:57], 1.0
	s_delay_alu instid0(VALU_DEP_1) | instskip(NEXT) | instid1(VALU_DEP_1)
	v_mul_f64 v[78:79], v[76:77], v[74:75]
	v_fma_f64 v[58:59], -v[58:59], v[78:79], v[76:77]
	s_delay_alu instid0(VALU_DEP_1) | instskip(NEXT) | instid1(VALU_DEP_1)
	v_div_fmas_f64 v[58:59], v[58:59], v[74:75], v[78:79]
	v_div_fixup_f64 v[58:59], v[58:59], v[56:57], 1.0
	s_delay_alu instid0(VALU_DEP_1)
	v_mul_f64 v[56:57], v[72:73], v[58:59]
	v_xor_b32_e32 v59, 0x80000000, v59
.LBB26_9:
	s_or_saveexec_b32 s2, s2
	v_dual_mov_b32 v73, s6 :: v_dual_mov_b32 v70, s7
	s_xor_b32 exec_lo, exec_lo, s2
	s_cbranch_execz .LBB26_11
; %bb.10:
	s_delay_alu instid0(VALU_DEP_3) | instskip(SKIP_2) | instid1(VALU_DEP_3)
	v_div_scale_f64 v[72:73], null, v[56:57], v[56:57], v[58:59]
	v_div_scale_f64 v[78:79], vcc_lo, v[58:59], v[56:57], v[58:59]
	v_mov_b32_e32 v70, 2
	v_rcp_f64_e32 v[74:75], v[72:73]
	s_waitcnt_depctr 0xfff
	v_fma_f64 v[76:77], -v[72:73], v[74:75], 1.0
	s_delay_alu instid0(VALU_DEP_1) | instskip(NEXT) | instid1(VALU_DEP_1)
	v_fma_f64 v[74:75], v[74:75], v[76:77], v[74:75]
	v_fma_f64 v[76:77], -v[72:73], v[74:75], 1.0
	s_delay_alu instid0(VALU_DEP_1) | instskip(NEXT) | instid1(VALU_DEP_1)
	v_fma_f64 v[74:75], v[74:75], v[76:77], v[74:75]
	v_mul_f64 v[76:77], v[78:79], v[74:75]
	s_delay_alu instid0(VALU_DEP_1) | instskip(NEXT) | instid1(VALU_DEP_1)
	v_fma_f64 v[72:73], -v[72:73], v[76:77], v[78:79]
	v_div_fmas_f64 v[72:73], v[72:73], v[74:75], v[76:77]
	s_delay_alu instid0(VALU_DEP_1) | instskip(NEXT) | instid1(VALU_DEP_1)
	v_div_fixup_f64 v[72:73], v[72:73], v[56:57], v[58:59]
	v_fma_f64 v[56:57], v[58:59], v[72:73], v[56:57]
	s_delay_alu instid0(VALU_DEP_1) | instskip(NEXT) | instid1(VALU_DEP_1)
	v_div_scale_f64 v[58:59], null, v[56:57], v[56:57], 1.0
	v_rcp_f64_e32 v[74:75], v[58:59]
	s_waitcnt_depctr 0xfff
	v_fma_f64 v[76:77], -v[58:59], v[74:75], 1.0
	s_delay_alu instid0(VALU_DEP_1) | instskip(NEXT) | instid1(VALU_DEP_1)
	v_fma_f64 v[74:75], v[74:75], v[76:77], v[74:75]
	v_fma_f64 v[76:77], -v[58:59], v[74:75], 1.0
	s_delay_alu instid0(VALU_DEP_1) | instskip(SKIP_1) | instid1(VALU_DEP_1)
	v_fma_f64 v[74:75], v[74:75], v[76:77], v[74:75]
	v_div_scale_f64 v[76:77], vcc_lo, 1.0, v[56:57], 1.0
	v_mul_f64 v[78:79], v[76:77], v[74:75]
	s_delay_alu instid0(VALU_DEP_1) | instskip(NEXT) | instid1(VALU_DEP_1)
	v_fma_f64 v[58:59], -v[58:59], v[78:79], v[76:77]
	v_div_fmas_f64 v[58:59], v[58:59], v[74:75], v[78:79]
	s_delay_alu instid0(VALU_DEP_1) | instskip(NEXT) | instid1(VALU_DEP_1)
	v_div_fixup_f64 v[56:57], v[58:59], v[56:57], 1.0
	v_mul_f64 v[58:59], v[72:73], -v[56:57]
	v_mov_b32_e32 v73, 0
.LBB26_11:
	s_or_b32 exec_lo, exec_lo, s2
.LBB26_12:
	s_delay_alu instid0(SALU_CYCLE_1) | instskip(NEXT) | instid1(SALU_CYCLE_1)
	s_or_b32 exec_lo, exec_lo, s3
	s_mov_b32 s2, exec_lo
	v_cmpx_ne_u32_e64 v69, v64
	s_xor_b32 s2, exec_lo, s2
	s_cbranch_execz .LBB26_18
; %bb.13:
	s_mov_b32 s3, exec_lo
	v_cmpx_eq_u32_e32 0, v69
	s_cbranch_execz .LBB26_17
; %bb.14:
	v_cmp_ne_u32_e32 vcc_lo, 0, v64
	s_xor_b32 s6, s4, -1
	s_delay_alu instid0(SALU_CYCLE_1) | instskip(NEXT) | instid1(SALU_CYCLE_1)
	s_and_b32 s7, s6, vcc_lo
	s_and_saveexec_b32 s6, s7
	s_cbranch_execz .LBB26_16
; %bb.15:
	v_ashrrev_i32_e32 v65, 31, v64
	s_delay_alu instid0(VALU_DEP_1) | instskip(NEXT) | instid1(VALU_DEP_1)
	v_lshlrev_b64 v[74:75], 2, v[64:65]
	v_add_co_u32 v74, vcc_lo, v62, v74
	s_delay_alu instid0(VALU_DEP_2)
	v_add_co_ci_u32_e32 v75, vcc_lo, v63, v75, vcc_lo
	s_clause 0x1
	flat_load_b32 v65, v[74:75]
	flat_load_b32 v69, v[62:63]
	s_waitcnt vmcnt(1) lgkmcnt(1)
	flat_store_b32 v[62:63], v65
	s_waitcnt vmcnt(0) lgkmcnt(1)
	flat_store_b32 v[74:75], v69
.LBB26_16:
	s_or_b32 exec_lo, exec_lo, s6
	v_mov_b32_e32 v69, v64
.LBB26_17:
	s_or_b32 exec_lo, exec_lo, s3
.LBB26_18:
	s_or_saveexec_b32 s2, s2
	s_delay_alu instid0(VALU_DEP_1)
	v_mov_b32_e32 v72, v69
	s_xor_b32 exec_lo, exec_lo, s2
	s_cbranch_execz .LBB26_20
; %bb.19:
	v_mov_b32_e32 v72, 0
	ds_store_2addr_b64 v66, v[48:49], v[50:51] offset0:2 offset1:3
	ds_store_2addr_b64 v66, v[44:45], v[46:47] offset0:4 offset1:5
	;; [unrolled: 1-line block ×13, first 2 shown]
.LBB26_20:
	s_or_b32 exec_lo, exec_lo, s2
	s_delay_alu instid0(SALU_CYCLE_1)
	s_mov_b32 s2, exec_lo
	s_waitcnt lgkmcnt(0)
	s_waitcnt_vscnt null, 0x0
	s_barrier
	buffer_gl0_inv
	v_cmpx_lt_i32_e32 0, v72
	s_cbranch_execz .LBB26_22
; %bb.21:
	v_mul_f64 v[64:65], v[56:57], v[54:55]
	v_mul_f64 v[54:55], v[58:59], v[54:55]
	ds_load_2addr_b64 v[74:77], v66 offset0:2 offset1:3
	ds_load_2addr_b64 v[78:81], v66 offset0:4 offset1:5
	ds_load_2addr_b64 v[82:85], v66 offset0:6 offset1:7
	ds_load_2addr_b64 v[86:89], v66 offset0:8 offset1:9
	ds_load_2addr_b64 v[90:93], v66 offset0:10 offset1:11
	ds_load_2addr_b64 v[94:97], v66 offset0:12 offset1:13
	ds_load_2addr_b64 v[98:101], v66 offset0:14 offset1:15
	ds_load_2addr_b64 v[102:105], v66 offset0:16 offset1:17
	ds_load_2addr_b64 v[106:109], v66 offset0:18 offset1:19
	ds_load_2addr_b64 v[110:113], v66 offset0:20 offset1:21
	ds_load_2addr_b64 v[114:117], v66 offset0:22 offset1:23
	ds_load_2addr_b64 v[118:121], v66 offset0:24 offset1:25
	ds_load_2addr_b64 v[122:125], v66 offset0:26 offset1:27
	v_fma_f64 v[58:59], v[58:59], v[52:53], v[64:65]
	v_fma_f64 v[52:53], v[56:57], v[52:53], -v[54:55]
	s_waitcnt lgkmcnt(12)
	s_delay_alu instid0(VALU_DEP_2)
	v_mul_f64 v[54:55], v[76:77], v[58:59]
	v_mul_f64 v[56:57], v[74:75], v[58:59]
	s_waitcnt lgkmcnt(11)
	v_mul_f64 v[64:65], v[80:81], v[58:59]
	v_mul_f64 v[126:127], v[78:79], v[58:59]
	s_waitcnt lgkmcnt(10)
	v_mul_f64 v[128:129], v[84:85], v[58:59]
	v_mul_f64 v[130:131], v[82:83], v[58:59]
	s_waitcnt lgkmcnt(9)
	v_mul_f64 v[132:133], v[88:89], v[58:59]
	v_mul_f64 v[134:135], v[86:87], v[58:59]
	s_waitcnt lgkmcnt(8)
	v_mul_f64 v[136:137], v[92:93], v[58:59]
	v_mul_f64 v[138:139], v[90:91], v[58:59]
	s_waitcnt lgkmcnt(7)
	v_mul_f64 v[140:141], v[96:97], v[58:59]
	v_mul_f64 v[142:143], v[94:95], v[58:59]
	s_waitcnt lgkmcnt(6)
	v_mul_f64 v[144:145], v[100:101], v[58:59]
	v_mul_f64 v[146:147], v[98:99], v[58:59]
	s_waitcnt lgkmcnt(5)
	v_mul_f64 v[148:149], v[104:105], v[58:59]
	v_mul_f64 v[150:151], v[102:103], v[58:59]
	s_waitcnt lgkmcnt(4)
	v_mul_f64 v[152:153], v[108:109], v[58:59]
	v_mul_f64 v[154:155], v[106:107], v[58:59]
	s_waitcnt lgkmcnt(3)
	v_mul_f64 v[156:157], v[112:113], v[58:59]
	v_mul_f64 v[158:159], v[110:111], v[58:59]
	s_waitcnt lgkmcnt(2)
	v_mul_f64 v[160:161], v[116:117], v[58:59]
	v_mul_f64 v[162:163], v[114:115], v[58:59]
	s_waitcnt lgkmcnt(1)
	v_mul_f64 v[164:165], v[120:121], v[58:59]
	v_mul_f64 v[166:167], v[118:119], v[58:59]
	s_waitcnt lgkmcnt(0)
	v_mul_f64 v[168:169], v[124:125], v[58:59]
	v_mul_f64 v[170:171], v[122:123], v[58:59]
	v_fma_f64 v[54:55], v[74:75], v[52:53], -v[54:55]
	v_fma_f64 v[56:57], v[76:77], v[52:53], v[56:57]
	v_fma_f64 v[64:65], v[78:79], v[52:53], -v[64:65]
	v_fma_f64 v[74:75], v[80:81], v[52:53], v[126:127]
	;; [unrolled: 2-line block ×13, first 2 shown]
	v_add_f64 v[48:49], v[48:49], -v[54:55]
	v_add_f64 v[50:51], v[50:51], -v[56:57]
	;; [unrolled: 1-line block ×26, first 2 shown]
	v_dual_mov_b32 v54, v58 :: v_dual_mov_b32 v55, v59
.LBB26_22:
	s_or_b32 exec_lo, exec_lo, s2
	v_lshl_add_u32 v56, v72, 4, v66
	s_barrier
	buffer_gl0_inv
	v_mov_b32_e32 v64, 1
	ds_store_2addr_b64 v56, v[48:49], v[50:51] offset1:1
	s_waitcnt lgkmcnt(0)
	s_barrier
	buffer_gl0_inv
	ds_load_2addr_b64 v[56:59], v66 offset0:2 offset1:3
	s_cmp_lt_i32 s5, 3
	s_cbranch_scc1 .LBB26_25
; %bb.23:
	v_add3_u32 v65, v71, 0, 32
	v_mov_b32_e32 v64, 1
	s_mov_b32 s6, 2
	s_set_inst_prefetch_distance 0x1
	.p2align	6
.LBB26_24:                              ; =>This Inner Loop Header: Depth=1
	ds_load_2addr_b64 v[74:77], v65 offset1:1
	s_waitcnt lgkmcnt(1)
	v_cmp_gt_f64_e32 vcc_lo, 0, v[56:57]
	v_xor_b32_e32 v78, 0x80000000, v57
	v_cmp_gt_f64_e64 s2, 0, v[58:59]
	v_xor_b32_e32 v80, 0x80000000, v59
	v_add_nc_u32_e32 v65, 16, v65
	s_waitcnt lgkmcnt(0)
	v_cmp_gt_f64_e64 s3, 0, v[74:75]
	v_mov_b32_e32 v82, v74
	v_dual_mov_b32 v84, v76 :: v_dual_cndmask_b32 v79, v57, v78
	v_xor_b32_e32 v78, 0x80000000, v75
	v_cndmask_b32_e64 v81, v59, v80, s2
	v_xor_b32_e32 v80, 0x80000000, v77
	s_delay_alu instid0(VALU_DEP_3) | instskip(SKIP_2) | instid1(VALU_DEP_2)
	v_cndmask_b32_e64 v83, v75, v78, s3
	v_cmp_gt_f64_e64 s3, 0, v[76:77]
	v_cndmask_b32_e32 v78, v56, v56, vcc_lo
	v_cndmask_b32_e64 v85, v77, v80, s3
	v_cndmask_b32_e64 v80, v58, v58, s2
	s_delay_alu instid0(VALU_DEP_2) | instskip(NEXT) | instid1(VALU_DEP_2)
	v_add_f64 v[82:83], v[82:83], v[84:85]
	v_add_f64 v[78:79], v[78:79], v[80:81]
	s_delay_alu instid0(VALU_DEP_1)
	v_cmp_lt_f64_e32 vcc_lo, v[78:79], v[82:83]
	v_cndmask_b32_e32 v59, v59, v77, vcc_lo
	v_dual_cndmask_b32 v57, v57, v75 :: v_dual_cndmask_b32 v56, v56, v74
	v_cndmask_b32_e32 v58, v58, v76, vcc_lo
	v_cndmask_b32_e64 v64, v64, s6, vcc_lo
	s_add_i32 s6, s6, 1
	s_delay_alu instid0(SALU_CYCLE_1)
	s_cmp_lg_u32 s5, s6
	s_cbranch_scc1 .LBB26_24
.LBB26_25:
	s_set_inst_prefetch_distance 0x2
	s_waitcnt lgkmcnt(0)
	v_cmp_neq_f64_e32 vcc_lo, 0, v[56:57]
	v_cmp_neq_f64_e64 s2, 0, v[58:59]
	s_delay_alu instid0(VALU_DEP_1) | instskip(NEXT) | instid1(SALU_CYCLE_1)
	s_or_b32 s2, vcc_lo, s2
	s_and_saveexec_b32 s3, s2
	s_cbranch_execz .LBB26_31
; %bb.26:
	v_cmp_gt_f64_e32 vcc_lo, 0, v[56:57]
	v_cmp_gt_f64_e64 s2, 0, v[58:59]
	v_xor_b32_e32 v65, 0x80000000, v57
	v_xor_b32_e32 v70, 0x80000000, v59
	s_delay_alu instid0(VALU_DEP_2) | instskip(NEXT) | instid1(VALU_DEP_2)
	v_dual_cndmask_b32 v75, v57, v65 :: v_dual_cndmask_b32 v74, v56, v56
	v_cndmask_b32_e64 v77, v59, v70, s2
	v_cndmask_b32_e64 v76, v58, v58, s2
	s_mov_b32 s2, exec_lo
	s_delay_alu instid0(VALU_DEP_1)
	v_cmpx_ngt_f64_e32 v[74:75], v[76:77]
	s_xor_b32 s2, exec_lo, s2
	s_cbranch_execz .LBB26_28
; %bb.27:
	v_div_scale_f64 v[74:75], null, v[58:59], v[58:59], v[56:57]
	v_div_scale_f64 v[80:81], vcc_lo, v[56:57], v[58:59], v[56:57]
	s_delay_alu instid0(VALU_DEP_2) | instskip(SKIP_2) | instid1(VALU_DEP_1)
	v_rcp_f64_e32 v[76:77], v[74:75]
	s_waitcnt_depctr 0xfff
	v_fma_f64 v[78:79], -v[74:75], v[76:77], 1.0
	v_fma_f64 v[76:77], v[76:77], v[78:79], v[76:77]
	s_delay_alu instid0(VALU_DEP_1) | instskip(NEXT) | instid1(VALU_DEP_1)
	v_fma_f64 v[78:79], -v[74:75], v[76:77], 1.0
	v_fma_f64 v[76:77], v[76:77], v[78:79], v[76:77]
	s_delay_alu instid0(VALU_DEP_1) | instskip(NEXT) | instid1(VALU_DEP_1)
	v_mul_f64 v[78:79], v[80:81], v[76:77]
	v_fma_f64 v[74:75], -v[74:75], v[78:79], v[80:81]
	s_delay_alu instid0(VALU_DEP_1) | instskip(NEXT) | instid1(VALU_DEP_1)
	v_div_fmas_f64 v[74:75], v[74:75], v[76:77], v[78:79]
	v_div_fixup_f64 v[74:75], v[74:75], v[58:59], v[56:57]
	s_delay_alu instid0(VALU_DEP_1) | instskip(NEXT) | instid1(VALU_DEP_1)
	v_fma_f64 v[56:57], v[56:57], v[74:75], v[58:59]
	v_div_scale_f64 v[58:59], null, v[56:57], v[56:57], 1.0
	s_delay_alu instid0(VALU_DEP_1) | instskip(SKIP_2) | instid1(VALU_DEP_1)
	v_rcp_f64_e32 v[76:77], v[58:59]
	s_waitcnt_depctr 0xfff
	v_fma_f64 v[78:79], -v[58:59], v[76:77], 1.0
	v_fma_f64 v[76:77], v[76:77], v[78:79], v[76:77]
	s_delay_alu instid0(VALU_DEP_1) | instskip(NEXT) | instid1(VALU_DEP_1)
	v_fma_f64 v[78:79], -v[58:59], v[76:77], 1.0
	v_fma_f64 v[76:77], v[76:77], v[78:79], v[76:77]
	v_div_scale_f64 v[78:79], vcc_lo, 1.0, v[56:57], 1.0
	s_delay_alu instid0(VALU_DEP_1) | instskip(NEXT) | instid1(VALU_DEP_1)
	v_mul_f64 v[80:81], v[78:79], v[76:77]
	v_fma_f64 v[58:59], -v[58:59], v[80:81], v[78:79]
	s_delay_alu instid0(VALU_DEP_1) | instskip(NEXT) | instid1(VALU_DEP_1)
	v_div_fmas_f64 v[58:59], v[58:59], v[76:77], v[80:81]
	v_div_fixup_f64 v[58:59], v[58:59], v[56:57], 1.0
	s_delay_alu instid0(VALU_DEP_1)
	v_mul_f64 v[56:57], v[74:75], v[58:59]
	v_xor_b32_e32 v59, 0x80000000, v59
.LBB26_28:
	s_and_not1_saveexec_b32 s2, s2
	s_cbranch_execz .LBB26_30
; %bb.29:
	s_delay_alu instid0(VALU_DEP_1) | instskip(SKIP_1) | instid1(VALU_DEP_2)
	v_div_scale_f64 v[74:75], null, v[56:57], v[56:57], v[58:59]
	v_div_scale_f64 v[80:81], vcc_lo, v[58:59], v[56:57], v[58:59]
	v_rcp_f64_e32 v[76:77], v[74:75]
	s_waitcnt_depctr 0xfff
	v_fma_f64 v[78:79], -v[74:75], v[76:77], 1.0
	s_delay_alu instid0(VALU_DEP_1) | instskip(NEXT) | instid1(VALU_DEP_1)
	v_fma_f64 v[76:77], v[76:77], v[78:79], v[76:77]
	v_fma_f64 v[78:79], -v[74:75], v[76:77], 1.0
	s_delay_alu instid0(VALU_DEP_1) | instskip(NEXT) | instid1(VALU_DEP_1)
	v_fma_f64 v[76:77], v[76:77], v[78:79], v[76:77]
	v_mul_f64 v[78:79], v[80:81], v[76:77]
	s_delay_alu instid0(VALU_DEP_1) | instskip(NEXT) | instid1(VALU_DEP_1)
	v_fma_f64 v[74:75], -v[74:75], v[78:79], v[80:81]
	v_div_fmas_f64 v[74:75], v[74:75], v[76:77], v[78:79]
	s_delay_alu instid0(VALU_DEP_1) | instskip(NEXT) | instid1(VALU_DEP_1)
	v_div_fixup_f64 v[74:75], v[74:75], v[56:57], v[58:59]
	v_fma_f64 v[56:57], v[58:59], v[74:75], v[56:57]
	s_delay_alu instid0(VALU_DEP_1) | instskip(NEXT) | instid1(VALU_DEP_1)
	v_div_scale_f64 v[58:59], null, v[56:57], v[56:57], 1.0
	v_rcp_f64_e32 v[76:77], v[58:59]
	s_waitcnt_depctr 0xfff
	v_fma_f64 v[78:79], -v[58:59], v[76:77], 1.0
	s_delay_alu instid0(VALU_DEP_1) | instskip(NEXT) | instid1(VALU_DEP_1)
	v_fma_f64 v[76:77], v[76:77], v[78:79], v[76:77]
	v_fma_f64 v[78:79], -v[58:59], v[76:77], 1.0
	s_delay_alu instid0(VALU_DEP_1) | instskip(SKIP_1) | instid1(VALU_DEP_1)
	v_fma_f64 v[76:77], v[76:77], v[78:79], v[76:77]
	v_div_scale_f64 v[78:79], vcc_lo, 1.0, v[56:57], 1.0
	v_mul_f64 v[80:81], v[78:79], v[76:77]
	s_delay_alu instid0(VALU_DEP_1) | instskip(NEXT) | instid1(VALU_DEP_1)
	v_fma_f64 v[58:59], -v[58:59], v[80:81], v[78:79]
	v_div_fmas_f64 v[58:59], v[58:59], v[76:77], v[80:81]
	s_delay_alu instid0(VALU_DEP_1) | instskip(NEXT) | instid1(VALU_DEP_1)
	v_div_fixup_f64 v[56:57], v[58:59], v[56:57], 1.0
	v_mul_f64 v[58:59], v[74:75], -v[56:57]
.LBB26_30:
	s_or_b32 exec_lo, exec_lo, s2
	v_mov_b32_e32 v70, v73
.LBB26_31:
	s_or_b32 exec_lo, exec_lo, s3
	s_delay_alu instid0(SALU_CYCLE_1)
	s_mov_b32 s2, exec_lo
	v_cmpx_ne_u32_e64 v72, v64
	s_xor_b32 s2, exec_lo, s2
	s_cbranch_execz .LBB26_37
; %bb.32:
	s_mov_b32 s3, exec_lo
	v_cmpx_eq_u32_e32 1, v72
	s_cbranch_execz .LBB26_36
; %bb.33:
	v_cmp_ne_u32_e32 vcc_lo, 1, v64
	s_xor_b32 s6, s4, -1
	s_delay_alu instid0(SALU_CYCLE_1) | instskip(NEXT) | instid1(SALU_CYCLE_1)
	s_and_b32 s7, s6, vcc_lo
	s_and_saveexec_b32 s6, s7
	s_cbranch_execz .LBB26_35
; %bb.34:
	v_ashrrev_i32_e32 v65, 31, v64
	s_delay_alu instid0(VALU_DEP_1) | instskip(NEXT) | instid1(VALU_DEP_1)
	v_lshlrev_b64 v[72:73], 2, v[64:65]
	v_add_co_u32 v72, vcc_lo, v62, v72
	s_delay_alu instid0(VALU_DEP_2)
	v_add_co_ci_u32_e32 v73, vcc_lo, v63, v73, vcc_lo
	s_clause 0x1
	flat_load_b32 v65, v[72:73]
	flat_load_b32 v69, v[62:63] offset:4
	s_waitcnt vmcnt(1) lgkmcnt(1)
	flat_store_b32 v[62:63], v65 offset:4
	s_waitcnt vmcnt(0) lgkmcnt(1)
	flat_store_b32 v[72:73], v69
.LBB26_35:
	s_or_b32 exec_lo, exec_lo, s6
	v_mov_b32_e32 v72, v64
	v_mov_b32_e32 v69, v64
.LBB26_36:
	s_or_b32 exec_lo, exec_lo, s3
.LBB26_37:
	s_and_not1_saveexec_b32 s2, s2
	s_cbranch_execz .LBB26_39
; %bb.38:
	v_mov_b32_e32 v72, 1
	ds_store_2addr_b64 v66, v[44:45], v[46:47] offset0:4 offset1:5
	ds_store_2addr_b64 v66, v[40:41], v[42:43] offset0:6 offset1:7
	;; [unrolled: 1-line block ×12, first 2 shown]
.LBB26_39:
	s_or_b32 exec_lo, exec_lo, s2
	s_delay_alu instid0(SALU_CYCLE_1)
	s_mov_b32 s2, exec_lo
	s_waitcnt lgkmcnt(0)
	s_waitcnt_vscnt null, 0x0
	s_barrier
	buffer_gl0_inv
	v_cmpx_lt_i32_e32 1, v72
	s_cbranch_execz .LBB26_41
; %bb.40:
	v_mul_f64 v[64:65], v[56:57], v[50:51]
	v_mul_f64 v[50:51], v[58:59], v[50:51]
	ds_load_2addr_b64 v[73:76], v66 offset0:4 offset1:5
	ds_load_2addr_b64 v[77:80], v66 offset0:6 offset1:7
	ds_load_2addr_b64 v[81:84], v66 offset0:8 offset1:9
	ds_load_2addr_b64 v[85:88], v66 offset0:10 offset1:11
	ds_load_2addr_b64 v[89:92], v66 offset0:12 offset1:13
	ds_load_2addr_b64 v[93:96], v66 offset0:14 offset1:15
	ds_load_2addr_b64 v[97:100], v66 offset0:16 offset1:17
	ds_load_2addr_b64 v[101:104], v66 offset0:18 offset1:19
	ds_load_2addr_b64 v[105:108], v66 offset0:20 offset1:21
	ds_load_2addr_b64 v[109:112], v66 offset0:22 offset1:23
	ds_load_2addr_b64 v[113:116], v66 offset0:24 offset1:25
	ds_load_2addr_b64 v[117:120], v66 offset0:26 offset1:27
	v_fma_f64 v[58:59], v[58:59], v[48:49], v[64:65]
	v_fma_f64 v[48:49], v[56:57], v[48:49], -v[50:51]
	s_waitcnt lgkmcnt(11)
	s_delay_alu instid0(VALU_DEP_2)
	v_mul_f64 v[50:51], v[75:76], v[58:59]
	v_mul_f64 v[56:57], v[73:74], v[58:59]
	s_waitcnt lgkmcnt(10)
	v_mul_f64 v[64:65], v[79:80], v[58:59]
	v_mul_f64 v[121:122], v[77:78], v[58:59]
	s_waitcnt lgkmcnt(9)
	;; [unrolled: 3-line block ×11, first 2 shown]
	v_mul_f64 v[159:160], v[119:120], v[58:59]
	v_mul_f64 v[161:162], v[117:118], v[58:59]
	v_fma_f64 v[50:51], v[73:74], v[48:49], -v[50:51]
	v_fma_f64 v[56:57], v[75:76], v[48:49], v[56:57]
	v_fma_f64 v[64:65], v[77:78], v[48:49], -v[64:65]
	v_fma_f64 v[73:74], v[79:80], v[48:49], v[121:122]
	;; [unrolled: 2-line block ×12, first 2 shown]
	v_add_f64 v[44:45], v[44:45], -v[50:51]
	v_add_f64 v[46:47], v[46:47], -v[56:57]
	;; [unrolled: 1-line block ×24, first 2 shown]
	v_dual_mov_b32 v50, v58 :: v_dual_mov_b32 v51, v59
.LBB26_41:
	s_or_b32 exec_lo, exec_lo, s2
	v_lshl_add_u32 v56, v72, 4, v66
	s_barrier
	buffer_gl0_inv
	v_mov_b32_e32 v64, 2
	ds_store_2addr_b64 v56, v[44:45], v[46:47] offset1:1
	s_waitcnt lgkmcnt(0)
	s_barrier
	buffer_gl0_inv
	ds_load_2addr_b64 v[56:59], v66 offset0:4 offset1:5
	s_cmp_lt_i32 s5, 4
	s_cbranch_scc1 .LBB26_44
; %bb.42:
	v_add3_u32 v65, v71, 0, 48
	v_mov_b32_e32 v64, 2
	s_mov_b32 s6, 3
	s_set_inst_prefetch_distance 0x1
	.p2align	6
.LBB26_43:                              ; =>This Inner Loop Header: Depth=1
	ds_load_2addr_b64 v[73:76], v65 offset1:1
	s_waitcnt lgkmcnt(1)
	v_cmp_gt_f64_e32 vcc_lo, 0, v[56:57]
	v_xor_b32_e32 v77, 0x80000000, v57
	v_cmp_gt_f64_e64 s2, 0, v[58:59]
	v_xor_b32_e32 v79, 0x80000000, v59
	v_add_nc_u32_e32 v65, 16, v65
	s_waitcnt lgkmcnt(0)
	v_cmp_gt_f64_e64 s3, 0, v[73:74]
	v_mov_b32_e32 v81, v73
	v_dual_mov_b32 v83, v75 :: v_dual_cndmask_b32 v78, v57, v77
	v_xor_b32_e32 v77, 0x80000000, v74
	v_cndmask_b32_e64 v80, v59, v79, s2
	v_xor_b32_e32 v79, 0x80000000, v76
	s_delay_alu instid0(VALU_DEP_3) | instskip(SKIP_2) | instid1(VALU_DEP_2)
	v_cndmask_b32_e64 v82, v74, v77, s3
	v_cmp_gt_f64_e64 s3, 0, v[75:76]
	v_cndmask_b32_e32 v77, v56, v56, vcc_lo
	v_cndmask_b32_e64 v84, v76, v79, s3
	v_cndmask_b32_e64 v79, v58, v58, s2
	s_delay_alu instid0(VALU_DEP_2) | instskip(NEXT) | instid1(VALU_DEP_2)
	v_add_f64 v[81:82], v[81:82], v[83:84]
	v_add_f64 v[77:78], v[77:78], v[79:80]
	s_delay_alu instid0(VALU_DEP_1) | instskip(SKIP_4) | instid1(SALU_CYCLE_1)
	v_cmp_lt_f64_e32 vcc_lo, v[77:78], v[81:82]
	v_dual_cndmask_b32 v58, v58, v75 :: v_dual_cndmask_b32 v57, v57, v74
	v_dual_cndmask_b32 v56, v56, v73 :: v_dual_cndmask_b32 v59, v59, v76
	v_cndmask_b32_e64 v64, v64, s6, vcc_lo
	s_add_i32 s6, s6, 1
	s_cmp_lg_u32 s5, s6
	s_cbranch_scc1 .LBB26_43
.LBB26_44:
	s_set_inst_prefetch_distance 0x2
	s_waitcnt lgkmcnt(0)
	v_cmp_eq_f64_e32 vcc_lo, 0, v[56:57]
	v_cmp_eq_f64_e64 s2, 0, v[58:59]
	s_delay_alu instid0(VALU_DEP_1) | instskip(NEXT) | instid1(SALU_CYCLE_1)
	s_and_b32 s2, vcc_lo, s2
	s_and_saveexec_b32 s3, s2
	s_delay_alu instid0(SALU_CYCLE_1)
	s_xor_b32 s2, exec_lo, s3
; %bb.45:
	v_cmp_ne_u32_e32 vcc_lo, 0, v70
	v_cndmask_b32_e32 v70, 3, v70, vcc_lo
; %bb.46:
	s_and_not1_saveexec_b32 s3, s2
	s_cbranch_execz .LBB26_52
; %bb.47:
	v_cmp_gt_f64_e32 vcc_lo, 0, v[56:57]
	v_cmp_gt_f64_e64 s2, 0, v[58:59]
	v_xor_b32_e32 v65, 0x80000000, v57
	v_xor_b32_e32 v73, 0x80000000, v59
	s_delay_alu instid0(VALU_DEP_2) | instskip(NEXT) | instid1(VALU_DEP_2)
	v_cndmask_b32_e32 v74, v57, v65, vcc_lo
	v_cndmask_b32_e64 v76, v59, v73, s2
	v_cndmask_b32_e32 v73, v56, v56, vcc_lo
	v_cndmask_b32_e64 v75, v58, v58, s2
	s_mov_b32 s2, exec_lo
	s_delay_alu instid0(VALU_DEP_1)
	v_cmpx_ngt_f64_e32 v[73:74], v[75:76]
	s_xor_b32 s2, exec_lo, s2
	s_cbranch_execz .LBB26_49
; %bb.48:
	v_div_scale_f64 v[73:74], null, v[58:59], v[58:59], v[56:57]
	v_div_scale_f64 v[79:80], vcc_lo, v[56:57], v[58:59], v[56:57]
	s_delay_alu instid0(VALU_DEP_2) | instskip(SKIP_2) | instid1(VALU_DEP_1)
	v_rcp_f64_e32 v[75:76], v[73:74]
	s_waitcnt_depctr 0xfff
	v_fma_f64 v[77:78], -v[73:74], v[75:76], 1.0
	v_fma_f64 v[75:76], v[75:76], v[77:78], v[75:76]
	s_delay_alu instid0(VALU_DEP_1) | instskip(NEXT) | instid1(VALU_DEP_1)
	v_fma_f64 v[77:78], -v[73:74], v[75:76], 1.0
	v_fma_f64 v[75:76], v[75:76], v[77:78], v[75:76]
	s_delay_alu instid0(VALU_DEP_1) | instskip(NEXT) | instid1(VALU_DEP_1)
	v_mul_f64 v[77:78], v[79:80], v[75:76]
	v_fma_f64 v[73:74], -v[73:74], v[77:78], v[79:80]
	s_delay_alu instid0(VALU_DEP_1) | instskip(NEXT) | instid1(VALU_DEP_1)
	v_div_fmas_f64 v[73:74], v[73:74], v[75:76], v[77:78]
	v_div_fixup_f64 v[73:74], v[73:74], v[58:59], v[56:57]
	s_delay_alu instid0(VALU_DEP_1) | instskip(NEXT) | instid1(VALU_DEP_1)
	v_fma_f64 v[56:57], v[56:57], v[73:74], v[58:59]
	v_div_scale_f64 v[58:59], null, v[56:57], v[56:57], 1.0
	s_delay_alu instid0(VALU_DEP_1) | instskip(SKIP_2) | instid1(VALU_DEP_1)
	v_rcp_f64_e32 v[75:76], v[58:59]
	s_waitcnt_depctr 0xfff
	v_fma_f64 v[77:78], -v[58:59], v[75:76], 1.0
	v_fma_f64 v[75:76], v[75:76], v[77:78], v[75:76]
	s_delay_alu instid0(VALU_DEP_1) | instskip(NEXT) | instid1(VALU_DEP_1)
	v_fma_f64 v[77:78], -v[58:59], v[75:76], 1.0
	v_fma_f64 v[75:76], v[75:76], v[77:78], v[75:76]
	v_div_scale_f64 v[77:78], vcc_lo, 1.0, v[56:57], 1.0
	s_delay_alu instid0(VALU_DEP_1) | instskip(NEXT) | instid1(VALU_DEP_1)
	v_mul_f64 v[79:80], v[77:78], v[75:76]
	v_fma_f64 v[58:59], -v[58:59], v[79:80], v[77:78]
	s_delay_alu instid0(VALU_DEP_1) | instskip(NEXT) | instid1(VALU_DEP_1)
	v_div_fmas_f64 v[58:59], v[58:59], v[75:76], v[79:80]
	v_div_fixup_f64 v[58:59], v[58:59], v[56:57], 1.0
	s_delay_alu instid0(VALU_DEP_1)
	v_mul_f64 v[56:57], v[73:74], v[58:59]
	v_xor_b32_e32 v59, 0x80000000, v59
.LBB26_49:
	s_and_not1_saveexec_b32 s2, s2
	s_cbranch_execz .LBB26_51
; %bb.50:
	s_delay_alu instid0(VALU_DEP_1) | instskip(SKIP_1) | instid1(VALU_DEP_2)
	v_div_scale_f64 v[73:74], null, v[56:57], v[56:57], v[58:59]
	v_div_scale_f64 v[79:80], vcc_lo, v[58:59], v[56:57], v[58:59]
	v_rcp_f64_e32 v[75:76], v[73:74]
	s_waitcnt_depctr 0xfff
	v_fma_f64 v[77:78], -v[73:74], v[75:76], 1.0
	s_delay_alu instid0(VALU_DEP_1) | instskip(NEXT) | instid1(VALU_DEP_1)
	v_fma_f64 v[75:76], v[75:76], v[77:78], v[75:76]
	v_fma_f64 v[77:78], -v[73:74], v[75:76], 1.0
	s_delay_alu instid0(VALU_DEP_1) | instskip(NEXT) | instid1(VALU_DEP_1)
	v_fma_f64 v[75:76], v[75:76], v[77:78], v[75:76]
	v_mul_f64 v[77:78], v[79:80], v[75:76]
	s_delay_alu instid0(VALU_DEP_1) | instskip(NEXT) | instid1(VALU_DEP_1)
	v_fma_f64 v[73:74], -v[73:74], v[77:78], v[79:80]
	v_div_fmas_f64 v[73:74], v[73:74], v[75:76], v[77:78]
	s_delay_alu instid0(VALU_DEP_1) | instskip(NEXT) | instid1(VALU_DEP_1)
	v_div_fixup_f64 v[73:74], v[73:74], v[56:57], v[58:59]
	v_fma_f64 v[56:57], v[58:59], v[73:74], v[56:57]
	s_delay_alu instid0(VALU_DEP_1) | instskip(NEXT) | instid1(VALU_DEP_1)
	v_div_scale_f64 v[58:59], null, v[56:57], v[56:57], 1.0
	v_rcp_f64_e32 v[75:76], v[58:59]
	s_waitcnt_depctr 0xfff
	v_fma_f64 v[77:78], -v[58:59], v[75:76], 1.0
	s_delay_alu instid0(VALU_DEP_1) | instskip(NEXT) | instid1(VALU_DEP_1)
	v_fma_f64 v[75:76], v[75:76], v[77:78], v[75:76]
	v_fma_f64 v[77:78], -v[58:59], v[75:76], 1.0
	s_delay_alu instid0(VALU_DEP_1) | instskip(SKIP_1) | instid1(VALU_DEP_1)
	v_fma_f64 v[75:76], v[75:76], v[77:78], v[75:76]
	v_div_scale_f64 v[77:78], vcc_lo, 1.0, v[56:57], 1.0
	v_mul_f64 v[79:80], v[77:78], v[75:76]
	s_delay_alu instid0(VALU_DEP_1) | instskip(NEXT) | instid1(VALU_DEP_1)
	v_fma_f64 v[58:59], -v[58:59], v[79:80], v[77:78]
	v_div_fmas_f64 v[58:59], v[58:59], v[75:76], v[79:80]
	s_delay_alu instid0(VALU_DEP_1) | instskip(NEXT) | instid1(VALU_DEP_1)
	v_div_fixup_f64 v[56:57], v[58:59], v[56:57], 1.0
	v_mul_f64 v[58:59], v[73:74], -v[56:57]
.LBB26_51:
	s_or_b32 exec_lo, exec_lo, s2
.LBB26_52:
	s_delay_alu instid0(SALU_CYCLE_1) | instskip(NEXT) | instid1(SALU_CYCLE_1)
	s_or_b32 exec_lo, exec_lo, s3
	s_mov_b32 s2, exec_lo
	v_cmpx_ne_u32_e64 v72, v64
	s_xor_b32 s2, exec_lo, s2
	s_cbranch_execz .LBB26_58
; %bb.53:
	s_mov_b32 s3, exec_lo
	v_cmpx_eq_u32_e32 2, v72
	s_cbranch_execz .LBB26_57
; %bb.54:
	v_cmp_ne_u32_e32 vcc_lo, 2, v64
	s_xor_b32 s6, s4, -1
	s_delay_alu instid0(SALU_CYCLE_1) | instskip(NEXT) | instid1(SALU_CYCLE_1)
	s_and_b32 s7, s6, vcc_lo
	s_and_saveexec_b32 s6, s7
	s_cbranch_execz .LBB26_56
; %bb.55:
	v_ashrrev_i32_e32 v65, 31, v64
	s_delay_alu instid0(VALU_DEP_1) | instskip(NEXT) | instid1(VALU_DEP_1)
	v_lshlrev_b64 v[72:73], 2, v[64:65]
	v_add_co_u32 v72, vcc_lo, v62, v72
	s_delay_alu instid0(VALU_DEP_2)
	v_add_co_ci_u32_e32 v73, vcc_lo, v63, v73, vcc_lo
	s_clause 0x1
	flat_load_b32 v65, v[72:73]
	flat_load_b32 v69, v[62:63] offset:8
	s_waitcnt vmcnt(1) lgkmcnt(1)
	flat_store_b32 v[62:63], v65 offset:8
	s_waitcnt vmcnt(0) lgkmcnt(1)
	flat_store_b32 v[72:73], v69
.LBB26_56:
	s_or_b32 exec_lo, exec_lo, s6
	v_mov_b32_e32 v72, v64
	v_mov_b32_e32 v69, v64
.LBB26_57:
	s_or_b32 exec_lo, exec_lo, s3
.LBB26_58:
	s_and_not1_saveexec_b32 s2, s2
	s_cbranch_execz .LBB26_60
; %bb.59:
	v_mov_b32_e32 v72, 2
	ds_store_2addr_b64 v66, v[40:41], v[42:43] offset0:6 offset1:7
	ds_store_2addr_b64 v66, v[28:29], v[30:31] offset0:8 offset1:9
	;; [unrolled: 1-line block ×11, first 2 shown]
.LBB26_60:
	s_or_b32 exec_lo, exec_lo, s2
	s_delay_alu instid0(SALU_CYCLE_1)
	s_mov_b32 s2, exec_lo
	s_waitcnt lgkmcnt(0)
	s_waitcnt_vscnt null, 0x0
	s_barrier
	buffer_gl0_inv
	v_cmpx_lt_i32_e32 2, v72
	s_cbranch_execz .LBB26_62
; %bb.61:
	v_mul_f64 v[64:65], v[56:57], v[46:47]
	v_mul_f64 v[46:47], v[58:59], v[46:47]
	ds_load_2addr_b64 v[73:76], v66 offset0:6 offset1:7
	ds_load_2addr_b64 v[77:80], v66 offset0:8 offset1:9
	;; [unrolled: 1-line block ×11, first 2 shown]
	v_fma_f64 v[58:59], v[58:59], v[44:45], v[64:65]
	v_fma_f64 v[44:45], v[56:57], v[44:45], -v[46:47]
	s_waitcnt lgkmcnt(10)
	s_delay_alu instid0(VALU_DEP_2)
	v_mul_f64 v[46:47], v[75:76], v[58:59]
	v_mul_f64 v[56:57], v[73:74], v[58:59]
	s_waitcnt lgkmcnt(9)
	v_mul_f64 v[64:65], v[79:80], v[58:59]
	v_mul_f64 v[117:118], v[77:78], v[58:59]
	s_waitcnt lgkmcnt(8)
	;; [unrolled: 3-line block ×10, first 2 shown]
	v_mul_f64 v[151:152], v[115:116], v[58:59]
	v_mul_f64 v[153:154], v[113:114], v[58:59]
	v_fma_f64 v[46:47], v[73:74], v[44:45], -v[46:47]
	v_fma_f64 v[56:57], v[75:76], v[44:45], v[56:57]
	v_fma_f64 v[64:65], v[77:78], v[44:45], -v[64:65]
	v_fma_f64 v[73:74], v[79:80], v[44:45], v[117:118]
	v_fma_f64 v[75:76], v[81:82], v[44:45], -v[119:120]
	v_fma_f64 v[77:78], v[83:84], v[44:45], v[121:122]
	v_fma_f64 v[79:80], v[85:86], v[44:45], -v[123:124]
	v_fma_f64 v[81:82], v[87:88], v[44:45], v[125:126]
	v_fma_f64 v[83:84], v[89:90], v[44:45], -v[127:128]
	v_fma_f64 v[85:86], v[91:92], v[44:45], v[129:130]
	v_fma_f64 v[87:88], v[93:94], v[44:45], -v[131:132]
	v_fma_f64 v[89:90], v[95:96], v[44:45], v[133:134]
	v_fma_f64 v[91:92], v[97:98], v[44:45], -v[135:136]
	v_fma_f64 v[93:94], v[99:100], v[44:45], v[137:138]
	v_fma_f64 v[95:96], v[101:102], v[44:45], -v[139:140]
	v_fma_f64 v[97:98], v[103:104], v[44:45], v[141:142]
	v_fma_f64 v[99:100], v[105:106], v[44:45], -v[143:144]
	v_fma_f64 v[101:102], v[107:108], v[44:45], v[145:146]
	v_fma_f64 v[103:104], v[109:110], v[44:45], -v[147:148]
	v_fma_f64 v[105:106], v[111:112], v[44:45], v[149:150]
	v_fma_f64 v[107:108], v[113:114], v[44:45], -v[151:152]
	v_fma_f64 v[109:110], v[115:116], v[44:45], v[153:154]
	v_add_f64 v[40:41], v[40:41], -v[46:47]
	v_add_f64 v[42:43], v[42:43], -v[56:57]
	;; [unrolled: 1-line block ×22, first 2 shown]
	v_dual_mov_b32 v46, v58 :: v_dual_mov_b32 v47, v59
.LBB26_62:
	s_or_b32 exec_lo, exec_lo, s2
	v_lshl_add_u32 v56, v72, 4, v66
	s_barrier
	buffer_gl0_inv
	v_mov_b32_e32 v64, 3
	ds_store_2addr_b64 v56, v[40:41], v[42:43] offset1:1
	s_waitcnt lgkmcnt(0)
	s_barrier
	buffer_gl0_inv
	ds_load_2addr_b64 v[56:59], v66 offset0:6 offset1:7
	s_cmp_lt_i32 s5, 5
	s_mov_b32 s6, 4
	s_cbranch_scc1 .LBB26_65
; %bb.63:
	v_add3_u32 v65, v71, 0, 64
	v_mov_b32_e32 v64, 3
	s_set_inst_prefetch_distance 0x1
	.p2align	6
.LBB26_64:                              ; =>This Inner Loop Header: Depth=1
	ds_load_2addr_b64 v[73:76], v65 offset1:1
	s_waitcnt lgkmcnt(1)
	v_cmp_gt_f64_e32 vcc_lo, 0, v[56:57]
	v_xor_b32_e32 v77, 0x80000000, v57
	v_cmp_gt_f64_e64 s2, 0, v[58:59]
	v_xor_b32_e32 v79, 0x80000000, v59
	v_add_nc_u32_e32 v65, 16, v65
	s_waitcnt lgkmcnt(0)
	v_cmp_gt_f64_e64 s3, 0, v[73:74]
	v_mov_b32_e32 v81, v73
	v_dual_mov_b32 v83, v75 :: v_dual_cndmask_b32 v78, v57, v77
	v_xor_b32_e32 v77, 0x80000000, v74
	v_cndmask_b32_e64 v80, v59, v79, s2
	v_xor_b32_e32 v79, 0x80000000, v76
	s_delay_alu instid0(VALU_DEP_3) | instskip(SKIP_2) | instid1(VALU_DEP_2)
	v_cndmask_b32_e64 v82, v74, v77, s3
	v_cmp_gt_f64_e64 s3, 0, v[75:76]
	v_cndmask_b32_e32 v77, v56, v56, vcc_lo
	v_cndmask_b32_e64 v84, v76, v79, s3
	v_cndmask_b32_e64 v79, v58, v58, s2
	s_delay_alu instid0(VALU_DEP_2) | instskip(NEXT) | instid1(VALU_DEP_2)
	v_add_f64 v[81:82], v[81:82], v[83:84]
	v_add_f64 v[77:78], v[77:78], v[79:80]
	s_delay_alu instid0(VALU_DEP_1) | instskip(SKIP_4) | instid1(SALU_CYCLE_1)
	v_cmp_lt_f64_e32 vcc_lo, v[77:78], v[81:82]
	v_dual_cndmask_b32 v58, v58, v75 :: v_dual_cndmask_b32 v57, v57, v74
	v_dual_cndmask_b32 v56, v56, v73 :: v_dual_cndmask_b32 v59, v59, v76
	v_cndmask_b32_e64 v64, v64, s6, vcc_lo
	s_add_i32 s6, s6, 1
	s_cmp_lg_u32 s5, s6
	s_cbranch_scc1 .LBB26_64
.LBB26_65:
	s_set_inst_prefetch_distance 0x2
	s_waitcnt lgkmcnt(0)
	v_cmp_eq_f64_e32 vcc_lo, 0, v[56:57]
	v_cmp_eq_f64_e64 s2, 0, v[58:59]
	s_delay_alu instid0(VALU_DEP_1) | instskip(NEXT) | instid1(SALU_CYCLE_1)
	s_and_b32 s2, vcc_lo, s2
	s_and_saveexec_b32 s3, s2
	s_delay_alu instid0(SALU_CYCLE_1)
	s_xor_b32 s2, exec_lo, s3
; %bb.66:
	v_cmp_ne_u32_e32 vcc_lo, 0, v70
	v_cndmask_b32_e32 v70, 4, v70, vcc_lo
; %bb.67:
	s_and_not1_saveexec_b32 s3, s2
	s_cbranch_execz .LBB26_73
; %bb.68:
	v_cmp_gt_f64_e32 vcc_lo, 0, v[56:57]
	v_cmp_gt_f64_e64 s2, 0, v[58:59]
	v_xor_b32_e32 v65, 0x80000000, v57
	v_xor_b32_e32 v73, 0x80000000, v59
	s_delay_alu instid0(VALU_DEP_2) | instskip(NEXT) | instid1(VALU_DEP_2)
	v_cndmask_b32_e32 v74, v57, v65, vcc_lo
	v_cndmask_b32_e64 v76, v59, v73, s2
	v_cndmask_b32_e32 v73, v56, v56, vcc_lo
	v_cndmask_b32_e64 v75, v58, v58, s2
	s_mov_b32 s2, exec_lo
	s_delay_alu instid0(VALU_DEP_1)
	v_cmpx_ngt_f64_e32 v[73:74], v[75:76]
	s_xor_b32 s2, exec_lo, s2
	s_cbranch_execz .LBB26_70
; %bb.69:
	v_div_scale_f64 v[73:74], null, v[58:59], v[58:59], v[56:57]
	v_div_scale_f64 v[79:80], vcc_lo, v[56:57], v[58:59], v[56:57]
	s_delay_alu instid0(VALU_DEP_2) | instskip(SKIP_2) | instid1(VALU_DEP_1)
	v_rcp_f64_e32 v[75:76], v[73:74]
	s_waitcnt_depctr 0xfff
	v_fma_f64 v[77:78], -v[73:74], v[75:76], 1.0
	v_fma_f64 v[75:76], v[75:76], v[77:78], v[75:76]
	s_delay_alu instid0(VALU_DEP_1) | instskip(NEXT) | instid1(VALU_DEP_1)
	v_fma_f64 v[77:78], -v[73:74], v[75:76], 1.0
	v_fma_f64 v[75:76], v[75:76], v[77:78], v[75:76]
	s_delay_alu instid0(VALU_DEP_1) | instskip(NEXT) | instid1(VALU_DEP_1)
	v_mul_f64 v[77:78], v[79:80], v[75:76]
	v_fma_f64 v[73:74], -v[73:74], v[77:78], v[79:80]
	s_delay_alu instid0(VALU_DEP_1) | instskip(NEXT) | instid1(VALU_DEP_1)
	v_div_fmas_f64 v[73:74], v[73:74], v[75:76], v[77:78]
	v_div_fixup_f64 v[73:74], v[73:74], v[58:59], v[56:57]
	s_delay_alu instid0(VALU_DEP_1) | instskip(NEXT) | instid1(VALU_DEP_1)
	v_fma_f64 v[56:57], v[56:57], v[73:74], v[58:59]
	v_div_scale_f64 v[58:59], null, v[56:57], v[56:57], 1.0
	s_delay_alu instid0(VALU_DEP_1) | instskip(SKIP_2) | instid1(VALU_DEP_1)
	v_rcp_f64_e32 v[75:76], v[58:59]
	s_waitcnt_depctr 0xfff
	v_fma_f64 v[77:78], -v[58:59], v[75:76], 1.0
	v_fma_f64 v[75:76], v[75:76], v[77:78], v[75:76]
	s_delay_alu instid0(VALU_DEP_1) | instskip(NEXT) | instid1(VALU_DEP_1)
	v_fma_f64 v[77:78], -v[58:59], v[75:76], 1.0
	v_fma_f64 v[75:76], v[75:76], v[77:78], v[75:76]
	v_div_scale_f64 v[77:78], vcc_lo, 1.0, v[56:57], 1.0
	s_delay_alu instid0(VALU_DEP_1) | instskip(NEXT) | instid1(VALU_DEP_1)
	v_mul_f64 v[79:80], v[77:78], v[75:76]
	v_fma_f64 v[58:59], -v[58:59], v[79:80], v[77:78]
	s_delay_alu instid0(VALU_DEP_1) | instskip(NEXT) | instid1(VALU_DEP_1)
	v_div_fmas_f64 v[58:59], v[58:59], v[75:76], v[79:80]
	v_div_fixup_f64 v[58:59], v[58:59], v[56:57], 1.0
	s_delay_alu instid0(VALU_DEP_1)
	v_mul_f64 v[56:57], v[73:74], v[58:59]
	v_xor_b32_e32 v59, 0x80000000, v59
.LBB26_70:
	s_and_not1_saveexec_b32 s2, s2
	s_cbranch_execz .LBB26_72
; %bb.71:
	s_delay_alu instid0(VALU_DEP_1) | instskip(SKIP_1) | instid1(VALU_DEP_2)
	v_div_scale_f64 v[73:74], null, v[56:57], v[56:57], v[58:59]
	v_div_scale_f64 v[79:80], vcc_lo, v[58:59], v[56:57], v[58:59]
	v_rcp_f64_e32 v[75:76], v[73:74]
	s_waitcnt_depctr 0xfff
	v_fma_f64 v[77:78], -v[73:74], v[75:76], 1.0
	s_delay_alu instid0(VALU_DEP_1) | instskip(NEXT) | instid1(VALU_DEP_1)
	v_fma_f64 v[75:76], v[75:76], v[77:78], v[75:76]
	v_fma_f64 v[77:78], -v[73:74], v[75:76], 1.0
	s_delay_alu instid0(VALU_DEP_1) | instskip(NEXT) | instid1(VALU_DEP_1)
	v_fma_f64 v[75:76], v[75:76], v[77:78], v[75:76]
	v_mul_f64 v[77:78], v[79:80], v[75:76]
	s_delay_alu instid0(VALU_DEP_1) | instskip(NEXT) | instid1(VALU_DEP_1)
	v_fma_f64 v[73:74], -v[73:74], v[77:78], v[79:80]
	v_div_fmas_f64 v[73:74], v[73:74], v[75:76], v[77:78]
	s_delay_alu instid0(VALU_DEP_1) | instskip(NEXT) | instid1(VALU_DEP_1)
	v_div_fixup_f64 v[73:74], v[73:74], v[56:57], v[58:59]
	v_fma_f64 v[56:57], v[58:59], v[73:74], v[56:57]
	s_delay_alu instid0(VALU_DEP_1) | instskip(NEXT) | instid1(VALU_DEP_1)
	v_div_scale_f64 v[58:59], null, v[56:57], v[56:57], 1.0
	v_rcp_f64_e32 v[75:76], v[58:59]
	s_waitcnt_depctr 0xfff
	v_fma_f64 v[77:78], -v[58:59], v[75:76], 1.0
	s_delay_alu instid0(VALU_DEP_1) | instskip(NEXT) | instid1(VALU_DEP_1)
	v_fma_f64 v[75:76], v[75:76], v[77:78], v[75:76]
	v_fma_f64 v[77:78], -v[58:59], v[75:76], 1.0
	s_delay_alu instid0(VALU_DEP_1) | instskip(SKIP_1) | instid1(VALU_DEP_1)
	v_fma_f64 v[75:76], v[75:76], v[77:78], v[75:76]
	v_div_scale_f64 v[77:78], vcc_lo, 1.0, v[56:57], 1.0
	v_mul_f64 v[79:80], v[77:78], v[75:76]
	s_delay_alu instid0(VALU_DEP_1) | instskip(NEXT) | instid1(VALU_DEP_1)
	v_fma_f64 v[58:59], -v[58:59], v[79:80], v[77:78]
	v_div_fmas_f64 v[58:59], v[58:59], v[75:76], v[79:80]
	s_delay_alu instid0(VALU_DEP_1) | instskip(NEXT) | instid1(VALU_DEP_1)
	v_div_fixup_f64 v[56:57], v[58:59], v[56:57], 1.0
	v_mul_f64 v[58:59], v[73:74], -v[56:57]
.LBB26_72:
	s_or_b32 exec_lo, exec_lo, s2
.LBB26_73:
	s_delay_alu instid0(SALU_CYCLE_1) | instskip(NEXT) | instid1(SALU_CYCLE_1)
	s_or_b32 exec_lo, exec_lo, s3
	s_mov_b32 s2, exec_lo
	v_cmpx_ne_u32_e64 v72, v64
	s_xor_b32 s2, exec_lo, s2
	s_cbranch_execz .LBB26_79
; %bb.74:
	s_mov_b32 s3, exec_lo
	v_cmpx_eq_u32_e32 3, v72
	s_cbranch_execz .LBB26_78
; %bb.75:
	v_cmp_ne_u32_e32 vcc_lo, 3, v64
	s_xor_b32 s6, s4, -1
	s_delay_alu instid0(SALU_CYCLE_1) | instskip(NEXT) | instid1(SALU_CYCLE_1)
	s_and_b32 s7, s6, vcc_lo
	s_and_saveexec_b32 s6, s7
	s_cbranch_execz .LBB26_77
; %bb.76:
	v_ashrrev_i32_e32 v65, 31, v64
	s_delay_alu instid0(VALU_DEP_1) | instskip(NEXT) | instid1(VALU_DEP_1)
	v_lshlrev_b64 v[72:73], 2, v[64:65]
	v_add_co_u32 v72, vcc_lo, v62, v72
	s_delay_alu instid0(VALU_DEP_2)
	v_add_co_ci_u32_e32 v73, vcc_lo, v63, v73, vcc_lo
	s_clause 0x1
	flat_load_b32 v65, v[72:73]
	flat_load_b32 v69, v[62:63] offset:12
	s_waitcnt vmcnt(1) lgkmcnt(1)
	flat_store_b32 v[62:63], v65 offset:12
	s_waitcnt vmcnt(0) lgkmcnt(1)
	flat_store_b32 v[72:73], v69
.LBB26_77:
	s_or_b32 exec_lo, exec_lo, s6
	v_mov_b32_e32 v72, v64
	v_mov_b32_e32 v69, v64
.LBB26_78:
	s_or_b32 exec_lo, exec_lo, s3
.LBB26_79:
	s_and_not1_saveexec_b32 s2, s2
	s_cbranch_execz .LBB26_81
; %bb.80:
	v_mov_b32_e32 v72, 3
	ds_store_2addr_b64 v66, v[28:29], v[30:31] offset0:8 offset1:9
	ds_store_2addr_b64 v66, v[24:25], v[26:27] offset0:10 offset1:11
	;; [unrolled: 1-line block ×10, first 2 shown]
.LBB26_81:
	s_or_b32 exec_lo, exec_lo, s2
	s_delay_alu instid0(SALU_CYCLE_1)
	s_mov_b32 s2, exec_lo
	s_waitcnt lgkmcnt(0)
	s_waitcnt_vscnt null, 0x0
	s_barrier
	buffer_gl0_inv
	v_cmpx_lt_i32_e32 3, v72
	s_cbranch_execz .LBB26_83
; %bb.82:
	v_mul_f64 v[64:65], v[56:57], v[42:43]
	v_mul_f64 v[42:43], v[58:59], v[42:43]
	ds_load_2addr_b64 v[73:76], v66 offset0:8 offset1:9
	ds_load_2addr_b64 v[77:80], v66 offset0:10 offset1:11
	;; [unrolled: 1-line block ×10, first 2 shown]
	v_fma_f64 v[58:59], v[58:59], v[40:41], v[64:65]
	v_fma_f64 v[40:41], v[56:57], v[40:41], -v[42:43]
	s_waitcnt lgkmcnt(9)
	s_delay_alu instid0(VALU_DEP_2)
	v_mul_f64 v[42:43], v[75:76], v[58:59]
	v_mul_f64 v[56:57], v[73:74], v[58:59]
	s_waitcnt lgkmcnt(8)
	v_mul_f64 v[64:65], v[79:80], v[58:59]
	v_mul_f64 v[113:114], v[77:78], v[58:59]
	s_waitcnt lgkmcnt(7)
	;; [unrolled: 3-line block ×9, first 2 shown]
	v_mul_f64 v[143:144], v[111:112], v[58:59]
	v_mul_f64 v[145:146], v[109:110], v[58:59]
	v_fma_f64 v[42:43], v[73:74], v[40:41], -v[42:43]
	v_fma_f64 v[56:57], v[75:76], v[40:41], v[56:57]
	v_fma_f64 v[64:65], v[77:78], v[40:41], -v[64:65]
	v_fma_f64 v[73:74], v[79:80], v[40:41], v[113:114]
	;; [unrolled: 2-line block ×10, first 2 shown]
	v_add_f64 v[28:29], v[28:29], -v[42:43]
	v_add_f64 v[30:31], v[30:31], -v[56:57]
	;; [unrolled: 1-line block ×20, first 2 shown]
	v_dual_mov_b32 v42, v58 :: v_dual_mov_b32 v43, v59
.LBB26_83:
	s_or_b32 exec_lo, exec_lo, s2
	v_lshl_add_u32 v56, v72, 4, v66
	s_barrier
	buffer_gl0_inv
	v_mov_b32_e32 v64, 4
	ds_store_2addr_b64 v56, v[28:29], v[30:31] offset1:1
	s_waitcnt lgkmcnt(0)
	s_barrier
	buffer_gl0_inv
	ds_load_2addr_b64 v[56:59], v66 offset0:8 offset1:9
	s_cmp_lt_i32 s5, 6
	s_cbranch_scc1 .LBB26_86
; %bb.84:
	v_add3_u32 v65, v71, 0, 0x50
	v_mov_b32_e32 v64, 4
	s_mov_b32 s6, 5
	s_set_inst_prefetch_distance 0x1
	.p2align	6
.LBB26_85:                              ; =>This Inner Loop Header: Depth=1
	ds_load_2addr_b64 v[73:76], v65 offset1:1
	s_waitcnt lgkmcnt(1)
	v_cmp_gt_f64_e32 vcc_lo, 0, v[56:57]
	v_xor_b32_e32 v77, 0x80000000, v57
	v_cmp_gt_f64_e64 s2, 0, v[58:59]
	v_xor_b32_e32 v79, 0x80000000, v59
	v_add_nc_u32_e32 v65, 16, v65
	s_waitcnt lgkmcnt(0)
	v_cmp_gt_f64_e64 s3, 0, v[73:74]
	v_mov_b32_e32 v81, v73
	v_dual_mov_b32 v83, v75 :: v_dual_cndmask_b32 v78, v57, v77
	v_xor_b32_e32 v77, 0x80000000, v74
	v_cndmask_b32_e64 v80, v59, v79, s2
	v_xor_b32_e32 v79, 0x80000000, v76
	s_delay_alu instid0(VALU_DEP_3) | instskip(SKIP_2) | instid1(VALU_DEP_2)
	v_cndmask_b32_e64 v82, v74, v77, s3
	v_cmp_gt_f64_e64 s3, 0, v[75:76]
	v_cndmask_b32_e32 v77, v56, v56, vcc_lo
	v_cndmask_b32_e64 v84, v76, v79, s3
	v_cndmask_b32_e64 v79, v58, v58, s2
	s_delay_alu instid0(VALU_DEP_2) | instskip(NEXT) | instid1(VALU_DEP_2)
	v_add_f64 v[81:82], v[81:82], v[83:84]
	v_add_f64 v[77:78], v[77:78], v[79:80]
	s_delay_alu instid0(VALU_DEP_1) | instskip(SKIP_4) | instid1(SALU_CYCLE_1)
	v_cmp_lt_f64_e32 vcc_lo, v[77:78], v[81:82]
	v_dual_cndmask_b32 v58, v58, v75 :: v_dual_cndmask_b32 v57, v57, v74
	v_dual_cndmask_b32 v56, v56, v73 :: v_dual_cndmask_b32 v59, v59, v76
	v_cndmask_b32_e64 v64, v64, s6, vcc_lo
	s_add_i32 s6, s6, 1
	s_cmp_lg_u32 s5, s6
	s_cbranch_scc1 .LBB26_85
.LBB26_86:
	s_set_inst_prefetch_distance 0x2
	s_waitcnt lgkmcnt(0)
	v_cmp_eq_f64_e32 vcc_lo, 0, v[56:57]
	v_cmp_eq_f64_e64 s2, 0, v[58:59]
	s_delay_alu instid0(VALU_DEP_1) | instskip(NEXT) | instid1(SALU_CYCLE_1)
	s_and_b32 s2, vcc_lo, s2
	s_and_saveexec_b32 s3, s2
	s_delay_alu instid0(SALU_CYCLE_1)
	s_xor_b32 s2, exec_lo, s3
; %bb.87:
	v_cmp_ne_u32_e32 vcc_lo, 0, v70
	v_cndmask_b32_e32 v70, 5, v70, vcc_lo
; %bb.88:
	s_and_not1_saveexec_b32 s3, s2
	s_cbranch_execz .LBB26_94
; %bb.89:
	v_cmp_gt_f64_e32 vcc_lo, 0, v[56:57]
	v_cmp_gt_f64_e64 s2, 0, v[58:59]
	v_xor_b32_e32 v65, 0x80000000, v57
	v_xor_b32_e32 v73, 0x80000000, v59
	s_delay_alu instid0(VALU_DEP_2) | instskip(NEXT) | instid1(VALU_DEP_2)
	v_cndmask_b32_e32 v74, v57, v65, vcc_lo
	v_cndmask_b32_e64 v76, v59, v73, s2
	v_cndmask_b32_e32 v73, v56, v56, vcc_lo
	v_cndmask_b32_e64 v75, v58, v58, s2
	s_mov_b32 s2, exec_lo
	s_delay_alu instid0(VALU_DEP_1)
	v_cmpx_ngt_f64_e32 v[73:74], v[75:76]
	s_xor_b32 s2, exec_lo, s2
	s_cbranch_execz .LBB26_91
; %bb.90:
	v_div_scale_f64 v[73:74], null, v[58:59], v[58:59], v[56:57]
	v_div_scale_f64 v[79:80], vcc_lo, v[56:57], v[58:59], v[56:57]
	s_delay_alu instid0(VALU_DEP_2) | instskip(SKIP_2) | instid1(VALU_DEP_1)
	v_rcp_f64_e32 v[75:76], v[73:74]
	s_waitcnt_depctr 0xfff
	v_fma_f64 v[77:78], -v[73:74], v[75:76], 1.0
	v_fma_f64 v[75:76], v[75:76], v[77:78], v[75:76]
	s_delay_alu instid0(VALU_DEP_1) | instskip(NEXT) | instid1(VALU_DEP_1)
	v_fma_f64 v[77:78], -v[73:74], v[75:76], 1.0
	v_fma_f64 v[75:76], v[75:76], v[77:78], v[75:76]
	s_delay_alu instid0(VALU_DEP_1) | instskip(NEXT) | instid1(VALU_DEP_1)
	v_mul_f64 v[77:78], v[79:80], v[75:76]
	v_fma_f64 v[73:74], -v[73:74], v[77:78], v[79:80]
	s_delay_alu instid0(VALU_DEP_1) | instskip(NEXT) | instid1(VALU_DEP_1)
	v_div_fmas_f64 v[73:74], v[73:74], v[75:76], v[77:78]
	v_div_fixup_f64 v[73:74], v[73:74], v[58:59], v[56:57]
	s_delay_alu instid0(VALU_DEP_1) | instskip(NEXT) | instid1(VALU_DEP_1)
	v_fma_f64 v[56:57], v[56:57], v[73:74], v[58:59]
	v_div_scale_f64 v[58:59], null, v[56:57], v[56:57], 1.0
	s_delay_alu instid0(VALU_DEP_1) | instskip(SKIP_2) | instid1(VALU_DEP_1)
	v_rcp_f64_e32 v[75:76], v[58:59]
	s_waitcnt_depctr 0xfff
	v_fma_f64 v[77:78], -v[58:59], v[75:76], 1.0
	v_fma_f64 v[75:76], v[75:76], v[77:78], v[75:76]
	s_delay_alu instid0(VALU_DEP_1) | instskip(NEXT) | instid1(VALU_DEP_1)
	v_fma_f64 v[77:78], -v[58:59], v[75:76], 1.0
	v_fma_f64 v[75:76], v[75:76], v[77:78], v[75:76]
	v_div_scale_f64 v[77:78], vcc_lo, 1.0, v[56:57], 1.0
	s_delay_alu instid0(VALU_DEP_1) | instskip(NEXT) | instid1(VALU_DEP_1)
	v_mul_f64 v[79:80], v[77:78], v[75:76]
	v_fma_f64 v[58:59], -v[58:59], v[79:80], v[77:78]
	s_delay_alu instid0(VALU_DEP_1) | instskip(NEXT) | instid1(VALU_DEP_1)
	v_div_fmas_f64 v[58:59], v[58:59], v[75:76], v[79:80]
	v_div_fixup_f64 v[58:59], v[58:59], v[56:57], 1.0
	s_delay_alu instid0(VALU_DEP_1)
	v_mul_f64 v[56:57], v[73:74], v[58:59]
	v_xor_b32_e32 v59, 0x80000000, v59
.LBB26_91:
	s_and_not1_saveexec_b32 s2, s2
	s_cbranch_execz .LBB26_93
; %bb.92:
	s_delay_alu instid0(VALU_DEP_1) | instskip(SKIP_1) | instid1(VALU_DEP_2)
	v_div_scale_f64 v[73:74], null, v[56:57], v[56:57], v[58:59]
	v_div_scale_f64 v[79:80], vcc_lo, v[58:59], v[56:57], v[58:59]
	v_rcp_f64_e32 v[75:76], v[73:74]
	s_waitcnt_depctr 0xfff
	v_fma_f64 v[77:78], -v[73:74], v[75:76], 1.0
	s_delay_alu instid0(VALU_DEP_1) | instskip(NEXT) | instid1(VALU_DEP_1)
	v_fma_f64 v[75:76], v[75:76], v[77:78], v[75:76]
	v_fma_f64 v[77:78], -v[73:74], v[75:76], 1.0
	s_delay_alu instid0(VALU_DEP_1) | instskip(NEXT) | instid1(VALU_DEP_1)
	v_fma_f64 v[75:76], v[75:76], v[77:78], v[75:76]
	v_mul_f64 v[77:78], v[79:80], v[75:76]
	s_delay_alu instid0(VALU_DEP_1) | instskip(NEXT) | instid1(VALU_DEP_1)
	v_fma_f64 v[73:74], -v[73:74], v[77:78], v[79:80]
	v_div_fmas_f64 v[73:74], v[73:74], v[75:76], v[77:78]
	s_delay_alu instid0(VALU_DEP_1) | instskip(NEXT) | instid1(VALU_DEP_1)
	v_div_fixup_f64 v[73:74], v[73:74], v[56:57], v[58:59]
	v_fma_f64 v[56:57], v[58:59], v[73:74], v[56:57]
	s_delay_alu instid0(VALU_DEP_1) | instskip(NEXT) | instid1(VALU_DEP_1)
	v_div_scale_f64 v[58:59], null, v[56:57], v[56:57], 1.0
	v_rcp_f64_e32 v[75:76], v[58:59]
	s_waitcnt_depctr 0xfff
	v_fma_f64 v[77:78], -v[58:59], v[75:76], 1.0
	s_delay_alu instid0(VALU_DEP_1) | instskip(NEXT) | instid1(VALU_DEP_1)
	v_fma_f64 v[75:76], v[75:76], v[77:78], v[75:76]
	v_fma_f64 v[77:78], -v[58:59], v[75:76], 1.0
	s_delay_alu instid0(VALU_DEP_1) | instskip(SKIP_1) | instid1(VALU_DEP_1)
	v_fma_f64 v[75:76], v[75:76], v[77:78], v[75:76]
	v_div_scale_f64 v[77:78], vcc_lo, 1.0, v[56:57], 1.0
	v_mul_f64 v[79:80], v[77:78], v[75:76]
	s_delay_alu instid0(VALU_DEP_1) | instskip(NEXT) | instid1(VALU_DEP_1)
	v_fma_f64 v[58:59], -v[58:59], v[79:80], v[77:78]
	v_div_fmas_f64 v[58:59], v[58:59], v[75:76], v[79:80]
	s_delay_alu instid0(VALU_DEP_1) | instskip(NEXT) | instid1(VALU_DEP_1)
	v_div_fixup_f64 v[56:57], v[58:59], v[56:57], 1.0
	v_mul_f64 v[58:59], v[73:74], -v[56:57]
.LBB26_93:
	s_or_b32 exec_lo, exec_lo, s2
.LBB26_94:
	s_delay_alu instid0(SALU_CYCLE_1) | instskip(NEXT) | instid1(SALU_CYCLE_1)
	s_or_b32 exec_lo, exec_lo, s3
	s_mov_b32 s2, exec_lo
	v_cmpx_ne_u32_e64 v72, v64
	s_xor_b32 s2, exec_lo, s2
	s_cbranch_execz .LBB26_100
; %bb.95:
	s_mov_b32 s3, exec_lo
	v_cmpx_eq_u32_e32 4, v72
	s_cbranch_execz .LBB26_99
; %bb.96:
	v_cmp_ne_u32_e32 vcc_lo, 4, v64
	s_xor_b32 s6, s4, -1
	s_delay_alu instid0(SALU_CYCLE_1) | instskip(NEXT) | instid1(SALU_CYCLE_1)
	s_and_b32 s7, s6, vcc_lo
	s_and_saveexec_b32 s6, s7
	s_cbranch_execz .LBB26_98
; %bb.97:
	v_ashrrev_i32_e32 v65, 31, v64
	s_delay_alu instid0(VALU_DEP_1) | instskip(NEXT) | instid1(VALU_DEP_1)
	v_lshlrev_b64 v[72:73], 2, v[64:65]
	v_add_co_u32 v72, vcc_lo, v62, v72
	s_delay_alu instid0(VALU_DEP_2)
	v_add_co_ci_u32_e32 v73, vcc_lo, v63, v73, vcc_lo
	s_clause 0x1
	flat_load_b32 v65, v[72:73]
	flat_load_b32 v69, v[62:63] offset:16
	s_waitcnt vmcnt(1) lgkmcnt(1)
	flat_store_b32 v[62:63], v65 offset:16
	s_waitcnt vmcnt(0) lgkmcnt(1)
	flat_store_b32 v[72:73], v69
.LBB26_98:
	s_or_b32 exec_lo, exec_lo, s6
	v_mov_b32_e32 v72, v64
	v_mov_b32_e32 v69, v64
.LBB26_99:
	s_or_b32 exec_lo, exec_lo, s3
.LBB26_100:
	s_and_not1_saveexec_b32 s2, s2
	s_cbranch_execz .LBB26_102
; %bb.101:
	v_mov_b32_e32 v72, 4
	ds_store_2addr_b64 v66, v[24:25], v[26:27] offset0:10 offset1:11
	ds_store_2addr_b64 v66, v[36:37], v[38:39] offset0:12 offset1:13
	;; [unrolled: 1-line block ×9, first 2 shown]
.LBB26_102:
	s_or_b32 exec_lo, exec_lo, s2
	s_delay_alu instid0(SALU_CYCLE_1)
	s_mov_b32 s2, exec_lo
	s_waitcnt lgkmcnt(0)
	s_waitcnt_vscnt null, 0x0
	s_barrier
	buffer_gl0_inv
	v_cmpx_lt_i32_e32 4, v72
	s_cbranch_execz .LBB26_104
; %bb.103:
	v_mul_f64 v[64:65], v[56:57], v[30:31]
	v_mul_f64 v[30:31], v[58:59], v[30:31]
	ds_load_2addr_b64 v[73:76], v66 offset0:10 offset1:11
	ds_load_2addr_b64 v[77:80], v66 offset0:12 offset1:13
	;; [unrolled: 1-line block ×9, first 2 shown]
	v_fma_f64 v[58:59], v[58:59], v[28:29], v[64:65]
	v_fma_f64 v[28:29], v[56:57], v[28:29], -v[30:31]
	s_waitcnt lgkmcnt(8)
	s_delay_alu instid0(VALU_DEP_2)
	v_mul_f64 v[30:31], v[75:76], v[58:59]
	v_mul_f64 v[56:57], v[73:74], v[58:59]
	s_waitcnt lgkmcnt(7)
	v_mul_f64 v[64:65], v[79:80], v[58:59]
	v_mul_f64 v[109:110], v[77:78], v[58:59]
	s_waitcnt lgkmcnt(6)
	;; [unrolled: 3-line block ×8, first 2 shown]
	v_mul_f64 v[135:136], v[107:108], v[58:59]
	v_mul_f64 v[137:138], v[105:106], v[58:59]
	v_fma_f64 v[30:31], v[73:74], v[28:29], -v[30:31]
	v_fma_f64 v[56:57], v[75:76], v[28:29], v[56:57]
	v_fma_f64 v[64:65], v[77:78], v[28:29], -v[64:65]
	v_fma_f64 v[73:74], v[79:80], v[28:29], v[109:110]
	;; [unrolled: 2-line block ×9, first 2 shown]
	v_add_f64 v[24:25], v[24:25], -v[30:31]
	v_add_f64 v[26:27], v[26:27], -v[56:57]
	;; [unrolled: 1-line block ×18, first 2 shown]
	v_dual_mov_b32 v30, v58 :: v_dual_mov_b32 v31, v59
.LBB26_104:
	s_or_b32 exec_lo, exec_lo, s2
	v_lshl_add_u32 v56, v72, 4, v66
	s_barrier
	buffer_gl0_inv
	v_mov_b32_e32 v64, 5
	ds_store_2addr_b64 v56, v[24:25], v[26:27] offset1:1
	s_waitcnt lgkmcnt(0)
	s_barrier
	buffer_gl0_inv
	ds_load_2addr_b64 v[56:59], v66 offset0:10 offset1:11
	s_cmp_lt_i32 s5, 7
	s_cbranch_scc1 .LBB26_107
; %bb.105:
	v_add3_u32 v65, v71, 0, 0x60
	v_mov_b32_e32 v64, 5
	s_mov_b32 s6, 6
	s_set_inst_prefetch_distance 0x1
	.p2align	6
.LBB26_106:                             ; =>This Inner Loop Header: Depth=1
	ds_load_2addr_b64 v[73:76], v65 offset1:1
	s_waitcnt lgkmcnt(1)
	v_cmp_gt_f64_e32 vcc_lo, 0, v[56:57]
	v_xor_b32_e32 v77, 0x80000000, v57
	v_cmp_gt_f64_e64 s2, 0, v[58:59]
	v_xor_b32_e32 v79, 0x80000000, v59
	v_add_nc_u32_e32 v65, 16, v65
	s_waitcnt lgkmcnt(0)
	v_cmp_gt_f64_e64 s3, 0, v[73:74]
	v_mov_b32_e32 v81, v73
	v_dual_mov_b32 v83, v75 :: v_dual_cndmask_b32 v78, v57, v77
	v_xor_b32_e32 v77, 0x80000000, v74
	v_cndmask_b32_e64 v80, v59, v79, s2
	v_xor_b32_e32 v79, 0x80000000, v76
	s_delay_alu instid0(VALU_DEP_3) | instskip(SKIP_2) | instid1(VALU_DEP_2)
	v_cndmask_b32_e64 v82, v74, v77, s3
	v_cmp_gt_f64_e64 s3, 0, v[75:76]
	v_cndmask_b32_e32 v77, v56, v56, vcc_lo
	v_cndmask_b32_e64 v84, v76, v79, s3
	v_cndmask_b32_e64 v79, v58, v58, s2
	s_delay_alu instid0(VALU_DEP_2) | instskip(NEXT) | instid1(VALU_DEP_2)
	v_add_f64 v[81:82], v[81:82], v[83:84]
	v_add_f64 v[77:78], v[77:78], v[79:80]
	s_delay_alu instid0(VALU_DEP_1) | instskip(SKIP_4) | instid1(SALU_CYCLE_1)
	v_cmp_lt_f64_e32 vcc_lo, v[77:78], v[81:82]
	v_dual_cndmask_b32 v58, v58, v75 :: v_dual_cndmask_b32 v57, v57, v74
	v_dual_cndmask_b32 v56, v56, v73 :: v_dual_cndmask_b32 v59, v59, v76
	v_cndmask_b32_e64 v64, v64, s6, vcc_lo
	s_add_i32 s6, s6, 1
	s_cmp_lg_u32 s5, s6
	s_cbranch_scc1 .LBB26_106
.LBB26_107:
	s_set_inst_prefetch_distance 0x2
	s_waitcnt lgkmcnt(0)
	v_cmp_eq_f64_e32 vcc_lo, 0, v[56:57]
	v_cmp_eq_f64_e64 s2, 0, v[58:59]
	s_delay_alu instid0(VALU_DEP_1) | instskip(NEXT) | instid1(SALU_CYCLE_1)
	s_and_b32 s2, vcc_lo, s2
	s_and_saveexec_b32 s3, s2
	s_delay_alu instid0(SALU_CYCLE_1)
	s_xor_b32 s2, exec_lo, s3
; %bb.108:
	v_cmp_ne_u32_e32 vcc_lo, 0, v70
	v_cndmask_b32_e32 v70, 6, v70, vcc_lo
; %bb.109:
	s_and_not1_saveexec_b32 s3, s2
	s_cbranch_execz .LBB26_115
; %bb.110:
	v_cmp_gt_f64_e32 vcc_lo, 0, v[56:57]
	v_cmp_gt_f64_e64 s2, 0, v[58:59]
	v_xor_b32_e32 v65, 0x80000000, v57
	v_xor_b32_e32 v73, 0x80000000, v59
	s_delay_alu instid0(VALU_DEP_2) | instskip(NEXT) | instid1(VALU_DEP_2)
	v_cndmask_b32_e32 v74, v57, v65, vcc_lo
	v_cndmask_b32_e64 v76, v59, v73, s2
	v_cndmask_b32_e32 v73, v56, v56, vcc_lo
	v_cndmask_b32_e64 v75, v58, v58, s2
	s_mov_b32 s2, exec_lo
	s_delay_alu instid0(VALU_DEP_1)
	v_cmpx_ngt_f64_e32 v[73:74], v[75:76]
	s_xor_b32 s2, exec_lo, s2
	s_cbranch_execz .LBB26_112
; %bb.111:
	v_div_scale_f64 v[73:74], null, v[58:59], v[58:59], v[56:57]
	v_div_scale_f64 v[79:80], vcc_lo, v[56:57], v[58:59], v[56:57]
	s_delay_alu instid0(VALU_DEP_2) | instskip(SKIP_2) | instid1(VALU_DEP_1)
	v_rcp_f64_e32 v[75:76], v[73:74]
	s_waitcnt_depctr 0xfff
	v_fma_f64 v[77:78], -v[73:74], v[75:76], 1.0
	v_fma_f64 v[75:76], v[75:76], v[77:78], v[75:76]
	s_delay_alu instid0(VALU_DEP_1) | instskip(NEXT) | instid1(VALU_DEP_1)
	v_fma_f64 v[77:78], -v[73:74], v[75:76], 1.0
	v_fma_f64 v[75:76], v[75:76], v[77:78], v[75:76]
	s_delay_alu instid0(VALU_DEP_1) | instskip(NEXT) | instid1(VALU_DEP_1)
	v_mul_f64 v[77:78], v[79:80], v[75:76]
	v_fma_f64 v[73:74], -v[73:74], v[77:78], v[79:80]
	s_delay_alu instid0(VALU_DEP_1) | instskip(NEXT) | instid1(VALU_DEP_1)
	v_div_fmas_f64 v[73:74], v[73:74], v[75:76], v[77:78]
	v_div_fixup_f64 v[73:74], v[73:74], v[58:59], v[56:57]
	s_delay_alu instid0(VALU_DEP_1) | instskip(NEXT) | instid1(VALU_DEP_1)
	v_fma_f64 v[56:57], v[56:57], v[73:74], v[58:59]
	v_div_scale_f64 v[58:59], null, v[56:57], v[56:57], 1.0
	s_delay_alu instid0(VALU_DEP_1) | instskip(SKIP_2) | instid1(VALU_DEP_1)
	v_rcp_f64_e32 v[75:76], v[58:59]
	s_waitcnt_depctr 0xfff
	v_fma_f64 v[77:78], -v[58:59], v[75:76], 1.0
	v_fma_f64 v[75:76], v[75:76], v[77:78], v[75:76]
	s_delay_alu instid0(VALU_DEP_1) | instskip(NEXT) | instid1(VALU_DEP_1)
	v_fma_f64 v[77:78], -v[58:59], v[75:76], 1.0
	v_fma_f64 v[75:76], v[75:76], v[77:78], v[75:76]
	v_div_scale_f64 v[77:78], vcc_lo, 1.0, v[56:57], 1.0
	s_delay_alu instid0(VALU_DEP_1) | instskip(NEXT) | instid1(VALU_DEP_1)
	v_mul_f64 v[79:80], v[77:78], v[75:76]
	v_fma_f64 v[58:59], -v[58:59], v[79:80], v[77:78]
	s_delay_alu instid0(VALU_DEP_1) | instskip(NEXT) | instid1(VALU_DEP_1)
	v_div_fmas_f64 v[58:59], v[58:59], v[75:76], v[79:80]
	v_div_fixup_f64 v[58:59], v[58:59], v[56:57], 1.0
	s_delay_alu instid0(VALU_DEP_1)
	v_mul_f64 v[56:57], v[73:74], v[58:59]
	v_xor_b32_e32 v59, 0x80000000, v59
.LBB26_112:
	s_and_not1_saveexec_b32 s2, s2
	s_cbranch_execz .LBB26_114
; %bb.113:
	s_delay_alu instid0(VALU_DEP_1) | instskip(SKIP_1) | instid1(VALU_DEP_2)
	v_div_scale_f64 v[73:74], null, v[56:57], v[56:57], v[58:59]
	v_div_scale_f64 v[79:80], vcc_lo, v[58:59], v[56:57], v[58:59]
	v_rcp_f64_e32 v[75:76], v[73:74]
	s_waitcnt_depctr 0xfff
	v_fma_f64 v[77:78], -v[73:74], v[75:76], 1.0
	s_delay_alu instid0(VALU_DEP_1) | instskip(NEXT) | instid1(VALU_DEP_1)
	v_fma_f64 v[75:76], v[75:76], v[77:78], v[75:76]
	v_fma_f64 v[77:78], -v[73:74], v[75:76], 1.0
	s_delay_alu instid0(VALU_DEP_1) | instskip(NEXT) | instid1(VALU_DEP_1)
	v_fma_f64 v[75:76], v[75:76], v[77:78], v[75:76]
	v_mul_f64 v[77:78], v[79:80], v[75:76]
	s_delay_alu instid0(VALU_DEP_1) | instskip(NEXT) | instid1(VALU_DEP_1)
	v_fma_f64 v[73:74], -v[73:74], v[77:78], v[79:80]
	v_div_fmas_f64 v[73:74], v[73:74], v[75:76], v[77:78]
	s_delay_alu instid0(VALU_DEP_1) | instskip(NEXT) | instid1(VALU_DEP_1)
	v_div_fixup_f64 v[73:74], v[73:74], v[56:57], v[58:59]
	v_fma_f64 v[56:57], v[58:59], v[73:74], v[56:57]
	s_delay_alu instid0(VALU_DEP_1) | instskip(NEXT) | instid1(VALU_DEP_1)
	v_div_scale_f64 v[58:59], null, v[56:57], v[56:57], 1.0
	v_rcp_f64_e32 v[75:76], v[58:59]
	s_waitcnt_depctr 0xfff
	v_fma_f64 v[77:78], -v[58:59], v[75:76], 1.0
	s_delay_alu instid0(VALU_DEP_1) | instskip(NEXT) | instid1(VALU_DEP_1)
	v_fma_f64 v[75:76], v[75:76], v[77:78], v[75:76]
	v_fma_f64 v[77:78], -v[58:59], v[75:76], 1.0
	s_delay_alu instid0(VALU_DEP_1) | instskip(SKIP_1) | instid1(VALU_DEP_1)
	v_fma_f64 v[75:76], v[75:76], v[77:78], v[75:76]
	v_div_scale_f64 v[77:78], vcc_lo, 1.0, v[56:57], 1.0
	v_mul_f64 v[79:80], v[77:78], v[75:76]
	s_delay_alu instid0(VALU_DEP_1) | instskip(NEXT) | instid1(VALU_DEP_1)
	v_fma_f64 v[58:59], -v[58:59], v[79:80], v[77:78]
	v_div_fmas_f64 v[58:59], v[58:59], v[75:76], v[79:80]
	s_delay_alu instid0(VALU_DEP_1) | instskip(NEXT) | instid1(VALU_DEP_1)
	v_div_fixup_f64 v[56:57], v[58:59], v[56:57], 1.0
	v_mul_f64 v[58:59], v[73:74], -v[56:57]
.LBB26_114:
	s_or_b32 exec_lo, exec_lo, s2
.LBB26_115:
	s_delay_alu instid0(SALU_CYCLE_1) | instskip(NEXT) | instid1(SALU_CYCLE_1)
	s_or_b32 exec_lo, exec_lo, s3
	s_mov_b32 s2, exec_lo
	v_cmpx_ne_u32_e64 v72, v64
	s_xor_b32 s2, exec_lo, s2
	s_cbranch_execz .LBB26_121
; %bb.116:
	s_mov_b32 s3, exec_lo
	v_cmpx_eq_u32_e32 5, v72
	s_cbranch_execz .LBB26_120
; %bb.117:
	v_cmp_ne_u32_e32 vcc_lo, 5, v64
	s_xor_b32 s6, s4, -1
	s_delay_alu instid0(SALU_CYCLE_1) | instskip(NEXT) | instid1(SALU_CYCLE_1)
	s_and_b32 s7, s6, vcc_lo
	s_and_saveexec_b32 s6, s7
	s_cbranch_execz .LBB26_119
; %bb.118:
	v_ashrrev_i32_e32 v65, 31, v64
	s_delay_alu instid0(VALU_DEP_1) | instskip(NEXT) | instid1(VALU_DEP_1)
	v_lshlrev_b64 v[72:73], 2, v[64:65]
	v_add_co_u32 v72, vcc_lo, v62, v72
	s_delay_alu instid0(VALU_DEP_2)
	v_add_co_ci_u32_e32 v73, vcc_lo, v63, v73, vcc_lo
	s_clause 0x1
	flat_load_b32 v65, v[72:73]
	flat_load_b32 v69, v[62:63] offset:20
	s_waitcnt vmcnt(1) lgkmcnt(1)
	flat_store_b32 v[62:63], v65 offset:20
	s_waitcnt vmcnt(0) lgkmcnt(1)
	flat_store_b32 v[72:73], v69
.LBB26_119:
	s_or_b32 exec_lo, exec_lo, s6
	v_mov_b32_e32 v72, v64
	v_mov_b32_e32 v69, v64
.LBB26_120:
	s_or_b32 exec_lo, exec_lo, s3
.LBB26_121:
	s_and_not1_saveexec_b32 s2, s2
	s_cbranch_execz .LBB26_123
; %bb.122:
	v_mov_b32_e32 v72, 5
	ds_store_2addr_b64 v66, v[36:37], v[38:39] offset0:12 offset1:13
	ds_store_2addr_b64 v66, v[20:21], v[22:23] offset0:14 offset1:15
	;; [unrolled: 1-line block ×8, first 2 shown]
.LBB26_123:
	s_or_b32 exec_lo, exec_lo, s2
	s_delay_alu instid0(SALU_CYCLE_1)
	s_mov_b32 s2, exec_lo
	s_waitcnt lgkmcnt(0)
	s_waitcnt_vscnt null, 0x0
	s_barrier
	buffer_gl0_inv
	v_cmpx_lt_i32_e32 5, v72
	s_cbranch_execz .LBB26_125
; %bb.124:
	v_mul_f64 v[64:65], v[56:57], v[26:27]
	v_mul_f64 v[26:27], v[58:59], v[26:27]
	ds_load_2addr_b64 v[73:76], v66 offset0:12 offset1:13
	ds_load_2addr_b64 v[77:80], v66 offset0:14 offset1:15
	;; [unrolled: 1-line block ×8, first 2 shown]
	v_fma_f64 v[58:59], v[58:59], v[24:25], v[64:65]
	v_fma_f64 v[24:25], v[56:57], v[24:25], -v[26:27]
	s_waitcnt lgkmcnt(7)
	s_delay_alu instid0(VALU_DEP_2)
	v_mul_f64 v[26:27], v[75:76], v[58:59]
	v_mul_f64 v[56:57], v[73:74], v[58:59]
	s_waitcnt lgkmcnt(6)
	v_mul_f64 v[64:65], v[79:80], v[58:59]
	v_mul_f64 v[105:106], v[77:78], v[58:59]
	s_waitcnt lgkmcnt(5)
	;; [unrolled: 3-line block ×7, first 2 shown]
	v_mul_f64 v[127:128], v[103:104], v[58:59]
	v_mul_f64 v[129:130], v[101:102], v[58:59]
	v_fma_f64 v[26:27], v[73:74], v[24:25], -v[26:27]
	v_fma_f64 v[56:57], v[75:76], v[24:25], v[56:57]
	v_fma_f64 v[64:65], v[77:78], v[24:25], -v[64:65]
	v_fma_f64 v[73:74], v[79:80], v[24:25], v[105:106]
	;; [unrolled: 2-line block ×8, first 2 shown]
	v_add_f64 v[36:37], v[36:37], -v[26:27]
	v_add_f64 v[38:39], v[38:39], -v[56:57]
	;; [unrolled: 1-line block ×16, first 2 shown]
	v_dual_mov_b32 v26, v58 :: v_dual_mov_b32 v27, v59
.LBB26_125:
	s_or_b32 exec_lo, exec_lo, s2
	v_lshl_add_u32 v56, v72, 4, v66
	s_barrier
	buffer_gl0_inv
	v_mov_b32_e32 v64, 6
	ds_store_2addr_b64 v56, v[36:37], v[38:39] offset1:1
	s_waitcnt lgkmcnt(0)
	s_barrier
	buffer_gl0_inv
	ds_load_2addr_b64 v[56:59], v66 offset0:12 offset1:13
	s_cmp_lt_i32 s5, 8
	s_cbranch_scc1 .LBB26_128
; %bb.126:
	v_add3_u32 v65, v71, 0, 0x70
	v_mov_b32_e32 v64, 6
	s_mov_b32 s6, 7
	s_set_inst_prefetch_distance 0x1
	.p2align	6
.LBB26_127:                             ; =>This Inner Loop Header: Depth=1
	ds_load_2addr_b64 v[73:76], v65 offset1:1
	s_waitcnt lgkmcnt(1)
	v_cmp_gt_f64_e32 vcc_lo, 0, v[56:57]
	v_xor_b32_e32 v77, 0x80000000, v57
	v_cmp_gt_f64_e64 s2, 0, v[58:59]
	v_xor_b32_e32 v79, 0x80000000, v59
	v_add_nc_u32_e32 v65, 16, v65
	s_waitcnt lgkmcnt(0)
	v_cmp_gt_f64_e64 s3, 0, v[73:74]
	v_mov_b32_e32 v81, v73
	v_dual_mov_b32 v83, v75 :: v_dual_cndmask_b32 v78, v57, v77
	v_xor_b32_e32 v77, 0x80000000, v74
	v_cndmask_b32_e64 v80, v59, v79, s2
	v_xor_b32_e32 v79, 0x80000000, v76
	s_delay_alu instid0(VALU_DEP_3) | instskip(SKIP_2) | instid1(VALU_DEP_2)
	v_cndmask_b32_e64 v82, v74, v77, s3
	v_cmp_gt_f64_e64 s3, 0, v[75:76]
	v_cndmask_b32_e32 v77, v56, v56, vcc_lo
	v_cndmask_b32_e64 v84, v76, v79, s3
	v_cndmask_b32_e64 v79, v58, v58, s2
	s_delay_alu instid0(VALU_DEP_2) | instskip(NEXT) | instid1(VALU_DEP_2)
	v_add_f64 v[81:82], v[81:82], v[83:84]
	v_add_f64 v[77:78], v[77:78], v[79:80]
	s_delay_alu instid0(VALU_DEP_1) | instskip(SKIP_4) | instid1(SALU_CYCLE_1)
	v_cmp_lt_f64_e32 vcc_lo, v[77:78], v[81:82]
	v_dual_cndmask_b32 v58, v58, v75 :: v_dual_cndmask_b32 v57, v57, v74
	v_dual_cndmask_b32 v56, v56, v73 :: v_dual_cndmask_b32 v59, v59, v76
	v_cndmask_b32_e64 v64, v64, s6, vcc_lo
	s_add_i32 s6, s6, 1
	s_cmp_lg_u32 s5, s6
	s_cbranch_scc1 .LBB26_127
.LBB26_128:
	s_set_inst_prefetch_distance 0x2
	s_waitcnt lgkmcnt(0)
	v_cmp_eq_f64_e32 vcc_lo, 0, v[56:57]
	v_cmp_eq_f64_e64 s2, 0, v[58:59]
	s_delay_alu instid0(VALU_DEP_1) | instskip(NEXT) | instid1(SALU_CYCLE_1)
	s_and_b32 s2, vcc_lo, s2
	s_and_saveexec_b32 s3, s2
	s_delay_alu instid0(SALU_CYCLE_1)
	s_xor_b32 s2, exec_lo, s3
; %bb.129:
	v_cmp_ne_u32_e32 vcc_lo, 0, v70
	v_cndmask_b32_e32 v70, 7, v70, vcc_lo
; %bb.130:
	s_and_not1_saveexec_b32 s3, s2
	s_cbranch_execz .LBB26_136
; %bb.131:
	v_cmp_gt_f64_e32 vcc_lo, 0, v[56:57]
	v_cmp_gt_f64_e64 s2, 0, v[58:59]
	v_xor_b32_e32 v65, 0x80000000, v57
	v_xor_b32_e32 v73, 0x80000000, v59
	s_delay_alu instid0(VALU_DEP_2) | instskip(NEXT) | instid1(VALU_DEP_2)
	v_cndmask_b32_e32 v74, v57, v65, vcc_lo
	v_cndmask_b32_e64 v76, v59, v73, s2
	v_cndmask_b32_e32 v73, v56, v56, vcc_lo
	v_cndmask_b32_e64 v75, v58, v58, s2
	s_mov_b32 s2, exec_lo
	s_delay_alu instid0(VALU_DEP_1)
	v_cmpx_ngt_f64_e32 v[73:74], v[75:76]
	s_xor_b32 s2, exec_lo, s2
	s_cbranch_execz .LBB26_133
; %bb.132:
	v_div_scale_f64 v[73:74], null, v[58:59], v[58:59], v[56:57]
	v_div_scale_f64 v[79:80], vcc_lo, v[56:57], v[58:59], v[56:57]
	s_delay_alu instid0(VALU_DEP_2) | instskip(SKIP_2) | instid1(VALU_DEP_1)
	v_rcp_f64_e32 v[75:76], v[73:74]
	s_waitcnt_depctr 0xfff
	v_fma_f64 v[77:78], -v[73:74], v[75:76], 1.0
	v_fma_f64 v[75:76], v[75:76], v[77:78], v[75:76]
	s_delay_alu instid0(VALU_DEP_1) | instskip(NEXT) | instid1(VALU_DEP_1)
	v_fma_f64 v[77:78], -v[73:74], v[75:76], 1.0
	v_fma_f64 v[75:76], v[75:76], v[77:78], v[75:76]
	s_delay_alu instid0(VALU_DEP_1) | instskip(NEXT) | instid1(VALU_DEP_1)
	v_mul_f64 v[77:78], v[79:80], v[75:76]
	v_fma_f64 v[73:74], -v[73:74], v[77:78], v[79:80]
	s_delay_alu instid0(VALU_DEP_1) | instskip(NEXT) | instid1(VALU_DEP_1)
	v_div_fmas_f64 v[73:74], v[73:74], v[75:76], v[77:78]
	v_div_fixup_f64 v[73:74], v[73:74], v[58:59], v[56:57]
	s_delay_alu instid0(VALU_DEP_1) | instskip(NEXT) | instid1(VALU_DEP_1)
	v_fma_f64 v[56:57], v[56:57], v[73:74], v[58:59]
	v_div_scale_f64 v[58:59], null, v[56:57], v[56:57], 1.0
	s_delay_alu instid0(VALU_DEP_1) | instskip(SKIP_2) | instid1(VALU_DEP_1)
	v_rcp_f64_e32 v[75:76], v[58:59]
	s_waitcnt_depctr 0xfff
	v_fma_f64 v[77:78], -v[58:59], v[75:76], 1.0
	v_fma_f64 v[75:76], v[75:76], v[77:78], v[75:76]
	s_delay_alu instid0(VALU_DEP_1) | instskip(NEXT) | instid1(VALU_DEP_1)
	v_fma_f64 v[77:78], -v[58:59], v[75:76], 1.0
	v_fma_f64 v[75:76], v[75:76], v[77:78], v[75:76]
	v_div_scale_f64 v[77:78], vcc_lo, 1.0, v[56:57], 1.0
	s_delay_alu instid0(VALU_DEP_1) | instskip(NEXT) | instid1(VALU_DEP_1)
	v_mul_f64 v[79:80], v[77:78], v[75:76]
	v_fma_f64 v[58:59], -v[58:59], v[79:80], v[77:78]
	s_delay_alu instid0(VALU_DEP_1) | instskip(NEXT) | instid1(VALU_DEP_1)
	v_div_fmas_f64 v[58:59], v[58:59], v[75:76], v[79:80]
	v_div_fixup_f64 v[58:59], v[58:59], v[56:57], 1.0
	s_delay_alu instid0(VALU_DEP_1)
	v_mul_f64 v[56:57], v[73:74], v[58:59]
	v_xor_b32_e32 v59, 0x80000000, v59
.LBB26_133:
	s_and_not1_saveexec_b32 s2, s2
	s_cbranch_execz .LBB26_135
; %bb.134:
	s_delay_alu instid0(VALU_DEP_1) | instskip(SKIP_1) | instid1(VALU_DEP_2)
	v_div_scale_f64 v[73:74], null, v[56:57], v[56:57], v[58:59]
	v_div_scale_f64 v[79:80], vcc_lo, v[58:59], v[56:57], v[58:59]
	v_rcp_f64_e32 v[75:76], v[73:74]
	s_waitcnt_depctr 0xfff
	v_fma_f64 v[77:78], -v[73:74], v[75:76], 1.0
	s_delay_alu instid0(VALU_DEP_1) | instskip(NEXT) | instid1(VALU_DEP_1)
	v_fma_f64 v[75:76], v[75:76], v[77:78], v[75:76]
	v_fma_f64 v[77:78], -v[73:74], v[75:76], 1.0
	s_delay_alu instid0(VALU_DEP_1) | instskip(NEXT) | instid1(VALU_DEP_1)
	v_fma_f64 v[75:76], v[75:76], v[77:78], v[75:76]
	v_mul_f64 v[77:78], v[79:80], v[75:76]
	s_delay_alu instid0(VALU_DEP_1) | instskip(NEXT) | instid1(VALU_DEP_1)
	v_fma_f64 v[73:74], -v[73:74], v[77:78], v[79:80]
	v_div_fmas_f64 v[73:74], v[73:74], v[75:76], v[77:78]
	s_delay_alu instid0(VALU_DEP_1) | instskip(NEXT) | instid1(VALU_DEP_1)
	v_div_fixup_f64 v[73:74], v[73:74], v[56:57], v[58:59]
	v_fma_f64 v[56:57], v[58:59], v[73:74], v[56:57]
	s_delay_alu instid0(VALU_DEP_1) | instskip(NEXT) | instid1(VALU_DEP_1)
	v_div_scale_f64 v[58:59], null, v[56:57], v[56:57], 1.0
	v_rcp_f64_e32 v[75:76], v[58:59]
	s_waitcnt_depctr 0xfff
	v_fma_f64 v[77:78], -v[58:59], v[75:76], 1.0
	s_delay_alu instid0(VALU_DEP_1) | instskip(NEXT) | instid1(VALU_DEP_1)
	v_fma_f64 v[75:76], v[75:76], v[77:78], v[75:76]
	v_fma_f64 v[77:78], -v[58:59], v[75:76], 1.0
	s_delay_alu instid0(VALU_DEP_1) | instskip(SKIP_1) | instid1(VALU_DEP_1)
	v_fma_f64 v[75:76], v[75:76], v[77:78], v[75:76]
	v_div_scale_f64 v[77:78], vcc_lo, 1.0, v[56:57], 1.0
	v_mul_f64 v[79:80], v[77:78], v[75:76]
	s_delay_alu instid0(VALU_DEP_1) | instskip(NEXT) | instid1(VALU_DEP_1)
	v_fma_f64 v[58:59], -v[58:59], v[79:80], v[77:78]
	v_div_fmas_f64 v[58:59], v[58:59], v[75:76], v[79:80]
	s_delay_alu instid0(VALU_DEP_1) | instskip(NEXT) | instid1(VALU_DEP_1)
	v_div_fixup_f64 v[56:57], v[58:59], v[56:57], 1.0
	v_mul_f64 v[58:59], v[73:74], -v[56:57]
.LBB26_135:
	s_or_b32 exec_lo, exec_lo, s2
.LBB26_136:
	s_delay_alu instid0(SALU_CYCLE_1) | instskip(NEXT) | instid1(SALU_CYCLE_1)
	s_or_b32 exec_lo, exec_lo, s3
	s_mov_b32 s2, exec_lo
	v_cmpx_ne_u32_e64 v72, v64
	s_xor_b32 s2, exec_lo, s2
	s_cbranch_execz .LBB26_142
; %bb.137:
	s_mov_b32 s3, exec_lo
	v_cmpx_eq_u32_e32 6, v72
	s_cbranch_execz .LBB26_141
; %bb.138:
	v_cmp_ne_u32_e32 vcc_lo, 6, v64
	s_xor_b32 s6, s4, -1
	s_delay_alu instid0(SALU_CYCLE_1) | instskip(NEXT) | instid1(SALU_CYCLE_1)
	s_and_b32 s7, s6, vcc_lo
	s_and_saveexec_b32 s6, s7
	s_cbranch_execz .LBB26_140
; %bb.139:
	v_ashrrev_i32_e32 v65, 31, v64
	s_delay_alu instid0(VALU_DEP_1) | instskip(NEXT) | instid1(VALU_DEP_1)
	v_lshlrev_b64 v[72:73], 2, v[64:65]
	v_add_co_u32 v72, vcc_lo, v62, v72
	s_delay_alu instid0(VALU_DEP_2)
	v_add_co_ci_u32_e32 v73, vcc_lo, v63, v73, vcc_lo
	s_clause 0x1
	flat_load_b32 v65, v[72:73]
	flat_load_b32 v69, v[62:63] offset:24
	s_waitcnt vmcnt(1) lgkmcnt(1)
	flat_store_b32 v[62:63], v65 offset:24
	s_waitcnt vmcnt(0) lgkmcnt(1)
	flat_store_b32 v[72:73], v69
.LBB26_140:
	s_or_b32 exec_lo, exec_lo, s6
	v_mov_b32_e32 v72, v64
	v_mov_b32_e32 v69, v64
.LBB26_141:
	s_or_b32 exec_lo, exec_lo, s3
.LBB26_142:
	s_and_not1_saveexec_b32 s2, s2
	s_cbranch_execz .LBB26_144
; %bb.143:
	v_mov_b32_e32 v72, 6
	ds_store_2addr_b64 v66, v[20:21], v[22:23] offset0:14 offset1:15
	ds_store_2addr_b64 v66, v[32:33], v[34:35] offset0:16 offset1:17
	;; [unrolled: 1-line block ×7, first 2 shown]
.LBB26_144:
	s_or_b32 exec_lo, exec_lo, s2
	s_delay_alu instid0(SALU_CYCLE_1)
	s_mov_b32 s2, exec_lo
	s_waitcnt lgkmcnt(0)
	s_waitcnt_vscnt null, 0x0
	s_barrier
	buffer_gl0_inv
	v_cmpx_lt_i32_e32 6, v72
	s_cbranch_execz .LBB26_146
; %bb.145:
	v_mul_f64 v[64:65], v[56:57], v[38:39]
	v_mul_f64 v[38:39], v[58:59], v[38:39]
	ds_load_2addr_b64 v[73:76], v66 offset0:14 offset1:15
	ds_load_2addr_b64 v[77:80], v66 offset0:16 offset1:17
	;; [unrolled: 1-line block ×7, first 2 shown]
	v_fma_f64 v[58:59], v[58:59], v[36:37], v[64:65]
	v_fma_f64 v[36:37], v[56:57], v[36:37], -v[38:39]
	s_waitcnt lgkmcnt(6)
	s_delay_alu instid0(VALU_DEP_2)
	v_mul_f64 v[38:39], v[75:76], v[58:59]
	v_mul_f64 v[56:57], v[73:74], v[58:59]
	s_waitcnt lgkmcnt(5)
	v_mul_f64 v[64:65], v[79:80], v[58:59]
	v_mul_f64 v[101:102], v[77:78], v[58:59]
	s_waitcnt lgkmcnt(4)
	;; [unrolled: 3-line block ×6, first 2 shown]
	v_mul_f64 v[119:120], v[99:100], v[58:59]
	v_mul_f64 v[121:122], v[97:98], v[58:59]
	v_fma_f64 v[38:39], v[73:74], v[36:37], -v[38:39]
	v_fma_f64 v[56:57], v[75:76], v[36:37], v[56:57]
	v_fma_f64 v[64:65], v[77:78], v[36:37], -v[64:65]
	v_fma_f64 v[73:74], v[79:80], v[36:37], v[101:102]
	;; [unrolled: 2-line block ×7, first 2 shown]
	v_add_f64 v[20:21], v[20:21], -v[38:39]
	v_add_f64 v[22:23], v[22:23], -v[56:57]
	;; [unrolled: 1-line block ×14, first 2 shown]
	v_dual_mov_b32 v38, v58 :: v_dual_mov_b32 v39, v59
.LBB26_146:
	s_or_b32 exec_lo, exec_lo, s2
	v_lshl_add_u32 v56, v72, 4, v66
	s_barrier
	buffer_gl0_inv
	v_mov_b32_e32 v64, 7
	ds_store_2addr_b64 v56, v[20:21], v[22:23] offset1:1
	s_waitcnt lgkmcnt(0)
	s_barrier
	buffer_gl0_inv
	ds_load_2addr_b64 v[56:59], v66 offset0:14 offset1:15
	s_cmp_lt_i32 s5, 9
	s_cbranch_scc1 .LBB26_149
; %bb.147:
	v_add3_u32 v65, v71, 0, 0x80
	v_mov_b32_e32 v64, 7
	s_mov_b32 s6, 8
	s_set_inst_prefetch_distance 0x1
	.p2align	6
.LBB26_148:                             ; =>This Inner Loop Header: Depth=1
	ds_load_2addr_b64 v[73:76], v65 offset1:1
	s_waitcnt lgkmcnt(1)
	v_cmp_gt_f64_e32 vcc_lo, 0, v[56:57]
	v_xor_b32_e32 v77, 0x80000000, v57
	v_cmp_gt_f64_e64 s2, 0, v[58:59]
	v_xor_b32_e32 v79, 0x80000000, v59
	v_add_nc_u32_e32 v65, 16, v65
	s_waitcnt lgkmcnt(0)
	v_cmp_gt_f64_e64 s3, 0, v[73:74]
	v_mov_b32_e32 v81, v73
	v_dual_mov_b32 v83, v75 :: v_dual_cndmask_b32 v78, v57, v77
	v_xor_b32_e32 v77, 0x80000000, v74
	v_cndmask_b32_e64 v80, v59, v79, s2
	v_xor_b32_e32 v79, 0x80000000, v76
	s_delay_alu instid0(VALU_DEP_3) | instskip(SKIP_2) | instid1(VALU_DEP_2)
	v_cndmask_b32_e64 v82, v74, v77, s3
	v_cmp_gt_f64_e64 s3, 0, v[75:76]
	v_cndmask_b32_e32 v77, v56, v56, vcc_lo
	v_cndmask_b32_e64 v84, v76, v79, s3
	v_cndmask_b32_e64 v79, v58, v58, s2
	s_delay_alu instid0(VALU_DEP_2) | instskip(NEXT) | instid1(VALU_DEP_2)
	v_add_f64 v[81:82], v[81:82], v[83:84]
	v_add_f64 v[77:78], v[77:78], v[79:80]
	s_delay_alu instid0(VALU_DEP_1) | instskip(SKIP_4) | instid1(SALU_CYCLE_1)
	v_cmp_lt_f64_e32 vcc_lo, v[77:78], v[81:82]
	v_dual_cndmask_b32 v58, v58, v75 :: v_dual_cndmask_b32 v57, v57, v74
	v_dual_cndmask_b32 v56, v56, v73 :: v_dual_cndmask_b32 v59, v59, v76
	v_cndmask_b32_e64 v64, v64, s6, vcc_lo
	s_add_i32 s6, s6, 1
	s_cmp_lg_u32 s5, s6
	s_cbranch_scc1 .LBB26_148
.LBB26_149:
	s_set_inst_prefetch_distance 0x2
	s_waitcnt lgkmcnt(0)
	v_cmp_eq_f64_e32 vcc_lo, 0, v[56:57]
	v_cmp_eq_f64_e64 s2, 0, v[58:59]
	s_delay_alu instid0(VALU_DEP_1) | instskip(NEXT) | instid1(SALU_CYCLE_1)
	s_and_b32 s2, vcc_lo, s2
	s_and_saveexec_b32 s3, s2
	s_delay_alu instid0(SALU_CYCLE_1)
	s_xor_b32 s2, exec_lo, s3
; %bb.150:
	v_cmp_ne_u32_e32 vcc_lo, 0, v70
	v_cndmask_b32_e32 v70, 8, v70, vcc_lo
; %bb.151:
	s_and_not1_saveexec_b32 s3, s2
	s_cbranch_execz .LBB26_157
; %bb.152:
	v_cmp_gt_f64_e32 vcc_lo, 0, v[56:57]
	v_cmp_gt_f64_e64 s2, 0, v[58:59]
	v_xor_b32_e32 v65, 0x80000000, v57
	v_xor_b32_e32 v73, 0x80000000, v59
	s_delay_alu instid0(VALU_DEP_2) | instskip(NEXT) | instid1(VALU_DEP_2)
	v_cndmask_b32_e32 v74, v57, v65, vcc_lo
	v_cndmask_b32_e64 v76, v59, v73, s2
	v_cndmask_b32_e32 v73, v56, v56, vcc_lo
	v_cndmask_b32_e64 v75, v58, v58, s2
	s_mov_b32 s2, exec_lo
	s_delay_alu instid0(VALU_DEP_1)
	v_cmpx_ngt_f64_e32 v[73:74], v[75:76]
	s_xor_b32 s2, exec_lo, s2
	s_cbranch_execz .LBB26_154
; %bb.153:
	v_div_scale_f64 v[73:74], null, v[58:59], v[58:59], v[56:57]
	v_div_scale_f64 v[79:80], vcc_lo, v[56:57], v[58:59], v[56:57]
	s_delay_alu instid0(VALU_DEP_2) | instskip(SKIP_2) | instid1(VALU_DEP_1)
	v_rcp_f64_e32 v[75:76], v[73:74]
	s_waitcnt_depctr 0xfff
	v_fma_f64 v[77:78], -v[73:74], v[75:76], 1.0
	v_fma_f64 v[75:76], v[75:76], v[77:78], v[75:76]
	s_delay_alu instid0(VALU_DEP_1) | instskip(NEXT) | instid1(VALU_DEP_1)
	v_fma_f64 v[77:78], -v[73:74], v[75:76], 1.0
	v_fma_f64 v[75:76], v[75:76], v[77:78], v[75:76]
	s_delay_alu instid0(VALU_DEP_1) | instskip(NEXT) | instid1(VALU_DEP_1)
	v_mul_f64 v[77:78], v[79:80], v[75:76]
	v_fma_f64 v[73:74], -v[73:74], v[77:78], v[79:80]
	s_delay_alu instid0(VALU_DEP_1) | instskip(NEXT) | instid1(VALU_DEP_1)
	v_div_fmas_f64 v[73:74], v[73:74], v[75:76], v[77:78]
	v_div_fixup_f64 v[73:74], v[73:74], v[58:59], v[56:57]
	s_delay_alu instid0(VALU_DEP_1) | instskip(NEXT) | instid1(VALU_DEP_1)
	v_fma_f64 v[56:57], v[56:57], v[73:74], v[58:59]
	v_div_scale_f64 v[58:59], null, v[56:57], v[56:57], 1.0
	s_delay_alu instid0(VALU_DEP_1) | instskip(SKIP_2) | instid1(VALU_DEP_1)
	v_rcp_f64_e32 v[75:76], v[58:59]
	s_waitcnt_depctr 0xfff
	v_fma_f64 v[77:78], -v[58:59], v[75:76], 1.0
	v_fma_f64 v[75:76], v[75:76], v[77:78], v[75:76]
	s_delay_alu instid0(VALU_DEP_1) | instskip(NEXT) | instid1(VALU_DEP_1)
	v_fma_f64 v[77:78], -v[58:59], v[75:76], 1.0
	v_fma_f64 v[75:76], v[75:76], v[77:78], v[75:76]
	v_div_scale_f64 v[77:78], vcc_lo, 1.0, v[56:57], 1.0
	s_delay_alu instid0(VALU_DEP_1) | instskip(NEXT) | instid1(VALU_DEP_1)
	v_mul_f64 v[79:80], v[77:78], v[75:76]
	v_fma_f64 v[58:59], -v[58:59], v[79:80], v[77:78]
	s_delay_alu instid0(VALU_DEP_1) | instskip(NEXT) | instid1(VALU_DEP_1)
	v_div_fmas_f64 v[58:59], v[58:59], v[75:76], v[79:80]
	v_div_fixup_f64 v[58:59], v[58:59], v[56:57], 1.0
	s_delay_alu instid0(VALU_DEP_1)
	v_mul_f64 v[56:57], v[73:74], v[58:59]
	v_xor_b32_e32 v59, 0x80000000, v59
.LBB26_154:
	s_and_not1_saveexec_b32 s2, s2
	s_cbranch_execz .LBB26_156
; %bb.155:
	s_delay_alu instid0(VALU_DEP_1) | instskip(SKIP_1) | instid1(VALU_DEP_2)
	v_div_scale_f64 v[73:74], null, v[56:57], v[56:57], v[58:59]
	v_div_scale_f64 v[79:80], vcc_lo, v[58:59], v[56:57], v[58:59]
	v_rcp_f64_e32 v[75:76], v[73:74]
	s_waitcnt_depctr 0xfff
	v_fma_f64 v[77:78], -v[73:74], v[75:76], 1.0
	s_delay_alu instid0(VALU_DEP_1) | instskip(NEXT) | instid1(VALU_DEP_1)
	v_fma_f64 v[75:76], v[75:76], v[77:78], v[75:76]
	v_fma_f64 v[77:78], -v[73:74], v[75:76], 1.0
	s_delay_alu instid0(VALU_DEP_1) | instskip(NEXT) | instid1(VALU_DEP_1)
	v_fma_f64 v[75:76], v[75:76], v[77:78], v[75:76]
	v_mul_f64 v[77:78], v[79:80], v[75:76]
	s_delay_alu instid0(VALU_DEP_1) | instskip(NEXT) | instid1(VALU_DEP_1)
	v_fma_f64 v[73:74], -v[73:74], v[77:78], v[79:80]
	v_div_fmas_f64 v[73:74], v[73:74], v[75:76], v[77:78]
	s_delay_alu instid0(VALU_DEP_1) | instskip(NEXT) | instid1(VALU_DEP_1)
	v_div_fixup_f64 v[73:74], v[73:74], v[56:57], v[58:59]
	v_fma_f64 v[56:57], v[58:59], v[73:74], v[56:57]
	s_delay_alu instid0(VALU_DEP_1) | instskip(NEXT) | instid1(VALU_DEP_1)
	v_div_scale_f64 v[58:59], null, v[56:57], v[56:57], 1.0
	v_rcp_f64_e32 v[75:76], v[58:59]
	s_waitcnt_depctr 0xfff
	v_fma_f64 v[77:78], -v[58:59], v[75:76], 1.0
	s_delay_alu instid0(VALU_DEP_1) | instskip(NEXT) | instid1(VALU_DEP_1)
	v_fma_f64 v[75:76], v[75:76], v[77:78], v[75:76]
	v_fma_f64 v[77:78], -v[58:59], v[75:76], 1.0
	s_delay_alu instid0(VALU_DEP_1) | instskip(SKIP_1) | instid1(VALU_DEP_1)
	v_fma_f64 v[75:76], v[75:76], v[77:78], v[75:76]
	v_div_scale_f64 v[77:78], vcc_lo, 1.0, v[56:57], 1.0
	v_mul_f64 v[79:80], v[77:78], v[75:76]
	s_delay_alu instid0(VALU_DEP_1) | instskip(NEXT) | instid1(VALU_DEP_1)
	v_fma_f64 v[58:59], -v[58:59], v[79:80], v[77:78]
	v_div_fmas_f64 v[58:59], v[58:59], v[75:76], v[79:80]
	s_delay_alu instid0(VALU_DEP_1) | instskip(NEXT) | instid1(VALU_DEP_1)
	v_div_fixup_f64 v[56:57], v[58:59], v[56:57], 1.0
	v_mul_f64 v[58:59], v[73:74], -v[56:57]
.LBB26_156:
	s_or_b32 exec_lo, exec_lo, s2
.LBB26_157:
	s_delay_alu instid0(SALU_CYCLE_1) | instskip(NEXT) | instid1(SALU_CYCLE_1)
	s_or_b32 exec_lo, exec_lo, s3
	s_mov_b32 s2, exec_lo
	v_cmpx_ne_u32_e64 v72, v64
	s_xor_b32 s2, exec_lo, s2
	s_cbranch_execz .LBB26_163
; %bb.158:
	s_mov_b32 s3, exec_lo
	v_cmpx_eq_u32_e32 7, v72
	s_cbranch_execz .LBB26_162
; %bb.159:
	v_cmp_ne_u32_e32 vcc_lo, 7, v64
	s_xor_b32 s6, s4, -1
	s_delay_alu instid0(SALU_CYCLE_1) | instskip(NEXT) | instid1(SALU_CYCLE_1)
	s_and_b32 s7, s6, vcc_lo
	s_and_saveexec_b32 s6, s7
	s_cbranch_execz .LBB26_161
; %bb.160:
	v_ashrrev_i32_e32 v65, 31, v64
	s_delay_alu instid0(VALU_DEP_1) | instskip(NEXT) | instid1(VALU_DEP_1)
	v_lshlrev_b64 v[72:73], 2, v[64:65]
	v_add_co_u32 v72, vcc_lo, v62, v72
	s_delay_alu instid0(VALU_DEP_2)
	v_add_co_ci_u32_e32 v73, vcc_lo, v63, v73, vcc_lo
	s_clause 0x1
	flat_load_b32 v65, v[72:73]
	flat_load_b32 v69, v[62:63] offset:28
	s_waitcnt vmcnt(1) lgkmcnt(1)
	flat_store_b32 v[62:63], v65 offset:28
	s_waitcnt vmcnt(0) lgkmcnt(1)
	flat_store_b32 v[72:73], v69
.LBB26_161:
	s_or_b32 exec_lo, exec_lo, s6
	v_mov_b32_e32 v72, v64
	v_mov_b32_e32 v69, v64
.LBB26_162:
	s_or_b32 exec_lo, exec_lo, s3
.LBB26_163:
	s_and_not1_saveexec_b32 s2, s2
	s_cbranch_execz .LBB26_165
; %bb.164:
	v_mov_b32_e32 v72, 7
	ds_store_2addr_b64 v66, v[32:33], v[34:35] offset0:16 offset1:17
	ds_store_2addr_b64 v66, v[16:17], v[18:19] offset0:18 offset1:19
	;; [unrolled: 1-line block ×6, first 2 shown]
.LBB26_165:
	s_or_b32 exec_lo, exec_lo, s2
	s_delay_alu instid0(SALU_CYCLE_1)
	s_mov_b32 s2, exec_lo
	s_waitcnt lgkmcnt(0)
	s_waitcnt_vscnt null, 0x0
	s_barrier
	buffer_gl0_inv
	v_cmpx_lt_i32_e32 7, v72
	s_cbranch_execz .LBB26_167
; %bb.166:
	v_mul_f64 v[64:65], v[56:57], v[22:23]
	v_mul_f64 v[22:23], v[58:59], v[22:23]
	ds_load_2addr_b64 v[73:76], v66 offset0:16 offset1:17
	ds_load_2addr_b64 v[77:80], v66 offset0:18 offset1:19
	ds_load_2addr_b64 v[81:84], v66 offset0:20 offset1:21
	ds_load_2addr_b64 v[85:88], v66 offset0:22 offset1:23
	ds_load_2addr_b64 v[89:92], v66 offset0:24 offset1:25
	ds_load_2addr_b64 v[93:96], v66 offset0:26 offset1:27
	v_fma_f64 v[58:59], v[58:59], v[20:21], v[64:65]
	v_fma_f64 v[20:21], v[56:57], v[20:21], -v[22:23]
	s_waitcnt lgkmcnt(5)
	s_delay_alu instid0(VALU_DEP_2)
	v_mul_f64 v[22:23], v[75:76], v[58:59]
	v_mul_f64 v[56:57], v[73:74], v[58:59]
	s_waitcnt lgkmcnt(4)
	v_mul_f64 v[64:65], v[79:80], v[58:59]
	v_mul_f64 v[97:98], v[77:78], v[58:59]
	s_waitcnt lgkmcnt(3)
	;; [unrolled: 3-line block ×5, first 2 shown]
	v_mul_f64 v[111:112], v[95:96], v[58:59]
	v_mul_f64 v[113:114], v[93:94], v[58:59]
	v_fma_f64 v[22:23], v[73:74], v[20:21], -v[22:23]
	v_fma_f64 v[56:57], v[75:76], v[20:21], v[56:57]
	v_fma_f64 v[64:65], v[77:78], v[20:21], -v[64:65]
	v_fma_f64 v[73:74], v[79:80], v[20:21], v[97:98]
	;; [unrolled: 2-line block ×6, first 2 shown]
	v_add_f64 v[32:33], v[32:33], -v[22:23]
	v_add_f64 v[34:35], v[34:35], -v[56:57]
	;; [unrolled: 1-line block ×12, first 2 shown]
	v_dual_mov_b32 v22, v58 :: v_dual_mov_b32 v23, v59
.LBB26_167:
	s_or_b32 exec_lo, exec_lo, s2
	v_lshl_add_u32 v56, v72, 4, v66
	s_barrier
	buffer_gl0_inv
	v_mov_b32_e32 v64, 8
	ds_store_2addr_b64 v56, v[32:33], v[34:35] offset1:1
	s_waitcnt lgkmcnt(0)
	s_barrier
	buffer_gl0_inv
	ds_load_2addr_b64 v[56:59], v66 offset0:16 offset1:17
	s_cmp_lt_i32 s5, 10
	s_cbranch_scc1 .LBB26_170
; %bb.168:
	v_add3_u32 v65, v71, 0, 0x90
	v_mov_b32_e32 v64, 8
	s_mov_b32 s6, 9
	s_set_inst_prefetch_distance 0x1
	.p2align	6
.LBB26_169:                             ; =>This Inner Loop Header: Depth=1
	ds_load_2addr_b64 v[73:76], v65 offset1:1
	s_waitcnt lgkmcnt(1)
	v_cmp_gt_f64_e32 vcc_lo, 0, v[56:57]
	v_xor_b32_e32 v77, 0x80000000, v57
	v_cmp_gt_f64_e64 s2, 0, v[58:59]
	v_xor_b32_e32 v79, 0x80000000, v59
	v_add_nc_u32_e32 v65, 16, v65
	s_waitcnt lgkmcnt(0)
	v_cmp_gt_f64_e64 s3, 0, v[73:74]
	v_mov_b32_e32 v81, v73
	v_dual_mov_b32 v83, v75 :: v_dual_cndmask_b32 v78, v57, v77
	v_xor_b32_e32 v77, 0x80000000, v74
	v_cndmask_b32_e64 v80, v59, v79, s2
	v_xor_b32_e32 v79, 0x80000000, v76
	s_delay_alu instid0(VALU_DEP_3) | instskip(SKIP_2) | instid1(VALU_DEP_2)
	v_cndmask_b32_e64 v82, v74, v77, s3
	v_cmp_gt_f64_e64 s3, 0, v[75:76]
	v_cndmask_b32_e32 v77, v56, v56, vcc_lo
	v_cndmask_b32_e64 v84, v76, v79, s3
	v_cndmask_b32_e64 v79, v58, v58, s2
	s_delay_alu instid0(VALU_DEP_2) | instskip(NEXT) | instid1(VALU_DEP_2)
	v_add_f64 v[81:82], v[81:82], v[83:84]
	v_add_f64 v[77:78], v[77:78], v[79:80]
	s_delay_alu instid0(VALU_DEP_1) | instskip(SKIP_4) | instid1(SALU_CYCLE_1)
	v_cmp_lt_f64_e32 vcc_lo, v[77:78], v[81:82]
	v_dual_cndmask_b32 v58, v58, v75 :: v_dual_cndmask_b32 v57, v57, v74
	v_dual_cndmask_b32 v56, v56, v73 :: v_dual_cndmask_b32 v59, v59, v76
	v_cndmask_b32_e64 v64, v64, s6, vcc_lo
	s_add_i32 s6, s6, 1
	s_cmp_lg_u32 s5, s6
	s_cbranch_scc1 .LBB26_169
.LBB26_170:
	s_set_inst_prefetch_distance 0x2
	s_waitcnt lgkmcnt(0)
	v_cmp_eq_f64_e32 vcc_lo, 0, v[56:57]
	v_cmp_eq_f64_e64 s2, 0, v[58:59]
	s_delay_alu instid0(VALU_DEP_1) | instskip(NEXT) | instid1(SALU_CYCLE_1)
	s_and_b32 s2, vcc_lo, s2
	s_and_saveexec_b32 s3, s2
	s_delay_alu instid0(SALU_CYCLE_1)
	s_xor_b32 s2, exec_lo, s3
; %bb.171:
	v_cmp_ne_u32_e32 vcc_lo, 0, v70
	v_cndmask_b32_e32 v70, 9, v70, vcc_lo
; %bb.172:
	s_and_not1_saveexec_b32 s3, s2
	s_cbranch_execz .LBB26_178
; %bb.173:
	v_cmp_gt_f64_e32 vcc_lo, 0, v[56:57]
	v_cmp_gt_f64_e64 s2, 0, v[58:59]
	v_xor_b32_e32 v65, 0x80000000, v57
	v_xor_b32_e32 v73, 0x80000000, v59
	s_delay_alu instid0(VALU_DEP_2) | instskip(NEXT) | instid1(VALU_DEP_2)
	v_cndmask_b32_e32 v74, v57, v65, vcc_lo
	v_cndmask_b32_e64 v76, v59, v73, s2
	v_cndmask_b32_e32 v73, v56, v56, vcc_lo
	v_cndmask_b32_e64 v75, v58, v58, s2
	s_mov_b32 s2, exec_lo
	s_delay_alu instid0(VALU_DEP_1)
	v_cmpx_ngt_f64_e32 v[73:74], v[75:76]
	s_xor_b32 s2, exec_lo, s2
	s_cbranch_execz .LBB26_175
; %bb.174:
	v_div_scale_f64 v[73:74], null, v[58:59], v[58:59], v[56:57]
	v_div_scale_f64 v[79:80], vcc_lo, v[56:57], v[58:59], v[56:57]
	s_delay_alu instid0(VALU_DEP_2) | instskip(SKIP_2) | instid1(VALU_DEP_1)
	v_rcp_f64_e32 v[75:76], v[73:74]
	s_waitcnt_depctr 0xfff
	v_fma_f64 v[77:78], -v[73:74], v[75:76], 1.0
	v_fma_f64 v[75:76], v[75:76], v[77:78], v[75:76]
	s_delay_alu instid0(VALU_DEP_1) | instskip(NEXT) | instid1(VALU_DEP_1)
	v_fma_f64 v[77:78], -v[73:74], v[75:76], 1.0
	v_fma_f64 v[75:76], v[75:76], v[77:78], v[75:76]
	s_delay_alu instid0(VALU_DEP_1) | instskip(NEXT) | instid1(VALU_DEP_1)
	v_mul_f64 v[77:78], v[79:80], v[75:76]
	v_fma_f64 v[73:74], -v[73:74], v[77:78], v[79:80]
	s_delay_alu instid0(VALU_DEP_1) | instskip(NEXT) | instid1(VALU_DEP_1)
	v_div_fmas_f64 v[73:74], v[73:74], v[75:76], v[77:78]
	v_div_fixup_f64 v[73:74], v[73:74], v[58:59], v[56:57]
	s_delay_alu instid0(VALU_DEP_1) | instskip(NEXT) | instid1(VALU_DEP_1)
	v_fma_f64 v[56:57], v[56:57], v[73:74], v[58:59]
	v_div_scale_f64 v[58:59], null, v[56:57], v[56:57], 1.0
	s_delay_alu instid0(VALU_DEP_1) | instskip(SKIP_2) | instid1(VALU_DEP_1)
	v_rcp_f64_e32 v[75:76], v[58:59]
	s_waitcnt_depctr 0xfff
	v_fma_f64 v[77:78], -v[58:59], v[75:76], 1.0
	v_fma_f64 v[75:76], v[75:76], v[77:78], v[75:76]
	s_delay_alu instid0(VALU_DEP_1) | instskip(NEXT) | instid1(VALU_DEP_1)
	v_fma_f64 v[77:78], -v[58:59], v[75:76], 1.0
	v_fma_f64 v[75:76], v[75:76], v[77:78], v[75:76]
	v_div_scale_f64 v[77:78], vcc_lo, 1.0, v[56:57], 1.0
	s_delay_alu instid0(VALU_DEP_1) | instskip(NEXT) | instid1(VALU_DEP_1)
	v_mul_f64 v[79:80], v[77:78], v[75:76]
	v_fma_f64 v[58:59], -v[58:59], v[79:80], v[77:78]
	s_delay_alu instid0(VALU_DEP_1) | instskip(NEXT) | instid1(VALU_DEP_1)
	v_div_fmas_f64 v[58:59], v[58:59], v[75:76], v[79:80]
	v_div_fixup_f64 v[58:59], v[58:59], v[56:57], 1.0
	s_delay_alu instid0(VALU_DEP_1)
	v_mul_f64 v[56:57], v[73:74], v[58:59]
	v_xor_b32_e32 v59, 0x80000000, v59
.LBB26_175:
	s_and_not1_saveexec_b32 s2, s2
	s_cbranch_execz .LBB26_177
; %bb.176:
	s_delay_alu instid0(VALU_DEP_1) | instskip(SKIP_1) | instid1(VALU_DEP_2)
	v_div_scale_f64 v[73:74], null, v[56:57], v[56:57], v[58:59]
	v_div_scale_f64 v[79:80], vcc_lo, v[58:59], v[56:57], v[58:59]
	v_rcp_f64_e32 v[75:76], v[73:74]
	s_waitcnt_depctr 0xfff
	v_fma_f64 v[77:78], -v[73:74], v[75:76], 1.0
	s_delay_alu instid0(VALU_DEP_1) | instskip(NEXT) | instid1(VALU_DEP_1)
	v_fma_f64 v[75:76], v[75:76], v[77:78], v[75:76]
	v_fma_f64 v[77:78], -v[73:74], v[75:76], 1.0
	s_delay_alu instid0(VALU_DEP_1) | instskip(NEXT) | instid1(VALU_DEP_1)
	v_fma_f64 v[75:76], v[75:76], v[77:78], v[75:76]
	v_mul_f64 v[77:78], v[79:80], v[75:76]
	s_delay_alu instid0(VALU_DEP_1) | instskip(NEXT) | instid1(VALU_DEP_1)
	v_fma_f64 v[73:74], -v[73:74], v[77:78], v[79:80]
	v_div_fmas_f64 v[73:74], v[73:74], v[75:76], v[77:78]
	s_delay_alu instid0(VALU_DEP_1) | instskip(NEXT) | instid1(VALU_DEP_1)
	v_div_fixup_f64 v[73:74], v[73:74], v[56:57], v[58:59]
	v_fma_f64 v[56:57], v[58:59], v[73:74], v[56:57]
	s_delay_alu instid0(VALU_DEP_1) | instskip(NEXT) | instid1(VALU_DEP_1)
	v_div_scale_f64 v[58:59], null, v[56:57], v[56:57], 1.0
	v_rcp_f64_e32 v[75:76], v[58:59]
	s_waitcnt_depctr 0xfff
	v_fma_f64 v[77:78], -v[58:59], v[75:76], 1.0
	s_delay_alu instid0(VALU_DEP_1) | instskip(NEXT) | instid1(VALU_DEP_1)
	v_fma_f64 v[75:76], v[75:76], v[77:78], v[75:76]
	v_fma_f64 v[77:78], -v[58:59], v[75:76], 1.0
	s_delay_alu instid0(VALU_DEP_1) | instskip(SKIP_1) | instid1(VALU_DEP_1)
	v_fma_f64 v[75:76], v[75:76], v[77:78], v[75:76]
	v_div_scale_f64 v[77:78], vcc_lo, 1.0, v[56:57], 1.0
	v_mul_f64 v[79:80], v[77:78], v[75:76]
	s_delay_alu instid0(VALU_DEP_1) | instskip(NEXT) | instid1(VALU_DEP_1)
	v_fma_f64 v[58:59], -v[58:59], v[79:80], v[77:78]
	v_div_fmas_f64 v[58:59], v[58:59], v[75:76], v[79:80]
	s_delay_alu instid0(VALU_DEP_1) | instskip(NEXT) | instid1(VALU_DEP_1)
	v_div_fixup_f64 v[56:57], v[58:59], v[56:57], 1.0
	v_mul_f64 v[58:59], v[73:74], -v[56:57]
.LBB26_177:
	s_or_b32 exec_lo, exec_lo, s2
.LBB26_178:
	s_delay_alu instid0(SALU_CYCLE_1) | instskip(NEXT) | instid1(SALU_CYCLE_1)
	s_or_b32 exec_lo, exec_lo, s3
	s_mov_b32 s2, exec_lo
	v_cmpx_ne_u32_e64 v72, v64
	s_xor_b32 s2, exec_lo, s2
	s_cbranch_execz .LBB26_184
; %bb.179:
	s_mov_b32 s3, exec_lo
	v_cmpx_eq_u32_e32 8, v72
	s_cbranch_execz .LBB26_183
; %bb.180:
	v_cmp_ne_u32_e32 vcc_lo, 8, v64
	s_xor_b32 s6, s4, -1
	s_delay_alu instid0(SALU_CYCLE_1) | instskip(NEXT) | instid1(SALU_CYCLE_1)
	s_and_b32 s7, s6, vcc_lo
	s_and_saveexec_b32 s6, s7
	s_cbranch_execz .LBB26_182
; %bb.181:
	v_ashrrev_i32_e32 v65, 31, v64
	s_delay_alu instid0(VALU_DEP_1) | instskip(NEXT) | instid1(VALU_DEP_1)
	v_lshlrev_b64 v[72:73], 2, v[64:65]
	v_add_co_u32 v72, vcc_lo, v62, v72
	s_delay_alu instid0(VALU_DEP_2)
	v_add_co_ci_u32_e32 v73, vcc_lo, v63, v73, vcc_lo
	s_clause 0x1
	flat_load_b32 v65, v[72:73]
	flat_load_b32 v69, v[62:63] offset:32
	s_waitcnt vmcnt(1) lgkmcnt(1)
	flat_store_b32 v[62:63], v65 offset:32
	s_waitcnt vmcnt(0) lgkmcnt(1)
	flat_store_b32 v[72:73], v69
.LBB26_182:
	s_or_b32 exec_lo, exec_lo, s6
	v_mov_b32_e32 v72, v64
	v_mov_b32_e32 v69, v64
.LBB26_183:
	s_or_b32 exec_lo, exec_lo, s3
.LBB26_184:
	s_and_not1_saveexec_b32 s2, s2
	s_cbranch_execz .LBB26_186
; %bb.185:
	v_mov_b32_e32 v72, 8
	ds_store_2addr_b64 v66, v[16:17], v[18:19] offset0:18 offset1:19
	ds_store_2addr_b64 v66, v[12:13], v[14:15] offset0:20 offset1:21
	;; [unrolled: 1-line block ×5, first 2 shown]
.LBB26_186:
	s_or_b32 exec_lo, exec_lo, s2
	s_delay_alu instid0(SALU_CYCLE_1)
	s_mov_b32 s2, exec_lo
	s_waitcnt lgkmcnt(0)
	s_waitcnt_vscnt null, 0x0
	s_barrier
	buffer_gl0_inv
	v_cmpx_lt_i32_e32 8, v72
	s_cbranch_execz .LBB26_188
; %bb.187:
	v_mul_f64 v[64:65], v[56:57], v[34:35]
	v_mul_f64 v[34:35], v[58:59], v[34:35]
	ds_load_2addr_b64 v[73:76], v66 offset0:18 offset1:19
	ds_load_2addr_b64 v[77:80], v66 offset0:20 offset1:21
	;; [unrolled: 1-line block ×5, first 2 shown]
	v_fma_f64 v[58:59], v[58:59], v[32:33], v[64:65]
	v_fma_f64 v[32:33], v[56:57], v[32:33], -v[34:35]
	s_waitcnt lgkmcnt(4)
	s_delay_alu instid0(VALU_DEP_2)
	v_mul_f64 v[34:35], v[75:76], v[58:59]
	v_mul_f64 v[56:57], v[73:74], v[58:59]
	s_waitcnt lgkmcnt(3)
	v_mul_f64 v[64:65], v[79:80], v[58:59]
	v_mul_f64 v[93:94], v[77:78], v[58:59]
	s_waitcnt lgkmcnt(2)
	;; [unrolled: 3-line block ×4, first 2 shown]
	v_mul_f64 v[103:104], v[91:92], v[58:59]
	v_mul_f64 v[105:106], v[89:90], v[58:59]
	v_fma_f64 v[34:35], v[73:74], v[32:33], -v[34:35]
	v_fma_f64 v[56:57], v[75:76], v[32:33], v[56:57]
	v_fma_f64 v[64:65], v[77:78], v[32:33], -v[64:65]
	v_fma_f64 v[73:74], v[79:80], v[32:33], v[93:94]
	;; [unrolled: 2-line block ×5, first 2 shown]
	v_add_f64 v[16:17], v[16:17], -v[34:35]
	v_add_f64 v[18:19], v[18:19], -v[56:57]
	;; [unrolled: 1-line block ×10, first 2 shown]
	v_dual_mov_b32 v34, v58 :: v_dual_mov_b32 v35, v59
.LBB26_188:
	s_or_b32 exec_lo, exec_lo, s2
	v_lshl_add_u32 v56, v72, 4, v66
	s_barrier
	buffer_gl0_inv
	v_mov_b32_e32 v64, 9
	ds_store_2addr_b64 v56, v[16:17], v[18:19] offset1:1
	s_waitcnt lgkmcnt(0)
	s_barrier
	buffer_gl0_inv
	ds_load_2addr_b64 v[56:59], v66 offset0:18 offset1:19
	s_cmp_lt_i32 s5, 11
	s_cbranch_scc1 .LBB26_191
; %bb.189:
	v_add3_u32 v65, v71, 0, 0xa0
	v_mov_b32_e32 v64, 9
	s_mov_b32 s6, 10
	s_set_inst_prefetch_distance 0x1
	.p2align	6
.LBB26_190:                             ; =>This Inner Loop Header: Depth=1
	ds_load_2addr_b64 v[73:76], v65 offset1:1
	s_waitcnt lgkmcnt(1)
	v_cmp_gt_f64_e32 vcc_lo, 0, v[56:57]
	v_xor_b32_e32 v77, 0x80000000, v57
	v_cmp_gt_f64_e64 s2, 0, v[58:59]
	v_xor_b32_e32 v79, 0x80000000, v59
	v_add_nc_u32_e32 v65, 16, v65
	s_waitcnt lgkmcnt(0)
	v_cmp_gt_f64_e64 s3, 0, v[73:74]
	v_mov_b32_e32 v81, v73
	v_dual_mov_b32 v83, v75 :: v_dual_cndmask_b32 v78, v57, v77
	v_xor_b32_e32 v77, 0x80000000, v74
	v_cndmask_b32_e64 v80, v59, v79, s2
	v_xor_b32_e32 v79, 0x80000000, v76
	s_delay_alu instid0(VALU_DEP_3) | instskip(SKIP_2) | instid1(VALU_DEP_2)
	v_cndmask_b32_e64 v82, v74, v77, s3
	v_cmp_gt_f64_e64 s3, 0, v[75:76]
	v_cndmask_b32_e32 v77, v56, v56, vcc_lo
	v_cndmask_b32_e64 v84, v76, v79, s3
	v_cndmask_b32_e64 v79, v58, v58, s2
	s_delay_alu instid0(VALU_DEP_2) | instskip(NEXT) | instid1(VALU_DEP_2)
	v_add_f64 v[81:82], v[81:82], v[83:84]
	v_add_f64 v[77:78], v[77:78], v[79:80]
	s_delay_alu instid0(VALU_DEP_1) | instskip(SKIP_4) | instid1(SALU_CYCLE_1)
	v_cmp_lt_f64_e32 vcc_lo, v[77:78], v[81:82]
	v_dual_cndmask_b32 v58, v58, v75 :: v_dual_cndmask_b32 v57, v57, v74
	v_dual_cndmask_b32 v56, v56, v73 :: v_dual_cndmask_b32 v59, v59, v76
	v_cndmask_b32_e64 v64, v64, s6, vcc_lo
	s_add_i32 s6, s6, 1
	s_cmp_lg_u32 s5, s6
	s_cbranch_scc1 .LBB26_190
.LBB26_191:
	s_set_inst_prefetch_distance 0x2
	s_waitcnt lgkmcnt(0)
	v_cmp_eq_f64_e32 vcc_lo, 0, v[56:57]
	v_cmp_eq_f64_e64 s2, 0, v[58:59]
	s_delay_alu instid0(VALU_DEP_1) | instskip(NEXT) | instid1(SALU_CYCLE_1)
	s_and_b32 s2, vcc_lo, s2
	s_and_saveexec_b32 s3, s2
	s_delay_alu instid0(SALU_CYCLE_1)
	s_xor_b32 s2, exec_lo, s3
; %bb.192:
	v_cmp_ne_u32_e32 vcc_lo, 0, v70
	v_cndmask_b32_e32 v70, 10, v70, vcc_lo
; %bb.193:
	s_and_not1_saveexec_b32 s3, s2
	s_cbranch_execz .LBB26_199
; %bb.194:
	v_cmp_gt_f64_e32 vcc_lo, 0, v[56:57]
	v_cmp_gt_f64_e64 s2, 0, v[58:59]
	v_xor_b32_e32 v65, 0x80000000, v57
	v_xor_b32_e32 v73, 0x80000000, v59
	s_delay_alu instid0(VALU_DEP_2) | instskip(NEXT) | instid1(VALU_DEP_2)
	v_cndmask_b32_e32 v74, v57, v65, vcc_lo
	v_cndmask_b32_e64 v76, v59, v73, s2
	v_cndmask_b32_e32 v73, v56, v56, vcc_lo
	v_cndmask_b32_e64 v75, v58, v58, s2
	s_mov_b32 s2, exec_lo
	s_delay_alu instid0(VALU_DEP_1)
	v_cmpx_ngt_f64_e32 v[73:74], v[75:76]
	s_xor_b32 s2, exec_lo, s2
	s_cbranch_execz .LBB26_196
; %bb.195:
	v_div_scale_f64 v[73:74], null, v[58:59], v[58:59], v[56:57]
	v_div_scale_f64 v[79:80], vcc_lo, v[56:57], v[58:59], v[56:57]
	s_delay_alu instid0(VALU_DEP_2) | instskip(SKIP_2) | instid1(VALU_DEP_1)
	v_rcp_f64_e32 v[75:76], v[73:74]
	s_waitcnt_depctr 0xfff
	v_fma_f64 v[77:78], -v[73:74], v[75:76], 1.0
	v_fma_f64 v[75:76], v[75:76], v[77:78], v[75:76]
	s_delay_alu instid0(VALU_DEP_1) | instskip(NEXT) | instid1(VALU_DEP_1)
	v_fma_f64 v[77:78], -v[73:74], v[75:76], 1.0
	v_fma_f64 v[75:76], v[75:76], v[77:78], v[75:76]
	s_delay_alu instid0(VALU_DEP_1) | instskip(NEXT) | instid1(VALU_DEP_1)
	v_mul_f64 v[77:78], v[79:80], v[75:76]
	v_fma_f64 v[73:74], -v[73:74], v[77:78], v[79:80]
	s_delay_alu instid0(VALU_DEP_1) | instskip(NEXT) | instid1(VALU_DEP_1)
	v_div_fmas_f64 v[73:74], v[73:74], v[75:76], v[77:78]
	v_div_fixup_f64 v[73:74], v[73:74], v[58:59], v[56:57]
	s_delay_alu instid0(VALU_DEP_1) | instskip(NEXT) | instid1(VALU_DEP_1)
	v_fma_f64 v[56:57], v[56:57], v[73:74], v[58:59]
	v_div_scale_f64 v[58:59], null, v[56:57], v[56:57], 1.0
	s_delay_alu instid0(VALU_DEP_1) | instskip(SKIP_2) | instid1(VALU_DEP_1)
	v_rcp_f64_e32 v[75:76], v[58:59]
	s_waitcnt_depctr 0xfff
	v_fma_f64 v[77:78], -v[58:59], v[75:76], 1.0
	v_fma_f64 v[75:76], v[75:76], v[77:78], v[75:76]
	s_delay_alu instid0(VALU_DEP_1) | instskip(NEXT) | instid1(VALU_DEP_1)
	v_fma_f64 v[77:78], -v[58:59], v[75:76], 1.0
	v_fma_f64 v[75:76], v[75:76], v[77:78], v[75:76]
	v_div_scale_f64 v[77:78], vcc_lo, 1.0, v[56:57], 1.0
	s_delay_alu instid0(VALU_DEP_1) | instskip(NEXT) | instid1(VALU_DEP_1)
	v_mul_f64 v[79:80], v[77:78], v[75:76]
	v_fma_f64 v[58:59], -v[58:59], v[79:80], v[77:78]
	s_delay_alu instid0(VALU_DEP_1) | instskip(NEXT) | instid1(VALU_DEP_1)
	v_div_fmas_f64 v[58:59], v[58:59], v[75:76], v[79:80]
	v_div_fixup_f64 v[58:59], v[58:59], v[56:57], 1.0
	s_delay_alu instid0(VALU_DEP_1)
	v_mul_f64 v[56:57], v[73:74], v[58:59]
	v_xor_b32_e32 v59, 0x80000000, v59
.LBB26_196:
	s_and_not1_saveexec_b32 s2, s2
	s_cbranch_execz .LBB26_198
; %bb.197:
	s_delay_alu instid0(VALU_DEP_1) | instskip(SKIP_1) | instid1(VALU_DEP_2)
	v_div_scale_f64 v[73:74], null, v[56:57], v[56:57], v[58:59]
	v_div_scale_f64 v[79:80], vcc_lo, v[58:59], v[56:57], v[58:59]
	v_rcp_f64_e32 v[75:76], v[73:74]
	s_waitcnt_depctr 0xfff
	v_fma_f64 v[77:78], -v[73:74], v[75:76], 1.0
	s_delay_alu instid0(VALU_DEP_1) | instskip(NEXT) | instid1(VALU_DEP_1)
	v_fma_f64 v[75:76], v[75:76], v[77:78], v[75:76]
	v_fma_f64 v[77:78], -v[73:74], v[75:76], 1.0
	s_delay_alu instid0(VALU_DEP_1) | instskip(NEXT) | instid1(VALU_DEP_1)
	v_fma_f64 v[75:76], v[75:76], v[77:78], v[75:76]
	v_mul_f64 v[77:78], v[79:80], v[75:76]
	s_delay_alu instid0(VALU_DEP_1) | instskip(NEXT) | instid1(VALU_DEP_1)
	v_fma_f64 v[73:74], -v[73:74], v[77:78], v[79:80]
	v_div_fmas_f64 v[73:74], v[73:74], v[75:76], v[77:78]
	s_delay_alu instid0(VALU_DEP_1) | instskip(NEXT) | instid1(VALU_DEP_1)
	v_div_fixup_f64 v[73:74], v[73:74], v[56:57], v[58:59]
	v_fma_f64 v[56:57], v[58:59], v[73:74], v[56:57]
	s_delay_alu instid0(VALU_DEP_1) | instskip(NEXT) | instid1(VALU_DEP_1)
	v_div_scale_f64 v[58:59], null, v[56:57], v[56:57], 1.0
	v_rcp_f64_e32 v[75:76], v[58:59]
	s_waitcnt_depctr 0xfff
	v_fma_f64 v[77:78], -v[58:59], v[75:76], 1.0
	s_delay_alu instid0(VALU_DEP_1) | instskip(NEXT) | instid1(VALU_DEP_1)
	v_fma_f64 v[75:76], v[75:76], v[77:78], v[75:76]
	v_fma_f64 v[77:78], -v[58:59], v[75:76], 1.0
	s_delay_alu instid0(VALU_DEP_1) | instskip(SKIP_1) | instid1(VALU_DEP_1)
	v_fma_f64 v[75:76], v[75:76], v[77:78], v[75:76]
	v_div_scale_f64 v[77:78], vcc_lo, 1.0, v[56:57], 1.0
	v_mul_f64 v[79:80], v[77:78], v[75:76]
	s_delay_alu instid0(VALU_DEP_1) | instskip(NEXT) | instid1(VALU_DEP_1)
	v_fma_f64 v[58:59], -v[58:59], v[79:80], v[77:78]
	v_div_fmas_f64 v[58:59], v[58:59], v[75:76], v[79:80]
	s_delay_alu instid0(VALU_DEP_1) | instskip(NEXT) | instid1(VALU_DEP_1)
	v_div_fixup_f64 v[56:57], v[58:59], v[56:57], 1.0
	v_mul_f64 v[58:59], v[73:74], -v[56:57]
.LBB26_198:
	s_or_b32 exec_lo, exec_lo, s2
.LBB26_199:
	s_delay_alu instid0(SALU_CYCLE_1) | instskip(NEXT) | instid1(SALU_CYCLE_1)
	s_or_b32 exec_lo, exec_lo, s3
	s_mov_b32 s2, exec_lo
	v_cmpx_ne_u32_e64 v72, v64
	s_xor_b32 s2, exec_lo, s2
	s_cbranch_execz .LBB26_205
; %bb.200:
	s_mov_b32 s3, exec_lo
	v_cmpx_eq_u32_e32 9, v72
	s_cbranch_execz .LBB26_204
; %bb.201:
	v_cmp_ne_u32_e32 vcc_lo, 9, v64
	s_xor_b32 s6, s4, -1
	s_delay_alu instid0(SALU_CYCLE_1) | instskip(NEXT) | instid1(SALU_CYCLE_1)
	s_and_b32 s7, s6, vcc_lo
	s_and_saveexec_b32 s6, s7
	s_cbranch_execz .LBB26_203
; %bb.202:
	v_ashrrev_i32_e32 v65, 31, v64
	s_delay_alu instid0(VALU_DEP_1) | instskip(NEXT) | instid1(VALU_DEP_1)
	v_lshlrev_b64 v[72:73], 2, v[64:65]
	v_add_co_u32 v72, vcc_lo, v62, v72
	s_delay_alu instid0(VALU_DEP_2)
	v_add_co_ci_u32_e32 v73, vcc_lo, v63, v73, vcc_lo
	s_clause 0x1
	flat_load_b32 v65, v[72:73]
	flat_load_b32 v69, v[62:63] offset:36
	s_waitcnt vmcnt(1) lgkmcnt(1)
	flat_store_b32 v[62:63], v65 offset:36
	s_waitcnt vmcnt(0) lgkmcnt(1)
	flat_store_b32 v[72:73], v69
.LBB26_203:
	s_or_b32 exec_lo, exec_lo, s6
	v_mov_b32_e32 v72, v64
	v_mov_b32_e32 v69, v64
.LBB26_204:
	s_or_b32 exec_lo, exec_lo, s3
.LBB26_205:
	s_and_not1_saveexec_b32 s2, s2
	s_cbranch_execz .LBB26_207
; %bb.206:
	v_mov_b32_e32 v72, 9
	ds_store_2addr_b64 v66, v[12:13], v[14:15] offset0:20 offset1:21
	ds_store_2addr_b64 v66, v[8:9], v[10:11] offset0:22 offset1:23
	ds_store_2addr_b64 v66, v[4:5], v[6:7] offset0:24 offset1:25
	ds_store_2addr_b64 v66, v[0:1], v[2:3] offset0:26 offset1:27
.LBB26_207:
	s_or_b32 exec_lo, exec_lo, s2
	s_delay_alu instid0(SALU_CYCLE_1)
	s_mov_b32 s2, exec_lo
	s_waitcnt lgkmcnt(0)
	s_waitcnt_vscnt null, 0x0
	s_barrier
	buffer_gl0_inv
	v_cmpx_lt_i32_e32 9, v72
	s_cbranch_execz .LBB26_209
; %bb.208:
	v_mul_f64 v[64:65], v[56:57], v[18:19]
	v_mul_f64 v[18:19], v[58:59], v[18:19]
	ds_load_2addr_b64 v[73:76], v66 offset0:20 offset1:21
	ds_load_2addr_b64 v[77:80], v66 offset0:22 offset1:23
	;; [unrolled: 1-line block ×4, first 2 shown]
	v_fma_f64 v[58:59], v[58:59], v[16:17], v[64:65]
	v_fma_f64 v[16:17], v[56:57], v[16:17], -v[18:19]
	s_waitcnt lgkmcnt(3)
	s_delay_alu instid0(VALU_DEP_2)
	v_mul_f64 v[18:19], v[75:76], v[58:59]
	v_mul_f64 v[56:57], v[73:74], v[58:59]
	s_waitcnt lgkmcnt(2)
	v_mul_f64 v[64:65], v[79:80], v[58:59]
	v_mul_f64 v[89:90], v[77:78], v[58:59]
	s_waitcnt lgkmcnt(1)
	;; [unrolled: 3-line block ×3, first 2 shown]
	v_mul_f64 v[95:96], v[87:88], v[58:59]
	v_mul_f64 v[97:98], v[85:86], v[58:59]
	v_fma_f64 v[18:19], v[73:74], v[16:17], -v[18:19]
	v_fma_f64 v[56:57], v[75:76], v[16:17], v[56:57]
	v_fma_f64 v[64:65], v[77:78], v[16:17], -v[64:65]
	v_fma_f64 v[73:74], v[79:80], v[16:17], v[89:90]
	;; [unrolled: 2-line block ×4, first 2 shown]
	v_add_f64 v[12:13], v[12:13], -v[18:19]
	v_add_f64 v[14:15], v[14:15], -v[56:57]
	v_add_f64 v[8:9], v[8:9], -v[64:65]
	v_add_f64 v[10:11], v[10:11], -v[73:74]
	v_add_f64 v[4:5], v[4:5], -v[75:76]
	v_add_f64 v[6:7], v[6:7], -v[77:78]
	v_add_f64 v[0:1], v[0:1], -v[79:80]
	v_add_f64 v[2:3], v[2:3], -v[81:82]
	v_dual_mov_b32 v18, v58 :: v_dual_mov_b32 v19, v59
.LBB26_209:
	s_or_b32 exec_lo, exec_lo, s2
	v_lshl_add_u32 v56, v72, 4, v66
	s_barrier
	buffer_gl0_inv
	v_mov_b32_e32 v64, 10
	ds_store_2addr_b64 v56, v[12:13], v[14:15] offset1:1
	s_waitcnt lgkmcnt(0)
	s_barrier
	buffer_gl0_inv
	ds_load_2addr_b64 v[56:59], v66 offset0:20 offset1:21
	s_cmp_lt_i32 s5, 12
	s_cbranch_scc1 .LBB26_212
; %bb.210:
	v_add3_u32 v65, v71, 0, 0xb0
	v_mov_b32_e32 v64, 10
	s_mov_b32 s6, 11
	s_set_inst_prefetch_distance 0x1
	.p2align	6
.LBB26_211:                             ; =>This Inner Loop Header: Depth=1
	ds_load_2addr_b64 v[73:76], v65 offset1:1
	s_waitcnt lgkmcnt(1)
	v_cmp_gt_f64_e32 vcc_lo, 0, v[56:57]
	v_xor_b32_e32 v77, 0x80000000, v57
	v_cmp_gt_f64_e64 s2, 0, v[58:59]
	v_xor_b32_e32 v79, 0x80000000, v59
	v_add_nc_u32_e32 v65, 16, v65
	s_waitcnt lgkmcnt(0)
	v_cmp_gt_f64_e64 s3, 0, v[73:74]
	v_mov_b32_e32 v81, v73
	v_dual_mov_b32 v83, v75 :: v_dual_cndmask_b32 v78, v57, v77
	v_xor_b32_e32 v77, 0x80000000, v74
	v_cndmask_b32_e64 v80, v59, v79, s2
	v_xor_b32_e32 v79, 0x80000000, v76
	s_delay_alu instid0(VALU_DEP_3) | instskip(SKIP_2) | instid1(VALU_DEP_2)
	v_cndmask_b32_e64 v82, v74, v77, s3
	v_cmp_gt_f64_e64 s3, 0, v[75:76]
	v_cndmask_b32_e32 v77, v56, v56, vcc_lo
	v_cndmask_b32_e64 v84, v76, v79, s3
	v_cndmask_b32_e64 v79, v58, v58, s2
	s_delay_alu instid0(VALU_DEP_2) | instskip(NEXT) | instid1(VALU_DEP_2)
	v_add_f64 v[81:82], v[81:82], v[83:84]
	v_add_f64 v[77:78], v[77:78], v[79:80]
	s_delay_alu instid0(VALU_DEP_1) | instskip(SKIP_4) | instid1(SALU_CYCLE_1)
	v_cmp_lt_f64_e32 vcc_lo, v[77:78], v[81:82]
	v_dual_cndmask_b32 v58, v58, v75 :: v_dual_cndmask_b32 v57, v57, v74
	v_dual_cndmask_b32 v56, v56, v73 :: v_dual_cndmask_b32 v59, v59, v76
	v_cndmask_b32_e64 v64, v64, s6, vcc_lo
	s_add_i32 s6, s6, 1
	s_cmp_lg_u32 s5, s6
	s_cbranch_scc1 .LBB26_211
.LBB26_212:
	s_set_inst_prefetch_distance 0x2
	s_waitcnt lgkmcnt(0)
	v_cmp_eq_f64_e32 vcc_lo, 0, v[56:57]
	v_cmp_eq_f64_e64 s2, 0, v[58:59]
	s_delay_alu instid0(VALU_DEP_1) | instskip(NEXT) | instid1(SALU_CYCLE_1)
	s_and_b32 s2, vcc_lo, s2
	s_and_saveexec_b32 s3, s2
	s_delay_alu instid0(SALU_CYCLE_1)
	s_xor_b32 s2, exec_lo, s3
; %bb.213:
	v_cmp_ne_u32_e32 vcc_lo, 0, v70
	v_cndmask_b32_e32 v70, 11, v70, vcc_lo
; %bb.214:
	s_and_not1_saveexec_b32 s3, s2
	s_cbranch_execz .LBB26_220
; %bb.215:
	v_cmp_gt_f64_e32 vcc_lo, 0, v[56:57]
	v_cmp_gt_f64_e64 s2, 0, v[58:59]
	v_xor_b32_e32 v65, 0x80000000, v57
	v_xor_b32_e32 v73, 0x80000000, v59
	s_delay_alu instid0(VALU_DEP_2) | instskip(NEXT) | instid1(VALU_DEP_2)
	v_cndmask_b32_e32 v74, v57, v65, vcc_lo
	v_cndmask_b32_e64 v76, v59, v73, s2
	v_cndmask_b32_e32 v73, v56, v56, vcc_lo
	v_cndmask_b32_e64 v75, v58, v58, s2
	s_mov_b32 s2, exec_lo
	s_delay_alu instid0(VALU_DEP_1)
	v_cmpx_ngt_f64_e32 v[73:74], v[75:76]
	s_xor_b32 s2, exec_lo, s2
	s_cbranch_execz .LBB26_217
; %bb.216:
	v_div_scale_f64 v[73:74], null, v[58:59], v[58:59], v[56:57]
	v_div_scale_f64 v[79:80], vcc_lo, v[56:57], v[58:59], v[56:57]
	s_delay_alu instid0(VALU_DEP_2) | instskip(SKIP_2) | instid1(VALU_DEP_1)
	v_rcp_f64_e32 v[75:76], v[73:74]
	s_waitcnt_depctr 0xfff
	v_fma_f64 v[77:78], -v[73:74], v[75:76], 1.0
	v_fma_f64 v[75:76], v[75:76], v[77:78], v[75:76]
	s_delay_alu instid0(VALU_DEP_1) | instskip(NEXT) | instid1(VALU_DEP_1)
	v_fma_f64 v[77:78], -v[73:74], v[75:76], 1.0
	v_fma_f64 v[75:76], v[75:76], v[77:78], v[75:76]
	s_delay_alu instid0(VALU_DEP_1) | instskip(NEXT) | instid1(VALU_DEP_1)
	v_mul_f64 v[77:78], v[79:80], v[75:76]
	v_fma_f64 v[73:74], -v[73:74], v[77:78], v[79:80]
	s_delay_alu instid0(VALU_DEP_1) | instskip(NEXT) | instid1(VALU_DEP_1)
	v_div_fmas_f64 v[73:74], v[73:74], v[75:76], v[77:78]
	v_div_fixup_f64 v[73:74], v[73:74], v[58:59], v[56:57]
	s_delay_alu instid0(VALU_DEP_1) | instskip(NEXT) | instid1(VALU_DEP_1)
	v_fma_f64 v[56:57], v[56:57], v[73:74], v[58:59]
	v_div_scale_f64 v[58:59], null, v[56:57], v[56:57], 1.0
	s_delay_alu instid0(VALU_DEP_1) | instskip(SKIP_2) | instid1(VALU_DEP_1)
	v_rcp_f64_e32 v[75:76], v[58:59]
	s_waitcnt_depctr 0xfff
	v_fma_f64 v[77:78], -v[58:59], v[75:76], 1.0
	v_fma_f64 v[75:76], v[75:76], v[77:78], v[75:76]
	s_delay_alu instid0(VALU_DEP_1) | instskip(NEXT) | instid1(VALU_DEP_1)
	v_fma_f64 v[77:78], -v[58:59], v[75:76], 1.0
	v_fma_f64 v[75:76], v[75:76], v[77:78], v[75:76]
	v_div_scale_f64 v[77:78], vcc_lo, 1.0, v[56:57], 1.0
	s_delay_alu instid0(VALU_DEP_1) | instskip(NEXT) | instid1(VALU_DEP_1)
	v_mul_f64 v[79:80], v[77:78], v[75:76]
	v_fma_f64 v[58:59], -v[58:59], v[79:80], v[77:78]
	s_delay_alu instid0(VALU_DEP_1) | instskip(NEXT) | instid1(VALU_DEP_1)
	v_div_fmas_f64 v[58:59], v[58:59], v[75:76], v[79:80]
	v_div_fixup_f64 v[58:59], v[58:59], v[56:57], 1.0
	s_delay_alu instid0(VALU_DEP_1)
	v_mul_f64 v[56:57], v[73:74], v[58:59]
	v_xor_b32_e32 v59, 0x80000000, v59
.LBB26_217:
	s_and_not1_saveexec_b32 s2, s2
	s_cbranch_execz .LBB26_219
; %bb.218:
	s_delay_alu instid0(VALU_DEP_1) | instskip(SKIP_1) | instid1(VALU_DEP_2)
	v_div_scale_f64 v[73:74], null, v[56:57], v[56:57], v[58:59]
	v_div_scale_f64 v[79:80], vcc_lo, v[58:59], v[56:57], v[58:59]
	v_rcp_f64_e32 v[75:76], v[73:74]
	s_waitcnt_depctr 0xfff
	v_fma_f64 v[77:78], -v[73:74], v[75:76], 1.0
	s_delay_alu instid0(VALU_DEP_1) | instskip(NEXT) | instid1(VALU_DEP_1)
	v_fma_f64 v[75:76], v[75:76], v[77:78], v[75:76]
	v_fma_f64 v[77:78], -v[73:74], v[75:76], 1.0
	s_delay_alu instid0(VALU_DEP_1) | instskip(NEXT) | instid1(VALU_DEP_1)
	v_fma_f64 v[75:76], v[75:76], v[77:78], v[75:76]
	v_mul_f64 v[77:78], v[79:80], v[75:76]
	s_delay_alu instid0(VALU_DEP_1) | instskip(NEXT) | instid1(VALU_DEP_1)
	v_fma_f64 v[73:74], -v[73:74], v[77:78], v[79:80]
	v_div_fmas_f64 v[73:74], v[73:74], v[75:76], v[77:78]
	s_delay_alu instid0(VALU_DEP_1) | instskip(NEXT) | instid1(VALU_DEP_1)
	v_div_fixup_f64 v[73:74], v[73:74], v[56:57], v[58:59]
	v_fma_f64 v[56:57], v[58:59], v[73:74], v[56:57]
	s_delay_alu instid0(VALU_DEP_1) | instskip(NEXT) | instid1(VALU_DEP_1)
	v_div_scale_f64 v[58:59], null, v[56:57], v[56:57], 1.0
	v_rcp_f64_e32 v[75:76], v[58:59]
	s_waitcnt_depctr 0xfff
	v_fma_f64 v[77:78], -v[58:59], v[75:76], 1.0
	s_delay_alu instid0(VALU_DEP_1) | instskip(NEXT) | instid1(VALU_DEP_1)
	v_fma_f64 v[75:76], v[75:76], v[77:78], v[75:76]
	v_fma_f64 v[77:78], -v[58:59], v[75:76], 1.0
	s_delay_alu instid0(VALU_DEP_1) | instskip(SKIP_1) | instid1(VALU_DEP_1)
	v_fma_f64 v[75:76], v[75:76], v[77:78], v[75:76]
	v_div_scale_f64 v[77:78], vcc_lo, 1.0, v[56:57], 1.0
	v_mul_f64 v[79:80], v[77:78], v[75:76]
	s_delay_alu instid0(VALU_DEP_1) | instskip(NEXT) | instid1(VALU_DEP_1)
	v_fma_f64 v[58:59], -v[58:59], v[79:80], v[77:78]
	v_div_fmas_f64 v[58:59], v[58:59], v[75:76], v[79:80]
	s_delay_alu instid0(VALU_DEP_1) | instskip(NEXT) | instid1(VALU_DEP_1)
	v_div_fixup_f64 v[56:57], v[58:59], v[56:57], 1.0
	v_mul_f64 v[58:59], v[73:74], -v[56:57]
.LBB26_219:
	s_or_b32 exec_lo, exec_lo, s2
.LBB26_220:
	s_delay_alu instid0(SALU_CYCLE_1) | instskip(NEXT) | instid1(SALU_CYCLE_1)
	s_or_b32 exec_lo, exec_lo, s3
	s_mov_b32 s2, exec_lo
	v_cmpx_ne_u32_e64 v72, v64
	s_xor_b32 s2, exec_lo, s2
	s_cbranch_execz .LBB26_226
; %bb.221:
	s_mov_b32 s3, exec_lo
	v_cmpx_eq_u32_e32 10, v72
	s_cbranch_execz .LBB26_225
; %bb.222:
	v_cmp_ne_u32_e32 vcc_lo, 10, v64
	s_xor_b32 s6, s4, -1
	s_delay_alu instid0(SALU_CYCLE_1) | instskip(NEXT) | instid1(SALU_CYCLE_1)
	s_and_b32 s7, s6, vcc_lo
	s_and_saveexec_b32 s6, s7
	s_cbranch_execz .LBB26_224
; %bb.223:
	v_ashrrev_i32_e32 v65, 31, v64
	s_delay_alu instid0(VALU_DEP_1) | instskip(NEXT) | instid1(VALU_DEP_1)
	v_lshlrev_b64 v[72:73], 2, v[64:65]
	v_add_co_u32 v72, vcc_lo, v62, v72
	s_delay_alu instid0(VALU_DEP_2)
	v_add_co_ci_u32_e32 v73, vcc_lo, v63, v73, vcc_lo
	s_clause 0x1
	flat_load_b32 v65, v[72:73]
	flat_load_b32 v69, v[62:63] offset:40
	s_waitcnt vmcnt(1) lgkmcnt(1)
	flat_store_b32 v[62:63], v65 offset:40
	s_waitcnt vmcnt(0) lgkmcnt(1)
	flat_store_b32 v[72:73], v69
.LBB26_224:
	s_or_b32 exec_lo, exec_lo, s6
	v_mov_b32_e32 v72, v64
	v_mov_b32_e32 v69, v64
.LBB26_225:
	s_or_b32 exec_lo, exec_lo, s3
.LBB26_226:
	s_and_not1_saveexec_b32 s2, s2
	s_cbranch_execz .LBB26_228
; %bb.227:
	v_mov_b32_e32 v72, 10
	ds_store_2addr_b64 v66, v[8:9], v[10:11] offset0:22 offset1:23
	ds_store_2addr_b64 v66, v[4:5], v[6:7] offset0:24 offset1:25
	;; [unrolled: 1-line block ×3, first 2 shown]
.LBB26_228:
	s_or_b32 exec_lo, exec_lo, s2
	s_delay_alu instid0(SALU_CYCLE_1)
	s_mov_b32 s2, exec_lo
	s_waitcnt lgkmcnt(0)
	s_waitcnt_vscnt null, 0x0
	s_barrier
	buffer_gl0_inv
	v_cmpx_lt_i32_e32 10, v72
	s_cbranch_execz .LBB26_230
; %bb.229:
	v_mul_f64 v[64:65], v[56:57], v[14:15]
	v_mul_f64 v[14:15], v[58:59], v[14:15]
	ds_load_2addr_b64 v[73:76], v66 offset0:22 offset1:23
	ds_load_2addr_b64 v[77:80], v66 offset0:24 offset1:25
	;; [unrolled: 1-line block ×3, first 2 shown]
	v_fma_f64 v[58:59], v[58:59], v[12:13], v[64:65]
	v_fma_f64 v[12:13], v[56:57], v[12:13], -v[14:15]
	s_waitcnt lgkmcnt(2)
	s_delay_alu instid0(VALU_DEP_2)
	v_mul_f64 v[14:15], v[75:76], v[58:59]
	v_mul_f64 v[56:57], v[73:74], v[58:59]
	s_waitcnt lgkmcnt(1)
	v_mul_f64 v[64:65], v[79:80], v[58:59]
	v_mul_f64 v[85:86], v[77:78], v[58:59]
	s_waitcnt lgkmcnt(0)
	v_mul_f64 v[87:88], v[83:84], v[58:59]
	v_mul_f64 v[89:90], v[81:82], v[58:59]
	v_fma_f64 v[14:15], v[73:74], v[12:13], -v[14:15]
	v_fma_f64 v[56:57], v[75:76], v[12:13], v[56:57]
	v_fma_f64 v[64:65], v[77:78], v[12:13], -v[64:65]
	v_fma_f64 v[73:74], v[79:80], v[12:13], v[85:86]
	;; [unrolled: 2-line block ×3, first 2 shown]
	v_add_f64 v[8:9], v[8:9], -v[14:15]
	v_add_f64 v[10:11], v[10:11], -v[56:57]
	;; [unrolled: 1-line block ×6, first 2 shown]
	v_dual_mov_b32 v14, v58 :: v_dual_mov_b32 v15, v59
.LBB26_230:
	s_or_b32 exec_lo, exec_lo, s2
	v_lshl_add_u32 v56, v72, 4, v66
	s_barrier
	buffer_gl0_inv
	v_mov_b32_e32 v64, 11
	ds_store_2addr_b64 v56, v[8:9], v[10:11] offset1:1
	s_waitcnt lgkmcnt(0)
	s_barrier
	buffer_gl0_inv
	ds_load_2addr_b64 v[56:59], v66 offset0:22 offset1:23
	s_cmp_lt_i32 s5, 13
	s_cbranch_scc1 .LBB26_233
; %bb.231:
	v_add3_u32 v65, v71, 0, 0xc0
	v_mov_b32_e32 v64, 11
	s_mov_b32 s6, 12
	s_set_inst_prefetch_distance 0x1
	.p2align	6
.LBB26_232:                             ; =>This Inner Loop Header: Depth=1
	ds_load_2addr_b64 v[73:76], v65 offset1:1
	s_waitcnt lgkmcnt(1)
	v_cmp_gt_f64_e32 vcc_lo, 0, v[56:57]
	v_xor_b32_e32 v77, 0x80000000, v57
	v_cmp_gt_f64_e64 s2, 0, v[58:59]
	v_xor_b32_e32 v79, 0x80000000, v59
	v_add_nc_u32_e32 v65, 16, v65
	s_waitcnt lgkmcnt(0)
	v_cmp_gt_f64_e64 s3, 0, v[73:74]
	v_mov_b32_e32 v81, v73
	v_dual_mov_b32 v83, v75 :: v_dual_cndmask_b32 v78, v57, v77
	v_xor_b32_e32 v77, 0x80000000, v74
	v_cndmask_b32_e64 v80, v59, v79, s2
	v_xor_b32_e32 v79, 0x80000000, v76
	s_delay_alu instid0(VALU_DEP_3) | instskip(SKIP_2) | instid1(VALU_DEP_2)
	v_cndmask_b32_e64 v82, v74, v77, s3
	v_cmp_gt_f64_e64 s3, 0, v[75:76]
	v_cndmask_b32_e32 v77, v56, v56, vcc_lo
	v_cndmask_b32_e64 v84, v76, v79, s3
	v_cndmask_b32_e64 v79, v58, v58, s2
	s_delay_alu instid0(VALU_DEP_2) | instskip(NEXT) | instid1(VALU_DEP_2)
	v_add_f64 v[81:82], v[81:82], v[83:84]
	v_add_f64 v[77:78], v[77:78], v[79:80]
	s_delay_alu instid0(VALU_DEP_1) | instskip(SKIP_4) | instid1(SALU_CYCLE_1)
	v_cmp_lt_f64_e32 vcc_lo, v[77:78], v[81:82]
	v_dual_cndmask_b32 v58, v58, v75 :: v_dual_cndmask_b32 v57, v57, v74
	v_dual_cndmask_b32 v56, v56, v73 :: v_dual_cndmask_b32 v59, v59, v76
	v_cndmask_b32_e64 v64, v64, s6, vcc_lo
	s_add_i32 s6, s6, 1
	s_cmp_lg_u32 s5, s6
	s_cbranch_scc1 .LBB26_232
.LBB26_233:
	s_set_inst_prefetch_distance 0x2
	s_waitcnt lgkmcnt(0)
	v_cmp_eq_f64_e32 vcc_lo, 0, v[56:57]
	v_cmp_eq_f64_e64 s2, 0, v[58:59]
	s_delay_alu instid0(VALU_DEP_1) | instskip(NEXT) | instid1(SALU_CYCLE_1)
	s_and_b32 s2, vcc_lo, s2
	s_and_saveexec_b32 s3, s2
	s_delay_alu instid0(SALU_CYCLE_1)
	s_xor_b32 s2, exec_lo, s3
; %bb.234:
	v_cmp_ne_u32_e32 vcc_lo, 0, v70
	v_cndmask_b32_e32 v70, 12, v70, vcc_lo
; %bb.235:
	s_and_not1_saveexec_b32 s3, s2
	s_cbranch_execz .LBB26_241
; %bb.236:
	v_cmp_gt_f64_e32 vcc_lo, 0, v[56:57]
	v_cmp_gt_f64_e64 s2, 0, v[58:59]
	v_xor_b32_e32 v65, 0x80000000, v57
	v_xor_b32_e32 v73, 0x80000000, v59
	s_delay_alu instid0(VALU_DEP_2) | instskip(NEXT) | instid1(VALU_DEP_2)
	v_cndmask_b32_e32 v74, v57, v65, vcc_lo
	v_cndmask_b32_e64 v76, v59, v73, s2
	v_cndmask_b32_e32 v73, v56, v56, vcc_lo
	v_cndmask_b32_e64 v75, v58, v58, s2
	s_mov_b32 s2, exec_lo
	s_delay_alu instid0(VALU_DEP_1)
	v_cmpx_ngt_f64_e32 v[73:74], v[75:76]
	s_xor_b32 s2, exec_lo, s2
	s_cbranch_execz .LBB26_238
; %bb.237:
	v_div_scale_f64 v[73:74], null, v[58:59], v[58:59], v[56:57]
	v_div_scale_f64 v[79:80], vcc_lo, v[56:57], v[58:59], v[56:57]
	s_delay_alu instid0(VALU_DEP_2) | instskip(SKIP_2) | instid1(VALU_DEP_1)
	v_rcp_f64_e32 v[75:76], v[73:74]
	s_waitcnt_depctr 0xfff
	v_fma_f64 v[77:78], -v[73:74], v[75:76], 1.0
	v_fma_f64 v[75:76], v[75:76], v[77:78], v[75:76]
	s_delay_alu instid0(VALU_DEP_1) | instskip(NEXT) | instid1(VALU_DEP_1)
	v_fma_f64 v[77:78], -v[73:74], v[75:76], 1.0
	v_fma_f64 v[75:76], v[75:76], v[77:78], v[75:76]
	s_delay_alu instid0(VALU_DEP_1) | instskip(NEXT) | instid1(VALU_DEP_1)
	v_mul_f64 v[77:78], v[79:80], v[75:76]
	v_fma_f64 v[73:74], -v[73:74], v[77:78], v[79:80]
	s_delay_alu instid0(VALU_DEP_1) | instskip(NEXT) | instid1(VALU_DEP_1)
	v_div_fmas_f64 v[73:74], v[73:74], v[75:76], v[77:78]
	v_div_fixup_f64 v[73:74], v[73:74], v[58:59], v[56:57]
	s_delay_alu instid0(VALU_DEP_1) | instskip(NEXT) | instid1(VALU_DEP_1)
	v_fma_f64 v[56:57], v[56:57], v[73:74], v[58:59]
	v_div_scale_f64 v[58:59], null, v[56:57], v[56:57], 1.0
	s_delay_alu instid0(VALU_DEP_1) | instskip(SKIP_2) | instid1(VALU_DEP_1)
	v_rcp_f64_e32 v[75:76], v[58:59]
	s_waitcnt_depctr 0xfff
	v_fma_f64 v[77:78], -v[58:59], v[75:76], 1.0
	v_fma_f64 v[75:76], v[75:76], v[77:78], v[75:76]
	s_delay_alu instid0(VALU_DEP_1) | instskip(NEXT) | instid1(VALU_DEP_1)
	v_fma_f64 v[77:78], -v[58:59], v[75:76], 1.0
	v_fma_f64 v[75:76], v[75:76], v[77:78], v[75:76]
	v_div_scale_f64 v[77:78], vcc_lo, 1.0, v[56:57], 1.0
	s_delay_alu instid0(VALU_DEP_1) | instskip(NEXT) | instid1(VALU_DEP_1)
	v_mul_f64 v[79:80], v[77:78], v[75:76]
	v_fma_f64 v[58:59], -v[58:59], v[79:80], v[77:78]
	s_delay_alu instid0(VALU_DEP_1) | instskip(NEXT) | instid1(VALU_DEP_1)
	v_div_fmas_f64 v[58:59], v[58:59], v[75:76], v[79:80]
	v_div_fixup_f64 v[58:59], v[58:59], v[56:57], 1.0
	s_delay_alu instid0(VALU_DEP_1)
	v_mul_f64 v[56:57], v[73:74], v[58:59]
	v_xor_b32_e32 v59, 0x80000000, v59
.LBB26_238:
	s_and_not1_saveexec_b32 s2, s2
	s_cbranch_execz .LBB26_240
; %bb.239:
	s_delay_alu instid0(VALU_DEP_1) | instskip(SKIP_1) | instid1(VALU_DEP_2)
	v_div_scale_f64 v[73:74], null, v[56:57], v[56:57], v[58:59]
	v_div_scale_f64 v[79:80], vcc_lo, v[58:59], v[56:57], v[58:59]
	v_rcp_f64_e32 v[75:76], v[73:74]
	s_waitcnt_depctr 0xfff
	v_fma_f64 v[77:78], -v[73:74], v[75:76], 1.0
	s_delay_alu instid0(VALU_DEP_1) | instskip(NEXT) | instid1(VALU_DEP_1)
	v_fma_f64 v[75:76], v[75:76], v[77:78], v[75:76]
	v_fma_f64 v[77:78], -v[73:74], v[75:76], 1.0
	s_delay_alu instid0(VALU_DEP_1) | instskip(NEXT) | instid1(VALU_DEP_1)
	v_fma_f64 v[75:76], v[75:76], v[77:78], v[75:76]
	v_mul_f64 v[77:78], v[79:80], v[75:76]
	s_delay_alu instid0(VALU_DEP_1) | instskip(NEXT) | instid1(VALU_DEP_1)
	v_fma_f64 v[73:74], -v[73:74], v[77:78], v[79:80]
	v_div_fmas_f64 v[73:74], v[73:74], v[75:76], v[77:78]
	s_delay_alu instid0(VALU_DEP_1) | instskip(NEXT) | instid1(VALU_DEP_1)
	v_div_fixup_f64 v[73:74], v[73:74], v[56:57], v[58:59]
	v_fma_f64 v[56:57], v[58:59], v[73:74], v[56:57]
	s_delay_alu instid0(VALU_DEP_1) | instskip(NEXT) | instid1(VALU_DEP_1)
	v_div_scale_f64 v[58:59], null, v[56:57], v[56:57], 1.0
	v_rcp_f64_e32 v[75:76], v[58:59]
	s_waitcnt_depctr 0xfff
	v_fma_f64 v[77:78], -v[58:59], v[75:76], 1.0
	s_delay_alu instid0(VALU_DEP_1) | instskip(NEXT) | instid1(VALU_DEP_1)
	v_fma_f64 v[75:76], v[75:76], v[77:78], v[75:76]
	v_fma_f64 v[77:78], -v[58:59], v[75:76], 1.0
	s_delay_alu instid0(VALU_DEP_1) | instskip(SKIP_1) | instid1(VALU_DEP_1)
	v_fma_f64 v[75:76], v[75:76], v[77:78], v[75:76]
	v_div_scale_f64 v[77:78], vcc_lo, 1.0, v[56:57], 1.0
	v_mul_f64 v[79:80], v[77:78], v[75:76]
	s_delay_alu instid0(VALU_DEP_1) | instskip(NEXT) | instid1(VALU_DEP_1)
	v_fma_f64 v[58:59], -v[58:59], v[79:80], v[77:78]
	v_div_fmas_f64 v[58:59], v[58:59], v[75:76], v[79:80]
	s_delay_alu instid0(VALU_DEP_1) | instskip(NEXT) | instid1(VALU_DEP_1)
	v_div_fixup_f64 v[56:57], v[58:59], v[56:57], 1.0
	v_mul_f64 v[58:59], v[73:74], -v[56:57]
.LBB26_240:
	s_or_b32 exec_lo, exec_lo, s2
.LBB26_241:
	s_delay_alu instid0(SALU_CYCLE_1) | instskip(NEXT) | instid1(SALU_CYCLE_1)
	s_or_b32 exec_lo, exec_lo, s3
	s_mov_b32 s2, exec_lo
	v_cmpx_ne_u32_e64 v72, v64
	s_xor_b32 s2, exec_lo, s2
	s_cbranch_execz .LBB26_247
; %bb.242:
	s_mov_b32 s3, exec_lo
	v_cmpx_eq_u32_e32 11, v72
	s_cbranch_execz .LBB26_246
; %bb.243:
	v_cmp_ne_u32_e32 vcc_lo, 11, v64
	s_xor_b32 s6, s4, -1
	s_delay_alu instid0(SALU_CYCLE_1) | instskip(NEXT) | instid1(SALU_CYCLE_1)
	s_and_b32 s7, s6, vcc_lo
	s_and_saveexec_b32 s6, s7
	s_cbranch_execz .LBB26_245
; %bb.244:
	v_ashrrev_i32_e32 v65, 31, v64
	s_delay_alu instid0(VALU_DEP_1) | instskip(NEXT) | instid1(VALU_DEP_1)
	v_lshlrev_b64 v[72:73], 2, v[64:65]
	v_add_co_u32 v72, vcc_lo, v62, v72
	s_delay_alu instid0(VALU_DEP_2)
	v_add_co_ci_u32_e32 v73, vcc_lo, v63, v73, vcc_lo
	s_clause 0x1
	flat_load_b32 v65, v[72:73]
	flat_load_b32 v69, v[62:63] offset:44
	s_waitcnt vmcnt(1) lgkmcnt(1)
	flat_store_b32 v[62:63], v65 offset:44
	s_waitcnt vmcnt(0) lgkmcnt(1)
	flat_store_b32 v[72:73], v69
.LBB26_245:
	s_or_b32 exec_lo, exec_lo, s6
	v_mov_b32_e32 v72, v64
	v_mov_b32_e32 v69, v64
.LBB26_246:
	s_or_b32 exec_lo, exec_lo, s3
.LBB26_247:
	s_and_not1_saveexec_b32 s2, s2
	s_cbranch_execz .LBB26_249
; %bb.248:
	v_mov_b32_e32 v72, 11
	ds_store_2addr_b64 v66, v[4:5], v[6:7] offset0:24 offset1:25
	ds_store_2addr_b64 v66, v[0:1], v[2:3] offset0:26 offset1:27
.LBB26_249:
	s_or_b32 exec_lo, exec_lo, s2
	s_delay_alu instid0(SALU_CYCLE_1)
	s_mov_b32 s2, exec_lo
	s_waitcnt lgkmcnt(0)
	s_waitcnt_vscnt null, 0x0
	s_barrier
	buffer_gl0_inv
	v_cmpx_lt_i32_e32 11, v72
	s_cbranch_execz .LBB26_251
; %bb.250:
	v_mul_f64 v[64:65], v[56:57], v[10:11]
	v_mul_f64 v[10:11], v[58:59], v[10:11]
	ds_load_2addr_b64 v[73:76], v66 offset0:24 offset1:25
	ds_load_2addr_b64 v[77:80], v66 offset0:26 offset1:27
	v_fma_f64 v[58:59], v[58:59], v[8:9], v[64:65]
	v_fma_f64 v[8:9], v[56:57], v[8:9], -v[10:11]
	s_waitcnt lgkmcnt(1)
	s_delay_alu instid0(VALU_DEP_2) | instskip(SKIP_4) | instid1(VALU_DEP_4)
	v_mul_f64 v[10:11], v[75:76], v[58:59]
	v_mul_f64 v[56:57], v[73:74], v[58:59]
	s_waitcnt lgkmcnt(0)
	v_mul_f64 v[64:65], v[79:80], v[58:59]
	v_mul_f64 v[81:82], v[77:78], v[58:59]
	v_fma_f64 v[10:11], v[73:74], v[8:9], -v[10:11]
	s_delay_alu instid0(VALU_DEP_4) | instskip(NEXT) | instid1(VALU_DEP_4)
	v_fma_f64 v[56:57], v[75:76], v[8:9], v[56:57]
	v_fma_f64 v[64:65], v[77:78], v[8:9], -v[64:65]
	s_delay_alu instid0(VALU_DEP_4) | instskip(NEXT) | instid1(VALU_DEP_4)
	v_fma_f64 v[73:74], v[79:80], v[8:9], v[81:82]
	v_add_f64 v[4:5], v[4:5], -v[10:11]
	s_delay_alu instid0(VALU_DEP_4) | instskip(NEXT) | instid1(VALU_DEP_4)
	v_add_f64 v[6:7], v[6:7], -v[56:57]
	v_add_f64 v[0:1], v[0:1], -v[64:65]
	s_delay_alu instid0(VALU_DEP_4)
	v_add_f64 v[2:3], v[2:3], -v[73:74]
	v_dual_mov_b32 v10, v58 :: v_dual_mov_b32 v11, v59
.LBB26_251:
	s_or_b32 exec_lo, exec_lo, s2
	v_lshl_add_u32 v56, v72, 4, v66
	s_barrier
	buffer_gl0_inv
	v_mov_b32_e32 v64, 12
	ds_store_2addr_b64 v56, v[4:5], v[6:7] offset1:1
	s_waitcnt lgkmcnt(0)
	s_barrier
	buffer_gl0_inv
	ds_load_2addr_b64 v[56:59], v66 offset0:24 offset1:25
	s_cmp_lt_i32 s5, 14
	s_cbranch_scc1 .LBB26_254
; %bb.252:
	v_add3_u32 v65, v71, 0, 0xd0
	v_mov_b32_e32 v64, 12
	s_mov_b32 s6, 13
	s_set_inst_prefetch_distance 0x1
	.p2align	6
.LBB26_253:                             ; =>This Inner Loop Header: Depth=1
	ds_load_2addr_b64 v[73:76], v65 offset1:1
	s_waitcnt lgkmcnt(1)
	v_cmp_gt_f64_e32 vcc_lo, 0, v[56:57]
	v_xor_b32_e32 v77, 0x80000000, v57
	v_cmp_gt_f64_e64 s2, 0, v[58:59]
	v_xor_b32_e32 v79, 0x80000000, v59
	v_add_nc_u32_e32 v65, 16, v65
	s_waitcnt lgkmcnt(0)
	v_cmp_gt_f64_e64 s3, 0, v[73:74]
	v_mov_b32_e32 v81, v73
	v_dual_mov_b32 v83, v75 :: v_dual_cndmask_b32 v78, v57, v77
	v_xor_b32_e32 v77, 0x80000000, v74
	v_cndmask_b32_e64 v80, v59, v79, s2
	v_xor_b32_e32 v79, 0x80000000, v76
	s_delay_alu instid0(VALU_DEP_3) | instskip(SKIP_2) | instid1(VALU_DEP_2)
	v_cndmask_b32_e64 v82, v74, v77, s3
	v_cmp_gt_f64_e64 s3, 0, v[75:76]
	v_cndmask_b32_e32 v77, v56, v56, vcc_lo
	v_cndmask_b32_e64 v84, v76, v79, s3
	v_cndmask_b32_e64 v79, v58, v58, s2
	s_delay_alu instid0(VALU_DEP_2) | instskip(NEXT) | instid1(VALU_DEP_2)
	v_add_f64 v[81:82], v[81:82], v[83:84]
	v_add_f64 v[77:78], v[77:78], v[79:80]
	s_delay_alu instid0(VALU_DEP_1) | instskip(SKIP_4) | instid1(SALU_CYCLE_1)
	v_cmp_lt_f64_e32 vcc_lo, v[77:78], v[81:82]
	v_dual_cndmask_b32 v58, v58, v75 :: v_dual_cndmask_b32 v57, v57, v74
	v_dual_cndmask_b32 v56, v56, v73 :: v_dual_cndmask_b32 v59, v59, v76
	v_cndmask_b32_e64 v64, v64, s6, vcc_lo
	s_add_i32 s6, s6, 1
	s_cmp_lg_u32 s5, s6
	s_cbranch_scc1 .LBB26_253
.LBB26_254:
	s_set_inst_prefetch_distance 0x2
	s_waitcnt lgkmcnt(0)
	v_cmp_eq_f64_e32 vcc_lo, 0, v[56:57]
	v_cmp_eq_f64_e64 s2, 0, v[58:59]
	s_delay_alu instid0(VALU_DEP_1) | instskip(NEXT) | instid1(SALU_CYCLE_1)
	s_and_b32 s2, vcc_lo, s2
	s_and_saveexec_b32 s3, s2
	s_delay_alu instid0(SALU_CYCLE_1)
	s_xor_b32 s2, exec_lo, s3
; %bb.255:
	v_cmp_ne_u32_e32 vcc_lo, 0, v70
	v_cndmask_b32_e32 v70, 13, v70, vcc_lo
; %bb.256:
	s_and_not1_saveexec_b32 s3, s2
	s_cbranch_execz .LBB26_262
; %bb.257:
	v_cmp_gt_f64_e32 vcc_lo, 0, v[56:57]
	v_cmp_gt_f64_e64 s2, 0, v[58:59]
	v_xor_b32_e32 v65, 0x80000000, v57
	v_xor_b32_e32 v73, 0x80000000, v59
	s_delay_alu instid0(VALU_DEP_2) | instskip(NEXT) | instid1(VALU_DEP_2)
	v_cndmask_b32_e32 v74, v57, v65, vcc_lo
	v_cndmask_b32_e64 v76, v59, v73, s2
	v_cndmask_b32_e32 v73, v56, v56, vcc_lo
	v_cndmask_b32_e64 v75, v58, v58, s2
	s_mov_b32 s2, exec_lo
	s_delay_alu instid0(VALU_DEP_1)
	v_cmpx_ngt_f64_e32 v[73:74], v[75:76]
	s_xor_b32 s2, exec_lo, s2
	s_cbranch_execz .LBB26_259
; %bb.258:
	v_div_scale_f64 v[73:74], null, v[58:59], v[58:59], v[56:57]
	v_div_scale_f64 v[79:80], vcc_lo, v[56:57], v[58:59], v[56:57]
	s_delay_alu instid0(VALU_DEP_2) | instskip(SKIP_2) | instid1(VALU_DEP_1)
	v_rcp_f64_e32 v[75:76], v[73:74]
	s_waitcnt_depctr 0xfff
	v_fma_f64 v[77:78], -v[73:74], v[75:76], 1.0
	v_fma_f64 v[75:76], v[75:76], v[77:78], v[75:76]
	s_delay_alu instid0(VALU_DEP_1) | instskip(NEXT) | instid1(VALU_DEP_1)
	v_fma_f64 v[77:78], -v[73:74], v[75:76], 1.0
	v_fma_f64 v[75:76], v[75:76], v[77:78], v[75:76]
	s_delay_alu instid0(VALU_DEP_1) | instskip(NEXT) | instid1(VALU_DEP_1)
	v_mul_f64 v[77:78], v[79:80], v[75:76]
	v_fma_f64 v[73:74], -v[73:74], v[77:78], v[79:80]
	s_delay_alu instid0(VALU_DEP_1) | instskip(NEXT) | instid1(VALU_DEP_1)
	v_div_fmas_f64 v[73:74], v[73:74], v[75:76], v[77:78]
	v_div_fixup_f64 v[73:74], v[73:74], v[58:59], v[56:57]
	s_delay_alu instid0(VALU_DEP_1) | instskip(NEXT) | instid1(VALU_DEP_1)
	v_fma_f64 v[56:57], v[56:57], v[73:74], v[58:59]
	v_div_scale_f64 v[58:59], null, v[56:57], v[56:57], 1.0
	s_delay_alu instid0(VALU_DEP_1) | instskip(SKIP_2) | instid1(VALU_DEP_1)
	v_rcp_f64_e32 v[75:76], v[58:59]
	s_waitcnt_depctr 0xfff
	v_fma_f64 v[77:78], -v[58:59], v[75:76], 1.0
	v_fma_f64 v[75:76], v[75:76], v[77:78], v[75:76]
	s_delay_alu instid0(VALU_DEP_1) | instskip(NEXT) | instid1(VALU_DEP_1)
	v_fma_f64 v[77:78], -v[58:59], v[75:76], 1.0
	v_fma_f64 v[75:76], v[75:76], v[77:78], v[75:76]
	v_div_scale_f64 v[77:78], vcc_lo, 1.0, v[56:57], 1.0
	s_delay_alu instid0(VALU_DEP_1) | instskip(NEXT) | instid1(VALU_DEP_1)
	v_mul_f64 v[79:80], v[77:78], v[75:76]
	v_fma_f64 v[58:59], -v[58:59], v[79:80], v[77:78]
	s_delay_alu instid0(VALU_DEP_1) | instskip(NEXT) | instid1(VALU_DEP_1)
	v_div_fmas_f64 v[58:59], v[58:59], v[75:76], v[79:80]
	v_div_fixup_f64 v[58:59], v[58:59], v[56:57], 1.0
	s_delay_alu instid0(VALU_DEP_1)
	v_mul_f64 v[56:57], v[73:74], v[58:59]
	v_xor_b32_e32 v59, 0x80000000, v59
.LBB26_259:
	s_and_not1_saveexec_b32 s2, s2
	s_cbranch_execz .LBB26_261
; %bb.260:
	s_delay_alu instid0(VALU_DEP_1) | instskip(SKIP_1) | instid1(VALU_DEP_2)
	v_div_scale_f64 v[73:74], null, v[56:57], v[56:57], v[58:59]
	v_div_scale_f64 v[79:80], vcc_lo, v[58:59], v[56:57], v[58:59]
	v_rcp_f64_e32 v[75:76], v[73:74]
	s_waitcnt_depctr 0xfff
	v_fma_f64 v[77:78], -v[73:74], v[75:76], 1.0
	s_delay_alu instid0(VALU_DEP_1) | instskip(NEXT) | instid1(VALU_DEP_1)
	v_fma_f64 v[75:76], v[75:76], v[77:78], v[75:76]
	v_fma_f64 v[77:78], -v[73:74], v[75:76], 1.0
	s_delay_alu instid0(VALU_DEP_1) | instskip(NEXT) | instid1(VALU_DEP_1)
	v_fma_f64 v[75:76], v[75:76], v[77:78], v[75:76]
	v_mul_f64 v[77:78], v[79:80], v[75:76]
	s_delay_alu instid0(VALU_DEP_1) | instskip(NEXT) | instid1(VALU_DEP_1)
	v_fma_f64 v[73:74], -v[73:74], v[77:78], v[79:80]
	v_div_fmas_f64 v[73:74], v[73:74], v[75:76], v[77:78]
	s_delay_alu instid0(VALU_DEP_1) | instskip(NEXT) | instid1(VALU_DEP_1)
	v_div_fixup_f64 v[73:74], v[73:74], v[56:57], v[58:59]
	v_fma_f64 v[56:57], v[58:59], v[73:74], v[56:57]
	s_delay_alu instid0(VALU_DEP_1) | instskip(NEXT) | instid1(VALU_DEP_1)
	v_div_scale_f64 v[58:59], null, v[56:57], v[56:57], 1.0
	v_rcp_f64_e32 v[75:76], v[58:59]
	s_waitcnt_depctr 0xfff
	v_fma_f64 v[77:78], -v[58:59], v[75:76], 1.0
	s_delay_alu instid0(VALU_DEP_1) | instskip(NEXT) | instid1(VALU_DEP_1)
	v_fma_f64 v[75:76], v[75:76], v[77:78], v[75:76]
	v_fma_f64 v[77:78], -v[58:59], v[75:76], 1.0
	s_delay_alu instid0(VALU_DEP_1) | instskip(SKIP_1) | instid1(VALU_DEP_1)
	v_fma_f64 v[75:76], v[75:76], v[77:78], v[75:76]
	v_div_scale_f64 v[77:78], vcc_lo, 1.0, v[56:57], 1.0
	v_mul_f64 v[79:80], v[77:78], v[75:76]
	s_delay_alu instid0(VALU_DEP_1) | instskip(NEXT) | instid1(VALU_DEP_1)
	v_fma_f64 v[58:59], -v[58:59], v[79:80], v[77:78]
	v_div_fmas_f64 v[58:59], v[58:59], v[75:76], v[79:80]
	s_delay_alu instid0(VALU_DEP_1) | instskip(NEXT) | instid1(VALU_DEP_1)
	v_div_fixup_f64 v[56:57], v[58:59], v[56:57], 1.0
	v_mul_f64 v[58:59], v[73:74], -v[56:57]
.LBB26_261:
	s_or_b32 exec_lo, exec_lo, s2
.LBB26_262:
	s_delay_alu instid0(SALU_CYCLE_1) | instskip(NEXT) | instid1(SALU_CYCLE_1)
	s_or_b32 exec_lo, exec_lo, s3
	s_mov_b32 s2, exec_lo
	v_cmpx_ne_u32_e64 v72, v64
	s_xor_b32 s2, exec_lo, s2
	s_cbranch_execz .LBB26_268
; %bb.263:
	s_mov_b32 s3, exec_lo
	v_cmpx_eq_u32_e32 12, v72
	s_cbranch_execz .LBB26_267
; %bb.264:
	v_cmp_ne_u32_e32 vcc_lo, 12, v64
	s_xor_b32 s6, s4, -1
	s_delay_alu instid0(SALU_CYCLE_1) | instskip(NEXT) | instid1(SALU_CYCLE_1)
	s_and_b32 s7, s6, vcc_lo
	s_and_saveexec_b32 s6, s7
	s_cbranch_execz .LBB26_266
; %bb.265:
	v_ashrrev_i32_e32 v65, 31, v64
	s_delay_alu instid0(VALU_DEP_1) | instskip(NEXT) | instid1(VALU_DEP_1)
	v_lshlrev_b64 v[72:73], 2, v[64:65]
	v_add_co_u32 v72, vcc_lo, v62, v72
	s_delay_alu instid0(VALU_DEP_2)
	v_add_co_ci_u32_e32 v73, vcc_lo, v63, v73, vcc_lo
	s_clause 0x1
	flat_load_b32 v65, v[72:73]
	flat_load_b32 v69, v[62:63] offset:48
	s_waitcnt vmcnt(1) lgkmcnt(1)
	flat_store_b32 v[62:63], v65 offset:48
	s_waitcnt vmcnt(0) lgkmcnt(1)
	flat_store_b32 v[72:73], v69
.LBB26_266:
	s_or_b32 exec_lo, exec_lo, s6
	v_mov_b32_e32 v72, v64
	v_mov_b32_e32 v69, v64
.LBB26_267:
	s_or_b32 exec_lo, exec_lo, s3
.LBB26_268:
	s_and_not1_saveexec_b32 s2, s2
	s_cbranch_execz .LBB26_270
; %bb.269:
	v_mov_b32_e32 v72, 12
	ds_store_2addr_b64 v66, v[0:1], v[2:3] offset0:26 offset1:27
.LBB26_270:
	s_or_b32 exec_lo, exec_lo, s2
	s_delay_alu instid0(SALU_CYCLE_1)
	s_mov_b32 s2, exec_lo
	s_waitcnt lgkmcnt(0)
	s_waitcnt_vscnt null, 0x0
	s_barrier
	buffer_gl0_inv
	v_cmpx_lt_i32_e32 12, v72
	s_cbranch_execz .LBB26_272
; %bb.271:
	v_mul_f64 v[64:65], v[56:57], v[6:7]
	v_mul_f64 v[6:7], v[58:59], v[6:7]
	ds_load_2addr_b64 v[73:76], v66 offset0:26 offset1:27
	v_fma_f64 v[58:59], v[58:59], v[4:5], v[64:65]
	v_fma_f64 v[4:5], v[56:57], v[4:5], -v[6:7]
	s_waitcnt lgkmcnt(0)
	s_delay_alu instid0(VALU_DEP_2) | instskip(SKIP_1) | instid1(VALU_DEP_2)
	v_mul_f64 v[6:7], v[75:76], v[58:59]
	v_mul_f64 v[56:57], v[73:74], v[58:59]
	v_fma_f64 v[6:7], v[73:74], v[4:5], -v[6:7]
	s_delay_alu instid0(VALU_DEP_2) | instskip(NEXT) | instid1(VALU_DEP_2)
	v_fma_f64 v[56:57], v[75:76], v[4:5], v[56:57]
	v_add_f64 v[0:1], v[0:1], -v[6:7]
	s_delay_alu instid0(VALU_DEP_2)
	v_add_f64 v[2:3], v[2:3], -v[56:57]
	v_dual_mov_b32 v6, v58 :: v_dual_mov_b32 v7, v59
.LBB26_272:
	s_or_b32 exec_lo, exec_lo, s2
	v_lshl_add_u32 v56, v72, 4, v66
	s_barrier
	buffer_gl0_inv
	v_mov_b32_e32 v64, 13
	ds_store_2addr_b64 v56, v[0:1], v[2:3] offset1:1
	s_waitcnt lgkmcnt(0)
	s_barrier
	buffer_gl0_inv
	ds_load_2addr_b64 v[56:59], v66 offset0:26 offset1:27
	s_cmp_lt_i32 s5, 15
	s_cbranch_scc1 .LBB26_275
; %bb.273:
	v_add3_u32 v65, v71, 0, 0xe0
	v_mov_b32_e32 v64, 13
	s_mov_b32 s6, 14
	s_set_inst_prefetch_distance 0x1
	.p2align	6
.LBB26_274:                             ; =>This Inner Loop Header: Depth=1
	ds_load_2addr_b64 v[73:76], v65 offset1:1
	s_waitcnt lgkmcnt(1)
	v_cmp_gt_f64_e32 vcc_lo, 0, v[56:57]
	v_xor_b32_e32 v66, 0x80000000, v57
	v_cmp_gt_f64_e64 s2, 0, v[58:59]
	v_xor_b32_e32 v71, 0x80000000, v59
	v_add_nc_u32_e32 v65, 16, v65
	s_waitcnt lgkmcnt(0)
	v_cmp_gt_f64_e64 s3, 0, v[73:74]
	v_mov_b32_e32 v81, v73
	v_dual_mov_b32 v83, v75 :: v_dual_cndmask_b32 v78, v57, v66
	v_xor_b32_e32 v66, 0x80000000, v74
	v_cndmask_b32_e64 v80, v59, v71, s2
	v_xor_b32_e32 v71, 0x80000000, v76
	v_cndmask_b32_e32 v77, v56, v56, vcc_lo
	v_cndmask_b32_e64 v79, v58, v58, s2
	s_delay_alu instid0(VALU_DEP_1) | instskip(SKIP_2) | instid1(VALU_DEP_1)
	v_add_f64 v[77:78], v[77:78], v[79:80]
	v_cndmask_b32_e64 v82, v74, v66, s3
	v_cmp_gt_f64_e64 s3, 0, v[75:76]
	v_cndmask_b32_e64 v84, v76, v71, s3
	s_delay_alu instid0(VALU_DEP_1) | instskip(NEXT) | instid1(VALU_DEP_1)
	v_add_f64 v[81:82], v[81:82], v[83:84]
	v_cmp_lt_f64_e32 vcc_lo, v[77:78], v[81:82]
	v_dual_cndmask_b32 v58, v58, v75 :: v_dual_cndmask_b32 v57, v57, v74
	v_dual_cndmask_b32 v56, v56, v73 :: v_dual_cndmask_b32 v59, v59, v76
	v_cndmask_b32_e64 v64, v64, s6, vcc_lo
	s_add_i32 s6, s6, 1
	s_delay_alu instid0(SALU_CYCLE_1)
	s_cmp_lg_u32 s5, s6
	s_cbranch_scc1 .LBB26_274
.LBB26_275:
	s_set_inst_prefetch_distance 0x2
	s_waitcnt lgkmcnt(0)
	v_cmp_eq_f64_e32 vcc_lo, 0, v[56:57]
	v_cmp_eq_f64_e64 s2, 0, v[58:59]
	s_delay_alu instid0(VALU_DEP_1) | instskip(NEXT) | instid1(SALU_CYCLE_1)
	s_and_b32 s2, vcc_lo, s2
	s_and_saveexec_b32 s3, s2
	s_delay_alu instid0(SALU_CYCLE_1)
	s_xor_b32 s2, exec_lo, s3
; %bb.276:
	v_cmp_ne_u32_e32 vcc_lo, 0, v70
	v_cndmask_b32_e32 v70, 14, v70, vcc_lo
; %bb.277:
	s_and_not1_saveexec_b32 s3, s2
	s_cbranch_execz .LBB26_283
; %bb.278:
	v_cmp_gt_f64_e32 vcc_lo, 0, v[56:57]
	v_cmp_gt_f64_e64 s2, 0, v[58:59]
	v_xor_b32_e32 v65, 0x80000000, v57
	v_xor_b32_e32 v71, 0x80000000, v59
	s_delay_alu instid0(VALU_DEP_2) | instskip(NEXT) | instid1(VALU_DEP_2)
	v_dual_cndmask_b32 v66, v57, v65 :: v_dual_cndmask_b32 v65, v56, v56
	v_cndmask_b32_e64 v74, v59, v71, s2
	v_cndmask_b32_e64 v73, v58, v58, s2
	s_mov_b32 s2, exec_lo
	s_delay_alu instid0(VALU_DEP_1)
	v_cmpx_ngt_f64_e32 v[65:66], v[73:74]
	s_xor_b32 s2, exec_lo, s2
	s_cbranch_execz .LBB26_280
; %bb.279:
	v_div_scale_f64 v[65:66], null, v[58:59], v[58:59], v[56:57]
	v_div_scale_f64 v[77:78], vcc_lo, v[56:57], v[58:59], v[56:57]
	s_delay_alu instid0(VALU_DEP_2) | instskip(SKIP_2) | instid1(VALU_DEP_1)
	v_rcp_f64_e32 v[73:74], v[65:66]
	s_waitcnt_depctr 0xfff
	v_fma_f64 v[75:76], -v[65:66], v[73:74], 1.0
	v_fma_f64 v[73:74], v[73:74], v[75:76], v[73:74]
	s_delay_alu instid0(VALU_DEP_1) | instskip(NEXT) | instid1(VALU_DEP_1)
	v_fma_f64 v[75:76], -v[65:66], v[73:74], 1.0
	v_fma_f64 v[73:74], v[73:74], v[75:76], v[73:74]
	s_delay_alu instid0(VALU_DEP_1) | instskip(NEXT) | instid1(VALU_DEP_1)
	v_mul_f64 v[75:76], v[77:78], v[73:74]
	v_fma_f64 v[65:66], -v[65:66], v[75:76], v[77:78]
	s_delay_alu instid0(VALU_DEP_1) | instskip(NEXT) | instid1(VALU_DEP_1)
	v_div_fmas_f64 v[65:66], v[65:66], v[73:74], v[75:76]
	v_div_fixup_f64 v[65:66], v[65:66], v[58:59], v[56:57]
	s_delay_alu instid0(VALU_DEP_1) | instskip(NEXT) | instid1(VALU_DEP_1)
	v_fma_f64 v[56:57], v[56:57], v[65:66], v[58:59]
	v_div_scale_f64 v[58:59], null, v[56:57], v[56:57], 1.0
	s_delay_alu instid0(VALU_DEP_1) | instskip(SKIP_2) | instid1(VALU_DEP_1)
	v_rcp_f64_e32 v[73:74], v[58:59]
	s_waitcnt_depctr 0xfff
	v_fma_f64 v[75:76], -v[58:59], v[73:74], 1.0
	v_fma_f64 v[73:74], v[73:74], v[75:76], v[73:74]
	s_delay_alu instid0(VALU_DEP_1) | instskip(NEXT) | instid1(VALU_DEP_1)
	v_fma_f64 v[75:76], -v[58:59], v[73:74], 1.0
	v_fma_f64 v[73:74], v[73:74], v[75:76], v[73:74]
	v_div_scale_f64 v[75:76], vcc_lo, 1.0, v[56:57], 1.0
	s_delay_alu instid0(VALU_DEP_1) | instskip(NEXT) | instid1(VALU_DEP_1)
	v_mul_f64 v[77:78], v[75:76], v[73:74]
	v_fma_f64 v[58:59], -v[58:59], v[77:78], v[75:76]
	s_delay_alu instid0(VALU_DEP_1) | instskip(NEXT) | instid1(VALU_DEP_1)
	v_div_fmas_f64 v[58:59], v[58:59], v[73:74], v[77:78]
	v_div_fixup_f64 v[58:59], v[58:59], v[56:57], 1.0
	s_delay_alu instid0(VALU_DEP_1)
	v_mul_f64 v[56:57], v[65:66], v[58:59]
	v_xor_b32_e32 v59, 0x80000000, v59
.LBB26_280:
	s_and_not1_saveexec_b32 s2, s2
	s_cbranch_execz .LBB26_282
; %bb.281:
	s_delay_alu instid0(VALU_DEP_1) | instskip(SKIP_1) | instid1(VALU_DEP_2)
	v_div_scale_f64 v[65:66], null, v[56:57], v[56:57], v[58:59]
	v_div_scale_f64 v[77:78], vcc_lo, v[58:59], v[56:57], v[58:59]
	v_rcp_f64_e32 v[73:74], v[65:66]
	s_waitcnt_depctr 0xfff
	v_fma_f64 v[75:76], -v[65:66], v[73:74], 1.0
	s_delay_alu instid0(VALU_DEP_1) | instskip(NEXT) | instid1(VALU_DEP_1)
	v_fma_f64 v[73:74], v[73:74], v[75:76], v[73:74]
	v_fma_f64 v[75:76], -v[65:66], v[73:74], 1.0
	s_delay_alu instid0(VALU_DEP_1) | instskip(NEXT) | instid1(VALU_DEP_1)
	v_fma_f64 v[73:74], v[73:74], v[75:76], v[73:74]
	v_mul_f64 v[75:76], v[77:78], v[73:74]
	s_delay_alu instid0(VALU_DEP_1) | instskip(NEXT) | instid1(VALU_DEP_1)
	v_fma_f64 v[65:66], -v[65:66], v[75:76], v[77:78]
	v_div_fmas_f64 v[65:66], v[65:66], v[73:74], v[75:76]
	s_delay_alu instid0(VALU_DEP_1) | instskip(NEXT) | instid1(VALU_DEP_1)
	v_div_fixup_f64 v[65:66], v[65:66], v[56:57], v[58:59]
	v_fma_f64 v[56:57], v[58:59], v[65:66], v[56:57]
	s_delay_alu instid0(VALU_DEP_1) | instskip(NEXT) | instid1(VALU_DEP_1)
	v_div_scale_f64 v[58:59], null, v[56:57], v[56:57], 1.0
	v_rcp_f64_e32 v[73:74], v[58:59]
	s_waitcnt_depctr 0xfff
	v_fma_f64 v[75:76], -v[58:59], v[73:74], 1.0
	s_delay_alu instid0(VALU_DEP_1) | instskip(NEXT) | instid1(VALU_DEP_1)
	v_fma_f64 v[73:74], v[73:74], v[75:76], v[73:74]
	v_fma_f64 v[75:76], -v[58:59], v[73:74], 1.0
	s_delay_alu instid0(VALU_DEP_1) | instskip(SKIP_1) | instid1(VALU_DEP_1)
	v_fma_f64 v[73:74], v[73:74], v[75:76], v[73:74]
	v_div_scale_f64 v[75:76], vcc_lo, 1.0, v[56:57], 1.0
	v_mul_f64 v[77:78], v[75:76], v[73:74]
	s_delay_alu instid0(VALU_DEP_1) | instskip(NEXT) | instid1(VALU_DEP_1)
	v_fma_f64 v[58:59], -v[58:59], v[77:78], v[75:76]
	v_div_fmas_f64 v[58:59], v[58:59], v[73:74], v[77:78]
	s_delay_alu instid0(VALU_DEP_1) | instskip(NEXT) | instid1(VALU_DEP_1)
	v_div_fixup_f64 v[56:57], v[58:59], v[56:57], 1.0
	v_mul_f64 v[58:59], v[65:66], -v[56:57]
.LBB26_282:
	s_or_b32 exec_lo, exec_lo, s2
.LBB26_283:
	s_delay_alu instid0(SALU_CYCLE_1)
	s_or_b32 exec_lo, exec_lo, s3
	v_mov_b32_e32 v65, 13
	s_mov_b32 s2, exec_lo
	v_cmpx_ne_u32_e64 v72, v64
	s_cbranch_execz .LBB26_289
; %bb.284:
	s_mov_b32 s3, exec_lo
	v_cmpx_eq_u32_e32 13, v72
	s_cbranch_execz .LBB26_288
; %bb.285:
	v_cmp_ne_u32_e32 vcc_lo, 13, v64
	s_xor_b32 s4, s4, -1
	s_delay_alu instid0(SALU_CYCLE_1) | instskip(NEXT) | instid1(SALU_CYCLE_1)
	s_and_b32 s5, s4, vcc_lo
	s_and_saveexec_b32 s4, s5
	s_cbranch_execz .LBB26_287
; %bb.286:
	v_ashrrev_i32_e32 v65, 31, v64
	s_delay_alu instid0(VALU_DEP_1) | instskip(NEXT) | instid1(VALU_DEP_1)
	v_lshlrev_b64 v[65:66], 2, v[64:65]
	v_add_co_u32 v65, vcc_lo, v62, v65
	s_delay_alu instid0(VALU_DEP_2)
	v_add_co_ci_u32_e32 v66, vcc_lo, v63, v66, vcc_lo
	s_clause 0x1
	flat_load_b32 v69, v[65:66]
	flat_load_b32 v71, v[62:63] offset:52
	s_waitcnt vmcnt(1) lgkmcnt(1)
	flat_store_b32 v[62:63], v69 offset:52
	s_waitcnt vmcnt(0) lgkmcnt(1)
	flat_store_b32 v[65:66], v71
.LBB26_287:
	s_or_b32 exec_lo, exec_lo, s4
	v_mov_b32_e32 v72, v64
	v_mov_b32_e32 v69, v64
.LBB26_288:
	s_or_b32 exec_lo, exec_lo, s3
	s_delay_alu instid0(VALU_DEP_2)
	v_mov_b32_e32 v65, v72
.LBB26_289:
	s_or_b32 exec_lo, exec_lo, s2
	s_delay_alu instid0(SALU_CYCLE_1)
	s_mov_b32 s2, exec_lo
	s_waitcnt lgkmcnt(0)
	s_waitcnt_vscnt null, 0x0
	s_barrier
	buffer_gl0_inv
	v_cmpx_lt_i32_e32 13, v65
; %bb.290:
	v_mul_f64 v[62:63], v[58:59], v[2:3]
	v_mul_f64 v[2:3], v[56:57], v[2:3]
	s_delay_alu instid0(VALU_DEP_2) | instskip(NEXT) | instid1(VALU_DEP_2)
	v_fma_f64 v[56:57], v[56:57], v[0:1], -v[62:63]
	v_fma_f64 v[2:3], v[58:59], v[0:1], v[2:3]
	s_delay_alu instid0(VALU_DEP_2)
	v_dual_mov_b32 v0, v56 :: v_dual_mov_b32 v1, v57
; %bb.291:
	s_or_b32 exec_lo, exec_lo, s2
	s_load_b256 s[0:7], s[0:1], 0x28
	v_ashrrev_i32_e32 v66, 31, v65
	s_mov_b32 s9, exec_lo
	s_waitcnt lgkmcnt(0)
	s_barrier
	buffer_gl0_inv
	v_cmpx_gt_i32_e32 14, v65
	s_cbranch_execz .LBB26_293
; %bb.292:
	v_mul_lo_u32 v58, v61, s4
	v_mul_lo_u32 v59, v60, s5
	v_mad_u64_u32 v[56:57], null, v60, s4, 0
	s_lshl_b64 s[2:3], s[2:3], 2
	s_delay_alu instid0(SALU_CYCLE_1) | instskip(SKIP_1) | instid1(VALU_DEP_1)
	s_add_u32 s0, s2, s0
	s_addc_u32 s1, s3, s1
	v_add3_u32 v57, v57, v59, v58
	v_lshlrev_b64 v[58:59], 2, v[65:66]
	s_delay_alu instid0(VALU_DEP_2) | instskip(NEXT) | instid1(VALU_DEP_1)
	v_lshlrev_b64 v[56:57], 2, v[56:57]
	v_add_co_u32 v56, vcc_lo, s0, v56
	s_delay_alu instid0(VALU_DEP_2) | instskip(NEXT) | instid1(VALU_DEP_2)
	v_add_co_ci_u32_e32 v57, vcc_lo, s1, v57, vcc_lo
	v_add_co_u32 v56, vcc_lo, v56, v58
	s_delay_alu instid0(VALU_DEP_2)
	v_add_co_ci_u32_e32 v57, vcc_lo, v57, v59, vcc_lo
	v_add3_u32 v58, v69, s13, 1
	global_store_b32 v[56:57], v58, off
.LBB26_293:
	s_or_b32 exec_lo, exec_lo, s9
	s_delay_alu instid0(SALU_CYCLE_1)
	s_mov_b32 s1, exec_lo
	v_cmpx_eq_u32_e32 0, v65
	s_cbranch_execz .LBB26_296
; %bb.294:
	v_lshlrev_b64 v[56:57], 2, v[60:61]
	v_cmp_lt_i32_e64 s0, 0, v70
	s_delay_alu instid0(VALU_DEP_2) | instskip(NEXT) | instid1(VALU_DEP_3)
	v_add_co_u32 v56, vcc_lo, s6, v56
	v_add_co_ci_u32_e32 v57, vcc_lo, s7, v57, vcc_lo
	global_load_b32 v58, v[56:57], off
	s_waitcnt vmcnt(0)
	v_cmp_eq_u32_e32 vcc_lo, 0, v58
	s_and_b32 s0, vcc_lo, s0
	s_delay_alu instid0(SALU_CYCLE_1)
	s_and_b32 exec_lo, exec_lo, s0
	s_cbranch_execz .LBB26_296
; %bb.295:
	v_add_nc_u32_e32 v58, s13, v70
	global_store_b32 v[56:57], v58, off
.LBB26_296:
	s_or_b32 exec_lo, exec_lo, s1
	v_lshlrev_b64 v[58:59], 4, v[65:66]
	v_add3_u32 v56, s8, s8, v65
	s_delay_alu instid0(VALU_DEP_1) | instskip(NEXT) | instid1(VALU_DEP_3)
	v_add_nc_u32_e32 v60, s8, v56
	v_add_co_u32 v58, vcc_lo, v67, v58
	s_delay_alu instid0(VALU_DEP_4) | instskip(SKIP_1) | instid1(VALU_DEP_3)
	v_add_co_ci_u32_e32 v59, vcc_lo, v68, v59, vcc_lo
	v_ashrrev_i32_e32 v57, 31, v56
	v_add_co_u32 v62, vcc_lo, v58, s10
	s_delay_alu instid0(VALU_DEP_3)
	v_add_co_ci_u32_e32 v63, vcc_lo, s11, v59, vcc_lo
	v_ashrrev_i32_e32 v61, 31, v60
	global_store_b128 v[58:59], v[52:55], off
	v_lshlrev_b64 v[56:57], 4, v[56:57]
	global_store_b128 v[62:63], v[48:51], off
	v_add_nc_u32_e32 v48, s8, v60
	v_lshlrev_b64 v[52:53], 4, v[60:61]
	v_add_co_u32 v50, vcc_lo, v67, v56
	s_delay_alu instid0(VALU_DEP_3) | instskip(SKIP_3) | instid1(VALU_DEP_4)
	v_add_nc_u32_e32 v54, s8, v48
	v_ashrrev_i32_e32 v49, 31, v48
	v_add_co_ci_u32_e32 v51, vcc_lo, v68, v57, vcc_lo
	v_add_co_u32 v52, vcc_lo, v67, v52
	v_add_nc_u32_e32 v56, s8, v54
	v_ashrrev_i32_e32 v55, 31, v54
	v_add_co_ci_u32_e32 v53, vcc_lo, v68, v53, vcc_lo
	v_lshlrev_b64 v[48:49], 4, v[48:49]
	s_delay_alu instid0(VALU_DEP_4)
	v_ashrrev_i32_e32 v57, 31, v56
	s_clause 0x1
	global_store_b128 v[50:51], v[44:47], off
	global_store_b128 v[52:53], v[40:43], off
	v_lshlrev_b64 v[40:41], 4, v[54:55]
	v_add_nc_u32_e32 v46, s8, v56
	v_add_co_u32 v42, vcc_lo, v67, v48
	v_lshlrev_b64 v[44:45], 4, v[56:57]
	v_add_co_ci_u32_e32 v43, vcc_lo, v68, v49, vcc_lo
	v_add_co_u32 v40, vcc_lo, v67, v40
	v_add_nc_u32_e32 v48, s8, v46
	v_add_co_ci_u32_e32 v41, vcc_lo, v68, v41, vcc_lo
	v_ashrrev_i32_e32 v47, 31, v46
	v_add_co_u32 v44, vcc_lo, v67, v44
	v_add_co_ci_u32_e32 v45, vcc_lo, v68, v45, vcc_lo
	v_ashrrev_i32_e32 v49, 31, v48
	global_store_b128 v[42:43], v[28:31], off
	v_lshlrev_b64 v[28:29], 4, v[46:47]
	s_clause 0x1
	global_store_b128 v[40:41], v[24:27], off
	global_store_b128 v[44:45], v[36:39], off
	v_add_nc_u32_e32 v26, s8, v48
	v_lshlrev_b64 v[24:25], 4, v[48:49]
	v_add_co_u32 v28, vcc_lo, v67, v28
	s_delay_alu instid0(VALU_DEP_3) | instskip(SKIP_1) | instid1(VALU_DEP_4)
	v_add_nc_u32_e32 v30, s8, v26
	v_add_co_ci_u32_e32 v29, vcc_lo, v68, v29, vcc_lo
	v_add_co_u32 v24, vcc_lo, v67, v24
	v_add_co_ci_u32_e32 v25, vcc_lo, v68, v25, vcc_lo
	s_delay_alu instid0(VALU_DEP_4)
	v_add_nc_u32_e32 v36, s8, v30
	v_ashrrev_i32_e32 v27, 31, v26
	s_clause 0x1
	global_store_b128 v[28:29], v[20:23], off
	global_store_b128 v[24:25], v[32:35], off
	v_ashrrev_i32_e32 v31, 31, v30
	v_add_nc_u32_e32 v24, s8, v36
	v_lshlrev_b64 v[20:21], 4, v[26:27]
	v_ashrrev_i32_e32 v37, 31, v36
	s_delay_alu instid0(VALU_DEP_4) | instskip(NEXT) | instid1(VALU_DEP_4)
	v_lshlrev_b64 v[22:23], 4, v[30:31]
	v_add_nc_u32_e32 v28, s8, v24
	v_ashrrev_i32_e32 v25, 31, v24
	v_add_co_u32 v20, vcc_lo, v67, v20
	v_lshlrev_b64 v[26:27], 4, v[36:37]
	s_delay_alu instid0(VALU_DEP_4)
	v_ashrrev_i32_e32 v29, 31, v28
	v_add_co_ci_u32_e32 v21, vcc_lo, v68, v21, vcc_lo
	v_add_co_u32 v22, vcc_lo, v67, v22
	v_lshlrev_b64 v[24:25], 4, v[24:25]
	v_add_co_ci_u32_e32 v23, vcc_lo, v68, v23, vcc_lo
	v_add_co_u32 v26, vcc_lo, v67, v26
	v_lshlrev_b64 v[28:29], 4, v[28:29]
	v_add_co_ci_u32_e32 v27, vcc_lo, v68, v27, vcc_lo
	v_add_co_u32 v24, vcc_lo, v67, v24
	v_add_co_ci_u32_e32 v25, vcc_lo, v68, v25, vcc_lo
	s_delay_alu instid0(VALU_DEP_4)
	v_add_co_u32 v28, vcc_lo, v67, v28
	v_add_co_ci_u32_e32 v29, vcc_lo, v68, v29, vcc_lo
	s_clause 0x4
	global_store_b128 v[20:21], v[16:19], off
	global_store_b128 v[22:23], v[12:15], off
	;; [unrolled: 1-line block ×5, first 2 shown]
.LBB26_297:
	s_nop 0
	s_sendmsg sendmsg(MSG_DEALLOC_VGPRS)
	s_endpgm
	.section	.rodata,"a",@progbits
	.p2align	6, 0x0
	.amdhsa_kernel _ZN9rocsolver6v33100L18getf2_small_kernelILi14E19rocblas_complex_numIdEiiPKPS3_EEvT1_T3_lS7_lPS7_llPT2_S7_S7_S9_l
		.amdhsa_group_segment_fixed_size 0
		.amdhsa_private_segment_fixed_size 0
		.amdhsa_kernarg_size 352
		.amdhsa_user_sgpr_count 14
		.amdhsa_user_sgpr_dispatch_ptr 0
		.amdhsa_user_sgpr_queue_ptr 0
		.amdhsa_user_sgpr_kernarg_segment_ptr 1
		.amdhsa_user_sgpr_dispatch_id 0
		.amdhsa_user_sgpr_private_segment_size 0
		.amdhsa_wavefront_size32 1
		.amdhsa_uses_dynamic_stack 0
		.amdhsa_enable_private_segment 0
		.amdhsa_system_sgpr_workgroup_id_x 1
		.amdhsa_system_sgpr_workgroup_id_y 1
		.amdhsa_system_sgpr_workgroup_id_z 0
		.amdhsa_system_sgpr_workgroup_info 0
		.amdhsa_system_vgpr_workitem_id 1
		.amdhsa_next_free_vgpr 172
		.amdhsa_next_free_sgpr 16
		.amdhsa_reserve_vcc 1
		.amdhsa_float_round_mode_32 0
		.amdhsa_float_round_mode_16_64 0
		.amdhsa_float_denorm_mode_32 3
		.amdhsa_float_denorm_mode_16_64 3
		.amdhsa_dx10_clamp 1
		.amdhsa_ieee_mode 1
		.amdhsa_fp16_overflow 0
		.amdhsa_workgroup_processor_mode 1
		.amdhsa_memory_ordered 1
		.amdhsa_forward_progress 0
		.amdhsa_shared_vgpr_count 0
		.amdhsa_exception_fp_ieee_invalid_op 0
		.amdhsa_exception_fp_denorm_src 0
		.amdhsa_exception_fp_ieee_div_zero 0
		.amdhsa_exception_fp_ieee_overflow 0
		.amdhsa_exception_fp_ieee_underflow 0
		.amdhsa_exception_fp_ieee_inexact 0
		.amdhsa_exception_int_div_zero 0
	.end_amdhsa_kernel
	.section	.text._ZN9rocsolver6v33100L18getf2_small_kernelILi14E19rocblas_complex_numIdEiiPKPS3_EEvT1_T3_lS7_lPS7_llPT2_S7_S7_S9_l,"axG",@progbits,_ZN9rocsolver6v33100L18getf2_small_kernelILi14E19rocblas_complex_numIdEiiPKPS3_EEvT1_T3_lS7_lPS7_llPT2_S7_S7_S9_l,comdat
.Lfunc_end26:
	.size	_ZN9rocsolver6v33100L18getf2_small_kernelILi14E19rocblas_complex_numIdEiiPKPS3_EEvT1_T3_lS7_lPS7_llPT2_S7_S7_S9_l, .Lfunc_end26-_ZN9rocsolver6v33100L18getf2_small_kernelILi14E19rocblas_complex_numIdEiiPKPS3_EEvT1_T3_lS7_lPS7_llPT2_S7_S7_S9_l
                                        ; -- End function
	.section	.AMDGPU.csdata,"",@progbits
; Kernel info:
; codeLenInByte = 24032
; NumSgprs: 18
; NumVgprs: 172
; ScratchSize: 0
; MemoryBound: 0
; FloatMode: 240
; IeeeMode: 1
; LDSByteSize: 0 bytes/workgroup (compile time only)
; SGPRBlocks: 2
; VGPRBlocks: 21
; NumSGPRsForWavesPerEU: 18
; NumVGPRsForWavesPerEU: 172
; Occupancy: 8
; WaveLimiterHint : 1
; COMPUTE_PGM_RSRC2:SCRATCH_EN: 0
; COMPUTE_PGM_RSRC2:USER_SGPR: 14
; COMPUTE_PGM_RSRC2:TRAP_HANDLER: 0
; COMPUTE_PGM_RSRC2:TGID_X_EN: 1
; COMPUTE_PGM_RSRC2:TGID_Y_EN: 1
; COMPUTE_PGM_RSRC2:TGID_Z_EN: 0
; COMPUTE_PGM_RSRC2:TIDIG_COMP_CNT: 1
	.section	.text._ZN9rocsolver6v33100L23getf2_npvt_small_kernelILi14E19rocblas_complex_numIdEiiPKPS3_EEvT1_T3_lS7_lPT2_S7_S7_,"axG",@progbits,_ZN9rocsolver6v33100L23getf2_npvt_small_kernelILi14E19rocblas_complex_numIdEiiPKPS3_EEvT1_T3_lS7_lPT2_S7_S7_,comdat
	.globl	_ZN9rocsolver6v33100L23getf2_npvt_small_kernelILi14E19rocblas_complex_numIdEiiPKPS3_EEvT1_T3_lS7_lPT2_S7_S7_ ; -- Begin function _ZN9rocsolver6v33100L23getf2_npvt_small_kernelILi14E19rocblas_complex_numIdEiiPKPS3_EEvT1_T3_lS7_lPT2_S7_S7_
	.p2align	8
	.type	_ZN9rocsolver6v33100L23getf2_npvt_small_kernelILi14E19rocblas_complex_numIdEiiPKPS3_EEvT1_T3_lS7_lPT2_S7_S7_,@function
_ZN9rocsolver6v33100L23getf2_npvt_small_kernelILi14E19rocblas_complex_numIdEiiPKPS3_EEvT1_T3_lS7_lPT2_S7_S7_: ; @_ZN9rocsolver6v33100L23getf2_npvt_small_kernelILi14E19rocblas_complex_numIdEiiPKPS3_EEvT1_T3_lS7_lPT2_S7_S7_
; %bb.0:
	s_clause 0x1
	s_load_b32 s2, s[0:1], 0x44
	s_load_b64 s[8:9], s[0:1], 0x30
	v_bfe_u32 v56, v0, 10, 10
	s_waitcnt lgkmcnt(0)
	s_lshr_b32 s10, s2, 16
	s_mov_b32 s2, exec_lo
	s_delay_alu instid0(VALU_DEP_1) | instskip(NEXT) | instid1(VALU_DEP_1)
	v_mad_u64_u32 v[112:113], null, s15, s10, v[56:57]
	v_cmpx_gt_i32_e64 s8, v112
	s_cbranch_execz .LBB27_131
; %bb.1:
	s_clause 0x1
	s_load_b128 s[4:7], s[0:1], 0x8
	s_load_b32 s2, s[0:1], 0x18
	v_ashrrev_i32_e32 v113, 31, v112
	v_and_b32_e32 v144, 0x3ff, v0
	v_lshlrev_b32_e32 v57, 4, v56
	s_mulk_i32 s10, 0xe0
	v_mad_u32_u24 v146, 0xe0, v56, 0
	v_lshlrev_b64 v[1:2], 3, v[112:113]
	v_lshlrev_b32_e32 v27, 4, v144
	v_add3_u32 v145, 0, s10, v57
	s_waitcnt lgkmcnt(0)
	s_delay_alu instid0(VALU_DEP_3) | instskip(NEXT) | instid1(VALU_DEP_4)
	v_add_co_u32 v1, vcc_lo, s4, v1
	v_add_co_ci_u32_e32 v2, vcc_lo, s5, v2, vcc_lo
	v_add3_u32 v3, s2, s2, v144
	s_lshl_b64 s[6:7], s[6:7], 4
	s_ashr_i32 s3, s2, 31
	global_load_b64 v[1:2], v[1:2], off
	s_lshl_b64 s[4:5], s[2:3], 4
	v_add_nc_u32_e32 v5, s2, v3
	v_ashrrev_i32_e32 v4, 31, v3
	v_cmp_ne_u32_e64 s3, 0, v144
	s_delay_alu instid0(VALU_DEP_3) | instskip(SKIP_1) | instid1(VALU_DEP_4)
	v_add_nc_u32_e32 v7, s2, v5
	v_ashrrev_i32_e32 v6, 31, v5
	v_lshlrev_b64 v[3:4], 4, v[3:4]
	s_delay_alu instid0(VALU_DEP_3) | instskip(SKIP_1) | instid1(VALU_DEP_4)
	v_add_nc_u32_e32 v9, s2, v7
	v_ashrrev_i32_e32 v8, 31, v7
	v_lshlrev_b64 v[5:6], 4, v[5:6]
	;; [unrolled: 4-line block ×10, first 2 shown]
	v_cmp_eq_u32_e64 s2, 0, v144
	s_delay_alu instid0(VALU_DEP_4) | instskip(NEXT) | instid1(VALU_DEP_4)
	v_ashrrev_i32_e32 v26, 31, v25
	v_lshlrev_b64 v[23:24], 4, v[23:24]
	s_waitcnt vmcnt(0)
	v_add_co_u32 v28, vcc_lo, v1, s6
	v_add_co_ci_u32_e32 v2, vcc_lo, s7, v2, vcc_lo
	v_lshlrev_b64 v[0:1], 4, v[25:26]
	s_delay_alu instid0(VALU_DEP_3) | instskip(NEXT) | instid1(VALU_DEP_3)
	v_add_co_u32 v138, vcc_lo, v28, v27
	v_add_co_ci_u32_e32 v139, vcc_lo, 0, v2, vcc_lo
	v_add_co_u32 v136, vcc_lo, v28, v3
	v_add_co_ci_u32_e32 v137, vcc_lo, v2, v4, vcc_lo
	;; [unrolled: 2-line block ×14, first 2 shown]
	s_clause 0xd
	global_load_b128 v[44:47], v[136:137], off
	global_load_b128 v[40:43], v[134:135], off
	;; [unrolled: 1-line block ×14, first 2 shown]
	s_and_saveexec_b32 s5, s2
	s_cbranch_execz .LBB27_8
; %bb.2:
	s_waitcnt vmcnt(3)
	ds_store_2addr_b64 v145, v[52:53], v[54:55] offset1:1
	s_waitcnt vmcnt(2)
	ds_store_2addr_b64 v146, v[48:49], v[50:51] offset0:2 offset1:3
	ds_store_2addr_b64 v146, v[44:45], v[46:47] offset0:4 offset1:5
	;; [unrolled: 1-line block ×11, first 2 shown]
	s_waitcnt vmcnt(1)
	ds_store_2addr_b64 v146, v[4:5], v[6:7] offset0:24 offset1:25
	s_waitcnt vmcnt(0)
	ds_store_2addr_b64 v146, v[0:1], v[2:3] offset0:26 offset1:27
	ds_load_2addr_b64 v[56:59], v145 offset1:1
	s_waitcnt lgkmcnt(0)
	v_cmp_neq_f64_e32 vcc_lo, 0, v[56:57]
	v_cmp_neq_f64_e64 s4, 0, v[58:59]
	s_delay_alu instid0(VALU_DEP_1) | instskip(NEXT) | instid1(SALU_CYCLE_1)
	s_or_b32 s4, vcc_lo, s4
	s_and_b32 exec_lo, exec_lo, s4
	s_cbranch_execz .LBB27_8
; %bb.3:
	v_cmp_gt_f64_e32 vcc_lo, 0, v[56:57]
	v_cmp_gt_f64_e64 s4, 0, v[58:59]
	v_xor_b32_e32 v60, 0x80000000, v57
	v_xor_b32_e32 v62, 0x80000000, v59
                                        ; implicit-def: $vgpr64_vgpr65
	s_delay_alu instid0(VALU_DEP_2) | instskip(NEXT) | instid1(VALU_DEP_2)
	v_cndmask_b32_e32 v61, v57, v60, vcc_lo
	v_cndmask_b32_e64 v63, v59, v62, s4
	v_cndmask_b32_e32 v60, v56, v56, vcc_lo
	v_cndmask_b32_e64 v62, v58, v58, s4
	s_mov_b32 s4, exec_lo
	s_delay_alu instid0(VALU_DEP_1)
	v_cmpx_ngt_f64_e32 v[60:61], v[62:63]
	s_xor_b32 s4, exec_lo, s4
                                        ; implicit-def: $vgpr60_vgpr61_vgpr62_vgpr63
	s_cbranch_execz .LBB27_5
; %bb.4:
	v_div_scale_f64 v[60:61], null, v[58:59], v[58:59], v[56:57]
	v_div_scale_f64 v[66:67], vcc_lo, v[56:57], v[58:59], v[56:57]
	s_delay_alu instid0(VALU_DEP_2) | instskip(SKIP_2) | instid1(VALU_DEP_1)
	v_rcp_f64_e32 v[62:63], v[60:61]
	s_waitcnt_depctr 0xfff
	v_fma_f64 v[64:65], -v[60:61], v[62:63], 1.0
	v_fma_f64 v[62:63], v[62:63], v[64:65], v[62:63]
	s_delay_alu instid0(VALU_DEP_1) | instskip(NEXT) | instid1(VALU_DEP_1)
	v_fma_f64 v[64:65], -v[60:61], v[62:63], 1.0
	v_fma_f64 v[62:63], v[62:63], v[64:65], v[62:63]
	s_delay_alu instid0(VALU_DEP_1) | instskip(NEXT) | instid1(VALU_DEP_1)
	v_mul_f64 v[64:65], v[66:67], v[62:63]
	v_fma_f64 v[60:61], -v[60:61], v[64:65], v[66:67]
	s_delay_alu instid0(VALU_DEP_1) | instskip(NEXT) | instid1(VALU_DEP_1)
	v_div_fmas_f64 v[60:61], v[60:61], v[62:63], v[64:65]
	v_div_fixup_f64 v[60:61], v[60:61], v[58:59], v[56:57]
	s_delay_alu instid0(VALU_DEP_1) | instskip(NEXT) | instid1(VALU_DEP_1)
	v_fma_f64 v[56:57], v[56:57], v[60:61], v[58:59]
	v_div_scale_f64 v[58:59], null, v[56:57], v[56:57], 1.0
	s_delay_alu instid0(VALU_DEP_1) | instskip(SKIP_2) | instid1(VALU_DEP_1)
	v_rcp_f64_e32 v[62:63], v[58:59]
	s_waitcnt_depctr 0xfff
	v_fma_f64 v[64:65], -v[58:59], v[62:63], 1.0
	v_fma_f64 v[62:63], v[62:63], v[64:65], v[62:63]
	s_delay_alu instid0(VALU_DEP_1) | instskip(NEXT) | instid1(VALU_DEP_1)
	v_fma_f64 v[64:65], -v[58:59], v[62:63], 1.0
	v_fma_f64 v[62:63], v[62:63], v[64:65], v[62:63]
	v_div_scale_f64 v[64:65], vcc_lo, 1.0, v[56:57], 1.0
	s_delay_alu instid0(VALU_DEP_1) | instskip(NEXT) | instid1(VALU_DEP_1)
	v_mul_f64 v[66:67], v[64:65], v[62:63]
	v_fma_f64 v[58:59], -v[58:59], v[66:67], v[64:65]
	s_delay_alu instid0(VALU_DEP_1) | instskip(NEXT) | instid1(VALU_DEP_1)
	v_div_fmas_f64 v[58:59], v[58:59], v[62:63], v[66:67]
	v_div_fixup_f64 v[62:63], v[58:59], v[56:57], 1.0
                                        ; implicit-def: $vgpr56_vgpr57
	s_delay_alu instid0(VALU_DEP_1)
	v_mul_f64 v[64:65], v[60:61], v[62:63]
	v_xor_b32_e32 v63, 0x80000000, v63
.LBB27_5:
	s_and_not1_saveexec_b32 s4, s4
	s_cbranch_execz .LBB27_7
; %bb.6:
	v_div_scale_f64 v[60:61], null, v[56:57], v[56:57], v[58:59]
	v_div_scale_f64 v[66:67], vcc_lo, v[58:59], v[56:57], v[58:59]
	s_delay_alu instid0(VALU_DEP_2) | instskip(SKIP_2) | instid1(VALU_DEP_1)
	v_rcp_f64_e32 v[62:63], v[60:61]
	s_waitcnt_depctr 0xfff
	v_fma_f64 v[64:65], -v[60:61], v[62:63], 1.0
	v_fma_f64 v[62:63], v[62:63], v[64:65], v[62:63]
	s_delay_alu instid0(VALU_DEP_1) | instskip(NEXT) | instid1(VALU_DEP_1)
	v_fma_f64 v[64:65], -v[60:61], v[62:63], 1.0
	v_fma_f64 v[62:63], v[62:63], v[64:65], v[62:63]
	s_delay_alu instid0(VALU_DEP_1) | instskip(NEXT) | instid1(VALU_DEP_1)
	v_mul_f64 v[64:65], v[66:67], v[62:63]
	v_fma_f64 v[60:61], -v[60:61], v[64:65], v[66:67]
	s_delay_alu instid0(VALU_DEP_1) | instskip(NEXT) | instid1(VALU_DEP_1)
	v_div_fmas_f64 v[60:61], v[60:61], v[62:63], v[64:65]
	v_div_fixup_f64 v[60:61], v[60:61], v[56:57], v[58:59]
	s_delay_alu instid0(VALU_DEP_1) | instskip(NEXT) | instid1(VALU_DEP_1)
	v_fma_f64 v[56:57], v[58:59], v[60:61], v[56:57]
	v_div_scale_f64 v[58:59], null, v[56:57], v[56:57], 1.0
	s_delay_alu instid0(VALU_DEP_1) | instskip(SKIP_2) | instid1(VALU_DEP_1)
	v_rcp_f64_e32 v[62:63], v[58:59]
	s_waitcnt_depctr 0xfff
	v_fma_f64 v[64:65], -v[58:59], v[62:63], 1.0
	v_fma_f64 v[62:63], v[62:63], v[64:65], v[62:63]
	s_delay_alu instid0(VALU_DEP_1) | instskip(NEXT) | instid1(VALU_DEP_1)
	v_fma_f64 v[64:65], -v[58:59], v[62:63], 1.0
	v_fma_f64 v[62:63], v[62:63], v[64:65], v[62:63]
	v_div_scale_f64 v[64:65], vcc_lo, 1.0, v[56:57], 1.0
	s_delay_alu instid0(VALU_DEP_1) | instskip(NEXT) | instid1(VALU_DEP_1)
	v_mul_f64 v[66:67], v[64:65], v[62:63]
	v_fma_f64 v[58:59], -v[58:59], v[66:67], v[64:65]
	s_delay_alu instid0(VALU_DEP_1) | instskip(NEXT) | instid1(VALU_DEP_1)
	v_div_fmas_f64 v[58:59], v[58:59], v[62:63], v[66:67]
	v_div_fixup_f64 v[64:65], v[58:59], v[56:57], 1.0
	s_delay_alu instid0(VALU_DEP_1)
	v_mul_f64 v[62:63], v[60:61], -v[64:65]
.LBB27_7:
	s_or_b32 exec_lo, exec_lo, s4
	ds_store_2addr_b64 v145, v[64:65], v[62:63] offset1:1
.LBB27_8:
	s_or_b32 exec_lo, exec_lo, s5
	s_waitcnt vmcnt(0) lgkmcnt(0)
	s_barrier
	buffer_gl0_inv
	ds_load_2addr_b64 v[56:59], v145 offset1:1
	s_and_saveexec_b32 s4, s3
	s_cbranch_execz .LBB27_10
; %bb.9:
	s_waitcnt lgkmcnt(0)
	v_mul_f64 v[60:61], v[56:57], v[54:55]
	v_mul_f64 v[54:55], v[58:59], v[54:55]
	s_delay_alu instid0(VALU_DEP_2)
	v_fma_f64 v[142:143], v[58:59], v[52:53], v[60:61]
	ds_load_2addr_b64 v[60:63], v146 offset0:2 offset1:3
	ds_load_2addr_b64 v[64:67], v146 offset0:4 offset1:5
	;; [unrolled: 1-line block ×13, first 2 shown]
	v_fma_f64 v[52:53], v[56:57], v[52:53], -v[54:55]
	s_waitcnt lgkmcnt(12)
	v_mul_f64 v[54:55], v[62:63], v[142:143]
	v_mul_f64 v[147:148], v[60:61], v[142:143]
	s_waitcnt lgkmcnt(11)
	v_mul_f64 v[149:150], v[66:67], v[142:143]
	v_mul_f64 v[151:152], v[64:65], v[142:143]
	;; [unrolled: 3-line block ×13, first 2 shown]
	v_fma_f64 v[54:55], v[60:61], v[52:53], -v[54:55]
	v_fma_f64 v[60:61], v[62:63], v[52:53], v[147:148]
	v_fma_f64 v[62:63], v[64:65], v[52:53], -v[149:150]
	v_fma_f64 v[64:65], v[66:67], v[52:53], v[151:152]
	;; [unrolled: 2-line block ×13, first 2 shown]
	v_add_f64 v[48:49], v[48:49], -v[54:55]
	v_add_f64 v[50:51], v[50:51], -v[60:61]
	;; [unrolled: 1-line block ×26, first 2 shown]
	v_dual_mov_b32 v54, v142 :: v_dual_mov_b32 v55, v143
.LBB27_10:
	s_or_b32 exec_lo, exec_lo, s4
	s_delay_alu instid0(SALU_CYCLE_1)
	s_mov_b32 s4, exec_lo
	s_waitcnt lgkmcnt(0)
	s_barrier
	buffer_gl0_inv
	v_cmpx_eq_u32_e32 1, v144
	s_cbranch_execz .LBB27_17
; %bb.11:
	ds_store_2addr_b64 v145, v[48:49], v[50:51] offset1:1
	ds_store_2addr_b64 v146, v[44:45], v[46:47] offset0:4 offset1:5
	ds_store_2addr_b64 v146, v[40:41], v[42:43] offset0:6 offset1:7
	;; [unrolled: 1-line block ×12, first 2 shown]
	ds_load_2addr_b64 v[60:63], v145 offset1:1
	s_waitcnt lgkmcnt(0)
	v_cmp_neq_f64_e32 vcc_lo, 0, v[60:61]
	v_cmp_neq_f64_e64 s3, 0, v[62:63]
	s_delay_alu instid0(VALU_DEP_1) | instskip(NEXT) | instid1(SALU_CYCLE_1)
	s_or_b32 s3, vcc_lo, s3
	s_and_b32 exec_lo, exec_lo, s3
	s_cbranch_execz .LBB27_17
; %bb.12:
	v_cmp_gt_f64_e32 vcc_lo, 0, v[60:61]
	v_cmp_gt_f64_e64 s3, 0, v[62:63]
	v_xor_b32_e32 v64, 0x80000000, v61
	v_xor_b32_e32 v66, 0x80000000, v63
                                        ; implicit-def: $vgpr68_vgpr69
	s_delay_alu instid0(VALU_DEP_2) | instskip(NEXT) | instid1(VALU_DEP_2)
	v_cndmask_b32_e32 v65, v61, v64, vcc_lo
	v_cndmask_b32_e64 v67, v63, v66, s3
	v_cndmask_b32_e32 v64, v60, v60, vcc_lo
	v_cndmask_b32_e64 v66, v62, v62, s3
	s_mov_b32 s3, exec_lo
	s_delay_alu instid0(VALU_DEP_1)
	v_cmpx_ngt_f64_e32 v[64:65], v[66:67]
	s_xor_b32 s3, exec_lo, s3
                                        ; implicit-def: $vgpr64_vgpr65_vgpr66_vgpr67
	s_cbranch_execz .LBB27_14
; %bb.13:
	v_div_scale_f64 v[64:65], null, v[62:63], v[62:63], v[60:61]
	v_div_scale_f64 v[70:71], vcc_lo, v[60:61], v[62:63], v[60:61]
	s_delay_alu instid0(VALU_DEP_2) | instskip(SKIP_2) | instid1(VALU_DEP_1)
	v_rcp_f64_e32 v[66:67], v[64:65]
	s_waitcnt_depctr 0xfff
	v_fma_f64 v[68:69], -v[64:65], v[66:67], 1.0
	v_fma_f64 v[66:67], v[66:67], v[68:69], v[66:67]
	s_delay_alu instid0(VALU_DEP_1) | instskip(NEXT) | instid1(VALU_DEP_1)
	v_fma_f64 v[68:69], -v[64:65], v[66:67], 1.0
	v_fma_f64 v[66:67], v[66:67], v[68:69], v[66:67]
	s_delay_alu instid0(VALU_DEP_1) | instskip(NEXT) | instid1(VALU_DEP_1)
	v_mul_f64 v[68:69], v[70:71], v[66:67]
	v_fma_f64 v[64:65], -v[64:65], v[68:69], v[70:71]
	s_delay_alu instid0(VALU_DEP_1) | instskip(NEXT) | instid1(VALU_DEP_1)
	v_div_fmas_f64 v[64:65], v[64:65], v[66:67], v[68:69]
	v_div_fixup_f64 v[64:65], v[64:65], v[62:63], v[60:61]
	s_delay_alu instid0(VALU_DEP_1) | instskip(NEXT) | instid1(VALU_DEP_1)
	v_fma_f64 v[60:61], v[60:61], v[64:65], v[62:63]
	v_div_scale_f64 v[62:63], null, v[60:61], v[60:61], 1.0
	s_delay_alu instid0(VALU_DEP_1) | instskip(SKIP_2) | instid1(VALU_DEP_1)
	v_rcp_f64_e32 v[66:67], v[62:63]
	s_waitcnt_depctr 0xfff
	v_fma_f64 v[68:69], -v[62:63], v[66:67], 1.0
	v_fma_f64 v[66:67], v[66:67], v[68:69], v[66:67]
	s_delay_alu instid0(VALU_DEP_1) | instskip(NEXT) | instid1(VALU_DEP_1)
	v_fma_f64 v[68:69], -v[62:63], v[66:67], 1.0
	v_fma_f64 v[66:67], v[66:67], v[68:69], v[66:67]
	v_div_scale_f64 v[68:69], vcc_lo, 1.0, v[60:61], 1.0
	s_delay_alu instid0(VALU_DEP_1) | instskip(NEXT) | instid1(VALU_DEP_1)
	v_mul_f64 v[70:71], v[68:69], v[66:67]
	v_fma_f64 v[62:63], -v[62:63], v[70:71], v[68:69]
	s_delay_alu instid0(VALU_DEP_1) | instskip(NEXT) | instid1(VALU_DEP_1)
	v_div_fmas_f64 v[62:63], v[62:63], v[66:67], v[70:71]
	v_div_fixup_f64 v[66:67], v[62:63], v[60:61], 1.0
                                        ; implicit-def: $vgpr60_vgpr61
	s_delay_alu instid0(VALU_DEP_1)
	v_mul_f64 v[68:69], v[64:65], v[66:67]
	v_xor_b32_e32 v67, 0x80000000, v67
.LBB27_14:
	s_and_not1_saveexec_b32 s3, s3
	s_cbranch_execz .LBB27_16
; %bb.15:
	v_div_scale_f64 v[64:65], null, v[60:61], v[60:61], v[62:63]
	v_div_scale_f64 v[70:71], vcc_lo, v[62:63], v[60:61], v[62:63]
	s_delay_alu instid0(VALU_DEP_2) | instskip(SKIP_2) | instid1(VALU_DEP_1)
	v_rcp_f64_e32 v[66:67], v[64:65]
	s_waitcnt_depctr 0xfff
	v_fma_f64 v[68:69], -v[64:65], v[66:67], 1.0
	v_fma_f64 v[66:67], v[66:67], v[68:69], v[66:67]
	s_delay_alu instid0(VALU_DEP_1) | instskip(NEXT) | instid1(VALU_DEP_1)
	v_fma_f64 v[68:69], -v[64:65], v[66:67], 1.0
	v_fma_f64 v[66:67], v[66:67], v[68:69], v[66:67]
	s_delay_alu instid0(VALU_DEP_1) | instskip(NEXT) | instid1(VALU_DEP_1)
	v_mul_f64 v[68:69], v[70:71], v[66:67]
	v_fma_f64 v[64:65], -v[64:65], v[68:69], v[70:71]
	s_delay_alu instid0(VALU_DEP_1) | instskip(NEXT) | instid1(VALU_DEP_1)
	v_div_fmas_f64 v[64:65], v[64:65], v[66:67], v[68:69]
	v_div_fixup_f64 v[64:65], v[64:65], v[60:61], v[62:63]
	s_delay_alu instid0(VALU_DEP_1) | instskip(NEXT) | instid1(VALU_DEP_1)
	v_fma_f64 v[60:61], v[62:63], v[64:65], v[60:61]
	v_div_scale_f64 v[62:63], null, v[60:61], v[60:61], 1.0
	s_delay_alu instid0(VALU_DEP_1) | instskip(SKIP_2) | instid1(VALU_DEP_1)
	v_rcp_f64_e32 v[66:67], v[62:63]
	s_waitcnt_depctr 0xfff
	v_fma_f64 v[68:69], -v[62:63], v[66:67], 1.0
	v_fma_f64 v[66:67], v[66:67], v[68:69], v[66:67]
	s_delay_alu instid0(VALU_DEP_1) | instskip(NEXT) | instid1(VALU_DEP_1)
	v_fma_f64 v[68:69], -v[62:63], v[66:67], 1.0
	v_fma_f64 v[66:67], v[66:67], v[68:69], v[66:67]
	v_div_scale_f64 v[68:69], vcc_lo, 1.0, v[60:61], 1.0
	s_delay_alu instid0(VALU_DEP_1) | instskip(NEXT) | instid1(VALU_DEP_1)
	v_mul_f64 v[70:71], v[68:69], v[66:67]
	v_fma_f64 v[62:63], -v[62:63], v[70:71], v[68:69]
	s_delay_alu instid0(VALU_DEP_1) | instskip(NEXT) | instid1(VALU_DEP_1)
	v_div_fmas_f64 v[62:63], v[62:63], v[66:67], v[70:71]
	v_div_fixup_f64 v[68:69], v[62:63], v[60:61], 1.0
	s_delay_alu instid0(VALU_DEP_1)
	v_mul_f64 v[66:67], v[64:65], -v[68:69]
.LBB27_16:
	s_or_b32 exec_lo, exec_lo, s3
	ds_store_2addr_b64 v145, v[68:69], v[66:67] offset1:1
.LBB27_17:
	s_or_b32 exec_lo, exec_lo, s4
	s_waitcnt lgkmcnt(0)
	s_barrier
	buffer_gl0_inv
	ds_load_2addr_b64 v[60:63], v145 offset1:1
	s_mov_b32 s3, exec_lo
	v_cmpx_lt_u32_e32 1, v144
	s_cbranch_execz .LBB27_19
; %bb.18:
	s_waitcnt lgkmcnt(0)
	v_mul_f64 v[64:65], v[60:61], v[50:51]
	v_mul_f64 v[50:51], v[62:63], v[50:51]
	s_delay_alu instid0(VALU_DEP_2)
	v_fma_f64 v[142:143], v[62:63], v[48:49], v[64:65]
	ds_load_2addr_b64 v[64:67], v146 offset0:4 offset1:5
	ds_load_2addr_b64 v[68:71], v146 offset0:6 offset1:7
	;; [unrolled: 1-line block ×12, first 2 shown]
	v_fma_f64 v[48:49], v[60:61], v[48:49], -v[50:51]
	s_waitcnt lgkmcnt(11)
	v_mul_f64 v[50:51], v[66:67], v[142:143]
	v_mul_f64 v[147:148], v[64:65], v[142:143]
	s_waitcnt lgkmcnt(10)
	v_mul_f64 v[149:150], v[70:71], v[142:143]
	v_mul_f64 v[151:152], v[68:69], v[142:143]
	;; [unrolled: 3-line block ×12, first 2 shown]
	v_fma_f64 v[50:51], v[64:65], v[48:49], -v[50:51]
	v_fma_f64 v[64:65], v[66:67], v[48:49], v[147:148]
	v_fma_f64 v[66:67], v[68:69], v[48:49], -v[149:150]
	v_fma_f64 v[68:69], v[70:71], v[48:49], v[151:152]
	;; [unrolled: 2-line block ×12, first 2 shown]
	v_add_f64 v[44:45], v[44:45], -v[50:51]
	v_add_f64 v[46:47], v[46:47], -v[64:65]
	;; [unrolled: 1-line block ×24, first 2 shown]
	v_dual_mov_b32 v50, v142 :: v_dual_mov_b32 v51, v143
.LBB27_19:
	s_or_b32 exec_lo, exec_lo, s3
	s_delay_alu instid0(SALU_CYCLE_1)
	s_mov_b32 s4, exec_lo
	s_waitcnt lgkmcnt(0)
	s_barrier
	buffer_gl0_inv
	v_cmpx_eq_u32_e32 2, v144
	s_cbranch_execz .LBB27_26
; %bb.20:
	ds_store_2addr_b64 v145, v[44:45], v[46:47] offset1:1
	ds_store_2addr_b64 v146, v[40:41], v[42:43] offset0:6 offset1:7
	ds_store_2addr_b64 v146, v[36:37], v[38:39] offset0:8 offset1:9
	;; [unrolled: 1-line block ×11, first 2 shown]
	ds_load_2addr_b64 v[64:67], v145 offset1:1
	s_waitcnt lgkmcnt(0)
	v_cmp_neq_f64_e32 vcc_lo, 0, v[64:65]
	v_cmp_neq_f64_e64 s3, 0, v[66:67]
	s_delay_alu instid0(VALU_DEP_1) | instskip(NEXT) | instid1(SALU_CYCLE_1)
	s_or_b32 s3, vcc_lo, s3
	s_and_b32 exec_lo, exec_lo, s3
	s_cbranch_execz .LBB27_26
; %bb.21:
	v_cmp_gt_f64_e32 vcc_lo, 0, v[64:65]
	v_cmp_gt_f64_e64 s3, 0, v[66:67]
	v_xor_b32_e32 v68, 0x80000000, v65
	v_xor_b32_e32 v70, 0x80000000, v67
                                        ; implicit-def: $vgpr72_vgpr73
	s_delay_alu instid0(VALU_DEP_2) | instskip(NEXT) | instid1(VALU_DEP_2)
	v_cndmask_b32_e32 v69, v65, v68, vcc_lo
	v_cndmask_b32_e64 v71, v67, v70, s3
	v_cndmask_b32_e32 v68, v64, v64, vcc_lo
	v_cndmask_b32_e64 v70, v66, v66, s3
	s_mov_b32 s3, exec_lo
	s_delay_alu instid0(VALU_DEP_1)
	v_cmpx_ngt_f64_e32 v[68:69], v[70:71]
	s_xor_b32 s3, exec_lo, s3
                                        ; implicit-def: $vgpr68_vgpr69_vgpr70_vgpr71
	s_cbranch_execz .LBB27_23
; %bb.22:
	v_div_scale_f64 v[68:69], null, v[66:67], v[66:67], v[64:65]
	v_div_scale_f64 v[74:75], vcc_lo, v[64:65], v[66:67], v[64:65]
	s_delay_alu instid0(VALU_DEP_2) | instskip(SKIP_2) | instid1(VALU_DEP_1)
	v_rcp_f64_e32 v[70:71], v[68:69]
	s_waitcnt_depctr 0xfff
	v_fma_f64 v[72:73], -v[68:69], v[70:71], 1.0
	v_fma_f64 v[70:71], v[70:71], v[72:73], v[70:71]
	s_delay_alu instid0(VALU_DEP_1) | instskip(NEXT) | instid1(VALU_DEP_1)
	v_fma_f64 v[72:73], -v[68:69], v[70:71], 1.0
	v_fma_f64 v[70:71], v[70:71], v[72:73], v[70:71]
	s_delay_alu instid0(VALU_DEP_1) | instskip(NEXT) | instid1(VALU_DEP_1)
	v_mul_f64 v[72:73], v[74:75], v[70:71]
	v_fma_f64 v[68:69], -v[68:69], v[72:73], v[74:75]
	s_delay_alu instid0(VALU_DEP_1) | instskip(NEXT) | instid1(VALU_DEP_1)
	v_div_fmas_f64 v[68:69], v[68:69], v[70:71], v[72:73]
	v_div_fixup_f64 v[68:69], v[68:69], v[66:67], v[64:65]
	s_delay_alu instid0(VALU_DEP_1) | instskip(NEXT) | instid1(VALU_DEP_1)
	v_fma_f64 v[64:65], v[64:65], v[68:69], v[66:67]
	v_div_scale_f64 v[66:67], null, v[64:65], v[64:65], 1.0
	s_delay_alu instid0(VALU_DEP_1) | instskip(SKIP_2) | instid1(VALU_DEP_1)
	v_rcp_f64_e32 v[70:71], v[66:67]
	s_waitcnt_depctr 0xfff
	v_fma_f64 v[72:73], -v[66:67], v[70:71], 1.0
	v_fma_f64 v[70:71], v[70:71], v[72:73], v[70:71]
	s_delay_alu instid0(VALU_DEP_1) | instskip(NEXT) | instid1(VALU_DEP_1)
	v_fma_f64 v[72:73], -v[66:67], v[70:71], 1.0
	v_fma_f64 v[70:71], v[70:71], v[72:73], v[70:71]
	v_div_scale_f64 v[72:73], vcc_lo, 1.0, v[64:65], 1.0
	s_delay_alu instid0(VALU_DEP_1) | instskip(NEXT) | instid1(VALU_DEP_1)
	v_mul_f64 v[74:75], v[72:73], v[70:71]
	v_fma_f64 v[66:67], -v[66:67], v[74:75], v[72:73]
	s_delay_alu instid0(VALU_DEP_1) | instskip(NEXT) | instid1(VALU_DEP_1)
	v_div_fmas_f64 v[66:67], v[66:67], v[70:71], v[74:75]
	v_div_fixup_f64 v[70:71], v[66:67], v[64:65], 1.0
                                        ; implicit-def: $vgpr64_vgpr65
	s_delay_alu instid0(VALU_DEP_1)
	v_mul_f64 v[72:73], v[68:69], v[70:71]
	v_xor_b32_e32 v71, 0x80000000, v71
.LBB27_23:
	s_and_not1_saveexec_b32 s3, s3
	s_cbranch_execz .LBB27_25
; %bb.24:
	v_div_scale_f64 v[68:69], null, v[64:65], v[64:65], v[66:67]
	v_div_scale_f64 v[74:75], vcc_lo, v[66:67], v[64:65], v[66:67]
	s_delay_alu instid0(VALU_DEP_2) | instskip(SKIP_2) | instid1(VALU_DEP_1)
	v_rcp_f64_e32 v[70:71], v[68:69]
	s_waitcnt_depctr 0xfff
	v_fma_f64 v[72:73], -v[68:69], v[70:71], 1.0
	v_fma_f64 v[70:71], v[70:71], v[72:73], v[70:71]
	s_delay_alu instid0(VALU_DEP_1) | instskip(NEXT) | instid1(VALU_DEP_1)
	v_fma_f64 v[72:73], -v[68:69], v[70:71], 1.0
	v_fma_f64 v[70:71], v[70:71], v[72:73], v[70:71]
	s_delay_alu instid0(VALU_DEP_1) | instskip(NEXT) | instid1(VALU_DEP_1)
	v_mul_f64 v[72:73], v[74:75], v[70:71]
	v_fma_f64 v[68:69], -v[68:69], v[72:73], v[74:75]
	s_delay_alu instid0(VALU_DEP_1) | instskip(NEXT) | instid1(VALU_DEP_1)
	v_div_fmas_f64 v[68:69], v[68:69], v[70:71], v[72:73]
	v_div_fixup_f64 v[68:69], v[68:69], v[64:65], v[66:67]
	s_delay_alu instid0(VALU_DEP_1) | instskip(NEXT) | instid1(VALU_DEP_1)
	v_fma_f64 v[64:65], v[66:67], v[68:69], v[64:65]
	v_div_scale_f64 v[66:67], null, v[64:65], v[64:65], 1.0
	s_delay_alu instid0(VALU_DEP_1) | instskip(SKIP_2) | instid1(VALU_DEP_1)
	v_rcp_f64_e32 v[70:71], v[66:67]
	s_waitcnt_depctr 0xfff
	v_fma_f64 v[72:73], -v[66:67], v[70:71], 1.0
	v_fma_f64 v[70:71], v[70:71], v[72:73], v[70:71]
	s_delay_alu instid0(VALU_DEP_1) | instskip(NEXT) | instid1(VALU_DEP_1)
	v_fma_f64 v[72:73], -v[66:67], v[70:71], 1.0
	v_fma_f64 v[70:71], v[70:71], v[72:73], v[70:71]
	v_div_scale_f64 v[72:73], vcc_lo, 1.0, v[64:65], 1.0
	s_delay_alu instid0(VALU_DEP_1) | instskip(NEXT) | instid1(VALU_DEP_1)
	v_mul_f64 v[74:75], v[72:73], v[70:71]
	v_fma_f64 v[66:67], -v[66:67], v[74:75], v[72:73]
	s_delay_alu instid0(VALU_DEP_1) | instskip(NEXT) | instid1(VALU_DEP_1)
	v_div_fmas_f64 v[66:67], v[66:67], v[70:71], v[74:75]
	v_div_fixup_f64 v[72:73], v[66:67], v[64:65], 1.0
	s_delay_alu instid0(VALU_DEP_1)
	v_mul_f64 v[70:71], v[68:69], -v[72:73]
.LBB27_25:
	s_or_b32 exec_lo, exec_lo, s3
	ds_store_2addr_b64 v145, v[72:73], v[70:71] offset1:1
.LBB27_26:
	s_or_b32 exec_lo, exec_lo, s4
	s_waitcnt lgkmcnt(0)
	s_barrier
	buffer_gl0_inv
	ds_load_2addr_b64 v[64:67], v145 offset1:1
	s_mov_b32 s3, exec_lo
	v_cmpx_lt_u32_e32 2, v144
	s_cbranch_execz .LBB27_28
; %bb.27:
	s_waitcnt lgkmcnt(0)
	v_mul_f64 v[68:69], v[64:65], v[46:47]
	v_mul_f64 v[46:47], v[66:67], v[46:47]
	s_delay_alu instid0(VALU_DEP_2)
	v_fma_f64 v[142:143], v[66:67], v[44:45], v[68:69]
	ds_load_2addr_b64 v[68:71], v146 offset0:6 offset1:7
	ds_load_2addr_b64 v[72:75], v146 offset0:8 offset1:9
	;; [unrolled: 1-line block ×11, first 2 shown]
	v_fma_f64 v[44:45], v[64:65], v[44:45], -v[46:47]
	s_waitcnt lgkmcnt(10)
	v_mul_f64 v[46:47], v[70:71], v[142:143]
	v_mul_f64 v[147:148], v[68:69], v[142:143]
	s_waitcnt lgkmcnt(9)
	v_mul_f64 v[149:150], v[74:75], v[142:143]
	v_mul_f64 v[151:152], v[72:73], v[142:143]
	;; [unrolled: 3-line block ×11, first 2 shown]
	v_fma_f64 v[46:47], v[68:69], v[44:45], -v[46:47]
	v_fma_f64 v[68:69], v[70:71], v[44:45], v[147:148]
	v_fma_f64 v[70:71], v[72:73], v[44:45], -v[149:150]
	v_fma_f64 v[72:73], v[74:75], v[44:45], v[151:152]
	;; [unrolled: 2-line block ×11, first 2 shown]
	v_add_f64 v[40:41], v[40:41], -v[46:47]
	v_add_f64 v[42:43], v[42:43], -v[68:69]
	;; [unrolled: 1-line block ×22, first 2 shown]
	v_dual_mov_b32 v46, v142 :: v_dual_mov_b32 v47, v143
.LBB27_28:
	s_or_b32 exec_lo, exec_lo, s3
	s_delay_alu instid0(SALU_CYCLE_1)
	s_mov_b32 s4, exec_lo
	s_waitcnt lgkmcnt(0)
	s_barrier
	buffer_gl0_inv
	v_cmpx_eq_u32_e32 3, v144
	s_cbranch_execz .LBB27_35
; %bb.29:
	ds_store_2addr_b64 v145, v[40:41], v[42:43] offset1:1
	ds_store_2addr_b64 v146, v[36:37], v[38:39] offset0:8 offset1:9
	ds_store_2addr_b64 v146, v[32:33], v[34:35] offset0:10 offset1:11
	;; [unrolled: 1-line block ×10, first 2 shown]
	ds_load_2addr_b64 v[68:71], v145 offset1:1
	s_waitcnt lgkmcnt(0)
	v_cmp_neq_f64_e32 vcc_lo, 0, v[68:69]
	v_cmp_neq_f64_e64 s3, 0, v[70:71]
	s_delay_alu instid0(VALU_DEP_1) | instskip(NEXT) | instid1(SALU_CYCLE_1)
	s_or_b32 s3, vcc_lo, s3
	s_and_b32 exec_lo, exec_lo, s3
	s_cbranch_execz .LBB27_35
; %bb.30:
	v_cmp_gt_f64_e32 vcc_lo, 0, v[68:69]
	v_cmp_gt_f64_e64 s3, 0, v[70:71]
	v_xor_b32_e32 v72, 0x80000000, v69
	v_xor_b32_e32 v74, 0x80000000, v71
                                        ; implicit-def: $vgpr76_vgpr77
	s_delay_alu instid0(VALU_DEP_2) | instskip(NEXT) | instid1(VALU_DEP_2)
	v_cndmask_b32_e32 v73, v69, v72, vcc_lo
	v_cndmask_b32_e64 v75, v71, v74, s3
	v_cndmask_b32_e32 v72, v68, v68, vcc_lo
	v_cndmask_b32_e64 v74, v70, v70, s3
	s_mov_b32 s3, exec_lo
	s_delay_alu instid0(VALU_DEP_1)
	v_cmpx_ngt_f64_e32 v[72:73], v[74:75]
	s_xor_b32 s3, exec_lo, s3
                                        ; implicit-def: $vgpr72_vgpr73_vgpr74_vgpr75
	s_cbranch_execz .LBB27_32
; %bb.31:
	v_div_scale_f64 v[72:73], null, v[70:71], v[70:71], v[68:69]
	v_div_scale_f64 v[78:79], vcc_lo, v[68:69], v[70:71], v[68:69]
	s_delay_alu instid0(VALU_DEP_2) | instskip(SKIP_2) | instid1(VALU_DEP_1)
	v_rcp_f64_e32 v[74:75], v[72:73]
	s_waitcnt_depctr 0xfff
	v_fma_f64 v[76:77], -v[72:73], v[74:75], 1.0
	v_fma_f64 v[74:75], v[74:75], v[76:77], v[74:75]
	s_delay_alu instid0(VALU_DEP_1) | instskip(NEXT) | instid1(VALU_DEP_1)
	v_fma_f64 v[76:77], -v[72:73], v[74:75], 1.0
	v_fma_f64 v[74:75], v[74:75], v[76:77], v[74:75]
	s_delay_alu instid0(VALU_DEP_1) | instskip(NEXT) | instid1(VALU_DEP_1)
	v_mul_f64 v[76:77], v[78:79], v[74:75]
	v_fma_f64 v[72:73], -v[72:73], v[76:77], v[78:79]
	s_delay_alu instid0(VALU_DEP_1) | instskip(NEXT) | instid1(VALU_DEP_1)
	v_div_fmas_f64 v[72:73], v[72:73], v[74:75], v[76:77]
	v_div_fixup_f64 v[72:73], v[72:73], v[70:71], v[68:69]
	s_delay_alu instid0(VALU_DEP_1) | instskip(NEXT) | instid1(VALU_DEP_1)
	v_fma_f64 v[68:69], v[68:69], v[72:73], v[70:71]
	v_div_scale_f64 v[70:71], null, v[68:69], v[68:69], 1.0
	s_delay_alu instid0(VALU_DEP_1) | instskip(SKIP_2) | instid1(VALU_DEP_1)
	v_rcp_f64_e32 v[74:75], v[70:71]
	s_waitcnt_depctr 0xfff
	v_fma_f64 v[76:77], -v[70:71], v[74:75], 1.0
	v_fma_f64 v[74:75], v[74:75], v[76:77], v[74:75]
	s_delay_alu instid0(VALU_DEP_1) | instskip(NEXT) | instid1(VALU_DEP_1)
	v_fma_f64 v[76:77], -v[70:71], v[74:75], 1.0
	v_fma_f64 v[74:75], v[74:75], v[76:77], v[74:75]
	v_div_scale_f64 v[76:77], vcc_lo, 1.0, v[68:69], 1.0
	s_delay_alu instid0(VALU_DEP_1) | instskip(NEXT) | instid1(VALU_DEP_1)
	v_mul_f64 v[78:79], v[76:77], v[74:75]
	v_fma_f64 v[70:71], -v[70:71], v[78:79], v[76:77]
	s_delay_alu instid0(VALU_DEP_1) | instskip(NEXT) | instid1(VALU_DEP_1)
	v_div_fmas_f64 v[70:71], v[70:71], v[74:75], v[78:79]
	v_div_fixup_f64 v[74:75], v[70:71], v[68:69], 1.0
                                        ; implicit-def: $vgpr68_vgpr69
	s_delay_alu instid0(VALU_DEP_1)
	v_mul_f64 v[76:77], v[72:73], v[74:75]
	v_xor_b32_e32 v75, 0x80000000, v75
.LBB27_32:
	s_and_not1_saveexec_b32 s3, s3
	s_cbranch_execz .LBB27_34
; %bb.33:
	v_div_scale_f64 v[72:73], null, v[68:69], v[68:69], v[70:71]
	v_div_scale_f64 v[78:79], vcc_lo, v[70:71], v[68:69], v[70:71]
	s_delay_alu instid0(VALU_DEP_2) | instskip(SKIP_2) | instid1(VALU_DEP_1)
	v_rcp_f64_e32 v[74:75], v[72:73]
	s_waitcnt_depctr 0xfff
	v_fma_f64 v[76:77], -v[72:73], v[74:75], 1.0
	v_fma_f64 v[74:75], v[74:75], v[76:77], v[74:75]
	s_delay_alu instid0(VALU_DEP_1) | instskip(NEXT) | instid1(VALU_DEP_1)
	v_fma_f64 v[76:77], -v[72:73], v[74:75], 1.0
	v_fma_f64 v[74:75], v[74:75], v[76:77], v[74:75]
	s_delay_alu instid0(VALU_DEP_1) | instskip(NEXT) | instid1(VALU_DEP_1)
	v_mul_f64 v[76:77], v[78:79], v[74:75]
	v_fma_f64 v[72:73], -v[72:73], v[76:77], v[78:79]
	s_delay_alu instid0(VALU_DEP_1) | instskip(NEXT) | instid1(VALU_DEP_1)
	v_div_fmas_f64 v[72:73], v[72:73], v[74:75], v[76:77]
	v_div_fixup_f64 v[72:73], v[72:73], v[68:69], v[70:71]
	s_delay_alu instid0(VALU_DEP_1) | instskip(NEXT) | instid1(VALU_DEP_1)
	v_fma_f64 v[68:69], v[70:71], v[72:73], v[68:69]
	v_div_scale_f64 v[70:71], null, v[68:69], v[68:69], 1.0
	s_delay_alu instid0(VALU_DEP_1) | instskip(SKIP_2) | instid1(VALU_DEP_1)
	v_rcp_f64_e32 v[74:75], v[70:71]
	s_waitcnt_depctr 0xfff
	v_fma_f64 v[76:77], -v[70:71], v[74:75], 1.0
	v_fma_f64 v[74:75], v[74:75], v[76:77], v[74:75]
	s_delay_alu instid0(VALU_DEP_1) | instskip(NEXT) | instid1(VALU_DEP_1)
	v_fma_f64 v[76:77], -v[70:71], v[74:75], 1.0
	v_fma_f64 v[74:75], v[74:75], v[76:77], v[74:75]
	v_div_scale_f64 v[76:77], vcc_lo, 1.0, v[68:69], 1.0
	s_delay_alu instid0(VALU_DEP_1) | instskip(NEXT) | instid1(VALU_DEP_1)
	v_mul_f64 v[78:79], v[76:77], v[74:75]
	v_fma_f64 v[70:71], -v[70:71], v[78:79], v[76:77]
	s_delay_alu instid0(VALU_DEP_1) | instskip(NEXT) | instid1(VALU_DEP_1)
	v_div_fmas_f64 v[70:71], v[70:71], v[74:75], v[78:79]
	v_div_fixup_f64 v[76:77], v[70:71], v[68:69], 1.0
	s_delay_alu instid0(VALU_DEP_1)
	v_mul_f64 v[74:75], v[72:73], -v[76:77]
.LBB27_34:
	s_or_b32 exec_lo, exec_lo, s3
	ds_store_2addr_b64 v145, v[76:77], v[74:75] offset1:1
.LBB27_35:
	s_or_b32 exec_lo, exec_lo, s4
	s_waitcnt lgkmcnt(0)
	s_barrier
	buffer_gl0_inv
	ds_load_2addr_b64 v[68:71], v145 offset1:1
	s_mov_b32 s3, exec_lo
	v_cmpx_lt_u32_e32 3, v144
	s_cbranch_execz .LBB27_37
; %bb.36:
	s_waitcnt lgkmcnt(0)
	v_mul_f64 v[72:73], v[68:69], v[42:43]
	v_mul_f64 v[42:43], v[70:71], v[42:43]
	s_delay_alu instid0(VALU_DEP_2)
	v_fma_f64 v[142:143], v[70:71], v[40:41], v[72:73]
	ds_load_2addr_b64 v[72:75], v146 offset0:8 offset1:9
	ds_load_2addr_b64 v[76:79], v146 offset0:10 offset1:11
	;; [unrolled: 1-line block ×10, first 2 shown]
	v_fma_f64 v[40:41], v[68:69], v[40:41], -v[42:43]
	s_waitcnt lgkmcnt(9)
	v_mul_f64 v[42:43], v[74:75], v[142:143]
	v_mul_f64 v[147:148], v[72:73], v[142:143]
	s_waitcnt lgkmcnt(8)
	v_mul_f64 v[149:150], v[78:79], v[142:143]
	v_mul_f64 v[151:152], v[76:77], v[142:143]
	;; [unrolled: 3-line block ×10, first 2 shown]
	v_fma_f64 v[42:43], v[72:73], v[40:41], -v[42:43]
	v_fma_f64 v[72:73], v[74:75], v[40:41], v[147:148]
	v_fma_f64 v[74:75], v[76:77], v[40:41], -v[149:150]
	v_fma_f64 v[76:77], v[78:79], v[40:41], v[151:152]
	v_fma_f64 v[78:79], v[80:81], v[40:41], -v[153:154]
	v_fma_f64 v[80:81], v[82:83], v[40:41], v[155:156]
	v_fma_f64 v[82:83], v[84:85], v[40:41], -v[157:158]
	v_fma_f64 v[84:85], v[86:87], v[40:41], v[159:160]
	v_fma_f64 v[86:87], v[88:89], v[40:41], -v[161:162]
	v_fma_f64 v[88:89], v[90:91], v[40:41], v[163:164]
	v_fma_f64 v[90:91], v[92:93], v[40:41], -v[165:166]
	v_fma_f64 v[92:93], v[94:95], v[40:41], v[167:168]
	v_fma_f64 v[94:95], v[96:97], v[40:41], -v[169:170]
	v_fma_f64 v[96:97], v[98:99], v[40:41], v[171:172]
	v_fma_f64 v[98:99], v[100:101], v[40:41], -v[173:174]
	v_fma_f64 v[100:101], v[102:103], v[40:41], v[175:176]
	v_fma_f64 v[102:103], v[104:105], v[40:41], -v[177:178]
	v_fma_f64 v[104:105], v[106:107], v[40:41], v[179:180]
	v_fma_f64 v[106:107], v[108:109], v[40:41], -v[181:182]
	v_fma_f64 v[108:109], v[110:111], v[40:41], v[183:184]
	v_add_f64 v[36:37], v[36:37], -v[42:43]
	v_add_f64 v[38:39], v[38:39], -v[72:73]
	;; [unrolled: 1-line block ×20, first 2 shown]
	v_dual_mov_b32 v42, v142 :: v_dual_mov_b32 v43, v143
.LBB27_37:
	s_or_b32 exec_lo, exec_lo, s3
	s_delay_alu instid0(SALU_CYCLE_1)
	s_mov_b32 s4, exec_lo
	s_waitcnt lgkmcnt(0)
	s_barrier
	buffer_gl0_inv
	v_cmpx_eq_u32_e32 4, v144
	s_cbranch_execz .LBB27_44
; %bb.38:
	ds_store_2addr_b64 v145, v[36:37], v[38:39] offset1:1
	ds_store_2addr_b64 v146, v[32:33], v[34:35] offset0:10 offset1:11
	ds_store_2addr_b64 v146, v[28:29], v[30:31] offset0:12 offset1:13
	;; [unrolled: 1-line block ×9, first 2 shown]
	ds_load_2addr_b64 v[72:75], v145 offset1:1
	s_waitcnt lgkmcnt(0)
	v_cmp_neq_f64_e32 vcc_lo, 0, v[72:73]
	v_cmp_neq_f64_e64 s3, 0, v[74:75]
	s_delay_alu instid0(VALU_DEP_1) | instskip(NEXT) | instid1(SALU_CYCLE_1)
	s_or_b32 s3, vcc_lo, s3
	s_and_b32 exec_lo, exec_lo, s3
	s_cbranch_execz .LBB27_44
; %bb.39:
	v_cmp_gt_f64_e32 vcc_lo, 0, v[72:73]
	v_cmp_gt_f64_e64 s3, 0, v[74:75]
	v_xor_b32_e32 v76, 0x80000000, v73
	v_xor_b32_e32 v78, 0x80000000, v75
                                        ; implicit-def: $vgpr80_vgpr81
	s_delay_alu instid0(VALU_DEP_2) | instskip(NEXT) | instid1(VALU_DEP_2)
	v_cndmask_b32_e32 v77, v73, v76, vcc_lo
	v_cndmask_b32_e64 v79, v75, v78, s3
	v_cndmask_b32_e32 v76, v72, v72, vcc_lo
	v_cndmask_b32_e64 v78, v74, v74, s3
	s_mov_b32 s3, exec_lo
	s_delay_alu instid0(VALU_DEP_1)
	v_cmpx_ngt_f64_e32 v[76:77], v[78:79]
	s_xor_b32 s3, exec_lo, s3
                                        ; implicit-def: $vgpr76_vgpr77_vgpr78_vgpr79
	s_cbranch_execz .LBB27_41
; %bb.40:
	v_div_scale_f64 v[76:77], null, v[74:75], v[74:75], v[72:73]
	v_div_scale_f64 v[82:83], vcc_lo, v[72:73], v[74:75], v[72:73]
	s_delay_alu instid0(VALU_DEP_2) | instskip(SKIP_2) | instid1(VALU_DEP_1)
	v_rcp_f64_e32 v[78:79], v[76:77]
	s_waitcnt_depctr 0xfff
	v_fma_f64 v[80:81], -v[76:77], v[78:79], 1.0
	v_fma_f64 v[78:79], v[78:79], v[80:81], v[78:79]
	s_delay_alu instid0(VALU_DEP_1) | instskip(NEXT) | instid1(VALU_DEP_1)
	v_fma_f64 v[80:81], -v[76:77], v[78:79], 1.0
	v_fma_f64 v[78:79], v[78:79], v[80:81], v[78:79]
	s_delay_alu instid0(VALU_DEP_1) | instskip(NEXT) | instid1(VALU_DEP_1)
	v_mul_f64 v[80:81], v[82:83], v[78:79]
	v_fma_f64 v[76:77], -v[76:77], v[80:81], v[82:83]
	s_delay_alu instid0(VALU_DEP_1) | instskip(NEXT) | instid1(VALU_DEP_1)
	v_div_fmas_f64 v[76:77], v[76:77], v[78:79], v[80:81]
	v_div_fixup_f64 v[76:77], v[76:77], v[74:75], v[72:73]
	s_delay_alu instid0(VALU_DEP_1) | instskip(NEXT) | instid1(VALU_DEP_1)
	v_fma_f64 v[72:73], v[72:73], v[76:77], v[74:75]
	v_div_scale_f64 v[74:75], null, v[72:73], v[72:73], 1.0
	s_delay_alu instid0(VALU_DEP_1) | instskip(SKIP_2) | instid1(VALU_DEP_1)
	v_rcp_f64_e32 v[78:79], v[74:75]
	s_waitcnt_depctr 0xfff
	v_fma_f64 v[80:81], -v[74:75], v[78:79], 1.0
	v_fma_f64 v[78:79], v[78:79], v[80:81], v[78:79]
	s_delay_alu instid0(VALU_DEP_1) | instskip(NEXT) | instid1(VALU_DEP_1)
	v_fma_f64 v[80:81], -v[74:75], v[78:79], 1.0
	v_fma_f64 v[78:79], v[78:79], v[80:81], v[78:79]
	v_div_scale_f64 v[80:81], vcc_lo, 1.0, v[72:73], 1.0
	s_delay_alu instid0(VALU_DEP_1) | instskip(NEXT) | instid1(VALU_DEP_1)
	v_mul_f64 v[82:83], v[80:81], v[78:79]
	v_fma_f64 v[74:75], -v[74:75], v[82:83], v[80:81]
	s_delay_alu instid0(VALU_DEP_1) | instskip(NEXT) | instid1(VALU_DEP_1)
	v_div_fmas_f64 v[74:75], v[74:75], v[78:79], v[82:83]
	v_div_fixup_f64 v[78:79], v[74:75], v[72:73], 1.0
                                        ; implicit-def: $vgpr72_vgpr73
	s_delay_alu instid0(VALU_DEP_1)
	v_mul_f64 v[80:81], v[76:77], v[78:79]
	v_xor_b32_e32 v79, 0x80000000, v79
.LBB27_41:
	s_and_not1_saveexec_b32 s3, s3
	s_cbranch_execz .LBB27_43
; %bb.42:
	v_div_scale_f64 v[76:77], null, v[72:73], v[72:73], v[74:75]
	v_div_scale_f64 v[82:83], vcc_lo, v[74:75], v[72:73], v[74:75]
	s_delay_alu instid0(VALU_DEP_2) | instskip(SKIP_2) | instid1(VALU_DEP_1)
	v_rcp_f64_e32 v[78:79], v[76:77]
	s_waitcnt_depctr 0xfff
	v_fma_f64 v[80:81], -v[76:77], v[78:79], 1.0
	v_fma_f64 v[78:79], v[78:79], v[80:81], v[78:79]
	s_delay_alu instid0(VALU_DEP_1) | instskip(NEXT) | instid1(VALU_DEP_1)
	v_fma_f64 v[80:81], -v[76:77], v[78:79], 1.0
	v_fma_f64 v[78:79], v[78:79], v[80:81], v[78:79]
	s_delay_alu instid0(VALU_DEP_1) | instskip(NEXT) | instid1(VALU_DEP_1)
	v_mul_f64 v[80:81], v[82:83], v[78:79]
	v_fma_f64 v[76:77], -v[76:77], v[80:81], v[82:83]
	s_delay_alu instid0(VALU_DEP_1) | instskip(NEXT) | instid1(VALU_DEP_1)
	v_div_fmas_f64 v[76:77], v[76:77], v[78:79], v[80:81]
	v_div_fixup_f64 v[76:77], v[76:77], v[72:73], v[74:75]
	s_delay_alu instid0(VALU_DEP_1) | instskip(NEXT) | instid1(VALU_DEP_1)
	v_fma_f64 v[72:73], v[74:75], v[76:77], v[72:73]
	v_div_scale_f64 v[74:75], null, v[72:73], v[72:73], 1.0
	s_delay_alu instid0(VALU_DEP_1) | instskip(SKIP_2) | instid1(VALU_DEP_1)
	v_rcp_f64_e32 v[78:79], v[74:75]
	s_waitcnt_depctr 0xfff
	v_fma_f64 v[80:81], -v[74:75], v[78:79], 1.0
	v_fma_f64 v[78:79], v[78:79], v[80:81], v[78:79]
	s_delay_alu instid0(VALU_DEP_1) | instskip(NEXT) | instid1(VALU_DEP_1)
	v_fma_f64 v[80:81], -v[74:75], v[78:79], 1.0
	v_fma_f64 v[78:79], v[78:79], v[80:81], v[78:79]
	v_div_scale_f64 v[80:81], vcc_lo, 1.0, v[72:73], 1.0
	s_delay_alu instid0(VALU_DEP_1) | instskip(NEXT) | instid1(VALU_DEP_1)
	v_mul_f64 v[82:83], v[80:81], v[78:79]
	v_fma_f64 v[74:75], -v[74:75], v[82:83], v[80:81]
	s_delay_alu instid0(VALU_DEP_1) | instskip(NEXT) | instid1(VALU_DEP_1)
	v_div_fmas_f64 v[74:75], v[74:75], v[78:79], v[82:83]
	v_div_fixup_f64 v[80:81], v[74:75], v[72:73], 1.0
	s_delay_alu instid0(VALU_DEP_1)
	v_mul_f64 v[78:79], v[76:77], -v[80:81]
.LBB27_43:
	s_or_b32 exec_lo, exec_lo, s3
	ds_store_2addr_b64 v145, v[80:81], v[78:79] offset1:1
.LBB27_44:
	s_or_b32 exec_lo, exec_lo, s4
	s_waitcnt lgkmcnt(0)
	s_barrier
	buffer_gl0_inv
	ds_load_2addr_b64 v[72:75], v145 offset1:1
	s_mov_b32 s3, exec_lo
	v_cmpx_lt_u32_e32 4, v144
	s_cbranch_execz .LBB27_46
; %bb.45:
	s_waitcnt lgkmcnt(0)
	v_mul_f64 v[76:77], v[72:73], v[38:39]
	v_mul_f64 v[38:39], v[74:75], v[38:39]
	s_delay_alu instid0(VALU_DEP_2)
	v_fma_f64 v[142:143], v[74:75], v[36:37], v[76:77]
	ds_load_2addr_b64 v[76:79], v146 offset0:10 offset1:11
	ds_load_2addr_b64 v[80:83], v146 offset0:12 offset1:13
	;; [unrolled: 1-line block ×9, first 2 shown]
	v_fma_f64 v[36:37], v[72:73], v[36:37], -v[38:39]
	s_waitcnt lgkmcnt(8)
	v_mul_f64 v[38:39], v[78:79], v[142:143]
	v_mul_f64 v[147:148], v[76:77], v[142:143]
	s_waitcnt lgkmcnt(7)
	v_mul_f64 v[149:150], v[82:83], v[142:143]
	v_mul_f64 v[151:152], v[80:81], v[142:143]
	;; [unrolled: 3-line block ×9, first 2 shown]
	v_fma_f64 v[38:39], v[76:77], v[36:37], -v[38:39]
	v_fma_f64 v[76:77], v[78:79], v[36:37], v[147:148]
	v_fma_f64 v[78:79], v[80:81], v[36:37], -v[149:150]
	v_fma_f64 v[80:81], v[82:83], v[36:37], v[151:152]
	;; [unrolled: 2-line block ×9, first 2 shown]
	v_add_f64 v[32:33], v[32:33], -v[38:39]
	v_add_f64 v[34:35], v[34:35], -v[76:77]
	;; [unrolled: 1-line block ×18, first 2 shown]
	v_dual_mov_b32 v38, v142 :: v_dual_mov_b32 v39, v143
.LBB27_46:
	s_or_b32 exec_lo, exec_lo, s3
	s_delay_alu instid0(SALU_CYCLE_1)
	s_mov_b32 s4, exec_lo
	s_waitcnt lgkmcnt(0)
	s_barrier
	buffer_gl0_inv
	v_cmpx_eq_u32_e32 5, v144
	s_cbranch_execz .LBB27_53
; %bb.47:
	ds_store_2addr_b64 v145, v[32:33], v[34:35] offset1:1
	ds_store_2addr_b64 v146, v[28:29], v[30:31] offset0:12 offset1:13
	ds_store_2addr_b64 v146, v[24:25], v[26:27] offset0:14 offset1:15
	;; [unrolled: 1-line block ×8, first 2 shown]
	ds_load_2addr_b64 v[76:79], v145 offset1:1
	s_waitcnt lgkmcnt(0)
	v_cmp_neq_f64_e32 vcc_lo, 0, v[76:77]
	v_cmp_neq_f64_e64 s3, 0, v[78:79]
	s_delay_alu instid0(VALU_DEP_1) | instskip(NEXT) | instid1(SALU_CYCLE_1)
	s_or_b32 s3, vcc_lo, s3
	s_and_b32 exec_lo, exec_lo, s3
	s_cbranch_execz .LBB27_53
; %bb.48:
	v_cmp_gt_f64_e32 vcc_lo, 0, v[76:77]
	v_cmp_gt_f64_e64 s3, 0, v[78:79]
	v_xor_b32_e32 v80, 0x80000000, v77
	v_xor_b32_e32 v82, 0x80000000, v79
                                        ; implicit-def: $vgpr84_vgpr85
	s_delay_alu instid0(VALU_DEP_2) | instskip(NEXT) | instid1(VALU_DEP_2)
	v_cndmask_b32_e32 v81, v77, v80, vcc_lo
	v_cndmask_b32_e64 v83, v79, v82, s3
	v_cndmask_b32_e32 v80, v76, v76, vcc_lo
	v_cndmask_b32_e64 v82, v78, v78, s3
	s_mov_b32 s3, exec_lo
	s_delay_alu instid0(VALU_DEP_1)
	v_cmpx_ngt_f64_e32 v[80:81], v[82:83]
	s_xor_b32 s3, exec_lo, s3
                                        ; implicit-def: $vgpr80_vgpr81_vgpr82_vgpr83
	s_cbranch_execz .LBB27_50
; %bb.49:
	v_div_scale_f64 v[80:81], null, v[78:79], v[78:79], v[76:77]
	v_div_scale_f64 v[86:87], vcc_lo, v[76:77], v[78:79], v[76:77]
	s_delay_alu instid0(VALU_DEP_2) | instskip(SKIP_2) | instid1(VALU_DEP_1)
	v_rcp_f64_e32 v[82:83], v[80:81]
	s_waitcnt_depctr 0xfff
	v_fma_f64 v[84:85], -v[80:81], v[82:83], 1.0
	v_fma_f64 v[82:83], v[82:83], v[84:85], v[82:83]
	s_delay_alu instid0(VALU_DEP_1) | instskip(NEXT) | instid1(VALU_DEP_1)
	v_fma_f64 v[84:85], -v[80:81], v[82:83], 1.0
	v_fma_f64 v[82:83], v[82:83], v[84:85], v[82:83]
	s_delay_alu instid0(VALU_DEP_1) | instskip(NEXT) | instid1(VALU_DEP_1)
	v_mul_f64 v[84:85], v[86:87], v[82:83]
	v_fma_f64 v[80:81], -v[80:81], v[84:85], v[86:87]
	s_delay_alu instid0(VALU_DEP_1) | instskip(NEXT) | instid1(VALU_DEP_1)
	v_div_fmas_f64 v[80:81], v[80:81], v[82:83], v[84:85]
	v_div_fixup_f64 v[80:81], v[80:81], v[78:79], v[76:77]
	s_delay_alu instid0(VALU_DEP_1) | instskip(NEXT) | instid1(VALU_DEP_1)
	v_fma_f64 v[76:77], v[76:77], v[80:81], v[78:79]
	v_div_scale_f64 v[78:79], null, v[76:77], v[76:77], 1.0
	s_delay_alu instid0(VALU_DEP_1) | instskip(SKIP_2) | instid1(VALU_DEP_1)
	v_rcp_f64_e32 v[82:83], v[78:79]
	s_waitcnt_depctr 0xfff
	v_fma_f64 v[84:85], -v[78:79], v[82:83], 1.0
	v_fma_f64 v[82:83], v[82:83], v[84:85], v[82:83]
	s_delay_alu instid0(VALU_DEP_1) | instskip(NEXT) | instid1(VALU_DEP_1)
	v_fma_f64 v[84:85], -v[78:79], v[82:83], 1.0
	v_fma_f64 v[82:83], v[82:83], v[84:85], v[82:83]
	v_div_scale_f64 v[84:85], vcc_lo, 1.0, v[76:77], 1.0
	s_delay_alu instid0(VALU_DEP_1) | instskip(NEXT) | instid1(VALU_DEP_1)
	v_mul_f64 v[86:87], v[84:85], v[82:83]
	v_fma_f64 v[78:79], -v[78:79], v[86:87], v[84:85]
	s_delay_alu instid0(VALU_DEP_1) | instskip(NEXT) | instid1(VALU_DEP_1)
	v_div_fmas_f64 v[78:79], v[78:79], v[82:83], v[86:87]
	v_div_fixup_f64 v[82:83], v[78:79], v[76:77], 1.0
                                        ; implicit-def: $vgpr76_vgpr77
	s_delay_alu instid0(VALU_DEP_1)
	v_mul_f64 v[84:85], v[80:81], v[82:83]
	v_xor_b32_e32 v83, 0x80000000, v83
.LBB27_50:
	s_and_not1_saveexec_b32 s3, s3
	s_cbranch_execz .LBB27_52
; %bb.51:
	v_div_scale_f64 v[80:81], null, v[76:77], v[76:77], v[78:79]
	v_div_scale_f64 v[86:87], vcc_lo, v[78:79], v[76:77], v[78:79]
	s_delay_alu instid0(VALU_DEP_2) | instskip(SKIP_2) | instid1(VALU_DEP_1)
	v_rcp_f64_e32 v[82:83], v[80:81]
	s_waitcnt_depctr 0xfff
	v_fma_f64 v[84:85], -v[80:81], v[82:83], 1.0
	v_fma_f64 v[82:83], v[82:83], v[84:85], v[82:83]
	s_delay_alu instid0(VALU_DEP_1) | instskip(NEXT) | instid1(VALU_DEP_1)
	v_fma_f64 v[84:85], -v[80:81], v[82:83], 1.0
	v_fma_f64 v[82:83], v[82:83], v[84:85], v[82:83]
	s_delay_alu instid0(VALU_DEP_1) | instskip(NEXT) | instid1(VALU_DEP_1)
	v_mul_f64 v[84:85], v[86:87], v[82:83]
	v_fma_f64 v[80:81], -v[80:81], v[84:85], v[86:87]
	s_delay_alu instid0(VALU_DEP_1) | instskip(NEXT) | instid1(VALU_DEP_1)
	v_div_fmas_f64 v[80:81], v[80:81], v[82:83], v[84:85]
	v_div_fixup_f64 v[80:81], v[80:81], v[76:77], v[78:79]
	s_delay_alu instid0(VALU_DEP_1) | instskip(NEXT) | instid1(VALU_DEP_1)
	v_fma_f64 v[76:77], v[78:79], v[80:81], v[76:77]
	v_div_scale_f64 v[78:79], null, v[76:77], v[76:77], 1.0
	s_delay_alu instid0(VALU_DEP_1) | instskip(SKIP_2) | instid1(VALU_DEP_1)
	v_rcp_f64_e32 v[82:83], v[78:79]
	s_waitcnt_depctr 0xfff
	v_fma_f64 v[84:85], -v[78:79], v[82:83], 1.0
	v_fma_f64 v[82:83], v[82:83], v[84:85], v[82:83]
	s_delay_alu instid0(VALU_DEP_1) | instskip(NEXT) | instid1(VALU_DEP_1)
	v_fma_f64 v[84:85], -v[78:79], v[82:83], 1.0
	v_fma_f64 v[82:83], v[82:83], v[84:85], v[82:83]
	v_div_scale_f64 v[84:85], vcc_lo, 1.0, v[76:77], 1.0
	s_delay_alu instid0(VALU_DEP_1) | instskip(NEXT) | instid1(VALU_DEP_1)
	v_mul_f64 v[86:87], v[84:85], v[82:83]
	v_fma_f64 v[78:79], -v[78:79], v[86:87], v[84:85]
	s_delay_alu instid0(VALU_DEP_1) | instskip(NEXT) | instid1(VALU_DEP_1)
	v_div_fmas_f64 v[78:79], v[78:79], v[82:83], v[86:87]
	v_div_fixup_f64 v[84:85], v[78:79], v[76:77], 1.0
	s_delay_alu instid0(VALU_DEP_1)
	v_mul_f64 v[82:83], v[80:81], -v[84:85]
.LBB27_52:
	s_or_b32 exec_lo, exec_lo, s3
	ds_store_2addr_b64 v145, v[84:85], v[82:83] offset1:1
.LBB27_53:
	s_or_b32 exec_lo, exec_lo, s4
	s_waitcnt lgkmcnt(0)
	s_barrier
	buffer_gl0_inv
	ds_load_2addr_b64 v[76:79], v145 offset1:1
	s_mov_b32 s3, exec_lo
	v_cmpx_lt_u32_e32 5, v144
	s_cbranch_execz .LBB27_55
; %bb.54:
	s_waitcnt lgkmcnt(0)
	v_mul_f64 v[80:81], v[76:77], v[34:35]
	v_mul_f64 v[34:35], v[78:79], v[34:35]
	s_delay_alu instid0(VALU_DEP_2)
	v_fma_f64 v[142:143], v[78:79], v[32:33], v[80:81]
	ds_load_2addr_b64 v[80:83], v146 offset0:12 offset1:13
	ds_load_2addr_b64 v[84:87], v146 offset0:14 offset1:15
	;; [unrolled: 1-line block ×8, first 2 shown]
	v_fma_f64 v[32:33], v[76:77], v[32:33], -v[34:35]
	s_waitcnt lgkmcnt(7)
	v_mul_f64 v[34:35], v[82:83], v[142:143]
	v_mul_f64 v[147:148], v[80:81], v[142:143]
	s_waitcnt lgkmcnt(6)
	v_mul_f64 v[149:150], v[86:87], v[142:143]
	v_mul_f64 v[151:152], v[84:85], v[142:143]
	;; [unrolled: 3-line block ×8, first 2 shown]
	v_fma_f64 v[34:35], v[80:81], v[32:33], -v[34:35]
	v_fma_f64 v[80:81], v[82:83], v[32:33], v[147:148]
	v_fma_f64 v[82:83], v[84:85], v[32:33], -v[149:150]
	v_fma_f64 v[84:85], v[86:87], v[32:33], v[151:152]
	;; [unrolled: 2-line block ×8, first 2 shown]
	v_add_f64 v[28:29], v[28:29], -v[34:35]
	v_add_f64 v[30:31], v[30:31], -v[80:81]
	;; [unrolled: 1-line block ×16, first 2 shown]
	v_dual_mov_b32 v34, v142 :: v_dual_mov_b32 v35, v143
.LBB27_55:
	s_or_b32 exec_lo, exec_lo, s3
	s_delay_alu instid0(SALU_CYCLE_1)
	s_mov_b32 s4, exec_lo
	s_waitcnt lgkmcnt(0)
	s_barrier
	buffer_gl0_inv
	v_cmpx_eq_u32_e32 6, v144
	s_cbranch_execz .LBB27_62
; %bb.56:
	ds_store_2addr_b64 v145, v[28:29], v[30:31] offset1:1
	ds_store_2addr_b64 v146, v[24:25], v[26:27] offset0:14 offset1:15
	ds_store_2addr_b64 v146, v[20:21], v[22:23] offset0:16 offset1:17
	;; [unrolled: 1-line block ×7, first 2 shown]
	ds_load_2addr_b64 v[80:83], v145 offset1:1
	s_waitcnt lgkmcnt(0)
	v_cmp_neq_f64_e32 vcc_lo, 0, v[80:81]
	v_cmp_neq_f64_e64 s3, 0, v[82:83]
	s_delay_alu instid0(VALU_DEP_1) | instskip(NEXT) | instid1(SALU_CYCLE_1)
	s_or_b32 s3, vcc_lo, s3
	s_and_b32 exec_lo, exec_lo, s3
	s_cbranch_execz .LBB27_62
; %bb.57:
	v_cmp_gt_f64_e32 vcc_lo, 0, v[80:81]
	v_cmp_gt_f64_e64 s3, 0, v[82:83]
	v_xor_b32_e32 v84, 0x80000000, v81
	v_xor_b32_e32 v86, 0x80000000, v83
                                        ; implicit-def: $vgpr88_vgpr89
	s_delay_alu instid0(VALU_DEP_2) | instskip(NEXT) | instid1(VALU_DEP_2)
	v_cndmask_b32_e32 v85, v81, v84, vcc_lo
	v_cndmask_b32_e64 v87, v83, v86, s3
	v_cndmask_b32_e32 v84, v80, v80, vcc_lo
	v_cndmask_b32_e64 v86, v82, v82, s3
	s_mov_b32 s3, exec_lo
	s_delay_alu instid0(VALU_DEP_1)
	v_cmpx_ngt_f64_e32 v[84:85], v[86:87]
	s_xor_b32 s3, exec_lo, s3
                                        ; implicit-def: $vgpr84_vgpr85_vgpr86_vgpr87
	s_cbranch_execz .LBB27_59
; %bb.58:
	v_div_scale_f64 v[84:85], null, v[82:83], v[82:83], v[80:81]
	v_div_scale_f64 v[90:91], vcc_lo, v[80:81], v[82:83], v[80:81]
	s_delay_alu instid0(VALU_DEP_2) | instskip(SKIP_2) | instid1(VALU_DEP_1)
	v_rcp_f64_e32 v[86:87], v[84:85]
	s_waitcnt_depctr 0xfff
	v_fma_f64 v[88:89], -v[84:85], v[86:87], 1.0
	v_fma_f64 v[86:87], v[86:87], v[88:89], v[86:87]
	s_delay_alu instid0(VALU_DEP_1) | instskip(NEXT) | instid1(VALU_DEP_1)
	v_fma_f64 v[88:89], -v[84:85], v[86:87], 1.0
	v_fma_f64 v[86:87], v[86:87], v[88:89], v[86:87]
	s_delay_alu instid0(VALU_DEP_1) | instskip(NEXT) | instid1(VALU_DEP_1)
	v_mul_f64 v[88:89], v[90:91], v[86:87]
	v_fma_f64 v[84:85], -v[84:85], v[88:89], v[90:91]
	s_delay_alu instid0(VALU_DEP_1) | instskip(NEXT) | instid1(VALU_DEP_1)
	v_div_fmas_f64 v[84:85], v[84:85], v[86:87], v[88:89]
	v_div_fixup_f64 v[84:85], v[84:85], v[82:83], v[80:81]
	s_delay_alu instid0(VALU_DEP_1) | instskip(NEXT) | instid1(VALU_DEP_1)
	v_fma_f64 v[80:81], v[80:81], v[84:85], v[82:83]
	v_div_scale_f64 v[82:83], null, v[80:81], v[80:81], 1.0
	s_delay_alu instid0(VALU_DEP_1) | instskip(SKIP_2) | instid1(VALU_DEP_1)
	v_rcp_f64_e32 v[86:87], v[82:83]
	s_waitcnt_depctr 0xfff
	v_fma_f64 v[88:89], -v[82:83], v[86:87], 1.0
	v_fma_f64 v[86:87], v[86:87], v[88:89], v[86:87]
	s_delay_alu instid0(VALU_DEP_1) | instskip(NEXT) | instid1(VALU_DEP_1)
	v_fma_f64 v[88:89], -v[82:83], v[86:87], 1.0
	v_fma_f64 v[86:87], v[86:87], v[88:89], v[86:87]
	v_div_scale_f64 v[88:89], vcc_lo, 1.0, v[80:81], 1.0
	s_delay_alu instid0(VALU_DEP_1) | instskip(NEXT) | instid1(VALU_DEP_1)
	v_mul_f64 v[90:91], v[88:89], v[86:87]
	v_fma_f64 v[82:83], -v[82:83], v[90:91], v[88:89]
	s_delay_alu instid0(VALU_DEP_1) | instskip(NEXT) | instid1(VALU_DEP_1)
	v_div_fmas_f64 v[82:83], v[82:83], v[86:87], v[90:91]
	v_div_fixup_f64 v[86:87], v[82:83], v[80:81], 1.0
                                        ; implicit-def: $vgpr80_vgpr81
	s_delay_alu instid0(VALU_DEP_1)
	v_mul_f64 v[88:89], v[84:85], v[86:87]
	v_xor_b32_e32 v87, 0x80000000, v87
.LBB27_59:
	s_and_not1_saveexec_b32 s3, s3
	s_cbranch_execz .LBB27_61
; %bb.60:
	v_div_scale_f64 v[84:85], null, v[80:81], v[80:81], v[82:83]
	v_div_scale_f64 v[90:91], vcc_lo, v[82:83], v[80:81], v[82:83]
	s_delay_alu instid0(VALU_DEP_2) | instskip(SKIP_2) | instid1(VALU_DEP_1)
	v_rcp_f64_e32 v[86:87], v[84:85]
	s_waitcnt_depctr 0xfff
	v_fma_f64 v[88:89], -v[84:85], v[86:87], 1.0
	v_fma_f64 v[86:87], v[86:87], v[88:89], v[86:87]
	s_delay_alu instid0(VALU_DEP_1) | instskip(NEXT) | instid1(VALU_DEP_1)
	v_fma_f64 v[88:89], -v[84:85], v[86:87], 1.0
	v_fma_f64 v[86:87], v[86:87], v[88:89], v[86:87]
	s_delay_alu instid0(VALU_DEP_1) | instskip(NEXT) | instid1(VALU_DEP_1)
	v_mul_f64 v[88:89], v[90:91], v[86:87]
	v_fma_f64 v[84:85], -v[84:85], v[88:89], v[90:91]
	s_delay_alu instid0(VALU_DEP_1) | instskip(NEXT) | instid1(VALU_DEP_1)
	v_div_fmas_f64 v[84:85], v[84:85], v[86:87], v[88:89]
	v_div_fixup_f64 v[84:85], v[84:85], v[80:81], v[82:83]
	s_delay_alu instid0(VALU_DEP_1) | instskip(NEXT) | instid1(VALU_DEP_1)
	v_fma_f64 v[80:81], v[82:83], v[84:85], v[80:81]
	v_div_scale_f64 v[82:83], null, v[80:81], v[80:81], 1.0
	s_delay_alu instid0(VALU_DEP_1) | instskip(SKIP_2) | instid1(VALU_DEP_1)
	v_rcp_f64_e32 v[86:87], v[82:83]
	s_waitcnt_depctr 0xfff
	v_fma_f64 v[88:89], -v[82:83], v[86:87], 1.0
	v_fma_f64 v[86:87], v[86:87], v[88:89], v[86:87]
	s_delay_alu instid0(VALU_DEP_1) | instskip(NEXT) | instid1(VALU_DEP_1)
	v_fma_f64 v[88:89], -v[82:83], v[86:87], 1.0
	v_fma_f64 v[86:87], v[86:87], v[88:89], v[86:87]
	v_div_scale_f64 v[88:89], vcc_lo, 1.0, v[80:81], 1.0
	s_delay_alu instid0(VALU_DEP_1) | instskip(NEXT) | instid1(VALU_DEP_1)
	v_mul_f64 v[90:91], v[88:89], v[86:87]
	v_fma_f64 v[82:83], -v[82:83], v[90:91], v[88:89]
	s_delay_alu instid0(VALU_DEP_1) | instskip(NEXT) | instid1(VALU_DEP_1)
	v_div_fmas_f64 v[82:83], v[82:83], v[86:87], v[90:91]
	v_div_fixup_f64 v[88:89], v[82:83], v[80:81], 1.0
	s_delay_alu instid0(VALU_DEP_1)
	v_mul_f64 v[86:87], v[84:85], -v[88:89]
.LBB27_61:
	s_or_b32 exec_lo, exec_lo, s3
	ds_store_2addr_b64 v145, v[88:89], v[86:87] offset1:1
.LBB27_62:
	s_or_b32 exec_lo, exec_lo, s4
	s_waitcnt lgkmcnt(0)
	s_barrier
	buffer_gl0_inv
	ds_load_2addr_b64 v[80:83], v145 offset1:1
	s_mov_b32 s3, exec_lo
	v_cmpx_lt_u32_e32 6, v144
	s_cbranch_execz .LBB27_64
; %bb.63:
	s_waitcnt lgkmcnt(0)
	v_mul_f64 v[84:85], v[80:81], v[30:31]
	v_mul_f64 v[30:31], v[82:83], v[30:31]
	s_delay_alu instid0(VALU_DEP_2)
	v_fma_f64 v[142:143], v[82:83], v[28:29], v[84:85]
	ds_load_2addr_b64 v[84:87], v146 offset0:14 offset1:15
	ds_load_2addr_b64 v[88:91], v146 offset0:16 offset1:17
	;; [unrolled: 1-line block ×7, first 2 shown]
	v_fma_f64 v[28:29], v[80:81], v[28:29], -v[30:31]
	s_waitcnt lgkmcnt(6)
	v_mul_f64 v[30:31], v[86:87], v[142:143]
	v_mul_f64 v[147:148], v[84:85], v[142:143]
	s_waitcnt lgkmcnt(5)
	v_mul_f64 v[149:150], v[90:91], v[142:143]
	v_mul_f64 v[151:152], v[88:89], v[142:143]
	;; [unrolled: 3-line block ×7, first 2 shown]
	v_fma_f64 v[30:31], v[84:85], v[28:29], -v[30:31]
	v_fma_f64 v[84:85], v[86:87], v[28:29], v[147:148]
	v_fma_f64 v[86:87], v[88:89], v[28:29], -v[149:150]
	v_fma_f64 v[88:89], v[90:91], v[28:29], v[151:152]
	;; [unrolled: 2-line block ×7, first 2 shown]
	v_add_f64 v[24:25], v[24:25], -v[30:31]
	v_add_f64 v[26:27], v[26:27], -v[84:85]
	;; [unrolled: 1-line block ×14, first 2 shown]
	v_dual_mov_b32 v30, v142 :: v_dual_mov_b32 v31, v143
.LBB27_64:
	s_or_b32 exec_lo, exec_lo, s3
	s_delay_alu instid0(SALU_CYCLE_1)
	s_mov_b32 s4, exec_lo
	s_waitcnt lgkmcnt(0)
	s_barrier
	buffer_gl0_inv
	v_cmpx_eq_u32_e32 7, v144
	s_cbranch_execz .LBB27_71
; %bb.65:
	ds_store_2addr_b64 v145, v[24:25], v[26:27] offset1:1
	ds_store_2addr_b64 v146, v[20:21], v[22:23] offset0:16 offset1:17
	ds_store_2addr_b64 v146, v[16:17], v[18:19] offset0:18 offset1:19
	ds_store_2addr_b64 v146, v[12:13], v[14:15] offset0:20 offset1:21
	ds_store_2addr_b64 v146, v[8:9], v[10:11] offset0:22 offset1:23
	ds_store_2addr_b64 v146, v[4:5], v[6:7] offset0:24 offset1:25
	ds_store_2addr_b64 v146, v[0:1], v[2:3] offset0:26 offset1:27
	ds_load_2addr_b64 v[84:87], v145 offset1:1
	s_waitcnt lgkmcnt(0)
	v_cmp_neq_f64_e32 vcc_lo, 0, v[84:85]
	v_cmp_neq_f64_e64 s3, 0, v[86:87]
	s_delay_alu instid0(VALU_DEP_1) | instskip(NEXT) | instid1(SALU_CYCLE_1)
	s_or_b32 s3, vcc_lo, s3
	s_and_b32 exec_lo, exec_lo, s3
	s_cbranch_execz .LBB27_71
; %bb.66:
	v_cmp_gt_f64_e32 vcc_lo, 0, v[84:85]
	v_cmp_gt_f64_e64 s3, 0, v[86:87]
	v_xor_b32_e32 v88, 0x80000000, v85
	v_xor_b32_e32 v90, 0x80000000, v87
                                        ; implicit-def: $vgpr92_vgpr93
	s_delay_alu instid0(VALU_DEP_2) | instskip(NEXT) | instid1(VALU_DEP_2)
	v_cndmask_b32_e32 v89, v85, v88, vcc_lo
	v_cndmask_b32_e64 v91, v87, v90, s3
	v_cndmask_b32_e32 v88, v84, v84, vcc_lo
	v_cndmask_b32_e64 v90, v86, v86, s3
	s_mov_b32 s3, exec_lo
	s_delay_alu instid0(VALU_DEP_1)
	v_cmpx_ngt_f64_e32 v[88:89], v[90:91]
	s_xor_b32 s3, exec_lo, s3
                                        ; implicit-def: $vgpr88_vgpr89_vgpr90_vgpr91
	s_cbranch_execz .LBB27_68
; %bb.67:
	v_div_scale_f64 v[88:89], null, v[86:87], v[86:87], v[84:85]
	v_div_scale_f64 v[94:95], vcc_lo, v[84:85], v[86:87], v[84:85]
	s_delay_alu instid0(VALU_DEP_2) | instskip(SKIP_2) | instid1(VALU_DEP_1)
	v_rcp_f64_e32 v[90:91], v[88:89]
	s_waitcnt_depctr 0xfff
	v_fma_f64 v[92:93], -v[88:89], v[90:91], 1.0
	v_fma_f64 v[90:91], v[90:91], v[92:93], v[90:91]
	s_delay_alu instid0(VALU_DEP_1) | instskip(NEXT) | instid1(VALU_DEP_1)
	v_fma_f64 v[92:93], -v[88:89], v[90:91], 1.0
	v_fma_f64 v[90:91], v[90:91], v[92:93], v[90:91]
	s_delay_alu instid0(VALU_DEP_1) | instskip(NEXT) | instid1(VALU_DEP_1)
	v_mul_f64 v[92:93], v[94:95], v[90:91]
	v_fma_f64 v[88:89], -v[88:89], v[92:93], v[94:95]
	s_delay_alu instid0(VALU_DEP_1) | instskip(NEXT) | instid1(VALU_DEP_1)
	v_div_fmas_f64 v[88:89], v[88:89], v[90:91], v[92:93]
	v_div_fixup_f64 v[88:89], v[88:89], v[86:87], v[84:85]
	s_delay_alu instid0(VALU_DEP_1) | instskip(NEXT) | instid1(VALU_DEP_1)
	v_fma_f64 v[84:85], v[84:85], v[88:89], v[86:87]
	v_div_scale_f64 v[86:87], null, v[84:85], v[84:85], 1.0
	s_delay_alu instid0(VALU_DEP_1) | instskip(SKIP_2) | instid1(VALU_DEP_1)
	v_rcp_f64_e32 v[90:91], v[86:87]
	s_waitcnt_depctr 0xfff
	v_fma_f64 v[92:93], -v[86:87], v[90:91], 1.0
	v_fma_f64 v[90:91], v[90:91], v[92:93], v[90:91]
	s_delay_alu instid0(VALU_DEP_1) | instskip(NEXT) | instid1(VALU_DEP_1)
	v_fma_f64 v[92:93], -v[86:87], v[90:91], 1.0
	v_fma_f64 v[90:91], v[90:91], v[92:93], v[90:91]
	v_div_scale_f64 v[92:93], vcc_lo, 1.0, v[84:85], 1.0
	s_delay_alu instid0(VALU_DEP_1) | instskip(NEXT) | instid1(VALU_DEP_1)
	v_mul_f64 v[94:95], v[92:93], v[90:91]
	v_fma_f64 v[86:87], -v[86:87], v[94:95], v[92:93]
	s_delay_alu instid0(VALU_DEP_1) | instskip(NEXT) | instid1(VALU_DEP_1)
	v_div_fmas_f64 v[86:87], v[86:87], v[90:91], v[94:95]
	v_div_fixup_f64 v[90:91], v[86:87], v[84:85], 1.0
                                        ; implicit-def: $vgpr84_vgpr85
	s_delay_alu instid0(VALU_DEP_1)
	v_mul_f64 v[92:93], v[88:89], v[90:91]
	v_xor_b32_e32 v91, 0x80000000, v91
.LBB27_68:
	s_and_not1_saveexec_b32 s3, s3
	s_cbranch_execz .LBB27_70
; %bb.69:
	v_div_scale_f64 v[88:89], null, v[84:85], v[84:85], v[86:87]
	v_div_scale_f64 v[94:95], vcc_lo, v[86:87], v[84:85], v[86:87]
	s_delay_alu instid0(VALU_DEP_2) | instskip(SKIP_2) | instid1(VALU_DEP_1)
	v_rcp_f64_e32 v[90:91], v[88:89]
	s_waitcnt_depctr 0xfff
	v_fma_f64 v[92:93], -v[88:89], v[90:91], 1.0
	v_fma_f64 v[90:91], v[90:91], v[92:93], v[90:91]
	s_delay_alu instid0(VALU_DEP_1) | instskip(NEXT) | instid1(VALU_DEP_1)
	v_fma_f64 v[92:93], -v[88:89], v[90:91], 1.0
	v_fma_f64 v[90:91], v[90:91], v[92:93], v[90:91]
	s_delay_alu instid0(VALU_DEP_1) | instskip(NEXT) | instid1(VALU_DEP_1)
	v_mul_f64 v[92:93], v[94:95], v[90:91]
	v_fma_f64 v[88:89], -v[88:89], v[92:93], v[94:95]
	s_delay_alu instid0(VALU_DEP_1) | instskip(NEXT) | instid1(VALU_DEP_1)
	v_div_fmas_f64 v[88:89], v[88:89], v[90:91], v[92:93]
	v_div_fixup_f64 v[88:89], v[88:89], v[84:85], v[86:87]
	s_delay_alu instid0(VALU_DEP_1) | instskip(NEXT) | instid1(VALU_DEP_1)
	v_fma_f64 v[84:85], v[86:87], v[88:89], v[84:85]
	v_div_scale_f64 v[86:87], null, v[84:85], v[84:85], 1.0
	s_delay_alu instid0(VALU_DEP_1) | instskip(SKIP_2) | instid1(VALU_DEP_1)
	v_rcp_f64_e32 v[90:91], v[86:87]
	s_waitcnt_depctr 0xfff
	v_fma_f64 v[92:93], -v[86:87], v[90:91], 1.0
	v_fma_f64 v[90:91], v[90:91], v[92:93], v[90:91]
	s_delay_alu instid0(VALU_DEP_1) | instskip(NEXT) | instid1(VALU_DEP_1)
	v_fma_f64 v[92:93], -v[86:87], v[90:91], 1.0
	v_fma_f64 v[90:91], v[90:91], v[92:93], v[90:91]
	v_div_scale_f64 v[92:93], vcc_lo, 1.0, v[84:85], 1.0
	s_delay_alu instid0(VALU_DEP_1) | instskip(NEXT) | instid1(VALU_DEP_1)
	v_mul_f64 v[94:95], v[92:93], v[90:91]
	v_fma_f64 v[86:87], -v[86:87], v[94:95], v[92:93]
	s_delay_alu instid0(VALU_DEP_1) | instskip(NEXT) | instid1(VALU_DEP_1)
	v_div_fmas_f64 v[86:87], v[86:87], v[90:91], v[94:95]
	v_div_fixup_f64 v[92:93], v[86:87], v[84:85], 1.0
	s_delay_alu instid0(VALU_DEP_1)
	v_mul_f64 v[90:91], v[88:89], -v[92:93]
.LBB27_70:
	s_or_b32 exec_lo, exec_lo, s3
	ds_store_2addr_b64 v145, v[92:93], v[90:91] offset1:1
.LBB27_71:
	s_or_b32 exec_lo, exec_lo, s4
	s_waitcnt lgkmcnt(0)
	s_barrier
	buffer_gl0_inv
	ds_load_2addr_b64 v[84:87], v145 offset1:1
	s_mov_b32 s3, exec_lo
	v_cmpx_lt_u32_e32 7, v144
	s_cbranch_execz .LBB27_73
; %bb.72:
	s_waitcnt lgkmcnt(0)
	v_mul_f64 v[88:89], v[84:85], v[26:27]
	v_mul_f64 v[26:27], v[86:87], v[26:27]
	s_delay_alu instid0(VALU_DEP_2)
	v_fma_f64 v[142:143], v[86:87], v[24:25], v[88:89]
	ds_load_2addr_b64 v[88:91], v146 offset0:16 offset1:17
	ds_load_2addr_b64 v[92:95], v146 offset0:18 offset1:19
	;; [unrolled: 1-line block ×6, first 2 shown]
	v_fma_f64 v[24:25], v[84:85], v[24:25], -v[26:27]
	s_waitcnt lgkmcnt(5)
	v_mul_f64 v[26:27], v[90:91], v[142:143]
	v_mul_f64 v[147:148], v[88:89], v[142:143]
	s_waitcnt lgkmcnt(4)
	v_mul_f64 v[149:150], v[94:95], v[142:143]
	v_mul_f64 v[151:152], v[92:93], v[142:143]
	;; [unrolled: 3-line block ×6, first 2 shown]
	v_fma_f64 v[26:27], v[88:89], v[24:25], -v[26:27]
	v_fma_f64 v[88:89], v[90:91], v[24:25], v[147:148]
	v_fma_f64 v[90:91], v[92:93], v[24:25], -v[149:150]
	v_fma_f64 v[92:93], v[94:95], v[24:25], v[151:152]
	;; [unrolled: 2-line block ×6, first 2 shown]
	v_add_f64 v[20:21], v[20:21], -v[26:27]
	v_add_f64 v[22:23], v[22:23], -v[88:89]
	;; [unrolled: 1-line block ×12, first 2 shown]
	v_dual_mov_b32 v26, v142 :: v_dual_mov_b32 v27, v143
.LBB27_73:
	s_or_b32 exec_lo, exec_lo, s3
	s_delay_alu instid0(SALU_CYCLE_1)
	s_mov_b32 s4, exec_lo
	s_waitcnt lgkmcnt(0)
	s_barrier
	buffer_gl0_inv
	v_cmpx_eq_u32_e32 8, v144
	s_cbranch_execz .LBB27_80
; %bb.74:
	ds_store_2addr_b64 v145, v[20:21], v[22:23] offset1:1
	ds_store_2addr_b64 v146, v[16:17], v[18:19] offset0:18 offset1:19
	ds_store_2addr_b64 v146, v[12:13], v[14:15] offset0:20 offset1:21
	;; [unrolled: 1-line block ×5, first 2 shown]
	ds_load_2addr_b64 v[88:91], v145 offset1:1
	s_waitcnt lgkmcnt(0)
	v_cmp_neq_f64_e32 vcc_lo, 0, v[88:89]
	v_cmp_neq_f64_e64 s3, 0, v[90:91]
	s_delay_alu instid0(VALU_DEP_1) | instskip(NEXT) | instid1(SALU_CYCLE_1)
	s_or_b32 s3, vcc_lo, s3
	s_and_b32 exec_lo, exec_lo, s3
	s_cbranch_execz .LBB27_80
; %bb.75:
	v_cmp_gt_f64_e32 vcc_lo, 0, v[88:89]
	v_cmp_gt_f64_e64 s3, 0, v[90:91]
	v_xor_b32_e32 v92, 0x80000000, v89
	v_xor_b32_e32 v94, 0x80000000, v91
                                        ; implicit-def: $vgpr96_vgpr97
	s_delay_alu instid0(VALU_DEP_2) | instskip(NEXT) | instid1(VALU_DEP_2)
	v_cndmask_b32_e32 v93, v89, v92, vcc_lo
	v_cndmask_b32_e64 v95, v91, v94, s3
	v_cndmask_b32_e32 v92, v88, v88, vcc_lo
	v_cndmask_b32_e64 v94, v90, v90, s3
	s_mov_b32 s3, exec_lo
	s_delay_alu instid0(VALU_DEP_1)
	v_cmpx_ngt_f64_e32 v[92:93], v[94:95]
	s_xor_b32 s3, exec_lo, s3
                                        ; implicit-def: $vgpr92_vgpr93_vgpr94_vgpr95
	s_cbranch_execz .LBB27_77
; %bb.76:
	v_div_scale_f64 v[92:93], null, v[90:91], v[90:91], v[88:89]
	v_div_scale_f64 v[98:99], vcc_lo, v[88:89], v[90:91], v[88:89]
	s_delay_alu instid0(VALU_DEP_2) | instskip(SKIP_2) | instid1(VALU_DEP_1)
	v_rcp_f64_e32 v[94:95], v[92:93]
	s_waitcnt_depctr 0xfff
	v_fma_f64 v[96:97], -v[92:93], v[94:95], 1.0
	v_fma_f64 v[94:95], v[94:95], v[96:97], v[94:95]
	s_delay_alu instid0(VALU_DEP_1) | instskip(NEXT) | instid1(VALU_DEP_1)
	v_fma_f64 v[96:97], -v[92:93], v[94:95], 1.0
	v_fma_f64 v[94:95], v[94:95], v[96:97], v[94:95]
	s_delay_alu instid0(VALU_DEP_1) | instskip(NEXT) | instid1(VALU_DEP_1)
	v_mul_f64 v[96:97], v[98:99], v[94:95]
	v_fma_f64 v[92:93], -v[92:93], v[96:97], v[98:99]
	s_delay_alu instid0(VALU_DEP_1) | instskip(NEXT) | instid1(VALU_DEP_1)
	v_div_fmas_f64 v[92:93], v[92:93], v[94:95], v[96:97]
	v_div_fixup_f64 v[92:93], v[92:93], v[90:91], v[88:89]
	s_delay_alu instid0(VALU_DEP_1) | instskip(NEXT) | instid1(VALU_DEP_1)
	v_fma_f64 v[88:89], v[88:89], v[92:93], v[90:91]
	v_div_scale_f64 v[90:91], null, v[88:89], v[88:89], 1.0
	s_delay_alu instid0(VALU_DEP_1) | instskip(SKIP_2) | instid1(VALU_DEP_1)
	v_rcp_f64_e32 v[94:95], v[90:91]
	s_waitcnt_depctr 0xfff
	v_fma_f64 v[96:97], -v[90:91], v[94:95], 1.0
	v_fma_f64 v[94:95], v[94:95], v[96:97], v[94:95]
	s_delay_alu instid0(VALU_DEP_1) | instskip(NEXT) | instid1(VALU_DEP_1)
	v_fma_f64 v[96:97], -v[90:91], v[94:95], 1.0
	v_fma_f64 v[94:95], v[94:95], v[96:97], v[94:95]
	v_div_scale_f64 v[96:97], vcc_lo, 1.0, v[88:89], 1.0
	s_delay_alu instid0(VALU_DEP_1) | instskip(NEXT) | instid1(VALU_DEP_1)
	v_mul_f64 v[98:99], v[96:97], v[94:95]
	v_fma_f64 v[90:91], -v[90:91], v[98:99], v[96:97]
	s_delay_alu instid0(VALU_DEP_1) | instskip(NEXT) | instid1(VALU_DEP_1)
	v_div_fmas_f64 v[90:91], v[90:91], v[94:95], v[98:99]
	v_div_fixup_f64 v[94:95], v[90:91], v[88:89], 1.0
                                        ; implicit-def: $vgpr88_vgpr89
	s_delay_alu instid0(VALU_DEP_1)
	v_mul_f64 v[96:97], v[92:93], v[94:95]
	v_xor_b32_e32 v95, 0x80000000, v95
.LBB27_77:
	s_and_not1_saveexec_b32 s3, s3
	s_cbranch_execz .LBB27_79
; %bb.78:
	v_div_scale_f64 v[92:93], null, v[88:89], v[88:89], v[90:91]
	v_div_scale_f64 v[98:99], vcc_lo, v[90:91], v[88:89], v[90:91]
	s_delay_alu instid0(VALU_DEP_2) | instskip(SKIP_2) | instid1(VALU_DEP_1)
	v_rcp_f64_e32 v[94:95], v[92:93]
	s_waitcnt_depctr 0xfff
	v_fma_f64 v[96:97], -v[92:93], v[94:95], 1.0
	v_fma_f64 v[94:95], v[94:95], v[96:97], v[94:95]
	s_delay_alu instid0(VALU_DEP_1) | instskip(NEXT) | instid1(VALU_DEP_1)
	v_fma_f64 v[96:97], -v[92:93], v[94:95], 1.0
	v_fma_f64 v[94:95], v[94:95], v[96:97], v[94:95]
	s_delay_alu instid0(VALU_DEP_1) | instskip(NEXT) | instid1(VALU_DEP_1)
	v_mul_f64 v[96:97], v[98:99], v[94:95]
	v_fma_f64 v[92:93], -v[92:93], v[96:97], v[98:99]
	s_delay_alu instid0(VALU_DEP_1) | instskip(NEXT) | instid1(VALU_DEP_1)
	v_div_fmas_f64 v[92:93], v[92:93], v[94:95], v[96:97]
	v_div_fixup_f64 v[92:93], v[92:93], v[88:89], v[90:91]
	s_delay_alu instid0(VALU_DEP_1) | instskip(NEXT) | instid1(VALU_DEP_1)
	v_fma_f64 v[88:89], v[90:91], v[92:93], v[88:89]
	v_div_scale_f64 v[90:91], null, v[88:89], v[88:89], 1.0
	s_delay_alu instid0(VALU_DEP_1) | instskip(SKIP_2) | instid1(VALU_DEP_1)
	v_rcp_f64_e32 v[94:95], v[90:91]
	s_waitcnt_depctr 0xfff
	v_fma_f64 v[96:97], -v[90:91], v[94:95], 1.0
	v_fma_f64 v[94:95], v[94:95], v[96:97], v[94:95]
	s_delay_alu instid0(VALU_DEP_1) | instskip(NEXT) | instid1(VALU_DEP_1)
	v_fma_f64 v[96:97], -v[90:91], v[94:95], 1.0
	v_fma_f64 v[94:95], v[94:95], v[96:97], v[94:95]
	v_div_scale_f64 v[96:97], vcc_lo, 1.0, v[88:89], 1.0
	s_delay_alu instid0(VALU_DEP_1) | instskip(NEXT) | instid1(VALU_DEP_1)
	v_mul_f64 v[98:99], v[96:97], v[94:95]
	v_fma_f64 v[90:91], -v[90:91], v[98:99], v[96:97]
	s_delay_alu instid0(VALU_DEP_1) | instskip(NEXT) | instid1(VALU_DEP_1)
	v_div_fmas_f64 v[90:91], v[90:91], v[94:95], v[98:99]
	v_div_fixup_f64 v[96:97], v[90:91], v[88:89], 1.0
	s_delay_alu instid0(VALU_DEP_1)
	v_mul_f64 v[94:95], v[92:93], -v[96:97]
.LBB27_79:
	s_or_b32 exec_lo, exec_lo, s3
	ds_store_2addr_b64 v145, v[96:97], v[94:95] offset1:1
.LBB27_80:
	s_or_b32 exec_lo, exec_lo, s4
	s_waitcnt lgkmcnt(0)
	s_barrier
	buffer_gl0_inv
	ds_load_2addr_b64 v[88:91], v145 offset1:1
	s_mov_b32 s3, exec_lo
	v_cmpx_lt_u32_e32 8, v144
	s_cbranch_execz .LBB27_82
; %bb.81:
	s_waitcnt lgkmcnt(0)
	v_mul_f64 v[92:93], v[88:89], v[22:23]
	v_mul_f64 v[22:23], v[90:91], v[22:23]
	s_delay_alu instid0(VALU_DEP_2)
	v_fma_f64 v[142:143], v[90:91], v[20:21], v[92:93]
	ds_load_2addr_b64 v[92:95], v146 offset0:18 offset1:19
	ds_load_2addr_b64 v[96:99], v146 offset0:20 offset1:21
	ds_load_2addr_b64 v[100:103], v146 offset0:22 offset1:23
	ds_load_2addr_b64 v[104:107], v146 offset0:24 offset1:25
	ds_load_2addr_b64 v[108:111], v146 offset0:26 offset1:27
	v_fma_f64 v[20:21], v[88:89], v[20:21], -v[22:23]
	s_waitcnt lgkmcnt(4)
	v_mul_f64 v[22:23], v[94:95], v[142:143]
	v_mul_f64 v[147:148], v[92:93], v[142:143]
	s_waitcnt lgkmcnt(3)
	v_mul_f64 v[149:150], v[98:99], v[142:143]
	v_mul_f64 v[151:152], v[96:97], v[142:143]
	;; [unrolled: 3-line block ×5, first 2 shown]
	v_fma_f64 v[22:23], v[92:93], v[20:21], -v[22:23]
	v_fma_f64 v[92:93], v[94:95], v[20:21], v[147:148]
	v_fma_f64 v[94:95], v[96:97], v[20:21], -v[149:150]
	v_fma_f64 v[96:97], v[98:99], v[20:21], v[151:152]
	;; [unrolled: 2-line block ×5, first 2 shown]
	v_add_f64 v[16:17], v[16:17], -v[22:23]
	v_add_f64 v[18:19], v[18:19], -v[92:93]
	;; [unrolled: 1-line block ×10, first 2 shown]
	v_dual_mov_b32 v22, v142 :: v_dual_mov_b32 v23, v143
.LBB27_82:
	s_or_b32 exec_lo, exec_lo, s3
	s_delay_alu instid0(SALU_CYCLE_1)
	s_mov_b32 s4, exec_lo
	s_waitcnt lgkmcnt(0)
	s_barrier
	buffer_gl0_inv
	v_cmpx_eq_u32_e32 9, v144
	s_cbranch_execz .LBB27_89
; %bb.83:
	ds_store_2addr_b64 v145, v[16:17], v[18:19] offset1:1
	ds_store_2addr_b64 v146, v[12:13], v[14:15] offset0:20 offset1:21
	ds_store_2addr_b64 v146, v[8:9], v[10:11] offset0:22 offset1:23
	;; [unrolled: 1-line block ×4, first 2 shown]
	ds_load_2addr_b64 v[92:95], v145 offset1:1
	s_waitcnt lgkmcnt(0)
	v_cmp_neq_f64_e32 vcc_lo, 0, v[92:93]
	v_cmp_neq_f64_e64 s3, 0, v[94:95]
	s_delay_alu instid0(VALU_DEP_1) | instskip(NEXT) | instid1(SALU_CYCLE_1)
	s_or_b32 s3, vcc_lo, s3
	s_and_b32 exec_lo, exec_lo, s3
	s_cbranch_execz .LBB27_89
; %bb.84:
	v_cmp_gt_f64_e32 vcc_lo, 0, v[92:93]
	v_cmp_gt_f64_e64 s3, 0, v[94:95]
	v_xor_b32_e32 v96, 0x80000000, v93
	v_xor_b32_e32 v98, 0x80000000, v95
                                        ; implicit-def: $vgpr100_vgpr101
	s_delay_alu instid0(VALU_DEP_2) | instskip(NEXT) | instid1(VALU_DEP_2)
	v_cndmask_b32_e32 v97, v93, v96, vcc_lo
	v_cndmask_b32_e64 v99, v95, v98, s3
	v_cndmask_b32_e32 v96, v92, v92, vcc_lo
	v_cndmask_b32_e64 v98, v94, v94, s3
	s_mov_b32 s3, exec_lo
	s_delay_alu instid0(VALU_DEP_1)
	v_cmpx_ngt_f64_e32 v[96:97], v[98:99]
	s_xor_b32 s3, exec_lo, s3
                                        ; implicit-def: $vgpr96_vgpr97_vgpr98_vgpr99
	s_cbranch_execz .LBB27_86
; %bb.85:
	v_div_scale_f64 v[96:97], null, v[94:95], v[94:95], v[92:93]
	v_div_scale_f64 v[102:103], vcc_lo, v[92:93], v[94:95], v[92:93]
	s_delay_alu instid0(VALU_DEP_2) | instskip(SKIP_2) | instid1(VALU_DEP_1)
	v_rcp_f64_e32 v[98:99], v[96:97]
	s_waitcnt_depctr 0xfff
	v_fma_f64 v[100:101], -v[96:97], v[98:99], 1.0
	v_fma_f64 v[98:99], v[98:99], v[100:101], v[98:99]
	s_delay_alu instid0(VALU_DEP_1) | instskip(NEXT) | instid1(VALU_DEP_1)
	v_fma_f64 v[100:101], -v[96:97], v[98:99], 1.0
	v_fma_f64 v[98:99], v[98:99], v[100:101], v[98:99]
	s_delay_alu instid0(VALU_DEP_1) | instskip(NEXT) | instid1(VALU_DEP_1)
	v_mul_f64 v[100:101], v[102:103], v[98:99]
	v_fma_f64 v[96:97], -v[96:97], v[100:101], v[102:103]
	s_delay_alu instid0(VALU_DEP_1) | instskip(NEXT) | instid1(VALU_DEP_1)
	v_div_fmas_f64 v[96:97], v[96:97], v[98:99], v[100:101]
	v_div_fixup_f64 v[96:97], v[96:97], v[94:95], v[92:93]
	s_delay_alu instid0(VALU_DEP_1) | instskip(NEXT) | instid1(VALU_DEP_1)
	v_fma_f64 v[92:93], v[92:93], v[96:97], v[94:95]
	v_div_scale_f64 v[94:95], null, v[92:93], v[92:93], 1.0
	s_delay_alu instid0(VALU_DEP_1) | instskip(SKIP_2) | instid1(VALU_DEP_1)
	v_rcp_f64_e32 v[98:99], v[94:95]
	s_waitcnt_depctr 0xfff
	v_fma_f64 v[100:101], -v[94:95], v[98:99], 1.0
	v_fma_f64 v[98:99], v[98:99], v[100:101], v[98:99]
	s_delay_alu instid0(VALU_DEP_1) | instskip(NEXT) | instid1(VALU_DEP_1)
	v_fma_f64 v[100:101], -v[94:95], v[98:99], 1.0
	v_fma_f64 v[98:99], v[98:99], v[100:101], v[98:99]
	v_div_scale_f64 v[100:101], vcc_lo, 1.0, v[92:93], 1.0
	s_delay_alu instid0(VALU_DEP_1) | instskip(NEXT) | instid1(VALU_DEP_1)
	v_mul_f64 v[102:103], v[100:101], v[98:99]
	v_fma_f64 v[94:95], -v[94:95], v[102:103], v[100:101]
	s_delay_alu instid0(VALU_DEP_1) | instskip(NEXT) | instid1(VALU_DEP_1)
	v_div_fmas_f64 v[94:95], v[94:95], v[98:99], v[102:103]
	v_div_fixup_f64 v[98:99], v[94:95], v[92:93], 1.0
                                        ; implicit-def: $vgpr92_vgpr93
	s_delay_alu instid0(VALU_DEP_1)
	v_mul_f64 v[100:101], v[96:97], v[98:99]
	v_xor_b32_e32 v99, 0x80000000, v99
.LBB27_86:
	s_and_not1_saveexec_b32 s3, s3
	s_cbranch_execz .LBB27_88
; %bb.87:
	v_div_scale_f64 v[96:97], null, v[92:93], v[92:93], v[94:95]
	v_div_scale_f64 v[102:103], vcc_lo, v[94:95], v[92:93], v[94:95]
	s_delay_alu instid0(VALU_DEP_2) | instskip(SKIP_2) | instid1(VALU_DEP_1)
	v_rcp_f64_e32 v[98:99], v[96:97]
	s_waitcnt_depctr 0xfff
	v_fma_f64 v[100:101], -v[96:97], v[98:99], 1.0
	v_fma_f64 v[98:99], v[98:99], v[100:101], v[98:99]
	s_delay_alu instid0(VALU_DEP_1) | instskip(NEXT) | instid1(VALU_DEP_1)
	v_fma_f64 v[100:101], -v[96:97], v[98:99], 1.0
	v_fma_f64 v[98:99], v[98:99], v[100:101], v[98:99]
	s_delay_alu instid0(VALU_DEP_1) | instskip(NEXT) | instid1(VALU_DEP_1)
	v_mul_f64 v[100:101], v[102:103], v[98:99]
	v_fma_f64 v[96:97], -v[96:97], v[100:101], v[102:103]
	s_delay_alu instid0(VALU_DEP_1) | instskip(NEXT) | instid1(VALU_DEP_1)
	v_div_fmas_f64 v[96:97], v[96:97], v[98:99], v[100:101]
	v_div_fixup_f64 v[96:97], v[96:97], v[92:93], v[94:95]
	s_delay_alu instid0(VALU_DEP_1) | instskip(NEXT) | instid1(VALU_DEP_1)
	v_fma_f64 v[92:93], v[94:95], v[96:97], v[92:93]
	v_div_scale_f64 v[94:95], null, v[92:93], v[92:93], 1.0
	s_delay_alu instid0(VALU_DEP_1) | instskip(SKIP_2) | instid1(VALU_DEP_1)
	v_rcp_f64_e32 v[98:99], v[94:95]
	s_waitcnt_depctr 0xfff
	v_fma_f64 v[100:101], -v[94:95], v[98:99], 1.0
	v_fma_f64 v[98:99], v[98:99], v[100:101], v[98:99]
	s_delay_alu instid0(VALU_DEP_1) | instskip(NEXT) | instid1(VALU_DEP_1)
	v_fma_f64 v[100:101], -v[94:95], v[98:99], 1.0
	v_fma_f64 v[98:99], v[98:99], v[100:101], v[98:99]
	v_div_scale_f64 v[100:101], vcc_lo, 1.0, v[92:93], 1.0
	s_delay_alu instid0(VALU_DEP_1) | instskip(NEXT) | instid1(VALU_DEP_1)
	v_mul_f64 v[102:103], v[100:101], v[98:99]
	v_fma_f64 v[94:95], -v[94:95], v[102:103], v[100:101]
	s_delay_alu instid0(VALU_DEP_1) | instskip(NEXT) | instid1(VALU_DEP_1)
	v_div_fmas_f64 v[94:95], v[94:95], v[98:99], v[102:103]
	v_div_fixup_f64 v[100:101], v[94:95], v[92:93], 1.0
	s_delay_alu instid0(VALU_DEP_1)
	v_mul_f64 v[98:99], v[96:97], -v[100:101]
.LBB27_88:
	s_or_b32 exec_lo, exec_lo, s3
	ds_store_2addr_b64 v145, v[100:101], v[98:99] offset1:1
.LBB27_89:
	s_or_b32 exec_lo, exec_lo, s4
	s_waitcnt lgkmcnt(0)
	s_barrier
	buffer_gl0_inv
	ds_load_2addr_b64 v[92:95], v145 offset1:1
	s_mov_b32 s3, exec_lo
	v_cmpx_lt_u32_e32 9, v144
	s_cbranch_execz .LBB27_91
; %bb.90:
	s_waitcnt lgkmcnt(0)
	v_mul_f64 v[96:97], v[92:93], v[18:19]
	v_mul_f64 v[18:19], v[94:95], v[18:19]
	s_delay_alu instid0(VALU_DEP_2)
	v_fma_f64 v[142:143], v[94:95], v[16:17], v[96:97]
	ds_load_2addr_b64 v[96:99], v146 offset0:20 offset1:21
	ds_load_2addr_b64 v[100:103], v146 offset0:22 offset1:23
	ds_load_2addr_b64 v[104:107], v146 offset0:24 offset1:25
	ds_load_2addr_b64 v[108:111], v146 offset0:26 offset1:27
	v_fma_f64 v[16:17], v[92:93], v[16:17], -v[18:19]
	s_waitcnt lgkmcnt(3)
	v_mul_f64 v[18:19], v[98:99], v[142:143]
	v_mul_f64 v[147:148], v[96:97], v[142:143]
	s_waitcnt lgkmcnt(2)
	v_mul_f64 v[149:150], v[102:103], v[142:143]
	v_mul_f64 v[151:152], v[100:101], v[142:143]
	;; [unrolled: 3-line block ×4, first 2 shown]
	v_fma_f64 v[18:19], v[96:97], v[16:17], -v[18:19]
	v_fma_f64 v[96:97], v[98:99], v[16:17], v[147:148]
	v_fma_f64 v[98:99], v[100:101], v[16:17], -v[149:150]
	v_fma_f64 v[100:101], v[102:103], v[16:17], v[151:152]
	;; [unrolled: 2-line block ×4, first 2 shown]
	v_add_f64 v[12:13], v[12:13], -v[18:19]
	v_add_f64 v[14:15], v[14:15], -v[96:97]
	;; [unrolled: 1-line block ×8, first 2 shown]
	v_dual_mov_b32 v18, v142 :: v_dual_mov_b32 v19, v143
.LBB27_91:
	s_or_b32 exec_lo, exec_lo, s3
	s_delay_alu instid0(SALU_CYCLE_1)
	s_mov_b32 s4, exec_lo
	s_waitcnt lgkmcnt(0)
	s_barrier
	buffer_gl0_inv
	v_cmpx_eq_u32_e32 10, v144
	s_cbranch_execz .LBB27_98
; %bb.92:
	ds_store_2addr_b64 v145, v[12:13], v[14:15] offset1:1
	ds_store_2addr_b64 v146, v[8:9], v[10:11] offset0:22 offset1:23
	ds_store_2addr_b64 v146, v[4:5], v[6:7] offset0:24 offset1:25
	;; [unrolled: 1-line block ×3, first 2 shown]
	ds_load_2addr_b64 v[96:99], v145 offset1:1
	s_waitcnt lgkmcnt(0)
	v_cmp_neq_f64_e32 vcc_lo, 0, v[96:97]
	v_cmp_neq_f64_e64 s3, 0, v[98:99]
	s_delay_alu instid0(VALU_DEP_1) | instskip(NEXT) | instid1(SALU_CYCLE_1)
	s_or_b32 s3, vcc_lo, s3
	s_and_b32 exec_lo, exec_lo, s3
	s_cbranch_execz .LBB27_98
; %bb.93:
	v_cmp_gt_f64_e32 vcc_lo, 0, v[96:97]
	v_cmp_gt_f64_e64 s3, 0, v[98:99]
	v_xor_b32_e32 v100, 0x80000000, v97
	v_xor_b32_e32 v102, 0x80000000, v99
                                        ; implicit-def: $vgpr104_vgpr105
	s_delay_alu instid0(VALU_DEP_2) | instskip(NEXT) | instid1(VALU_DEP_2)
	v_cndmask_b32_e32 v101, v97, v100, vcc_lo
	v_cndmask_b32_e64 v103, v99, v102, s3
	v_cndmask_b32_e32 v100, v96, v96, vcc_lo
	v_cndmask_b32_e64 v102, v98, v98, s3
	s_mov_b32 s3, exec_lo
	s_delay_alu instid0(VALU_DEP_1)
	v_cmpx_ngt_f64_e32 v[100:101], v[102:103]
	s_xor_b32 s3, exec_lo, s3
                                        ; implicit-def: $vgpr100_vgpr101_vgpr102_vgpr103
	s_cbranch_execz .LBB27_95
; %bb.94:
	v_div_scale_f64 v[100:101], null, v[98:99], v[98:99], v[96:97]
	v_div_scale_f64 v[106:107], vcc_lo, v[96:97], v[98:99], v[96:97]
	s_delay_alu instid0(VALU_DEP_2) | instskip(SKIP_2) | instid1(VALU_DEP_1)
	v_rcp_f64_e32 v[102:103], v[100:101]
	s_waitcnt_depctr 0xfff
	v_fma_f64 v[104:105], -v[100:101], v[102:103], 1.0
	v_fma_f64 v[102:103], v[102:103], v[104:105], v[102:103]
	s_delay_alu instid0(VALU_DEP_1) | instskip(NEXT) | instid1(VALU_DEP_1)
	v_fma_f64 v[104:105], -v[100:101], v[102:103], 1.0
	v_fma_f64 v[102:103], v[102:103], v[104:105], v[102:103]
	s_delay_alu instid0(VALU_DEP_1) | instskip(NEXT) | instid1(VALU_DEP_1)
	v_mul_f64 v[104:105], v[106:107], v[102:103]
	v_fma_f64 v[100:101], -v[100:101], v[104:105], v[106:107]
	s_delay_alu instid0(VALU_DEP_1) | instskip(NEXT) | instid1(VALU_DEP_1)
	v_div_fmas_f64 v[100:101], v[100:101], v[102:103], v[104:105]
	v_div_fixup_f64 v[100:101], v[100:101], v[98:99], v[96:97]
	s_delay_alu instid0(VALU_DEP_1) | instskip(NEXT) | instid1(VALU_DEP_1)
	v_fma_f64 v[96:97], v[96:97], v[100:101], v[98:99]
	v_div_scale_f64 v[98:99], null, v[96:97], v[96:97], 1.0
	s_delay_alu instid0(VALU_DEP_1) | instskip(SKIP_2) | instid1(VALU_DEP_1)
	v_rcp_f64_e32 v[102:103], v[98:99]
	s_waitcnt_depctr 0xfff
	v_fma_f64 v[104:105], -v[98:99], v[102:103], 1.0
	v_fma_f64 v[102:103], v[102:103], v[104:105], v[102:103]
	s_delay_alu instid0(VALU_DEP_1) | instskip(NEXT) | instid1(VALU_DEP_1)
	v_fma_f64 v[104:105], -v[98:99], v[102:103], 1.0
	v_fma_f64 v[102:103], v[102:103], v[104:105], v[102:103]
	v_div_scale_f64 v[104:105], vcc_lo, 1.0, v[96:97], 1.0
	s_delay_alu instid0(VALU_DEP_1) | instskip(NEXT) | instid1(VALU_DEP_1)
	v_mul_f64 v[106:107], v[104:105], v[102:103]
	v_fma_f64 v[98:99], -v[98:99], v[106:107], v[104:105]
	s_delay_alu instid0(VALU_DEP_1) | instskip(NEXT) | instid1(VALU_DEP_1)
	v_div_fmas_f64 v[98:99], v[98:99], v[102:103], v[106:107]
	v_div_fixup_f64 v[102:103], v[98:99], v[96:97], 1.0
                                        ; implicit-def: $vgpr96_vgpr97
	s_delay_alu instid0(VALU_DEP_1)
	v_mul_f64 v[104:105], v[100:101], v[102:103]
	v_xor_b32_e32 v103, 0x80000000, v103
.LBB27_95:
	s_and_not1_saveexec_b32 s3, s3
	s_cbranch_execz .LBB27_97
; %bb.96:
	v_div_scale_f64 v[100:101], null, v[96:97], v[96:97], v[98:99]
	v_div_scale_f64 v[106:107], vcc_lo, v[98:99], v[96:97], v[98:99]
	s_delay_alu instid0(VALU_DEP_2) | instskip(SKIP_2) | instid1(VALU_DEP_1)
	v_rcp_f64_e32 v[102:103], v[100:101]
	s_waitcnt_depctr 0xfff
	v_fma_f64 v[104:105], -v[100:101], v[102:103], 1.0
	v_fma_f64 v[102:103], v[102:103], v[104:105], v[102:103]
	s_delay_alu instid0(VALU_DEP_1) | instskip(NEXT) | instid1(VALU_DEP_1)
	v_fma_f64 v[104:105], -v[100:101], v[102:103], 1.0
	v_fma_f64 v[102:103], v[102:103], v[104:105], v[102:103]
	s_delay_alu instid0(VALU_DEP_1) | instskip(NEXT) | instid1(VALU_DEP_1)
	v_mul_f64 v[104:105], v[106:107], v[102:103]
	v_fma_f64 v[100:101], -v[100:101], v[104:105], v[106:107]
	s_delay_alu instid0(VALU_DEP_1) | instskip(NEXT) | instid1(VALU_DEP_1)
	v_div_fmas_f64 v[100:101], v[100:101], v[102:103], v[104:105]
	v_div_fixup_f64 v[100:101], v[100:101], v[96:97], v[98:99]
	s_delay_alu instid0(VALU_DEP_1) | instskip(NEXT) | instid1(VALU_DEP_1)
	v_fma_f64 v[96:97], v[98:99], v[100:101], v[96:97]
	v_div_scale_f64 v[98:99], null, v[96:97], v[96:97], 1.0
	s_delay_alu instid0(VALU_DEP_1) | instskip(SKIP_2) | instid1(VALU_DEP_1)
	v_rcp_f64_e32 v[102:103], v[98:99]
	s_waitcnt_depctr 0xfff
	v_fma_f64 v[104:105], -v[98:99], v[102:103], 1.0
	v_fma_f64 v[102:103], v[102:103], v[104:105], v[102:103]
	s_delay_alu instid0(VALU_DEP_1) | instskip(NEXT) | instid1(VALU_DEP_1)
	v_fma_f64 v[104:105], -v[98:99], v[102:103], 1.0
	v_fma_f64 v[102:103], v[102:103], v[104:105], v[102:103]
	v_div_scale_f64 v[104:105], vcc_lo, 1.0, v[96:97], 1.0
	s_delay_alu instid0(VALU_DEP_1) | instskip(NEXT) | instid1(VALU_DEP_1)
	v_mul_f64 v[106:107], v[104:105], v[102:103]
	v_fma_f64 v[98:99], -v[98:99], v[106:107], v[104:105]
	s_delay_alu instid0(VALU_DEP_1) | instskip(NEXT) | instid1(VALU_DEP_1)
	v_div_fmas_f64 v[98:99], v[98:99], v[102:103], v[106:107]
	v_div_fixup_f64 v[104:105], v[98:99], v[96:97], 1.0
	s_delay_alu instid0(VALU_DEP_1)
	v_mul_f64 v[102:103], v[100:101], -v[104:105]
.LBB27_97:
	s_or_b32 exec_lo, exec_lo, s3
	ds_store_2addr_b64 v145, v[104:105], v[102:103] offset1:1
.LBB27_98:
	s_or_b32 exec_lo, exec_lo, s4
	s_waitcnt lgkmcnt(0)
	s_barrier
	buffer_gl0_inv
	ds_load_2addr_b64 v[96:99], v145 offset1:1
	s_mov_b32 s3, exec_lo
	v_cmpx_lt_u32_e32 10, v144
	s_cbranch_execz .LBB27_100
; %bb.99:
	s_waitcnt lgkmcnt(0)
	v_mul_f64 v[100:101], v[96:97], v[14:15]
	v_mul_f64 v[14:15], v[98:99], v[14:15]
	s_delay_alu instid0(VALU_DEP_2)
	v_fma_f64 v[142:143], v[98:99], v[12:13], v[100:101]
	ds_load_2addr_b64 v[100:103], v146 offset0:22 offset1:23
	ds_load_2addr_b64 v[104:107], v146 offset0:24 offset1:25
	;; [unrolled: 1-line block ×3, first 2 shown]
	v_fma_f64 v[12:13], v[96:97], v[12:13], -v[14:15]
	s_waitcnt lgkmcnt(2)
	v_mul_f64 v[14:15], v[102:103], v[142:143]
	v_mul_f64 v[147:148], v[100:101], v[142:143]
	s_waitcnt lgkmcnt(1)
	v_mul_f64 v[149:150], v[106:107], v[142:143]
	v_mul_f64 v[151:152], v[104:105], v[142:143]
	s_waitcnt lgkmcnt(0)
	v_mul_f64 v[153:154], v[110:111], v[142:143]
	v_mul_f64 v[155:156], v[108:109], v[142:143]
	v_fma_f64 v[14:15], v[100:101], v[12:13], -v[14:15]
	v_fma_f64 v[100:101], v[102:103], v[12:13], v[147:148]
	v_fma_f64 v[102:103], v[104:105], v[12:13], -v[149:150]
	v_fma_f64 v[104:105], v[106:107], v[12:13], v[151:152]
	;; [unrolled: 2-line block ×3, first 2 shown]
	v_add_f64 v[8:9], v[8:9], -v[14:15]
	v_add_f64 v[10:11], v[10:11], -v[100:101]
	;; [unrolled: 1-line block ×6, first 2 shown]
	v_dual_mov_b32 v14, v142 :: v_dual_mov_b32 v15, v143
.LBB27_100:
	s_or_b32 exec_lo, exec_lo, s3
	s_delay_alu instid0(SALU_CYCLE_1)
	s_mov_b32 s4, exec_lo
	s_waitcnt lgkmcnt(0)
	s_barrier
	buffer_gl0_inv
	v_cmpx_eq_u32_e32 11, v144
	s_cbranch_execz .LBB27_107
; %bb.101:
	ds_store_2addr_b64 v145, v[8:9], v[10:11] offset1:1
	ds_store_2addr_b64 v146, v[4:5], v[6:7] offset0:24 offset1:25
	ds_store_2addr_b64 v146, v[0:1], v[2:3] offset0:26 offset1:27
	ds_load_2addr_b64 v[100:103], v145 offset1:1
	s_waitcnt lgkmcnt(0)
	v_cmp_neq_f64_e32 vcc_lo, 0, v[100:101]
	v_cmp_neq_f64_e64 s3, 0, v[102:103]
	s_delay_alu instid0(VALU_DEP_1) | instskip(NEXT) | instid1(SALU_CYCLE_1)
	s_or_b32 s3, vcc_lo, s3
	s_and_b32 exec_lo, exec_lo, s3
	s_cbranch_execz .LBB27_107
; %bb.102:
	v_cmp_gt_f64_e32 vcc_lo, 0, v[100:101]
	v_cmp_gt_f64_e64 s3, 0, v[102:103]
	v_xor_b32_e32 v104, 0x80000000, v101
	v_xor_b32_e32 v106, 0x80000000, v103
                                        ; implicit-def: $vgpr108_vgpr109
	s_delay_alu instid0(VALU_DEP_2) | instskip(NEXT) | instid1(VALU_DEP_2)
	v_cndmask_b32_e32 v105, v101, v104, vcc_lo
	v_cndmask_b32_e64 v107, v103, v106, s3
	v_cndmask_b32_e32 v104, v100, v100, vcc_lo
	v_cndmask_b32_e64 v106, v102, v102, s3
	s_mov_b32 s3, exec_lo
	s_delay_alu instid0(VALU_DEP_1)
	v_cmpx_ngt_f64_e32 v[104:105], v[106:107]
	s_xor_b32 s3, exec_lo, s3
                                        ; implicit-def: $vgpr104_vgpr105_vgpr106_vgpr107
	s_cbranch_execz .LBB27_104
; %bb.103:
	v_div_scale_f64 v[104:105], null, v[102:103], v[102:103], v[100:101]
	v_div_scale_f64 v[110:111], vcc_lo, v[100:101], v[102:103], v[100:101]
	s_delay_alu instid0(VALU_DEP_2) | instskip(SKIP_2) | instid1(VALU_DEP_1)
	v_rcp_f64_e32 v[106:107], v[104:105]
	s_waitcnt_depctr 0xfff
	v_fma_f64 v[108:109], -v[104:105], v[106:107], 1.0
	v_fma_f64 v[106:107], v[106:107], v[108:109], v[106:107]
	s_delay_alu instid0(VALU_DEP_1) | instskip(NEXT) | instid1(VALU_DEP_1)
	v_fma_f64 v[108:109], -v[104:105], v[106:107], 1.0
	v_fma_f64 v[106:107], v[106:107], v[108:109], v[106:107]
	s_delay_alu instid0(VALU_DEP_1) | instskip(NEXT) | instid1(VALU_DEP_1)
	v_mul_f64 v[108:109], v[110:111], v[106:107]
	v_fma_f64 v[104:105], -v[104:105], v[108:109], v[110:111]
	s_delay_alu instid0(VALU_DEP_1) | instskip(NEXT) | instid1(VALU_DEP_1)
	v_div_fmas_f64 v[104:105], v[104:105], v[106:107], v[108:109]
	v_div_fixup_f64 v[104:105], v[104:105], v[102:103], v[100:101]
	s_delay_alu instid0(VALU_DEP_1) | instskip(NEXT) | instid1(VALU_DEP_1)
	v_fma_f64 v[100:101], v[100:101], v[104:105], v[102:103]
	v_div_scale_f64 v[102:103], null, v[100:101], v[100:101], 1.0
	s_delay_alu instid0(VALU_DEP_1) | instskip(SKIP_2) | instid1(VALU_DEP_1)
	v_rcp_f64_e32 v[106:107], v[102:103]
	s_waitcnt_depctr 0xfff
	v_fma_f64 v[108:109], -v[102:103], v[106:107], 1.0
	v_fma_f64 v[106:107], v[106:107], v[108:109], v[106:107]
	s_delay_alu instid0(VALU_DEP_1) | instskip(NEXT) | instid1(VALU_DEP_1)
	v_fma_f64 v[108:109], -v[102:103], v[106:107], 1.0
	v_fma_f64 v[106:107], v[106:107], v[108:109], v[106:107]
	v_div_scale_f64 v[108:109], vcc_lo, 1.0, v[100:101], 1.0
	s_delay_alu instid0(VALU_DEP_1) | instskip(NEXT) | instid1(VALU_DEP_1)
	v_mul_f64 v[110:111], v[108:109], v[106:107]
	v_fma_f64 v[102:103], -v[102:103], v[110:111], v[108:109]
	s_delay_alu instid0(VALU_DEP_1) | instskip(NEXT) | instid1(VALU_DEP_1)
	v_div_fmas_f64 v[102:103], v[102:103], v[106:107], v[110:111]
	v_div_fixup_f64 v[106:107], v[102:103], v[100:101], 1.0
                                        ; implicit-def: $vgpr100_vgpr101
	s_delay_alu instid0(VALU_DEP_1)
	v_mul_f64 v[108:109], v[104:105], v[106:107]
	v_xor_b32_e32 v107, 0x80000000, v107
.LBB27_104:
	s_and_not1_saveexec_b32 s3, s3
	s_cbranch_execz .LBB27_106
; %bb.105:
	v_div_scale_f64 v[104:105], null, v[100:101], v[100:101], v[102:103]
	v_div_scale_f64 v[110:111], vcc_lo, v[102:103], v[100:101], v[102:103]
	s_delay_alu instid0(VALU_DEP_2) | instskip(SKIP_2) | instid1(VALU_DEP_1)
	v_rcp_f64_e32 v[106:107], v[104:105]
	s_waitcnt_depctr 0xfff
	v_fma_f64 v[108:109], -v[104:105], v[106:107], 1.0
	v_fma_f64 v[106:107], v[106:107], v[108:109], v[106:107]
	s_delay_alu instid0(VALU_DEP_1) | instskip(NEXT) | instid1(VALU_DEP_1)
	v_fma_f64 v[108:109], -v[104:105], v[106:107], 1.0
	v_fma_f64 v[106:107], v[106:107], v[108:109], v[106:107]
	s_delay_alu instid0(VALU_DEP_1) | instskip(NEXT) | instid1(VALU_DEP_1)
	v_mul_f64 v[108:109], v[110:111], v[106:107]
	v_fma_f64 v[104:105], -v[104:105], v[108:109], v[110:111]
	s_delay_alu instid0(VALU_DEP_1) | instskip(NEXT) | instid1(VALU_DEP_1)
	v_div_fmas_f64 v[104:105], v[104:105], v[106:107], v[108:109]
	v_div_fixup_f64 v[104:105], v[104:105], v[100:101], v[102:103]
	s_delay_alu instid0(VALU_DEP_1) | instskip(NEXT) | instid1(VALU_DEP_1)
	v_fma_f64 v[100:101], v[102:103], v[104:105], v[100:101]
	v_div_scale_f64 v[102:103], null, v[100:101], v[100:101], 1.0
	s_delay_alu instid0(VALU_DEP_1) | instskip(SKIP_2) | instid1(VALU_DEP_1)
	v_rcp_f64_e32 v[106:107], v[102:103]
	s_waitcnt_depctr 0xfff
	v_fma_f64 v[108:109], -v[102:103], v[106:107], 1.0
	v_fma_f64 v[106:107], v[106:107], v[108:109], v[106:107]
	s_delay_alu instid0(VALU_DEP_1) | instskip(NEXT) | instid1(VALU_DEP_1)
	v_fma_f64 v[108:109], -v[102:103], v[106:107], 1.0
	v_fma_f64 v[106:107], v[106:107], v[108:109], v[106:107]
	v_div_scale_f64 v[108:109], vcc_lo, 1.0, v[100:101], 1.0
	s_delay_alu instid0(VALU_DEP_1) | instskip(NEXT) | instid1(VALU_DEP_1)
	v_mul_f64 v[110:111], v[108:109], v[106:107]
	v_fma_f64 v[102:103], -v[102:103], v[110:111], v[108:109]
	s_delay_alu instid0(VALU_DEP_1) | instskip(NEXT) | instid1(VALU_DEP_1)
	v_div_fmas_f64 v[102:103], v[102:103], v[106:107], v[110:111]
	v_div_fixup_f64 v[108:109], v[102:103], v[100:101], 1.0
	s_delay_alu instid0(VALU_DEP_1)
	v_mul_f64 v[106:107], v[104:105], -v[108:109]
.LBB27_106:
	s_or_b32 exec_lo, exec_lo, s3
	ds_store_2addr_b64 v145, v[108:109], v[106:107] offset1:1
.LBB27_107:
	s_or_b32 exec_lo, exec_lo, s4
	s_waitcnt lgkmcnt(0)
	s_barrier
	buffer_gl0_inv
	ds_load_2addr_b64 v[100:103], v145 offset1:1
	s_mov_b32 s3, exec_lo
	v_cmpx_lt_u32_e32 11, v144
	s_cbranch_execz .LBB27_109
; %bb.108:
	s_waitcnt lgkmcnt(0)
	v_mul_f64 v[104:105], v[100:101], v[10:11]
	v_mul_f64 v[10:11], v[102:103], v[10:11]
	s_delay_alu instid0(VALU_DEP_2)
	v_fma_f64 v[142:143], v[102:103], v[8:9], v[104:105]
	ds_load_2addr_b64 v[104:107], v146 offset0:24 offset1:25
	ds_load_2addr_b64 v[108:111], v146 offset0:26 offset1:27
	v_fma_f64 v[8:9], v[100:101], v[8:9], -v[10:11]
	s_waitcnt lgkmcnt(1)
	v_mul_f64 v[10:11], v[106:107], v[142:143]
	v_mul_f64 v[147:148], v[104:105], v[142:143]
	s_waitcnt lgkmcnt(0)
	v_mul_f64 v[149:150], v[110:111], v[142:143]
	v_mul_f64 v[151:152], v[108:109], v[142:143]
	s_delay_alu instid0(VALU_DEP_4) | instskip(NEXT) | instid1(VALU_DEP_4)
	v_fma_f64 v[10:11], v[104:105], v[8:9], -v[10:11]
	v_fma_f64 v[104:105], v[106:107], v[8:9], v[147:148]
	s_delay_alu instid0(VALU_DEP_4) | instskip(NEXT) | instid1(VALU_DEP_4)
	v_fma_f64 v[106:107], v[108:109], v[8:9], -v[149:150]
	v_fma_f64 v[108:109], v[110:111], v[8:9], v[151:152]
	s_delay_alu instid0(VALU_DEP_4) | instskip(NEXT) | instid1(VALU_DEP_4)
	v_add_f64 v[4:5], v[4:5], -v[10:11]
	v_add_f64 v[6:7], v[6:7], -v[104:105]
	s_delay_alu instid0(VALU_DEP_4) | instskip(NEXT) | instid1(VALU_DEP_4)
	v_add_f64 v[0:1], v[0:1], -v[106:107]
	v_add_f64 v[2:3], v[2:3], -v[108:109]
	v_dual_mov_b32 v10, v142 :: v_dual_mov_b32 v11, v143
.LBB27_109:
	s_or_b32 exec_lo, exec_lo, s3
	s_delay_alu instid0(SALU_CYCLE_1)
	s_mov_b32 s4, exec_lo
	s_waitcnt lgkmcnt(0)
	s_barrier
	buffer_gl0_inv
	v_cmpx_eq_u32_e32 12, v144
	s_cbranch_execz .LBB27_116
; %bb.110:
	ds_store_2addr_b64 v145, v[4:5], v[6:7] offset1:1
	ds_store_2addr_b64 v146, v[0:1], v[2:3] offset0:26 offset1:27
	ds_load_2addr_b64 v[104:107], v145 offset1:1
	s_waitcnt lgkmcnt(0)
	v_cmp_neq_f64_e32 vcc_lo, 0, v[104:105]
	v_cmp_neq_f64_e64 s3, 0, v[106:107]
	s_delay_alu instid0(VALU_DEP_1) | instskip(NEXT) | instid1(SALU_CYCLE_1)
	s_or_b32 s3, vcc_lo, s3
	s_and_b32 exec_lo, exec_lo, s3
	s_cbranch_execz .LBB27_116
; %bb.111:
	v_cmp_gt_f64_e32 vcc_lo, 0, v[104:105]
	v_cmp_gt_f64_e64 s3, 0, v[106:107]
	v_xor_b32_e32 v108, 0x80000000, v105
	v_xor_b32_e32 v110, 0x80000000, v107
                                        ; implicit-def: $vgpr142_vgpr143
	s_delay_alu instid0(VALU_DEP_2) | instskip(NEXT) | instid1(VALU_DEP_2)
	v_cndmask_b32_e32 v109, v105, v108, vcc_lo
	v_cndmask_b32_e64 v111, v107, v110, s3
	v_cndmask_b32_e32 v108, v104, v104, vcc_lo
	v_cndmask_b32_e64 v110, v106, v106, s3
	s_mov_b32 s3, exec_lo
	s_delay_alu instid0(VALU_DEP_1)
	v_cmpx_ngt_f64_e32 v[108:109], v[110:111]
	s_xor_b32 s3, exec_lo, s3
                                        ; implicit-def: $vgpr108_vgpr109_vgpr110_vgpr111
	s_cbranch_execz .LBB27_113
; %bb.112:
	v_div_scale_f64 v[108:109], null, v[106:107], v[106:107], v[104:105]
	v_div_scale_f64 v[147:148], vcc_lo, v[104:105], v[106:107], v[104:105]
	s_delay_alu instid0(VALU_DEP_2) | instskip(SKIP_2) | instid1(VALU_DEP_1)
	v_rcp_f64_e32 v[110:111], v[108:109]
	s_waitcnt_depctr 0xfff
	v_fma_f64 v[142:143], -v[108:109], v[110:111], 1.0
	v_fma_f64 v[110:111], v[110:111], v[142:143], v[110:111]
	s_delay_alu instid0(VALU_DEP_1) | instskip(NEXT) | instid1(VALU_DEP_1)
	v_fma_f64 v[142:143], -v[108:109], v[110:111], 1.0
	v_fma_f64 v[110:111], v[110:111], v[142:143], v[110:111]
	s_delay_alu instid0(VALU_DEP_1) | instskip(NEXT) | instid1(VALU_DEP_1)
	v_mul_f64 v[142:143], v[147:148], v[110:111]
	v_fma_f64 v[108:109], -v[108:109], v[142:143], v[147:148]
	s_delay_alu instid0(VALU_DEP_1) | instskip(NEXT) | instid1(VALU_DEP_1)
	v_div_fmas_f64 v[108:109], v[108:109], v[110:111], v[142:143]
	v_div_fixup_f64 v[108:109], v[108:109], v[106:107], v[104:105]
	s_delay_alu instid0(VALU_DEP_1) | instskip(NEXT) | instid1(VALU_DEP_1)
	v_fma_f64 v[104:105], v[104:105], v[108:109], v[106:107]
	v_div_scale_f64 v[106:107], null, v[104:105], v[104:105], 1.0
	s_delay_alu instid0(VALU_DEP_1) | instskip(SKIP_2) | instid1(VALU_DEP_1)
	v_rcp_f64_e32 v[110:111], v[106:107]
	s_waitcnt_depctr 0xfff
	v_fma_f64 v[142:143], -v[106:107], v[110:111], 1.0
	v_fma_f64 v[110:111], v[110:111], v[142:143], v[110:111]
	s_delay_alu instid0(VALU_DEP_1) | instskip(NEXT) | instid1(VALU_DEP_1)
	v_fma_f64 v[142:143], -v[106:107], v[110:111], 1.0
	v_fma_f64 v[110:111], v[110:111], v[142:143], v[110:111]
	v_div_scale_f64 v[142:143], vcc_lo, 1.0, v[104:105], 1.0
	s_delay_alu instid0(VALU_DEP_1) | instskip(NEXT) | instid1(VALU_DEP_1)
	v_mul_f64 v[147:148], v[142:143], v[110:111]
	v_fma_f64 v[106:107], -v[106:107], v[147:148], v[142:143]
	s_delay_alu instid0(VALU_DEP_1) | instskip(NEXT) | instid1(VALU_DEP_1)
	v_div_fmas_f64 v[106:107], v[106:107], v[110:111], v[147:148]
	v_div_fixup_f64 v[110:111], v[106:107], v[104:105], 1.0
                                        ; implicit-def: $vgpr104_vgpr105
	s_delay_alu instid0(VALU_DEP_1)
	v_mul_f64 v[142:143], v[108:109], v[110:111]
	v_xor_b32_e32 v111, 0x80000000, v111
.LBB27_113:
	s_and_not1_saveexec_b32 s3, s3
	s_cbranch_execz .LBB27_115
; %bb.114:
	v_div_scale_f64 v[108:109], null, v[104:105], v[104:105], v[106:107]
	v_div_scale_f64 v[147:148], vcc_lo, v[106:107], v[104:105], v[106:107]
	s_delay_alu instid0(VALU_DEP_2) | instskip(SKIP_2) | instid1(VALU_DEP_1)
	v_rcp_f64_e32 v[110:111], v[108:109]
	s_waitcnt_depctr 0xfff
	v_fma_f64 v[142:143], -v[108:109], v[110:111], 1.0
	v_fma_f64 v[110:111], v[110:111], v[142:143], v[110:111]
	s_delay_alu instid0(VALU_DEP_1) | instskip(NEXT) | instid1(VALU_DEP_1)
	v_fma_f64 v[142:143], -v[108:109], v[110:111], 1.0
	v_fma_f64 v[110:111], v[110:111], v[142:143], v[110:111]
	s_delay_alu instid0(VALU_DEP_1) | instskip(NEXT) | instid1(VALU_DEP_1)
	v_mul_f64 v[142:143], v[147:148], v[110:111]
	v_fma_f64 v[108:109], -v[108:109], v[142:143], v[147:148]
	s_delay_alu instid0(VALU_DEP_1) | instskip(NEXT) | instid1(VALU_DEP_1)
	v_div_fmas_f64 v[108:109], v[108:109], v[110:111], v[142:143]
	v_div_fixup_f64 v[108:109], v[108:109], v[104:105], v[106:107]
	s_delay_alu instid0(VALU_DEP_1) | instskip(NEXT) | instid1(VALU_DEP_1)
	v_fma_f64 v[104:105], v[106:107], v[108:109], v[104:105]
	v_div_scale_f64 v[106:107], null, v[104:105], v[104:105], 1.0
	s_delay_alu instid0(VALU_DEP_1) | instskip(SKIP_2) | instid1(VALU_DEP_1)
	v_rcp_f64_e32 v[110:111], v[106:107]
	s_waitcnt_depctr 0xfff
	v_fma_f64 v[142:143], -v[106:107], v[110:111], 1.0
	v_fma_f64 v[110:111], v[110:111], v[142:143], v[110:111]
	s_delay_alu instid0(VALU_DEP_1) | instskip(NEXT) | instid1(VALU_DEP_1)
	v_fma_f64 v[142:143], -v[106:107], v[110:111], 1.0
	v_fma_f64 v[110:111], v[110:111], v[142:143], v[110:111]
	v_div_scale_f64 v[142:143], vcc_lo, 1.0, v[104:105], 1.0
	s_delay_alu instid0(VALU_DEP_1) | instskip(NEXT) | instid1(VALU_DEP_1)
	v_mul_f64 v[147:148], v[142:143], v[110:111]
	v_fma_f64 v[106:107], -v[106:107], v[147:148], v[142:143]
	s_delay_alu instid0(VALU_DEP_1) | instskip(NEXT) | instid1(VALU_DEP_1)
	v_div_fmas_f64 v[106:107], v[106:107], v[110:111], v[147:148]
	v_div_fixup_f64 v[142:143], v[106:107], v[104:105], 1.0
	s_delay_alu instid0(VALU_DEP_1)
	v_mul_f64 v[110:111], v[108:109], -v[142:143]
.LBB27_115:
	s_or_b32 exec_lo, exec_lo, s3
	ds_store_2addr_b64 v145, v[142:143], v[110:111] offset1:1
.LBB27_116:
	s_or_b32 exec_lo, exec_lo, s4
	s_waitcnt lgkmcnt(0)
	s_barrier
	buffer_gl0_inv
	ds_load_2addr_b64 v[104:107], v145 offset1:1
	s_mov_b32 s3, exec_lo
	v_cmpx_lt_u32_e32 12, v144
	s_cbranch_execz .LBB27_118
; %bb.117:
	s_waitcnt lgkmcnt(0)
	v_mul_f64 v[108:109], v[104:105], v[6:7]
	v_mul_f64 v[6:7], v[106:107], v[6:7]
	s_delay_alu instid0(VALU_DEP_2)
	v_fma_f64 v[142:143], v[106:107], v[4:5], v[108:109]
	ds_load_2addr_b64 v[108:111], v146 offset0:26 offset1:27
	v_fma_f64 v[4:5], v[104:105], v[4:5], -v[6:7]
	s_waitcnt lgkmcnt(0)
	v_mul_f64 v[6:7], v[110:111], v[142:143]
	v_mul_f64 v[146:147], v[108:109], v[142:143]
	s_delay_alu instid0(VALU_DEP_2) | instskip(NEXT) | instid1(VALU_DEP_2)
	v_fma_f64 v[6:7], v[108:109], v[4:5], -v[6:7]
	v_fma_f64 v[108:109], v[110:111], v[4:5], v[146:147]
	s_delay_alu instid0(VALU_DEP_2) | instskip(NEXT) | instid1(VALU_DEP_2)
	v_add_f64 v[0:1], v[0:1], -v[6:7]
	v_add_f64 v[2:3], v[2:3], -v[108:109]
	v_dual_mov_b32 v6, v142 :: v_dual_mov_b32 v7, v143
.LBB27_118:
	s_or_b32 exec_lo, exec_lo, s3
	s_delay_alu instid0(SALU_CYCLE_1)
	s_mov_b32 s4, exec_lo
	s_waitcnt lgkmcnt(0)
	s_barrier
	buffer_gl0_inv
	v_cmpx_eq_u32_e32 13, v144
	s_cbranch_execz .LBB27_125
; %bb.119:
	v_cmp_neq_f64_e32 vcc_lo, 0, v[0:1]
	v_cmp_neq_f64_e64 s3, 0, v[2:3]
	ds_store_2addr_b64 v145, v[0:1], v[2:3] offset1:1
	s_or_b32 s3, vcc_lo, s3
	s_delay_alu instid0(SALU_CYCLE_1)
	s_and_b32 exec_lo, exec_lo, s3
	s_cbranch_execz .LBB27_125
; %bb.120:
	v_cmp_gt_f64_e32 vcc_lo, 0, v[0:1]
	v_cmp_gt_f64_e64 s3, 0, v[2:3]
	v_xor_b32_e32 v108, 0x80000000, v1
	v_xor_b32_e32 v110, 0x80000000, v3
                                        ; implicit-def: $vgpr142_vgpr143
	s_delay_alu instid0(VALU_DEP_2) | instskip(NEXT) | instid1(VALU_DEP_2)
	v_cndmask_b32_e32 v109, v1, v108, vcc_lo
	v_cndmask_b32_e64 v111, v3, v110, s3
	v_cndmask_b32_e32 v108, v0, v0, vcc_lo
	v_cndmask_b32_e64 v110, v2, v2, s3
	s_mov_b32 s3, exec_lo
	s_delay_alu instid0(VALU_DEP_1)
	v_cmpx_ngt_f64_e32 v[108:109], v[110:111]
	s_xor_b32 s3, exec_lo, s3
                                        ; implicit-def: $vgpr108_vgpr109_vgpr110_vgpr111
	s_cbranch_execz .LBB27_122
; %bb.121:
	v_div_scale_f64 v[108:109], null, v[2:3], v[2:3], v[0:1]
	v_div_scale_f64 v[146:147], vcc_lo, v[0:1], v[2:3], v[0:1]
	s_delay_alu instid0(VALU_DEP_2) | instskip(SKIP_2) | instid1(VALU_DEP_1)
	v_rcp_f64_e32 v[110:111], v[108:109]
	s_waitcnt_depctr 0xfff
	v_fma_f64 v[142:143], -v[108:109], v[110:111], 1.0
	v_fma_f64 v[110:111], v[110:111], v[142:143], v[110:111]
	s_delay_alu instid0(VALU_DEP_1) | instskip(NEXT) | instid1(VALU_DEP_1)
	v_fma_f64 v[142:143], -v[108:109], v[110:111], 1.0
	v_fma_f64 v[110:111], v[110:111], v[142:143], v[110:111]
	s_delay_alu instid0(VALU_DEP_1) | instskip(NEXT) | instid1(VALU_DEP_1)
	v_mul_f64 v[142:143], v[146:147], v[110:111]
	v_fma_f64 v[108:109], -v[108:109], v[142:143], v[146:147]
	s_delay_alu instid0(VALU_DEP_1) | instskip(NEXT) | instid1(VALU_DEP_1)
	v_div_fmas_f64 v[108:109], v[108:109], v[110:111], v[142:143]
	v_div_fixup_f64 v[108:109], v[108:109], v[2:3], v[0:1]
	s_delay_alu instid0(VALU_DEP_1) | instskip(NEXT) | instid1(VALU_DEP_1)
	v_fma_f64 v[110:111], v[0:1], v[108:109], v[2:3]
	v_div_scale_f64 v[142:143], null, v[110:111], v[110:111], 1.0
	s_delay_alu instid0(VALU_DEP_1) | instskip(SKIP_2) | instid1(VALU_DEP_1)
	v_rcp_f64_e32 v[146:147], v[142:143]
	s_waitcnt_depctr 0xfff
	v_fma_f64 v[148:149], -v[142:143], v[146:147], 1.0
	v_fma_f64 v[146:147], v[146:147], v[148:149], v[146:147]
	s_delay_alu instid0(VALU_DEP_1) | instskip(NEXT) | instid1(VALU_DEP_1)
	v_fma_f64 v[148:149], -v[142:143], v[146:147], 1.0
	v_fma_f64 v[146:147], v[146:147], v[148:149], v[146:147]
	v_div_scale_f64 v[148:149], vcc_lo, 1.0, v[110:111], 1.0
	s_delay_alu instid0(VALU_DEP_1) | instskip(NEXT) | instid1(VALU_DEP_1)
	v_mul_f64 v[150:151], v[148:149], v[146:147]
	v_fma_f64 v[142:143], -v[142:143], v[150:151], v[148:149]
	s_delay_alu instid0(VALU_DEP_1) | instskip(NEXT) | instid1(VALU_DEP_1)
	v_div_fmas_f64 v[142:143], v[142:143], v[146:147], v[150:151]
	v_div_fixup_f64 v[110:111], v[142:143], v[110:111], 1.0
	s_delay_alu instid0(VALU_DEP_1)
	v_mul_f64 v[142:143], v[108:109], v[110:111]
	v_xor_b32_e32 v111, 0x80000000, v111
.LBB27_122:
	s_and_not1_saveexec_b32 s3, s3
	s_cbranch_execz .LBB27_124
; %bb.123:
	v_div_scale_f64 v[108:109], null, v[0:1], v[0:1], v[2:3]
	v_div_scale_f64 v[146:147], vcc_lo, v[2:3], v[0:1], v[2:3]
	s_delay_alu instid0(VALU_DEP_2) | instskip(SKIP_2) | instid1(VALU_DEP_1)
	v_rcp_f64_e32 v[110:111], v[108:109]
	s_waitcnt_depctr 0xfff
	v_fma_f64 v[142:143], -v[108:109], v[110:111], 1.0
	v_fma_f64 v[110:111], v[110:111], v[142:143], v[110:111]
	s_delay_alu instid0(VALU_DEP_1) | instskip(NEXT) | instid1(VALU_DEP_1)
	v_fma_f64 v[142:143], -v[108:109], v[110:111], 1.0
	v_fma_f64 v[110:111], v[110:111], v[142:143], v[110:111]
	s_delay_alu instid0(VALU_DEP_1) | instskip(NEXT) | instid1(VALU_DEP_1)
	v_mul_f64 v[142:143], v[146:147], v[110:111]
	v_fma_f64 v[108:109], -v[108:109], v[142:143], v[146:147]
	s_delay_alu instid0(VALU_DEP_1) | instskip(NEXT) | instid1(VALU_DEP_1)
	v_div_fmas_f64 v[108:109], v[108:109], v[110:111], v[142:143]
	v_div_fixup_f64 v[108:109], v[108:109], v[0:1], v[2:3]
	s_delay_alu instid0(VALU_DEP_1) | instskip(NEXT) | instid1(VALU_DEP_1)
	v_fma_f64 v[110:111], v[2:3], v[108:109], v[0:1]
	v_div_scale_f64 v[142:143], null, v[110:111], v[110:111], 1.0
	s_delay_alu instid0(VALU_DEP_1) | instskip(SKIP_2) | instid1(VALU_DEP_1)
	v_rcp_f64_e32 v[146:147], v[142:143]
	s_waitcnt_depctr 0xfff
	v_fma_f64 v[148:149], -v[142:143], v[146:147], 1.0
	v_fma_f64 v[146:147], v[146:147], v[148:149], v[146:147]
	s_delay_alu instid0(VALU_DEP_1) | instskip(NEXT) | instid1(VALU_DEP_1)
	v_fma_f64 v[148:149], -v[142:143], v[146:147], 1.0
	v_fma_f64 v[146:147], v[146:147], v[148:149], v[146:147]
	v_div_scale_f64 v[148:149], vcc_lo, 1.0, v[110:111], 1.0
	s_delay_alu instid0(VALU_DEP_1) | instskip(NEXT) | instid1(VALU_DEP_1)
	v_mul_f64 v[150:151], v[148:149], v[146:147]
	v_fma_f64 v[142:143], -v[142:143], v[150:151], v[148:149]
	s_delay_alu instid0(VALU_DEP_1) | instskip(NEXT) | instid1(VALU_DEP_1)
	v_div_fmas_f64 v[142:143], v[142:143], v[146:147], v[150:151]
	v_div_fixup_f64 v[142:143], v[142:143], v[110:111], 1.0
	s_delay_alu instid0(VALU_DEP_1)
	v_mul_f64 v[110:111], v[108:109], -v[142:143]
.LBB27_124:
	s_or_b32 exec_lo, exec_lo, s3
	ds_store_2addr_b64 v145, v[142:143], v[110:111] offset1:1
.LBB27_125:
	s_or_b32 exec_lo, exec_lo, s4
	s_waitcnt lgkmcnt(0)
	s_barrier
	buffer_gl0_inv
	ds_load_2addr_b64 v[108:111], v145 offset1:1
	s_mov_b32 s3, exec_lo
	v_cmpx_lt_u32_e32 13, v144
	s_cbranch_execz .LBB27_127
; %bb.126:
	s_waitcnt lgkmcnt(0)
	v_mul_f64 v[142:143], v[110:111], v[2:3]
	v_mul_f64 v[2:3], v[108:109], v[2:3]
	s_delay_alu instid0(VALU_DEP_2) | instskip(NEXT) | instid1(VALU_DEP_2)
	v_fma_f64 v[142:143], v[108:109], v[0:1], -v[142:143]
	v_fma_f64 v[2:3], v[110:111], v[0:1], v[2:3]
	s_delay_alu instid0(VALU_DEP_2)
	v_dual_mov_b32 v0, v142 :: v_dual_mov_b32 v1, v143
.LBB27_127:
	s_or_b32 exec_lo, exec_lo, s3
	s_waitcnt lgkmcnt(0)
	s_barrier
	buffer_gl0_inv
	s_and_saveexec_b32 s10, s2
	s_cbranch_execz .LBB27_130
; %bb.128:
	s_load_b64 s[0:1], s[0:1], 0x28
	v_lshlrev_b64 v[112:113], 2, v[112:113]
	v_cmp_neq_f64_e64 s2, 0, v[62:63]
	v_cmp_eq_f64_e64 s3, 0, v[64:65]
	v_cmp_eq_f64_e64 s4, 0, v[66:67]
	;; [unrolled: 1-line block ×6, first 2 shown]
	s_waitcnt lgkmcnt(0)
	v_add_co_u32 v112, vcc_lo, s0, v112
	v_add_co_ci_u32_e32 v113, vcc_lo, s1, v113, vcc_lo
	v_cmp_eq_f64_e32 vcc_lo, 0, v[56:57]
	v_cmp_eq_f64_e64 s0, 0, v[58:59]
	v_cmp_neq_f64_e64 s1, 0, v[60:61]
	global_load_b32 v142, v[112:113], off
	s_and_b32 s0, vcc_lo, s0
	s_or_b32 s1, s1, s2
	v_cndmask_b32_e64 v56, 0, 1, s0
	s_or_b32 vcc_lo, s1, s0
	v_cmp_eq_f64_e64 s0, 0, v[78:79]
	s_and_b32 s2, s3, s4
	s_and_b32 s4, s5, s6
	v_cndmask_b32_e32 v56, 2, v56, vcc_lo
	v_cmp_eq_f64_e32 vcc_lo, 0, v[76:77]
	s_and_b32 s6, s7, s8
	s_delay_alu instid0(VALU_DEP_2) | instskip(NEXT) | instid1(VALU_DEP_1)
	v_cmp_eq_u32_e64 s1, 0, v56
	s_and_b32 s1, s2, s1
	v_cmp_eq_f64_e64 s2, 0, v[82:83]
	v_cndmask_b32_e64 v56, v56, 3, s1
	v_cmp_eq_f64_e64 s1, 0, v[80:81]
	s_delay_alu instid0(VALU_DEP_2) | instskip(NEXT) | instid1(VALU_DEP_1)
	v_cmp_eq_u32_e64 s3, 0, v56
	s_and_b32 s3, s4, s3
	v_cmp_eq_f64_e64 s4, 0, v[86:87]
	v_cndmask_b32_e64 v56, v56, 4, s3
	v_cmp_eq_f64_e64 s3, 0, v[84:85]
	;; [unrolled: 6-line block ×3, first 2 shown]
	s_and_b32 s0, vcc_lo, s0
	v_cmp_eq_f64_e32 vcc_lo, 0, v[92:93]
	s_delay_alu instid0(VALU_DEP_3) | instskip(NEXT) | instid1(VALU_DEP_1)
	v_cmp_eq_u32_e64 s7, 0, v56
	s_and_b32 s0, s0, s7
	s_delay_alu instid0(SALU_CYCLE_1) | instskip(SKIP_3) | instid1(VALU_DEP_3)
	v_cndmask_b32_e64 v56, v56, 6, s0
	v_cmp_eq_f64_e64 s0, 0, v[94:95]
	s_and_b32 s1, s1, s2
	v_cmp_eq_f64_e64 s2, 0, v[98:99]
	v_cmp_eq_u32_e64 s7, 0, v56
	s_delay_alu instid0(VALU_DEP_1) | instskip(NEXT) | instid1(SALU_CYCLE_1)
	s_and_b32 s1, s1, s7
	v_cndmask_b32_e64 v56, v56, 7, s1
	v_cmp_eq_f64_e64 s1, 0, v[96:97]
	s_and_b32 s3, s3, s4
	v_cmp_eq_f64_e64 s4, 0, v[102:103]
	s_delay_alu instid0(VALU_DEP_3) | instskip(NEXT) | instid1(VALU_DEP_1)
	v_cmp_eq_u32_e64 s7, 0, v56
	s_and_b32 s3, s3, s7
	s_delay_alu instid0(SALU_CYCLE_1) | instskip(SKIP_3) | instid1(VALU_DEP_3)
	v_cndmask_b32_e64 v56, v56, 8, s3
	v_cmp_eq_f64_e64 s3, 0, v[100:101]
	s_and_b32 s5, s5, s6
	v_cmp_eq_f64_e64 s6, 0, v[106:107]
	v_cmp_eq_u32_e64 s7, 0, v56
	s_delay_alu instid0(VALU_DEP_1) | instskip(NEXT) | instid1(SALU_CYCLE_1)
	s_and_b32 s5, s5, s7
	v_cndmask_b32_e64 v56, v56, 9, s5
	v_cmp_eq_f64_e64 s5, 0, v[104:105]
	s_and_b32 s0, vcc_lo, s0
	v_cmp_eq_f64_e32 vcc_lo, 0, v[108:109]
	s_delay_alu instid0(VALU_DEP_3) | instskip(NEXT) | instid1(VALU_DEP_1)
	v_cmp_eq_u32_e64 s7, 0, v56
	s_and_b32 s0, s0, s7
	s_delay_alu instid0(SALU_CYCLE_1) | instskip(SKIP_2) | instid1(VALU_DEP_2)
	v_cndmask_b32_e64 v56, v56, 10, s0
	v_cmp_eq_f64_e64 s0, 0, v[110:111]
	s_and_b32 s1, s1, s2
	v_cmp_eq_u32_e64 s7, 0, v56
	s_delay_alu instid0(VALU_DEP_1) | instskip(NEXT) | instid1(SALU_CYCLE_1)
	s_and_b32 s1, s1, s7
	v_cndmask_b32_e64 v56, v56, 11, s1
	s_and_b32 s2, s3, s4
	s_delay_alu instid0(VALU_DEP_1) | instskip(NEXT) | instid1(VALU_DEP_1)
	v_cmp_eq_u32_e64 s1, 0, v56
	s_and_b32 s1, s2, s1
	s_delay_alu instid0(SALU_CYCLE_1) | instskip(SKIP_1) | instid1(VALU_DEP_1)
	v_cndmask_b32_e64 v56, v56, 12, s1
	s_and_b32 s2, s5, s6
	v_cmp_eq_u32_e64 s1, 0, v56
	s_delay_alu instid0(VALU_DEP_1) | instskip(NEXT) | instid1(SALU_CYCLE_1)
	s_and_b32 s1, s2, s1
	v_cndmask_b32_e64 v56, v56, 13, s1
	s_and_b32 s0, vcc_lo, s0
	s_delay_alu instid0(VALU_DEP_1) | instskip(NEXT) | instid1(VALU_DEP_1)
	v_cmp_eq_u32_e64 s1, 0, v56
	s_and_b32 s0, s0, s1
	s_delay_alu instid0(SALU_CYCLE_1) | instskip(NEXT) | instid1(VALU_DEP_1)
	v_cndmask_b32_e64 v56, v56, 14, s0
	v_cmp_ne_u32_e64 s0, 0, v56
	s_waitcnt vmcnt(0)
	v_cmp_eq_u32_e32 vcc_lo, 0, v142
	s_delay_alu instid0(VALU_DEP_2) | instskip(NEXT) | instid1(SALU_CYCLE_1)
	s_and_b32 s0, vcc_lo, s0
	s_and_b32 exec_lo, exec_lo, s0
	s_cbranch_execz .LBB27_130
; %bb.129:
	v_add_nc_u32_e32 v56, s9, v56
	global_store_b32 v[112:113], v56, off
.LBB27_130:
	s_or_b32 exec_lo, exec_lo, s10
	s_clause 0xd
	global_store_b128 v[138:139], v[52:55], off
	global_store_b128 v[140:141], v[48:51], off
	;; [unrolled: 1-line block ×14, first 2 shown]
.LBB27_131:
	s_nop 0
	s_sendmsg sendmsg(MSG_DEALLOC_VGPRS)
	s_endpgm
	.section	.rodata,"a",@progbits
	.p2align	6, 0x0
	.amdhsa_kernel _ZN9rocsolver6v33100L23getf2_npvt_small_kernelILi14E19rocblas_complex_numIdEiiPKPS3_EEvT1_T3_lS7_lPT2_S7_S7_
		.amdhsa_group_segment_fixed_size 0
		.amdhsa_private_segment_fixed_size 0
		.amdhsa_kernarg_size 312
		.amdhsa_user_sgpr_count 14
		.amdhsa_user_sgpr_dispatch_ptr 0
		.amdhsa_user_sgpr_queue_ptr 0
		.amdhsa_user_sgpr_kernarg_segment_ptr 1
		.amdhsa_user_sgpr_dispatch_id 0
		.amdhsa_user_sgpr_private_segment_size 0
		.amdhsa_wavefront_size32 1
		.amdhsa_uses_dynamic_stack 0
		.amdhsa_enable_private_segment 0
		.amdhsa_system_sgpr_workgroup_id_x 1
		.amdhsa_system_sgpr_workgroup_id_y 1
		.amdhsa_system_sgpr_workgroup_id_z 0
		.amdhsa_system_sgpr_workgroup_info 0
		.amdhsa_system_vgpr_workitem_id 1
		.amdhsa_next_free_vgpr 197
		.amdhsa_next_free_sgpr 16
		.amdhsa_reserve_vcc 1
		.amdhsa_float_round_mode_32 0
		.amdhsa_float_round_mode_16_64 0
		.amdhsa_float_denorm_mode_32 3
		.amdhsa_float_denorm_mode_16_64 3
		.amdhsa_dx10_clamp 1
		.amdhsa_ieee_mode 1
		.amdhsa_fp16_overflow 0
		.amdhsa_workgroup_processor_mode 1
		.amdhsa_memory_ordered 1
		.amdhsa_forward_progress 0
		.amdhsa_shared_vgpr_count 0
		.amdhsa_exception_fp_ieee_invalid_op 0
		.amdhsa_exception_fp_denorm_src 0
		.amdhsa_exception_fp_ieee_div_zero 0
		.amdhsa_exception_fp_ieee_overflow 0
		.amdhsa_exception_fp_ieee_underflow 0
		.amdhsa_exception_fp_ieee_inexact 0
		.amdhsa_exception_int_div_zero 0
	.end_amdhsa_kernel
	.section	.text._ZN9rocsolver6v33100L23getf2_npvt_small_kernelILi14E19rocblas_complex_numIdEiiPKPS3_EEvT1_T3_lS7_lPT2_S7_S7_,"axG",@progbits,_ZN9rocsolver6v33100L23getf2_npvt_small_kernelILi14E19rocblas_complex_numIdEiiPKPS3_EEvT1_T3_lS7_lPT2_S7_S7_,comdat
.Lfunc_end27:
	.size	_ZN9rocsolver6v33100L23getf2_npvt_small_kernelILi14E19rocblas_complex_numIdEiiPKPS3_EEvT1_T3_lS7_lPT2_S7_S7_, .Lfunc_end27-_ZN9rocsolver6v33100L23getf2_npvt_small_kernelILi14E19rocblas_complex_numIdEiiPKPS3_EEvT1_T3_lS7_lPT2_S7_S7_
                                        ; -- End function
	.section	.AMDGPU.csdata,"",@progbits
; Kernel info:
; codeLenInByte = 18116
; NumSgprs: 18
; NumVgprs: 197
; ScratchSize: 0
; MemoryBound: 1
; FloatMode: 240
; IeeeMode: 1
; LDSByteSize: 0 bytes/workgroup (compile time only)
; SGPRBlocks: 2
; VGPRBlocks: 24
; NumSGPRsForWavesPerEU: 18
; NumVGPRsForWavesPerEU: 197
; Occupancy: 7
; WaveLimiterHint : 1
; COMPUTE_PGM_RSRC2:SCRATCH_EN: 0
; COMPUTE_PGM_RSRC2:USER_SGPR: 14
; COMPUTE_PGM_RSRC2:TRAP_HANDLER: 0
; COMPUTE_PGM_RSRC2:TGID_X_EN: 1
; COMPUTE_PGM_RSRC2:TGID_Y_EN: 1
; COMPUTE_PGM_RSRC2:TGID_Z_EN: 0
; COMPUTE_PGM_RSRC2:TIDIG_COMP_CNT: 1
	.section	.text._ZN9rocsolver6v33100L18getf2_small_kernelILi15E19rocblas_complex_numIdEiiPKPS3_EEvT1_T3_lS7_lPS7_llPT2_S7_S7_S9_l,"axG",@progbits,_ZN9rocsolver6v33100L18getf2_small_kernelILi15E19rocblas_complex_numIdEiiPKPS3_EEvT1_T3_lS7_lPS7_llPT2_S7_S7_S9_l,comdat
	.globl	_ZN9rocsolver6v33100L18getf2_small_kernelILi15E19rocblas_complex_numIdEiiPKPS3_EEvT1_T3_lS7_lPS7_llPT2_S7_S7_S9_l ; -- Begin function _ZN9rocsolver6v33100L18getf2_small_kernelILi15E19rocblas_complex_numIdEiiPKPS3_EEvT1_T3_lS7_lPS7_llPT2_S7_S7_S9_l
	.p2align	8
	.type	_ZN9rocsolver6v33100L18getf2_small_kernelILi15E19rocblas_complex_numIdEiiPKPS3_EEvT1_T3_lS7_lPS7_llPT2_S7_S7_S9_l,@function
_ZN9rocsolver6v33100L18getf2_small_kernelILi15E19rocblas_complex_numIdEiiPKPS3_EEvT1_T3_lS7_lPS7_llPT2_S7_S7_S9_l: ; @_ZN9rocsolver6v33100L18getf2_small_kernelILi15E19rocblas_complex_numIdEiiPKPS3_EEvT1_T3_lS7_lPS7_llPT2_S7_S7_S9_l
; %bb.0:
	s_clause 0x1
	s_load_b32 s2, s[0:1], 0x6c
	s_load_b64 s[12:13], s[0:1], 0x48
	v_bfe_u32 v60, v0, 10, 10
	s_waitcnt lgkmcnt(0)
	s_lshr_b32 s2, s2, 16
	s_delay_alu instid0(VALU_DEP_1) | instid1(SALU_CYCLE_1)
	v_mad_u64_u32 v[64:65], null, s15, s2, v[60:61]
	s_mov_b32 s2, exec_lo
	s_delay_alu instid0(VALU_DEP_1)
	v_cmpx_gt_i32_e64 s12, v64
	s_cbranch_execz .LBB28_318
; %bb.1:
	s_clause 0x1
	s_load_b128 s[4:7], s[0:1], 0x8
	s_load_b128 s[8:11], s[0:1], 0x50
	v_ashrrev_i32_e32 v65, 31, v64
	v_mov_b32_e32 v66, 0
	v_mov_b32_e32 v67, 0
	s_delay_alu instid0(VALU_DEP_3) | instskip(SKIP_1) | instid1(VALU_DEP_1)
	v_lshlrev_b64 v[1:2], 3, v[64:65]
	s_waitcnt lgkmcnt(0)
	v_add_co_u32 v1, vcc_lo, s4, v1
	s_delay_alu instid0(VALU_DEP_2)
	v_add_co_ci_u32_e32 v2, vcc_lo, s5, v2, vcc_lo
	s_cmp_eq_u64 s[8:9], 0
	s_cselect_b32 s4, -1, 0
	global_load_b64 v[1:2], v[1:2], off
	s_and_b32 vcc_lo, exec_lo, s4
	s_cbranch_vccnz .LBB28_3
; %bb.2:
	v_mul_lo_u32 v5, v65, s10
	v_mul_lo_u32 v6, v64, s11
	v_mad_u64_u32 v[3:4], null, v64, s10, 0
	s_delay_alu instid0(VALU_DEP_1) | instskip(NEXT) | instid1(VALU_DEP_1)
	v_add3_u32 v4, v4, v6, v5
	v_lshlrev_b64 v[3:4], 2, v[3:4]
	s_delay_alu instid0(VALU_DEP_1) | instskip(NEXT) | instid1(VALU_DEP_2)
	v_add_co_u32 v66, vcc_lo, s8, v3
	v_add_co_ci_u32_e32 v67, vcc_lo, s9, v4, vcc_lo
.LBB28_3:
	s_clause 0x1
	s_load_b32 s8, s[0:1], 0x18
	s_load_b32 s5, s[0:1], 0x0
	v_dual_mov_b32 v68, 0 :: v_dual_and_b32 v73, 0x3ff, v0
	s_lshl_b64 s[2:3], s[6:7], 4
	s_waitcnt vmcnt(0)
	v_add_co_u32 v71, vcc_lo, v1, s2
	s_delay_alu instid0(VALU_DEP_2) | instskip(SKIP_1) | instid1(VALU_DEP_2)
	v_lshlrev_b32_e32 v63, 4, v73
	v_add_co_ci_u32_e32 v72, vcc_lo, s3, v2, vcc_lo
	v_add_co_u32 v2, vcc_lo, v71, v63
	s_delay_alu instid0(VALU_DEP_2)
	v_add_co_ci_u32_e32 v3, vcc_lo, 0, v72, vcc_lo
	s_waitcnt lgkmcnt(0)
	v_add3_u32 v0, s8, s8, v73
	s_ashr_i32 s9, s8, 31
	s_max_i32 s2, s5, 15
	s_lshl_b64 s[10:11], s[8:9], 4
	v_mul_lo_u32 v69, s2, v60
	v_add_nc_u32_e32 v4, s8, v0
	v_add_co_u32 v6, vcc_lo, v2, s10
	v_add_co_ci_u32_e32 v7, vcc_lo, s11, v3, vcc_lo
	s_delay_alu instid0(VALU_DEP_3)
	v_ashrrev_i32_e32 v5, 31, v4
	v_add_nc_u32_e32 v8, s8, v4
	v_ashrrev_i32_e32 v1, 31, v0
	s_clause 0x1
	global_load_b128 v[48:51], v[2:3], off
	global_load_b128 v[44:47], v[6:7], off
	v_lshl_add_u32 v70, v69, 4, 0
	v_lshlrev_b64 v[2:3], 4, v[4:5]
	v_ashrrev_i32_e32 v9, 31, v8
	v_add_nc_u32_e32 v4, s8, v8
	v_lshlrev_b64 v[0:1], 4, v[0:1]
	v_add_nc_u32_e32 v60, v70, v63
	v_lshlrev_b32_e32 v75, 4, v69
	v_lshlrev_b64 v[6:7], 4, v[8:9]
	v_add_nc_u32_e32 v8, s8, v4
	v_ashrrev_i32_e32 v5, 31, v4
	v_add_co_u32 v0, vcc_lo, v71, v0
	v_add_co_ci_u32_e32 v1, vcc_lo, v72, v1, vcc_lo
	s_delay_alu instid0(VALU_DEP_4)
	v_add_nc_u32_e32 v10, s8, v8
	v_add_co_u32 v2, vcc_lo, v71, v2
	v_ashrrev_i32_e32 v9, 31, v8
	v_add_co_ci_u32_e32 v3, vcc_lo, v72, v3, vcc_lo
	v_lshlrev_b64 v[4:5], 4, v[4:5]
	v_ashrrev_i32_e32 v11, 31, v10
	s_clause 0x1
	global_load_b128 v[56:59], v[0:1], off
	global_load_b128 v[40:43], v[2:3], off
	v_add_co_u32 v0, vcc_lo, v71, v6
	v_lshlrev_b64 v[2:3], 4, v[8:9]
	v_add_nc_u32_e32 v8, s8, v10
	v_add_co_ci_u32_e32 v1, vcc_lo, v72, v7, vcc_lo
	v_add_co_u32 v4, vcc_lo, v71, v4
	v_lshlrev_b64 v[6:7], 4, v[10:11]
	v_add_co_ci_u32_e32 v5, vcc_lo, v72, v5, vcc_lo
	v_add_nc_u32_e32 v10, s8, v8
	v_add_co_u32 v2, vcc_lo, v71, v2
	v_ashrrev_i32_e32 v9, 31, v8
	v_add_co_ci_u32_e32 v3, vcc_lo, v72, v3, vcc_lo
	v_add_co_u32 v6, vcc_lo, v71, v6
	v_ashrrev_i32_e32 v11, 31, v10
	v_add_co_ci_u32_e32 v7, vcc_lo, v72, v7, vcc_lo
	s_clause 0x1
	global_load_b128 v[52:55], v[0:1], off
	global_load_b128 v[36:39], v[4:5], off
	v_lshlrev_b64 v[0:1], 4, v[8:9]
	v_add_nc_u32_e32 v4, s8, v10
	s_clause 0x1
	global_load_b128 v[32:35], v[2:3], off
	global_load_b128 v[28:31], v[6:7], off
	v_lshlrev_b64 v[2:3], 4, v[10:11]
	s_cmp_lt_i32 s5, 2
	v_add_nc_u32_e32 v6, s8, v4
	v_add_co_u32 v0, vcc_lo, v71, v0
	v_add_co_ci_u32_e32 v1, vcc_lo, v72, v1, vcc_lo
	s_delay_alu instid0(VALU_DEP_4) | instskip(NEXT) | instid1(VALU_DEP_4)
	v_add_co_u32 v2, vcc_lo, v71, v2
	v_add_nc_u32_e32 v8, s8, v6
	v_add_co_ci_u32_e32 v3, vcc_lo, v72, v3, vcc_lo
	v_ashrrev_i32_e32 v5, 31, v4
	v_ashrrev_i32_e32 v7, 31, v6
	s_clause 0x1
	global_load_b128 v[24:27], v[0:1], off
	global_load_b128 v[20:23], v[2:3], off
	v_ashrrev_i32_e32 v9, 31, v8
	v_add_nc_u32_e32 v2, s8, v8
	v_lshlrev_b64 v[4:5], 4, v[4:5]
	v_lshlrev_b64 v[0:1], 4, v[6:7]
	s_delay_alu instid0(VALU_DEP_4) | instskip(NEXT) | instid1(VALU_DEP_4)
	v_lshlrev_b64 v[6:7], 4, v[8:9]
	v_add_nc_u32_e32 v8, s8, v2
	v_ashrrev_i32_e32 v3, 31, v2
	v_add_co_u32 v4, vcc_lo, v71, v4
	v_add_co_ci_u32_e32 v5, vcc_lo, v72, v5, vcc_lo
	s_delay_alu instid0(VALU_DEP_4)
	v_ashrrev_i32_e32 v9, 31, v8
	v_add_co_u32 v0, vcc_lo, v71, v0
	v_lshlrev_b64 v[2:3], 4, v[2:3]
	v_add_co_ci_u32_e32 v1, vcc_lo, v72, v1, vcc_lo
	v_add_co_u32 v6, vcc_lo, v71, v6
	v_lshlrev_b64 v[8:9], 4, v[8:9]
	v_add_co_ci_u32_e32 v7, vcc_lo, v72, v7, vcc_lo
	v_add_co_u32 v2, vcc_lo, v71, v2
	v_add_co_ci_u32_e32 v3, vcc_lo, v72, v3, vcc_lo
	s_delay_alu instid0(VALU_DEP_4)
	v_add_co_u32 v61, vcc_lo, v71, v8
	v_add_co_ci_u32_e32 v62, vcc_lo, v72, v9, vcc_lo
	s_clause 0x4
	global_load_b128 v[16:19], v[4:5], off
	global_load_b128 v[12:15], v[0:1], off
	global_load_b128 v[8:11], v[6:7], off
	global_load_b128 v[4:7], v[2:3], off
	global_load_b128 v[0:3], v[61:62], off
	s_waitcnt vmcnt(14)
	ds_store_2addr_b64 v60, v[48:49], v[50:51] offset1:1
	s_waitcnt vmcnt(0) lgkmcnt(0)
	s_barrier
	buffer_gl0_inv
	ds_load_2addr_b64 v[60:63], v70 offset1:1
	s_cbranch_scc1 .LBB28_6
; %bb.4:
	v_add3_u32 v69, v75, 0, 16
	v_mov_b32_e32 v68, 0
	s_mov_b32 s6, 1
	s_set_inst_prefetch_distance 0x1
	.p2align	6
.LBB28_5:                               ; =>This Inner Loop Header: Depth=1
	ds_load_2addr_b64 v[76:79], v69 offset1:1
	s_waitcnt lgkmcnt(1)
	v_cmp_gt_f64_e32 vcc_lo, 0, v[60:61]
	v_xor_b32_e32 v74, 0x80000000, v61
	v_cmp_gt_f64_e64 s2, 0, v[62:63]
	v_xor_b32_e32 v80, 0x80000000, v63
	v_add_nc_u32_e32 v69, 16, v69
	s_waitcnt lgkmcnt(0)
	v_cmp_gt_f64_e64 s3, 0, v[76:77]
	v_mov_b32_e32 v84, v76
	v_dual_mov_b32 v86, v78 :: v_dual_cndmask_b32 v81, v61, v74
	v_xor_b32_e32 v74, 0x80000000, v77
	v_cndmask_b32_e64 v83, v63, v80, s2
	v_xor_b32_e32 v80, 0x80000000, v79
	v_cndmask_b32_e64 v82, v62, v62, s2
	s_delay_alu instid0(VALU_DEP_4) | instskip(SKIP_1) | instid1(VALU_DEP_1)
	v_cndmask_b32_e64 v85, v77, v74, s3
	v_cmp_gt_f64_e64 s3, 0, v[78:79]
	v_cndmask_b32_e64 v87, v79, v80, s3
	v_cndmask_b32_e32 v80, v60, v60, vcc_lo
	s_delay_alu instid0(VALU_DEP_2) | instskip(NEXT) | instid1(VALU_DEP_2)
	v_add_f64 v[84:85], v[84:85], v[86:87]
	v_add_f64 v[80:81], v[80:81], v[82:83]
	s_delay_alu instid0(VALU_DEP_1)
	v_cmp_lt_f64_e32 vcc_lo, v[80:81], v[84:85]
	v_cndmask_b32_e32 v63, v63, v79, vcc_lo
	v_dual_cndmask_b32 v61, v61, v77 :: v_dual_cndmask_b32 v60, v60, v76
	v_cndmask_b32_e32 v62, v62, v78, vcc_lo
	v_cndmask_b32_e64 v68, v68, s6, vcc_lo
	s_add_i32 s6, s6, 1
	s_delay_alu instid0(SALU_CYCLE_1)
	s_cmp_eq_u32 s5, s6
	s_cbranch_scc0 .LBB28_5
.LBB28_6:
	s_set_inst_prefetch_distance 0x2
	s_waitcnt lgkmcnt(0)
	v_cmp_neq_f64_e32 vcc_lo, 0, v[60:61]
	v_cmp_neq_f64_e64 s2, 0, v[62:63]
	v_dual_mov_b32 v74, 1 :: v_dual_mov_b32 v77, 1
	s_delay_alu instid0(VALU_DEP_2) | instskip(NEXT) | instid1(SALU_CYCLE_1)
	s_or_b32 s2, vcc_lo, s2
	s_and_saveexec_b32 s3, s2
	s_cbranch_execz .LBB28_12
; %bb.7:
	v_cmp_gt_f64_e32 vcc_lo, 0, v[60:61]
	v_cmp_gt_f64_e64 s2, 0, v[62:63]
	v_xor_b32_e32 v69, 0x80000000, v61
	v_xor_b32_e32 v74, 0x80000000, v63
                                        ; implicit-def: $sgpr6
                                        ; implicit-def: $sgpr7
	s_delay_alu instid0(VALU_DEP_2) | instskip(NEXT) | instid1(VALU_DEP_2)
	v_dual_cndmask_b32 v77, v61, v69 :: v_dual_cndmask_b32 v76, v60, v60
	v_cndmask_b32_e64 v79, v63, v74, s2
	v_cndmask_b32_e64 v78, v62, v62, s2
	s_mov_b32 s2, exec_lo
	s_delay_alu instid0(VALU_DEP_1)
	v_cmpx_ngt_f64_e32 v[76:77], v[78:79]
	s_xor_b32 s2, exec_lo, s2
	s_cbranch_execz .LBB28_9
; %bb.8:
	v_div_scale_f64 v[76:77], null, v[62:63], v[62:63], v[60:61]
	v_div_scale_f64 v[82:83], vcc_lo, v[60:61], v[62:63], v[60:61]
	s_mov_b32 s7, 2
	s_mov_b32 s6, 0
	s_delay_alu instid0(VALU_DEP_2) | instskip(SKIP_2) | instid1(VALU_DEP_1)
	v_rcp_f64_e32 v[78:79], v[76:77]
	s_waitcnt_depctr 0xfff
	v_fma_f64 v[80:81], -v[76:77], v[78:79], 1.0
	v_fma_f64 v[78:79], v[78:79], v[80:81], v[78:79]
	s_delay_alu instid0(VALU_DEP_1) | instskip(NEXT) | instid1(VALU_DEP_1)
	v_fma_f64 v[80:81], -v[76:77], v[78:79], 1.0
	v_fma_f64 v[78:79], v[78:79], v[80:81], v[78:79]
	s_delay_alu instid0(VALU_DEP_1) | instskip(NEXT) | instid1(VALU_DEP_1)
	v_mul_f64 v[80:81], v[82:83], v[78:79]
	v_fma_f64 v[76:77], -v[76:77], v[80:81], v[82:83]
	s_delay_alu instid0(VALU_DEP_1) | instskip(NEXT) | instid1(VALU_DEP_1)
	v_div_fmas_f64 v[76:77], v[76:77], v[78:79], v[80:81]
	v_div_fixup_f64 v[76:77], v[76:77], v[62:63], v[60:61]
	s_delay_alu instid0(VALU_DEP_1) | instskip(NEXT) | instid1(VALU_DEP_1)
	v_fma_f64 v[60:61], v[60:61], v[76:77], v[62:63]
	v_div_scale_f64 v[62:63], null, v[60:61], v[60:61], 1.0
	s_delay_alu instid0(VALU_DEP_1) | instskip(SKIP_2) | instid1(VALU_DEP_1)
	v_rcp_f64_e32 v[78:79], v[62:63]
	s_waitcnt_depctr 0xfff
	v_fma_f64 v[80:81], -v[62:63], v[78:79], 1.0
	v_fma_f64 v[78:79], v[78:79], v[80:81], v[78:79]
	s_delay_alu instid0(VALU_DEP_1) | instskip(NEXT) | instid1(VALU_DEP_1)
	v_fma_f64 v[80:81], -v[62:63], v[78:79], 1.0
	v_fma_f64 v[78:79], v[78:79], v[80:81], v[78:79]
	v_div_scale_f64 v[80:81], vcc_lo, 1.0, v[60:61], 1.0
	s_delay_alu instid0(VALU_DEP_1) | instskip(NEXT) | instid1(VALU_DEP_1)
	v_mul_f64 v[82:83], v[80:81], v[78:79]
	v_fma_f64 v[62:63], -v[62:63], v[82:83], v[80:81]
	s_delay_alu instid0(VALU_DEP_1) | instskip(NEXT) | instid1(VALU_DEP_1)
	v_div_fmas_f64 v[62:63], v[62:63], v[78:79], v[82:83]
	v_div_fixup_f64 v[62:63], v[62:63], v[60:61], 1.0
	s_delay_alu instid0(VALU_DEP_1)
	v_mul_f64 v[60:61], v[76:77], v[62:63]
	v_xor_b32_e32 v63, 0x80000000, v63
.LBB28_9:
	s_or_saveexec_b32 s2, s2
	v_dual_mov_b32 v77, s6 :: v_dual_mov_b32 v74, s7
	s_xor_b32 exec_lo, exec_lo, s2
	s_cbranch_execz .LBB28_11
; %bb.10:
	s_delay_alu instid0(VALU_DEP_3) | instskip(SKIP_2) | instid1(VALU_DEP_3)
	v_div_scale_f64 v[76:77], null, v[60:61], v[60:61], v[62:63]
	v_div_scale_f64 v[82:83], vcc_lo, v[62:63], v[60:61], v[62:63]
	v_mov_b32_e32 v74, 2
	v_rcp_f64_e32 v[78:79], v[76:77]
	s_waitcnt_depctr 0xfff
	v_fma_f64 v[80:81], -v[76:77], v[78:79], 1.0
	s_delay_alu instid0(VALU_DEP_1) | instskip(NEXT) | instid1(VALU_DEP_1)
	v_fma_f64 v[78:79], v[78:79], v[80:81], v[78:79]
	v_fma_f64 v[80:81], -v[76:77], v[78:79], 1.0
	s_delay_alu instid0(VALU_DEP_1) | instskip(NEXT) | instid1(VALU_DEP_1)
	v_fma_f64 v[78:79], v[78:79], v[80:81], v[78:79]
	v_mul_f64 v[80:81], v[82:83], v[78:79]
	s_delay_alu instid0(VALU_DEP_1) | instskip(NEXT) | instid1(VALU_DEP_1)
	v_fma_f64 v[76:77], -v[76:77], v[80:81], v[82:83]
	v_div_fmas_f64 v[76:77], v[76:77], v[78:79], v[80:81]
	s_delay_alu instid0(VALU_DEP_1) | instskip(NEXT) | instid1(VALU_DEP_1)
	v_div_fixup_f64 v[76:77], v[76:77], v[60:61], v[62:63]
	v_fma_f64 v[60:61], v[62:63], v[76:77], v[60:61]
	s_delay_alu instid0(VALU_DEP_1) | instskip(NEXT) | instid1(VALU_DEP_1)
	v_div_scale_f64 v[62:63], null, v[60:61], v[60:61], 1.0
	v_rcp_f64_e32 v[78:79], v[62:63]
	s_waitcnt_depctr 0xfff
	v_fma_f64 v[80:81], -v[62:63], v[78:79], 1.0
	s_delay_alu instid0(VALU_DEP_1) | instskip(NEXT) | instid1(VALU_DEP_1)
	v_fma_f64 v[78:79], v[78:79], v[80:81], v[78:79]
	v_fma_f64 v[80:81], -v[62:63], v[78:79], 1.0
	s_delay_alu instid0(VALU_DEP_1) | instskip(SKIP_1) | instid1(VALU_DEP_1)
	v_fma_f64 v[78:79], v[78:79], v[80:81], v[78:79]
	v_div_scale_f64 v[80:81], vcc_lo, 1.0, v[60:61], 1.0
	v_mul_f64 v[82:83], v[80:81], v[78:79]
	s_delay_alu instid0(VALU_DEP_1) | instskip(NEXT) | instid1(VALU_DEP_1)
	v_fma_f64 v[62:63], -v[62:63], v[82:83], v[80:81]
	v_div_fmas_f64 v[62:63], v[62:63], v[78:79], v[82:83]
	s_delay_alu instid0(VALU_DEP_1) | instskip(NEXT) | instid1(VALU_DEP_1)
	v_div_fixup_f64 v[60:61], v[62:63], v[60:61], 1.0
	v_mul_f64 v[62:63], v[76:77], -v[60:61]
	v_mov_b32_e32 v77, 0
.LBB28_11:
	s_or_b32 exec_lo, exec_lo, s2
.LBB28_12:
	s_delay_alu instid0(SALU_CYCLE_1) | instskip(NEXT) | instid1(SALU_CYCLE_1)
	s_or_b32 exec_lo, exec_lo, s3
	s_mov_b32 s2, exec_lo
	v_cmpx_ne_u32_e64 v73, v68
	s_xor_b32 s2, exec_lo, s2
	s_cbranch_execz .LBB28_18
; %bb.13:
	s_mov_b32 s3, exec_lo
	v_cmpx_eq_u32_e32 0, v73
	s_cbranch_execz .LBB28_17
; %bb.14:
	v_cmp_ne_u32_e32 vcc_lo, 0, v68
	s_xor_b32 s6, s4, -1
	s_delay_alu instid0(SALU_CYCLE_1) | instskip(NEXT) | instid1(SALU_CYCLE_1)
	s_and_b32 s7, s6, vcc_lo
	s_and_saveexec_b32 s6, s7
	s_cbranch_execz .LBB28_16
; %bb.15:
	v_ashrrev_i32_e32 v69, 31, v68
	s_delay_alu instid0(VALU_DEP_1) | instskip(NEXT) | instid1(VALU_DEP_1)
	v_lshlrev_b64 v[78:79], 2, v[68:69]
	v_add_co_u32 v78, vcc_lo, v66, v78
	s_delay_alu instid0(VALU_DEP_2)
	v_add_co_ci_u32_e32 v79, vcc_lo, v67, v79, vcc_lo
	s_clause 0x1
	flat_load_b32 v69, v[78:79]
	flat_load_b32 v73, v[66:67]
	s_waitcnt vmcnt(1) lgkmcnt(1)
	flat_store_b32 v[66:67], v69
	s_waitcnt vmcnt(0) lgkmcnt(1)
	flat_store_b32 v[78:79], v73
.LBB28_16:
	s_or_b32 exec_lo, exec_lo, s6
	v_mov_b32_e32 v73, v68
.LBB28_17:
	s_or_b32 exec_lo, exec_lo, s3
.LBB28_18:
	s_or_saveexec_b32 s2, s2
	s_delay_alu instid0(VALU_DEP_1)
	v_mov_b32_e32 v76, v73
	s_xor_b32 exec_lo, exec_lo, s2
	s_cbranch_execz .LBB28_20
; %bb.19:
	v_mov_b32_e32 v76, 0
	ds_store_2addr_b64 v70, v[44:45], v[46:47] offset0:2 offset1:3
	ds_store_2addr_b64 v70, v[56:57], v[58:59] offset0:4 offset1:5
	;; [unrolled: 1-line block ×14, first 2 shown]
.LBB28_20:
	s_or_b32 exec_lo, exec_lo, s2
	s_delay_alu instid0(SALU_CYCLE_1)
	s_mov_b32 s2, exec_lo
	s_waitcnt lgkmcnt(0)
	s_waitcnt_vscnt null, 0x0
	s_barrier
	buffer_gl0_inv
	v_cmpx_lt_i32_e32 0, v76
	s_cbranch_execz .LBB28_22
; %bb.21:
	v_mul_f64 v[68:69], v[60:61], v[50:51]
	v_mul_f64 v[50:51], v[62:63], v[50:51]
	ds_load_2addr_b64 v[78:81], v70 offset0:2 offset1:3
	ds_load_2addr_b64 v[82:85], v70 offset0:4 offset1:5
	;; [unrolled: 1-line block ×14, first 2 shown]
	v_fma_f64 v[62:63], v[62:63], v[48:49], v[68:69]
	v_fma_f64 v[48:49], v[60:61], v[48:49], -v[50:51]
	s_waitcnt lgkmcnt(13)
	s_delay_alu instid0(VALU_DEP_2)
	v_mul_f64 v[50:51], v[80:81], v[62:63]
	v_mul_f64 v[60:61], v[78:79], v[62:63]
	s_waitcnt lgkmcnt(12)
	v_mul_f64 v[68:69], v[84:85], v[62:63]
	v_mul_f64 v[134:135], v[82:83], v[62:63]
	s_waitcnt lgkmcnt(11)
	;; [unrolled: 3-line block ×13, first 2 shown]
	v_mul_f64 v[180:181], v[132:133], v[62:63]
	v_mul_f64 v[182:183], v[130:131], v[62:63]
	v_fma_f64 v[50:51], v[78:79], v[48:49], -v[50:51]
	v_fma_f64 v[60:61], v[80:81], v[48:49], v[60:61]
	v_fma_f64 v[68:69], v[82:83], v[48:49], -v[68:69]
	v_fma_f64 v[78:79], v[84:85], v[48:49], v[134:135]
	;; [unrolled: 2-line block ×14, first 2 shown]
	v_add_f64 v[44:45], v[44:45], -v[50:51]
	v_add_f64 v[46:47], v[46:47], -v[60:61]
	;; [unrolled: 1-line block ×28, first 2 shown]
	v_dual_mov_b32 v50, v62 :: v_dual_mov_b32 v51, v63
.LBB28_22:
	s_or_b32 exec_lo, exec_lo, s2
	v_lshl_add_u32 v60, v76, 4, v70
	s_barrier
	buffer_gl0_inv
	v_mov_b32_e32 v68, 1
	ds_store_2addr_b64 v60, v[44:45], v[46:47] offset1:1
	s_waitcnt lgkmcnt(0)
	s_barrier
	buffer_gl0_inv
	ds_load_2addr_b64 v[60:63], v70 offset0:2 offset1:3
	s_cmp_lt_i32 s5, 3
	s_cbranch_scc1 .LBB28_25
; %bb.23:
	v_add3_u32 v69, v75, 0, 32
	v_mov_b32_e32 v68, 1
	s_mov_b32 s6, 2
	s_set_inst_prefetch_distance 0x1
	.p2align	6
.LBB28_24:                              ; =>This Inner Loop Header: Depth=1
	ds_load_2addr_b64 v[78:81], v69 offset1:1
	s_waitcnt lgkmcnt(1)
	v_cmp_gt_f64_e32 vcc_lo, 0, v[60:61]
	v_xor_b32_e32 v82, 0x80000000, v61
	v_cmp_gt_f64_e64 s2, 0, v[62:63]
	v_xor_b32_e32 v84, 0x80000000, v63
	v_add_nc_u32_e32 v69, 16, v69
	s_waitcnt lgkmcnt(0)
	v_cmp_gt_f64_e64 s3, 0, v[78:79]
	v_mov_b32_e32 v86, v78
	v_dual_mov_b32 v88, v80 :: v_dual_cndmask_b32 v83, v61, v82
	v_xor_b32_e32 v82, 0x80000000, v79
	v_cndmask_b32_e64 v85, v63, v84, s2
	v_xor_b32_e32 v84, 0x80000000, v81
	s_delay_alu instid0(VALU_DEP_3) | instskip(SKIP_2) | instid1(VALU_DEP_2)
	v_cndmask_b32_e64 v87, v79, v82, s3
	v_cmp_gt_f64_e64 s3, 0, v[80:81]
	v_cndmask_b32_e32 v82, v60, v60, vcc_lo
	v_cndmask_b32_e64 v89, v81, v84, s3
	v_cndmask_b32_e64 v84, v62, v62, s2
	s_delay_alu instid0(VALU_DEP_2) | instskip(NEXT) | instid1(VALU_DEP_2)
	v_add_f64 v[86:87], v[86:87], v[88:89]
	v_add_f64 v[82:83], v[82:83], v[84:85]
	s_delay_alu instid0(VALU_DEP_1)
	v_cmp_lt_f64_e32 vcc_lo, v[82:83], v[86:87]
	v_cndmask_b32_e32 v63, v63, v81, vcc_lo
	v_dual_cndmask_b32 v61, v61, v79 :: v_dual_cndmask_b32 v60, v60, v78
	v_cndmask_b32_e32 v62, v62, v80, vcc_lo
	v_cndmask_b32_e64 v68, v68, s6, vcc_lo
	s_add_i32 s6, s6, 1
	s_delay_alu instid0(SALU_CYCLE_1)
	s_cmp_lg_u32 s5, s6
	s_cbranch_scc1 .LBB28_24
.LBB28_25:
	s_set_inst_prefetch_distance 0x2
	s_waitcnt lgkmcnt(0)
	v_cmp_neq_f64_e32 vcc_lo, 0, v[60:61]
	v_cmp_neq_f64_e64 s2, 0, v[62:63]
	s_delay_alu instid0(VALU_DEP_1) | instskip(NEXT) | instid1(SALU_CYCLE_1)
	s_or_b32 s2, vcc_lo, s2
	s_and_saveexec_b32 s3, s2
	s_cbranch_execz .LBB28_31
; %bb.26:
	v_cmp_gt_f64_e32 vcc_lo, 0, v[60:61]
	v_cmp_gt_f64_e64 s2, 0, v[62:63]
	v_xor_b32_e32 v69, 0x80000000, v61
	v_xor_b32_e32 v74, 0x80000000, v63
	s_delay_alu instid0(VALU_DEP_2) | instskip(NEXT) | instid1(VALU_DEP_2)
	v_dual_cndmask_b32 v79, v61, v69 :: v_dual_cndmask_b32 v78, v60, v60
	v_cndmask_b32_e64 v81, v63, v74, s2
	v_cndmask_b32_e64 v80, v62, v62, s2
	s_mov_b32 s2, exec_lo
	s_delay_alu instid0(VALU_DEP_1)
	v_cmpx_ngt_f64_e32 v[78:79], v[80:81]
	s_xor_b32 s2, exec_lo, s2
	s_cbranch_execz .LBB28_28
; %bb.27:
	v_div_scale_f64 v[78:79], null, v[62:63], v[62:63], v[60:61]
	v_div_scale_f64 v[84:85], vcc_lo, v[60:61], v[62:63], v[60:61]
	s_delay_alu instid0(VALU_DEP_2) | instskip(SKIP_2) | instid1(VALU_DEP_1)
	v_rcp_f64_e32 v[80:81], v[78:79]
	s_waitcnt_depctr 0xfff
	v_fma_f64 v[82:83], -v[78:79], v[80:81], 1.0
	v_fma_f64 v[80:81], v[80:81], v[82:83], v[80:81]
	s_delay_alu instid0(VALU_DEP_1) | instskip(NEXT) | instid1(VALU_DEP_1)
	v_fma_f64 v[82:83], -v[78:79], v[80:81], 1.0
	v_fma_f64 v[80:81], v[80:81], v[82:83], v[80:81]
	s_delay_alu instid0(VALU_DEP_1) | instskip(NEXT) | instid1(VALU_DEP_1)
	v_mul_f64 v[82:83], v[84:85], v[80:81]
	v_fma_f64 v[78:79], -v[78:79], v[82:83], v[84:85]
	s_delay_alu instid0(VALU_DEP_1) | instskip(NEXT) | instid1(VALU_DEP_1)
	v_div_fmas_f64 v[78:79], v[78:79], v[80:81], v[82:83]
	v_div_fixup_f64 v[78:79], v[78:79], v[62:63], v[60:61]
	s_delay_alu instid0(VALU_DEP_1) | instskip(NEXT) | instid1(VALU_DEP_1)
	v_fma_f64 v[60:61], v[60:61], v[78:79], v[62:63]
	v_div_scale_f64 v[62:63], null, v[60:61], v[60:61], 1.0
	s_delay_alu instid0(VALU_DEP_1) | instskip(SKIP_2) | instid1(VALU_DEP_1)
	v_rcp_f64_e32 v[80:81], v[62:63]
	s_waitcnt_depctr 0xfff
	v_fma_f64 v[82:83], -v[62:63], v[80:81], 1.0
	v_fma_f64 v[80:81], v[80:81], v[82:83], v[80:81]
	s_delay_alu instid0(VALU_DEP_1) | instskip(NEXT) | instid1(VALU_DEP_1)
	v_fma_f64 v[82:83], -v[62:63], v[80:81], 1.0
	v_fma_f64 v[80:81], v[80:81], v[82:83], v[80:81]
	v_div_scale_f64 v[82:83], vcc_lo, 1.0, v[60:61], 1.0
	s_delay_alu instid0(VALU_DEP_1) | instskip(NEXT) | instid1(VALU_DEP_1)
	v_mul_f64 v[84:85], v[82:83], v[80:81]
	v_fma_f64 v[62:63], -v[62:63], v[84:85], v[82:83]
	s_delay_alu instid0(VALU_DEP_1) | instskip(NEXT) | instid1(VALU_DEP_1)
	v_div_fmas_f64 v[62:63], v[62:63], v[80:81], v[84:85]
	v_div_fixup_f64 v[62:63], v[62:63], v[60:61], 1.0
	s_delay_alu instid0(VALU_DEP_1)
	v_mul_f64 v[60:61], v[78:79], v[62:63]
	v_xor_b32_e32 v63, 0x80000000, v63
.LBB28_28:
	s_and_not1_saveexec_b32 s2, s2
	s_cbranch_execz .LBB28_30
; %bb.29:
	s_delay_alu instid0(VALU_DEP_1) | instskip(SKIP_1) | instid1(VALU_DEP_2)
	v_div_scale_f64 v[78:79], null, v[60:61], v[60:61], v[62:63]
	v_div_scale_f64 v[84:85], vcc_lo, v[62:63], v[60:61], v[62:63]
	v_rcp_f64_e32 v[80:81], v[78:79]
	s_waitcnt_depctr 0xfff
	v_fma_f64 v[82:83], -v[78:79], v[80:81], 1.0
	s_delay_alu instid0(VALU_DEP_1) | instskip(NEXT) | instid1(VALU_DEP_1)
	v_fma_f64 v[80:81], v[80:81], v[82:83], v[80:81]
	v_fma_f64 v[82:83], -v[78:79], v[80:81], 1.0
	s_delay_alu instid0(VALU_DEP_1) | instskip(NEXT) | instid1(VALU_DEP_1)
	v_fma_f64 v[80:81], v[80:81], v[82:83], v[80:81]
	v_mul_f64 v[82:83], v[84:85], v[80:81]
	s_delay_alu instid0(VALU_DEP_1) | instskip(NEXT) | instid1(VALU_DEP_1)
	v_fma_f64 v[78:79], -v[78:79], v[82:83], v[84:85]
	v_div_fmas_f64 v[78:79], v[78:79], v[80:81], v[82:83]
	s_delay_alu instid0(VALU_DEP_1) | instskip(NEXT) | instid1(VALU_DEP_1)
	v_div_fixup_f64 v[78:79], v[78:79], v[60:61], v[62:63]
	v_fma_f64 v[60:61], v[62:63], v[78:79], v[60:61]
	s_delay_alu instid0(VALU_DEP_1) | instskip(NEXT) | instid1(VALU_DEP_1)
	v_div_scale_f64 v[62:63], null, v[60:61], v[60:61], 1.0
	v_rcp_f64_e32 v[80:81], v[62:63]
	s_waitcnt_depctr 0xfff
	v_fma_f64 v[82:83], -v[62:63], v[80:81], 1.0
	s_delay_alu instid0(VALU_DEP_1) | instskip(NEXT) | instid1(VALU_DEP_1)
	v_fma_f64 v[80:81], v[80:81], v[82:83], v[80:81]
	v_fma_f64 v[82:83], -v[62:63], v[80:81], 1.0
	s_delay_alu instid0(VALU_DEP_1) | instskip(SKIP_1) | instid1(VALU_DEP_1)
	v_fma_f64 v[80:81], v[80:81], v[82:83], v[80:81]
	v_div_scale_f64 v[82:83], vcc_lo, 1.0, v[60:61], 1.0
	v_mul_f64 v[84:85], v[82:83], v[80:81]
	s_delay_alu instid0(VALU_DEP_1) | instskip(NEXT) | instid1(VALU_DEP_1)
	v_fma_f64 v[62:63], -v[62:63], v[84:85], v[82:83]
	v_div_fmas_f64 v[62:63], v[62:63], v[80:81], v[84:85]
	s_delay_alu instid0(VALU_DEP_1) | instskip(NEXT) | instid1(VALU_DEP_1)
	v_div_fixup_f64 v[60:61], v[62:63], v[60:61], 1.0
	v_mul_f64 v[62:63], v[78:79], -v[60:61]
.LBB28_30:
	s_or_b32 exec_lo, exec_lo, s2
	v_mov_b32_e32 v74, v77
.LBB28_31:
	s_or_b32 exec_lo, exec_lo, s3
	s_delay_alu instid0(SALU_CYCLE_1)
	s_mov_b32 s2, exec_lo
	v_cmpx_ne_u32_e64 v76, v68
	s_xor_b32 s2, exec_lo, s2
	s_cbranch_execz .LBB28_37
; %bb.32:
	s_mov_b32 s3, exec_lo
	v_cmpx_eq_u32_e32 1, v76
	s_cbranch_execz .LBB28_36
; %bb.33:
	v_cmp_ne_u32_e32 vcc_lo, 1, v68
	s_xor_b32 s6, s4, -1
	s_delay_alu instid0(SALU_CYCLE_1) | instskip(NEXT) | instid1(SALU_CYCLE_1)
	s_and_b32 s7, s6, vcc_lo
	s_and_saveexec_b32 s6, s7
	s_cbranch_execz .LBB28_35
; %bb.34:
	v_ashrrev_i32_e32 v69, 31, v68
	s_delay_alu instid0(VALU_DEP_1) | instskip(NEXT) | instid1(VALU_DEP_1)
	v_lshlrev_b64 v[76:77], 2, v[68:69]
	v_add_co_u32 v76, vcc_lo, v66, v76
	s_delay_alu instid0(VALU_DEP_2)
	v_add_co_ci_u32_e32 v77, vcc_lo, v67, v77, vcc_lo
	s_clause 0x1
	flat_load_b32 v69, v[76:77]
	flat_load_b32 v73, v[66:67] offset:4
	s_waitcnt vmcnt(1) lgkmcnt(1)
	flat_store_b32 v[66:67], v69 offset:4
	s_waitcnt vmcnt(0) lgkmcnt(1)
	flat_store_b32 v[76:77], v73
.LBB28_35:
	s_or_b32 exec_lo, exec_lo, s6
	v_mov_b32_e32 v76, v68
	v_mov_b32_e32 v73, v68
.LBB28_36:
	s_or_b32 exec_lo, exec_lo, s3
.LBB28_37:
	s_and_not1_saveexec_b32 s2, s2
	s_cbranch_execz .LBB28_39
; %bb.38:
	v_mov_b32_e32 v76, 1
	ds_store_2addr_b64 v70, v[56:57], v[58:59] offset0:4 offset1:5
	ds_store_2addr_b64 v70, v[40:41], v[42:43] offset0:6 offset1:7
	;; [unrolled: 1-line block ×13, first 2 shown]
.LBB28_39:
	s_or_b32 exec_lo, exec_lo, s2
	s_delay_alu instid0(SALU_CYCLE_1)
	s_mov_b32 s2, exec_lo
	s_waitcnt lgkmcnt(0)
	s_waitcnt_vscnt null, 0x0
	s_barrier
	buffer_gl0_inv
	v_cmpx_lt_i32_e32 1, v76
	s_cbranch_execz .LBB28_41
; %bb.40:
	v_mul_f64 v[68:69], v[60:61], v[46:47]
	v_mul_f64 v[46:47], v[62:63], v[46:47]
	ds_load_2addr_b64 v[77:80], v70 offset0:4 offset1:5
	ds_load_2addr_b64 v[81:84], v70 offset0:6 offset1:7
	;; [unrolled: 1-line block ×13, first 2 shown]
	v_fma_f64 v[62:63], v[62:63], v[44:45], v[68:69]
	v_fma_f64 v[44:45], v[60:61], v[44:45], -v[46:47]
	s_waitcnt lgkmcnt(12)
	s_delay_alu instid0(VALU_DEP_2)
	v_mul_f64 v[46:47], v[79:80], v[62:63]
	v_mul_f64 v[60:61], v[77:78], v[62:63]
	s_waitcnt lgkmcnt(11)
	v_mul_f64 v[68:69], v[83:84], v[62:63]
	v_mul_f64 v[129:130], v[81:82], v[62:63]
	s_waitcnt lgkmcnt(10)
	;; [unrolled: 3-line block ×12, first 2 shown]
	v_mul_f64 v[171:172], v[127:128], v[62:63]
	v_mul_f64 v[173:174], v[125:126], v[62:63]
	v_fma_f64 v[46:47], v[77:78], v[44:45], -v[46:47]
	v_fma_f64 v[60:61], v[79:80], v[44:45], v[60:61]
	v_fma_f64 v[68:69], v[81:82], v[44:45], -v[68:69]
	v_fma_f64 v[77:78], v[83:84], v[44:45], v[129:130]
	;; [unrolled: 2-line block ×13, first 2 shown]
	v_add_f64 v[56:57], v[56:57], -v[46:47]
	v_add_f64 v[58:59], v[58:59], -v[60:61]
	v_add_f64 v[40:41], v[40:41], -v[68:69]
	v_add_f64 v[42:43], v[42:43], -v[77:78]
	v_add_f64 v[52:53], v[52:53], -v[79:80]
	v_add_f64 v[54:55], v[54:55], -v[81:82]
	v_add_f64 v[36:37], v[36:37], -v[83:84]
	v_add_f64 v[38:39], v[38:39], -v[85:86]
	v_add_f64 v[32:33], v[32:33], -v[87:88]
	v_add_f64 v[34:35], v[34:35], -v[89:90]
	v_add_f64 v[28:29], v[28:29], -v[91:92]
	v_add_f64 v[30:31], v[30:31], -v[93:94]
	v_add_f64 v[24:25], v[24:25], -v[95:96]
	v_add_f64 v[26:27], v[26:27], -v[97:98]
	v_add_f64 v[20:21], v[20:21], -v[99:100]
	v_add_f64 v[22:23], v[22:23], -v[101:102]
	v_add_f64 v[16:17], v[16:17], -v[103:104]
	v_add_f64 v[18:19], v[18:19], -v[105:106]
	v_add_f64 v[12:13], v[12:13], -v[107:108]
	v_add_f64 v[14:15], v[14:15], -v[109:110]
	v_add_f64 v[8:9], v[8:9], -v[111:112]
	v_add_f64 v[10:11], v[10:11], -v[113:114]
	v_add_f64 v[4:5], v[4:5], -v[115:116]
	v_add_f64 v[6:7], v[6:7], -v[117:118]
	v_add_f64 v[0:1], v[0:1], -v[119:120]
	v_add_f64 v[2:3], v[2:3], -v[121:122]
	v_dual_mov_b32 v46, v62 :: v_dual_mov_b32 v47, v63
.LBB28_41:
	s_or_b32 exec_lo, exec_lo, s2
	v_lshl_add_u32 v60, v76, 4, v70
	s_barrier
	buffer_gl0_inv
	v_mov_b32_e32 v68, 2
	ds_store_2addr_b64 v60, v[56:57], v[58:59] offset1:1
	s_waitcnt lgkmcnt(0)
	s_barrier
	buffer_gl0_inv
	ds_load_2addr_b64 v[60:63], v70 offset0:4 offset1:5
	s_cmp_lt_i32 s5, 4
	s_cbranch_scc1 .LBB28_44
; %bb.42:
	v_add3_u32 v69, v75, 0, 48
	v_mov_b32_e32 v68, 2
	s_mov_b32 s6, 3
	s_set_inst_prefetch_distance 0x1
	.p2align	6
.LBB28_43:                              ; =>This Inner Loop Header: Depth=1
	ds_load_2addr_b64 v[77:80], v69 offset1:1
	s_waitcnt lgkmcnt(1)
	v_cmp_gt_f64_e32 vcc_lo, 0, v[60:61]
	v_xor_b32_e32 v81, 0x80000000, v61
	v_cmp_gt_f64_e64 s2, 0, v[62:63]
	v_xor_b32_e32 v83, 0x80000000, v63
	v_add_nc_u32_e32 v69, 16, v69
	s_waitcnt lgkmcnt(0)
	v_cmp_gt_f64_e64 s3, 0, v[77:78]
	v_mov_b32_e32 v85, v77
	v_dual_mov_b32 v87, v79 :: v_dual_cndmask_b32 v82, v61, v81
	v_xor_b32_e32 v81, 0x80000000, v78
	v_cndmask_b32_e64 v84, v63, v83, s2
	v_xor_b32_e32 v83, 0x80000000, v80
	s_delay_alu instid0(VALU_DEP_3) | instskip(SKIP_2) | instid1(VALU_DEP_2)
	v_cndmask_b32_e64 v86, v78, v81, s3
	v_cmp_gt_f64_e64 s3, 0, v[79:80]
	v_cndmask_b32_e32 v81, v60, v60, vcc_lo
	v_cndmask_b32_e64 v88, v80, v83, s3
	v_cndmask_b32_e64 v83, v62, v62, s2
	s_delay_alu instid0(VALU_DEP_2) | instskip(NEXT) | instid1(VALU_DEP_2)
	v_add_f64 v[85:86], v[85:86], v[87:88]
	v_add_f64 v[81:82], v[81:82], v[83:84]
	s_delay_alu instid0(VALU_DEP_1) | instskip(SKIP_4) | instid1(SALU_CYCLE_1)
	v_cmp_lt_f64_e32 vcc_lo, v[81:82], v[85:86]
	v_dual_cndmask_b32 v62, v62, v79 :: v_dual_cndmask_b32 v61, v61, v78
	v_dual_cndmask_b32 v60, v60, v77 :: v_dual_cndmask_b32 v63, v63, v80
	v_cndmask_b32_e64 v68, v68, s6, vcc_lo
	s_add_i32 s6, s6, 1
	s_cmp_lg_u32 s5, s6
	s_cbranch_scc1 .LBB28_43
.LBB28_44:
	s_set_inst_prefetch_distance 0x2
	s_waitcnt lgkmcnt(0)
	v_cmp_eq_f64_e32 vcc_lo, 0, v[60:61]
	v_cmp_eq_f64_e64 s2, 0, v[62:63]
	s_delay_alu instid0(VALU_DEP_1) | instskip(NEXT) | instid1(SALU_CYCLE_1)
	s_and_b32 s2, vcc_lo, s2
	s_and_saveexec_b32 s3, s2
	s_delay_alu instid0(SALU_CYCLE_1)
	s_xor_b32 s2, exec_lo, s3
; %bb.45:
	v_cmp_ne_u32_e32 vcc_lo, 0, v74
	v_cndmask_b32_e32 v74, 3, v74, vcc_lo
; %bb.46:
	s_and_not1_saveexec_b32 s3, s2
	s_cbranch_execz .LBB28_52
; %bb.47:
	v_cmp_gt_f64_e32 vcc_lo, 0, v[60:61]
	v_cmp_gt_f64_e64 s2, 0, v[62:63]
	v_xor_b32_e32 v69, 0x80000000, v61
	v_xor_b32_e32 v77, 0x80000000, v63
	s_delay_alu instid0(VALU_DEP_2) | instskip(NEXT) | instid1(VALU_DEP_2)
	v_cndmask_b32_e32 v78, v61, v69, vcc_lo
	v_cndmask_b32_e64 v80, v63, v77, s2
	v_cndmask_b32_e32 v77, v60, v60, vcc_lo
	v_cndmask_b32_e64 v79, v62, v62, s2
	s_mov_b32 s2, exec_lo
	s_delay_alu instid0(VALU_DEP_1)
	v_cmpx_ngt_f64_e32 v[77:78], v[79:80]
	s_xor_b32 s2, exec_lo, s2
	s_cbranch_execz .LBB28_49
; %bb.48:
	v_div_scale_f64 v[77:78], null, v[62:63], v[62:63], v[60:61]
	v_div_scale_f64 v[83:84], vcc_lo, v[60:61], v[62:63], v[60:61]
	s_delay_alu instid0(VALU_DEP_2) | instskip(SKIP_2) | instid1(VALU_DEP_1)
	v_rcp_f64_e32 v[79:80], v[77:78]
	s_waitcnt_depctr 0xfff
	v_fma_f64 v[81:82], -v[77:78], v[79:80], 1.0
	v_fma_f64 v[79:80], v[79:80], v[81:82], v[79:80]
	s_delay_alu instid0(VALU_DEP_1) | instskip(NEXT) | instid1(VALU_DEP_1)
	v_fma_f64 v[81:82], -v[77:78], v[79:80], 1.0
	v_fma_f64 v[79:80], v[79:80], v[81:82], v[79:80]
	s_delay_alu instid0(VALU_DEP_1) | instskip(NEXT) | instid1(VALU_DEP_1)
	v_mul_f64 v[81:82], v[83:84], v[79:80]
	v_fma_f64 v[77:78], -v[77:78], v[81:82], v[83:84]
	s_delay_alu instid0(VALU_DEP_1) | instskip(NEXT) | instid1(VALU_DEP_1)
	v_div_fmas_f64 v[77:78], v[77:78], v[79:80], v[81:82]
	v_div_fixup_f64 v[77:78], v[77:78], v[62:63], v[60:61]
	s_delay_alu instid0(VALU_DEP_1) | instskip(NEXT) | instid1(VALU_DEP_1)
	v_fma_f64 v[60:61], v[60:61], v[77:78], v[62:63]
	v_div_scale_f64 v[62:63], null, v[60:61], v[60:61], 1.0
	s_delay_alu instid0(VALU_DEP_1) | instskip(SKIP_2) | instid1(VALU_DEP_1)
	v_rcp_f64_e32 v[79:80], v[62:63]
	s_waitcnt_depctr 0xfff
	v_fma_f64 v[81:82], -v[62:63], v[79:80], 1.0
	v_fma_f64 v[79:80], v[79:80], v[81:82], v[79:80]
	s_delay_alu instid0(VALU_DEP_1) | instskip(NEXT) | instid1(VALU_DEP_1)
	v_fma_f64 v[81:82], -v[62:63], v[79:80], 1.0
	v_fma_f64 v[79:80], v[79:80], v[81:82], v[79:80]
	v_div_scale_f64 v[81:82], vcc_lo, 1.0, v[60:61], 1.0
	s_delay_alu instid0(VALU_DEP_1) | instskip(NEXT) | instid1(VALU_DEP_1)
	v_mul_f64 v[83:84], v[81:82], v[79:80]
	v_fma_f64 v[62:63], -v[62:63], v[83:84], v[81:82]
	s_delay_alu instid0(VALU_DEP_1) | instskip(NEXT) | instid1(VALU_DEP_1)
	v_div_fmas_f64 v[62:63], v[62:63], v[79:80], v[83:84]
	v_div_fixup_f64 v[62:63], v[62:63], v[60:61], 1.0
	s_delay_alu instid0(VALU_DEP_1)
	v_mul_f64 v[60:61], v[77:78], v[62:63]
	v_xor_b32_e32 v63, 0x80000000, v63
.LBB28_49:
	s_and_not1_saveexec_b32 s2, s2
	s_cbranch_execz .LBB28_51
; %bb.50:
	s_delay_alu instid0(VALU_DEP_1) | instskip(SKIP_1) | instid1(VALU_DEP_2)
	v_div_scale_f64 v[77:78], null, v[60:61], v[60:61], v[62:63]
	v_div_scale_f64 v[83:84], vcc_lo, v[62:63], v[60:61], v[62:63]
	v_rcp_f64_e32 v[79:80], v[77:78]
	s_waitcnt_depctr 0xfff
	v_fma_f64 v[81:82], -v[77:78], v[79:80], 1.0
	s_delay_alu instid0(VALU_DEP_1) | instskip(NEXT) | instid1(VALU_DEP_1)
	v_fma_f64 v[79:80], v[79:80], v[81:82], v[79:80]
	v_fma_f64 v[81:82], -v[77:78], v[79:80], 1.0
	s_delay_alu instid0(VALU_DEP_1) | instskip(NEXT) | instid1(VALU_DEP_1)
	v_fma_f64 v[79:80], v[79:80], v[81:82], v[79:80]
	v_mul_f64 v[81:82], v[83:84], v[79:80]
	s_delay_alu instid0(VALU_DEP_1) | instskip(NEXT) | instid1(VALU_DEP_1)
	v_fma_f64 v[77:78], -v[77:78], v[81:82], v[83:84]
	v_div_fmas_f64 v[77:78], v[77:78], v[79:80], v[81:82]
	s_delay_alu instid0(VALU_DEP_1) | instskip(NEXT) | instid1(VALU_DEP_1)
	v_div_fixup_f64 v[77:78], v[77:78], v[60:61], v[62:63]
	v_fma_f64 v[60:61], v[62:63], v[77:78], v[60:61]
	s_delay_alu instid0(VALU_DEP_1) | instskip(NEXT) | instid1(VALU_DEP_1)
	v_div_scale_f64 v[62:63], null, v[60:61], v[60:61], 1.0
	v_rcp_f64_e32 v[79:80], v[62:63]
	s_waitcnt_depctr 0xfff
	v_fma_f64 v[81:82], -v[62:63], v[79:80], 1.0
	s_delay_alu instid0(VALU_DEP_1) | instskip(NEXT) | instid1(VALU_DEP_1)
	v_fma_f64 v[79:80], v[79:80], v[81:82], v[79:80]
	v_fma_f64 v[81:82], -v[62:63], v[79:80], 1.0
	s_delay_alu instid0(VALU_DEP_1) | instskip(SKIP_1) | instid1(VALU_DEP_1)
	v_fma_f64 v[79:80], v[79:80], v[81:82], v[79:80]
	v_div_scale_f64 v[81:82], vcc_lo, 1.0, v[60:61], 1.0
	v_mul_f64 v[83:84], v[81:82], v[79:80]
	s_delay_alu instid0(VALU_DEP_1) | instskip(NEXT) | instid1(VALU_DEP_1)
	v_fma_f64 v[62:63], -v[62:63], v[83:84], v[81:82]
	v_div_fmas_f64 v[62:63], v[62:63], v[79:80], v[83:84]
	s_delay_alu instid0(VALU_DEP_1) | instskip(NEXT) | instid1(VALU_DEP_1)
	v_div_fixup_f64 v[60:61], v[62:63], v[60:61], 1.0
	v_mul_f64 v[62:63], v[77:78], -v[60:61]
.LBB28_51:
	s_or_b32 exec_lo, exec_lo, s2
.LBB28_52:
	s_delay_alu instid0(SALU_CYCLE_1) | instskip(NEXT) | instid1(SALU_CYCLE_1)
	s_or_b32 exec_lo, exec_lo, s3
	s_mov_b32 s2, exec_lo
	v_cmpx_ne_u32_e64 v76, v68
	s_xor_b32 s2, exec_lo, s2
	s_cbranch_execz .LBB28_58
; %bb.53:
	s_mov_b32 s3, exec_lo
	v_cmpx_eq_u32_e32 2, v76
	s_cbranch_execz .LBB28_57
; %bb.54:
	v_cmp_ne_u32_e32 vcc_lo, 2, v68
	s_xor_b32 s6, s4, -1
	s_delay_alu instid0(SALU_CYCLE_1) | instskip(NEXT) | instid1(SALU_CYCLE_1)
	s_and_b32 s7, s6, vcc_lo
	s_and_saveexec_b32 s6, s7
	s_cbranch_execz .LBB28_56
; %bb.55:
	v_ashrrev_i32_e32 v69, 31, v68
	s_delay_alu instid0(VALU_DEP_1) | instskip(NEXT) | instid1(VALU_DEP_1)
	v_lshlrev_b64 v[76:77], 2, v[68:69]
	v_add_co_u32 v76, vcc_lo, v66, v76
	s_delay_alu instid0(VALU_DEP_2)
	v_add_co_ci_u32_e32 v77, vcc_lo, v67, v77, vcc_lo
	s_clause 0x1
	flat_load_b32 v69, v[76:77]
	flat_load_b32 v73, v[66:67] offset:8
	s_waitcnt vmcnt(1) lgkmcnt(1)
	flat_store_b32 v[66:67], v69 offset:8
	s_waitcnt vmcnt(0) lgkmcnt(1)
	flat_store_b32 v[76:77], v73
.LBB28_56:
	s_or_b32 exec_lo, exec_lo, s6
	v_mov_b32_e32 v76, v68
	v_mov_b32_e32 v73, v68
.LBB28_57:
	s_or_b32 exec_lo, exec_lo, s3
.LBB28_58:
	s_and_not1_saveexec_b32 s2, s2
	s_cbranch_execz .LBB28_60
; %bb.59:
	v_mov_b32_e32 v76, 2
	ds_store_2addr_b64 v70, v[40:41], v[42:43] offset0:6 offset1:7
	ds_store_2addr_b64 v70, v[52:53], v[54:55] offset0:8 offset1:9
	;; [unrolled: 1-line block ×12, first 2 shown]
.LBB28_60:
	s_or_b32 exec_lo, exec_lo, s2
	s_delay_alu instid0(SALU_CYCLE_1)
	s_mov_b32 s2, exec_lo
	s_waitcnt lgkmcnt(0)
	s_waitcnt_vscnt null, 0x0
	s_barrier
	buffer_gl0_inv
	v_cmpx_lt_i32_e32 2, v76
	s_cbranch_execz .LBB28_62
; %bb.61:
	v_mul_f64 v[68:69], v[60:61], v[58:59]
	v_mul_f64 v[58:59], v[62:63], v[58:59]
	ds_load_2addr_b64 v[77:80], v70 offset0:6 offset1:7
	ds_load_2addr_b64 v[81:84], v70 offset0:8 offset1:9
	ds_load_2addr_b64 v[85:88], v70 offset0:10 offset1:11
	ds_load_2addr_b64 v[89:92], v70 offset0:12 offset1:13
	ds_load_2addr_b64 v[93:96], v70 offset0:14 offset1:15
	ds_load_2addr_b64 v[97:100], v70 offset0:16 offset1:17
	ds_load_2addr_b64 v[101:104], v70 offset0:18 offset1:19
	ds_load_2addr_b64 v[105:108], v70 offset0:20 offset1:21
	ds_load_2addr_b64 v[109:112], v70 offset0:22 offset1:23
	ds_load_2addr_b64 v[113:116], v70 offset0:24 offset1:25
	ds_load_2addr_b64 v[117:120], v70 offset0:26 offset1:27
	ds_load_2addr_b64 v[121:124], v70 offset0:28 offset1:29
	v_fma_f64 v[62:63], v[62:63], v[56:57], v[68:69]
	v_fma_f64 v[56:57], v[60:61], v[56:57], -v[58:59]
	s_waitcnt lgkmcnt(11)
	s_delay_alu instid0(VALU_DEP_2)
	v_mul_f64 v[58:59], v[79:80], v[62:63]
	v_mul_f64 v[60:61], v[77:78], v[62:63]
	s_waitcnt lgkmcnt(10)
	v_mul_f64 v[68:69], v[83:84], v[62:63]
	v_mul_f64 v[125:126], v[81:82], v[62:63]
	s_waitcnt lgkmcnt(9)
	;; [unrolled: 3-line block ×11, first 2 shown]
	v_mul_f64 v[163:164], v[123:124], v[62:63]
	v_mul_f64 v[165:166], v[121:122], v[62:63]
	v_fma_f64 v[58:59], v[77:78], v[56:57], -v[58:59]
	v_fma_f64 v[60:61], v[79:80], v[56:57], v[60:61]
	v_fma_f64 v[68:69], v[81:82], v[56:57], -v[68:69]
	v_fma_f64 v[77:78], v[83:84], v[56:57], v[125:126]
	;; [unrolled: 2-line block ×12, first 2 shown]
	v_add_f64 v[40:41], v[40:41], -v[58:59]
	v_add_f64 v[42:43], v[42:43], -v[60:61]
	;; [unrolled: 1-line block ×24, first 2 shown]
	v_dual_mov_b32 v58, v62 :: v_dual_mov_b32 v59, v63
.LBB28_62:
	s_or_b32 exec_lo, exec_lo, s2
	v_lshl_add_u32 v60, v76, 4, v70
	s_barrier
	buffer_gl0_inv
	v_mov_b32_e32 v68, 3
	ds_store_2addr_b64 v60, v[40:41], v[42:43] offset1:1
	s_waitcnt lgkmcnt(0)
	s_barrier
	buffer_gl0_inv
	ds_load_2addr_b64 v[60:63], v70 offset0:6 offset1:7
	s_cmp_lt_i32 s5, 5
	s_mov_b32 s6, 4
	s_cbranch_scc1 .LBB28_65
; %bb.63:
	v_add3_u32 v69, v75, 0, 64
	v_mov_b32_e32 v68, 3
	s_set_inst_prefetch_distance 0x1
	.p2align	6
.LBB28_64:                              ; =>This Inner Loop Header: Depth=1
	ds_load_2addr_b64 v[77:80], v69 offset1:1
	s_waitcnt lgkmcnt(1)
	v_cmp_gt_f64_e32 vcc_lo, 0, v[60:61]
	v_xor_b32_e32 v81, 0x80000000, v61
	v_cmp_gt_f64_e64 s2, 0, v[62:63]
	v_xor_b32_e32 v83, 0x80000000, v63
	v_add_nc_u32_e32 v69, 16, v69
	s_waitcnt lgkmcnt(0)
	v_cmp_gt_f64_e64 s3, 0, v[77:78]
	v_mov_b32_e32 v85, v77
	v_dual_mov_b32 v87, v79 :: v_dual_cndmask_b32 v82, v61, v81
	v_xor_b32_e32 v81, 0x80000000, v78
	v_cndmask_b32_e64 v84, v63, v83, s2
	v_xor_b32_e32 v83, 0x80000000, v80
	s_delay_alu instid0(VALU_DEP_3) | instskip(SKIP_2) | instid1(VALU_DEP_2)
	v_cndmask_b32_e64 v86, v78, v81, s3
	v_cmp_gt_f64_e64 s3, 0, v[79:80]
	v_cndmask_b32_e32 v81, v60, v60, vcc_lo
	v_cndmask_b32_e64 v88, v80, v83, s3
	v_cndmask_b32_e64 v83, v62, v62, s2
	s_delay_alu instid0(VALU_DEP_2) | instskip(NEXT) | instid1(VALU_DEP_2)
	v_add_f64 v[85:86], v[85:86], v[87:88]
	v_add_f64 v[81:82], v[81:82], v[83:84]
	s_delay_alu instid0(VALU_DEP_1) | instskip(SKIP_4) | instid1(SALU_CYCLE_1)
	v_cmp_lt_f64_e32 vcc_lo, v[81:82], v[85:86]
	v_dual_cndmask_b32 v62, v62, v79 :: v_dual_cndmask_b32 v61, v61, v78
	v_dual_cndmask_b32 v60, v60, v77 :: v_dual_cndmask_b32 v63, v63, v80
	v_cndmask_b32_e64 v68, v68, s6, vcc_lo
	s_add_i32 s6, s6, 1
	s_cmp_lg_u32 s5, s6
	s_cbranch_scc1 .LBB28_64
.LBB28_65:
	s_set_inst_prefetch_distance 0x2
	s_waitcnt lgkmcnt(0)
	v_cmp_eq_f64_e32 vcc_lo, 0, v[60:61]
	v_cmp_eq_f64_e64 s2, 0, v[62:63]
	s_delay_alu instid0(VALU_DEP_1) | instskip(NEXT) | instid1(SALU_CYCLE_1)
	s_and_b32 s2, vcc_lo, s2
	s_and_saveexec_b32 s3, s2
	s_delay_alu instid0(SALU_CYCLE_1)
	s_xor_b32 s2, exec_lo, s3
; %bb.66:
	v_cmp_ne_u32_e32 vcc_lo, 0, v74
	v_cndmask_b32_e32 v74, 4, v74, vcc_lo
; %bb.67:
	s_and_not1_saveexec_b32 s3, s2
	s_cbranch_execz .LBB28_73
; %bb.68:
	v_cmp_gt_f64_e32 vcc_lo, 0, v[60:61]
	v_cmp_gt_f64_e64 s2, 0, v[62:63]
	v_xor_b32_e32 v69, 0x80000000, v61
	v_xor_b32_e32 v77, 0x80000000, v63
	s_delay_alu instid0(VALU_DEP_2) | instskip(NEXT) | instid1(VALU_DEP_2)
	v_cndmask_b32_e32 v78, v61, v69, vcc_lo
	v_cndmask_b32_e64 v80, v63, v77, s2
	v_cndmask_b32_e32 v77, v60, v60, vcc_lo
	v_cndmask_b32_e64 v79, v62, v62, s2
	s_mov_b32 s2, exec_lo
	s_delay_alu instid0(VALU_DEP_1)
	v_cmpx_ngt_f64_e32 v[77:78], v[79:80]
	s_xor_b32 s2, exec_lo, s2
	s_cbranch_execz .LBB28_70
; %bb.69:
	v_div_scale_f64 v[77:78], null, v[62:63], v[62:63], v[60:61]
	v_div_scale_f64 v[83:84], vcc_lo, v[60:61], v[62:63], v[60:61]
	s_delay_alu instid0(VALU_DEP_2) | instskip(SKIP_2) | instid1(VALU_DEP_1)
	v_rcp_f64_e32 v[79:80], v[77:78]
	s_waitcnt_depctr 0xfff
	v_fma_f64 v[81:82], -v[77:78], v[79:80], 1.0
	v_fma_f64 v[79:80], v[79:80], v[81:82], v[79:80]
	s_delay_alu instid0(VALU_DEP_1) | instskip(NEXT) | instid1(VALU_DEP_1)
	v_fma_f64 v[81:82], -v[77:78], v[79:80], 1.0
	v_fma_f64 v[79:80], v[79:80], v[81:82], v[79:80]
	s_delay_alu instid0(VALU_DEP_1) | instskip(NEXT) | instid1(VALU_DEP_1)
	v_mul_f64 v[81:82], v[83:84], v[79:80]
	v_fma_f64 v[77:78], -v[77:78], v[81:82], v[83:84]
	s_delay_alu instid0(VALU_DEP_1) | instskip(NEXT) | instid1(VALU_DEP_1)
	v_div_fmas_f64 v[77:78], v[77:78], v[79:80], v[81:82]
	v_div_fixup_f64 v[77:78], v[77:78], v[62:63], v[60:61]
	s_delay_alu instid0(VALU_DEP_1) | instskip(NEXT) | instid1(VALU_DEP_1)
	v_fma_f64 v[60:61], v[60:61], v[77:78], v[62:63]
	v_div_scale_f64 v[62:63], null, v[60:61], v[60:61], 1.0
	s_delay_alu instid0(VALU_DEP_1) | instskip(SKIP_2) | instid1(VALU_DEP_1)
	v_rcp_f64_e32 v[79:80], v[62:63]
	s_waitcnt_depctr 0xfff
	v_fma_f64 v[81:82], -v[62:63], v[79:80], 1.0
	v_fma_f64 v[79:80], v[79:80], v[81:82], v[79:80]
	s_delay_alu instid0(VALU_DEP_1) | instskip(NEXT) | instid1(VALU_DEP_1)
	v_fma_f64 v[81:82], -v[62:63], v[79:80], 1.0
	v_fma_f64 v[79:80], v[79:80], v[81:82], v[79:80]
	v_div_scale_f64 v[81:82], vcc_lo, 1.0, v[60:61], 1.0
	s_delay_alu instid0(VALU_DEP_1) | instskip(NEXT) | instid1(VALU_DEP_1)
	v_mul_f64 v[83:84], v[81:82], v[79:80]
	v_fma_f64 v[62:63], -v[62:63], v[83:84], v[81:82]
	s_delay_alu instid0(VALU_DEP_1) | instskip(NEXT) | instid1(VALU_DEP_1)
	v_div_fmas_f64 v[62:63], v[62:63], v[79:80], v[83:84]
	v_div_fixup_f64 v[62:63], v[62:63], v[60:61], 1.0
	s_delay_alu instid0(VALU_DEP_1)
	v_mul_f64 v[60:61], v[77:78], v[62:63]
	v_xor_b32_e32 v63, 0x80000000, v63
.LBB28_70:
	s_and_not1_saveexec_b32 s2, s2
	s_cbranch_execz .LBB28_72
; %bb.71:
	s_delay_alu instid0(VALU_DEP_1) | instskip(SKIP_1) | instid1(VALU_DEP_2)
	v_div_scale_f64 v[77:78], null, v[60:61], v[60:61], v[62:63]
	v_div_scale_f64 v[83:84], vcc_lo, v[62:63], v[60:61], v[62:63]
	v_rcp_f64_e32 v[79:80], v[77:78]
	s_waitcnt_depctr 0xfff
	v_fma_f64 v[81:82], -v[77:78], v[79:80], 1.0
	s_delay_alu instid0(VALU_DEP_1) | instskip(NEXT) | instid1(VALU_DEP_1)
	v_fma_f64 v[79:80], v[79:80], v[81:82], v[79:80]
	v_fma_f64 v[81:82], -v[77:78], v[79:80], 1.0
	s_delay_alu instid0(VALU_DEP_1) | instskip(NEXT) | instid1(VALU_DEP_1)
	v_fma_f64 v[79:80], v[79:80], v[81:82], v[79:80]
	v_mul_f64 v[81:82], v[83:84], v[79:80]
	s_delay_alu instid0(VALU_DEP_1) | instskip(NEXT) | instid1(VALU_DEP_1)
	v_fma_f64 v[77:78], -v[77:78], v[81:82], v[83:84]
	v_div_fmas_f64 v[77:78], v[77:78], v[79:80], v[81:82]
	s_delay_alu instid0(VALU_DEP_1) | instskip(NEXT) | instid1(VALU_DEP_1)
	v_div_fixup_f64 v[77:78], v[77:78], v[60:61], v[62:63]
	v_fma_f64 v[60:61], v[62:63], v[77:78], v[60:61]
	s_delay_alu instid0(VALU_DEP_1) | instskip(NEXT) | instid1(VALU_DEP_1)
	v_div_scale_f64 v[62:63], null, v[60:61], v[60:61], 1.0
	v_rcp_f64_e32 v[79:80], v[62:63]
	s_waitcnt_depctr 0xfff
	v_fma_f64 v[81:82], -v[62:63], v[79:80], 1.0
	s_delay_alu instid0(VALU_DEP_1) | instskip(NEXT) | instid1(VALU_DEP_1)
	v_fma_f64 v[79:80], v[79:80], v[81:82], v[79:80]
	v_fma_f64 v[81:82], -v[62:63], v[79:80], 1.0
	s_delay_alu instid0(VALU_DEP_1) | instskip(SKIP_1) | instid1(VALU_DEP_1)
	v_fma_f64 v[79:80], v[79:80], v[81:82], v[79:80]
	v_div_scale_f64 v[81:82], vcc_lo, 1.0, v[60:61], 1.0
	v_mul_f64 v[83:84], v[81:82], v[79:80]
	s_delay_alu instid0(VALU_DEP_1) | instskip(NEXT) | instid1(VALU_DEP_1)
	v_fma_f64 v[62:63], -v[62:63], v[83:84], v[81:82]
	v_div_fmas_f64 v[62:63], v[62:63], v[79:80], v[83:84]
	s_delay_alu instid0(VALU_DEP_1) | instskip(NEXT) | instid1(VALU_DEP_1)
	v_div_fixup_f64 v[60:61], v[62:63], v[60:61], 1.0
	v_mul_f64 v[62:63], v[77:78], -v[60:61]
.LBB28_72:
	s_or_b32 exec_lo, exec_lo, s2
.LBB28_73:
	s_delay_alu instid0(SALU_CYCLE_1) | instskip(NEXT) | instid1(SALU_CYCLE_1)
	s_or_b32 exec_lo, exec_lo, s3
	s_mov_b32 s2, exec_lo
	v_cmpx_ne_u32_e64 v76, v68
	s_xor_b32 s2, exec_lo, s2
	s_cbranch_execz .LBB28_79
; %bb.74:
	s_mov_b32 s3, exec_lo
	v_cmpx_eq_u32_e32 3, v76
	s_cbranch_execz .LBB28_78
; %bb.75:
	v_cmp_ne_u32_e32 vcc_lo, 3, v68
	s_xor_b32 s6, s4, -1
	s_delay_alu instid0(SALU_CYCLE_1) | instskip(NEXT) | instid1(SALU_CYCLE_1)
	s_and_b32 s7, s6, vcc_lo
	s_and_saveexec_b32 s6, s7
	s_cbranch_execz .LBB28_77
; %bb.76:
	v_ashrrev_i32_e32 v69, 31, v68
	s_delay_alu instid0(VALU_DEP_1) | instskip(NEXT) | instid1(VALU_DEP_1)
	v_lshlrev_b64 v[76:77], 2, v[68:69]
	v_add_co_u32 v76, vcc_lo, v66, v76
	s_delay_alu instid0(VALU_DEP_2)
	v_add_co_ci_u32_e32 v77, vcc_lo, v67, v77, vcc_lo
	s_clause 0x1
	flat_load_b32 v69, v[76:77]
	flat_load_b32 v73, v[66:67] offset:12
	s_waitcnt vmcnt(1) lgkmcnt(1)
	flat_store_b32 v[66:67], v69 offset:12
	s_waitcnt vmcnt(0) lgkmcnt(1)
	flat_store_b32 v[76:77], v73
.LBB28_77:
	s_or_b32 exec_lo, exec_lo, s6
	v_mov_b32_e32 v76, v68
	v_mov_b32_e32 v73, v68
.LBB28_78:
	s_or_b32 exec_lo, exec_lo, s3
.LBB28_79:
	s_and_not1_saveexec_b32 s2, s2
	s_cbranch_execz .LBB28_81
; %bb.80:
	v_mov_b32_e32 v76, 3
	ds_store_2addr_b64 v70, v[52:53], v[54:55] offset0:8 offset1:9
	ds_store_2addr_b64 v70, v[36:37], v[38:39] offset0:10 offset1:11
	;; [unrolled: 1-line block ×11, first 2 shown]
.LBB28_81:
	s_or_b32 exec_lo, exec_lo, s2
	s_delay_alu instid0(SALU_CYCLE_1)
	s_mov_b32 s2, exec_lo
	s_waitcnt lgkmcnt(0)
	s_waitcnt_vscnt null, 0x0
	s_barrier
	buffer_gl0_inv
	v_cmpx_lt_i32_e32 3, v76
	s_cbranch_execz .LBB28_83
; %bb.82:
	v_mul_f64 v[68:69], v[60:61], v[42:43]
	v_mul_f64 v[42:43], v[62:63], v[42:43]
	ds_load_2addr_b64 v[77:80], v70 offset0:8 offset1:9
	ds_load_2addr_b64 v[81:84], v70 offset0:10 offset1:11
	;; [unrolled: 1-line block ×11, first 2 shown]
	v_fma_f64 v[62:63], v[62:63], v[40:41], v[68:69]
	v_fma_f64 v[40:41], v[60:61], v[40:41], -v[42:43]
	s_waitcnt lgkmcnt(10)
	s_delay_alu instid0(VALU_DEP_2)
	v_mul_f64 v[42:43], v[79:80], v[62:63]
	v_mul_f64 v[60:61], v[77:78], v[62:63]
	s_waitcnt lgkmcnt(9)
	v_mul_f64 v[68:69], v[83:84], v[62:63]
	v_mul_f64 v[121:122], v[81:82], v[62:63]
	s_waitcnt lgkmcnt(8)
	;; [unrolled: 3-line block ×10, first 2 shown]
	v_mul_f64 v[155:156], v[119:120], v[62:63]
	v_mul_f64 v[157:158], v[117:118], v[62:63]
	v_fma_f64 v[42:43], v[77:78], v[40:41], -v[42:43]
	v_fma_f64 v[60:61], v[79:80], v[40:41], v[60:61]
	v_fma_f64 v[68:69], v[81:82], v[40:41], -v[68:69]
	v_fma_f64 v[77:78], v[83:84], v[40:41], v[121:122]
	;; [unrolled: 2-line block ×11, first 2 shown]
	v_add_f64 v[52:53], v[52:53], -v[42:43]
	v_add_f64 v[54:55], v[54:55], -v[60:61]
	;; [unrolled: 1-line block ×22, first 2 shown]
	v_dual_mov_b32 v42, v62 :: v_dual_mov_b32 v43, v63
.LBB28_83:
	s_or_b32 exec_lo, exec_lo, s2
	v_lshl_add_u32 v60, v76, 4, v70
	s_barrier
	buffer_gl0_inv
	v_mov_b32_e32 v68, 4
	ds_store_2addr_b64 v60, v[52:53], v[54:55] offset1:1
	s_waitcnt lgkmcnt(0)
	s_barrier
	buffer_gl0_inv
	ds_load_2addr_b64 v[60:63], v70 offset0:8 offset1:9
	s_cmp_lt_i32 s5, 6
	s_cbranch_scc1 .LBB28_86
; %bb.84:
	v_add3_u32 v69, v75, 0, 0x50
	v_mov_b32_e32 v68, 4
	s_mov_b32 s6, 5
	s_set_inst_prefetch_distance 0x1
	.p2align	6
.LBB28_85:                              ; =>This Inner Loop Header: Depth=1
	ds_load_2addr_b64 v[77:80], v69 offset1:1
	s_waitcnt lgkmcnt(1)
	v_cmp_gt_f64_e32 vcc_lo, 0, v[60:61]
	v_xor_b32_e32 v81, 0x80000000, v61
	v_cmp_gt_f64_e64 s2, 0, v[62:63]
	v_xor_b32_e32 v83, 0x80000000, v63
	v_add_nc_u32_e32 v69, 16, v69
	s_waitcnt lgkmcnt(0)
	v_cmp_gt_f64_e64 s3, 0, v[77:78]
	v_mov_b32_e32 v85, v77
	v_dual_mov_b32 v87, v79 :: v_dual_cndmask_b32 v82, v61, v81
	v_xor_b32_e32 v81, 0x80000000, v78
	v_cndmask_b32_e64 v84, v63, v83, s2
	v_xor_b32_e32 v83, 0x80000000, v80
	s_delay_alu instid0(VALU_DEP_3) | instskip(SKIP_2) | instid1(VALU_DEP_2)
	v_cndmask_b32_e64 v86, v78, v81, s3
	v_cmp_gt_f64_e64 s3, 0, v[79:80]
	v_cndmask_b32_e32 v81, v60, v60, vcc_lo
	v_cndmask_b32_e64 v88, v80, v83, s3
	v_cndmask_b32_e64 v83, v62, v62, s2
	s_delay_alu instid0(VALU_DEP_2) | instskip(NEXT) | instid1(VALU_DEP_2)
	v_add_f64 v[85:86], v[85:86], v[87:88]
	v_add_f64 v[81:82], v[81:82], v[83:84]
	s_delay_alu instid0(VALU_DEP_1) | instskip(SKIP_4) | instid1(SALU_CYCLE_1)
	v_cmp_lt_f64_e32 vcc_lo, v[81:82], v[85:86]
	v_dual_cndmask_b32 v62, v62, v79 :: v_dual_cndmask_b32 v61, v61, v78
	v_dual_cndmask_b32 v60, v60, v77 :: v_dual_cndmask_b32 v63, v63, v80
	v_cndmask_b32_e64 v68, v68, s6, vcc_lo
	s_add_i32 s6, s6, 1
	s_cmp_lg_u32 s5, s6
	s_cbranch_scc1 .LBB28_85
.LBB28_86:
	s_set_inst_prefetch_distance 0x2
	s_waitcnt lgkmcnt(0)
	v_cmp_eq_f64_e32 vcc_lo, 0, v[60:61]
	v_cmp_eq_f64_e64 s2, 0, v[62:63]
	s_delay_alu instid0(VALU_DEP_1) | instskip(NEXT) | instid1(SALU_CYCLE_1)
	s_and_b32 s2, vcc_lo, s2
	s_and_saveexec_b32 s3, s2
	s_delay_alu instid0(SALU_CYCLE_1)
	s_xor_b32 s2, exec_lo, s3
; %bb.87:
	v_cmp_ne_u32_e32 vcc_lo, 0, v74
	v_cndmask_b32_e32 v74, 5, v74, vcc_lo
; %bb.88:
	s_and_not1_saveexec_b32 s3, s2
	s_cbranch_execz .LBB28_94
; %bb.89:
	v_cmp_gt_f64_e32 vcc_lo, 0, v[60:61]
	v_cmp_gt_f64_e64 s2, 0, v[62:63]
	v_xor_b32_e32 v69, 0x80000000, v61
	v_xor_b32_e32 v77, 0x80000000, v63
	s_delay_alu instid0(VALU_DEP_2) | instskip(NEXT) | instid1(VALU_DEP_2)
	v_cndmask_b32_e32 v78, v61, v69, vcc_lo
	v_cndmask_b32_e64 v80, v63, v77, s2
	v_cndmask_b32_e32 v77, v60, v60, vcc_lo
	v_cndmask_b32_e64 v79, v62, v62, s2
	s_mov_b32 s2, exec_lo
	s_delay_alu instid0(VALU_DEP_1)
	v_cmpx_ngt_f64_e32 v[77:78], v[79:80]
	s_xor_b32 s2, exec_lo, s2
	s_cbranch_execz .LBB28_91
; %bb.90:
	v_div_scale_f64 v[77:78], null, v[62:63], v[62:63], v[60:61]
	v_div_scale_f64 v[83:84], vcc_lo, v[60:61], v[62:63], v[60:61]
	s_delay_alu instid0(VALU_DEP_2) | instskip(SKIP_2) | instid1(VALU_DEP_1)
	v_rcp_f64_e32 v[79:80], v[77:78]
	s_waitcnt_depctr 0xfff
	v_fma_f64 v[81:82], -v[77:78], v[79:80], 1.0
	v_fma_f64 v[79:80], v[79:80], v[81:82], v[79:80]
	s_delay_alu instid0(VALU_DEP_1) | instskip(NEXT) | instid1(VALU_DEP_1)
	v_fma_f64 v[81:82], -v[77:78], v[79:80], 1.0
	v_fma_f64 v[79:80], v[79:80], v[81:82], v[79:80]
	s_delay_alu instid0(VALU_DEP_1) | instskip(NEXT) | instid1(VALU_DEP_1)
	v_mul_f64 v[81:82], v[83:84], v[79:80]
	v_fma_f64 v[77:78], -v[77:78], v[81:82], v[83:84]
	s_delay_alu instid0(VALU_DEP_1) | instskip(NEXT) | instid1(VALU_DEP_1)
	v_div_fmas_f64 v[77:78], v[77:78], v[79:80], v[81:82]
	v_div_fixup_f64 v[77:78], v[77:78], v[62:63], v[60:61]
	s_delay_alu instid0(VALU_DEP_1) | instskip(NEXT) | instid1(VALU_DEP_1)
	v_fma_f64 v[60:61], v[60:61], v[77:78], v[62:63]
	v_div_scale_f64 v[62:63], null, v[60:61], v[60:61], 1.0
	s_delay_alu instid0(VALU_DEP_1) | instskip(SKIP_2) | instid1(VALU_DEP_1)
	v_rcp_f64_e32 v[79:80], v[62:63]
	s_waitcnt_depctr 0xfff
	v_fma_f64 v[81:82], -v[62:63], v[79:80], 1.0
	v_fma_f64 v[79:80], v[79:80], v[81:82], v[79:80]
	s_delay_alu instid0(VALU_DEP_1) | instskip(NEXT) | instid1(VALU_DEP_1)
	v_fma_f64 v[81:82], -v[62:63], v[79:80], 1.0
	v_fma_f64 v[79:80], v[79:80], v[81:82], v[79:80]
	v_div_scale_f64 v[81:82], vcc_lo, 1.0, v[60:61], 1.0
	s_delay_alu instid0(VALU_DEP_1) | instskip(NEXT) | instid1(VALU_DEP_1)
	v_mul_f64 v[83:84], v[81:82], v[79:80]
	v_fma_f64 v[62:63], -v[62:63], v[83:84], v[81:82]
	s_delay_alu instid0(VALU_DEP_1) | instskip(NEXT) | instid1(VALU_DEP_1)
	v_div_fmas_f64 v[62:63], v[62:63], v[79:80], v[83:84]
	v_div_fixup_f64 v[62:63], v[62:63], v[60:61], 1.0
	s_delay_alu instid0(VALU_DEP_1)
	v_mul_f64 v[60:61], v[77:78], v[62:63]
	v_xor_b32_e32 v63, 0x80000000, v63
.LBB28_91:
	s_and_not1_saveexec_b32 s2, s2
	s_cbranch_execz .LBB28_93
; %bb.92:
	s_delay_alu instid0(VALU_DEP_1) | instskip(SKIP_1) | instid1(VALU_DEP_2)
	v_div_scale_f64 v[77:78], null, v[60:61], v[60:61], v[62:63]
	v_div_scale_f64 v[83:84], vcc_lo, v[62:63], v[60:61], v[62:63]
	v_rcp_f64_e32 v[79:80], v[77:78]
	s_waitcnt_depctr 0xfff
	v_fma_f64 v[81:82], -v[77:78], v[79:80], 1.0
	s_delay_alu instid0(VALU_DEP_1) | instskip(NEXT) | instid1(VALU_DEP_1)
	v_fma_f64 v[79:80], v[79:80], v[81:82], v[79:80]
	v_fma_f64 v[81:82], -v[77:78], v[79:80], 1.0
	s_delay_alu instid0(VALU_DEP_1) | instskip(NEXT) | instid1(VALU_DEP_1)
	v_fma_f64 v[79:80], v[79:80], v[81:82], v[79:80]
	v_mul_f64 v[81:82], v[83:84], v[79:80]
	s_delay_alu instid0(VALU_DEP_1) | instskip(NEXT) | instid1(VALU_DEP_1)
	v_fma_f64 v[77:78], -v[77:78], v[81:82], v[83:84]
	v_div_fmas_f64 v[77:78], v[77:78], v[79:80], v[81:82]
	s_delay_alu instid0(VALU_DEP_1) | instskip(NEXT) | instid1(VALU_DEP_1)
	v_div_fixup_f64 v[77:78], v[77:78], v[60:61], v[62:63]
	v_fma_f64 v[60:61], v[62:63], v[77:78], v[60:61]
	s_delay_alu instid0(VALU_DEP_1) | instskip(NEXT) | instid1(VALU_DEP_1)
	v_div_scale_f64 v[62:63], null, v[60:61], v[60:61], 1.0
	v_rcp_f64_e32 v[79:80], v[62:63]
	s_waitcnt_depctr 0xfff
	v_fma_f64 v[81:82], -v[62:63], v[79:80], 1.0
	s_delay_alu instid0(VALU_DEP_1) | instskip(NEXT) | instid1(VALU_DEP_1)
	v_fma_f64 v[79:80], v[79:80], v[81:82], v[79:80]
	v_fma_f64 v[81:82], -v[62:63], v[79:80], 1.0
	s_delay_alu instid0(VALU_DEP_1) | instskip(SKIP_1) | instid1(VALU_DEP_1)
	v_fma_f64 v[79:80], v[79:80], v[81:82], v[79:80]
	v_div_scale_f64 v[81:82], vcc_lo, 1.0, v[60:61], 1.0
	v_mul_f64 v[83:84], v[81:82], v[79:80]
	s_delay_alu instid0(VALU_DEP_1) | instskip(NEXT) | instid1(VALU_DEP_1)
	v_fma_f64 v[62:63], -v[62:63], v[83:84], v[81:82]
	v_div_fmas_f64 v[62:63], v[62:63], v[79:80], v[83:84]
	s_delay_alu instid0(VALU_DEP_1) | instskip(NEXT) | instid1(VALU_DEP_1)
	v_div_fixup_f64 v[60:61], v[62:63], v[60:61], 1.0
	v_mul_f64 v[62:63], v[77:78], -v[60:61]
.LBB28_93:
	s_or_b32 exec_lo, exec_lo, s2
.LBB28_94:
	s_delay_alu instid0(SALU_CYCLE_1) | instskip(NEXT) | instid1(SALU_CYCLE_1)
	s_or_b32 exec_lo, exec_lo, s3
	s_mov_b32 s2, exec_lo
	v_cmpx_ne_u32_e64 v76, v68
	s_xor_b32 s2, exec_lo, s2
	s_cbranch_execz .LBB28_100
; %bb.95:
	s_mov_b32 s3, exec_lo
	v_cmpx_eq_u32_e32 4, v76
	s_cbranch_execz .LBB28_99
; %bb.96:
	v_cmp_ne_u32_e32 vcc_lo, 4, v68
	s_xor_b32 s6, s4, -1
	s_delay_alu instid0(SALU_CYCLE_1) | instskip(NEXT) | instid1(SALU_CYCLE_1)
	s_and_b32 s7, s6, vcc_lo
	s_and_saveexec_b32 s6, s7
	s_cbranch_execz .LBB28_98
; %bb.97:
	v_ashrrev_i32_e32 v69, 31, v68
	s_delay_alu instid0(VALU_DEP_1) | instskip(NEXT) | instid1(VALU_DEP_1)
	v_lshlrev_b64 v[76:77], 2, v[68:69]
	v_add_co_u32 v76, vcc_lo, v66, v76
	s_delay_alu instid0(VALU_DEP_2)
	v_add_co_ci_u32_e32 v77, vcc_lo, v67, v77, vcc_lo
	s_clause 0x1
	flat_load_b32 v69, v[76:77]
	flat_load_b32 v73, v[66:67] offset:16
	s_waitcnt vmcnt(1) lgkmcnt(1)
	flat_store_b32 v[66:67], v69 offset:16
	s_waitcnt vmcnt(0) lgkmcnt(1)
	flat_store_b32 v[76:77], v73
.LBB28_98:
	s_or_b32 exec_lo, exec_lo, s6
	v_mov_b32_e32 v76, v68
	v_mov_b32_e32 v73, v68
.LBB28_99:
	s_or_b32 exec_lo, exec_lo, s3
.LBB28_100:
	s_and_not1_saveexec_b32 s2, s2
	s_cbranch_execz .LBB28_102
; %bb.101:
	v_mov_b32_e32 v76, 4
	ds_store_2addr_b64 v70, v[36:37], v[38:39] offset0:10 offset1:11
	ds_store_2addr_b64 v70, v[32:33], v[34:35] offset0:12 offset1:13
	;; [unrolled: 1-line block ×10, first 2 shown]
.LBB28_102:
	s_or_b32 exec_lo, exec_lo, s2
	s_delay_alu instid0(SALU_CYCLE_1)
	s_mov_b32 s2, exec_lo
	s_waitcnt lgkmcnt(0)
	s_waitcnt_vscnt null, 0x0
	s_barrier
	buffer_gl0_inv
	v_cmpx_lt_i32_e32 4, v76
	s_cbranch_execz .LBB28_104
; %bb.103:
	v_mul_f64 v[68:69], v[60:61], v[54:55]
	v_mul_f64 v[54:55], v[62:63], v[54:55]
	ds_load_2addr_b64 v[77:80], v70 offset0:10 offset1:11
	ds_load_2addr_b64 v[81:84], v70 offset0:12 offset1:13
	;; [unrolled: 1-line block ×10, first 2 shown]
	v_fma_f64 v[62:63], v[62:63], v[52:53], v[68:69]
	v_fma_f64 v[52:53], v[60:61], v[52:53], -v[54:55]
	s_waitcnt lgkmcnt(9)
	s_delay_alu instid0(VALU_DEP_2)
	v_mul_f64 v[54:55], v[79:80], v[62:63]
	v_mul_f64 v[60:61], v[77:78], v[62:63]
	s_waitcnt lgkmcnt(8)
	v_mul_f64 v[68:69], v[83:84], v[62:63]
	v_mul_f64 v[117:118], v[81:82], v[62:63]
	s_waitcnt lgkmcnt(7)
	;; [unrolled: 3-line block ×9, first 2 shown]
	v_mul_f64 v[147:148], v[115:116], v[62:63]
	v_mul_f64 v[149:150], v[113:114], v[62:63]
	v_fma_f64 v[54:55], v[77:78], v[52:53], -v[54:55]
	v_fma_f64 v[60:61], v[79:80], v[52:53], v[60:61]
	v_fma_f64 v[68:69], v[81:82], v[52:53], -v[68:69]
	v_fma_f64 v[77:78], v[83:84], v[52:53], v[117:118]
	;; [unrolled: 2-line block ×10, first 2 shown]
	v_add_f64 v[36:37], v[36:37], -v[54:55]
	v_add_f64 v[38:39], v[38:39], -v[60:61]
	;; [unrolled: 1-line block ×20, first 2 shown]
	v_dual_mov_b32 v54, v62 :: v_dual_mov_b32 v55, v63
.LBB28_104:
	s_or_b32 exec_lo, exec_lo, s2
	v_lshl_add_u32 v60, v76, 4, v70
	s_barrier
	buffer_gl0_inv
	v_mov_b32_e32 v68, 5
	ds_store_2addr_b64 v60, v[36:37], v[38:39] offset1:1
	s_waitcnt lgkmcnt(0)
	s_barrier
	buffer_gl0_inv
	ds_load_2addr_b64 v[60:63], v70 offset0:10 offset1:11
	s_cmp_lt_i32 s5, 7
	s_cbranch_scc1 .LBB28_107
; %bb.105:
	v_add3_u32 v69, v75, 0, 0x60
	v_mov_b32_e32 v68, 5
	s_mov_b32 s6, 6
	s_set_inst_prefetch_distance 0x1
	.p2align	6
.LBB28_106:                             ; =>This Inner Loop Header: Depth=1
	ds_load_2addr_b64 v[77:80], v69 offset1:1
	s_waitcnt lgkmcnt(1)
	v_cmp_gt_f64_e32 vcc_lo, 0, v[60:61]
	v_xor_b32_e32 v81, 0x80000000, v61
	v_cmp_gt_f64_e64 s2, 0, v[62:63]
	v_xor_b32_e32 v83, 0x80000000, v63
	v_add_nc_u32_e32 v69, 16, v69
	s_waitcnt lgkmcnt(0)
	v_cmp_gt_f64_e64 s3, 0, v[77:78]
	v_mov_b32_e32 v85, v77
	v_dual_mov_b32 v87, v79 :: v_dual_cndmask_b32 v82, v61, v81
	v_xor_b32_e32 v81, 0x80000000, v78
	v_cndmask_b32_e64 v84, v63, v83, s2
	v_xor_b32_e32 v83, 0x80000000, v80
	s_delay_alu instid0(VALU_DEP_3) | instskip(SKIP_2) | instid1(VALU_DEP_2)
	v_cndmask_b32_e64 v86, v78, v81, s3
	v_cmp_gt_f64_e64 s3, 0, v[79:80]
	v_cndmask_b32_e32 v81, v60, v60, vcc_lo
	v_cndmask_b32_e64 v88, v80, v83, s3
	v_cndmask_b32_e64 v83, v62, v62, s2
	s_delay_alu instid0(VALU_DEP_2) | instskip(NEXT) | instid1(VALU_DEP_2)
	v_add_f64 v[85:86], v[85:86], v[87:88]
	v_add_f64 v[81:82], v[81:82], v[83:84]
	s_delay_alu instid0(VALU_DEP_1) | instskip(SKIP_4) | instid1(SALU_CYCLE_1)
	v_cmp_lt_f64_e32 vcc_lo, v[81:82], v[85:86]
	v_dual_cndmask_b32 v62, v62, v79 :: v_dual_cndmask_b32 v61, v61, v78
	v_dual_cndmask_b32 v60, v60, v77 :: v_dual_cndmask_b32 v63, v63, v80
	v_cndmask_b32_e64 v68, v68, s6, vcc_lo
	s_add_i32 s6, s6, 1
	s_cmp_lg_u32 s5, s6
	s_cbranch_scc1 .LBB28_106
.LBB28_107:
	s_set_inst_prefetch_distance 0x2
	s_waitcnt lgkmcnt(0)
	v_cmp_eq_f64_e32 vcc_lo, 0, v[60:61]
	v_cmp_eq_f64_e64 s2, 0, v[62:63]
	s_delay_alu instid0(VALU_DEP_1) | instskip(NEXT) | instid1(SALU_CYCLE_1)
	s_and_b32 s2, vcc_lo, s2
	s_and_saveexec_b32 s3, s2
	s_delay_alu instid0(SALU_CYCLE_1)
	s_xor_b32 s2, exec_lo, s3
; %bb.108:
	v_cmp_ne_u32_e32 vcc_lo, 0, v74
	v_cndmask_b32_e32 v74, 6, v74, vcc_lo
; %bb.109:
	s_and_not1_saveexec_b32 s3, s2
	s_cbranch_execz .LBB28_115
; %bb.110:
	v_cmp_gt_f64_e32 vcc_lo, 0, v[60:61]
	v_cmp_gt_f64_e64 s2, 0, v[62:63]
	v_xor_b32_e32 v69, 0x80000000, v61
	v_xor_b32_e32 v77, 0x80000000, v63
	s_delay_alu instid0(VALU_DEP_2) | instskip(NEXT) | instid1(VALU_DEP_2)
	v_cndmask_b32_e32 v78, v61, v69, vcc_lo
	v_cndmask_b32_e64 v80, v63, v77, s2
	v_cndmask_b32_e32 v77, v60, v60, vcc_lo
	v_cndmask_b32_e64 v79, v62, v62, s2
	s_mov_b32 s2, exec_lo
	s_delay_alu instid0(VALU_DEP_1)
	v_cmpx_ngt_f64_e32 v[77:78], v[79:80]
	s_xor_b32 s2, exec_lo, s2
	s_cbranch_execz .LBB28_112
; %bb.111:
	v_div_scale_f64 v[77:78], null, v[62:63], v[62:63], v[60:61]
	v_div_scale_f64 v[83:84], vcc_lo, v[60:61], v[62:63], v[60:61]
	s_delay_alu instid0(VALU_DEP_2) | instskip(SKIP_2) | instid1(VALU_DEP_1)
	v_rcp_f64_e32 v[79:80], v[77:78]
	s_waitcnt_depctr 0xfff
	v_fma_f64 v[81:82], -v[77:78], v[79:80], 1.0
	v_fma_f64 v[79:80], v[79:80], v[81:82], v[79:80]
	s_delay_alu instid0(VALU_DEP_1) | instskip(NEXT) | instid1(VALU_DEP_1)
	v_fma_f64 v[81:82], -v[77:78], v[79:80], 1.0
	v_fma_f64 v[79:80], v[79:80], v[81:82], v[79:80]
	s_delay_alu instid0(VALU_DEP_1) | instskip(NEXT) | instid1(VALU_DEP_1)
	v_mul_f64 v[81:82], v[83:84], v[79:80]
	v_fma_f64 v[77:78], -v[77:78], v[81:82], v[83:84]
	s_delay_alu instid0(VALU_DEP_1) | instskip(NEXT) | instid1(VALU_DEP_1)
	v_div_fmas_f64 v[77:78], v[77:78], v[79:80], v[81:82]
	v_div_fixup_f64 v[77:78], v[77:78], v[62:63], v[60:61]
	s_delay_alu instid0(VALU_DEP_1) | instskip(NEXT) | instid1(VALU_DEP_1)
	v_fma_f64 v[60:61], v[60:61], v[77:78], v[62:63]
	v_div_scale_f64 v[62:63], null, v[60:61], v[60:61], 1.0
	s_delay_alu instid0(VALU_DEP_1) | instskip(SKIP_2) | instid1(VALU_DEP_1)
	v_rcp_f64_e32 v[79:80], v[62:63]
	s_waitcnt_depctr 0xfff
	v_fma_f64 v[81:82], -v[62:63], v[79:80], 1.0
	v_fma_f64 v[79:80], v[79:80], v[81:82], v[79:80]
	s_delay_alu instid0(VALU_DEP_1) | instskip(NEXT) | instid1(VALU_DEP_1)
	v_fma_f64 v[81:82], -v[62:63], v[79:80], 1.0
	v_fma_f64 v[79:80], v[79:80], v[81:82], v[79:80]
	v_div_scale_f64 v[81:82], vcc_lo, 1.0, v[60:61], 1.0
	s_delay_alu instid0(VALU_DEP_1) | instskip(NEXT) | instid1(VALU_DEP_1)
	v_mul_f64 v[83:84], v[81:82], v[79:80]
	v_fma_f64 v[62:63], -v[62:63], v[83:84], v[81:82]
	s_delay_alu instid0(VALU_DEP_1) | instskip(NEXT) | instid1(VALU_DEP_1)
	v_div_fmas_f64 v[62:63], v[62:63], v[79:80], v[83:84]
	v_div_fixup_f64 v[62:63], v[62:63], v[60:61], 1.0
	s_delay_alu instid0(VALU_DEP_1)
	v_mul_f64 v[60:61], v[77:78], v[62:63]
	v_xor_b32_e32 v63, 0x80000000, v63
.LBB28_112:
	s_and_not1_saveexec_b32 s2, s2
	s_cbranch_execz .LBB28_114
; %bb.113:
	s_delay_alu instid0(VALU_DEP_1) | instskip(SKIP_1) | instid1(VALU_DEP_2)
	v_div_scale_f64 v[77:78], null, v[60:61], v[60:61], v[62:63]
	v_div_scale_f64 v[83:84], vcc_lo, v[62:63], v[60:61], v[62:63]
	v_rcp_f64_e32 v[79:80], v[77:78]
	s_waitcnt_depctr 0xfff
	v_fma_f64 v[81:82], -v[77:78], v[79:80], 1.0
	s_delay_alu instid0(VALU_DEP_1) | instskip(NEXT) | instid1(VALU_DEP_1)
	v_fma_f64 v[79:80], v[79:80], v[81:82], v[79:80]
	v_fma_f64 v[81:82], -v[77:78], v[79:80], 1.0
	s_delay_alu instid0(VALU_DEP_1) | instskip(NEXT) | instid1(VALU_DEP_1)
	v_fma_f64 v[79:80], v[79:80], v[81:82], v[79:80]
	v_mul_f64 v[81:82], v[83:84], v[79:80]
	s_delay_alu instid0(VALU_DEP_1) | instskip(NEXT) | instid1(VALU_DEP_1)
	v_fma_f64 v[77:78], -v[77:78], v[81:82], v[83:84]
	v_div_fmas_f64 v[77:78], v[77:78], v[79:80], v[81:82]
	s_delay_alu instid0(VALU_DEP_1) | instskip(NEXT) | instid1(VALU_DEP_1)
	v_div_fixup_f64 v[77:78], v[77:78], v[60:61], v[62:63]
	v_fma_f64 v[60:61], v[62:63], v[77:78], v[60:61]
	s_delay_alu instid0(VALU_DEP_1) | instskip(NEXT) | instid1(VALU_DEP_1)
	v_div_scale_f64 v[62:63], null, v[60:61], v[60:61], 1.0
	v_rcp_f64_e32 v[79:80], v[62:63]
	s_waitcnt_depctr 0xfff
	v_fma_f64 v[81:82], -v[62:63], v[79:80], 1.0
	s_delay_alu instid0(VALU_DEP_1) | instskip(NEXT) | instid1(VALU_DEP_1)
	v_fma_f64 v[79:80], v[79:80], v[81:82], v[79:80]
	v_fma_f64 v[81:82], -v[62:63], v[79:80], 1.0
	s_delay_alu instid0(VALU_DEP_1) | instskip(SKIP_1) | instid1(VALU_DEP_1)
	v_fma_f64 v[79:80], v[79:80], v[81:82], v[79:80]
	v_div_scale_f64 v[81:82], vcc_lo, 1.0, v[60:61], 1.0
	v_mul_f64 v[83:84], v[81:82], v[79:80]
	s_delay_alu instid0(VALU_DEP_1) | instskip(NEXT) | instid1(VALU_DEP_1)
	v_fma_f64 v[62:63], -v[62:63], v[83:84], v[81:82]
	v_div_fmas_f64 v[62:63], v[62:63], v[79:80], v[83:84]
	s_delay_alu instid0(VALU_DEP_1) | instskip(NEXT) | instid1(VALU_DEP_1)
	v_div_fixup_f64 v[60:61], v[62:63], v[60:61], 1.0
	v_mul_f64 v[62:63], v[77:78], -v[60:61]
.LBB28_114:
	s_or_b32 exec_lo, exec_lo, s2
.LBB28_115:
	s_delay_alu instid0(SALU_CYCLE_1) | instskip(NEXT) | instid1(SALU_CYCLE_1)
	s_or_b32 exec_lo, exec_lo, s3
	s_mov_b32 s2, exec_lo
	v_cmpx_ne_u32_e64 v76, v68
	s_xor_b32 s2, exec_lo, s2
	s_cbranch_execz .LBB28_121
; %bb.116:
	s_mov_b32 s3, exec_lo
	v_cmpx_eq_u32_e32 5, v76
	s_cbranch_execz .LBB28_120
; %bb.117:
	v_cmp_ne_u32_e32 vcc_lo, 5, v68
	s_xor_b32 s6, s4, -1
	s_delay_alu instid0(SALU_CYCLE_1) | instskip(NEXT) | instid1(SALU_CYCLE_1)
	s_and_b32 s7, s6, vcc_lo
	s_and_saveexec_b32 s6, s7
	s_cbranch_execz .LBB28_119
; %bb.118:
	v_ashrrev_i32_e32 v69, 31, v68
	s_delay_alu instid0(VALU_DEP_1) | instskip(NEXT) | instid1(VALU_DEP_1)
	v_lshlrev_b64 v[76:77], 2, v[68:69]
	v_add_co_u32 v76, vcc_lo, v66, v76
	s_delay_alu instid0(VALU_DEP_2)
	v_add_co_ci_u32_e32 v77, vcc_lo, v67, v77, vcc_lo
	s_clause 0x1
	flat_load_b32 v69, v[76:77]
	flat_load_b32 v73, v[66:67] offset:20
	s_waitcnt vmcnt(1) lgkmcnt(1)
	flat_store_b32 v[66:67], v69 offset:20
	s_waitcnt vmcnt(0) lgkmcnt(1)
	flat_store_b32 v[76:77], v73
.LBB28_119:
	s_or_b32 exec_lo, exec_lo, s6
	v_mov_b32_e32 v76, v68
	v_mov_b32_e32 v73, v68
.LBB28_120:
	s_or_b32 exec_lo, exec_lo, s3
.LBB28_121:
	s_and_not1_saveexec_b32 s2, s2
	s_cbranch_execz .LBB28_123
; %bb.122:
	v_mov_b32_e32 v76, 5
	ds_store_2addr_b64 v70, v[32:33], v[34:35] offset0:12 offset1:13
	ds_store_2addr_b64 v70, v[28:29], v[30:31] offset0:14 offset1:15
	;; [unrolled: 1-line block ×9, first 2 shown]
.LBB28_123:
	s_or_b32 exec_lo, exec_lo, s2
	s_delay_alu instid0(SALU_CYCLE_1)
	s_mov_b32 s2, exec_lo
	s_waitcnt lgkmcnt(0)
	s_waitcnt_vscnt null, 0x0
	s_barrier
	buffer_gl0_inv
	v_cmpx_lt_i32_e32 5, v76
	s_cbranch_execz .LBB28_125
; %bb.124:
	v_mul_f64 v[68:69], v[60:61], v[38:39]
	v_mul_f64 v[38:39], v[62:63], v[38:39]
	ds_load_2addr_b64 v[77:80], v70 offset0:12 offset1:13
	ds_load_2addr_b64 v[81:84], v70 offset0:14 offset1:15
	;; [unrolled: 1-line block ×9, first 2 shown]
	v_fma_f64 v[62:63], v[62:63], v[36:37], v[68:69]
	v_fma_f64 v[36:37], v[60:61], v[36:37], -v[38:39]
	s_waitcnt lgkmcnt(8)
	s_delay_alu instid0(VALU_DEP_2)
	v_mul_f64 v[38:39], v[79:80], v[62:63]
	v_mul_f64 v[60:61], v[77:78], v[62:63]
	s_waitcnt lgkmcnt(7)
	v_mul_f64 v[68:69], v[83:84], v[62:63]
	v_mul_f64 v[113:114], v[81:82], v[62:63]
	s_waitcnt lgkmcnt(6)
	;; [unrolled: 3-line block ×8, first 2 shown]
	v_mul_f64 v[139:140], v[111:112], v[62:63]
	v_mul_f64 v[141:142], v[109:110], v[62:63]
	v_fma_f64 v[38:39], v[77:78], v[36:37], -v[38:39]
	v_fma_f64 v[60:61], v[79:80], v[36:37], v[60:61]
	v_fma_f64 v[68:69], v[81:82], v[36:37], -v[68:69]
	v_fma_f64 v[77:78], v[83:84], v[36:37], v[113:114]
	;; [unrolled: 2-line block ×9, first 2 shown]
	v_add_f64 v[32:33], v[32:33], -v[38:39]
	v_add_f64 v[34:35], v[34:35], -v[60:61]
	;; [unrolled: 1-line block ×18, first 2 shown]
	v_dual_mov_b32 v38, v62 :: v_dual_mov_b32 v39, v63
.LBB28_125:
	s_or_b32 exec_lo, exec_lo, s2
	v_lshl_add_u32 v60, v76, 4, v70
	s_barrier
	buffer_gl0_inv
	v_mov_b32_e32 v68, 6
	ds_store_2addr_b64 v60, v[32:33], v[34:35] offset1:1
	s_waitcnt lgkmcnt(0)
	s_barrier
	buffer_gl0_inv
	ds_load_2addr_b64 v[60:63], v70 offset0:12 offset1:13
	s_cmp_lt_i32 s5, 8
	s_cbranch_scc1 .LBB28_128
; %bb.126:
	v_add3_u32 v69, v75, 0, 0x70
	v_mov_b32_e32 v68, 6
	s_mov_b32 s6, 7
	s_set_inst_prefetch_distance 0x1
	.p2align	6
.LBB28_127:                             ; =>This Inner Loop Header: Depth=1
	ds_load_2addr_b64 v[77:80], v69 offset1:1
	s_waitcnt lgkmcnt(1)
	v_cmp_gt_f64_e32 vcc_lo, 0, v[60:61]
	v_xor_b32_e32 v81, 0x80000000, v61
	v_cmp_gt_f64_e64 s2, 0, v[62:63]
	v_xor_b32_e32 v83, 0x80000000, v63
	v_add_nc_u32_e32 v69, 16, v69
	s_waitcnt lgkmcnt(0)
	v_cmp_gt_f64_e64 s3, 0, v[77:78]
	v_mov_b32_e32 v85, v77
	v_dual_mov_b32 v87, v79 :: v_dual_cndmask_b32 v82, v61, v81
	v_xor_b32_e32 v81, 0x80000000, v78
	v_cndmask_b32_e64 v84, v63, v83, s2
	v_xor_b32_e32 v83, 0x80000000, v80
	s_delay_alu instid0(VALU_DEP_3) | instskip(SKIP_2) | instid1(VALU_DEP_2)
	v_cndmask_b32_e64 v86, v78, v81, s3
	v_cmp_gt_f64_e64 s3, 0, v[79:80]
	v_cndmask_b32_e32 v81, v60, v60, vcc_lo
	v_cndmask_b32_e64 v88, v80, v83, s3
	v_cndmask_b32_e64 v83, v62, v62, s2
	s_delay_alu instid0(VALU_DEP_2) | instskip(NEXT) | instid1(VALU_DEP_2)
	v_add_f64 v[85:86], v[85:86], v[87:88]
	v_add_f64 v[81:82], v[81:82], v[83:84]
	s_delay_alu instid0(VALU_DEP_1) | instskip(SKIP_4) | instid1(SALU_CYCLE_1)
	v_cmp_lt_f64_e32 vcc_lo, v[81:82], v[85:86]
	v_dual_cndmask_b32 v62, v62, v79 :: v_dual_cndmask_b32 v61, v61, v78
	v_dual_cndmask_b32 v60, v60, v77 :: v_dual_cndmask_b32 v63, v63, v80
	v_cndmask_b32_e64 v68, v68, s6, vcc_lo
	s_add_i32 s6, s6, 1
	s_cmp_lg_u32 s5, s6
	s_cbranch_scc1 .LBB28_127
.LBB28_128:
	s_set_inst_prefetch_distance 0x2
	s_waitcnt lgkmcnt(0)
	v_cmp_eq_f64_e32 vcc_lo, 0, v[60:61]
	v_cmp_eq_f64_e64 s2, 0, v[62:63]
	s_delay_alu instid0(VALU_DEP_1) | instskip(NEXT) | instid1(SALU_CYCLE_1)
	s_and_b32 s2, vcc_lo, s2
	s_and_saveexec_b32 s3, s2
	s_delay_alu instid0(SALU_CYCLE_1)
	s_xor_b32 s2, exec_lo, s3
; %bb.129:
	v_cmp_ne_u32_e32 vcc_lo, 0, v74
	v_cndmask_b32_e32 v74, 7, v74, vcc_lo
; %bb.130:
	s_and_not1_saveexec_b32 s3, s2
	s_cbranch_execz .LBB28_136
; %bb.131:
	v_cmp_gt_f64_e32 vcc_lo, 0, v[60:61]
	v_cmp_gt_f64_e64 s2, 0, v[62:63]
	v_xor_b32_e32 v69, 0x80000000, v61
	v_xor_b32_e32 v77, 0x80000000, v63
	s_delay_alu instid0(VALU_DEP_2) | instskip(NEXT) | instid1(VALU_DEP_2)
	v_cndmask_b32_e32 v78, v61, v69, vcc_lo
	v_cndmask_b32_e64 v80, v63, v77, s2
	v_cndmask_b32_e32 v77, v60, v60, vcc_lo
	v_cndmask_b32_e64 v79, v62, v62, s2
	s_mov_b32 s2, exec_lo
	s_delay_alu instid0(VALU_DEP_1)
	v_cmpx_ngt_f64_e32 v[77:78], v[79:80]
	s_xor_b32 s2, exec_lo, s2
	s_cbranch_execz .LBB28_133
; %bb.132:
	v_div_scale_f64 v[77:78], null, v[62:63], v[62:63], v[60:61]
	v_div_scale_f64 v[83:84], vcc_lo, v[60:61], v[62:63], v[60:61]
	s_delay_alu instid0(VALU_DEP_2) | instskip(SKIP_2) | instid1(VALU_DEP_1)
	v_rcp_f64_e32 v[79:80], v[77:78]
	s_waitcnt_depctr 0xfff
	v_fma_f64 v[81:82], -v[77:78], v[79:80], 1.0
	v_fma_f64 v[79:80], v[79:80], v[81:82], v[79:80]
	s_delay_alu instid0(VALU_DEP_1) | instskip(NEXT) | instid1(VALU_DEP_1)
	v_fma_f64 v[81:82], -v[77:78], v[79:80], 1.0
	v_fma_f64 v[79:80], v[79:80], v[81:82], v[79:80]
	s_delay_alu instid0(VALU_DEP_1) | instskip(NEXT) | instid1(VALU_DEP_1)
	v_mul_f64 v[81:82], v[83:84], v[79:80]
	v_fma_f64 v[77:78], -v[77:78], v[81:82], v[83:84]
	s_delay_alu instid0(VALU_DEP_1) | instskip(NEXT) | instid1(VALU_DEP_1)
	v_div_fmas_f64 v[77:78], v[77:78], v[79:80], v[81:82]
	v_div_fixup_f64 v[77:78], v[77:78], v[62:63], v[60:61]
	s_delay_alu instid0(VALU_DEP_1) | instskip(NEXT) | instid1(VALU_DEP_1)
	v_fma_f64 v[60:61], v[60:61], v[77:78], v[62:63]
	v_div_scale_f64 v[62:63], null, v[60:61], v[60:61], 1.0
	s_delay_alu instid0(VALU_DEP_1) | instskip(SKIP_2) | instid1(VALU_DEP_1)
	v_rcp_f64_e32 v[79:80], v[62:63]
	s_waitcnt_depctr 0xfff
	v_fma_f64 v[81:82], -v[62:63], v[79:80], 1.0
	v_fma_f64 v[79:80], v[79:80], v[81:82], v[79:80]
	s_delay_alu instid0(VALU_DEP_1) | instskip(NEXT) | instid1(VALU_DEP_1)
	v_fma_f64 v[81:82], -v[62:63], v[79:80], 1.0
	v_fma_f64 v[79:80], v[79:80], v[81:82], v[79:80]
	v_div_scale_f64 v[81:82], vcc_lo, 1.0, v[60:61], 1.0
	s_delay_alu instid0(VALU_DEP_1) | instskip(NEXT) | instid1(VALU_DEP_1)
	v_mul_f64 v[83:84], v[81:82], v[79:80]
	v_fma_f64 v[62:63], -v[62:63], v[83:84], v[81:82]
	s_delay_alu instid0(VALU_DEP_1) | instskip(NEXT) | instid1(VALU_DEP_1)
	v_div_fmas_f64 v[62:63], v[62:63], v[79:80], v[83:84]
	v_div_fixup_f64 v[62:63], v[62:63], v[60:61], 1.0
	s_delay_alu instid0(VALU_DEP_1)
	v_mul_f64 v[60:61], v[77:78], v[62:63]
	v_xor_b32_e32 v63, 0x80000000, v63
.LBB28_133:
	s_and_not1_saveexec_b32 s2, s2
	s_cbranch_execz .LBB28_135
; %bb.134:
	s_delay_alu instid0(VALU_DEP_1) | instskip(SKIP_1) | instid1(VALU_DEP_2)
	v_div_scale_f64 v[77:78], null, v[60:61], v[60:61], v[62:63]
	v_div_scale_f64 v[83:84], vcc_lo, v[62:63], v[60:61], v[62:63]
	v_rcp_f64_e32 v[79:80], v[77:78]
	s_waitcnt_depctr 0xfff
	v_fma_f64 v[81:82], -v[77:78], v[79:80], 1.0
	s_delay_alu instid0(VALU_DEP_1) | instskip(NEXT) | instid1(VALU_DEP_1)
	v_fma_f64 v[79:80], v[79:80], v[81:82], v[79:80]
	v_fma_f64 v[81:82], -v[77:78], v[79:80], 1.0
	s_delay_alu instid0(VALU_DEP_1) | instskip(NEXT) | instid1(VALU_DEP_1)
	v_fma_f64 v[79:80], v[79:80], v[81:82], v[79:80]
	v_mul_f64 v[81:82], v[83:84], v[79:80]
	s_delay_alu instid0(VALU_DEP_1) | instskip(NEXT) | instid1(VALU_DEP_1)
	v_fma_f64 v[77:78], -v[77:78], v[81:82], v[83:84]
	v_div_fmas_f64 v[77:78], v[77:78], v[79:80], v[81:82]
	s_delay_alu instid0(VALU_DEP_1) | instskip(NEXT) | instid1(VALU_DEP_1)
	v_div_fixup_f64 v[77:78], v[77:78], v[60:61], v[62:63]
	v_fma_f64 v[60:61], v[62:63], v[77:78], v[60:61]
	s_delay_alu instid0(VALU_DEP_1) | instskip(NEXT) | instid1(VALU_DEP_1)
	v_div_scale_f64 v[62:63], null, v[60:61], v[60:61], 1.0
	v_rcp_f64_e32 v[79:80], v[62:63]
	s_waitcnt_depctr 0xfff
	v_fma_f64 v[81:82], -v[62:63], v[79:80], 1.0
	s_delay_alu instid0(VALU_DEP_1) | instskip(NEXT) | instid1(VALU_DEP_1)
	v_fma_f64 v[79:80], v[79:80], v[81:82], v[79:80]
	v_fma_f64 v[81:82], -v[62:63], v[79:80], 1.0
	s_delay_alu instid0(VALU_DEP_1) | instskip(SKIP_1) | instid1(VALU_DEP_1)
	v_fma_f64 v[79:80], v[79:80], v[81:82], v[79:80]
	v_div_scale_f64 v[81:82], vcc_lo, 1.0, v[60:61], 1.0
	v_mul_f64 v[83:84], v[81:82], v[79:80]
	s_delay_alu instid0(VALU_DEP_1) | instskip(NEXT) | instid1(VALU_DEP_1)
	v_fma_f64 v[62:63], -v[62:63], v[83:84], v[81:82]
	v_div_fmas_f64 v[62:63], v[62:63], v[79:80], v[83:84]
	s_delay_alu instid0(VALU_DEP_1) | instskip(NEXT) | instid1(VALU_DEP_1)
	v_div_fixup_f64 v[60:61], v[62:63], v[60:61], 1.0
	v_mul_f64 v[62:63], v[77:78], -v[60:61]
.LBB28_135:
	s_or_b32 exec_lo, exec_lo, s2
.LBB28_136:
	s_delay_alu instid0(SALU_CYCLE_1) | instskip(NEXT) | instid1(SALU_CYCLE_1)
	s_or_b32 exec_lo, exec_lo, s3
	s_mov_b32 s2, exec_lo
	v_cmpx_ne_u32_e64 v76, v68
	s_xor_b32 s2, exec_lo, s2
	s_cbranch_execz .LBB28_142
; %bb.137:
	s_mov_b32 s3, exec_lo
	v_cmpx_eq_u32_e32 6, v76
	s_cbranch_execz .LBB28_141
; %bb.138:
	v_cmp_ne_u32_e32 vcc_lo, 6, v68
	s_xor_b32 s6, s4, -1
	s_delay_alu instid0(SALU_CYCLE_1) | instskip(NEXT) | instid1(SALU_CYCLE_1)
	s_and_b32 s7, s6, vcc_lo
	s_and_saveexec_b32 s6, s7
	s_cbranch_execz .LBB28_140
; %bb.139:
	v_ashrrev_i32_e32 v69, 31, v68
	s_delay_alu instid0(VALU_DEP_1) | instskip(NEXT) | instid1(VALU_DEP_1)
	v_lshlrev_b64 v[76:77], 2, v[68:69]
	v_add_co_u32 v76, vcc_lo, v66, v76
	s_delay_alu instid0(VALU_DEP_2)
	v_add_co_ci_u32_e32 v77, vcc_lo, v67, v77, vcc_lo
	s_clause 0x1
	flat_load_b32 v69, v[76:77]
	flat_load_b32 v73, v[66:67] offset:24
	s_waitcnt vmcnt(1) lgkmcnt(1)
	flat_store_b32 v[66:67], v69 offset:24
	s_waitcnt vmcnt(0) lgkmcnt(1)
	flat_store_b32 v[76:77], v73
.LBB28_140:
	s_or_b32 exec_lo, exec_lo, s6
	v_mov_b32_e32 v76, v68
	v_mov_b32_e32 v73, v68
.LBB28_141:
	s_or_b32 exec_lo, exec_lo, s3
.LBB28_142:
	s_and_not1_saveexec_b32 s2, s2
	s_cbranch_execz .LBB28_144
; %bb.143:
	v_mov_b32_e32 v76, 6
	ds_store_2addr_b64 v70, v[28:29], v[30:31] offset0:14 offset1:15
	ds_store_2addr_b64 v70, v[24:25], v[26:27] offset0:16 offset1:17
	;; [unrolled: 1-line block ×8, first 2 shown]
.LBB28_144:
	s_or_b32 exec_lo, exec_lo, s2
	s_delay_alu instid0(SALU_CYCLE_1)
	s_mov_b32 s2, exec_lo
	s_waitcnt lgkmcnt(0)
	s_waitcnt_vscnt null, 0x0
	s_barrier
	buffer_gl0_inv
	v_cmpx_lt_i32_e32 6, v76
	s_cbranch_execz .LBB28_146
; %bb.145:
	v_mul_f64 v[68:69], v[60:61], v[34:35]
	v_mul_f64 v[34:35], v[62:63], v[34:35]
	ds_load_2addr_b64 v[77:80], v70 offset0:14 offset1:15
	ds_load_2addr_b64 v[81:84], v70 offset0:16 offset1:17
	;; [unrolled: 1-line block ×8, first 2 shown]
	v_fma_f64 v[62:63], v[62:63], v[32:33], v[68:69]
	v_fma_f64 v[32:33], v[60:61], v[32:33], -v[34:35]
	s_waitcnt lgkmcnt(7)
	s_delay_alu instid0(VALU_DEP_2)
	v_mul_f64 v[34:35], v[79:80], v[62:63]
	v_mul_f64 v[60:61], v[77:78], v[62:63]
	s_waitcnt lgkmcnt(6)
	v_mul_f64 v[68:69], v[83:84], v[62:63]
	v_mul_f64 v[109:110], v[81:82], v[62:63]
	s_waitcnt lgkmcnt(5)
	;; [unrolled: 3-line block ×7, first 2 shown]
	v_mul_f64 v[131:132], v[107:108], v[62:63]
	v_mul_f64 v[133:134], v[105:106], v[62:63]
	v_fma_f64 v[34:35], v[77:78], v[32:33], -v[34:35]
	v_fma_f64 v[60:61], v[79:80], v[32:33], v[60:61]
	v_fma_f64 v[68:69], v[81:82], v[32:33], -v[68:69]
	v_fma_f64 v[77:78], v[83:84], v[32:33], v[109:110]
	;; [unrolled: 2-line block ×8, first 2 shown]
	v_add_f64 v[28:29], v[28:29], -v[34:35]
	v_add_f64 v[30:31], v[30:31], -v[60:61]
	;; [unrolled: 1-line block ×16, first 2 shown]
	v_dual_mov_b32 v34, v62 :: v_dual_mov_b32 v35, v63
.LBB28_146:
	s_or_b32 exec_lo, exec_lo, s2
	v_lshl_add_u32 v60, v76, 4, v70
	s_barrier
	buffer_gl0_inv
	v_mov_b32_e32 v68, 7
	ds_store_2addr_b64 v60, v[28:29], v[30:31] offset1:1
	s_waitcnt lgkmcnt(0)
	s_barrier
	buffer_gl0_inv
	ds_load_2addr_b64 v[60:63], v70 offset0:14 offset1:15
	s_cmp_lt_i32 s5, 9
	s_cbranch_scc1 .LBB28_149
; %bb.147:
	v_add3_u32 v69, v75, 0, 0x80
	v_mov_b32_e32 v68, 7
	s_mov_b32 s6, 8
	s_set_inst_prefetch_distance 0x1
	.p2align	6
.LBB28_148:                             ; =>This Inner Loop Header: Depth=1
	ds_load_2addr_b64 v[77:80], v69 offset1:1
	s_waitcnt lgkmcnt(1)
	v_cmp_gt_f64_e32 vcc_lo, 0, v[60:61]
	v_xor_b32_e32 v81, 0x80000000, v61
	v_cmp_gt_f64_e64 s2, 0, v[62:63]
	v_xor_b32_e32 v83, 0x80000000, v63
	v_add_nc_u32_e32 v69, 16, v69
	s_waitcnt lgkmcnt(0)
	v_cmp_gt_f64_e64 s3, 0, v[77:78]
	v_mov_b32_e32 v85, v77
	v_dual_mov_b32 v87, v79 :: v_dual_cndmask_b32 v82, v61, v81
	v_xor_b32_e32 v81, 0x80000000, v78
	v_cndmask_b32_e64 v84, v63, v83, s2
	v_xor_b32_e32 v83, 0x80000000, v80
	s_delay_alu instid0(VALU_DEP_3) | instskip(SKIP_2) | instid1(VALU_DEP_2)
	v_cndmask_b32_e64 v86, v78, v81, s3
	v_cmp_gt_f64_e64 s3, 0, v[79:80]
	v_cndmask_b32_e32 v81, v60, v60, vcc_lo
	v_cndmask_b32_e64 v88, v80, v83, s3
	v_cndmask_b32_e64 v83, v62, v62, s2
	s_delay_alu instid0(VALU_DEP_2) | instskip(NEXT) | instid1(VALU_DEP_2)
	v_add_f64 v[85:86], v[85:86], v[87:88]
	v_add_f64 v[81:82], v[81:82], v[83:84]
	s_delay_alu instid0(VALU_DEP_1) | instskip(SKIP_4) | instid1(SALU_CYCLE_1)
	v_cmp_lt_f64_e32 vcc_lo, v[81:82], v[85:86]
	v_dual_cndmask_b32 v62, v62, v79 :: v_dual_cndmask_b32 v61, v61, v78
	v_dual_cndmask_b32 v60, v60, v77 :: v_dual_cndmask_b32 v63, v63, v80
	v_cndmask_b32_e64 v68, v68, s6, vcc_lo
	s_add_i32 s6, s6, 1
	s_cmp_lg_u32 s5, s6
	s_cbranch_scc1 .LBB28_148
.LBB28_149:
	s_set_inst_prefetch_distance 0x2
	s_waitcnt lgkmcnt(0)
	v_cmp_eq_f64_e32 vcc_lo, 0, v[60:61]
	v_cmp_eq_f64_e64 s2, 0, v[62:63]
	s_delay_alu instid0(VALU_DEP_1) | instskip(NEXT) | instid1(SALU_CYCLE_1)
	s_and_b32 s2, vcc_lo, s2
	s_and_saveexec_b32 s3, s2
	s_delay_alu instid0(SALU_CYCLE_1)
	s_xor_b32 s2, exec_lo, s3
; %bb.150:
	v_cmp_ne_u32_e32 vcc_lo, 0, v74
	v_cndmask_b32_e32 v74, 8, v74, vcc_lo
; %bb.151:
	s_and_not1_saveexec_b32 s3, s2
	s_cbranch_execz .LBB28_157
; %bb.152:
	v_cmp_gt_f64_e32 vcc_lo, 0, v[60:61]
	v_cmp_gt_f64_e64 s2, 0, v[62:63]
	v_xor_b32_e32 v69, 0x80000000, v61
	v_xor_b32_e32 v77, 0x80000000, v63
	s_delay_alu instid0(VALU_DEP_2) | instskip(NEXT) | instid1(VALU_DEP_2)
	v_cndmask_b32_e32 v78, v61, v69, vcc_lo
	v_cndmask_b32_e64 v80, v63, v77, s2
	v_cndmask_b32_e32 v77, v60, v60, vcc_lo
	v_cndmask_b32_e64 v79, v62, v62, s2
	s_mov_b32 s2, exec_lo
	s_delay_alu instid0(VALU_DEP_1)
	v_cmpx_ngt_f64_e32 v[77:78], v[79:80]
	s_xor_b32 s2, exec_lo, s2
	s_cbranch_execz .LBB28_154
; %bb.153:
	v_div_scale_f64 v[77:78], null, v[62:63], v[62:63], v[60:61]
	v_div_scale_f64 v[83:84], vcc_lo, v[60:61], v[62:63], v[60:61]
	s_delay_alu instid0(VALU_DEP_2) | instskip(SKIP_2) | instid1(VALU_DEP_1)
	v_rcp_f64_e32 v[79:80], v[77:78]
	s_waitcnt_depctr 0xfff
	v_fma_f64 v[81:82], -v[77:78], v[79:80], 1.0
	v_fma_f64 v[79:80], v[79:80], v[81:82], v[79:80]
	s_delay_alu instid0(VALU_DEP_1) | instskip(NEXT) | instid1(VALU_DEP_1)
	v_fma_f64 v[81:82], -v[77:78], v[79:80], 1.0
	v_fma_f64 v[79:80], v[79:80], v[81:82], v[79:80]
	s_delay_alu instid0(VALU_DEP_1) | instskip(NEXT) | instid1(VALU_DEP_1)
	v_mul_f64 v[81:82], v[83:84], v[79:80]
	v_fma_f64 v[77:78], -v[77:78], v[81:82], v[83:84]
	s_delay_alu instid0(VALU_DEP_1) | instskip(NEXT) | instid1(VALU_DEP_1)
	v_div_fmas_f64 v[77:78], v[77:78], v[79:80], v[81:82]
	v_div_fixup_f64 v[77:78], v[77:78], v[62:63], v[60:61]
	s_delay_alu instid0(VALU_DEP_1) | instskip(NEXT) | instid1(VALU_DEP_1)
	v_fma_f64 v[60:61], v[60:61], v[77:78], v[62:63]
	v_div_scale_f64 v[62:63], null, v[60:61], v[60:61], 1.0
	s_delay_alu instid0(VALU_DEP_1) | instskip(SKIP_2) | instid1(VALU_DEP_1)
	v_rcp_f64_e32 v[79:80], v[62:63]
	s_waitcnt_depctr 0xfff
	v_fma_f64 v[81:82], -v[62:63], v[79:80], 1.0
	v_fma_f64 v[79:80], v[79:80], v[81:82], v[79:80]
	s_delay_alu instid0(VALU_DEP_1) | instskip(NEXT) | instid1(VALU_DEP_1)
	v_fma_f64 v[81:82], -v[62:63], v[79:80], 1.0
	v_fma_f64 v[79:80], v[79:80], v[81:82], v[79:80]
	v_div_scale_f64 v[81:82], vcc_lo, 1.0, v[60:61], 1.0
	s_delay_alu instid0(VALU_DEP_1) | instskip(NEXT) | instid1(VALU_DEP_1)
	v_mul_f64 v[83:84], v[81:82], v[79:80]
	v_fma_f64 v[62:63], -v[62:63], v[83:84], v[81:82]
	s_delay_alu instid0(VALU_DEP_1) | instskip(NEXT) | instid1(VALU_DEP_1)
	v_div_fmas_f64 v[62:63], v[62:63], v[79:80], v[83:84]
	v_div_fixup_f64 v[62:63], v[62:63], v[60:61], 1.0
	s_delay_alu instid0(VALU_DEP_1)
	v_mul_f64 v[60:61], v[77:78], v[62:63]
	v_xor_b32_e32 v63, 0x80000000, v63
.LBB28_154:
	s_and_not1_saveexec_b32 s2, s2
	s_cbranch_execz .LBB28_156
; %bb.155:
	s_delay_alu instid0(VALU_DEP_1) | instskip(SKIP_1) | instid1(VALU_DEP_2)
	v_div_scale_f64 v[77:78], null, v[60:61], v[60:61], v[62:63]
	v_div_scale_f64 v[83:84], vcc_lo, v[62:63], v[60:61], v[62:63]
	v_rcp_f64_e32 v[79:80], v[77:78]
	s_waitcnt_depctr 0xfff
	v_fma_f64 v[81:82], -v[77:78], v[79:80], 1.0
	s_delay_alu instid0(VALU_DEP_1) | instskip(NEXT) | instid1(VALU_DEP_1)
	v_fma_f64 v[79:80], v[79:80], v[81:82], v[79:80]
	v_fma_f64 v[81:82], -v[77:78], v[79:80], 1.0
	s_delay_alu instid0(VALU_DEP_1) | instskip(NEXT) | instid1(VALU_DEP_1)
	v_fma_f64 v[79:80], v[79:80], v[81:82], v[79:80]
	v_mul_f64 v[81:82], v[83:84], v[79:80]
	s_delay_alu instid0(VALU_DEP_1) | instskip(NEXT) | instid1(VALU_DEP_1)
	v_fma_f64 v[77:78], -v[77:78], v[81:82], v[83:84]
	v_div_fmas_f64 v[77:78], v[77:78], v[79:80], v[81:82]
	s_delay_alu instid0(VALU_DEP_1) | instskip(NEXT) | instid1(VALU_DEP_1)
	v_div_fixup_f64 v[77:78], v[77:78], v[60:61], v[62:63]
	v_fma_f64 v[60:61], v[62:63], v[77:78], v[60:61]
	s_delay_alu instid0(VALU_DEP_1) | instskip(NEXT) | instid1(VALU_DEP_1)
	v_div_scale_f64 v[62:63], null, v[60:61], v[60:61], 1.0
	v_rcp_f64_e32 v[79:80], v[62:63]
	s_waitcnt_depctr 0xfff
	v_fma_f64 v[81:82], -v[62:63], v[79:80], 1.0
	s_delay_alu instid0(VALU_DEP_1) | instskip(NEXT) | instid1(VALU_DEP_1)
	v_fma_f64 v[79:80], v[79:80], v[81:82], v[79:80]
	v_fma_f64 v[81:82], -v[62:63], v[79:80], 1.0
	s_delay_alu instid0(VALU_DEP_1) | instskip(SKIP_1) | instid1(VALU_DEP_1)
	v_fma_f64 v[79:80], v[79:80], v[81:82], v[79:80]
	v_div_scale_f64 v[81:82], vcc_lo, 1.0, v[60:61], 1.0
	v_mul_f64 v[83:84], v[81:82], v[79:80]
	s_delay_alu instid0(VALU_DEP_1) | instskip(NEXT) | instid1(VALU_DEP_1)
	v_fma_f64 v[62:63], -v[62:63], v[83:84], v[81:82]
	v_div_fmas_f64 v[62:63], v[62:63], v[79:80], v[83:84]
	s_delay_alu instid0(VALU_DEP_1) | instskip(NEXT) | instid1(VALU_DEP_1)
	v_div_fixup_f64 v[60:61], v[62:63], v[60:61], 1.0
	v_mul_f64 v[62:63], v[77:78], -v[60:61]
.LBB28_156:
	s_or_b32 exec_lo, exec_lo, s2
.LBB28_157:
	s_delay_alu instid0(SALU_CYCLE_1) | instskip(NEXT) | instid1(SALU_CYCLE_1)
	s_or_b32 exec_lo, exec_lo, s3
	s_mov_b32 s2, exec_lo
	v_cmpx_ne_u32_e64 v76, v68
	s_xor_b32 s2, exec_lo, s2
	s_cbranch_execz .LBB28_163
; %bb.158:
	s_mov_b32 s3, exec_lo
	v_cmpx_eq_u32_e32 7, v76
	s_cbranch_execz .LBB28_162
; %bb.159:
	v_cmp_ne_u32_e32 vcc_lo, 7, v68
	s_xor_b32 s6, s4, -1
	s_delay_alu instid0(SALU_CYCLE_1) | instskip(NEXT) | instid1(SALU_CYCLE_1)
	s_and_b32 s7, s6, vcc_lo
	s_and_saveexec_b32 s6, s7
	s_cbranch_execz .LBB28_161
; %bb.160:
	v_ashrrev_i32_e32 v69, 31, v68
	s_delay_alu instid0(VALU_DEP_1) | instskip(NEXT) | instid1(VALU_DEP_1)
	v_lshlrev_b64 v[76:77], 2, v[68:69]
	v_add_co_u32 v76, vcc_lo, v66, v76
	s_delay_alu instid0(VALU_DEP_2)
	v_add_co_ci_u32_e32 v77, vcc_lo, v67, v77, vcc_lo
	s_clause 0x1
	flat_load_b32 v69, v[76:77]
	flat_load_b32 v73, v[66:67] offset:28
	s_waitcnt vmcnt(1) lgkmcnt(1)
	flat_store_b32 v[66:67], v69 offset:28
	s_waitcnt vmcnt(0) lgkmcnt(1)
	flat_store_b32 v[76:77], v73
.LBB28_161:
	s_or_b32 exec_lo, exec_lo, s6
	v_mov_b32_e32 v76, v68
	v_mov_b32_e32 v73, v68
.LBB28_162:
	s_or_b32 exec_lo, exec_lo, s3
.LBB28_163:
	s_and_not1_saveexec_b32 s2, s2
	s_cbranch_execz .LBB28_165
; %bb.164:
	v_mov_b32_e32 v76, 7
	ds_store_2addr_b64 v70, v[24:25], v[26:27] offset0:16 offset1:17
	ds_store_2addr_b64 v70, v[20:21], v[22:23] offset0:18 offset1:19
	;; [unrolled: 1-line block ×7, first 2 shown]
.LBB28_165:
	s_or_b32 exec_lo, exec_lo, s2
	s_delay_alu instid0(SALU_CYCLE_1)
	s_mov_b32 s2, exec_lo
	s_waitcnt lgkmcnt(0)
	s_waitcnt_vscnt null, 0x0
	s_barrier
	buffer_gl0_inv
	v_cmpx_lt_i32_e32 7, v76
	s_cbranch_execz .LBB28_167
; %bb.166:
	v_mul_f64 v[68:69], v[60:61], v[30:31]
	v_mul_f64 v[30:31], v[62:63], v[30:31]
	ds_load_2addr_b64 v[77:80], v70 offset0:16 offset1:17
	ds_load_2addr_b64 v[81:84], v70 offset0:18 offset1:19
	;; [unrolled: 1-line block ×7, first 2 shown]
	v_fma_f64 v[62:63], v[62:63], v[28:29], v[68:69]
	v_fma_f64 v[28:29], v[60:61], v[28:29], -v[30:31]
	s_waitcnt lgkmcnt(6)
	s_delay_alu instid0(VALU_DEP_2)
	v_mul_f64 v[30:31], v[79:80], v[62:63]
	v_mul_f64 v[60:61], v[77:78], v[62:63]
	s_waitcnt lgkmcnt(5)
	v_mul_f64 v[68:69], v[83:84], v[62:63]
	v_mul_f64 v[105:106], v[81:82], v[62:63]
	s_waitcnt lgkmcnt(4)
	;; [unrolled: 3-line block ×6, first 2 shown]
	v_mul_f64 v[123:124], v[103:104], v[62:63]
	v_mul_f64 v[125:126], v[101:102], v[62:63]
	v_fma_f64 v[30:31], v[77:78], v[28:29], -v[30:31]
	v_fma_f64 v[60:61], v[79:80], v[28:29], v[60:61]
	v_fma_f64 v[68:69], v[81:82], v[28:29], -v[68:69]
	v_fma_f64 v[77:78], v[83:84], v[28:29], v[105:106]
	v_fma_f64 v[79:80], v[85:86], v[28:29], -v[107:108]
	v_fma_f64 v[81:82], v[87:88], v[28:29], v[109:110]
	v_fma_f64 v[83:84], v[89:90], v[28:29], -v[111:112]
	v_fma_f64 v[85:86], v[91:92], v[28:29], v[113:114]
	v_fma_f64 v[87:88], v[93:94], v[28:29], -v[115:116]
	v_fma_f64 v[89:90], v[95:96], v[28:29], v[117:118]
	v_fma_f64 v[91:92], v[97:98], v[28:29], -v[119:120]
	v_fma_f64 v[93:94], v[99:100], v[28:29], v[121:122]
	v_fma_f64 v[95:96], v[101:102], v[28:29], -v[123:124]
	v_fma_f64 v[97:98], v[103:104], v[28:29], v[125:126]
	v_add_f64 v[24:25], v[24:25], -v[30:31]
	v_add_f64 v[26:27], v[26:27], -v[60:61]
	;; [unrolled: 1-line block ×14, first 2 shown]
	v_dual_mov_b32 v30, v62 :: v_dual_mov_b32 v31, v63
.LBB28_167:
	s_or_b32 exec_lo, exec_lo, s2
	v_lshl_add_u32 v60, v76, 4, v70
	s_barrier
	buffer_gl0_inv
	v_mov_b32_e32 v68, 8
	ds_store_2addr_b64 v60, v[24:25], v[26:27] offset1:1
	s_waitcnt lgkmcnt(0)
	s_barrier
	buffer_gl0_inv
	ds_load_2addr_b64 v[60:63], v70 offset0:16 offset1:17
	s_cmp_lt_i32 s5, 10
	s_cbranch_scc1 .LBB28_170
; %bb.168:
	v_add3_u32 v69, v75, 0, 0x90
	v_mov_b32_e32 v68, 8
	s_mov_b32 s6, 9
	s_set_inst_prefetch_distance 0x1
	.p2align	6
.LBB28_169:                             ; =>This Inner Loop Header: Depth=1
	ds_load_2addr_b64 v[77:80], v69 offset1:1
	s_waitcnt lgkmcnt(1)
	v_cmp_gt_f64_e32 vcc_lo, 0, v[60:61]
	v_xor_b32_e32 v81, 0x80000000, v61
	v_cmp_gt_f64_e64 s2, 0, v[62:63]
	v_xor_b32_e32 v83, 0x80000000, v63
	v_add_nc_u32_e32 v69, 16, v69
	s_waitcnt lgkmcnt(0)
	v_cmp_gt_f64_e64 s3, 0, v[77:78]
	v_mov_b32_e32 v85, v77
	v_dual_mov_b32 v87, v79 :: v_dual_cndmask_b32 v82, v61, v81
	v_xor_b32_e32 v81, 0x80000000, v78
	v_cndmask_b32_e64 v84, v63, v83, s2
	v_xor_b32_e32 v83, 0x80000000, v80
	s_delay_alu instid0(VALU_DEP_3) | instskip(SKIP_2) | instid1(VALU_DEP_2)
	v_cndmask_b32_e64 v86, v78, v81, s3
	v_cmp_gt_f64_e64 s3, 0, v[79:80]
	v_cndmask_b32_e32 v81, v60, v60, vcc_lo
	v_cndmask_b32_e64 v88, v80, v83, s3
	v_cndmask_b32_e64 v83, v62, v62, s2
	s_delay_alu instid0(VALU_DEP_2) | instskip(NEXT) | instid1(VALU_DEP_2)
	v_add_f64 v[85:86], v[85:86], v[87:88]
	v_add_f64 v[81:82], v[81:82], v[83:84]
	s_delay_alu instid0(VALU_DEP_1) | instskip(SKIP_4) | instid1(SALU_CYCLE_1)
	v_cmp_lt_f64_e32 vcc_lo, v[81:82], v[85:86]
	v_dual_cndmask_b32 v62, v62, v79 :: v_dual_cndmask_b32 v61, v61, v78
	v_dual_cndmask_b32 v60, v60, v77 :: v_dual_cndmask_b32 v63, v63, v80
	v_cndmask_b32_e64 v68, v68, s6, vcc_lo
	s_add_i32 s6, s6, 1
	s_cmp_lg_u32 s5, s6
	s_cbranch_scc1 .LBB28_169
.LBB28_170:
	s_set_inst_prefetch_distance 0x2
	s_waitcnt lgkmcnt(0)
	v_cmp_eq_f64_e32 vcc_lo, 0, v[60:61]
	v_cmp_eq_f64_e64 s2, 0, v[62:63]
	s_delay_alu instid0(VALU_DEP_1) | instskip(NEXT) | instid1(SALU_CYCLE_1)
	s_and_b32 s2, vcc_lo, s2
	s_and_saveexec_b32 s3, s2
	s_delay_alu instid0(SALU_CYCLE_1)
	s_xor_b32 s2, exec_lo, s3
; %bb.171:
	v_cmp_ne_u32_e32 vcc_lo, 0, v74
	v_cndmask_b32_e32 v74, 9, v74, vcc_lo
; %bb.172:
	s_and_not1_saveexec_b32 s3, s2
	s_cbranch_execz .LBB28_178
; %bb.173:
	v_cmp_gt_f64_e32 vcc_lo, 0, v[60:61]
	v_cmp_gt_f64_e64 s2, 0, v[62:63]
	v_xor_b32_e32 v69, 0x80000000, v61
	v_xor_b32_e32 v77, 0x80000000, v63
	s_delay_alu instid0(VALU_DEP_2) | instskip(NEXT) | instid1(VALU_DEP_2)
	v_cndmask_b32_e32 v78, v61, v69, vcc_lo
	v_cndmask_b32_e64 v80, v63, v77, s2
	v_cndmask_b32_e32 v77, v60, v60, vcc_lo
	v_cndmask_b32_e64 v79, v62, v62, s2
	s_mov_b32 s2, exec_lo
	s_delay_alu instid0(VALU_DEP_1)
	v_cmpx_ngt_f64_e32 v[77:78], v[79:80]
	s_xor_b32 s2, exec_lo, s2
	s_cbranch_execz .LBB28_175
; %bb.174:
	v_div_scale_f64 v[77:78], null, v[62:63], v[62:63], v[60:61]
	v_div_scale_f64 v[83:84], vcc_lo, v[60:61], v[62:63], v[60:61]
	s_delay_alu instid0(VALU_DEP_2) | instskip(SKIP_2) | instid1(VALU_DEP_1)
	v_rcp_f64_e32 v[79:80], v[77:78]
	s_waitcnt_depctr 0xfff
	v_fma_f64 v[81:82], -v[77:78], v[79:80], 1.0
	v_fma_f64 v[79:80], v[79:80], v[81:82], v[79:80]
	s_delay_alu instid0(VALU_DEP_1) | instskip(NEXT) | instid1(VALU_DEP_1)
	v_fma_f64 v[81:82], -v[77:78], v[79:80], 1.0
	v_fma_f64 v[79:80], v[79:80], v[81:82], v[79:80]
	s_delay_alu instid0(VALU_DEP_1) | instskip(NEXT) | instid1(VALU_DEP_1)
	v_mul_f64 v[81:82], v[83:84], v[79:80]
	v_fma_f64 v[77:78], -v[77:78], v[81:82], v[83:84]
	s_delay_alu instid0(VALU_DEP_1) | instskip(NEXT) | instid1(VALU_DEP_1)
	v_div_fmas_f64 v[77:78], v[77:78], v[79:80], v[81:82]
	v_div_fixup_f64 v[77:78], v[77:78], v[62:63], v[60:61]
	s_delay_alu instid0(VALU_DEP_1) | instskip(NEXT) | instid1(VALU_DEP_1)
	v_fma_f64 v[60:61], v[60:61], v[77:78], v[62:63]
	v_div_scale_f64 v[62:63], null, v[60:61], v[60:61], 1.0
	s_delay_alu instid0(VALU_DEP_1) | instskip(SKIP_2) | instid1(VALU_DEP_1)
	v_rcp_f64_e32 v[79:80], v[62:63]
	s_waitcnt_depctr 0xfff
	v_fma_f64 v[81:82], -v[62:63], v[79:80], 1.0
	v_fma_f64 v[79:80], v[79:80], v[81:82], v[79:80]
	s_delay_alu instid0(VALU_DEP_1) | instskip(NEXT) | instid1(VALU_DEP_1)
	v_fma_f64 v[81:82], -v[62:63], v[79:80], 1.0
	v_fma_f64 v[79:80], v[79:80], v[81:82], v[79:80]
	v_div_scale_f64 v[81:82], vcc_lo, 1.0, v[60:61], 1.0
	s_delay_alu instid0(VALU_DEP_1) | instskip(NEXT) | instid1(VALU_DEP_1)
	v_mul_f64 v[83:84], v[81:82], v[79:80]
	v_fma_f64 v[62:63], -v[62:63], v[83:84], v[81:82]
	s_delay_alu instid0(VALU_DEP_1) | instskip(NEXT) | instid1(VALU_DEP_1)
	v_div_fmas_f64 v[62:63], v[62:63], v[79:80], v[83:84]
	v_div_fixup_f64 v[62:63], v[62:63], v[60:61], 1.0
	s_delay_alu instid0(VALU_DEP_1)
	v_mul_f64 v[60:61], v[77:78], v[62:63]
	v_xor_b32_e32 v63, 0x80000000, v63
.LBB28_175:
	s_and_not1_saveexec_b32 s2, s2
	s_cbranch_execz .LBB28_177
; %bb.176:
	s_delay_alu instid0(VALU_DEP_1) | instskip(SKIP_1) | instid1(VALU_DEP_2)
	v_div_scale_f64 v[77:78], null, v[60:61], v[60:61], v[62:63]
	v_div_scale_f64 v[83:84], vcc_lo, v[62:63], v[60:61], v[62:63]
	v_rcp_f64_e32 v[79:80], v[77:78]
	s_waitcnt_depctr 0xfff
	v_fma_f64 v[81:82], -v[77:78], v[79:80], 1.0
	s_delay_alu instid0(VALU_DEP_1) | instskip(NEXT) | instid1(VALU_DEP_1)
	v_fma_f64 v[79:80], v[79:80], v[81:82], v[79:80]
	v_fma_f64 v[81:82], -v[77:78], v[79:80], 1.0
	s_delay_alu instid0(VALU_DEP_1) | instskip(NEXT) | instid1(VALU_DEP_1)
	v_fma_f64 v[79:80], v[79:80], v[81:82], v[79:80]
	v_mul_f64 v[81:82], v[83:84], v[79:80]
	s_delay_alu instid0(VALU_DEP_1) | instskip(NEXT) | instid1(VALU_DEP_1)
	v_fma_f64 v[77:78], -v[77:78], v[81:82], v[83:84]
	v_div_fmas_f64 v[77:78], v[77:78], v[79:80], v[81:82]
	s_delay_alu instid0(VALU_DEP_1) | instskip(NEXT) | instid1(VALU_DEP_1)
	v_div_fixup_f64 v[77:78], v[77:78], v[60:61], v[62:63]
	v_fma_f64 v[60:61], v[62:63], v[77:78], v[60:61]
	s_delay_alu instid0(VALU_DEP_1) | instskip(NEXT) | instid1(VALU_DEP_1)
	v_div_scale_f64 v[62:63], null, v[60:61], v[60:61], 1.0
	v_rcp_f64_e32 v[79:80], v[62:63]
	s_waitcnt_depctr 0xfff
	v_fma_f64 v[81:82], -v[62:63], v[79:80], 1.0
	s_delay_alu instid0(VALU_DEP_1) | instskip(NEXT) | instid1(VALU_DEP_1)
	v_fma_f64 v[79:80], v[79:80], v[81:82], v[79:80]
	v_fma_f64 v[81:82], -v[62:63], v[79:80], 1.0
	s_delay_alu instid0(VALU_DEP_1) | instskip(SKIP_1) | instid1(VALU_DEP_1)
	v_fma_f64 v[79:80], v[79:80], v[81:82], v[79:80]
	v_div_scale_f64 v[81:82], vcc_lo, 1.0, v[60:61], 1.0
	v_mul_f64 v[83:84], v[81:82], v[79:80]
	s_delay_alu instid0(VALU_DEP_1) | instskip(NEXT) | instid1(VALU_DEP_1)
	v_fma_f64 v[62:63], -v[62:63], v[83:84], v[81:82]
	v_div_fmas_f64 v[62:63], v[62:63], v[79:80], v[83:84]
	s_delay_alu instid0(VALU_DEP_1) | instskip(NEXT) | instid1(VALU_DEP_1)
	v_div_fixup_f64 v[60:61], v[62:63], v[60:61], 1.0
	v_mul_f64 v[62:63], v[77:78], -v[60:61]
.LBB28_177:
	s_or_b32 exec_lo, exec_lo, s2
.LBB28_178:
	s_delay_alu instid0(SALU_CYCLE_1) | instskip(NEXT) | instid1(SALU_CYCLE_1)
	s_or_b32 exec_lo, exec_lo, s3
	s_mov_b32 s2, exec_lo
	v_cmpx_ne_u32_e64 v76, v68
	s_xor_b32 s2, exec_lo, s2
	s_cbranch_execz .LBB28_184
; %bb.179:
	s_mov_b32 s3, exec_lo
	v_cmpx_eq_u32_e32 8, v76
	s_cbranch_execz .LBB28_183
; %bb.180:
	v_cmp_ne_u32_e32 vcc_lo, 8, v68
	s_xor_b32 s6, s4, -1
	s_delay_alu instid0(SALU_CYCLE_1) | instskip(NEXT) | instid1(SALU_CYCLE_1)
	s_and_b32 s7, s6, vcc_lo
	s_and_saveexec_b32 s6, s7
	s_cbranch_execz .LBB28_182
; %bb.181:
	v_ashrrev_i32_e32 v69, 31, v68
	s_delay_alu instid0(VALU_DEP_1) | instskip(NEXT) | instid1(VALU_DEP_1)
	v_lshlrev_b64 v[76:77], 2, v[68:69]
	v_add_co_u32 v76, vcc_lo, v66, v76
	s_delay_alu instid0(VALU_DEP_2)
	v_add_co_ci_u32_e32 v77, vcc_lo, v67, v77, vcc_lo
	s_clause 0x1
	flat_load_b32 v69, v[76:77]
	flat_load_b32 v73, v[66:67] offset:32
	s_waitcnt vmcnt(1) lgkmcnt(1)
	flat_store_b32 v[66:67], v69 offset:32
	s_waitcnt vmcnt(0) lgkmcnt(1)
	flat_store_b32 v[76:77], v73
.LBB28_182:
	s_or_b32 exec_lo, exec_lo, s6
	v_mov_b32_e32 v76, v68
	v_mov_b32_e32 v73, v68
.LBB28_183:
	s_or_b32 exec_lo, exec_lo, s3
.LBB28_184:
	s_and_not1_saveexec_b32 s2, s2
	s_cbranch_execz .LBB28_186
; %bb.185:
	v_mov_b32_e32 v76, 8
	ds_store_2addr_b64 v70, v[20:21], v[22:23] offset0:18 offset1:19
	ds_store_2addr_b64 v70, v[16:17], v[18:19] offset0:20 offset1:21
	ds_store_2addr_b64 v70, v[12:13], v[14:15] offset0:22 offset1:23
	ds_store_2addr_b64 v70, v[8:9], v[10:11] offset0:24 offset1:25
	ds_store_2addr_b64 v70, v[4:5], v[6:7] offset0:26 offset1:27
	ds_store_2addr_b64 v70, v[0:1], v[2:3] offset0:28 offset1:29
.LBB28_186:
	s_or_b32 exec_lo, exec_lo, s2
	s_delay_alu instid0(SALU_CYCLE_1)
	s_mov_b32 s2, exec_lo
	s_waitcnt lgkmcnt(0)
	s_waitcnt_vscnt null, 0x0
	s_barrier
	buffer_gl0_inv
	v_cmpx_lt_i32_e32 8, v76
	s_cbranch_execz .LBB28_188
; %bb.187:
	v_mul_f64 v[68:69], v[60:61], v[26:27]
	v_mul_f64 v[26:27], v[62:63], v[26:27]
	ds_load_2addr_b64 v[77:80], v70 offset0:18 offset1:19
	ds_load_2addr_b64 v[81:84], v70 offset0:20 offset1:21
	;; [unrolled: 1-line block ×6, first 2 shown]
	v_fma_f64 v[62:63], v[62:63], v[24:25], v[68:69]
	v_fma_f64 v[24:25], v[60:61], v[24:25], -v[26:27]
	s_waitcnt lgkmcnt(5)
	s_delay_alu instid0(VALU_DEP_2)
	v_mul_f64 v[26:27], v[79:80], v[62:63]
	v_mul_f64 v[60:61], v[77:78], v[62:63]
	s_waitcnt lgkmcnt(4)
	v_mul_f64 v[68:69], v[83:84], v[62:63]
	v_mul_f64 v[101:102], v[81:82], v[62:63]
	s_waitcnt lgkmcnt(3)
	;; [unrolled: 3-line block ×5, first 2 shown]
	v_mul_f64 v[115:116], v[99:100], v[62:63]
	v_mul_f64 v[117:118], v[97:98], v[62:63]
	v_fma_f64 v[26:27], v[77:78], v[24:25], -v[26:27]
	v_fma_f64 v[60:61], v[79:80], v[24:25], v[60:61]
	v_fma_f64 v[68:69], v[81:82], v[24:25], -v[68:69]
	v_fma_f64 v[77:78], v[83:84], v[24:25], v[101:102]
	;; [unrolled: 2-line block ×6, first 2 shown]
	v_add_f64 v[20:21], v[20:21], -v[26:27]
	v_add_f64 v[22:23], v[22:23], -v[60:61]
	;; [unrolled: 1-line block ×12, first 2 shown]
	v_dual_mov_b32 v26, v62 :: v_dual_mov_b32 v27, v63
.LBB28_188:
	s_or_b32 exec_lo, exec_lo, s2
	v_lshl_add_u32 v60, v76, 4, v70
	s_barrier
	buffer_gl0_inv
	v_mov_b32_e32 v68, 9
	ds_store_2addr_b64 v60, v[20:21], v[22:23] offset1:1
	s_waitcnt lgkmcnt(0)
	s_barrier
	buffer_gl0_inv
	ds_load_2addr_b64 v[60:63], v70 offset0:18 offset1:19
	s_cmp_lt_i32 s5, 11
	s_cbranch_scc1 .LBB28_191
; %bb.189:
	v_add3_u32 v69, v75, 0, 0xa0
	v_mov_b32_e32 v68, 9
	s_mov_b32 s6, 10
	s_set_inst_prefetch_distance 0x1
	.p2align	6
.LBB28_190:                             ; =>This Inner Loop Header: Depth=1
	ds_load_2addr_b64 v[77:80], v69 offset1:1
	s_waitcnt lgkmcnt(1)
	v_cmp_gt_f64_e32 vcc_lo, 0, v[60:61]
	v_xor_b32_e32 v81, 0x80000000, v61
	v_cmp_gt_f64_e64 s2, 0, v[62:63]
	v_xor_b32_e32 v83, 0x80000000, v63
	v_add_nc_u32_e32 v69, 16, v69
	s_waitcnt lgkmcnt(0)
	v_cmp_gt_f64_e64 s3, 0, v[77:78]
	v_mov_b32_e32 v85, v77
	v_dual_mov_b32 v87, v79 :: v_dual_cndmask_b32 v82, v61, v81
	v_xor_b32_e32 v81, 0x80000000, v78
	v_cndmask_b32_e64 v84, v63, v83, s2
	v_xor_b32_e32 v83, 0x80000000, v80
	s_delay_alu instid0(VALU_DEP_3) | instskip(SKIP_2) | instid1(VALU_DEP_2)
	v_cndmask_b32_e64 v86, v78, v81, s3
	v_cmp_gt_f64_e64 s3, 0, v[79:80]
	v_cndmask_b32_e32 v81, v60, v60, vcc_lo
	v_cndmask_b32_e64 v88, v80, v83, s3
	v_cndmask_b32_e64 v83, v62, v62, s2
	s_delay_alu instid0(VALU_DEP_2) | instskip(NEXT) | instid1(VALU_DEP_2)
	v_add_f64 v[85:86], v[85:86], v[87:88]
	v_add_f64 v[81:82], v[81:82], v[83:84]
	s_delay_alu instid0(VALU_DEP_1) | instskip(SKIP_4) | instid1(SALU_CYCLE_1)
	v_cmp_lt_f64_e32 vcc_lo, v[81:82], v[85:86]
	v_dual_cndmask_b32 v62, v62, v79 :: v_dual_cndmask_b32 v61, v61, v78
	v_dual_cndmask_b32 v60, v60, v77 :: v_dual_cndmask_b32 v63, v63, v80
	v_cndmask_b32_e64 v68, v68, s6, vcc_lo
	s_add_i32 s6, s6, 1
	s_cmp_lg_u32 s5, s6
	s_cbranch_scc1 .LBB28_190
.LBB28_191:
	s_set_inst_prefetch_distance 0x2
	s_waitcnt lgkmcnt(0)
	v_cmp_eq_f64_e32 vcc_lo, 0, v[60:61]
	v_cmp_eq_f64_e64 s2, 0, v[62:63]
	s_delay_alu instid0(VALU_DEP_1) | instskip(NEXT) | instid1(SALU_CYCLE_1)
	s_and_b32 s2, vcc_lo, s2
	s_and_saveexec_b32 s3, s2
	s_delay_alu instid0(SALU_CYCLE_1)
	s_xor_b32 s2, exec_lo, s3
; %bb.192:
	v_cmp_ne_u32_e32 vcc_lo, 0, v74
	v_cndmask_b32_e32 v74, 10, v74, vcc_lo
; %bb.193:
	s_and_not1_saveexec_b32 s3, s2
	s_cbranch_execz .LBB28_199
; %bb.194:
	v_cmp_gt_f64_e32 vcc_lo, 0, v[60:61]
	v_cmp_gt_f64_e64 s2, 0, v[62:63]
	v_xor_b32_e32 v69, 0x80000000, v61
	v_xor_b32_e32 v77, 0x80000000, v63
	s_delay_alu instid0(VALU_DEP_2) | instskip(NEXT) | instid1(VALU_DEP_2)
	v_cndmask_b32_e32 v78, v61, v69, vcc_lo
	v_cndmask_b32_e64 v80, v63, v77, s2
	v_cndmask_b32_e32 v77, v60, v60, vcc_lo
	v_cndmask_b32_e64 v79, v62, v62, s2
	s_mov_b32 s2, exec_lo
	s_delay_alu instid0(VALU_DEP_1)
	v_cmpx_ngt_f64_e32 v[77:78], v[79:80]
	s_xor_b32 s2, exec_lo, s2
	s_cbranch_execz .LBB28_196
; %bb.195:
	v_div_scale_f64 v[77:78], null, v[62:63], v[62:63], v[60:61]
	v_div_scale_f64 v[83:84], vcc_lo, v[60:61], v[62:63], v[60:61]
	s_delay_alu instid0(VALU_DEP_2) | instskip(SKIP_2) | instid1(VALU_DEP_1)
	v_rcp_f64_e32 v[79:80], v[77:78]
	s_waitcnt_depctr 0xfff
	v_fma_f64 v[81:82], -v[77:78], v[79:80], 1.0
	v_fma_f64 v[79:80], v[79:80], v[81:82], v[79:80]
	s_delay_alu instid0(VALU_DEP_1) | instskip(NEXT) | instid1(VALU_DEP_1)
	v_fma_f64 v[81:82], -v[77:78], v[79:80], 1.0
	v_fma_f64 v[79:80], v[79:80], v[81:82], v[79:80]
	s_delay_alu instid0(VALU_DEP_1) | instskip(NEXT) | instid1(VALU_DEP_1)
	v_mul_f64 v[81:82], v[83:84], v[79:80]
	v_fma_f64 v[77:78], -v[77:78], v[81:82], v[83:84]
	s_delay_alu instid0(VALU_DEP_1) | instskip(NEXT) | instid1(VALU_DEP_1)
	v_div_fmas_f64 v[77:78], v[77:78], v[79:80], v[81:82]
	v_div_fixup_f64 v[77:78], v[77:78], v[62:63], v[60:61]
	s_delay_alu instid0(VALU_DEP_1) | instskip(NEXT) | instid1(VALU_DEP_1)
	v_fma_f64 v[60:61], v[60:61], v[77:78], v[62:63]
	v_div_scale_f64 v[62:63], null, v[60:61], v[60:61], 1.0
	s_delay_alu instid0(VALU_DEP_1) | instskip(SKIP_2) | instid1(VALU_DEP_1)
	v_rcp_f64_e32 v[79:80], v[62:63]
	s_waitcnt_depctr 0xfff
	v_fma_f64 v[81:82], -v[62:63], v[79:80], 1.0
	v_fma_f64 v[79:80], v[79:80], v[81:82], v[79:80]
	s_delay_alu instid0(VALU_DEP_1) | instskip(NEXT) | instid1(VALU_DEP_1)
	v_fma_f64 v[81:82], -v[62:63], v[79:80], 1.0
	v_fma_f64 v[79:80], v[79:80], v[81:82], v[79:80]
	v_div_scale_f64 v[81:82], vcc_lo, 1.0, v[60:61], 1.0
	s_delay_alu instid0(VALU_DEP_1) | instskip(NEXT) | instid1(VALU_DEP_1)
	v_mul_f64 v[83:84], v[81:82], v[79:80]
	v_fma_f64 v[62:63], -v[62:63], v[83:84], v[81:82]
	s_delay_alu instid0(VALU_DEP_1) | instskip(NEXT) | instid1(VALU_DEP_1)
	v_div_fmas_f64 v[62:63], v[62:63], v[79:80], v[83:84]
	v_div_fixup_f64 v[62:63], v[62:63], v[60:61], 1.0
	s_delay_alu instid0(VALU_DEP_1)
	v_mul_f64 v[60:61], v[77:78], v[62:63]
	v_xor_b32_e32 v63, 0x80000000, v63
.LBB28_196:
	s_and_not1_saveexec_b32 s2, s2
	s_cbranch_execz .LBB28_198
; %bb.197:
	s_delay_alu instid0(VALU_DEP_1) | instskip(SKIP_1) | instid1(VALU_DEP_2)
	v_div_scale_f64 v[77:78], null, v[60:61], v[60:61], v[62:63]
	v_div_scale_f64 v[83:84], vcc_lo, v[62:63], v[60:61], v[62:63]
	v_rcp_f64_e32 v[79:80], v[77:78]
	s_waitcnt_depctr 0xfff
	v_fma_f64 v[81:82], -v[77:78], v[79:80], 1.0
	s_delay_alu instid0(VALU_DEP_1) | instskip(NEXT) | instid1(VALU_DEP_1)
	v_fma_f64 v[79:80], v[79:80], v[81:82], v[79:80]
	v_fma_f64 v[81:82], -v[77:78], v[79:80], 1.0
	s_delay_alu instid0(VALU_DEP_1) | instskip(NEXT) | instid1(VALU_DEP_1)
	v_fma_f64 v[79:80], v[79:80], v[81:82], v[79:80]
	v_mul_f64 v[81:82], v[83:84], v[79:80]
	s_delay_alu instid0(VALU_DEP_1) | instskip(NEXT) | instid1(VALU_DEP_1)
	v_fma_f64 v[77:78], -v[77:78], v[81:82], v[83:84]
	v_div_fmas_f64 v[77:78], v[77:78], v[79:80], v[81:82]
	s_delay_alu instid0(VALU_DEP_1) | instskip(NEXT) | instid1(VALU_DEP_1)
	v_div_fixup_f64 v[77:78], v[77:78], v[60:61], v[62:63]
	v_fma_f64 v[60:61], v[62:63], v[77:78], v[60:61]
	s_delay_alu instid0(VALU_DEP_1) | instskip(NEXT) | instid1(VALU_DEP_1)
	v_div_scale_f64 v[62:63], null, v[60:61], v[60:61], 1.0
	v_rcp_f64_e32 v[79:80], v[62:63]
	s_waitcnt_depctr 0xfff
	v_fma_f64 v[81:82], -v[62:63], v[79:80], 1.0
	s_delay_alu instid0(VALU_DEP_1) | instskip(NEXT) | instid1(VALU_DEP_1)
	v_fma_f64 v[79:80], v[79:80], v[81:82], v[79:80]
	v_fma_f64 v[81:82], -v[62:63], v[79:80], 1.0
	s_delay_alu instid0(VALU_DEP_1) | instskip(SKIP_1) | instid1(VALU_DEP_1)
	v_fma_f64 v[79:80], v[79:80], v[81:82], v[79:80]
	v_div_scale_f64 v[81:82], vcc_lo, 1.0, v[60:61], 1.0
	v_mul_f64 v[83:84], v[81:82], v[79:80]
	s_delay_alu instid0(VALU_DEP_1) | instskip(NEXT) | instid1(VALU_DEP_1)
	v_fma_f64 v[62:63], -v[62:63], v[83:84], v[81:82]
	v_div_fmas_f64 v[62:63], v[62:63], v[79:80], v[83:84]
	s_delay_alu instid0(VALU_DEP_1) | instskip(NEXT) | instid1(VALU_DEP_1)
	v_div_fixup_f64 v[60:61], v[62:63], v[60:61], 1.0
	v_mul_f64 v[62:63], v[77:78], -v[60:61]
.LBB28_198:
	s_or_b32 exec_lo, exec_lo, s2
.LBB28_199:
	s_delay_alu instid0(SALU_CYCLE_1) | instskip(NEXT) | instid1(SALU_CYCLE_1)
	s_or_b32 exec_lo, exec_lo, s3
	s_mov_b32 s2, exec_lo
	v_cmpx_ne_u32_e64 v76, v68
	s_xor_b32 s2, exec_lo, s2
	s_cbranch_execz .LBB28_205
; %bb.200:
	s_mov_b32 s3, exec_lo
	v_cmpx_eq_u32_e32 9, v76
	s_cbranch_execz .LBB28_204
; %bb.201:
	v_cmp_ne_u32_e32 vcc_lo, 9, v68
	s_xor_b32 s6, s4, -1
	s_delay_alu instid0(SALU_CYCLE_1) | instskip(NEXT) | instid1(SALU_CYCLE_1)
	s_and_b32 s7, s6, vcc_lo
	s_and_saveexec_b32 s6, s7
	s_cbranch_execz .LBB28_203
; %bb.202:
	v_ashrrev_i32_e32 v69, 31, v68
	s_delay_alu instid0(VALU_DEP_1) | instskip(NEXT) | instid1(VALU_DEP_1)
	v_lshlrev_b64 v[76:77], 2, v[68:69]
	v_add_co_u32 v76, vcc_lo, v66, v76
	s_delay_alu instid0(VALU_DEP_2)
	v_add_co_ci_u32_e32 v77, vcc_lo, v67, v77, vcc_lo
	s_clause 0x1
	flat_load_b32 v69, v[76:77]
	flat_load_b32 v73, v[66:67] offset:36
	s_waitcnt vmcnt(1) lgkmcnt(1)
	flat_store_b32 v[66:67], v69 offset:36
	s_waitcnt vmcnt(0) lgkmcnt(1)
	flat_store_b32 v[76:77], v73
.LBB28_203:
	s_or_b32 exec_lo, exec_lo, s6
	v_mov_b32_e32 v76, v68
	v_mov_b32_e32 v73, v68
.LBB28_204:
	s_or_b32 exec_lo, exec_lo, s3
.LBB28_205:
	s_and_not1_saveexec_b32 s2, s2
	s_cbranch_execz .LBB28_207
; %bb.206:
	v_mov_b32_e32 v76, 9
	ds_store_2addr_b64 v70, v[16:17], v[18:19] offset0:20 offset1:21
	ds_store_2addr_b64 v70, v[12:13], v[14:15] offset0:22 offset1:23
	;; [unrolled: 1-line block ×5, first 2 shown]
.LBB28_207:
	s_or_b32 exec_lo, exec_lo, s2
	s_delay_alu instid0(SALU_CYCLE_1)
	s_mov_b32 s2, exec_lo
	s_waitcnt lgkmcnt(0)
	s_waitcnt_vscnt null, 0x0
	s_barrier
	buffer_gl0_inv
	v_cmpx_lt_i32_e32 9, v76
	s_cbranch_execz .LBB28_209
; %bb.208:
	v_mul_f64 v[68:69], v[60:61], v[22:23]
	v_mul_f64 v[22:23], v[62:63], v[22:23]
	ds_load_2addr_b64 v[77:80], v70 offset0:20 offset1:21
	ds_load_2addr_b64 v[81:84], v70 offset0:22 offset1:23
	;; [unrolled: 1-line block ×5, first 2 shown]
	v_fma_f64 v[62:63], v[62:63], v[20:21], v[68:69]
	v_fma_f64 v[20:21], v[60:61], v[20:21], -v[22:23]
	s_waitcnt lgkmcnt(4)
	s_delay_alu instid0(VALU_DEP_2)
	v_mul_f64 v[22:23], v[79:80], v[62:63]
	v_mul_f64 v[60:61], v[77:78], v[62:63]
	s_waitcnt lgkmcnt(3)
	v_mul_f64 v[68:69], v[83:84], v[62:63]
	v_mul_f64 v[97:98], v[81:82], v[62:63]
	s_waitcnt lgkmcnt(2)
	;; [unrolled: 3-line block ×4, first 2 shown]
	v_mul_f64 v[107:108], v[95:96], v[62:63]
	v_mul_f64 v[109:110], v[93:94], v[62:63]
	v_fma_f64 v[22:23], v[77:78], v[20:21], -v[22:23]
	v_fma_f64 v[60:61], v[79:80], v[20:21], v[60:61]
	v_fma_f64 v[68:69], v[81:82], v[20:21], -v[68:69]
	v_fma_f64 v[77:78], v[83:84], v[20:21], v[97:98]
	;; [unrolled: 2-line block ×5, first 2 shown]
	v_add_f64 v[16:17], v[16:17], -v[22:23]
	v_add_f64 v[18:19], v[18:19], -v[60:61]
	;; [unrolled: 1-line block ×10, first 2 shown]
	v_dual_mov_b32 v22, v62 :: v_dual_mov_b32 v23, v63
.LBB28_209:
	s_or_b32 exec_lo, exec_lo, s2
	v_lshl_add_u32 v60, v76, 4, v70
	s_barrier
	buffer_gl0_inv
	v_mov_b32_e32 v68, 10
	ds_store_2addr_b64 v60, v[16:17], v[18:19] offset1:1
	s_waitcnt lgkmcnt(0)
	s_barrier
	buffer_gl0_inv
	ds_load_2addr_b64 v[60:63], v70 offset0:20 offset1:21
	s_cmp_lt_i32 s5, 12
	s_cbranch_scc1 .LBB28_212
; %bb.210:
	v_add3_u32 v69, v75, 0, 0xb0
	v_mov_b32_e32 v68, 10
	s_mov_b32 s6, 11
	s_set_inst_prefetch_distance 0x1
	.p2align	6
.LBB28_211:                             ; =>This Inner Loop Header: Depth=1
	ds_load_2addr_b64 v[77:80], v69 offset1:1
	s_waitcnt lgkmcnt(1)
	v_cmp_gt_f64_e32 vcc_lo, 0, v[60:61]
	v_xor_b32_e32 v81, 0x80000000, v61
	v_cmp_gt_f64_e64 s2, 0, v[62:63]
	v_xor_b32_e32 v83, 0x80000000, v63
	v_add_nc_u32_e32 v69, 16, v69
	s_waitcnt lgkmcnt(0)
	v_cmp_gt_f64_e64 s3, 0, v[77:78]
	v_mov_b32_e32 v85, v77
	v_dual_mov_b32 v87, v79 :: v_dual_cndmask_b32 v82, v61, v81
	v_xor_b32_e32 v81, 0x80000000, v78
	v_cndmask_b32_e64 v84, v63, v83, s2
	v_xor_b32_e32 v83, 0x80000000, v80
	s_delay_alu instid0(VALU_DEP_3) | instskip(SKIP_2) | instid1(VALU_DEP_2)
	v_cndmask_b32_e64 v86, v78, v81, s3
	v_cmp_gt_f64_e64 s3, 0, v[79:80]
	v_cndmask_b32_e32 v81, v60, v60, vcc_lo
	v_cndmask_b32_e64 v88, v80, v83, s3
	v_cndmask_b32_e64 v83, v62, v62, s2
	s_delay_alu instid0(VALU_DEP_2) | instskip(NEXT) | instid1(VALU_DEP_2)
	v_add_f64 v[85:86], v[85:86], v[87:88]
	v_add_f64 v[81:82], v[81:82], v[83:84]
	s_delay_alu instid0(VALU_DEP_1) | instskip(SKIP_4) | instid1(SALU_CYCLE_1)
	v_cmp_lt_f64_e32 vcc_lo, v[81:82], v[85:86]
	v_dual_cndmask_b32 v62, v62, v79 :: v_dual_cndmask_b32 v61, v61, v78
	v_dual_cndmask_b32 v60, v60, v77 :: v_dual_cndmask_b32 v63, v63, v80
	v_cndmask_b32_e64 v68, v68, s6, vcc_lo
	s_add_i32 s6, s6, 1
	s_cmp_lg_u32 s5, s6
	s_cbranch_scc1 .LBB28_211
.LBB28_212:
	s_set_inst_prefetch_distance 0x2
	s_waitcnt lgkmcnt(0)
	v_cmp_eq_f64_e32 vcc_lo, 0, v[60:61]
	v_cmp_eq_f64_e64 s2, 0, v[62:63]
	s_delay_alu instid0(VALU_DEP_1) | instskip(NEXT) | instid1(SALU_CYCLE_1)
	s_and_b32 s2, vcc_lo, s2
	s_and_saveexec_b32 s3, s2
	s_delay_alu instid0(SALU_CYCLE_1)
	s_xor_b32 s2, exec_lo, s3
; %bb.213:
	v_cmp_ne_u32_e32 vcc_lo, 0, v74
	v_cndmask_b32_e32 v74, 11, v74, vcc_lo
; %bb.214:
	s_and_not1_saveexec_b32 s3, s2
	s_cbranch_execz .LBB28_220
; %bb.215:
	v_cmp_gt_f64_e32 vcc_lo, 0, v[60:61]
	v_cmp_gt_f64_e64 s2, 0, v[62:63]
	v_xor_b32_e32 v69, 0x80000000, v61
	v_xor_b32_e32 v77, 0x80000000, v63
	s_delay_alu instid0(VALU_DEP_2) | instskip(NEXT) | instid1(VALU_DEP_2)
	v_cndmask_b32_e32 v78, v61, v69, vcc_lo
	v_cndmask_b32_e64 v80, v63, v77, s2
	v_cndmask_b32_e32 v77, v60, v60, vcc_lo
	v_cndmask_b32_e64 v79, v62, v62, s2
	s_mov_b32 s2, exec_lo
	s_delay_alu instid0(VALU_DEP_1)
	v_cmpx_ngt_f64_e32 v[77:78], v[79:80]
	s_xor_b32 s2, exec_lo, s2
	s_cbranch_execz .LBB28_217
; %bb.216:
	v_div_scale_f64 v[77:78], null, v[62:63], v[62:63], v[60:61]
	v_div_scale_f64 v[83:84], vcc_lo, v[60:61], v[62:63], v[60:61]
	s_delay_alu instid0(VALU_DEP_2) | instskip(SKIP_2) | instid1(VALU_DEP_1)
	v_rcp_f64_e32 v[79:80], v[77:78]
	s_waitcnt_depctr 0xfff
	v_fma_f64 v[81:82], -v[77:78], v[79:80], 1.0
	v_fma_f64 v[79:80], v[79:80], v[81:82], v[79:80]
	s_delay_alu instid0(VALU_DEP_1) | instskip(NEXT) | instid1(VALU_DEP_1)
	v_fma_f64 v[81:82], -v[77:78], v[79:80], 1.0
	v_fma_f64 v[79:80], v[79:80], v[81:82], v[79:80]
	s_delay_alu instid0(VALU_DEP_1) | instskip(NEXT) | instid1(VALU_DEP_1)
	v_mul_f64 v[81:82], v[83:84], v[79:80]
	v_fma_f64 v[77:78], -v[77:78], v[81:82], v[83:84]
	s_delay_alu instid0(VALU_DEP_1) | instskip(NEXT) | instid1(VALU_DEP_1)
	v_div_fmas_f64 v[77:78], v[77:78], v[79:80], v[81:82]
	v_div_fixup_f64 v[77:78], v[77:78], v[62:63], v[60:61]
	s_delay_alu instid0(VALU_DEP_1) | instskip(NEXT) | instid1(VALU_DEP_1)
	v_fma_f64 v[60:61], v[60:61], v[77:78], v[62:63]
	v_div_scale_f64 v[62:63], null, v[60:61], v[60:61], 1.0
	s_delay_alu instid0(VALU_DEP_1) | instskip(SKIP_2) | instid1(VALU_DEP_1)
	v_rcp_f64_e32 v[79:80], v[62:63]
	s_waitcnt_depctr 0xfff
	v_fma_f64 v[81:82], -v[62:63], v[79:80], 1.0
	v_fma_f64 v[79:80], v[79:80], v[81:82], v[79:80]
	s_delay_alu instid0(VALU_DEP_1) | instskip(NEXT) | instid1(VALU_DEP_1)
	v_fma_f64 v[81:82], -v[62:63], v[79:80], 1.0
	v_fma_f64 v[79:80], v[79:80], v[81:82], v[79:80]
	v_div_scale_f64 v[81:82], vcc_lo, 1.0, v[60:61], 1.0
	s_delay_alu instid0(VALU_DEP_1) | instskip(NEXT) | instid1(VALU_DEP_1)
	v_mul_f64 v[83:84], v[81:82], v[79:80]
	v_fma_f64 v[62:63], -v[62:63], v[83:84], v[81:82]
	s_delay_alu instid0(VALU_DEP_1) | instskip(NEXT) | instid1(VALU_DEP_1)
	v_div_fmas_f64 v[62:63], v[62:63], v[79:80], v[83:84]
	v_div_fixup_f64 v[62:63], v[62:63], v[60:61], 1.0
	s_delay_alu instid0(VALU_DEP_1)
	v_mul_f64 v[60:61], v[77:78], v[62:63]
	v_xor_b32_e32 v63, 0x80000000, v63
.LBB28_217:
	s_and_not1_saveexec_b32 s2, s2
	s_cbranch_execz .LBB28_219
; %bb.218:
	s_delay_alu instid0(VALU_DEP_1) | instskip(SKIP_1) | instid1(VALU_DEP_2)
	v_div_scale_f64 v[77:78], null, v[60:61], v[60:61], v[62:63]
	v_div_scale_f64 v[83:84], vcc_lo, v[62:63], v[60:61], v[62:63]
	v_rcp_f64_e32 v[79:80], v[77:78]
	s_waitcnt_depctr 0xfff
	v_fma_f64 v[81:82], -v[77:78], v[79:80], 1.0
	s_delay_alu instid0(VALU_DEP_1) | instskip(NEXT) | instid1(VALU_DEP_1)
	v_fma_f64 v[79:80], v[79:80], v[81:82], v[79:80]
	v_fma_f64 v[81:82], -v[77:78], v[79:80], 1.0
	s_delay_alu instid0(VALU_DEP_1) | instskip(NEXT) | instid1(VALU_DEP_1)
	v_fma_f64 v[79:80], v[79:80], v[81:82], v[79:80]
	v_mul_f64 v[81:82], v[83:84], v[79:80]
	s_delay_alu instid0(VALU_DEP_1) | instskip(NEXT) | instid1(VALU_DEP_1)
	v_fma_f64 v[77:78], -v[77:78], v[81:82], v[83:84]
	v_div_fmas_f64 v[77:78], v[77:78], v[79:80], v[81:82]
	s_delay_alu instid0(VALU_DEP_1) | instskip(NEXT) | instid1(VALU_DEP_1)
	v_div_fixup_f64 v[77:78], v[77:78], v[60:61], v[62:63]
	v_fma_f64 v[60:61], v[62:63], v[77:78], v[60:61]
	s_delay_alu instid0(VALU_DEP_1) | instskip(NEXT) | instid1(VALU_DEP_1)
	v_div_scale_f64 v[62:63], null, v[60:61], v[60:61], 1.0
	v_rcp_f64_e32 v[79:80], v[62:63]
	s_waitcnt_depctr 0xfff
	v_fma_f64 v[81:82], -v[62:63], v[79:80], 1.0
	s_delay_alu instid0(VALU_DEP_1) | instskip(NEXT) | instid1(VALU_DEP_1)
	v_fma_f64 v[79:80], v[79:80], v[81:82], v[79:80]
	v_fma_f64 v[81:82], -v[62:63], v[79:80], 1.0
	s_delay_alu instid0(VALU_DEP_1) | instskip(SKIP_1) | instid1(VALU_DEP_1)
	v_fma_f64 v[79:80], v[79:80], v[81:82], v[79:80]
	v_div_scale_f64 v[81:82], vcc_lo, 1.0, v[60:61], 1.0
	v_mul_f64 v[83:84], v[81:82], v[79:80]
	s_delay_alu instid0(VALU_DEP_1) | instskip(NEXT) | instid1(VALU_DEP_1)
	v_fma_f64 v[62:63], -v[62:63], v[83:84], v[81:82]
	v_div_fmas_f64 v[62:63], v[62:63], v[79:80], v[83:84]
	s_delay_alu instid0(VALU_DEP_1) | instskip(NEXT) | instid1(VALU_DEP_1)
	v_div_fixup_f64 v[60:61], v[62:63], v[60:61], 1.0
	v_mul_f64 v[62:63], v[77:78], -v[60:61]
.LBB28_219:
	s_or_b32 exec_lo, exec_lo, s2
.LBB28_220:
	s_delay_alu instid0(SALU_CYCLE_1) | instskip(NEXT) | instid1(SALU_CYCLE_1)
	s_or_b32 exec_lo, exec_lo, s3
	s_mov_b32 s2, exec_lo
	v_cmpx_ne_u32_e64 v76, v68
	s_xor_b32 s2, exec_lo, s2
	s_cbranch_execz .LBB28_226
; %bb.221:
	s_mov_b32 s3, exec_lo
	v_cmpx_eq_u32_e32 10, v76
	s_cbranch_execz .LBB28_225
; %bb.222:
	v_cmp_ne_u32_e32 vcc_lo, 10, v68
	s_xor_b32 s6, s4, -1
	s_delay_alu instid0(SALU_CYCLE_1) | instskip(NEXT) | instid1(SALU_CYCLE_1)
	s_and_b32 s7, s6, vcc_lo
	s_and_saveexec_b32 s6, s7
	s_cbranch_execz .LBB28_224
; %bb.223:
	v_ashrrev_i32_e32 v69, 31, v68
	s_delay_alu instid0(VALU_DEP_1) | instskip(NEXT) | instid1(VALU_DEP_1)
	v_lshlrev_b64 v[76:77], 2, v[68:69]
	v_add_co_u32 v76, vcc_lo, v66, v76
	s_delay_alu instid0(VALU_DEP_2)
	v_add_co_ci_u32_e32 v77, vcc_lo, v67, v77, vcc_lo
	s_clause 0x1
	flat_load_b32 v69, v[76:77]
	flat_load_b32 v73, v[66:67] offset:40
	s_waitcnt vmcnt(1) lgkmcnt(1)
	flat_store_b32 v[66:67], v69 offset:40
	s_waitcnt vmcnt(0) lgkmcnt(1)
	flat_store_b32 v[76:77], v73
.LBB28_224:
	s_or_b32 exec_lo, exec_lo, s6
	v_mov_b32_e32 v76, v68
	v_mov_b32_e32 v73, v68
.LBB28_225:
	s_or_b32 exec_lo, exec_lo, s3
.LBB28_226:
	s_and_not1_saveexec_b32 s2, s2
	s_cbranch_execz .LBB28_228
; %bb.227:
	v_mov_b32_e32 v76, 10
	ds_store_2addr_b64 v70, v[12:13], v[14:15] offset0:22 offset1:23
	ds_store_2addr_b64 v70, v[8:9], v[10:11] offset0:24 offset1:25
	;; [unrolled: 1-line block ×4, first 2 shown]
.LBB28_228:
	s_or_b32 exec_lo, exec_lo, s2
	s_delay_alu instid0(SALU_CYCLE_1)
	s_mov_b32 s2, exec_lo
	s_waitcnt lgkmcnt(0)
	s_waitcnt_vscnt null, 0x0
	s_barrier
	buffer_gl0_inv
	v_cmpx_lt_i32_e32 10, v76
	s_cbranch_execz .LBB28_230
; %bb.229:
	v_mul_f64 v[68:69], v[60:61], v[18:19]
	v_mul_f64 v[18:19], v[62:63], v[18:19]
	ds_load_2addr_b64 v[77:80], v70 offset0:22 offset1:23
	ds_load_2addr_b64 v[81:84], v70 offset0:24 offset1:25
	;; [unrolled: 1-line block ×4, first 2 shown]
	v_fma_f64 v[62:63], v[62:63], v[16:17], v[68:69]
	v_fma_f64 v[16:17], v[60:61], v[16:17], -v[18:19]
	s_waitcnt lgkmcnt(3)
	s_delay_alu instid0(VALU_DEP_2)
	v_mul_f64 v[18:19], v[79:80], v[62:63]
	v_mul_f64 v[60:61], v[77:78], v[62:63]
	s_waitcnt lgkmcnt(2)
	v_mul_f64 v[68:69], v[83:84], v[62:63]
	v_mul_f64 v[93:94], v[81:82], v[62:63]
	s_waitcnt lgkmcnt(1)
	;; [unrolled: 3-line block ×3, first 2 shown]
	v_mul_f64 v[99:100], v[91:92], v[62:63]
	v_mul_f64 v[101:102], v[89:90], v[62:63]
	v_fma_f64 v[18:19], v[77:78], v[16:17], -v[18:19]
	v_fma_f64 v[60:61], v[79:80], v[16:17], v[60:61]
	v_fma_f64 v[68:69], v[81:82], v[16:17], -v[68:69]
	v_fma_f64 v[77:78], v[83:84], v[16:17], v[93:94]
	;; [unrolled: 2-line block ×4, first 2 shown]
	v_add_f64 v[12:13], v[12:13], -v[18:19]
	v_add_f64 v[14:15], v[14:15], -v[60:61]
	;; [unrolled: 1-line block ×8, first 2 shown]
	v_dual_mov_b32 v18, v62 :: v_dual_mov_b32 v19, v63
.LBB28_230:
	s_or_b32 exec_lo, exec_lo, s2
	v_lshl_add_u32 v60, v76, 4, v70
	s_barrier
	buffer_gl0_inv
	v_mov_b32_e32 v68, 11
	ds_store_2addr_b64 v60, v[12:13], v[14:15] offset1:1
	s_waitcnt lgkmcnt(0)
	s_barrier
	buffer_gl0_inv
	ds_load_2addr_b64 v[60:63], v70 offset0:22 offset1:23
	s_cmp_lt_i32 s5, 13
	s_cbranch_scc1 .LBB28_233
; %bb.231:
	v_add3_u32 v69, v75, 0, 0xc0
	v_mov_b32_e32 v68, 11
	s_mov_b32 s6, 12
	s_set_inst_prefetch_distance 0x1
	.p2align	6
.LBB28_232:                             ; =>This Inner Loop Header: Depth=1
	ds_load_2addr_b64 v[77:80], v69 offset1:1
	s_waitcnt lgkmcnt(1)
	v_cmp_gt_f64_e32 vcc_lo, 0, v[60:61]
	v_xor_b32_e32 v81, 0x80000000, v61
	v_cmp_gt_f64_e64 s2, 0, v[62:63]
	v_xor_b32_e32 v83, 0x80000000, v63
	v_add_nc_u32_e32 v69, 16, v69
	s_waitcnt lgkmcnt(0)
	v_cmp_gt_f64_e64 s3, 0, v[77:78]
	v_mov_b32_e32 v85, v77
	v_dual_mov_b32 v87, v79 :: v_dual_cndmask_b32 v82, v61, v81
	v_xor_b32_e32 v81, 0x80000000, v78
	v_cndmask_b32_e64 v84, v63, v83, s2
	v_xor_b32_e32 v83, 0x80000000, v80
	s_delay_alu instid0(VALU_DEP_3) | instskip(SKIP_2) | instid1(VALU_DEP_2)
	v_cndmask_b32_e64 v86, v78, v81, s3
	v_cmp_gt_f64_e64 s3, 0, v[79:80]
	v_cndmask_b32_e32 v81, v60, v60, vcc_lo
	v_cndmask_b32_e64 v88, v80, v83, s3
	v_cndmask_b32_e64 v83, v62, v62, s2
	s_delay_alu instid0(VALU_DEP_2) | instskip(NEXT) | instid1(VALU_DEP_2)
	v_add_f64 v[85:86], v[85:86], v[87:88]
	v_add_f64 v[81:82], v[81:82], v[83:84]
	s_delay_alu instid0(VALU_DEP_1) | instskip(SKIP_4) | instid1(SALU_CYCLE_1)
	v_cmp_lt_f64_e32 vcc_lo, v[81:82], v[85:86]
	v_dual_cndmask_b32 v62, v62, v79 :: v_dual_cndmask_b32 v61, v61, v78
	v_dual_cndmask_b32 v60, v60, v77 :: v_dual_cndmask_b32 v63, v63, v80
	v_cndmask_b32_e64 v68, v68, s6, vcc_lo
	s_add_i32 s6, s6, 1
	s_cmp_lg_u32 s5, s6
	s_cbranch_scc1 .LBB28_232
.LBB28_233:
	s_set_inst_prefetch_distance 0x2
	s_waitcnt lgkmcnt(0)
	v_cmp_eq_f64_e32 vcc_lo, 0, v[60:61]
	v_cmp_eq_f64_e64 s2, 0, v[62:63]
	s_delay_alu instid0(VALU_DEP_1) | instskip(NEXT) | instid1(SALU_CYCLE_1)
	s_and_b32 s2, vcc_lo, s2
	s_and_saveexec_b32 s3, s2
	s_delay_alu instid0(SALU_CYCLE_1)
	s_xor_b32 s2, exec_lo, s3
; %bb.234:
	v_cmp_ne_u32_e32 vcc_lo, 0, v74
	v_cndmask_b32_e32 v74, 12, v74, vcc_lo
; %bb.235:
	s_and_not1_saveexec_b32 s3, s2
	s_cbranch_execz .LBB28_241
; %bb.236:
	v_cmp_gt_f64_e32 vcc_lo, 0, v[60:61]
	v_cmp_gt_f64_e64 s2, 0, v[62:63]
	v_xor_b32_e32 v69, 0x80000000, v61
	v_xor_b32_e32 v77, 0x80000000, v63
	s_delay_alu instid0(VALU_DEP_2) | instskip(NEXT) | instid1(VALU_DEP_2)
	v_cndmask_b32_e32 v78, v61, v69, vcc_lo
	v_cndmask_b32_e64 v80, v63, v77, s2
	v_cndmask_b32_e32 v77, v60, v60, vcc_lo
	v_cndmask_b32_e64 v79, v62, v62, s2
	s_mov_b32 s2, exec_lo
	s_delay_alu instid0(VALU_DEP_1)
	v_cmpx_ngt_f64_e32 v[77:78], v[79:80]
	s_xor_b32 s2, exec_lo, s2
	s_cbranch_execz .LBB28_238
; %bb.237:
	v_div_scale_f64 v[77:78], null, v[62:63], v[62:63], v[60:61]
	v_div_scale_f64 v[83:84], vcc_lo, v[60:61], v[62:63], v[60:61]
	s_delay_alu instid0(VALU_DEP_2) | instskip(SKIP_2) | instid1(VALU_DEP_1)
	v_rcp_f64_e32 v[79:80], v[77:78]
	s_waitcnt_depctr 0xfff
	v_fma_f64 v[81:82], -v[77:78], v[79:80], 1.0
	v_fma_f64 v[79:80], v[79:80], v[81:82], v[79:80]
	s_delay_alu instid0(VALU_DEP_1) | instskip(NEXT) | instid1(VALU_DEP_1)
	v_fma_f64 v[81:82], -v[77:78], v[79:80], 1.0
	v_fma_f64 v[79:80], v[79:80], v[81:82], v[79:80]
	s_delay_alu instid0(VALU_DEP_1) | instskip(NEXT) | instid1(VALU_DEP_1)
	v_mul_f64 v[81:82], v[83:84], v[79:80]
	v_fma_f64 v[77:78], -v[77:78], v[81:82], v[83:84]
	s_delay_alu instid0(VALU_DEP_1) | instskip(NEXT) | instid1(VALU_DEP_1)
	v_div_fmas_f64 v[77:78], v[77:78], v[79:80], v[81:82]
	v_div_fixup_f64 v[77:78], v[77:78], v[62:63], v[60:61]
	s_delay_alu instid0(VALU_DEP_1) | instskip(NEXT) | instid1(VALU_DEP_1)
	v_fma_f64 v[60:61], v[60:61], v[77:78], v[62:63]
	v_div_scale_f64 v[62:63], null, v[60:61], v[60:61], 1.0
	s_delay_alu instid0(VALU_DEP_1) | instskip(SKIP_2) | instid1(VALU_DEP_1)
	v_rcp_f64_e32 v[79:80], v[62:63]
	s_waitcnt_depctr 0xfff
	v_fma_f64 v[81:82], -v[62:63], v[79:80], 1.0
	v_fma_f64 v[79:80], v[79:80], v[81:82], v[79:80]
	s_delay_alu instid0(VALU_DEP_1) | instskip(NEXT) | instid1(VALU_DEP_1)
	v_fma_f64 v[81:82], -v[62:63], v[79:80], 1.0
	v_fma_f64 v[79:80], v[79:80], v[81:82], v[79:80]
	v_div_scale_f64 v[81:82], vcc_lo, 1.0, v[60:61], 1.0
	s_delay_alu instid0(VALU_DEP_1) | instskip(NEXT) | instid1(VALU_DEP_1)
	v_mul_f64 v[83:84], v[81:82], v[79:80]
	v_fma_f64 v[62:63], -v[62:63], v[83:84], v[81:82]
	s_delay_alu instid0(VALU_DEP_1) | instskip(NEXT) | instid1(VALU_DEP_1)
	v_div_fmas_f64 v[62:63], v[62:63], v[79:80], v[83:84]
	v_div_fixup_f64 v[62:63], v[62:63], v[60:61], 1.0
	s_delay_alu instid0(VALU_DEP_1)
	v_mul_f64 v[60:61], v[77:78], v[62:63]
	v_xor_b32_e32 v63, 0x80000000, v63
.LBB28_238:
	s_and_not1_saveexec_b32 s2, s2
	s_cbranch_execz .LBB28_240
; %bb.239:
	s_delay_alu instid0(VALU_DEP_1) | instskip(SKIP_1) | instid1(VALU_DEP_2)
	v_div_scale_f64 v[77:78], null, v[60:61], v[60:61], v[62:63]
	v_div_scale_f64 v[83:84], vcc_lo, v[62:63], v[60:61], v[62:63]
	v_rcp_f64_e32 v[79:80], v[77:78]
	s_waitcnt_depctr 0xfff
	v_fma_f64 v[81:82], -v[77:78], v[79:80], 1.0
	s_delay_alu instid0(VALU_DEP_1) | instskip(NEXT) | instid1(VALU_DEP_1)
	v_fma_f64 v[79:80], v[79:80], v[81:82], v[79:80]
	v_fma_f64 v[81:82], -v[77:78], v[79:80], 1.0
	s_delay_alu instid0(VALU_DEP_1) | instskip(NEXT) | instid1(VALU_DEP_1)
	v_fma_f64 v[79:80], v[79:80], v[81:82], v[79:80]
	v_mul_f64 v[81:82], v[83:84], v[79:80]
	s_delay_alu instid0(VALU_DEP_1) | instskip(NEXT) | instid1(VALU_DEP_1)
	v_fma_f64 v[77:78], -v[77:78], v[81:82], v[83:84]
	v_div_fmas_f64 v[77:78], v[77:78], v[79:80], v[81:82]
	s_delay_alu instid0(VALU_DEP_1) | instskip(NEXT) | instid1(VALU_DEP_1)
	v_div_fixup_f64 v[77:78], v[77:78], v[60:61], v[62:63]
	v_fma_f64 v[60:61], v[62:63], v[77:78], v[60:61]
	s_delay_alu instid0(VALU_DEP_1) | instskip(NEXT) | instid1(VALU_DEP_1)
	v_div_scale_f64 v[62:63], null, v[60:61], v[60:61], 1.0
	v_rcp_f64_e32 v[79:80], v[62:63]
	s_waitcnt_depctr 0xfff
	v_fma_f64 v[81:82], -v[62:63], v[79:80], 1.0
	s_delay_alu instid0(VALU_DEP_1) | instskip(NEXT) | instid1(VALU_DEP_1)
	v_fma_f64 v[79:80], v[79:80], v[81:82], v[79:80]
	v_fma_f64 v[81:82], -v[62:63], v[79:80], 1.0
	s_delay_alu instid0(VALU_DEP_1) | instskip(SKIP_1) | instid1(VALU_DEP_1)
	v_fma_f64 v[79:80], v[79:80], v[81:82], v[79:80]
	v_div_scale_f64 v[81:82], vcc_lo, 1.0, v[60:61], 1.0
	v_mul_f64 v[83:84], v[81:82], v[79:80]
	s_delay_alu instid0(VALU_DEP_1) | instskip(NEXT) | instid1(VALU_DEP_1)
	v_fma_f64 v[62:63], -v[62:63], v[83:84], v[81:82]
	v_div_fmas_f64 v[62:63], v[62:63], v[79:80], v[83:84]
	s_delay_alu instid0(VALU_DEP_1) | instskip(NEXT) | instid1(VALU_DEP_1)
	v_div_fixup_f64 v[60:61], v[62:63], v[60:61], 1.0
	v_mul_f64 v[62:63], v[77:78], -v[60:61]
.LBB28_240:
	s_or_b32 exec_lo, exec_lo, s2
.LBB28_241:
	s_delay_alu instid0(SALU_CYCLE_1) | instskip(NEXT) | instid1(SALU_CYCLE_1)
	s_or_b32 exec_lo, exec_lo, s3
	s_mov_b32 s2, exec_lo
	v_cmpx_ne_u32_e64 v76, v68
	s_xor_b32 s2, exec_lo, s2
	s_cbranch_execz .LBB28_247
; %bb.242:
	s_mov_b32 s3, exec_lo
	v_cmpx_eq_u32_e32 11, v76
	s_cbranch_execz .LBB28_246
; %bb.243:
	v_cmp_ne_u32_e32 vcc_lo, 11, v68
	s_xor_b32 s6, s4, -1
	s_delay_alu instid0(SALU_CYCLE_1) | instskip(NEXT) | instid1(SALU_CYCLE_1)
	s_and_b32 s7, s6, vcc_lo
	s_and_saveexec_b32 s6, s7
	s_cbranch_execz .LBB28_245
; %bb.244:
	v_ashrrev_i32_e32 v69, 31, v68
	s_delay_alu instid0(VALU_DEP_1) | instskip(NEXT) | instid1(VALU_DEP_1)
	v_lshlrev_b64 v[76:77], 2, v[68:69]
	v_add_co_u32 v76, vcc_lo, v66, v76
	s_delay_alu instid0(VALU_DEP_2)
	v_add_co_ci_u32_e32 v77, vcc_lo, v67, v77, vcc_lo
	s_clause 0x1
	flat_load_b32 v69, v[76:77]
	flat_load_b32 v73, v[66:67] offset:44
	s_waitcnt vmcnt(1) lgkmcnt(1)
	flat_store_b32 v[66:67], v69 offset:44
	s_waitcnt vmcnt(0) lgkmcnt(1)
	flat_store_b32 v[76:77], v73
.LBB28_245:
	s_or_b32 exec_lo, exec_lo, s6
	v_mov_b32_e32 v76, v68
	v_mov_b32_e32 v73, v68
.LBB28_246:
	s_or_b32 exec_lo, exec_lo, s3
.LBB28_247:
	s_and_not1_saveexec_b32 s2, s2
	s_cbranch_execz .LBB28_249
; %bb.248:
	v_mov_b32_e32 v76, 11
	ds_store_2addr_b64 v70, v[8:9], v[10:11] offset0:24 offset1:25
	ds_store_2addr_b64 v70, v[4:5], v[6:7] offset0:26 offset1:27
	;; [unrolled: 1-line block ×3, first 2 shown]
.LBB28_249:
	s_or_b32 exec_lo, exec_lo, s2
	s_delay_alu instid0(SALU_CYCLE_1)
	s_mov_b32 s2, exec_lo
	s_waitcnt lgkmcnt(0)
	s_waitcnt_vscnt null, 0x0
	s_barrier
	buffer_gl0_inv
	v_cmpx_lt_i32_e32 11, v76
	s_cbranch_execz .LBB28_251
; %bb.250:
	v_mul_f64 v[68:69], v[60:61], v[14:15]
	v_mul_f64 v[14:15], v[62:63], v[14:15]
	ds_load_2addr_b64 v[77:80], v70 offset0:24 offset1:25
	ds_load_2addr_b64 v[81:84], v70 offset0:26 offset1:27
	;; [unrolled: 1-line block ×3, first 2 shown]
	v_fma_f64 v[62:63], v[62:63], v[12:13], v[68:69]
	v_fma_f64 v[12:13], v[60:61], v[12:13], -v[14:15]
	s_waitcnt lgkmcnt(2)
	s_delay_alu instid0(VALU_DEP_2)
	v_mul_f64 v[14:15], v[79:80], v[62:63]
	v_mul_f64 v[60:61], v[77:78], v[62:63]
	s_waitcnt lgkmcnt(1)
	v_mul_f64 v[68:69], v[83:84], v[62:63]
	v_mul_f64 v[89:90], v[81:82], v[62:63]
	s_waitcnt lgkmcnt(0)
	v_mul_f64 v[91:92], v[87:88], v[62:63]
	v_mul_f64 v[93:94], v[85:86], v[62:63]
	v_fma_f64 v[14:15], v[77:78], v[12:13], -v[14:15]
	v_fma_f64 v[60:61], v[79:80], v[12:13], v[60:61]
	v_fma_f64 v[68:69], v[81:82], v[12:13], -v[68:69]
	v_fma_f64 v[77:78], v[83:84], v[12:13], v[89:90]
	v_fma_f64 v[79:80], v[85:86], v[12:13], -v[91:92]
	v_fma_f64 v[81:82], v[87:88], v[12:13], v[93:94]
	v_add_f64 v[8:9], v[8:9], -v[14:15]
	v_add_f64 v[10:11], v[10:11], -v[60:61]
	;; [unrolled: 1-line block ×6, first 2 shown]
	v_dual_mov_b32 v14, v62 :: v_dual_mov_b32 v15, v63
.LBB28_251:
	s_or_b32 exec_lo, exec_lo, s2
	v_lshl_add_u32 v60, v76, 4, v70
	s_barrier
	buffer_gl0_inv
	v_mov_b32_e32 v68, 12
	ds_store_2addr_b64 v60, v[8:9], v[10:11] offset1:1
	s_waitcnt lgkmcnt(0)
	s_barrier
	buffer_gl0_inv
	ds_load_2addr_b64 v[60:63], v70 offset0:24 offset1:25
	s_cmp_lt_i32 s5, 14
	s_cbranch_scc1 .LBB28_254
; %bb.252:
	v_add3_u32 v69, v75, 0, 0xd0
	v_mov_b32_e32 v68, 12
	s_mov_b32 s6, 13
	s_set_inst_prefetch_distance 0x1
	.p2align	6
.LBB28_253:                             ; =>This Inner Loop Header: Depth=1
	ds_load_2addr_b64 v[77:80], v69 offset1:1
	s_waitcnt lgkmcnt(1)
	v_cmp_gt_f64_e32 vcc_lo, 0, v[60:61]
	v_xor_b32_e32 v81, 0x80000000, v61
	v_cmp_gt_f64_e64 s2, 0, v[62:63]
	v_xor_b32_e32 v83, 0x80000000, v63
	v_add_nc_u32_e32 v69, 16, v69
	s_waitcnt lgkmcnt(0)
	v_cmp_gt_f64_e64 s3, 0, v[77:78]
	v_mov_b32_e32 v85, v77
	v_dual_mov_b32 v87, v79 :: v_dual_cndmask_b32 v82, v61, v81
	v_xor_b32_e32 v81, 0x80000000, v78
	v_cndmask_b32_e64 v84, v63, v83, s2
	v_xor_b32_e32 v83, 0x80000000, v80
	s_delay_alu instid0(VALU_DEP_3) | instskip(SKIP_2) | instid1(VALU_DEP_2)
	v_cndmask_b32_e64 v86, v78, v81, s3
	v_cmp_gt_f64_e64 s3, 0, v[79:80]
	v_cndmask_b32_e32 v81, v60, v60, vcc_lo
	v_cndmask_b32_e64 v88, v80, v83, s3
	v_cndmask_b32_e64 v83, v62, v62, s2
	s_delay_alu instid0(VALU_DEP_2) | instskip(NEXT) | instid1(VALU_DEP_2)
	v_add_f64 v[85:86], v[85:86], v[87:88]
	v_add_f64 v[81:82], v[81:82], v[83:84]
	s_delay_alu instid0(VALU_DEP_1) | instskip(SKIP_4) | instid1(SALU_CYCLE_1)
	v_cmp_lt_f64_e32 vcc_lo, v[81:82], v[85:86]
	v_dual_cndmask_b32 v62, v62, v79 :: v_dual_cndmask_b32 v61, v61, v78
	v_dual_cndmask_b32 v60, v60, v77 :: v_dual_cndmask_b32 v63, v63, v80
	v_cndmask_b32_e64 v68, v68, s6, vcc_lo
	s_add_i32 s6, s6, 1
	s_cmp_lg_u32 s5, s6
	s_cbranch_scc1 .LBB28_253
.LBB28_254:
	s_set_inst_prefetch_distance 0x2
	s_waitcnt lgkmcnt(0)
	v_cmp_eq_f64_e32 vcc_lo, 0, v[60:61]
	v_cmp_eq_f64_e64 s2, 0, v[62:63]
	s_delay_alu instid0(VALU_DEP_1) | instskip(NEXT) | instid1(SALU_CYCLE_1)
	s_and_b32 s2, vcc_lo, s2
	s_and_saveexec_b32 s3, s2
	s_delay_alu instid0(SALU_CYCLE_1)
	s_xor_b32 s2, exec_lo, s3
; %bb.255:
	v_cmp_ne_u32_e32 vcc_lo, 0, v74
	v_cndmask_b32_e32 v74, 13, v74, vcc_lo
; %bb.256:
	s_and_not1_saveexec_b32 s3, s2
	s_cbranch_execz .LBB28_262
; %bb.257:
	v_cmp_gt_f64_e32 vcc_lo, 0, v[60:61]
	v_cmp_gt_f64_e64 s2, 0, v[62:63]
	v_xor_b32_e32 v69, 0x80000000, v61
	v_xor_b32_e32 v77, 0x80000000, v63
	s_delay_alu instid0(VALU_DEP_2) | instskip(NEXT) | instid1(VALU_DEP_2)
	v_cndmask_b32_e32 v78, v61, v69, vcc_lo
	v_cndmask_b32_e64 v80, v63, v77, s2
	v_cndmask_b32_e32 v77, v60, v60, vcc_lo
	v_cndmask_b32_e64 v79, v62, v62, s2
	s_mov_b32 s2, exec_lo
	s_delay_alu instid0(VALU_DEP_1)
	v_cmpx_ngt_f64_e32 v[77:78], v[79:80]
	s_xor_b32 s2, exec_lo, s2
	s_cbranch_execz .LBB28_259
; %bb.258:
	v_div_scale_f64 v[77:78], null, v[62:63], v[62:63], v[60:61]
	v_div_scale_f64 v[83:84], vcc_lo, v[60:61], v[62:63], v[60:61]
	s_delay_alu instid0(VALU_DEP_2) | instskip(SKIP_2) | instid1(VALU_DEP_1)
	v_rcp_f64_e32 v[79:80], v[77:78]
	s_waitcnt_depctr 0xfff
	v_fma_f64 v[81:82], -v[77:78], v[79:80], 1.0
	v_fma_f64 v[79:80], v[79:80], v[81:82], v[79:80]
	s_delay_alu instid0(VALU_DEP_1) | instskip(NEXT) | instid1(VALU_DEP_1)
	v_fma_f64 v[81:82], -v[77:78], v[79:80], 1.0
	v_fma_f64 v[79:80], v[79:80], v[81:82], v[79:80]
	s_delay_alu instid0(VALU_DEP_1) | instskip(NEXT) | instid1(VALU_DEP_1)
	v_mul_f64 v[81:82], v[83:84], v[79:80]
	v_fma_f64 v[77:78], -v[77:78], v[81:82], v[83:84]
	s_delay_alu instid0(VALU_DEP_1) | instskip(NEXT) | instid1(VALU_DEP_1)
	v_div_fmas_f64 v[77:78], v[77:78], v[79:80], v[81:82]
	v_div_fixup_f64 v[77:78], v[77:78], v[62:63], v[60:61]
	s_delay_alu instid0(VALU_DEP_1) | instskip(NEXT) | instid1(VALU_DEP_1)
	v_fma_f64 v[60:61], v[60:61], v[77:78], v[62:63]
	v_div_scale_f64 v[62:63], null, v[60:61], v[60:61], 1.0
	s_delay_alu instid0(VALU_DEP_1) | instskip(SKIP_2) | instid1(VALU_DEP_1)
	v_rcp_f64_e32 v[79:80], v[62:63]
	s_waitcnt_depctr 0xfff
	v_fma_f64 v[81:82], -v[62:63], v[79:80], 1.0
	v_fma_f64 v[79:80], v[79:80], v[81:82], v[79:80]
	s_delay_alu instid0(VALU_DEP_1) | instskip(NEXT) | instid1(VALU_DEP_1)
	v_fma_f64 v[81:82], -v[62:63], v[79:80], 1.0
	v_fma_f64 v[79:80], v[79:80], v[81:82], v[79:80]
	v_div_scale_f64 v[81:82], vcc_lo, 1.0, v[60:61], 1.0
	s_delay_alu instid0(VALU_DEP_1) | instskip(NEXT) | instid1(VALU_DEP_1)
	v_mul_f64 v[83:84], v[81:82], v[79:80]
	v_fma_f64 v[62:63], -v[62:63], v[83:84], v[81:82]
	s_delay_alu instid0(VALU_DEP_1) | instskip(NEXT) | instid1(VALU_DEP_1)
	v_div_fmas_f64 v[62:63], v[62:63], v[79:80], v[83:84]
	v_div_fixup_f64 v[62:63], v[62:63], v[60:61], 1.0
	s_delay_alu instid0(VALU_DEP_1)
	v_mul_f64 v[60:61], v[77:78], v[62:63]
	v_xor_b32_e32 v63, 0x80000000, v63
.LBB28_259:
	s_and_not1_saveexec_b32 s2, s2
	s_cbranch_execz .LBB28_261
; %bb.260:
	s_delay_alu instid0(VALU_DEP_1) | instskip(SKIP_1) | instid1(VALU_DEP_2)
	v_div_scale_f64 v[77:78], null, v[60:61], v[60:61], v[62:63]
	v_div_scale_f64 v[83:84], vcc_lo, v[62:63], v[60:61], v[62:63]
	v_rcp_f64_e32 v[79:80], v[77:78]
	s_waitcnt_depctr 0xfff
	v_fma_f64 v[81:82], -v[77:78], v[79:80], 1.0
	s_delay_alu instid0(VALU_DEP_1) | instskip(NEXT) | instid1(VALU_DEP_1)
	v_fma_f64 v[79:80], v[79:80], v[81:82], v[79:80]
	v_fma_f64 v[81:82], -v[77:78], v[79:80], 1.0
	s_delay_alu instid0(VALU_DEP_1) | instskip(NEXT) | instid1(VALU_DEP_1)
	v_fma_f64 v[79:80], v[79:80], v[81:82], v[79:80]
	v_mul_f64 v[81:82], v[83:84], v[79:80]
	s_delay_alu instid0(VALU_DEP_1) | instskip(NEXT) | instid1(VALU_DEP_1)
	v_fma_f64 v[77:78], -v[77:78], v[81:82], v[83:84]
	v_div_fmas_f64 v[77:78], v[77:78], v[79:80], v[81:82]
	s_delay_alu instid0(VALU_DEP_1) | instskip(NEXT) | instid1(VALU_DEP_1)
	v_div_fixup_f64 v[77:78], v[77:78], v[60:61], v[62:63]
	v_fma_f64 v[60:61], v[62:63], v[77:78], v[60:61]
	s_delay_alu instid0(VALU_DEP_1) | instskip(NEXT) | instid1(VALU_DEP_1)
	v_div_scale_f64 v[62:63], null, v[60:61], v[60:61], 1.0
	v_rcp_f64_e32 v[79:80], v[62:63]
	s_waitcnt_depctr 0xfff
	v_fma_f64 v[81:82], -v[62:63], v[79:80], 1.0
	s_delay_alu instid0(VALU_DEP_1) | instskip(NEXT) | instid1(VALU_DEP_1)
	v_fma_f64 v[79:80], v[79:80], v[81:82], v[79:80]
	v_fma_f64 v[81:82], -v[62:63], v[79:80], 1.0
	s_delay_alu instid0(VALU_DEP_1) | instskip(SKIP_1) | instid1(VALU_DEP_1)
	v_fma_f64 v[79:80], v[79:80], v[81:82], v[79:80]
	v_div_scale_f64 v[81:82], vcc_lo, 1.0, v[60:61], 1.0
	v_mul_f64 v[83:84], v[81:82], v[79:80]
	s_delay_alu instid0(VALU_DEP_1) | instskip(NEXT) | instid1(VALU_DEP_1)
	v_fma_f64 v[62:63], -v[62:63], v[83:84], v[81:82]
	v_div_fmas_f64 v[62:63], v[62:63], v[79:80], v[83:84]
	s_delay_alu instid0(VALU_DEP_1) | instskip(NEXT) | instid1(VALU_DEP_1)
	v_div_fixup_f64 v[60:61], v[62:63], v[60:61], 1.0
	v_mul_f64 v[62:63], v[77:78], -v[60:61]
.LBB28_261:
	s_or_b32 exec_lo, exec_lo, s2
.LBB28_262:
	s_delay_alu instid0(SALU_CYCLE_1) | instskip(NEXT) | instid1(SALU_CYCLE_1)
	s_or_b32 exec_lo, exec_lo, s3
	s_mov_b32 s2, exec_lo
	v_cmpx_ne_u32_e64 v76, v68
	s_xor_b32 s2, exec_lo, s2
	s_cbranch_execz .LBB28_268
; %bb.263:
	s_mov_b32 s3, exec_lo
	v_cmpx_eq_u32_e32 12, v76
	s_cbranch_execz .LBB28_267
; %bb.264:
	v_cmp_ne_u32_e32 vcc_lo, 12, v68
	s_xor_b32 s6, s4, -1
	s_delay_alu instid0(SALU_CYCLE_1) | instskip(NEXT) | instid1(SALU_CYCLE_1)
	s_and_b32 s7, s6, vcc_lo
	s_and_saveexec_b32 s6, s7
	s_cbranch_execz .LBB28_266
; %bb.265:
	v_ashrrev_i32_e32 v69, 31, v68
	s_delay_alu instid0(VALU_DEP_1) | instskip(NEXT) | instid1(VALU_DEP_1)
	v_lshlrev_b64 v[76:77], 2, v[68:69]
	v_add_co_u32 v76, vcc_lo, v66, v76
	s_delay_alu instid0(VALU_DEP_2)
	v_add_co_ci_u32_e32 v77, vcc_lo, v67, v77, vcc_lo
	s_clause 0x1
	flat_load_b32 v69, v[76:77]
	flat_load_b32 v73, v[66:67] offset:48
	s_waitcnt vmcnt(1) lgkmcnt(1)
	flat_store_b32 v[66:67], v69 offset:48
	s_waitcnt vmcnt(0) lgkmcnt(1)
	flat_store_b32 v[76:77], v73
.LBB28_266:
	s_or_b32 exec_lo, exec_lo, s6
	v_mov_b32_e32 v76, v68
	v_mov_b32_e32 v73, v68
.LBB28_267:
	s_or_b32 exec_lo, exec_lo, s3
.LBB28_268:
	s_and_not1_saveexec_b32 s2, s2
	s_cbranch_execz .LBB28_270
; %bb.269:
	v_mov_b32_e32 v76, 12
	ds_store_2addr_b64 v70, v[4:5], v[6:7] offset0:26 offset1:27
	ds_store_2addr_b64 v70, v[0:1], v[2:3] offset0:28 offset1:29
.LBB28_270:
	s_or_b32 exec_lo, exec_lo, s2
	s_delay_alu instid0(SALU_CYCLE_1)
	s_mov_b32 s2, exec_lo
	s_waitcnt lgkmcnt(0)
	s_waitcnt_vscnt null, 0x0
	s_barrier
	buffer_gl0_inv
	v_cmpx_lt_i32_e32 12, v76
	s_cbranch_execz .LBB28_272
; %bb.271:
	v_mul_f64 v[68:69], v[60:61], v[10:11]
	v_mul_f64 v[10:11], v[62:63], v[10:11]
	ds_load_2addr_b64 v[77:80], v70 offset0:26 offset1:27
	ds_load_2addr_b64 v[81:84], v70 offset0:28 offset1:29
	v_fma_f64 v[62:63], v[62:63], v[8:9], v[68:69]
	v_fma_f64 v[8:9], v[60:61], v[8:9], -v[10:11]
	s_waitcnt lgkmcnt(1)
	s_delay_alu instid0(VALU_DEP_2) | instskip(SKIP_4) | instid1(VALU_DEP_4)
	v_mul_f64 v[10:11], v[79:80], v[62:63]
	v_mul_f64 v[60:61], v[77:78], v[62:63]
	s_waitcnt lgkmcnt(0)
	v_mul_f64 v[68:69], v[83:84], v[62:63]
	v_mul_f64 v[85:86], v[81:82], v[62:63]
	v_fma_f64 v[10:11], v[77:78], v[8:9], -v[10:11]
	s_delay_alu instid0(VALU_DEP_4) | instskip(NEXT) | instid1(VALU_DEP_4)
	v_fma_f64 v[60:61], v[79:80], v[8:9], v[60:61]
	v_fma_f64 v[68:69], v[81:82], v[8:9], -v[68:69]
	s_delay_alu instid0(VALU_DEP_4) | instskip(NEXT) | instid1(VALU_DEP_4)
	v_fma_f64 v[77:78], v[83:84], v[8:9], v[85:86]
	v_add_f64 v[4:5], v[4:5], -v[10:11]
	s_delay_alu instid0(VALU_DEP_4) | instskip(NEXT) | instid1(VALU_DEP_4)
	v_add_f64 v[6:7], v[6:7], -v[60:61]
	v_add_f64 v[0:1], v[0:1], -v[68:69]
	s_delay_alu instid0(VALU_DEP_4)
	v_add_f64 v[2:3], v[2:3], -v[77:78]
	v_dual_mov_b32 v10, v62 :: v_dual_mov_b32 v11, v63
.LBB28_272:
	s_or_b32 exec_lo, exec_lo, s2
	v_lshl_add_u32 v60, v76, 4, v70
	s_barrier
	buffer_gl0_inv
	v_mov_b32_e32 v68, 13
	ds_store_2addr_b64 v60, v[4:5], v[6:7] offset1:1
	s_waitcnt lgkmcnt(0)
	s_barrier
	buffer_gl0_inv
	ds_load_2addr_b64 v[60:63], v70 offset0:26 offset1:27
	s_cmp_lt_i32 s5, 15
	s_cbranch_scc1 .LBB28_275
; %bb.273:
	v_add3_u32 v69, v75, 0, 0xe0
	v_mov_b32_e32 v68, 13
	s_mov_b32 s6, 14
	s_set_inst_prefetch_distance 0x1
	.p2align	6
.LBB28_274:                             ; =>This Inner Loop Header: Depth=1
	ds_load_2addr_b64 v[77:80], v69 offset1:1
	s_waitcnt lgkmcnt(1)
	v_cmp_gt_f64_e32 vcc_lo, 0, v[60:61]
	v_xor_b32_e32 v81, 0x80000000, v61
	v_cmp_gt_f64_e64 s2, 0, v[62:63]
	v_xor_b32_e32 v83, 0x80000000, v63
	v_add_nc_u32_e32 v69, 16, v69
	s_waitcnt lgkmcnt(0)
	v_cmp_gt_f64_e64 s3, 0, v[77:78]
	v_mov_b32_e32 v85, v77
	v_dual_mov_b32 v87, v79 :: v_dual_cndmask_b32 v82, v61, v81
	v_xor_b32_e32 v81, 0x80000000, v78
	v_cndmask_b32_e64 v84, v63, v83, s2
	v_xor_b32_e32 v83, 0x80000000, v80
	s_delay_alu instid0(VALU_DEP_3) | instskip(SKIP_2) | instid1(VALU_DEP_2)
	v_cndmask_b32_e64 v86, v78, v81, s3
	v_cmp_gt_f64_e64 s3, 0, v[79:80]
	v_cndmask_b32_e32 v81, v60, v60, vcc_lo
	v_cndmask_b32_e64 v88, v80, v83, s3
	v_cndmask_b32_e64 v83, v62, v62, s2
	s_delay_alu instid0(VALU_DEP_2) | instskip(NEXT) | instid1(VALU_DEP_2)
	v_add_f64 v[85:86], v[85:86], v[87:88]
	v_add_f64 v[81:82], v[81:82], v[83:84]
	s_delay_alu instid0(VALU_DEP_1) | instskip(SKIP_4) | instid1(SALU_CYCLE_1)
	v_cmp_lt_f64_e32 vcc_lo, v[81:82], v[85:86]
	v_dual_cndmask_b32 v62, v62, v79 :: v_dual_cndmask_b32 v61, v61, v78
	v_dual_cndmask_b32 v60, v60, v77 :: v_dual_cndmask_b32 v63, v63, v80
	v_cndmask_b32_e64 v68, v68, s6, vcc_lo
	s_add_i32 s6, s6, 1
	s_cmp_lg_u32 s5, s6
	s_cbranch_scc1 .LBB28_274
.LBB28_275:
	s_set_inst_prefetch_distance 0x2
	s_waitcnt lgkmcnt(0)
	v_cmp_eq_f64_e32 vcc_lo, 0, v[60:61]
	v_cmp_eq_f64_e64 s2, 0, v[62:63]
	s_delay_alu instid0(VALU_DEP_1) | instskip(NEXT) | instid1(SALU_CYCLE_1)
	s_and_b32 s2, vcc_lo, s2
	s_and_saveexec_b32 s3, s2
	s_delay_alu instid0(SALU_CYCLE_1)
	s_xor_b32 s2, exec_lo, s3
; %bb.276:
	v_cmp_ne_u32_e32 vcc_lo, 0, v74
	v_cndmask_b32_e32 v74, 14, v74, vcc_lo
; %bb.277:
	s_and_not1_saveexec_b32 s3, s2
	s_cbranch_execz .LBB28_283
; %bb.278:
	v_cmp_gt_f64_e32 vcc_lo, 0, v[60:61]
	v_cmp_gt_f64_e64 s2, 0, v[62:63]
	v_xor_b32_e32 v69, 0x80000000, v61
	v_xor_b32_e32 v77, 0x80000000, v63
	s_delay_alu instid0(VALU_DEP_2) | instskip(NEXT) | instid1(VALU_DEP_2)
	v_cndmask_b32_e32 v78, v61, v69, vcc_lo
	v_cndmask_b32_e64 v80, v63, v77, s2
	v_cndmask_b32_e32 v77, v60, v60, vcc_lo
	v_cndmask_b32_e64 v79, v62, v62, s2
	s_mov_b32 s2, exec_lo
	s_delay_alu instid0(VALU_DEP_1)
	v_cmpx_ngt_f64_e32 v[77:78], v[79:80]
	s_xor_b32 s2, exec_lo, s2
	s_cbranch_execz .LBB28_280
; %bb.279:
	v_div_scale_f64 v[77:78], null, v[62:63], v[62:63], v[60:61]
	v_div_scale_f64 v[83:84], vcc_lo, v[60:61], v[62:63], v[60:61]
	s_delay_alu instid0(VALU_DEP_2) | instskip(SKIP_2) | instid1(VALU_DEP_1)
	v_rcp_f64_e32 v[79:80], v[77:78]
	s_waitcnt_depctr 0xfff
	v_fma_f64 v[81:82], -v[77:78], v[79:80], 1.0
	v_fma_f64 v[79:80], v[79:80], v[81:82], v[79:80]
	s_delay_alu instid0(VALU_DEP_1) | instskip(NEXT) | instid1(VALU_DEP_1)
	v_fma_f64 v[81:82], -v[77:78], v[79:80], 1.0
	v_fma_f64 v[79:80], v[79:80], v[81:82], v[79:80]
	s_delay_alu instid0(VALU_DEP_1) | instskip(NEXT) | instid1(VALU_DEP_1)
	v_mul_f64 v[81:82], v[83:84], v[79:80]
	v_fma_f64 v[77:78], -v[77:78], v[81:82], v[83:84]
	s_delay_alu instid0(VALU_DEP_1) | instskip(NEXT) | instid1(VALU_DEP_1)
	v_div_fmas_f64 v[77:78], v[77:78], v[79:80], v[81:82]
	v_div_fixup_f64 v[77:78], v[77:78], v[62:63], v[60:61]
	s_delay_alu instid0(VALU_DEP_1) | instskip(NEXT) | instid1(VALU_DEP_1)
	v_fma_f64 v[60:61], v[60:61], v[77:78], v[62:63]
	v_div_scale_f64 v[62:63], null, v[60:61], v[60:61], 1.0
	s_delay_alu instid0(VALU_DEP_1) | instskip(SKIP_2) | instid1(VALU_DEP_1)
	v_rcp_f64_e32 v[79:80], v[62:63]
	s_waitcnt_depctr 0xfff
	v_fma_f64 v[81:82], -v[62:63], v[79:80], 1.0
	v_fma_f64 v[79:80], v[79:80], v[81:82], v[79:80]
	s_delay_alu instid0(VALU_DEP_1) | instskip(NEXT) | instid1(VALU_DEP_1)
	v_fma_f64 v[81:82], -v[62:63], v[79:80], 1.0
	v_fma_f64 v[79:80], v[79:80], v[81:82], v[79:80]
	v_div_scale_f64 v[81:82], vcc_lo, 1.0, v[60:61], 1.0
	s_delay_alu instid0(VALU_DEP_1) | instskip(NEXT) | instid1(VALU_DEP_1)
	v_mul_f64 v[83:84], v[81:82], v[79:80]
	v_fma_f64 v[62:63], -v[62:63], v[83:84], v[81:82]
	s_delay_alu instid0(VALU_DEP_1) | instskip(NEXT) | instid1(VALU_DEP_1)
	v_div_fmas_f64 v[62:63], v[62:63], v[79:80], v[83:84]
	v_div_fixup_f64 v[62:63], v[62:63], v[60:61], 1.0
	s_delay_alu instid0(VALU_DEP_1)
	v_mul_f64 v[60:61], v[77:78], v[62:63]
	v_xor_b32_e32 v63, 0x80000000, v63
.LBB28_280:
	s_and_not1_saveexec_b32 s2, s2
	s_cbranch_execz .LBB28_282
; %bb.281:
	s_delay_alu instid0(VALU_DEP_1) | instskip(SKIP_1) | instid1(VALU_DEP_2)
	v_div_scale_f64 v[77:78], null, v[60:61], v[60:61], v[62:63]
	v_div_scale_f64 v[83:84], vcc_lo, v[62:63], v[60:61], v[62:63]
	v_rcp_f64_e32 v[79:80], v[77:78]
	s_waitcnt_depctr 0xfff
	v_fma_f64 v[81:82], -v[77:78], v[79:80], 1.0
	s_delay_alu instid0(VALU_DEP_1) | instskip(NEXT) | instid1(VALU_DEP_1)
	v_fma_f64 v[79:80], v[79:80], v[81:82], v[79:80]
	v_fma_f64 v[81:82], -v[77:78], v[79:80], 1.0
	s_delay_alu instid0(VALU_DEP_1) | instskip(NEXT) | instid1(VALU_DEP_1)
	v_fma_f64 v[79:80], v[79:80], v[81:82], v[79:80]
	v_mul_f64 v[81:82], v[83:84], v[79:80]
	s_delay_alu instid0(VALU_DEP_1) | instskip(NEXT) | instid1(VALU_DEP_1)
	v_fma_f64 v[77:78], -v[77:78], v[81:82], v[83:84]
	v_div_fmas_f64 v[77:78], v[77:78], v[79:80], v[81:82]
	s_delay_alu instid0(VALU_DEP_1) | instskip(NEXT) | instid1(VALU_DEP_1)
	v_div_fixup_f64 v[77:78], v[77:78], v[60:61], v[62:63]
	v_fma_f64 v[60:61], v[62:63], v[77:78], v[60:61]
	s_delay_alu instid0(VALU_DEP_1) | instskip(NEXT) | instid1(VALU_DEP_1)
	v_div_scale_f64 v[62:63], null, v[60:61], v[60:61], 1.0
	v_rcp_f64_e32 v[79:80], v[62:63]
	s_waitcnt_depctr 0xfff
	v_fma_f64 v[81:82], -v[62:63], v[79:80], 1.0
	s_delay_alu instid0(VALU_DEP_1) | instskip(NEXT) | instid1(VALU_DEP_1)
	v_fma_f64 v[79:80], v[79:80], v[81:82], v[79:80]
	v_fma_f64 v[81:82], -v[62:63], v[79:80], 1.0
	s_delay_alu instid0(VALU_DEP_1) | instskip(SKIP_1) | instid1(VALU_DEP_1)
	v_fma_f64 v[79:80], v[79:80], v[81:82], v[79:80]
	v_div_scale_f64 v[81:82], vcc_lo, 1.0, v[60:61], 1.0
	v_mul_f64 v[83:84], v[81:82], v[79:80]
	s_delay_alu instid0(VALU_DEP_1) | instskip(NEXT) | instid1(VALU_DEP_1)
	v_fma_f64 v[62:63], -v[62:63], v[83:84], v[81:82]
	v_div_fmas_f64 v[62:63], v[62:63], v[79:80], v[83:84]
	s_delay_alu instid0(VALU_DEP_1) | instskip(NEXT) | instid1(VALU_DEP_1)
	v_div_fixup_f64 v[60:61], v[62:63], v[60:61], 1.0
	v_mul_f64 v[62:63], v[77:78], -v[60:61]
.LBB28_282:
	s_or_b32 exec_lo, exec_lo, s2
.LBB28_283:
	s_delay_alu instid0(SALU_CYCLE_1) | instskip(NEXT) | instid1(SALU_CYCLE_1)
	s_or_b32 exec_lo, exec_lo, s3
	s_mov_b32 s2, exec_lo
	v_cmpx_ne_u32_e64 v76, v68
	s_xor_b32 s2, exec_lo, s2
	s_cbranch_execz .LBB28_289
; %bb.284:
	s_mov_b32 s3, exec_lo
	v_cmpx_eq_u32_e32 13, v76
	s_cbranch_execz .LBB28_288
; %bb.285:
	v_cmp_ne_u32_e32 vcc_lo, 13, v68
	s_xor_b32 s6, s4, -1
	s_delay_alu instid0(SALU_CYCLE_1) | instskip(NEXT) | instid1(SALU_CYCLE_1)
	s_and_b32 s7, s6, vcc_lo
	s_and_saveexec_b32 s6, s7
	s_cbranch_execz .LBB28_287
; %bb.286:
	v_ashrrev_i32_e32 v69, 31, v68
	s_delay_alu instid0(VALU_DEP_1) | instskip(NEXT) | instid1(VALU_DEP_1)
	v_lshlrev_b64 v[76:77], 2, v[68:69]
	v_add_co_u32 v76, vcc_lo, v66, v76
	s_delay_alu instid0(VALU_DEP_2)
	v_add_co_ci_u32_e32 v77, vcc_lo, v67, v77, vcc_lo
	s_clause 0x1
	flat_load_b32 v69, v[76:77]
	flat_load_b32 v73, v[66:67] offset:52
	s_waitcnt vmcnt(1) lgkmcnt(1)
	flat_store_b32 v[66:67], v69 offset:52
	s_waitcnt vmcnt(0) lgkmcnt(1)
	flat_store_b32 v[76:77], v73
.LBB28_287:
	s_or_b32 exec_lo, exec_lo, s6
	v_mov_b32_e32 v76, v68
	v_mov_b32_e32 v73, v68
.LBB28_288:
	s_or_b32 exec_lo, exec_lo, s3
.LBB28_289:
	s_and_not1_saveexec_b32 s2, s2
	s_cbranch_execz .LBB28_291
; %bb.290:
	v_mov_b32_e32 v76, 13
	ds_store_2addr_b64 v70, v[0:1], v[2:3] offset0:28 offset1:29
.LBB28_291:
	s_or_b32 exec_lo, exec_lo, s2
	s_delay_alu instid0(SALU_CYCLE_1)
	s_mov_b32 s2, exec_lo
	s_waitcnt lgkmcnt(0)
	s_waitcnt_vscnt null, 0x0
	s_barrier
	buffer_gl0_inv
	v_cmpx_lt_i32_e32 13, v76
	s_cbranch_execz .LBB28_293
; %bb.292:
	v_mul_f64 v[68:69], v[60:61], v[6:7]
	v_mul_f64 v[6:7], v[62:63], v[6:7]
	ds_load_2addr_b64 v[77:80], v70 offset0:28 offset1:29
	v_fma_f64 v[62:63], v[62:63], v[4:5], v[68:69]
	v_fma_f64 v[4:5], v[60:61], v[4:5], -v[6:7]
	s_waitcnt lgkmcnt(0)
	s_delay_alu instid0(VALU_DEP_2) | instskip(SKIP_1) | instid1(VALU_DEP_2)
	v_mul_f64 v[6:7], v[79:80], v[62:63]
	v_mul_f64 v[60:61], v[77:78], v[62:63]
	v_fma_f64 v[6:7], v[77:78], v[4:5], -v[6:7]
	s_delay_alu instid0(VALU_DEP_2) | instskip(NEXT) | instid1(VALU_DEP_2)
	v_fma_f64 v[60:61], v[79:80], v[4:5], v[60:61]
	v_add_f64 v[0:1], v[0:1], -v[6:7]
	s_delay_alu instid0(VALU_DEP_2)
	v_add_f64 v[2:3], v[2:3], -v[60:61]
	v_dual_mov_b32 v6, v62 :: v_dual_mov_b32 v7, v63
.LBB28_293:
	s_or_b32 exec_lo, exec_lo, s2
	v_lshl_add_u32 v60, v76, 4, v70
	s_barrier
	buffer_gl0_inv
	v_mov_b32_e32 v68, 14
	ds_store_2addr_b64 v60, v[0:1], v[2:3] offset1:1
	s_waitcnt lgkmcnt(0)
	s_barrier
	buffer_gl0_inv
	ds_load_2addr_b64 v[60:63], v70 offset0:28 offset1:29
	s_cmp_lt_i32 s5, 16
	s_cbranch_scc1 .LBB28_296
; %bb.294:
	v_add3_u32 v69, v75, 0, 0xf0
	v_mov_b32_e32 v68, 14
	s_mov_b32 s6, 15
	s_set_inst_prefetch_distance 0x1
	.p2align	6
.LBB28_295:                             ; =>This Inner Loop Header: Depth=1
	ds_load_2addr_b64 v[77:80], v69 offset1:1
	s_waitcnt lgkmcnt(1)
	v_cmp_gt_f64_e32 vcc_lo, 0, v[60:61]
	v_xor_b32_e32 v70, 0x80000000, v61
	v_cmp_gt_f64_e64 s2, 0, v[62:63]
	v_xor_b32_e32 v75, 0x80000000, v63
	v_add_nc_u32_e32 v69, 16, v69
	s_waitcnt lgkmcnt(0)
	v_cmp_gt_f64_e64 s3, 0, v[77:78]
	v_mov_b32_e32 v85, v77
	v_dual_mov_b32 v87, v79 :: v_dual_cndmask_b32 v82, v61, v70
	v_xor_b32_e32 v70, 0x80000000, v78
	v_cndmask_b32_e64 v84, v63, v75, s2
	v_xor_b32_e32 v75, 0x80000000, v80
	v_cndmask_b32_e32 v81, v60, v60, vcc_lo
	v_cndmask_b32_e64 v83, v62, v62, s2
	s_delay_alu instid0(VALU_DEP_1) | instskip(SKIP_2) | instid1(VALU_DEP_1)
	v_add_f64 v[81:82], v[81:82], v[83:84]
	v_cndmask_b32_e64 v86, v78, v70, s3
	v_cmp_gt_f64_e64 s3, 0, v[79:80]
	v_cndmask_b32_e64 v88, v80, v75, s3
	s_delay_alu instid0(VALU_DEP_1) | instskip(NEXT) | instid1(VALU_DEP_1)
	v_add_f64 v[85:86], v[85:86], v[87:88]
	v_cmp_lt_f64_e32 vcc_lo, v[81:82], v[85:86]
	v_dual_cndmask_b32 v62, v62, v79 :: v_dual_cndmask_b32 v61, v61, v78
	v_dual_cndmask_b32 v60, v60, v77 :: v_dual_cndmask_b32 v63, v63, v80
	v_cndmask_b32_e64 v68, v68, s6, vcc_lo
	s_add_i32 s6, s6, 1
	s_delay_alu instid0(SALU_CYCLE_1)
	s_cmp_lg_u32 s5, s6
	s_cbranch_scc1 .LBB28_295
.LBB28_296:
	s_set_inst_prefetch_distance 0x2
	s_waitcnt lgkmcnt(0)
	v_cmp_eq_f64_e32 vcc_lo, 0, v[60:61]
	v_cmp_eq_f64_e64 s2, 0, v[62:63]
	s_delay_alu instid0(VALU_DEP_1) | instskip(NEXT) | instid1(SALU_CYCLE_1)
	s_and_b32 s2, vcc_lo, s2
	s_and_saveexec_b32 s3, s2
	s_delay_alu instid0(SALU_CYCLE_1)
	s_xor_b32 s2, exec_lo, s3
; %bb.297:
	v_cmp_ne_u32_e32 vcc_lo, 0, v74
	v_cndmask_b32_e32 v74, 15, v74, vcc_lo
; %bb.298:
	s_and_not1_saveexec_b32 s3, s2
	s_cbranch_execz .LBB28_304
; %bb.299:
	v_cmp_gt_f64_e32 vcc_lo, 0, v[60:61]
	v_cmp_gt_f64_e64 s2, 0, v[62:63]
	v_xor_b32_e32 v69, 0x80000000, v61
	v_xor_b32_e32 v75, 0x80000000, v63
	s_delay_alu instid0(VALU_DEP_2) | instskip(NEXT) | instid1(VALU_DEP_2)
	v_dual_cndmask_b32 v70, v61, v69 :: v_dual_cndmask_b32 v69, v60, v60
	v_cndmask_b32_e64 v78, v63, v75, s2
	v_cndmask_b32_e64 v77, v62, v62, s2
	s_mov_b32 s2, exec_lo
	s_delay_alu instid0(VALU_DEP_1)
	v_cmpx_ngt_f64_e32 v[69:70], v[77:78]
	s_xor_b32 s2, exec_lo, s2
	s_cbranch_execz .LBB28_301
; %bb.300:
	v_div_scale_f64 v[69:70], null, v[62:63], v[62:63], v[60:61]
	v_div_scale_f64 v[81:82], vcc_lo, v[60:61], v[62:63], v[60:61]
	s_delay_alu instid0(VALU_DEP_2) | instskip(SKIP_2) | instid1(VALU_DEP_1)
	v_rcp_f64_e32 v[77:78], v[69:70]
	s_waitcnt_depctr 0xfff
	v_fma_f64 v[79:80], -v[69:70], v[77:78], 1.0
	v_fma_f64 v[77:78], v[77:78], v[79:80], v[77:78]
	s_delay_alu instid0(VALU_DEP_1) | instskip(NEXT) | instid1(VALU_DEP_1)
	v_fma_f64 v[79:80], -v[69:70], v[77:78], 1.0
	v_fma_f64 v[77:78], v[77:78], v[79:80], v[77:78]
	s_delay_alu instid0(VALU_DEP_1) | instskip(NEXT) | instid1(VALU_DEP_1)
	v_mul_f64 v[79:80], v[81:82], v[77:78]
	v_fma_f64 v[69:70], -v[69:70], v[79:80], v[81:82]
	s_delay_alu instid0(VALU_DEP_1) | instskip(NEXT) | instid1(VALU_DEP_1)
	v_div_fmas_f64 v[69:70], v[69:70], v[77:78], v[79:80]
	v_div_fixup_f64 v[69:70], v[69:70], v[62:63], v[60:61]
	s_delay_alu instid0(VALU_DEP_1) | instskip(NEXT) | instid1(VALU_DEP_1)
	v_fma_f64 v[60:61], v[60:61], v[69:70], v[62:63]
	v_div_scale_f64 v[62:63], null, v[60:61], v[60:61], 1.0
	s_delay_alu instid0(VALU_DEP_1) | instskip(SKIP_2) | instid1(VALU_DEP_1)
	v_rcp_f64_e32 v[77:78], v[62:63]
	s_waitcnt_depctr 0xfff
	v_fma_f64 v[79:80], -v[62:63], v[77:78], 1.0
	v_fma_f64 v[77:78], v[77:78], v[79:80], v[77:78]
	s_delay_alu instid0(VALU_DEP_1) | instskip(NEXT) | instid1(VALU_DEP_1)
	v_fma_f64 v[79:80], -v[62:63], v[77:78], 1.0
	v_fma_f64 v[77:78], v[77:78], v[79:80], v[77:78]
	v_div_scale_f64 v[79:80], vcc_lo, 1.0, v[60:61], 1.0
	s_delay_alu instid0(VALU_DEP_1) | instskip(NEXT) | instid1(VALU_DEP_1)
	v_mul_f64 v[81:82], v[79:80], v[77:78]
	v_fma_f64 v[62:63], -v[62:63], v[81:82], v[79:80]
	s_delay_alu instid0(VALU_DEP_1) | instskip(NEXT) | instid1(VALU_DEP_1)
	v_div_fmas_f64 v[62:63], v[62:63], v[77:78], v[81:82]
	v_div_fixup_f64 v[62:63], v[62:63], v[60:61], 1.0
	s_delay_alu instid0(VALU_DEP_1)
	v_mul_f64 v[60:61], v[69:70], v[62:63]
	v_xor_b32_e32 v63, 0x80000000, v63
.LBB28_301:
	s_and_not1_saveexec_b32 s2, s2
	s_cbranch_execz .LBB28_303
; %bb.302:
	s_delay_alu instid0(VALU_DEP_1) | instskip(SKIP_1) | instid1(VALU_DEP_2)
	v_div_scale_f64 v[69:70], null, v[60:61], v[60:61], v[62:63]
	v_div_scale_f64 v[81:82], vcc_lo, v[62:63], v[60:61], v[62:63]
	v_rcp_f64_e32 v[77:78], v[69:70]
	s_waitcnt_depctr 0xfff
	v_fma_f64 v[79:80], -v[69:70], v[77:78], 1.0
	s_delay_alu instid0(VALU_DEP_1) | instskip(NEXT) | instid1(VALU_DEP_1)
	v_fma_f64 v[77:78], v[77:78], v[79:80], v[77:78]
	v_fma_f64 v[79:80], -v[69:70], v[77:78], 1.0
	s_delay_alu instid0(VALU_DEP_1) | instskip(NEXT) | instid1(VALU_DEP_1)
	v_fma_f64 v[77:78], v[77:78], v[79:80], v[77:78]
	v_mul_f64 v[79:80], v[81:82], v[77:78]
	s_delay_alu instid0(VALU_DEP_1) | instskip(NEXT) | instid1(VALU_DEP_1)
	v_fma_f64 v[69:70], -v[69:70], v[79:80], v[81:82]
	v_div_fmas_f64 v[69:70], v[69:70], v[77:78], v[79:80]
	s_delay_alu instid0(VALU_DEP_1) | instskip(NEXT) | instid1(VALU_DEP_1)
	v_div_fixup_f64 v[69:70], v[69:70], v[60:61], v[62:63]
	v_fma_f64 v[60:61], v[62:63], v[69:70], v[60:61]
	s_delay_alu instid0(VALU_DEP_1) | instskip(NEXT) | instid1(VALU_DEP_1)
	v_div_scale_f64 v[62:63], null, v[60:61], v[60:61], 1.0
	v_rcp_f64_e32 v[77:78], v[62:63]
	s_waitcnt_depctr 0xfff
	v_fma_f64 v[79:80], -v[62:63], v[77:78], 1.0
	s_delay_alu instid0(VALU_DEP_1) | instskip(NEXT) | instid1(VALU_DEP_1)
	v_fma_f64 v[77:78], v[77:78], v[79:80], v[77:78]
	v_fma_f64 v[79:80], -v[62:63], v[77:78], 1.0
	s_delay_alu instid0(VALU_DEP_1) | instskip(SKIP_1) | instid1(VALU_DEP_1)
	v_fma_f64 v[77:78], v[77:78], v[79:80], v[77:78]
	v_div_scale_f64 v[79:80], vcc_lo, 1.0, v[60:61], 1.0
	v_mul_f64 v[81:82], v[79:80], v[77:78]
	s_delay_alu instid0(VALU_DEP_1) | instskip(NEXT) | instid1(VALU_DEP_1)
	v_fma_f64 v[62:63], -v[62:63], v[81:82], v[79:80]
	v_div_fmas_f64 v[62:63], v[62:63], v[77:78], v[81:82]
	s_delay_alu instid0(VALU_DEP_1) | instskip(NEXT) | instid1(VALU_DEP_1)
	v_div_fixup_f64 v[60:61], v[62:63], v[60:61], 1.0
	v_mul_f64 v[62:63], v[69:70], -v[60:61]
.LBB28_303:
	s_or_b32 exec_lo, exec_lo, s2
.LBB28_304:
	s_delay_alu instid0(SALU_CYCLE_1)
	s_or_b32 exec_lo, exec_lo, s3
	v_mov_b32_e32 v69, 14
	s_mov_b32 s2, exec_lo
	v_cmpx_ne_u32_e64 v76, v68
	s_cbranch_execz .LBB28_310
; %bb.305:
	s_mov_b32 s3, exec_lo
	v_cmpx_eq_u32_e32 14, v76
	s_cbranch_execz .LBB28_309
; %bb.306:
	v_cmp_ne_u32_e32 vcc_lo, 14, v68
	s_xor_b32 s4, s4, -1
	s_delay_alu instid0(SALU_CYCLE_1) | instskip(NEXT) | instid1(SALU_CYCLE_1)
	s_and_b32 s5, s4, vcc_lo
	s_and_saveexec_b32 s4, s5
	s_cbranch_execz .LBB28_308
; %bb.307:
	v_ashrrev_i32_e32 v69, 31, v68
	s_delay_alu instid0(VALU_DEP_1) | instskip(NEXT) | instid1(VALU_DEP_1)
	v_lshlrev_b64 v[69:70], 2, v[68:69]
	v_add_co_u32 v69, vcc_lo, v66, v69
	s_delay_alu instid0(VALU_DEP_2)
	v_add_co_ci_u32_e32 v70, vcc_lo, v67, v70, vcc_lo
	s_clause 0x1
	flat_load_b32 v73, v[69:70]
	flat_load_b32 v75, v[66:67] offset:56
	s_waitcnt vmcnt(1) lgkmcnt(1)
	flat_store_b32 v[66:67], v73 offset:56
	s_waitcnt vmcnt(0) lgkmcnt(1)
	flat_store_b32 v[69:70], v75
.LBB28_308:
	s_or_b32 exec_lo, exec_lo, s4
	v_mov_b32_e32 v76, v68
	v_mov_b32_e32 v73, v68
.LBB28_309:
	s_or_b32 exec_lo, exec_lo, s3
	s_delay_alu instid0(VALU_DEP_2)
	v_mov_b32_e32 v69, v76
.LBB28_310:
	s_or_b32 exec_lo, exec_lo, s2
	s_delay_alu instid0(SALU_CYCLE_1)
	s_mov_b32 s2, exec_lo
	s_waitcnt lgkmcnt(0)
	s_waitcnt_vscnt null, 0x0
	s_barrier
	buffer_gl0_inv
	v_cmpx_lt_i32_e32 14, v69
; %bb.311:
	v_mul_f64 v[66:67], v[62:63], v[2:3]
	v_mul_f64 v[2:3], v[60:61], v[2:3]
	s_delay_alu instid0(VALU_DEP_2) | instskip(NEXT) | instid1(VALU_DEP_2)
	v_fma_f64 v[60:61], v[60:61], v[0:1], -v[66:67]
	v_fma_f64 v[2:3], v[62:63], v[0:1], v[2:3]
	s_delay_alu instid0(VALU_DEP_2)
	v_dual_mov_b32 v0, v60 :: v_dual_mov_b32 v1, v61
; %bb.312:
	s_or_b32 exec_lo, exec_lo, s2
	s_load_b256 s[0:7], s[0:1], 0x28
	v_ashrrev_i32_e32 v70, 31, v69
	s_mov_b32 s9, exec_lo
	s_waitcnt lgkmcnt(0)
	s_barrier
	buffer_gl0_inv
	v_cmpx_gt_i32_e32 15, v69
	s_cbranch_execz .LBB28_314
; %bb.313:
	v_mul_lo_u32 v62, v65, s4
	v_mul_lo_u32 v63, v64, s5
	v_mad_u64_u32 v[60:61], null, v64, s4, 0
	s_lshl_b64 s[2:3], s[2:3], 2
	s_delay_alu instid0(SALU_CYCLE_1) | instskip(SKIP_1) | instid1(VALU_DEP_1)
	s_add_u32 s0, s2, s0
	s_addc_u32 s1, s3, s1
	v_add3_u32 v61, v61, v63, v62
	v_lshlrev_b64 v[62:63], 2, v[69:70]
	s_delay_alu instid0(VALU_DEP_2) | instskip(NEXT) | instid1(VALU_DEP_1)
	v_lshlrev_b64 v[60:61], 2, v[60:61]
	v_add_co_u32 v60, vcc_lo, s0, v60
	s_delay_alu instid0(VALU_DEP_2) | instskip(NEXT) | instid1(VALU_DEP_2)
	v_add_co_ci_u32_e32 v61, vcc_lo, s1, v61, vcc_lo
	v_add_co_u32 v60, vcc_lo, v60, v62
	s_delay_alu instid0(VALU_DEP_2)
	v_add_co_ci_u32_e32 v61, vcc_lo, v61, v63, vcc_lo
	v_add3_u32 v62, v73, s13, 1
	global_store_b32 v[60:61], v62, off
.LBB28_314:
	s_or_b32 exec_lo, exec_lo, s9
	s_delay_alu instid0(SALU_CYCLE_1)
	s_mov_b32 s1, exec_lo
	v_cmpx_eq_u32_e32 0, v69
	s_cbranch_execz .LBB28_317
; %bb.315:
	v_lshlrev_b64 v[60:61], 2, v[64:65]
	v_cmp_lt_i32_e64 s0, 0, v74
	s_delay_alu instid0(VALU_DEP_2) | instskip(NEXT) | instid1(VALU_DEP_3)
	v_add_co_u32 v60, vcc_lo, s6, v60
	v_add_co_ci_u32_e32 v61, vcc_lo, s7, v61, vcc_lo
	global_load_b32 v62, v[60:61], off
	s_waitcnt vmcnt(0)
	v_cmp_eq_u32_e32 vcc_lo, 0, v62
	s_and_b32 s0, vcc_lo, s0
	s_delay_alu instid0(SALU_CYCLE_1)
	s_and_b32 exec_lo, exec_lo, s0
	s_cbranch_execz .LBB28_317
; %bb.316:
	v_add_nc_u32_e32 v62, s13, v74
	global_store_b32 v[60:61], v62, off
.LBB28_317:
	s_or_b32 exec_lo, exec_lo, s1
	v_add3_u32 v60, s8, s8, v69
	v_lshlrev_b64 v[62:63], 4, v[69:70]
	s_delay_alu instid0(VALU_DEP_2) | instskip(SKIP_1) | instid1(VALU_DEP_3)
	v_ashrrev_i32_e32 v61, 31, v60
	v_add_nc_u32_e32 v64, s8, v60
	v_add_co_u32 v62, vcc_lo, v71, v62
	s_delay_alu instid0(VALU_DEP_4) | instskip(NEXT) | instid1(VALU_DEP_4)
	v_add_co_ci_u32_e32 v63, vcc_lo, v72, v63, vcc_lo
	v_lshlrev_b64 v[60:61], 4, v[60:61]
	s_delay_alu instid0(VALU_DEP_3) | instskip(NEXT) | instid1(VALU_DEP_3)
	v_add_co_u32 v68, vcc_lo, v62, s10
	v_add_co_ci_u32_e32 v69, vcc_lo, s11, v63, vcc_lo
	v_add_nc_u32_e32 v66, s8, v64
	s_delay_alu instid0(VALU_DEP_4) | instskip(SKIP_2) | instid1(VALU_DEP_4)
	v_add_co_u32 v60, vcc_lo, v71, v60
	v_add_co_ci_u32_e32 v61, vcc_lo, v72, v61, vcc_lo
	v_ashrrev_i32_e32 v65, 31, v64
	v_ashrrev_i32_e32 v67, 31, v66
	s_clause 0x2
	global_store_b128 v[62:63], v[48:51], off
	global_store_b128 v[68:69], v[44:47], off
	global_store_b128 v[60:61], v[56:59], off
	v_add_nc_u32_e32 v46, s8, v66
	v_lshlrev_b64 v[48:49], 4, v[64:65]
	v_lshlrev_b64 v[44:45], 4, v[66:67]
	s_delay_alu instid0(VALU_DEP_3) | instskip(SKIP_1) | instid1(VALU_DEP_4)
	v_add_nc_u32_e32 v50, s8, v46
	v_ashrrev_i32_e32 v47, 31, v46
	v_add_co_u32 v48, vcc_lo, v71, v48
	v_add_co_ci_u32_e32 v49, vcc_lo, v72, v49, vcc_lo
	s_delay_alu instid0(VALU_DEP_4)
	v_add_nc_u32_e32 v56, s8, v50
	v_add_co_u32 v44, vcc_lo, v71, v44
	v_ashrrev_i32_e32 v51, 31, v50
	v_add_co_ci_u32_e32 v45, vcc_lo, v72, v45, vcc_lo
	v_lshlrev_b64 v[46:47], 4, v[46:47]
	v_ashrrev_i32_e32 v57, 31, v56
	s_clause 0x1
	global_store_b128 v[48:49], v[40:43], off
	global_store_b128 v[44:45], v[52:55], off
	v_lshlrev_b64 v[40:41], 4, v[50:51]
	v_add_co_u32 v42, vcc_lo, v71, v46
	v_add_nc_u32_e32 v46, s8, v56
	v_lshlrev_b64 v[44:45], 4, v[56:57]
	v_add_co_ci_u32_e32 v43, vcc_lo, v72, v47, vcc_lo
	v_add_co_u32 v40, vcc_lo, v71, v40
	s_delay_alu instid0(VALU_DEP_4)
	v_add_nc_u32_e32 v48, s8, v46
	v_add_co_ci_u32_e32 v41, vcc_lo, v72, v41, vcc_lo
	v_ashrrev_i32_e32 v47, 31, v46
	v_add_co_u32 v44, vcc_lo, v71, v44
	v_add_co_ci_u32_e32 v45, vcc_lo, v72, v45, vcc_lo
	v_ashrrev_i32_e32 v49, 31, v48
	global_store_b128 v[42:43], v[36:39], off
	v_lshlrev_b64 v[36:37], 4, v[46:47]
	s_clause 0x1
	global_store_b128 v[40:41], v[32:35], off
	global_store_b128 v[44:45], v[28:31], off
	v_add_nc_u32_e32 v30, s8, v48
	v_lshlrev_b64 v[28:29], 4, v[48:49]
	v_add_co_u32 v32, vcc_lo, v71, v36
	s_delay_alu instid0(VALU_DEP_3) | instskip(SKIP_1) | instid1(VALU_DEP_4)
	v_add_nc_u32_e32 v34, s8, v30
	v_add_co_ci_u32_e32 v33, vcc_lo, v72, v37, vcc_lo
	v_add_co_u32 v28, vcc_lo, v71, v28
	v_add_co_ci_u32_e32 v29, vcc_lo, v72, v29, vcc_lo
	s_delay_alu instid0(VALU_DEP_4)
	v_add_nc_u32_e32 v36, s8, v34
	v_ashrrev_i32_e32 v31, 31, v30
	s_clause 0x1
	global_store_b128 v[32:33], v[24:27], off
	global_store_b128 v[28:29], v[20:23], off
	v_ashrrev_i32_e32 v35, 31, v34
	v_add_nc_u32_e32 v22, s8, v36
	v_lshlrev_b64 v[24:25], 4, v[30:31]
	v_ashrrev_i32_e32 v37, 31, v36
	s_delay_alu instid0(VALU_DEP_4) | instskip(NEXT) | instid1(VALU_DEP_4)
	v_lshlrev_b64 v[20:21], 4, v[34:35]
	v_add_nc_u32_e32 v28, s8, v22
	v_ashrrev_i32_e32 v23, 31, v22
	v_add_co_u32 v24, vcc_lo, v71, v24
	v_lshlrev_b64 v[26:27], 4, v[36:37]
	s_delay_alu instid0(VALU_DEP_4)
	v_ashrrev_i32_e32 v29, 31, v28
	v_add_co_ci_u32_e32 v25, vcc_lo, v72, v25, vcc_lo
	v_add_co_u32 v20, vcc_lo, v71, v20
	v_lshlrev_b64 v[22:23], 4, v[22:23]
	v_add_co_ci_u32_e32 v21, vcc_lo, v72, v21, vcc_lo
	v_add_co_u32 v26, vcc_lo, v71, v26
	v_lshlrev_b64 v[28:29], 4, v[28:29]
	v_add_co_ci_u32_e32 v27, vcc_lo, v72, v27, vcc_lo
	v_add_co_u32 v22, vcc_lo, v71, v22
	v_add_co_ci_u32_e32 v23, vcc_lo, v72, v23, vcc_lo
	s_delay_alu instid0(VALU_DEP_4)
	v_add_co_u32 v28, vcc_lo, v71, v28
	v_add_co_ci_u32_e32 v29, vcc_lo, v72, v29, vcc_lo
	s_clause 0x4
	global_store_b128 v[24:25], v[16:19], off
	global_store_b128 v[20:21], v[12:15], off
	;; [unrolled: 1-line block ×5, first 2 shown]
.LBB28_318:
	s_nop 0
	s_sendmsg sendmsg(MSG_DEALLOC_VGPRS)
	s_endpgm
	.section	.rodata,"a",@progbits
	.p2align	6, 0x0
	.amdhsa_kernel _ZN9rocsolver6v33100L18getf2_small_kernelILi15E19rocblas_complex_numIdEiiPKPS3_EEvT1_T3_lS7_lPS7_llPT2_S7_S7_S9_l
		.amdhsa_group_segment_fixed_size 0
		.amdhsa_private_segment_fixed_size 0
		.amdhsa_kernarg_size 352
		.amdhsa_user_sgpr_count 14
		.amdhsa_user_sgpr_dispatch_ptr 0
		.amdhsa_user_sgpr_queue_ptr 0
		.amdhsa_user_sgpr_kernarg_segment_ptr 1
		.amdhsa_user_sgpr_dispatch_id 0
		.amdhsa_user_sgpr_private_segment_size 0
		.amdhsa_wavefront_size32 1
		.amdhsa_uses_dynamic_stack 0
		.amdhsa_enable_private_segment 0
		.amdhsa_system_sgpr_workgroup_id_x 1
		.amdhsa_system_sgpr_workgroup_id_y 1
		.amdhsa_system_sgpr_workgroup_id_z 0
		.amdhsa_system_sgpr_workgroup_info 0
		.amdhsa_system_vgpr_workitem_id 1
		.amdhsa_next_free_vgpr 184
		.amdhsa_next_free_sgpr 16
		.amdhsa_reserve_vcc 1
		.amdhsa_float_round_mode_32 0
		.amdhsa_float_round_mode_16_64 0
		.amdhsa_float_denorm_mode_32 3
		.amdhsa_float_denorm_mode_16_64 3
		.amdhsa_dx10_clamp 1
		.amdhsa_ieee_mode 1
		.amdhsa_fp16_overflow 0
		.amdhsa_workgroup_processor_mode 1
		.amdhsa_memory_ordered 1
		.amdhsa_forward_progress 0
		.amdhsa_shared_vgpr_count 0
		.amdhsa_exception_fp_ieee_invalid_op 0
		.amdhsa_exception_fp_denorm_src 0
		.amdhsa_exception_fp_ieee_div_zero 0
		.amdhsa_exception_fp_ieee_overflow 0
		.amdhsa_exception_fp_ieee_underflow 0
		.amdhsa_exception_fp_ieee_inexact 0
		.amdhsa_exception_int_div_zero 0
	.end_amdhsa_kernel
	.section	.text._ZN9rocsolver6v33100L18getf2_small_kernelILi15E19rocblas_complex_numIdEiiPKPS3_EEvT1_T3_lS7_lPS7_llPT2_S7_S7_S9_l,"axG",@progbits,_ZN9rocsolver6v33100L18getf2_small_kernelILi15E19rocblas_complex_numIdEiiPKPS3_EEvT1_T3_lS7_lPS7_llPT2_S7_S7_S9_l,comdat
.Lfunc_end28:
	.size	_ZN9rocsolver6v33100L18getf2_small_kernelILi15E19rocblas_complex_numIdEiiPKPS3_EEvT1_T3_lS7_lPS7_llPT2_S7_S7_S9_l, .Lfunc_end28-_ZN9rocsolver6v33100L18getf2_small_kernelILi15E19rocblas_complex_numIdEiiPKPS3_EEvT1_T3_lS7_lPS7_llPT2_S7_S7_S9_l
                                        ; -- End function
	.section	.AMDGPU.csdata,"",@progbits
; Kernel info:
; codeLenInByte = 26216
; NumSgprs: 18
; NumVgprs: 184
; ScratchSize: 0
; MemoryBound: 0
; FloatMode: 240
; IeeeMode: 1
; LDSByteSize: 0 bytes/workgroup (compile time only)
; SGPRBlocks: 2
; VGPRBlocks: 22
; NumSGPRsForWavesPerEU: 18
; NumVGPRsForWavesPerEU: 184
; Occupancy: 8
; WaveLimiterHint : 1
; COMPUTE_PGM_RSRC2:SCRATCH_EN: 0
; COMPUTE_PGM_RSRC2:USER_SGPR: 14
; COMPUTE_PGM_RSRC2:TRAP_HANDLER: 0
; COMPUTE_PGM_RSRC2:TGID_X_EN: 1
; COMPUTE_PGM_RSRC2:TGID_Y_EN: 1
; COMPUTE_PGM_RSRC2:TGID_Z_EN: 0
; COMPUTE_PGM_RSRC2:TIDIG_COMP_CNT: 1
	.section	.text._ZN9rocsolver6v33100L23getf2_npvt_small_kernelILi15E19rocblas_complex_numIdEiiPKPS3_EEvT1_T3_lS7_lPT2_S7_S7_,"axG",@progbits,_ZN9rocsolver6v33100L23getf2_npvt_small_kernelILi15E19rocblas_complex_numIdEiiPKPS3_EEvT1_T3_lS7_lPT2_S7_S7_,comdat
	.globl	_ZN9rocsolver6v33100L23getf2_npvt_small_kernelILi15E19rocblas_complex_numIdEiiPKPS3_EEvT1_T3_lS7_lPT2_S7_S7_ ; -- Begin function _ZN9rocsolver6v33100L23getf2_npvt_small_kernelILi15E19rocblas_complex_numIdEiiPKPS3_EEvT1_T3_lS7_lPT2_S7_S7_
	.p2align	8
	.type	_ZN9rocsolver6v33100L23getf2_npvt_small_kernelILi15E19rocblas_complex_numIdEiiPKPS3_EEvT1_T3_lS7_lPT2_S7_S7_,@function
_ZN9rocsolver6v33100L23getf2_npvt_small_kernelILi15E19rocblas_complex_numIdEiiPKPS3_EEvT1_T3_lS7_lPT2_S7_S7_: ; @_ZN9rocsolver6v33100L23getf2_npvt_small_kernelILi15E19rocblas_complex_numIdEiiPKPS3_EEvT1_T3_lS7_lPT2_S7_S7_
; %bb.0:
	s_clause 0x1
	s_load_b32 s2, s[0:1], 0x44
	s_load_b64 s[8:9], s[0:1], 0x30
	v_bfe_u32 v60, v0, 10, 10
	s_waitcnt lgkmcnt(0)
	s_lshr_b32 s10, s2, 16
	s_mov_b32 s2, exec_lo
	s_delay_alu instid0(VALU_DEP_1) | instskip(NEXT) | instid1(VALU_DEP_1)
	v_mad_u64_u32 v[120:121], null, s15, s10, v[60:61]
	v_cmpx_gt_i32_e64 s8, v120
	s_cbranch_execz .LBB29_140
; %bb.1:
	s_clause 0x1
	s_load_b128 s[4:7], s[0:1], 0x8
	s_load_b32 s2, s[0:1], 0x18
	v_ashrrev_i32_e32 v121, 31, v120
	v_and_b32_e32 v154, 0x3ff, v0
	v_lshlrev_b32_e32 v61, 4, v60
	s_mulk_i32 s10, 0xf0
	v_mad_u32_u24 v156, 0xf0, v60, 0
	v_lshlrev_b64 v[1:2], 3, v[120:121]
	v_lshlrev_b32_e32 v29, 4, v154
	v_add3_u32 v155, 0, s10, v61
	s_waitcnt lgkmcnt(0)
	s_delay_alu instid0(VALU_DEP_3) | instskip(NEXT) | instid1(VALU_DEP_4)
	v_add_co_u32 v1, vcc_lo, s4, v1
	v_add_co_ci_u32_e32 v2, vcc_lo, s5, v2, vcc_lo
	v_add3_u32 v3, s2, s2, v154
	s_lshl_b64 s[4:5], s[6:7], 4
	s_ashr_i32 s3, s2, 31
	global_load_b64 v[1:2], v[1:2], off
	s_lshl_b64 s[6:7], s[2:3], 4
	v_add_nc_u32_e32 v5, s2, v3
	v_ashrrev_i32_e32 v4, 31, v3
	v_cmp_ne_u32_e64 s3, 0, v154
	s_delay_alu instid0(VALU_DEP_3) | instskip(SKIP_1) | instid1(VALU_DEP_4)
	v_add_nc_u32_e32 v7, s2, v5
	v_ashrrev_i32_e32 v6, 31, v5
	v_lshlrev_b64 v[3:4], 4, v[3:4]
	s_delay_alu instid0(VALU_DEP_3) | instskip(SKIP_1) | instid1(VALU_DEP_4)
	v_add_nc_u32_e32 v9, s2, v7
	v_ashrrev_i32_e32 v8, 31, v7
	v_lshlrev_b64 v[5:6], 4, v[5:6]
	;; [unrolled: 4-line block ×11, first 2 shown]
	v_cmp_eq_u32_e64 s2, 0, v154
	s_delay_alu instid0(VALU_DEP_4) | instskip(NEXT) | instid1(VALU_DEP_4)
	v_ashrrev_i32_e32 v28, 31, v27
	v_lshlrev_b64 v[25:26], 4, v[25:26]
	s_waitcnt vmcnt(0)
	v_add_co_u32 v30, vcc_lo, v1, s4
	v_add_co_ci_u32_e32 v2, vcc_lo, s5, v2, vcc_lo
	v_lshlrev_b64 v[0:1], 4, v[27:28]
	s_delay_alu instid0(VALU_DEP_3) | instskip(NEXT) | instid1(VALU_DEP_3)
	v_add_co_u32 v148, vcc_lo, v30, v29
	v_add_co_ci_u32_e32 v149, vcc_lo, 0, v2, vcc_lo
	v_add_co_u32 v146, vcc_lo, v30, v3
	v_add_co_ci_u32_e32 v147, vcc_lo, v2, v4, vcc_lo
	;; [unrolled: 2-line block ×15, first 2 shown]
	s_clause 0xe
	global_load_b128 v[48:51], v[146:147], off
	global_load_b128 v[44:47], v[144:145], off
	;; [unrolled: 1-line block ×15, first 2 shown]
	s_and_saveexec_b32 s5, s2
	s_cbranch_execz .LBB29_8
; %bb.2:
	s_waitcnt vmcnt(2)
	ds_store_2addr_b64 v155, v[56:57], v[58:59] offset1:1
	s_waitcnt vmcnt(1)
	ds_store_2addr_b64 v156, v[52:53], v[54:55] offset0:2 offset1:3
	ds_store_2addr_b64 v156, v[48:49], v[50:51] offset0:4 offset1:5
	ds_store_2addr_b64 v156, v[44:45], v[46:47] offset0:6 offset1:7
	ds_store_2addr_b64 v156, v[40:41], v[42:43] offset0:8 offset1:9
	ds_store_2addr_b64 v156, v[36:37], v[38:39] offset0:10 offset1:11
	ds_store_2addr_b64 v156, v[32:33], v[34:35] offset0:12 offset1:13
	ds_store_2addr_b64 v156, v[28:29], v[30:31] offset0:14 offset1:15
	ds_store_2addr_b64 v156, v[24:25], v[26:27] offset0:16 offset1:17
	ds_store_2addr_b64 v156, v[20:21], v[22:23] offset0:18 offset1:19
	ds_store_2addr_b64 v156, v[16:17], v[18:19] offset0:20 offset1:21
	ds_store_2addr_b64 v156, v[12:13], v[14:15] offset0:22 offset1:23
	ds_store_2addr_b64 v156, v[8:9], v[10:11] offset0:24 offset1:25
	ds_store_2addr_b64 v156, v[4:5], v[6:7] offset0:26 offset1:27
	s_waitcnt vmcnt(0)
	ds_store_2addr_b64 v156, v[0:1], v[2:3] offset0:28 offset1:29
	ds_load_2addr_b64 v[60:63], v155 offset1:1
	s_waitcnt lgkmcnt(0)
	v_cmp_neq_f64_e32 vcc_lo, 0, v[60:61]
	v_cmp_neq_f64_e64 s4, 0, v[62:63]
	s_delay_alu instid0(VALU_DEP_1) | instskip(NEXT) | instid1(SALU_CYCLE_1)
	s_or_b32 s4, vcc_lo, s4
	s_and_b32 exec_lo, exec_lo, s4
	s_cbranch_execz .LBB29_8
; %bb.3:
	v_cmp_gt_f64_e32 vcc_lo, 0, v[60:61]
	v_cmp_gt_f64_e64 s4, 0, v[62:63]
	v_xor_b32_e32 v64, 0x80000000, v61
	v_xor_b32_e32 v66, 0x80000000, v63
                                        ; implicit-def: $vgpr68_vgpr69
	s_delay_alu instid0(VALU_DEP_2) | instskip(NEXT) | instid1(VALU_DEP_2)
	v_cndmask_b32_e32 v65, v61, v64, vcc_lo
	v_cndmask_b32_e64 v67, v63, v66, s4
	v_cndmask_b32_e32 v64, v60, v60, vcc_lo
	v_cndmask_b32_e64 v66, v62, v62, s4
	s_mov_b32 s4, exec_lo
	s_delay_alu instid0(VALU_DEP_1)
	v_cmpx_ngt_f64_e32 v[64:65], v[66:67]
	s_xor_b32 s4, exec_lo, s4
                                        ; implicit-def: $vgpr64_vgpr65_vgpr66_vgpr67
	s_cbranch_execz .LBB29_5
; %bb.4:
	v_div_scale_f64 v[64:65], null, v[62:63], v[62:63], v[60:61]
	v_div_scale_f64 v[70:71], vcc_lo, v[60:61], v[62:63], v[60:61]
	s_delay_alu instid0(VALU_DEP_2) | instskip(SKIP_2) | instid1(VALU_DEP_1)
	v_rcp_f64_e32 v[66:67], v[64:65]
	s_waitcnt_depctr 0xfff
	v_fma_f64 v[68:69], -v[64:65], v[66:67], 1.0
	v_fma_f64 v[66:67], v[66:67], v[68:69], v[66:67]
	s_delay_alu instid0(VALU_DEP_1) | instskip(NEXT) | instid1(VALU_DEP_1)
	v_fma_f64 v[68:69], -v[64:65], v[66:67], 1.0
	v_fma_f64 v[66:67], v[66:67], v[68:69], v[66:67]
	s_delay_alu instid0(VALU_DEP_1) | instskip(NEXT) | instid1(VALU_DEP_1)
	v_mul_f64 v[68:69], v[70:71], v[66:67]
	v_fma_f64 v[64:65], -v[64:65], v[68:69], v[70:71]
	s_delay_alu instid0(VALU_DEP_1) | instskip(NEXT) | instid1(VALU_DEP_1)
	v_div_fmas_f64 v[64:65], v[64:65], v[66:67], v[68:69]
	v_div_fixup_f64 v[64:65], v[64:65], v[62:63], v[60:61]
	s_delay_alu instid0(VALU_DEP_1) | instskip(NEXT) | instid1(VALU_DEP_1)
	v_fma_f64 v[60:61], v[60:61], v[64:65], v[62:63]
	v_div_scale_f64 v[62:63], null, v[60:61], v[60:61], 1.0
	s_delay_alu instid0(VALU_DEP_1) | instskip(SKIP_2) | instid1(VALU_DEP_1)
	v_rcp_f64_e32 v[66:67], v[62:63]
	s_waitcnt_depctr 0xfff
	v_fma_f64 v[68:69], -v[62:63], v[66:67], 1.0
	v_fma_f64 v[66:67], v[66:67], v[68:69], v[66:67]
	s_delay_alu instid0(VALU_DEP_1) | instskip(NEXT) | instid1(VALU_DEP_1)
	v_fma_f64 v[68:69], -v[62:63], v[66:67], 1.0
	v_fma_f64 v[66:67], v[66:67], v[68:69], v[66:67]
	v_div_scale_f64 v[68:69], vcc_lo, 1.0, v[60:61], 1.0
	s_delay_alu instid0(VALU_DEP_1) | instskip(NEXT) | instid1(VALU_DEP_1)
	v_mul_f64 v[70:71], v[68:69], v[66:67]
	v_fma_f64 v[62:63], -v[62:63], v[70:71], v[68:69]
	s_delay_alu instid0(VALU_DEP_1) | instskip(NEXT) | instid1(VALU_DEP_1)
	v_div_fmas_f64 v[62:63], v[62:63], v[66:67], v[70:71]
	v_div_fixup_f64 v[66:67], v[62:63], v[60:61], 1.0
                                        ; implicit-def: $vgpr60_vgpr61
	s_delay_alu instid0(VALU_DEP_1)
	v_mul_f64 v[68:69], v[64:65], v[66:67]
	v_xor_b32_e32 v67, 0x80000000, v67
.LBB29_5:
	s_and_not1_saveexec_b32 s4, s4
	s_cbranch_execz .LBB29_7
; %bb.6:
	v_div_scale_f64 v[64:65], null, v[60:61], v[60:61], v[62:63]
	v_div_scale_f64 v[70:71], vcc_lo, v[62:63], v[60:61], v[62:63]
	s_delay_alu instid0(VALU_DEP_2) | instskip(SKIP_2) | instid1(VALU_DEP_1)
	v_rcp_f64_e32 v[66:67], v[64:65]
	s_waitcnt_depctr 0xfff
	v_fma_f64 v[68:69], -v[64:65], v[66:67], 1.0
	v_fma_f64 v[66:67], v[66:67], v[68:69], v[66:67]
	s_delay_alu instid0(VALU_DEP_1) | instskip(NEXT) | instid1(VALU_DEP_1)
	v_fma_f64 v[68:69], -v[64:65], v[66:67], 1.0
	v_fma_f64 v[66:67], v[66:67], v[68:69], v[66:67]
	s_delay_alu instid0(VALU_DEP_1) | instskip(NEXT) | instid1(VALU_DEP_1)
	v_mul_f64 v[68:69], v[70:71], v[66:67]
	v_fma_f64 v[64:65], -v[64:65], v[68:69], v[70:71]
	s_delay_alu instid0(VALU_DEP_1) | instskip(NEXT) | instid1(VALU_DEP_1)
	v_div_fmas_f64 v[64:65], v[64:65], v[66:67], v[68:69]
	v_div_fixup_f64 v[64:65], v[64:65], v[60:61], v[62:63]
	s_delay_alu instid0(VALU_DEP_1) | instskip(NEXT) | instid1(VALU_DEP_1)
	v_fma_f64 v[60:61], v[62:63], v[64:65], v[60:61]
	v_div_scale_f64 v[62:63], null, v[60:61], v[60:61], 1.0
	s_delay_alu instid0(VALU_DEP_1) | instskip(SKIP_2) | instid1(VALU_DEP_1)
	v_rcp_f64_e32 v[66:67], v[62:63]
	s_waitcnt_depctr 0xfff
	v_fma_f64 v[68:69], -v[62:63], v[66:67], 1.0
	v_fma_f64 v[66:67], v[66:67], v[68:69], v[66:67]
	s_delay_alu instid0(VALU_DEP_1) | instskip(NEXT) | instid1(VALU_DEP_1)
	v_fma_f64 v[68:69], -v[62:63], v[66:67], 1.0
	v_fma_f64 v[66:67], v[66:67], v[68:69], v[66:67]
	v_div_scale_f64 v[68:69], vcc_lo, 1.0, v[60:61], 1.0
	s_delay_alu instid0(VALU_DEP_1) | instskip(NEXT) | instid1(VALU_DEP_1)
	v_mul_f64 v[70:71], v[68:69], v[66:67]
	v_fma_f64 v[62:63], -v[62:63], v[70:71], v[68:69]
	s_delay_alu instid0(VALU_DEP_1) | instskip(NEXT) | instid1(VALU_DEP_1)
	v_div_fmas_f64 v[62:63], v[62:63], v[66:67], v[70:71]
	v_div_fixup_f64 v[68:69], v[62:63], v[60:61], 1.0
	s_delay_alu instid0(VALU_DEP_1)
	v_mul_f64 v[66:67], v[64:65], -v[68:69]
.LBB29_7:
	s_or_b32 exec_lo, exec_lo, s4
	ds_store_2addr_b64 v155, v[68:69], v[66:67] offset1:1
.LBB29_8:
	s_or_b32 exec_lo, exec_lo, s5
	s_waitcnt vmcnt(0) lgkmcnt(0)
	s_barrier
	buffer_gl0_inv
	ds_load_2addr_b64 v[60:63], v155 offset1:1
	s_and_saveexec_b32 s4, s3
	s_cbranch_execz .LBB29_10
; %bb.9:
	s_waitcnt lgkmcnt(0)
	v_mul_f64 v[64:65], v[60:61], v[58:59]
	v_mul_f64 v[58:59], v[62:63], v[58:59]
	s_delay_alu instid0(VALU_DEP_2)
	v_fma_f64 v[152:153], v[62:63], v[56:57], v[64:65]
	ds_load_2addr_b64 v[64:67], v156 offset0:2 offset1:3
	ds_load_2addr_b64 v[68:71], v156 offset0:4 offset1:5
	;; [unrolled: 1-line block ×14, first 2 shown]
	v_fma_f64 v[56:57], v[60:61], v[56:57], -v[58:59]
	s_waitcnt lgkmcnt(13)
	v_mul_f64 v[58:59], v[66:67], v[152:153]
	v_mul_f64 v[157:158], v[64:65], v[152:153]
	s_waitcnt lgkmcnt(12)
	v_mul_f64 v[159:160], v[70:71], v[152:153]
	v_mul_f64 v[161:162], v[68:69], v[152:153]
	;; [unrolled: 3-line block ×14, first 2 shown]
	v_fma_f64 v[58:59], v[64:65], v[56:57], -v[58:59]
	v_fma_f64 v[64:65], v[66:67], v[56:57], v[157:158]
	v_fma_f64 v[66:67], v[68:69], v[56:57], -v[159:160]
	v_fma_f64 v[68:69], v[70:71], v[56:57], v[161:162]
	;; [unrolled: 2-line block ×14, first 2 shown]
	v_add_f64 v[52:53], v[52:53], -v[58:59]
	v_add_f64 v[54:55], v[54:55], -v[64:65]
	;; [unrolled: 1-line block ×28, first 2 shown]
	v_dual_mov_b32 v58, v152 :: v_dual_mov_b32 v59, v153
.LBB29_10:
	s_or_b32 exec_lo, exec_lo, s4
	s_delay_alu instid0(SALU_CYCLE_1)
	s_mov_b32 s4, exec_lo
	s_waitcnt lgkmcnt(0)
	s_barrier
	buffer_gl0_inv
	v_cmpx_eq_u32_e32 1, v154
	s_cbranch_execz .LBB29_17
; %bb.11:
	ds_store_2addr_b64 v155, v[52:53], v[54:55] offset1:1
	ds_store_2addr_b64 v156, v[48:49], v[50:51] offset0:4 offset1:5
	ds_store_2addr_b64 v156, v[44:45], v[46:47] offset0:6 offset1:7
	;; [unrolled: 1-line block ×13, first 2 shown]
	ds_load_2addr_b64 v[64:67], v155 offset1:1
	s_waitcnt lgkmcnt(0)
	v_cmp_neq_f64_e32 vcc_lo, 0, v[64:65]
	v_cmp_neq_f64_e64 s3, 0, v[66:67]
	s_delay_alu instid0(VALU_DEP_1) | instskip(NEXT) | instid1(SALU_CYCLE_1)
	s_or_b32 s3, vcc_lo, s3
	s_and_b32 exec_lo, exec_lo, s3
	s_cbranch_execz .LBB29_17
; %bb.12:
	v_cmp_gt_f64_e32 vcc_lo, 0, v[64:65]
	v_cmp_gt_f64_e64 s3, 0, v[66:67]
	v_xor_b32_e32 v68, 0x80000000, v65
	v_xor_b32_e32 v70, 0x80000000, v67
                                        ; implicit-def: $vgpr72_vgpr73
	s_delay_alu instid0(VALU_DEP_2) | instskip(NEXT) | instid1(VALU_DEP_2)
	v_cndmask_b32_e32 v69, v65, v68, vcc_lo
	v_cndmask_b32_e64 v71, v67, v70, s3
	v_cndmask_b32_e32 v68, v64, v64, vcc_lo
	v_cndmask_b32_e64 v70, v66, v66, s3
	s_mov_b32 s3, exec_lo
	s_delay_alu instid0(VALU_DEP_1)
	v_cmpx_ngt_f64_e32 v[68:69], v[70:71]
	s_xor_b32 s3, exec_lo, s3
                                        ; implicit-def: $vgpr68_vgpr69_vgpr70_vgpr71
	s_cbranch_execz .LBB29_14
; %bb.13:
	v_div_scale_f64 v[68:69], null, v[66:67], v[66:67], v[64:65]
	v_div_scale_f64 v[74:75], vcc_lo, v[64:65], v[66:67], v[64:65]
	s_delay_alu instid0(VALU_DEP_2) | instskip(SKIP_2) | instid1(VALU_DEP_1)
	v_rcp_f64_e32 v[70:71], v[68:69]
	s_waitcnt_depctr 0xfff
	v_fma_f64 v[72:73], -v[68:69], v[70:71], 1.0
	v_fma_f64 v[70:71], v[70:71], v[72:73], v[70:71]
	s_delay_alu instid0(VALU_DEP_1) | instskip(NEXT) | instid1(VALU_DEP_1)
	v_fma_f64 v[72:73], -v[68:69], v[70:71], 1.0
	v_fma_f64 v[70:71], v[70:71], v[72:73], v[70:71]
	s_delay_alu instid0(VALU_DEP_1) | instskip(NEXT) | instid1(VALU_DEP_1)
	v_mul_f64 v[72:73], v[74:75], v[70:71]
	v_fma_f64 v[68:69], -v[68:69], v[72:73], v[74:75]
	s_delay_alu instid0(VALU_DEP_1) | instskip(NEXT) | instid1(VALU_DEP_1)
	v_div_fmas_f64 v[68:69], v[68:69], v[70:71], v[72:73]
	v_div_fixup_f64 v[68:69], v[68:69], v[66:67], v[64:65]
	s_delay_alu instid0(VALU_DEP_1) | instskip(NEXT) | instid1(VALU_DEP_1)
	v_fma_f64 v[64:65], v[64:65], v[68:69], v[66:67]
	v_div_scale_f64 v[66:67], null, v[64:65], v[64:65], 1.0
	s_delay_alu instid0(VALU_DEP_1) | instskip(SKIP_2) | instid1(VALU_DEP_1)
	v_rcp_f64_e32 v[70:71], v[66:67]
	s_waitcnt_depctr 0xfff
	v_fma_f64 v[72:73], -v[66:67], v[70:71], 1.0
	v_fma_f64 v[70:71], v[70:71], v[72:73], v[70:71]
	s_delay_alu instid0(VALU_DEP_1) | instskip(NEXT) | instid1(VALU_DEP_1)
	v_fma_f64 v[72:73], -v[66:67], v[70:71], 1.0
	v_fma_f64 v[70:71], v[70:71], v[72:73], v[70:71]
	v_div_scale_f64 v[72:73], vcc_lo, 1.0, v[64:65], 1.0
	s_delay_alu instid0(VALU_DEP_1) | instskip(NEXT) | instid1(VALU_DEP_1)
	v_mul_f64 v[74:75], v[72:73], v[70:71]
	v_fma_f64 v[66:67], -v[66:67], v[74:75], v[72:73]
	s_delay_alu instid0(VALU_DEP_1) | instskip(NEXT) | instid1(VALU_DEP_1)
	v_div_fmas_f64 v[66:67], v[66:67], v[70:71], v[74:75]
	v_div_fixup_f64 v[70:71], v[66:67], v[64:65], 1.0
                                        ; implicit-def: $vgpr64_vgpr65
	s_delay_alu instid0(VALU_DEP_1)
	v_mul_f64 v[72:73], v[68:69], v[70:71]
	v_xor_b32_e32 v71, 0x80000000, v71
.LBB29_14:
	s_and_not1_saveexec_b32 s3, s3
	s_cbranch_execz .LBB29_16
; %bb.15:
	v_div_scale_f64 v[68:69], null, v[64:65], v[64:65], v[66:67]
	v_div_scale_f64 v[74:75], vcc_lo, v[66:67], v[64:65], v[66:67]
	s_delay_alu instid0(VALU_DEP_2) | instskip(SKIP_2) | instid1(VALU_DEP_1)
	v_rcp_f64_e32 v[70:71], v[68:69]
	s_waitcnt_depctr 0xfff
	v_fma_f64 v[72:73], -v[68:69], v[70:71], 1.0
	v_fma_f64 v[70:71], v[70:71], v[72:73], v[70:71]
	s_delay_alu instid0(VALU_DEP_1) | instskip(NEXT) | instid1(VALU_DEP_1)
	v_fma_f64 v[72:73], -v[68:69], v[70:71], 1.0
	v_fma_f64 v[70:71], v[70:71], v[72:73], v[70:71]
	s_delay_alu instid0(VALU_DEP_1) | instskip(NEXT) | instid1(VALU_DEP_1)
	v_mul_f64 v[72:73], v[74:75], v[70:71]
	v_fma_f64 v[68:69], -v[68:69], v[72:73], v[74:75]
	s_delay_alu instid0(VALU_DEP_1) | instskip(NEXT) | instid1(VALU_DEP_1)
	v_div_fmas_f64 v[68:69], v[68:69], v[70:71], v[72:73]
	v_div_fixup_f64 v[68:69], v[68:69], v[64:65], v[66:67]
	s_delay_alu instid0(VALU_DEP_1) | instskip(NEXT) | instid1(VALU_DEP_1)
	v_fma_f64 v[64:65], v[66:67], v[68:69], v[64:65]
	v_div_scale_f64 v[66:67], null, v[64:65], v[64:65], 1.0
	s_delay_alu instid0(VALU_DEP_1) | instskip(SKIP_2) | instid1(VALU_DEP_1)
	v_rcp_f64_e32 v[70:71], v[66:67]
	s_waitcnt_depctr 0xfff
	v_fma_f64 v[72:73], -v[66:67], v[70:71], 1.0
	v_fma_f64 v[70:71], v[70:71], v[72:73], v[70:71]
	s_delay_alu instid0(VALU_DEP_1) | instskip(NEXT) | instid1(VALU_DEP_1)
	v_fma_f64 v[72:73], -v[66:67], v[70:71], 1.0
	v_fma_f64 v[70:71], v[70:71], v[72:73], v[70:71]
	v_div_scale_f64 v[72:73], vcc_lo, 1.0, v[64:65], 1.0
	s_delay_alu instid0(VALU_DEP_1) | instskip(NEXT) | instid1(VALU_DEP_1)
	v_mul_f64 v[74:75], v[72:73], v[70:71]
	v_fma_f64 v[66:67], -v[66:67], v[74:75], v[72:73]
	s_delay_alu instid0(VALU_DEP_1) | instskip(NEXT) | instid1(VALU_DEP_1)
	v_div_fmas_f64 v[66:67], v[66:67], v[70:71], v[74:75]
	v_div_fixup_f64 v[72:73], v[66:67], v[64:65], 1.0
	s_delay_alu instid0(VALU_DEP_1)
	v_mul_f64 v[70:71], v[68:69], -v[72:73]
.LBB29_16:
	s_or_b32 exec_lo, exec_lo, s3
	ds_store_2addr_b64 v155, v[72:73], v[70:71] offset1:1
.LBB29_17:
	s_or_b32 exec_lo, exec_lo, s4
	s_waitcnt lgkmcnt(0)
	s_barrier
	buffer_gl0_inv
	ds_load_2addr_b64 v[64:67], v155 offset1:1
	s_mov_b32 s3, exec_lo
	v_cmpx_lt_u32_e32 1, v154
	s_cbranch_execz .LBB29_19
; %bb.18:
	s_waitcnt lgkmcnt(0)
	v_mul_f64 v[68:69], v[64:65], v[54:55]
	v_mul_f64 v[54:55], v[66:67], v[54:55]
	s_delay_alu instid0(VALU_DEP_2)
	v_fma_f64 v[152:153], v[66:67], v[52:53], v[68:69]
	ds_load_2addr_b64 v[68:71], v156 offset0:4 offset1:5
	ds_load_2addr_b64 v[72:75], v156 offset0:6 offset1:7
	;; [unrolled: 1-line block ×13, first 2 shown]
	v_fma_f64 v[52:53], v[64:65], v[52:53], -v[54:55]
	s_waitcnt lgkmcnt(12)
	v_mul_f64 v[54:55], v[70:71], v[152:153]
	v_mul_f64 v[157:158], v[68:69], v[152:153]
	s_waitcnt lgkmcnt(11)
	v_mul_f64 v[159:160], v[74:75], v[152:153]
	v_mul_f64 v[161:162], v[72:73], v[152:153]
	;; [unrolled: 3-line block ×13, first 2 shown]
	v_fma_f64 v[54:55], v[68:69], v[52:53], -v[54:55]
	v_fma_f64 v[68:69], v[70:71], v[52:53], v[157:158]
	v_fma_f64 v[70:71], v[72:73], v[52:53], -v[159:160]
	v_fma_f64 v[72:73], v[74:75], v[52:53], v[161:162]
	;; [unrolled: 2-line block ×13, first 2 shown]
	v_add_f64 v[48:49], v[48:49], -v[54:55]
	v_add_f64 v[50:51], v[50:51], -v[68:69]
	;; [unrolled: 1-line block ×26, first 2 shown]
	v_dual_mov_b32 v54, v152 :: v_dual_mov_b32 v55, v153
.LBB29_19:
	s_or_b32 exec_lo, exec_lo, s3
	s_delay_alu instid0(SALU_CYCLE_1)
	s_mov_b32 s4, exec_lo
	s_waitcnt lgkmcnt(0)
	s_barrier
	buffer_gl0_inv
	v_cmpx_eq_u32_e32 2, v154
	s_cbranch_execz .LBB29_26
; %bb.20:
	ds_store_2addr_b64 v155, v[48:49], v[50:51] offset1:1
	ds_store_2addr_b64 v156, v[44:45], v[46:47] offset0:6 offset1:7
	ds_store_2addr_b64 v156, v[40:41], v[42:43] offset0:8 offset1:9
	;; [unrolled: 1-line block ×12, first 2 shown]
	ds_load_2addr_b64 v[68:71], v155 offset1:1
	s_waitcnt lgkmcnt(0)
	v_cmp_neq_f64_e32 vcc_lo, 0, v[68:69]
	v_cmp_neq_f64_e64 s3, 0, v[70:71]
	s_delay_alu instid0(VALU_DEP_1) | instskip(NEXT) | instid1(SALU_CYCLE_1)
	s_or_b32 s3, vcc_lo, s3
	s_and_b32 exec_lo, exec_lo, s3
	s_cbranch_execz .LBB29_26
; %bb.21:
	v_cmp_gt_f64_e32 vcc_lo, 0, v[68:69]
	v_cmp_gt_f64_e64 s3, 0, v[70:71]
	v_xor_b32_e32 v72, 0x80000000, v69
	v_xor_b32_e32 v74, 0x80000000, v71
                                        ; implicit-def: $vgpr76_vgpr77
	s_delay_alu instid0(VALU_DEP_2) | instskip(NEXT) | instid1(VALU_DEP_2)
	v_cndmask_b32_e32 v73, v69, v72, vcc_lo
	v_cndmask_b32_e64 v75, v71, v74, s3
	v_cndmask_b32_e32 v72, v68, v68, vcc_lo
	v_cndmask_b32_e64 v74, v70, v70, s3
	s_mov_b32 s3, exec_lo
	s_delay_alu instid0(VALU_DEP_1)
	v_cmpx_ngt_f64_e32 v[72:73], v[74:75]
	s_xor_b32 s3, exec_lo, s3
                                        ; implicit-def: $vgpr72_vgpr73_vgpr74_vgpr75
	s_cbranch_execz .LBB29_23
; %bb.22:
	v_div_scale_f64 v[72:73], null, v[70:71], v[70:71], v[68:69]
	v_div_scale_f64 v[78:79], vcc_lo, v[68:69], v[70:71], v[68:69]
	s_delay_alu instid0(VALU_DEP_2) | instskip(SKIP_2) | instid1(VALU_DEP_1)
	v_rcp_f64_e32 v[74:75], v[72:73]
	s_waitcnt_depctr 0xfff
	v_fma_f64 v[76:77], -v[72:73], v[74:75], 1.0
	v_fma_f64 v[74:75], v[74:75], v[76:77], v[74:75]
	s_delay_alu instid0(VALU_DEP_1) | instskip(NEXT) | instid1(VALU_DEP_1)
	v_fma_f64 v[76:77], -v[72:73], v[74:75], 1.0
	v_fma_f64 v[74:75], v[74:75], v[76:77], v[74:75]
	s_delay_alu instid0(VALU_DEP_1) | instskip(NEXT) | instid1(VALU_DEP_1)
	v_mul_f64 v[76:77], v[78:79], v[74:75]
	v_fma_f64 v[72:73], -v[72:73], v[76:77], v[78:79]
	s_delay_alu instid0(VALU_DEP_1) | instskip(NEXT) | instid1(VALU_DEP_1)
	v_div_fmas_f64 v[72:73], v[72:73], v[74:75], v[76:77]
	v_div_fixup_f64 v[72:73], v[72:73], v[70:71], v[68:69]
	s_delay_alu instid0(VALU_DEP_1) | instskip(NEXT) | instid1(VALU_DEP_1)
	v_fma_f64 v[68:69], v[68:69], v[72:73], v[70:71]
	v_div_scale_f64 v[70:71], null, v[68:69], v[68:69], 1.0
	s_delay_alu instid0(VALU_DEP_1) | instskip(SKIP_2) | instid1(VALU_DEP_1)
	v_rcp_f64_e32 v[74:75], v[70:71]
	s_waitcnt_depctr 0xfff
	v_fma_f64 v[76:77], -v[70:71], v[74:75], 1.0
	v_fma_f64 v[74:75], v[74:75], v[76:77], v[74:75]
	s_delay_alu instid0(VALU_DEP_1) | instskip(NEXT) | instid1(VALU_DEP_1)
	v_fma_f64 v[76:77], -v[70:71], v[74:75], 1.0
	v_fma_f64 v[74:75], v[74:75], v[76:77], v[74:75]
	v_div_scale_f64 v[76:77], vcc_lo, 1.0, v[68:69], 1.0
	s_delay_alu instid0(VALU_DEP_1) | instskip(NEXT) | instid1(VALU_DEP_1)
	v_mul_f64 v[78:79], v[76:77], v[74:75]
	v_fma_f64 v[70:71], -v[70:71], v[78:79], v[76:77]
	s_delay_alu instid0(VALU_DEP_1) | instskip(NEXT) | instid1(VALU_DEP_1)
	v_div_fmas_f64 v[70:71], v[70:71], v[74:75], v[78:79]
	v_div_fixup_f64 v[74:75], v[70:71], v[68:69], 1.0
                                        ; implicit-def: $vgpr68_vgpr69
	s_delay_alu instid0(VALU_DEP_1)
	v_mul_f64 v[76:77], v[72:73], v[74:75]
	v_xor_b32_e32 v75, 0x80000000, v75
.LBB29_23:
	s_and_not1_saveexec_b32 s3, s3
	s_cbranch_execz .LBB29_25
; %bb.24:
	v_div_scale_f64 v[72:73], null, v[68:69], v[68:69], v[70:71]
	v_div_scale_f64 v[78:79], vcc_lo, v[70:71], v[68:69], v[70:71]
	s_delay_alu instid0(VALU_DEP_2) | instskip(SKIP_2) | instid1(VALU_DEP_1)
	v_rcp_f64_e32 v[74:75], v[72:73]
	s_waitcnt_depctr 0xfff
	v_fma_f64 v[76:77], -v[72:73], v[74:75], 1.0
	v_fma_f64 v[74:75], v[74:75], v[76:77], v[74:75]
	s_delay_alu instid0(VALU_DEP_1) | instskip(NEXT) | instid1(VALU_DEP_1)
	v_fma_f64 v[76:77], -v[72:73], v[74:75], 1.0
	v_fma_f64 v[74:75], v[74:75], v[76:77], v[74:75]
	s_delay_alu instid0(VALU_DEP_1) | instskip(NEXT) | instid1(VALU_DEP_1)
	v_mul_f64 v[76:77], v[78:79], v[74:75]
	v_fma_f64 v[72:73], -v[72:73], v[76:77], v[78:79]
	s_delay_alu instid0(VALU_DEP_1) | instskip(NEXT) | instid1(VALU_DEP_1)
	v_div_fmas_f64 v[72:73], v[72:73], v[74:75], v[76:77]
	v_div_fixup_f64 v[72:73], v[72:73], v[68:69], v[70:71]
	s_delay_alu instid0(VALU_DEP_1) | instskip(NEXT) | instid1(VALU_DEP_1)
	v_fma_f64 v[68:69], v[70:71], v[72:73], v[68:69]
	v_div_scale_f64 v[70:71], null, v[68:69], v[68:69], 1.0
	s_delay_alu instid0(VALU_DEP_1) | instskip(SKIP_2) | instid1(VALU_DEP_1)
	v_rcp_f64_e32 v[74:75], v[70:71]
	s_waitcnt_depctr 0xfff
	v_fma_f64 v[76:77], -v[70:71], v[74:75], 1.0
	v_fma_f64 v[74:75], v[74:75], v[76:77], v[74:75]
	s_delay_alu instid0(VALU_DEP_1) | instskip(NEXT) | instid1(VALU_DEP_1)
	v_fma_f64 v[76:77], -v[70:71], v[74:75], 1.0
	v_fma_f64 v[74:75], v[74:75], v[76:77], v[74:75]
	v_div_scale_f64 v[76:77], vcc_lo, 1.0, v[68:69], 1.0
	s_delay_alu instid0(VALU_DEP_1) | instskip(NEXT) | instid1(VALU_DEP_1)
	v_mul_f64 v[78:79], v[76:77], v[74:75]
	v_fma_f64 v[70:71], -v[70:71], v[78:79], v[76:77]
	s_delay_alu instid0(VALU_DEP_1) | instskip(NEXT) | instid1(VALU_DEP_1)
	v_div_fmas_f64 v[70:71], v[70:71], v[74:75], v[78:79]
	v_div_fixup_f64 v[76:77], v[70:71], v[68:69], 1.0
	s_delay_alu instid0(VALU_DEP_1)
	v_mul_f64 v[74:75], v[72:73], -v[76:77]
.LBB29_25:
	s_or_b32 exec_lo, exec_lo, s3
	ds_store_2addr_b64 v155, v[76:77], v[74:75] offset1:1
.LBB29_26:
	s_or_b32 exec_lo, exec_lo, s4
	s_waitcnt lgkmcnt(0)
	s_barrier
	buffer_gl0_inv
	ds_load_2addr_b64 v[68:71], v155 offset1:1
	s_mov_b32 s3, exec_lo
	v_cmpx_lt_u32_e32 2, v154
	s_cbranch_execz .LBB29_28
; %bb.27:
	s_waitcnt lgkmcnt(0)
	v_mul_f64 v[72:73], v[68:69], v[50:51]
	v_mul_f64 v[50:51], v[70:71], v[50:51]
	s_delay_alu instid0(VALU_DEP_2)
	v_fma_f64 v[152:153], v[70:71], v[48:49], v[72:73]
	ds_load_2addr_b64 v[72:75], v156 offset0:6 offset1:7
	ds_load_2addr_b64 v[76:79], v156 offset0:8 offset1:9
	;; [unrolled: 1-line block ×12, first 2 shown]
	v_fma_f64 v[48:49], v[68:69], v[48:49], -v[50:51]
	s_waitcnt lgkmcnt(11)
	v_mul_f64 v[50:51], v[74:75], v[152:153]
	v_mul_f64 v[157:158], v[72:73], v[152:153]
	s_waitcnt lgkmcnt(10)
	v_mul_f64 v[159:160], v[78:79], v[152:153]
	v_mul_f64 v[161:162], v[76:77], v[152:153]
	;; [unrolled: 3-line block ×12, first 2 shown]
	v_fma_f64 v[50:51], v[72:73], v[48:49], -v[50:51]
	v_fma_f64 v[72:73], v[74:75], v[48:49], v[157:158]
	v_fma_f64 v[74:75], v[76:77], v[48:49], -v[159:160]
	v_fma_f64 v[76:77], v[78:79], v[48:49], v[161:162]
	;; [unrolled: 2-line block ×12, first 2 shown]
	v_add_f64 v[44:45], v[44:45], -v[50:51]
	v_add_f64 v[46:47], v[46:47], -v[72:73]
	;; [unrolled: 1-line block ×24, first 2 shown]
	v_dual_mov_b32 v50, v152 :: v_dual_mov_b32 v51, v153
.LBB29_28:
	s_or_b32 exec_lo, exec_lo, s3
	s_delay_alu instid0(SALU_CYCLE_1)
	s_mov_b32 s4, exec_lo
	s_waitcnt lgkmcnt(0)
	s_barrier
	buffer_gl0_inv
	v_cmpx_eq_u32_e32 3, v154
	s_cbranch_execz .LBB29_35
; %bb.29:
	ds_store_2addr_b64 v155, v[44:45], v[46:47] offset1:1
	ds_store_2addr_b64 v156, v[40:41], v[42:43] offset0:8 offset1:9
	ds_store_2addr_b64 v156, v[36:37], v[38:39] offset0:10 offset1:11
	ds_store_2addr_b64 v156, v[32:33], v[34:35] offset0:12 offset1:13
	ds_store_2addr_b64 v156, v[28:29], v[30:31] offset0:14 offset1:15
	ds_store_2addr_b64 v156, v[24:25], v[26:27] offset0:16 offset1:17
	ds_store_2addr_b64 v156, v[20:21], v[22:23] offset0:18 offset1:19
	ds_store_2addr_b64 v156, v[16:17], v[18:19] offset0:20 offset1:21
	ds_store_2addr_b64 v156, v[12:13], v[14:15] offset0:22 offset1:23
	ds_store_2addr_b64 v156, v[8:9], v[10:11] offset0:24 offset1:25
	ds_store_2addr_b64 v156, v[4:5], v[6:7] offset0:26 offset1:27
	ds_store_2addr_b64 v156, v[0:1], v[2:3] offset0:28 offset1:29
	ds_load_2addr_b64 v[72:75], v155 offset1:1
	s_waitcnt lgkmcnt(0)
	v_cmp_neq_f64_e32 vcc_lo, 0, v[72:73]
	v_cmp_neq_f64_e64 s3, 0, v[74:75]
	s_delay_alu instid0(VALU_DEP_1) | instskip(NEXT) | instid1(SALU_CYCLE_1)
	s_or_b32 s3, vcc_lo, s3
	s_and_b32 exec_lo, exec_lo, s3
	s_cbranch_execz .LBB29_35
; %bb.30:
	v_cmp_gt_f64_e32 vcc_lo, 0, v[72:73]
	v_cmp_gt_f64_e64 s3, 0, v[74:75]
	v_xor_b32_e32 v76, 0x80000000, v73
	v_xor_b32_e32 v78, 0x80000000, v75
                                        ; implicit-def: $vgpr80_vgpr81
	s_delay_alu instid0(VALU_DEP_2) | instskip(NEXT) | instid1(VALU_DEP_2)
	v_cndmask_b32_e32 v77, v73, v76, vcc_lo
	v_cndmask_b32_e64 v79, v75, v78, s3
	v_cndmask_b32_e32 v76, v72, v72, vcc_lo
	v_cndmask_b32_e64 v78, v74, v74, s3
	s_mov_b32 s3, exec_lo
	s_delay_alu instid0(VALU_DEP_1)
	v_cmpx_ngt_f64_e32 v[76:77], v[78:79]
	s_xor_b32 s3, exec_lo, s3
                                        ; implicit-def: $vgpr76_vgpr77_vgpr78_vgpr79
	s_cbranch_execz .LBB29_32
; %bb.31:
	v_div_scale_f64 v[76:77], null, v[74:75], v[74:75], v[72:73]
	v_div_scale_f64 v[82:83], vcc_lo, v[72:73], v[74:75], v[72:73]
	s_delay_alu instid0(VALU_DEP_2) | instskip(SKIP_2) | instid1(VALU_DEP_1)
	v_rcp_f64_e32 v[78:79], v[76:77]
	s_waitcnt_depctr 0xfff
	v_fma_f64 v[80:81], -v[76:77], v[78:79], 1.0
	v_fma_f64 v[78:79], v[78:79], v[80:81], v[78:79]
	s_delay_alu instid0(VALU_DEP_1) | instskip(NEXT) | instid1(VALU_DEP_1)
	v_fma_f64 v[80:81], -v[76:77], v[78:79], 1.0
	v_fma_f64 v[78:79], v[78:79], v[80:81], v[78:79]
	s_delay_alu instid0(VALU_DEP_1) | instskip(NEXT) | instid1(VALU_DEP_1)
	v_mul_f64 v[80:81], v[82:83], v[78:79]
	v_fma_f64 v[76:77], -v[76:77], v[80:81], v[82:83]
	s_delay_alu instid0(VALU_DEP_1) | instskip(NEXT) | instid1(VALU_DEP_1)
	v_div_fmas_f64 v[76:77], v[76:77], v[78:79], v[80:81]
	v_div_fixup_f64 v[76:77], v[76:77], v[74:75], v[72:73]
	s_delay_alu instid0(VALU_DEP_1) | instskip(NEXT) | instid1(VALU_DEP_1)
	v_fma_f64 v[72:73], v[72:73], v[76:77], v[74:75]
	v_div_scale_f64 v[74:75], null, v[72:73], v[72:73], 1.0
	s_delay_alu instid0(VALU_DEP_1) | instskip(SKIP_2) | instid1(VALU_DEP_1)
	v_rcp_f64_e32 v[78:79], v[74:75]
	s_waitcnt_depctr 0xfff
	v_fma_f64 v[80:81], -v[74:75], v[78:79], 1.0
	v_fma_f64 v[78:79], v[78:79], v[80:81], v[78:79]
	s_delay_alu instid0(VALU_DEP_1) | instskip(NEXT) | instid1(VALU_DEP_1)
	v_fma_f64 v[80:81], -v[74:75], v[78:79], 1.0
	v_fma_f64 v[78:79], v[78:79], v[80:81], v[78:79]
	v_div_scale_f64 v[80:81], vcc_lo, 1.0, v[72:73], 1.0
	s_delay_alu instid0(VALU_DEP_1) | instskip(NEXT) | instid1(VALU_DEP_1)
	v_mul_f64 v[82:83], v[80:81], v[78:79]
	v_fma_f64 v[74:75], -v[74:75], v[82:83], v[80:81]
	s_delay_alu instid0(VALU_DEP_1) | instskip(NEXT) | instid1(VALU_DEP_1)
	v_div_fmas_f64 v[74:75], v[74:75], v[78:79], v[82:83]
	v_div_fixup_f64 v[78:79], v[74:75], v[72:73], 1.0
                                        ; implicit-def: $vgpr72_vgpr73
	s_delay_alu instid0(VALU_DEP_1)
	v_mul_f64 v[80:81], v[76:77], v[78:79]
	v_xor_b32_e32 v79, 0x80000000, v79
.LBB29_32:
	s_and_not1_saveexec_b32 s3, s3
	s_cbranch_execz .LBB29_34
; %bb.33:
	v_div_scale_f64 v[76:77], null, v[72:73], v[72:73], v[74:75]
	v_div_scale_f64 v[82:83], vcc_lo, v[74:75], v[72:73], v[74:75]
	s_delay_alu instid0(VALU_DEP_2) | instskip(SKIP_2) | instid1(VALU_DEP_1)
	v_rcp_f64_e32 v[78:79], v[76:77]
	s_waitcnt_depctr 0xfff
	v_fma_f64 v[80:81], -v[76:77], v[78:79], 1.0
	v_fma_f64 v[78:79], v[78:79], v[80:81], v[78:79]
	s_delay_alu instid0(VALU_DEP_1) | instskip(NEXT) | instid1(VALU_DEP_1)
	v_fma_f64 v[80:81], -v[76:77], v[78:79], 1.0
	v_fma_f64 v[78:79], v[78:79], v[80:81], v[78:79]
	s_delay_alu instid0(VALU_DEP_1) | instskip(NEXT) | instid1(VALU_DEP_1)
	v_mul_f64 v[80:81], v[82:83], v[78:79]
	v_fma_f64 v[76:77], -v[76:77], v[80:81], v[82:83]
	s_delay_alu instid0(VALU_DEP_1) | instskip(NEXT) | instid1(VALU_DEP_1)
	v_div_fmas_f64 v[76:77], v[76:77], v[78:79], v[80:81]
	v_div_fixup_f64 v[76:77], v[76:77], v[72:73], v[74:75]
	s_delay_alu instid0(VALU_DEP_1) | instskip(NEXT) | instid1(VALU_DEP_1)
	v_fma_f64 v[72:73], v[74:75], v[76:77], v[72:73]
	v_div_scale_f64 v[74:75], null, v[72:73], v[72:73], 1.0
	s_delay_alu instid0(VALU_DEP_1) | instskip(SKIP_2) | instid1(VALU_DEP_1)
	v_rcp_f64_e32 v[78:79], v[74:75]
	s_waitcnt_depctr 0xfff
	v_fma_f64 v[80:81], -v[74:75], v[78:79], 1.0
	v_fma_f64 v[78:79], v[78:79], v[80:81], v[78:79]
	s_delay_alu instid0(VALU_DEP_1) | instskip(NEXT) | instid1(VALU_DEP_1)
	v_fma_f64 v[80:81], -v[74:75], v[78:79], 1.0
	v_fma_f64 v[78:79], v[78:79], v[80:81], v[78:79]
	v_div_scale_f64 v[80:81], vcc_lo, 1.0, v[72:73], 1.0
	s_delay_alu instid0(VALU_DEP_1) | instskip(NEXT) | instid1(VALU_DEP_1)
	v_mul_f64 v[82:83], v[80:81], v[78:79]
	v_fma_f64 v[74:75], -v[74:75], v[82:83], v[80:81]
	s_delay_alu instid0(VALU_DEP_1) | instskip(NEXT) | instid1(VALU_DEP_1)
	v_div_fmas_f64 v[74:75], v[74:75], v[78:79], v[82:83]
	v_div_fixup_f64 v[80:81], v[74:75], v[72:73], 1.0
	s_delay_alu instid0(VALU_DEP_1)
	v_mul_f64 v[78:79], v[76:77], -v[80:81]
.LBB29_34:
	s_or_b32 exec_lo, exec_lo, s3
	ds_store_2addr_b64 v155, v[80:81], v[78:79] offset1:1
.LBB29_35:
	s_or_b32 exec_lo, exec_lo, s4
	s_waitcnt lgkmcnt(0)
	s_barrier
	buffer_gl0_inv
	ds_load_2addr_b64 v[72:75], v155 offset1:1
	s_mov_b32 s3, exec_lo
	v_cmpx_lt_u32_e32 3, v154
	s_cbranch_execz .LBB29_37
; %bb.36:
	s_waitcnt lgkmcnt(0)
	v_mul_f64 v[76:77], v[72:73], v[46:47]
	v_mul_f64 v[46:47], v[74:75], v[46:47]
	s_delay_alu instid0(VALU_DEP_2)
	v_fma_f64 v[152:153], v[74:75], v[44:45], v[76:77]
	ds_load_2addr_b64 v[76:79], v156 offset0:8 offset1:9
	ds_load_2addr_b64 v[80:83], v156 offset0:10 offset1:11
	;; [unrolled: 1-line block ×11, first 2 shown]
	v_fma_f64 v[44:45], v[72:73], v[44:45], -v[46:47]
	s_waitcnt lgkmcnt(10)
	v_mul_f64 v[46:47], v[78:79], v[152:153]
	v_mul_f64 v[157:158], v[76:77], v[152:153]
	s_waitcnt lgkmcnt(9)
	v_mul_f64 v[159:160], v[82:83], v[152:153]
	v_mul_f64 v[161:162], v[80:81], v[152:153]
	s_waitcnt lgkmcnt(8)
	v_mul_f64 v[163:164], v[86:87], v[152:153]
	v_mul_f64 v[165:166], v[84:85], v[152:153]
	s_waitcnt lgkmcnt(7)
	v_mul_f64 v[167:168], v[90:91], v[152:153]
	v_mul_f64 v[169:170], v[88:89], v[152:153]
	s_waitcnt lgkmcnt(6)
	v_mul_f64 v[171:172], v[94:95], v[152:153]
	v_mul_f64 v[173:174], v[92:93], v[152:153]
	s_waitcnt lgkmcnt(5)
	v_mul_f64 v[175:176], v[98:99], v[152:153]
	v_mul_f64 v[177:178], v[96:97], v[152:153]
	s_waitcnt lgkmcnt(4)
	v_mul_f64 v[179:180], v[102:103], v[152:153]
	v_mul_f64 v[181:182], v[100:101], v[152:153]
	s_waitcnt lgkmcnt(3)
	v_mul_f64 v[183:184], v[106:107], v[152:153]
	v_mul_f64 v[185:186], v[104:105], v[152:153]
	s_waitcnt lgkmcnt(2)
	v_mul_f64 v[187:188], v[110:111], v[152:153]
	v_mul_f64 v[189:190], v[108:109], v[152:153]
	s_waitcnt lgkmcnt(1)
	v_mul_f64 v[191:192], v[114:115], v[152:153]
	v_mul_f64 v[193:194], v[112:113], v[152:153]
	s_waitcnt lgkmcnt(0)
	v_mul_f64 v[195:196], v[118:119], v[152:153]
	v_mul_f64 v[197:198], v[116:117], v[152:153]
	v_fma_f64 v[46:47], v[76:77], v[44:45], -v[46:47]
	v_fma_f64 v[76:77], v[78:79], v[44:45], v[157:158]
	v_fma_f64 v[78:79], v[80:81], v[44:45], -v[159:160]
	v_fma_f64 v[80:81], v[82:83], v[44:45], v[161:162]
	;; [unrolled: 2-line block ×11, first 2 shown]
	v_add_f64 v[40:41], v[40:41], -v[46:47]
	v_add_f64 v[42:43], v[42:43], -v[76:77]
	v_add_f64 v[36:37], v[36:37], -v[78:79]
	v_add_f64 v[38:39], v[38:39], -v[80:81]
	v_add_f64 v[32:33], v[32:33], -v[82:83]
	v_add_f64 v[34:35], v[34:35], -v[84:85]
	v_add_f64 v[28:29], v[28:29], -v[86:87]
	v_add_f64 v[30:31], v[30:31], -v[88:89]
	v_add_f64 v[24:25], v[24:25], -v[90:91]
	v_add_f64 v[26:27], v[26:27], -v[92:93]
	v_add_f64 v[20:21], v[20:21], -v[94:95]
	v_add_f64 v[22:23], v[22:23], -v[96:97]
	v_add_f64 v[16:17], v[16:17], -v[98:99]
	v_add_f64 v[18:19], v[18:19], -v[100:101]
	v_add_f64 v[12:13], v[12:13], -v[102:103]
	v_add_f64 v[14:15], v[14:15], -v[104:105]
	v_add_f64 v[8:9], v[8:9], -v[106:107]
	v_add_f64 v[10:11], v[10:11], -v[108:109]
	v_add_f64 v[4:5], v[4:5], -v[110:111]
	v_add_f64 v[6:7], v[6:7], -v[112:113]
	v_add_f64 v[0:1], v[0:1], -v[114:115]
	v_add_f64 v[2:3], v[2:3], -v[116:117]
	v_dual_mov_b32 v46, v152 :: v_dual_mov_b32 v47, v153
.LBB29_37:
	s_or_b32 exec_lo, exec_lo, s3
	s_delay_alu instid0(SALU_CYCLE_1)
	s_mov_b32 s4, exec_lo
	s_waitcnt lgkmcnt(0)
	s_barrier
	buffer_gl0_inv
	v_cmpx_eq_u32_e32 4, v154
	s_cbranch_execz .LBB29_44
; %bb.38:
	ds_store_2addr_b64 v155, v[40:41], v[42:43] offset1:1
	ds_store_2addr_b64 v156, v[36:37], v[38:39] offset0:10 offset1:11
	ds_store_2addr_b64 v156, v[32:33], v[34:35] offset0:12 offset1:13
	;; [unrolled: 1-line block ×10, first 2 shown]
	ds_load_2addr_b64 v[76:79], v155 offset1:1
	s_waitcnt lgkmcnt(0)
	v_cmp_neq_f64_e32 vcc_lo, 0, v[76:77]
	v_cmp_neq_f64_e64 s3, 0, v[78:79]
	s_delay_alu instid0(VALU_DEP_1) | instskip(NEXT) | instid1(SALU_CYCLE_1)
	s_or_b32 s3, vcc_lo, s3
	s_and_b32 exec_lo, exec_lo, s3
	s_cbranch_execz .LBB29_44
; %bb.39:
	v_cmp_gt_f64_e32 vcc_lo, 0, v[76:77]
	v_cmp_gt_f64_e64 s3, 0, v[78:79]
	v_xor_b32_e32 v80, 0x80000000, v77
	v_xor_b32_e32 v82, 0x80000000, v79
                                        ; implicit-def: $vgpr84_vgpr85
	s_delay_alu instid0(VALU_DEP_2) | instskip(NEXT) | instid1(VALU_DEP_2)
	v_cndmask_b32_e32 v81, v77, v80, vcc_lo
	v_cndmask_b32_e64 v83, v79, v82, s3
	v_cndmask_b32_e32 v80, v76, v76, vcc_lo
	v_cndmask_b32_e64 v82, v78, v78, s3
	s_mov_b32 s3, exec_lo
	s_delay_alu instid0(VALU_DEP_1)
	v_cmpx_ngt_f64_e32 v[80:81], v[82:83]
	s_xor_b32 s3, exec_lo, s3
                                        ; implicit-def: $vgpr80_vgpr81_vgpr82_vgpr83
	s_cbranch_execz .LBB29_41
; %bb.40:
	v_div_scale_f64 v[80:81], null, v[78:79], v[78:79], v[76:77]
	v_div_scale_f64 v[86:87], vcc_lo, v[76:77], v[78:79], v[76:77]
	s_delay_alu instid0(VALU_DEP_2) | instskip(SKIP_2) | instid1(VALU_DEP_1)
	v_rcp_f64_e32 v[82:83], v[80:81]
	s_waitcnt_depctr 0xfff
	v_fma_f64 v[84:85], -v[80:81], v[82:83], 1.0
	v_fma_f64 v[82:83], v[82:83], v[84:85], v[82:83]
	s_delay_alu instid0(VALU_DEP_1) | instskip(NEXT) | instid1(VALU_DEP_1)
	v_fma_f64 v[84:85], -v[80:81], v[82:83], 1.0
	v_fma_f64 v[82:83], v[82:83], v[84:85], v[82:83]
	s_delay_alu instid0(VALU_DEP_1) | instskip(NEXT) | instid1(VALU_DEP_1)
	v_mul_f64 v[84:85], v[86:87], v[82:83]
	v_fma_f64 v[80:81], -v[80:81], v[84:85], v[86:87]
	s_delay_alu instid0(VALU_DEP_1) | instskip(NEXT) | instid1(VALU_DEP_1)
	v_div_fmas_f64 v[80:81], v[80:81], v[82:83], v[84:85]
	v_div_fixup_f64 v[80:81], v[80:81], v[78:79], v[76:77]
	s_delay_alu instid0(VALU_DEP_1) | instskip(NEXT) | instid1(VALU_DEP_1)
	v_fma_f64 v[76:77], v[76:77], v[80:81], v[78:79]
	v_div_scale_f64 v[78:79], null, v[76:77], v[76:77], 1.0
	s_delay_alu instid0(VALU_DEP_1) | instskip(SKIP_2) | instid1(VALU_DEP_1)
	v_rcp_f64_e32 v[82:83], v[78:79]
	s_waitcnt_depctr 0xfff
	v_fma_f64 v[84:85], -v[78:79], v[82:83], 1.0
	v_fma_f64 v[82:83], v[82:83], v[84:85], v[82:83]
	s_delay_alu instid0(VALU_DEP_1) | instskip(NEXT) | instid1(VALU_DEP_1)
	v_fma_f64 v[84:85], -v[78:79], v[82:83], 1.0
	v_fma_f64 v[82:83], v[82:83], v[84:85], v[82:83]
	v_div_scale_f64 v[84:85], vcc_lo, 1.0, v[76:77], 1.0
	s_delay_alu instid0(VALU_DEP_1) | instskip(NEXT) | instid1(VALU_DEP_1)
	v_mul_f64 v[86:87], v[84:85], v[82:83]
	v_fma_f64 v[78:79], -v[78:79], v[86:87], v[84:85]
	s_delay_alu instid0(VALU_DEP_1) | instskip(NEXT) | instid1(VALU_DEP_1)
	v_div_fmas_f64 v[78:79], v[78:79], v[82:83], v[86:87]
	v_div_fixup_f64 v[82:83], v[78:79], v[76:77], 1.0
                                        ; implicit-def: $vgpr76_vgpr77
	s_delay_alu instid0(VALU_DEP_1)
	v_mul_f64 v[84:85], v[80:81], v[82:83]
	v_xor_b32_e32 v83, 0x80000000, v83
.LBB29_41:
	s_and_not1_saveexec_b32 s3, s3
	s_cbranch_execz .LBB29_43
; %bb.42:
	v_div_scale_f64 v[80:81], null, v[76:77], v[76:77], v[78:79]
	v_div_scale_f64 v[86:87], vcc_lo, v[78:79], v[76:77], v[78:79]
	s_delay_alu instid0(VALU_DEP_2) | instskip(SKIP_2) | instid1(VALU_DEP_1)
	v_rcp_f64_e32 v[82:83], v[80:81]
	s_waitcnt_depctr 0xfff
	v_fma_f64 v[84:85], -v[80:81], v[82:83], 1.0
	v_fma_f64 v[82:83], v[82:83], v[84:85], v[82:83]
	s_delay_alu instid0(VALU_DEP_1) | instskip(NEXT) | instid1(VALU_DEP_1)
	v_fma_f64 v[84:85], -v[80:81], v[82:83], 1.0
	v_fma_f64 v[82:83], v[82:83], v[84:85], v[82:83]
	s_delay_alu instid0(VALU_DEP_1) | instskip(NEXT) | instid1(VALU_DEP_1)
	v_mul_f64 v[84:85], v[86:87], v[82:83]
	v_fma_f64 v[80:81], -v[80:81], v[84:85], v[86:87]
	s_delay_alu instid0(VALU_DEP_1) | instskip(NEXT) | instid1(VALU_DEP_1)
	v_div_fmas_f64 v[80:81], v[80:81], v[82:83], v[84:85]
	v_div_fixup_f64 v[80:81], v[80:81], v[76:77], v[78:79]
	s_delay_alu instid0(VALU_DEP_1) | instskip(NEXT) | instid1(VALU_DEP_1)
	v_fma_f64 v[76:77], v[78:79], v[80:81], v[76:77]
	v_div_scale_f64 v[78:79], null, v[76:77], v[76:77], 1.0
	s_delay_alu instid0(VALU_DEP_1) | instskip(SKIP_2) | instid1(VALU_DEP_1)
	v_rcp_f64_e32 v[82:83], v[78:79]
	s_waitcnt_depctr 0xfff
	v_fma_f64 v[84:85], -v[78:79], v[82:83], 1.0
	v_fma_f64 v[82:83], v[82:83], v[84:85], v[82:83]
	s_delay_alu instid0(VALU_DEP_1) | instskip(NEXT) | instid1(VALU_DEP_1)
	v_fma_f64 v[84:85], -v[78:79], v[82:83], 1.0
	v_fma_f64 v[82:83], v[82:83], v[84:85], v[82:83]
	v_div_scale_f64 v[84:85], vcc_lo, 1.0, v[76:77], 1.0
	s_delay_alu instid0(VALU_DEP_1) | instskip(NEXT) | instid1(VALU_DEP_1)
	v_mul_f64 v[86:87], v[84:85], v[82:83]
	v_fma_f64 v[78:79], -v[78:79], v[86:87], v[84:85]
	s_delay_alu instid0(VALU_DEP_1) | instskip(NEXT) | instid1(VALU_DEP_1)
	v_div_fmas_f64 v[78:79], v[78:79], v[82:83], v[86:87]
	v_div_fixup_f64 v[84:85], v[78:79], v[76:77], 1.0
	s_delay_alu instid0(VALU_DEP_1)
	v_mul_f64 v[82:83], v[80:81], -v[84:85]
.LBB29_43:
	s_or_b32 exec_lo, exec_lo, s3
	ds_store_2addr_b64 v155, v[84:85], v[82:83] offset1:1
.LBB29_44:
	s_or_b32 exec_lo, exec_lo, s4
	s_waitcnt lgkmcnt(0)
	s_barrier
	buffer_gl0_inv
	ds_load_2addr_b64 v[76:79], v155 offset1:1
	s_mov_b32 s3, exec_lo
	v_cmpx_lt_u32_e32 4, v154
	s_cbranch_execz .LBB29_46
; %bb.45:
	s_waitcnt lgkmcnt(0)
	v_mul_f64 v[80:81], v[76:77], v[42:43]
	v_mul_f64 v[42:43], v[78:79], v[42:43]
	s_delay_alu instid0(VALU_DEP_2)
	v_fma_f64 v[152:153], v[78:79], v[40:41], v[80:81]
	ds_load_2addr_b64 v[80:83], v156 offset0:10 offset1:11
	ds_load_2addr_b64 v[84:87], v156 offset0:12 offset1:13
	;; [unrolled: 1-line block ×10, first 2 shown]
	v_fma_f64 v[40:41], v[76:77], v[40:41], -v[42:43]
	s_waitcnt lgkmcnt(9)
	v_mul_f64 v[42:43], v[82:83], v[152:153]
	v_mul_f64 v[157:158], v[80:81], v[152:153]
	s_waitcnt lgkmcnt(8)
	v_mul_f64 v[159:160], v[86:87], v[152:153]
	v_mul_f64 v[161:162], v[84:85], v[152:153]
	s_waitcnt lgkmcnt(7)
	v_mul_f64 v[163:164], v[90:91], v[152:153]
	v_mul_f64 v[165:166], v[88:89], v[152:153]
	s_waitcnt lgkmcnt(6)
	v_mul_f64 v[167:168], v[94:95], v[152:153]
	v_mul_f64 v[169:170], v[92:93], v[152:153]
	s_waitcnt lgkmcnt(5)
	v_mul_f64 v[171:172], v[98:99], v[152:153]
	v_mul_f64 v[173:174], v[96:97], v[152:153]
	s_waitcnt lgkmcnt(4)
	v_mul_f64 v[175:176], v[102:103], v[152:153]
	v_mul_f64 v[177:178], v[100:101], v[152:153]
	s_waitcnt lgkmcnt(3)
	v_mul_f64 v[179:180], v[106:107], v[152:153]
	v_mul_f64 v[181:182], v[104:105], v[152:153]
	s_waitcnt lgkmcnt(2)
	v_mul_f64 v[183:184], v[110:111], v[152:153]
	v_mul_f64 v[185:186], v[108:109], v[152:153]
	s_waitcnt lgkmcnt(1)
	v_mul_f64 v[187:188], v[114:115], v[152:153]
	v_mul_f64 v[189:190], v[112:113], v[152:153]
	s_waitcnt lgkmcnt(0)
	v_mul_f64 v[191:192], v[118:119], v[152:153]
	v_mul_f64 v[193:194], v[116:117], v[152:153]
	v_fma_f64 v[42:43], v[80:81], v[40:41], -v[42:43]
	v_fma_f64 v[80:81], v[82:83], v[40:41], v[157:158]
	v_fma_f64 v[82:83], v[84:85], v[40:41], -v[159:160]
	v_fma_f64 v[84:85], v[86:87], v[40:41], v[161:162]
	;; [unrolled: 2-line block ×10, first 2 shown]
	v_add_f64 v[36:37], v[36:37], -v[42:43]
	v_add_f64 v[38:39], v[38:39], -v[80:81]
	;; [unrolled: 1-line block ×20, first 2 shown]
	v_dual_mov_b32 v42, v152 :: v_dual_mov_b32 v43, v153
.LBB29_46:
	s_or_b32 exec_lo, exec_lo, s3
	s_delay_alu instid0(SALU_CYCLE_1)
	s_mov_b32 s4, exec_lo
	s_waitcnt lgkmcnt(0)
	s_barrier
	buffer_gl0_inv
	v_cmpx_eq_u32_e32 5, v154
	s_cbranch_execz .LBB29_53
; %bb.47:
	ds_store_2addr_b64 v155, v[36:37], v[38:39] offset1:1
	ds_store_2addr_b64 v156, v[32:33], v[34:35] offset0:12 offset1:13
	ds_store_2addr_b64 v156, v[28:29], v[30:31] offset0:14 offset1:15
	;; [unrolled: 1-line block ×9, first 2 shown]
	ds_load_2addr_b64 v[80:83], v155 offset1:1
	s_waitcnt lgkmcnt(0)
	v_cmp_neq_f64_e32 vcc_lo, 0, v[80:81]
	v_cmp_neq_f64_e64 s3, 0, v[82:83]
	s_delay_alu instid0(VALU_DEP_1) | instskip(NEXT) | instid1(SALU_CYCLE_1)
	s_or_b32 s3, vcc_lo, s3
	s_and_b32 exec_lo, exec_lo, s3
	s_cbranch_execz .LBB29_53
; %bb.48:
	v_cmp_gt_f64_e32 vcc_lo, 0, v[80:81]
	v_cmp_gt_f64_e64 s3, 0, v[82:83]
	v_xor_b32_e32 v84, 0x80000000, v81
	v_xor_b32_e32 v86, 0x80000000, v83
                                        ; implicit-def: $vgpr88_vgpr89
	s_delay_alu instid0(VALU_DEP_2) | instskip(NEXT) | instid1(VALU_DEP_2)
	v_cndmask_b32_e32 v85, v81, v84, vcc_lo
	v_cndmask_b32_e64 v87, v83, v86, s3
	v_cndmask_b32_e32 v84, v80, v80, vcc_lo
	v_cndmask_b32_e64 v86, v82, v82, s3
	s_mov_b32 s3, exec_lo
	s_delay_alu instid0(VALU_DEP_1)
	v_cmpx_ngt_f64_e32 v[84:85], v[86:87]
	s_xor_b32 s3, exec_lo, s3
                                        ; implicit-def: $vgpr84_vgpr85_vgpr86_vgpr87
	s_cbranch_execz .LBB29_50
; %bb.49:
	v_div_scale_f64 v[84:85], null, v[82:83], v[82:83], v[80:81]
	v_div_scale_f64 v[90:91], vcc_lo, v[80:81], v[82:83], v[80:81]
	s_delay_alu instid0(VALU_DEP_2) | instskip(SKIP_2) | instid1(VALU_DEP_1)
	v_rcp_f64_e32 v[86:87], v[84:85]
	s_waitcnt_depctr 0xfff
	v_fma_f64 v[88:89], -v[84:85], v[86:87], 1.0
	v_fma_f64 v[86:87], v[86:87], v[88:89], v[86:87]
	s_delay_alu instid0(VALU_DEP_1) | instskip(NEXT) | instid1(VALU_DEP_1)
	v_fma_f64 v[88:89], -v[84:85], v[86:87], 1.0
	v_fma_f64 v[86:87], v[86:87], v[88:89], v[86:87]
	s_delay_alu instid0(VALU_DEP_1) | instskip(NEXT) | instid1(VALU_DEP_1)
	v_mul_f64 v[88:89], v[90:91], v[86:87]
	v_fma_f64 v[84:85], -v[84:85], v[88:89], v[90:91]
	s_delay_alu instid0(VALU_DEP_1) | instskip(NEXT) | instid1(VALU_DEP_1)
	v_div_fmas_f64 v[84:85], v[84:85], v[86:87], v[88:89]
	v_div_fixup_f64 v[84:85], v[84:85], v[82:83], v[80:81]
	s_delay_alu instid0(VALU_DEP_1) | instskip(NEXT) | instid1(VALU_DEP_1)
	v_fma_f64 v[80:81], v[80:81], v[84:85], v[82:83]
	v_div_scale_f64 v[82:83], null, v[80:81], v[80:81], 1.0
	s_delay_alu instid0(VALU_DEP_1) | instskip(SKIP_2) | instid1(VALU_DEP_1)
	v_rcp_f64_e32 v[86:87], v[82:83]
	s_waitcnt_depctr 0xfff
	v_fma_f64 v[88:89], -v[82:83], v[86:87], 1.0
	v_fma_f64 v[86:87], v[86:87], v[88:89], v[86:87]
	s_delay_alu instid0(VALU_DEP_1) | instskip(NEXT) | instid1(VALU_DEP_1)
	v_fma_f64 v[88:89], -v[82:83], v[86:87], 1.0
	v_fma_f64 v[86:87], v[86:87], v[88:89], v[86:87]
	v_div_scale_f64 v[88:89], vcc_lo, 1.0, v[80:81], 1.0
	s_delay_alu instid0(VALU_DEP_1) | instskip(NEXT) | instid1(VALU_DEP_1)
	v_mul_f64 v[90:91], v[88:89], v[86:87]
	v_fma_f64 v[82:83], -v[82:83], v[90:91], v[88:89]
	s_delay_alu instid0(VALU_DEP_1) | instskip(NEXT) | instid1(VALU_DEP_1)
	v_div_fmas_f64 v[82:83], v[82:83], v[86:87], v[90:91]
	v_div_fixup_f64 v[86:87], v[82:83], v[80:81], 1.0
                                        ; implicit-def: $vgpr80_vgpr81
	s_delay_alu instid0(VALU_DEP_1)
	v_mul_f64 v[88:89], v[84:85], v[86:87]
	v_xor_b32_e32 v87, 0x80000000, v87
.LBB29_50:
	s_and_not1_saveexec_b32 s3, s3
	s_cbranch_execz .LBB29_52
; %bb.51:
	v_div_scale_f64 v[84:85], null, v[80:81], v[80:81], v[82:83]
	v_div_scale_f64 v[90:91], vcc_lo, v[82:83], v[80:81], v[82:83]
	s_delay_alu instid0(VALU_DEP_2) | instskip(SKIP_2) | instid1(VALU_DEP_1)
	v_rcp_f64_e32 v[86:87], v[84:85]
	s_waitcnt_depctr 0xfff
	v_fma_f64 v[88:89], -v[84:85], v[86:87], 1.0
	v_fma_f64 v[86:87], v[86:87], v[88:89], v[86:87]
	s_delay_alu instid0(VALU_DEP_1) | instskip(NEXT) | instid1(VALU_DEP_1)
	v_fma_f64 v[88:89], -v[84:85], v[86:87], 1.0
	v_fma_f64 v[86:87], v[86:87], v[88:89], v[86:87]
	s_delay_alu instid0(VALU_DEP_1) | instskip(NEXT) | instid1(VALU_DEP_1)
	v_mul_f64 v[88:89], v[90:91], v[86:87]
	v_fma_f64 v[84:85], -v[84:85], v[88:89], v[90:91]
	s_delay_alu instid0(VALU_DEP_1) | instskip(NEXT) | instid1(VALU_DEP_1)
	v_div_fmas_f64 v[84:85], v[84:85], v[86:87], v[88:89]
	v_div_fixup_f64 v[84:85], v[84:85], v[80:81], v[82:83]
	s_delay_alu instid0(VALU_DEP_1) | instskip(NEXT) | instid1(VALU_DEP_1)
	v_fma_f64 v[80:81], v[82:83], v[84:85], v[80:81]
	v_div_scale_f64 v[82:83], null, v[80:81], v[80:81], 1.0
	s_delay_alu instid0(VALU_DEP_1) | instskip(SKIP_2) | instid1(VALU_DEP_1)
	v_rcp_f64_e32 v[86:87], v[82:83]
	s_waitcnt_depctr 0xfff
	v_fma_f64 v[88:89], -v[82:83], v[86:87], 1.0
	v_fma_f64 v[86:87], v[86:87], v[88:89], v[86:87]
	s_delay_alu instid0(VALU_DEP_1) | instskip(NEXT) | instid1(VALU_DEP_1)
	v_fma_f64 v[88:89], -v[82:83], v[86:87], 1.0
	v_fma_f64 v[86:87], v[86:87], v[88:89], v[86:87]
	v_div_scale_f64 v[88:89], vcc_lo, 1.0, v[80:81], 1.0
	s_delay_alu instid0(VALU_DEP_1) | instskip(NEXT) | instid1(VALU_DEP_1)
	v_mul_f64 v[90:91], v[88:89], v[86:87]
	v_fma_f64 v[82:83], -v[82:83], v[90:91], v[88:89]
	s_delay_alu instid0(VALU_DEP_1) | instskip(NEXT) | instid1(VALU_DEP_1)
	v_div_fmas_f64 v[82:83], v[82:83], v[86:87], v[90:91]
	v_div_fixup_f64 v[88:89], v[82:83], v[80:81], 1.0
	s_delay_alu instid0(VALU_DEP_1)
	v_mul_f64 v[86:87], v[84:85], -v[88:89]
.LBB29_52:
	s_or_b32 exec_lo, exec_lo, s3
	ds_store_2addr_b64 v155, v[88:89], v[86:87] offset1:1
.LBB29_53:
	s_or_b32 exec_lo, exec_lo, s4
	s_waitcnt lgkmcnt(0)
	s_barrier
	buffer_gl0_inv
	ds_load_2addr_b64 v[80:83], v155 offset1:1
	s_mov_b32 s3, exec_lo
	v_cmpx_lt_u32_e32 5, v154
	s_cbranch_execz .LBB29_55
; %bb.54:
	s_waitcnt lgkmcnt(0)
	v_mul_f64 v[84:85], v[80:81], v[38:39]
	v_mul_f64 v[38:39], v[82:83], v[38:39]
	s_delay_alu instid0(VALU_DEP_2)
	v_fma_f64 v[152:153], v[82:83], v[36:37], v[84:85]
	ds_load_2addr_b64 v[84:87], v156 offset0:12 offset1:13
	ds_load_2addr_b64 v[88:91], v156 offset0:14 offset1:15
	;; [unrolled: 1-line block ×9, first 2 shown]
	v_fma_f64 v[36:37], v[80:81], v[36:37], -v[38:39]
	s_waitcnt lgkmcnt(8)
	v_mul_f64 v[38:39], v[86:87], v[152:153]
	v_mul_f64 v[157:158], v[84:85], v[152:153]
	s_waitcnt lgkmcnt(7)
	v_mul_f64 v[159:160], v[90:91], v[152:153]
	v_mul_f64 v[161:162], v[88:89], v[152:153]
	;; [unrolled: 3-line block ×9, first 2 shown]
	v_fma_f64 v[38:39], v[84:85], v[36:37], -v[38:39]
	v_fma_f64 v[84:85], v[86:87], v[36:37], v[157:158]
	v_fma_f64 v[86:87], v[88:89], v[36:37], -v[159:160]
	v_fma_f64 v[88:89], v[90:91], v[36:37], v[161:162]
	;; [unrolled: 2-line block ×9, first 2 shown]
	v_add_f64 v[32:33], v[32:33], -v[38:39]
	v_add_f64 v[34:35], v[34:35], -v[84:85]
	;; [unrolled: 1-line block ×18, first 2 shown]
	v_dual_mov_b32 v38, v152 :: v_dual_mov_b32 v39, v153
.LBB29_55:
	s_or_b32 exec_lo, exec_lo, s3
	s_delay_alu instid0(SALU_CYCLE_1)
	s_mov_b32 s4, exec_lo
	s_waitcnt lgkmcnt(0)
	s_barrier
	buffer_gl0_inv
	v_cmpx_eq_u32_e32 6, v154
	s_cbranch_execz .LBB29_62
; %bb.56:
	ds_store_2addr_b64 v155, v[32:33], v[34:35] offset1:1
	ds_store_2addr_b64 v156, v[28:29], v[30:31] offset0:14 offset1:15
	ds_store_2addr_b64 v156, v[24:25], v[26:27] offset0:16 offset1:17
	;; [unrolled: 1-line block ×8, first 2 shown]
	ds_load_2addr_b64 v[84:87], v155 offset1:1
	s_waitcnt lgkmcnt(0)
	v_cmp_neq_f64_e32 vcc_lo, 0, v[84:85]
	v_cmp_neq_f64_e64 s3, 0, v[86:87]
	s_delay_alu instid0(VALU_DEP_1) | instskip(NEXT) | instid1(SALU_CYCLE_1)
	s_or_b32 s3, vcc_lo, s3
	s_and_b32 exec_lo, exec_lo, s3
	s_cbranch_execz .LBB29_62
; %bb.57:
	v_cmp_gt_f64_e32 vcc_lo, 0, v[84:85]
	v_cmp_gt_f64_e64 s3, 0, v[86:87]
	v_xor_b32_e32 v88, 0x80000000, v85
	v_xor_b32_e32 v90, 0x80000000, v87
                                        ; implicit-def: $vgpr92_vgpr93
	s_delay_alu instid0(VALU_DEP_2) | instskip(NEXT) | instid1(VALU_DEP_2)
	v_cndmask_b32_e32 v89, v85, v88, vcc_lo
	v_cndmask_b32_e64 v91, v87, v90, s3
	v_cndmask_b32_e32 v88, v84, v84, vcc_lo
	v_cndmask_b32_e64 v90, v86, v86, s3
	s_mov_b32 s3, exec_lo
	s_delay_alu instid0(VALU_DEP_1)
	v_cmpx_ngt_f64_e32 v[88:89], v[90:91]
	s_xor_b32 s3, exec_lo, s3
                                        ; implicit-def: $vgpr88_vgpr89_vgpr90_vgpr91
	s_cbranch_execz .LBB29_59
; %bb.58:
	v_div_scale_f64 v[88:89], null, v[86:87], v[86:87], v[84:85]
	v_div_scale_f64 v[94:95], vcc_lo, v[84:85], v[86:87], v[84:85]
	s_delay_alu instid0(VALU_DEP_2) | instskip(SKIP_2) | instid1(VALU_DEP_1)
	v_rcp_f64_e32 v[90:91], v[88:89]
	s_waitcnt_depctr 0xfff
	v_fma_f64 v[92:93], -v[88:89], v[90:91], 1.0
	v_fma_f64 v[90:91], v[90:91], v[92:93], v[90:91]
	s_delay_alu instid0(VALU_DEP_1) | instskip(NEXT) | instid1(VALU_DEP_1)
	v_fma_f64 v[92:93], -v[88:89], v[90:91], 1.0
	v_fma_f64 v[90:91], v[90:91], v[92:93], v[90:91]
	s_delay_alu instid0(VALU_DEP_1) | instskip(NEXT) | instid1(VALU_DEP_1)
	v_mul_f64 v[92:93], v[94:95], v[90:91]
	v_fma_f64 v[88:89], -v[88:89], v[92:93], v[94:95]
	s_delay_alu instid0(VALU_DEP_1) | instskip(NEXT) | instid1(VALU_DEP_1)
	v_div_fmas_f64 v[88:89], v[88:89], v[90:91], v[92:93]
	v_div_fixup_f64 v[88:89], v[88:89], v[86:87], v[84:85]
	s_delay_alu instid0(VALU_DEP_1) | instskip(NEXT) | instid1(VALU_DEP_1)
	v_fma_f64 v[84:85], v[84:85], v[88:89], v[86:87]
	v_div_scale_f64 v[86:87], null, v[84:85], v[84:85], 1.0
	s_delay_alu instid0(VALU_DEP_1) | instskip(SKIP_2) | instid1(VALU_DEP_1)
	v_rcp_f64_e32 v[90:91], v[86:87]
	s_waitcnt_depctr 0xfff
	v_fma_f64 v[92:93], -v[86:87], v[90:91], 1.0
	v_fma_f64 v[90:91], v[90:91], v[92:93], v[90:91]
	s_delay_alu instid0(VALU_DEP_1) | instskip(NEXT) | instid1(VALU_DEP_1)
	v_fma_f64 v[92:93], -v[86:87], v[90:91], 1.0
	v_fma_f64 v[90:91], v[90:91], v[92:93], v[90:91]
	v_div_scale_f64 v[92:93], vcc_lo, 1.0, v[84:85], 1.0
	s_delay_alu instid0(VALU_DEP_1) | instskip(NEXT) | instid1(VALU_DEP_1)
	v_mul_f64 v[94:95], v[92:93], v[90:91]
	v_fma_f64 v[86:87], -v[86:87], v[94:95], v[92:93]
	s_delay_alu instid0(VALU_DEP_1) | instskip(NEXT) | instid1(VALU_DEP_1)
	v_div_fmas_f64 v[86:87], v[86:87], v[90:91], v[94:95]
	v_div_fixup_f64 v[90:91], v[86:87], v[84:85], 1.0
                                        ; implicit-def: $vgpr84_vgpr85
	s_delay_alu instid0(VALU_DEP_1)
	v_mul_f64 v[92:93], v[88:89], v[90:91]
	v_xor_b32_e32 v91, 0x80000000, v91
.LBB29_59:
	s_and_not1_saveexec_b32 s3, s3
	s_cbranch_execz .LBB29_61
; %bb.60:
	v_div_scale_f64 v[88:89], null, v[84:85], v[84:85], v[86:87]
	v_div_scale_f64 v[94:95], vcc_lo, v[86:87], v[84:85], v[86:87]
	s_delay_alu instid0(VALU_DEP_2) | instskip(SKIP_2) | instid1(VALU_DEP_1)
	v_rcp_f64_e32 v[90:91], v[88:89]
	s_waitcnt_depctr 0xfff
	v_fma_f64 v[92:93], -v[88:89], v[90:91], 1.0
	v_fma_f64 v[90:91], v[90:91], v[92:93], v[90:91]
	s_delay_alu instid0(VALU_DEP_1) | instskip(NEXT) | instid1(VALU_DEP_1)
	v_fma_f64 v[92:93], -v[88:89], v[90:91], 1.0
	v_fma_f64 v[90:91], v[90:91], v[92:93], v[90:91]
	s_delay_alu instid0(VALU_DEP_1) | instskip(NEXT) | instid1(VALU_DEP_1)
	v_mul_f64 v[92:93], v[94:95], v[90:91]
	v_fma_f64 v[88:89], -v[88:89], v[92:93], v[94:95]
	s_delay_alu instid0(VALU_DEP_1) | instskip(NEXT) | instid1(VALU_DEP_1)
	v_div_fmas_f64 v[88:89], v[88:89], v[90:91], v[92:93]
	v_div_fixup_f64 v[88:89], v[88:89], v[84:85], v[86:87]
	s_delay_alu instid0(VALU_DEP_1) | instskip(NEXT) | instid1(VALU_DEP_1)
	v_fma_f64 v[84:85], v[86:87], v[88:89], v[84:85]
	v_div_scale_f64 v[86:87], null, v[84:85], v[84:85], 1.0
	s_delay_alu instid0(VALU_DEP_1) | instskip(SKIP_2) | instid1(VALU_DEP_1)
	v_rcp_f64_e32 v[90:91], v[86:87]
	s_waitcnt_depctr 0xfff
	v_fma_f64 v[92:93], -v[86:87], v[90:91], 1.0
	v_fma_f64 v[90:91], v[90:91], v[92:93], v[90:91]
	s_delay_alu instid0(VALU_DEP_1) | instskip(NEXT) | instid1(VALU_DEP_1)
	v_fma_f64 v[92:93], -v[86:87], v[90:91], 1.0
	v_fma_f64 v[90:91], v[90:91], v[92:93], v[90:91]
	v_div_scale_f64 v[92:93], vcc_lo, 1.0, v[84:85], 1.0
	s_delay_alu instid0(VALU_DEP_1) | instskip(NEXT) | instid1(VALU_DEP_1)
	v_mul_f64 v[94:95], v[92:93], v[90:91]
	v_fma_f64 v[86:87], -v[86:87], v[94:95], v[92:93]
	s_delay_alu instid0(VALU_DEP_1) | instskip(NEXT) | instid1(VALU_DEP_1)
	v_div_fmas_f64 v[86:87], v[86:87], v[90:91], v[94:95]
	v_div_fixup_f64 v[92:93], v[86:87], v[84:85], 1.0
	s_delay_alu instid0(VALU_DEP_1)
	v_mul_f64 v[90:91], v[88:89], -v[92:93]
.LBB29_61:
	s_or_b32 exec_lo, exec_lo, s3
	ds_store_2addr_b64 v155, v[92:93], v[90:91] offset1:1
.LBB29_62:
	s_or_b32 exec_lo, exec_lo, s4
	s_waitcnt lgkmcnt(0)
	s_barrier
	buffer_gl0_inv
	ds_load_2addr_b64 v[84:87], v155 offset1:1
	s_mov_b32 s3, exec_lo
	v_cmpx_lt_u32_e32 6, v154
	s_cbranch_execz .LBB29_64
; %bb.63:
	s_waitcnt lgkmcnt(0)
	v_mul_f64 v[88:89], v[84:85], v[34:35]
	v_mul_f64 v[34:35], v[86:87], v[34:35]
	s_delay_alu instid0(VALU_DEP_2)
	v_fma_f64 v[152:153], v[86:87], v[32:33], v[88:89]
	ds_load_2addr_b64 v[88:91], v156 offset0:14 offset1:15
	ds_load_2addr_b64 v[92:95], v156 offset0:16 offset1:17
	;; [unrolled: 1-line block ×8, first 2 shown]
	v_fma_f64 v[32:33], v[84:85], v[32:33], -v[34:35]
	s_waitcnt lgkmcnt(7)
	v_mul_f64 v[34:35], v[90:91], v[152:153]
	v_mul_f64 v[157:158], v[88:89], v[152:153]
	s_waitcnt lgkmcnt(6)
	v_mul_f64 v[159:160], v[94:95], v[152:153]
	v_mul_f64 v[161:162], v[92:93], v[152:153]
	;; [unrolled: 3-line block ×8, first 2 shown]
	v_fma_f64 v[34:35], v[88:89], v[32:33], -v[34:35]
	v_fma_f64 v[88:89], v[90:91], v[32:33], v[157:158]
	v_fma_f64 v[90:91], v[92:93], v[32:33], -v[159:160]
	v_fma_f64 v[92:93], v[94:95], v[32:33], v[161:162]
	;; [unrolled: 2-line block ×8, first 2 shown]
	v_add_f64 v[28:29], v[28:29], -v[34:35]
	v_add_f64 v[30:31], v[30:31], -v[88:89]
	;; [unrolled: 1-line block ×16, first 2 shown]
	v_dual_mov_b32 v34, v152 :: v_dual_mov_b32 v35, v153
.LBB29_64:
	s_or_b32 exec_lo, exec_lo, s3
	s_delay_alu instid0(SALU_CYCLE_1)
	s_mov_b32 s4, exec_lo
	s_waitcnt lgkmcnt(0)
	s_barrier
	buffer_gl0_inv
	v_cmpx_eq_u32_e32 7, v154
	s_cbranch_execz .LBB29_71
; %bb.65:
	ds_store_2addr_b64 v155, v[28:29], v[30:31] offset1:1
	ds_store_2addr_b64 v156, v[24:25], v[26:27] offset0:16 offset1:17
	ds_store_2addr_b64 v156, v[20:21], v[22:23] offset0:18 offset1:19
	;; [unrolled: 1-line block ×7, first 2 shown]
	ds_load_2addr_b64 v[88:91], v155 offset1:1
	s_waitcnt lgkmcnt(0)
	v_cmp_neq_f64_e32 vcc_lo, 0, v[88:89]
	v_cmp_neq_f64_e64 s3, 0, v[90:91]
	s_delay_alu instid0(VALU_DEP_1) | instskip(NEXT) | instid1(SALU_CYCLE_1)
	s_or_b32 s3, vcc_lo, s3
	s_and_b32 exec_lo, exec_lo, s3
	s_cbranch_execz .LBB29_71
; %bb.66:
	v_cmp_gt_f64_e32 vcc_lo, 0, v[88:89]
	v_cmp_gt_f64_e64 s3, 0, v[90:91]
	v_xor_b32_e32 v92, 0x80000000, v89
	v_xor_b32_e32 v94, 0x80000000, v91
                                        ; implicit-def: $vgpr96_vgpr97
	s_delay_alu instid0(VALU_DEP_2) | instskip(NEXT) | instid1(VALU_DEP_2)
	v_cndmask_b32_e32 v93, v89, v92, vcc_lo
	v_cndmask_b32_e64 v95, v91, v94, s3
	v_cndmask_b32_e32 v92, v88, v88, vcc_lo
	v_cndmask_b32_e64 v94, v90, v90, s3
	s_mov_b32 s3, exec_lo
	s_delay_alu instid0(VALU_DEP_1)
	v_cmpx_ngt_f64_e32 v[92:93], v[94:95]
	s_xor_b32 s3, exec_lo, s3
                                        ; implicit-def: $vgpr92_vgpr93_vgpr94_vgpr95
	s_cbranch_execz .LBB29_68
; %bb.67:
	v_div_scale_f64 v[92:93], null, v[90:91], v[90:91], v[88:89]
	v_div_scale_f64 v[98:99], vcc_lo, v[88:89], v[90:91], v[88:89]
	s_delay_alu instid0(VALU_DEP_2) | instskip(SKIP_2) | instid1(VALU_DEP_1)
	v_rcp_f64_e32 v[94:95], v[92:93]
	s_waitcnt_depctr 0xfff
	v_fma_f64 v[96:97], -v[92:93], v[94:95], 1.0
	v_fma_f64 v[94:95], v[94:95], v[96:97], v[94:95]
	s_delay_alu instid0(VALU_DEP_1) | instskip(NEXT) | instid1(VALU_DEP_1)
	v_fma_f64 v[96:97], -v[92:93], v[94:95], 1.0
	v_fma_f64 v[94:95], v[94:95], v[96:97], v[94:95]
	s_delay_alu instid0(VALU_DEP_1) | instskip(NEXT) | instid1(VALU_DEP_1)
	v_mul_f64 v[96:97], v[98:99], v[94:95]
	v_fma_f64 v[92:93], -v[92:93], v[96:97], v[98:99]
	s_delay_alu instid0(VALU_DEP_1) | instskip(NEXT) | instid1(VALU_DEP_1)
	v_div_fmas_f64 v[92:93], v[92:93], v[94:95], v[96:97]
	v_div_fixup_f64 v[92:93], v[92:93], v[90:91], v[88:89]
	s_delay_alu instid0(VALU_DEP_1) | instskip(NEXT) | instid1(VALU_DEP_1)
	v_fma_f64 v[88:89], v[88:89], v[92:93], v[90:91]
	v_div_scale_f64 v[90:91], null, v[88:89], v[88:89], 1.0
	s_delay_alu instid0(VALU_DEP_1) | instskip(SKIP_2) | instid1(VALU_DEP_1)
	v_rcp_f64_e32 v[94:95], v[90:91]
	s_waitcnt_depctr 0xfff
	v_fma_f64 v[96:97], -v[90:91], v[94:95], 1.0
	v_fma_f64 v[94:95], v[94:95], v[96:97], v[94:95]
	s_delay_alu instid0(VALU_DEP_1) | instskip(NEXT) | instid1(VALU_DEP_1)
	v_fma_f64 v[96:97], -v[90:91], v[94:95], 1.0
	v_fma_f64 v[94:95], v[94:95], v[96:97], v[94:95]
	v_div_scale_f64 v[96:97], vcc_lo, 1.0, v[88:89], 1.0
	s_delay_alu instid0(VALU_DEP_1) | instskip(NEXT) | instid1(VALU_DEP_1)
	v_mul_f64 v[98:99], v[96:97], v[94:95]
	v_fma_f64 v[90:91], -v[90:91], v[98:99], v[96:97]
	s_delay_alu instid0(VALU_DEP_1) | instskip(NEXT) | instid1(VALU_DEP_1)
	v_div_fmas_f64 v[90:91], v[90:91], v[94:95], v[98:99]
	v_div_fixup_f64 v[94:95], v[90:91], v[88:89], 1.0
                                        ; implicit-def: $vgpr88_vgpr89
	s_delay_alu instid0(VALU_DEP_1)
	v_mul_f64 v[96:97], v[92:93], v[94:95]
	v_xor_b32_e32 v95, 0x80000000, v95
.LBB29_68:
	s_and_not1_saveexec_b32 s3, s3
	s_cbranch_execz .LBB29_70
; %bb.69:
	v_div_scale_f64 v[92:93], null, v[88:89], v[88:89], v[90:91]
	v_div_scale_f64 v[98:99], vcc_lo, v[90:91], v[88:89], v[90:91]
	s_delay_alu instid0(VALU_DEP_2) | instskip(SKIP_2) | instid1(VALU_DEP_1)
	v_rcp_f64_e32 v[94:95], v[92:93]
	s_waitcnt_depctr 0xfff
	v_fma_f64 v[96:97], -v[92:93], v[94:95], 1.0
	v_fma_f64 v[94:95], v[94:95], v[96:97], v[94:95]
	s_delay_alu instid0(VALU_DEP_1) | instskip(NEXT) | instid1(VALU_DEP_1)
	v_fma_f64 v[96:97], -v[92:93], v[94:95], 1.0
	v_fma_f64 v[94:95], v[94:95], v[96:97], v[94:95]
	s_delay_alu instid0(VALU_DEP_1) | instskip(NEXT) | instid1(VALU_DEP_1)
	v_mul_f64 v[96:97], v[98:99], v[94:95]
	v_fma_f64 v[92:93], -v[92:93], v[96:97], v[98:99]
	s_delay_alu instid0(VALU_DEP_1) | instskip(NEXT) | instid1(VALU_DEP_1)
	v_div_fmas_f64 v[92:93], v[92:93], v[94:95], v[96:97]
	v_div_fixup_f64 v[92:93], v[92:93], v[88:89], v[90:91]
	s_delay_alu instid0(VALU_DEP_1) | instskip(NEXT) | instid1(VALU_DEP_1)
	v_fma_f64 v[88:89], v[90:91], v[92:93], v[88:89]
	v_div_scale_f64 v[90:91], null, v[88:89], v[88:89], 1.0
	s_delay_alu instid0(VALU_DEP_1) | instskip(SKIP_2) | instid1(VALU_DEP_1)
	v_rcp_f64_e32 v[94:95], v[90:91]
	s_waitcnt_depctr 0xfff
	v_fma_f64 v[96:97], -v[90:91], v[94:95], 1.0
	v_fma_f64 v[94:95], v[94:95], v[96:97], v[94:95]
	s_delay_alu instid0(VALU_DEP_1) | instskip(NEXT) | instid1(VALU_DEP_1)
	v_fma_f64 v[96:97], -v[90:91], v[94:95], 1.0
	v_fma_f64 v[94:95], v[94:95], v[96:97], v[94:95]
	v_div_scale_f64 v[96:97], vcc_lo, 1.0, v[88:89], 1.0
	s_delay_alu instid0(VALU_DEP_1) | instskip(NEXT) | instid1(VALU_DEP_1)
	v_mul_f64 v[98:99], v[96:97], v[94:95]
	v_fma_f64 v[90:91], -v[90:91], v[98:99], v[96:97]
	s_delay_alu instid0(VALU_DEP_1) | instskip(NEXT) | instid1(VALU_DEP_1)
	v_div_fmas_f64 v[90:91], v[90:91], v[94:95], v[98:99]
	v_div_fixup_f64 v[96:97], v[90:91], v[88:89], 1.0
	s_delay_alu instid0(VALU_DEP_1)
	v_mul_f64 v[94:95], v[92:93], -v[96:97]
.LBB29_70:
	s_or_b32 exec_lo, exec_lo, s3
	ds_store_2addr_b64 v155, v[96:97], v[94:95] offset1:1
.LBB29_71:
	s_or_b32 exec_lo, exec_lo, s4
	s_waitcnt lgkmcnt(0)
	s_barrier
	buffer_gl0_inv
	ds_load_2addr_b64 v[88:91], v155 offset1:1
	s_mov_b32 s3, exec_lo
	v_cmpx_lt_u32_e32 7, v154
	s_cbranch_execz .LBB29_73
; %bb.72:
	s_waitcnt lgkmcnt(0)
	v_mul_f64 v[92:93], v[88:89], v[30:31]
	v_mul_f64 v[30:31], v[90:91], v[30:31]
	s_delay_alu instid0(VALU_DEP_2)
	v_fma_f64 v[152:153], v[90:91], v[28:29], v[92:93]
	ds_load_2addr_b64 v[92:95], v156 offset0:16 offset1:17
	ds_load_2addr_b64 v[96:99], v156 offset0:18 offset1:19
	;; [unrolled: 1-line block ×7, first 2 shown]
	v_fma_f64 v[28:29], v[88:89], v[28:29], -v[30:31]
	s_waitcnt lgkmcnt(6)
	v_mul_f64 v[30:31], v[94:95], v[152:153]
	v_mul_f64 v[157:158], v[92:93], v[152:153]
	s_waitcnt lgkmcnt(5)
	v_mul_f64 v[159:160], v[98:99], v[152:153]
	v_mul_f64 v[161:162], v[96:97], v[152:153]
	;; [unrolled: 3-line block ×7, first 2 shown]
	v_fma_f64 v[30:31], v[92:93], v[28:29], -v[30:31]
	v_fma_f64 v[92:93], v[94:95], v[28:29], v[157:158]
	v_fma_f64 v[94:95], v[96:97], v[28:29], -v[159:160]
	v_fma_f64 v[96:97], v[98:99], v[28:29], v[161:162]
	;; [unrolled: 2-line block ×7, first 2 shown]
	v_add_f64 v[24:25], v[24:25], -v[30:31]
	v_add_f64 v[26:27], v[26:27], -v[92:93]
	;; [unrolled: 1-line block ×14, first 2 shown]
	v_dual_mov_b32 v30, v152 :: v_dual_mov_b32 v31, v153
.LBB29_73:
	s_or_b32 exec_lo, exec_lo, s3
	s_delay_alu instid0(SALU_CYCLE_1)
	s_mov_b32 s4, exec_lo
	s_waitcnt lgkmcnt(0)
	s_barrier
	buffer_gl0_inv
	v_cmpx_eq_u32_e32 8, v154
	s_cbranch_execz .LBB29_80
; %bb.74:
	ds_store_2addr_b64 v155, v[24:25], v[26:27] offset1:1
	ds_store_2addr_b64 v156, v[20:21], v[22:23] offset0:18 offset1:19
	ds_store_2addr_b64 v156, v[16:17], v[18:19] offset0:20 offset1:21
	;; [unrolled: 1-line block ×6, first 2 shown]
	ds_load_2addr_b64 v[92:95], v155 offset1:1
	s_waitcnt lgkmcnt(0)
	v_cmp_neq_f64_e32 vcc_lo, 0, v[92:93]
	v_cmp_neq_f64_e64 s3, 0, v[94:95]
	s_delay_alu instid0(VALU_DEP_1) | instskip(NEXT) | instid1(SALU_CYCLE_1)
	s_or_b32 s3, vcc_lo, s3
	s_and_b32 exec_lo, exec_lo, s3
	s_cbranch_execz .LBB29_80
; %bb.75:
	v_cmp_gt_f64_e32 vcc_lo, 0, v[92:93]
	v_cmp_gt_f64_e64 s3, 0, v[94:95]
	v_xor_b32_e32 v96, 0x80000000, v93
	v_xor_b32_e32 v98, 0x80000000, v95
                                        ; implicit-def: $vgpr100_vgpr101
	s_delay_alu instid0(VALU_DEP_2) | instskip(NEXT) | instid1(VALU_DEP_2)
	v_cndmask_b32_e32 v97, v93, v96, vcc_lo
	v_cndmask_b32_e64 v99, v95, v98, s3
	v_cndmask_b32_e32 v96, v92, v92, vcc_lo
	v_cndmask_b32_e64 v98, v94, v94, s3
	s_mov_b32 s3, exec_lo
	s_delay_alu instid0(VALU_DEP_1)
	v_cmpx_ngt_f64_e32 v[96:97], v[98:99]
	s_xor_b32 s3, exec_lo, s3
                                        ; implicit-def: $vgpr96_vgpr97_vgpr98_vgpr99
	s_cbranch_execz .LBB29_77
; %bb.76:
	v_div_scale_f64 v[96:97], null, v[94:95], v[94:95], v[92:93]
	v_div_scale_f64 v[102:103], vcc_lo, v[92:93], v[94:95], v[92:93]
	s_delay_alu instid0(VALU_DEP_2) | instskip(SKIP_2) | instid1(VALU_DEP_1)
	v_rcp_f64_e32 v[98:99], v[96:97]
	s_waitcnt_depctr 0xfff
	v_fma_f64 v[100:101], -v[96:97], v[98:99], 1.0
	v_fma_f64 v[98:99], v[98:99], v[100:101], v[98:99]
	s_delay_alu instid0(VALU_DEP_1) | instskip(NEXT) | instid1(VALU_DEP_1)
	v_fma_f64 v[100:101], -v[96:97], v[98:99], 1.0
	v_fma_f64 v[98:99], v[98:99], v[100:101], v[98:99]
	s_delay_alu instid0(VALU_DEP_1) | instskip(NEXT) | instid1(VALU_DEP_1)
	v_mul_f64 v[100:101], v[102:103], v[98:99]
	v_fma_f64 v[96:97], -v[96:97], v[100:101], v[102:103]
	s_delay_alu instid0(VALU_DEP_1) | instskip(NEXT) | instid1(VALU_DEP_1)
	v_div_fmas_f64 v[96:97], v[96:97], v[98:99], v[100:101]
	v_div_fixup_f64 v[96:97], v[96:97], v[94:95], v[92:93]
	s_delay_alu instid0(VALU_DEP_1) | instskip(NEXT) | instid1(VALU_DEP_1)
	v_fma_f64 v[92:93], v[92:93], v[96:97], v[94:95]
	v_div_scale_f64 v[94:95], null, v[92:93], v[92:93], 1.0
	s_delay_alu instid0(VALU_DEP_1) | instskip(SKIP_2) | instid1(VALU_DEP_1)
	v_rcp_f64_e32 v[98:99], v[94:95]
	s_waitcnt_depctr 0xfff
	v_fma_f64 v[100:101], -v[94:95], v[98:99], 1.0
	v_fma_f64 v[98:99], v[98:99], v[100:101], v[98:99]
	s_delay_alu instid0(VALU_DEP_1) | instskip(NEXT) | instid1(VALU_DEP_1)
	v_fma_f64 v[100:101], -v[94:95], v[98:99], 1.0
	v_fma_f64 v[98:99], v[98:99], v[100:101], v[98:99]
	v_div_scale_f64 v[100:101], vcc_lo, 1.0, v[92:93], 1.0
	s_delay_alu instid0(VALU_DEP_1) | instskip(NEXT) | instid1(VALU_DEP_1)
	v_mul_f64 v[102:103], v[100:101], v[98:99]
	v_fma_f64 v[94:95], -v[94:95], v[102:103], v[100:101]
	s_delay_alu instid0(VALU_DEP_1) | instskip(NEXT) | instid1(VALU_DEP_1)
	v_div_fmas_f64 v[94:95], v[94:95], v[98:99], v[102:103]
	v_div_fixup_f64 v[98:99], v[94:95], v[92:93], 1.0
                                        ; implicit-def: $vgpr92_vgpr93
	s_delay_alu instid0(VALU_DEP_1)
	v_mul_f64 v[100:101], v[96:97], v[98:99]
	v_xor_b32_e32 v99, 0x80000000, v99
.LBB29_77:
	s_and_not1_saveexec_b32 s3, s3
	s_cbranch_execz .LBB29_79
; %bb.78:
	v_div_scale_f64 v[96:97], null, v[92:93], v[92:93], v[94:95]
	v_div_scale_f64 v[102:103], vcc_lo, v[94:95], v[92:93], v[94:95]
	s_delay_alu instid0(VALU_DEP_2) | instskip(SKIP_2) | instid1(VALU_DEP_1)
	v_rcp_f64_e32 v[98:99], v[96:97]
	s_waitcnt_depctr 0xfff
	v_fma_f64 v[100:101], -v[96:97], v[98:99], 1.0
	v_fma_f64 v[98:99], v[98:99], v[100:101], v[98:99]
	s_delay_alu instid0(VALU_DEP_1) | instskip(NEXT) | instid1(VALU_DEP_1)
	v_fma_f64 v[100:101], -v[96:97], v[98:99], 1.0
	v_fma_f64 v[98:99], v[98:99], v[100:101], v[98:99]
	s_delay_alu instid0(VALU_DEP_1) | instskip(NEXT) | instid1(VALU_DEP_1)
	v_mul_f64 v[100:101], v[102:103], v[98:99]
	v_fma_f64 v[96:97], -v[96:97], v[100:101], v[102:103]
	s_delay_alu instid0(VALU_DEP_1) | instskip(NEXT) | instid1(VALU_DEP_1)
	v_div_fmas_f64 v[96:97], v[96:97], v[98:99], v[100:101]
	v_div_fixup_f64 v[96:97], v[96:97], v[92:93], v[94:95]
	s_delay_alu instid0(VALU_DEP_1) | instskip(NEXT) | instid1(VALU_DEP_1)
	v_fma_f64 v[92:93], v[94:95], v[96:97], v[92:93]
	v_div_scale_f64 v[94:95], null, v[92:93], v[92:93], 1.0
	s_delay_alu instid0(VALU_DEP_1) | instskip(SKIP_2) | instid1(VALU_DEP_1)
	v_rcp_f64_e32 v[98:99], v[94:95]
	s_waitcnt_depctr 0xfff
	v_fma_f64 v[100:101], -v[94:95], v[98:99], 1.0
	v_fma_f64 v[98:99], v[98:99], v[100:101], v[98:99]
	s_delay_alu instid0(VALU_DEP_1) | instskip(NEXT) | instid1(VALU_DEP_1)
	v_fma_f64 v[100:101], -v[94:95], v[98:99], 1.0
	v_fma_f64 v[98:99], v[98:99], v[100:101], v[98:99]
	v_div_scale_f64 v[100:101], vcc_lo, 1.0, v[92:93], 1.0
	s_delay_alu instid0(VALU_DEP_1) | instskip(NEXT) | instid1(VALU_DEP_1)
	v_mul_f64 v[102:103], v[100:101], v[98:99]
	v_fma_f64 v[94:95], -v[94:95], v[102:103], v[100:101]
	s_delay_alu instid0(VALU_DEP_1) | instskip(NEXT) | instid1(VALU_DEP_1)
	v_div_fmas_f64 v[94:95], v[94:95], v[98:99], v[102:103]
	v_div_fixup_f64 v[100:101], v[94:95], v[92:93], 1.0
	s_delay_alu instid0(VALU_DEP_1)
	v_mul_f64 v[98:99], v[96:97], -v[100:101]
.LBB29_79:
	s_or_b32 exec_lo, exec_lo, s3
	ds_store_2addr_b64 v155, v[100:101], v[98:99] offset1:1
.LBB29_80:
	s_or_b32 exec_lo, exec_lo, s4
	s_waitcnt lgkmcnt(0)
	s_barrier
	buffer_gl0_inv
	ds_load_2addr_b64 v[92:95], v155 offset1:1
	s_mov_b32 s3, exec_lo
	v_cmpx_lt_u32_e32 8, v154
	s_cbranch_execz .LBB29_82
; %bb.81:
	s_waitcnt lgkmcnt(0)
	v_mul_f64 v[96:97], v[92:93], v[26:27]
	v_mul_f64 v[26:27], v[94:95], v[26:27]
	s_delay_alu instid0(VALU_DEP_2)
	v_fma_f64 v[152:153], v[94:95], v[24:25], v[96:97]
	ds_load_2addr_b64 v[96:99], v156 offset0:18 offset1:19
	ds_load_2addr_b64 v[100:103], v156 offset0:20 offset1:21
	;; [unrolled: 1-line block ×6, first 2 shown]
	v_fma_f64 v[24:25], v[92:93], v[24:25], -v[26:27]
	s_waitcnt lgkmcnt(5)
	v_mul_f64 v[26:27], v[98:99], v[152:153]
	v_mul_f64 v[157:158], v[96:97], v[152:153]
	s_waitcnt lgkmcnt(4)
	v_mul_f64 v[159:160], v[102:103], v[152:153]
	v_mul_f64 v[161:162], v[100:101], v[152:153]
	;; [unrolled: 3-line block ×6, first 2 shown]
	v_fma_f64 v[26:27], v[96:97], v[24:25], -v[26:27]
	v_fma_f64 v[96:97], v[98:99], v[24:25], v[157:158]
	v_fma_f64 v[98:99], v[100:101], v[24:25], -v[159:160]
	v_fma_f64 v[100:101], v[102:103], v[24:25], v[161:162]
	;; [unrolled: 2-line block ×6, first 2 shown]
	v_add_f64 v[20:21], v[20:21], -v[26:27]
	v_add_f64 v[22:23], v[22:23], -v[96:97]
	;; [unrolled: 1-line block ×12, first 2 shown]
	v_dual_mov_b32 v26, v152 :: v_dual_mov_b32 v27, v153
.LBB29_82:
	s_or_b32 exec_lo, exec_lo, s3
	s_delay_alu instid0(SALU_CYCLE_1)
	s_mov_b32 s4, exec_lo
	s_waitcnt lgkmcnt(0)
	s_barrier
	buffer_gl0_inv
	v_cmpx_eq_u32_e32 9, v154
	s_cbranch_execz .LBB29_89
; %bb.83:
	ds_store_2addr_b64 v155, v[20:21], v[22:23] offset1:1
	ds_store_2addr_b64 v156, v[16:17], v[18:19] offset0:20 offset1:21
	ds_store_2addr_b64 v156, v[12:13], v[14:15] offset0:22 offset1:23
	;; [unrolled: 1-line block ×5, first 2 shown]
	ds_load_2addr_b64 v[96:99], v155 offset1:1
	s_waitcnt lgkmcnt(0)
	v_cmp_neq_f64_e32 vcc_lo, 0, v[96:97]
	v_cmp_neq_f64_e64 s3, 0, v[98:99]
	s_delay_alu instid0(VALU_DEP_1) | instskip(NEXT) | instid1(SALU_CYCLE_1)
	s_or_b32 s3, vcc_lo, s3
	s_and_b32 exec_lo, exec_lo, s3
	s_cbranch_execz .LBB29_89
; %bb.84:
	v_cmp_gt_f64_e32 vcc_lo, 0, v[96:97]
	v_cmp_gt_f64_e64 s3, 0, v[98:99]
	v_xor_b32_e32 v100, 0x80000000, v97
	v_xor_b32_e32 v102, 0x80000000, v99
                                        ; implicit-def: $vgpr104_vgpr105
	s_delay_alu instid0(VALU_DEP_2) | instskip(NEXT) | instid1(VALU_DEP_2)
	v_cndmask_b32_e32 v101, v97, v100, vcc_lo
	v_cndmask_b32_e64 v103, v99, v102, s3
	v_cndmask_b32_e32 v100, v96, v96, vcc_lo
	v_cndmask_b32_e64 v102, v98, v98, s3
	s_mov_b32 s3, exec_lo
	s_delay_alu instid0(VALU_DEP_1)
	v_cmpx_ngt_f64_e32 v[100:101], v[102:103]
	s_xor_b32 s3, exec_lo, s3
                                        ; implicit-def: $vgpr100_vgpr101_vgpr102_vgpr103
	s_cbranch_execz .LBB29_86
; %bb.85:
	v_div_scale_f64 v[100:101], null, v[98:99], v[98:99], v[96:97]
	v_div_scale_f64 v[106:107], vcc_lo, v[96:97], v[98:99], v[96:97]
	s_delay_alu instid0(VALU_DEP_2) | instskip(SKIP_2) | instid1(VALU_DEP_1)
	v_rcp_f64_e32 v[102:103], v[100:101]
	s_waitcnt_depctr 0xfff
	v_fma_f64 v[104:105], -v[100:101], v[102:103], 1.0
	v_fma_f64 v[102:103], v[102:103], v[104:105], v[102:103]
	s_delay_alu instid0(VALU_DEP_1) | instskip(NEXT) | instid1(VALU_DEP_1)
	v_fma_f64 v[104:105], -v[100:101], v[102:103], 1.0
	v_fma_f64 v[102:103], v[102:103], v[104:105], v[102:103]
	s_delay_alu instid0(VALU_DEP_1) | instskip(NEXT) | instid1(VALU_DEP_1)
	v_mul_f64 v[104:105], v[106:107], v[102:103]
	v_fma_f64 v[100:101], -v[100:101], v[104:105], v[106:107]
	s_delay_alu instid0(VALU_DEP_1) | instskip(NEXT) | instid1(VALU_DEP_1)
	v_div_fmas_f64 v[100:101], v[100:101], v[102:103], v[104:105]
	v_div_fixup_f64 v[100:101], v[100:101], v[98:99], v[96:97]
	s_delay_alu instid0(VALU_DEP_1) | instskip(NEXT) | instid1(VALU_DEP_1)
	v_fma_f64 v[96:97], v[96:97], v[100:101], v[98:99]
	v_div_scale_f64 v[98:99], null, v[96:97], v[96:97], 1.0
	s_delay_alu instid0(VALU_DEP_1) | instskip(SKIP_2) | instid1(VALU_DEP_1)
	v_rcp_f64_e32 v[102:103], v[98:99]
	s_waitcnt_depctr 0xfff
	v_fma_f64 v[104:105], -v[98:99], v[102:103], 1.0
	v_fma_f64 v[102:103], v[102:103], v[104:105], v[102:103]
	s_delay_alu instid0(VALU_DEP_1) | instskip(NEXT) | instid1(VALU_DEP_1)
	v_fma_f64 v[104:105], -v[98:99], v[102:103], 1.0
	v_fma_f64 v[102:103], v[102:103], v[104:105], v[102:103]
	v_div_scale_f64 v[104:105], vcc_lo, 1.0, v[96:97], 1.0
	s_delay_alu instid0(VALU_DEP_1) | instskip(NEXT) | instid1(VALU_DEP_1)
	v_mul_f64 v[106:107], v[104:105], v[102:103]
	v_fma_f64 v[98:99], -v[98:99], v[106:107], v[104:105]
	s_delay_alu instid0(VALU_DEP_1) | instskip(NEXT) | instid1(VALU_DEP_1)
	v_div_fmas_f64 v[98:99], v[98:99], v[102:103], v[106:107]
	v_div_fixup_f64 v[102:103], v[98:99], v[96:97], 1.0
                                        ; implicit-def: $vgpr96_vgpr97
	s_delay_alu instid0(VALU_DEP_1)
	v_mul_f64 v[104:105], v[100:101], v[102:103]
	v_xor_b32_e32 v103, 0x80000000, v103
.LBB29_86:
	s_and_not1_saveexec_b32 s3, s3
	s_cbranch_execz .LBB29_88
; %bb.87:
	v_div_scale_f64 v[100:101], null, v[96:97], v[96:97], v[98:99]
	v_div_scale_f64 v[106:107], vcc_lo, v[98:99], v[96:97], v[98:99]
	s_delay_alu instid0(VALU_DEP_2) | instskip(SKIP_2) | instid1(VALU_DEP_1)
	v_rcp_f64_e32 v[102:103], v[100:101]
	s_waitcnt_depctr 0xfff
	v_fma_f64 v[104:105], -v[100:101], v[102:103], 1.0
	v_fma_f64 v[102:103], v[102:103], v[104:105], v[102:103]
	s_delay_alu instid0(VALU_DEP_1) | instskip(NEXT) | instid1(VALU_DEP_1)
	v_fma_f64 v[104:105], -v[100:101], v[102:103], 1.0
	v_fma_f64 v[102:103], v[102:103], v[104:105], v[102:103]
	s_delay_alu instid0(VALU_DEP_1) | instskip(NEXT) | instid1(VALU_DEP_1)
	v_mul_f64 v[104:105], v[106:107], v[102:103]
	v_fma_f64 v[100:101], -v[100:101], v[104:105], v[106:107]
	s_delay_alu instid0(VALU_DEP_1) | instskip(NEXT) | instid1(VALU_DEP_1)
	v_div_fmas_f64 v[100:101], v[100:101], v[102:103], v[104:105]
	v_div_fixup_f64 v[100:101], v[100:101], v[96:97], v[98:99]
	s_delay_alu instid0(VALU_DEP_1) | instskip(NEXT) | instid1(VALU_DEP_1)
	v_fma_f64 v[96:97], v[98:99], v[100:101], v[96:97]
	v_div_scale_f64 v[98:99], null, v[96:97], v[96:97], 1.0
	s_delay_alu instid0(VALU_DEP_1) | instskip(SKIP_2) | instid1(VALU_DEP_1)
	v_rcp_f64_e32 v[102:103], v[98:99]
	s_waitcnt_depctr 0xfff
	v_fma_f64 v[104:105], -v[98:99], v[102:103], 1.0
	v_fma_f64 v[102:103], v[102:103], v[104:105], v[102:103]
	s_delay_alu instid0(VALU_DEP_1) | instskip(NEXT) | instid1(VALU_DEP_1)
	v_fma_f64 v[104:105], -v[98:99], v[102:103], 1.0
	v_fma_f64 v[102:103], v[102:103], v[104:105], v[102:103]
	v_div_scale_f64 v[104:105], vcc_lo, 1.0, v[96:97], 1.0
	s_delay_alu instid0(VALU_DEP_1) | instskip(NEXT) | instid1(VALU_DEP_1)
	v_mul_f64 v[106:107], v[104:105], v[102:103]
	v_fma_f64 v[98:99], -v[98:99], v[106:107], v[104:105]
	s_delay_alu instid0(VALU_DEP_1) | instskip(NEXT) | instid1(VALU_DEP_1)
	v_div_fmas_f64 v[98:99], v[98:99], v[102:103], v[106:107]
	v_div_fixup_f64 v[104:105], v[98:99], v[96:97], 1.0
	s_delay_alu instid0(VALU_DEP_1)
	v_mul_f64 v[102:103], v[100:101], -v[104:105]
.LBB29_88:
	s_or_b32 exec_lo, exec_lo, s3
	ds_store_2addr_b64 v155, v[104:105], v[102:103] offset1:1
.LBB29_89:
	s_or_b32 exec_lo, exec_lo, s4
	s_waitcnt lgkmcnt(0)
	s_barrier
	buffer_gl0_inv
	ds_load_2addr_b64 v[96:99], v155 offset1:1
	s_mov_b32 s3, exec_lo
	v_cmpx_lt_u32_e32 9, v154
	s_cbranch_execz .LBB29_91
; %bb.90:
	s_waitcnt lgkmcnt(0)
	v_mul_f64 v[100:101], v[96:97], v[22:23]
	v_mul_f64 v[22:23], v[98:99], v[22:23]
	s_delay_alu instid0(VALU_DEP_2)
	v_fma_f64 v[152:153], v[98:99], v[20:21], v[100:101]
	ds_load_2addr_b64 v[100:103], v156 offset0:20 offset1:21
	ds_load_2addr_b64 v[104:107], v156 offset0:22 offset1:23
	;; [unrolled: 1-line block ×5, first 2 shown]
	v_fma_f64 v[20:21], v[96:97], v[20:21], -v[22:23]
	s_waitcnt lgkmcnt(4)
	v_mul_f64 v[22:23], v[102:103], v[152:153]
	v_mul_f64 v[157:158], v[100:101], v[152:153]
	s_waitcnt lgkmcnt(3)
	v_mul_f64 v[159:160], v[106:107], v[152:153]
	v_mul_f64 v[161:162], v[104:105], v[152:153]
	;; [unrolled: 3-line block ×5, first 2 shown]
	v_fma_f64 v[22:23], v[100:101], v[20:21], -v[22:23]
	v_fma_f64 v[100:101], v[102:103], v[20:21], v[157:158]
	v_fma_f64 v[102:103], v[104:105], v[20:21], -v[159:160]
	v_fma_f64 v[104:105], v[106:107], v[20:21], v[161:162]
	;; [unrolled: 2-line block ×5, first 2 shown]
	v_add_f64 v[16:17], v[16:17], -v[22:23]
	v_add_f64 v[18:19], v[18:19], -v[100:101]
	;; [unrolled: 1-line block ×10, first 2 shown]
	v_dual_mov_b32 v22, v152 :: v_dual_mov_b32 v23, v153
.LBB29_91:
	s_or_b32 exec_lo, exec_lo, s3
	s_delay_alu instid0(SALU_CYCLE_1)
	s_mov_b32 s4, exec_lo
	s_waitcnt lgkmcnt(0)
	s_barrier
	buffer_gl0_inv
	v_cmpx_eq_u32_e32 10, v154
	s_cbranch_execz .LBB29_98
; %bb.92:
	ds_store_2addr_b64 v155, v[16:17], v[18:19] offset1:1
	ds_store_2addr_b64 v156, v[12:13], v[14:15] offset0:22 offset1:23
	ds_store_2addr_b64 v156, v[8:9], v[10:11] offset0:24 offset1:25
	;; [unrolled: 1-line block ×4, first 2 shown]
	ds_load_2addr_b64 v[100:103], v155 offset1:1
	s_waitcnt lgkmcnt(0)
	v_cmp_neq_f64_e32 vcc_lo, 0, v[100:101]
	v_cmp_neq_f64_e64 s3, 0, v[102:103]
	s_delay_alu instid0(VALU_DEP_1) | instskip(NEXT) | instid1(SALU_CYCLE_1)
	s_or_b32 s3, vcc_lo, s3
	s_and_b32 exec_lo, exec_lo, s3
	s_cbranch_execz .LBB29_98
; %bb.93:
	v_cmp_gt_f64_e32 vcc_lo, 0, v[100:101]
	v_cmp_gt_f64_e64 s3, 0, v[102:103]
	v_xor_b32_e32 v104, 0x80000000, v101
	v_xor_b32_e32 v106, 0x80000000, v103
                                        ; implicit-def: $vgpr108_vgpr109
	s_delay_alu instid0(VALU_DEP_2) | instskip(NEXT) | instid1(VALU_DEP_2)
	v_cndmask_b32_e32 v105, v101, v104, vcc_lo
	v_cndmask_b32_e64 v107, v103, v106, s3
	v_cndmask_b32_e32 v104, v100, v100, vcc_lo
	v_cndmask_b32_e64 v106, v102, v102, s3
	s_mov_b32 s3, exec_lo
	s_delay_alu instid0(VALU_DEP_1)
	v_cmpx_ngt_f64_e32 v[104:105], v[106:107]
	s_xor_b32 s3, exec_lo, s3
                                        ; implicit-def: $vgpr104_vgpr105_vgpr106_vgpr107
	s_cbranch_execz .LBB29_95
; %bb.94:
	v_div_scale_f64 v[104:105], null, v[102:103], v[102:103], v[100:101]
	v_div_scale_f64 v[110:111], vcc_lo, v[100:101], v[102:103], v[100:101]
	s_delay_alu instid0(VALU_DEP_2) | instskip(SKIP_2) | instid1(VALU_DEP_1)
	v_rcp_f64_e32 v[106:107], v[104:105]
	s_waitcnt_depctr 0xfff
	v_fma_f64 v[108:109], -v[104:105], v[106:107], 1.0
	v_fma_f64 v[106:107], v[106:107], v[108:109], v[106:107]
	s_delay_alu instid0(VALU_DEP_1) | instskip(NEXT) | instid1(VALU_DEP_1)
	v_fma_f64 v[108:109], -v[104:105], v[106:107], 1.0
	v_fma_f64 v[106:107], v[106:107], v[108:109], v[106:107]
	s_delay_alu instid0(VALU_DEP_1) | instskip(NEXT) | instid1(VALU_DEP_1)
	v_mul_f64 v[108:109], v[110:111], v[106:107]
	v_fma_f64 v[104:105], -v[104:105], v[108:109], v[110:111]
	s_delay_alu instid0(VALU_DEP_1) | instskip(NEXT) | instid1(VALU_DEP_1)
	v_div_fmas_f64 v[104:105], v[104:105], v[106:107], v[108:109]
	v_div_fixup_f64 v[104:105], v[104:105], v[102:103], v[100:101]
	s_delay_alu instid0(VALU_DEP_1) | instskip(NEXT) | instid1(VALU_DEP_1)
	v_fma_f64 v[100:101], v[100:101], v[104:105], v[102:103]
	v_div_scale_f64 v[102:103], null, v[100:101], v[100:101], 1.0
	s_delay_alu instid0(VALU_DEP_1) | instskip(SKIP_2) | instid1(VALU_DEP_1)
	v_rcp_f64_e32 v[106:107], v[102:103]
	s_waitcnt_depctr 0xfff
	v_fma_f64 v[108:109], -v[102:103], v[106:107], 1.0
	v_fma_f64 v[106:107], v[106:107], v[108:109], v[106:107]
	s_delay_alu instid0(VALU_DEP_1) | instskip(NEXT) | instid1(VALU_DEP_1)
	v_fma_f64 v[108:109], -v[102:103], v[106:107], 1.0
	v_fma_f64 v[106:107], v[106:107], v[108:109], v[106:107]
	v_div_scale_f64 v[108:109], vcc_lo, 1.0, v[100:101], 1.0
	s_delay_alu instid0(VALU_DEP_1) | instskip(NEXT) | instid1(VALU_DEP_1)
	v_mul_f64 v[110:111], v[108:109], v[106:107]
	v_fma_f64 v[102:103], -v[102:103], v[110:111], v[108:109]
	s_delay_alu instid0(VALU_DEP_1) | instskip(NEXT) | instid1(VALU_DEP_1)
	v_div_fmas_f64 v[102:103], v[102:103], v[106:107], v[110:111]
	v_div_fixup_f64 v[106:107], v[102:103], v[100:101], 1.0
                                        ; implicit-def: $vgpr100_vgpr101
	s_delay_alu instid0(VALU_DEP_1)
	v_mul_f64 v[108:109], v[104:105], v[106:107]
	v_xor_b32_e32 v107, 0x80000000, v107
.LBB29_95:
	s_and_not1_saveexec_b32 s3, s3
	s_cbranch_execz .LBB29_97
; %bb.96:
	v_div_scale_f64 v[104:105], null, v[100:101], v[100:101], v[102:103]
	v_div_scale_f64 v[110:111], vcc_lo, v[102:103], v[100:101], v[102:103]
	s_delay_alu instid0(VALU_DEP_2) | instskip(SKIP_2) | instid1(VALU_DEP_1)
	v_rcp_f64_e32 v[106:107], v[104:105]
	s_waitcnt_depctr 0xfff
	v_fma_f64 v[108:109], -v[104:105], v[106:107], 1.0
	v_fma_f64 v[106:107], v[106:107], v[108:109], v[106:107]
	s_delay_alu instid0(VALU_DEP_1) | instskip(NEXT) | instid1(VALU_DEP_1)
	v_fma_f64 v[108:109], -v[104:105], v[106:107], 1.0
	v_fma_f64 v[106:107], v[106:107], v[108:109], v[106:107]
	s_delay_alu instid0(VALU_DEP_1) | instskip(NEXT) | instid1(VALU_DEP_1)
	v_mul_f64 v[108:109], v[110:111], v[106:107]
	v_fma_f64 v[104:105], -v[104:105], v[108:109], v[110:111]
	s_delay_alu instid0(VALU_DEP_1) | instskip(NEXT) | instid1(VALU_DEP_1)
	v_div_fmas_f64 v[104:105], v[104:105], v[106:107], v[108:109]
	v_div_fixup_f64 v[104:105], v[104:105], v[100:101], v[102:103]
	s_delay_alu instid0(VALU_DEP_1) | instskip(NEXT) | instid1(VALU_DEP_1)
	v_fma_f64 v[100:101], v[102:103], v[104:105], v[100:101]
	v_div_scale_f64 v[102:103], null, v[100:101], v[100:101], 1.0
	s_delay_alu instid0(VALU_DEP_1) | instskip(SKIP_2) | instid1(VALU_DEP_1)
	v_rcp_f64_e32 v[106:107], v[102:103]
	s_waitcnt_depctr 0xfff
	v_fma_f64 v[108:109], -v[102:103], v[106:107], 1.0
	v_fma_f64 v[106:107], v[106:107], v[108:109], v[106:107]
	s_delay_alu instid0(VALU_DEP_1) | instskip(NEXT) | instid1(VALU_DEP_1)
	v_fma_f64 v[108:109], -v[102:103], v[106:107], 1.0
	v_fma_f64 v[106:107], v[106:107], v[108:109], v[106:107]
	v_div_scale_f64 v[108:109], vcc_lo, 1.0, v[100:101], 1.0
	s_delay_alu instid0(VALU_DEP_1) | instskip(NEXT) | instid1(VALU_DEP_1)
	v_mul_f64 v[110:111], v[108:109], v[106:107]
	v_fma_f64 v[102:103], -v[102:103], v[110:111], v[108:109]
	s_delay_alu instid0(VALU_DEP_1) | instskip(NEXT) | instid1(VALU_DEP_1)
	v_div_fmas_f64 v[102:103], v[102:103], v[106:107], v[110:111]
	v_div_fixup_f64 v[108:109], v[102:103], v[100:101], 1.0
	s_delay_alu instid0(VALU_DEP_1)
	v_mul_f64 v[106:107], v[104:105], -v[108:109]
.LBB29_97:
	s_or_b32 exec_lo, exec_lo, s3
	ds_store_2addr_b64 v155, v[108:109], v[106:107] offset1:1
.LBB29_98:
	s_or_b32 exec_lo, exec_lo, s4
	s_waitcnt lgkmcnt(0)
	s_barrier
	buffer_gl0_inv
	ds_load_2addr_b64 v[100:103], v155 offset1:1
	s_mov_b32 s3, exec_lo
	v_cmpx_lt_u32_e32 10, v154
	s_cbranch_execz .LBB29_100
; %bb.99:
	s_waitcnt lgkmcnt(0)
	v_mul_f64 v[104:105], v[100:101], v[18:19]
	v_mul_f64 v[18:19], v[102:103], v[18:19]
	s_delay_alu instid0(VALU_DEP_2)
	v_fma_f64 v[152:153], v[102:103], v[16:17], v[104:105]
	ds_load_2addr_b64 v[104:107], v156 offset0:22 offset1:23
	ds_load_2addr_b64 v[108:111], v156 offset0:24 offset1:25
	;; [unrolled: 1-line block ×4, first 2 shown]
	v_fma_f64 v[16:17], v[100:101], v[16:17], -v[18:19]
	s_waitcnt lgkmcnt(3)
	v_mul_f64 v[18:19], v[106:107], v[152:153]
	v_mul_f64 v[157:158], v[104:105], v[152:153]
	s_waitcnt lgkmcnt(2)
	v_mul_f64 v[159:160], v[110:111], v[152:153]
	v_mul_f64 v[161:162], v[108:109], v[152:153]
	;; [unrolled: 3-line block ×4, first 2 shown]
	v_fma_f64 v[18:19], v[104:105], v[16:17], -v[18:19]
	v_fma_f64 v[104:105], v[106:107], v[16:17], v[157:158]
	v_fma_f64 v[106:107], v[108:109], v[16:17], -v[159:160]
	v_fma_f64 v[108:109], v[110:111], v[16:17], v[161:162]
	;; [unrolled: 2-line block ×4, first 2 shown]
	v_add_f64 v[12:13], v[12:13], -v[18:19]
	v_add_f64 v[14:15], v[14:15], -v[104:105]
	;; [unrolled: 1-line block ×8, first 2 shown]
	v_dual_mov_b32 v18, v152 :: v_dual_mov_b32 v19, v153
.LBB29_100:
	s_or_b32 exec_lo, exec_lo, s3
	s_delay_alu instid0(SALU_CYCLE_1)
	s_mov_b32 s4, exec_lo
	s_waitcnt lgkmcnt(0)
	s_barrier
	buffer_gl0_inv
	v_cmpx_eq_u32_e32 11, v154
	s_cbranch_execz .LBB29_107
; %bb.101:
	ds_store_2addr_b64 v155, v[12:13], v[14:15] offset1:1
	ds_store_2addr_b64 v156, v[8:9], v[10:11] offset0:24 offset1:25
	ds_store_2addr_b64 v156, v[4:5], v[6:7] offset0:26 offset1:27
	;; [unrolled: 1-line block ×3, first 2 shown]
	ds_load_2addr_b64 v[104:107], v155 offset1:1
	s_waitcnt lgkmcnt(0)
	v_cmp_neq_f64_e32 vcc_lo, 0, v[104:105]
	v_cmp_neq_f64_e64 s3, 0, v[106:107]
	s_delay_alu instid0(VALU_DEP_1) | instskip(NEXT) | instid1(SALU_CYCLE_1)
	s_or_b32 s3, vcc_lo, s3
	s_and_b32 exec_lo, exec_lo, s3
	s_cbranch_execz .LBB29_107
; %bb.102:
	v_cmp_gt_f64_e32 vcc_lo, 0, v[104:105]
	v_cmp_gt_f64_e64 s3, 0, v[106:107]
	v_xor_b32_e32 v108, 0x80000000, v105
	v_xor_b32_e32 v110, 0x80000000, v107
                                        ; implicit-def: $vgpr112_vgpr113
	s_delay_alu instid0(VALU_DEP_2) | instskip(NEXT) | instid1(VALU_DEP_2)
	v_cndmask_b32_e32 v109, v105, v108, vcc_lo
	v_cndmask_b32_e64 v111, v107, v110, s3
	v_cndmask_b32_e32 v108, v104, v104, vcc_lo
	v_cndmask_b32_e64 v110, v106, v106, s3
	s_mov_b32 s3, exec_lo
	s_delay_alu instid0(VALU_DEP_1)
	v_cmpx_ngt_f64_e32 v[108:109], v[110:111]
	s_xor_b32 s3, exec_lo, s3
                                        ; implicit-def: $vgpr108_vgpr109_vgpr110_vgpr111
	s_cbranch_execz .LBB29_104
; %bb.103:
	v_div_scale_f64 v[108:109], null, v[106:107], v[106:107], v[104:105]
	v_div_scale_f64 v[114:115], vcc_lo, v[104:105], v[106:107], v[104:105]
	s_delay_alu instid0(VALU_DEP_2) | instskip(SKIP_2) | instid1(VALU_DEP_1)
	v_rcp_f64_e32 v[110:111], v[108:109]
	s_waitcnt_depctr 0xfff
	v_fma_f64 v[112:113], -v[108:109], v[110:111], 1.0
	v_fma_f64 v[110:111], v[110:111], v[112:113], v[110:111]
	s_delay_alu instid0(VALU_DEP_1) | instskip(NEXT) | instid1(VALU_DEP_1)
	v_fma_f64 v[112:113], -v[108:109], v[110:111], 1.0
	v_fma_f64 v[110:111], v[110:111], v[112:113], v[110:111]
	s_delay_alu instid0(VALU_DEP_1) | instskip(NEXT) | instid1(VALU_DEP_1)
	v_mul_f64 v[112:113], v[114:115], v[110:111]
	v_fma_f64 v[108:109], -v[108:109], v[112:113], v[114:115]
	s_delay_alu instid0(VALU_DEP_1) | instskip(NEXT) | instid1(VALU_DEP_1)
	v_div_fmas_f64 v[108:109], v[108:109], v[110:111], v[112:113]
	v_div_fixup_f64 v[108:109], v[108:109], v[106:107], v[104:105]
	s_delay_alu instid0(VALU_DEP_1) | instskip(NEXT) | instid1(VALU_DEP_1)
	v_fma_f64 v[104:105], v[104:105], v[108:109], v[106:107]
	v_div_scale_f64 v[106:107], null, v[104:105], v[104:105], 1.0
	s_delay_alu instid0(VALU_DEP_1) | instskip(SKIP_2) | instid1(VALU_DEP_1)
	v_rcp_f64_e32 v[110:111], v[106:107]
	s_waitcnt_depctr 0xfff
	v_fma_f64 v[112:113], -v[106:107], v[110:111], 1.0
	v_fma_f64 v[110:111], v[110:111], v[112:113], v[110:111]
	s_delay_alu instid0(VALU_DEP_1) | instskip(NEXT) | instid1(VALU_DEP_1)
	v_fma_f64 v[112:113], -v[106:107], v[110:111], 1.0
	v_fma_f64 v[110:111], v[110:111], v[112:113], v[110:111]
	v_div_scale_f64 v[112:113], vcc_lo, 1.0, v[104:105], 1.0
	s_delay_alu instid0(VALU_DEP_1) | instskip(NEXT) | instid1(VALU_DEP_1)
	v_mul_f64 v[114:115], v[112:113], v[110:111]
	v_fma_f64 v[106:107], -v[106:107], v[114:115], v[112:113]
	s_delay_alu instid0(VALU_DEP_1) | instskip(NEXT) | instid1(VALU_DEP_1)
	v_div_fmas_f64 v[106:107], v[106:107], v[110:111], v[114:115]
	v_div_fixup_f64 v[110:111], v[106:107], v[104:105], 1.0
                                        ; implicit-def: $vgpr104_vgpr105
	s_delay_alu instid0(VALU_DEP_1)
	v_mul_f64 v[112:113], v[108:109], v[110:111]
	v_xor_b32_e32 v111, 0x80000000, v111
.LBB29_104:
	s_and_not1_saveexec_b32 s3, s3
	s_cbranch_execz .LBB29_106
; %bb.105:
	v_div_scale_f64 v[108:109], null, v[104:105], v[104:105], v[106:107]
	v_div_scale_f64 v[114:115], vcc_lo, v[106:107], v[104:105], v[106:107]
	s_delay_alu instid0(VALU_DEP_2) | instskip(SKIP_2) | instid1(VALU_DEP_1)
	v_rcp_f64_e32 v[110:111], v[108:109]
	s_waitcnt_depctr 0xfff
	v_fma_f64 v[112:113], -v[108:109], v[110:111], 1.0
	v_fma_f64 v[110:111], v[110:111], v[112:113], v[110:111]
	s_delay_alu instid0(VALU_DEP_1) | instskip(NEXT) | instid1(VALU_DEP_1)
	v_fma_f64 v[112:113], -v[108:109], v[110:111], 1.0
	v_fma_f64 v[110:111], v[110:111], v[112:113], v[110:111]
	s_delay_alu instid0(VALU_DEP_1) | instskip(NEXT) | instid1(VALU_DEP_1)
	v_mul_f64 v[112:113], v[114:115], v[110:111]
	v_fma_f64 v[108:109], -v[108:109], v[112:113], v[114:115]
	s_delay_alu instid0(VALU_DEP_1) | instskip(NEXT) | instid1(VALU_DEP_1)
	v_div_fmas_f64 v[108:109], v[108:109], v[110:111], v[112:113]
	v_div_fixup_f64 v[108:109], v[108:109], v[104:105], v[106:107]
	s_delay_alu instid0(VALU_DEP_1) | instskip(NEXT) | instid1(VALU_DEP_1)
	v_fma_f64 v[104:105], v[106:107], v[108:109], v[104:105]
	v_div_scale_f64 v[106:107], null, v[104:105], v[104:105], 1.0
	s_delay_alu instid0(VALU_DEP_1) | instskip(SKIP_2) | instid1(VALU_DEP_1)
	v_rcp_f64_e32 v[110:111], v[106:107]
	s_waitcnt_depctr 0xfff
	v_fma_f64 v[112:113], -v[106:107], v[110:111], 1.0
	v_fma_f64 v[110:111], v[110:111], v[112:113], v[110:111]
	s_delay_alu instid0(VALU_DEP_1) | instskip(NEXT) | instid1(VALU_DEP_1)
	v_fma_f64 v[112:113], -v[106:107], v[110:111], 1.0
	v_fma_f64 v[110:111], v[110:111], v[112:113], v[110:111]
	v_div_scale_f64 v[112:113], vcc_lo, 1.0, v[104:105], 1.0
	s_delay_alu instid0(VALU_DEP_1) | instskip(NEXT) | instid1(VALU_DEP_1)
	v_mul_f64 v[114:115], v[112:113], v[110:111]
	v_fma_f64 v[106:107], -v[106:107], v[114:115], v[112:113]
	s_delay_alu instid0(VALU_DEP_1) | instskip(NEXT) | instid1(VALU_DEP_1)
	v_div_fmas_f64 v[106:107], v[106:107], v[110:111], v[114:115]
	v_div_fixup_f64 v[112:113], v[106:107], v[104:105], 1.0
	s_delay_alu instid0(VALU_DEP_1)
	v_mul_f64 v[110:111], v[108:109], -v[112:113]
.LBB29_106:
	s_or_b32 exec_lo, exec_lo, s3
	ds_store_2addr_b64 v155, v[112:113], v[110:111] offset1:1
.LBB29_107:
	s_or_b32 exec_lo, exec_lo, s4
	s_waitcnt lgkmcnt(0)
	s_barrier
	buffer_gl0_inv
	ds_load_2addr_b64 v[104:107], v155 offset1:1
	s_mov_b32 s3, exec_lo
	v_cmpx_lt_u32_e32 11, v154
	s_cbranch_execz .LBB29_109
; %bb.108:
	s_waitcnt lgkmcnt(0)
	v_mul_f64 v[108:109], v[104:105], v[14:15]
	v_mul_f64 v[14:15], v[106:107], v[14:15]
	s_delay_alu instid0(VALU_DEP_2)
	v_fma_f64 v[152:153], v[106:107], v[12:13], v[108:109]
	ds_load_2addr_b64 v[108:111], v156 offset0:24 offset1:25
	ds_load_2addr_b64 v[112:115], v156 offset0:26 offset1:27
	;; [unrolled: 1-line block ×3, first 2 shown]
	v_fma_f64 v[12:13], v[104:105], v[12:13], -v[14:15]
	s_waitcnt lgkmcnt(2)
	v_mul_f64 v[14:15], v[110:111], v[152:153]
	v_mul_f64 v[157:158], v[108:109], v[152:153]
	s_waitcnt lgkmcnt(1)
	v_mul_f64 v[159:160], v[114:115], v[152:153]
	v_mul_f64 v[161:162], v[112:113], v[152:153]
	;; [unrolled: 3-line block ×3, first 2 shown]
	v_fma_f64 v[14:15], v[108:109], v[12:13], -v[14:15]
	v_fma_f64 v[108:109], v[110:111], v[12:13], v[157:158]
	v_fma_f64 v[110:111], v[112:113], v[12:13], -v[159:160]
	v_fma_f64 v[112:113], v[114:115], v[12:13], v[161:162]
	;; [unrolled: 2-line block ×3, first 2 shown]
	v_add_f64 v[8:9], v[8:9], -v[14:15]
	v_add_f64 v[10:11], v[10:11], -v[108:109]
	;; [unrolled: 1-line block ×6, first 2 shown]
	v_dual_mov_b32 v14, v152 :: v_dual_mov_b32 v15, v153
.LBB29_109:
	s_or_b32 exec_lo, exec_lo, s3
	s_delay_alu instid0(SALU_CYCLE_1)
	s_mov_b32 s4, exec_lo
	s_waitcnt lgkmcnt(0)
	s_barrier
	buffer_gl0_inv
	v_cmpx_eq_u32_e32 12, v154
	s_cbranch_execz .LBB29_116
; %bb.110:
	ds_store_2addr_b64 v155, v[8:9], v[10:11] offset1:1
	ds_store_2addr_b64 v156, v[4:5], v[6:7] offset0:26 offset1:27
	ds_store_2addr_b64 v156, v[0:1], v[2:3] offset0:28 offset1:29
	ds_load_2addr_b64 v[108:111], v155 offset1:1
	s_waitcnt lgkmcnt(0)
	v_cmp_neq_f64_e32 vcc_lo, 0, v[108:109]
	v_cmp_neq_f64_e64 s3, 0, v[110:111]
	s_delay_alu instid0(VALU_DEP_1) | instskip(NEXT) | instid1(SALU_CYCLE_1)
	s_or_b32 s3, vcc_lo, s3
	s_and_b32 exec_lo, exec_lo, s3
	s_cbranch_execz .LBB29_116
; %bb.111:
	v_cmp_gt_f64_e32 vcc_lo, 0, v[108:109]
	v_cmp_gt_f64_e64 s3, 0, v[110:111]
	v_xor_b32_e32 v112, 0x80000000, v109
	v_xor_b32_e32 v114, 0x80000000, v111
                                        ; implicit-def: $vgpr116_vgpr117
	s_delay_alu instid0(VALU_DEP_2) | instskip(NEXT) | instid1(VALU_DEP_2)
	v_cndmask_b32_e32 v113, v109, v112, vcc_lo
	v_cndmask_b32_e64 v115, v111, v114, s3
	v_cndmask_b32_e32 v112, v108, v108, vcc_lo
	v_cndmask_b32_e64 v114, v110, v110, s3
	s_mov_b32 s3, exec_lo
	s_delay_alu instid0(VALU_DEP_1)
	v_cmpx_ngt_f64_e32 v[112:113], v[114:115]
	s_xor_b32 s3, exec_lo, s3
                                        ; implicit-def: $vgpr112_vgpr113_vgpr114_vgpr115
	s_cbranch_execz .LBB29_113
; %bb.112:
	v_div_scale_f64 v[112:113], null, v[110:111], v[110:111], v[108:109]
	v_div_scale_f64 v[118:119], vcc_lo, v[108:109], v[110:111], v[108:109]
	s_delay_alu instid0(VALU_DEP_2) | instskip(SKIP_2) | instid1(VALU_DEP_1)
	v_rcp_f64_e32 v[114:115], v[112:113]
	s_waitcnt_depctr 0xfff
	v_fma_f64 v[116:117], -v[112:113], v[114:115], 1.0
	v_fma_f64 v[114:115], v[114:115], v[116:117], v[114:115]
	s_delay_alu instid0(VALU_DEP_1) | instskip(NEXT) | instid1(VALU_DEP_1)
	v_fma_f64 v[116:117], -v[112:113], v[114:115], 1.0
	v_fma_f64 v[114:115], v[114:115], v[116:117], v[114:115]
	s_delay_alu instid0(VALU_DEP_1) | instskip(NEXT) | instid1(VALU_DEP_1)
	v_mul_f64 v[116:117], v[118:119], v[114:115]
	v_fma_f64 v[112:113], -v[112:113], v[116:117], v[118:119]
	s_delay_alu instid0(VALU_DEP_1) | instskip(NEXT) | instid1(VALU_DEP_1)
	v_div_fmas_f64 v[112:113], v[112:113], v[114:115], v[116:117]
	v_div_fixup_f64 v[112:113], v[112:113], v[110:111], v[108:109]
	s_delay_alu instid0(VALU_DEP_1) | instskip(NEXT) | instid1(VALU_DEP_1)
	v_fma_f64 v[108:109], v[108:109], v[112:113], v[110:111]
	v_div_scale_f64 v[110:111], null, v[108:109], v[108:109], 1.0
	s_delay_alu instid0(VALU_DEP_1) | instskip(SKIP_2) | instid1(VALU_DEP_1)
	v_rcp_f64_e32 v[114:115], v[110:111]
	s_waitcnt_depctr 0xfff
	v_fma_f64 v[116:117], -v[110:111], v[114:115], 1.0
	v_fma_f64 v[114:115], v[114:115], v[116:117], v[114:115]
	s_delay_alu instid0(VALU_DEP_1) | instskip(NEXT) | instid1(VALU_DEP_1)
	v_fma_f64 v[116:117], -v[110:111], v[114:115], 1.0
	v_fma_f64 v[114:115], v[114:115], v[116:117], v[114:115]
	v_div_scale_f64 v[116:117], vcc_lo, 1.0, v[108:109], 1.0
	s_delay_alu instid0(VALU_DEP_1) | instskip(NEXT) | instid1(VALU_DEP_1)
	v_mul_f64 v[118:119], v[116:117], v[114:115]
	v_fma_f64 v[110:111], -v[110:111], v[118:119], v[116:117]
	s_delay_alu instid0(VALU_DEP_1) | instskip(NEXT) | instid1(VALU_DEP_1)
	v_div_fmas_f64 v[110:111], v[110:111], v[114:115], v[118:119]
	v_div_fixup_f64 v[114:115], v[110:111], v[108:109], 1.0
                                        ; implicit-def: $vgpr108_vgpr109
	s_delay_alu instid0(VALU_DEP_1)
	v_mul_f64 v[116:117], v[112:113], v[114:115]
	v_xor_b32_e32 v115, 0x80000000, v115
.LBB29_113:
	s_and_not1_saveexec_b32 s3, s3
	s_cbranch_execz .LBB29_115
; %bb.114:
	v_div_scale_f64 v[112:113], null, v[108:109], v[108:109], v[110:111]
	v_div_scale_f64 v[118:119], vcc_lo, v[110:111], v[108:109], v[110:111]
	s_delay_alu instid0(VALU_DEP_2) | instskip(SKIP_2) | instid1(VALU_DEP_1)
	v_rcp_f64_e32 v[114:115], v[112:113]
	s_waitcnt_depctr 0xfff
	v_fma_f64 v[116:117], -v[112:113], v[114:115], 1.0
	v_fma_f64 v[114:115], v[114:115], v[116:117], v[114:115]
	s_delay_alu instid0(VALU_DEP_1) | instskip(NEXT) | instid1(VALU_DEP_1)
	v_fma_f64 v[116:117], -v[112:113], v[114:115], 1.0
	v_fma_f64 v[114:115], v[114:115], v[116:117], v[114:115]
	s_delay_alu instid0(VALU_DEP_1) | instskip(NEXT) | instid1(VALU_DEP_1)
	v_mul_f64 v[116:117], v[118:119], v[114:115]
	v_fma_f64 v[112:113], -v[112:113], v[116:117], v[118:119]
	s_delay_alu instid0(VALU_DEP_1) | instskip(NEXT) | instid1(VALU_DEP_1)
	v_div_fmas_f64 v[112:113], v[112:113], v[114:115], v[116:117]
	v_div_fixup_f64 v[112:113], v[112:113], v[108:109], v[110:111]
	s_delay_alu instid0(VALU_DEP_1) | instskip(NEXT) | instid1(VALU_DEP_1)
	v_fma_f64 v[108:109], v[110:111], v[112:113], v[108:109]
	v_div_scale_f64 v[110:111], null, v[108:109], v[108:109], 1.0
	s_delay_alu instid0(VALU_DEP_1) | instskip(SKIP_2) | instid1(VALU_DEP_1)
	v_rcp_f64_e32 v[114:115], v[110:111]
	s_waitcnt_depctr 0xfff
	v_fma_f64 v[116:117], -v[110:111], v[114:115], 1.0
	v_fma_f64 v[114:115], v[114:115], v[116:117], v[114:115]
	s_delay_alu instid0(VALU_DEP_1) | instskip(NEXT) | instid1(VALU_DEP_1)
	v_fma_f64 v[116:117], -v[110:111], v[114:115], 1.0
	v_fma_f64 v[114:115], v[114:115], v[116:117], v[114:115]
	v_div_scale_f64 v[116:117], vcc_lo, 1.0, v[108:109], 1.0
	s_delay_alu instid0(VALU_DEP_1) | instskip(NEXT) | instid1(VALU_DEP_1)
	v_mul_f64 v[118:119], v[116:117], v[114:115]
	v_fma_f64 v[110:111], -v[110:111], v[118:119], v[116:117]
	s_delay_alu instid0(VALU_DEP_1) | instskip(NEXT) | instid1(VALU_DEP_1)
	v_div_fmas_f64 v[110:111], v[110:111], v[114:115], v[118:119]
	v_div_fixup_f64 v[116:117], v[110:111], v[108:109], 1.0
	s_delay_alu instid0(VALU_DEP_1)
	v_mul_f64 v[114:115], v[112:113], -v[116:117]
.LBB29_115:
	s_or_b32 exec_lo, exec_lo, s3
	ds_store_2addr_b64 v155, v[116:117], v[114:115] offset1:1
.LBB29_116:
	s_or_b32 exec_lo, exec_lo, s4
	s_waitcnt lgkmcnt(0)
	s_barrier
	buffer_gl0_inv
	ds_load_2addr_b64 v[108:111], v155 offset1:1
	s_mov_b32 s3, exec_lo
	v_cmpx_lt_u32_e32 12, v154
	s_cbranch_execz .LBB29_118
; %bb.117:
	s_waitcnt lgkmcnt(0)
	v_mul_f64 v[112:113], v[108:109], v[10:11]
	v_mul_f64 v[10:11], v[110:111], v[10:11]
	s_delay_alu instid0(VALU_DEP_2)
	v_fma_f64 v[152:153], v[110:111], v[8:9], v[112:113]
	ds_load_2addr_b64 v[112:115], v156 offset0:26 offset1:27
	ds_load_2addr_b64 v[116:119], v156 offset0:28 offset1:29
	v_fma_f64 v[8:9], v[108:109], v[8:9], -v[10:11]
	s_waitcnt lgkmcnt(1)
	v_mul_f64 v[10:11], v[114:115], v[152:153]
	v_mul_f64 v[157:158], v[112:113], v[152:153]
	s_waitcnt lgkmcnt(0)
	v_mul_f64 v[159:160], v[118:119], v[152:153]
	v_mul_f64 v[161:162], v[116:117], v[152:153]
	s_delay_alu instid0(VALU_DEP_4) | instskip(NEXT) | instid1(VALU_DEP_4)
	v_fma_f64 v[10:11], v[112:113], v[8:9], -v[10:11]
	v_fma_f64 v[112:113], v[114:115], v[8:9], v[157:158]
	s_delay_alu instid0(VALU_DEP_4) | instskip(NEXT) | instid1(VALU_DEP_4)
	v_fma_f64 v[114:115], v[116:117], v[8:9], -v[159:160]
	v_fma_f64 v[116:117], v[118:119], v[8:9], v[161:162]
	s_delay_alu instid0(VALU_DEP_4) | instskip(NEXT) | instid1(VALU_DEP_4)
	v_add_f64 v[4:5], v[4:5], -v[10:11]
	v_add_f64 v[6:7], v[6:7], -v[112:113]
	s_delay_alu instid0(VALU_DEP_4) | instskip(NEXT) | instid1(VALU_DEP_4)
	v_add_f64 v[0:1], v[0:1], -v[114:115]
	v_add_f64 v[2:3], v[2:3], -v[116:117]
	v_dual_mov_b32 v10, v152 :: v_dual_mov_b32 v11, v153
.LBB29_118:
	s_or_b32 exec_lo, exec_lo, s3
	s_delay_alu instid0(SALU_CYCLE_1)
	s_mov_b32 s4, exec_lo
	s_waitcnt lgkmcnt(0)
	s_barrier
	buffer_gl0_inv
	v_cmpx_eq_u32_e32 13, v154
	s_cbranch_execz .LBB29_125
; %bb.119:
	ds_store_2addr_b64 v155, v[4:5], v[6:7] offset1:1
	ds_store_2addr_b64 v156, v[0:1], v[2:3] offset0:28 offset1:29
	ds_load_2addr_b64 v[112:115], v155 offset1:1
	s_waitcnt lgkmcnt(0)
	v_cmp_neq_f64_e32 vcc_lo, 0, v[112:113]
	v_cmp_neq_f64_e64 s3, 0, v[114:115]
	s_delay_alu instid0(VALU_DEP_1) | instskip(NEXT) | instid1(SALU_CYCLE_1)
	s_or_b32 s3, vcc_lo, s3
	s_and_b32 exec_lo, exec_lo, s3
	s_cbranch_execz .LBB29_125
; %bb.120:
	v_cmp_gt_f64_e32 vcc_lo, 0, v[112:113]
	v_cmp_gt_f64_e64 s3, 0, v[114:115]
	v_xor_b32_e32 v116, 0x80000000, v113
	v_xor_b32_e32 v118, 0x80000000, v115
                                        ; implicit-def: $vgpr152_vgpr153
	s_delay_alu instid0(VALU_DEP_2) | instskip(NEXT) | instid1(VALU_DEP_2)
	v_cndmask_b32_e32 v117, v113, v116, vcc_lo
	v_cndmask_b32_e64 v119, v115, v118, s3
	v_cndmask_b32_e32 v116, v112, v112, vcc_lo
	v_cndmask_b32_e64 v118, v114, v114, s3
	s_mov_b32 s3, exec_lo
	s_delay_alu instid0(VALU_DEP_1)
	v_cmpx_ngt_f64_e32 v[116:117], v[118:119]
	s_xor_b32 s3, exec_lo, s3
                                        ; implicit-def: $vgpr116_vgpr117_vgpr118_vgpr119
	s_cbranch_execz .LBB29_122
; %bb.121:
	v_div_scale_f64 v[116:117], null, v[114:115], v[114:115], v[112:113]
	v_div_scale_f64 v[157:158], vcc_lo, v[112:113], v[114:115], v[112:113]
	s_delay_alu instid0(VALU_DEP_2) | instskip(SKIP_2) | instid1(VALU_DEP_1)
	v_rcp_f64_e32 v[118:119], v[116:117]
	s_waitcnt_depctr 0xfff
	v_fma_f64 v[152:153], -v[116:117], v[118:119], 1.0
	v_fma_f64 v[118:119], v[118:119], v[152:153], v[118:119]
	s_delay_alu instid0(VALU_DEP_1) | instskip(NEXT) | instid1(VALU_DEP_1)
	v_fma_f64 v[152:153], -v[116:117], v[118:119], 1.0
	v_fma_f64 v[118:119], v[118:119], v[152:153], v[118:119]
	s_delay_alu instid0(VALU_DEP_1) | instskip(NEXT) | instid1(VALU_DEP_1)
	v_mul_f64 v[152:153], v[157:158], v[118:119]
	v_fma_f64 v[116:117], -v[116:117], v[152:153], v[157:158]
	s_delay_alu instid0(VALU_DEP_1) | instskip(NEXT) | instid1(VALU_DEP_1)
	v_div_fmas_f64 v[116:117], v[116:117], v[118:119], v[152:153]
	v_div_fixup_f64 v[116:117], v[116:117], v[114:115], v[112:113]
	s_delay_alu instid0(VALU_DEP_1) | instskip(NEXT) | instid1(VALU_DEP_1)
	v_fma_f64 v[112:113], v[112:113], v[116:117], v[114:115]
	v_div_scale_f64 v[114:115], null, v[112:113], v[112:113], 1.0
	s_delay_alu instid0(VALU_DEP_1) | instskip(SKIP_2) | instid1(VALU_DEP_1)
	v_rcp_f64_e32 v[118:119], v[114:115]
	s_waitcnt_depctr 0xfff
	v_fma_f64 v[152:153], -v[114:115], v[118:119], 1.0
	v_fma_f64 v[118:119], v[118:119], v[152:153], v[118:119]
	s_delay_alu instid0(VALU_DEP_1) | instskip(NEXT) | instid1(VALU_DEP_1)
	v_fma_f64 v[152:153], -v[114:115], v[118:119], 1.0
	v_fma_f64 v[118:119], v[118:119], v[152:153], v[118:119]
	v_div_scale_f64 v[152:153], vcc_lo, 1.0, v[112:113], 1.0
	s_delay_alu instid0(VALU_DEP_1) | instskip(NEXT) | instid1(VALU_DEP_1)
	v_mul_f64 v[157:158], v[152:153], v[118:119]
	v_fma_f64 v[114:115], -v[114:115], v[157:158], v[152:153]
	s_delay_alu instid0(VALU_DEP_1) | instskip(NEXT) | instid1(VALU_DEP_1)
	v_div_fmas_f64 v[114:115], v[114:115], v[118:119], v[157:158]
	v_div_fixup_f64 v[118:119], v[114:115], v[112:113], 1.0
                                        ; implicit-def: $vgpr112_vgpr113
	s_delay_alu instid0(VALU_DEP_1)
	v_mul_f64 v[152:153], v[116:117], v[118:119]
	v_xor_b32_e32 v119, 0x80000000, v119
.LBB29_122:
	s_and_not1_saveexec_b32 s3, s3
	s_cbranch_execz .LBB29_124
; %bb.123:
	v_div_scale_f64 v[116:117], null, v[112:113], v[112:113], v[114:115]
	v_div_scale_f64 v[157:158], vcc_lo, v[114:115], v[112:113], v[114:115]
	s_delay_alu instid0(VALU_DEP_2) | instskip(SKIP_2) | instid1(VALU_DEP_1)
	v_rcp_f64_e32 v[118:119], v[116:117]
	s_waitcnt_depctr 0xfff
	v_fma_f64 v[152:153], -v[116:117], v[118:119], 1.0
	v_fma_f64 v[118:119], v[118:119], v[152:153], v[118:119]
	s_delay_alu instid0(VALU_DEP_1) | instskip(NEXT) | instid1(VALU_DEP_1)
	v_fma_f64 v[152:153], -v[116:117], v[118:119], 1.0
	v_fma_f64 v[118:119], v[118:119], v[152:153], v[118:119]
	s_delay_alu instid0(VALU_DEP_1) | instskip(NEXT) | instid1(VALU_DEP_1)
	v_mul_f64 v[152:153], v[157:158], v[118:119]
	v_fma_f64 v[116:117], -v[116:117], v[152:153], v[157:158]
	s_delay_alu instid0(VALU_DEP_1) | instskip(NEXT) | instid1(VALU_DEP_1)
	v_div_fmas_f64 v[116:117], v[116:117], v[118:119], v[152:153]
	v_div_fixup_f64 v[116:117], v[116:117], v[112:113], v[114:115]
	s_delay_alu instid0(VALU_DEP_1) | instskip(NEXT) | instid1(VALU_DEP_1)
	v_fma_f64 v[112:113], v[114:115], v[116:117], v[112:113]
	v_div_scale_f64 v[114:115], null, v[112:113], v[112:113], 1.0
	s_delay_alu instid0(VALU_DEP_1) | instskip(SKIP_2) | instid1(VALU_DEP_1)
	v_rcp_f64_e32 v[118:119], v[114:115]
	s_waitcnt_depctr 0xfff
	v_fma_f64 v[152:153], -v[114:115], v[118:119], 1.0
	v_fma_f64 v[118:119], v[118:119], v[152:153], v[118:119]
	s_delay_alu instid0(VALU_DEP_1) | instskip(NEXT) | instid1(VALU_DEP_1)
	v_fma_f64 v[152:153], -v[114:115], v[118:119], 1.0
	v_fma_f64 v[118:119], v[118:119], v[152:153], v[118:119]
	v_div_scale_f64 v[152:153], vcc_lo, 1.0, v[112:113], 1.0
	s_delay_alu instid0(VALU_DEP_1) | instskip(NEXT) | instid1(VALU_DEP_1)
	v_mul_f64 v[157:158], v[152:153], v[118:119]
	v_fma_f64 v[114:115], -v[114:115], v[157:158], v[152:153]
	s_delay_alu instid0(VALU_DEP_1) | instskip(NEXT) | instid1(VALU_DEP_1)
	v_div_fmas_f64 v[114:115], v[114:115], v[118:119], v[157:158]
	v_div_fixup_f64 v[152:153], v[114:115], v[112:113], 1.0
	s_delay_alu instid0(VALU_DEP_1)
	v_mul_f64 v[118:119], v[116:117], -v[152:153]
.LBB29_124:
	s_or_b32 exec_lo, exec_lo, s3
	ds_store_2addr_b64 v155, v[152:153], v[118:119] offset1:1
.LBB29_125:
	s_or_b32 exec_lo, exec_lo, s4
	s_waitcnt lgkmcnt(0)
	s_barrier
	buffer_gl0_inv
	ds_load_2addr_b64 v[112:115], v155 offset1:1
	s_mov_b32 s3, exec_lo
	v_cmpx_lt_u32_e32 13, v154
	s_cbranch_execz .LBB29_127
; %bb.126:
	s_waitcnt lgkmcnt(0)
	v_mul_f64 v[116:117], v[112:113], v[6:7]
	v_mul_f64 v[6:7], v[114:115], v[6:7]
	s_delay_alu instid0(VALU_DEP_2)
	v_fma_f64 v[152:153], v[114:115], v[4:5], v[116:117]
	ds_load_2addr_b64 v[116:119], v156 offset0:28 offset1:29
	v_fma_f64 v[4:5], v[112:113], v[4:5], -v[6:7]
	s_waitcnt lgkmcnt(0)
	v_mul_f64 v[6:7], v[118:119], v[152:153]
	v_mul_f64 v[156:157], v[116:117], v[152:153]
	s_delay_alu instid0(VALU_DEP_2) | instskip(NEXT) | instid1(VALU_DEP_2)
	v_fma_f64 v[6:7], v[116:117], v[4:5], -v[6:7]
	v_fma_f64 v[116:117], v[118:119], v[4:5], v[156:157]
	s_delay_alu instid0(VALU_DEP_2) | instskip(NEXT) | instid1(VALU_DEP_2)
	v_add_f64 v[0:1], v[0:1], -v[6:7]
	v_add_f64 v[2:3], v[2:3], -v[116:117]
	v_dual_mov_b32 v6, v152 :: v_dual_mov_b32 v7, v153
.LBB29_127:
	s_or_b32 exec_lo, exec_lo, s3
	s_delay_alu instid0(SALU_CYCLE_1)
	s_mov_b32 s4, exec_lo
	s_waitcnt lgkmcnt(0)
	s_barrier
	buffer_gl0_inv
	v_cmpx_eq_u32_e32 14, v154
	s_cbranch_execz .LBB29_134
; %bb.128:
	v_cmp_neq_f64_e32 vcc_lo, 0, v[0:1]
	v_cmp_neq_f64_e64 s3, 0, v[2:3]
	ds_store_2addr_b64 v155, v[0:1], v[2:3] offset1:1
	s_or_b32 s3, vcc_lo, s3
	s_delay_alu instid0(SALU_CYCLE_1)
	s_and_b32 exec_lo, exec_lo, s3
	s_cbranch_execz .LBB29_134
; %bb.129:
	v_cmp_gt_f64_e32 vcc_lo, 0, v[0:1]
	v_cmp_gt_f64_e64 s3, 0, v[2:3]
	v_xor_b32_e32 v116, 0x80000000, v1
	v_xor_b32_e32 v118, 0x80000000, v3
                                        ; implicit-def: $vgpr152_vgpr153
	s_delay_alu instid0(VALU_DEP_2) | instskip(NEXT) | instid1(VALU_DEP_2)
	v_cndmask_b32_e32 v117, v1, v116, vcc_lo
	v_cndmask_b32_e64 v119, v3, v118, s3
	v_cndmask_b32_e32 v116, v0, v0, vcc_lo
	v_cndmask_b32_e64 v118, v2, v2, s3
	s_mov_b32 s3, exec_lo
	s_delay_alu instid0(VALU_DEP_1)
	v_cmpx_ngt_f64_e32 v[116:117], v[118:119]
	s_xor_b32 s3, exec_lo, s3
                                        ; implicit-def: $vgpr116_vgpr117_vgpr118_vgpr119
	s_cbranch_execz .LBB29_131
; %bb.130:
	v_div_scale_f64 v[116:117], null, v[2:3], v[2:3], v[0:1]
	v_div_scale_f64 v[156:157], vcc_lo, v[0:1], v[2:3], v[0:1]
	s_delay_alu instid0(VALU_DEP_2) | instskip(SKIP_2) | instid1(VALU_DEP_1)
	v_rcp_f64_e32 v[118:119], v[116:117]
	s_waitcnt_depctr 0xfff
	v_fma_f64 v[152:153], -v[116:117], v[118:119], 1.0
	v_fma_f64 v[118:119], v[118:119], v[152:153], v[118:119]
	s_delay_alu instid0(VALU_DEP_1) | instskip(NEXT) | instid1(VALU_DEP_1)
	v_fma_f64 v[152:153], -v[116:117], v[118:119], 1.0
	v_fma_f64 v[118:119], v[118:119], v[152:153], v[118:119]
	s_delay_alu instid0(VALU_DEP_1) | instskip(NEXT) | instid1(VALU_DEP_1)
	v_mul_f64 v[152:153], v[156:157], v[118:119]
	v_fma_f64 v[116:117], -v[116:117], v[152:153], v[156:157]
	s_delay_alu instid0(VALU_DEP_1) | instskip(NEXT) | instid1(VALU_DEP_1)
	v_div_fmas_f64 v[116:117], v[116:117], v[118:119], v[152:153]
	v_div_fixup_f64 v[116:117], v[116:117], v[2:3], v[0:1]
	s_delay_alu instid0(VALU_DEP_1) | instskip(NEXT) | instid1(VALU_DEP_1)
	v_fma_f64 v[118:119], v[0:1], v[116:117], v[2:3]
	v_div_scale_f64 v[152:153], null, v[118:119], v[118:119], 1.0
	s_delay_alu instid0(VALU_DEP_1) | instskip(SKIP_2) | instid1(VALU_DEP_1)
	v_rcp_f64_e32 v[156:157], v[152:153]
	s_waitcnt_depctr 0xfff
	v_fma_f64 v[158:159], -v[152:153], v[156:157], 1.0
	v_fma_f64 v[156:157], v[156:157], v[158:159], v[156:157]
	s_delay_alu instid0(VALU_DEP_1) | instskip(NEXT) | instid1(VALU_DEP_1)
	v_fma_f64 v[158:159], -v[152:153], v[156:157], 1.0
	v_fma_f64 v[156:157], v[156:157], v[158:159], v[156:157]
	v_div_scale_f64 v[158:159], vcc_lo, 1.0, v[118:119], 1.0
	s_delay_alu instid0(VALU_DEP_1) | instskip(NEXT) | instid1(VALU_DEP_1)
	v_mul_f64 v[160:161], v[158:159], v[156:157]
	v_fma_f64 v[152:153], -v[152:153], v[160:161], v[158:159]
	s_delay_alu instid0(VALU_DEP_1) | instskip(NEXT) | instid1(VALU_DEP_1)
	v_div_fmas_f64 v[152:153], v[152:153], v[156:157], v[160:161]
	v_div_fixup_f64 v[118:119], v[152:153], v[118:119], 1.0
	s_delay_alu instid0(VALU_DEP_1)
	v_mul_f64 v[152:153], v[116:117], v[118:119]
	v_xor_b32_e32 v119, 0x80000000, v119
.LBB29_131:
	s_and_not1_saveexec_b32 s3, s3
	s_cbranch_execz .LBB29_133
; %bb.132:
	v_div_scale_f64 v[116:117], null, v[0:1], v[0:1], v[2:3]
	v_div_scale_f64 v[156:157], vcc_lo, v[2:3], v[0:1], v[2:3]
	s_delay_alu instid0(VALU_DEP_2) | instskip(SKIP_2) | instid1(VALU_DEP_1)
	v_rcp_f64_e32 v[118:119], v[116:117]
	s_waitcnt_depctr 0xfff
	v_fma_f64 v[152:153], -v[116:117], v[118:119], 1.0
	v_fma_f64 v[118:119], v[118:119], v[152:153], v[118:119]
	s_delay_alu instid0(VALU_DEP_1) | instskip(NEXT) | instid1(VALU_DEP_1)
	v_fma_f64 v[152:153], -v[116:117], v[118:119], 1.0
	v_fma_f64 v[118:119], v[118:119], v[152:153], v[118:119]
	s_delay_alu instid0(VALU_DEP_1) | instskip(NEXT) | instid1(VALU_DEP_1)
	v_mul_f64 v[152:153], v[156:157], v[118:119]
	v_fma_f64 v[116:117], -v[116:117], v[152:153], v[156:157]
	s_delay_alu instid0(VALU_DEP_1) | instskip(NEXT) | instid1(VALU_DEP_1)
	v_div_fmas_f64 v[116:117], v[116:117], v[118:119], v[152:153]
	v_div_fixup_f64 v[116:117], v[116:117], v[0:1], v[2:3]
	s_delay_alu instid0(VALU_DEP_1) | instskip(NEXT) | instid1(VALU_DEP_1)
	v_fma_f64 v[118:119], v[2:3], v[116:117], v[0:1]
	v_div_scale_f64 v[152:153], null, v[118:119], v[118:119], 1.0
	s_delay_alu instid0(VALU_DEP_1) | instskip(SKIP_2) | instid1(VALU_DEP_1)
	v_rcp_f64_e32 v[156:157], v[152:153]
	s_waitcnt_depctr 0xfff
	v_fma_f64 v[158:159], -v[152:153], v[156:157], 1.0
	v_fma_f64 v[156:157], v[156:157], v[158:159], v[156:157]
	s_delay_alu instid0(VALU_DEP_1) | instskip(NEXT) | instid1(VALU_DEP_1)
	v_fma_f64 v[158:159], -v[152:153], v[156:157], 1.0
	v_fma_f64 v[156:157], v[156:157], v[158:159], v[156:157]
	v_div_scale_f64 v[158:159], vcc_lo, 1.0, v[118:119], 1.0
	s_delay_alu instid0(VALU_DEP_1) | instskip(NEXT) | instid1(VALU_DEP_1)
	v_mul_f64 v[160:161], v[158:159], v[156:157]
	v_fma_f64 v[152:153], -v[152:153], v[160:161], v[158:159]
	s_delay_alu instid0(VALU_DEP_1) | instskip(NEXT) | instid1(VALU_DEP_1)
	v_div_fmas_f64 v[152:153], v[152:153], v[156:157], v[160:161]
	v_div_fixup_f64 v[152:153], v[152:153], v[118:119], 1.0
	s_delay_alu instid0(VALU_DEP_1)
	v_mul_f64 v[118:119], v[116:117], -v[152:153]
.LBB29_133:
	s_or_b32 exec_lo, exec_lo, s3
	ds_store_2addr_b64 v155, v[152:153], v[118:119] offset1:1
.LBB29_134:
	s_or_b32 exec_lo, exec_lo, s4
	s_waitcnt lgkmcnt(0)
	s_barrier
	buffer_gl0_inv
	ds_load_2addr_b64 v[116:119], v155 offset1:1
	s_mov_b32 s3, exec_lo
	v_cmpx_lt_u32_e32 14, v154
	s_cbranch_execz .LBB29_136
; %bb.135:
	s_waitcnt lgkmcnt(0)
	v_mul_f64 v[152:153], v[118:119], v[2:3]
	v_mul_f64 v[2:3], v[116:117], v[2:3]
	s_delay_alu instid0(VALU_DEP_2) | instskip(NEXT) | instid1(VALU_DEP_2)
	v_fma_f64 v[152:153], v[116:117], v[0:1], -v[152:153]
	v_fma_f64 v[2:3], v[118:119], v[0:1], v[2:3]
	s_delay_alu instid0(VALU_DEP_2)
	v_dual_mov_b32 v0, v152 :: v_dual_mov_b32 v1, v153
.LBB29_136:
	s_or_b32 exec_lo, exec_lo, s3
	s_waitcnt lgkmcnt(0)
	s_barrier
	buffer_gl0_inv
	s_and_saveexec_b32 s10, s2
	s_cbranch_execz .LBB29_139
; %bb.137:
	s_load_b64 s[0:1], s[0:1], 0x28
	v_lshlrev_b64 v[120:121], 2, v[120:121]
	v_cmp_neq_f64_e64 s2, 0, v[66:67]
	v_cmp_eq_f64_e64 s3, 0, v[68:69]
	v_cmp_eq_f64_e64 s4, 0, v[70:71]
	;; [unrolled: 1-line block ×6, first 2 shown]
	s_waitcnt lgkmcnt(0)
	v_add_co_u32 v120, vcc_lo, s0, v120
	v_add_co_ci_u32_e32 v121, vcc_lo, s1, v121, vcc_lo
	v_cmp_eq_f64_e32 vcc_lo, 0, v[60:61]
	v_cmp_eq_f64_e64 s0, 0, v[62:63]
	v_cmp_neq_f64_e64 s1, 0, v[64:65]
	global_load_b32 v152, v[120:121], off
	s_and_b32 s0, vcc_lo, s0
	s_or_b32 s1, s1, s2
	v_cndmask_b32_e64 v60, 0, 1, s0
	s_or_b32 vcc_lo, s1, s0
	v_cmp_eq_f64_e64 s0, 0, v[82:83]
	s_and_b32 s2, s3, s4
	s_and_b32 s4, s5, s6
	v_cndmask_b32_e32 v60, 2, v60, vcc_lo
	v_cmp_eq_f64_e32 vcc_lo, 0, v[80:81]
	s_and_b32 s6, s7, s8
	s_delay_alu instid0(VALU_DEP_2) | instskip(NEXT) | instid1(VALU_DEP_1)
	v_cmp_eq_u32_e64 s1, 0, v60
	s_and_b32 s1, s2, s1
	v_cmp_eq_f64_e64 s2, 0, v[86:87]
	v_cndmask_b32_e64 v60, v60, 3, s1
	v_cmp_eq_f64_e64 s1, 0, v[84:85]
	s_delay_alu instid0(VALU_DEP_2) | instskip(NEXT) | instid1(VALU_DEP_1)
	v_cmp_eq_u32_e64 s3, 0, v60
	s_and_b32 s3, s4, s3
	v_cmp_eq_f64_e64 s4, 0, v[90:91]
	v_cndmask_b32_e64 v60, v60, 4, s3
	v_cmp_eq_f64_e64 s3, 0, v[88:89]
	;; [unrolled: 6-line block ×3, first 2 shown]
	s_and_b32 s0, vcc_lo, s0
	v_cmp_eq_f64_e32 vcc_lo, 0, v[96:97]
	s_delay_alu instid0(VALU_DEP_3) | instskip(NEXT) | instid1(VALU_DEP_1)
	v_cmp_eq_u32_e64 s7, 0, v60
	s_and_b32 s0, s0, s7
	s_delay_alu instid0(SALU_CYCLE_1) | instskip(SKIP_3) | instid1(VALU_DEP_3)
	v_cndmask_b32_e64 v60, v60, 6, s0
	v_cmp_eq_f64_e64 s0, 0, v[98:99]
	s_and_b32 s1, s1, s2
	v_cmp_eq_f64_e64 s2, 0, v[102:103]
	v_cmp_eq_u32_e64 s7, 0, v60
	s_delay_alu instid0(VALU_DEP_1) | instskip(NEXT) | instid1(SALU_CYCLE_1)
	s_and_b32 s1, s1, s7
	v_cndmask_b32_e64 v60, v60, 7, s1
	v_cmp_eq_f64_e64 s1, 0, v[100:101]
	s_and_b32 s3, s3, s4
	v_cmp_eq_f64_e64 s4, 0, v[106:107]
	s_delay_alu instid0(VALU_DEP_3) | instskip(NEXT) | instid1(VALU_DEP_1)
	v_cmp_eq_u32_e64 s7, 0, v60
	s_and_b32 s3, s3, s7
	s_delay_alu instid0(SALU_CYCLE_1) | instskip(SKIP_3) | instid1(VALU_DEP_3)
	v_cndmask_b32_e64 v60, v60, 8, s3
	v_cmp_eq_f64_e64 s3, 0, v[104:105]
	s_and_b32 s5, s5, s6
	v_cmp_eq_f64_e64 s6, 0, v[110:111]
	v_cmp_eq_u32_e64 s7, 0, v60
	s_delay_alu instid0(VALU_DEP_1) | instskip(NEXT) | instid1(SALU_CYCLE_1)
	s_and_b32 s5, s5, s7
	v_cndmask_b32_e64 v60, v60, 9, s5
	v_cmp_eq_f64_e64 s5, 0, v[108:109]
	s_and_b32 s0, vcc_lo, s0
	v_cmp_eq_f64_e32 vcc_lo, 0, v[112:113]
	s_delay_alu instid0(VALU_DEP_3) | instskip(NEXT) | instid1(VALU_DEP_1)
	v_cmp_eq_u32_e64 s7, 0, v60
	s_and_b32 s0, s0, s7
	s_delay_alu instid0(SALU_CYCLE_1) | instskip(SKIP_3) | instid1(VALU_DEP_3)
	v_cndmask_b32_e64 v60, v60, 10, s0
	v_cmp_eq_f64_e64 s0, 0, v[114:115]
	s_and_b32 s1, s1, s2
	v_cmp_eq_f64_e64 s2, 0, v[118:119]
	v_cmp_eq_u32_e64 s7, 0, v60
	s_delay_alu instid0(VALU_DEP_1) | instskip(NEXT) | instid1(SALU_CYCLE_1)
	s_and_b32 s1, s1, s7
	v_cndmask_b32_e64 v60, v60, 11, s1
	v_cmp_eq_f64_e64 s1, 0, v[116:117]
	s_and_b32 s3, s3, s4
	s_delay_alu instid0(VALU_DEP_2) | instskip(NEXT) | instid1(VALU_DEP_1)
	v_cmp_eq_u32_e64 s7, 0, v60
	s_and_b32 s3, s3, s7
	s_delay_alu instid0(SALU_CYCLE_1) | instskip(SKIP_1) | instid1(VALU_DEP_1)
	v_cndmask_b32_e64 v60, v60, 12, s3
	s_and_b32 s4, s5, s6
	v_cmp_eq_u32_e64 s3, 0, v60
	s_delay_alu instid0(VALU_DEP_1) | instskip(NEXT) | instid1(SALU_CYCLE_1)
	s_and_b32 s3, s4, s3
	v_cndmask_b32_e64 v60, v60, 13, s3
	s_and_b32 s0, vcc_lo, s0
	s_delay_alu instid0(VALU_DEP_1) | instskip(NEXT) | instid1(VALU_DEP_1)
	v_cmp_eq_u32_e64 s3, 0, v60
	s_and_b32 s0, s0, s3
	s_delay_alu instid0(SALU_CYCLE_1) | instskip(SKIP_1) | instid1(VALU_DEP_1)
	v_cndmask_b32_e64 v60, v60, 14, s0
	s_and_b32 s0, s1, s2
	v_cmp_eq_u32_e32 vcc_lo, 0, v60
	s_and_b32 s0, s0, vcc_lo
	s_delay_alu instid0(SALU_CYCLE_1) | instskip(NEXT) | instid1(VALU_DEP_1)
	v_cndmask_b32_e64 v60, v60, 15, s0
	v_cmp_ne_u32_e64 s0, 0, v60
	s_waitcnt vmcnt(0)
	v_cmp_eq_u32_e32 vcc_lo, 0, v152
	s_delay_alu instid0(VALU_DEP_2) | instskip(NEXT) | instid1(SALU_CYCLE_1)
	s_and_b32 s0, vcc_lo, s0
	s_and_b32 exec_lo, exec_lo, s0
	s_cbranch_execz .LBB29_139
; %bb.138:
	v_add_nc_u32_e32 v60, s9, v60
	global_store_b32 v[120:121], v60, off
.LBB29_139:
	s_or_b32 exec_lo, exec_lo, s10
	s_clause 0xe
	global_store_b128 v[148:149], v[56:59], off
	global_store_b128 v[150:151], v[52:55], off
	;; [unrolled: 1-line block ×15, first 2 shown]
.LBB29_140:
	s_nop 0
	s_sendmsg sendmsg(MSG_DEALLOC_VGPRS)
	s_endpgm
	.section	.rodata,"a",@progbits
	.p2align	6, 0x0
	.amdhsa_kernel _ZN9rocsolver6v33100L23getf2_npvt_small_kernelILi15E19rocblas_complex_numIdEiiPKPS3_EEvT1_T3_lS7_lPT2_S7_S7_
		.amdhsa_group_segment_fixed_size 0
		.amdhsa_private_segment_fixed_size 0
		.amdhsa_kernarg_size 312
		.amdhsa_user_sgpr_count 14
		.amdhsa_user_sgpr_dispatch_ptr 0
		.amdhsa_user_sgpr_queue_ptr 0
		.amdhsa_user_sgpr_kernarg_segment_ptr 1
		.amdhsa_user_sgpr_dispatch_id 0
		.amdhsa_user_sgpr_private_segment_size 0
		.amdhsa_wavefront_size32 1
		.amdhsa_uses_dynamic_stack 0
		.amdhsa_enable_private_segment 0
		.amdhsa_system_sgpr_workgroup_id_x 1
		.amdhsa_system_sgpr_workgroup_id_y 1
		.amdhsa_system_sgpr_workgroup_id_z 0
		.amdhsa_system_sgpr_workgroup_info 0
		.amdhsa_system_vgpr_workitem_id 1
		.amdhsa_next_free_vgpr 211
		.amdhsa_next_free_sgpr 16
		.amdhsa_reserve_vcc 1
		.amdhsa_float_round_mode_32 0
		.amdhsa_float_round_mode_16_64 0
		.amdhsa_float_denorm_mode_32 3
		.amdhsa_float_denorm_mode_16_64 3
		.amdhsa_dx10_clamp 1
		.amdhsa_ieee_mode 1
		.amdhsa_fp16_overflow 0
		.amdhsa_workgroup_processor_mode 1
		.amdhsa_memory_ordered 1
		.amdhsa_forward_progress 0
		.amdhsa_shared_vgpr_count 0
		.amdhsa_exception_fp_ieee_invalid_op 0
		.amdhsa_exception_fp_denorm_src 0
		.amdhsa_exception_fp_ieee_div_zero 0
		.amdhsa_exception_fp_ieee_overflow 0
		.amdhsa_exception_fp_ieee_underflow 0
		.amdhsa_exception_fp_ieee_inexact 0
		.amdhsa_exception_int_div_zero 0
	.end_amdhsa_kernel
	.section	.text._ZN9rocsolver6v33100L23getf2_npvt_small_kernelILi15E19rocblas_complex_numIdEiiPKPS3_EEvT1_T3_lS7_lPT2_S7_S7_,"axG",@progbits,_ZN9rocsolver6v33100L23getf2_npvt_small_kernelILi15E19rocblas_complex_numIdEiiPKPS3_EEvT1_T3_lS7_lPT2_S7_S7_,comdat
.Lfunc_end29:
	.size	_ZN9rocsolver6v33100L23getf2_npvt_small_kernelILi15E19rocblas_complex_numIdEiiPKPS3_EEvT1_T3_lS7_lPT2_S7_S7_, .Lfunc_end29-_ZN9rocsolver6v33100L23getf2_npvt_small_kernelILi15E19rocblas_complex_numIdEiiPKPS3_EEvT1_T3_lS7_lPT2_S7_S7_
                                        ; -- End function
	.section	.AMDGPU.csdata,"",@progbits
; Kernel info:
; codeLenInByte = 19892
; NumSgprs: 18
; NumVgprs: 211
; ScratchSize: 0
; MemoryBound: 1
; FloatMode: 240
; IeeeMode: 1
; LDSByteSize: 0 bytes/workgroup (compile time only)
; SGPRBlocks: 2
; VGPRBlocks: 26
; NumSGPRsForWavesPerEU: 18
; NumVGPRsForWavesPerEU: 211
; Occupancy: 7
; WaveLimiterHint : 1
; COMPUTE_PGM_RSRC2:SCRATCH_EN: 0
; COMPUTE_PGM_RSRC2:USER_SGPR: 14
; COMPUTE_PGM_RSRC2:TRAP_HANDLER: 0
; COMPUTE_PGM_RSRC2:TGID_X_EN: 1
; COMPUTE_PGM_RSRC2:TGID_Y_EN: 1
; COMPUTE_PGM_RSRC2:TGID_Z_EN: 0
; COMPUTE_PGM_RSRC2:TIDIG_COMP_CNT: 1
	.section	.text._ZN9rocsolver6v33100L18getf2_small_kernelILi16E19rocblas_complex_numIdEiiPKPS3_EEvT1_T3_lS7_lPS7_llPT2_S7_S7_S9_l,"axG",@progbits,_ZN9rocsolver6v33100L18getf2_small_kernelILi16E19rocblas_complex_numIdEiiPKPS3_EEvT1_T3_lS7_lPS7_llPT2_S7_S7_S9_l,comdat
	.globl	_ZN9rocsolver6v33100L18getf2_small_kernelILi16E19rocblas_complex_numIdEiiPKPS3_EEvT1_T3_lS7_lPS7_llPT2_S7_S7_S9_l ; -- Begin function _ZN9rocsolver6v33100L18getf2_small_kernelILi16E19rocblas_complex_numIdEiiPKPS3_EEvT1_T3_lS7_lPS7_llPT2_S7_S7_S9_l
	.p2align	8
	.type	_ZN9rocsolver6v33100L18getf2_small_kernelILi16E19rocblas_complex_numIdEiiPKPS3_EEvT1_T3_lS7_lPS7_llPT2_S7_S7_S9_l,@function
_ZN9rocsolver6v33100L18getf2_small_kernelILi16E19rocblas_complex_numIdEiiPKPS3_EEvT1_T3_lS7_lPS7_llPT2_S7_S7_S9_l: ; @_ZN9rocsolver6v33100L18getf2_small_kernelILi16E19rocblas_complex_numIdEiiPKPS3_EEvT1_T3_lS7_lPS7_llPT2_S7_S7_S9_l
; %bb.0:
	s_clause 0x1
	s_load_b32 s2, s[0:1], 0x6c
	s_load_b64 s[12:13], s[0:1], 0x48
	v_bfe_u32 v64, v0, 10, 10
	s_waitcnt lgkmcnt(0)
	s_lshr_b32 s2, s2, 16
	s_delay_alu instid0(VALU_DEP_1) | instid1(SALU_CYCLE_1)
	v_mad_u64_u32 v[68:69], null, s15, s2, v[64:65]
	s_mov_b32 s2, exec_lo
	s_delay_alu instid0(VALU_DEP_1)
	v_cmpx_gt_i32_e64 s12, v68
	s_cbranch_execz .LBB30_339
; %bb.1:
	s_clause 0x1
	s_load_b128 s[4:7], s[0:1], 0x8
	s_load_b128 s[8:11], s[0:1], 0x50
	v_ashrrev_i32_e32 v69, 31, v68
	v_mov_b32_e32 v70, 0
	v_mov_b32_e32 v71, 0
	s_delay_alu instid0(VALU_DEP_3) | instskip(SKIP_1) | instid1(VALU_DEP_1)
	v_lshlrev_b64 v[1:2], 3, v[68:69]
	s_waitcnt lgkmcnt(0)
	v_add_co_u32 v1, vcc_lo, s4, v1
	s_delay_alu instid0(VALU_DEP_2)
	v_add_co_ci_u32_e32 v2, vcc_lo, s5, v2, vcc_lo
	s_cmp_eq_u64 s[8:9], 0
	s_cselect_b32 s4, -1, 0
	global_load_b64 v[1:2], v[1:2], off
	s_and_b32 vcc_lo, exec_lo, s4
	s_cbranch_vccnz .LBB30_3
; %bb.2:
	v_mul_lo_u32 v5, v69, s10
	v_mul_lo_u32 v6, v68, s11
	v_mad_u64_u32 v[3:4], null, v68, s10, 0
	s_delay_alu instid0(VALU_DEP_1) | instskip(NEXT) | instid1(VALU_DEP_1)
	v_add3_u32 v4, v4, v6, v5
	v_lshlrev_b64 v[3:4], 2, v[3:4]
	s_delay_alu instid0(VALU_DEP_1) | instskip(NEXT) | instid1(VALU_DEP_2)
	v_add_co_u32 v70, vcc_lo, s8, v3
	v_add_co_ci_u32_e32 v71, vcc_lo, s9, v4, vcc_lo
.LBB30_3:
	s_clause 0x1
	s_load_b32 s8, s[0:1], 0x18
	s_load_b32 s5, s[0:1], 0x0
	v_and_b32_e32 v77, 0x3ff, v0
	s_lshl_b64 s[2:3], s[6:7], 4
	s_waitcnt vmcnt(0)
	v_add_co_u32 v75, vcc_lo, v1, s2
	s_delay_alu instid0(VALU_DEP_2) | instskip(SKIP_1) | instid1(VALU_DEP_2)
	v_lshlrev_b32_e32 v67, 4, v77
	v_add_co_ci_u32_e32 v76, vcc_lo, s3, v2, vcc_lo
	v_add_co_u32 v2, vcc_lo, v75, v67
	s_delay_alu instid0(VALU_DEP_2)
	v_add_co_ci_u32_e32 v3, vcc_lo, 0, v76, vcc_lo
	s_waitcnt lgkmcnt(0)
	v_add3_u32 v0, s8, s8, v77
	s_ashr_i32 s9, s8, 31
	s_max_i32 s2, s5, 16
	s_lshl_b64 s[10:11], s[8:9], 4
	s_cmp_lt_i32 s5, 2
	v_add_nc_u32_e32 v4, s8, v0
	v_add_co_u32 v6, vcc_lo, v2, s10
	v_add_co_ci_u32_e32 v7, vcc_lo, s11, v3, vcc_lo
	s_delay_alu instid0(VALU_DEP_3)
	v_ashrrev_i32_e32 v5, 31, v4
	v_add_nc_u32_e32 v8, s8, v4
	v_ashrrev_i32_e32 v1, 31, v0
	s_clause 0x1
	global_load_b128 v[60:63], v[2:3], off
	global_load_b128 v[40:43], v[6:7], off
	v_lshlrev_b64 v[2:3], 4, v[4:5]
	v_ashrrev_i32_e32 v9, 31, v8
	v_add_nc_u32_e32 v4, s8, v8
	v_lshlrev_b64 v[0:1], 4, v[0:1]
	s_delay_alu instid0(VALU_DEP_3) | instskip(NEXT) | instid1(VALU_DEP_3)
	v_lshlrev_b64 v[6:7], 4, v[8:9]
	v_add_nc_u32_e32 v8, s8, v4
	v_ashrrev_i32_e32 v5, 31, v4
	s_delay_alu instid0(VALU_DEP_4) | instskip(SKIP_1) | instid1(VALU_DEP_4)
	v_add_co_u32 v0, vcc_lo, v75, v0
	v_add_co_ci_u32_e32 v1, vcc_lo, v76, v1, vcc_lo
	v_add_nc_u32_e32 v10, s8, v8
	v_add_co_u32 v2, vcc_lo, v75, v2
	v_ashrrev_i32_e32 v9, 31, v8
	v_add_co_ci_u32_e32 v3, vcc_lo, v76, v3, vcc_lo
	v_lshlrev_b64 v[4:5], 4, v[4:5]
	v_ashrrev_i32_e32 v11, 31, v10
	s_clause 0x1
	global_load_b128 v[56:59], v[0:1], off
	global_load_b128 v[52:55], v[2:3], off
	v_add_co_u32 v0, vcc_lo, v75, v6
	v_lshlrev_b64 v[2:3], 4, v[8:9]
	v_add_nc_u32_e32 v8, s8, v10
	v_add_co_ci_u32_e32 v1, vcc_lo, v76, v7, vcc_lo
	v_add_co_u32 v4, vcc_lo, v75, v4
	v_lshlrev_b64 v[6:7], 4, v[10:11]
	v_add_co_ci_u32_e32 v5, vcc_lo, v76, v5, vcc_lo
	v_add_nc_u32_e32 v10, s8, v8
	v_add_co_u32 v2, vcc_lo, v75, v2
	v_ashrrev_i32_e32 v9, 31, v8
	v_add_co_ci_u32_e32 v3, vcc_lo, v76, v3, vcc_lo
	v_add_co_u32 v6, vcc_lo, v75, v6
	v_ashrrev_i32_e32 v11, 31, v10
	v_add_co_ci_u32_e32 v7, vcc_lo, v76, v7, vcc_lo
	s_clause 0x1
	global_load_b128 v[48:51], v[0:1], off
	global_load_b128 v[44:47], v[4:5], off
	v_lshlrev_b64 v[0:1], 4, v[8:9]
	v_add_nc_u32_e32 v4, s8, v10
	s_clause 0x1
	global_load_b128 v[28:31], v[2:3], off
	global_load_b128 v[24:27], v[6:7], off
	v_lshlrev_b64 v[2:3], 4, v[10:11]
	v_add_nc_u32_e32 v6, s8, v4
	v_add_co_u32 v0, vcc_lo, v75, v0
	v_add_co_ci_u32_e32 v1, vcc_lo, v76, v1, vcc_lo
	s_delay_alu instid0(VALU_DEP_4) | instskip(NEXT) | instid1(VALU_DEP_4)
	v_add_co_u32 v2, vcc_lo, v75, v2
	v_add_nc_u32_e32 v8, s8, v6
	v_add_co_ci_u32_e32 v3, vcc_lo, v76, v3, vcc_lo
	v_ashrrev_i32_e32 v5, 31, v4
	v_ashrrev_i32_e32 v7, 31, v6
	s_clause 0x1
	global_load_b128 v[36:39], v[0:1], off
	global_load_b128 v[20:23], v[2:3], off
	v_ashrrev_i32_e32 v9, 31, v8
	v_add_nc_u32_e32 v2, s8, v8
	v_lshlrev_b64 v[4:5], 4, v[4:5]
	v_lshlrev_b64 v[0:1], 4, v[6:7]
	s_delay_alu instid0(VALU_DEP_4) | instskip(NEXT) | instid1(VALU_DEP_4)
	v_lshlrev_b64 v[6:7], 4, v[8:9]
	v_add_nc_u32_e32 v8, s8, v2
	v_ashrrev_i32_e32 v3, 31, v2
	v_add_co_u32 v4, vcc_lo, v75, v4
	v_add_co_ci_u32_e32 v5, vcc_lo, v76, v5, vcc_lo
	s_delay_alu instid0(VALU_DEP_4) | instskip(SKIP_3) | instid1(VALU_DEP_4)
	v_add_nc_u32_e32 v10, s8, v8
	v_ashrrev_i32_e32 v9, 31, v8
	v_add_co_u32 v0, vcc_lo, v75, v0
	v_lshlrev_b64 v[2:3], 4, v[2:3]
	v_ashrrev_i32_e32 v11, 31, v10
	v_add_co_ci_u32_e32 v1, vcc_lo, v76, v1, vcc_lo
	v_add_co_u32 v6, vcc_lo, v75, v6
	v_lshlrev_b64 v[8:9], 4, v[8:9]
	v_add_co_ci_u32_e32 v7, vcc_lo, v76, v7, vcc_lo
	v_add_co_u32 v2, vcc_lo, v75, v2
	v_lshlrev_b64 v[10:11], 4, v[10:11]
	v_add_co_ci_u32_e32 v3, vcc_lo, v76, v3, vcc_lo
	v_add_co_u32 v65, vcc_lo, v75, v8
	v_add_co_ci_u32_e32 v66, vcc_lo, v76, v9, vcc_lo
	s_delay_alu instid0(VALU_DEP_4)
	v_add_co_u32 v72, vcc_lo, v75, v10
	v_add_co_ci_u32_e32 v73, vcc_lo, v76, v11, vcc_lo
	s_clause 0x5
	global_load_b128 v[32:35], v[4:5], off
	global_load_b128 v[16:19], v[0:1], off
	;; [unrolled: 1-line block ×6, first 2 shown]
	v_mov_b32_e32 v72, 0
	v_mul_lo_u32 v73, s2, v64
	s_delay_alu instid0(VALU_DEP_1) | instskip(SKIP_1) | instid1(VALU_DEP_2)
	v_lshl_add_u32 v74, v73, 4, 0
	v_lshlrev_b32_e32 v79, 4, v73
	v_add_nc_u32_e32 v64, v74, v67
	s_waitcnt vmcnt(15)
	ds_store_2addr_b64 v64, v[60:61], v[62:63] offset1:1
	s_waitcnt vmcnt(0) lgkmcnt(0)
	s_barrier
	buffer_gl0_inv
	ds_load_2addr_b64 v[64:67], v74 offset1:1
	s_cbranch_scc1 .LBB30_6
; %bb.4:
	v_add3_u32 v73, v79, 0, 16
	v_mov_b32_e32 v72, 0
	s_mov_b32 s6, 1
	s_set_inst_prefetch_distance 0x1
	.p2align	6
.LBB30_5:                               ; =>This Inner Loop Header: Depth=1
	ds_load_2addr_b64 v[80:83], v73 offset1:1
	s_waitcnt lgkmcnt(1)
	v_cmp_gt_f64_e32 vcc_lo, 0, v[64:65]
	v_xor_b32_e32 v78, 0x80000000, v65
	v_cmp_gt_f64_e64 s2, 0, v[66:67]
	v_xor_b32_e32 v84, 0x80000000, v67
	v_add_nc_u32_e32 v73, 16, v73
	s_waitcnt lgkmcnt(0)
	v_cmp_gt_f64_e64 s3, 0, v[80:81]
	v_mov_b32_e32 v88, v80
	v_dual_mov_b32 v90, v82 :: v_dual_cndmask_b32 v85, v65, v78
	v_xor_b32_e32 v78, 0x80000000, v81
	v_cndmask_b32_e64 v87, v67, v84, s2
	v_xor_b32_e32 v84, 0x80000000, v83
	v_cndmask_b32_e64 v86, v66, v66, s2
	s_delay_alu instid0(VALU_DEP_4) | instskip(SKIP_1) | instid1(VALU_DEP_1)
	v_cndmask_b32_e64 v89, v81, v78, s3
	v_cmp_gt_f64_e64 s3, 0, v[82:83]
	v_cndmask_b32_e64 v91, v83, v84, s3
	v_cndmask_b32_e32 v84, v64, v64, vcc_lo
	s_delay_alu instid0(VALU_DEP_2) | instskip(NEXT) | instid1(VALU_DEP_2)
	v_add_f64 v[88:89], v[88:89], v[90:91]
	v_add_f64 v[84:85], v[84:85], v[86:87]
	s_delay_alu instid0(VALU_DEP_1)
	v_cmp_lt_f64_e32 vcc_lo, v[84:85], v[88:89]
	v_cndmask_b32_e32 v67, v67, v83, vcc_lo
	v_dual_cndmask_b32 v65, v65, v81 :: v_dual_cndmask_b32 v64, v64, v80
	v_cndmask_b32_e32 v66, v66, v82, vcc_lo
	v_cndmask_b32_e64 v72, v72, s6, vcc_lo
	s_add_i32 s6, s6, 1
	s_delay_alu instid0(SALU_CYCLE_1)
	s_cmp_eq_u32 s5, s6
	s_cbranch_scc0 .LBB30_5
.LBB30_6:
	s_set_inst_prefetch_distance 0x2
	s_waitcnt lgkmcnt(0)
	v_cmp_neq_f64_e32 vcc_lo, 0, v[64:65]
	v_cmp_neq_f64_e64 s2, 0, v[66:67]
	v_dual_mov_b32 v78, 1 :: v_dual_mov_b32 v81, 1
	s_delay_alu instid0(VALU_DEP_2) | instskip(NEXT) | instid1(SALU_CYCLE_1)
	s_or_b32 s2, vcc_lo, s2
	s_and_saveexec_b32 s3, s2
	s_cbranch_execz .LBB30_12
; %bb.7:
	v_cmp_gt_f64_e32 vcc_lo, 0, v[64:65]
	v_cmp_gt_f64_e64 s2, 0, v[66:67]
	v_xor_b32_e32 v73, 0x80000000, v65
	v_xor_b32_e32 v78, 0x80000000, v67
                                        ; implicit-def: $sgpr6
                                        ; implicit-def: $sgpr7
	s_delay_alu instid0(VALU_DEP_2) | instskip(NEXT) | instid1(VALU_DEP_2)
	v_dual_cndmask_b32 v81, v65, v73 :: v_dual_cndmask_b32 v80, v64, v64
	v_cndmask_b32_e64 v83, v67, v78, s2
	v_cndmask_b32_e64 v82, v66, v66, s2
	s_mov_b32 s2, exec_lo
	s_delay_alu instid0(VALU_DEP_1)
	v_cmpx_ngt_f64_e32 v[80:81], v[82:83]
	s_xor_b32 s2, exec_lo, s2
	s_cbranch_execz .LBB30_9
; %bb.8:
	v_div_scale_f64 v[80:81], null, v[66:67], v[66:67], v[64:65]
	v_div_scale_f64 v[86:87], vcc_lo, v[64:65], v[66:67], v[64:65]
	s_mov_b32 s7, 2
	s_mov_b32 s6, 0
	s_delay_alu instid0(VALU_DEP_2) | instskip(SKIP_2) | instid1(VALU_DEP_1)
	v_rcp_f64_e32 v[82:83], v[80:81]
	s_waitcnt_depctr 0xfff
	v_fma_f64 v[84:85], -v[80:81], v[82:83], 1.0
	v_fma_f64 v[82:83], v[82:83], v[84:85], v[82:83]
	s_delay_alu instid0(VALU_DEP_1) | instskip(NEXT) | instid1(VALU_DEP_1)
	v_fma_f64 v[84:85], -v[80:81], v[82:83], 1.0
	v_fma_f64 v[82:83], v[82:83], v[84:85], v[82:83]
	s_delay_alu instid0(VALU_DEP_1) | instskip(NEXT) | instid1(VALU_DEP_1)
	v_mul_f64 v[84:85], v[86:87], v[82:83]
	v_fma_f64 v[80:81], -v[80:81], v[84:85], v[86:87]
	s_delay_alu instid0(VALU_DEP_1) | instskip(NEXT) | instid1(VALU_DEP_1)
	v_div_fmas_f64 v[80:81], v[80:81], v[82:83], v[84:85]
	v_div_fixup_f64 v[80:81], v[80:81], v[66:67], v[64:65]
	s_delay_alu instid0(VALU_DEP_1) | instskip(NEXT) | instid1(VALU_DEP_1)
	v_fma_f64 v[64:65], v[64:65], v[80:81], v[66:67]
	v_div_scale_f64 v[66:67], null, v[64:65], v[64:65], 1.0
	s_delay_alu instid0(VALU_DEP_1) | instskip(SKIP_2) | instid1(VALU_DEP_1)
	v_rcp_f64_e32 v[82:83], v[66:67]
	s_waitcnt_depctr 0xfff
	v_fma_f64 v[84:85], -v[66:67], v[82:83], 1.0
	v_fma_f64 v[82:83], v[82:83], v[84:85], v[82:83]
	s_delay_alu instid0(VALU_DEP_1) | instskip(NEXT) | instid1(VALU_DEP_1)
	v_fma_f64 v[84:85], -v[66:67], v[82:83], 1.0
	v_fma_f64 v[82:83], v[82:83], v[84:85], v[82:83]
	v_div_scale_f64 v[84:85], vcc_lo, 1.0, v[64:65], 1.0
	s_delay_alu instid0(VALU_DEP_1) | instskip(NEXT) | instid1(VALU_DEP_1)
	v_mul_f64 v[86:87], v[84:85], v[82:83]
	v_fma_f64 v[66:67], -v[66:67], v[86:87], v[84:85]
	s_delay_alu instid0(VALU_DEP_1) | instskip(NEXT) | instid1(VALU_DEP_1)
	v_div_fmas_f64 v[66:67], v[66:67], v[82:83], v[86:87]
	v_div_fixup_f64 v[66:67], v[66:67], v[64:65], 1.0
	s_delay_alu instid0(VALU_DEP_1)
	v_mul_f64 v[64:65], v[80:81], v[66:67]
	v_xor_b32_e32 v67, 0x80000000, v67
.LBB30_9:
	s_or_saveexec_b32 s2, s2
	v_dual_mov_b32 v81, s6 :: v_dual_mov_b32 v78, s7
	s_xor_b32 exec_lo, exec_lo, s2
	s_cbranch_execz .LBB30_11
; %bb.10:
	s_delay_alu instid0(VALU_DEP_3) | instskip(SKIP_2) | instid1(VALU_DEP_3)
	v_div_scale_f64 v[80:81], null, v[64:65], v[64:65], v[66:67]
	v_div_scale_f64 v[86:87], vcc_lo, v[66:67], v[64:65], v[66:67]
	v_mov_b32_e32 v78, 2
	v_rcp_f64_e32 v[82:83], v[80:81]
	s_waitcnt_depctr 0xfff
	v_fma_f64 v[84:85], -v[80:81], v[82:83], 1.0
	s_delay_alu instid0(VALU_DEP_1) | instskip(NEXT) | instid1(VALU_DEP_1)
	v_fma_f64 v[82:83], v[82:83], v[84:85], v[82:83]
	v_fma_f64 v[84:85], -v[80:81], v[82:83], 1.0
	s_delay_alu instid0(VALU_DEP_1) | instskip(NEXT) | instid1(VALU_DEP_1)
	v_fma_f64 v[82:83], v[82:83], v[84:85], v[82:83]
	v_mul_f64 v[84:85], v[86:87], v[82:83]
	s_delay_alu instid0(VALU_DEP_1) | instskip(NEXT) | instid1(VALU_DEP_1)
	v_fma_f64 v[80:81], -v[80:81], v[84:85], v[86:87]
	v_div_fmas_f64 v[80:81], v[80:81], v[82:83], v[84:85]
	s_delay_alu instid0(VALU_DEP_1) | instskip(NEXT) | instid1(VALU_DEP_1)
	v_div_fixup_f64 v[80:81], v[80:81], v[64:65], v[66:67]
	v_fma_f64 v[64:65], v[66:67], v[80:81], v[64:65]
	s_delay_alu instid0(VALU_DEP_1) | instskip(NEXT) | instid1(VALU_DEP_1)
	v_div_scale_f64 v[66:67], null, v[64:65], v[64:65], 1.0
	v_rcp_f64_e32 v[82:83], v[66:67]
	s_waitcnt_depctr 0xfff
	v_fma_f64 v[84:85], -v[66:67], v[82:83], 1.0
	s_delay_alu instid0(VALU_DEP_1) | instskip(NEXT) | instid1(VALU_DEP_1)
	v_fma_f64 v[82:83], v[82:83], v[84:85], v[82:83]
	v_fma_f64 v[84:85], -v[66:67], v[82:83], 1.0
	s_delay_alu instid0(VALU_DEP_1) | instskip(SKIP_1) | instid1(VALU_DEP_1)
	v_fma_f64 v[82:83], v[82:83], v[84:85], v[82:83]
	v_div_scale_f64 v[84:85], vcc_lo, 1.0, v[64:65], 1.0
	v_mul_f64 v[86:87], v[84:85], v[82:83]
	s_delay_alu instid0(VALU_DEP_1) | instskip(NEXT) | instid1(VALU_DEP_1)
	v_fma_f64 v[66:67], -v[66:67], v[86:87], v[84:85]
	v_div_fmas_f64 v[66:67], v[66:67], v[82:83], v[86:87]
	s_delay_alu instid0(VALU_DEP_1) | instskip(NEXT) | instid1(VALU_DEP_1)
	v_div_fixup_f64 v[64:65], v[66:67], v[64:65], 1.0
	v_mul_f64 v[66:67], v[80:81], -v[64:65]
	v_mov_b32_e32 v81, 0
.LBB30_11:
	s_or_b32 exec_lo, exec_lo, s2
.LBB30_12:
	s_delay_alu instid0(SALU_CYCLE_1) | instskip(NEXT) | instid1(SALU_CYCLE_1)
	s_or_b32 exec_lo, exec_lo, s3
	s_mov_b32 s2, exec_lo
	v_cmpx_ne_u32_e64 v77, v72
	s_xor_b32 s2, exec_lo, s2
	s_cbranch_execz .LBB30_18
; %bb.13:
	s_mov_b32 s3, exec_lo
	v_cmpx_eq_u32_e32 0, v77
	s_cbranch_execz .LBB30_17
; %bb.14:
	v_cmp_ne_u32_e32 vcc_lo, 0, v72
	s_xor_b32 s6, s4, -1
	s_delay_alu instid0(SALU_CYCLE_1) | instskip(NEXT) | instid1(SALU_CYCLE_1)
	s_and_b32 s7, s6, vcc_lo
	s_and_saveexec_b32 s6, s7
	s_cbranch_execz .LBB30_16
; %bb.15:
	v_ashrrev_i32_e32 v73, 31, v72
	s_delay_alu instid0(VALU_DEP_1) | instskip(NEXT) | instid1(VALU_DEP_1)
	v_lshlrev_b64 v[82:83], 2, v[72:73]
	v_add_co_u32 v82, vcc_lo, v70, v82
	s_delay_alu instid0(VALU_DEP_2)
	v_add_co_ci_u32_e32 v83, vcc_lo, v71, v83, vcc_lo
	s_clause 0x1
	flat_load_b32 v73, v[82:83]
	flat_load_b32 v77, v[70:71]
	s_waitcnt vmcnt(1) lgkmcnt(1)
	flat_store_b32 v[70:71], v73
	s_waitcnt vmcnt(0) lgkmcnt(1)
	flat_store_b32 v[82:83], v77
.LBB30_16:
	s_or_b32 exec_lo, exec_lo, s6
	v_mov_b32_e32 v77, v72
.LBB30_17:
	s_or_b32 exec_lo, exec_lo, s3
.LBB30_18:
	s_or_saveexec_b32 s2, s2
	s_delay_alu instid0(VALU_DEP_1)
	v_mov_b32_e32 v80, v77
	s_xor_b32 exec_lo, exec_lo, s2
	s_cbranch_execz .LBB30_20
; %bb.19:
	v_mov_b32_e32 v80, 0
	ds_store_2addr_b64 v74, v[40:41], v[42:43] offset0:2 offset1:3
	ds_store_2addr_b64 v74, v[56:57], v[58:59] offset0:4 offset1:5
	;; [unrolled: 1-line block ×15, first 2 shown]
.LBB30_20:
	s_or_b32 exec_lo, exec_lo, s2
	s_delay_alu instid0(SALU_CYCLE_1)
	s_mov_b32 s2, exec_lo
	s_waitcnt lgkmcnt(0)
	s_waitcnt_vscnt null, 0x0
	s_barrier
	buffer_gl0_inv
	v_cmpx_lt_i32_e32 0, v80
	s_cbranch_execz .LBB30_22
; %bb.21:
	v_mul_f64 v[72:73], v[64:65], v[62:63]
	v_mul_f64 v[62:63], v[66:67], v[62:63]
	ds_load_2addr_b64 v[82:85], v74 offset0:2 offset1:3
	ds_load_2addr_b64 v[86:89], v74 offset0:4 offset1:5
	;; [unrolled: 1-line block ×15, first 2 shown]
	v_fma_f64 v[66:67], v[66:67], v[60:61], v[72:73]
	v_fma_f64 v[60:61], v[64:65], v[60:61], -v[62:63]
	s_waitcnt lgkmcnt(14)
	s_delay_alu instid0(VALU_DEP_2)
	v_mul_f64 v[62:63], v[84:85], v[66:67]
	v_mul_f64 v[64:65], v[82:83], v[66:67]
	s_waitcnt lgkmcnt(13)
	v_mul_f64 v[72:73], v[88:89], v[66:67]
	v_mul_f64 v[142:143], v[86:87], v[66:67]
	s_waitcnt lgkmcnt(12)
	v_mul_f64 v[144:145], v[92:93], v[66:67]
	v_mul_f64 v[146:147], v[90:91], v[66:67]
	s_waitcnt lgkmcnt(11)
	v_mul_f64 v[148:149], v[96:97], v[66:67]
	v_mul_f64 v[150:151], v[94:95], v[66:67]
	s_waitcnt lgkmcnt(10)
	v_mul_f64 v[152:153], v[100:101], v[66:67]
	v_mul_f64 v[154:155], v[98:99], v[66:67]
	s_waitcnt lgkmcnt(9)
	v_mul_f64 v[156:157], v[104:105], v[66:67]
	v_mul_f64 v[158:159], v[102:103], v[66:67]
	s_waitcnt lgkmcnt(8)
	v_mul_f64 v[160:161], v[108:109], v[66:67]
	v_mul_f64 v[162:163], v[106:107], v[66:67]
	s_waitcnt lgkmcnt(7)
	v_mul_f64 v[164:165], v[112:113], v[66:67]
	v_mul_f64 v[166:167], v[110:111], v[66:67]
	s_waitcnt lgkmcnt(6)
	v_mul_f64 v[168:169], v[116:117], v[66:67]
	v_mul_f64 v[170:171], v[114:115], v[66:67]
	s_waitcnt lgkmcnt(5)
	v_mul_f64 v[172:173], v[120:121], v[66:67]
	v_mul_f64 v[174:175], v[118:119], v[66:67]
	s_waitcnt lgkmcnt(4)
	v_mul_f64 v[176:177], v[124:125], v[66:67]
	v_mul_f64 v[178:179], v[122:123], v[66:67]
	s_waitcnt lgkmcnt(3)
	v_mul_f64 v[180:181], v[128:129], v[66:67]
	v_mul_f64 v[182:183], v[126:127], v[66:67]
	s_waitcnt lgkmcnt(2)
	v_mul_f64 v[184:185], v[132:133], v[66:67]
	v_mul_f64 v[186:187], v[130:131], v[66:67]
	s_waitcnt lgkmcnt(1)
	v_mul_f64 v[188:189], v[136:137], v[66:67]
	v_mul_f64 v[190:191], v[134:135], v[66:67]
	s_waitcnt lgkmcnt(0)
	v_mul_f64 v[192:193], v[140:141], v[66:67]
	v_mul_f64 v[194:195], v[138:139], v[66:67]
	v_fma_f64 v[62:63], v[82:83], v[60:61], -v[62:63]
	v_fma_f64 v[64:65], v[84:85], v[60:61], v[64:65]
	v_fma_f64 v[72:73], v[86:87], v[60:61], -v[72:73]
	v_fma_f64 v[82:83], v[88:89], v[60:61], v[142:143]
	;; [unrolled: 2-line block ×15, first 2 shown]
	v_add_f64 v[40:41], v[40:41], -v[62:63]
	v_add_f64 v[42:43], v[42:43], -v[64:65]
	v_add_f64 v[56:57], v[56:57], -v[72:73]
	v_add_f64 v[58:59], v[58:59], -v[82:83]
	v_add_f64 v[52:53], v[52:53], -v[84:85]
	v_add_f64 v[54:55], v[54:55], -v[86:87]
	v_add_f64 v[48:49], v[48:49], -v[88:89]
	v_add_f64 v[50:51], v[50:51], -v[90:91]
	v_add_f64 v[44:45], v[44:45], -v[92:93]
	v_add_f64 v[46:47], v[46:47], -v[94:95]
	v_add_f64 v[28:29], v[28:29], -v[96:97]
	v_add_f64 v[30:31], v[30:31], -v[98:99]
	v_add_f64 v[24:25], v[24:25], -v[100:101]
	v_add_f64 v[26:27], v[26:27], -v[102:103]
	v_add_f64 v[36:37], v[36:37], -v[104:105]
	v_add_f64 v[38:39], v[38:39], -v[106:107]
	v_add_f64 v[20:21], v[20:21], -v[108:109]
	v_add_f64 v[22:23], v[22:23], -v[110:111]
	v_add_f64 v[32:33], v[32:33], -v[112:113]
	v_add_f64 v[34:35], v[34:35], -v[114:115]
	v_add_f64 v[16:17], v[16:17], -v[116:117]
	v_add_f64 v[18:19], v[18:19], -v[118:119]
	v_add_f64 v[12:13], v[12:13], -v[120:121]
	v_add_f64 v[14:15], v[14:15], -v[122:123]
	v_add_f64 v[8:9], v[8:9], -v[124:125]
	v_add_f64 v[10:11], v[10:11], -v[126:127]
	v_add_f64 v[4:5], v[4:5], -v[128:129]
	v_add_f64 v[6:7], v[6:7], -v[130:131]
	v_add_f64 v[0:1], v[0:1], -v[132:133]
	v_add_f64 v[2:3], v[2:3], -v[134:135]
	v_dual_mov_b32 v62, v66 :: v_dual_mov_b32 v63, v67
.LBB30_22:
	s_or_b32 exec_lo, exec_lo, s2
	v_lshl_add_u32 v64, v80, 4, v74
	s_barrier
	buffer_gl0_inv
	v_mov_b32_e32 v72, 1
	ds_store_2addr_b64 v64, v[40:41], v[42:43] offset1:1
	s_waitcnt lgkmcnt(0)
	s_barrier
	buffer_gl0_inv
	ds_load_2addr_b64 v[64:67], v74 offset0:2 offset1:3
	s_cmp_lt_i32 s5, 3
	s_cbranch_scc1 .LBB30_25
; %bb.23:
	v_add3_u32 v73, v79, 0, 32
	v_mov_b32_e32 v72, 1
	s_mov_b32 s6, 2
	s_set_inst_prefetch_distance 0x1
	.p2align	6
.LBB30_24:                              ; =>This Inner Loop Header: Depth=1
	ds_load_2addr_b64 v[82:85], v73 offset1:1
	s_waitcnt lgkmcnt(1)
	v_cmp_gt_f64_e32 vcc_lo, 0, v[64:65]
	v_xor_b32_e32 v86, 0x80000000, v65
	v_cmp_gt_f64_e64 s2, 0, v[66:67]
	v_xor_b32_e32 v88, 0x80000000, v67
	v_add_nc_u32_e32 v73, 16, v73
	s_waitcnt lgkmcnt(0)
	v_cmp_gt_f64_e64 s3, 0, v[82:83]
	v_mov_b32_e32 v90, v82
	v_dual_mov_b32 v92, v84 :: v_dual_cndmask_b32 v87, v65, v86
	v_xor_b32_e32 v86, 0x80000000, v83
	v_cndmask_b32_e64 v89, v67, v88, s2
	v_xor_b32_e32 v88, 0x80000000, v85
	s_delay_alu instid0(VALU_DEP_3) | instskip(SKIP_2) | instid1(VALU_DEP_2)
	v_cndmask_b32_e64 v91, v83, v86, s3
	v_cmp_gt_f64_e64 s3, 0, v[84:85]
	v_cndmask_b32_e32 v86, v64, v64, vcc_lo
	v_cndmask_b32_e64 v93, v85, v88, s3
	v_cndmask_b32_e64 v88, v66, v66, s2
	s_delay_alu instid0(VALU_DEP_2) | instskip(NEXT) | instid1(VALU_DEP_2)
	v_add_f64 v[90:91], v[90:91], v[92:93]
	v_add_f64 v[86:87], v[86:87], v[88:89]
	s_delay_alu instid0(VALU_DEP_1)
	v_cmp_lt_f64_e32 vcc_lo, v[86:87], v[90:91]
	v_cndmask_b32_e32 v67, v67, v85, vcc_lo
	v_dual_cndmask_b32 v65, v65, v83 :: v_dual_cndmask_b32 v64, v64, v82
	v_cndmask_b32_e32 v66, v66, v84, vcc_lo
	v_cndmask_b32_e64 v72, v72, s6, vcc_lo
	s_add_i32 s6, s6, 1
	s_delay_alu instid0(SALU_CYCLE_1)
	s_cmp_lg_u32 s5, s6
	s_cbranch_scc1 .LBB30_24
.LBB30_25:
	s_set_inst_prefetch_distance 0x2
	s_waitcnt lgkmcnt(0)
	v_cmp_neq_f64_e32 vcc_lo, 0, v[64:65]
	v_cmp_neq_f64_e64 s2, 0, v[66:67]
	s_delay_alu instid0(VALU_DEP_1) | instskip(NEXT) | instid1(SALU_CYCLE_1)
	s_or_b32 s2, vcc_lo, s2
	s_and_saveexec_b32 s3, s2
	s_cbranch_execz .LBB30_31
; %bb.26:
	v_cmp_gt_f64_e32 vcc_lo, 0, v[64:65]
	v_cmp_gt_f64_e64 s2, 0, v[66:67]
	v_xor_b32_e32 v73, 0x80000000, v65
	v_xor_b32_e32 v78, 0x80000000, v67
	s_delay_alu instid0(VALU_DEP_2) | instskip(NEXT) | instid1(VALU_DEP_2)
	v_dual_cndmask_b32 v83, v65, v73 :: v_dual_cndmask_b32 v82, v64, v64
	v_cndmask_b32_e64 v85, v67, v78, s2
	v_cndmask_b32_e64 v84, v66, v66, s2
	s_mov_b32 s2, exec_lo
	s_delay_alu instid0(VALU_DEP_1)
	v_cmpx_ngt_f64_e32 v[82:83], v[84:85]
	s_xor_b32 s2, exec_lo, s2
	s_cbranch_execz .LBB30_28
; %bb.27:
	v_div_scale_f64 v[82:83], null, v[66:67], v[66:67], v[64:65]
	v_div_scale_f64 v[88:89], vcc_lo, v[64:65], v[66:67], v[64:65]
	s_delay_alu instid0(VALU_DEP_2) | instskip(SKIP_2) | instid1(VALU_DEP_1)
	v_rcp_f64_e32 v[84:85], v[82:83]
	s_waitcnt_depctr 0xfff
	v_fma_f64 v[86:87], -v[82:83], v[84:85], 1.0
	v_fma_f64 v[84:85], v[84:85], v[86:87], v[84:85]
	s_delay_alu instid0(VALU_DEP_1) | instskip(NEXT) | instid1(VALU_DEP_1)
	v_fma_f64 v[86:87], -v[82:83], v[84:85], 1.0
	v_fma_f64 v[84:85], v[84:85], v[86:87], v[84:85]
	s_delay_alu instid0(VALU_DEP_1) | instskip(NEXT) | instid1(VALU_DEP_1)
	v_mul_f64 v[86:87], v[88:89], v[84:85]
	v_fma_f64 v[82:83], -v[82:83], v[86:87], v[88:89]
	s_delay_alu instid0(VALU_DEP_1) | instskip(NEXT) | instid1(VALU_DEP_1)
	v_div_fmas_f64 v[82:83], v[82:83], v[84:85], v[86:87]
	v_div_fixup_f64 v[82:83], v[82:83], v[66:67], v[64:65]
	s_delay_alu instid0(VALU_DEP_1) | instskip(NEXT) | instid1(VALU_DEP_1)
	v_fma_f64 v[64:65], v[64:65], v[82:83], v[66:67]
	v_div_scale_f64 v[66:67], null, v[64:65], v[64:65], 1.0
	s_delay_alu instid0(VALU_DEP_1) | instskip(SKIP_2) | instid1(VALU_DEP_1)
	v_rcp_f64_e32 v[84:85], v[66:67]
	s_waitcnt_depctr 0xfff
	v_fma_f64 v[86:87], -v[66:67], v[84:85], 1.0
	v_fma_f64 v[84:85], v[84:85], v[86:87], v[84:85]
	s_delay_alu instid0(VALU_DEP_1) | instskip(NEXT) | instid1(VALU_DEP_1)
	v_fma_f64 v[86:87], -v[66:67], v[84:85], 1.0
	v_fma_f64 v[84:85], v[84:85], v[86:87], v[84:85]
	v_div_scale_f64 v[86:87], vcc_lo, 1.0, v[64:65], 1.0
	s_delay_alu instid0(VALU_DEP_1) | instskip(NEXT) | instid1(VALU_DEP_1)
	v_mul_f64 v[88:89], v[86:87], v[84:85]
	v_fma_f64 v[66:67], -v[66:67], v[88:89], v[86:87]
	s_delay_alu instid0(VALU_DEP_1) | instskip(NEXT) | instid1(VALU_DEP_1)
	v_div_fmas_f64 v[66:67], v[66:67], v[84:85], v[88:89]
	v_div_fixup_f64 v[66:67], v[66:67], v[64:65], 1.0
	s_delay_alu instid0(VALU_DEP_1)
	v_mul_f64 v[64:65], v[82:83], v[66:67]
	v_xor_b32_e32 v67, 0x80000000, v67
.LBB30_28:
	s_and_not1_saveexec_b32 s2, s2
	s_cbranch_execz .LBB30_30
; %bb.29:
	s_delay_alu instid0(VALU_DEP_1) | instskip(SKIP_1) | instid1(VALU_DEP_2)
	v_div_scale_f64 v[82:83], null, v[64:65], v[64:65], v[66:67]
	v_div_scale_f64 v[88:89], vcc_lo, v[66:67], v[64:65], v[66:67]
	v_rcp_f64_e32 v[84:85], v[82:83]
	s_waitcnt_depctr 0xfff
	v_fma_f64 v[86:87], -v[82:83], v[84:85], 1.0
	s_delay_alu instid0(VALU_DEP_1) | instskip(NEXT) | instid1(VALU_DEP_1)
	v_fma_f64 v[84:85], v[84:85], v[86:87], v[84:85]
	v_fma_f64 v[86:87], -v[82:83], v[84:85], 1.0
	s_delay_alu instid0(VALU_DEP_1) | instskip(NEXT) | instid1(VALU_DEP_1)
	v_fma_f64 v[84:85], v[84:85], v[86:87], v[84:85]
	v_mul_f64 v[86:87], v[88:89], v[84:85]
	s_delay_alu instid0(VALU_DEP_1) | instskip(NEXT) | instid1(VALU_DEP_1)
	v_fma_f64 v[82:83], -v[82:83], v[86:87], v[88:89]
	v_div_fmas_f64 v[82:83], v[82:83], v[84:85], v[86:87]
	s_delay_alu instid0(VALU_DEP_1) | instskip(NEXT) | instid1(VALU_DEP_1)
	v_div_fixup_f64 v[82:83], v[82:83], v[64:65], v[66:67]
	v_fma_f64 v[64:65], v[66:67], v[82:83], v[64:65]
	s_delay_alu instid0(VALU_DEP_1) | instskip(NEXT) | instid1(VALU_DEP_1)
	v_div_scale_f64 v[66:67], null, v[64:65], v[64:65], 1.0
	v_rcp_f64_e32 v[84:85], v[66:67]
	s_waitcnt_depctr 0xfff
	v_fma_f64 v[86:87], -v[66:67], v[84:85], 1.0
	s_delay_alu instid0(VALU_DEP_1) | instskip(NEXT) | instid1(VALU_DEP_1)
	v_fma_f64 v[84:85], v[84:85], v[86:87], v[84:85]
	v_fma_f64 v[86:87], -v[66:67], v[84:85], 1.0
	s_delay_alu instid0(VALU_DEP_1) | instskip(SKIP_1) | instid1(VALU_DEP_1)
	v_fma_f64 v[84:85], v[84:85], v[86:87], v[84:85]
	v_div_scale_f64 v[86:87], vcc_lo, 1.0, v[64:65], 1.0
	v_mul_f64 v[88:89], v[86:87], v[84:85]
	s_delay_alu instid0(VALU_DEP_1) | instskip(NEXT) | instid1(VALU_DEP_1)
	v_fma_f64 v[66:67], -v[66:67], v[88:89], v[86:87]
	v_div_fmas_f64 v[66:67], v[66:67], v[84:85], v[88:89]
	s_delay_alu instid0(VALU_DEP_1) | instskip(NEXT) | instid1(VALU_DEP_1)
	v_div_fixup_f64 v[64:65], v[66:67], v[64:65], 1.0
	v_mul_f64 v[66:67], v[82:83], -v[64:65]
.LBB30_30:
	s_or_b32 exec_lo, exec_lo, s2
	v_mov_b32_e32 v78, v81
.LBB30_31:
	s_or_b32 exec_lo, exec_lo, s3
	s_delay_alu instid0(SALU_CYCLE_1)
	s_mov_b32 s2, exec_lo
	v_cmpx_ne_u32_e64 v80, v72
	s_xor_b32 s2, exec_lo, s2
	s_cbranch_execz .LBB30_37
; %bb.32:
	s_mov_b32 s3, exec_lo
	v_cmpx_eq_u32_e32 1, v80
	s_cbranch_execz .LBB30_36
; %bb.33:
	v_cmp_ne_u32_e32 vcc_lo, 1, v72
	s_xor_b32 s6, s4, -1
	s_delay_alu instid0(SALU_CYCLE_1) | instskip(NEXT) | instid1(SALU_CYCLE_1)
	s_and_b32 s7, s6, vcc_lo
	s_and_saveexec_b32 s6, s7
	s_cbranch_execz .LBB30_35
; %bb.34:
	v_ashrrev_i32_e32 v73, 31, v72
	s_delay_alu instid0(VALU_DEP_1) | instskip(NEXT) | instid1(VALU_DEP_1)
	v_lshlrev_b64 v[80:81], 2, v[72:73]
	v_add_co_u32 v80, vcc_lo, v70, v80
	s_delay_alu instid0(VALU_DEP_2)
	v_add_co_ci_u32_e32 v81, vcc_lo, v71, v81, vcc_lo
	s_clause 0x1
	flat_load_b32 v73, v[80:81]
	flat_load_b32 v77, v[70:71] offset:4
	s_waitcnt vmcnt(1) lgkmcnt(1)
	flat_store_b32 v[70:71], v73 offset:4
	s_waitcnt vmcnt(0) lgkmcnt(1)
	flat_store_b32 v[80:81], v77
.LBB30_35:
	s_or_b32 exec_lo, exec_lo, s6
	v_mov_b32_e32 v80, v72
	v_mov_b32_e32 v77, v72
.LBB30_36:
	s_or_b32 exec_lo, exec_lo, s3
.LBB30_37:
	s_and_not1_saveexec_b32 s2, s2
	s_cbranch_execz .LBB30_39
; %bb.38:
	v_mov_b32_e32 v80, 1
	ds_store_2addr_b64 v74, v[56:57], v[58:59] offset0:4 offset1:5
	ds_store_2addr_b64 v74, v[52:53], v[54:55] offset0:6 offset1:7
	;; [unrolled: 1-line block ×14, first 2 shown]
.LBB30_39:
	s_or_b32 exec_lo, exec_lo, s2
	s_delay_alu instid0(SALU_CYCLE_1)
	s_mov_b32 s2, exec_lo
	s_waitcnt lgkmcnt(0)
	s_waitcnt_vscnt null, 0x0
	s_barrier
	buffer_gl0_inv
	v_cmpx_lt_i32_e32 1, v80
	s_cbranch_execz .LBB30_41
; %bb.40:
	v_mul_f64 v[72:73], v[64:65], v[42:43]
	v_mul_f64 v[42:43], v[66:67], v[42:43]
	ds_load_2addr_b64 v[81:84], v74 offset0:4 offset1:5
	ds_load_2addr_b64 v[85:88], v74 offset0:6 offset1:7
	;; [unrolled: 1-line block ×14, first 2 shown]
	v_fma_f64 v[66:67], v[66:67], v[40:41], v[72:73]
	v_fma_f64 v[40:41], v[64:65], v[40:41], -v[42:43]
	s_waitcnt lgkmcnt(13)
	s_delay_alu instid0(VALU_DEP_2)
	v_mul_f64 v[42:43], v[83:84], v[66:67]
	v_mul_f64 v[64:65], v[81:82], v[66:67]
	s_waitcnt lgkmcnt(12)
	v_mul_f64 v[72:73], v[87:88], v[66:67]
	v_mul_f64 v[137:138], v[85:86], v[66:67]
	s_waitcnt lgkmcnt(11)
	v_mul_f64 v[139:140], v[91:92], v[66:67]
	v_mul_f64 v[141:142], v[89:90], v[66:67]
	s_waitcnt lgkmcnt(10)
	v_mul_f64 v[143:144], v[95:96], v[66:67]
	v_mul_f64 v[145:146], v[93:94], v[66:67]
	s_waitcnt lgkmcnt(9)
	v_mul_f64 v[147:148], v[99:100], v[66:67]
	v_mul_f64 v[149:150], v[97:98], v[66:67]
	s_waitcnt lgkmcnt(8)
	v_mul_f64 v[151:152], v[103:104], v[66:67]
	v_mul_f64 v[153:154], v[101:102], v[66:67]
	s_waitcnt lgkmcnt(7)
	v_mul_f64 v[155:156], v[107:108], v[66:67]
	v_mul_f64 v[157:158], v[105:106], v[66:67]
	s_waitcnt lgkmcnt(6)
	v_mul_f64 v[159:160], v[111:112], v[66:67]
	v_mul_f64 v[161:162], v[109:110], v[66:67]
	s_waitcnt lgkmcnt(5)
	v_mul_f64 v[163:164], v[115:116], v[66:67]
	v_mul_f64 v[165:166], v[113:114], v[66:67]
	s_waitcnt lgkmcnt(4)
	v_mul_f64 v[167:168], v[119:120], v[66:67]
	v_mul_f64 v[169:170], v[117:118], v[66:67]
	s_waitcnt lgkmcnt(3)
	v_mul_f64 v[171:172], v[123:124], v[66:67]
	v_mul_f64 v[173:174], v[121:122], v[66:67]
	s_waitcnt lgkmcnt(2)
	v_mul_f64 v[175:176], v[127:128], v[66:67]
	v_mul_f64 v[177:178], v[125:126], v[66:67]
	s_waitcnt lgkmcnt(1)
	v_mul_f64 v[179:180], v[131:132], v[66:67]
	v_mul_f64 v[181:182], v[129:130], v[66:67]
	s_waitcnt lgkmcnt(0)
	v_mul_f64 v[183:184], v[135:136], v[66:67]
	v_mul_f64 v[185:186], v[133:134], v[66:67]
	v_fma_f64 v[42:43], v[81:82], v[40:41], -v[42:43]
	v_fma_f64 v[64:65], v[83:84], v[40:41], v[64:65]
	v_fma_f64 v[72:73], v[85:86], v[40:41], -v[72:73]
	v_fma_f64 v[81:82], v[87:88], v[40:41], v[137:138]
	;; [unrolled: 2-line block ×14, first 2 shown]
	v_add_f64 v[56:57], v[56:57], -v[42:43]
	v_add_f64 v[58:59], v[58:59], -v[64:65]
	;; [unrolled: 1-line block ×28, first 2 shown]
	v_dual_mov_b32 v42, v66 :: v_dual_mov_b32 v43, v67
.LBB30_41:
	s_or_b32 exec_lo, exec_lo, s2
	v_lshl_add_u32 v64, v80, 4, v74
	s_barrier
	buffer_gl0_inv
	v_mov_b32_e32 v72, 2
	ds_store_2addr_b64 v64, v[56:57], v[58:59] offset1:1
	s_waitcnt lgkmcnt(0)
	s_barrier
	buffer_gl0_inv
	ds_load_2addr_b64 v[64:67], v74 offset0:4 offset1:5
	s_cmp_lt_i32 s5, 4
	s_cbranch_scc1 .LBB30_44
; %bb.42:
	v_add3_u32 v73, v79, 0, 48
	v_mov_b32_e32 v72, 2
	s_mov_b32 s6, 3
	s_set_inst_prefetch_distance 0x1
	.p2align	6
.LBB30_43:                              ; =>This Inner Loop Header: Depth=1
	ds_load_2addr_b64 v[81:84], v73 offset1:1
	s_waitcnt lgkmcnt(1)
	v_cmp_gt_f64_e32 vcc_lo, 0, v[64:65]
	v_xor_b32_e32 v85, 0x80000000, v65
	v_cmp_gt_f64_e64 s2, 0, v[66:67]
	v_xor_b32_e32 v87, 0x80000000, v67
	v_add_nc_u32_e32 v73, 16, v73
	s_waitcnt lgkmcnt(0)
	v_cmp_gt_f64_e64 s3, 0, v[81:82]
	v_mov_b32_e32 v89, v81
	v_dual_mov_b32 v91, v83 :: v_dual_cndmask_b32 v86, v65, v85
	v_xor_b32_e32 v85, 0x80000000, v82
	v_cndmask_b32_e64 v88, v67, v87, s2
	v_xor_b32_e32 v87, 0x80000000, v84
	s_delay_alu instid0(VALU_DEP_3) | instskip(SKIP_2) | instid1(VALU_DEP_2)
	v_cndmask_b32_e64 v90, v82, v85, s3
	v_cmp_gt_f64_e64 s3, 0, v[83:84]
	v_cndmask_b32_e32 v85, v64, v64, vcc_lo
	v_cndmask_b32_e64 v92, v84, v87, s3
	v_cndmask_b32_e64 v87, v66, v66, s2
	s_delay_alu instid0(VALU_DEP_2) | instskip(NEXT) | instid1(VALU_DEP_2)
	v_add_f64 v[89:90], v[89:90], v[91:92]
	v_add_f64 v[85:86], v[85:86], v[87:88]
	s_delay_alu instid0(VALU_DEP_1) | instskip(SKIP_4) | instid1(SALU_CYCLE_1)
	v_cmp_lt_f64_e32 vcc_lo, v[85:86], v[89:90]
	v_dual_cndmask_b32 v66, v66, v83 :: v_dual_cndmask_b32 v65, v65, v82
	v_dual_cndmask_b32 v64, v64, v81 :: v_dual_cndmask_b32 v67, v67, v84
	v_cndmask_b32_e64 v72, v72, s6, vcc_lo
	s_add_i32 s6, s6, 1
	s_cmp_lg_u32 s5, s6
	s_cbranch_scc1 .LBB30_43
.LBB30_44:
	s_set_inst_prefetch_distance 0x2
	s_waitcnt lgkmcnt(0)
	v_cmp_eq_f64_e32 vcc_lo, 0, v[64:65]
	v_cmp_eq_f64_e64 s2, 0, v[66:67]
	s_delay_alu instid0(VALU_DEP_1) | instskip(NEXT) | instid1(SALU_CYCLE_1)
	s_and_b32 s2, vcc_lo, s2
	s_and_saveexec_b32 s3, s2
	s_delay_alu instid0(SALU_CYCLE_1)
	s_xor_b32 s2, exec_lo, s3
; %bb.45:
	v_cmp_ne_u32_e32 vcc_lo, 0, v78
	v_cndmask_b32_e32 v78, 3, v78, vcc_lo
; %bb.46:
	s_and_not1_saveexec_b32 s3, s2
	s_cbranch_execz .LBB30_52
; %bb.47:
	v_cmp_gt_f64_e32 vcc_lo, 0, v[64:65]
	v_cmp_gt_f64_e64 s2, 0, v[66:67]
	v_xor_b32_e32 v73, 0x80000000, v65
	v_xor_b32_e32 v81, 0x80000000, v67
	s_delay_alu instid0(VALU_DEP_2) | instskip(NEXT) | instid1(VALU_DEP_2)
	v_cndmask_b32_e32 v82, v65, v73, vcc_lo
	v_cndmask_b32_e64 v84, v67, v81, s2
	v_cndmask_b32_e32 v81, v64, v64, vcc_lo
	v_cndmask_b32_e64 v83, v66, v66, s2
	s_mov_b32 s2, exec_lo
	s_delay_alu instid0(VALU_DEP_1)
	v_cmpx_ngt_f64_e32 v[81:82], v[83:84]
	s_xor_b32 s2, exec_lo, s2
	s_cbranch_execz .LBB30_49
; %bb.48:
	v_div_scale_f64 v[81:82], null, v[66:67], v[66:67], v[64:65]
	v_div_scale_f64 v[87:88], vcc_lo, v[64:65], v[66:67], v[64:65]
	s_delay_alu instid0(VALU_DEP_2) | instskip(SKIP_2) | instid1(VALU_DEP_1)
	v_rcp_f64_e32 v[83:84], v[81:82]
	s_waitcnt_depctr 0xfff
	v_fma_f64 v[85:86], -v[81:82], v[83:84], 1.0
	v_fma_f64 v[83:84], v[83:84], v[85:86], v[83:84]
	s_delay_alu instid0(VALU_DEP_1) | instskip(NEXT) | instid1(VALU_DEP_1)
	v_fma_f64 v[85:86], -v[81:82], v[83:84], 1.0
	v_fma_f64 v[83:84], v[83:84], v[85:86], v[83:84]
	s_delay_alu instid0(VALU_DEP_1) | instskip(NEXT) | instid1(VALU_DEP_1)
	v_mul_f64 v[85:86], v[87:88], v[83:84]
	v_fma_f64 v[81:82], -v[81:82], v[85:86], v[87:88]
	s_delay_alu instid0(VALU_DEP_1) | instskip(NEXT) | instid1(VALU_DEP_1)
	v_div_fmas_f64 v[81:82], v[81:82], v[83:84], v[85:86]
	v_div_fixup_f64 v[81:82], v[81:82], v[66:67], v[64:65]
	s_delay_alu instid0(VALU_DEP_1) | instskip(NEXT) | instid1(VALU_DEP_1)
	v_fma_f64 v[64:65], v[64:65], v[81:82], v[66:67]
	v_div_scale_f64 v[66:67], null, v[64:65], v[64:65], 1.0
	s_delay_alu instid0(VALU_DEP_1) | instskip(SKIP_2) | instid1(VALU_DEP_1)
	v_rcp_f64_e32 v[83:84], v[66:67]
	s_waitcnt_depctr 0xfff
	v_fma_f64 v[85:86], -v[66:67], v[83:84], 1.0
	v_fma_f64 v[83:84], v[83:84], v[85:86], v[83:84]
	s_delay_alu instid0(VALU_DEP_1) | instskip(NEXT) | instid1(VALU_DEP_1)
	v_fma_f64 v[85:86], -v[66:67], v[83:84], 1.0
	v_fma_f64 v[83:84], v[83:84], v[85:86], v[83:84]
	v_div_scale_f64 v[85:86], vcc_lo, 1.0, v[64:65], 1.0
	s_delay_alu instid0(VALU_DEP_1) | instskip(NEXT) | instid1(VALU_DEP_1)
	v_mul_f64 v[87:88], v[85:86], v[83:84]
	v_fma_f64 v[66:67], -v[66:67], v[87:88], v[85:86]
	s_delay_alu instid0(VALU_DEP_1) | instskip(NEXT) | instid1(VALU_DEP_1)
	v_div_fmas_f64 v[66:67], v[66:67], v[83:84], v[87:88]
	v_div_fixup_f64 v[66:67], v[66:67], v[64:65], 1.0
	s_delay_alu instid0(VALU_DEP_1)
	v_mul_f64 v[64:65], v[81:82], v[66:67]
	v_xor_b32_e32 v67, 0x80000000, v67
.LBB30_49:
	s_and_not1_saveexec_b32 s2, s2
	s_cbranch_execz .LBB30_51
; %bb.50:
	s_delay_alu instid0(VALU_DEP_1) | instskip(SKIP_1) | instid1(VALU_DEP_2)
	v_div_scale_f64 v[81:82], null, v[64:65], v[64:65], v[66:67]
	v_div_scale_f64 v[87:88], vcc_lo, v[66:67], v[64:65], v[66:67]
	v_rcp_f64_e32 v[83:84], v[81:82]
	s_waitcnt_depctr 0xfff
	v_fma_f64 v[85:86], -v[81:82], v[83:84], 1.0
	s_delay_alu instid0(VALU_DEP_1) | instskip(NEXT) | instid1(VALU_DEP_1)
	v_fma_f64 v[83:84], v[83:84], v[85:86], v[83:84]
	v_fma_f64 v[85:86], -v[81:82], v[83:84], 1.0
	s_delay_alu instid0(VALU_DEP_1) | instskip(NEXT) | instid1(VALU_DEP_1)
	v_fma_f64 v[83:84], v[83:84], v[85:86], v[83:84]
	v_mul_f64 v[85:86], v[87:88], v[83:84]
	s_delay_alu instid0(VALU_DEP_1) | instskip(NEXT) | instid1(VALU_DEP_1)
	v_fma_f64 v[81:82], -v[81:82], v[85:86], v[87:88]
	v_div_fmas_f64 v[81:82], v[81:82], v[83:84], v[85:86]
	s_delay_alu instid0(VALU_DEP_1) | instskip(NEXT) | instid1(VALU_DEP_1)
	v_div_fixup_f64 v[81:82], v[81:82], v[64:65], v[66:67]
	v_fma_f64 v[64:65], v[66:67], v[81:82], v[64:65]
	s_delay_alu instid0(VALU_DEP_1) | instskip(NEXT) | instid1(VALU_DEP_1)
	v_div_scale_f64 v[66:67], null, v[64:65], v[64:65], 1.0
	v_rcp_f64_e32 v[83:84], v[66:67]
	s_waitcnt_depctr 0xfff
	v_fma_f64 v[85:86], -v[66:67], v[83:84], 1.0
	s_delay_alu instid0(VALU_DEP_1) | instskip(NEXT) | instid1(VALU_DEP_1)
	v_fma_f64 v[83:84], v[83:84], v[85:86], v[83:84]
	v_fma_f64 v[85:86], -v[66:67], v[83:84], 1.0
	s_delay_alu instid0(VALU_DEP_1) | instskip(SKIP_1) | instid1(VALU_DEP_1)
	v_fma_f64 v[83:84], v[83:84], v[85:86], v[83:84]
	v_div_scale_f64 v[85:86], vcc_lo, 1.0, v[64:65], 1.0
	v_mul_f64 v[87:88], v[85:86], v[83:84]
	s_delay_alu instid0(VALU_DEP_1) | instskip(NEXT) | instid1(VALU_DEP_1)
	v_fma_f64 v[66:67], -v[66:67], v[87:88], v[85:86]
	v_div_fmas_f64 v[66:67], v[66:67], v[83:84], v[87:88]
	s_delay_alu instid0(VALU_DEP_1) | instskip(NEXT) | instid1(VALU_DEP_1)
	v_div_fixup_f64 v[64:65], v[66:67], v[64:65], 1.0
	v_mul_f64 v[66:67], v[81:82], -v[64:65]
.LBB30_51:
	s_or_b32 exec_lo, exec_lo, s2
.LBB30_52:
	s_delay_alu instid0(SALU_CYCLE_1) | instskip(NEXT) | instid1(SALU_CYCLE_1)
	s_or_b32 exec_lo, exec_lo, s3
	s_mov_b32 s2, exec_lo
	v_cmpx_ne_u32_e64 v80, v72
	s_xor_b32 s2, exec_lo, s2
	s_cbranch_execz .LBB30_58
; %bb.53:
	s_mov_b32 s3, exec_lo
	v_cmpx_eq_u32_e32 2, v80
	s_cbranch_execz .LBB30_57
; %bb.54:
	v_cmp_ne_u32_e32 vcc_lo, 2, v72
	s_xor_b32 s6, s4, -1
	s_delay_alu instid0(SALU_CYCLE_1) | instskip(NEXT) | instid1(SALU_CYCLE_1)
	s_and_b32 s7, s6, vcc_lo
	s_and_saveexec_b32 s6, s7
	s_cbranch_execz .LBB30_56
; %bb.55:
	v_ashrrev_i32_e32 v73, 31, v72
	s_delay_alu instid0(VALU_DEP_1) | instskip(NEXT) | instid1(VALU_DEP_1)
	v_lshlrev_b64 v[80:81], 2, v[72:73]
	v_add_co_u32 v80, vcc_lo, v70, v80
	s_delay_alu instid0(VALU_DEP_2)
	v_add_co_ci_u32_e32 v81, vcc_lo, v71, v81, vcc_lo
	s_clause 0x1
	flat_load_b32 v73, v[80:81]
	flat_load_b32 v77, v[70:71] offset:8
	s_waitcnt vmcnt(1) lgkmcnt(1)
	flat_store_b32 v[70:71], v73 offset:8
	s_waitcnt vmcnt(0) lgkmcnt(1)
	flat_store_b32 v[80:81], v77
.LBB30_56:
	s_or_b32 exec_lo, exec_lo, s6
	v_mov_b32_e32 v80, v72
	v_mov_b32_e32 v77, v72
.LBB30_57:
	s_or_b32 exec_lo, exec_lo, s3
.LBB30_58:
	s_and_not1_saveexec_b32 s2, s2
	s_cbranch_execz .LBB30_60
; %bb.59:
	v_mov_b32_e32 v80, 2
	ds_store_2addr_b64 v74, v[52:53], v[54:55] offset0:6 offset1:7
	ds_store_2addr_b64 v74, v[48:49], v[50:51] offset0:8 offset1:9
	;; [unrolled: 1-line block ×13, first 2 shown]
.LBB30_60:
	s_or_b32 exec_lo, exec_lo, s2
	s_delay_alu instid0(SALU_CYCLE_1)
	s_mov_b32 s2, exec_lo
	s_waitcnt lgkmcnt(0)
	s_waitcnt_vscnt null, 0x0
	s_barrier
	buffer_gl0_inv
	v_cmpx_lt_i32_e32 2, v80
	s_cbranch_execz .LBB30_62
; %bb.61:
	v_mul_f64 v[72:73], v[64:65], v[58:59]
	v_mul_f64 v[58:59], v[66:67], v[58:59]
	ds_load_2addr_b64 v[81:84], v74 offset0:6 offset1:7
	ds_load_2addr_b64 v[85:88], v74 offset0:8 offset1:9
	;; [unrolled: 1-line block ×13, first 2 shown]
	v_fma_f64 v[66:67], v[66:67], v[56:57], v[72:73]
	v_fma_f64 v[56:57], v[64:65], v[56:57], -v[58:59]
	s_waitcnt lgkmcnt(12)
	s_delay_alu instid0(VALU_DEP_2)
	v_mul_f64 v[58:59], v[83:84], v[66:67]
	v_mul_f64 v[64:65], v[81:82], v[66:67]
	s_waitcnt lgkmcnt(11)
	v_mul_f64 v[72:73], v[87:88], v[66:67]
	v_mul_f64 v[133:134], v[85:86], v[66:67]
	s_waitcnt lgkmcnt(10)
	;; [unrolled: 3-line block ×12, first 2 shown]
	v_mul_f64 v[175:176], v[131:132], v[66:67]
	v_mul_f64 v[177:178], v[129:130], v[66:67]
	v_fma_f64 v[58:59], v[81:82], v[56:57], -v[58:59]
	v_fma_f64 v[64:65], v[83:84], v[56:57], v[64:65]
	v_fma_f64 v[72:73], v[85:86], v[56:57], -v[72:73]
	v_fma_f64 v[81:82], v[87:88], v[56:57], v[133:134]
	;; [unrolled: 2-line block ×13, first 2 shown]
	v_add_f64 v[52:53], v[52:53], -v[58:59]
	v_add_f64 v[54:55], v[54:55], -v[64:65]
	;; [unrolled: 1-line block ×26, first 2 shown]
	v_dual_mov_b32 v58, v66 :: v_dual_mov_b32 v59, v67
.LBB30_62:
	s_or_b32 exec_lo, exec_lo, s2
	v_lshl_add_u32 v64, v80, 4, v74
	s_barrier
	buffer_gl0_inv
	v_mov_b32_e32 v72, 3
	ds_store_2addr_b64 v64, v[52:53], v[54:55] offset1:1
	s_waitcnt lgkmcnt(0)
	s_barrier
	buffer_gl0_inv
	ds_load_2addr_b64 v[64:67], v74 offset0:6 offset1:7
	s_cmp_lt_i32 s5, 5
	s_mov_b32 s6, 4
	s_cbranch_scc1 .LBB30_65
; %bb.63:
	v_add3_u32 v73, v79, 0, 64
	v_mov_b32_e32 v72, 3
	s_set_inst_prefetch_distance 0x1
	.p2align	6
.LBB30_64:                              ; =>This Inner Loop Header: Depth=1
	ds_load_2addr_b64 v[81:84], v73 offset1:1
	s_waitcnt lgkmcnt(1)
	v_cmp_gt_f64_e32 vcc_lo, 0, v[64:65]
	v_xor_b32_e32 v85, 0x80000000, v65
	v_cmp_gt_f64_e64 s2, 0, v[66:67]
	v_xor_b32_e32 v87, 0x80000000, v67
	v_add_nc_u32_e32 v73, 16, v73
	s_waitcnt lgkmcnt(0)
	v_cmp_gt_f64_e64 s3, 0, v[81:82]
	v_mov_b32_e32 v89, v81
	v_dual_mov_b32 v91, v83 :: v_dual_cndmask_b32 v86, v65, v85
	v_xor_b32_e32 v85, 0x80000000, v82
	v_cndmask_b32_e64 v88, v67, v87, s2
	v_xor_b32_e32 v87, 0x80000000, v84
	s_delay_alu instid0(VALU_DEP_3) | instskip(SKIP_2) | instid1(VALU_DEP_2)
	v_cndmask_b32_e64 v90, v82, v85, s3
	v_cmp_gt_f64_e64 s3, 0, v[83:84]
	v_cndmask_b32_e32 v85, v64, v64, vcc_lo
	v_cndmask_b32_e64 v92, v84, v87, s3
	v_cndmask_b32_e64 v87, v66, v66, s2
	s_delay_alu instid0(VALU_DEP_2) | instskip(NEXT) | instid1(VALU_DEP_2)
	v_add_f64 v[89:90], v[89:90], v[91:92]
	v_add_f64 v[85:86], v[85:86], v[87:88]
	s_delay_alu instid0(VALU_DEP_1) | instskip(SKIP_4) | instid1(SALU_CYCLE_1)
	v_cmp_lt_f64_e32 vcc_lo, v[85:86], v[89:90]
	v_dual_cndmask_b32 v66, v66, v83 :: v_dual_cndmask_b32 v65, v65, v82
	v_dual_cndmask_b32 v64, v64, v81 :: v_dual_cndmask_b32 v67, v67, v84
	v_cndmask_b32_e64 v72, v72, s6, vcc_lo
	s_add_i32 s6, s6, 1
	s_cmp_lg_u32 s5, s6
	s_cbranch_scc1 .LBB30_64
.LBB30_65:
	s_set_inst_prefetch_distance 0x2
	s_waitcnt lgkmcnt(0)
	v_cmp_eq_f64_e32 vcc_lo, 0, v[64:65]
	v_cmp_eq_f64_e64 s2, 0, v[66:67]
	s_delay_alu instid0(VALU_DEP_1) | instskip(NEXT) | instid1(SALU_CYCLE_1)
	s_and_b32 s2, vcc_lo, s2
	s_and_saveexec_b32 s3, s2
	s_delay_alu instid0(SALU_CYCLE_1)
	s_xor_b32 s2, exec_lo, s3
; %bb.66:
	v_cmp_ne_u32_e32 vcc_lo, 0, v78
	v_cndmask_b32_e32 v78, 4, v78, vcc_lo
; %bb.67:
	s_and_not1_saveexec_b32 s3, s2
	s_cbranch_execz .LBB30_73
; %bb.68:
	v_cmp_gt_f64_e32 vcc_lo, 0, v[64:65]
	v_cmp_gt_f64_e64 s2, 0, v[66:67]
	v_xor_b32_e32 v73, 0x80000000, v65
	v_xor_b32_e32 v81, 0x80000000, v67
	s_delay_alu instid0(VALU_DEP_2) | instskip(NEXT) | instid1(VALU_DEP_2)
	v_cndmask_b32_e32 v82, v65, v73, vcc_lo
	v_cndmask_b32_e64 v84, v67, v81, s2
	v_cndmask_b32_e32 v81, v64, v64, vcc_lo
	v_cndmask_b32_e64 v83, v66, v66, s2
	s_mov_b32 s2, exec_lo
	s_delay_alu instid0(VALU_DEP_1)
	v_cmpx_ngt_f64_e32 v[81:82], v[83:84]
	s_xor_b32 s2, exec_lo, s2
	s_cbranch_execz .LBB30_70
; %bb.69:
	v_div_scale_f64 v[81:82], null, v[66:67], v[66:67], v[64:65]
	v_div_scale_f64 v[87:88], vcc_lo, v[64:65], v[66:67], v[64:65]
	s_delay_alu instid0(VALU_DEP_2) | instskip(SKIP_2) | instid1(VALU_DEP_1)
	v_rcp_f64_e32 v[83:84], v[81:82]
	s_waitcnt_depctr 0xfff
	v_fma_f64 v[85:86], -v[81:82], v[83:84], 1.0
	v_fma_f64 v[83:84], v[83:84], v[85:86], v[83:84]
	s_delay_alu instid0(VALU_DEP_1) | instskip(NEXT) | instid1(VALU_DEP_1)
	v_fma_f64 v[85:86], -v[81:82], v[83:84], 1.0
	v_fma_f64 v[83:84], v[83:84], v[85:86], v[83:84]
	s_delay_alu instid0(VALU_DEP_1) | instskip(NEXT) | instid1(VALU_DEP_1)
	v_mul_f64 v[85:86], v[87:88], v[83:84]
	v_fma_f64 v[81:82], -v[81:82], v[85:86], v[87:88]
	s_delay_alu instid0(VALU_DEP_1) | instskip(NEXT) | instid1(VALU_DEP_1)
	v_div_fmas_f64 v[81:82], v[81:82], v[83:84], v[85:86]
	v_div_fixup_f64 v[81:82], v[81:82], v[66:67], v[64:65]
	s_delay_alu instid0(VALU_DEP_1) | instskip(NEXT) | instid1(VALU_DEP_1)
	v_fma_f64 v[64:65], v[64:65], v[81:82], v[66:67]
	v_div_scale_f64 v[66:67], null, v[64:65], v[64:65], 1.0
	s_delay_alu instid0(VALU_DEP_1) | instskip(SKIP_2) | instid1(VALU_DEP_1)
	v_rcp_f64_e32 v[83:84], v[66:67]
	s_waitcnt_depctr 0xfff
	v_fma_f64 v[85:86], -v[66:67], v[83:84], 1.0
	v_fma_f64 v[83:84], v[83:84], v[85:86], v[83:84]
	s_delay_alu instid0(VALU_DEP_1) | instskip(NEXT) | instid1(VALU_DEP_1)
	v_fma_f64 v[85:86], -v[66:67], v[83:84], 1.0
	v_fma_f64 v[83:84], v[83:84], v[85:86], v[83:84]
	v_div_scale_f64 v[85:86], vcc_lo, 1.0, v[64:65], 1.0
	s_delay_alu instid0(VALU_DEP_1) | instskip(NEXT) | instid1(VALU_DEP_1)
	v_mul_f64 v[87:88], v[85:86], v[83:84]
	v_fma_f64 v[66:67], -v[66:67], v[87:88], v[85:86]
	s_delay_alu instid0(VALU_DEP_1) | instskip(NEXT) | instid1(VALU_DEP_1)
	v_div_fmas_f64 v[66:67], v[66:67], v[83:84], v[87:88]
	v_div_fixup_f64 v[66:67], v[66:67], v[64:65], 1.0
	s_delay_alu instid0(VALU_DEP_1)
	v_mul_f64 v[64:65], v[81:82], v[66:67]
	v_xor_b32_e32 v67, 0x80000000, v67
.LBB30_70:
	s_and_not1_saveexec_b32 s2, s2
	s_cbranch_execz .LBB30_72
; %bb.71:
	s_delay_alu instid0(VALU_DEP_1) | instskip(SKIP_1) | instid1(VALU_DEP_2)
	v_div_scale_f64 v[81:82], null, v[64:65], v[64:65], v[66:67]
	v_div_scale_f64 v[87:88], vcc_lo, v[66:67], v[64:65], v[66:67]
	v_rcp_f64_e32 v[83:84], v[81:82]
	s_waitcnt_depctr 0xfff
	v_fma_f64 v[85:86], -v[81:82], v[83:84], 1.0
	s_delay_alu instid0(VALU_DEP_1) | instskip(NEXT) | instid1(VALU_DEP_1)
	v_fma_f64 v[83:84], v[83:84], v[85:86], v[83:84]
	v_fma_f64 v[85:86], -v[81:82], v[83:84], 1.0
	s_delay_alu instid0(VALU_DEP_1) | instskip(NEXT) | instid1(VALU_DEP_1)
	v_fma_f64 v[83:84], v[83:84], v[85:86], v[83:84]
	v_mul_f64 v[85:86], v[87:88], v[83:84]
	s_delay_alu instid0(VALU_DEP_1) | instskip(NEXT) | instid1(VALU_DEP_1)
	v_fma_f64 v[81:82], -v[81:82], v[85:86], v[87:88]
	v_div_fmas_f64 v[81:82], v[81:82], v[83:84], v[85:86]
	s_delay_alu instid0(VALU_DEP_1) | instskip(NEXT) | instid1(VALU_DEP_1)
	v_div_fixup_f64 v[81:82], v[81:82], v[64:65], v[66:67]
	v_fma_f64 v[64:65], v[66:67], v[81:82], v[64:65]
	s_delay_alu instid0(VALU_DEP_1) | instskip(NEXT) | instid1(VALU_DEP_1)
	v_div_scale_f64 v[66:67], null, v[64:65], v[64:65], 1.0
	v_rcp_f64_e32 v[83:84], v[66:67]
	s_waitcnt_depctr 0xfff
	v_fma_f64 v[85:86], -v[66:67], v[83:84], 1.0
	s_delay_alu instid0(VALU_DEP_1) | instskip(NEXT) | instid1(VALU_DEP_1)
	v_fma_f64 v[83:84], v[83:84], v[85:86], v[83:84]
	v_fma_f64 v[85:86], -v[66:67], v[83:84], 1.0
	s_delay_alu instid0(VALU_DEP_1) | instskip(SKIP_1) | instid1(VALU_DEP_1)
	v_fma_f64 v[83:84], v[83:84], v[85:86], v[83:84]
	v_div_scale_f64 v[85:86], vcc_lo, 1.0, v[64:65], 1.0
	v_mul_f64 v[87:88], v[85:86], v[83:84]
	s_delay_alu instid0(VALU_DEP_1) | instskip(NEXT) | instid1(VALU_DEP_1)
	v_fma_f64 v[66:67], -v[66:67], v[87:88], v[85:86]
	v_div_fmas_f64 v[66:67], v[66:67], v[83:84], v[87:88]
	s_delay_alu instid0(VALU_DEP_1) | instskip(NEXT) | instid1(VALU_DEP_1)
	v_div_fixup_f64 v[64:65], v[66:67], v[64:65], 1.0
	v_mul_f64 v[66:67], v[81:82], -v[64:65]
.LBB30_72:
	s_or_b32 exec_lo, exec_lo, s2
.LBB30_73:
	s_delay_alu instid0(SALU_CYCLE_1) | instskip(NEXT) | instid1(SALU_CYCLE_1)
	s_or_b32 exec_lo, exec_lo, s3
	s_mov_b32 s2, exec_lo
	v_cmpx_ne_u32_e64 v80, v72
	s_xor_b32 s2, exec_lo, s2
	s_cbranch_execz .LBB30_79
; %bb.74:
	s_mov_b32 s3, exec_lo
	v_cmpx_eq_u32_e32 3, v80
	s_cbranch_execz .LBB30_78
; %bb.75:
	v_cmp_ne_u32_e32 vcc_lo, 3, v72
	s_xor_b32 s6, s4, -1
	s_delay_alu instid0(SALU_CYCLE_1) | instskip(NEXT) | instid1(SALU_CYCLE_1)
	s_and_b32 s7, s6, vcc_lo
	s_and_saveexec_b32 s6, s7
	s_cbranch_execz .LBB30_77
; %bb.76:
	v_ashrrev_i32_e32 v73, 31, v72
	s_delay_alu instid0(VALU_DEP_1) | instskip(NEXT) | instid1(VALU_DEP_1)
	v_lshlrev_b64 v[80:81], 2, v[72:73]
	v_add_co_u32 v80, vcc_lo, v70, v80
	s_delay_alu instid0(VALU_DEP_2)
	v_add_co_ci_u32_e32 v81, vcc_lo, v71, v81, vcc_lo
	s_clause 0x1
	flat_load_b32 v73, v[80:81]
	flat_load_b32 v77, v[70:71] offset:12
	s_waitcnt vmcnt(1) lgkmcnt(1)
	flat_store_b32 v[70:71], v73 offset:12
	s_waitcnt vmcnt(0) lgkmcnt(1)
	flat_store_b32 v[80:81], v77
.LBB30_77:
	s_or_b32 exec_lo, exec_lo, s6
	v_mov_b32_e32 v80, v72
	v_mov_b32_e32 v77, v72
.LBB30_78:
	s_or_b32 exec_lo, exec_lo, s3
.LBB30_79:
	s_and_not1_saveexec_b32 s2, s2
	s_cbranch_execz .LBB30_81
; %bb.80:
	v_mov_b32_e32 v80, 3
	ds_store_2addr_b64 v74, v[48:49], v[50:51] offset0:8 offset1:9
	ds_store_2addr_b64 v74, v[44:45], v[46:47] offset0:10 offset1:11
	;; [unrolled: 1-line block ×12, first 2 shown]
.LBB30_81:
	s_or_b32 exec_lo, exec_lo, s2
	s_delay_alu instid0(SALU_CYCLE_1)
	s_mov_b32 s2, exec_lo
	s_waitcnt lgkmcnt(0)
	s_waitcnt_vscnt null, 0x0
	s_barrier
	buffer_gl0_inv
	v_cmpx_lt_i32_e32 3, v80
	s_cbranch_execz .LBB30_83
; %bb.82:
	v_mul_f64 v[72:73], v[64:65], v[54:55]
	v_mul_f64 v[54:55], v[66:67], v[54:55]
	ds_load_2addr_b64 v[81:84], v74 offset0:8 offset1:9
	ds_load_2addr_b64 v[85:88], v74 offset0:10 offset1:11
	;; [unrolled: 1-line block ×12, first 2 shown]
	v_fma_f64 v[66:67], v[66:67], v[52:53], v[72:73]
	v_fma_f64 v[52:53], v[64:65], v[52:53], -v[54:55]
	s_waitcnt lgkmcnt(11)
	s_delay_alu instid0(VALU_DEP_2)
	v_mul_f64 v[54:55], v[83:84], v[66:67]
	v_mul_f64 v[64:65], v[81:82], v[66:67]
	s_waitcnt lgkmcnt(10)
	v_mul_f64 v[72:73], v[87:88], v[66:67]
	v_mul_f64 v[129:130], v[85:86], v[66:67]
	s_waitcnt lgkmcnt(9)
	;; [unrolled: 3-line block ×11, first 2 shown]
	v_mul_f64 v[167:168], v[127:128], v[66:67]
	v_mul_f64 v[169:170], v[125:126], v[66:67]
	v_fma_f64 v[54:55], v[81:82], v[52:53], -v[54:55]
	v_fma_f64 v[64:65], v[83:84], v[52:53], v[64:65]
	v_fma_f64 v[72:73], v[85:86], v[52:53], -v[72:73]
	v_fma_f64 v[81:82], v[87:88], v[52:53], v[129:130]
	;; [unrolled: 2-line block ×12, first 2 shown]
	v_add_f64 v[48:49], v[48:49], -v[54:55]
	v_add_f64 v[50:51], v[50:51], -v[64:65]
	;; [unrolled: 1-line block ×24, first 2 shown]
	v_dual_mov_b32 v54, v66 :: v_dual_mov_b32 v55, v67
.LBB30_83:
	s_or_b32 exec_lo, exec_lo, s2
	v_lshl_add_u32 v64, v80, 4, v74
	s_barrier
	buffer_gl0_inv
	v_mov_b32_e32 v72, 4
	ds_store_2addr_b64 v64, v[48:49], v[50:51] offset1:1
	s_waitcnt lgkmcnt(0)
	s_barrier
	buffer_gl0_inv
	ds_load_2addr_b64 v[64:67], v74 offset0:8 offset1:9
	s_cmp_lt_i32 s5, 6
	s_cbranch_scc1 .LBB30_86
; %bb.84:
	v_add3_u32 v73, v79, 0, 0x50
	v_mov_b32_e32 v72, 4
	s_mov_b32 s6, 5
	s_set_inst_prefetch_distance 0x1
	.p2align	6
.LBB30_85:                              ; =>This Inner Loop Header: Depth=1
	ds_load_2addr_b64 v[81:84], v73 offset1:1
	s_waitcnt lgkmcnt(1)
	v_cmp_gt_f64_e32 vcc_lo, 0, v[64:65]
	v_xor_b32_e32 v85, 0x80000000, v65
	v_cmp_gt_f64_e64 s2, 0, v[66:67]
	v_xor_b32_e32 v87, 0x80000000, v67
	v_add_nc_u32_e32 v73, 16, v73
	s_waitcnt lgkmcnt(0)
	v_cmp_gt_f64_e64 s3, 0, v[81:82]
	v_mov_b32_e32 v89, v81
	v_dual_mov_b32 v91, v83 :: v_dual_cndmask_b32 v86, v65, v85
	v_xor_b32_e32 v85, 0x80000000, v82
	v_cndmask_b32_e64 v88, v67, v87, s2
	v_xor_b32_e32 v87, 0x80000000, v84
	s_delay_alu instid0(VALU_DEP_3) | instskip(SKIP_2) | instid1(VALU_DEP_2)
	v_cndmask_b32_e64 v90, v82, v85, s3
	v_cmp_gt_f64_e64 s3, 0, v[83:84]
	v_cndmask_b32_e32 v85, v64, v64, vcc_lo
	v_cndmask_b32_e64 v92, v84, v87, s3
	v_cndmask_b32_e64 v87, v66, v66, s2
	s_delay_alu instid0(VALU_DEP_2) | instskip(NEXT) | instid1(VALU_DEP_2)
	v_add_f64 v[89:90], v[89:90], v[91:92]
	v_add_f64 v[85:86], v[85:86], v[87:88]
	s_delay_alu instid0(VALU_DEP_1) | instskip(SKIP_4) | instid1(SALU_CYCLE_1)
	v_cmp_lt_f64_e32 vcc_lo, v[85:86], v[89:90]
	v_dual_cndmask_b32 v66, v66, v83 :: v_dual_cndmask_b32 v65, v65, v82
	v_dual_cndmask_b32 v64, v64, v81 :: v_dual_cndmask_b32 v67, v67, v84
	v_cndmask_b32_e64 v72, v72, s6, vcc_lo
	s_add_i32 s6, s6, 1
	s_cmp_lg_u32 s5, s6
	s_cbranch_scc1 .LBB30_85
.LBB30_86:
	s_set_inst_prefetch_distance 0x2
	s_waitcnt lgkmcnt(0)
	v_cmp_eq_f64_e32 vcc_lo, 0, v[64:65]
	v_cmp_eq_f64_e64 s2, 0, v[66:67]
	s_delay_alu instid0(VALU_DEP_1) | instskip(NEXT) | instid1(SALU_CYCLE_1)
	s_and_b32 s2, vcc_lo, s2
	s_and_saveexec_b32 s3, s2
	s_delay_alu instid0(SALU_CYCLE_1)
	s_xor_b32 s2, exec_lo, s3
; %bb.87:
	v_cmp_ne_u32_e32 vcc_lo, 0, v78
	v_cndmask_b32_e32 v78, 5, v78, vcc_lo
; %bb.88:
	s_and_not1_saveexec_b32 s3, s2
	s_cbranch_execz .LBB30_94
; %bb.89:
	v_cmp_gt_f64_e32 vcc_lo, 0, v[64:65]
	v_cmp_gt_f64_e64 s2, 0, v[66:67]
	v_xor_b32_e32 v73, 0x80000000, v65
	v_xor_b32_e32 v81, 0x80000000, v67
	s_delay_alu instid0(VALU_DEP_2) | instskip(NEXT) | instid1(VALU_DEP_2)
	v_cndmask_b32_e32 v82, v65, v73, vcc_lo
	v_cndmask_b32_e64 v84, v67, v81, s2
	v_cndmask_b32_e32 v81, v64, v64, vcc_lo
	v_cndmask_b32_e64 v83, v66, v66, s2
	s_mov_b32 s2, exec_lo
	s_delay_alu instid0(VALU_DEP_1)
	v_cmpx_ngt_f64_e32 v[81:82], v[83:84]
	s_xor_b32 s2, exec_lo, s2
	s_cbranch_execz .LBB30_91
; %bb.90:
	v_div_scale_f64 v[81:82], null, v[66:67], v[66:67], v[64:65]
	v_div_scale_f64 v[87:88], vcc_lo, v[64:65], v[66:67], v[64:65]
	s_delay_alu instid0(VALU_DEP_2) | instskip(SKIP_2) | instid1(VALU_DEP_1)
	v_rcp_f64_e32 v[83:84], v[81:82]
	s_waitcnt_depctr 0xfff
	v_fma_f64 v[85:86], -v[81:82], v[83:84], 1.0
	v_fma_f64 v[83:84], v[83:84], v[85:86], v[83:84]
	s_delay_alu instid0(VALU_DEP_1) | instskip(NEXT) | instid1(VALU_DEP_1)
	v_fma_f64 v[85:86], -v[81:82], v[83:84], 1.0
	v_fma_f64 v[83:84], v[83:84], v[85:86], v[83:84]
	s_delay_alu instid0(VALU_DEP_1) | instskip(NEXT) | instid1(VALU_DEP_1)
	v_mul_f64 v[85:86], v[87:88], v[83:84]
	v_fma_f64 v[81:82], -v[81:82], v[85:86], v[87:88]
	s_delay_alu instid0(VALU_DEP_1) | instskip(NEXT) | instid1(VALU_DEP_1)
	v_div_fmas_f64 v[81:82], v[81:82], v[83:84], v[85:86]
	v_div_fixup_f64 v[81:82], v[81:82], v[66:67], v[64:65]
	s_delay_alu instid0(VALU_DEP_1) | instskip(NEXT) | instid1(VALU_DEP_1)
	v_fma_f64 v[64:65], v[64:65], v[81:82], v[66:67]
	v_div_scale_f64 v[66:67], null, v[64:65], v[64:65], 1.0
	s_delay_alu instid0(VALU_DEP_1) | instskip(SKIP_2) | instid1(VALU_DEP_1)
	v_rcp_f64_e32 v[83:84], v[66:67]
	s_waitcnt_depctr 0xfff
	v_fma_f64 v[85:86], -v[66:67], v[83:84], 1.0
	v_fma_f64 v[83:84], v[83:84], v[85:86], v[83:84]
	s_delay_alu instid0(VALU_DEP_1) | instskip(NEXT) | instid1(VALU_DEP_1)
	v_fma_f64 v[85:86], -v[66:67], v[83:84], 1.0
	v_fma_f64 v[83:84], v[83:84], v[85:86], v[83:84]
	v_div_scale_f64 v[85:86], vcc_lo, 1.0, v[64:65], 1.0
	s_delay_alu instid0(VALU_DEP_1) | instskip(NEXT) | instid1(VALU_DEP_1)
	v_mul_f64 v[87:88], v[85:86], v[83:84]
	v_fma_f64 v[66:67], -v[66:67], v[87:88], v[85:86]
	s_delay_alu instid0(VALU_DEP_1) | instskip(NEXT) | instid1(VALU_DEP_1)
	v_div_fmas_f64 v[66:67], v[66:67], v[83:84], v[87:88]
	v_div_fixup_f64 v[66:67], v[66:67], v[64:65], 1.0
	s_delay_alu instid0(VALU_DEP_1)
	v_mul_f64 v[64:65], v[81:82], v[66:67]
	v_xor_b32_e32 v67, 0x80000000, v67
.LBB30_91:
	s_and_not1_saveexec_b32 s2, s2
	s_cbranch_execz .LBB30_93
; %bb.92:
	s_delay_alu instid0(VALU_DEP_1) | instskip(SKIP_1) | instid1(VALU_DEP_2)
	v_div_scale_f64 v[81:82], null, v[64:65], v[64:65], v[66:67]
	v_div_scale_f64 v[87:88], vcc_lo, v[66:67], v[64:65], v[66:67]
	v_rcp_f64_e32 v[83:84], v[81:82]
	s_waitcnt_depctr 0xfff
	v_fma_f64 v[85:86], -v[81:82], v[83:84], 1.0
	s_delay_alu instid0(VALU_DEP_1) | instskip(NEXT) | instid1(VALU_DEP_1)
	v_fma_f64 v[83:84], v[83:84], v[85:86], v[83:84]
	v_fma_f64 v[85:86], -v[81:82], v[83:84], 1.0
	s_delay_alu instid0(VALU_DEP_1) | instskip(NEXT) | instid1(VALU_DEP_1)
	v_fma_f64 v[83:84], v[83:84], v[85:86], v[83:84]
	v_mul_f64 v[85:86], v[87:88], v[83:84]
	s_delay_alu instid0(VALU_DEP_1) | instskip(NEXT) | instid1(VALU_DEP_1)
	v_fma_f64 v[81:82], -v[81:82], v[85:86], v[87:88]
	v_div_fmas_f64 v[81:82], v[81:82], v[83:84], v[85:86]
	s_delay_alu instid0(VALU_DEP_1) | instskip(NEXT) | instid1(VALU_DEP_1)
	v_div_fixup_f64 v[81:82], v[81:82], v[64:65], v[66:67]
	v_fma_f64 v[64:65], v[66:67], v[81:82], v[64:65]
	s_delay_alu instid0(VALU_DEP_1) | instskip(NEXT) | instid1(VALU_DEP_1)
	v_div_scale_f64 v[66:67], null, v[64:65], v[64:65], 1.0
	v_rcp_f64_e32 v[83:84], v[66:67]
	s_waitcnt_depctr 0xfff
	v_fma_f64 v[85:86], -v[66:67], v[83:84], 1.0
	s_delay_alu instid0(VALU_DEP_1) | instskip(NEXT) | instid1(VALU_DEP_1)
	v_fma_f64 v[83:84], v[83:84], v[85:86], v[83:84]
	v_fma_f64 v[85:86], -v[66:67], v[83:84], 1.0
	s_delay_alu instid0(VALU_DEP_1) | instskip(SKIP_1) | instid1(VALU_DEP_1)
	v_fma_f64 v[83:84], v[83:84], v[85:86], v[83:84]
	v_div_scale_f64 v[85:86], vcc_lo, 1.0, v[64:65], 1.0
	v_mul_f64 v[87:88], v[85:86], v[83:84]
	s_delay_alu instid0(VALU_DEP_1) | instskip(NEXT) | instid1(VALU_DEP_1)
	v_fma_f64 v[66:67], -v[66:67], v[87:88], v[85:86]
	v_div_fmas_f64 v[66:67], v[66:67], v[83:84], v[87:88]
	s_delay_alu instid0(VALU_DEP_1) | instskip(NEXT) | instid1(VALU_DEP_1)
	v_div_fixup_f64 v[64:65], v[66:67], v[64:65], 1.0
	v_mul_f64 v[66:67], v[81:82], -v[64:65]
.LBB30_93:
	s_or_b32 exec_lo, exec_lo, s2
.LBB30_94:
	s_delay_alu instid0(SALU_CYCLE_1) | instskip(NEXT) | instid1(SALU_CYCLE_1)
	s_or_b32 exec_lo, exec_lo, s3
	s_mov_b32 s2, exec_lo
	v_cmpx_ne_u32_e64 v80, v72
	s_xor_b32 s2, exec_lo, s2
	s_cbranch_execz .LBB30_100
; %bb.95:
	s_mov_b32 s3, exec_lo
	v_cmpx_eq_u32_e32 4, v80
	s_cbranch_execz .LBB30_99
; %bb.96:
	v_cmp_ne_u32_e32 vcc_lo, 4, v72
	s_xor_b32 s6, s4, -1
	s_delay_alu instid0(SALU_CYCLE_1) | instskip(NEXT) | instid1(SALU_CYCLE_1)
	s_and_b32 s7, s6, vcc_lo
	s_and_saveexec_b32 s6, s7
	s_cbranch_execz .LBB30_98
; %bb.97:
	v_ashrrev_i32_e32 v73, 31, v72
	s_delay_alu instid0(VALU_DEP_1) | instskip(NEXT) | instid1(VALU_DEP_1)
	v_lshlrev_b64 v[80:81], 2, v[72:73]
	v_add_co_u32 v80, vcc_lo, v70, v80
	s_delay_alu instid0(VALU_DEP_2)
	v_add_co_ci_u32_e32 v81, vcc_lo, v71, v81, vcc_lo
	s_clause 0x1
	flat_load_b32 v73, v[80:81]
	flat_load_b32 v77, v[70:71] offset:16
	s_waitcnt vmcnt(1) lgkmcnt(1)
	flat_store_b32 v[70:71], v73 offset:16
	s_waitcnt vmcnt(0) lgkmcnt(1)
	flat_store_b32 v[80:81], v77
.LBB30_98:
	s_or_b32 exec_lo, exec_lo, s6
	v_mov_b32_e32 v80, v72
	v_mov_b32_e32 v77, v72
.LBB30_99:
	s_or_b32 exec_lo, exec_lo, s3
.LBB30_100:
	s_and_not1_saveexec_b32 s2, s2
	s_cbranch_execz .LBB30_102
; %bb.101:
	v_mov_b32_e32 v80, 4
	ds_store_2addr_b64 v74, v[44:45], v[46:47] offset0:10 offset1:11
	ds_store_2addr_b64 v74, v[28:29], v[30:31] offset0:12 offset1:13
	;; [unrolled: 1-line block ×11, first 2 shown]
.LBB30_102:
	s_or_b32 exec_lo, exec_lo, s2
	s_delay_alu instid0(SALU_CYCLE_1)
	s_mov_b32 s2, exec_lo
	s_waitcnt lgkmcnt(0)
	s_waitcnt_vscnt null, 0x0
	s_barrier
	buffer_gl0_inv
	v_cmpx_lt_i32_e32 4, v80
	s_cbranch_execz .LBB30_104
; %bb.103:
	v_mul_f64 v[72:73], v[64:65], v[50:51]
	v_mul_f64 v[50:51], v[66:67], v[50:51]
	ds_load_2addr_b64 v[81:84], v74 offset0:10 offset1:11
	ds_load_2addr_b64 v[85:88], v74 offset0:12 offset1:13
	;; [unrolled: 1-line block ×11, first 2 shown]
	v_fma_f64 v[66:67], v[66:67], v[48:49], v[72:73]
	v_fma_f64 v[48:49], v[64:65], v[48:49], -v[50:51]
	s_waitcnt lgkmcnt(10)
	s_delay_alu instid0(VALU_DEP_2)
	v_mul_f64 v[50:51], v[83:84], v[66:67]
	v_mul_f64 v[64:65], v[81:82], v[66:67]
	s_waitcnt lgkmcnt(9)
	v_mul_f64 v[72:73], v[87:88], v[66:67]
	v_mul_f64 v[125:126], v[85:86], v[66:67]
	s_waitcnt lgkmcnt(8)
	;; [unrolled: 3-line block ×10, first 2 shown]
	v_mul_f64 v[159:160], v[123:124], v[66:67]
	v_mul_f64 v[161:162], v[121:122], v[66:67]
	v_fma_f64 v[50:51], v[81:82], v[48:49], -v[50:51]
	v_fma_f64 v[64:65], v[83:84], v[48:49], v[64:65]
	v_fma_f64 v[72:73], v[85:86], v[48:49], -v[72:73]
	v_fma_f64 v[81:82], v[87:88], v[48:49], v[125:126]
	;; [unrolled: 2-line block ×11, first 2 shown]
	v_add_f64 v[44:45], v[44:45], -v[50:51]
	v_add_f64 v[46:47], v[46:47], -v[64:65]
	v_add_f64 v[28:29], v[28:29], -v[72:73]
	v_add_f64 v[30:31], v[30:31], -v[81:82]
	v_add_f64 v[24:25], v[24:25], -v[83:84]
	v_add_f64 v[26:27], v[26:27], -v[85:86]
	v_add_f64 v[36:37], v[36:37], -v[87:88]
	v_add_f64 v[38:39], v[38:39], -v[89:90]
	v_add_f64 v[20:21], v[20:21], -v[91:92]
	v_add_f64 v[22:23], v[22:23], -v[93:94]
	v_add_f64 v[32:33], v[32:33], -v[95:96]
	v_add_f64 v[34:35], v[34:35], -v[97:98]
	v_add_f64 v[16:17], v[16:17], -v[99:100]
	v_add_f64 v[18:19], v[18:19], -v[101:102]
	v_add_f64 v[12:13], v[12:13], -v[103:104]
	v_add_f64 v[14:15], v[14:15], -v[105:106]
	v_add_f64 v[8:9], v[8:9], -v[107:108]
	v_add_f64 v[10:11], v[10:11], -v[109:110]
	v_add_f64 v[4:5], v[4:5], -v[111:112]
	v_add_f64 v[6:7], v[6:7], -v[113:114]
	v_add_f64 v[0:1], v[0:1], -v[115:116]
	v_add_f64 v[2:3], v[2:3], -v[117:118]
	v_dual_mov_b32 v50, v66 :: v_dual_mov_b32 v51, v67
.LBB30_104:
	s_or_b32 exec_lo, exec_lo, s2
	v_lshl_add_u32 v64, v80, 4, v74
	s_barrier
	buffer_gl0_inv
	v_mov_b32_e32 v72, 5
	ds_store_2addr_b64 v64, v[44:45], v[46:47] offset1:1
	s_waitcnt lgkmcnt(0)
	s_barrier
	buffer_gl0_inv
	ds_load_2addr_b64 v[64:67], v74 offset0:10 offset1:11
	s_cmp_lt_i32 s5, 7
	s_cbranch_scc1 .LBB30_107
; %bb.105:
	v_add3_u32 v73, v79, 0, 0x60
	v_mov_b32_e32 v72, 5
	s_mov_b32 s6, 6
	s_set_inst_prefetch_distance 0x1
	.p2align	6
.LBB30_106:                             ; =>This Inner Loop Header: Depth=1
	ds_load_2addr_b64 v[81:84], v73 offset1:1
	s_waitcnt lgkmcnt(1)
	v_cmp_gt_f64_e32 vcc_lo, 0, v[64:65]
	v_xor_b32_e32 v85, 0x80000000, v65
	v_cmp_gt_f64_e64 s2, 0, v[66:67]
	v_xor_b32_e32 v87, 0x80000000, v67
	v_add_nc_u32_e32 v73, 16, v73
	s_waitcnt lgkmcnt(0)
	v_cmp_gt_f64_e64 s3, 0, v[81:82]
	v_mov_b32_e32 v89, v81
	v_dual_mov_b32 v91, v83 :: v_dual_cndmask_b32 v86, v65, v85
	v_xor_b32_e32 v85, 0x80000000, v82
	v_cndmask_b32_e64 v88, v67, v87, s2
	v_xor_b32_e32 v87, 0x80000000, v84
	s_delay_alu instid0(VALU_DEP_3) | instskip(SKIP_2) | instid1(VALU_DEP_2)
	v_cndmask_b32_e64 v90, v82, v85, s3
	v_cmp_gt_f64_e64 s3, 0, v[83:84]
	v_cndmask_b32_e32 v85, v64, v64, vcc_lo
	v_cndmask_b32_e64 v92, v84, v87, s3
	v_cndmask_b32_e64 v87, v66, v66, s2
	s_delay_alu instid0(VALU_DEP_2) | instskip(NEXT) | instid1(VALU_DEP_2)
	v_add_f64 v[89:90], v[89:90], v[91:92]
	v_add_f64 v[85:86], v[85:86], v[87:88]
	s_delay_alu instid0(VALU_DEP_1) | instskip(SKIP_4) | instid1(SALU_CYCLE_1)
	v_cmp_lt_f64_e32 vcc_lo, v[85:86], v[89:90]
	v_dual_cndmask_b32 v66, v66, v83 :: v_dual_cndmask_b32 v65, v65, v82
	v_dual_cndmask_b32 v64, v64, v81 :: v_dual_cndmask_b32 v67, v67, v84
	v_cndmask_b32_e64 v72, v72, s6, vcc_lo
	s_add_i32 s6, s6, 1
	s_cmp_lg_u32 s5, s6
	s_cbranch_scc1 .LBB30_106
.LBB30_107:
	s_set_inst_prefetch_distance 0x2
	s_waitcnt lgkmcnt(0)
	v_cmp_eq_f64_e32 vcc_lo, 0, v[64:65]
	v_cmp_eq_f64_e64 s2, 0, v[66:67]
	s_delay_alu instid0(VALU_DEP_1) | instskip(NEXT) | instid1(SALU_CYCLE_1)
	s_and_b32 s2, vcc_lo, s2
	s_and_saveexec_b32 s3, s2
	s_delay_alu instid0(SALU_CYCLE_1)
	s_xor_b32 s2, exec_lo, s3
; %bb.108:
	v_cmp_ne_u32_e32 vcc_lo, 0, v78
	v_cndmask_b32_e32 v78, 6, v78, vcc_lo
; %bb.109:
	s_and_not1_saveexec_b32 s3, s2
	s_cbranch_execz .LBB30_115
; %bb.110:
	v_cmp_gt_f64_e32 vcc_lo, 0, v[64:65]
	v_cmp_gt_f64_e64 s2, 0, v[66:67]
	v_xor_b32_e32 v73, 0x80000000, v65
	v_xor_b32_e32 v81, 0x80000000, v67
	s_delay_alu instid0(VALU_DEP_2) | instskip(NEXT) | instid1(VALU_DEP_2)
	v_cndmask_b32_e32 v82, v65, v73, vcc_lo
	v_cndmask_b32_e64 v84, v67, v81, s2
	v_cndmask_b32_e32 v81, v64, v64, vcc_lo
	v_cndmask_b32_e64 v83, v66, v66, s2
	s_mov_b32 s2, exec_lo
	s_delay_alu instid0(VALU_DEP_1)
	v_cmpx_ngt_f64_e32 v[81:82], v[83:84]
	s_xor_b32 s2, exec_lo, s2
	s_cbranch_execz .LBB30_112
; %bb.111:
	v_div_scale_f64 v[81:82], null, v[66:67], v[66:67], v[64:65]
	v_div_scale_f64 v[87:88], vcc_lo, v[64:65], v[66:67], v[64:65]
	s_delay_alu instid0(VALU_DEP_2) | instskip(SKIP_2) | instid1(VALU_DEP_1)
	v_rcp_f64_e32 v[83:84], v[81:82]
	s_waitcnt_depctr 0xfff
	v_fma_f64 v[85:86], -v[81:82], v[83:84], 1.0
	v_fma_f64 v[83:84], v[83:84], v[85:86], v[83:84]
	s_delay_alu instid0(VALU_DEP_1) | instskip(NEXT) | instid1(VALU_DEP_1)
	v_fma_f64 v[85:86], -v[81:82], v[83:84], 1.0
	v_fma_f64 v[83:84], v[83:84], v[85:86], v[83:84]
	s_delay_alu instid0(VALU_DEP_1) | instskip(NEXT) | instid1(VALU_DEP_1)
	v_mul_f64 v[85:86], v[87:88], v[83:84]
	v_fma_f64 v[81:82], -v[81:82], v[85:86], v[87:88]
	s_delay_alu instid0(VALU_DEP_1) | instskip(NEXT) | instid1(VALU_DEP_1)
	v_div_fmas_f64 v[81:82], v[81:82], v[83:84], v[85:86]
	v_div_fixup_f64 v[81:82], v[81:82], v[66:67], v[64:65]
	s_delay_alu instid0(VALU_DEP_1) | instskip(NEXT) | instid1(VALU_DEP_1)
	v_fma_f64 v[64:65], v[64:65], v[81:82], v[66:67]
	v_div_scale_f64 v[66:67], null, v[64:65], v[64:65], 1.0
	s_delay_alu instid0(VALU_DEP_1) | instskip(SKIP_2) | instid1(VALU_DEP_1)
	v_rcp_f64_e32 v[83:84], v[66:67]
	s_waitcnt_depctr 0xfff
	v_fma_f64 v[85:86], -v[66:67], v[83:84], 1.0
	v_fma_f64 v[83:84], v[83:84], v[85:86], v[83:84]
	s_delay_alu instid0(VALU_DEP_1) | instskip(NEXT) | instid1(VALU_DEP_1)
	v_fma_f64 v[85:86], -v[66:67], v[83:84], 1.0
	v_fma_f64 v[83:84], v[83:84], v[85:86], v[83:84]
	v_div_scale_f64 v[85:86], vcc_lo, 1.0, v[64:65], 1.0
	s_delay_alu instid0(VALU_DEP_1) | instskip(NEXT) | instid1(VALU_DEP_1)
	v_mul_f64 v[87:88], v[85:86], v[83:84]
	v_fma_f64 v[66:67], -v[66:67], v[87:88], v[85:86]
	s_delay_alu instid0(VALU_DEP_1) | instskip(NEXT) | instid1(VALU_DEP_1)
	v_div_fmas_f64 v[66:67], v[66:67], v[83:84], v[87:88]
	v_div_fixup_f64 v[66:67], v[66:67], v[64:65], 1.0
	s_delay_alu instid0(VALU_DEP_1)
	v_mul_f64 v[64:65], v[81:82], v[66:67]
	v_xor_b32_e32 v67, 0x80000000, v67
.LBB30_112:
	s_and_not1_saveexec_b32 s2, s2
	s_cbranch_execz .LBB30_114
; %bb.113:
	s_delay_alu instid0(VALU_DEP_1) | instskip(SKIP_1) | instid1(VALU_DEP_2)
	v_div_scale_f64 v[81:82], null, v[64:65], v[64:65], v[66:67]
	v_div_scale_f64 v[87:88], vcc_lo, v[66:67], v[64:65], v[66:67]
	v_rcp_f64_e32 v[83:84], v[81:82]
	s_waitcnt_depctr 0xfff
	v_fma_f64 v[85:86], -v[81:82], v[83:84], 1.0
	s_delay_alu instid0(VALU_DEP_1) | instskip(NEXT) | instid1(VALU_DEP_1)
	v_fma_f64 v[83:84], v[83:84], v[85:86], v[83:84]
	v_fma_f64 v[85:86], -v[81:82], v[83:84], 1.0
	s_delay_alu instid0(VALU_DEP_1) | instskip(NEXT) | instid1(VALU_DEP_1)
	v_fma_f64 v[83:84], v[83:84], v[85:86], v[83:84]
	v_mul_f64 v[85:86], v[87:88], v[83:84]
	s_delay_alu instid0(VALU_DEP_1) | instskip(NEXT) | instid1(VALU_DEP_1)
	v_fma_f64 v[81:82], -v[81:82], v[85:86], v[87:88]
	v_div_fmas_f64 v[81:82], v[81:82], v[83:84], v[85:86]
	s_delay_alu instid0(VALU_DEP_1) | instskip(NEXT) | instid1(VALU_DEP_1)
	v_div_fixup_f64 v[81:82], v[81:82], v[64:65], v[66:67]
	v_fma_f64 v[64:65], v[66:67], v[81:82], v[64:65]
	s_delay_alu instid0(VALU_DEP_1) | instskip(NEXT) | instid1(VALU_DEP_1)
	v_div_scale_f64 v[66:67], null, v[64:65], v[64:65], 1.0
	v_rcp_f64_e32 v[83:84], v[66:67]
	s_waitcnt_depctr 0xfff
	v_fma_f64 v[85:86], -v[66:67], v[83:84], 1.0
	s_delay_alu instid0(VALU_DEP_1) | instskip(NEXT) | instid1(VALU_DEP_1)
	v_fma_f64 v[83:84], v[83:84], v[85:86], v[83:84]
	v_fma_f64 v[85:86], -v[66:67], v[83:84], 1.0
	s_delay_alu instid0(VALU_DEP_1) | instskip(SKIP_1) | instid1(VALU_DEP_1)
	v_fma_f64 v[83:84], v[83:84], v[85:86], v[83:84]
	v_div_scale_f64 v[85:86], vcc_lo, 1.0, v[64:65], 1.0
	v_mul_f64 v[87:88], v[85:86], v[83:84]
	s_delay_alu instid0(VALU_DEP_1) | instskip(NEXT) | instid1(VALU_DEP_1)
	v_fma_f64 v[66:67], -v[66:67], v[87:88], v[85:86]
	v_div_fmas_f64 v[66:67], v[66:67], v[83:84], v[87:88]
	s_delay_alu instid0(VALU_DEP_1) | instskip(NEXT) | instid1(VALU_DEP_1)
	v_div_fixup_f64 v[64:65], v[66:67], v[64:65], 1.0
	v_mul_f64 v[66:67], v[81:82], -v[64:65]
.LBB30_114:
	s_or_b32 exec_lo, exec_lo, s2
.LBB30_115:
	s_delay_alu instid0(SALU_CYCLE_1) | instskip(NEXT) | instid1(SALU_CYCLE_1)
	s_or_b32 exec_lo, exec_lo, s3
	s_mov_b32 s2, exec_lo
	v_cmpx_ne_u32_e64 v80, v72
	s_xor_b32 s2, exec_lo, s2
	s_cbranch_execz .LBB30_121
; %bb.116:
	s_mov_b32 s3, exec_lo
	v_cmpx_eq_u32_e32 5, v80
	s_cbranch_execz .LBB30_120
; %bb.117:
	v_cmp_ne_u32_e32 vcc_lo, 5, v72
	s_xor_b32 s6, s4, -1
	s_delay_alu instid0(SALU_CYCLE_1) | instskip(NEXT) | instid1(SALU_CYCLE_1)
	s_and_b32 s7, s6, vcc_lo
	s_and_saveexec_b32 s6, s7
	s_cbranch_execz .LBB30_119
; %bb.118:
	v_ashrrev_i32_e32 v73, 31, v72
	s_delay_alu instid0(VALU_DEP_1) | instskip(NEXT) | instid1(VALU_DEP_1)
	v_lshlrev_b64 v[80:81], 2, v[72:73]
	v_add_co_u32 v80, vcc_lo, v70, v80
	s_delay_alu instid0(VALU_DEP_2)
	v_add_co_ci_u32_e32 v81, vcc_lo, v71, v81, vcc_lo
	s_clause 0x1
	flat_load_b32 v73, v[80:81]
	flat_load_b32 v77, v[70:71] offset:20
	s_waitcnt vmcnt(1) lgkmcnt(1)
	flat_store_b32 v[70:71], v73 offset:20
	s_waitcnt vmcnt(0) lgkmcnt(1)
	flat_store_b32 v[80:81], v77
.LBB30_119:
	s_or_b32 exec_lo, exec_lo, s6
	v_mov_b32_e32 v80, v72
	v_mov_b32_e32 v77, v72
.LBB30_120:
	s_or_b32 exec_lo, exec_lo, s3
.LBB30_121:
	s_and_not1_saveexec_b32 s2, s2
	s_cbranch_execz .LBB30_123
; %bb.122:
	v_mov_b32_e32 v80, 5
	ds_store_2addr_b64 v74, v[28:29], v[30:31] offset0:12 offset1:13
	ds_store_2addr_b64 v74, v[24:25], v[26:27] offset0:14 offset1:15
	;; [unrolled: 1-line block ×10, first 2 shown]
.LBB30_123:
	s_or_b32 exec_lo, exec_lo, s2
	s_delay_alu instid0(SALU_CYCLE_1)
	s_mov_b32 s2, exec_lo
	s_waitcnt lgkmcnt(0)
	s_waitcnt_vscnt null, 0x0
	s_barrier
	buffer_gl0_inv
	v_cmpx_lt_i32_e32 5, v80
	s_cbranch_execz .LBB30_125
; %bb.124:
	v_mul_f64 v[72:73], v[64:65], v[46:47]
	v_mul_f64 v[46:47], v[66:67], v[46:47]
	ds_load_2addr_b64 v[81:84], v74 offset0:12 offset1:13
	ds_load_2addr_b64 v[85:88], v74 offset0:14 offset1:15
	;; [unrolled: 1-line block ×10, first 2 shown]
	v_fma_f64 v[66:67], v[66:67], v[44:45], v[72:73]
	v_fma_f64 v[44:45], v[64:65], v[44:45], -v[46:47]
	s_waitcnt lgkmcnt(9)
	s_delay_alu instid0(VALU_DEP_2)
	v_mul_f64 v[46:47], v[83:84], v[66:67]
	v_mul_f64 v[64:65], v[81:82], v[66:67]
	s_waitcnt lgkmcnt(8)
	v_mul_f64 v[72:73], v[87:88], v[66:67]
	v_mul_f64 v[121:122], v[85:86], v[66:67]
	s_waitcnt lgkmcnt(7)
	;; [unrolled: 3-line block ×9, first 2 shown]
	v_mul_f64 v[151:152], v[119:120], v[66:67]
	v_mul_f64 v[153:154], v[117:118], v[66:67]
	v_fma_f64 v[46:47], v[81:82], v[44:45], -v[46:47]
	v_fma_f64 v[64:65], v[83:84], v[44:45], v[64:65]
	v_fma_f64 v[72:73], v[85:86], v[44:45], -v[72:73]
	v_fma_f64 v[81:82], v[87:88], v[44:45], v[121:122]
	;; [unrolled: 2-line block ×10, first 2 shown]
	v_add_f64 v[28:29], v[28:29], -v[46:47]
	v_add_f64 v[30:31], v[30:31], -v[64:65]
	;; [unrolled: 1-line block ×20, first 2 shown]
	v_dual_mov_b32 v46, v66 :: v_dual_mov_b32 v47, v67
.LBB30_125:
	s_or_b32 exec_lo, exec_lo, s2
	v_lshl_add_u32 v64, v80, 4, v74
	s_barrier
	buffer_gl0_inv
	v_mov_b32_e32 v72, 6
	ds_store_2addr_b64 v64, v[28:29], v[30:31] offset1:1
	s_waitcnt lgkmcnt(0)
	s_barrier
	buffer_gl0_inv
	ds_load_2addr_b64 v[64:67], v74 offset0:12 offset1:13
	s_cmp_lt_i32 s5, 8
	s_cbranch_scc1 .LBB30_128
; %bb.126:
	v_add3_u32 v73, v79, 0, 0x70
	v_mov_b32_e32 v72, 6
	s_mov_b32 s6, 7
	s_set_inst_prefetch_distance 0x1
	.p2align	6
.LBB30_127:                             ; =>This Inner Loop Header: Depth=1
	ds_load_2addr_b64 v[81:84], v73 offset1:1
	s_waitcnt lgkmcnt(1)
	v_cmp_gt_f64_e32 vcc_lo, 0, v[64:65]
	v_xor_b32_e32 v85, 0x80000000, v65
	v_cmp_gt_f64_e64 s2, 0, v[66:67]
	v_xor_b32_e32 v87, 0x80000000, v67
	v_add_nc_u32_e32 v73, 16, v73
	s_waitcnt lgkmcnt(0)
	v_cmp_gt_f64_e64 s3, 0, v[81:82]
	v_mov_b32_e32 v89, v81
	v_dual_mov_b32 v91, v83 :: v_dual_cndmask_b32 v86, v65, v85
	v_xor_b32_e32 v85, 0x80000000, v82
	v_cndmask_b32_e64 v88, v67, v87, s2
	v_xor_b32_e32 v87, 0x80000000, v84
	s_delay_alu instid0(VALU_DEP_3) | instskip(SKIP_2) | instid1(VALU_DEP_2)
	v_cndmask_b32_e64 v90, v82, v85, s3
	v_cmp_gt_f64_e64 s3, 0, v[83:84]
	v_cndmask_b32_e32 v85, v64, v64, vcc_lo
	v_cndmask_b32_e64 v92, v84, v87, s3
	v_cndmask_b32_e64 v87, v66, v66, s2
	s_delay_alu instid0(VALU_DEP_2) | instskip(NEXT) | instid1(VALU_DEP_2)
	v_add_f64 v[89:90], v[89:90], v[91:92]
	v_add_f64 v[85:86], v[85:86], v[87:88]
	s_delay_alu instid0(VALU_DEP_1) | instskip(SKIP_4) | instid1(SALU_CYCLE_1)
	v_cmp_lt_f64_e32 vcc_lo, v[85:86], v[89:90]
	v_dual_cndmask_b32 v66, v66, v83 :: v_dual_cndmask_b32 v65, v65, v82
	v_dual_cndmask_b32 v64, v64, v81 :: v_dual_cndmask_b32 v67, v67, v84
	v_cndmask_b32_e64 v72, v72, s6, vcc_lo
	s_add_i32 s6, s6, 1
	s_cmp_lg_u32 s5, s6
	s_cbranch_scc1 .LBB30_127
.LBB30_128:
	s_set_inst_prefetch_distance 0x2
	s_waitcnt lgkmcnt(0)
	v_cmp_eq_f64_e32 vcc_lo, 0, v[64:65]
	v_cmp_eq_f64_e64 s2, 0, v[66:67]
	s_delay_alu instid0(VALU_DEP_1) | instskip(NEXT) | instid1(SALU_CYCLE_1)
	s_and_b32 s2, vcc_lo, s2
	s_and_saveexec_b32 s3, s2
	s_delay_alu instid0(SALU_CYCLE_1)
	s_xor_b32 s2, exec_lo, s3
; %bb.129:
	v_cmp_ne_u32_e32 vcc_lo, 0, v78
	v_cndmask_b32_e32 v78, 7, v78, vcc_lo
; %bb.130:
	s_and_not1_saveexec_b32 s3, s2
	s_cbranch_execz .LBB30_136
; %bb.131:
	v_cmp_gt_f64_e32 vcc_lo, 0, v[64:65]
	v_cmp_gt_f64_e64 s2, 0, v[66:67]
	v_xor_b32_e32 v73, 0x80000000, v65
	v_xor_b32_e32 v81, 0x80000000, v67
	s_delay_alu instid0(VALU_DEP_2) | instskip(NEXT) | instid1(VALU_DEP_2)
	v_cndmask_b32_e32 v82, v65, v73, vcc_lo
	v_cndmask_b32_e64 v84, v67, v81, s2
	v_cndmask_b32_e32 v81, v64, v64, vcc_lo
	v_cndmask_b32_e64 v83, v66, v66, s2
	s_mov_b32 s2, exec_lo
	s_delay_alu instid0(VALU_DEP_1)
	v_cmpx_ngt_f64_e32 v[81:82], v[83:84]
	s_xor_b32 s2, exec_lo, s2
	s_cbranch_execz .LBB30_133
; %bb.132:
	v_div_scale_f64 v[81:82], null, v[66:67], v[66:67], v[64:65]
	v_div_scale_f64 v[87:88], vcc_lo, v[64:65], v[66:67], v[64:65]
	s_delay_alu instid0(VALU_DEP_2) | instskip(SKIP_2) | instid1(VALU_DEP_1)
	v_rcp_f64_e32 v[83:84], v[81:82]
	s_waitcnt_depctr 0xfff
	v_fma_f64 v[85:86], -v[81:82], v[83:84], 1.0
	v_fma_f64 v[83:84], v[83:84], v[85:86], v[83:84]
	s_delay_alu instid0(VALU_DEP_1) | instskip(NEXT) | instid1(VALU_DEP_1)
	v_fma_f64 v[85:86], -v[81:82], v[83:84], 1.0
	v_fma_f64 v[83:84], v[83:84], v[85:86], v[83:84]
	s_delay_alu instid0(VALU_DEP_1) | instskip(NEXT) | instid1(VALU_DEP_1)
	v_mul_f64 v[85:86], v[87:88], v[83:84]
	v_fma_f64 v[81:82], -v[81:82], v[85:86], v[87:88]
	s_delay_alu instid0(VALU_DEP_1) | instskip(NEXT) | instid1(VALU_DEP_1)
	v_div_fmas_f64 v[81:82], v[81:82], v[83:84], v[85:86]
	v_div_fixup_f64 v[81:82], v[81:82], v[66:67], v[64:65]
	s_delay_alu instid0(VALU_DEP_1) | instskip(NEXT) | instid1(VALU_DEP_1)
	v_fma_f64 v[64:65], v[64:65], v[81:82], v[66:67]
	v_div_scale_f64 v[66:67], null, v[64:65], v[64:65], 1.0
	s_delay_alu instid0(VALU_DEP_1) | instskip(SKIP_2) | instid1(VALU_DEP_1)
	v_rcp_f64_e32 v[83:84], v[66:67]
	s_waitcnt_depctr 0xfff
	v_fma_f64 v[85:86], -v[66:67], v[83:84], 1.0
	v_fma_f64 v[83:84], v[83:84], v[85:86], v[83:84]
	s_delay_alu instid0(VALU_DEP_1) | instskip(NEXT) | instid1(VALU_DEP_1)
	v_fma_f64 v[85:86], -v[66:67], v[83:84], 1.0
	v_fma_f64 v[83:84], v[83:84], v[85:86], v[83:84]
	v_div_scale_f64 v[85:86], vcc_lo, 1.0, v[64:65], 1.0
	s_delay_alu instid0(VALU_DEP_1) | instskip(NEXT) | instid1(VALU_DEP_1)
	v_mul_f64 v[87:88], v[85:86], v[83:84]
	v_fma_f64 v[66:67], -v[66:67], v[87:88], v[85:86]
	s_delay_alu instid0(VALU_DEP_1) | instskip(NEXT) | instid1(VALU_DEP_1)
	v_div_fmas_f64 v[66:67], v[66:67], v[83:84], v[87:88]
	v_div_fixup_f64 v[66:67], v[66:67], v[64:65], 1.0
	s_delay_alu instid0(VALU_DEP_1)
	v_mul_f64 v[64:65], v[81:82], v[66:67]
	v_xor_b32_e32 v67, 0x80000000, v67
.LBB30_133:
	s_and_not1_saveexec_b32 s2, s2
	s_cbranch_execz .LBB30_135
; %bb.134:
	s_delay_alu instid0(VALU_DEP_1) | instskip(SKIP_1) | instid1(VALU_DEP_2)
	v_div_scale_f64 v[81:82], null, v[64:65], v[64:65], v[66:67]
	v_div_scale_f64 v[87:88], vcc_lo, v[66:67], v[64:65], v[66:67]
	v_rcp_f64_e32 v[83:84], v[81:82]
	s_waitcnt_depctr 0xfff
	v_fma_f64 v[85:86], -v[81:82], v[83:84], 1.0
	s_delay_alu instid0(VALU_DEP_1) | instskip(NEXT) | instid1(VALU_DEP_1)
	v_fma_f64 v[83:84], v[83:84], v[85:86], v[83:84]
	v_fma_f64 v[85:86], -v[81:82], v[83:84], 1.0
	s_delay_alu instid0(VALU_DEP_1) | instskip(NEXT) | instid1(VALU_DEP_1)
	v_fma_f64 v[83:84], v[83:84], v[85:86], v[83:84]
	v_mul_f64 v[85:86], v[87:88], v[83:84]
	s_delay_alu instid0(VALU_DEP_1) | instskip(NEXT) | instid1(VALU_DEP_1)
	v_fma_f64 v[81:82], -v[81:82], v[85:86], v[87:88]
	v_div_fmas_f64 v[81:82], v[81:82], v[83:84], v[85:86]
	s_delay_alu instid0(VALU_DEP_1) | instskip(NEXT) | instid1(VALU_DEP_1)
	v_div_fixup_f64 v[81:82], v[81:82], v[64:65], v[66:67]
	v_fma_f64 v[64:65], v[66:67], v[81:82], v[64:65]
	s_delay_alu instid0(VALU_DEP_1) | instskip(NEXT) | instid1(VALU_DEP_1)
	v_div_scale_f64 v[66:67], null, v[64:65], v[64:65], 1.0
	v_rcp_f64_e32 v[83:84], v[66:67]
	s_waitcnt_depctr 0xfff
	v_fma_f64 v[85:86], -v[66:67], v[83:84], 1.0
	s_delay_alu instid0(VALU_DEP_1) | instskip(NEXT) | instid1(VALU_DEP_1)
	v_fma_f64 v[83:84], v[83:84], v[85:86], v[83:84]
	v_fma_f64 v[85:86], -v[66:67], v[83:84], 1.0
	s_delay_alu instid0(VALU_DEP_1) | instskip(SKIP_1) | instid1(VALU_DEP_1)
	v_fma_f64 v[83:84], v[83:84], v[85:86], v[83:84]
	v_div_scale_f64 v[85:86], vcc_lo, 1.0, v[64:65], 1.0
	v_mul_f64 v[87:88], v[85:86], v[83:84]
	s_delay_alu instid0(VALU_DEP_1) | instskip(NEXT) | instid1(VALU_DEP_1)
	v_fma_f64 v[66:67], -v[66:67], v[87:88], v[85:86]
	v_div_fmas_f64 v[66:67], v[66:67], v[83:84], v[87:88]
	s_delay_alu instid0(VALU_DEP_1) | instskip(NEXT) | instid1(VALU_DEP_1)
	v_div_fixup_f64 v[64:65], v[66:67], v[64:65], 1.0
	v_mul_f64 v[66:67], v[81:82], -v[64:65]
.LBB30_135:
	s_or_b32 exec_lo, exec_lo, s2
.LBB30_136:
	s_delay_alu instid0(SALU_CYCLE_1) | instskip(NEXT) | instid1(SALU_CYCLE_1)
	s_or_b32 exec_lo, exec_lo, s3
	s_mov_b32 s2, exec_lo
	v_cmpx_ne_u32_e64 v80, v72
	s_xor_b32 s2, exec_lo, s2
	s_cbranch_execz .LBB30_142
; %bb.137:
	s_mov_b32 s3, exec_lo
	v_cmpx_eq_u32_e32 6, v80
	s_cbranch_execz .LBB30_141
; %bb.138:
	v_cmp_ne_u32_e32 vcc_lo, 6, v72
	s_xor_b32 s6, s4, -1
	s_delay_alu instid0(SALU_CYCLE_1) | instskip(NEXT) | instid1(SALU_CYCLE_1)
	s_and_b32 s7, s6, vcc_lo
	s_and_saveexec_b32 s6, s7
	s_cbranch_execz .LBB30_140
; %bb.139:
	v_ashrrev_i32_e32 v73, 31, v72
	s_delay_alu instid0(VALU_DEP_1) | instskip(NEXT) | instid1(VALU_DEP_1)
	v_lshlrev_b64 v[80:81], 2, v[72:73]
	v_add_co_u32 v80, vcc_lo, v70, v80
	s_delay_alu instid0(VALU_DEP_2)
	v_add_co_ci_u32_e32 v81, vcc_lo, v71, v81, vcc_lo
	s_clause 0x1
	flat_load_b32 v73, v[80:81]
	flat_load_b32 v77, v[70:71] offset:24
	s_waitcnt vmcnt(1) lgkmcnt(1)
	flat_store_b32 v[70:71], v73 offset:24
	s_waitcnt vmcnt(0) lgkmcnt(1)
	flat_store_b32 v[80:81], v77
.LBB30_140:
	s_or_b32 exec_lo, exec_lo, s6
	v_mov_b32_e32 v80, v72
	v_mov_b32_e32 v77, v72
.LBB30_141:
	s_or_b32 exec_lo, exec_lo, s3
.LBB30_142:
	s_and_not1_saveexec_b32 s2, s2
	s_cbranch_execz .LBB30_144
; %bb.143:
	v_mov_b32_e32 v80, 6
	ds_store_2addr_b64 v74, v[24:25], v[26:27] offset0:14 offset1:15
	ds_store_2addr_b64 v74, v[36:37], v[38:39] offset0:16 offset1:17
	;; [unrolled: 1-line block ×9, first 2 shown]
.LBB30_144:
	s_or_b32 exec_lo, exec_lo, s2
	s_delay_alu instid0(SALU_CYCLE_1)
	s_mov_b32 s2, exec_lo
	s_waitcnt lgkmcnt(0)
	s_waitcnt_vscnt null, 0x0
	s_barrier
	buffer_gl0_inv
	v_cmpx_lt_i32_e32 6, v80
	s_cbranch_execz .LBB30_146
; %bb.145:
	v_mul_f64 v[72:73], v[64:65], v[30:31]
	v_mul_f64 v[30:31], v[66:67], v[30:31]
	ds_load_2addr_b64 v[81:84], v74 offset0:14 offset1:15
	ds_load_2addr_b64 v[85:88], v74 offset0:16 offset1:17
	ds_load_2addr_b64 v[89:92], v74 offset0:18 offset1:19
	ds_load_2addr_b64 v[93:96], v74 offset0:20 offset1:21
	ds_load_2addr_b64 v[97:100], v74 offset0:22 offset1:23
	ds_load_2addr_b64 v[101:104], v74 offset0:24 offset1:25
	ds_load_2addr_b64 v[105:108], v74 offset0:26 offset1:27
	ds_load_2addr_b64 v[109:112], v74 offset0:28 offset1:29
	ds_load_2addr_b64 v[113:116], v74 offset0:30 offset1:31
	v_fma_f64 v[66:67], v[66:67], v[28:29], v[72:73]
	v_fma_f64 v[28:29], v[64:65], v[28:29], -v[30:31]
	s_waitcnt lgkmcnt(8)
	s_delay_alu instid0(VALU_DEP_2)
	v_mul_f64 v[30:31], v[83:84], v[66:67]
	v_mul_f64 v[64:65], v[81:82], v[66:67]
	s_waitcnt lgkmcnt(7)
	v_mul_f64 v[72:73], v[87:88], v[66:67]
	v_mul_f64 v[117:118], v[85:86], v[66:67]
	s_waitcnt lgkmcnt(6)
	;; [unrolled: 3-line block ×8, first 2 shown]
	v_mul_f64 v[143:144], v[115:116], v[66:67]
	v_mul_f64 v[145:146], v[113:114], v[66:67]
	v_fma_f64 v[30:31], v[81:82], v[28:29], -v[30:31]
	v_fma_f64 v[64:65], v[83:84], v[28:29], v[64:65]
	v_fma_f64 v[72:73], v[85:86], v[28:29], -v[72:73]
	v_fma_f64 v[81:82], v[87:88], v[28:29], v[117:118]
	;; [unrolled: 2-line block ×9, first 2 shown]
	v_add_f64 v[24:25], v[24:25], -v[30:31]
	v_add_f64 v[26:27], v[26:27], -v[64:65]
	;; [unrolled: 1-line block ×18, first 2 shown]
	v_dual_mov_b32 v30, v66 :: v_dual_mov_b32 v31, v67
.LBB30_146:
	s_or_b32 exec_lo, exec_lo, s2
	v_lshl_add_u32 v64, v80, 4, v74
	s_barrier
	buffer_gl0_inv
	v_mov_b32_e32 v72, 7
	ds_store_2addr_b64 v64, v[24:25], v[26:27] offset1:1
	s_waitcnt lgkmcnt(0)
	s_barrier
	buffer_gl0_inv
	ds_load_2addr_b64 v[64:67], v74 offset0:14 offset1:15
	s_cmp_lt_i32 s5, 9
	s_cbranch_scc1 .LBB30_149
; %bb.147:
	v_add3_u32 v73, v79, 0, 0x80
	v_mov_b32_e32 v72, 7
	s_mov_b32 s6, 8
	s_set_inst_prefetch_distance 0x1
	.p2align	6
.LBB30_148:                             ; =>This Inner Loop Header: Depth=1
	ds_load_2addr_b64 v[81:84], v73 offset1:1
	s_waitcnt lgkmcnt(1)
	v_cmp_gt_f64_e32 vcc_lo, 0, v[64:65]
	v_xor_b32_e32 v85, 0x80000000, v65
	v_cmp_gt_f64_e64 s2, 0, v[66:67]
	v_xor_b32_e32 v87, 0x80000000, v67
	v_add_nc_u32_e32 v73, 16, v73
	s_waitcnt lgkmcnt(0)
	v_cmp_gt_f64_e64 s3, 0, v[81:82]
	v_mov_b32_e32 v89, v81
	v_dual_mov_b32 v91, v83 :: v_dual_cndmask_b32 v86, v65, v85
	v_xor_b32_e32 v85, 0x80000000, v82
	v_cndmask_b32_e64 v88, v67, v87, s2
	v_xor_b32_e32 v87, 0x80000000, v84
	s_delay_alu instid0(VALU_DEP_3) | instskip(SKIP_2) | instid1(VALU_DEP_2)
	v_cndmask_b32_e64 v90, v82, v85, s3
	v_cmp_gt_f64_e64 s3, 0, v[83:84]
	v_cndmask_b32_e32 v85, v64, v64, vcc_lo
	v_cndmask_b32_e64 v92, v84, v87, s3
	v_cndmask_b32_e64 v87, v66, v66, s2
	s_delay_alu instid0(VALU_DEP_2) | instskip(NEXT) | instid1(VALU_DEP_2)
	v_add_f64 v[89:90], v[89:90], v[91:92]
	v_add_f64 v[85:86], v[85:86], v[87:88]
	s_delay_alu instid0(VALU_DEP_1) | instskip(SKIP_4) | instid1(SALU_CYCLE_1)
	v_cmp_lt_f64_e32 vcc_lo, v[85:86], v[89:90]
	v_dual_cndmask_b32 v66, v66, v83 :: v_dual_cndmask_b32 v65, v65, v82
	v_dual_cndmask_b32 v64, v64, v81 :: v_dual_cndmask_b32 v67, v67, v84
	v_cndmask_b32_e64 v72, v72, s6, vcc_lo
	s_add_i32 s6, s6, 1
	s_cmp_lg_u32 s5, s6
	s_cbranch_scc1 .LBB30_148
.LBB30_149:
	s_set_inst_prefetch_distance 0x2
	s_waitcnt lgkmcnt(0)
	v_cmp_eq_f64_e32 vcc_lo, 0, v[64:65]
	v_cmp_eq_f64_e64 s2, 0, v[66:67]
	s_delay_alu instid0(VALU_DEP_1) | instskip(NEXT) | instid1(SALU_CYCLE_1)
	s_and_b32 s2, vcc_lo, s2
	s_and_saveexec_b32 s3, s2
	s_delay_alu instid0(SALU_CYCLE_1)
	s_xor_b32 s2, exec_lo, s3
; %bb.150:
	v_cmp_ne_u32_e32 vcc_lo, 0, v78
	v_cndmask_b32_e32 v78, 8, v78, vcc_lo
; %bb.151:
	s_and_not1_saveexec_b32 s3, s2
	s_cbranch_execz .LBB30_157
; %bb.152:
	v_cmp_gt_f64_e32 vcc_lo, 0, v[64:65]
	v_cmp_gt_f64_e64 s2, 0, v[66:67]
	v_xor_b32_e32 v73, 0x80000000, v65
	v_xor_b32_e32 v81, 0x80000000, v67
	s_delay_alu instid0(VALU_DEP_2) | instskip(NEXT) | instid1(VALU_DEP_2)
	v_cndmask_b32_e32 v82, v65, v73, vcc_lo
	v_cndmask_b32_e64 v84, v67, v81, s2
	v_cndmask_b32_e32 v81, v64, v64, vcc_lo
	v_cndmask_b32_e64 v83, v66, v66, s2
	s_mov_b32 s2, exec_lo
	s_delay_alu instid0(VALU_DEP_1)
	v_cmpx_ngt_f64_e32 v[81:82], v[83:84]
	s_xor_b32 s2, exec_lo, s2
	s_cbranch_execz .LBB30_154
; %bb.153:
	v_div_scale_f64 v[81:82], null, v[66:67], v[66:67], v[64:65]
	v_div_scale_f64 v[87:88], vcc_lo, v[64:65], v[66:67], v[64:65]
	s_delay_alu instid0(VALU_DEP_2) | instskip(SKIP_2) | instid1(VALU_DEP_1)
	v_rcp_f64_e32 v[83:84], v[81:82]
	s_waitcnt_depctr 0xfff
	v_fma_f64 v[85:86], -v[81:82], v[83:84], 1.0
	v_fma_f64 v[83:84], v[83:84], v[85:86], v[83:84]
	s_delay_alu instid0(VALU_DEP_1) | instskip(NEXT) | instid1(VALU_DEP_1)
	v_fma_f64 v[85:86], -v[81:82], v[83:84], 1.0
	v_fma_f64 v[83:84], v[83:84], v[85:86], v[83:84]
	s_delay_alu instid0(VALU_DEP_1) | instskip(NEXT) | instid1(VALU_DEP_1)
	v_mul_f64 v[85:86], v[87:88], v[83:84]
	v_fma_f64 v[81:82], -v[81:82], v[85:86], v[87:88]
	s_delay_alu instid0(VALU_DEP_1) | instskip(NEXT) | instid1(VALU_DEP_1)
	v_div_fmas_f64 v[81:82], v[81:82], v[83:84], v[85:86]
	v_div_fixup_f64 v[81:82], v[81:82], v[66:67], v[64:65]
	s_delay_alu instid0(VALU_DEP_1) | instskip(NEXT) | instid1(VALU_DEP_1)
	v_fma_f64 v[64:65], v[64:65], v[81:82], v[66:67]
	v_div_scale_f64 v[66:67], null, v[64:65], v[64:65], 1.0
	s_delay_alu instid0(VALU_DEP_1) | instskip(SKIP_2) | instid1(VALU_DEP_1)
	v_rcp_f64_e32 v[83:84], v[66:67]
	s_waitcnt_depctr 0xfff
	v_fma_f64 v[85:86], -v[66:67], v[83:84], 1.0
	v_fma_f64 v[83:84], v[83:84], v[85:86], v[83:84]
	s_delay_alu instid0(VALU_DEP_1) | instskip(NEXT) | instid1(VALU_DEP_1)
	v_fma_f64 v[85:86], -v[66:67], v[83:84], 1.0
	v_fma_f64 v[83:84], v[83:84], v[85:86], v[83:84]
	v_div_scale_f64 v[85:86], vcc_lo, 1.0, v[64:65], 1.0
	s_delay_alu instid0(VALU_DEP_1) | instskip(NEXT) | instid1(VALU_DEP_1)
	v_mul_f64 v[87:88], v[85:86], v[83:84]
	v_fma_f64 v[66:67], -v[66:67], v[87:88], v[85:86]
	s_delay_alu instid0(VALU_DEP_1) | instskip(NEXT) | instid1(VALU_DEP_1)
	v_div_fmas_f64 v[66:67], v[66:67], v[83:84], v[87:88]
	v_div_fixup_f64 v[66:67], v[66:67], v[64:65], 1.0
	s_delay_alu instid0(VALU_DEP_1)
	v_mul_f64 v[64:65], v[81:82], v[66:67]
	v_xor_b32_e32 v67, 0x80000000, v67
.LBB30_154:
	s_and_not1_saveexec_b32 s2, s2
	s_cbranch_execz .LBB30_156
; %bb.155:
	s_delay_alu instid0(VALU_DEP_1) | instskip(SKIP_1) | instid1(VALU_DEP_2)
	v_div_scale_f64 v[81:82], null, v[64:65], v[64:65], v[66:67]
	v_div_scale_f64 v[87:88], vcc_lo, v[66:67], v[64:65], v[66:67]
	v_rcp_f64_e32 v[83:84], v[81:82]
	s_waitcnt_depctr 0xfff
	v_fma_f64 v[85:86], -v[81:82], v[83:84], 1.0
	s_delay_alu instid0(VALU_DEP_1) | instskip(NEXT) | instid1(VALU_DEP_1)
	v_fma_f64 v[83:84], v[83:84], v[85:86], v[83:84]
	v_fma_f64 v[85:86], -v[81:82], v[83:84], 1.0
	s_delay_alu instid0(VALU_DEP_1) | instskip(NEXT) | instid1(VALU_DEP_1)
	v_fma_f64 v[83:84], v[83:84], v[85:86], v[83:84]
	v_mul_f64 v[85:86], v[87:88], v[83:84]
	s_delay_alu instid0(VALU_DEP_1) | instskip(NEXT) | instid1(VALU_DEP_1)
	v_fma_f64 v[81:82], -v[81:82], v[85:86], v[87:88]
	v_div_fmas_f64 v[81:82], v[81:82], v[83:84], v[85:86]
	s_delay_alu instid0(VALU_DEP_1) | instskip(NEXT) | instid1(VALU_DEP_1)
	v_div_fixup_f64 v[81:82], v[81:82], v[64:65], v[66:67]
	v_fma_f64 v[64:65], v[66:67], v[81:82], v[64:65]
	s_delay_alu instid0(VALU_DEP_1) | instskip(NEXT) | instid1(VALU_DEP_1)
	v_div_scale_f64 v[66:67], null, v[64:65], v[64:65], 1.0
	v_rcp_f64_e32 v[83:84], v[66:67]
	s_waitcnt_depctr 0xfff
	v_fma_f64 v[85:86], -v[66:67], v[83:84], 1.0
	s_delay_alu instid0(VALU_DEP_1) | instskip(NEXT) | instid1(VALU_DEP_1)
	v_fma_f64 v[83:84], v[83:84], v[85:86], v[83:84]
	v_fma_f64 v[85:86], -v[66:67], v[83:84], 1.0
	s_delay_alu instid0(VALU_DEP_1) | instskip(SKIP_1) | instid1(VALU_DEP_1)
	v_fma_f64 v[83:84], v[83:84], v[85:86], v[83:84]
	v_div_scale_f64 v[85:86], vcc_lo, 1.0, v[64:65], 1.0
	v_mul_f64 v[87:88], v[85:86], v[83:84]
	s_delay_alu instid0(VALU_DEP_1) | instskip(NEXT) | instid1(VALU_DEP_1)
	v_fma_f64 v[66:67], -v[66:67], v[87:88], v[85:86]
	v_div_fmas_f64 v[66:67], v[66:67], v[83:84], v[87:88]
	s_delay_alu instid0(VALU_DEP_1) | instskip(NEXT) | instid1(VALU_DEP_1)
	v_div_fixup_f64 v[64:65], v[66:67], v[64:65], 1.0
	v_mul_f64 v[66:67], v[81:82], -v[64:65]
.LBB30_156:
	s_or_b32 exec_lo, exec_lo, s2
.LBB30_157:
	s_delay_alu instid0(SALU_CYCLE_1) | instskip(NEXT) | instid1(SALU_CYCLE_1)
	s_or_b32 exec_lo, exec_lo, s3
	s_mov_b32 s2, exec_lo
	v_cmpx_ne_u32_e64 v80, v72
	s_xor_b32 s2, exec_lo, s2
	s_cbranch_execz .LBB30_163
; %bb.158:
	s_mov_b32 s3, exec_lo
	v_cmpx_eq_u32_e32 7, v80
	s_cbranch_execz .LBB30_162
; %bb.159:
	v_cmp_ne_u32_e32 vcc_lo, 7, v72
	s_xor_b32 s6, s4, -1
	s_delay_alu instid0(SALU_CYCLE_1) | instskip(NEXT) | instid1(SALU_CYCLE_1)
	s_and_b32 s7, s6, vcc_lo
	s_and_saveexec_b32 s6, s7
	s_cbranch_execz .LBB30_161
; %bb.160:
	v_ashrrev_i32_e32 v73, 31, v72
	s_delay_alu instid0(VALU_DEP_1) | instskip(NEXT) | instid1(VALU_DEP_1)
	v_lshlrev_b64 v[80:81], 2, v[72:73]
	v_add_co_u32 v80, vcc_lo, v70, v80
	s_delay_alu instid0(VALU_DEP_2)
	v_add_co_ci_u32_e32 v81, vcc_lo, v71, v81, vcc_lo
	s_clause 0x1
	flat_load_b32 v73, v[80:81]
	flat_load_b32 v77, v[70:71] offset:28
	s_waitcnt vmcnt(1) lgkmcnt(1)
	flat_store_b32 v[70:71], v73 offset:28
	s_waitcnt vmcnt(0) lgkmcnt(1)
	flat_store_b32 v[80:81], v77
.LBB30_161:
	s_or_b32 exec_lo, exec_lo, s6
	v_mov_b32_e32 v80, v72
	v_mov_b32_e32 v77, v72
.LBB30_162:
	s_or_b32 exec_lo, exec_lo, s3
.LBB30_163:
	s_and_not1_saveexec_b32 s2, s2
	s_cbranch_execz .LBB30_165
; %bb.164:
	v_mov_b32_e32 v80, 7
	ds_store_2addr_b64 v74, v[36:37], v[38:39] offset0:16 offset1:17
	ds_store_2addr_b64 v74, v[20:21], v[22:23] offset0:18 offset1:19
	;; [unrolled: 1-line block ×8, first 2 shown]
.LBB30_165:
	s_or_b32 exec_lo, exec_lo, s2
	s_delay_alu instid0(SALU_CYCLE_1)
	s_mov_b32 s2, exec_lo
	s_waitcnt lgkmcnt(0)
	s_waitcnt_vscnt null, 0x0
	s_barrier
	buffer_gl0_inv
	v_cmpx_lt_i32_e32 7, v80
	s_cbranch_execz .LBB30_167
; %bb.166:
	v_mul_f64 v[72:73], v[64:65], v[26:27]
	v_mul_f64 v[26:27], v[66:67], v[26:27]
	ds_load_2addr_b64 v[81:84], v74 offset0:16 offset1:17
	ds_load_2addr_b64 v[85:88], v74 offset0:18 offset1:19
	;; [unrolled: 1-line block ×8, first 2 shown]
	v_fma_f64 v[66:67], v[66:67], v[24:25], v[72:73]
	v_fma_f64 v[24:25], v[64:65], v[24:25], -v[26:27]
	s_waitcnt lgkmcnt(7)
	s_delay_alu instid0(VALU_DEP_2)
	v_mul_f64 v[26:27], v[83:84], v[66:67]
	v_mul_f64 v[64:65], v[81:82], v[66:67]
	s_waitcnt lgkmcnt(6)
	v_mul_f64 v[72:73], v[87:88], v[66:67]
	v_mul_f64 v[113:114], v[85:86], v[66:67]
	s_waitcnt lgkmcnt(5)
	;; [unrolled: 3-line block ×7, first 2 shown]
	v_mul_f64 v[135:136], v[111:112], v[66:67]
	v_mul_f64 v[137:138], v[109:110], v[66:67]
	v_fma_f64 v[26:27], v[81:82], v[24:25], -v[26:27]
	v_fma_f64 v[64:65], v[83:84], v[24:25], v[64:65]
	v_fma_f64 v[72:73], v[85:86], v[24:25], -v[72:73]
	v_fma_f64 v[81:82], v[87:88], v[24:25], v[113:114]
	;; [unrolled: 2-line block ×8, first 2 shown]
	v_add_f64 v[36:37], v[36:37], -v[26:27]
	v_add_f64 v[38:39], v[38:39], -v[64:65]
	;; [unrolled: 1-line block ×16, first 2 shown]
	v_dual_mov_b32 v26, v66 :: v_dual_mov_b32 v27, v67
.LBB30_167:
	s_or_b32 exec_lo, exec_lo, s2
	v_lshl_add_u32 v64, v80, 4, v74
	s_barrier
	buffer_gl0_inv
	v_mov_b32_e32 v72, 8
	ds_store_2addr_b64 v64, v[36:37], v[38:39] offset1:1
	s_waitcnt lgkmcnt(0)
	s_barrier
	buffer_gl0_inv
	ds_load_2addr_b64 v[64:67], v74 offset0:16 offset1:17
	s_cmp_lt_i32 s5, 10
	s_cbranch_scc1 .LBB30_170
; %bb.168:
	v_add3_u32 v73, v79, 0, 0x90
	v_mov_b32_e32 v72, 8
	s_mov_b32 s6, 9
	s_set_inst_prefetch_distance 0x1
	.p2align	6
.LBB30_169:                             ; =>This Inner Loop Header: Depth=1
	ds_load_2addr_b64 v[81:84], v73 offset1:1
	s_waitcnt lgkmcnt(1)
	v_cmp_gt_f64_e32 vcc_lo, 0, v[64:65]
	v_xor_b32_e32 v85, 0x80000000, v65
	v_cmp_gt_f64_e64 s2, 0, v[66:67]
	v_xor_b32_e32 v87, 0x80000000, v67
	v_add_nc_u32_e32 v73, 16, v73
	s_waitcnt lgkmcnt(0)
	v_cmp_gt_f64_e64 s3, 0, v[81:82]
	v_mov_b32_e32 v89, v81
	v_dual_mov_b32 v91, v83 :: v_dual_cndmask_b32 v86, v65, v85
	v_xor_b32_e32 v85, 0x80000000, v82
	v_cndmask_b32_e64 v88, v67, v87, s2
	v_xor_b32_e32 v87, 0x80000000, v84
	s_delay_alu instid0(VALU_DEP_3) | instskip(SKIP_2) | instid1(VALU_DEP_2)
	v_cndmask_b32_e64 v90, v82, v85, s3
	v_cmp_gt_f64_e64 s3, 0, v[83:84]
	v_cndmask_b32_e32 v85, v64, v64, vcc_lo
	v_cndmask_b32_e64 v92, v84, v87, s3
	v_cndmask_b32_e64 v87, v66, v66, s2
	s_delay_alu instid0(VALU_DEP_2) | instskip(NEXT) | instid1(VALU_DEP_2)
	v_add_f64 v[89:90], v[89:90], v[91:92]
	v_add_f64 v[85:86], v[85:86], v[87:88]
	s_delay_alu instid0(VALU_DEP_1) | instskip(SKIP_4) | instid1(SALU_CYCLE_1)
	v_cmp_lt_f64_e32 vcc_lo, v[85:86], v[89:90]
	v_dual_cndmask_b32 v66, v66, v83 :: v_dual_cndmask_b32 v65, v65, v82
	v_dual_cndmask_b32 v64, v64, v81 :: v_dual_cndmask_b32 v67, v67, v84
	v_cndmask_b32_e64 v72, v72, s6, vcc_lo
	s_add_i32 s6, s6, 1
	s_cmp_lg_u32 s5, s6
	s_cbranch_scc1 .LBB30_169
.LBB30_170:
	s_set_inst_prefetch_distance 0x2
	s_waitcnt lgkmcnt(0)
	v_cmp_eq_f64_e32 vcc_lo, 0, v[64:65]
	v_cmp_eq_f64_e64 s2, 0, v[66:67]
	s_delay_alu instid0(VALU_DEP_1) | instskip(NEXT) | instid1(SALU_CYCLE_1)
	s_and_b32 s2, vcc_lo, s2
	s_and_saveexec_b32 s3, s2
	s_delay_alu instid0(SALU_CYCLE_1)
	s_xor_b32 s2, exec_lo, s3
; %bb.171:
	v_cmp_ne_u32_e32 vcc_lo, 0, v78
	v_cndmask_b32_e32 v78, 9, v78, vcc_lo
; %bb.172:
	s_and_not1_saveexec_b32 s3, s2
	s_cbranch_execz .LBB30_178
; %bb.173:
	v_cmp_gt_f64_e32 vcc_lo, 0, v[64:65]
	v_cmp_gt_f64_e64 s2, 0, v[66:67]
	v_xor_b32_e32 v73, 0x80000000, v65
	v_xor_b32_e32 v81, 0x80000000, v67
	s_delay_alu instid0(VALU_DEP_2) | instskip(NEXT) | instid1(VALU_DEP_2)
	v_cndmask_b32_e32 v82, v65, v73, vcc_lo
	v_cndmask_b32_e64 v84, v67, v81, s2
	v_cndmask_b32_e32 v81, v64, v64, vcc_lo
	v_cndmask_b32_e64 v83, v66, v66, s2
	s_mov_b32 s2, exec_lo
	s_delay_alu instid0(VALU_DEP_1)
	v_cmpx_ngt_f64_e32 v[81:82], v[83:84]
	s_xor_b32 s2, exec_lo, s2
	s_cbranch_execz .LBB30_175
; %bb.174:
	v_div_scale_f64 v[81:82], null, v[66:67], v[66:67], v[64:65]
	v_div_scale_f64 v[87:88], vcc_lo, v[64:65], v[66:67], v[64:65]
	s_delay_alu instid0(VALU_DEP_2) | instskip(SKIP_2) | instid1(VALU_DEP_1)
	v_rcp_f64_e32 v[83:84], v[81:82]
	s_waitcnt_depctr 0xfff
	v_fma_f64 v[85:86], -v[81:82], v[83:84], 1.0
	v_fma_f64 v[83:84], v[83:84], v[85:86], v[83:84]
	s_delay_alu instid0(VALU_DEP_1) | instskip(NEXT) | instid1(VALU_DEP_1)
	v_fma_f64 v[85:86], -v[81:82], v[83:84], 1.0
	v_fma_f64 v[83:84], v[83:84], v[85:86], v[83:84]
	s_delay_alu instid0(VALU_DEP_1) | instskip(NEXT) | instid1(VALU_DEP_1)
	v_mul_f64 v[85:86], v[87:88], v[83:84]
	v_fma_f64 v[81:82], -v[81:82], v[85:86], v[87:88]
	s_delay_alu instid0(VALU_DEP_1) | instskip(NEXT) | instid1(VALU_DEP_1)
	v_div_fmas_f64 v[81:82], v[81:82], v[83:84], v[85:86]
	v_div_fixup_f64 v[81:82], v[81:82], v[66:67], v[64:65]
	s_delay_alu instid0(VALU_DEP_1) | instskip(NEXT) | instid1(VALU_DEP_1)
	v_fma_f64 v[64:65], v[64:65], v[81:82], v[66:67]
	v_div_scale_f64 v[66:67], null, v[64:65], v[64:65], 1.0
	s_delay_alu instid0(VALU_DEP_1) | instskip(SKIP_2) | instid1(VALU_DEP_1)
	v_rcp_f64_e32 v[83:84], v[66:67]
	s_waitcnt_depctr 0xfff
	v_fma_f64 v[85:86], -v[66:67], v[83:84], 1.0
	v_fma_f64 v[83:84], v[83:84], v[85:86], v[83:84]
	s_delay_alu instid0(VALU_DEP_1) | instskip(NEXT) | instid1(VALU_DEP_1)
	v_fma_f64 v[85:86], -v[66:67], v[83:84], 1.0
	v_fma_f64 v[83:84], v[83:84], v[85:86], v[83:84]
	v_div_scale_f64 v[85:86], vcc_lo, 1.0, v[64:65], 1.0
	s_delay_alu instid0(VALU_DEP_1) | instskip(NEXT) | instid1(VALU_DEP_1)
	v_mul_f64 v[87:88], v[85:86], v[83:84]
	v_fma_f64 v[66:67], -v[66:67], v[87:88], v[85:86]
	s_delay_alu instid0(VALU_DEP_1) | instskip(NEXT) | instid1(VALU_DEP_1)
	v_div_fmas_f64 v[66:67], v[66:67], v[83:84], v[87:88]
	v_div_fixup_f64 v[66:67], v[66:67], v[64:65], 1.0
	s_delay_alu instid0(VALU_DEP_1)
	v_mul_f64 v[64:65], v[81:82], v[66:67]
	v_xor_b32_e32 v67, 0x80000000, v67
.LBB30_175:
	s_and_not1_saveexec_b32 s2, s2
	s_cbranch_execz .LBB30_177
; %bb.176:
	s_delay_alu instid0(VALU_DEP_1) | instskip(SKIP_1) | instid1(VALU_DEP_2)
	v_div_scale_f64 v[81:82], null, v[64:65], v[64:65], v[66:67]
	v_div_scale_f64 v[87:88], vcc_lo, v[66:67], v[64:65], v[66:67]
	v_rcp_f64_e32 v[83:84], v[81:82]
	s_waitcnt_depctr 0xfff
	v_fma_f64 v[85:86], -v[81:82], v[83:84], 1.0
	s_delay_alu instid0(VALU_DEP_1) | instskip(NEXT) | instid1(VALU_DEP_1)
	v_fma_f64 v[83:84], v[83:84], v[85:86], v[83:84]
	v_fma_f64 v[85:86], -v[81:82], v[83:84], 1.0
	s_delay_alu instid0(VALU_DEP_1) | instskip(NEXT) | instid1(VALU_DEP_1)
	v_fma_f64 v[83:84], v[83:84], v[85:86], v[83:84]
	v_mul_f64 v[85:86], v[87:88], v[83:84]
	s_delay_alu instid0(VALU_DEP_1) | instskip(NEXT) | instid1(VALU_DEP_1)
	v_fma_f64 v[81:82], -v[81:82], v[85:86], v[87:88]
	v_div_fmas_f64 v[81:82], v[81:82], v[83:84], v[85:86]
	s_delay_alu instid0(VALU_DEP_1) | instskip(NEXT) | instid1(VALU_DEP_1)
	v_div_fixup_f64 v[81:82], v[81:82], v[64:65], v[66:67]
	v_fma_f64 v[64:65], v[66:67], v[81:82], v[64:65]
	s_delay_alu instid0(VALU_DEP_1) | instskip(NEXT) | instid1(VALU_DEP_1)
	v_div_scale_f64 v[66:67], null, v[64:65], v[64:65], 1.0
	v_rcp_f64_e32 v[83:84], v[66:67]
	s_waitcnt_depctr 0xfff
	v_fma_f64 v[85:86], -v[66:67], v[83:84], 1.0
	s_delay_alu instid0(VALU_DEP_1) | instskip(NEXT) | instid1(VALU_DEP_1)
	v_fma_f64 v[83:84], v[83:84], v[85:86], v[83:84]
	v_fma_f64 v[85:86], -v[66:67], v[83:84], 1.0
	s_delay_alu instid0(VALU_DEP_1) | instskip(SKIP_1) | instid1(VALU_DEP_1)
	v_fma_f64 v[83:84], v[83:84], v[85:86], v[83:84]
	v_div_scale_f64 v[85:86], vcc_lo, 1.0, v[64:65], 1.0
	v_mul_f64 v[87:88], v[85:86], v[83:84]
	s_delay_alu instid0(VALU_DEP_1) | instskip(NEXT) | instid1(VALU_DEP_1)
	v_fma_f64 v[66:67], -v[66:67], v[87:88], v[85:86]
	v_div_fmas_f64 v[66:67], v[66:67], v[83:84], v[87:88]
	s_delay_alu instid0(VALU_DEP_1) | instskip(NEXT) | instid1(VALU_DEP_1)
	v_div_fixup_f64 v[64:65], v[66:67], v[64:65], 1.0
	v_mul_f64 v[66:67], v[81:82], -v[64:65]
.LBB30_177:
	s_or_b32 exec_lo, exec_lo, s2
.LBB30_178:
	s_delay_alu instid0(SALU_CYCLE_1) | instskip(NEXT) | instid1(SALU_CYCLE_1)
	s_or_b32 exec_lo, exec_lo, s3
	s_mov_b32 s2, exec_lo
	v_cmpx_ne_u32_e64 v80, v72
	s_xor_b32 s2, exec_lo, s2
	s_cbranch_execz .LBB30_184
; %bb.179:
	s_mov_b32 s3, exec_lo
	v_cmpx_eq_u32_e32 8, v80
	s_cbranch_execz .LBB30_183
; %bb.180:
	v_cmp_ne_u32_e32 vcc_lo, 8, v72
	s_xor_b32 s6, s4, -1
	s_delay_alu instid0(SALU_CYCLE_1) | instskip(NEXT) | instid1(SALU_CYCLE_1)
	s_and_b32 s7, s6, vcc_lo
	s_and_saveexec_b32 s6, s7
	s_cbranch_execz .LBB30_182
; %bb.181:
	v_ashrrev_i32_e32 v73, 31, v72
	s_delay_alu instid0(VALU_DEP_1) | instskip(NEXT) | instid1(VALU_DEP_1)
	v_lshlrev_b64 v[80:81], 2, v[72:73]
	v_add_co_u32 v80, vcc_lo, v70, v80
	s_delay_alu instid0(VALU_DEP_2)
	v_add_co_ci_u32_e32 v81, vcc_lo, v71, v81, vcc_lo
	s_clause 0x1
	flat_load_b32 v73, v[80:81]
	flat_load_b32 v77, v[70:71] offset:32
	s_waitcnt vmcnt(1) lgkmcnt(1)
	flat_store_b32 v[70:71], v73 offset:32
	s_waitcnt vmcnt(0) lgkmcnt(1)
	flat_store_b32 v[80:81], v77
.LBB30_182:
	s_or_b32 exec_lo, exec_lo, s6
	v_mov_b32_e32 v80, v72
	v_mov_b32_e32 v77, v72
.LBB30_183:
	s_or_b32 exec_lo, exec_lo, s3
.LBB30_184:
	s_and_not1_saveexec_b32 s2, s2
	s_cbranch_execz .LBB30_186
; %bb.185:
	v_mov_b32_e32 v80, 8
	ds_store_2addr_b64 v74, v[20:21], v[22:23] offset0:18 offset1:19
	ds_store_2addr_b64 v74, v[32:33], v[34:35] offset0:20 offset1:21
	;; [unrolled: 1-line block ×7, first 2 shown]
.LBB30_186:
	s_or_b32 exec_lo, exec_lo, s2
	s_delay_alu instid0(SALU_CYCLE_1)
	s_mov_b32 s2, exec_lo
	s_waitcnt lgkmcnt(0)
	s_waitcnt_vscnt null, 0x0
	s_barrier
	buffer_gl0_inv
	v_cmpx_lt_i32_e32 8, v80
	s_cbranch_execz .LBB30_188
; %bb.187:
	v_mul_f64 v[72:73], v[64:65], v[38:39]
	v_mul_f64 v[38:39], v[66:67], v[38:39]
	ds_load_2addr_b64 v[81:84], v74 offset0:18 offset1:19
	ds_load_2addr_b64 v[85:88], v74 offset0:20 offset1:21
	;; [unrolled: 1-line block ×7, first 2 shown]
	v_fma_f64 v[66:67], v[66:67], v[36:37], v[72:73]
	v_fma_f64 v[36:37], v[64:65], v[36:37], -v[38:39]
	s_waitcnt lgkmcnt(6)
	s_delay_alu instid0(VALU_DEP_2)
	v_mul_f64 v[38:39], v[83:84], v[66:67]
	v_mul_f64 v[64:65], v[81:82], v[66:67]
	s_waitcnt lgkmcnt(5)
	v_mul_f64 v[72:73], v[87:88], v[66:67]
	v_mul_f64 v[109:110], v[85:86], v[66:67]
	s_waitcnt lgkmcnt(4)
	;; [unrolled: 3-line block ×6, first 2 shown]
	v_mul_f64 v[127:128], v[107:108], v[66:67]
	v_mul_f64 v[129:130], v[105:106], v[66:67]
	v_fma_f64 v[38:39], v[81:82], v[36:37], -v[38:39]
	v_fma_f64 v[64:65], v[83:84], v[36:37], v[64:65]
	v_fma_f64 v[72:73], v[85:86], v[36:37], -v[72:73]
	v_fma_f64 v[81:82], v[87:88], v[36:37], v[109:110]
	;; [unrolled: 2-line block ×7, first 2 shown]
	v_add_f64 v[20:21], v[20:21], -v[38:39]
	v_add_f64 v[22:23], v[22:23], -v[64:65]
	;; [unrolled: 1-line block ×14, first 2 shown]
	v_dual_mov_b32 v38, v66 :: v_dual_mov_b32 v39, v67
.LBB30_188:
	s_or_b32 exec_lo, exec_lo, s2
	v_lshl_add_u32 v64, v80, 4, v74
	s_barrier
	buffer_gl0_inv
	v_mov_b32_e32 v72, 9
	ds_store_2addr_b64 v64, v[20:21], v[22:23] offset1:1
	s_waitcnt lgkmcnt(0)
	s_barrier
	buffer_gl0_inv
	ds_load_2addr_b64 v[64:67], v74 offset0:18 offset1:19
	s_cmp_lt_i32 s5, 11
	s_cbranch_scc1 .LBB30_191
; %bb.189:
	v_add3_u32 v73, v79, 0, 0xa0
	v_mov_b32_e32 v72, 9
	s_mov_b32 s6, 10
	s_set_inst_prefetch_distance 0x1
	.p2align	6
.LBB30_190:                             ; =>This Inner Loop Header: Depth=1
	ds_load_2addr_b64 v[81:84], v73 offset1:1
	s_waitcnt lgkmcnt(1)
	v_cmp_gt_f64_e32 vcc_lo, 0, v[64:65]
	v_xor_b32_e32 v85, 0x80000000, v65
	v_cmp_gt_f64_e64 s2, 0, v[66:67]
	v_xor_b32_e32 v87, 0x80000000, v67
	v_add_nc_u32_e32 v73, 16, v73
	s_waitcnt lgkmcnt(0)
	v_cmp_gt_f64_e64 s3, 0, v[81:82]
	v_mov_b32_e32 v89, v81
	v_dual_mov_b32 v91, v83 :: v_dual_cndmask_b32 v86, v65, v85
	v_xor_b32_e32 v85, 0x80000000, v82
	v_cndmask_b32_e64 v88, v67, v87, s2
	v_xor_b32_e32 v87, 0x80000000, v84
	s_delay_alu instid0(VALU_DEP_3) | instskip(SKIP_2) | instid1(VALU_DEP_2)
	v_cndmask_b32_e64 v90, v82, v85, s3
	v_cmp_gt_f64_e64 s3, 0, v[83:84]
	v_cndmask_b32_e32 v85, v64, v64, vcc_lo
	v_cndmask_b32_e64 v92, v84, v87, s3
	v_cndmask_b32_e64 v87, v66, v66, s2
	s_delay_alu instid0(VALU_DEP_2) | instskip(NEXT) | instid1(VALU_DEP_2)
	v_add_f64 v[89:90], v[89:90], v[91:92]
	v_add_f64 v[85:86], v[85:86], v[87:88]
	s_delay_alu instid0(VALU_DEP_1) | instskip(SKIP_4) | instid1(SALU_CYCLE_1)
	v_cmp_lt_f64_e32 vcc_lo, v[85:86], v[89:90]
	v_dual_cndmask_b32 v66, v66, v83 :: v_dual_cndmask_b32 v65, v65, v82
	v_dual_cndmask_b32 v64, v64, v81 :: v_dual_cndmask_b32 v67, v67, v84
	v_cndmask_b32_e64 v72, v72, s6, vcc_lo
	s_add_i32 s6, s6, 1
	s_cmp_lg_u32 s5, s6
	s_cbranch_scc1 .LBB30_190
.LBB30_191:
	s_set_inst_prefetch_distance 0x2
	s_waitcnt lgkmcnt(0)
	v_cmp_eq_f64_e32 vcc_lo, 0, v[64:65]
	v_cmp_eq_f64_e64 s2, 0, v[66:67]
	s_delay_alu instid0(VALU_DEP_1) | instskip(NEXT) | instid1(SALU_CYCLE_1)
	s_and_b32 s2, vcc_lo, s2
	s_and_saveexec_b32 s3, s2
	s_delay_alu instid0(SALU_CYCLE_1)
	s_xor_b32 s2, exec_lo, s3
; %bb.192:
	v_cmp_ne_u32_e32 vcc_lo, 0, v78
	v_cndmask_b32_e32 v78, 10, v78, vcc_lo
; %bb.193:
	s_and_not1_saveexec_b32 s3, s2
	s_cbranch_execz .LBB30_199
; %bb.194:
	v_cmp_gt_f64_e32 vcc_lo, 0, v[64:65]
	v_cmp_gt_f64_e64 s2, 0, v[66:67]
	v_xor_b32_e32 v73, 0x80000000, v65
	v_xor_b32_e32 v81, 0x80000000, v67
	s_delay_alu instid0(VALU_DEP_2) | instskip(NEXT) | instid1(VALU_DEP_2)
	v_cndmask_b32_e32 v82, v65, v73, vcc_lo
	v_cndmask_b32_e64 v84, v67, v81, s2
	v_cndmask_b32_e32 v81, v64, v64, vcc_lo
	v_cndmask_b32_e64 v83, v66, v66, s2
	s_mov_b32 s2, exec_lo
	s_delay_alu instid0(VALU_DEP_1)
	v_cmpx_ngt_f64_e32 v[81:82], v[83:84]
	s_xor_b32 s2, exec_lo, s2
	s_cbranch_execz .LBB30_196
; %bb.195:
	v_div_scale_f64 v[81:82], null, v[66:67], v[66:67], v[64:65]
	v_div_scale_f64 v[87:88], vcc_lo, v[64:65], v[66:67], v[64:65]
	s_delay_alu instid0(VALU_DEP_2) | instskip(SKIP_2) | instid1(VALU_DEP_1)
	v_rcp_f64_e32 v[83:84], v[81:82]
	s_waitcnt_depctr 0xfff
	v_fma_f64 v[85:86], -v[81:82], v[83:84], 1.0
	v_fma_f64 v[83:84], v[83:84], v[85:86], v[83:84]
	s_delay_alu instid0(VALU_DEP_1) | instskip(NEXT) | instid1(VALU_DEP_1)
	v_fma_f64 v[85:86], -v[81:82], v[83:84], 1.0
	v_fma_f64 v[83:84], v[83:84], v[85:86], v[83:84]
	s_delay_alu instid0(VALU_DEP_1) | instskip(NEXT) | instid1(VALU_DEP_1)
	v_mul_f64 v[85:86], v[87:88], v[83:84]
	v_fma_f64 v[81:82], -v[81:82], v[85:86], v[87:88]
	s_delay_alu instid0(VALU_DEP_1) | instskip(NEXT) | instid1(VALU_DEP_1)
	v_div_fmas_f64 v[81:82], v[81:82], v[83:84], v[85:86]
	v_div_fixup_f64 v[81:82], v[81:82], v[66:67], v[64:65]
	s_delay_alu instid0(VALU_DEP_1) | instskip(NEXT) | instid1(VALU_DEP_1)
	v_fma_f64 v[64:65], v[64:65], v[81:82], v[66:67]
	v_div_scale_f64 v[66:67], null, v[64:65], v[64:65], 1.0
	s_delay_alu instid0(VALU_DEP_1) | instskip(SKIP_2) | instid1(VALU_DEP_1)
	v_rcp_f64_e32 v[83:84], v[66:67]
	s_waitcnt_depctr 0xfff
	v_fma_f64 v[85:86], -v[66:67], v[83:84], 1.0
	v_fma_f64 v[83:84], v[83:84], v[85:86], v[83:84]
	s_delay_alu instid0(VALU_DEP_1) | instskip(NEXT) | instid1(VALU_DEP_1)
	v_fma_f64 v[85:86], -v[66:67], v[83:84], 1.0
	v_fma_f64 v[83:84], v[83:84], v[85:86], v[83:84]
	v_div_scale_f64 v[85:86], vcc_lo, 1.0, v[64:65], 1.0
	s_delay_alu instid0(VALU_DEP_1) | instskip(NEXT) | instid1(VALU_DEP_1)
	v_mul_f64 v[87:88], v[85:86], v[83:84]
	v_fma_f64 v[66:67], -v[66:67], v[87:88], v[85:86]
	s_delay_alu instid0(VALU_DEP_1) | instskip(NEXT) | instid1(VALU_DEP_1)
	v_div_fmas_f64 v[66:67], v[66:67], v[83:84], v[87:88]
	v_div_fixup_f64 v[66:67], v[66:67], v[64:65], 1.0
	s_delay_alu instid0(VALU_DEP_1)
	v_mul_f64 v[64:65], v[81:82], v[66:67]
	v_xor_b32_e32 v67, 0x80000000, v67
.LBB30_196:
	s_and_not1_saveexec_b32 s2, s2
	s_cbranch_execz .LBB30_198
; %bb.197:
	s_delay_alu instid0(VALU_DEP_1) | instskip(SKIP_1) | instid1(VALU_DEP_2)
	v_div_scale_f64 v[81:82], null, v[64:65], v[64:65], v[66:67]
	v_div_scale_f64 v[87:88], vcc_lo, v[66:67], v[64:65], v[66:67]
	v_rcp_f64_e32 v[83:84], v[81:82]
	s_waitcnt_depctr 0xfff
	v_fma_f64 v[85:86], -v[81:82], v[83:84], 1.0
	s_delay_alu instid0(VALU_DEP_1) | instskip(NEXT) | instid1(VALU_DEP_1)
	v_fma_f64 v[83:84], v[83:84], v[85:86], v[83:84]
	v_fma_f64 v[85:86], -v[81:82], v[83:84], 1.0
	s_delay_alu instid0(VALU_DEP_1) | instskip(NEXT) | instid1(VALU_DEP_1)
	v_fma_f64 v[83:84], v[83:84], v[85:86], v[83:84]
	v_mul_f64 v[85:86], v[87:88], v[83:84]
	s_delay_alu instid0(VALU_DEP_1) | instskip(NEXT) | instid1(VALU_DEP_1)
	v_fma_f64 v[81:82], -v[81:82], v[85:86], v[87:88]
	v_div_fmas_f64 v[81:82], v[81:82], v[83:84], v[85:86]
	s_delay_alu instid0(VALU_DEP_1) | instskip(NEXT) | instid1(VALU_DEP_1)
	v_div_fixup_f64 v[81:82], v[81:82], v[64:65], v[66:67]
	v_fma_f64 v[64:65], v[66:67], v[81:82], v[64:65]
	s_delay_alu instid0(VALU_DEP_1) | instskip(NEXT) | instid1(VALU_DEP_1)
	v_div_scale_f64 v[66:67], null, v[64:65], v[64:65], 1.0
	v_rcp_f64_e32 v[83:84], v[66:67]
	s_waitcnt_depctr 0xfff
	v_fma_f64 v[85:86], -v[66:67], v[83:84], 1.0
	s_delay_alu instid0(VALU_DEP_1) | instskip(NEXT) | instid1(VALU_DEP_1)
	v_fma_f64 v[83:84], v[83:84], v[85:86], v[83:84]
	v_fma_f64 v[85:86], -v[66:67], v[83:84], 1.0
	s_delay_alu instid0(VALU_DEP_1) | instskip(SKIP_1) | instid1(VALU_DEP_1)
	v_fma_f64 v[83:84], v[83:84], v[85:86], v[83:84]
	v_div_scale_f64 v[85:86], vcc_lo, 1.0, v[64:65], 1.0
	v_mul_f64 v[87:88], v[85:86], v[83:84]
	s_delay_alu instid0(VALU_DEP_1) | instskip(NEXT) | instid1(VALU_DEP_1)
	v_fma_f64 v[66:67], -v[66:67], v[87:88], v[85:86]
	v_div_fmas_f64 v[66:67], v[66:67], v[83:84], v[87:88]
	s_delay_alu instid0(VALU_DEP_1) | instskip(NEXT) | instid1(VALU_DEP_1)
	v_div_fixup_f64 v[64:65], v[66:67], v[64:65], 1.0
	v_mul_f64 v[66:67], v[81:82], -v[64:65]
.LBB30_198:
	s_or_b32 exec_lo, exec_lo, s2
.LBB30_199:
	s_delay_alu instid0(SALU_CYCLE_1) | instskip(NEXT) | instid1(SALU_CYCLE_1)
	s_or_b32 exec_lo, exec_lo, s3
	s_mov_b32 s2, exec_lo
	v_cmpx_ne_u32_e64 v80, v72
	s_xor_b32 s2, exec_lo, s2
	s_cbranch_execz .LBB30_205
; %bb.200:
	s_mov_b32 s3, exec_lo
	v_cmpx_eq_u32_e32 9, v80
	s_cbranch_execz .LBB30_204
; %bb.201:
	v_cmp_ne_u32_e32 vcc_lo, 9, v72
	s_xor_b32 s6, s4, -1
	s_delay_alu instid0(SALU_CYCLE_1) | instskip(NEXT) | instid1(SALU_CYCLE_1)
	s_and_b32 s7, s6, vcc_lo
	s_and_saveexec_b32 s6, s7
	s_cbranch_execz .LBB30_203
; %bb.202:
	v_ashrrev_i32_e32 v73, 31, v72
	s_delay_alu instid0(VALU_DEP_1) | instskip(NEXT) | instid1(VALU_DEP_1)
	v_lshlrev_b64 v[80:81], 2, v[72:73]
	v_add_co_u32 v80, vcc_lo, v70, v80
	s_delay_alu instid0(VALU_DEP_2)
	v_add_co_ci_u32_e32 v81, vcc_lo, v71, v81, vcc_lo
	s_clause 0x1
	flat_load_b32 v73, v[80:81]
	flat_load_b32 v77, v[70:71] offset:36
	s_waitcnt vmcnt(1) lgkmcnt(1)
	flat_store_b32 v[70:71], v73 offset:36
	s_waitcnt vmcnt(0) lgkmcnt(1)
	flat_store_b32 v[80:81], v77
.LBB30_203:
	s_or_b32 exec_lo, exec_lo, s6
	v_mov_b32_e32 v80, v72
	v_mov_b32_e32 v77, v72
.LBB30_204:
	s_or_b32 exec_lo, exec_lo, s3
.LBB30_205:
	s_and_not1_saveexec_b32 s2, s2
	s_cbranch_execz .LBB30_207
; %bb.206:
	v_mov_b32_e32 v80, 9
	ds_store_2addr_b64 v74, v[32:33], v[34:35] offset0:20 offset1:21
	ds_store_2addr_b64 v74, v[16:17], v[18:19] offset0:22 offset1:23
	;; [unrolled: 1-line block ×6, first 2 shown]
.LBB30_207:
	s_or_b32 exec_lo, exec_lo, s2
	s_delay_alu instid0(SALU_CYCLE_1)
	s_mov_b32 s2, exec_lo
	s_waitcnt lgkmcnt(0)
	s_waitcnt_vscnt null, 0x0
	s_barrier
	buffer_gl0_inv
	v_cmpx_lt_i32_e32 9, v80
	s_cbranch_execz .LBB30_209
; %bb.208:
	v_mul_f64 v[72:73], v[64:65], v[22:23]
	v_mul_f64 v[22:23], v[66:67], v[22:23]
	ds_load_2addr_b64 v[81:84], v74 offset0:20 offset1:21
	ds_load_2addr_b64 v[85:88], v74 offset0:22 offset1:23
	;; [unrolled: 1-line block ×6, first 2 shown]
	v_fma_f64 v[66:67], v[66:67], v[20:21], v[72:73]
	v_fma_f64 v[20:21], v[64:65], v[20:21], -v[22:23]
	s_waitcnt lgkmcnt(5)
	s_delay_alu instid0(VALU_DEP_2)
	v_mul_f64 v[22:23], v[83:84], v[66:67]
	v_mul_f64 v[64:65], v[81:82], v[66:67]
	s_waitcnt lgkmcnt(4)
	v_mul_f64 v[72:73], v[87:88], v[66:67]
	v_mul_f64 v[105:106], v[85:86], v[66:67]
	s_waitcnt lgkmcnt(3)
	;; [unrolled: 3-line block ×5, first 2 shown]
	v_mul_f64 v[119:120], v[103:104], v[66:67]
	v_mul_f64 v[121:122], v[101:102], v[66:67]
	v_fma_f64 v[22:23], v[81:82], v[20:21], -v[22:23]
	v_fma_f64 v[64:65], v[83:84], v[20:21], v[64:65]
	v_fma_f64 v[72:73], v[85:86], v[20:21], -v[72:73]
	v_fma_f64 v[81:82], v[87:88], v[20:21], v[105:106]
	;; [unrolled: 2-line block ×6, first 2 shown]
	v_add_f64 v[32:33], v[32:33], -v[22:23]
	v_add_f64 v[34:35], v[34:35], -v[64:65]
	;; [unrolled: 1-line block ×12, first 2 shown]
	v_dual_mov_b32 v22, v66 :: v_dual_mov_b32 v23, v67
.LBB30_209:
	s_or_b32 exec_lo, exec_lo, s2
	v_lshl_add_u32 v64, v80, 4, v74
	s_barrier
	buffer_gl0_inv
	v_mov_b32_e32 v72, 10
	ds_store_2addr_b64 v64, v[32:33], v[34:35] offset1:1
	s_waitcnt lgkmcnt(0)
	s_barrier
	buffer_gl0_inv
	ds_load_2addr_b64 v[64:67], v74 offset0:20 offset1:21
	s_cmp_lt_i32 s5, 12
	s_cbranch_scc1 .LBB30_212
; %bb.210:
	v_add3_u32 v73, v79, 0, 0xb0
	v_mov_b32_e32 v72, 10
	s_mov_b32 s6, 11
	s_set_inst_prefetch_distance 0x1
	.p2align	6
.LBB30_211:                             ; =>This Inner Loop Header: Depth=1
	ds_load_2addr_b64 v[81:84], v73 offset1:1
	s_waitcnt lgkmcnt(1)
	v_cmp_gt_f64_e32 vcc_lo, 0, v[64:65]
	v_xor_b32_e32 v85, 0x80000000, v65
	v_cmp_gt_f64_e64 s2, 0, v[66:67]
	v_xor_b32_e32 v87, 0x80000000, v67
	v_add_nc_u32_e32 v73, 16, v73
	s_waitcnt lgkmcnt(0)
	v_cmp_gt_f64_e64 s3, 0, v[81:82]
	v_mov_b32_e32 v89, v81
	v_dual_mov_b32 v91, v83 :: v_dual_cndmask_b32 v86, v65, v85
	v_xor_b32_e32 v85, 0x80000000, v82
	v_cndmask_b32_e64 v88, v67, v87, s2
	v_xor_b32_e32 v87, 0x80000000, v84
	s_delay_alu instid0(VALU_DEP_3) | instskip(SKIP_2) | instid1(VALU_DEP_2)
	v_cndmask_b32_e64 v90, v82, v85, s3
	v_cmp_gt_f64_e64 s3, 0, v[83:84]
	v_cndmask_b32_e32 v85, v64, v64, vcc_lo
	v_cndmask_b32_e64 v92, v84, v87, s3
	v_cndmask_b32_e64 v87, v66, v66, s2
	s_delay_alu instid0(VALU_DEP_2) | instskip(NEXT) | instid1(VALU_DEP_2)
	v_add_f64 v[89:90], v[89:90], v[91:92]
	v_add_f64 v[85:86], v[85:86], v[87:88]
	s_delay_alu instid0(VALU_DEP_1) | instskip(SKIP_4) | instid1(SALU_CYCLE_1)
	v_cmp_lt_f64_e32 vcc_lo, v[85:86], v[89:90]
	v_dual_cndmask_b32 v66, v66, v83 :: v_dual_cndmask_b32 v65, v65, v82
	v_dual_cndmask_b32 v64, v64, v81 :: v_dual_cndmask_b32 v67, v67, v84
	v_cndmask_b32_e64 v72, v72, s6, vcc_lo
	s_add_i32 s6, s6, 1
	s_cmp_lg_u32 s5, s6
	s_cbranch_scc1 .LBB30_211
.LBB30_212:
	s_set_inst_prefetch_distance 0x2
	s_waitcnt lgkmcnt(0)
	v_cmp_eq_f64_e32 vcc_lo, 0, v[64:65]
	v_cmp_eq_f64_e64 s2, 0, v[66:67]
	s_delay_alu instid0(VALU_DEP_1) | instskip(NEXT) | instid1(SALU_CYCLE_1)
	s_and_b32 s2, vcc_lo, s2
	s_and_saveexec_b32 s3, s2
	s_delay_alu instid0(SALU_CYCLE_1)
	s_xor_b32 s2, exec_lo, s3
; %bb.213:
	v_cmp_ne_u32_e32 vcc_lo, 0, v78
	v_cndmask_b32_e32 v78, 11, v78, vcc_lo
; %bb.214:
	s_and_not1_saveexec_b32 s3, s2
	s_cbranch_execz .LBB30_220
; %bb.215:
	v_cmp_gt_f64_e32 vcc_lo, 0, v[64:65]
	v_cmp_gt_f64_e64 s2, 0, v[66:67]
	v_xor_b32_e32 v73, 0x80000000, v65
	v_xor_b32_e32 v81, 0x80000000, v67
	s_delay_alu instid0(VALU_DEP_2) | instskip(NEXT) | instid1(VALU_DEP_2)
	v_cndmask_b32_e32 v82, v65, v73, vcc_lo
	v_cndmask_b32_e64 v84, v67, v81, s2
	v_cndmask_b32_e32 v81, v64, v64, vcc_lo
	v_cndmask_b32_e64 v83, v66, v66, s2
	s_mov_b32 s2, exec_lo
	s_delay_alu instid0(VALU_DEP_1)
	v_cmpx_ngt_f64_e32 v[81:82], v[83:84]
	s_xor_b32 s2, exec_lo, s2
	s_cbranch_execz .LBB30_217
; %bb.216:
	v_div_scale_f64 v[81:82], null, v[66:67], v[66:67], v[64:65]
	v_div_scale_f64 v[87:88], vcc_lo, v[64:65], v[66:67], v[64:65]
	s_delay_alu instid0(VALU_DEP_2) | instskip(SKIP_2) | instid1(VALU_DEP_1)
	v_rcp_f64_e32 v[83:84], v[81:82]
	s_waitcnt_depctr 0xfff
	v_fma_f64 v[85:86], -v[81:82], v[83:84], 1.0
	v_fma_f64 v[83:84], v[83:84], v[85:86], v[83:84]
	s_delay_alu instid0(VALU_DEP_1) | instskip(NEXT) | instid1(VALU_DEP_1)
	v_fma_f64 v[85:86], -v[81:82], v[83:84], 1.0
	v_fma_f64 v[83:84], v[83:84], v[85:86], v[83:84]
	s_delay_alu instid0(VALU_DEP_1) | instskip(NEXT) | instid1(VALU_DEP_1)
	v_mul_f64 v[85:86], v[87:88], v[83:84]
	v_fma_f64 v[81:82], -v[81:82], v[85:86], v[87:88]
	s_delay_alu instid0(VALU_DEP_1) | instskip(NEXT) | instid1(VALU_DEP_1)
	v_div_fmas_f64 v[81:82], v[81:82], v[83:84], v[85:86]
	v_div_fixup_f64 v[81:82], v[81:82], v[66:67], v[64:65]
	s_delay_alu instid0(VALU_DEP_1) | instskip(NEXT) | instid1(VALU_DEP_1)
	v_fma_f64 v[64:65], v[64:65], v[81:82], v[66:67]
	v_div_scale_f64 v[66:67], null, v[64:65], v[64:65], 1.0
	s_delay_alu instid0(VALU_DEP_1) | instskip(SKIP_2) | instid1(VALU_DEP_1)
	v_rcp_f64_e32 v[83:84], v[66:67]
	s_waitcnt_depctr 0xfff
	v_fma_f64 v[85:86], -v[66:67], v[83:84], 1.0
	v_fma_f64 v[83:84], v[83:84], v[85:86], v[83:84]
	s_delay_alu instid0(VALU_DEP_1) | instskip(NEXT) | instid1(VALU_DEP_1)
	v_fma_f64 v[85:86], -v[66:67], v[83:84], 1.0
	v_fma_f64 v[83:84], v[83:84], v[85:86], v[83:84]
	v_div_scale_f64 v[85:86], vcc_lo, 1.0, v[64:65], 1.0
	s_delay_alu instid0(VALU_DEP_1) | instskip(NEXT) | instid1(VALU_DEP_1)
	v_mul_f64 v[87:88], v[85:86], v[83:84]
	v_fma_f64 v[66:67], -v[66:67], v[87:88], v[85:86]
	s_delay_alu instid0(VALU_DEP_1) | instskip(NEXT) | instid1(VALU_DEP_1)
	v_div_fmas_f64 v[66:67], v[66:67], v[83:84], v[87:88]
	v_div_fixup_f64 v[66:67], v[66:67], v[64:65], 1.0
	s_delay_alu instid0(VALU_DEP_1)
	v_mul_f64 v[64:65], v[81:82], v[66:67]
	v_xor_b32_e32 v67, 0x80000000, v67
.LBB30_217:
	s_and_not1_saveexec_b32 s2, s2
	s_cbranch_execz .LBB30_219
; %bb.218:
	s_delay_alu instid0(VALU_DEP_1) | instskip(SKIP_1) | instid1(VALU_DEP_2)
	v_div_scale_f64 v[81:82], null, v[64:65], v[64:65], v[66:67]
	v_div_scale_f64 v[87:88], vcc_lo, v[66:67], v[64:65], v[66:67]
	v_rcp_f64_e32 v[83:84], v[81:82]
	s_waitcnt_depctr 0xfff
	v_fma_f64 v[85:86], -v[81:82], v[83:84], 1.0
	s_delay_alu instid0(VALU_DEP_1) | instskip(NEXT) | instid1(VALU_DEP_1)
	v_fma_f64 v[83:84], v[83:84], v[85:86], v[83:84]
	v_fma_f64 v[85:86], -v[81:82], v[83:84], 1.0
	s_delay_alu instid0(VALU_DEP_1) | instskip(NEXT) | instid1(VALU_DEP_1)
	v_fma_f64 v[83:84], v[83:84], v[85:86], v[83:84]
	v_mul_f64 v[85:86], v[87:88], v[83:84]
	s_delay_alu instid0(VALU_DEP_1) | instskip(NEXT) | instid1(VALU_DEP_1)
	v_fma_f64 v[81:82], -v[81:82], v[85:86], v[87:88]
	v_div_fmas_f64 v[81:82], v[81:82], v[83:84], v[85:86]
	s_delay_alu instid0(VALU_DEP_1) | instskip(NEXT) | instid1(VALU_DEP_1)
	v_div_fixup_f64 v[81:82], v[81:82], v[64:65], v[66:67]
	v_fma_f64 v[64:65], v[66:67], v[81:82], v[64:65]
	s_delay_alu instid0(VALU_DEP_1) | instskip(NEXT) | instid1(VALU_DEP_1)
	v_div_scale_f64 v[66:67], null, v[64:65], v[64:65], 1.0
	v_rcp_f64_e32 v[83:84], v[66:67]
	s_waitcnt_depctr 0xfff
	v_fma_f64 v[85:86], -v[66:67], v[83:84], 1.0
	s_delay_alu instid0(VALU_DEP_1) | instskip(NEXT) | instid1(VALU_DEP_1)
	v_fma_f64 v[83:84], v[83:84], v[85:86], v[83:84]
	v_fma_f64 v[85:86], -v[66:67], v[83:84], 1.0
	s_delay_alu instid0(VALU_DEP_1) | instskip(SKIP_1) | instid1(VALU_DEP_1)
	v_fma_f64 v[83:84], v[83:84], v[85:86], v[83:84]
	v_div_scale_f64 v[85:86], vcc_lo, 1.0, v[64:65], 1.0
	v_mul_f64 v[87:88], v[85:86], v[83:84]
	s_delay_alu instid0(VALU_DEP_1) | instskip(NEXT) | instid1(VALU_DEP_1)
	v_fma_f64 v[66:67], -v[66:67], v[87:88], v[85:86]
	v_div_fmas_f64 v[66:67], v[66:67], v[83:84], v[87:88]
	s_delay_alu instid0(VALU_DEP_1) | instskip(NEXT) | instid1(VALU_DEP_1)
	v_div_fixup_f64 v[64:65], v[66:67], v[64:65], 1.0
	v_mul_f64 v[66:67], v[81:82], -v[64:65]
.LBB30_219:
	s_or_b32 exec_lo, exec_lo, s2
.LBB30_220:
	s_delay_alu instid0(SALU_CYCLE_1) | instskip(NEXT) | instid1(SALU_CYCLE_1)
	s_or_b32 exec_lo, exec_lo, s3
	s_mov_b32 s2, exec_lo
	v_cmpx_ne_u32_e64 v80, v72
	s_xor_b32 s2, exec_lo, s2
	s_cbranch_execz .LBB30_226
; %bb.221:
	s_mov_b32 s3, exec_lo
	v_cmpx_eq_u32_e32 10, v80
	s_cbranch_execz .LBB30_225
; %bb.222:
	v_cmp_ne_u32_e32 vcc_lo, 10, v72
	s_xor_b32 s6, s4, -1
	s_delay_alu instid0(SALU_CYCLE_1) | instskip(NEXT) | instid1(SALU_CYCLE_1)
	s_and_b32 s7, s6, vcc_lo
	s_and_saveexec_b32 s6, s7
	s_cbranch_execz .LBB30_224
; %bb.223:
	v_ashrrev_i32_e32 v73, 31, v72
	s_delay_alu instid0(VALU_DEP_1) | instskip(NEXT) | instid1(VALU_DEP_1)
	v_lshlrev_b64 v[80:81], 2, v[72:73]
	v_add_co_u32 v80, vcc_lo, v70, v80
	s_delay_alu instid0(VALU_DEP_2)
	v_add_co_ci_u32_e32 v81, vcc_lo, v71, v81, vcc_lo
	s_clause 0x1
	flat_load_b32 v73, v[80:81]
	flat_load_b32 v77, v[70:71] offset:40
	s_waitcnt vmcnt(1) lgkmcnt(1)
	flat_store_b32 v[70:71], v73 offset:40
	s_waitcnt vmcnt(0) lgkmcnt(1)
	flat_store_b32 v[80:81], v77
.LBB30_224:
	s_or_b32 exec_lo, exec_lo, s6
	v_mov_b32_e32 v80, v72
	v_mov_b32_e32 v77, v72
.LBB30_225:
	s_or_b32 exec_lo, exec_lo, s3
.LBB30_226:
	s_and_not1_saveexec_b32 s2, s2
	s_cbranch_execz .LBB30_228
; %bb.227:
	v_mov_b32_e32 v80, 10
	ds_store_2addr_b64 v74, v[16:17], v[18:19] offset0:22 offset1:23
	ds_store_2addr_b64 v74, v[12:13], v[14:15] offset0:24 offset1:25
	;; [unrolled: 1-line block ×5, first 2 shown]
.LBB30_228:
	s_or_b32 exec_lo, exec_lo, s2
	s_delay_alu instid0(SALU_CYCLE_1)
	s_mov_b32 s2, exec_lo
	s_waitcnt lgkmcnt(0)
	s_waitcnt_vscnt null, 0x0
	s_barrier
	buffer_gl0_inv
	v_cmpx_lt_i32_e32 10, v80
	s_cbranch_execz .LBB30_230
; %bb.229:
	v_mul_f64 v[72:73], v[64:65], v[34:35]
	v_mul_f64 v[34:35], v[66:67], v[34:35]
	ds_load_2addr_b64 v[81:84], v74 offset0:22 offset1:23
	ds_load_2addr_b64 v[85:88], v74 offset0:24 offset1:25
	;; [unrolled: 1-line block ×5, first 2 shown]
	v_fma_f64 v[66:67], v[66:67], v[32:33], v[72:73]
	v_fma_f64 v[32:33], v[64:65], v[32:33], -v[34:35]
	s_waitcnt lgkmcnt(4)
	s_delay_alu instid0(VALU_DEP_2)
	v_mul_f64 v[34:35], v[83:84], v[66:67]
	v_mul_f64 v[64:65], v[81:82], v[66:67]
	s_waitcnt lgkmcnt(3)
	v_mul_f64 v[72:73], v[87:88], v[66:67]
	v_mul_f64 v[101:102], v[85:86], v[66:67]
	s_waitcnt lgkmcnt(2)
	;; [unrolled: 3-line block ×4, first 2 shown]
	v_mul_f64 v[111:112], v[99:100], v[66:67]
	v_mul_f64 v[113:114], v[97:98], v[66:67]
	v_fma_f64 v[34:35], v[81:82], v[32:33], -v[34:35]
	v_fma_f64 v[64:65], v[83:84], v[32:33], v[64:65]
	v_fma_f64 v[72:73], v[85:86], v[32:33], -v[72:73]
	v_fma_f64 v[81:82], v[87:88], v[32:33], v[101:102]
	;; [unrolled: 2-line block ×5, first 2 shown]
	v_add_f64 v[16:17], v[16:17], -v[34:35]
	v_add_f64 v[18:19], v[18:19], -v[64:65]
	;; [unrolled: 1-line block ×10, first 2 shown]
	v_dual_mov_b32 v34, v66 :: v_dual_mov_b32 v35, v67
.LBB30_230:
	s_or_b32 exec_lo, exec_lo, s2
	v_lshl_add_u32 v64, v80, 4, v74
	s_barrier
	buffer_gl0_inv
	v_mov_b32_e32 v72, 11
	ds_store_2addr_b64 v64, v[16:17], v[18:19] offset1:1
	s_waitcnt lgkmcnt(0)
	s_barrier
	buffer_gl0_inv
	ds_load_2addr_b64 v[64:67], v74 offset0:22 offset1:23
	s_cmp_lt_i32 s5, 13
	s_cbranch_scc1 .LBB30_233
; %bb.231:
	v_add3_u32 v73, v79, 0, 0xc0
	v_mov_b32_e32 v72, 11
	s_mov_b32 s6, 12
	s_set_inst_prefetch_distance 0x1
	.p2align	6
.LBB30_232:                             ; =>This Inner Loop Header: Depth=1
	ds_load_2addr_b64 v[81:84], v73 offset1:1
	s_waitcnt lgkmcnt(1)
	v_cmp_gt_f64_e32 vcc_lo, 0, v[64:65]
	v_xor_b32_e32 v85, 0x80000000, v65
	v_cmp_gt_f64_e64 s2, 0, v[66:67]
	v_xor_b32_e32 v87, 0x80000000, v67
	v_add_nc_u32_e32 v73, 16, v73
	s_waitcnt lgkmcnt(0)
	v_cmp_gt_f64_e64 s3, 0, v[81:82]
	v_mov_b32_e32 v89, v81
	v_dual_mov_b32 v91, v83 :: v_dual_cndmask_b32 v86, v65, v85
	v_xor_b32_e32 v85, 0x80000000, v82
	v_cndmask_b32_e64 v88, v67, v87, s2
	v_xor_b32_e32 v87, 0x80000000, v84
	s_delay_alu instid0(VALU_DEP_3) | instskip(SKIP_2) | instid1(VALU_DEP_2)
	v_cndmask_b32_e64 v90, v82, v85, s3
	v_cmp_gt_f64_e64 s3, 0, v[83:84]
	v_cndmask_b32_e32 v85, v64, v64, vcc_lo
	v_cndmask_b32_e64 v92, v84, v87, s3
	v_cndmask_b32_e64 v87, v66, v66, s2
	s_delay_alu instid0(VALU_DEP_2) | instskip(NEXT) | instid1(VALU_DEP_2)
	v_add_f64 v[89:90], v[89:90], v[91:92]
	v_add_f64 v[85:86], v[85:86], v[87:88]
	s_delay_alu instid0(VALU_DEP_1) | instskip(SKIP_4) | instid1(SALU_CYCLE_1)
	v_cmp_lt_f64_e32 vcc_lo, v[85:86], v[89:90]
	v_dual_cndmask_b32 v66, v66, v83 :: v_dual_cndmask_b32 v65, v65, v82
	v_dual_cndmask_b32 v64, v64, v81 :: v_dual_cndmask_b32 v67, v67, v84
	v_cndmask_b32_e64 v72, v72, s6, vcc_lo
	s_add_i32 s6, s6, 1
	s_cmp_lg_u32 s5, s6
	s_cbranch_scc1 .LBB30_232
.LBB30_233:
	s_set_inst_prefetch_distance 0x2
	s_waitcnt lgkmcnt(0)
	v_cmp_eq_f64_e32 vcc_lo, 0, v[64:65]
	v_cmp_eq_f64_e64 s2, 0, v[66:67]
	s_delay_alu instid0(VALU_DEP_1) | instskip(NEXT) | instid1(SALU_CYCLE_1)
	s_and_b32 s2, vcc_lo, s2
	s_and_saveexec_b32 s3, s2
	s_delay_alu instid0(SALU_CYCLE_1)
	s_xor_b32 s2, exec_lo, s3
; %bb.234:
	v_cmp_ne_u32_e32 vcc_lo, 0, v78
	v_cndmask_b32_e32 v78, 12, v78, vcc_lo
; %bb.235:
	s_and_not1_saveexec_b32 s3, s2
	s_cbranch_execz .LBB30_241
; %bb.236:
	v_cmp_gt_f64_e32 vcc_lo, 0, v[64:65]
	v_cmp_gt_f64_e64 s2, 0, v[66:67]
	v_xor_b32_e32 v73, 0x80000000, v65
	v_xor_b32_e32 v81, 0x80000000, v67
	s_delay_alu instid0(VALU_DEP_2) | instskip(NEXT) | instid1(VALU_DEP_2)
	v_cndmask_b32_e32 v82, v65, v73, vcc_lo
	v_cndmask_b32_e64 v84, v67, v81, s2
	v_cndmask_b32_e32 v81, v64, v64, vcc_lo
	v_cndmask_b32_e64 v83, v66, v66, s2
	s_mov_b32 s2, exec_lo
	s_delay_alu instid0(VALU_DEP_1)
	v_cmpx_ngt_f64_e32 v[81:82], v[83:84]
	s_xor_b32 s2, exec_lo, s2
	s_cbranch_execz .LBB30_238
; %bb.237:
	v_div_scale_f64 v[81:82], null, v[66:67], v[66:67], v[64:65]
	v_div_scale_f64 v[87:88], vcc_lo, v[64:65], v[66:67], v[64:65]
	s_delay_alu instid0(VALU_DEP_2) | instskip(SKIP_2) | instid1(VALU_DEP_1)
	v_rcp_f64_e32 v[83:84], v[81:82]
	s_waitcnt_depctr 0xfff
	v_fma_f64 v[85:86], -v[81:82], v[83:84], 1.0
	v_fma_f64 v[83:84], v[83:84], v[85:86], v[83:84]
	s_delay_alu instid0(VALU_DEP_1) | instskip(NEXT) | instid1(VALU_DEP_1)
	v_fma_f64 v[85:86], -v[81:82], v[83:84], 1.0
	v_fma_f64 v[83:84], v[83:84], v[85:86], v[83:84]
	s_delay_alu instid0(VALU_DEP_1) | instskip(NEXT) | instid1(VALU_DEP_1)
	v_mul_f64 v[85:86], v[87:88], v[83:84]
	v_fma_f64 v[81:82], -v[81:82], v[85:86], v[87:88]
	s_delay_alu instid0(VALU_DEP_1) | instskip(NEXT) | instid1(VALU_DEP_1)
	v_div_fmas_f64 v[81:82], v[81:82], v[83:84], v[85:86]
	v_div_fixup_f64 v[81:82], v[81:82], v[66:67], v[64:65]
	s_delay_alu instid0(VALU_DEP_1) | instskip(NEXT) | instid1(VALU_DEP_1)
	v_fma_f64 v[64:65], v[64:65], v[81:82], v[66:67]
	v_div_scale_f64 v[66:67], null, v[64:65], v[64:65], 1.0
	s_delay_alu instid0(VALU_DEP_1) | instskip(SKIP_2) | instid1(VALU_DEP_1)
	v_rcp_f64_e32 v[83:84], v[66:67]
	s_waitcnt_depctr 0xfff
	v_fma_f64 v[85:86], -v[66:67], v[83:84], 1.0
	v_fma_f64 v[83:84], v[83:84], v[85:86], v[83:84]
	s_delay_alu instid0(VALU_DEP_1) | instskip(NEXT) | instid1(VALU_DEP_1)
	v_fma_f64 v[85:86], -v[66:67], v[83:84], 1.0
	v_fma_f64 v[83:84], v[83:84], v[85:86], v[83:84]
	v_div_scale_f64 v[85:86], vcc_lo, 1.0, v[64:65], 1.0
	s_delay_alu instid0(VALU_DEP_1) | instskip(NEXT) | instid1(VALU_DEP_1)
	v_mul_f64 v[87:88], v[85:86], v[83:84]
	v_fma_f64 v[66:67], -v[66:67], v[87:88], v[85:86]
	s_delay_alu instid0(VALU_DEP_1) | instskip(NEXT) | instid1(VALU_DEP_1)
	v_div_fmas_f64 v[66:67], v[66:67], v[83:84], v[87:88]
	v_div_fixup_f64 v[66:67], v[66:67], v[64:65], 1.0
	s_delay_alu instid0(VALU_DEP_1)
	v_mul_f64 v[64:65], v[81:82], v[66:67]
	v_xor_b32_e32 v67, 0x80000000, v67
.LBB30_238:
	s_and_not1_saveexec_b32 s2, s2
	s_cbranch_execz .LBB30_240
; %bb.239:
	s_delay_alu instid0(VALU_DEP_1) | instskip(SKIP_1) | instid1(VALU_DEP_2)
	v_div_scale_f64 v[81:82], null, v[64:65], v[64:65], v[66:67]
	v_div_scale_f64 v[87:88], vcc_lo, v[66:67], v[64:65], v[66:67]
	v_rcp_f64_e32 v[83:84], v[81:82]
	s_waitcnt_depctr 0xfff
	v_fma_f64 v[85:86], -v[81:82], v[83:84], 1.0
	s_delay_alu instid0(VALU_DEP_1) | instskip(NEXT) | instid1(VALU_DEP_1)
	v_fma_f64 v[83:84], v[83:84], v[85:86], v[83:84]
	v_fma_f64 v[85:86], -v[81:82], v[83:84], 1.0
	s_delay_alu instid0(VALU_DEP_1) | instskip(NEXT) | instid1(VALU_DEP_1)
	v_fma_f64 v[83:84], v[83:84], v[85:86], v[83:84]
	v_mul_f64 v[85:86], v[87:88], v[83:84]
	s_delay_alu instid0(VALU_DEP_1) | instskip(NEXT) | instid1(VALU_DEP_1)
	v_fma_f64 v[81:82], -v[81:82], v[85:86], v[87:88]
	v_div_fmas_f64 v[81:82], v[81:82], v[83:84], v[85:86]
	s_delay_alu instid0(VALU_DEP_1) | instskip(NEXT) | instid1(VALU_DEP_1)
	v_div_fixup_f64 v[81:82], v[81:82], v[64:65], v[66:67]
	v_fma_f64 v[64:65], v[66:67], v[81:82], v[64:65]
	s_delay_alu instid0(VALU_DEP_1) | instskip(NEXT) | instid1(VALU_DEP_1)
	v_div_scale_f64 v[66:67], null, v[64:65], v[64:65], 1.0
	v_rcp_f64_e32 v[83:84], v[66:67]
	s_waitcnt_depctr 0xfff
	v_fma_f64 v[85:86], -v[66:67], v[83:84], 1.0
	s_delay_alu instid0(VALU_DEP_1) | instskip(NEXT) | instid1(VALU_DEP_1)
	v_fma_f64 v[83:84], v[83:84], v[85:86], v[83:84]
	v_fma_f64 v[85:86], -v[66:67], v[83:84], 1.0
	s_delay_alu instid0(VALU_DEP_1) | instskip(SKIP_1) | instid1(VALU_DEP_1)
	v_fma_f64 v[83:84], v[83:84], v[85:86], v[83:84]
	v_div_scale_f64 v[85:86], vcc_lo, 1.0, v[64:65], 1.0
	v_mul_f64 v[87:88], v[85:86], v[83:84]
	s_delay_alu instid0(VALU_DEP_1) | instskip(NEXT) | instid1(VALU_DEP_1)
	v_fma_f64 v[66:67], -v[66:67], v[87:88], v[85:86]
	v_div_fmas_f64 v[66:67], v[66:67], v[83:84], v[87:88]
	s_delay_alu instid0(VALU_DEP_1) | instskip(NEXT) | instid1(VALU_DEP_1)
	v_div_fixup_f64 v[64:65], v[66:67], v[64:65], 1.0
	v_mul_f64 v[66:67], v[81:82], -v[64:65]
.LBB30_240:
	s_or_b32 exec_lo, exec_lo, s2
.LBB30_241:
	s_delay_alu instid0(SALU_CYCLE_1) | instskip(NEXT) | instid1(SALU_CYCLE_1)
	s_or_b32 exec_lo, exec_lo, s3
	s_mov_b32 s2, exec_lo
	v_cmpx_ne_u32_e64 v80, v72
	s_xor_b32 s2, exec_lo, s2
	s_cbranch_execz .LBB30_247
; %bb.242:
	s_mov_b32 s3, exec_lo
	v_cmpx_eq_u32_e32 11, v80
	s_cbranch_execz .LBB30_246
; %bb.243:
	v_cmp_ne_u32_e32 vcc_lo, 11, v72
	s_xor_b32 s6, s4, -1
	s_delay_alu instid0(SALU_CYCLE_1) | instskip(NEXT) | instid1(SALU_CYCLE_1)
	s_and_b32 s7, s6, vcc_lo
	s_and_saveexec_b32 s6, s7
	s_cbranch_execz .LBB30_245
; %bb.244:
	v_ashrrev_i32_e32 v73, 31, v72
	s_delay_alu instid0(VALU_DEP_1) | instskip(NEXT) | instid1(VALU_DEP_1)
	v_lshlrev_b64 v[80:81], 2, v[72:73]
	v_add_co_u32 v80, vcc_lo, v70, v80
	s_delay_alu instid0(VALU_DEP_2)
	v_add_co_ci_u32_e32 v81, vcc_lo, v71, v81, vcc_lo
	s_clause 0x1
	flat_load_b32 v73, v[80:81]
	flat_load_b32 v77, v[70:71] offset:44
	s_waitcnt vmcnt(1) lgkmcnt(1)
	flat_store_b32 v[70:71], v73 offset:44
	s_waitcnt vmcnt(0) lgkmcnt(1)
	flat_store_b32 v[80:81], v77
.LBB30_245:
	s_or_b32 exec_lo, exec_lo, s6
	v_mov_b32_e32 v80, v72
	v_mov_b32_e32 v77, v72
.LBB30_246:
	s_or_b32 exec_lo, exec_lo, s3
.LBB30_247:
	s_and_not1_saveexec_b32 s2, s2
	s_cbranch_execz .LBB30_249
; %bb.248:
	v_mov_b32_e32 v80, 11
	ds_store_2addr_b64 v74, v[12:13], v[14:15] offset0:24 offset1:25
	ds_store_2addr_b64 v74, v[8:9], v[10:11] offset0:26 offset1:27
	;; [unrolled: 1-line block ×4, first 2 shown]
.LBB30_249:
	s_or_b32 exec_lo, exec_lo, s2
	s_delay_alu instid0(SALU_CYCLE_1)
	s_mov_b32 s2, exec_lo
	s_waitcnt lgkmcnt(0)
	s_waitcnt_vscnt null, 0x0
	s_barrier
	buffer_gl0_inv
	v_cmpx_lt_i32_e32 11, v80
	s_cbranch_execz .LBB30_251
; %bb.250:
	v_mul_f64 v[72:73], v[64:65], v[18:19]
	v_mul_f64 v[18:19], v[66:67], v[18:19]
	ds_load_2addr_b64 v[81:84], v74 offset0:24 offset1:25
	ds_load_2addr_b64 v[85:88], v74 offset0:26 offset1:27
	;; [unrolled: 1-line block ×4, first 2 shown]
	v_fma_f64 v[66:67], v[66:67], v[16:17], v[72:73]
	v_fma_f64 v[16:17], v[64:65], v[16:17], -v[18:19]
	s_waitcnt lgkmcnt(3)
	s_delay_alu instid0(VALU_DEP_2)
	v_mul_f64 v[18:19], v[83:84], v[66:67]
	v_mul_f64 v[64:65], v[81:82], v[66:67]
	s_waitcnt lgkmcnt(2)
	v_mul_f64 v[72:73], v[87:88], v[66:67]
	v_mul_f64 v[97:98], v[85:86], v[66:67]
	s_waitcnt lgkmcnt(1)
	;; [unrolled: 3-line block ×3, first 2 shown]
	v_mul_f64 v[103:104], v[95:96], v[66:67]
	v_mul_f64 v[105:106], v[93:94], v[66:67]
	v_fma_f64 v[18:19], v[81:82], v[16:17], -v[18:19]
	v_fma_f64 v[64:65], v[83:84], v[16:17], v[64:65]
	v_fma_f64 v[72:73], v[85:86], v[16:17], -v[72:73]
	v_fma_f64 v[81:82], v[87:88], v[16:17], v[97:98]
	;; [unrolled: 2-line block ×4, first 2 shown]
	v_add_f64 v[12:13], v[12:13], -v[18:19]
	v_add_f64 v[14:15], v[14:15], -v[64:65]
	v_add_f64 v[8:9], v[8:9], -v[72:73]
	v_add_f64 v[10:11], v[10:11], -v[81:82]
	v_add_f64 v[4:5], v[4:5], -v[83:84]
	v_add_f64 v[6:7], v[6:7], -v[85:86]
	v_add_f64 v[0:1], v[0:1], -v[87:88]
	v_add_f64 v[2:3], v[2:3], -v[89:90]
	v_dual_mov_b32 v18, v66 :: v_dual_mov_b32 v19, v67
.LBB30_251:
	s_or_b32 exec_lo, exec_lo, s2
	v_lshl_add_u32 v64, v80, 4, v74
	s_barrier
	buffer_gl0_inv
	v_mov_b32_e32 v72, 12
	ds_store_2addr_b64 v64, v[12:13], v[14:15] offset1:1
	s_waitcnt lgkmcnt(0)
	s_barrier
	buffer_gl0_inv
	ds_load_2addr_b64 v[64:67], v74 offset0:24 offset1:25
	s_cmp_lt_i32 s5, 14
	s_cbranch_scc1 .LBB30_254
; %bb.252:
	v_add3_u32 v73, v79, 0, 0xd0
	v_mov_b32_e32 v72, 12
	s_mov_b32 s6, 13
	s_set_inst_prefetch_distance 0x1
	.p2align	6
.LBB30_253:                             ; =>This Inner Loop Header: Depth=1
	ds_load_2addr_b64 v[81:84], v73 offset1:1
	s_waitcnt lgkmcnt(1)
	v_cmp_gt_f64_e32 vcc_lo, 0, v[64:65]
	v_xor_b32_e32 v85, 0x80000000, v65
	v_cmp_gt_f64_e64 s2, 0, v[66:67]
	v_xor_b32_e32 v87, 0x80000000, v67
	v_add_nc_u32_e32 v73, 16, v73
	s_waitcnt lgkmcnt(0)
	v_cmp_gt_f64_e64 s3, 0, v[81:82]
	v_mov_b32_e32 v89, v81
	v_dual_mov_b32 v91, v83 :: v_dual_cndmask_b32 v86, v65, v85
	v_xor_b32_e32 v85, 0x80000000, v82
	v_cndmask_b32_e64 v88, v67, v87, s2
	v_xor_b32_e32 v87, 0x80000000, v84
	s_delay_alu instid0(VALU_DEP_3) | instskip(SKIP_2) | instid1(VALU_DEP_2)
	v_cndmask_b32_e64 v90, v82, v85, s3
	v_cmp_gt_f64_e64 s3, 0, v[83:84]
	v_cndmask_b32_e32 v85, v64, v64, vcc_lo
	v_cndmask_b32_e64 v92, v84, v87, s3
	v_cndmask_b32_e64 v87, v66, v66, s2
	s_delay_alu instid0(VALU_DEP_2) | instskip(NEXT) | instid1(VALU_DEP_2)
	v_add_f64 v[89:90], v[89:90], v[91:92]
	v_add_f64 v[85:86], v[85:86], v[87:88]
	s_delay_alu instid0(VALU_DEP_1) | instskip(SKIP_4) | instid1(SALU_CYCLE_1)
	v_cmp_lt_f64_e32 vcc_lo, v[85:86], v[89:90]
	v_dual_cndmask_b32 v66, v66, v83 :: v_dual_cndmask_b32 v65, v65, v82
	v_dual_cndmask_b32 v64, v64, v81 :: v_dual_cndmask_b32 v67, v67, v84
	v_cndmask_b32_e64 v72, v72, s6, vcc_lo
	s_add_i32 s6, s6, 1
	s_cmp_lg_u32 s5, s6
	s_cbranch_scc1 .LBB30_253
.LBB30_254:
	s_set_inst_prefetch_distance 0x2
	s_waitcnt lgkmcnt(0)
	v_cmp_eq_f64_e32 vcc_lo, 0, v[64:65]
	v_cmp_eq_f64_e64 s2, 0, v[66:67]
	s_delay_alu instid0(VALU_DEP_1) | instskip(NEXT) | instid1(SALU_CYCLE_1)
	s_and_b32 s2, vcc_lo, s2
	s_and_saveexec_b32 s3, s2
	s_delay_alu instid0(SALU_CYCLE_1)
	s_xor_b32 s2, exec_lo, s3
; %bb.255:
	v_cmp_ne_u32_e32 vcc_lo, 0, v78
	v_cndmask_b32_e32 v78, 13, v78, vcc_lo
; %bb.256:
	s_and_not1_saveexec_b32 s3, s2
	s_cbranch_execz .LBB30_262
; %bb.257:
	v_cmp_gt_f64_e32 vcc_lo, 0, v[64:65]
	v_cmp_gt_f64_e64 s2, 0, v[66:67]
	v_xor_b32_e32 v73, 0x80000000, v65
	v_xor_b32_e32 v81, 0x80000000, v67
	s_delay_alu instid0(VALU_DEP_2) | instskip(NEXT) | instid1(VALU_DEP_2)
	v_cndmask_b32_e32 v82, v65, v73, vcc_lo
	v_cndmask_b32_e64 v84, v67, v81, s2
	v_cndmask_b32_e32 v81, v64, v64, vcc_lo
	v_cndmask_b32_e64 v83, v66, v66, s2
	s_mov_b32 s2, exec_lo
	s_delay_alu instid0(VALU_DEP_1)
	v_cmpx_ngt_f64_e32 v[81:82], v[83:84]
	s_xor_b32 s2, exec_lo, s2
	s_cbranch_execz .LBB30_259
; %bb.258:
	v_div_scale_f64 v[81:82], null, v[66:67], v[66:67], v[64:65]
	v_div_scale_f64 v[87:88], vcc_lo, v[64:65], v[66:67], v[64:65]
	s_delay_alu instid0(VALU_DEP_2) | instskip(SKIP_2) | instid1(VALU_DEP_1)
	v_rcp_f64_e32 v[83:84], v[81:82]
	s_waitcnt_depctr 0xfff
	v_fma_f64 v[85:86], -v[81:82], v[83:84], 1.0
	v_fma_f64 v[83:84], v[83:84], v[85:86], v[83:84]
	s_delay_alu instid0(VALU_DEP_1) | instskip(NEXT) | instid1(VALU_DEP_1)
	v_fma_f64 v[85:86], -v[81:82], v[83:84], 1.0
	v_fma_f64 v[83:84], v[83:84], v[85:86], v[83:84]
	s_delay_alu instid0(VALU_DEP_1) | instskip(NEXT) | instid1(VALU_DEP_1)
	v_mul_f64 v[85:86], v[87:88], v[83:84]
	v_fma_f64 v[81:82], -v[81:82], v[85:86], v[87:88]
	s_delay_alu instid0(VALU_DEP_1) | instskip(NEXT) | instid1(VALU_DEP_1)
	v_div_fmas_f64 v[81:82], v[81:82], v[83:84], v[85:86]
	v_div_fixup_f64 v[81:82], v[81:82], v[66:67], v[64:65]
	s_delay_alu instid0(VALU_DEP_1) | instskip(NEXT) | instid1(VALU_DEP_1)
	v_fma_f64 v[64:65], v[64:65], v[81:82], v[66:67]
	v_div_scale_f64 v[66:67], null, v[64:65], v[64:65], 1.0
	s_delay_alu instid0(VALU_DEP_1) | instskip(SKIP_2) | instid1(VALU_DEP_1)
	v_rcp_f64_e32 v[83:84], v[66:67]
	s_waitcnt_depctr 0xfff
	v_fma_f64 v[85:86], -v[66:67], v[83:84], 1.0
	v_fma_f64 v[83:84], v[83:84], v[85:86], v[83:84]
	s_delay_alu instid0(VALU_DEP_1) | instskip(NEXT) | instid1(VALU_DEP_1)
	v_fma_f64 v[85:86], -v[66:67], v[83:84], 1.0
	v_fma_f64 v[83:84], v[83:84], v[85:86], v[83:84]
	v_div_scale_f64 v[85:86], vcc_lo, 1.0, v[64:65], 1.0
	s_delay_alu instid0(VALU_DEP_1) | instskip(NEXT) | instid1(VALU_DEP_1)
	v_mul_f64 v[87:88], v[85:86], v[83:84]
	v_fma_f64 v[66:67], -v[66:67], v[87:88], v[85:86]
	s_delay_alu instid0(VALU_DEP_1) | instskip(NEXT) | instid1(VALU_DEP_1)
	v_div_fmas_f64 v[66:67], v[66:67], v[83:84], v[87:88]
	v_div_fixup_f64 v[66:67], v[66:67], v[64:65], 1.0
	s_delay_alu instid0(VALU_DEP_1)
	v_mul_f64 v[64:65], v[81:82], v[66:67]
	v_xor_b32_e32 v67, 0x80000000, v67
.LBB30_259:
	s_and_not1_saveexec_b32 s2, s2
	s_cbranch_execz .LBB30_261
; %bb.260:
	s_delay_alu instid0(VALU_DEP_1) | instskip(SKIP_1) | instid1(VALU_DEP_2)
	v_div_scale_f64 v[81:82], null, v[64:65], v[64:65], v[66:67]
	v_div_scale_f64 v[87:88], vcc_lo, v[66:67], v[64:65], v[66:67]
	v_rcp_f64_e32 v[83:84], v[81:82]
	s_waitcnt_depctr 0xfff
	v_fma_f64 v[85:86], -v[81:82], v[83:84], 1.0
	s_delay_alu instid0(VALU_DEP_1) | instskip(NEXT) | instid1(VALU_DEP_1)
	v_fma_f64 v[83:84], v[83:84], v[85:86], v[83:84]
	v_fma_f64 v[85:86], -v[81:82], v[83:84], 1.0
	s_delay_alu instid0(VALU_DEP_1) | instskip(NEXT) | instid1(VALU_DEP_1)
	v_fma_f64 v[83:84], v[83:84], v[85:86], v[83:84]
	v_mul_f64 v[85:86], v[87:88], v[83:84]
	s_delay_alu instid0(VALU_DEP_1) | instskip(NEXT) | instid1(VALU_DEP_1)
	v_fma_f64 v[81:82], -v[81:82], v[85:86], v[87:88]
	v_div_fmas_f64 v[81:82], v[81:82], v[83:84], v[85:86]
	s_delay_alu instid0(VALU_DEP_1) | instskip(NEXT) | instid1(VALU_DEP_1)
	v_div_fixup_f64 v[81:82], v[81:82], v[64:65], v[66:67]
	v_fma_f64 v[64:65], v[66:67], v[81:82], v[64:65]
	s_delay_alu instid0(VALU_DEP_1) | instskip(NEXT) | instid1(VALU_DEP_1)
	v_div_scale_f64 v[66:67], null, v[64:65], v[64:65], 1.0
	v_rcp_f64_e32 v[83:84], v[66:67]
	s_waitcnt_depctr 0xfff
	v_fma_f64 v[85:86], -v[66:67], v[83:84], 1.0
	s_delay_alu instid0(VALU_DEP_1) | instskip(NEXT) | instid1(VALU_DEP_1)
	v_fma_f64 v[83:84], v[83:84], v[85:86], v[83:84]
	v_fma_f64 v[85:86], -v[66:67], v[83:84], 1.0
	s_delay_alu instid0(VALU_DEP_1) | instskip(SKIP_1) | instid1(VALU_DEP_1)
	v_fma_f64 v[83:84], v[83:84], v[85:86], v[83:84]
	v_div_scale_f64 v[85:86], vcc_lo, 1.0, v[64:65], 1.0
	v_mul_f64 v[87:88], v[85:86], v[83:84]
	s_delay_alu instid0(VALU_DEP_1) | instskip(NEXT) | instid1(VALU_DEP_1)
	v_fma_f64 v[66:67], -v[66:67], v[87:88], v[85:86]
	v_div_fmas_f64 v[66:67], v[66:67], v[83:84], v[87:88]
	s_delay_alu instid0(VALU_DEP_1) | instskip(NEXT) | instid1(VALU_DEP_1)
	v_div_fixup_f64 v[64:65], v[66:67], v[64:65], 1.0
	v_mul_f64 v[66:67], v[81:82], -v[64:65]
.LBB30_261:
	s_or_b32 exec_lo, exec_lo, s2
.LBB30_262:
	s_delay_alu instid0(SALU_CYCLE_1) | instskip(NEXT) | instid1(SALU_CYCLE_1)
	s_or_b32 exec_lo, exec_lo, s3
	s_mov_b32 s2, exec_lo
	v_cmpx_ne_u32_e64 v80, v72
	s_xor_b32 s2, exec_lo, s2
	s_cbranch_execz .LBB30_268
; %bb.263:
	s_mov_b32 s3, exec_lo
	v_cmpx_eq_u32_e32 12, v80
	s_cbranch_execz .LBB30_267
; %bb.264:
	v_cmp_ne_u32_e32 vcc_lo, 12, v72
	s_xor_b32 s6, s4, -1
	s_delay_alu instid0(SALU_CYCLE_1) | instskip(NEXT) | instid1(SALU_CYCLE_1)
	s_and_b32 s7, s6, vcc_lo
	s_and_saveexec_b32 s6, s7
	s_cbranch_execz .LBB30_266
; %bb.265:
	v_ashrrev_i32_e32 v73, 31, v72
	s_delay_alu instid0(VALU_DEP_1) | instskip(NEXT) | instid1(VALU_DEP_1)
	v_lshlrev_b64 v[80:81], 2, v[72:73]
	v_add_co_u32 v80, vcc_lo, v70, v80
	s_delay_alu instid0(VALU_DEP_2)
	v_add_co_ci_u32_e32 v81, vcc_lo, v71, v81, vcc_lo
	s_clause 0x1
	flat_load_b32 v73, v[80:81]
	flat_load_b32 v77, v[70:71] offset:48
	s_waitcnt vmcnt(1) lgkmcnt(1)
	flat_store_b32 v[70:71], v73 offset:48
	s_waitcnt vmcnt(0) lgkmcnt(1)
	flat_store_b32 v[80:81], v77
.LBB30_266:
	s_or_b32 exec_lo, exec_lo, s6
	v_mov_b32_e32 v80, v72
	v_mov_b32_e32 v77, v72
.LBB30_267:
	s_or_b32 exec_lo, exec_lo, s3
.LBB30_268:
	s_and_not1_saveexec_b32 s2, s2
	s_cbranch_execz .LBB30_270
; %bb.269:
	v_mov_b32_e32 v80, 12
	ds_store_2addr_b64 v74, v[8:9], v[10:11] offset0:26 offset1:27
	ds_store_2addr_b64 v74, v[4:5], v[6:7] offset0:28 offset1:29
	;; [unrolled: 1-line block ×3, first 2 shown]
.LBB30_270:
	s_or_b32 exec_lo, exec_lo, s2
	s_delay_alu instid0(SALU_CYCLE_1)
	s_mov_b32 s2, exec_lo
	s_waitcnt lgkmcnt(0)
	s_waitcnt_vscnt null, 0x0
	s_barrier
	buffer_gl0_inv
	v_cmpx_lt_i32_e32 12, v80
	s_cbranch_execz .LBB30_272
; %bb.271:
	v_mul_f64 v[72:73], v[64:65], v[14:15]
	v_mul_f64 v[14:15], v[66:67], v[14:15]
	ds_load_2addr_b64 v[81:84], v74 offset0:26 offset1:27
	ds_load_2addr_b64 v[85:88], v74 offset0:28 offset1:29
	;; [unrolled: 1-line block ×3, first 2 shown]
	v_fma_f64 v[66:67], v[66:67], v[12:13], v[72:73]
	v_fma_f64 v[12:13], v[64:65], v[12:13], -v[14:15]
	s_waitcnt lgkmcnt(2)
	s_delay_alu instid0(VALU_DEP_2)
	v_mul_f64 v[14:15], v[83:84], v[66:67]
	v_mul_f64 v[64:65], v[81:82], v[66:67]
	s_waitcnt lgkmcnt(1)
	v_mul_f64 v[72:73], v[87:88], v[66:67]
	v_mul_f64 v[93:94], v[85:86], v[66:67]
	s_waitcnt lgkmcnt(0)
	v_mul_f64 v[95:96], v[91:92], v[66:67]
	v_mul_f64 v[97:98], v[89:90], v[66:67]
	v_fma_f64 v[14:15], v[81:82], v[12:13], -v[14:15]
	v_fma_f64 v[64:65], v[83:84], v[12:13], v[64:65]
	v_fma_f64 v[72:73], v[85:86], v[12:13], -v[72:73]
	v_fma_f64 v[81:82], v[87:88], v[12:13], v[93:94]
	;; [unrolled: 2-line block ×3, first 2 shown]
	v_add_f64 v[8:9], v[8:9], -v[14:15]
	v_add_f64 v[10:11], v[10:11], -v[64:65]
	;; [unrolled: 1-line block ×6, first 2 shown]
	v_dual_mov_b32 v14, v66 :: v_dual_mov_b32 v15, v67
.LBB30_272:
	s_or_b32 exec_lo, exec_lo, s2
	v_lshl_add_u32 v64, v80, 4, v74
	s_barrier
	buffer_gl0_inv
	v_mov_b32_e32 v72, 13
	ds_store_2addr_b64 v64, v[8:9], v[10:11] offset1:1
	s_waitcnt lgkmcnt(0)
	s_barrier
	buffer_gl0_inv
	ds_load_2addr_b64 v[64:67], v74 offset0:26 offset1:27
	s_cmp_lt_i32 s5, 15
	s_cbranch_scc1 .LBB30_275
; %bb.273:
	v_add3_u32 v73, v79, 0, 0xe0
	v_mov_b32_e32 v72, 13
	s_mov_b32 s6, 14
	s_set_inst_prefetch_distance 0x1
	.p2align	6
.LBB30_274:                             ; =>This Inner Loop Header: Depth=1
	ds_load_2addr_b64 v[81:84], v73 offset1:1
	s_waitcnt lgkmcnt(1)
	v_cmp_gt_f64_e32 vcc_lo, 0, v[64:65]
	v_xor_b32_e32 v85, 0x80000000, v65
	v_cmp_gt_f64_e64 s2, 0, v[66:67]
	v_xor_b32_e32 v87, 0x80000000, v67
	v_add_nc_u32_e32 v73, 16, v73
	s_waitcnt lgkmcnt(0)
	v_cmp_gt_f64_e64 s3, 0, v[81:82]
	v_mov_b32_e32 v89, v81
	v_dual_mov_b32 v91, v83 :: v_dual_cndmask_b32 v86, v65, v85
	v_xor_b32_e32 v85, 0x80000000, v82
	v_cndmask_b32_e64 v88, v67, v87, s2
	v_xor_b32_e32 v87, 0x80000000, v84
	s_delay_alu instid0(VALU_DEP_3) | instskip(SKIP_2) | instid1(VALU_DEP_2)
	v_cndmask_b32_e64 v90, v82, v85, s3
	v_cmp_gt_f64_e64 s3, 0, v[83:84]
	v_cndmask_b32_e32 v85, v64, v64, vcc_lo
	v_cndmask_b32_e64 v92, v84, v87, s3
	v_cndmask_b32_e64 v87, v66, v66, s2
	s_delay_alu instid0(VALU_DEP_2) | instskip(NEXT) | instid1(VALU_DEP_2)
	v_add_f64 v[89:90], v[89:90], v[91:92]
	v_add_f64 v[85:86], v[85:86], v[87:88]
	s_delay_alu instid0(VALU_DEP_1) | instskip(SKIP_4) | instid1(SALU_CYCLE_1)
	v_cmp_lt_f64_e32 vcc_lo, v[85:86], v[89:90]
	v_dual_cndmask_b32 v66, v66, v83 :: v_dual_cndmask_b32 v65, v65, v82
	v_dual_cndmask_b32 v64, v64, v81 :: v_dual_cndmask_b32 v67, v67, v84
	v_cndmask_b32_e64 v72, v72, s6, vcc_lo
	s_add_i32 s6, s6, 1
	s_cmp_lg_u32 s5, s6
	s_cbranch_scc1 .LBB30_274
.LBB30_275:
	s_set_inst_prefetch_distance 0x2
	s_waitcnt lgkmcnt(0)
	v_cmp_eq_f64_e32 vcc_lo, 0, v[64:65]
	v_cmp_eq_f64_e64 s2, 0, v[66:67]
	s_delay_alu instid0(VALU_DEP_1) | instskip(NEXT) | instid1(SALU_CYCLE_1)
	s_and_b32 s2, vcc_lo, s2
	s_and_saveexec_b32 s3, s2
	s_delay_alu instid0(SALU_CYCLE_1)
	s_xor_b32 s2, exec_lo, s3
; %bb.276:
	v_cmp_ne_u32_e32 vcc_lo, 0, v78
	v_cndmask_b32_e32 v78, 14, v78, vcc_lo
; %bb.277:
	s_and_not1_saveexec_b32 s3, s2
	s_cbranch_execz .LBB30_283
; %bb.278:
	v_cmp_gt_f64_e32 vcc_lo, 0, v[64:65]
	v_cmp_gt_f64_e64 s2, 0, v[66:67]
	v_xor_b32_e32 v73, 0x80000000, v65
	v_xor_b32_e32 v81, 0x80000000, v67
	s_delay_alu instid0(VALU_DEP_2) | instskip(NEXT) | instid1(VALU_DEP_2)
	v_cndmask_b32_e32 v82, v65, v73, vcc_lo
	v_cndmask_b32_e64 v84, v67, v81, s2
	v_cndmask_b32_e32 v81, v64, v64, vcc_lo
	v_cndmask_b32_e64 v83, v66, v66, s2
	s_mov_b32 s2, exec_lo
	s_delay_alu instid0(VALU_DEP_1)
	v_cmpx_ngt_f64_e32 v[81:82], v[83:84]
	s_xor_b32 s2, exec_lo, s2
	s_cbranch_execz .LBB30_280
; %bb.279:
	v_div_scale_f64 v[81:82], null, v[66:67], v[66:67], v[64:65]
	v_div_scale_f64 v[87:88], vcc_lo, v[64:65], v[66:67], v[64:65]
	s_delay_alu instid0(VALU_DEP_2) | instskip(SKIP_2) | instid1(VALU_DEP_1)
	v_rcp_f64_e32 v[83:84], v[81:82]
	s_waitcnt_depctr 0xfff
	v_fma_f64 v[85:86], -v[81:82], v[83:84], 1.0
	v_fma_f64 v[83:84], v[83:84], v[85:86], v[83:84]
	s_delay_alu instid0(VALU_DEP_1) | instskip(NEXT) | instid1(VALU_DEP_1)
	v_fma_f64 v[85:86], -v[81:82], v[83:84], 1.0
	v_fma_f64 v[83:84], v[83:84], v[85:86], v[83:84]
	s_delay_alu instid0(VALU_DEP_1) | instskip(NEXT) | instid1(VALU_DEP_1)
	v_mul_f64 v[85:86], v[87:88], v[83:84]
	v_fma_f64 v[81:82], -v[81:82], v[85:86], v[87:88]
	s_delay_alu instid0(VALU_DEP_1) | instskip(NEXT) | instid1(VALU_DEP_1)
	v_div_fmas_f64 v[81:82], v[81:82], v[83:84], v[85:86]
	v_div_fixup_f64 v[81:82], v[81:82], v[66:67], v[64:65]
	s_delay_alu instid0(VALU_DEP_1) | instskip(NEXT) | instid1(VALU_DEP_1)
	v_fma_f64 v[64:65], v[64:65], v[81:82], v[66:67]
	v_div_scale_f64 v[66:67], null, v[64:65], v[64:65], 1.0
	s_delay_alu instid0(VALU_DEP_1) | instskip(SKIP_2) | instid1(VALU_DEP_1)
	v_rcp_f64_e32 v[83:84], v[66:67]
	s_waitcnt_depctr 0xfff
	v_fma_f64 v[85:86], -v[66:67], v[83:84], 1.0
	v_fma_f64 v[83:84], v[83:84], v[85:86], v[83:84]
	s_delay_alu instid0(VALU_DEP_1) | instskip(NEXT) | instid1(VALU_DEP_1)
	v_fma_f64 v[85:86], -v[66:67], v[83:84], 1.0
	v_fma_f64 v[83:84], v[83:84], v[85:86], v[83:84]
	v_div_scale_f64 v[85:86], vcc_lo, 1.0, v[64:65], 1.0
	s_delay_alu instid0(VALU_DEP_1) | instskip(NEXT) | instid1(VALU_DEP_1)
	v_mul_f64 v[87:88], v[85:86], v[83:84]
	v_fma_f64 v[66:67], -v[66:67], v[87:88], v[85:86]
	s_delay_alu instid0(VALU_DEP_1) | instskip(NEXT) | instid1(VALU_DEP_1)
	v_div_fmas_f64 v[66:67], v[66:67], v[83:84], v[87:88]
	v_div_fixup_f64 v[66:67], v[66:67], v[64:65], 1.0
	s_delay_alu instid0(VALU_DEP_1)
	v_mul_f64 v[64:65], v[81:82], v[66:67]
	v_xor_b32_e32 v67, 0x80000000, v67
.LBB30_280:
	s_and_not1_saveexec_b32 s2, s2
	s_cbranch_execz .LBB30_282
; %bb.281:
	s_delay_alu instid0(VALU_DEP_1) | instskip(SKIP_1) | instid1(VALU_DEP_2)
	v_div_scale_f64 v[81:82], null, v[64:65], v[64:65], v[66:67]
	v_div_scale_f64 v[87:88], vcc_lo, v[66:67], v[64:65], v[66:67]
	v_rcp_f64_e32 v[83:84], v[81:82]
	s_waitcnt_depctr 0xfff
	v_fma_f64 v[85:86], -v[81:82], v[83:84], 1.0
	s_delay_alu instid0(VALU_DEP_1) | instskip(NEXT) | instid1(VALU_DEP_1)
	v_fma_f64 v[83:84], v[83:84], v[85:86], v[83:84]
	v_fma_f64 v[85:86], -v[81:82], v[83:84], 1.0
	s_delay_alu instid0(VALU_DEP_1) | instskip(NEXT) | instid1(VALU_DEP_1)
	v_fma_f64 v[83:84], v[83:84], v[85:86], v[83:84]
	v_mul_f64 v[85:86], v[87:88], v[83:84]
	s_delay_alu instid0(VALU_DEP_1) | instskip(NEXT) | instid1(VALU_DEP_1)
	v_fma_f64 v[81:82], -v[81:82], v[85:86], v[87:88]
	v_div_fmas_f64 v[81:82], v[81:82], v[83:84], v[85:86]
	s_delay_alu instid0(VALU_DEP_1) | instskip(NEXT) | instid1(VALU_DEP_1)
	v_div_fixup_f64 v[81:82], v[81:82], v[64:65], v[66:67]
	v_fma_f64 v[64:65], v[66:67], v[81:82], v[64:65]
	s_delay_alu instid0(VALU_DEP_1) | instskip(NEXT) | instid1(VALU_DEP_1)
	v_div_scale_f64 v[66:67], null, v[64:65], v[64:65], 1.0
	v_rcp_f64_e32 v[83:84], v[66:67]
	s_waitcnt_depctr 0xfff
	v_fma_f64 v[85:86], -v[66:67], v[83:84], 1.0
	s_delay_alu instid0(VALU_DEP_1) | instskip(NEXT) | instid1(VALU_DEP_1)
	v_fma_f64 v[83:84], v[83:84], v[85:86], v[83:84]
	v_fma_f64 v[85:86], -v[66:67], v[83:84], 1.0
	s_delay_alu instid0(VALU_DEP_1) | instskip(SKIP_1) | instid1(VALU_DEP_1)
	v_fma_f64 v[83:84], v[83:84], v[85:86], v[83:84]
	v_div_scale_f64 v[85:86], vcc_lo, 1.0, v[64:65], 1.0
	v_mul_f64 v[87:88], v[85:86], v[83:84]
	s_delay_alu instid0(VALU_DEP_1) | instskip(NEXT) | instid1(VALU_DEP_1)
	v_fma_f64 v[66:67], -v[66:67], v[87:88], v[85:86]
	v_div_fmas_f64 v[66:67], v[66:67], v[83:84], v[87:88]
	s_delay_alu instid0(VALU_DEP_1) | instskip(NEXT) | instid1(VALU_DEP_1)
	v_div_fixup_f64 v[64:65], v[66:67], v[64:65], 1.0
	v_mul_f64 v[66:67], v[81:82], -v[64:65]
.LBB30_282:
	s_or_b32 exec_lo, exec_lo, s2
.LBB30_283:
	s_delay_alu instid0(SALU_CYCLE_1) | instskip(NEXT) | instid1(SALU_CYCLE_1)
	s_or_b32 exec_lo, exec_lo, s3
	s_mov_b32 s2, exec_lo
	v_cmpx_ne_u32_e64 v80, v72
	s_xor_b32 s2, exec_lo, s2
	s_cbranch_execz .LBB30_289
; %bb.284:
	s_mov_b32 s3, exec_lo
	v_cmpx_eq_u32_e32 13, v80
	s_cbranch_execz .LBB30_288
; %bb.285:
	v_cmp_ne_u32_e32 vcc_lo, 13, v72
	s_xor_b32 s6, s4, -1
	s_delay_alu instid0(SALU_CYCLE_1) | instskip(NEXT) | instid1(SALU_CYCLE_1)
	s_and_b32 s7, s6, vcc_lo
	s_and_saveexec_b32 s6, s7
	s_cbranch_execz .LBB30_287
; %bb.286:
	v_ashrrev_i32_e32 v73, 31, v72
	s_delay_alu instid0(VALU_DEP_1) | instskip(NEXT) | instid1(VALU_DEP_1)
	v_lshlrev_b64 v[80:81], 2, v[72:73]
	v_add_co_u32 v80, vcc_lo, v70, v80
	s_delay_alu instid0(VALU_DEP_2)
	v_add_co_ci_u32_e32 v81, vcc_lo, v71, v81, vcc_lo
	s_clause 0x1
	flat_load_b32 v73, v[80:81]
	flat_load_b32 v77, v[70:71] offset:52
	s_waitcnt vmcnt(1) lgkmcnt(1)
	flat_store_b32 v[70:71], v73 offset:52
	s_waitcnt vmcnt(0) lgkmcnt(1)
	flat_store_b32 v[80:81], v77
.LBB30_287:
	s_or_b32 exec_lo, exec_lo, s6
	v_mov_b32_e32 v80, v72
	v_mov_b32_e32 v77, v72
.LBB30_288:
	s_or_b32 exec_lo, exec_lo, s3
.LBB30_289:
	s_and_not1_saveexec_b32 s2, s2
	s_cbranch_execz .LBB30_291
; %bb.290:
	v_mov_b32_e32 v80, 13
	ds_store_2addr_b64 v74, v[4:5], v[6:7] offset0:28 offset1:29
	ds_store_2addr_b64 v74, v[0:1], v[2:3] offset0:30 offset1:31
.LBB30_291:
	s_or_b32 exec_lo, exec_lo, s2
	s_delay_alu instid0(SALU_CYCLE_1)
	s_mov_b32 s2, exec_lo
	s_waitcnt lgkmcnt(0)
	s_waitcnt_vscnt null, 0x0
	s_barrier
	buffer_gl0_inv
	v_cmpx_lt_i32_e32 13, v80
	s_cbranch_execz .LBB30_293
; %bb.292:
	v_mul_f64 v[72:73], v[64:65], v[10:11]
	v_mul_f64 v[10:11], v[66:67], v[10:11]
	ds_load_2addr_b64 v[81:84], v74 offset0:28 offset1:29
	ds_load_2addr_b64 v[85:88], v74 offset0:30 offset1:31
	v_fma_f64 v[66:67], v[66:67], v[8:9], v[72:73]
	v_fma_f64 v[8:9], v[64:65], v[8:9], -v[10:11]
	s_waitcnt lgkmcnt(1)
	s_delay_alu instid0(VALU_DEP_2) | instskip(SKIP_4) | instid1(VALU_DEP_4)
	v_mul_f64 v[10:11], v[83:84], v[66:67]
	v_mul_f64 v[64:65], v[81:82], v[66:67]
	s_waitcnt lgkmcnt(0)
	v_mul_f64 v[72:73], v[87:88], v[66:67]
	v_mul_f64 v[89:90], v[85:86], v[66:67]
	v_fma_f64 v[10:11], v[81:82], v[8:9], -v[10:11]
	s_delay_alu instid0(VALU_DEP_4) | instskip(NEXT) | instid1(VALU_DEP_4)
	v_fma_f64 v[64:65], v[83:84], v[8:9], v[64:65]
	v_fma_f64 v[72:73], v[85:86], v[8:9], -v[72:73]
	s_delay_alu instid0(VALU_DEP_4) | instskip(NEXT) | instid1(VALU_DEP_4)
	v_fma_f64 v[81:82], v[87:88], v[8:9], v[89:90]
	v_add_f64 v[4:5], v[4:5], -v[10:11]
	s_delay_alu instid0(VALU_DEP_4) | instskip(NEXT) | instid1(VALU_DEP_4)
	v_add_f64 v[6:7], v[6:7], -v[64:65]
	v_add_f64 v[0:1], v[0:1], -v[72:73]
	s_delay_alu instid0(VALU_DEP_4)
	v_add_f64 v[2:3], v[2:3], -v[81:82]
	v_dual_mov_b32 v10, v66 :: v_dual_mov_b32 v11, v67
.LBB30_293:
	s_or_b32 exec_lo, exec_lo, s2
	v_lshl_add_u32 v64, v80, 4, v74
	s_barrier
	buffer_gl0_inv
	v_mov_b32_e32 v72, 14
	ds_store_2addr_b64 v64, v[4:5], v[6:7] offset1:1
	s_waitcnt lgkmcnt(0)
	s_barrier
	buffer_gl0_inv
	ds_load_2addr_b64 v[64:67], v74 offset0:28 offset1:29
	s_cmp_lt_i32 s5, 16
	s_cbranch_scc1 .LBB30_296
; %bb.294:
	v_add3_u32 v73, v79, 0, 0xf0
	v_mov_b32_e32 v72, 14
	s_mov_b32 s6, 15
	s_set_inst_prefetch_distance 0x1
	.p2align	6
.LBB30_295:                             ; =>This Inner Loop Header: Depth=1
	ds_load_2addr_b64 v[81:84], v73 offset1:1
	s_waitcnt lgkmcnt(1)
	v_cmp_gt_f64_e32 vcc_lo, 0, v[64:65]
	v_xor_b32_e32 v85, 0x80000000, v65
	v_cmp_gt_f64_e64 s2, 0, v[66:67]
	v_xor_b32_e32 v87, 0x80000000, v67
	v_add_nc_u32_e32 v73, 16, v73
	s_waitcnt lgkmcnt(0)
	v_cmp_gt_f64_e64 s3, 0, v[81:82]
	v_mov_b32_e32 v89, v81
	v_dual_mov_b32 v91, v83 :: v_dual_cndmask_b32 v86, v65, v85
	v_xor_b32_e32 v85, 0x80000000, v82
	v_cndmask_b32_e64 v88, v67, v87, s2
	v_xor_b32_e32 v87, 0x80000000, v84
	s_delay_alu instid0(VALU_DEP_3) | instskip(SKIP_2) | instid1(VALU_DEP_2)
	v_cndmask_b32_e64 v90, v82, v85, s3
	v_cmp_gt_f64_e64 s3, 0, v[83:84]
	v_cndmask_b32_e32 v85, v64, v64, vcc_lo
	v_cndmask_b32_e64 v92, v84, v87, s3
	v_cndmask_b32_e64 v87, v66, v66, s2
	s_delay_alu instid0(VALU_DEP_2) | instskip(NEXT) | instid1(VALU_DEP_2)
	v_add_f64 v[89:90], v[89:90], v[91:92]
	v_add_f64 v[85:86], v[85:86], v[87:88]
	s_delay_alu instid0(VALU_DEP_1) | instskip(SKIP_4) | instid1(SALU_CYCLE_1)
	v_cmp_lt_f64_e32 vcc_lo, v[85:86], v[89:90]
	v_dual_cndmask_b32 v66, v66, v83 :: v_dual_cndmask_b32 v65, v65, v82
	v_dual_cndmask_b32 v64, v64, v81 :: v_dual_cndmask_b32 v67, v67, v84
	v_cndmask_b32_e64 v72, v72, s6, vcc_lo
	s_add_i32 s6, s6, 1
	s_cmp_lg_u32 s5, s6
	s_cbranch_scc1 .LBB30_295
.LBB30_296:
	s_set_inst_prefetch_distance 0x2
	s_waitcnt lgkmcnt(0)
	v_cmp_eq_f64_e32 vcc_lo, 0, v[64:65]
	v_cmp_eq_f64_e64 s2, 0, v[66:67]
	s_delay_alu instid0(VALU_DEP_1) | instskip(NEXT) | instid1(SALU_CYCLE_1)
	s_and_b32 s2, vcc_lo, s2
	s_and_saveexec_b32 s3, s2
	s_delay_alu instid0(SALU_CYCLE_1)
	s_xor_b32 s2, exec_lo, s3
; %bb.297:
	v_cmp_ne_u32_e32 vcc_lo, 0, v78
	v_cndmask_b32_e32 v78, 15, v78, vcc_lo
; %bb.298:
	s_and_not1_saveexec_b32 s3, s2
	s_cbranch_execz .LBB30_304
; %bb.299:
	v_cmp_gt_f64_e32 vcc_lo, 0, v[64:65]
	v_cmp_gt_f64_e64 s2, 0, v[66:67]
	v_xor_b32_e32 v73, 0x80000000, v65
	v_xor_b32_e32 v81, 0x80000000, v67
	s_delay_alu instid0(VALU_DEP_2) | instskip(NEXT) | instid1(VALU_DEP_2)
	v_cndmask_b32_e32 v82, v65, v73, vcc_lo
	v_cndmask_b32_e64 v84, v67, v81, s2
	v_cndmask_b32_e32 v81, v64, v64, vcc_lo
	v_cndmask_b32_e64 v83, v66, v66, s2
	s_mov_b32 s2, exec_lo
	s_delay_alu instid0(VALU_DEP_1)
	v_cmpx_ngt_f64_e32 v[81:82], v[83:84]
	s_xor_b32 s2, exec_lo, s2
	s_cbranch_execz .LBB30_301
; %bb.300:
	v_div_scale_f64 v[81:82], null, v[66:67], v[66:67], v[64:65]
	v_div_scale_f64 v[87:88], vcc_lo, v[64:65], v[66:67], v[64:65]
	s_delay_alu instid0(VALU_DEP_2) | instskip(SKIP_2) | instid1(VALU_DEP_1)
	v_rcp_f64_e32 v[83:84], v[81:82]
	s_waitcnt_depctr 0xfff
	v_fma_f64 v[85:86], -v[81:82], v[83:84], 1.0
	v_fma_f64 v[83:84], v[83:84], v[85:86], v[83:84]
	s_delay_alu instid0(VALU_DEP_1) | instskip(NEXT) | instid1(VALU_DEP_1)
	v_fma_f64 v[85:86], -v[81:82], v[83:84], 1.0
	v_fma_f64 v[83:84], v[83:84], v[85:86], v[83:84]
	s_delay_alu instid0(VALU_DEP_1) | instskip(NEXT) | instid1(VALU_DEP_1)
	v_mul_f64 v[85:86], v[87:88], v[83:84]
	v_fma_f64 v[81:82], -v[81:82], v[85:86], v[87:88]
	s_delay_alu instid0(VALU_DEP_1) | instskip(NEXT) | instid1(VALU_DEP_1)
	v_div_fmas_f64 v[81:82], v[81:82], v[83:84], v[85:86]
	v_div_fixup_f64 v[81:82], v[81:82], v[66:67], v[64:65]
	s_delay_alu instid0(VALU_DEP_1) | instskip(NEXT) | instid1(VALU_DEP_1)
	v_fma_f64 v[64:65], v[64:65], v[81:82], v[66:67]
	v_div_scale_f64 v[66:67], null, v[64:65], v[64:65], 1.0
	s_delay_alu instid0(VALU_DEP_1) | instskip(SKIP_2) | instid1(VALU_DEP_1)
	v_rcp_f64_e32 v[83:84], v[66:67]
	s_waitcnt_depctr 0xfff
	v_fma_f64 v[85:86], -v[66:67], v[83:84], 1.0
	v_fma_f64 v[83:84], v[83:84], v[85:86], v[83:84]
	s_delay_alu instid0(VALU_DEP_1) | instskip(NEXT) | instid1(VALU_DEP_1)
	v_fma_f64 v[85:86], -v[66:67], v[83:84], 1.0
	v_fma_f64 v[83:84], v[83:84], v[85:86], v[83:84]
	v_div_scale_f64 v[85:86], vcc_lo, 1.0, v[64:65], 1.0
	s_delay_alu instid0(VALU_DEP_1) | instskip(NEXT) | instid1(VALU_DEP_1)
	v_mul_f64 v[87:88], v[85:86], v[83:84]
	v_fma_f64 v[66:67], -v[66:67], v[87:88], v[85:86]
	s_delay_alu instid0(VALU_DEP_1) | instskip(NEXT) | instid1(VALU_DEP_1)
	v_div_fmas_f64 v[66:67], v[66:67], v[83:84], v[87:88]
	v_div_fixup_f64 v[66:67], v[66:67], v[64:65], 1.0
	s_delay_alu instid0(VALU_DEP_1)
	v_mul_f64 v[64:65], v[81:82], v[66:67]
	v_xor_b32_e32 v67, 0x80000000, v67
.LBB30_301:
	s_and_not1_saveexec_b32 s2, s2
	s_cbranch_execz .LBB30_303
; %bb.302:
	s_delay_alu instid0(VALU_DEP_1) | instskip(SKIP_1) | instid1(VALU_DEP_2)
	v_div_scale_f64 v[81:82], null, v[64:65], v[64:65], v[66:67]
	v_div_scale_f64 v[87:88], vcc_lo, v[66:67], v[64:65], v[66:67]
	v_rcp_f64_e32 v[83:84], v[81:82]
	s_waitcnt_depctr 0xfff
	v_fma_f64 v[85:86], -v[81:82], v[83:84], 1.0
	s_delay_alu instid0(VALU_DEP_1) | instskip(NEXT) | instid1(VALU_DEP_1)
	v_fma_f64 v[83:84], v[83:84], v[85:86], v[83:84]
	v_fma_f64 v[85:86], -v[81:82], v[83:84], 1.0
	s_delay_alu instid0(VALU_DEP_1) | instskip(NEXT) | instid1(VALU_DEP_1)
	v_fma_f64 v[83:84], v[83:84], v[85:86], v[83:84]
	v_mul_f64 v[85:86], v[87:88], v[83:84]
	s_delay_alu instid0(VALU_DEP_1) | instskip(NEXT) | instid1(VALU_DEP_1)
	v_fma_f64 v[81:82], -v[81:82], v[85:86], v[87:88]
	v_div_fmas_f64 v[81:82], v[81:82], v[83:84], v[85:86]
	s_delay_alu instid0(VALU_DEP_1) | instskip(NEXT) | instid1(VALU_DEP_1)
	v_div_fixup_f64 v[81:82], v[81:82], v[64:65], v[66:67]
	v_fma_f64 v[64:65], v[66:67], v[81:82], v[64:65]
	s_delay_alu instid0(VALU_DEP_1) | instskip(NEXT) | instid1(VALU_DEP_1)
	v_div_scale_f64 v[66:67], null, v[64:65], v[64:65], 1.0
	v_rcp_f64_e32 v[83:84], v[66:67]
	s_waitcnt_depctr 0xfff
	v_fma_f64 v[85:86], -v[66:67], v[83:84], 1.0
	s_delay_alu instid0(VALU_DEP_1) | instskip(NEXT) | instid1(VALU_DEP_1)
	v_fma_f64 v[83:84], v[83:84], v[85:86], v[83:84]
	v_fma_f64 v[85:86], -v[66:67], v[83:84], 1.0
	s_delay_alu instid0(VALU_DEP_1) | instskip(SKIP_1) | instid1(VALU_DEP_1)
	v_fma_f64 v[83:84], v[83:84], v[85:86], v[83:84]
	v_div_scale_f64 v[85:86], vcc_lo, 1.0, v[64:65], 1.0
	v_mul_f64 v[87:88], v[85:86], v[83:84]
	s_delay_alu instid0(VALU_DEP_1) | instskip(NEXT) | instid1(VALU_DEP_1)
	v_fma_f64 v[66:67], -v[66:67], v[87:88], v[85:86]
	v_div_fmas_f64 v[66:67], v[66:67], v[83:84], v[87:88]
	s_delay_alu instid0(VALU_DEP_1) | instskip(NEXT) | instid1(VALU_DEP_1)
	v_div_fixup_f64 v[64:65], v[66:67], v[64:65], 1.0
	v_mul_f64 v[66:67], v[81:82], -v[64:65]
.LBB30_303:
	s_or_b32 exec_lo, exec_lo, s2
.LBB30_304:
	s_delay_alu instid0(SALU_CYCLE_1) | instskip(NEXT) | instid1(SALU_CYCLE_1)
	s_or_b32 exec_lo, exec_lo, s3
	s_mov_b32 s2, exec_lo
	v_cmpx_ne_u32_e64 v80, v72
	s_xor_b32 s2, exec_lo, s2
	s_cbranch_execz .LBB30_310
; %bb.305:
	s_mov_b32 s3, exec_lo
	v_cmpx_eq_u32_e32 14, v80
	s_cbranch_execz .LBB30_309
; %bb.306:
	v_cmp_ne_u32_e32 vcc_lo, 14, v72
	s_xor_b32 s6, s4, -1
	s_delay_alu instid0(SALU_CYCLE_1) | instskip(NEXT) | instid1(SALU_CYCLE_1)
	s_and_b32 s7, s6, vcc_lo
	s_and_saveexec_b32 s6, s7
	s_cbranch_execz .LBB30_308
; %bb.307:
	v_ashrrev_i32_e32 v73, 31, v72
	s_delay_alu instid0(VALU_DEP_1) | instskip(NEXT) | instid1(VALU_DEP_1)
	v_lshlrev_b64 v[80:81], 2, v[72:73]
	v_add_co_u32 v80, vcc_lo, v70, v80
	s_delay_alu instid0(VALU_DEP_2)
	v_add_co_ci_u32_e32 v81, vcc_lo, v71, v81, vcc_lo
	s_clause 0x1
	flat_load_b32 v73, v[80:81]
	flat_load_b32 v77, v[70:71] offset:56
	s_waitcnt vmcnt(1) lgkmcnt(1)
	flat_store_b32 v[70:71], v73 offset:56
	s_waitcnt vmcnt(0) lgkmcnt(1)
	flat_store_b32 v[80:81], v77
.LBB30_308:
	s_or_b32 exec_lo, exec_lo, s6
	v_mov_b32_e32 v80, v72
	v_mov_b32_e32 v77, v72
.LBB30_309:
	s_or_b32 exec_lo, exec_lo, s3
.LBB30_310:
	s_and_not1_saveexec_b32 s2, s2
	s_cbranch_execz .LBB30_312
; %bb.311:
	v_mov_b32_e32 v80, 14
	ds_store_2addr_b64 v74, v[0:1], v[2:3] offset0:30 offset1:31
.LBB30_312:
	s_or_b32 exec_lo, exec_lo, s2
	s_delay_alu instid0(SALU_CYCLE_1)
	s_mov_b32 s2, exec_lo
	s_waitcnt lgkmcnt(0)
	s_waitcnt_vscnt null, 0x0
	s_barrier
	buffer_gl0_inv
	v_cmpx_lt_i32_e32 14, v80
	s_cbranch_execz .LBB30_314
; %bb.313:
	v_mul_f64 v[72:73], v[64:65], v[6:7]
	v_mul_f64 v[6:7], v[66:67], v[6:7]
	ds_load_2addr_b64 v[81:84], v74 offset0:30 offset1:31
	v_fma_f64 v[66:67], v[66:67], v[4:5], v[72:73]
	v_fma_f64 v[4:5], v[64:65], v[4:5], -v[6:7]
	s_waitcnt lgkmcnt(0)
	s_delay_alu instid0(VALU_DEP_2) | instskip(SKIP_1) | instid1(VALU_DEP_2)
	v_mul_f64 v[6:7], v[83:84], v[66:67]
	v_mul_f64 v[64:65], v[81:82], v[66:67]
	v_fma_f64 v[6:7], v[81:82], v[4:5], -v[6:7]
	s_delay_alu instid0(VALU_DEP_2) | instskip(NEXT) | instid1(VALU_DEP_2)
	v_fma_f64 v[64:65], v[83:84], v[4:5], v[64:65]
	v_add_f64 v[0:1], v[0:1], -v[6:7]
	s_delay_alu instid0(VALU_DEP_2)
	v_add_f64 v[2:3], v[2:3], -v[64:65]
	v_dual_mov_b32 v6, v66 :: v_dual_mov_b32 v7, v67
.LBB30_314:
	s_or_b32 exec_lo, exec_lo, s2
	v_lshl_add_u32 v64, v80, 4, v74
	s_barrier
	buffer_gl0_inv
	v_mov_b32_e32 v72, 15
	ds_store_2addr_b64 v64, v[0:1], v[2:3] offset1:1
	s_waitcnt lgkmcnt(0)
	s_barrier
	buffer_gl0_inv
	ds_load_2addr_b64 v[64:67], v74 offset0:30 offset1:31
	s_cmp_lt_i32 s5, 17
	s_cbranch_scc1 .LBB30_317
; %bb.315:
	v_add3_u32 v73, v79, 0, 0x100
	v_mov_b32_e32 v72, 15
	s_mov_b32 s6, 16
	s_set_inst_prefetch_distance 0x1
	.p2align	6
.LBB30_316:                             ; =>This Inner Loop Header: Depth=1
	ds_load_2addr_b64 v[81:84], v73 offset1:1
	s_waitcnt lgkmcnt(1)
	v_cmp_gt_f64_e32 vcc_lo, 0, v[64:65]
	v_xor_b32_e32 v74, 0x80000000, v65
	v_cmp_gt_f64_e64 s2, 0, v[66:67]
	v_xor_b32_e32 v79, 0x80000000, v67
	v_add_nc_u32_e32 v73, 16, v73
	s_waitcnt lgkmcnt(0)
	v_cmp_gt_f64_e64 s3, 0, v[81:82]
	v_mov_b32_e32 v89, v81
	v_dual_mov_b32 v91, v83 :: v_dual_cndmask_b32 v86, v65, v74
	v_xor_b32_e32 v74, 0x80000000, v82
	v_cndmask_b32_e64 v88, v67, v79, s2
	v_xor_b32_e32 v79, 0x80000000, v84
	v_cndmask_b32_e32 v85, v64, v64, vcc_lo
	v_cndmask_b32_e64 v87, v66, v66, s2
	s_delay_alu instid0(VALU_DEP_1) | instskip(SKIP_2) | instid1(VALU_DEP_1)
	v_add_f64 v[85:86], v[85:86], v[87:88]
	v_cndmask_b32_e64 v90, v82, v74, s3
	v_cmp_gt_f64_e64 s3, 0, v[83:84]
	v_cndmask_b32_e64 v92, v84, v79, s3
	s_delay_alu instid0(VALU_DEP_1) | instskip(NEXT) | instid1(VALU_DEP_1)
	v_add_f64 v[89:90], v[89:90], v[91:92]
	v_cmp_lt_f64_e32 vcc_lo, v[85:86], v[89:90]
	v_dual_cndmask_b32 v66, v66, v83 :: v_dual_cndmask_b32 v65, v65, v82
	v_dual_cndmask_b32 v64, v64, v81 :: v_dual_cndmask_b32 v67, v67, v84
	v_cndmask_b32_e64 v72, v72, s6, vcc_lo
	s_add_i32 s6, s6, 1
	s_delay_alu instid0(SALU_CYCLE_1)
	s_cmp_lg_u32 s5, s6
	s_cbranch_scc1 .LBB30_316
.LBB30_317:
	s_set_inst_prefetch_distance 0x2
	s_waitcnt lgkmcnt(0)
	v_cmp_eq_f64_e32 vcc_lo, 0, v[64:65]
	v_cmp_eq_f64_e64 s2, 0, v[66:67]
	s_delay_alu instid0(VALU_DEP_1) | instskip(NEXT) | instid1(SALU_CYCLE_1)
	s_and_b32 s2, vcc_lo, s2
	s_and_saveexec_b32 s3, s2
	s_delay_alu instid0(SALU_CYCLE_1)
	s_xor_b32 s2, exec_lo, s3
; %bb.318:
	v_cmp_ne_u32_e32 vcc_lo, 0, v78
	v_cndmask_b32_e32 v78, 16, v78, vcc_lo
; %bb.319:
	s_and_not1_saveexec_b32 s3, s2
	s_cbranch_execz .LBB30_325
; %bb.320:
	v_cmp_gt_f64_e32 vcc_lo, 0, v[64:65]
	v_cmp_gt_f64_e64 s2, 0, v[66:67]
	v_xor_b32_e32 v73, 0x80000000, v65
	v_xor_b32_e32 v79, 0x80000000, v67
	s_delay_alu instid0(VALU_DEP_2) | instskip(NEXT) | instid1(VALU_DEP_2)
	v_dual_cndmask_b32 v74, v65, v73 :: v_dual_cndmask_b32 v73, v64, v64
	v_cndmask_b32_e64 v82, v67, v79, s2
	v_cndmask_b32_e64 v81, v66, v66, s2
	s_mov_b32 s2, exec_lo
	s_delay_alu instid0(VALU_DEP_1)
	v_cmpx_ngt_f64_e32 v[73:74], v[81:82]
	s_xor_b32 s2, exec_lo, s2
	s_cbranch_execz .LBB30_322
; %bb.321:
	v_div_scale_f64 v[73:74], null, v[66:67], v[66:67], v[64:65]
	v_div_scale_f64 v[85:86], vcc_lo, v[64:65], v[66:67], v[64:65]
	s_delay_alu instid0(VALU_DEP_2) | instskip(SKIP_2) | instid1(VALU_DEP_1)
	v_rcp_f64_e32 v[81:82], v[73:74]
	s_waitcnt_depctr 0xfff
	v_fma_f64 v[83:84], -v[73:74], v[81:82], 1.0
	v_fma_f64 v[81:82], v[81:82], v[83:84], v[81:82]
	s_delay_alu instid0(VALU_DEP_1) | instskip(NEXT) | instid1(VALU_DEP_1)
	v_fma_f64 v[83:84], -v[73:74], v[81:82], 1.0
	v_fma_f64 v[81:82], v[81:82], v[83:84], v[81:82]
	s_delay_alu instid0(VALU_DEP_1) | instskip(NEXT) | instid1(VALU_DEP_1)
	v_mul_f64 v[83:84], v[85:86], v[81:82]
	v_fma_f64 v[73:74], -v[73:74], v[83:84], v[85:86]
	s_delay_alu instid0(VALU_DEP_1) | instskip(NEXT) | instid1(VALU_DEP_1)
	v_div_fmas_f64 v[73:74], v[73:74], v[81:82], v[83:84]
	v_div_fixup_f64 v[73:74], v[73:74], v[66:67], v[64:65]
	s_delay_alu instid0(VALU_DEP_1) | instskip(NEXT) | instid1(VALU_DEP_1)
	v_fma_f64 v[64:65], v[64:65], v[73:74], v[66:67]
	v_div_scale_f64 v[66:67], null, v[64:65], v[64:65], 1.0
	s_delay_alu instid0(VALU_DEP_1) | instskip(SKIP_2) | instid1(VALU_DEP_1)
	v_rcp_f64_e32 v[81:82], v[66:67]
	s_waitcnt_depctr 0xfff
	v_fma_f64 v[83:84], -v[66:67], v[81:82], 1.0
	v_fma_f64 v[81:82], v[81:82], v[83:84], v[81:82]
	s_delay_alu instid0(VALU_DEP_1) | instskip(NEXT) | instid1(VALU_DEP_1)
	v_fma_f64 v[83:84], -v[66:67], v[81:82], 1.0
	v_fma_f64 v[81:82], v[81:82], v[83:84], v[81:82]
	v_div_scale_f64 v[83:84], vcc_lo, 1.0, v[64:65], 1.0
	s_delay_alu instid0(VALU_DEP_1) | instskip(NEXT) | instid1(VALU_DEP_1)
	v_mul_f64 v[85:86], v[83:84], v[81:82]
	v_fma_f64 v[66:67], -v[66:67], v[85:86], v[83:84]
	s_delay_alu instid0(VALU_DEP_1) | instskip(NEXT) | instid1(VALU_DEP_1)
	v_div_fmas_f64 v[66:67], v[66:67], v[81:82], v[85:86]
	v_div_fixup_f64 v[66:67], v[66:67], v[64:65], 1.0
	s_delay_alu instid0(VALU_DEP_1)
	v_mul_f64 v[64:65], v[73:74], v[66:67]
	v_xor_b32_e32 v67, 0x80000000, v67
.LBB30_322:
	s_and_not1_saveexec_b32 s2, s2
	s_cbranch_execz .LBB30_324
; %bb.323:
	s_delay_alu instid0(VALU_DEP_1) | instskip(SKIP_1) | instid1(VALU_DEP_2)
	v_div_scale_f64 v[73:74], null, v[64:65], v[64:65], v[66:67]
	v_div_scale_f64 v[85:86], vcc_lo, v[66:67], v[64:65], v[66:67]
	v_rcp_f64_e32 v[81:82], v[73:74]
	s_waitcnt_depctr 0xfff
	v_fma_f64 v[83:84], -v[73:74], v[81:82], 1.0
	s_delay_alu instid0(VALU_DEP_1) | instskip(NEXT) | instid1(VALU_DEP_1)
	v_fma_f64 v[81:82], v[81:82], v[83:84], v[81:82]
	v_fma_f64 v[83:84], -v[73:74], v[81:82], 1.0
	s_delay_alu instid0(VALU_DEP_1) | instskip(NEXT) | instid1(VALU_DEP_1)
	v_fma_f64 v[81:82], v[81:82], v[83:84], v[81:82]
	v_mul_f64 v[83:84], v[85:86], v[81:82]
	s_delay_alu instid0(VALU_DEP_1) | instskip(NEXT) | instid1(VALU_DEP_1)
	v_fma_f64 v[73:74], -v[73:74], v[83:84], v[85:86]
	v_div_fmas_f64 v[73:74], v[73:74], v[81:82], v[83:84]
	s_delay_alu instid0(VALU_DEP_1) | instskip(NEXT) | instid1(VALU_DEP_1)
	v_div_fixup_f64 v[73:74], v[73:74], v[64:65], v[66:67]
	v_fma_f64 v[64:65], v[66:67], v[73:74], v[64:65]
	s_delay_alu instid0(VALU_DEP_1) | instskip(NEXT) | instid1(VALU_DEP_1)
	v_div_scale_f64 v[66:67], null, v[64:65], v[64:65], 1.0
	v_rcp_f64_e32 v[81:82], v[66:67]
	s_waitcnt_depctr 0xfff
	v_fma_f64 v[83:84], -v[66:67], v[81:82], 1.0
	s_delay_alu instid0(VALU_DEP_1) | instskip(NEXT) | instid1(VALU_DEP_1)
	v_fma_f64 v[81:82], v[81:82], v[83:84], v[81:82]
	v_fma_f64 v[83:84], -v[66:67], v[81:82], 1.0
	s_delay_alu instid0(VALU_DEP_1) | instskip(SKIP_1) | instid1(VALU_DEP_1)
	v_fma_f64 v[81:82], v[81:82], v[83:84], v[81:82]
	v_div_scale_f64 v[83:84], vcc_lo, 1.0, v[64:65], 1.0
	v_mul_f64 v[85:86], v[83:84], v[81:82]
	s_delay_alu instid0(VALU_DEP_1) | instskip(NEXT) | instid1(VALU_DEP_1)
	v_fma_f64 v[66:67], -v[66:67], v[85:86], v[83:84]
	v_div_fmas_f64 v[66:67], v[66:67], v[81:82], v[85:86]
	s_delay_alu instid0(VALU_DEP_1) | instskip(NEXT) | instid1(VALU_DEP_1)
	v_div_fixup_f64 v[64:65], v[66:67], v[64:65], 1.0
	v_mul_f64 v[66:67], v[73:74], -v[64:65]
.LBB30_324:
	s_or_b32 exec_lo, exec_lo, s2
.LBB30_325:
	s_delay_alu instid0(SALU_CYCLE_1)
	s_or_b32 exec_lo, exec_lo, s3
	v_mov_b32_e32 v73, 15
	s_mov_b32 s2, exec_lo
	v_cmpx_ne_u32_e64 v80, v72
	s_cbranch_execz .LBB30_331
; %bb.326:
	s_mov_b32 s3, exec_lo
	v_cmpx_eq_u32_e32 15, v80
	s_cbranch_execz .LBB30_330
; %bb.327:
	v_cmp_ne_u32_e32 vcc_lo, 15, v72
	s_xor_b32 s4, s4, -1
	s_delay_alu instid0(SALU_CYCLE_1) | instskip(NEXT) | instid1(SALU_CYCLE_1)
	s_and_b32 s5, s4, vcc_lo
	s_and_saveexec_b32 s4, s5
	s_cbranch_execz .LBB30_329
; %bb.328:
	v_ashrrev_i32_e32 v73, 31, v72
	s_delay_alu instid0(VALU_DEP_1) | instskip(NEXT) | instid1(VALU_DEP_1)
	v_lshlrev_b64 v[73:74], 2, v[72:73]
	v_add_co_u32 v73, vcc_lo, v70, v73
	s_delay_alu instid0(VALU_DEP_2)
	v_add_co_ci_u32_e32 v74, vcc_lo, v71, v74, vcc_lo
	s_clause 0x1
	flat_load_b32 v77, v[73:74]
	flat_load_b32 v79, v[70:71] offset:60
	s_waitcnt vmcnt(1) lgkmcnt(1)
	flat_store_b32 v[70:71], v77 offset:60
	s_waitcnt vmcnt(0) lgkmcnt(1)
	flat_store_b32 v[73:74], v79
.LBB30_329:
	s_or_b32 exec_lo, exec_lo, s4
	v_mov_b32_e32 v80, v72
	v_mov_b32_e32 v77, v72
.LBB30_330:
	s_or_b32 exec_lo, exec_lo, s3
	s_delay_alu instid0(VALU_DEP_2)
	v_mov_b32_e32 v73, v80
.LBB30_331:
	s_or_b32 exec_lo, exec_lo, s2
	s_delay_alu instid0(SALU_CYCLE_1)
	s_mov_b32 s2, exec_lo
	s_waitcnt lgkmcnt(0)
	s_waitcnt_vscnt null, 0x0
	s_barrier
	buffer_gl0_inv
	v_cmpx_lt_i32_e32 15, v73
; %bb.332:
	v_mul_f64 v[70:71], v[66:67], v[2:3]
	v_mul_f64 v[2:3], v[64:65], v[2:3]
	s_delay_alu instid0(VALU_DEP_2) | instskip(NEXT) | instid1(VALU_DEP_2)
	v_fma_f64 v[64:65], v[64:65], v[0:1], -v[70:71]
	v_fma_f64 v[2:3], v[66:67], v[0:1], v[2:3]
	s_delay_alu instid0(VALU_DEP_2)
	v_dual_mov_b32 v0, v64 :: v_dual_mov_b32 v1, v65
; %bb.333:
	s_or_b32 exec_lo, exec_lo, s2
	s_load_b256 s[0:7], s[0:1], 0x28
	v_ashrrev_i32_e32 v74, 31, v73
	s_mov_b32 s9, exec_lo
	s_waitcnt lgkmcnt(0)
	s_barrier
	buffer_gl0_inv
	v_cmpx_gt_i32_e32 16, v73
	s_cbranch_execz .LBB30_335
; %bb.334:
	v_mul_lo_u32 v66, v69, s4
	v_mul_lo_u32 v67, v68, s5
	v_mad_u64_u32 v[64:65], null, v68, s4, 0
	s_lshl_b64 s[2:3], s[2:3], 2
	s_delay_alu instid0(SALU_CYCLE_1) | instskip(SKIP_1) | instid1(VALU_DEP_1)
	s_add_u32 s0, s2, s0
	s_addc_u32 s1, s3, s1
	v_add3_u32 v65, v65, v67, v66
	v_lshlrev_b64 v[66:67], 2, v[73:74]
	s_delay_alu instid0(VALU_DEP_2) | instskip(NEXT) | instid1(VALU_DEP_1)
	v_lshlrev_b64 v[64:65], 2, v[64:65]
	v_add_co_u32 v64, vcc_lo, s0, v64
	s_delay_alu instid0(VALU_DEP_2) | instskip(NEXT) | instid1(VALU_DEP_2)
	v_add_co_ci_u32_e32 v65, vcc_lo, s1, v65, vcc_lo
	v_add_co_u32 v64, vcc_lo, v64, v66
	s_delay_alu instid0(VALU_DEP_2)
	v_add_co_ci_u32_e32 v65, vcc_lo, v65, v67, vcc_lo
	v_add3_u32 v66, v77, s13, 1
	global_store_b32 v[64:65], v66, off
.LBB30_335:
	s_or_b32 exec_lo, exec_lo, s9
	s_delay_alu instid0(SALU_CYCLE_1)
	s_mov_b32 s1, exec_lo
	v_cmpx_eq_u32_e32 0, v73
	s_cbranch_execz .LBB30_338
; %bb.336:
	v_lshlrev_b64 v[64:65], 2, v[68:69]
	v_cmp_lt_i32_e64 s0, 0, v78
	s_delay_alu instid0(VALU_DEP_2) | instskip(NEXT) | instid1(VALU_DEP_3)
	v_add_co_u32 v64, vcc_lo, s6, v64
	v_add_co_ci_u32_e32 v65, vcc_lo, s7, v65, vcc_lo
	global_load_b32 v66, v[64:65], off
	s_waitcnt vmcnt(0)
	v_cmp_eq_u32_e32 vcc_lo, 0, v66
	s_and_b32 s0, vcc_lo, s0
	s_delay_alu instid0(SALU_CYCLE_1)
	s_and_b32 exec_lo, exec_lo, s0
	s_cbranch_execz .LBB30_338
; %bb.337:
	v_add_nc_u32_e32 v66, s13, v78
	global_store_b32 v[64:65], v66, off
.LBB30_338:
	s_or_b32 exec_lo, exec_lo, s1
	v_add3_u32 v64, s8, s8, v73
	v_lshlrev_b64 v[66:67], 4, v[73:74]
	s_delay_alu instid0(VALU_DEP_2) | instskip(SKIP_1) | instid1(VALU_DEP_3)
	v_add_nc_u32_e32 v68, s8, v64
	v_ashrrev_i32_e32 v65, 31, v64
	v_add_co_u32 v66, vcc_lo, v75, v66
	s_delay_alu instid0(VALU_DEP_4) | instskip(NEXT) | instid1(VALU_DEP_4)
	v_add_co_ci_u32_e32 v67, vcc_lo, v76, v67, vcc_lo
	v_ashrrev_i32_e32 v69, 31, v68
	s_delay_alu instid0(VALU_DEP_4)
	v_lshlrev_b64 v[64:65], 4, v[64:65]
	global_store_b128 v[66:67], v[60:63], off
	v_add_co_u32 v60, vcc_lo, v66, s10
	v_lshlrev_b64 v[62:63], 4, v[68:69]
	v_add_co_ci_u32_e32 v61, vcc_lo, s11, v67, vcc_lo
	v_add_nc_u32_e32 v66, s8, v68
	v_add_co_u32 v64, vcc_lo, v75, v64
	v_add_co_ci_u32_e32 v65, vcc_lo, v76, v65, vcc_lo
	v_add_co_u32 v62, vcc_lo, v75, v62
	s_delay_alu instid0(VALU_DEP_4)
	v_add_nc_u32_e32 v68, s8, v66
	v_add_co_ci_u32_e32 v63, vcc_lo, v76, v63, vcc_lo
	v_ashrrev_i32_e32 v67, 31, v66
	global_store_b128 v[60:61], v[40:43], off
	v_ashrrev_i32_e32 v69, 31, v68
	s_clause 0x1
	global_store_b128 v[64:65], v[56:59], off
	global_store_b128 v[62:63], v[52:55], off
	v_add_nc_u32_e32 v52, s8, v68
	v_lshlrev_b64 v[40:41], 4, v[66:67]
	v_lshlrev_b64 v[42:43], 4, v[68:69]
	s_delay_alu instid0(VALU_DEP_3) | instskip(SKIP_1) | instid1(VALU_DEP_4)
	v_add_nc_u32_e32 v54, s8, v52
	v_ashrrev_i32_e32 v53, 31, v52
	v_add_co_u32 v40, vcc_lo, v75, v40
	v_add_co_ci_u32_e32 v41, vcc_lo, v76, v41, vcc_lo
	s_delay_alu instid0(VALU_DEP_4)
	v_add_nc_u32_e32 v56, s8, v54
	v_add_co_u32 v42, vcc_lo, v75, v42
	v_ashrrev_i32_e32 v55, 31, v54
	v_add_co_ci_u32_e32 v43, vcc_lo, v76, v43, vcc_lo
	v_lshlrev_b64 v[52:53], 4, v[52:53]
	v_ashrrev_i32_e32 v57, 31, v56
	s_clause 0x1
	global_store_b128 v[40:41], v[48:51], off
	global_store_b128 v[42:43], v[44:47], off
	v_lshlrev_b64 v[40:41], 4, v[54:55]
	v_add_nc_u32_e32 v46, s8, v56
	v_add_co_u32 v42, vcc_lo, v75, v52
	v_lshlrev_b64 v[44:45], 4, v[56:57]
	v_add_co_ci_u32_e32 v43, vcc_lo, v76, v53, vcc_lo
	v_add_co_u32 v40, vcc_lo, v75, v40
	v_add_nc_u32_e32 v48, s8, v46
	v_add_co_ci_u32_e32 v41, vcc_lo, v76, v41, vcc_lo
	v_ashrrev_i32_e32 v47, 31, v46
	v_add_co_u32 v44, vcc_lo, v75, v44
	v_add_co_ci_u32_e32 v45, vcc_lo, v76, v45, vcc_lo
	v_ashrrev_i32_e32 v49, 31, v48
	global_store_b128 v[42:43], v[28:31], off
	v_lshlrev_b64 v[28:29], 4, v[46:47]
	s_clause 0x1
	global_store_b128 v[40:41], v[24:27], off
	global_store_b128 v[44:45], v[36:39], off
	v_add_nc_u32_e32 v26, s8, v48
	v_lshlrev_b64 v[24:25], 4, v[48:49]
	v_add_co_u32 v28, vcc_lo, v75, v28
	s_delay_alu instid0(VALU_DEP_3) | instskip(SKIP_1) | instid1(VALU_DEP_4)
	v_add_nc_u32_e32 v30, s8, v26
	v_add_co_ci_u32_e32 v29, vcc_lo, v76, v29, vcc_lo
	v_add_co_u32 v24, vcc_lo, v75, v24
	v_add_co_ci_u32_e32 v25, vcc_lo, v76, v25, vcc_lo
	s_delay_alu instid0(VALU_DEP_4)
	v_add_nc_u32_e32 v36, s8, v30
	v_ashrrev_i32_e32 v27, 31, v26
	s_clause 0x1
	global_store_b128 v[28:29], v[20:23], off
	global_store_b128 v[24:25], v[32:35], off
	v_ashrrev_i32_e32 v31, 31, v30
	v_add_nc_u32_e32 v24, s8, v36
	v_lshlrev_b64 v[20:21], 4, v[26:27]
	v_ashrrev_i32_e32 v37, 31, v36
	s_delay_alu instid0(VALU_DEP_4) | instskip(NEXT) | instid1(VALU_DEP_4)
	v_lshlrev_b64 v[22:23], 4, v[30:31]
	v_add_nc_u32_e32 v28, s8, v24
	v_ashrrev_i32_e32 v25, 31, v24
	v_add_co_u32 v20, vcc_lo, v75, v20
	v_lshlrev_b64 v[26:27], 4, v[36:37]
	s_delay_alu instid0(VALU_DEP_4)
	v_ashrrev_i32_e32 v29, 31, v28
	v_add_co_ci_u32_e32 v21, vcc_lo, v76, v21, vcc_lo
	v_add_co_u32 v22, vcc_lo, v75, v22
	v_lshlrev_b64 v[24:25], 4, v[24:25]
	v_add_co_ci_u32_e32 v23, vcc_lo, v76, v23, vcc_lo
	v_add_co_u32 v26, vcc_lo, v75, v26
	v_lshlrev_b64 v[28:29], 4, v[28:29]
	v_add_co_ci_u32_e32 v27, vcc_lo, v76, v27, vcc_lo
	v_add_co_u32 v24, vcc_lo, v75, v24
	v_add_co_ci_u32_e32 v25, vcc_lo, v76, v25, vcc_lo
	s_delay_alu instid0(VALU_DEP_4)
	v_add_co_u32 v28, vcc_lo, v75, v28
	v_add_co_ci_u32_e32 v29, vcc_lo, v76, v29, vcc_lo
	s_clause 0x4
	global_store_b128 v[20:21], v[16:19], off
	global_store_b128 v[22:23], v[12:15], off
	;; [unrolled: 1-line block ×5, first 2 shown]
.LBB30_339:
	s_nop 0
	s_sendmsg sendmsg(MSG_DEALLOC_VGPRS)
	s_endpgm
	.section	.rodata,"a",@progbits
	.p2align	6, 0x0
	.amdhsa_kernel _ZN9rocsolver6v33100L18getf2_small_kernelILi16E19rocblas_complex_numIdEiiPKPS3_EEvT1_T3_lS7_lPS7_llPT2_S7_S7_S9_l
		.amdhsa_group_segment_fixed_size 0
		.amdhsa_private_segment_fixed_size 0
		.amdhsa_kernarg_size 352
		.amdhsa_user_sgpr_count 14
		.amdhsa_user_sgpr_dispatch_ptr 0
		.amdhsa_user_sgpr_queue_ptr 0
		.amdhsa_user_sgpr_kernarg_segment_ptr 1
		.amdhsa_user_sgpr_dispatch_id 0
		.amdhsa_user_sgpr_private_segment_size 0
		.amdhsa_wavefront_size32 1
		.amdhsa_uses_dynamic_stack 0
		.amdhsa_enable_private_segment 0
		.amdhsa_system_sgpr_workgroup_id_x 1
		.amdhsa_system_sgpr_workgroup_id_y 1
		.amdhsa_system_sgpr_workgroup_id_z 0
		.amdhsa_system_sgpr_workgroup_info 0
		.amdhsa_system_vgpr_workitem_id 1
		.amdhsa_next_free_vgpr 196
		.amdhsa_next_free_sgpr 16
		.amdhsa_reserve_vcc 1
		.amdhsa_float_round_mode_32 0
		.amdhsa_float_round_mode_16_64 0
		.amdhsa_float_denorm_mode_32 3
		.amdhsa_float_denorm_mode_16_64 3
		.amdhsa_dx10_clamp 1
		.amdhsa_ieee_mode 1
		.amdhsa_fp16_overflow 0
		.amdhsa_workgroup_processor_mode 1
		.amdhsa_memory_ordered 1
		.amdhsa_forward_progress 0
		.amdhsa_shared_vgpr_count 0
		.amdhsa_exception_fp_ieee_invalid_op 0
		.amdhsa_exception_fp_denorm_src 0
		.amdhsa_exception_fp_ieee_div_zero 0
		.amdhsa_exception_fp_ieee_overflow 0
		.amdhsa_exception_fp_ieee_underflow 0
		.amdhsa_exception_fp_ieee_inexact 0
		.amdhsa_exception_int_div_zero 0
	.end_amdhsa_kernel
	.section	.text._ZN9rocsolver6v33100L18getf2_small_kernelILi16E19rocblas_complex_numIdEiiPKPS3_EEvT1_T3_lS7_lPS7_llPT2_S7_S7_S9_l,"axG",@progbits,_ZN9rocsolver6v33100L18getf2_small_kernelILi16E19rocblas_complex_numIdEiiPKPS3_EEvT1_T3_lS7_lPS7_llPT2_S7_S7_S9_l,comdat
.Lfunc_end30:
	.size	_ZN9rocsolver6v33100L18getf2_small_kernelILi16E19rocblas_complex_numIdEiiPKPS3_EEvT1_T3_lS7_lPS7_llPT2_S7_S7_S9_l, .Lfunc_end30-_ZN9rocsolver6v33100L18getf2_small_kernelILi16E19rocblas_complex_numIdEiiPKPS3_EEvT1_T3_lS7_lPS7_llPT2_S7_S7_S9_l
                                        ; -- End function
	.section	.AMDGPU.csdata,"",@progbits
; Kernel info:
; codeLenInByte = 28468
; NumSgprs: 18
; NumVgprs: 196
; ScratchSize: 0
; MemoryBound: 0
; FloatMode: 240
; IeeeMode: 1
; LDSByteSize: 0 bytes/workgroup (compile time only)
; SGPRBlocks: 2
; VGPRBlocks: 24
; NumSGPRsForWavesPerEU: 18
; NumVGPRsForWavesPerEU: 196
; Occupancy: 7
; WaveLimiterHint : 1
; COMPUTE_PGM_RSRC2:SCRATCH_EN: 0
; COMPUTE_PGM_RSRC2:USER_SGPR: 14
; COMPUTE_PGM_RSRC2:TRAP_HANDLER: 0
; COMPUTE_PGM_RSRC2:TGID_X_EN: 1
; COMPUTE_PGM_RSRC2:TGID_Y_EN: 1
; COMPUTE_PGM_RSRC2:TGID_Z_EN: 0
; COMPUTE_PGM_RSRC2:TIDIG_COMP_CNT: 1
	.section	.text._ZN9rocsolver6v33100L23getf2_npvt_small_kernelILi16E19rocblas_complex_numIdEiiPKPS3_EEvT1_T3_lS7_lPT2_S7_S7_,"axG",@progbits,_ZN9rocsolver6v33100L23getf2_npvt_small_kernelILi16E19rocblas_complex_numIdEiiPKPS3_EEvT1_T3_lS7_lPT2_S7_S7_,comdat
	.globl	_ZN9rocsolver6v33100L23getf2_npvt_small_kernelILi16E19rocblas_complex_numIdEiiPKPS3_EEvT1_T3_lS7_lPT2_S7_S7_ ; -- Begin function _ZN9rocsolver6v33100L23getf2_npvt_small_kernelILi16E19rocblas_complex_numIdEiiPKPS3_EEvT1_T3_lS7_lPT2_S7_S7_
	.p2align	8
	.type	_ZN9rocsolver6v33100L23getf2_npvt_small_kernelILi16E19rocblas_complex_numIdEiiPKPS3_EEvT1_T3_lS7_lPT2_S7_S7_,@function
_ZN9rocsolver6v33100L23getf2_npvt_small_kernelILi16E19rocblas_complex_numIdEiiPKPS3_EEvT1_T3_lS7_lPT2_S7_S7_: ; @_ZN9rocsolver6v33100L23getf2_npvt_small_kernelILi16E19rocblas_complex_numIdEiiPKPS3_EEvT1_T3_lS7_lPT2_S7_S7_
; %bb.0:
	s_clause 0x1
	s_load_b32 s2, s[0:1], 0x44
	s_load_b64 s[8:9], s[0:1], 0x30
	v_bfe_u32 v64, v0, 10, 10
	s_waitcnt lgkmcnt(0)
	s_lshr_b32 s10, s2, 16
	s_mov_b32 s2, exec_lo
	s_delay_alu instid0(VALU_DEP_1) | instskip(NEXT) | instid1(VALU_DEP_1)
	v_mad_u64_u32 v[128:129], null, s15, s10, v[64:65]
	v_cmpx_gt_i32_e64 s8, v128
	s_cbranch_execz .LBB31_149
; %bb.1:
	s_clause 0x1
	s_load_b128 s[4:7], s[0:1], 0x8
	s_load_b32 s2, s[0:1], 0x18
	v_ashrrev_i32_e32 v129, 31, v128
	v_and_b32_e32 v164, 0x3ff, v0
	v_lshlrev_b32_e32 v65, 4, v64
	v_lshl_add_u32 v166, v64, 8, 0
	s_delay_alu instid0(VALU_DEP_4) | instskip(NEXT) | instid1(VALU_DEP_4)
	v_lshlrev_b64 v[1:2], 3, v[128:129]
	v_lshlrev_b32_e32 v31, 4, v164
	s_waitcnt lgkmcnt(0)
	s_delay_alu instid0(VALU_DEP_2) | instskip(NEXT) | instid1(VALU_DEP_3)
	v_add_co_u32 v1, vcc_lo, s4, v1
	v_add_co_ci_u32_e32 v2, vcc_lo, s5, v2, vcc_lo
	v_add3_u32 v3, s2, s2, v164
	s_lshl_b64 s[4:5], s[6:7], 4
	s_ashr_i32 s3, s2, 31
	global_load_b64 v[1:2], v[1:2], off
	s_lshl_b64 s[6:7], s[2:3], 4
	v_add_nc_u32_e32 v5, s2, v3
	v_ashrrev_i32_e32 v4, 31, v3
	v_cmp_ne_u32_e64 s3, 0, v164
	s_delay_alu instid0(VALU_DEP_3) | instskip(SKIP_1) | instid1(VALU_DEP_4)
	v_add_nc_u32_e32 v7, s2, v5
	v_ashrrev_i32_e32 v6, 31, v5
	v_lshlrev_b64 v[3:4], 4, v[3:4]
	s_delay_alu instid0(VALU_DEP_3) | instskip(SKIP_1) | instid1(VALU_DEP_4)
	v_add_nc_u32_e32 v9, s2, v7
	v_ashrrev_i32_e32 v8, 31, v7
	v_lshlrev_b64 v[5:6], 4, v[5:6]
	;; [unrolled: 4-line block ×12, first 2 shown]
	s_lshl_b32 s2, s10, 8
	s_delay_alu instid0(VALU_DEP_3) | instskip(NEXT) | instid1(VALU_DEP_3)
	v_ashrrev_i32_e32 v30, 31, v29
	v_lshlrev_b64 v[27:28], 4, v[27:28]
	v_add3_u32 v165, 0, s2, v65
	v_cmp_eq_u32_e64 s2, 0, v164
	s_waitcnt vmcnt(0)
	v_add_co_u32 v32, vcc_lo, v1, s4
	v_add_co_ci_u32_e32 v2, vcc_lo, s5, v2, vcc_lo
	v_lshlrev_b64 v[0:1], 4, v[29:30]
	s_delay_alu instid0(VALU_DEP_3) | instskip(NEXT) | instid1(VALU_DEP_3)
	v_add_co_u32 v158, vcc_lo, v32, v31
	v_add_co_ci_u32_e32 v159, vcc_lo, 0, v2, vcc_lo
	v_add_co_u32 v156, vcc_lo, v32, v3
	v_add_co_ci_u32_e32 v157, vcc_lo, v2, v4, vcc_lo
	;; [unrolled: 2-line block ×16, first 2 shown]
	s_clause 0xf
	global_load_b128 v[52:55], v[156:157], off
	global_load_b128 v[48:51], v[154:155], off
	;; [unrolled: 1-line block ×16, first 2 shown]
	s_and_saveexec_b32 s5, s2
	s_cbranch_execz .LBB31_8
; %bb.2:
	s_waitcnt vmcnt(3)
	ds_store_2addr_b64 v165, v[60:61], v[62:63] offset1:1
	s_waitcnt vmcnt(2)
	ds_store_2addr_b64 v166, v[56:57], v[58:59] offset0:2 offset1:3
	ds_store_2addr_b64 v166, v[52:53], v[54:55] offset0:4 offset1:5
	;; [unrolled: 1-line block ×13, first 2 shown]
	s_waitcnt vmcnt(1)
	ds_store_2addr_b64 v166, v[4:5], v[6:7] offset0:28 offset1:29
	s_waitcnt vmcnt(0)
	ds_store_2addr_b64 v166, v[0:1], v[2:3] offset0:30 offset1:31
	ds_load_2addr_b64 v[64:67], v165 offset1:1
	s_waitcnt lgkmcnt(0)
	v_cmp_neq_f64_e32 vcc_lo, 0, v[64:65]
	v_cmp_neq_f64_e64 s4, 0, v[66:67]
	s_delay_alu instid0(VALU_DEP_1) | instskip(NEXT) | instid1(SALU_CYCLE_1)
	s_or_b32 s4, vcc_lo, s4
	s_and_b32 exec_lo, exec_lo, s4
	s_cbranch_execz .LBB31_8
; %bb.3:
	v_cmp_gt_f64_e32 vcc_lo, 0, v[64:65]
	v_cmp_gt_f64_e64 s4, 0, v[66:67]
	v_xor_b32_e32 v68, 0x80000000, v65
	v_xor_b32_e32 v70, 0x80000000, v67
                                        ; implicit-def: $vgpr72_vgpr73
	s_delay_alu instid0(VALU_DEP_2) | instskip(NEXT) | instid1(VALU_DEP_2)
	v_cndmask_b32_e32 v69, v65, v68, vcc_lo
	v_cndmask_b32_e64 v71, v67, v70, s4
	v_cndmask_b32_e32 v68, v64, v64, vcc_lo
	v_cndmask_b32_e64 v70, v66, v66, s4
	s_mov_b32 s4, exec_lo
	s_delay_alu instid0(VALU_DEP_1)
	v_cmpx_ngt_f64_e32 v[68:69], v[70:71]
	s_xor_b32 s4, exec_lo, s4
                                        ; implicit-def: $vgpr68_vgpr69_vgpr70_vgpr71
	s_cbranch_execz .LBB31_5
; %bb.4:
	v_div_scale_f64 v[68:69], null, v[66:67], v[66:67], v[64:65]
	v_div_scale_f64 v[74:75], vcc_lo, v[64:65], v[66:67], v[64:65]
	s_delay_alu instid0(VALU_DEP_2) | instskip(SKIP_2) | instid1(VALU_DEP_1)
	v_rcp_f64_e32 v[70:71], v[68:69]
	s_waitcnt_depctr 0xfff
	v_fma_f64 v[72:73], -v[68:69], v[70:71], 1.0
	v_fma_f64 v[70:71], v[70:71], v[72:73], v[70:71]
	s_delay_alu instid0(VALU_DEP_1) | instskip(NEXT) | instid1(VALU_DEP_1)
	v_fma_f64 v[72:73], -v[68:69], v[70:71], 1.0
	v_fma_f64 v[70:71], v[70:71], v[72:73], v[70:71]
	s_delay_alu instid0(VALU_DEP_1) | instskip(NEXT) | instid1(VALU_DEP_1)
	v_mul_f64 v[72:73], v[74:75], v[70:71]
	v_fma_f64 v[68:69], -v[68:69], v[72:73], v[74:75]
	s_delay_alu instid0(VALU_DEP_1) | instskip(NEXT) | instid1(VALU_DEP_1)
	v_div_fmas_f64 v[68:69], v[68:69], v[70:71], v[72:73]
	v_div_fixup_f64 v[68:69], v[68:69], v[66:67], v[64:65]
	s_delay_alu instid0(VALU_DEP_1) | instskip(NEXT) | instid1(VALU_DEP_1)
	v_fma_f64 v[64:65], v[64:65], v[68:69], v[66:67]
	v_div_scale_f64 v[66:67], null, v[64:65], v[64:65], 1.0
	s_delay_alu instid0(VALU_DEP_1) | instskip(SKIP_2) | instid1(VALU_DEP_1)
	v_rcp_f64_e32 v[70:71], v[66:67]
	s_waitcnt_depctr 0xfff
	v_fma_f64 v[72:73], -v[66:67], v[70:71], 1.0
	v_fma_f64 v[70:71], v[70:71], v[72:73], v[70:71]
	s_delay_alu instid0(VALU_DEP_1) | instskip(NEXT) | instid1(VALU_DEP_1)
	v_fma_f64 v[72:73], -v[66:67], v[70:71], 1.0
	v_fma_f64 v[70:71], v[70:71], v[72:73], v[70:71]
	v_div_scale_f64 v[72:73], vcc_lo, 1.0, v[64:65], 1.0
	s_delay_alu instid0(VALU_DEP_1) | instskip(NEXT) | instid1(VALU_DEP_1)
	v_mul_f64 v[74:75], v[72:73], v[70:71]
	v_fma_f64 v[66:67], -v[66:67], v[74:75], v[72:73]
	s_delay_alu instid0(VALU_DEP_1) | instskip(NEXT) | instid1(VALU_DEP_1)
	v_div_fmas_f64 v[66:67], v[66:67], v[70:71], v[74:75]
	v_div_fixup_f64 v[70:71], v[66:67], v[64:65], 1.0
                                        ; implicit-def: $vgpr64_vgpr65
	s_delay_alu instid0(VALU_DEP_1)
	v_mul_f64 v[72:73], v[68:69], v[70:71]
	v_xor_b32_e32 v71, 0x80000000, v71
.LBB31_5:
	s_and_not1_saveexec_b32 s4, s4
	s_cbranch_execz .LBB31_7
; %bb.6:
	v_div_scale_f64 v[68:69], null, v[64:65], v[64:65], v[66:67]
	v_div_scale_f64 v[74:75], vcc_lo, v[66:67], v[64:65], v[66:67]
	s_delay_alu instid0(VALU_DEP_2) | instskip(SKIP_2) | instid1(VALU_DEP_1)
	v_rcp_f64_e32 v[70:71], v[68:69]
	s_waitcnt_depctr 0xfff
	v_fma_f64 v[72:73], -v[68:69], v[70:71], 1.0
	v_fma_f64 v[70:71], v[70:71], v[72:73], v[70:71]
	s_delay_alu instid0(VALU_DEP_1) | instskip(NEXT) | instid1(VALU_DEP_1)
	v_fma_f64 v[72:73], -v[68:69], v[70:71], 1.0
	v_fma_f64 v[70:71], v[70:71], v[72:73], v[70:71]
	s_delay_alu instid0(VALU_DEP_1) | instskip(NEXT) | instid1(VALU_DEP_1)
	v_mul_f64 v[72:73], v[74:75], v[70:71]
	v_fma_f64 v[68:69], -v[68:69], v[72:73], v[74:75]
	s_delay_alu instid0(VALU_DEP_1) | instskip(NEXT) | instid1(VALU_DEP_1)
	v_div_fmas_f64 v[68:69], v[68:69], v[70:71], v[72:73]
	v_div_fixup_f64 v[68:69], v[68:69], v[64:65], v[66:67]
	s_delay_alu instid0(VALU_DEP_1) | instskip(NEXT) | instid1(VALU_DEP_1)
	v_fma_f64 v[64:65], v[66:67], v[68:69], v[64:65]
	v_div_scale_f64 v[66:67], null, v[64:65], v[64:65], 1.0
	s_delay_alu instid0(VALU_DEP_1) | instskip(SKIP_2) | instid1(VALU_DEP_1)
	v_rcp_f64_e32 v[70:71], v[66:67]
	s_waitcnt_depctr 0xfff
	v_fma_f64 v[72:73], -v[66:67], v[70:71], 1.0
	v_fma_f64 v[70:71], v[70:71], v[72:73], v[70:71]
	s_delay_alu instid0(VALU_DEP_1) | instskip(NEXT) | instid1(VALU_DEP_1)
	v_fma_f64 v[72:73], -v[66:67], v[70:71], 1.0
	v_fma_f64 v[70:71], v[70:71], v[72:73], v[70:71]
	v_div_scale_f64 v[72:73], vcc_lo, 1.0, v[64:65], 1.0
	s_delay_alu instid0(VALU_DEP_1) | instskip(NEXT) | instid1(VALU_DEP_1)
	v_mul_f64 v[74:75], v[72:73], v[70:71]
	v_fma_f64 v[66:67], -v[66:67], v[74:75], v[72:73]
	s_delay_alu instid0(VALU_DEP_1) | instskip(NEXT) | instid1(VALU_DEP_1)
	v_div_fmas_f64 v[66:67], v[66:67], v[70:71], v[74:75]
	v_div_fixup_f64 v[72:73], v[66:67], v[64:65], 1.0
	s_delay_alu instid0(VALU_DEP_1)
	v_mul_f64 v[70:71], v[68:69], -v[72:73]
.LBB31_7:
	s_or_b32 exec_lo, exec_lo, s4
	ds_store_2addr_b64 v165, v[72:73], v[70:71] offset1:1
.LBB31_8:
	s_or_b32 exec_lo, exec_lo, s5
	s_waitcnt vmcnt(0) lgkmcnt(0)
	s_barrier
	buffer_gl0_inv
	ds_load_2addr_b64 v[64:67], v165 offset1:1
	s_and_saveexec_b32 s4, s3
	s_cbranch_execz .LBB31_10
; %bb.9:
	s_waitcnt lgkmcnt(0)
	v_mul_f64 v[68:69], v[64:65], v[62:63]
	v_mul_f64 v[62:63], v[66:67], v[62:63]
	s_delay_alu instid0(VALU_DEP_2)
	v_fma_f64 v[162:163], v[66:67], v[60:61], v[68:69]
	ds_load_2addr_b64 v[68:71], v166 offset0:2 offset1:3
	ds_load_2addr_b64 v[72:75], v166 offset0:4 offset1:5
	;; [unrolled: 1-line block ×15, first 2 shown]
	v_fma_f64 v[60:61], v[64:65], v[60:61], -v[62:63]
	s_waitcnt lgkmcnt(14)
	v_mul_f64 v[62:63], v[70:71], v[162:163]
	v_mul_f64 v[167:168], v[68:69], v[162:163]
	s_waitcnt lgkmcnt(13)
	v_mul_f64 v[169:170], v[74:75], v[162:163]
	v_mul_f64 v[171:172], v[72:73], v[162:163]
	;; [unrolled: 3-line block ×15, first 2 shown]
	v_fma_f64 v[62:63], v[68:69], v[60:61], -v[62:63]
	v_fma_f64 v[68:69], v[70:71], v[60:61], v[167:168]
	v_fma_f64 v[70:71], v[72:73], v[60:61], -v[169:170]
	v_fma_f64 v[72:73], v[74:75], v[60:61], v[171:172]
	;; [unrolled: 2-line block ×15, first 2 shown]
	v_add_f64 v[56:57], v[56:57], -v[62:63]
	v_add_f64 v[58:59], v[58:59], -v[68:69]
	;; [unrolled: 1-line block ×30, first 2 shown]
	v_dual_mov_b32 v62, v162 :: v_dual_mov_b32 v63, v163
.LBB31_10:
	s_or_b32 exec_lo, exec_lo, s4
	s_delay_alu instid0(SALU_CYCLE_1)
	s_mov_b32 s4, exec_lo
	s_waitcnt lgkmcnt(0)
	s_barrier
	buffer_gl0_inv
	v_cmpx_eq_u32_e32 1, v164
	s_cbranch_execz .LBB31_17
; %bb.11:
	ds_store_2addr_b64 v165, v[56:57], v[58:59] offset1:1
	ds_store_2addr_b64 v166, v[52:53], v[54:55] offset0:4 offset1:5
	ds_store_2addr_b64 v166, v[48:49], v[50:51] offset0:6 offset1:7
	;; [unrolled: 1-line block ×14, first 2 shown]
	ds_load_2addr_b64 v[68:71], v165 offset1:1
	s_waitcnt lgkmcnt(0)
	v_cmp_neq_f64_e32 vcc_lo, 0, v[68:69]
	v_cmp_neq_f64_e64 s3, 0, v[70:71]
	s_delay_alu instid0(VALU_DEP_1) | instskip(NEXT) | instid1(SALU_CYCLE_1)
	s_or_b32 s3, vcc_lo, s3
	s_and_b32 exec_lo, exec_lo, s3
	s_cbranch_execz .LBB31_17
; %bb.12:
	v_cmp_gt_f64_e32 vcc_lo, 0, v[68:69]
	v_cmp_gt_f64_e64 s3, 0, v[70:71]
	v_xor_b32_e32 v72, 0x80000000, v69
	v_xor_b32_e32 v74, 0x80000000, v71
                                        ; implicit-def: $vgpr76_vgpr77
	s_delay_alu instid0(VALU_DEP_2) | instskip(NEXT) | instid1(VALU_DEP_2)
	v_cndmask_b32_e32 v73, v69, v72, vcc_lo
	v_cndmask_b32_e64 v75, v71, v74, s3
	v_cndmask_b32_e32 v72, v68, v68, vcc_lo
	v_cndmask_b32_e64 v74, v70, v70, s3
	s_mov_b32 s3, exec_lo
	s_delay_alu instid0(VALU_DEP_1)
	v_cmpx_ngt_f64_e32 v[72:73], v[74:75]
	s_xor_b32 s3, exec_lo, s3
                                        ; implicit-def: $vgpr72_vgpr73_vgpr74_vgpr75
	s_cbranch_execz .LBB31_14
; %bb.13:
	v_div_scale_f64 v[72:73], null, v[70:71], v[70:71], v[68:69]
	v_div_scale_f64 v[78:79], vcc_lo, v[68:69], v[70:71], v[68:69]
	s_delay_alu instid0(VALU_DEP_2) | instskip(SKIP_2) | instid1(VALU_DEP_1)
	v_rcp_f64_e32 v[74:75], v[72:73]
	s_waitcnt_depctr 0xfff
	v_fma_f64 v[76:77], -v[72:73], v[74:75], 1.0
	v_fma_f64 v[74:75], v[74:75], v[76:77], v[74:75]
	s_delay_alu instid0(VALU_DEP_1) | instskip(NEXT) | instid1(VALU_DEP_1)
	v_fma_f64 v[76:77], -v[72:73], v[74:75], 1.0
	v_fma_f64 v[74:75], v[74:75], v[76:77], v[74:75]
	s_delay_alu instid0(VALU_DEP_1) | instskip(NEXT) | instid1(VALU_DEP_1)
	v_mul_f64 v[76:77], v[78:79], v[74:75]
	v_fma_f64 v[72:73], -v[72:73], v[76:77], v[78:79]
	s_delay_alu instid0(VALU_DEP_1) | instskip(NEXT) | instid1(VALU_DEP_1)
	v_div_fmas_f64 v[72:73], v[72:73], v[74:75], v[76:77]
	v_div_fixup_f64 v[72:73], v[72:73], v[70:71], v[68:69]
	s_delay_alu instid0(VALU_DEP_1) | instskip(NEXT) | instid1(VALU_DEP_1)
	v_fma_f64 v[68:69], v[68:69], v[72:73], v[70:71]
	v_div_scale_f64 v[70:71], null, v[68:69], v[68:69], 1.0
	s_delay_alu instid0(VALU_DEP_1) | instskip(SKIP_2) | instid1(VALU_DEP_1)
	v_rcp_f64_e32 v[74:75], v[70:71]
	s_waitcnt_depctr 0xfff
	v_fma_f64 v[76:77], -v[70:71], v[74:75], 1.0
	v_fma_f64 v[74:75], v[74:75], v[76:77], v[74:75]
	s_delay_alu instid0(VALU_DEP_1) | instskip(NEXT) | instid1(VALU_DEP_1)
	v_fma_f64 v[76:77], -v[70:71], v[74:75], 1.0
	v_fma_f64 v[74:75], v[74:75], v[76:77], v[74:75]
	v_div_scale_f64 v[76:77], vcc_lo, 1.0, v[68:69], 1.0
	s_delay_alu instid0(VALU_DEP_1) | instskip(NEXT) | instid1(VALU_DEP_1)
	v_mul_f64 v[78:79], v[76:77], v[74:75]
	v_fma_f64 v[70:71], -v[70:71], v[78:79], v[76:77]
	s_delay_alu instid0(VALU_DEP_1) | instskip(NEXT) | instid1(VALU_DEP_1)
	v_div_fmas_f64 v[70:71], v[70:71], v[74:75], v[78:79]
	v_div_fixup_f64 v[74:75], v[70:71], v[68:69], 1.0
                                        ; implicit-def: $vgpr68_vgpr69
	s_delay_alu instid0(VALU_DEP_1)
	v_mul_f64 v[76:77], v[72:73], v[74:75]
	v_xor_b32_e32 v75, 0x80000000, v75
.LBB31_14:
	s_and_not1_saveexec_b32 s3, s3
	s_cbranch_execz .LBB31_16
; %bb.15:
	v_div_scale_f64 v[72:73], null, v[68:69], v[68:69], v[70:71]
	v_div_scale_f64 v[78:79], vcc_lo, v[70:71], v[68:69], v[70:71]
	s_delay_alu instid0(VALU_DEP_2) | instskip(SKIP_2) | instid1(VALU_DEP_1)
	v_rcp_f64_e32 v[74:75], v[72:73]
	s_waitcnt_depctr 0xfff
	v_fma_f64 v[76:77], -v[72:73], v[74:75], 1.0
	v_fma_f64 v[74:75], v[74:75], v[76:77], v[74:75]
	s_delay_alu instid0(VALU_DEP_1) | instskip(NEXT) | instid1(VALU_DEP_1)
	v_fma_f64 v[76:77], -v[72:73], v[74:75], 1.0
	v_fma_f64 v[74:75], v[74:75], v[76:77], v[74:75]
	s_delay_alu instid0(VALU_DEP_1) | instskip(NEXT) | instid1(VALU_DEP_1)
	v_mul_f64 v[76:77], v[78:79], v[74:75]
	v_fma_f64 v[72:73], -v[72:73], v[76:77], v[78:79]
	s_delay_alu instid0(VALU_DEP_1) | instskip(NEXT) | instid1(VALU_DEP_1)
	v_div_fmas_f64 v[72:73], v[72:73], v[74:75], v[76:77]
	v_div_fixup_f64 v[72:73], v[72:73], v[68:69], v[70:71]
	s_delay_alu instid0(VALU_DEP_1) | instskip(NEXT) | instid1(VALU_DEP_1)
	v_fma_f64 v[68:69], v[70:71], v[72:73], v[68:69]
	v_div_scale_f64 v[70:71], null, v[68:69], v[68:69], 1.0
	s_delay_alu instid0(VALU_DEP_1) | instskip(SKIP_2) | instid1(VALU_DEP_1)
	v_rcp_f64_e32 v[74:75], v[70:71]
	s_waitcnt_depctr 0xfff
	v_fma_f64 v[76:77], -v[70:71], v[74:75], 1.0
	v_fma_f64 v[74:75], v[74:75], v[76:77], v[74:75]
	s_delay_alu instid0(VALU_DEP_1) | instskip(NEXT) | instid1(VALU_DEP_1)
	v_fma_f64 v[76:77], -v[70:71], v[74:75], 1.0
	v_fma_f64 v[74:75], v[74:75], v[76:77], v[74:75]
	v_div_scale_f64 v[76:77], vcc_lo, 1.0, v[68:69], 1.0
	s_delay_alu instid0(VALU_DEP_1) | instskip(NEXT) | instid1(VALU_DEP_1)
	v_mul_f64 v[78:79], v[76:77], v[74:75]
	v_fma_f64 v[70:71], -v[70:71], v[78:79], v[76:77]
	s_delay_alu instid0(VALU_DEP_1) | instskip(NEXT) | instid1(VALU_DEP_1)
	v_div_fmas_f64 v[70:71], v[70:71], v[74:75], v[78:79]
	v_div_fixup_f64 v[76:77], v[70:71], v[68:69], 1.0
	s_delay_alu instid0(VALU_DEP_1)
	v_mul_f64 v[74:75], v[72:73], -v[76:77]
.LBB31_16:
	s_or_b32 exec_lo, exec_lo, s3
	ds_store_2addr_b64 v165, v[76:77], v[74:75] offset1:1
.LBB31_17:
	s_or_b32 exec_lo, exec_lo, s4
	s_waitcnt lgkmcnt(0)
	s_barrier
	buffer_gl0_inv
	ds_load_2addr_b64 v[68:71], v165 offset1:1
	s_mov_b32 s3, exec_lo
	v_cmpx_lt_u32_e32 1, v164
	s_cbranch_execz .LBB31_19
; %bb.18:
	s_waitcnt lgkmcnt(0)
	v_mul_f64 v[72:73], v[68:69], v[58:59]
	v_mul_f64 v[58:59], v[70:71], v[58:59]
	s_delay_alu instid0(VALU_DEP_2)
	v_fma_f64 v[162:163], v[70:71], v[56:57], v[72:73]
	ds_load_2addr_b64 v[72:75], v166 offset0:4 offset1:5
	ds_load_2addr_b64 v[76:79], v166 offset0:6 offset1:7
	;; [unrolled: 1-line block ×14, first 2 shown]
	v_fma_f64 v[56:57], v[68:69], v[56:57], -v[58:59]
	s_waitcnt lgkmcnt(13)
	v_mul_f64 v[58:59], v[74:75], v[162:163]
	v_mul_f64 v[167:168], v[72:73], v[162:163]
	s_waitcnt lgkmcnt(12)
	v_mul_f64 v[169:170], v[78:79], v[162:163]
	v_mul_f64 v[171:172], v[76:77], v[162:163]
	;; [unrolled: 3-line block ×14, first 2 shown]
	v_fma_f64 v[58:59], v[72:73], v[56:57], -v[58:59]
	v_fma_f64 v[72:73], v[74:75], v[56:57], v[167:168]
	v_fma_f64 v[74:75], v[76:77], v[56:57], -v[169:170]
	v_fma_f64 v[76:77], v[78:79], v[56:57], v[171:172]
	;; [unrolled: 2-line block ×14, first 2 shown]
	v_add_f64 v[52:53], v[52:53], -v[58:59]
	v_add_f64 v[54:55], v[54:55], -v[72:73]
	;; [unrolled: 1-line block ×28, first 2 shown]
	v_dual_mov_b32 v58, v162 :: v_dual_mov_b32 v59, v163
.LBB31_19:
	s_or_b32 exec_lo, exec_lo, s3
	s_delay_alu instid0(SALU_CYCLE_1)
	s_mov_b32 s4, exec_lo
	s_waitcnt lgkmcnt(0)
	s_barrier
	buffer_gl0_inv
	v_cmpx_eq_u32_e32 2, v164
	s_cbranch_execz .LBB31_26
; %bb.20:
	ds_store_2addr_b64 v165, v[52:53], v[54:55] offset1:1
	ds_store_2addr_b64 v166, v[48:49], v[50:51] offset0:6 offset1:7
	ds_store_2addr_b64 v166, v[44:45], v[46:47] offset0:8 offset1:9
	;; [unrolled: 1-line block ×13, first 2 shown]
	ds_load_2addr_b64 v[72:75], v165 offset1:1
	s_waitcnt lgkmcnt(0)
	v_cmp_neq_f64_e32 vcc_lo, 0, v[72:73]
	v_cmp_neq_f64_e64 s3, 0, v[74:75]
	s_delay_alu instid0(VALU_DEP_1) | instskip(NEXT) | instid1(SALU_CYCLE_1)
	s_or_b32 s3, vcc_lo, s3
	s_and_b32 exec_lo, exec_lo, s3
	s_cbranch_execz .LBB31_26
; %bb.21:
	v_cmp_gt_f64_e32 vcc_lo, 0, v[72:73]
	v_cmp_gt_f64_e64 s3, 0, v[74:75]
	v_xor_b32_e32 v76, 0x80000000, v73
	v_xor_b32_e32 v78, 0x80000000, v75
                                        ; implicit-def: $vgpr80_vgpr81
	s_delay_alu instid0(VALU_DEP_2) | instskip(NEXT) | instid1(VALU_DEP_2)
	v_cndmask_b32_e32 v77, v73, v76, vcc_lo
	v_cndmask_b32_e64 v79, v75, v78, s3
	v_cndmask_b32_e32 v76, v72, v72, vcc_lo
	v_cndmask_b32_e64 v78, v74, v74, s3
	s_mov_b32 s3, exec_lo
	s_delay_alu instid0(VALU_DEP_1)
	v_cmpx_ngt_f64_e32 v[76:77], v[78:79]
	s_xor_b32 s3, exec_lo, s3
                                        ; implicit-def: $vgpr76_vgpr77_vgpr78_vgpr79
	s_cbranch_execz .LBB31_23
; %bb.22:
	v_div_scale_f64 v[76:77], null, v[74:75], v[74:75], v[72:73]
	v_div_scale_f64 v[82:83], vcc_lo, v[72:73], v[74:75], v[72:73]
	s_delay_alu instid0(VALU_DEP_2) | instskip(SKIP_2) | instid1(VALU_DEP_1)
	v_rcp_f64_e32 v[78:79], v[76:77]
	s_waitcnt_depctr 0xfff
	v_fma_f64 v[80:81], -v[76:77], v[78:79], 1.0
	v_fma_f64 v[78:79], v[78:79], v[80:81], v[78:79]
	s_delay_alu instid0(VALU_DEP_1) | instskip(NEXT) | instid1(VALU_DEP_1)
	v_fma_f64 v[80:81], -v[76:77], v[78:79], 1.0
	v_fma_f64 v[78:79], v[78:79], v[80:81], v[78:79]
	s_delay_alu instid0(VALU_DEP_1) | instskip(NEXT) | instid1(VALU_DEP_1)
	v_mul_f64 v[80:81], v[82:83], v[78:79]
	v_fma_f64 v[76:77], -v[76:77], v[80:81], v[82:83]
	s_delay_alu instid0(VALU_DEP_1) | instskip(NEXT) | instid1(VALU_DEP_1)
	v_div_fmas_f64 v[76:77], v[76:77], v[78:79], v[80:81]
	v_div_fixup_f64 v[76:77], v[76:77], v[74:75], v[72:73]
	s_delay_alu instid0(VALU_DEP_1) | instskip(NEXT) | instid1(VALU_DEP_1)
	v_fma_f64 v[72:73], v[72:73], v[76:77], v[74:75]
	v_div_scale_f64 v[74:75], null, v[72:73], v[72:73], 1.0
	s_delay_alu instid0(VALU_DEP_1) | instskip(SKIP_2) | instid1(VALU_DEP_1)
	v_rcp_f64_e32 v[78:79], v[74:75]
	s_waitcnt_depctr 0xfff
	v_fma_f64 v[80:81], -v[74:75], v[78:79], 1.0
	v_fma_f64 v[78:79], v[78:79], v[80:81], v[78:79]
	s_delay_alu instid0(VALU_DEP_1) | instskip(NEXT) | instid1(VALU_DEP_1)
	v_fma_f64 v[80:81], -v[74:75], v[78:79], 1.0
	v_fma_f64 v[78:79], v[78:79], v[80:81], v[78:79]
	v_div_scale_f64 v[80:81], vcc_lo, 1.0, v[72:73], 1.0
	s_delay_alu instid0(VALU_DEP_1) | instskip(NEXT) | instid1(VALU_DEP_1)
	v_mul_f64 v[82:83], v[80:81], v[78:79]
	v_fma_f64 v[74:75], -v[74:75], v[82:83], v[80:81]
	s_delay_alu instid0(VALU_DEP_1) | instskip(NEXT) | instid1(VALU_DEP_1)
	v_div_fmas_f64 v[74:75], v[74:75], v[78:79], v[82:83]
	v_div_fixup_f64 v[78:79], v[74:75], v[72:73], 1.0
                                        ; implicit-def: $vgpr72_vgpr73
	s_delay_alu instid0(VALU_DEP_1)
	v_mul_f64 v[80:81], v[76:77], v[78:79]
	v_xor_b32_e32 v79, 0x80000000, v79
.LBB31_23:
	s_and_not1_saveexec_b32 s3, s3
	s_cbranch_execz .LBB31_25
; %bb.24:
	v_div_scale_f64 v[76:77], null, v[72:73], v[72:73], v[74:75]
	v_div_scale_f64 v[82:83], vcc_lo, v[74:75], v[72:73], v[74:75]
	s_delay_alu instid0(VALU_DEP_2) | instskip(SKIP_2) | instid1(VALU_DEP_1)
	v_rcp_f64_e32 v[78:79], v[76:77]
	s_waitcnt_depctr 0xfff
	v_fma_f64 v[80:81], -v[76:77], v[78:79], 1.0
	v_fma_f64 v[78:79], v[78:79], v[80:81], v[78:79]
	s_delay_alu instid0(VALU_DEP_1) | instskip(NEXT) | instid1(VALU_DEP_1)
	v_fma_f64 v[80:81], -v[76:77], v[78:79], 1.0
	v_fma_f64 v[78:79], v[78:79], v[80:81], v[78:79]
	s_delay_alu instid0(VALU_DEP_1) | instskip(NEXT) | instid1(VALU_DEP_1)
	v_mul_f64 v[80:81], v[82:83], v[78:79]
	v_fma_f64 v[76:77], -v[76:77], v[80:81], v[82:83]
	s_delay_alu instid0(VALU_DEP_1) | instskip(NEXT) | instid1(VALU_DEP_1)
	v_div_fmas_f64 v[76:77], v[76:77], v[78:79], v[80:81]
	v_div_fixup_f64 v[76:77], v[76:77], v[72:73], v[74:75]
	s_delay_alu instid0(VALU_DEP_1) | instskip(NEXT) | instid1(VALU_DEP_1)
	v_fma_f64 v[72:73], v[74:75], v[76:77], v[72:73]
	v_div_scale_f64 v[74:75], null, v[72:73], v[72:73], 1.0
	s_delay_alu instid0(VALU_DEP_1) | instskip(SKIP_2) | instid1(VALU_DEP_1)
	v_rcp_f64_e32 v[78:79], v[74:75]
	s_waitcnt_depctr 0xfff
	v_fma_f64 v[80:81], -v[74:75], v[78:79], 1.0
	v_fma_f64 v[78:79], v[78:79], v[80:81], v[78:79]
	s_delay_alu instid0(VALU_DEP_1) | instskip(NEXT) | instid1(VALU_DEP_1)
	v_fma_f64 v[80:81], -v[74:75], v[78:79], 1.0
	v_fma_f64 v[78:79], v[78:79], v[80:81], v[78:79]
	v_div_scale_f64 v[80:81], vcc_lo, 1.0, v[72:73], 1.0
	s_delay_alu instid0(VALU_DEP_1) | instskip(NEXT) | instid1(VALU_DEP_1)
	v_mul_f64 v[82:83], v[80:81], v[78:79]
	v_fma_f64 v[74:75], -v[74:75], v[82:83], v[80:81]
	s_delay_alu instid0(VALU_DEP_1) | instskip(NEXT) | instid1(VALU_DEP_1)
	v_div_fmas_f64 v[74:75], v[74:75], v[78:79], v[82:83]
	v_div_fixup_f64 v[80:81], v[74:75], v[72:73], 1.0
	s_delay_alu instid0(VALU_DEP_1)
	v_mul_f64 v[78:79], v[76:77], -v[80:81]
.LBB31_25:
	s_or_b32 exec_lo, exec_lo, s3
	ds_store_2addr_b64 v165, v[80:81], v[78:79] offset1:1
.LBB31_26:
	s_or_b32 exec_lo, exec_lo, s4
	s_waitcnt lgkmcnt(0)
	s_barrier
	buffer_gl0_inv
	ds_load_2addr_b64 v[72:75], v165 offset1:1
	s_mov_b32 s3, exec_lo
	v_cmpx_lt_u32_e32 2, v164
	s_cbranch_execz .LBB31_28
; %bb.27:
	s_waitcnt lgkmcnt(0)
	v_mul_f64 v[76:77], v[72:73], v[54:55]
	v_mul_f64 v[54:55], v[74:75], v[54:55]
	s_delay_alu instid0(VALU_DEP_2)
	v_fma_f64 v[162:163], v[74:75], v[52:53], v[76:77]
	ds_load_2addr_b64 v[76:79], v166 offset0:6 offset1:7
	ds_load_2addr_b64 v[80:83], v166 offset0:8 offset1:9
	;; [unrolled: 1-line block ×13, first 2 shown]
	v_fma_f64 v[52:53], v[72:73], v[52:53], -v[54:55]
	s_waitcnt lgkmcnt(12)
	v_mul_f64 v[54:55], v[78:79], v[162:163]
	v_mul_f64 v[167:168], v[76:77], v[162:163]
	s_waitcnt lgkmcnt(11)
	v_mul_f64 v[169:170], v[82:83], v[162:163]
	v_mul_f64 v[171:172], v[80:81], v[162:163]
	;; [unrolled: 3-line block ×13, first 2 shown]
	v_fma_f64 v[54:55], v[76:77], v[52:53], -v[54:55]
	v_fma_f64 v[76:77], v[78:79], v[52:53], v[167:168]
	v_fma_f64 v[78:79], v[80:81], v[52:53], -v[169:170]
	v_fma_f64 v[80:81], v[82:83], v[52:53], v[171:172]
	;; [unrolled: 2-line block ×13, first 2 shown]
	v_add_f64 v[48:49], v[48:49], -v[54:55]
	v_add_f64 v[50:51], v[50:51], -v[76:77]
	;; [unrolled: 1-line block ×26, first 2 shown]
	v_dual_mov_b32 v54, v162 :: v_dual_mov_b32 v55, v163
.LBB31_28:
	s_or_b32 exec_lo, exec_lo, s3
	s_delay_alu instid0(SALU_CYCLE_1)
	s_mov_b32 s4, exec_lo
	s_waitcnt lgkmcnt(0)
	s_barrier
	buffer_gl0_inv
	v_cmpx_eq_u32_e32 3, v164
	s_cbranch_execz .LBB31_35
; %bb.29:
	ds_store_2addr_b64 v165, v[48:49], v[50:51] offset1:1
	ds_store_2addr_b64 v166, v[44:45], v[46:47] offset0:8 offset1:9
	ds_store_2addr_b64 v166, v[40:41], v[42:43] offset0:10 offset1:11
	;; [unrolled: 1-line block ×12, first 2 shown]
	ds_load_2addr_b64 v[76:79], v165 offset1:1
	s_waitcnt lgkmcnt(0)
	v_cmp_neq_f64_e32 vcc_lo, 0, v[76:77]
	v_cmp_neq_f64_e64 s3, 0, v[78:79]
	s_delay_alu instid0(VALU_DEP_1) | instskip(NEXT) | instid1(SALU_CYCLE_1)
	s_or_b32 s3, vcc_lo, s3
	s_and_b32 exec_lo, exec_lo, s3
	s_cbranch_execz .LBB31_35
; %bb.30:
	v_cmp_gt_f64_e32 vcc_lo, 0, v[76:77]
	v_cmp_gt_f64_e64 s3, 0, v[78:79]
	v_xor_b32_e32 v80, 0x80000000, v77
	v_xor_b32_e32 v82, 0x80000000, v79
                                        ; implicit-def: $vgpr84_vgpr85
	s_delay_alu instid0(VALU_DEP_2) | instskip(NEXT) | instid1(VALU_DEP_2)
	v_cndmask_b32_e32 v81, v77, v80, vcc_lo
	v_cndmask_b32_e64 v83, v79, v82, s3
	v_cndmask_b32_e32 v80, v76, v76, vcc_lo
	v_cndmask_b32_e64 v82, v78, v78, s3
	s_mov_b32 s3, exec_lo
	s_delay_alu instid0(VALU_DEP_1)
	v_cmpx_ngt_f64_e32 v[80:81], v[82:83]
	s_xor_b32 s3, exec_lo, s3
                                        ; implicit-def: $vgpr80_vgpr81_vgpr82_vgpr83
	s_cbranch_execz .LBB31_32
; %bb.31:
	v_div_scale_f64 v[80:81], null, v[78:79], v[78:79], v[76:77]
	v_div_scale_f64 v[86:87], vcc_lo, v[76:77], v[78:79], v[76:77]
	s_delay_alu instid0(VALU_DEP_2) | instskip(SKIP_2) | instid1(VALU_DEP_1)
	v_rcp_f64_e32 v[82:83], v[80:81]
	s_waitcnt_depctr 0xfff
	v_fma_f64 v[84:85], -v[80:81], v[82:83], 1.0
	v_fma_f64 v[82:83], v[82:83], v[84:85], v[82:83]
	s_delay_alu instid0(VALU_DEP_1) | instskip(NEXT) | instid1(VALU_DEP_1)
	v_fma_f64 v[84:85], -v[80:81], v[82:83], 1.0
	v_fma_f64 v[82:83], v[82:83], v[84:85], v[82:83]
	s_delay_alu instid0(VALU_DEP_1) | instskip(NEXT) | instid1(VALU_DEP_1)
	v_mul_f64 v[84:85], v[86:87], v[82:83]
	v_fma_f64 v[80:81], -v[80:81], v[84:85], v[86:87]
	s_delay_alu instid0(VALU_DEP_1) | instskip(NEXT) | instid1(VALU_DEP_1)
	v_div_fmas_f64 v[80:81], v[80:81], v[82:83], v[84:85]
	v_div_fixup_f64 v[80:81], v[80:81], v[78:79], v[76:77]
	s_delay_alu instid0(VALU_DEP_1) | instskip(NEXT) | instid1(VALU_DEP_1)
	v_fma_f64 v[76:77], v[76:77], v[80:81], v[78:79]
	v_div_scale_f64 v[78:79], null, v[76:77], v[76:77], 1.0
	s_delay_alu instid0(VALU_DEP_1) | instskip(SKIP_2) | instid1(VALU_DEP_1)
	v_rcp_f64_e32 v[82:83], v[78:79]
	s_waitcnt_depctr 0xfff
	v_fma_f64 v[84:85], -v[78:79], v[82:83], 1.0
	v_fma_f64 v[82:83], v[82:83], v[84:85], v[82:83]
	s_delay_alu instid0(VALU_DEP_1) | instskip(NEXT) | instid1(VALU_DEP_1)
	v_fma_f64 v[84:85], -v[78:79], v[82:83], 1.0
	v_fma_f64 v[82:83], v[82:83], v[84:85], v[82:83]
	v_div_scale_f64 v[84:85], vcc_lo, 1.0, v[76:77], 1.0
	s_delay_alu instid0(VALU_DEP_1) | instskip(NEXT) | instid1(VALU_DEP_1)
	v_mul_f64 v[86:87], v[84:85], v[82:83]
	v_fma_f64 v[78:79], -v[78:79], v[86:87], v[84:85]
	s_delay_alu instid0(VALU_DEP_1) | instskip(NEXT) | instid1(VALU_DEP_1)
	v_div_fmas_f64 v[78:79], v[78:79], v[82:83], v[86:87]
	v_div_fixup_f64 v[82:83], v[78:79], v[76:77], 1.0
                                        ; implicit-def: $vgpr76_vgpr77
	s_delay_alu instid0(VALU_DEP_1)
	v_mul_f64 v[84:85], v[80:81], v[82:83]
	v_xor_b32_e32 v83, 0x80000000, v83
.LBB31_32:
	s_and_not1_saveexec_b32 s3, s3
	s_cbranch_execz .LBB31_34
; %bb.33:
	v_div_scale_f64 v[80:81], null, v[76:77], v[76:77], v[78:79]
	v_div_scale_f64 v[86:87], vcc_lo, v[78:79], v[76:77], v[78:79]
	s_delay_alu instid0(VALU_DEP_2) | instskip(SKIP_2) | instid1(VALU_DEP_1)
	v_rcp_f64_e32 v[82:83], v[80:81]
	s_waitcnt_depctr 0xfff
	v_fma_f64 v[84:85], -v[80:81], v[82:83], 1.0
	v_fma_f64 v[82:83], v[82:83], v[84:85], v[82:83]
	s_delay_alu instid0(VALU_DEP_1) | instskip(NEXT) | instid1(VALU_DEP_1)
	v_fma_f64 v[84:85], -v[80:81], v[82:83], 1.0
	v_fma_f64 v[82:83], v[82:83], v[84:85], v[82:83]
	s_delay_alu instid0(VALU_DEP_1) | instskip(NEXT) | instid1(VALU_DEP_1)
	v_mul_f64 v[84:85], v[86:87], v[82:83]
	v_fma_f64 v[80:81], -v[80:81], v[84:85], v[86:87]
	s_delay_alu instid0(VALU_DEP_1) | instskip(NEXT) | instid1(VALU_DEP_1)
	v_div_fmas_f64 v[80:81], v[80:81], v[82:83], v[84:85]
	v_div_fixup_f64 v[80:81], v[80:81], v[76:77], v[78:79]
	s_delay_alu instid0(VALU_DEP_1) | instskip(NEXT) | instid1(VALU_DEP_1)
	v_fma_f64 v[76:77], v[78:79], v[80:81], v[76:77]
	v_div_scale_f64 v[78:79], null, v[76:77], v[76:77], 1.0
	s_delay_alu instid0(VALU_DEP_1) | instskip(SKIP_2) | instid1(VALU_DEP_1)
	v_rcp_f64_e32 v[82:83], v[78:79]
	s_waitcnt_depctr 0xfff
	v_fma_f64 v[84:85], -v[78:79], v[82:83], 1.0
	v_fma_f64 v[82:83], v[82:83], v[84:85], v[82:83]
	s_delay_alu instid0(VALU_DEP_1) | instskip(NEXT) | instid1(VALU_DEP_1)
	v_fma_f64 v[84:85], -v[78:79], v[82:83], 1.0
	v_fma_f64 v[82:83], v[82:83], v[84:85], v[82:83]
	v_div_scale_f64 v[84:85], vcc_lo, 1.0, v[76:77], 1.0
	s_delay_alu instid0(VALU_DEP_1) | instskip(NEXT) | instid1(VALU_DEP_1)
	v_mul_f64 v[86:87], v[84:85], v[82:83]
	v_fma_f64 v[78:79], -v[78:79], v[86:87], v[84:85]
	s_delay_alu instid0(VALU_DEP_1) | instskip(NEXT) | instid1(VALU_DEP_1)
	v_div_fmas_f64 v[78:79], v[78:79], v[82:83], v[86:87]
	v_div_fixup_f64 v[84:85], v[78:79], v[76:77], 1.0
	s_delay_alu instid0(VALU_DEP_1)
	v_mul_f64 v[82:83], v[80:81], -v[84:85]
.LBB31_34:
	s_or_b32 exec_lo, exec_lo, s3
	ds_store_2addr_b64 v165, v[84:85], v[82:83] offset1:1
.LBB31_35:
	s_or_b32 exec_lo, exec_lo, s4
	s_waitcnt lgkmcnt(0)
	s_barrier
	buffer_gl0_inv
	ds_load_2addr_b64 v[76:79], v165 offset1:1
	s_mov_b32 s3, exec_lo
	v_cmpx_lt_u32_e32 3, v164
	s_cbranch_execz .LBB31_37
; %bb.36:
	s_waitcnt lgkmcnt(0)
	v_mul_f64 v[80:81], v[76:77], v[50:51]
	v_mul_f64 v[50:51], v[78:79], v[50:51]
	s_delay_alu instid0(VALU_DEP_2)
	v_fma_f64 v[162:163], v[78:79], v[48:49], v[80:81]
	ds_load_2addr_b64 v[80:83], v166 offset0:8 offset1:9
	ds_load_2addr_b64 v[84:87], v166 offset0:10 offset1:11
	;; [unrolled: 1-line block ×12, first 2 shown]
	v_fma_f64 v[48:49], v[76:77], v[48:49], -v[50:51]
	s_waitcnt lgkmcnt(11)
	v_mul_f64 v[50:51], v[82:83], v[162:163]
	v_mul_f64 v[167:168], v[80:81], v[162:163]
	s_waitcnt lgkmcnt(10)
	v_mul_f64 v[169:170], v[86:87], v[162:163]
	v_mul_f64 v[171:172], v[84:85], v[162:163]
	;; [unrolled: 3-line block ×12, first 2 shown]
	v_fma_f64 v[50:51], v[80:81], v[48:49], -v[50:51]
	v_fma_f64 v[80:81], v[82:83], v[48:49], v[167:168]
	v_fma_f64 v[82:83], v[84:85], v[48:49], -v[169:170]
	v_fma_f64 v[84:85], v[86:87], v[48:49], v[171:172]
	;; [unrolled: 2-line block ×12, first 2 shown]
	v_add_f64 v[44:45], v[44:45], -v[50:51]
	v_add_f64 v[46:47], v[46:47], -v[80:81]
	;; [unrolled: 1-line block ×24, first 2 shown]
	v_dual_mov_b32 v50, v162 :: v_dual_mov_b32 v51, v163
.LBB31_37:
	s_or_b32 exec_lo, exec_lo, s3
	s_delay_alu instid0(SALU_CYCLE_1)
	s_mov_b32 s4, exec_lo
	s_waitcnt lgkmcnt(0)
	s_barrier
	buffer_gl0_inv
	v_cmpx_eq_u32_e32 4, v164
	s_cbranch_execz .LBB31_44
; %bb.38:
	ds_store_2addr_b64 v165, v[44:45], v[46:47] offset1:1
	ds_store_2addr_b64 v166, v[40:41], v[42:43] offset0:10 offset1:11
	ds_store_2addr_b64 v166, v[36:37], v[38:39] offset0:12 offset1:13
	;; [unrolled: 1-line block ×11, first 2 shown]
	ds_load_2addr_b64 v[80:83], v165 offset1:1
	s_waitcnt lgkmcnt(0)
	v_cmp_neq_f64_e32 vcc_lo, 0, v[80:81]
	v_cmp_neq_f64_e64 s3, 0, v[82:83]
	s_delay_alu instid0(VALU_DEP_1) | instskip(NEXT) | instid1(SALU_CYCLE_1)
	s_or_b32 s3, vcc_lo, s3
	s_and_b32 exec_lo, exec_lo, s3
	s_cbranch_execz .LBB31_44
; %bb.39:
	v_cmp_gt_f64_e32 vcc_lo, 0, v[80:81]
	v_cmp_gt_f64_e64 s3, 0, v[82:83]
	v_xor_b32_e32 v84, 0x80000000, v81
	v_xor_b32_e32 v86, 0x80000000, v83
                                        ; implicit-def: $vgpr88_vgpr89
	s_delay_alu instid0(VALU_DEP_2) | instskip(NEXT) | instid1(VALU_DEP_2)
	v_cndmask_b32_e32 v85, v81, v84, vcc_lo
	v_cndmask_b32_e64 v87, v83, v86, s3
	v_cndmask_b32_e32 v84, v80, v80, vcc_lo
	v_cndmask_b32_e64 v86, v82, v82, s3
	s_mov_b32 s3, exec_lo
	s_delay_alu instid0(VALU_DEP_1)
	v_cmpx_ngt_f64_e32 v[84:85], v[86:87]
	s_xor_b32 s3, exec_lo, s3
                                        ; implicit-def: $vgpr84_vgpr85_vgpr86_vgpr87
	s_cbranch_execz .LBB31_41
; %bb.40:
	v_div_scale_f64 v[84:85], null, v[82:83], v[82:83], v[80:81]
	v_div_scale_f64 v[90:91], vcc_lo, v[80:81], v[82:83], v[80:81]
	s_delay_alu instid0(VALU_DEP_2) | instskip(SKIP_2) | instid1(VALU_DEP_1)
	v_rcp_f64_e32 v[86:87], v[84:85]
	s_waitcnt_depctr 0xfff
	v_fma_f64 v[88:89], -v[84:85], v[86:87], 1.0
	v_fma_f64 v[86:87], v[86:87], v[88:89], v[86:87]
	s_delay_alu instid0(VALU_DEP_1) | instskip(NEXT) | instid1(VALU_DEP_1)
	v_fma_f64 v[88:89], -v[84:85], v[86:87], 1.0
	v_fma_f64 v[86:87], v[86:87], v[88:89], v[86:87]
	s_delay_alu instid0(VALU_DEP_1) | instskip(NEXT) | instid1(VALU_DEP_1)
	v_mul_f64 v[88:89], v[90:91], v[86:87]
	v_fma_f64 v[84:85], -v[84:85], v[88:89], v[90:91]
	s_delay_alu instid0(VALU_DEP_1) | instskip(NEXT) | instid1(VALU_DEP_1)
	v_div_fmas_f64 v[84:85], v[84:85], v[86:87], v[88:89]
	v_div_fixup_f64 v[84:85], v[84:85], v[82:83], v[80:81]
	s_delay_alu instid0(VALU_DEP_1) | instskip(NEXT) | instid1(VALU_DEP_1)
	v_fma_f64 v[80:81], v[80:81], v[84:85], v[82:83]
	v_div_scale_f64 v[82:83], null, v[80:81], v[80:81], 1.0
	s_delay_alu instid0(VALU_DEP_1) | instskip(SKIP_2) | instid1(VALU_DEP_1)
	v_rcp_f64_e32 v[86:87], v[82:83]
	s_waitcnt_depctr 0xfff
	v_fma_f64 v[88:89], -v[82:83], v[86:87], 1.0
	v_fma_f64 v[86:87], v[86:87], v[88:89], v[86:87]
	s_delay_alu instid0(VALU_DEP_1) | instskip(NEXT) | instid1(VALU_DEP_1)
	v_fma_f64 v[88:89], -v[82:83], v[86:87], 1.0
	v_fma_f64 v[86:87], v[86:87], v[88:89], v[86:87]
	v_div_scale_f64 v[88:89], vcc_lo, 1.0, v[80:81], 1.0
	s_delay_alu instid0(VALU_DEP_1) | instskip(NEXT) | instid1(VALU_DEP_1)
	v_mul_f64 v[90:91], v[88:89], v[86:87]
	v_fma_f64 v[82:83], -v[82:83], v[90:91], v[88:89]
	s_delay_alu instid0(VALU_DEP_1) | instskip(NEXT) | instid1(VALU_DEP_1)
	v_div_fmas_f64 v[82:83], v[82:83], v[86:87], v[90:91]
	v_div_fixup_f64 v[86:87], v[82:83], v[80:81], 1.0
                                        ; implicit-def: $vgpr80_vgpr81
	s_delay_alu instid0(VALU_DEP_1)
	v_mul_f64 v[88:89], v[84:85], v[86:87]
	v_xor_b32_e32 v87, 0x80000000, v87
.LBB31_41:
	s_and_not1_saveexec_b32 s3, s3
	s_cbranch_execz .LBB31_43
; %bb.42:
	v_div_scale_f64 v[84:85], null, v[80:81], v[80:81], v[82:83]
	v_div_scale_f64 v[90:91], vcc_lo, v[82:83], v[80:81], v[82:83]
	s_delay_alu instid0(VALU_DEP_2) | instskip(SKIP_2) | instid1(VALU_DEP_1)
	v_rcp_f64_e32 v[86:87], v[84:85]
	s_waitcnt_depctr 0xfff
	v_fma_f64 v[88:89], -v[84:85], v[86:87], 1.0
	v_fma_f64 v[86:87], v[86:87], v[88:89], v[86:87]
	s_delay_alu instid0(VALU_DEP_1) | instskip(NEXT) | instid1(VALU_DEP_1)
	v_fma_f64 v[88:89], -v[84:85], v[86:87], 1.0
	v_fma_f64 v[86:87], v[86:87], v[88:89], v[86:87]
	s_delay_alu instid0(VALU_DEP_1) | instskip(NEXT) | instid1(VALU_DEP_1)
	v_mul_f64 v[88:89], v[90:91], v[86:87]
	v_fma_f64 v[84:85], -v[84:85], v[88:89], v[90:91]
	s_delay_alu instid0(VALU_DEP_1) | instskip(NEXT) | instid1(VALU_DEP_1)
	v_div_fmas_f64 v[84:85], v[84:85], v[86:87], v[88:89]
	v_div_fixup_f64 v[84:85], v[84:85], v[80:81], v[82:83]
	s_delay_alu instid0(VALU_DEP_1) | instskip(NEXT) | instid1(VALU_DEP_1)
	v_fma_f64 v[80:81], v[82:83], v[84:85], v[80:81]
	v_div_scale_f64 v[82:83], null, v[80:81], v[80:81], 1.0
	s_delay_alu instid0(VALU_DEP_1) | instskip(SKIP_2) | instid1(VALU_DEP_1)
	v_rcp_f64_e32 v[86:87], v[82:83]
	s_waitcnt_depctr 0xfff
	v_fma_f64 v[88:89], -v[82:83], v[86:87], 1.0
	v_fma_f64 v[86:87], v[86:87], v[88:89], v[86:87]
	s_delay_alu instid0(VALU_DEP_1) | instskip(NEXT) | instid1(VALU_DEP_1)
	v_fma_f64 v[88:89], -v[82:83], v[86:87], 1.0
	v_fma_f64 v[86:87], v[86:87], v[88:89], v[86:87]
	v_div_scale_f64 v[88:89], vcc_lo, 1.0, v[80:81], 1.0
	s_delay_alu instid0(VALU_DEP_1) | instskip(NEXT) | instid1(VALU_DEP_1)
	v_mul_f64 v[90:91], v[88:89], v[86:87]
	v_fma_f64 v[82:83], -v[82:83], v[90:91], v[88:89]
	s_delay_alu instid0(VALU_DEP_1) | instskip(NEXT) | instid1(VALU_DEP_1)
	v_div_fmas_f64 v[82:83], v[82:83], v[86:87], v[90:91]
	v_div_fixup_f64 v[88:89], v[82:83], v[80:81], 1.0
	s_delay_alu instid0(VALU_DEP_1)
	v_mul_f64 v[86:87], v[84:85], -v[88:89]
.LBB31_43:
	s_or_b32 exec_lo, exec_lo, s3
	ds_store_2addr_b64 v165, v[88:89], v[86:87] offset1:1
.LBB31_44:
	s_or_b32 exec_lo, exec_lo, s4
	s_waitcnt lgkmcnt(0)
	s_barrier
	buffer_gl0_inv
	ds_load_2addr_b64 v[80:83], v165 offset1:1
	s_mov_b32 s3, exec_lo
	v_cmpx_lt_u32_e32 4, v164
	s_cbranch_execz .LBB31_46
; %bb.45:
	s_waitcnt lgkmcnt(0)
	v_mul_f64 v[84:85], v[80:81], v[46:47]
	v_mul_f64 v[46:47], v[82:83], v[46:47]
	s_delay_alu instid0(VALU_DEP_2)
	v_fma_f64 v[162:163], v[82:83], v[44:45], v[84:85]
	ds_load_2addr_b64 v[84:87], v166 offset0:10 offset1:11
	ds_load_2addr_b64 v[88:91], v166 offset0:12 offset1:13
	;; [unrolled: 1-line block ×11, first 2 shown]
	v_fma_f64 v[44:45], v[80:81], v[44:45], -v[46:47]
	s_waitcnt lgkmcnt(10)
	v_mul_f64 v[46:47], v[86:87], v[162:163]
	v_mul_f64 v[167:168], v[84:85], v[162:163]
	s_waitcnt lgkmcnt(9)
	v_mul_f64 v[169:170], v[90:91], v[162:163]
	v_mul_f64 v[171:172], v[88:89], v[162:163]
	;; [unrolled: 3-line block ×11, first 2 shown]
	v_fma_f64 v[46:47], v[84:85], v[44:45], -v[46:47]
	v_fma_f64 v[84:85], v[86:87], v[44:45], v[167:168]
	v_fma_f64 v[86:87], v[88:89], v[44:45], -v[169:170]
	v_fma_f64 v[88:89], v[90:91], v[44:45], v[171:172]
	v_fma_f64 v[90:91], v[92:93], v[44:45], -v[173:174]
	v_fma_f64 v[92:93], v[94:95], v[44:45], v[175:176]
	v_fma_f64 v[94:95], v[96:97], v[44:45], -v[177:178]
	v_fma_f64 v[96:97], v[98:99], v[44:45], v[179:180]
	v_fma_f64 v[98:99], v[100:101], v[44:45], -v[181:182]
	v_fma_f64 v[100:101], v[102:103], v[44:45], v[183:184]
	v_fma_f64 v[102:103], v[104:105], v[44:45], -v[185:186]
	v_fma_f64 v[104:105], v[106:107], v[44:45], v[187:188]
	v_fma_f64 v[106:107], v[108:109], v[44:45], -v[189:190]
	v_fma_f64 v[108:109], v[110:111], v[44:45], v[191:192]
	v_fma_f64 v[110:111], v[112:113], v[44:45], -v[193:194]
	v_fma_f64 v[112:113], v[114:115], v[44:45], v[195:196]
	v_fma_f64 v[114:115], v[116:117], v[44:45], -v[197:198]
	v_fma_f64 v[116:117], v[118:119], v[44:45], v[199:200]
	v_fma_f64 v[118:119], v[120:121], v[44:45], -v[201:202]
	v_fma_f64 v[120:121], v[122:123], v[44:45], v[203:204]
	v_fma_f64 v[122:123], v[124:125], v[44:45], -v[205:206]
	v_fma_f64 v[124:125], v[126:127], v[44:45], v[207:208]
	v_add_f64 v[40:41], v[40:41], -v[46:47]
	v_add_f64 v[42:43], v[42:43], -v[84:85]
	;; [unrolled: 1-line block ×22, first 2 shown]
	v_dual_mov_b32 v46, v162 :: v_dual_mov_b32 v47, v163
.LBB31_46:
	s_or_b32 exec_lo, exec_lo, s3
	s_delay_alu instid0(SALU_CYCLE_1)
	s_mov_b32 s4, exec_lo
	s_waitcnt lgkmcnt(0)
	s_barrier
	buffer_gl0_inv
	v_cmpx_eq_u32_e32 5, v164
	s_cbranch_execz .LBB31_53
; %bb.47:
	ds_store_2addr_b64 v165, v[40:41], v[42:43] offset1:1
	ds_store_2addr_b64 v166, v[36:37], v[38:39] offset0:12 offset1:13
	ds_store_2addr_b64 v166, v[32:33], v[34:35] offset0:14 offset1:15
	;; [unrolled: 1-line block ×10, first 2 shown]
	ds_load_2addr_b64 v[84:87], v165 offset1:1
	s_waitcnt lgkmcnt(0)
	v_cmp_neq_f64_e32 vcc_lo, 0, v[84:85]
	v_cmp_neq_f64_e64 s3, 0, v[86:87]
	s_delay_alu instid0(VALU_DEP_1) | instskip(NEXT) | instid1(SALU_CYCLE_1)
	s_or_b32 s3, vcc_lo, s3
	s_and_b32 exec_lo, exec_lo, s3
	s_cbranch_execz .LBB31_53
; %bb.48:
	v_cmp_gt_f64_e32 vcc_lo, 0, v[84:85]
	v_cmp_gt_f64_e64 s3, 0, v[86:87]
	v_xor_b32_e32 v88, 0x80000000, v85
	v_xor_b32_e32 v90, 0x80000000, v87
                                        ; implicit-def: $vgpr92_vgpr93
	s_delay_alu instid0(VALU_DEP_2) | instskip(NEXT) | instid1(VALU_DEP_2)
	v_cndmask_b32_e32 v89, v85, v88, vcc_lo
	v_cndmask_b32_e64 v91, v87, v90, s3
	v_cndmask_b32_e32 v88, v84, v84, vcc_lo
	v_cndmask_b32_e64 v90, v86, v86, s3
	s_mov_b32 s3, exec_lo
	s_delay_alu instid0(VALU_DEP_1)
	v_cmpx_ngt_f64_e32 v[88:89], v[90:91]
	s_xor_b32 s3, exec_lo, s3
                                        ; implicit-def: $vgpr88_vgpr89_vgpr90_vgpr91
	s_cbranch_execz .LBB31_50
; %bb.49:
	v_div_scale_f64 v[88:89], null, v[86:87], v[86:87], v[84:85]
	v_div_scale_f64 v[94:95], vcc_lo, v[84:85], v[86:87], v[84:85]
	s_delay_alu instid0(VALU_DEP_2) | instskip(SKIP_2) | instid1(VALU_DEP_1)
	v_rcp_f64_e32 v[90:91], v[88:89]
	s_waitcnt_depctr 0xfff
	v_fma_f64 v[92:93], -v[88:89], v[90:91], 1.0
	v_fma_f64 v[90:91], v[90:91], v[92:93], v[90:91]
	s_delay_alu instid0(VALU_DEP_1) | instskip(NEXT) | instid1(VALU_DEP_1)
	v_fma_f64 v[92:93], -v[88:89], v[90:91], 1.0
	v_fma_f64 v[90:91], v[90:91], v[92:93], v[90:91]
	s_delay_alu instid0(VALU_DEP_1) | instskip(NEXT) | instid1(VALU_DEP_1)
	v_mul_f64 v[92:93], v[94:95], v[90:91]
	v_fma_f64 v[88:89], -v[88:89], v[92:93], v[94:95]
	s_delay_alu instid0(VALU_DEP_1) | instskip(NEXT) | instid1(VALU_DEP_1)
	v_div_fmas_f64 v[88:89], v[88:89], v[90:91], v[92:93]
	v_div_fixup_f64 v[88:89], v[88:89], v[86:87], v[84:85]
	s_delay_alu instid0(VALU_DEP_1) | instskip(NEXT) | instid1(VALU_DEP_1)
	v_fma_f64 v[84:85], v[84:85], v[88:89], v[86:87]
	v_div_scale_f64 v[86:87], null, v[84:85], v[84:85], 1.0
	s_delay_alu instid0(VALU_DEP_1) | instskip(SKIP_2) | instid1(VALU_DEP_1)
	v_rcp_f64_e32 v[90:91], v[86:87]
	s_waitcnt_depctr 0xfff
	v_fma_f64 v[92:93], -v[86:87], v[90:91], 1.0
	v_fma_f64 v[90:91], v[90:91], v[92:93], v[90:91]
	s_delay_alu instid0(VALU_DEP_1) | instskip(NEXT) | instid1(VALU_DEP_1)
	v_fma_f64 v[92:93], -v[86:87], v[90:91], 1.0
	v_fma_f64 v[90:91], v[90:91], v[92:93], v[90:91]
	v_div_scale_f64 v[92:93], vcc_lo, 1.0, v[84:85], 1.0
	s_delay_alu instid0(VALU_DEP_1) | instskip(NEXT) | instid1(VALU_DEP_1)
	v_mul_f64 v[94:95], v[92:93], v[90:91]
	v_fma_f64 v[86:87], -v[86:87], v[94:95], v[92:93]
	s_delay_alu instid0(VALU_DEP_1) | instskip(NEXT) | instid1(VALU_DEP_1)
	v_div_fmas_f64 v[86:87], v[86:87], v[90:91], v[94:95]
	v_div_fixup_f64 v[90:91], v[86:87], v[84:85], 1.0
                                        ; implicit-def: $vgpr84_vgpr85
	s_delay_alu instid0(VALU_DEP_1)
	v_mul_f64 v[92:93], v[88:89], v[90:91]
	v_xor_b32_e32 v91, 0x80000000, v91
.LBB31_50:
	s_and_not1_saveexec_b32 s3, s3
	s_cbranch_execz .LBB31_52
; %bb.51:
	v_div_scale_f64 v[88:89], null, v[84:85], v[84:85], v[86:87]
	v_div_scale_f64 v[94:95], vcc_lo, v[86:87], v[84:85], v[86:87]
	s_delay_alu instid0(VALU_DEP_2) | instskip(SKIP_2) | instid1(VALU_DEP_1)
	v_rcp_f64_e32 v[90:91], v[88:89]
	s_waitcnt_depctr 0xfff
	v_fma_f64 v[92:93], -v[88:89], v[90:91], 1.0
	v_fma_f64 v[90:91], v[90:91], v[92:93], v[90:91]
	s_delay_alu instid0(VALU_DEP_1) | instskip(NEXT) | instid1(VALU_DEP_1)
	v_fma_f64 v[92:93], -v[88:89], v[90:91], 1.0
	v_fma_f64 v[90:91], v[90:91], v[92:93], v[90:91]
	s_delay_alu instid0(VALU_DEP_1) | instskip(NEXT) | instid1(VALU_DEP_1)
	v_mul_f64 v[92:93], v[94:95], v[90:91]
	v_fma_f64 v[88:89], -v[88:89], v[92:93], v[94:95]
	s_delay_alu instid0(VALU_DEP_1) | instskip(NEXT) | instid1(VALU_DEP_1)
	v_div_fmas_f64 v[88:89], v[88:89], v[90:91], v[92:93]
	v_div_fixup_f64 v[88:89], v[88:89], v[84:85], v[86:87]
	s_delay_alu instid0(VALU_DEP_1) | instskip(NEXT) | instid1(VALU_DEP_1)
	v_fma_f64 v[84:85], v[86:87], v[88:89], v[84:85]
	v_div_scale_f64 v[86:87], null, v[84:85], v[84:85], 1.0
	s_delay_alu instid0(VALU_DEP_1) | instskip(SKIP_2) | instid1(VALU_DEP_1)
	v_rcp_f64_e32 v[90:91], v[86:87]
	s_waitcnt_depctr 0xfff
	v_fma_f64 v[92:93], -v[86:87], v[90:91], 1.0
	v_fma_f64 v[90:91], v[90:91], v[92:93], v[90:91]
	s_delay_alu instid0(VALU_DEP_1) | instskip(NEXT) | instid1(VALU_DEP_1)
	v_fma_f64 v[92:93], -v[86:87], v[90:91], 1.0
	v_fma_f64 v[90:91], v[90:91], v[92:93], v[90:91]
	v_div_scale_f64 v[92:93], vcc_lo, 1.0, v[84:85], 1.0
	s_delay_alu instid0(VALU_DEP_1) | instskip(NEXT) | instid1(VALU_DEP_1)
	v_mul_f64 v[94:95], v[92:93], v[90:91]
	v_fma_f64 v[86:87], -v[86:87], v[94:95], v[92:93]
	s_delay_alu instid0(VALU_DEP_1) | instskip(NEXT) | instid1(VALU_DEP_1)
	v_div_fmas_f64 v[86:87], v[86:87], v[90:91], v[94:95]
	v_div_fixup_f64 v[92:93], v[86:87], v[84:85], 1.0
	s_delay_alu instid0(VALU_DEP_1)
	v_mul_f64 v[90:91], v[88:89], -v[92:93]
.LBB31_52:
	s_or_b32 exec_lo, exec_lo, s3
	ds_store_2addr_b64 v165, v[92:93], v[90:91] offset1:1
.LBB31_53:
	s_or_b32 exec_lo, exec_lo, s4
	s_waitcnt lgkmcnt(0)
	s_barrier
	buffer_gl0_inv
	ds_load_2addr_b64 v[84:87], v165 offset1:1
	s_mov_b32 s3, exec_lo
	v_cmpx_lt_u32_e32 5, v164
	s_cbranch_execz .LBB31_55
; %bb.54:
	s_waitcnt lgkmcnt(0)
	v_mul_f64 v[88:89], v[84:85], v[42:43]
	v_mul_f64 v[42:43], v[86:87], v[42:43]
	s_delay_alu instid0(VALU_DEP_2)
	v_fma_f64 v[162:163], v[86:87], v[40:41], v[88:89]
	ds_load_2addr_b64 v[88:91], v166 offset0:12 offset1:13
	ds_load_2addr_b64 v[92:95], v166 offset0:14 offset1:15
	;; [unrolled: 1-line block ×10, first 2 shown]
	v_fma_f64 v[40:41], v[84:85], v[40:41], -v[42:43]
	s_waitcnt lgkmcnt(9)
	v_mul_f64 v[42:43], v[90:91], v[162:163]
	v_mul_f64 v[167:168], v[88:89], v[162:163]
	s_waitcnt lgkmcnt(8)
	v_mul_f64 v[169:170], v[94:95], v[162:163]
	v_mul_f64 v[171:172], v[92:93], v[162:163]
	;; [unrolled: 3-line block ×10, first 2 shown]
	v_fma_f64 v[42:43], v[88:89], v[40:41], -v[42:43]
	v_fma_f64 v[88:89], v[90:91], v[40:41], v[167:168]
	v_fma_f64 v[90:91], v[92:93], v[40:41], -v[169:170]
	v_fma_f64 v[92:93], v[94:95], v[40:41], v[171:172]
	;; [unrolled: 2-line block ×10, first 2 shown]
	v_add_f64 v[36:37], v[36:37], -v[42:43]
	v_add_f64 v[38:39], v[38:39], -v[88:89]
	;; [unrolled: 1-line block ×20, first 2 shown]
	v_dual_mov_b32 v42, v162 :: v_dual_mov_b32 v43, v163
.LBB31_55:
	s_or_b32 exec_lo, exec_lo, s3
	s_delay_alu instid0(SALU_CYCLE_1)
	s_mov_b32 s4, exec_lo
	s_waitcnt lgkmcnt(0)
	s_barrier
	buffer_gl0_inv
	v_cmpx_eq_u32_e32 6, v164
	s_cbranch_execz .LBB31_62
; %bb.56:
	ds_store_2addr_b64 v165, v[36:37], v[38:39] offset1:1
	ds_store_2addr_b64 v166, v[32:33], v[34:35] offset0:14 offset1:15
	ds_store_2addr_b64 v166, v[28:29], v[30:31] offset0:16 offset1:17
	;; [unrolled: 1-line block ×9, first 2 shown]
	ds_load_2addr_b64 v[88:91], v165 offset1:1
	s_waitcnt lgkmcnt(0)
	v_cmp_neq_f64_e32 vcc_lo, 0, v[88:89]
	v_cmp_neq_f64_e64 s3, 0, v[90:91]
	s_delay_alu instid0(VALU_DEP_1) | instskip(NEXT) | instid1(SALU_CYCLE_1)
	s_or_b32 s3, vcc_lo, s3
	s_and_b32 exec_lo, exec_lo, s3
	s_cbranch_execz .LBB31_62
; %bb.57:
	v_cmp_gt_f64_e32 vcc_lo, 0, v[88:89]
	v_cmp_gt_f64_e64 s3, 0, v[90:91]
	v_xor_b32_e32 v92, 0x80000000, v89
	v_xor_b32_e32 v94, 0x80000000, v91
                                        ; implicit-def: $vgpr96_vgpr97
	s_delay_alu instid0(VALU_DEP_2) | instskip(NEXT) | instid1(VALU_DEP_2)
	v_cndmask_b32_e32 v93, v89, v92, vcc_lo
	v_cndmask_b32_e64 v95, v91, v94, s3
	v_cndmask_b32_e32 v92, v88, v88, vcc_lo
	v_cndmask_b32_e64 v94, v90, v90, s3
	s_mov_b32 s3, exec_lo
	s_delay_alu instid0(VALU_DEP_1)
	v_cmpx_ngt_f64_e32 v[92:93], v[94:95]
	s_xor_b32 s3, exec_lo, s3
                                        ; implicit-def: $vgpr92_vgpr93_vgpr94_vgpr95
	s_cbranch_execz .LBB31_59
; %bb.58:
	v_div_scale_f64 v[92:93], null, v[90:91], v[90:91], v[88:89]
	v_div_scale_f64 v[98:99], vcc_lo, v[88:89], v[90:91], v[88:89]
	s_delay_alu instid0(VALU_DEP_2) | instskip(SKIP_2) | instid1(VALU_DEP_1)
	v_rcp_f64_e32 v[94:95], v[92:93]
	s_waitcnt_depctr 0xfff
	v_fma_f64 v[96:97], -v[92:93], v[94:95], 1.0
	v_fma_f64 v[94:95], v[94:95], v[96:97], v[94:95]
	s_delay_alu instid0(VALU_DEP_1) | instskip(NEXT) | instid1(VALU_DEP_1)
	v_fma_f64 v[96:97], -v[92:93], v[94:95], 1.0
	v_fma_f64 v[94:95], v[94:95], v[96:97], v[94:95]
	s_delay_alu instid0(VALU_DEP_1) | instskip(NEXT) | instid1(VALU_DEP_1)
	v_mul_f64 v[96:97], v[98:99], v[94:95]
	v_fma_f64 v[92:93], -v[92:93], v[96:97], v[98:99]
	s_delay_alu instid0(VALU_DEP_1) | instskip(NEXT) | instid1(VALU_DEP_1)
	v_div_fmas_f64 v[92:93], v[92:93], v[94:95], v[96:97]
	v_div_fixup_f64 v[92:93], v[92:93], v[90:91], v[88:89]
	s_delay_alu instid0(VALU_DEP_1) | instskip(NEXT) | instid1(VALU_DEP_1)
	v_fma_f64 v[88:89], v[88:89], v[92:93], v[90:91]
	v_div_scale_f64 v[90:91], null, v[88:89], v[88:89], 1.0
	s_delay_alu instid0(VALU_DEP_1) | instskip(SKIP_2) | instid1(VALU_DEP_1)
	v_rcp_f64_e32 v[94:95], v[90:91]
	s_waitcnt_depctr 0xfff
	v_fma_f64 v[96:97], -v[90:91], v[94:95], 1.0
	v_fma_f64 v[94:95], v[94:95], v[96:97], v[94:95]
	s_delay_alu instid0(VALU_DEP_1) | instskip(NEXT) | instid1(VALU_DEP_1)
	v_fma_f64 v[96:97], -v[90:91], v[94:95], 1.0
	v_fma_f64 v[94:95], v[94:95], v[96:97], v[94:95]
	v_div_scale_f64 v[96:97], vcc_lo, 1.0, v[88:89], 1.0
	s_delay_alu instid0(VALU_DEP_1) | instskip(NEXT) | instid1(VALU_DEP_1)
	v_mul_f64 v[98:99], v[96:97], v[94:95]
	v_fma_f64 v[90:91], -v[90:91], v[98:99], v[96:97]
	s_delay_alu instid0(VALU_DEP_1) | instskip(NEXT) | instid1(VALU_DEP_1)
	v_div_fmas_f64 v[90:91], v[90:91], v[94:95], v[98:99]
	v_div_fixup_f64 v[94:95], v[90:91], v[88:89], 1.0
                                        ; implicit-def: $vgpr88_vgpr89
	s_delay_alu instid0(VALU_DEP_1)
	v_mul_f64 v[96:97], v[92:93], v[94:95]
	v_xor_b32_e32 v95, 0x80000000, v95
.LBB31_59:
	s_and_not1_saveexec_b32 s3, s3
	s_cbranch_execz .LBB31_61
; %bb.60:
	v_div_scale_f64 v[92:93], null, v[88:89], v[88:89], v[90:91]
	v_div_scale_f64 v[98:99], vcc_lo, v[90:91], v[88:89], v[90:91]
	s_delay_alu instid0(VALU_DEP_2) | instskip(SKIP_2) | instid1(VALU_DEP_1)
	v_rcp_f64_e32 v[94:95], v[92:93]
	s_waitcnt_depctr 0xfff
	v_fma_f64 v[96:97], -v[92:93], v[94:95], 1.0
	v_fma_f64 v[94:95], v[94:95], v[96:97], v[94:95]
	s_delay_alu instid0(VALU_DEP_1) | instskip(NEXT) | instid1(VALU_DEP_1)
	v_fma_f64 v[96:97], -v[92:93], v[94:95], 1.0
	v_fma_f64 v[94:95], v[94:95], v[96:97], v[94:95]
	s_delay_alu instid0(VALU_DEP_1) | instskip(NEXT) | instid1(VALU_DEP_1)
	v_mul_f64 v[96:97], v[98:99], v[94:95]
	v_fma_f64 v[92:93], -v[92:93], v[96:97], v[98:99]
	s_delay_alu instid0(VALU_DEP_1) | instskip(NEXT) | instid1(VALU_DEP_1)
	v_div_fmas_f64 v[92:93], v[92:93], v[94:95], v[96:97]
	v_div_fixup_f64 v[92:93], v[92:93], v[88:89], v[90:91]
	s_delay_alu instid0(VALU_DEP_1) | instskip(NEXT) | instid1(VALU_DEP_1)
	v_fma_f64 v[88:89], v[90:91], v[92:93], v[88:89]
	v_div_scale_f64 v[90:91], null, v[88:89], v[88:89], 1.0
	s_delay_alu instid0(VALU_DEP_1) | instskip(SKIP_2) | instid1(VALU_DEP_1)
	v_rcp_f64_e32 v[94:95], v[90:91]
	s_waitcnt_depctr 0xfff
	v_fma_f64 v[96:97], -v[90:91], v[94:95], 1.0
	v_fma_f64 v[94:95], v[94:95], v[96:97], v[94:95]
	s_delay_alu instid0(VALU_DEP_1) | instskip(NEXT) | instid1(VALU_DEP_1)
	v_fma_f64 v[96:97], -v[90:91], v[94:95], 1.0
	v_fma_f64 v[94:95], v[94:95], v[96:97], v[94:95]
	v_div_scale_f64 v[96:97], vcc_lo, 1.0, v[88:89], 1.0
	s_delay_alu instid0(VALU_DEP_1) | instskip(NEXT) | instid1(VALU_DEP_1)
	v_mul_f64 v[98:99], v[96:97], v[94:95]
	v_fma_f64 v[90:91], -v[90:91], v[98:99], v[96:97]
	s_delay_alu instid0(VALU_DEP_1) | instskip(NEXT) | instid1(VALU_DEP_1)
	v_div_fmas_f64 v[90:91], v[90:91], v[94:95], v[98:99]
	v_div_fixup_f64 v[96:97], v[90:91], v[88:89], 1.0
	s_delay_alu instid0(VALU_DEP_1)
	v_mul_f64 v[94:95], v[92:93], -v[96:97]
.LBB31_61:
	s_or_b32 exec_lo, exec_lo, s3
	ds_store_2addr_b64 v165, v[96:97], v[94:95] offset1:1
.LBB31_62:
	s_or_b32 exec_lo, exec_lo, s4
	s_waitcnt lgkmcnt(0)
	s_barrier
	buffer_gl0_inv
	ds_load_2addr_b64 v[88:91], v165 offset1:1
	s_mov_b32 s3, exec_lo
	v_cmpx_lt_u32_e32 6, v164
	s_cbranch_execz .LBB31_64
; %bb.63:
	s_waitcnt lgkmcnt(0)
	v_mul_f64 v[92:93], v[88:89], v[38:39]
	v_mul_f64 v[38:39], v[90:91], v[38:39]
	s_delay_alu instid0(VALU_DEP_2)
	v_fma_f64 v[162:163], v[90:91], v[36:37], v[92:93]
	ds_load_2addr_b64 v[92:95], v166 offset0:14 offset1:15
	ds_load_2addr_b64 v[96:99], v166 offset0:16 offset1:17
	;; [unrolled: 1-line block ×9, first 2 shown]
	v_fma_f64 v[36:37], v[88:89], v[36:37], -v[38:39]
	s_waitcnt lgkmcnt(8)
	v_mul_f64 v[38:39], v[94:95], v[162:163]
	v_mul_f64 v[167:168], v[92:93], v[162:163]
	s_waitcnt lgkmcnt(7)
	v_mul_f64 v[169:170], v[98:99], v[162:163]
	v_mul_f64 v[171:172], v[96:97], v[162:163]
	;; [unrolled: 3-line block ×9, first 2 shown]
	v_fma_f64 v[38:39], v[92:93], v[36:37], -v[38:39]
	v_fma_f64 v[92:93], v[94:95], v[36:37], v[167:168]
	v_fma_f64 v[94:95], v[96:97], v[36:37], -v[169:170]
	v_fma_f64 v[96:97], v[98:99], v[36:37], v[171:172]
	;; [unrolled: 2-line block ×9, first 2 shown]
	v_add_f64 v[32:33], v[32:33], -v[38:39]
	v_add_f64 v[34:35], v[34:35], -v[92:93]
	;; [unrolled: 1-line block ×18, first 2 shown]
	v_dual_mov_b32 v38, v162 :: v_dual_mov_b32 v39, v163
.LBB31_64:
	s_or_b32 exec_lo, exec_lo, s3
	s_delay_alu instid0(SALU_CYCLE_1)
	s_mov_b32 s4, exec_lo
	s_waitcnt lgkmcnt(0)
	s_barrier
	buffer_gl0_inv
	v_cmpx_eq_u32_e32 7, v164
	s_cbranch_execz .LBB31_71
; %bb.65:
	ds_store_2addr_b64 v165, v[32:33], v[34:35] offset1:1
	ds_store_2addr_b64 v166, v[28:29], v[30:31] offset0:16 offset1:17
	ds_store_2addr_b64 v166, v[24:25], v[26:27] offset0:18 offset1:19
	;; [unrolled: 1-line block ×8, first 2 shown]
	ds_load_2addr_b64 v[92:95], v165 offset1:1
	s_waitcnt lgkmcnt(0)
	v_cmp_neq_f64_e32 vcc_lo, 0, v[92:93]
	v_cmp_neq_f64_e64 s3, 0, v[94:95]
	s_delay_alu instid0(VALU_DEP_1) | instskip(NEXT) | instid1(SALU_CYCLE_1)
	s_or_b32 s3, vcc_lo, s3
	s_and_b32 exec_lo, exec_lo, s3
	s_cbranch_execz .LBB31_71
; %bb.66:
	v_cmp_gt_f64_e32 vcc_lo, 0, v[92:93]
	v_cmp_gt_f64_e64 s3, 0, v[94:95]
	v_xor_b32_e32 v96, 0x80000000, v93
	v_xor_b32_e32 v98, 0x80000000, v95
                                        ; implicit-def: $vgpr100_vgpr101
	s_delay_alu instid0(VALU_DEP_2) | instskip(NEXT) | instid1(VALU_DEP_2)
	v_cndmask_b32_e32 v97, v93, v96, vcc_lo
	v_cndmask_b32_e64 v99, v95, v98, s3
	v_cndmask_b32_e32 v96, v92, v92, vcc_lo
	v_cndmask_b32_e64 v98, v94, v94, s3
	s_mov_b32 s3, exec_lo
	s_delay_alu instid0(VALU_DEP_1)
	v_cmpx_ngt_f64_e32 v[96:97], v[98:99]
	s_xor_b32 s3, exec_lo, s3
                                        ; implicit-def: $vgpr96_vgpr97_vgpr98_vgpr99
	s_cbranch_execz .LBB31_68
; %bb.67:
	v_div_scale_f64 v[96:97], null, v[94:95], v[94:95], v[92:93]
	v_div_scale_f64 v[102:103], vcc_lo, v[92:93], v[94:95], v[92:93]
	s_delay_alu instid0(VALU_DEP_2) | instskip(SKIP_2) | instid1(VALU_DEP_1)
	v_rcp_f64_e32 v[98:99], v[96:97]
	s_waitcnt_depctr 0xfff
	v_fma_f64 v[100:101], -v[96:97], v[98:99], 1.0
	v_fma_f64 v[98:99], v[98:99], v[100:101], v[98:99]
	s_delay_alu instid0(VALU_DEP_1) | instskip(NEXT) | instid1(VALU_DEP_1)
	v_fma_f64 v[100:101], -v[96:97], v[98:99], 1.0
	v_fma_f64 v[98:99], v[98:99], v[100:101], v[98:99]
	s_delay_alu instid0(VALU_DEP_1) | instskip(NEXT) | instid1(VALU_DEP_1)
	v_mul_f64 v[100:101], v[102:103], v[98:99]
	v_fma_f64 v[96:97], -v[96:97], v[100:101], v[102:103]
	s_delay_alu instid0(VALU_DEP_1) | instskip(NEXT) | instid1(VALU_DEP_1)
	v_div_fmas_f64 v[96:97], v[96:97], v[98:99], v[100:101]
	v_div_fixup_f64 v[96:97], v[96:97], v[94:95], v[92:93]
	s_delay_alu instid0(VALU_DEP_1) | instskip(NEXT) | instid1(VALU_DEP_1)
	v_fma_f64 v[92:93], v[92:93], v[96:97], v[94:95]
	v_div_scale_f64 v[94:95], null, v[92:93], v[92:93], 1.0
	s_delay_alu instid0(VALU_DEP_1) | instskip(SKIP_2) | instid1(VALU_DEP_1)
	v_rcp_f64_e32 v[98:99], v[94:95]
	s_waitcnt_depctr 0xfff
	v_fma_f64 v[100:101], -v[94:95], v[98:99], 1.0
	v_fma_f64 v[98:99], v[98:99], v[100:101], v[98:99]
	s_delay_alu instid0(VALU_DEP_1) | instskip(NEXT) | instid1(VALU_DEP_1)
	v_fma_f64 v[100:101], -v[94:95], v[98:99], 1.0
	v_fma_f64 v[98:99], v[98:99], v[100:101], v[98:99]
	v_div_scale_f64 v[100:101], vcc_lo, 1.0, v[92:93], 1.0
	s_delay_alu instid0(VALU_DEP_1) | instskip(NEXT) | instid1(VALU_DEP_1)
	v_mul_f64 v[102:103], v[100:101], v[98:99]
	v_fma_f64 v[94:95], -v[94:95], v[102:103], v[100:101]
	s_delay_alu instid0(VALU_DEP_1) | instskip(NEXT) | instid1(VALU_DEP_1)
	v_div_fmas_f64 v[94:95], v[94:95], v[98:99], v[102:103]
	v_div_fixup_f64 v[98:99], v[94:95], v[92:93], 1.0
                                        ; implicit-def: $vgpr92_vgpr93
	s_delay_alu instid0(VALU_DEP_1)
	v_mul_f64 v[100:101], v[96:97], v[98:99]
	v_xor_b32_e32 v99, 0x80000000, v99
.LBB31_68:
	s_and_not1_saveexec_b32 s3, s3
	s_cbranch_execz .LBB31_70
; %bb.69:
	v_div_scale_f64 v[96:97], null, v[92:93], v[92:93], v[94:95]
	v_div_scale_f64 v[102:103], vcc_lo, v[94:95], v[92:93], v[94:95]
	s_delay_alu instid0(VALU_DEP_2) | instskip(SKIP_2) | instid1(VALU_DEP_1)
	v_rcp_f64_e32 v[98:99], v[96:97]
	s_waitcnt_depctr 0xfff
	v_fma_f64 v[100:101], -v[96:97], v[98:99], 1.0
	v_fma_f64 v[98:99], v[98:99], v[100:101], v[98:99]
	s_delay_alu instid0(VALU_DEP_1) | instskip(NEXT) | instid1(VALU_DEP_1)
	v_fma_f64 v[100:101], -v[96:97], v[98:99], 1.0
	v_fma_f64 v[98:99], v[98:99], v[100:101], v[98:99]
	s_delay_alu instid0(VALU_DEP_1) | instskip(NEXT) | instid1(VALU_DEP_1)
	v_mul_f64 v[100:101], v[102:103], v[98:99]
	v_fma_f64 v[96:97], -v[96:97], v[100:101], v[102:103]
	s_delay_alu instid0(VALU_DEP_1) | instskip(NEXT) | instid1(VALU_DEP_1)
	v_div_fmas_f64 v[96:97], v[96:97], v[98:99], v[100:101]
	v_div_fixup_f64 v[96:97], v[96:97], v[92:93], v[94:95]
	s_delay_alu instid0(VALU_DEP_1) | instskip(NEXT) | instid1(VALU_DEP_1)
	v_fma_f64 v[92:93], v[94:95], v[96:97], v[92:93]
	v_div_scale_f64 v[94:95], null, v[92:93], v[92:93], 1.0
	s_delay_alu instid0(VALU_DEP_1) | instskip(SKIP_2) | instid1(VALU_DEP_1)
	v_rcp_f64_e32 v[98:99], v[94:95]
	s_waitcnt_depctr 0xfff
	v_fma_f64 v[100:101], -v[94:95], v[98:99], 1.0
	v_fma_f64 v[98:99], v[98:99], v[100:101], v[98:99]
	s_delay_alu instid0(VALU_DEP_1) | instskip(NEXT) | instid1(VALU_DEP_1)
	v_fma_f64 v[100:101], -v[94:95], v[98:99], 1.0
	v_fma_f64 v[98:99], v[98:99], v[100:101], v[98:99]
	v_div_scale_f64 v[100:101], vcc_lo, 1.0, v[92:93], 1.0
	s_delay_alu instid0(VALU_DEP_1) | instskip(NEXT) | instid1(VALU_DEP_1)
	v_mul_f64 v[102:103], v[100:101], v[98:99]
	v_fma_f64 v[94:95], -v[94:95], v[102:103], v[100:101]
	s_delay_alu instid0(VALU_DEP_1) | instskip(NEXT) | instid1(VALU_DEP_1)
	v_div_fmas_f64 v[94:95], v[94:95], v[98:99], v[102:103]
	v_div_fixup_f64 v[100:101], v[94:95], v[92:93], 1.0
	s_delay_alu instid0(VALU_DEP_1)
	v_mul_f64 v[98:99], v[96:97], -v[100:101]
.LBB31_70:
	s_or_b32 exec_lo, exec_lo, s3
	ds_store_2addr_b64 v165, v[100:101], v[98:99] offset1:1
.LBB31_71:
	s_or_b32 exec_lo, exec_lo, s4
	s_waitcnt lgkmcnt(0)
	s_barrier
	buffer_gl0_inv
	ds_load_2addr_b64 v[92:95], v165 offset1:1
	s_mov_b32 s3, exec_lo
	v_cmpx_lt_u32_e32 7, v164
	s_cbranch_execz .LBB31_73
; %bb.72:
	s_waitcnt lgkmcnt(0)
	v_mul_f64 v[96:97], v[92:93], v[34:35]
	v_mul_f64 v[34:35], v[94:95], v[34:35]
	s_delay_alu instid0(VALU_DEP_2)
	v_fma_f64 v[162:163], v[94:95], v[32:33], v[96:97]
	ds_load_2addr_b64 v[96:99], v166 offset0:16 offset1:17
	ds_load_2addr_b64 v[100:103], v166 offset0:18 offset1:19
	;; [unrolled: 1-line block ×8, first 2 shown]
	v_fma_f64 v[32:33], v[92:93], v[32:33], -v[34:35]
	s_waitcnt lgkmcnt(7)
	v_mul_f64 v[34:35], v[98:99], v[162:163]
	v_mul_f64 v[167:168], v[96:97], v[162:163]
	s_waitcnt lgkmcnt(6)
	v_mul_f64 v[169:170], v[102:103], v[162:163]
	v_mul_f64 v[171:172], v[100:101], v[162:163]
	;; [unrolled: 3-line block ×8, first 2 shown]
	v_fma_f64 v[34:35], v[96:97], v[32:33], -v[34:35]
	v_fma_f64 v[96:97], v[98:99], v[32:33], v[167:168]
	v_fma_f64 v[98:99], v[100:101], v[32:33], -v[169:170]
	v_fma_f64 v[100:101], v[102:103], v[32:33], v[171:172]
	;; [unrolled: 2-line block ×8, first 2 shown]
	v_add_f64 v[28:29], v[28:29], -v[34:35]
	v_add_f64 v[30:31], v[30:31], -v[96:97]
	v_add_f64 v[24:25], v[24:25], -v[98:99]
	v_add_f64 v[26:27], v[26:27], -v[100:101]
	v_add_f64 v[20:21], v[20:21], -v[102:103]
	v_add_f64 v[22:23], v[22:23], -v[104:105]
	v_add_f64 v[16:17], v[16:17], -v[106:107]
	v_add_f64 v[18:19], v[18:19], -v[108:109]
	v_add_f64 v[12:13], v[12:13], -v[110:111]
	v_add_f64 v[14:15], v[14:15], -v[112:113]
	v_add_f64 v[8:9], v[8:9], -v[114:115]
	v_add_f64 v[10:11], v[10:11], -v[116:117]
	v_add_f64 v[4:5], v[4:5], -v[118:119]
	v_add_f64 v[6:7], v[6:7], -v[120:121]
	v_add_f64 v[0:1], v[0:1], -v[122:123]
	v_add_f64 v[2:3], v[2:3], -v[124:125]
	v_dual_mov_b32 v34, v162 :: v_dual_mov_b32 v35, v163
.LBB31_73:
	s_or_b32 exec_lo, exec_lo, s3
	s_delay_alu instid0(SALU_CYCLE_1)
	s_mov_b32 s4, exec_lo
	s_waitcnt lgkmcnt(0)
	s_barrier
	buffer_gl0_inv
	v_cmpx_eq_u32_e32 8, v164
	s_cbranch_execz .LBB31_80
; %bb.74:
	ds_store_2addr_b64 v165, v[28:29], v[30:31] offset1:1
	ds_store_2addr_b64 v166, v[24:25], v[26:27] offset0:18 offset1:19
	ds_store_2addr_b64 v166, v[20:21], v[22:23] offset0:20 offset1:21
	ds_store_2addr_b64 v166, v[16:17], v[18:19] offset0:22 offset1:23
	ds_store_2addr_b64 v166, v[12:13], v[14:15] offset0:24 offset1:25
	ds_store_2addr_b64 v166, v[8:9], v[10:11] offset0:26 offset1:27
	ds_store_2addr_b64 v166, v[4:5], v[6:7] offset0:28 offset1:29
	ds_store_2addr_b64 v166, v[0:1], v[2:3] offset0:30 offset1:31
	ds_load_2addr_b64 v[96:99], v165 offset1:1
	s_waitcnt lgkmcnt(0)
	v_cmp_neq_f64_e32 vcc_lo, 0, v[96:97]
	v_cmp_neq_f64_e64 s3, 0, v[98:99]
	s_delay_alu instid0(VALU_DEP_1) | instskip(NEXT) | instid1(SALU_CYCLE_1)
	s_or_b32 s3, vcc_lo, s3
	s_and_b32 exec_lo, exec_lo, s3
	s_cbranch_execz .LBB31_80
; %bb.75:
	v_cmp_gt_f64_e32 vcc_lo, 0, v[96:97]
	v_cmp_gt_f64_e64 s3, 0, v[98:99]
	v_xor_b32_e32 v100, 0x80000000, v97
	v_xor_b32_e32 v102, 0x80000000, v99
                                        ; implicit-def: $vgpr104_vgpr105
	s_delay_alu instid0(VALU_DEP_2) | instskip(NEXT) | instid1(VALU_DEP_2)
	v_cndmask_b32_e32 v101, v97, v100, vcc_lo
	v_cndmask_b32_e64 v103, v99, v102, s3
	v_cndmask_b32_e32 v100, v96, v96, vcc_lo
	v_cndmask_b32_e64 v102, v98, v98, s3
	s_mov_b32 s3, exec_lo
	s_delay_alu instid0(VALU_DEP_1)
	v_cmpx_ngt_f64_e32 v[100:101], v[102:103]
	s_xor_b32 s3, exec_lo, s3
                                        ; implicit-def: $vgpr100_vgpr101_vgpr102_vgpr103
	s_cbranch_execz .LBB31_77
; %bb.76:
	v_div_scale_f64 v[100:101], null, v[98:99], v[98:99], v[96:97]
	v_div_scale_f64 v[106:107], vcc_lo, v[96:97], v[98:99], v[96:97]
	s_delay_alu instid0(VALU_DEP_2) | instskip(SKIP_2) | instid1(VALU_DEP_1)
	v_rcp_f64_e32 v[102:103], v[100:101]
	s_waitcnt_depctr 0xfff
	v_fma_f64 v[104:105], -v[100:101], v[102:103], 1.0
	v_fma_f64 v[102:103], v[102:103], v[104:105], v[102:103]
	s_delay_alu instid0(VALU_DEP_1) | instskip(NEXT) | instid1(VALU_DEP_1)
	v_fma_f64 v[104:105], -v[100:101], v[102:103], 1.0
	v_fma_f64 v[102:103], v[102:103], v[104:105], v[102:103]
	s_delay_alu instid0(VALU_DEP_1) | instskip(NEXT) | instid1(VALU_DEP_1)
	v_mul_f64 v[104:105], v[106:107], v[102:103]
	v_fma_f64 v[100:101], -v[100:101], v[104:105], v[106:107]
	s_delay_alu instid0(VALU_DEP_1) | instskip(NEXT) | instid1(VALU_DEP_1)
	v_div_fmas_f64 v[100:101], v[100:101], v[102:103], v[104:105]
	v_div_fixup_f64 v[100:101], v[100:101], v[98:99], v[96:97]
	s_delay_alu instid0(VALU_DEP_1) | instskip(NEXT) | instid1(VALU_DEP_1)
	v_fma_f64 v[96:97], v[96:97], v[100:101], v[98:99]
	v_div_scale_f64 v[98:99], null, v[96:97], v[96:97], 1.0
	s_delay_alu instid0(VALU_DEP_1) | instskip(SKIP_2) | instid1(VALU_DEP_1)
	v_rcp_f64_e32 v[102:103], v[98:99]
	s_waitcnt_depctr 0xfff
	v_fma_f64 v[104:105], -v[98:99], v[102:103], 1.0
	v_fma_f64 v[102:103], v[102:103], v[104:105], v[102:103]
	s_delay_alu instid0(VALU_DEP_1) | instskip(NEXT) | instid1(VALU_DEP_1)
	v_fma_f64 v[104:105], -v[98:99], v[102:103], 1.0
	v_fma_f64 v[102:103], v[102:103], v[104:105], v[102:103]
	v_div_scale_f64 v[104:105], vcc_lo, 1.0, v[96:97], 1.0
	s_delay_alu instid0(VALU_DEP_1) | instskip(NEXT) | instid1(VALU_DEP_1)
	v_mul_f64 v[106:107], v[104:105], v[102:103]
	v_fma_f64 v[98:99], -v[98:99], v[106:107], v[104:105]
	s_delay_alu instid0(VALU_DEP_1) | instskip(NEXT) | instid1(VALU_DEP_1)
	v_div_fmas_f64 v[98:99], v[98:99], v[102:103], v[106:107]
	v_div_fixup_f64 v[102:103], v[98:99], v[96:97], 1.0
                                        ; implicit-def: $vgpr96_vgpr97
	s_delay_alu instid0(VALU_DEP_1)
	v_mul_f64 v[104:105], v[100:101], v[102:103]
	v_xor_b32_e32 v103, 0x80000000, v103
.LBB31_77:
	s_and_not1_saveexec_b32 s3, s3
	s_cbranch_execz .LBB31_79
; %bb.78:
	v_div_scale_f64 v[100:101], null, v[96:97], v[96:97], v[98:99]
	v_div_scale_f64 v[106:107], vcc_lo, v[98:99], v[96:97], v[98:99]
	s_delay_alu instid0(VALU_DEP_2) | instskip(SKIP_2) | instid1(VALU_DEP_1)
	v_rcp_f64_e32 v[102:103], v[100:101]
	s_waitcnt_depctr 0xfff
	v_fma_f64 v[104:105], -v[100:101], v[102:103], 1.0
	v_fma_f64 v[102:103], v[102:103], v[104:105], v[102:103]
	s_delay_alu instid0(VALU_DEP_1) | instskip(NEXT) | instid1(VALU_DEP_1)
	v_fma_f64 v[104:105], -v[100:101], v[102:103], 1.0
	v_fma_f64 v[102:103], v[102:103], v[104:105], v[102:103]
	s_delay_alu instid0(VALU_DEP_1) | instskip(NEXT) | instid1(VALU_DEP_1)
	v_mul_f64 v[104:105], v[106:107], v[102:103]
	v_fma_f64 v[100:101], -v[100:101], v[104:105], v[106:107]
	s_delay_alu instid0(VALU_DEP_1) | instskip(NEXT) | instid1(VALU_DEP_1)
	v_div_fmas_f64 v[100:101], v[100:101], v[102:103], v[104:105]
	v_div_fixup_f64 v[100:101], v[100:101], v[96:97], v[98:99]
	s_delay_alu instid0(VALU_DEP_1) | instskip(NEXT) | instid1(VALU_DEP_1)
	v_fma_f64 v[96:97], v[98:99], v[100:101], v[96:97]
	v_div_scale_f64 v[98:99], null, v[96:97], v[96:97], 1.0
	s_delay_alu instid0(VALU_DEP_1) | instskip(SKIP_2) | instid1(VALU_DEP_1)
	v_rcp_f64_e32 v[102:103], v[98:99]
	s_waitcnt_depctr 0xfff
	v_fma_f64 v[104:105], -v[98:99], v[102:103], 1.0
	v_fma_f64 v[102:103], v[102:103], v[104:105], v[102:103]
	s_delay_alu instid0(VALU_DEP_1) | instskip(NEXT) | instid1(VALU_DEP_1)
	v_fma_f64 v[104:105], -v[98:99], v[102:103], 1.0
	v_fma_f64 v[102:103], v[102:103], v[104:105], v[102:103]
	v_div_scale_f64 v[104:105], vcc_lo, 1.0, v[96:97], 1.0
	s_delay_alu instid0(VALU_DEP_1) | instskip(NEXT) | instid1(VALU_DEP_1)
	v_mul_f64 v[106:107], v[104:105], v[102:103]
	v_fma_f64 v[98:99], -v[98:99], v[106:107], v[104:105]
	s_delay_alu instid0(VALU_DEP_1) | instskip(NEXT) | instid1(VALU_DEP_1)
	v_div_fmas_f64 v[98:99], v[98:99], v[102:103], v[106:107]
	v_div_fixup_f64 v[104:105], v[98:99], v[96:97], 1.0
	s_delay_alu instid0(VALU_DEP_1)
	v_mul_f64 v[102:103], v[100:101], -v[104:105]
.LBB31_79:
	s_or_b32 exec_lo, exec_lo, s3
	ds_store_2addr_b64 v165, v[104:105], v[102:103] offset1:1
.LBB31_80:
	s_or_b32 exec_lo, exec_lo, s4
	s_waitcnt lgkmcnt(0)
	s_barrier
	buffer_gl0_inv
	ds_load_2addr_b64 v[96:99], v165 offset1:1
	s_mov_b32 s3, exec_lo
	v_cmpx_lt_u32_e32 8, v164
	s_cbranch_execz .LBB31_82
; %bb.81:
	s_waitcnt lgkmcnt(0)
	v_mul_f64 v[100:101], v[96:97], v[30:31]
	v_mul_f64 v[30:31], v[98:99], v[30:31]
	s_delay_alu instid0(VALU_DEP_2)
	v_fma_f64 v[162:163], v[98:99], v[28:29], v[100:101]
	ds_load_2addr_b64 v[100:103], v166 offset0:18 offset1:19
	ds_load_2addr_b64 v[104:107], v166 offset0:20 offset1:21
	ds_load_2addr_b64 v[108:111], v166 offset0:22 offset1:23
	ds_load_2addr_b64 v[112:115], v166 offset0:24 offset1:25
	ds_load_2addr_b64 v[116:119], v166 offset0:26 offset1:27
	ds_load_2addr_b64 v[120:123], v166 offset0:28 offset1:29
	ds_load_2addr_b64 v[124:127], v166 offset0:30 offset1:31
	v_fma_f64 v[28:29], v[96:97], v[28:29], -v[30:31]
	s_waitcnt lgkmcnt(6)
	v_mul_f64 v[30:31], v[102:103], v[162:163]
	v_mul_f64 v[167:168], v[100:101], v[162:163]
	s_waitcnt lgkmcnt(5)
	v_mul_f64 v[169:170], v[106:107], v[162:163]
	v_mul_f64 v[171:172], v[104:105], v[162:163]
	s_waitcnt lgkmcnt(4)
	v_mul_f64 v[173:174], v[110:111], v[162:163]
	v_mul_f64 v[175:176], v[108:109], v[162:163]
	s_waitcnt lgkmcnt(3)
	v_mul_f64 v[177:178], v[114:115], v[162:163]
	v_mul_f64 v[179:180], v[112:113], v[162:163]
	s_waitcnt lgkmcnt(2)
	v_mul_f64 v[181:182], v[118:119], v[162:163]
	v_mul_f64 v[183:184], v[116:117], v[162:163]
	s_waitcnt lgkmcnt(1)
	v_mul_f64 v[185:186], v[122:123], v[162:163]
	v_mul_f64 v[187:188], v[120:121], v[162:163]
	s_waitcnt lgkmcnt(0)
	v_mul_f64 v[189:190], v[126:127], v[162:163]
	v_mul_f64 v[191:192], v[124:125], v[162:163]
	v_fma_f64 v[30:31], v[100:101], v[28:29], -v[30:31]
	v_fma_f64 v[100:101], v[102:103], v[28:29], v[167:168]
	v_fma_f64 v[102:103], v[104:105], v[28:29], -v[169:170]
	v_fma_f64 v[104:105], v[106:107], v[28:29], v[171:172]
	;; [unrolled: 2-line block ×7, first 2 shown]
	v_add_f64 v[24:25], v[24:25], -v[30:31]
	v_add_f64 v[26:27], v[26:27], -v[100:101]
	;; [unrolled: 1-line block ×14, first 2 shown]
	v_dual_mov_b32 v30, v162 :: v_dual_mov_b32 v31, v163
.LBB31_82:
	s_or_b32 exec_lo, exec_lo, s3
	s_delay_alu instid0(SALU_CYCLE_1)
	s_mov_b32 s4, exec_lo
	s_waitcnt lgkmcnt(0)
	s_barrier
	buffer_gl0_inv
	v_cmpx_eq_u32_e32 9, v164
	s_cbranch_execz .LBB31_89
; %bb.83:
	ds_store_2addr_b64 v165, v[24:25], v[26:27] offset1:1
	ds_store_2addr_b64 v166, v[20:21], v[22:23] offset0:20 offset1:21
	ds_store_2addr_b64 v166, v[16:17], v[18:19] offset0:22 offset1:23
	;; [unrolled: 1-line block ×6, first 2 shown]
	ds_load_2addr_b64 v[100:103], v165 offset1:1
	s_waitcnt lgkmcnt(0)
	v_cmp_neq_f64_e32 vcc_lo, 0, v[100:101]
	v_cmp_neq_f64_e64 s3, 0, v[102:103]
	s_delay_alu instid0(VALU_DEP_1) | instskip(NEXT) | instid1(SALU_CYCLE_1)
	s_or_b32 s3, vcc_lo, s3
	s_and_b32 exec_lo, exec_lo, s3
	s_cbranch_execz .LBB31_89
; %bb.84:
	v_cmp_gt_f64_e32 vcc_lo, 0, v[100:101]
	v_cmp_gt_f64_e64 s3, 0, v[102:103]
	v_xor_b32_e32 v104, 0x80000000, v101
	v_xor_b32_e32 v106, 0x80000000, v103
                                        ; implicit-def: $vgpr108_vgpr109
	s_delay_alu instid0(VALU_DEP_2) | instskip(NEXT) | instid1(VALU_DEP_2)
	v_cndmask_b32_e32 v105, v101, v104, vcc_lo
	v_cndmask_b32_e64 v107, v103, v106, s3
	v_cndmask_b32_e32 v104, v100, v100, vcc_lo
	v_cndmask_b32_e64 v106, v102, v102, s3
	s_mov_b32 s3, exec_lo
	s_delay_alu instid0(VALU_DEP_1)
	v_cmpx_ngt_f64_e32 v[104:105], v[106:107]
	s_xor_b32 s3, exec_lo, s3
                                        ; implicit-def: $vgpr104_vgpr105_vgpr106_vgpr107
	s_cbranch_execz .LBB31_86
; %bb.85:
	v_div_scale_f64 v[104:105], null, v[102:103], v[102:103], v[100:101]
	v_div_scale_f64 v[110:111], vcc_lo, v[100:101], v[102:103], v[100:101]
	s_delay_alu instid0(VALU_DEP_2) | instskip(SKIP_2) | instid1(VALU_DEP_1)
	v_rcp_f64_e32 v[106:107], v[104:105]
	s_waitcnt_depctr 0xfff
	v_fma_f64 v[108:109], -v[104:105], v[106:107], 1.0
	v_fma_f64 v[106:107], v[106:107], v[108:109], v[106:107]
	s_delay_alu instid0(VALU_DEP_1) | instskip(NEXT) | instid1(VALU_DEP_1)
	v_fma_f64 v[108:109], -v[104:105], v[106:107], 1.0
	v_fma_f64 v[106:107], v[106:107], v[108:109], v[106:107]
	s_delay_alu instid0(VALU_DEP_1) | instskip(NEXT) | instid1(VALU_DEP_1)
	v_mul_f64 v[108:109], v[110:111], v[106:107]
	v_fma_f64 v[104:105], -v[104:105], v[108:109], v[110:111]
	s_delay_alu instid0(VALU_DEP_1) | instskip(NEXT) | instid1(VALU_DEP_1)
	v_div_fmas_f64 v[104:105], v[104:105], v[106:107], v[108:109]
	v_div_fixup_f64 v[104:105], v[104:105], v[102:103], v[100:101]
	s_delay_alu instid0(VALU_DEP_1) | instskip(NEXT) | instid1(VALU_DEP_1)
	v_fma_f64 v[100:101], v[100:101], v[104:105], v[102:103]
	v_div_scale_f64 v[102:103], null, v[100:101], v[100:101], 1.0
	s_delay_alu instid0(VALU_DEP_1) | instskip(SKIP_2) | instid1(VALU_DEP_1)
	v_rcp_f64_e32 v[106:107], v[102:103]
	s_waitcnt_depctr 0xfff
	v_fma_f64 v[108:109], -v[102:103], v[106:107], 1.0
	v_fma_f64 v[106:107], v[106:107], v[108:109], v[106:107]
	s_delay_alu instid0(VALU_DEP_1) | instskip(NEXT) | instid1(VALU_DEP_1)
	v_fma_f64 v[108:109], -v[102:103], v[106:107], 1.0
	v_fma_f64 v[106:107], v[106:107], v[108:109], v[106:107]
	v_div_scale_f64 v[108:109], vcc_lo, 1.0, v[100:101], 1.0
	s_delay_alu instid0(VALU_DEP_1) | instskip(NEXT) | instid1(VALU_DEP_1)
	v_mul_f64 v[110:111], v[108:109], v[106:107]
	v_fma_f64 v[102:103], -v[102:103], v[110:111], v[108:109]
	s_delay_alu instid0(VALU_DEP_1) | instskip(NEXT) | instid1(VALU_DEP_1)
	v_div_fmas_f64 v[102:103], v[102:103], v[106:107], v[110:111]
	v_div_fixup_f64 v[106:107], v[102:103], v[100:101], 1.0
                                        ; implicit-def: $vgpr100_vgpr101
	s_delay_alu instid0(VALU_DEP_1)
	v_mul_f64 v[108:109], v[104:105], v[106:107]
	v_xor_b32_e32 v107, 0x80000000, v107
.LBB31_86:
	s_and_not1_saveexec_b32 s3, s3
	s_cbranch_execz .LBB31_88
; %bb.87:
	v_div_scale_f64 v[104:105], null, v[100:101], v[100:101], v[102:103]
	v_div_scale_f64 v[110:111], vcc_lo, v[102:103], v[100:101], v[102:103]
	s_delay_alu instid0(VALU_DEP_2) | instskip(SKIP_2) | instid1(VALU_DEP_1)
	v_rcp_f64_e32 v[106:107], v[104:105]
	s_waitcnt_depctr 0xfff
	v_fma_f64 v[108:109], -v[104:105], v[106:107], 1.0
	v_fma_f64 v[106:107], v[106:107], v[108:109], v[106:107]
	s_delay_alu instid0(VALU_DEP_1) | instskip(NEXT) | instid1(VALU_DEP_1)
	v_fma_f64 v[108:109], -v[104:105], v[106:107], 1.0
	v_fma_f64 v[106:107], v[106:107], v[108:109], v[106:107]
	s_delay_alu instid0(VALU_DEP_1) | instskip(NEXT) | instid1(VALU_DEP_1)
	v_mul_f64 v[108:109], v[110:111], v[106:107]
	v_fma_f64 v[104:105], -v[104:105], v[108:109], v[110:111]
	s_delay_alu instid0(VALU_DEP_1) | instskip(NEXT) | instid1(VALU_DEP_1)
	v_div_fmas_f64 v[104:105], v[104:105], v[106:107], v[108:109]
	v_div_fixup_f64 v[104:105], v[104:105], v[100:101], v[102:103]
	s_delay_alu instid0(VALU_DEP_1) | instskip(NEXT) | instid1(VALU_DEP_1)
	v_fma_f64 v[100:101], v[102:103], v[104:105], v[100:101]
	v_div_scale_f64 v[102:103], null, v[100:101], v[100:101], 1.0
	s_delay_alu instid0(VALU_DEP_1) | instskip(SKIP_2) | instid1(VALU_DEP_1)
	v_rcp_f64_e32 v[106:107], v[102:103]
	s_waitcnt_depctr 0xfff
	v_fma_f64 v[108:109], -v[102:103], v[106:107], 1.0
	v_fma_f64 v[106:107], v[106:107], v[108:109], v[106:107]
	s_delay_alu instid0(VALU_DEP_1) | instskip(NEXT) | instid1(VALU_DEP_1)
	v_fma_f64 v[108:109], -v[102:103], v[106:107], 1.0
	v_fma_f64 v[106:107], v[106:107], v[108:109], v[106:107]
	v_div_scale_f64 v[108:109], vcc_lo, 1.0, v[100:101], 1.0
	s_delay_alu instid0(VALU_DEP_1) | instskip(NEXT) | instid1(VALU_DEP_1)
	v_mul_f64 v[110:111], v[108:109], v[106:107]
	v_fma_f64 v[102:103], -v[102:103], v[110:111], v[108:109]
	s_delay_alu instid0(VALU_DEP_1) | instskip(NEXT) | instid1(VALU_DEP_1)
	v_div_fmas_f64 v[102:103], v[102:103], v[106:107], v[110:111]
	v_div_fixup_f64 v[108:109], v[102:103], v[100:101], 1.0
	s_delay_alu instid0(VALU_DEP_1)
	v_mul_f64 v[106:107], v[104:105], -v[108:109]
.LBB31_88:
	s_or_b32 exec_lo, exec_lo, s3
	ds_store_2addr_b64 v165, v[108:109], v[106:107] offset1:1
.LBB31_89:
	s_or_b32 exec_lo, exec_lo, s4
	s_waitcnt lgkmcnt(0)
	s_barrier
	buffer_gl0_inv
	ds_load_2addr_b64 v[100:103], v165 offset1:1
	s_mov_b32 s3, exec_lo
	v_cmpx_lt_u32_e32 9, v164
	s_cbranch_execz .LBB31_91
; %bb.90:
	s_waitcnt lgkmcnt(0)
	v_mul_f64 v[104:105], v[100:101], v[26:27]
	v_mul_f64 v[26:27], v[102:103], v[26:27]
	s_delay_alu instid0(VALU_DEP_2)
	v_fma_f64 v[162:163], v[102:103], v[24:25], v[104:105]
	ds_load_2addr_b64 v[104:107], v166 offset0:20 offset1:21
	ds_load_2addr_b64 v[108:111], v166 offset0:22 offset1:23
	;; [unrolled: 1-line block ×6, first 2 shown]
	v_fma_f64 v[24:25], v[100:101], v[24:25], -v[26:27]
	s_waitcnt lgkmcnt(5)
	v_mul_f64 v[26:27], v[106:107], v[162:163]
	v_mul_f64 v[167:168], v[104:105], v[162:163]
	s_waitcnt lgkmcnt(4)
	v_mul_f64 v[169:170], v[110:111], v[162:163]
	v_mul_f64 v[171:172], v[108:109], v[162:163]
	;; [unrolled: 3-line block ×6, first 2 shown]
	v_fma_f64 v[26:27], v[104:105], v[24:25], -v[26:27]
	v_fma_f64 v[104:105], v[106:107], v[24:25], v[167:168]
	v_fma_f64 v[106:107], v[108:109], v[24:25], -v[169:170]
	v_fma_f64 v[108:109], v[110:111], v[24:25], v[171:172]
	;; [unrolled: 2-line block ×6, first 2 shown]
	v_add_f64 v[20:21], v[20:21], -v[26:27]
	v_add_f64 v[22:23], v[22:23], -v[104:105]
	;; [unrolled: 1-line block ×12, first 2 shown]
	v_dual_mov_b32 v26, v162 :: v_dual_mov_b32 v27, v163
.LBB31_91:
	s_or_b32 exec_lo, exec_lo, s3
	s_delay_alu instid0(SALU_CYCLE_1)
	s_mov_b32 s4, exec_lo
	s_waitcnt lgkmcnt(0)
	s_barrier
	buffer_gl0_inv
	v_cmpx_eq_u32_e32 10, v164
	s_cbranch_execz .LBB31_98
; %bb.92:
	ds_store_2addr_b64 v165, v[20:21], v[22:23] offset1:1
	ds_store_2addr_b64 v166, v[16:17], v[18:19] offset0:22 offset1:23
	ds_store_2addr_b64 v166, v[12:13], v[14:15] offset0:24 offset1:25
	;; [unrolled: 1-line block ×5, first 2 shown]
	ds_load_2addr_b64 v[104:107], v165 offset1:1
	s_waitcnt lgkmcnt(0)
	v_cmp_neq_f64_e32 vcc_lo, 0, v[104:105]
	v_cmp_neq_f64_e64 s3, 0, v[106:107]
	s_delay_alu instid0(VALU_DEP_1) | instskip(NEXT) | instid1(SALU_CYCLE_1)
	s_or_b32 s3, vcc_lo, s3
	s_and_b32 exec_lo, exec_lo, s3
	s_cbranch_execz .LBB31_98
; %bb.93:
	v_cmp_gt_f64_e32 vcc_lo, 0, v[104:105]
	v_cmp_gt_f64_e64 s3, 0, v[106:107]
	v_xor_b32_e32 v108, 0x80000000, v105
	v_xor_b32_e32 v110, 0x80000000, v107
                                        ; implicit-def: $vgpr112_vgpr113
	s_delay_alu instid0(VALU_DEP_2) | instskip(NEXT) | instid1(VALU_DEP_2)
	v_cndmask_b32_e32 v109, v105, v108, vcc_lo
	v_cndmask_b32_e64 v111, v107, v110, s3
	v_cndmask_b32_e32 v108, v104, v104, vcc_lo
	v_cndmask_b32_e64 v110, v106, v106, s3
	s_mov_b32 s3, exec_lo
	s_delay_alu instid0(VALU_DEP_1)
	v_cmpx_ngt_f64_e32 v[108:109], v[110:111]
	s_xor_b32 s3, exec_lo, s3
                                        ; implicit-def: $vgpr108_vgpr109_vgpr110_vgpr111
	s_cbranch_execz .LBB31_95
; %bb.94:
	v_div_scale_f64 v[108:109], null, v[106:107], v[106:107], v[104:105]
	v_div_scale_f64 v[114:115], vcc_lo, v[104:105], v[106:107], v[104:105]
	s_delay_alu instid0(VALU_DEP_2) | instskip(SKIP_2) | instid1(VALU_DEP_1)
	v_rcp_f64_e32 v[110:111], v[108:109]
	s_waitcnt_depctr 0xfff
	v_fma_f64 v[112:113], -v[108:109], v[110:111], 1.0
	v_fma_f64 v[110:111], v[110:111], v[112:113], v[110:111]
	s_delay_alu instid0(VALU_DEP_1) | instskip(NEXT) | instid1(VALU_DEP_1)
	v_fma_f64 v[112:113], -v[108:109], v[110:111], 1.0
	v_fma_f64 v[110:111], v[110:111], v[112:113], v[110:111]
	s_delay_alu instid0(VALU_DEP_1) | instskip(NEXT) | instid1(VALU_DEP_1)
	v_mul_f64 v[112:113], v[114:115], v[110:111]
	v_fma_f64 v[108:109], -v[108:109], v[112:113], v[114:115]
	s_delay_alu instid0(VALU_DEP_1) | instskip(NEXT) | instid1(VALU_DEP_1)
	v_div_fmas_f64 v[108:109], v[108:109], v[110:111], v[112:113]
	v_div_fixup_f64 v[108:109], v[108:109], v[106:107], v[104:105]
	s_delay_alu instid0(VALU_DEP_1) | instskip(NEXT) | instid1(VALU_DEP_1)
	v_fma_f64 v[104:105], v[104:105], v[108:109], v[106:107]
	v_div_scale_f64 v[106:107], null, v[104:105], v[104:105], 1.0
	s_delay_alu instid0(VALU_DEP_1) | instskip(SKIP_2) | instid1(VALU_DEP_1)
	v_rcp_f64_e32 v[110:111], v[106:107]
	s_waitcnt_depctr 0xfff
	v_fma_f64 v[112:113], -v[106:107], v[110:111], 1.0
	v_fma_f64 v[110:111], v[110:111], v[112:113], v[110:111]
	s_delay_alu instid0(VALU_DEP_1) | instskip(NEXT) | instid1(VALU_DEP_1)
	v_fma_f64 v[112:113], -v[106:107], v[110:111], 1.0
	v_fma_f64 v[110:111], v[110:111], v[112:113], v[110:111]
	v_div_scale_f64 v[112:113], vcc_lo, 1.0, v[104:105], 1.0
	s_delay_alu instid0(VALU_DEP_1) | instskip(NEXT) | instid1(VALU_DEP_1)
	v_mul_f64 v[114:115], v[112:113], v[110:111]
	v_fma_f64 v[106:107], -v[106:107], v[114:115], v[112:113]
	s_delay_alu instid0(VALU_DEP_1) | instskip(NEXT) | instid1(VALU_DEP_1)
	v_div_fmas_f64 v[106:107], v[106:107], v[110:111], v[114:115]
	v_div_fixup_f64 v[110:111], v[106:107], v[104:105], 1.0
                                        ; implicit-def: $vgpr104_vgpr105
	s_delay_alu instid0(VALU_DEP_1)
	v_mul_f64 v[112:113], v[108:109], v[110:111]
	v_xor_b32_e32 v111, 0x80000000, v111
.LBB31_95:
	s_and_not1_saveexec_b32 s3, s3
	s_cbranch_execz .LBB31_97
; %bb.96:
	v_div_scale_f64 v[108:109], null, v[104:105], v[104:105], v[106:107]
	v_div_scale_f64 v[114:115], vcc_lo, v[106:107], v[104:105], v[106:107]
	s_delay_alu instid0(VALU_DEP_2) | instskip(SKIP_2) | instid1(VALU_DEP_1)
	v_rcp_f64_e32 v[110:111], v[108:109]
	s_waitcnt_depctr 0xfff
	v_fma_f64 v[112:113], -v[108:109], v[110:111], 1.0
	v_fma_f64 v[110:111], v[110:111], v[112:113], v[110:111]
	s_delay_alu instid0(VALU_DEP_1) | instskip(NEXT) | instid1(VALU_DEP_1)
	v_fma_f64 v[112:113], -v[108:109], v[110:111], 1.0
	v_fma_f64 v[110:111], v[110:111], v[112:113], v[110:111]
	s_delay_alu instid0(VALU_DEP_1) | instskip(NEXT) | instid1(VALU_DEP_1)
	v_mul_f64 v[112:113], v[114:115], v[110:111]
	v_fma_f64 v[108:109], -v[108:109], v[112:113], v[114:115]
	s_delay_alu instid0(VALU_DEP_1) | instskip(NEXT) | instid1(VALU_DEP_1)
	v_div_fmas_f64 v[108:109], v[108:109], v[110:111], v[112:113]
	v_div_fixup_f64 v[108:109], v[108:109], v[104:105], v[106:107]
	s_delay_alu instid0(VALU_DEP_1) | instskip(NEXT) | instid1(VALU_DEP_1)
	v_fma_f64 v[104:105], v[106:107], v[108:109], v[104:105]
	v_div_scale_f64 v[106:107], null, v[104:105], v[104:105], 1.0
	s_delay_alu instid0(VALU_DEP_1) | instskip(SKIP_2) | instid1(VALU_DEP_1)
	v_rcp_f64_e32 v[110:111], v[106:107]
	s_waitcnt_depctr 0xfff
	v_fma_f64 v[112:113], -v[106:107], v[110:111], 1.0
	v_fma_f64 v[110:111], v[110:111], v[112:113], v[110:111]
	s_delay_alu instid0(VALU_DEP_1) | instskip(NEXT) | instid1(VALU_DEP_1)
	v_fma_f64 v[112:113], -v[106:107], v[110:111], 1.0
	v_fma_f64 v[110:111], v[110:111], v[112:113], v[110:111]
	v_div_scale_f64 v[112:113], vcc_lo, 1.0, v[104:105], 1.0
	s_delay_alu instid0(VALU_DEP_1) | instskip(NEXT) | instid1(VALU_DEP_1)
	v_mul_f64 v[114:115], v[112:113], v[110:111]
	v_fma_f64 v[106:107], -v[106:107], v[114:115], v[112:113]
	s_delay_alu instid0(VALU_DEP_1) | instskip(NEXT) | instid1(VALU_DEP_1)
	v_div_fmas_f64 v[106:107], v[106:107], v[110:111], v[114:115]
	v_div_fixup_f64 v[112:113], v[106:107], v[104:105], 1.0
	s_delay_alu instid0(VALU_DEP_1)
	v_mul_f64 v[110:111], v[108:109], -v[112:113]
.LBB31_97:
	s_or_b32 exec_lo, exec_lo, s3
	ds_store_2addr_b64 v165, v[112:113], v[110:111] offset1:1
.LBB31_98:
	s_or_b32 exec_lo, exec_lo, s4
	s_waitcnt lgkmcnt(0)
	s_barrier
	buffer_gl0_inv
	ds_load_2addr_b64 v[104:107], v165 offset1:1
	s_mov_b32 s3, exec_lo
	v_cmpx_lt_u32_e32 10, v164
	s_cbranch_execz .LBB31_100
; %bb.99:
	s_waitcnt lgkmcnt(0)
	v_mul_f64 v[108:109], v[104:105], v[22:23]
	v_mul_f64 v[22:23], v[106:107], v[22:23]
	s_delay_alu instid0(VALU_DEP_2)
	v_fma_f64 v[162:163], v[106:107], v[20:21], v[108:109]
	ds_load_2addr_b64 v[108:111], v166 offset0:22 offset1:23
	ds_load_2addr_b64 v[112:115], v166 offset0:24 offset1:25
	;; [unrolled: 1-line block ×5, first 2 shown]
	v_fma_f64 v[20:21], v[104:105], v[20:21], -v[22:23]
	s_waitcnt lgkmcnt(4)
	v_mul_f64 v[22:23], v[110:111], v[162:163]
	v_mul_f64 v[167:168], v[108:109], v[162:163]
	s_waitcnt lgkmcnt(3)
	v_mul_f64 v[169:170], v[114:115], v[162:163]
	v_mul_f64 v[171:172], v[112:113], v[162:163]
	;; [unrolled: 3-line block ×5, first 2 shown]
	v_fma_f64 v[22:23], v[108:109], v[20:21], -v[22:23]
	v_fma_f64 v[108:109], v[110:111], v[20:21], v[167:168]
	v_fma_f64 v[110:111], v[112:113], v[20:21], -v[169:170]
	v_fma_f64 v[112:113], v[114:115], v[20:21], v[171:172]
	;; [unrolled: 2-line block ×5, first 2 shown]
	v_add_f64 v[16:17], v[16:17], -v[22:23]
	v_add_f64 v[18:19], v[18:19], -v[108:109]
	v_add_f64 v[12:13], v[12:13], -v[110:111]
	v_add_f64 v[14:15], v[14:15], -v[112:113]
	v_add_f64 v[8:9], v[8:9], -v[114:115]
	v_add_f64 v[10:11], v[10:11], -v[116:117]
	v_add_f64 v[4:5], v[4:5], -v[118:119]
	v_add_f64 v[6:7], v[6:7], -v[120:121]
	v_add_f64 v[0:1], v[0:1], -v[122:123]
	v_add_f64 v[2:3], v[2:3], -v[124:125]
	v_dual_mov_b32 v22, v162 :: v_dual_mov_b32 v23, v163
.LBB31_100:
	s_or_b32 exec_lo, exec_lo, s3
	s_delay_alu instid0(SALU_CYCLE_1)
	s_mov_b32 s4, exec_lo
	s_waitcnt lgkmcnt(0)
	s_barrier
	buffer_gl0_inv
	v_cmpx_eq_u32_e32 11, v164
	s_cbranch_execz .LBB31_107
; %bb.101:
	ds_store_2addr_b64 v165, v[16:17], v[18:19] offset1:1
	ds_store_2addr_b64 v166, v[12:13], v[14:15] offset0:24 offset1:25
	ds_store_2addr_b64 v166, v[8:9], v[10:11] offset0:26 offset1:27
	;; [unrolled: 1-line block ×4, first 2 shown]
	ds_load_2addr_b64 v[108:111], v165 offset1:1
	s_waitcnt lgkmcnt(0)
	v_cmp_neq_f64_e32 vcc_lo, 0, v[108:109]
	v_cmp_neq_f64_e64 s3, 0, v[110:111]
	s_delay_alu instid0(VALU_DEP_1) | instskip(NEXT) | instid1(SALU_CYCLE_1)
	s_or_b32 s3, vcc_lo, s3
	s_and_b32 exec_lo, exec_lo, s3
	s_cbranch_execz .LBB31_107
; %bb.102:
	v_cmp_gt_f64_e32 vcc_lo, 0, v[108:109]
	v_cmp_gt_f64_e64 s3, 0, v[110:111]
	v_xor_b32_e32 v112, 0x80000000, v109
	v_xor_b32_e32 v114, 0x80000000, v111
                                        ; implicit-def: $vgpr116_vgpr117
	s_delay_alu instid0(VALU_DEP_2) | instskip(NEXT) | instid1(VALU_DEP_2)
	v_cndmask_b32_e32 v113, v109, v112, vcc_lo
	v_cndmask_b32_e64 v115, v111, v114, s3
	v_cndmask_b32_e32 v112, v108, v108, vcc_lo
	v_cndmask_b32_e64 v114, v110, v110, s3
	s_mov_b32 s3, exec_lo
	s_delay_alu instid0(VALU_DEP_1)
	v_cmpx_ngt_f64_e32 v[112:113], v[114:115]
	s_xor_b32 s3, exec_lo, s3
                                        ; implicit-def: $vgpr112_vgpr113_vgpr114_vgpr115
	s_cbranch_execz .LBB31_104
; %bb.103:
	v_div_scale_f64 v[112:113], null, v[110:111], v[110:111], v[108:109]
	v_div_scale_f64 v[118:119], vcc_lo, v[108:109], v[110:111], v[108:109]
	s_delay_alu instid0(VALU_DEP_2) | instskip(SKIP_2) | instid1(VALU_DEP_1)
	v_rcp_f64_e32 v[114:115], v[112:113]
	s_waitcnt_depctr 0xfff
	v_fma_f64 v[116:117], -v[112:113], v[114:115], 1.0
	v_fma_f64 v[114:115], v[114:115], v[116:117], v[114:115]
	s_delay_alu instid0(VALU_DEP_1) | instskip(NEXT) | instid1(VALU_DEP_1)
	v_fma_f64 v[116:117], -v[112:113], v[114:115], 1.0
	v_fma_f64 v[114:115], v[114:115], v[116:117], v[114:115]
	s_delay_alu instid0(VALU_DEP_1) | instskip(NEXT) | instid1(VALU_DEP_1)
	v_mul_f64 v[116:117], v[118:119], v[114:115]
	v_fma_f64 v[112:113], -v[112:113], v[116:117], v[118:119]
	s_delay_alu instid0(VALU_DEP_1) | instskip(NEXT) | instid1(VALU_DEP_1)
	v_div_fmas_f64 v[112:113], v[112:113], v[114:115], v[116:117]
	v_div_fixup_f64 v[112:113], v[112:113], v[110:111], v[108:109]
	s_delay_alu instid0(VALU_DEP_1) | instskip(NEXT) | instid1(VALU_DEP_1)
	v_fma_f64 v[108:109], v[108:109], v[112:113], v[110:111]
	v_div_scale_f64 v[110:111], null, v[108:109], v[108:109], 1.0
	s_delay_alu instid0(VALU_DEP_1) | instskip(SKIP_2) | instid1(VALU_DEP_1)
	v_rcp_f64_e32 v[114:115], v[110:111]
	s_waitcnt_depctr 0xfff
	v_fma_f64 v[116:117], -v[110:111], v[114:115], 1.0
	v_fma_f64 v[114:115], v[114:115], v[116:117], v[114:115]
	s_delay_alu instid0(VALU_DEP_1) | instskip(NEXT) | instid1(VALU_DEP_1)
	v_fma_f64 v[116:117], -v[110:111], v[114:115], 1.0
	v_fma_f64 v[114:115], v[114:115], v[116:117], v[114:115]
	v_div_scale_f64 v[116:117], vcc_lo, 1.0, v[108:109], 1.0
	s_delay_alu instid0(VALU_DEP_1) | instskip(NEXT) | instid1(VALU_DEP_1)
	v_mul_f64 v[118:119], v[116:117], v[114:115]
	v_fma_f64 v[110:111], -v[110:111], v[118:119], v[116:117]
	s_delay_alu instid0(VALU_DEP_1) | instskip(NEXT) | instid1(VALU_DEP_1)
	v_div_fmas_f64 v[110:111], v[110:111], v[114:115], v[118:119]
	v_div_fixup_f64 v[114:115], v[110:111], v[108:109], 1.0
                                        ; implicit-def: $vgpr108_vgpr109
	s_delay_alu instid0(VALU_DEP_1)
	v_mul_f64 v[116:117], v[112:113], v[114:115]
	v_xor_b32_e32 v115, 0x80000000, v115
.LBB31_104:
	s_and_not1_saveexec_b32 s3, s3
	s_cbranch_execz .LBB31_106
; %bb.105:
	v_div_scale_f64 v[112:113], null, v[108:109], v[108:109], v[110:111]
	v_div_scale_f64 v[118:119], vcc_lo, v[110:111], v[108:109], v[110:111]
	s_delay_alu instid0(VALU_DEP_2) | instskip(SKIP_2) | instid1(VALU_DEP_1)
	v_rcp_f64_e32 v[114:115], v[112:113]
	s_waitcnt_depctr 0xfff
	v_fma_f64 v[116:117], -v[112:113], v[114:115], 1.0
	v_fma_f64 v[114:115], v[114:115], v[116:117], v[114:115]
	s_delay_alu instid0(VALU_DEP_1) | instskip(NEXT) | instid1(VALU_DEP_1)
	v_fma_f64 v[116:117], -v[112:113], v[114:115], 1.0
	v_fma_f64 v[114:115], v[114:115], v[116:117], v[114:115]
	s_delay_alu instid0(VALU_DEP_1) | instskip(NEXT) | instid1(VALU_DEP_1)
	v_mul_f64 v[116:117], v[118:119], v[114:115]
	v_fma_f64 v[112:113], -v[112:113], v[116:117], v[118:119]
	s_delay_alu instid0(VALU_DEP_1) | instskip(NEXT) | instid1(VALU_DEP_1)
	v_div_fmas_f64 v[112:113], v[112:113], v[114:115], v[116:117]
	v_div_fixup_f64 v[112:113], v[112:113], v[108:109], v[110:111]
	s_delay_alu instid0(VALU_DEP_1) | instskip(NEXT) | instid1(VALU_DEP_1)
	v_fma_f64 v[108:109], v[110:111], v[112:113], v[108:109]
	v_div_scale_f64 v[110:111], null, v[108:109], v[108:109], 1.0
	s_delay_alu instid0(VALU_DEP_1) | instskip(SKIP_2) | instid1(VALU_DEP_1)
	v_rcp_f64_e32 v[114:115], v[110:111]
	s_waitcnt_depctr 0xfff
	v_fma_f64 v[116:117], -v[110:111], v[114:115], 1.0
	v_fma_f64 v[114:115], v[114:115], v[116:117], v[114:115]
	s_delay_alu instid0(VALU_DEP_1) | instskip(NEXT) | instid1(VALU_DEP_1)
	v_fma_f64 v[116:117], -v[110:111], v[114:115], 1.0
	v_fma_f64 v[114:115], v[114:115], v[116:117], v[114:115]
	v_div_scale_f64 v[116:117], vcc_lo, 1.0, v[108:109], 1.0
	s_delay_alu instid0(VALU_DEP_1) | instskip(NEXT) | instid1(VALU_DEP_1)
	v_mul_f64 v[118:119], v[116:117], v[114:115]
	v_fma_f64 v[110:111], -v[110:111], v[118:119], v[116:117]
	s_delay_alu instid0(VALU_DEP_1) | instskip(NEXT) | instid1(VALU_DEP_1)
	v_div_fmas_f64 v[110:111], v[110:111], v[114:115], v[118:119]
	v_div_fixup_f64 v[116:117], v[110:111], v[108:109], 1.0
	s_delay_alu instid0(VALU_DEP_1)
	v_mul_f64 v[114:115], v[112:113], -v[116:117]
.LBB31_106:
	s_or_b32 exec_lo, exec_lo, s3
	ds_store_2addr_b64 v165, v[116:117], v[114:115] offset1:1
.LBB31_107:
	s_or_b32 exec_lo, exec_lo, s4
	s_waitcnt lgkmcnt(0)
	s_barrier
	buffer_gl0_inv
	ds_load_2addr_b64 v[108:111], v165 offset1:1
	s_mov_b32 s3, exec_lo
	v_cmpx_lt_u32_e32 11, v164
	s_cbranch_execz .LBB31_109
; %bb.108:
	s_waitcnt lgkmcnt(0)
	v_mul_f64 v[112:113], v[108:109], v[18:19]
	v_mul_f64 v[18:19], v[110:111], v[18:19]
	s_delay_alu instid0(VALU_DEP_2)
	v_fma_f64 v[162:163], v[110:111], v[16:17], v[112:113]
	ds_load_2addr_b64 v[112:115], v166 offset0:24 offset1:25
	ds_load_2addr_b64 v[116:119], v166 offset0:26 offset1:27
	;; [unrolled: 1-line block ×4, first 2 shown]
	v_fma_f64 v[16:17], v[108:109], v[16:17], -v[18:19]
	s_waitcnt lgkmcnt(3)
	v_mul_f64 v[18:19], v[114:115], v[162:163]
	v_mul_f64 v[167:168], v[112:113], v[162:163]
	s_waitcnt lgkmcnt(2)
	v_mul_f64 v[169:170], v[118:119], v[162:163]
	v_mul_f64 v[171:172], v[116:117], v[162:163]
	s_waitcnt lgkmcnt(1)
	v_mul_f64 v[173:174], v[122:123], v[162:163]
	v_mul_f64 v[175:176], v[120:121], v[162:163]
	s_waitcnt lgkmcnt(0)
	v_mul_f64 v[177:178], v[126:127], v[162:163]
	v_mul_f64 v[179:180], v[124:125], v[162:163]
	v_fma_f64 v[18:19], v[112:113], v[16:17], -v[18:19]
	v_fma_f64 v[112:113], v[114:115], v[16:17], v[167:168]
	v_fma_f64 v[114:115], v[116:117], v[16:17], -v[169:170]
	v_fma_f64 v[116:117], v[118:119], v[16:17], v[171:172]
	;; [unrolled: 2-line block ×4, first 2 shown]
	v_add_f64 v[12:13], v[12:13], -v[18:19]
	v_add_f64 v[14:15], v[14:15], -v[112:113]
	;; [unrolled: 1-line block ×8, first 2 shown]
	v_dual_mov_b32 v18, v162 :: v_dual_mov_b32 v19, v163
.LBB31_109:
	s_or_b32 exec_lo, exec_lo, s3
	s_delay_alu instid0(SALU_CYCLE_1)
	s_mov_b32 s4, exec_lo
	s_waitcnt lgkmcnt(0)
	s_barrier
	buffer_gl0_inv
	v_cmpx_eq_u32_e32 12, v164
	s_cbranch_execz .LBB31_116
; %bb.110:
	ds_store_2addr_b64 v165, v[12:13], v[14:15] offset1:1
	ds_store_2addr_b64 v166, v[8:9], v[10:11] offset0:26 offset1:27
	ds_store_2addr_b64 v166, v[4:5], v[6:7] offset0:28 offset1:29
	;; [unrolled: 1-line block ×3, first 2 shown]
	ds_load_2addr_b64 v[112:115], v165 offset1:1
	s_waitcnt lgkmcnt(0)
	v_cmp_neq_f64_e32 vcc_lo, 0, v[112:113]
	v_cmp_neq_f64_e64 s3, 0, v[114:115]
	s_delay_alu instid0(VALU_DEP_1) | instskip(NEXT) | instid1(SALU_CYCLE_1)
	s_or_b32 s3, vcc_lo, s3
	s_and_b32 exec_lo, exec_lo, s3
	s_cbranch_execz .LBB31_116
; %bb.111:
	v_cmp_gt_f64_e32 vcc_lo, 0, v[112:113]
	v_cmp_gt_f64_e64 s3, 0, v[114:115]
	v_xor_b32_e32 v116, 0x80000000, v113
	v_xor_b32_e32 v118, 0x80000000, v115
                                        ; implicit-def: $vgpr120_vgpr121
	s_delay_alu instid0(VALU_DEP_2) | instskip(NEXT) | instid1(VALU_DEP_2)
	v_cndmask_b32_e32 v117, v113, v116, vcc_lo
	v_cndmask_b32_e64 v119, v115, v118, s3
	v_cndmask_b32_e32 v116, v112, v112, vcc_lo
	v_cndmask_b32_e64 v118, v114, v114, s3
	s_mov_b32 s3, exec_lo
	s_delay_alu instid0(VALU_DEP_1)
	v_cmpx_ngt_f64_e32 v[116:117], v[118:119]
	s_xor_b32 s3, exec_lo, s3
                                        ; implicit-def: $vgpr116_vgpr117_vgpr118_vgpr119
	s_cbranch_execz .LBB31_113
; %bb.112:
	v_div_scale_f64 v[116:117], null, v[114:115], v[114:115], v[112:113]
	v_div_scale_f64 v[122:123], vcc_lo, v[112:113], v[114:115], v[112:113]
	s_delay_alu instid0(VALU_DEP_2) | instskip(SKIP_2) | instid1(VALU_DEP_1)
	v_rcp_f64_e32 v[118:119], v[116:117]
	s_waitcnt_depctr 0xfff
	v_fma_f64 v[120:121], -v[116:117], v[118:119], 1.0
	v_fma_f64 v[118:119], v[118:119], v[120:121], v[118:119]
	s_delay_alu instid0(VALU_DEP_1) | instskip(NEXT) | instid1(VALU_DEP_1)
	v_fma_f64 v[120:121], -v[116:117], v[118:119], 1.0
	v_fma_f64 v[118:119], v[118:119], v[120:121], v[118:119]
	s_delay_alu instid0(VALU_DEP_1) | instskip(NEXT) | instid1(VALU_DEP_1)
	v_mul_f64 v[120:121], v[122:123], v[118:119]
	v_fma_f64 v[116:117], -v[116:117], v[120:121], v[122:123]
	s_delay_alu instid0(VALU_DEP_1) | instskip(NEXT) | instid1(VALU_DEP_1)
	v_div_fmas_f64 v[116:117], v[116:117], v[118:119], v[120:121]
	v_div_fixup_f64 v[116:117], v[116:117], v[114:115], v[112:113]
	s_delay_alu instid0(VALU_DEP_1) | instskip(NEXT) | instid1(VALU_DEP_1)
	v_fma_f64 v[112:113], v[112:113], v[116:117], v[114:115]
	v_div_scale_f64 v[114:115], null, v[112:113], v[112:113], 1.0
	s_delay_alu instid0(VALU_DEP_1) | instskip(SKIP_2) | instid1(VALU_DEP_1)
	v_rcp_f64_e32 v[118:119], v[114:115]
	s_waitcnt_depctr 0xfff
	v_fma_f64 v[120:121], -v[114:115], v[118:119], 1.0
	v_fma_f64 v[118:119], v[118:119], v[120:121], v[118:119]
	s_delay_alu instid0(VALU_DEP_1) | instskip(NEXT) | instid1(VALU_DEP_1)
	v_fma_f64 v[120:121], -v[114:115], v[118:119], 1.0
	v_fma_f64 v[118:119], v[118:119], v[120:121], v[118:119]
	v_div_scale_f64 v[120:121], vcc_lo, 1.0, v[112:113], 1.0
	s_delay_alu instid0(VALU_DEP_1) | instskip(NEXT) | instid1(VALU_DEP_1)
	v_mul_f64 v[122:123], v[120:121], v[118:119]
	v_fma_f64 v[114:115], -v[114:115], v[122:123], v[120:121]
	s_delay_alu instid0(VALU_DEP_1) | instskip(NEXT) | instid1(VALU_DEP_1)
	v_div_fmas_f64 v[114:115], v[114:115], v[118:119], v[122:123]
	v_div_fixup_f64 v[118:119], v[114:115], v[112:113], 1.0
                                        ; implicit-def: $vgpr112_vgpr113
	s_delay_alu instid0(VALU_DEP_1)
	v_mul_f64 v[120:121], v[116:117], v[118:119]
	v_xor_b32_e32 v119, 0x80000000, v119
.LBB31_113:
	s_and_not1_saveexec_b32 s3, s3
	s_cbranch_execz .LBB31_115
; %bb.114:
	v_div_scale_f64 v[116:117], null, v[112:113], v[112:113], v[114:115]
	v_div_scale_f64 v[122:123], vcc_lo, v[114:115], v[112:113], v[114:115]
	s_delay_alu instid0(VALU_DEP_2) | instskip(SKIP_2) | instid1(VALU_DEP_1)
	v_rcp_f64_e32 v[118:119], v[116:117]
	s_waitcnt_depctr 0xfff
	v_fma_f64 v[120:121], -v[116:117], v[118:119], 1.0
	v_fma_f64 v[118:119], v[118:119], v[120:121], v[118:119]
	s_delay_alu instid0(VALU_DEP_1) | instskip(NEXT) | instid1(VALU_DEP_1)
	v_fma_f64 v[120:121], -v[116:117], v[118:119], 1.0
	v_fma_f64 v[118:119], v[118:119], v[120:121], v[118:119]
	s_delay_alu instid0(VALU_DEP_1) | instskip(NEXT) | instid1(VALU_DEP_1)
	v_mul_f64 v[120:121], v[122:123], v[118:119]
	v_fma_f64 v[116:117], -v[116:117], v[120:121], v[122:123]
	s_delay_alu instid0(VALU_DEP_1) | instskip(NEXT) | instid1(VALU_DEP_1)
	v_div_fmas_f64 v[116:117], v[116:117], v[118:119], v[120:121]
	v_div_fixup_f64 v[116:117], v[116:117], v[112:113], v[114:115]
	s_delay_alu instid0(VALU_DEP_1) | instskip(NEXT) | instid1(VALU_DEP_1)
	v_fma_f64 v[112:113], v[114:115], v[116:117], v[112:113]
	v_div_scale_f64 v[114:115], null, v[112:113], v[112:113], 1.0
	s_delay_alu instid0(VALU_DEP_1) | instskip(SKIP_2) | instid1(VALU_DEP_1)
	v_rcp_f64_e32 v[118:119], v[114:115]
	s_waitcnt_depctr 0xfff
	v_fma_f64 v[120:121], -v[114:115], v[118:119], 1.0
	v_fma_f64 v[118:119], v[118:119], v[120:121], v[118:119]
	s_delay_alu instid0(VALU_DEP_1) | instskip(NEXT) | instid1(VALU_DEP_1)
	v_fma_f64 v[120:121], -v[114:115], v[118:119], 1.0
	v_fma_f64 v[118:119], v[118:119], v[120:121], v[118:119]
	v_div_scale_f64 v[120:121], vcc_lo, 1.0, v[112:113], 1.0
	s_delay_alu instid0(VALU_DEP_1) | instskip(NEXT) | instid1(VALU_DEP_1)
	v_mul_f64 v[122:123], v[120:121], v[118:119]
	v_fma_f64 v[114:115], -v[114:115], v[122:123], v[120:121]
	s_delay_alu instid0(VALU_DEP_1) | instskip(NEXT) | instid1(VALU_DEP_1)
	v_div_fmas_f64 v[114:115], v[114:115], v[118:119], v[122:123]
	v_div_fixup_f64 v[120:121], v[114:115], v[112:113], 1.0
	s_delay_alu instid0(VALU_DEP_1)
	v_mul_f64 v[118:119], v[116:117], -v[120:121]
.LBB31_115:
	s_or_b32 exec_lo, exec_lo, s3
	ds_store_2addr_b64 v165, v[120:121], v[118:119] offset1:1
.LBB31_116:
	s_or_b32 exec_lo, exec_lo, s4
	s_waitcnt lgkmcnt(0)
	s_barrier
	buffer_gl0_inv
	ds_load_2addr_b64 v[112:115], v165 offset1:1
	s_mov_b32 s3, exec_lo
	v_cmpx_lt_u32_e32 12, v164
	s_cbranch_execz .LBB31_118
; %bb.117:
	s_waitcnt lgkmcnt(0)
	v_mul_f64 v[116:117], v[112:113], v[14:15]
	v_mul_f64 v[14:15], v[114:115], v[14:15]
	s_delay_alu instid0(VALU_DEP_2)
	v_fma_f64 v[162:163], v[114:115], v[12:13], v[116:117]
	ds_load_2addr_b64 v[116:119], v166 offset0:26 offset1:27
	ds_load_2addr_b64 v[120:123], v166 offset0:28 offset1:29
	;; [unrolled: 1-line block ×3, first 2 shown]
	v_fma_f64 v[12:13], v[112:113], v[12:13], -v[14:15]
	s_waitcnt lgkmcnt(2)
	v_mul_f64 v[14:15], v[118:119], v[162:163]
	v_mul_f64 v[167:168], v[116:117], v[162:163]
	s_waitcnt lgkmcnt(1)
	v_mul_f64 v[169:170], v[122:123], v[162:163]
	v_mul_f64 v[171:172], v[120:121], v[162:163]
	;; [unrolled: 3-line block ×3, first 2 shown]
	v_fma_f64 v[14:15], v[116:117], v[12:13], -v[14:15]
	v_fma_f64 v[116:117], v[118:119], v[12:13], v[167:168]
	v_fma_f64 v[118:119], v[120:121], v[12:13], -v[169:170]
	v_fma_f64 v[120:121], v[122:123], v[12:13], v[171:172]
	;; [unrolled: 2-line block ×3, first 2 shown]
	v_add_f64 v[8:9], v[8:9], -v[14:15]
	v_add_f64 v[10:11], v[10:11], -v[116:117]
	;; [unrolled: 1-line block ×6, first 2 shown]
	v_dual_mov_b32 v14, v162 :: v_dual_mov_b32 v15, v163
.LBB31_118:
	s_or_b32 exec_lo, exec_lo, s3
	s_delay_alu instid0(SALU_CYCLE_1)
	s_mov_b32 s4, exec_lo
	s_waitcnt lgkmcnt(0)
	s_barrier
	buffer_gl0_inv
	v_cmpx_eq_u32_e32 13, v164
	s_cbranch_execz .LBB31_125
; %bb.119:
	ds_store_2addr_b64 v165, v[8:9], v[10:11] offset1:1
	ds_store_2addr_b64 v166, v[4:5], v[6:7] offset0:28 offset1:29
	ds_store_2addr_b64 v166, v[0:1], v[2:3] offset0:30 offset1:31
	ds_load_2addr_b64 v[116:119], v165 offset1:1
	s_waitcnt lgkmcnt(0)
	v_cmp_neq_f64_e32 vcc_lo, 0, v[116:117]
	v_cmp_neq_f64_e64 s3, 0, v[118:119]
	s_delay_alu instid0(VALU_DEP_1) | instskip(NEXT) | instid1(SALU_CYCLE_1)
	s_or_b32 s3, vcc_lo, s3
	s_and_b32 exec_lo, exec_lo, s3
	s_cbranch_execz .LBB31_125
; %bb.120:
	v_cmp_gt_f64_e32 vcc_lo, 0, v[116:117]
	v_cmp_gt_f64_e64 s3, 0, v[118:119]
	v_xor_b32_e32 v120, 0x80000000, v117
	v_xor_b32_e32 v122, 0x80000000, v119
                                        ; implicit-def: $vgpr124_vgpr125
	s_delay_alu instid0(VALU_DEP_2) | instskip(NEXT) | instid1(VALU_DEP_2)
	v_cndmask_b32_e32 v121, v117, v120, vcc_lo
	v_cndmask_b32_e64 v123, v119, v122, s3
	v_cndmask_b32_e32 v120, v116, v116, vcc_lo
	v_cndmask_b32_e64 v122, v118, v118, s3
	s_mov_b32 s3, exec_lo
	s_delay_alu instid0(VALU_DEP_1)
	v_cmpx_ngt_f64_e32 v[120:121], v[122:123]
	s_xor_b32 s3, exec_lo, s3
                                        ; implicit-def: $vgpr120_vgpr121_vgpr122_vgpr123
	s_cbranch_execz .LBB31_122
; %bb.121:
	v_div_scale_f64 v[120:121], null, v[118:119], v[118:119], v[116:117]
	v_div_scale_f64 v[126:127], vcc_lo, v[116:117], v[118:119], v[116:117]
	s_delay_alu instid0(VALU_DEP_2) | instskip(SKIP_2) | instid1(VALU_DEP_1)
	v_rcp_f64_e32 v[122:123], v[120:121]
	s_waitcnt_depctr 0xfff
	v_fma_f64 v[124:125], -v[120:121], v[122:123], 1.0
	v_fma_f64 v[122:123], v[122:123], v[124:125], v[122:123]
	s_delay_alu instid0(VALU_DEP_1) | instskip(NEXT) | instid1(VALU_DEP_1)
	v_fma_f64 v[124:125], -v[120:121], v[122:123], 1.0
	v_fma_f64 v[122:123], v[122:123], v[124:125], v[122:123]
	s_delay_alu instid0(VALU_DEP_1) | instskip(NEXT) | instid1(VALU_DEP_1)
	v_mul_f64 v[124:125], v[126:127], v[122:123]
	v_fma_f64 v[120:121], -v[120:121], v[124:125], v[126:127]
	s_delay_alu instid0(VALU_DEP_1) | instskip(NEXT) | instid1(VALU_DEP_1)
	v_div_fmas_f64 v[120:121], v[120:121], v[122:123], v[124:125]
	v_div_fixup_f64 v[120:121], v[120:121], v[118:119], v[116:117]
	s_delay_alu instid0(VALU_DEP_1) | instskip(NEXT) | instid1(VALU_DEP_1)
	v_fma_f64 v[116:117], v[116:117], v[120:121], v[118:119]
	v_div_scale_f64 v[118:119], null, v[116:117], v[116:117], 1.0
	s_delay_alu instid0(VALU_DEP_1) | instskip(SKIP_2) | instid1(VALU_DEP_1)
	v_rcp_f64_e32 v[122:123], v[118:119]
	s_waitcnt_depctr 0xfff
	v_fma_f64 v[124:125], -v[118:119], v[122:123], 1.0
	v_fma_f64 v[122:123], v[122:123], v[124:125], v[122:123]
	s_delay_alu instid0(VALU_DEP_1) | instskip(NEXT) | instid1(VALU_DEP_1)
	v_fma_f64 v[124:125], -v[118:119], v[122:123], 1.0
	v_fma_f64 v[122:123], v[122:123], v[124:125], v[122:123]
	v_div_scale_f64 v[124:125], vcc_lo, 1.0, v[116:117], 1.0
	s_delay_alu instid0(VALU_DEP_1) | instskip(NEXT) | instid1(VALU_DEP_1)
	v_mul_f64 v[126:127], v[124:125], v[122:123]
	v_fma_f64 v[118:119], -v[118:119], v[126:127], v[124:125]
	s_delay_alu instid0(VALU_DEP_1) | instskip(NEXT) | instid1(VALU_DEP_1)
	v_div_fmas_f64 v[118:119], v[118:119], v[122:123], v[126:127]
	v_div_fixup_f64 v[122:123], v[118:119], v[116:117], 1.0
                                        ; implicit-def: $vgpr116_vgpr117
	s_delay_alu instid0(VALU_DEP_1)
	v_mul_f64 v[124:125], v[120:121], v[122:123]
	v_xor_b32_e32 v123, 0x80000000, v123
.LBB31_122:
	s_and_not1_saveexec_b32 s3, s3
	s_cbranch_execz .LBB31_124
; %bb.123:
	v_div_scale_f64 v[120:121], null, v[116:117], v[116:117], v[118:119]
	v_div_scale_f64 v[126:127], vcc_lo, v[118:119], v[116:117], v[118:119]
	s_delay_alu instid0(VALU_DEP_2) | instskip(SKIP_2) | instid1(VALU_DEP_1)
	v_rcp_f64_e32 v[122:123], v[120:121]
	s_waitcnt_depctr 0xfff
	v_fma_f64 v[124:125], -v[120:121], v[122:123], 1.0
	v_fma_f64 v[122:123], v[122:123], v[124:125], v[122:123]
	s_delay_alu instid0(VALU_DEP_1) | instskip(NEXT) | instid1(VALU_DEP_1)
	v_fma_f64 v[124:125], -v[120:121], v[122:123], 1.0
	v_fma_f64 v[122:123], v[122:123], v[124:125], v[122:123]
	s_delay_alu instid0(VALU_DEP_1) | instskip(NEXT) | instid1(VALU_DEP_1)
	v_mul_f64 v[124:125], v[126:127], v[122:123]
	v_fma_f64 v[120:121], -v[120:121], v[124:125], v[126:127]
	s_delay_alu instid0(VALU_DEP_1) | instskip(NEXT) | instid1(VALU_DEP_1)
	v_div_fmas_f64 v[120:121], v[120:121], v[122:123], v[124:125]
	v_div_fixup_f64 v[120:121], v[120:121], v[116:117], v[118:119]
	s_delay_alu instid0(VALU_DEP_1) | instskip(NEXT) | instid1(VALU_DEP_1)
	v_fma_f64 v[116:117], v[118:119], v[120:121], v[116:117]
	v_div_scale_f64 v[118:119], null, v[116:117], v[116:117], 1.0
	s_delay_alu instid0(VALU_DEP_1) | instskip(SKIP_2) | instid1(VALU_DEP_1)
	v_rcp_f64_e32 v[122:123], v[118:119]
	s_waitcnt_depctr 0xfff
	v_fma_f64 v[124:125], -v[118:119], v[122:123], 1.0
	v_fma_f64 v[122:123], v[122:123], v[124:125], v[122:123]
	s_delay_alu instid0(VALU_DEP_1) | instskip(NEXT) | instid1(VALU_DEP_1)
	v_fma_f64 v[124:125], -v[118:119], v[122:123], 1.0
	v_fma_f64 v[122:123], v[122:123], v[124:125], v[122:123]
	v_div_scale_f64 v[124:125], vcc_lo, 1.0, v[116:117], 1.0
	s_delay_alu instid0(VALU_DEP_1) | instskip(NEXT) | instid1(VALU_DEP_1)
	v_mul_f64 v[126:127], v[124:125], v[122:123]
	v_fma_f64 v[118:119], -v[118:119], v[126:127], v[124:125]
	s_delay_alu instid0(VALU_DEP_1) | instskip(NEXT) | instid1(VALU_DEP_1)
	v_div_fmas_f64 v[118:119], v[118:119], v[122:123], v[126:127]
	v_div_fixup_f64 v[124:125], v[118:119], v[116:117], 1.0
	s_delay_alu instid0(VALU_DEP_1)
	v_mul_f64 v[122:123], v[120:121], -v[124:125]
.LBB31_124:
	s_or_b32 exec_lo, exec_lo, s3
	ds_store_2addr_b64 v165, v[124:125], v[122:123] offset1:1
.LBB31_125:
	s_or_b32 exec_lo, exec_lo, s4
	s_waitcnt lgkmcnt(0)
	s_barrier
	buffer_gl0_inv
	ds_load_2addr_b64 v[116:119], v165 offset1:1
	s_mov_b32 s3, exec_lo
	v_cmpx_lt_u32_e32 13, v164
	s_cbranch_execz .LBB31_127
; %bb.126:
	s_waitcnt lgkmcnt(0)
	v_mul_f64 v[120:121], v[116:117], v[10:11]
	v_mul_f64 v[10:11], v[118:119], v[10:11]
	s_delay_alu instid0(VALU_DEP_2)
	v_fma_f64 v[162:163], v[118:119], v[8:9], v[120:121]
	ds_load_2addr_b64 v[120:123], v166 offset0:28 offset1:29
	ds_load_2addr_b64 v[124:127], v166 offset0:30 offset1:31
	v_fma_f64 v[8:9], v[116:117], v[8:9], -v[10:11]
	s_waitcnt lgkmcnt(1)
	v_mul_f64 v[10:11], v[122:123], v[162:163]
	v_mul_f64 v[167:168], v[120:121], v[162:163]
	s_waitcnt lgkmcnt(0)
	v_mul_f64 v[169:170], v[126:127], v[162:163]
	v_mul_f64 v[171:172], v[124:125], v[162:163]
	s_delay_alu instid0(VALU_DEP_4) | instskip(NEXT) | instid1(VALU_DEP_4)
	v_fma_f64 v[10:11], v[120:121], v[8:9], -v[10:11]
	v_fma_f64 v[120:121], v[122:123], v[8:9], v[167:168]
	s_delay_alu instid0(VALU_DEP_4) | instskip(NEXT) | instid1(VALU_DEP_4)
	v_fma_f64 v[122:123], v[124:125], v[8:9], -v[169:170]
	v_fma_f64 v[124:125], v[126:127], v[8:9], v[171:172]
	s_delay_alu instid0(VALU_DEP_4) | instskip(NEXT) | instid1(VALU_DEP_4)
	v_add_f64 v[4:5], v[4:5], -v[10:11]
	v_add_f64 v[6:7], v[6:7], -v[120:121]
	s_delay_alu instid0(VALU_DEP_4) | instskip(NEXT) | instid1(VALU_DEP_4)
	v_add_f64 v[0:1], v[0:1], -v[122:123]
	v_add_f64 v[2:3], v[2:3], -v[124:125]
	v_dual_mov_b32 v10, v162 :: v_dual_mov_b32 v11, v163
.LBB31_127:
	s_or_b32 exec_lo, exec_lo, s3
	s_delay_alu instid0(SALU_CYCLE_1)
	s_mov_b32 s4, exec_lo
	s_waitcnt lgkmcnt(0)
	s_barrier
	buffer_gl0_inv
	v_cmpx_eq_u32_e32 14, v164
	s_cbranch_execz .LBB31_134
; %bb.128:
	ds_store_2addr_b64 v165, v[4:5], v[6:7] offset1:1
	ds_store_2addr_b64 v166, v[0:1], v[2:3] offset0:30 offset1:31
	ds_load_2addr_b64 v[120:123], v165 offset1:1
	s_waitcnt lgkmcnt(0)
	v_cmp_neq_f64_e32 vcc_lo, 0, v[120:121]
	v_cmp_neq_f64_e64 s3, 0, v[122:123]
	s_delay_alu instid0(VALU_DEP_1) | instskip(NEXT) | instid1(SALU_CYCLE_1)
	s_or_b32 s3, vcc_lo, s3
	s_and_b32 exec_lo, exec_lo, s3
	s_cbranch_execz .LBB31_134
; %bb.129:
	v_cmp_gt_f64_e32 vcc_lo, 0, v[120:121]
	v_cmp_gt_f64_e64 s3, 0, v[122:123]
	v_xor_b32_e32 v124, 0x80000000, v121
	v_xor_b32_e32 v126, 0x80000000, v123
                                        ; implicit-def: $vgpr162_vgpr163
	s_delay_alu instid0(VALU_DEP_2) | instskip(NEXT) | instid1(VALU_DEP_2)
	v_cndmask_b32_e32 v125, v121, v124, vcc_lo
	v_cndmask_b32_e64 v127, v123, v126, s3
	v_cndmask_b32_e32 v124, v120, v120, vcc_lo
	v_cndmask_b32_e64 v126, v122, v122, s3
	s_mov_b32 s3, exec_lo
	s_delay_alu instid0(VALU_DEP_1)
	v_cmpx_ngt_f64_e32 v[124:125], v[126:127]
	s_xor_b32 s3, exec_lo, s3
                                        ; implicit-def: $vgpr124_vgpr125_vgpr126_vgpr127
	s_cbranch_execz .LBB31_131
; %bb.130:
	v_div_scale_f64 v[124:125], null, v[122:123], v[122:123], v[120:121]
	v_div_scale_f64 v[167:168], vcc_lo, v[120:121], v[122:123], v[120:121]
	s_delay_alu instid0(VALU_DEP_2) | instskip(SKIP_2) | instid1(VALU_DEP_1)
	v_rcp_f64_e32 v[126:127], v[124:125]
	s_waitcnt_depctr 0xfff
	v_fma_f64 v[162:163], -v[124:125], v[126:127], 1.0
	v_fma_f64 v[126:127], v[126:127], v[162:163], v[126:127]
	s_delay_alu instid0(VALU_DEP_1) | instskip(NEXT) | instid1(VALU_DEP_1)
	v_fma_f64 v[162:163], -v[124:125], v[126:127], 1.0
	v_fma_f64 v[126:127], v[126:127], v[162:163], v[126:127]
	s_delay_alu instid0(VALU_DEP_1) | instskip(NEXT) | instid1(VALU_DEP_1)
	v_mul_f64 v[162:163], v[167:168], v[126:127]
	v_fma_f64 v[124:125], -v[124:125], v[162:163], v[167:168]
	s_delay_alu instid0(VALU_DEP_1) | instskip(NEXT) | instid1(VALU_DEP_1)
	v_div_fmas_f64 v[124:125], v[124:125], v[126:127], v[162:163]
	v_div_fixup_f64 v[124:125], v[124:125], v[122:123], v[120:121]
	s_delay_alu instid0(VALU_DEP_1) | instskip(NEXT) | instid1(VALU_DEP_1)
	v_fma_f64 v[120:121], v[120:121], v[124:125], v[122:123]
	v_div_scale_f64 v[122:123], null, v[120:121], v[120:121], 1.0
	s_delay_alu instid0(VALU_DEP_1) | instskip(SKIP_2) | instid1(VALU_DEP_1)
	v_rcp_f64_e32 v[126:127], v[122:123]
	s_waitcnt_depctr 0xfff
	v_fma_f64 v[162:163], -v[122:123], v[126:127], 1.0
	v_fma_f64 v[126:127], v[126:127], v[162:163], v[126:127]
	s_delay_alu instid0(VALU_DEP_1) | instskip(NEXT) | instid1(VALU_DEP_1)
	v_fma_f64 v[162:163], -v[122:123], v[126:127], 1.0
	v_fma_f64 v[126:127], v[126:127], v[162:163], v[126:127]
	v_div_scale_f64 v[162:163], vcc_lo, 1.0, v[120:121], 1.0
	s_delay_alu instid0(VALU_DEP_1) | instskip(NEXT) | instid1(VALU_DEP_1)
	v_mul_f64 v[167:168], v[162:163], v[126:127]
	v_fma_f64 v[122:123], -v[122:123], v[167:168], v[162:163]
	s_delay_alu instid0(VALU_DEP_1) | instskip(NEXT) | instid1(VALU_DEP_1)
	v_div_fmas_f64 v[122:123], v[122:123], v[126:127], v[167:168]
	v_div_fixup_f64 v[126:127], v[122:123], v[120:121], 1.0
                                        ; implicit-def: $vgpr120_vgpr121
	s_delay_alu instid0(VALU_DEP_1)
	v_mul_f64 v[162:163], v[124:125], v[126:127]
	v_xor_b32_e32 v127, 0x80000000, v127
.LBB31_131:
	s_and_not1_saveexec_b32 s3, s3
	s_cbranch_execz .LBB31_133
; %bb.132:
	v_div_scale_f64 v[124:125], null, v[120:121], v[120:121], v[122:123]
	v_div_scale_f64 v[167:168], vcc_lo, v[122:123], v[120:121], v[122:123]
	s_delay_alu instid0(VALU_DEP_2) | instskip(SKIP_2) | instid1(VALU_DEP_1)
	v_rcp_f64_e32 v[126:127], v[124:125]
	s_waitcnt_depctr 0xfff
	v_fma_f64 v[162:163], -v[124:125], v[126:127], 1.0
	v_fma_f64 v[126:127], v[126:127], v[162:163], v[126:127]
	s_delay_alu instid0(VALU_DEP_1) | instskip(NEXT) | instid1(VALU_DEP_1)
	v_fma_f64 v[162:163], -v[124:125], v[126:127], 1.0
	v_fma_f64 v[126:127], v[126:127], v[162:163], v[126:127]
	s_delay_alu instid0(VALU_DEP_1) | instskip(NEXT) | instid1(VALU_DEP_1)
	v_mul_f64 v[162:163], v[167:168], v[126:127]
	v_fma_f64 v[124:125], -v[124:125], v[162:163], v[167:168]
	s_delay_alu instid0(VALU_DEP_1) | instskip(NEXT) | instid1(VALU_DEP_1)
	v_div_fmas_f64 v[124:125], v[124:125], v[126:127], v[162:163]
	v_div_fixup_f64 v[124:125], v[124:125], v[120:121], v[122:123]
	s_delay_alu instid0(VALU_DEP_1) | instskip(NEXT) | instid1(VALU_DEP_1)
	v_fma_f64 v[120:121], v[122:123], v[124:125], v[120:121]
	v_div_scale_f64 v[122:123], null, v[120:121], v[120:121], 1.0
	s_delay_alu instid0(VALU_DEP_1) | instskip(SKIP_2) | instid1(VALU_DEP_1)
	v_rcp_f64_e32 v[126:127], v[122:123]
	s_waitcnt_depctr 0xfff
	v_fma_f64 v[162:163], -v[122:123], v[126:127], 1.0
	v_fma_f64 v[126:127], v[126:127], v[162:163], v[126:127]
	s_delay_alu instid0(VALU_DEP_1) | instskip(NEXT) | instid1(VALU_DEP_1)
	v_fma_f64 v[162:163], -v[122:123], v[126:127], 1.0
	v_fma_f64 v[126:127], v[126:127], v[162:163], v[126:127]
	v_div_scale_f64 v[162:163], vcc_lo, 1.0, v[120:121], 1.0
	s_delay_alu instid0(VALU_DEP_1) | instskip(NEXT) | instid1(VALU_DEP_1)
	v_mul_f64 v[167:168], v[162:163], v[126:127]
	v_fma_f64 v[122:123], -v[122:123], v[167:168], v[162:163]
	s_delay_alu instid0(VALU_DEP_1) | instskip(NEXT) | instid1(VALU_DEP_1)
	v_div_fmas_f64 v[122:123], v[122:123], v[126:127], v[167:168]
	v_div_fixup_f64 v[162:163], v[122:123], v[120:121], 1.0
	s_delay_alu instid0(VALU_DEP_1)
	v_mul_f64 v[126:127], v[124:125], -v[162:163]
.LBB31_133:
	s_or_b32 exec_lo, exec_lo, s3
	ds_store_2addr_b64 v165, v[162:163], v[126:127] offset1:1
.LBB31_134:
	s_or_b32 exec_lo, exec_lo, s4
	s_waitcnt lgkmcnt(0)
	s_barrier
	buffer_gl0_inv
	ds_load_2addr_b64 v[120:123], v165 offset1:1
	s_mov_b32 s3, exec_lo
	v_cmpx_lt_u32_e32 14, v164
	s_cbranch_execz .LBB31_136
; %bb.135:
	s_waitcnt lgkmcnt(0)
	v_mul_f64 v[124:125], v[120:121], v[6:7]
	v_mul_f64 v[6:7], v[122:123], v[6:7]
	s_delay_alu instid0(VALU_DEP_2)
	v_fma_f64 v[162:163], v[122:123], v[4:5], v[124:125]
	ds_load_2addr_b64 v[124:127], v166 offset0:30 offset1:31
	v_fma_f64 v[4:5], v[120:121], v[4:5], -v[6:7]
	s_waitcnt lgkmcnt(0)
	v_mul_f64 v[6:7], v[126:127], v[162:163]
	v_mul_f64 v[166:167], v[124:125], v[162:163]
	s_delay_alu instid0(VALU_DEP_2) | instskip(NEXT) | instid1(VALU_DEP_2)
	v_fma_f64 v[6:7], v[124:125], v[4:5], -v[6:7]
	v_fma_f64 v[124:125], v[126:127], v[4:5], v[166:167]
	s_delay_alu instid0(VALU_DEP_2) | instskip(NEXT) | instid1(VALU_DEP_2)
	v_add_f64 v[0:1], v[0:1], -v[6:7]
	v_add_f64 v[2:3], v[2:3], -v[124:125]
	v_dual_mov_b32 v6, v162 :: v_dual_mov_b32 v7, v163
.LBB31_136:
	s_or_b32 exec_lo, exec_lo, s3
	s_delay_alu instid0(SALU_CYCLE_1)
	s_mov_b32 s4, exec_lo
	s_waitcnt lgkmcnt(0)
	s_barrier
	buffer_gl0_inv
	v_cmpx_eq_u32_e32 15, v164
	s_cbranch_execz .LBB31_143
; %bb.137:
	v_cmp_neq_f64_e32 vcc_lo, 0, v[0:1]
	v_cmp_neq_f64_e64 s3, 0, v[2:3]
	ds_store_2addr_b64 v165, v[0:1], v[2:3] offset1:1
	s_or_b32 s3, vcc_lo, s3
	s_delay_alu instid0(SALU_CYCLE_1)
	s_and_b32 exec_lo, exec_lo, s3
	s_cbranch_execz .LBB31_143
; %bb.138:
	v_cmp_gt_f64_e32 vcc_lo, 0, v[0:1]
	v_cmp_gt_f64_e64 s3, 0, v[2:3]
	v_xor_b32_e32 v124, 0x80000000, v1
	v_xor_b32_e32 v126, 0x80000000, v3
                                        ; implicit-def: $vgpr162_vgpr163
	s_delay_alu instid0(VALU_DEP_2) | instskip(NEXT) | instid1(VALU_DEP_2)
	v_cndmask_b32_e32 v125, v1, v124, vcc_lo
	v_cndmask_b32_e64 v127, v3, v126, s3
	v_cndmask_b32_e32 v124, v0, v0, vcc_lo
	v_cndmask_b32_e64 v126, v2, v2, s3
	s_mov_b32 s3, exec_lo
	s_delay_alu instid0(VALU_DEP_1)
	v_cmpx_ngt_f64_e32 v[124:125], v[126:127]
	s_xor_b32 s3, exec_lo, s3
                                        ; implicit-def: $vgpr124_vgpr125_vgpr126_vgpr127
	s_cbranch_execz .LBB31_140
; %bb.139:
	v_div_scale_f64 v[124:125], null, v[2:3], v[2:3], v[0:1]
	v_div_scale_f64 v[166:167], vcc_lo, v[0:1], v[2:3], v[0:1]
	s_delay_alu instid0(VALU_DEP_2) | instskip(SKIP_2) | instid1(VALU_DEP_1)
	v_rcp_f64_e32 v[126:127], v[124:125]
	s_waitcnt_depctr 0xfff
	v_fma_f64 v[162:163], -v[124:125], v[126:127], 1.0
	v_fma_f64 v[126:127], v[126:127], v[162:163], v[126:127]
	s_delay_alu instid0(VALU_DEP_1) | instskip(NEXT) | instid1(VALU_DEP_1)
	v_fma_f64 v[162:163], -v[124:125], v[126:127], 1.0
	v_fma_f64 v[126:127], v[126:127], v[162:163], v[126:127]
	s_delay_alu instid0(VALU_DEP_1) | instskip(NEXT) | instid1(VALU_DEP_1)
	v_mul_f64 v[162:163], v[166:167], v[126:127]
	v_fma_f64 v[124:125], -v[124:125], v[162:163], v[166:167]
	s_delay_alu instid0(VALU_DEP_1) | instskip(NEXT) | instid1(VALU_DEP_1)
	v_div_fmas_f64 v[124:125], v[124:125], v[126:127], v[162:163]
	v_div_fixup_f64 v[124:125], v[124:125], v[2:3], v[0:1]
	s_delay_alu instid0(VALU_DEP_1) | instskip(NEXT) | instid1(VALU_DEP_1)
	v_fma_f64 v[126:127], v[0:1], v[124:125], v[2:3]
	v_div_scale_f64 v[162:163], null, v[126:127], v[126:127], 1.0
	s_delay_alu instid0(VALU_DEP_1) | instskip(SKIP_2) | instid1(VALU_DEP_1)
	v_rcp_f64_e32 v[166:167], v[162:163]
	s_waitcnt_depctr 0xfff
	v_fma_f64 v[168:169], -v[162:163], v[166:167], 1.0
	v_fma_f64 v[166:167], v[166:167], v[168:169], v[166:167]
	s_delay_alu instid0(VALU_DEP_1) | instskip(NEXT) | instid1(VALU_DEP_1)
	v_fma_f64 v[168:169], -v[162:163], v[166:167], 1.0
	v_fma_f64 v[166:167], v[166:167], v[168:169], v[166:167]
	v_div_scale_f64 v[168:169], vcc_lo, 1.0, v[126:127], 1.0
	s_delay_alu instid0(VALU_DEP_1) | instskip(NEXT) | instid1(VALU_DEP_1)
	v_mul_f64 v[170:171], v[168:169], v[166:167]
	v_fma_f64 v[162:163], -v[162:163], v[170:171], v[168:169]
	s_delay_alu instid0(VALU_DEP_1) | instskip(NEXT) | instid1(VALU_DEP_1)
	v_div_fmas_f64 v[162:163], v[162:163], v[166:167], v[170:171]
	v_div_fixup_f64 v[126:127], v[162:163], v[126:127], 1.0
	s_delay_alu instid0(VALU_DEP_1)
	v_mul_f64 v[162:163], v[124:125], v[126:127]
	v_xor_b32_e32 v127, 0x80000000, v127
.LBB31_140:
	s_and_not1_saveexec_b32 s3, s3
	s_cbranch_execz .LBB31_142
; %bb.141:
	v_div_scale_f64 v[124:125], null, v[0:1], v[0:1], v[2:3]
	v_div_scale_f64 v[166:167], vcc_lo, v[2:3], v[0:1], v[2:3]
	s_delay_alu instid0(VALU_DEP_2) | instskip(SKIP_2) | instid1(VALU_DEP_1)
	v_rcp_f64_e32 v[126:127], v[124:125]
	s_waitcnt_depctr 0xfff
	v_fma_f64 v[162:163], -v[124:125], v[126:127], 1.0
	v_fma_f64 v[126:127], v[126:127], v[162:163], v[126:127]
	s_delay_alu instid0(VALU_DEP_1) | instskip(NEXT) | instid1(VALU_DEP_1)
	v_fma_f64 v[162:163], -v[124:125], v[126:127], 1.0
	v_fma_f64 v[126:127], v[126:127], v[162:163], v[126:127]
	s_delay_alu instid0(VALU_DEP_1) | instskip(NEXT) | instid1(VALU_DEP_1)
	v_mul_f64 v[162:163], v[166:167], v[126:127]
	v_fma_f64 v[124:125], -v[124:125], v[162:163], v[166:167]
	s_delay_alu instid0(VALU_DEP_1) | instskip(NEXT) | instid1(VALU_DEP_1)
	v_div_fmas_f64 v[124:125], v[124:125], v[126:127], v[162:163]
	v_div_fixup_f64 v[124:125], v[124:125], v[0:1], v[2:3]
	s_delay_alu instid0(VALU_DEP_1) | instskip(NEXT) | instid1(VALU_DEP_1)
	v_fma_f64 v[126:127], v[2:3], v[124:125], v[0:1]
	v_div_scale_f64 v[162:163], null, v[126:127], v[126:127], 1.0
	s_delay_alu instid0(VALU_DEP_1) | instskip(SKIP_2) | instid1(VALU_DEP_1)
	v_rcp_f64_e32 v[166:167], v[162:163]
	s_waitcnt_depctr 0xfff
	v_fma_f64 v[168:169], -v[162:163], v[166:167], 1.0
	v_fma_f64 v[166:167], v[166:167], v[168:169], v[166:167]
	s_delay_alu instid0(VALU_DEP_1) | instskip(NEXT) | instid1(VALU_DEP_1)
	v_fma_f64 v[168:169], -v[162:163], v[166:167], 1.0
	v_fma_f64 v[166:167], v[166:167], v[168:169], v[166:167]
	v_div_scale_f64 v[168:169], vcc_lo, 1.0, v[126:127], 1.0
	s_delay_alu instid0(VALU_DEP_1) | instskip(NEXT) | instid1(VALU_DEP_1)
	v_mul_f64 v[170:171], v[168:169], v[166:167]
	v_fma_f64 v[162:163], -v[162:163], v[170:171], v[168:169]
	s_delay_alu instid0(VALU_DEP_1) | instskip(NEXT) | instid1(VALU_DEP_1)
	v_div_fmas_f64 v[162:163], v[162:163], v[166:167], v[170:171]
	v_div_fixup_f64 v[162:163], v[162:163], v[126:127], 1.0
	s_delay_alu instid0(VALU_DEP_1)
	v_mul_f64 v[126:127], v[124:125], -v[162:163]
.LBB31_142:
	s_or_b32 exec_lo, exec_lo, s3
	ds_store_2addr_b64 v165, v[162:163], v[126:127] offset1:1
.LBB31_143:
	s_or_b32 exec_lo, exec_lo, s4
	s_waitcnt lgkmcnt(0)
	s_barrier
	buffer_gl0_inv
	ds_load_2addr_b64 v[124:127], v165 offset1:1
	s_mov_b32 s3, exec_lo
	v_cmpx_lt_u32_e32 15, v164
	s_cbranch_execz .LBB31_145
; %bb.144:
	s_waitcnt lgkmcnt(0)
	v_mul_f64 v[162:163], v[126:127], v[2:3]
	v_mul_f64 v[2:3], v[124:125], v[2:3]
	s_delay_alu instid0(VALU_DEP_2) | instskip(NEXT) | instid1(VALU_DEP_2)
	v_fma_f64 v[162:163], v[124:125], v[0:1], -v[162:163]
	v_fma_f64 v[2:3], v[126:127], v[0:1], v[2:3]
	s_delay_alu instid0(VALU_DEP_2)
	v_dual_mov_b32 v0, v162 :: v_dual_mov_b32 v1, v163
.LBB31_145:
	s_or_b32 exec_lo, exec_lo, s3
	s_waitcnt lgkmcnt(0)
	s_barrier
	buffer_gl0_inv
	s_and_saveexec_b32 s10, s2
	s_cbranch_execz .LBB31_148
; %bb.146:
	s_load_b64 s[0:1], s[0:1], 0x28
	v_lshlrev_b64 v[128:129], 2, v[128:129]
	v_cmp_neq_f64_e64 s2, 0, v[70:71]
	v_cmp_eq_f64_e64 s3, 0, v[72:73]
	v_cmp_eq_f64_e64 s4, 0, v[74:75]
	;; [unrolled: 1-line block ×6, first 2 shown]
	s_waitcnt lgkmcnt(0)
	v_add_co_u32 v128, vcc_lo, s0, v128
	v_add_co_ci_u32_e32 v129, vcc_lo, s1, v129, vcc_lo
	v_cmp_eq_f64_e32 vcc_lo, 0, v[64:65]
	v_cmp_eq_f64_e64 s0, 0, v[66:67]
	v_cmp_neq_f64_e64 s1, 0, v[68:69]
	global_load_b32 v162, v[128:129], off
	s_and_b32 s0, vcc_lo, s0
	s_or_b32 s1, s1, s2
	v_cndmask_b32_e64 v64, 0, 1, s0
	s_or_b32 vcc_lo, s1, s0
	v_cmp_eq_f64_e64 s0, 0, v[86:87]
	s_and_b32 s2, s3, s4
	s_and_b32 s4, s5, s6
	v_cndmask_b32_e32 v64, 2, v64, vcc_lo
	v_cmp_eq_f64_e32 vcc_lo, 0, v[84:85]
	s_and_b32 s6, s7, s8
	s_delay_alu instid0(VALU_DEP_2) | instskip(NEXT) | instid1(VALU_DEP_1)
	v_cmp_eq_u32_e64 s1, 0, v64
	s_and_b32 s1, s2, s1
	v_cmp_eq_f64_e64 s2, 0, v[90:91]
	v_cndmask_b32_e64 v64, v64, 3, s1
	v_cmp_eq_f64_e64 s1, 0, v[88:89]
	s_delay_alu instid0(VALU_DEP_2) | instskip(NEXT) | instid1(VALU_DEP_1)
	v_cmp_eq_u32_e64 s3, 0, v64
	s_and_b32 s3, s4, s3
	v_cmp_eq_f64_e64 s4, 0, v[94:95]
	v_cndmask_b32_e64 v64, v64, 4, s3
	v_cmp_eq_f64_e64 s3, 0, v[92:93]
	;; [unrolled: 6-line block ×3, first 2 shown]
	s_and_b32 s0, vcc_lo, s0
	v_cmp_eq_f64_e32 vcc_lo, 0, v[100:101]
	s_delay_alu instid0(VALU_DEP_3) | instskip(NEXT) | instid1(VALU_DEP_1)
	v_cmp_eq_u32_e64 s7, 0, v64
	s_and_b32 s0, s0, s7
	s_delay_alu instid0(SALU_CYCLE_1) | instskip(SKIP_3) | instid1(VALU_DEP_3)
	v_cndmask_b32_e64 v64, v64, 6, s0
	v_cmp_eq_f64_e64 s0, 0, v[102:103]
	s_and_b32 s1, s1, s2
	v_cmp_eq_f64_e64 s2, 0, v[106:107]
	v_cmp_eq_u32_e64 s7, 0, v64
	s_delay_alu instid0(VALU_DEP_1) | instskip(NEXT) | instid1(SALU_CYCLE_1)
	s_and_b32 s1, s1, s7
	v_cndmask_b32_e64 v64, v64, 7, s1
	v_cmp_eq_f64_e64 s1, 0, v[104:105]
	s_and_b32 s3, s3, s4
	v_cmp_eq_f64_e64 s4, 0, v[110:111]
	s_delay_alu instid0(VALU_DEP_3) | instskip(NEXT) | instid1(VALU_DEP_1)
	v_cmp_eq_u32_e64 s7, 0, v64
	s_and_b32 s3, s3, s7
	s_delay_alu instid0(SALU_CYCLE_1) | instskip(SKIP_3) | instid1(VALU_DEP_3)
	v_cndmask_b32_e64 v64, v64, 8, s3
	v_cmp_eq_f64_e64 s3, 0, v[108:109]
	s_and_b32 s5, s5, s6
	v_cmp_eq_f64_e64 s6, 0, v[114:115]
	v_cmp_eq_u32_e64 s7, 0, v64
	s_delay_alu instid0(VALU_DEP_1) | instskip(NEXT) | instid1(SALU_CYCLE_1)
	s_and_b32 s5, s5, s7
	v_cndmask_b32_e64 v64, v64, 9, s5
	v_cmp_eq_f64_e64 s5, 0, v[112:113]
	s_and_b32 s0, vcc_lo, s0
	v_cmp_eq_f64_e32 vcc_lo, 0, v[116:117]
	s_delay_alu instid0(VALU_DEP_3) | instskip(NEXT) | instid1(VALU_DEP_1)
	v_cmp_eq_u32_e64 s7, 0, v64
	s_and_b32 s0, s0, s7
	s_delay_alu instid0(SALU_CYCLE_1) | instskip(SKIP_3) | instid1(VALU_DEP_3)
	v_cndmask_b32_e64 v64, v64, 10, s0
	v_cmp_eq_f64_e64 s0, 0, v[118:119]
	s_and_b32 s1, s1, s2
	v_cmp_eq_f64_e64 s2, 0, v[122:123]
	v_cmp_eq_u32_e64 s7, 0, v64
	s_delay_alu instid0(VALU_DEP_1) | instskip(NEXT) | instid1(SALU_CYCLE_1)
	s_and_b32 s1, s1, s7
	v_cndmask_b32_e64 v64, v64, 11, s1
	v_cmp_eq_f64_e64 s1, 0, v[120:121]
	s_and_b32 s3, s3, s4
	v_cmp_eq_f64_e64 s4, 0, v[126:127]
	s_delay_alu instid0(VALU_DEP_3) | instskip(NEXT) | instid1(VALU_DEP_1)
	v_cmp_eq_u32_e64 s7, 0, v64
	s_and_b32 s3, s3, s7
	s_delay_alu instid0(SALU_CYCLE_1) | instskip(SKIP_2) | instid1(VALU_DEP_2)
	v_cndmask_b32_e64 v64, v64, 12, s3
	v_cmp_eq_f64_e64 s3, 0, v[124:125]
	s_and_b32 s5, s5, s6
	v_cmp_eq_u32_e64 s7, 0, v64
	s_delay_alu instid0(VALU_DEP_1) | instskip(NEXT) | instid1(SALU_CYCLE_1)
	s_and_b32 s5, s5, s7
	v_cndmask_b32_e64 v64, v64, 13, s5
	s_and_b32 s0, vcc_lo, s0
	s_delay_alu instid0(VALU_DEP_1) | instskip(NEXT) | instid1(VALU_DEP_1)
	v_cmp_eq_u32_e64 s5, 0, v64
	s_and_b32 s0, s0, s5
	s_delay_alu instid0(SALU_CYCLE_1) | instskip(SKIP_1) | instid1(VALU_DEP_1)
	v_cndmask_b32_e64 v64, v64, 14, s0
	s_and_b32 s0, s1, s2
	v_cmp_eq_u32_e32 vcc_lo, 0, v64
	s_and_b32 s0, s0, vcc_lo
	s_delay_alu instid0(SALU_CYCLE_1) | instskip(SKIP_1) | instid1(VALU_DEP_1)
	v_cndmask_b32_e64 v64, v64, 15, s0
	s_and_b32 s0, s3, s4
	v_cmp_eq_u32_e32 vcc_lo, 0, v64
	s_and_b32 s0, s0, vcc_lo
	s_delay_alu instid0(SALU_CYCLE_1) | instskip(NEXT) | instid1(VALU_DEP_1)
	v_cndmask_b32_e64 v64, v64, 16, s0
	v_cmp_ne_u32_e64 s0, 0, v64
	s_waitcnt vmcnt(0)
	v_cmp_eq_u32_e32 vcc_lo, 0, v162
	s_delay_alu instid0(VALU_DEP_2) | instskip(NEXT) | instid1(SALU_CYCLE_1)
	s_and_b32 s0, vcc_lo, s0
	s_and_b32 exec_lo, exec_lo, s0
	s_cbranch_execz .LBB31_148
; %bb.147:
	v_add_nc_u32_e32 v64, s9, v64
	global_store_b32 v[128:129], v64, off
.LBB31_148:
	s_or_b32 exec_lo, exec_lo, s10
	s_clause 0xf
	global_store_b128 v[158:159], v[60:63], off
	global_store_b128 v[160:161], v[56:59], off
	;; [unrolled: 1-line block ×16, first 2 shown]
.LBB31_149:
	s_nop 0
	s_sendmsg sendmsg(MSG_DEALLOC_VGPRS)
	s_endpgm
	.section	.rodata,"a",@progbits
	.p2align	6, 0x0
	.amdhsa_kernel _ZN9rocsolver6v33100L23getf2_npvt_small_kernelILi16E19rocblas_complex_numIdEiiPKPS3_EEvT1_T3_lS7_lPT2_S7_S7_
		.amdhsa_group_segment_fixed_size 0
		.amdhsa_private_segment_fixed_size 0
		.amdhsa_kernarg_size 312
		.amdhsa_user_sgpr_count 14
		.amdhsa_user_sgpr_dispatch_ptr 0
		.amdhsa_user_sgpr_queue_ptr 0
		.amdhsa_user_sgpr_kernarg_segment_ptr 1
		.amdhsa_user_sgpr_dispatch_id 0
		.amdhsa_user_sgpr_private_segment_size 0
		.amdhsa_wavefront_size32 1
		.amdhsa_uses_dynamic_stack 0
		.amdhsa_enable_private_segment 0
		.amdhsa_system_sgpr_workgroup_id_x 1
		.amdhsa_system_sgpr_workgroup_id_y 1
		.amdhsa_system_sgpr_workgroup_id_z 0
		.amdhsa_system_sgpr_workgroup_info 0
		.amdhsa_system_vgpr_workitem_id 1
		.amdhsa_next_free_vgpr 225
		.amdhsa_next_free_sgpr 16
		.amdhsa_reserve_vcc 1
		.amdhsa_float_round_mode_32 0
		.amdhsa_float_round_mode_16_64 0
		.amdhsa_float_denorm_mode_32 3
		.amdhsa_float_denorm_mode_16_64 3
		.amdhsa_dx10_clamp 1
		.amdhsa_ieee_mode 1
		.amdhsa_fp16_overflow 0
		.amdhsa_workgroup_processor_mode 1
		.amdhsa_memory_ordered 1
		.amdhsa_forward_progress 0
		.amdhsa_shared_vgpr_count 0
		.amdhsa_exception_fp_ieee_invalid_op 0
		.amdhsa_exception_fp_denorm_src 0
		.amdhsa_exception_fp_ieee_div_zero 0
		.amdhsa_exception_fp_ieee_overflow 0
		.amdhsa_exception_fp_ieee_underflow 0
		.amdhsa_exception_fp_ieee_inexact 0
		.amdhsa_exception_int_div_zero 0
	.end_amdhsa_kernel
	.section	.text._ZN9rocsolver6v33100L23getf2_npvt_small_kernelILi16E19rocblas_complex_numIdEiiPKPS3_EEvT1_T3_lS7_lPT2_S7_S7_,"axG",@progbits,_ZN9rocsolver6v33100L23getf2_npvt_small_kernelILi16E19rocblas_complex_numIdEiiPKPS3_EEvT1_T3_lS7_lPT2_S7_S7_,comdat
.Lfunc_end31:
	.size	_ZN9rocsolver6v33100L23getf2_npvt_small_kernelILi16E19rocblas_complex_numIdEiiPKPS3_EEvT1_T3_lS7_lPT2_S7_S7_, .Lfunc_end31-_ZN9rocsolver6v33100L23getf2_npvt_small_kernelILi16E19rocblas_complex_numIdEiiPKPS3_EEvT1_T3_lS7_lPT2_S7_S7_
                                        ; -- End function
	.section	.AMDGPU.csdata,"",@progbits
; Kernel info:
; codeLenInByte = 21744
; NumSgprs: 18
; NumVgprs: 225
; ScratchSize: 0
; MemoryBound: 1
; FloatMode: 240
; IeeeMode: 1
; LDSByteSize: 0 bytes/workgroup (compile time only)
; SGPRBlocks: 2
; VGPRBlocks: 28
; NumSGPRsForWavesPerEU: 18
; NumVGPRsForWavesPerEU: 225
; Occupancy: 6
; WaveLimiterHint : 1
; COMPUTE_PGM_RSRC2:SCRATCH_EN: 0
; COMPUTE_PGM_RSRC2:USER_SGPR: 14
; COMPUTE_PGM_RSRC2:TRAP_HANDLER: 0
; COMPUTE_PGM_RSRC2:TGID_X_EN: 1
; COMPUTE_PGM_RSRC2:TGID_Y_EN: 1
; COMPUTE_PGM_RSRC2:TGID_Z_EN: 0
; COMPUTE_PGM_RSRC2:TIDIG_COMP_CNT: 1
	.section	.text._ZN9rocsolver6v33100L18getf2_small_kernelILi17E19rocblas_complex_numIdEiiPKPS3_EEvT1_T3_lS7_lPS7_llPT2_S7_S7_S9_l,"axG",@progbits,_ZN9rocsolver6v33100L18getf2_small_kernelILi17E19rocblas_complex_numIdEiiPKPS3_EEvT1_T3_lS7_lPS7_llPT2_S7_S7_S9_l,comdat
	.globl	_ZN9rocsolver6v33100L18getf2_small_kernelILi17E19rocblas_complex_numIdEiiPKPS3_EEvT1_T3_lS7_lPS7_llPT2_S7_S7_S9_l ; -- Begin function _ZN9rocsolver6v33100L18getf2_small_kernelILi17E19rocblas_complex_numIdEiiPKPS3_EEvT1_T3_lS7_lPS7_llPT2_S7_S7_S9_l
	.p2align	8
	.type	_ZN9rocsolver6v33100L18getf2_small_kernelILi17E19rocblas_complex_numIdEiiPKPS3_EEvT1_T3_lS7_lPS7_llPT2_S7_S7_S9_l,@function
_ZN9rocsolver6v33100L18getf2_small_kernelILi17E19rocblas_complex_numIdEiiPKPS3_EEvT1_T3_lS7_lPS7_llPT2_S7_S7_S9_l: ; @_ZN9rocsolver6v33100L18getf2_small_kernelILi17E19rocblas_complex_numIdEiiPKPS3_EEvT1_T3_lS7_lPS7_llPT2_S7_S7_S9_l
; %bb.0:
	s_clause 0x1
	s_load_b32 s2, s[0:1], 0x6c
	s_load_b64 s[12:13], s[0:1], 0x48
	v_bfe_u32 v68, v0, 10, 10
	s_waitcnt lgkmcnt(0)
	s_lshr_b32 s2, s2, 16
	s_delay_alu instid0(VALU_DEP_1) | instid1(SALU_CYCLE_1)
	v_mad_u64_u32 v[72:73], null, s15, s2, v[68:69]
	s_mov_b32 s2, exec_lo
	s_delay_alu instid0(VALU_DEP_1)
	v_cmpx_gt_i32_e64 s12, v72
	s_cbranch_execz .LBB32_360
; %bb.1:
	s_clause 0x1
	s_load_b128 s[4:7], s[0:1], 0x8
	s_load_b128 s[8:11], s[0:1], 0x50
	v_ashrrev_i32_e32 v73, 31, v72
	v_mov_b32_e32 v74, 0
	v_mov_b32_e32 v75, 0
	s_delay_alu instid0(VALU_DEP_3) | instskip(SKIP_1) | instid1(VALU_DEP_1)
	v_lshlrev_b64 v[1:2], 3, v[72:73]
	s_waitcnt lgkmcnt(0)
	v_add_co_u32 v1, vcc_lo, s4, v1
	s_delay_alu instid0(VALU_DEP_2)
	v_add_co_ci_u32_e32 v2, vcc_lo, s5, v2, vcc_lo
	s_cmp_eq_u64 s[8:9], 0
	s_cselect_b32 s4, -1, 0
	global_load_b64 v[1:2], v[1:2], off
	s_and_b32 vcc_lo, exec_lo, s4
	s_cbranch_vccnz .LBB32_3
; %bb.2:
	v_mul_lo_u32 v5, v73, s10
	v_mul_lo_u32 v6, v72, s11
	v_mad_u64_u32 v[3:4], null, v72, s10, 0
	s_delay_alu instid0(VALU_DEP_1) | instskip(NEXT) | instid1(VALU_DEP_1)
	v_add3_u32 v4, v4, v6, v5
	v_lshlrev_b64 v[3:4], 2, v[3:4]
	s_delay_alu instid0(VALU_DEP_1) | instskip(NEXT) | instid1(VALU_DEP_2)
	v_add_co_u32 v74, vcc_lo, s8, v3
	v_add_co_ci_u32_e32 v75, vcc_lo, s9, v4, vcc_lo
.LBB32_3:
	s_clause 0x1
	s_load_b32 s8, s[0:1], 0x18
	s_load_b32 s5, s[0:1], 0x0
	v_dual_mov_b32 v76, 0 :: v_dual_and_b32 v81, 0x3ff, v0
	s_lshl_b64 s[2:3], s[6:7], 4
	s_waitcnt vmcnt(0)
	v_add_co_u32 v79, vcc_lo, v1, s2
	s_delay_alu instid0(VALU_DEP_2) | instskip(SKIP_1) | instid1(VALU_DEP_2)
	v_lshlrev_b32_e32 v71, 4, v81
	v_add_co_ci_u32_e32 v80, vcc_lo, s3, v2, vcc_lo
	v_add_co_u32 v2, vcc_lo, v79, v71
	s_delay_alu instid0(VALU_DEP_2)
	v_add_co_ci_u32_e32 v3, vcc_lo, 0, v80, vcc_lo
	s_waitcnt lgkmcnt(0)
	v_add3_u32 v0, s8, s8, v81
	s_ashr_i32 s9, s8, 31
	s_max_i32 s2, s5, 17
	s_lshl_b64 s[10:11], s[8:9], 4
	v_mul_lo_u32 v77, s2, v68
	v_add_nc_u32_e32 v4, s8, v0
	v_ashrrev_i32_e32 v1, 31, v0
	v_add_co_u32 v6, vcc_lo, v2, s10
	v_add_co_ci_u32_e32 v7, vcc_lo, s11, v3, vcc_lo
	s_delay_alu instid0(VALU_DEP_4)
	v_ashrrev_i32_e32 v5, 31, v4
	v_add_nc_u32_e32 v8, s8, v4
	v_lshlrev_b64 v[0:1], 4, v[0:1]
	s_clause 0x1
	global_load_b128 v[56:59], v[2:3], off
	global_load_b128 v[60:63], v[6:7], off
	v_lshl_add_u32 v78, v77, 4, 0
	v_lshlrev_b64 v[2:3], 4, v[4:5]
	v_add_nc_u32_e32 v4, s8, v8
	v_ashrrev_i32_e32 v9, 31, v8
	v_add_co_u32 v0, vcc_lo, v79, v0
	v_add_co_ci_u32_e32 v1, vcc_lo, v80, v1, vcc_lo
	s_delay_alu instid0(VALU_DEP_4) | instskip(NEXT) | instid1(VALU_DEP_4)
	v_ashrrev_i32_e32 v5, 31, v4
	v_lshlrev_b64 v[6:7], 4, v[8:9]
	v_add_nc_u32_e32 v8, s8, v4
	v_add_co_u32 v2, vcc_lo, v79, v2
	v_add_co_ci_u32_e32 v3, vcc_lo, v80, v3, vcc_lo
	v_lshlrev_b64 v[4:5], 4, v[4:5]
	s_delay_alu instid0(VALU_DEP_4)
	v_add_nc_u32_e32 v10, s8, v8
	s_clause 0x1
	global_load_b128 v[52:55], v[0:1], off
	global_load_b128 v[48:51], v[2:3], off
	v_add_co_u32 v0, vcc_lo, v79, v6
	v_add_co_ci_u32_e32 v1, vcc_lo, v80, v7, vcc_lo
	v_add_co_u32 v2, vcc_lo, v79, v4
	v_add_nc_u32_e32 v4, s8, v10
	v_ashrrev_i32_e32 v9, 31, v8
	v_add_co_ci_u32_e32 v3, vcc_lo, v80, v5, vcc_lo
	v_ashrrev_i32_e32 v11, 31, v10
	s_clause 0x1
	global_load_b128 v[64:67], v[0:1], off
	global_load_b128 v[40:43], v[2:3], off
	v_add_nc_u32_e32 v2, s8, v4
	v_lshlrev_b64 v[6:7], 4, v[8:9]
	v_ashrrev_i32_e32 v5, 31, v4
	v_lshlrev_b64 v[0:1], 4, v[10:11]
	v_add_nc_u32_e32 v68, v78, v71
	v_ashrrev_i32_e32 v3, 31, v2
	v_lshlrev_b32_e32 v83, 4, v77
	v_add_co_u32 v6, vcc_lo, v79, v6
	v_lshlrev_b64 v[4:5], 4, v[4:5]
	v_add_co_ci_u32_e32 v7, vcc_lo, v80, v7, vcc_lo
	v_add_co_u32 v0, vcc_lo, v79, v0
	v_lshlrev_b64 v[8:9], 4, v[2:3]
	v_add_nc_u32_e32 v2, s8, v2
	v_add_co_ci_u32_e32 v1, vcc_lo, v80, v1, vcc_lo
	v_add_co_u32 v4, vcc_lo, v79, v4
	v_add_co_ci_u32_e32 v5, vcc_lo, v80, v5, vcc_lo
	s_delay_alu instid0(VALU_DEP_4) | instskip(SKIP_3) | instid1(VALU_DEP_4)
	v_add_nc_u32_e32 v10, s8, v2
	v_add_co_u32 v8, vcc_lo, v79, v8
	v_ashrrev_i32_e32 v3, 31, v2
	v_add_co_ci_u32_e32 v9, vcc_lo, v80, v9, vcc_lo
	v_ashrrev_i32_e32 v11, 31, v10
	s_clause 0x1
	global_load_b128 v[44:47], v[6:7], off
	global_load_b128 v[36:39], v[0:1], off
	v_lshlrev_b64 v[0:1], 4, v[2:3]
	s_clause 0x1
	global_load_b128 v[32:35], v[4:5], off
	global_load_b128 v[28:31], v[8:9], off
	v_add_nc_u32_e32 v4, s8, v10
	v_lshlrev_b64 v[2:3], 4, v[10:11]
	s_cmp_lt_i32 s5, 2
	v_add_co_u32 v0, vcc_lo, v79, v0
	s_delay_alu instid0(VALU_DEP_3) | instskip(SKIP_1) | instid1(VALU_DEP_4)
	v_add_nc_u32_e32 v6, s8, v4
	v_add_co_ci_u32_e32 v1, vcc_lo, v80, v1, vcc_lo
	v_add_co_u32 v2, vcc_lo, v79, v2
	s_delay_alu instid0(VALU_DEP_3)
	v_add_nc_u32_e32 v8, s8, v6
	v_add_co_ci_u32_e32 v3, vcc_lo, v80, v3, vcc_lo
	v_ashrrev_i32_e32 v5, 31, v4
	v_ashrrev_i32_e32 v7, 31, v6
	s_clause 0x1
	global_load_b128 v[24:27], v[0:1], off
	global_load_b128 v[20:23], v[2:3], off
	v_ashrrev_i32_e32 v9, 31, v8
	v_add_nc_u32_e32 v2, s8, v8
	v_lshlrev_b64 v[4:5], 4, v[4:5]
	v_lshlrev_b64 v[0:1], 4, v[6:7]
	s_delay_alu instid0(VALU_DEP_4) | instskip(NEXT) | instid1(VALU_DEP_4)
	v_lshlrev_b64 v[6:7], 4, v[8:9]
	v_add_nc_u32_e32 v8, s8, v2
	v_ashrrev_i32_e32 v3, 31, v2
	v_add_co_u32 v4, vcc_lo, v79, v4
	v_add_co_ci_u32_e32 v5, vcc_lo, v80, v5, vcc_lo
	s_delay_alu instid0(VALU_DEP_4)
	v_ashrrev_i32_e32 v9, 31, v8
	v_add_co_u32 v0, vcc_lo, v79, v0
	v_lshlrev_b64 v[2:3], 4, v[2:3]
	v_add_co_ci_u32_e32 v1, vcc_lo, v80, v1, vcc_lo
	v_add_co_u32 v6, vcc_lo, v79, v6
	v_lshlrev_b64 v[8:9], 4, v[8:9]
	v_add_co_ci_u32_e32 v7, vcc_lo, v80, v7, vcc_lo
	v_add_co_u32 v2, vcc_lo, v79, v2
	v_add_co_ci_u32_e32 v3, vcc_lo, v80, v3, vcc_lo
	s_delay_alu instid0(VALU_DEP_4)
	v_add_co_u32 v69, vcc_lo, v79, v8
	v_add_co_ci_u32_e32 v70, vcc_lo, v80, v9, vcc_lo
	s_clause 0x4
	global_load_b128 v[16:19], v[4:5], off
	global_load_b128 v[12:15], v[0:1], off
	;; [unrolled: 1-line block ×5, first 2 shown]
	s_waitcnt vmcnt(16)
	ds_store_2addr_b64 v68, v[56:57], v[58:59] offset1:1
	s_waitcnt vmcnt(0) lgkmcnt(0)
	s_barrier
	buffer_gl0_inv
	ds_load_2addr_b64 v[68:71], v78 offset1:1
	s_cbranch_scc1 .LBB32_6
; %bb.4:
	v_add3_u32 v77, v83, 0, 16
	v_mov_b32_e32 v76, 0
	s_mov_b32 s6, 1
	s_set_inst_prefetch_distance 0x1
	.p2align	6
.LBB32_5:                               ; =>This Inner Loop Header: Depth=1
	ds_load_2addr_b64 v[84:87], v77 offset1:1
	s_waitcnt lgkmcnt(1)
	v_cmp_gt_f64_e32 vcc_lo, 0, v[68:69]
	v_xor_b32_e32 v82, 0x80000000, v69
	v_cmp_gt_f64_e64 s2, 0, v[70:71]
	v_xor_b32_e32 v88, 0x80000000, v71
	v_add_nc_u32_e32 v77, 16, v77
	s_waitcnt lgkmcnt(0)
	v_cmp_gt_f64_e64 s3, 0, v[84:85]
	v_mov_b32_e32 v92, v84
	v_dual_mov_b32 v94, v86 :: v_dual_cndmask_b32 v89, v69, v82
	v_xor_b32_e32 v82, 0x80000000, v85
	v_cndmask_b32_e64 v91, v71, v88, s2
	v_xor_b32_e32 v88, 0x80000000, v87
	v_cndmask_b32_e64 v90, v70, v70, s2
	s_delay_alu instid0(VALU_DEP_4) | instskip(SKIP_1) | instid1(VALU_DEP_1)
	v_cndmask_b32_e64 v93, v85, v82, s3
	v_cmp_gt_f64_e64 s3, 0, v[86:87]
	v_cndmask_b32_e64 v95, v87, v88, s3
	v_cndmask_b32_e32 v88, v68, v68, vcc_lo
	s_delay_alu instid0(VALU_DEP_2) | instskip(NEXT) | instid1(VALU_DEP_2)
	v_add_f64 v[92:93], v[92:93], v[94:95]
	v_add_f64 v[88:89], v[88:89], v[90:91]
	s_delay_alu instid0(VALU_DEP_1)
	v_cmp_lt_f64_e32 vcc_lo, v[88:89], v[92:93]
	v_cndmask_b32_e32 v71, v71, v87, vcc_lo
	v_dual_cndmask_b32 v69, v69, v85 :: v_dual_cndmask_b32 v68, v68, v84
	v_cndmask_b32_e32 v70, v70, v86, vcc_lo
	v_cndmask_b32_e64 v76, v76, s6, vcc_lo
	s_add_i32 s6, s6, 1
	s_delay_alu instid0(SALU_CYCLE_1)
	s_cmp_eq_u32 s5, s6
	s_cbranch_scc0 .LBB32_5
.LBB32_6:
	s_set_inst_prefetch_distance 0x2
	s_waitcnt lgkmcnt(0)
	v_cmp_neq_f64_e32 vcc_lo, 0, v[68:69]
	v_cmp_neq_f64_e64 s2, 0, v[70:71]
	v_dual_mov_b32 v82, 1 :: v_dual_mov_b32 v85, 1
	s_delay_alu instid0(VALU_DEP_2) | instskip(NEXT) | instid1(SALU_CYCLE_1)
	s_or_b32 s2, vcc_lo, s2
	s_and_saveexec_b32 s3, s2
	s_cbranch_execz .LBB32_12
; %bb.7:
	v_cmp_gt_f64_e32 vcc_lo, 0, v[68:69]
	v_cmp_gt_f64_e64 s2, 0, v[70:71]
	v_xor_b32_e32 v77, 0x80000000, v69
	v_xor_b32_e32 v82, 0x80000000, v71
                                        ; implicit-def: $sgpr6
                                        ; implicit-def: $sgpr7
	s_delay_alu instid0(VALU_DEP_2) | instskip(NEXT) | instid1(VALU_DEP_2)
	v_dual_cndmask_b32 v85, v69, v77 :: v_dual_cndmask_b32 v84, v68, v68
	v_cndmask_b32_e64 v87, v71, v82, s2
	v_cndmask_b32_e64 v86, v70, v70, s2
	s_mov_b32 s2, exec_lo
	s_delay_alu instid0(VALU_DEP_1)
	v_cmpx_ngt_f64_e32 v[84:85], v[86:87]
	s_xor_b32 s2, exec_lo, s2
	s_cbranch_execz .LBB32_9
; %bb.8:
	v_div_scale_f64 v[84:85], null, v[70:71], v[70:71], v[68:69]
	v_div_scale_f64 v[90:91], vcc_lo, v[68:69], v[70:71], v[68:69]
	s_mov_b32 s7, 2
	s_mov_b32 s6, 0
	s_delay_alu instid0(VALU_DEP_2) | instskip(SKIP_2) | instid1(VALU_DEP_1)
	v_rcp_f64_e32 v[86:87], v[84:85]
	s_waitcnt_depctr 0xfff
	v_fma_f64 v[88:89], -v[84:85], v[86:87], 1.0
	v_fma_f64 v[86:87], v[86:87], v[88:89], v[86:87]
	s_delay_alu instid0(VALU_DEP_1) | instskip(NEXT) | instid1(VALU_DEP_1)
	v_fma_f64 v[88:89], -v[84:85], v[86:87], 1.0
	v_fma_f64 v[86:87], v[86:87], v[88:89], v[86:87]
	s_delay_alu instid0(VALU_DEP_1) | instskip(NEXT) | instid1(VALU_DEP_1)
	v_mul_f64 v[88:89], v[90:91], v[86:87]
	v_fma_f64 v[84:85], -v[84:85], v[88:89], v[90:91]
	s_delay_alu instid0(VALU_DEP_1) | instskip(NEXT) | instid1(VALU_DEP_1)
	v_div_fmas_f64 v[84:85], v[84:85], v[86:87], v[88:89]
	v_div_fixup_f64 v[84:85], v[84:85], v[70:71], v[68:69]
	s_delay_alu instid0(VALU_DEP_1) | instskip(NEXT) | instid1(VALU_DEP_1)
	v_fma_f64 v[68:69], v[68:69], v[84:85], v[70:71]
	v_div_scale_f64 v[70:71], null, v[68:69], v[68:69], 1.0
	s_delay_alu instid0(VALU_DEP_1) | instskip(SKIP_2) | instid1(VALU_DEP_1)
	v_rcp_f64_e32 v[86:87], v[70:71]
	s_waitcnt_depctr 0xfff
	v_fma_f64 v[88:89], -v[70:71], v[86:87], 1.0
	v_fma_f64 v[86:87], v[86:87], v[88:89], v[86:87]
	s_delay_alu instid0(VALU_DEP_1) | instskip(NEXT) | instid1(VALU_DEP_1)
	v_fma_f64 v[88:89], -v[70:71], v[86:87], 1.0
	v_fma_f64 v[86:87], v[86:87], v[88:89], v[86:87]
	v_div_scale_f64 v[88:89], vcc_lo, 1.0, v[68:69], 1.0
	s_delay_alu instid0(VALU_DEP_1) | instskip(NEXT) | instid1(VALU_DEP_1)
	v_mul_f64 v[90:91], v[88:89], v[86:87]
	v_fma_f64 v[70:71], -v[70:71], v[90:91], v[88:89]
	s_delay_alu instid0(VALU_DEP_1) | instskip(NEXT) | instid1(VALU_DEP_1)
	v_div_fmas_f64 v[70:71], v[70:71], v[86:87], v[90:91]
	v_div_fixup_f64 v[70:71], v[70:71], v[68:69], 1.0
	s_delay_alu instid0(VALU_DEP_1)
	v_mul_f64 v[68:69], v[84:85], v[70:71]
	v_xor_b32_e32 v71, 0x80000000, v71
.LBB32_9:
	s_or_saveexec_b32 s2, s2
	v_dual_mov_b32 v85, s6 :: v_dual_mov_b32 v82, s7
	s_xor_b32 exec_lo, exec_lo, s2
	s_cbranch_execz .LBB32_11
; %bb.10:
	s_delay_alu instid0(VALU_DEP_3) | instskip(SKIP_2) | instid1(VALU_DEP_3)
	v_div_scale_f64 v[84:85], null, v[68:69], v[68:69], v[70:71]
	v_div_scale_f64 v[90:91], vcc_lo, v[70:71], v[68:69], v[70:71]
	v_mov_b32_e32 v82, 2
	v_rcp_f64_e32 v[86:87], v[84:85]
	s_waitcnt_depctr 0xfff
	v_fma_f64 v[88:89], -v[84:85], v[86:87], 1.0
	s_delay_alu instid0(VALU_DEP_1) | instskip(NEXT) | instid1(VALU_DEP_1)
	v_fma_f64 v[86:87], v[86:87], v[88:89], v[86:87]
	v_fma_f64 v[88:89], -v[84:85], v[86:87], 1.0
	s_delay_alu instid0(VALU_DEP_1) | instskip(NEXT) | instid1(VALU_DEP_1)
	v_fma_f64 v[86:87], v[86:87], v[88:89], v[86:87]
	v_mul_f64 v[88:89], v[90:91], v[86:87]
	s_delay_alu instid0(VALU_DEP_1) | instskip(NEXT) | instid1(VALU_DEP_1)
	v_fma_f64 v[84:85], -v[84:85], v[88:89], v[90:91]
	v_div_fmas_f64 v[84:85], v[84:85], v[86:87], v[88:89]
	s_delay_alu instid0(VALU_DEP_1) | instskip(NEXT) | instid1(VALU_DEP_1)
	v_div_fixup_f64 v[84:85], v[84:85], v[68:69], v[70:71]
	v_fma_f64 v[68:69], v[70:71], v[84:85], v[68:69]
	s_delay_alu instid0(VALU_DEP_1) | instskip(NEXT) | instid1(VALU_DEP_1)
	v_div_scale_f64 v[70:71], null, v[68:69], v[68:69], 1.0
	v_rcp_f64_e32 v[86:87], v[70:71]
	s_waitcnt_depctr 0xfff
	v_fma_f64 v[88:89], -v[70:71], v[86:87], 1.0
	s_delay_alu instid0(VALU_DEP_1) | instskip(NEXT) | instid1(VALU_DEP_1)
	v_fma_f64 v[86:87], v[86:87], v[88:89], v[86:87]
	v_fma_f64 v[88:89], -v[70:71], v[86:87], 1.0
	s_delay_alu instid0(VALU_DEP_1) | instskip(SKIP_1) | instid1(VALU_DEP_1)
	v_fma_f64 v[86:87], v[86:87], v[88:89], v[86:87]
	v_div_scale_f64 v[88:89], vcc_lo, 1.0, v[68:69], 1.0
	v_mul_f64 v[90:91], v[88:89], v[86:87]
	s_delay_alu instid0(VALU_DEP_1) | instskip(NEXT) | instid1(VALU_DEP_1)
	v_fma_f64 v[70:71], -v[70:71], v[90:91], v[88:89]
	v_div_fmas_f64 v[70:71], v[70:71], v[86:87], v[90:91]
	s_delay_alu instid0(VALU_DEP_1) | instskip(NEXT) | instid1(VALU_DEP_1)
	v_div_fixup_f64 v[68:69], v[70:71], v[68:69], 1.0
	v_mul_f64 v[70:71], v[84:85], -v[68:69]
	v_mov_b32_e32 v85, 0
.LBB32_11:
	s_or_b32 exec_lo, exec_lo, s2
.LBB32_12:
	s_delay_alu instid0(SALU_CYCLE_1) | instskip(NEXT) | instid1(SALU_CYCLE_1)
	s_or_b32 exec_lo, exec_lo, s3
	s_mov_b32 s2, exec_lo
	v_cmpx_ne_u32_e64 v81, v76
	s_xor_b32 s2, exec_lo, s2
	s_cbranch_execz .LBB32_18
; %bb.13:
	s_mov_b32 s3, exec_lo
	v_cmpx_eq_u32_e32 0, v81
	s_cbranch_execz .LBB32_17
; %bb.14:
	v_cmp_ne_u32_e32 vcc_lo, 0, v76
	s_xor_b32 s6, s4, -1
	s_delay_alu instid0(SALU_CYCLE_1) | instskip(NEXT) | instid1(SALU_CYCLE_1)
	s_and_b32 s7, s6, vcc_lo
	s_and_saveexec_b32 s6, s7
	s_cbranch_execz .LBB32_16
; %bb.15:
	v_ashrrev_i32_e32 v77, 31, v76
	s_delay_alu instid0(VALU_DEP_1) | instskip(NEXT) | instid1(VALU_DEP_1)
	v_lshlrev_b64 v[86:87], 2, v[76:77]
	v_add_co_u32 v86, vcc_lo, v74, v86
	s_delay_alu instid0(VALU_DEP_2)
	v_add_co_ci_u32_e32 v87, vcc_lo, v75, v87, vcc_lo
	s_clause 0x1
	flat_load_b32 v77, v[86:87]
	flat_load_b32 v81, v[74:75]
	s_waitcnt vmcnt(1) lgkmcnt(1)
	flat_store_b32 v[74:75], v77
	s_waitcnt vmcnt(0) lgkmcnt(1)
	flat_store_b32 v[86:87], v81
.LBB32_16:
	s_or_b32 exec_lo, exec_lo, s6
	v_mov_b32_e32 v81, v76
.LBB32_17:
	s_or_b32 exec_lo, exec_lo, s3
.LBB32_18:
	s_or_saveexec_b32 s2, s2
	s_delay_alu instid0(VALU_DEP_1)
	v_mov_b32_e32 v84, v81
	s_xor_b32 exec_lo, exec_lo, s2
	s_cbranch_execz .LBB32_20
; %bb.19:
	v_mov_b32_e32 v84, 0
	ds_store_2addr_b64 v78, v[60:61], v[62:63] offset0:2 offset1:3
	ds_store_2addr_b64 v78, v[52:53], v[54:55] offset0:4 offset1:5
	;; [unrolled: 1-line block ×16, first 2 shown]
.LBB32_20:
	s_or_b32 exec_lo, exec_lo, s2
	s_delay_alu instid0(SALU_CYCLE_1)
	s_mov_b32 s2, exec_lo
	s_waitcnt lgkmcnt(0)
	s_waitcnt_vscnt null, 0x0
	s_barrier
	buffer_gl0_inv
	v_cmpx_lt_i32_e32 0, v84
	s_cbranch_execz .LBB32_22
; %bb.21:
	v_mul_f64 v[76:77], v[68:69], v[58:59]
	v_mul_f64 v[58:59], v[70:71], v[58:59]
	ds_load_2addr_b64 v[86:89], v78 offset0:2 offset1:3
	ds_load_2addr_b64 v[90:93], v78 offset0:4 offset1:5
	;; [unrolled: 1-line block ×16, first 2 shown]
	v_fma_f64 v[70:71], v[70:71], v[56:57], v[76:77]
	v_fma_f64 v[56:57], v[68:69], v[56:57], -v[58:59]
	s_waitcnt lgkmcnt(15)
	s_delay_alu instid0(VALU_DEP_2)
	v_mul_f64 v[58:59], v[88:89], v[70:71]
	v_mul_f64 v[68:69], v[86:87], v[70:71]
	s_waitcnt lgkmcnt(14)
	v_mul_f64 v[76:77], v[92:93], v[70:71]
	v_mul_f64 v[150:151], v[90:91], v[70:71]
	s_waitcnt lgkmcnt(13)
	v_mul_f64 v[152:153], v[96:97], v[70:71]
	v_mul_f64 v[154:155], v[94:95], v[70:71]
	s_waitcnt lgkmcnt(12)
	v_mul_f64 v[156:157], v[100:101], v[70:71]
	v_mul_f64 v[158:159], v[98:99], v[70:71]
	s_waitcnt lgkmcnt(11)
	v_mul_f64 v[160:161], v[104:105], v[70:71]
	v_mul_f64 v[162:163], v[102:103], v[70:71]
	s_waitcnt lgkmcnt(10)
	v_mul_f64 v[164:165], v[108:109], v[70:71]
	v_mul_f64 v[166:167], v[106:107], v[70:71]
	s_waitcnt lgkmcnt(9)
	v_mul_f64 v[168:169], v[112:113], v[70:71]
	v_mul_f64 v[170:171], v[110:111], v[70:71]
	s_waitcnt lgkmcnt(8)
	v_mul_f64 v[172:173], v[116:117], v[70:71]
	v_mul_f64 v[174:175], v[114:115], v[70:71]
	s_waitcnt lgkmcnt(7)
	v_mul_f64 v[176:177], v[120:121], v[70:71]
	v_mul_f64 v[178:179], v[118:119], v[70:71]
	s_waitcnt lgkmcnt(6)
	v_mul_f64 v[180:181], v[124:125], v[70:71]
	v_mul_f64 v[182:183], v[122:123], v[70:71]
	s_waitcnt lgkmcnt(5)
	v_mul_f64 v[184:185], v[128:129], v[70:71]
	v_mul_f64 v[186:187], v[126:127], v[70:71]
	s_waitcnt lgkmcnt(4)
	v_mul_f64 v[188:189], v[132:133], v[70:71]
	v_mul_f64 v[190:191], v[130:131], v[70:71]
	s_waitcnt lgkmcnt(3)
	v_mul_f64 v[192:193], v[136:137], v[70:71]
	v_mul_f64 v[194:195], v[134:135], v[70:71]
	s_waitcnt lgkmcnt(2)
	v_mul_f64 v[196:197], v[140:141], v[70:71]
	v_mul_f64 v[198:199], v[138:139], v[70:71]
	s_waitcnt lgkmcnt(1)
	v_mul_f64 v[200:201], v[144:145], v[70:71]
	v_mul_f64 v[202:203], v[142:143], v[70:71]
	s_waitcnt lgkmcnt(0)
	v_mul_f64 v[204:205], v[148:149], v[70:71]
	v_mul_f64 v[206:207], v[146:147], v[70:71]
	v_fma_f64 v[58:59], v[86:87], v[56:57], -v[58:59]
	v_fma_f64 v[68:69], v[88:89], v[56:57], v[68:69]
	v_fma_f64 v[76:77], v[90:91], v[56:57], -v[76:77]
	v_fma_f64 v[86:87], v[92:93], v[56:57], v[150:151]
	;; [unrolled: 2-line block ×16, first 2 shown]
	v_add_f64 v[60:61], v[60:61], -v[58:59]
	v_add_f64 v[62:63], v[62:63], -v[68:69]
	;; [unrolled: 1-line block ×32, first 2 shown]
	v_dual_mov_b32 v58, v70 :: v_dual_mov_b32 v59, v71
.LBB32_22:
	s_or_b32 exec_lo, exec_lo, s2
	v_lshl_add_u32 v68, v84, 4, v78
	s_barrier
	buffer_gl0_inv
	v_mov_b32_e32 v76, 1
	ds_store_2addr_b64 v68, v[60:61], v[62:63] offset1:1
	s_waitcnt lgkmcnt(0)
	s_barrier
	buffer_gl0_inv
	ds_load_2addr_b64 v[68:71], v78 offset0:2 offset1:3
	s_cmp_lt_i32 s5, 3
	s_cbranch_scc1 .LBB32_25
; %bb.23:
	v_add3_u32 v77, v83, 0, 32
	v_mov_b32_e32 v76, 1
	s_mov_b32 s6, 2
	s_set_inst_prefetch_distance 0x1
	.p2align	6
.LBB32_24:                              ; =>This Inner Loop Header: Depth=1
	ds_load_2addr_b64 v[86:89], v77 offset1:1
	s_waitcnt lgkmcnt(1)
	v_cmp_gt_f64_e32 vcc_lo, 0, v[68:69]
	v_xor_b32_e32 v90, 0x80000000, v69
	v_cmp_gt_f64_e64 s2, 0, v[70:71]
	v_xor_b32_e32 v92, 0x80000000, v71
	v_add_nc_u32_e32 v77, 16, v77
	s_waitcnt lgkmcnt(0)
	v_cmp_gt_f64_e64 s3, 0, v[86:87]
	v_mov_b32_e32 v94, v86
	v_dual_mov_b32 v96, v88 :: v_dual_cndmask_b32 v91, v69, v90
	v_xor_b32_e32 v90, 0x80000000, v87
	v_cndmask_b32_e64 v93, v71, v92, s2
	v_xor_b32_e32 v92, 0x80000000, v89
	s_delay_alu instid0(VALU_DEP_3) | instskip(SKIP_2) | instid1(VALU_DEP_2)
	v_cndmask_b32_e64 v95, v87, v90, s3
	v_cmp_gt_f64_e64 s3, 0, v[88:89]
	v_cndmask_b32_e32 v90, v68, v68, vcc_lo
	v_cndmask_b32_e64 v97, v89, v92, s3
	v_cndmask_b32_e64 v92, v70, v70, s2
	s_delay_alu instid0(VALU_DEP_2) | instskip(NEXT) | instid1(VALU_DEP_2)
	v_add_f64 v[94:95], v[94:95], v[96:97]
	v_add_f64 v[90:91], v[90:91], v[92:93]
	s_delay_alu instid0(VALU_DEP_1)
	v_cmp_lt_f64_e32 vcc_lo, v[90:91], v[94:95]
	v_cndmask_b32_e32 v71, v71, v89, vcc_lo
	v_dual_cndmask_b32 v69, v69, v87 :: v_dual_cndmask_b32 v68, v68, v86
	v_cndmask_b32_e32 v70, v70, v88, vcc_lo
	v_cndmask_b32_e64 v76, v76, s6, vcc_lo
	s_add_i32 s6, s6, 1
	s_delay_alu instid0(SALU_CYCLE_1)
	s_cmp_lg_u32 s5, s6
	s_cbranch_scc1 .LBB32_24
.LBB32_25:
	s_set_inst_prefetch_distance 0x2
	s_waitcnt lgkmcnt(0)
	v_cmp_neq_f64_e32 vcc_lo, 0, v[68:69]
	v_cmp_neq_f64_e64 s2, 0, v[70:71]
	s_delay_alu instid0(VALU_DEP_1) | instskip(NEXT) | instid1(SALU_CYCLE_1)
	s_or_b32 s2, vcc_lo, s2
	s_and_saveexec_b32 s3, s2
	s_cbranch_execz .LBB32_31
; %bb.26:
	v_cmp_gt_f64_e32 vcc_lo, 0, v[68:69]
	v_cmp_gt_f64_e64 s2, 0, v[70:71]
	v_xor_b32_e32 v77, 0x80000000, v69
	v_xor_b32_e32 v82, 0x80000000, v71
	s_delay_alu instid0(VALU_DEP_2) | instskip(NEXT) | instid1(VALU_DEP_2)
	v_dual_cndmask_b32 v87, v69, v77 :: v_dual_cndmask_b32 v86, v68, v68
	v_cndmask_b32_e64 v89, v71, v82, s2
	v_cndmask_b32_e64 v88, v70, v70, s2
	s_mov_b32 s2, exec_lo
	s_delay_alu instid0(VALU_DEP_1)
	v_cmpx_ngt_f64_e32 v[86:87], v[88:89]
	s_xor_b32 s2, exec_lo, s2
	s_cbranch_execz .LBB32_28
; %bb.27:
	v_div_scale_f64 v[86:87], null, v[70:71], v[70:71], v[68:69]
	v_div_scale_f64 v[92:93], vcc_lo, v[68:69], v[70:71], v[68:69]
	s_delay_alu instid0(VALU_DEP_2) | instskip(SKIP_2) | instid1(VALU_DEP_1)
	v_rcp_f64_e32 v[88:89], v[86:87]
	s_waitcnt_depctr 0xfff
	v_fma_f64 v[90:91], -v[86:87], v[88:89], 1.0
	v_fma_f64 v[88:89], v[88:89], v[90:91], v[88:89]
	s_delay_alu instid0(VALU_DEP_1) | instskip(NEXT) | instid1(VALU_DEP_1)
	v_fma_f64 v[90:91], -v[86:87], v[88:89], 1.0
	v_fma_f64 v[88:89], v[88:89], v[90:91], v[88:89]
	s_delay_alu instid0(VALU_DEP_1) | instskip(NEXT) | instid1(VALU_DEP_1)
	v_mul_f64 v[90:91], v[92:93], v[88:89]
	v_fma_f64 v[86:87], -v[86:87], v[90:91], v[92:93]
	s_delay_alu instid0(VALU_DEP_1) | instskip(NEXT) | instid1(VALU_DEP_1)
	v_div_fmas_f64 v[86:87], v[86:87], v[88:89], v[90:91]
	v_div_fixup_f64 v[86:87], v[86:87], v[70:71], v[68:69]
	s_delay_alu instid0(VALU_DEP_1) | instskip(NEXT) | instid1(VALU_DEP_1)
	v_fma_f64 v[68:69], v[68:69], v[86:87], v[70:71]
	v_div_scale_f64 v[70:71], null, v[68:69], v[68:69], 1.0
	s_delay_alu instid0(VALU_DEP_1) | instskip(SKIP_2) | instid1(VALU_DEP_1)
	v_rcp_f64_e32 v[88:89], v[70:71]
	s_waitcnt_depctr 0xfff
	v_fma_f64 v[90:91], -v[70:71], v[88:89], 1.0
	v_fma_f64 v[88:89], v[88:89], v[90:91], v[88:89]
	s_delay_alu instid0(VALU_DEP_1) | instskip(NEXT) | instid1(VALU_DEP_1)
	v_fma_f64 v[90:91], -v[70:71], v[88:89], 1.0
	v_fma_f64 v[88:89], v[88:89], v[90:91], v[88:89]
	v_div_scale_f64 v[90:91], vcc_lo, 1.0, v[68:69], 1.0
	s_delay_alu instid0(VALU_DEP_1) | instskip(NEXT) | instid1(VALU_DEP_1)
	v_mul_f64 v[92:93], v[90:91], v[88:89]
	v_fma_f64 v[70:71], -v[70:71], v[92:93], v[90:91]
	s_delay_alu instid0(VALU_DEP_1) | instskip(NEXT) | instid1(VALU_DEP_1)
	v_div_fmas_f64 v[70:71], v[70:71], v[88:89], v[92:93]
	v_div_fixup_f64 v[70:71], v[70:71], v[68:69], 1.0
	s_delay_alu instid0(VALU_DEP_1)
	v_mul_f64 v[68:69], v[86:87], v[70:71]
	v_xor_b32_e32 v71, 0x80000000, v71
.LBB32_28:
	s_and_not1_saveexec_b32 s2, s2
	s_cbranch_execz .LBB32_30
; %bb.29:
	s_delay_alu instid0(VALU_DEP_1) | instskip(SKIP_1) | instid1(VALU_DEP_2)
	v_div_scale_f64 v[86:87], null, v[68:69], v[68:69], v[70:71]
	v_div_scale_f64 v[92:93], vcc_lo, v[70:71], v[68:69], v[70:71]
	v_rcp_f64_e32 v[88:89], v[86:87]
	s_waitcnt_depctr 0xfff
	v_fma_f64 v[90:91], -v[86:87], v[88:89], 1.0
	s_delay_alu instid0(VALU_DEP_1) | instskip(NEXT) | instid1(VALU_DEP_1)
	v_fma_f64 v[88:89], v[88:89], v[90:91], v[88:89]
	v_fma_f64 v[90:91], -v[86:87], v[88:89], 1.0
	s_delay_alu instid0(VALU_DEP_1) | instskip(NEXT) | instid1(VALU_DEP_1)
	v_fma_f64 v[88:89], v[88:89], v[90:91], v[88:89]
	v_mul_f64 v[90:91], v[92:93], v[88:89]
	s_delay_alu instid0(VALU_DEP_1) | instskip(NEXT) | instid1(VALU_DEP_1)
	v_fma_f64 v[86:87], -v[86:87], v[90:91], v[92:93]
	v_div_fmas_f64 v[86:87], v[86:87], v[88:89], v[90:91]
	s_delay_alu instid0(VALU_DEP_1) | instskip(NEXT) | instid1(VALU_DEP_1)
	v_div_fixup_f64 v[86:87], v[86:87], v[68:69], v[70:71]
	v_fma_f64 v[68:69], v[70:71], v[86:87], v[68:69]
	s_delay_alu instid0(VALU_DEP_1) | instskip(NEXT) | instid1(VALU_DEP_1)
	v_div_scale_f64 v[70:71], null, v[68:69], v[68:69], 1.0
	v_rcp_f64_e32 v[88:89], v[70:71]
	s_waitcnt_depctr 0xfff
	v_fma_f64 v[90:91], -v[70:71], v[88:89], 1.0
	s_delay_alu instid0(VALU_DEP_1) | instskip(NEXT) | instid1(VALU_DEP_1)
	v_fma_f64 v[88:89], v[88:89], v[90:91], v[88:89]
	v_fma_f64 v[90:91], -v[70:71], v[88:89], 1.0
	s_delay_alu instid0(VALU_DEP_1) | instskip(SKIP_1) | instid1(VALU_DEP_1)
	v_fma_f64 v[88:89], v[88:89], v[90:91], v[88:89]
	v_div_scale_f64 v[90:91], vcc_lo, 1.0, v[68:69], 1.0
	v_mul_f64 v[92:93], v[90:91], v[88:89]
	s_delay_alu instid0(VALU_DEP_1) | instskip(NEXT) | instid1(VALU_DEP_1)
	v_fma_f64 v[70:71], -v[70:71], v[92:93], v[90:91]
	v_div_fmas_f64 v[70:71], v[70:71], v[88:89], v[92:93]
	s_delay_alu instid0(VALU_DEP_1) | instskip(NEXT) | instid1(VALU_DEP_1)
	v_div_fixup_f64 v[68:69], v[70:71], v[68:69], 1.0
	v_mul_f64 v[70:71], v[86:87], -v[68:69]
.LBB32_30:
	s_or_b32 exec_lo, exec_lo, s2
	v_mov_b32_e32 v82, v85
.LBB32_31:
	s_or_b32 exec_lo, exec_lo, s3
	s_delay_alu instid0(SALU_CYCLE_1)
	s_mov_b32 s2, exec_lo
	v_cmpx_ne_u32_e64 v84, v76
	s_xor_b32 s2, exec_lo, s2
	s_cbranch_execz .LBB32_37
; %bb.32:
	s_mov_b32 s3, exec_lo
	v_cmpx_eq_u32_e32 1, v84
	s_cbranch_execz .LBB32_36
; %bb.33:
	v_cmp_ne_u32_e32 vcc_lo, 1, v76
	s_xor_b32 s6, s4, -1
	s_delay_alu instid0(SALU_CYCLE_1) | instskip(NEXT) | instid1(SALU_CYCLE_1)
	s_and_b32 s7, s6, vcc_lo
	s_and_saveexec_b32 s6, s7
	s_cbranch_execz .LBB32_35
; %bb.34:
	v_ashrrev_i32_e32 v77, 31, v76
	s_delay_alu instid0(VALU_DEP_1) | instskip(NEXT) | instid1(VALU_DEP_1)
	v_lshlrev_b64 v[84:85], 2, v[76:77]
	v_add_co_u32 v84, vcc_lo, v74, v84
	s_delay_alu instid0(VALU_DEP_2)
	v_add_co_ci_u32_e32 v85, vcc_lo, v75, v85, vcc_lo
	s_clause 0x1
	flat_load_b32 v77, v[84:85]
	flat_load_b32 v81, v[74:75] offset:4
	s_waitcnt vmcnt(1) lgkmcnt(1)
	flat_store_b32 v[74:75], v77 offset:4
	s_waitcnt vmcnt(0) lgkmcnt(1)
	flat_store_b32 v[84:85], v81
.LBB32_35:
	s_or_b32 exec_lo, exec_lo, s6
	v_mov_b32_e32 v84, v76
	v_mov_b32_e32 v81, v76
.LBB32_36:
	s_or_b32 exec_lo, exec_lo, s3
.LBB32_37:
	s_and_not1_saveexec_b32 s2, s2
	s_cbranch_execz .LBB32_39
; %bb.38:
	v_mov_b32_e32 v84, 1
	ds_store_2addr_b64 v78, v[52:53], v[54:55] offset0:4 offset1:5
	ds_store_2addr_b64 v78, v[48:49], v[50:51] offset0:6 offset1:7
	;; [unrolled: 1-line block ×15, first 2 shown]
.LBB32_39:
	s_or_b32 exec_lo, exec_lo, s2
	s_delay_alu instid0(SALU_CYCLE_1)
	s_mov_b32 s2, exec_lo
	s_waitcnt lgkmcnt(0)
	s_waitcnt_vscnt null, 0x0
	s_barrier
	buffer_gl0_inv
	v_cmpx_lt_i32_e32 1, v84
	s_cbranch_execz .LBB32_41
; %bb.40:
	v_mul_f64 v[76:77], v[68:69], v[62:63]
	v_mul_f64 v[62:63], v[70:71], v[62:63]
	ds_load_2addr_b64 v[85:88], v78 offset0:4 offset1:5
	ds_load_2addr_b64 v[89:92], v78 offset0:6 offset1:7
	;; [unrolled: 1-line block ×15, first 2 shown]
	v_fma_f64 v[70:71], v[70:71], v[60:61], v[76:77]
	v_fma_f64 v[60:61], v[68:69], v[60:61], -v[62:63]
	s_waitcnt lgkmcnt(14)
	s_delay_alu instid0(VALU_DEP_2)
	v_mul_f64 v[62:63], v[87:88], v[70:71]
	v_mul_f64 v[68:69], v[85:86], v[70:71]
	s_waitcnt lgkmcnt(13)
	v_mul_f64 v[76:77], v[91:92], v[70:71]
	v_mul_f64 v[145:146], v[89:90], v[70:71]
	s_waitcnt lgkmcnt(12)
	;; [unrolled: 3-line block ×14, first 2 shown]
	v_mul_f64 v[195:196], v[143:144], v[70:71]
	v_mul_f64 v[197:198], v[141:142], v[70:71]
	v_fma_f64 v[62:63], v[85:86], v[60:61], -v[62:63]
	v_fma_f64 v[68:69], v[87:88], v[60:61], v[68:69]
	v_fma_f64 v[76:77], v[89:90], v[60:61], -v[76:77]
	v_fma_f64 v[85:86], v[91:92], v[60:61], v[145:146]
	;; [unrolled: 2-line block ×15, first 2 shown]
	v_add_f64 v[52:53], v[52:53], -v[62:63]
	v_add_f64 v[54:55], v[54:55], -v[68:69]
	;; [unrolled: 1-line block ×30, first 2 shown]
	v_dual_mov_b32 v62, v70 :: v_dual_mov_b32 v63, v71
.LBB32_41:
	s_or_b32 exec_lo, exec_lo, s2
	v_lshl_add_u32 v68, v84, 4, v78
	s_barrier
	buffer_gl0_inv
	v_mov_b32_e32 v76, 2
	ds_store_2addr_b64 v68, v[52:53], v[54:55] offset1:1
	s_waitcnt lgkmcnt(0)
	s_barrier
	buffer_gl0_inv
	ds_load_2addr_b64 v[68:71], v78 offset0:4 offset1:5
	s_cmp_lt_i32 s5, 4
	s_cbranch_scc1 .LBB32_44
; %bb.42:
	v_add3_u32 v77, v83, 0, 48
	v_mov_b32_e32 v76, 2
	s_mov_b32 s6, 3
	s_set_inst_prefetch_distance 0x1
	.p2align	6
.LBB32_43:                              ; =>This Inner Loop Header: Depth=1
	ds_load_2addr_b64 v[85:88], v77 offset1:1
	s_waitcnt lgkmcnt(1)
	v_cmp_gt_f64_e32 vcc_lo, 0, v[68:69]
	v_xor_b32_e32 v89, 0x80000000, v69
	v_cmp_gt_f64_e64 s2, 0, v[70:71]
	v_xor_b32_e32 v91, 0x80000000, v71
	v_add_nc_u32_e32 v77, 16, v77
	s_waitcnt lgkmcnt(0)
	v_cmp_gt_f64_e64 s3, 0, v[85:86]
	v_mov_b32_e32 v93, v85
	v_dual_mov_b32 v95, v87 :: v_dual_cndmask_b32 v90, v69, v89
	v_xor_b32_e32 v89, 0x80000000, v86
	v_cndmask_b32_e64 v92, v71, v91, s2
	v_xor_b32_e32 v91, 0x80000000, v88
	s_delay_alu instid0(VALU_DEP_3) | instskip(SKIP_2) | instid1(VALU_DEP_2)
	v_cndmask_b32_e64 v94, v86, v89, s3
	v_cmp_gt_f64_e64 s3, 0, v[87:88]
	v_cndmask_b32_e32 v89, v68, v68, vcc_lo
	v_cndmask_b32_e64 v96, v88, v91, s3
	v_cndmask_b32_e64 v91, v70, v70, s2
	s_delay_alu instid0(VALU_DEP_2) | instskip(NEXT) | instid1(VALU_DEP_2)
	v_add_f64 v[93:94], v[93:94], v[95:96]
	v_add_f64 v[89:90], v[89:90], v[91:92]
	s_delay_alu instid0(VALU_DEP_1) | instskip(SKIP_4) | instid1(SALU_CYCLE_1)
	v_cmp_lt_f64_e32 vcc_lo, v[89:90], v[93:94]
	v_dual_cndmask_b32 v70, v70, v87 :: v_dual_cndmask_b32 v69, v69, v86
	v_dual_cndmask_b32 v68, v68, v85 :: v_dual_cndmask_b32 v71, v71, v88
	v_cndmask_b32_e64 v76, v76, s6, vcc_lo
	s_add_i32 s6, s6, 1
	s_cmp_lg_u32 s5, s6
	s_cbranch_scc1 .LBB32_43
.LBB32_44:
	s_set_inst_prefetch_distance 0x2
	s_waitcnt lgkmcnt(0)
	v_cmp_eq_f64_e32 vcc_lo, 0, v[68:69]
	v_cmp_eq_f64_e64 s2, 0, v[70:71]
	s_delay_alu instid0(VALU_DEP_1) | instskip(NEXT) | instid1(SALU_CYCLE_1)
	s_and_b32 s2, vcc_lo, s2
	s_and_saveexec_b32 s3, s2
	s_delay_alu instid0(SALU_CYCLE_1)
	s_xor_b32 s2, exec_lo, s3
; %bb.45:
	v_cmp_ne_u32_e32 vcc_lo, 0, v82
	v_cndmask_b32_e32 v82, 3, v82, vcc_lo
; %bb.46:
	s_and_not1_saveexec_b32 s3, s2
	s_cbranch_execz .LBB32_52
; %bb.47:
	v_cmp_gt_f64_e32 vcc_lo, 0, v[68:69]
	v_cmp_gt_f64_e64 s2, 0, v[70:71]
	v_xor_b32_e32 v77, 0x80000000, v69
	v_xor_b32_e32 v85, 0x80000000, v71
	s_delay_alu instid0(VALU_DEP_2) | instskip(NEXT) | instid1(VALU_DEP_2)
	v_cndmask_b32_e32 v86, v69, v77, vcc_lo
	v_cndmask_b32_e64 v88, v71, v85, s2
	v_cndmask_b32_e32 v85, v68, v68, vcc_lo
	v_cndmask_b32_e64 v87, v70, v70, s2
	s_mov_b32 s2, exec_lo
	s_delay_alu instid0(VALU_DEP_1)
	v_cmpx_ngt_f64_e32 v[85:86], v[87:88]
	s_xor_b32 s2, exec_lo, s2
	s_cbranch_execz .LBB32_49
; %bb.48:
	v_div_scale_f64 v[85:86], null, v[70:71], v[70:71], v[68:69]
	v_div_scale_f64 v[91:92], vcc_lo, v[68:69], v[70:71], v[68:69]
	s_delay_alu instid0(VALU_DEP_2) | instskip(SKIP_2) | instid1(VALU_DEP_1)
	v_rcp_f64_e32 v[87:88], v[85:86]
	s_waitcnt_depctr 0xfff
	v_fma_f64 v[89:90], -v[85:86], v[87:88], 1.0
	v_fma_f64 v[87:88], v[87:88], v[89:90], v[87:88]
	s_delay_alu instid0(VALU_DEP_1) | instskip(NEXT) | instid1(VALU_DEP_1)
	v_fma_f64 v[89:90], -v[85:86], v[87:88], 1.0
	v_fma_f64 v[87:88], v[87:88], v[89:90], v[87:88]
	s_delay_alu instid0(VALU_DEP_1) | instskip(NEXT) | instid1(VALU_DEP_1)
	v_mul_f64 v[89:90], v[91:92], v[87:88]
	v_fma_f64 v[85:86], -v[85:86], v[89:90], v[91:92]
	s_delay_alu instid0(VALU_DEP_1) | instskip(NEXT) | instid1(VALU_DEP_1)
	v_div_fmas_f64 v[85:86], v[85:86], v[87:88], v[89:90]
	v_div_fixup_f64 v[85:86], v[85:86], v[70:71], v[68:69]
	s_delay_alu instid0(VALU_DEP_1) | instskip(NEXT) | instid1(VALU_DEP_1)
	v_fma_f64 v[68:69], v[68:69], v[85:86], v[70:71]
	v_div_scale_f64 v[70:71], null, v[68:69], v[68:69], 1.0
	s_delay_alu instid0(VALU_DEP_1) | instskip(SKIP_2) | instid1(VALU_DEP_1)
	v_rcp_f64_e32 v[87:88], v[70:71]
	s_waitcnt_depctr 0xfff
	v_fma_f64 v[89:90], -v[70:71], v[87:88], 1.0
	v_fma_f64 v[87:88], v[87:88], v[89:90], v[87:88]
	s_delay_alu instid0(VALU_DEP_1) | instskip(NEXT) | instid1(VALU_DEP_1)
	v_fma_f64 v[89:90], -v[70:71], v[87:88], 1.0
	v_fma_f64 v[87:88], v[87:88], v[89:90], v[87:88]
	v_div_scale_f64 v[89:90], vcc_lo, 1.0, v[68:69], 1.0
	s_delay_alu instid0(VALU_DEP_1) | instskip(NEXT) | instid1(VALU_DEP_1)
	v_mul_f64 v[91:92], v[89:90], v[87:88]
	v_fma_f64 v[70:71], -v[70:71], v[91:92], v[89:90]
	s_delay_alu instid0(VALU_DEP_1) | instskip(NEXT) | instid1(VALU_DEP_1)
	v_div_fmas_f64 v[70:71], v[70:71], v[87:88], v[91:92]
	v_div_fixup_f64 v[70:71], v[70:71], v[68:69], 1.0
	s_delay_alu instid0(VALU_DEP_1)
	v_mul_f64 v[68:69], v[85:86], v[70:71]
	v_xor_b32_e32 v71, 0x80000000, v71
.LBB32_49:
	s_and_not1_saveexec_b32 s2, s2
	s_cbranch_execz .LBB32_51
; %bb.50:
	s_delay_alu instid0(VALU_DEP_1) | instskip(SKIP_1) | instid1(VALU_DEP_2)
	v_div_scale_f64 v[85:86], null, v[68:69], v[68:69], v[70:71]
	v_div_scale_f64 v[91:92], vcc_lo, v[70:71], v[68:69], v[70:71]
	v_rcp_f64_e32 v[87:88], v[85:86]
	s_waitcnt_depctr 0xfff
	v_fma_f64 v[89:90], -v[85:86], v[87:88], 1.0
	s_delay_alu instid0(VALU_DEP_1) | instskip(NEXT) | instid1(VALU_DEP_1)
	v_fma_f64 v[87:88], v[87:88], v[89:90], v[87:88]
	v_fma_f64 v[89:90], -v[85:86], v[87:88], 1.0
	s_delay_alu instid0(VALU_DEP_1) | instskip(NEXT) | instid1(VALU_DEP_1)
	v_fma_f64 v[87:88], v[87:88], v[89:90], v[87:88]
	v_mul_f64 v[89:90], v[91:92], v[87:88]
	s_delay_alu instid0(VALU_DEP_1) | instskip(NEXT) | instid1(VALU_DEP_1)
	v_fma_f64 v[85:86], -v[85:86], v[89:90], v[91:92]
	v_div_fmas_f64 v[85:86], v[85:86], v[87:88], v[89:90]
	s_delay_alu instid0(VALU_DEP_1) | instskip(NEXT) | instid1(VALU_DEP_1)
	v_div_fixup_f64 v[85:86], v[85:86], v[68:69], v[70:71]
	v_fma_f64 v[68:69], v[70:71], v[85:86], v[68:69]
	s_delay_alu instid0(VALU_DEP_1) | instskip(NEXT) | instid1(VALU_DEP_1)
	v_div_scale_f64 v[70:71], null, v[68:69], v[68:69], 1.0
	v_rcp_f64_e32 v[87:88], v[70:71]
	s_waitcnt_depctr 0xfff
	v_fma_f64 v[89:90], -v[70:71], v[87:88], 1.0
	s_delay_alu instid0(VALU_DEP_1) | instskip(NEXT) | instid1(VALU_DEP_1)
	v_fma_f64 v[87:88], v[87:88], v[89:90], v[87:88]
	v_fma_f64 v[89:90], -v[70:71], v[87:88], 1.0
	s_delay_alu instid0(VALU_DEP_1) | instskip(SKIP_1) | instid1(VALU_DEP_1)
	v_fma_f64 v[87:88], v[87:88], v[89:90], v[87:88]
	v_div_scale_f64 v[89:90], vcc_lo, 1.0, v[68:69], 1.0
	v_mul_f64 v[91:92], v[89:90], v[87:88]
	s_delay_alu instid0(VALU_DEP_1) | instskip(NEXT) | instid1(VALU_DEP_1)
	v_fma_f64 v[70:71], -v[70:71], v[91:92], v[89:90]
	v_div_fmas_f64 v[70:71], v[70:71], v[87:88], v[91:92]
	s_delay_alu instid0(VALU_DEP_1) | instskip(NEXT) | instid1(VALU_DEP_1)
	v_div_fixup_f64 v[68:69], v[70:71], v[68:69], 1.0
	v_mul_f64 v[70:71], v[85:86], -v[68:69]
.LBB32_51:
	s_or_b32 exec_lo, exec_lo, s2
.LBB32_52:
	s_delay_alu instid0(SALU_CYCLE_1) | instskip(NEXT) | instid1(SALU_CYCLE_1)
	s_or_b32 exec_lo, exec_lo, s3
	s_mov_b32 s2, exec_lo
	v_cmpx_ne_u32_e64 v84, v76
	s_xor_b32 s2, exec_lo, s2
	s_cbranch_execz .LBB32_58
; %bb.53:
	s_mov_b32 s3, exec_lo
	v_cmpx_eq_u32_e32 2, v84
	s_cbranch_execz .LBB32_57
; %bb.54:
	v_cmp_ne_u32_e32 vcc_lo, 2, v76
	s_xor_b32 s6, s4, -1
	s_delay_alu instid0(SALU_CYCLE_1) | instskip(NEXT) | instid1(SALU_CYCLE_1)
	s_and_b32 s7, s6, vcc_lo
	s_and_saveexec_b32 s6, s7
	s_cbranch_execz .LBB32_56
; %bb.55:
	v_ashrrev_i32_e32 v77, 31, v76
	s_delay_alu instid0(VALU_DEP_1) | instskip(NEXT) | instid1(VALU_DEP_1)
	v_lshlrev_b64 v[84:85], 2, v[76:77]
	v_add_co_u32 v84, vcc_lo, v74, v84
	s_delay_alu instid0(VALU_DEP_2)
	v_add_co_ci_u32_e32 v85, vcc_lo, v75, v85, vcc_lo
	s_clause 0x1
	flat_load_b32 v77, v[84:85]
	flat_load_b32 v81, v[74:75] offset:8
	s_waitcnt vmcnt(1) lgkmcnt(1)
	flat_store_b32 v[74:75], v77 offset:8
	s_waitcnt vmcnt(0) lgkmcnt(1)
	flat_store_b32 v[84:85], v81
.LBB32_56:
	s_or_b32 exec_lo, exec_lo, s6
	v_mov_b32_e32 v84, v76
	v_mov_b32_e32 v81, v76
.LBB32_57:
	s_or_b32 exec_lo, exec_lo, s3
.LBB32_58:
	s_and_not1_saveexec_b32 s2, s2
	s_cbranch_execz .LBB32_60
; %bb.59:
	v_mov_b32_e32 v84, 2
	ds_store_2addr_b64 v78, v[48:49], v[50:51] offset0:6 offset1:7
	ds_store_2addr_b64 v78, v[64:65], v[66:67] offset0:8 offset1:9
	;; [unrolled: 1-line block ×14, first 2 shown]
.LBB32_60:
	s_or_b32 exec_lo, exec_lo, s2
	s_delay_alu instid0(SALU_CYCLE_1)
	s_mov_b32 s2, exec_lo
	s_waitcnt lgkmcnt(0)
	s_waitcnt_vscnt null, 0x0
	s_barrier
	buffer_gl0_inv
	v_cmpx_lt_i32_e32 2, v84
	s_cbranch_execz .LBB32_62
; %bb.61:
	v_mul_f64 v[76:77], v[68:69], v[54:55]
	v_mul_f64 v[54:55], v[70:71], v[54:55]
	ds_load_2addr_b64 v[85:88], v78 offset0:6 offset1:7
	ds_load_2addr_b64 v[89:92], v78 offset0:8 offset1:9
	;; [unrolled: 1-line block ×14, first 2 shown]
	v_fma_f64 v[70:71], v[70:71], v[52:53], v[76:77]
	v_fma_f64 v[52:53], v[68:69], v[52:53], -v[54:55]
	s_waitcnt lgkmcnt(13)
	s_delay_alu instid0(VALU_DEP_2)
	v_mul_f64 v[54:55], v[87:88], v[70:71]
	v_mul_f64 v[68:69], v[85:86], v[70:71]
	s_waitcnt lgkmcnt(12)
	v_mul_f64 v[76:77], v[91:92], v[70:71]
	v_mul_f64 v[141:142], v[89:90], v[70:71]
	s_waitcnt lgkmcnt(11)
	;; [unrolled: 3-line block ×13, first 2 shown]
	v_mul_f64 v[187:188], v[139:140], v[70:71]
	v_mul_f64 v[189:190], v[137:138], v[70:71]
	v_fma_f64 v[54:55], v[85:86], v[52:53], -v[54:55]
	v_fma_f64 v[68:69], v[87:88], v[52:53], v[68:69]
	v_fma_f64 v[76:77], v[89:90], v[52:53], -v[76:77]
	v_fma_f64 v[85:86], v[91:92], v[52:53], v[141:142]
	;; [unrolled: 2-line block ×14, first 2 shown]
	v_add_f64 v[48:49], v[48:49], -v[54:55]
	v_add_f64 v[50:51], v[50:51], -v[68:69]
	;; [unrolled: 1-line block ×28, first 2 shown]
	v_dual_mov_b32 v54, v70 :: v_dual_mov_b32 v55, v71
.LBB32_62:
	s_or_b32 exec_lo, exec_lo, s2
	v_lshl_add_u32 v68, v84, 4, v78
	s_barrier
	buffer_gl0_inv
	v_mov_b32_e32 v76, 3
	ds_store_2addr_b64 v68, v[48:49], v[50:51] offset1:1
	s_waitcnt lgkmcnt(0)
	s_barrier
	buffer_gl0_inv
	ds_load_2addr_b64 v[68:71], v78 offset0:6 offset1:7
	s_cmp_lt_i32 s5, 5
	s_mov_b32 s6, 4
	s_cbranch_scc1 .LBB32_65
; %bb.63:
	v_add3_u32 v77, v83, 0, 64
	v_mov_b32_e32 v76, 3
	s_set_inst_prefetch_distance 0x1
	.p2align	6
.LBB32_64:                              ; =>This Inner Loop Header: Depth=1
	ds_load_2addr_b64 v[85:88], v77 offset1:1
	s_waitcnt lgkmcnt(1)
	v_cmp_gt_f64_e32 vcc_lo, 0, v[68:69]
	v_xor_b32_e32 v89, 0x80000000, v69
	v_cmp_gt_f64_e64 s2, 0, v[70:71]
	v_xor_b32_e32 v91, 0x80000000, v71
	v_add_nc_u32_e32 v77, 16, v77
	s_waitcnt lgkmcnt(0)
	v_cmp_gt_f64_e64 s3, 0, v[85:86]
	v_mov_b32_e32 v93, v85
	v_dual_mov_b32 v95, v87 :: v_dual_cndmask_b32 v90, v69, v89
	v_xor_b32_e32 v89, 0x80000000, v86
	v_cndmask_b32_e64 v92, v71, v91, s2
	v_xor_b32_e32 v91, 0x80000000, v88
	s_delay_alu instid0(VALU_DEP_3) | instskip(SKIP_2) | instid1(VALU_DEP_2)
	v_cndmask_b32_e64 v94, v86, v89, s3
	v_cmp_gt_f64_e64 s3, 0, v[87:88]
	v_cndmask_b32_e32 v89, v68, v68, vcc_lo
	v_cndmask_b32_e64 v96, v88, v91, s3
	v_cndmask_b32_e64 v91, v70, v70, s2
	s_delay_alu instid0(VALU_DEP_2) | instskip(NEXT) | instid1(VALU_DEP_2)
	v_add_f64 v[93:94], v[93:94], v[95:96]
	v_add_f64 v[89:90], v[89:90], v[91:92]
	s_delay_alu instid0(VALU_DEP_1) | instskip(SKIP_4) | instid1(SALU_CYCLE_1)
	v_cmp_lt_f64_e32 vcc_lo, v[89:90], v[93:94]
	v_dual_cndmask_b32 v70, v70, v87 :: v_dual_cndmask_b32 v69, v69, v86
	v_dual_cndmask_b32 v68, v68, v85 :: v_dual_cndmask_b32 v71, v71, v88
	v_cndmask_b32_e64 v76, v76, s6, vcc_lo
	s_add_i32 s6, s6, 1
	s_cmp_lg_u32 s5, s6
	s_cbranch_scc1 .LBB32_64
.LBB32_65:
	s_set_inst_prefetch_distance 0x2
	s_waitcnt lgkmcnt(0)
	v_cmp_eq_f64_e32 vcc_lo, 0, v[68:69]
	v_cmp_eq_f64_e64 s2, 0, v[70:71]
	s_delay_alu instid0(VALU_DEP_1) | instskip(NEXT) | instid1(SALU_CYCLE_1)
	s_and_b32 s2, vcc_lo, s2
	s_and_saveexec_b32 s3, s2
	s_delay_alu instid0(SALU_CYCLE_1)
	s_xor_b32 s2, exec_lo, s3
; %bb.66:
	v_cmp_ne_u32_e32 vcc_lo, 0, v82
	v_cndmask_b32_e32 v82, 4, v82, vcc_lo
; %bb.67:
	s_and_not1_saveexec_b32 s3, s2
	s_cbranch_execz .LBB32_73
; %bb.68:
	v_cmp_gt_f64_e32 vcc_lo, 0, v[68:69]
	v_cmp_gt_f64_e64 s2, 0, v[70:71]
	v_xor_b32_e32 v77, 0x80000000, v69
	v_xor_b32_e32 v85, 0x80000000, v71
	s_delay_alu instid0(VALU_DEP_2) | instskip(NEXT) | instid1(VALU_DEP_2)
	v_cndmask_b32_e32 v86, v69, v77, vcc_lo
	v_cndmask_b32_e64 v88, v71, v85, s2
	v_cndmask_b32_e32 v85, v68, v68, vcc_lo
	v_cndmask_b32_e64 v87, v70, v70, s2
	s_mov_b32 s2, exec_lo
	s_delay_alu instid0(VALU_DEP_1)
	v_cmpx_ngt_f64_e32 v[85:86], v[87:88]
	s_xor_b32 s2, exec_lo, s2
	s_cbranch_execz .LBB32_70
; %bb.69:
	v_div_scale_f64 v[85:86], null, v[70:71], v[70:71], v[68:69]
	v_div_scale_f64 v[91:92], vcc_lo, v[68:69], v[70:71], v[68:69]
	s_delay_alu instid0(VALU_DEP_2) | instskip(SKIP_2) | instid1(VALU_DEP_1)
	v_rcp_f64_e32 v[87:88], v[85:86]
	s_waitcnt_depctr 0xfff
	v_fma_f64 v[89:90], -v[85:86], v[87:88], 1.0
	v_fma_f64 v[87:88], v[87:88], v[89:90], v[87:88]
	s_delay_alu instid0(VALU_DEP_1) | instskip(NEXT) | instid1(VALU_DEP_1)
	v_fma_f64 v[89:90], -v[85:86], v[87:88], 1.0
	v_fma_f64 v[87:88], v[87:88], v[89:90], v[87:88]
	s_delay_alu instid0(VALU_DEP_1) | instskip(NEXT) | instid1(VALU_DEP_1)
	v_mul_f64 v[89:90], v[91:92], v[87:88]
	v_fma_f64 v[85:86], -v[85:86], v[89:90], v[91:92]
	s_delay_alu instid0(VALU_DEP_1) | instskip(NEXT) | instid1(VALU_DEP_1)
	v_div_fmas_f64 v[85:86], v[85:86], v[87:88], v[89:90]
	v_div_fixup_f64 v[85:86], v[85:86], v[70:71], v[68:69]
	s_delay_alu instid0(VALU_DEP_1) | instskip(NEXT) | instid1(VALU_DEP_1)
	v_fma_f64 v[68:69], v[68:69], v[85:86], v[70:71]
	v_div_scale_f64 v[70:71], null, v[68:69], v[68:69], 1.0
	s_delay_alu instid0(VALU_DEP_1) | instskip(SKIP_2) | instid1(VALU_DEP_1)
	v_rcp_f64_e32 v[87:88], v[70:71]
	s_waitcnt_depctr 0xfff
	v_fma_f64 v[89:90], -v[70:71], v[87:88], 1.0
	v_fma_f64 v[87:88], v[87:88], v[89:90], v[87:88]
	s_delay_alu instid0(VALU_DEP_1) | instskip(NEXT) | instid1(VALU_DEP_1)
	v_fma_f64 v[89:90], -v[70:71], v[87:88], 1.0
	v_fma_f64 v[87:88], v[87:88], v[89:90], v[87:88]
	v_div_scale_f64 v[89:90], vcc_lo, 1.0, v[68:69], 1.0
	s_delay_alu instid0(VALU_DEP_1) | instskip(NEXT) | instid1(VALU_DEP_1)
	v_mul_f64 v[91:92], v[89:90], v[87:88]
	v_fma_f64 v[70:71], -v[70:71], v[91:92], v[89:90]
	s_delay_alu instid0(VALU_DEP_1) | instskip(NEXT) | instid1(VALU_DEP_1)
	v_div_fmas_f64 v[70:71], v[70:71], v[87:88], v[91:92]
	v_div_fixup_f64 v[70:71], v[70:71], v[68:69], 1.0
	s_delay_alu instid0(VALU_DEP_1)
	v_mul_f64 v[68:69], v[85:86], v[70:71]
	v_xor_b32_e32 v71, 0x80000000, v71
.LBB32_70:
	s_and_not1_saveexec_b32 s2, s2
	s_cbranch_execz .LBB32_72
; %bb.71:
	s_delay_alu instid0(VALU_DEP_1) | instskip(SKIP_1) | instid1(VALU_DEP_2)
	v_div_scale_f64 v[85:86], null, v[68:69], v[68:69], v[70:71]
	v_div_scale_f64 v[91:92], vcc_lo, v[70:71], v[68:69], v[70:71]
	v_rcp_f64_e32 v[87:88], v[85:86]
	s_waitcnt_depctr 0xfff
	v_fma_f64 v[89:90], -v[85:86], v[87:88], 1.0
	s_delay_alu instid0(VALU_DEP_1) | instskip(NEXT) | instid1(VALU_DEP_1)
	v_fma_f64 v[87:88], v[87:88], v[89:90], v[87:88]
	v_fma_f64 v[89:90], -v[85:86], v[87:88], 1.0
	s_delay_alu instid0(VALU_DEP_1) | instskip(NEXT) | instid1(VALU_DEP_1)
	v_fma_f64 v[87:88], v[87:88], v[89:90], v[87:88]
	v_mul_f64 v[89:90], v[91:92], v[87:88]
	s_delay_alu instid0(VALU_DEP_1) | instskip(NEXT) | instid1(VALU_DEP_1)
	v_fma_f64 v[85:86], -v[85:86], v[89:90], v[91:92]
	v_div_fmas_f64 v[85:86], v[85:86], v[87:88], v[89:90]
	s_delay_alu instid0(VALU_DEP_1) | instskip(NEXT) | instid1(VALU_DEP_1)
	v_div_fixup_f64 v[85:86], v[85:86], v[68:69], v[70:71]
	v_fma_f64 v[68:69], v[70:71], v[85:86], v[68:69]
	s_delay_alu instid0(VALU_DEP_1) | instskip(NEXT) | instid1(VALU_DEP_1)
	v_div_scale_f64 v[70:71], null, v[68:69], v[68:69], 1.0
	v_rcp_f64_e32 v[87:88], v[70:71]
	s_waitcnt_depctr 0xfff
	v_fma_f64 v[89:90], -v[70:71], v[87:88], 1.0
	s_delay_alu instid0(VALU_DEP_1) | instskip(NEXT) | instid1(VALU_DEP_1)
	v_fma_f64 v[87:88], v[87:88], v[89:90], v[87:88]
	v_fma_f64 v[89:90], -v[70:71], v[87:88], 1.0
	s_delay_alu instid0(VALU_DEP_1) | instskip(SKIP_1) | instid1(VALU_DEP_1)
	v_fma_f64 v[87:88], v[87:88], v[89:90], v[87:88]
	v_div_scale_f64 v[89:90], vcc_lo, 1.0, v[68:69], 1.0
	v_mul_f64 v[91:92], v[89:90], v[87:88]
	s_delay_alu instid0(VALU_DEP_1) | instskip(NEXT) | instid1(VALU_DEP_1)
	v_fma_f64 v[70:71], -v[70:71], v[91:92], v[89:90]
	v_div_fmas_f64 v[70:71], v[70:71], v[87:88], v[91:92]
	s_delay_alu instid0(VALU_DEP_1) | instskip(NEXT) | instid1(VALU_DEP_1)
	v_div_fixup_f64 v[68:69], v[70:71], v[68:69], 1.0
	v_mul_f64 v[70:71], v[85:86], -v[68:69]
.LBB32_72:
	s_or_b32 exec_lo, exec_lo, s2
.LBB32_73:
	s_delay_alu instid0(SALU_CYCLE_1) | instskip(NEXT) | instid1(SALU_CYCLE_1)
	s_or_b32 exec_lo, exec_lo, s3
	s_mov_b32 s2, exec_lo
	v_cmpx_ne_u32_e64 v84, v76
	s_xor_b32 s2, exec_lo, s2
	s_cbranch_execz .LBB32_79
; %bb.74:
	s_mov_b32 s3, exec_lo
	v_cmpx_eq_u32_e32 3, v84
	s_cbranch_execz .LBB32_78
; %bb.75:
	v_cmp_ne_u32_e32 vcc_lo, 3, v76
	s_xor_b32 s6, s4, -1
	s_delay_alu instid0(SALU_CYCLE_1) | instskip(NEXT) | instid1(SALU_CYCLE_1)
	s_and_b32 s7, s6, vcc_lo
	s_and_saveexec_b32 s6, s7
	s_cbranch_execz .LBB32_77
; %bb.76:
	v_ashrrev_i32_e32 v77, 31, v76
	s_delay_alu instid0(VALU_DEP_1) | instskip(NEXT) | instid1(VALU_DEP_1)
	v_lshlrev_b64 v[84:85], 2, v[76:77]
	v_add_co_u32 v84, vcc_lo, v74, v84
	s_delay_alu instid0(VALU_DEP_2)
	v_add_co_ci_u32_e32 v85, vcc_lo, v75, v85, vcc_lo
	s_clause 0x1
	flat_load_b32 v77, v[84:85]
	flat_load_b32 v81, v[74:75] offset:12
	s_waitcnt vmcnt(1) lgkmcnt(1)
	flat_store_b32 v[74:75], v77 offset:12
	s_waitcnt vmcnt(0) lgkmcnt(1)
	flat_store_b32 v[84:85], v81
.LBB32_77:
	s_or_b32 exec_lo, exec_lo, s6
	v_mov_b32_e32 v84, v76
	v_mov_b32_e32 v81, v76
.LBB32_78:
	s_or_b32 exec_lo, exec_lo, s3
.LBB32_79:
	s_and_not1_saveexec_b32 s2, s2
	s_cbranch_execz .LBB32_81
; %bb.80:
	v_mov_b32_e32 v84, 3
	ds_store_2addr_b64 v78, v[64:65], v[66:67] offset0:8 offset1:9
	ds_store_2addr_b64 v78, v[40:41], v[42:43] offset0:10 offset1:11
	;; [unrolled: 1-line block ×13, first 2 shown]
.LBB32_81:
	s_or_b32 exec_lo, exec_lo, s2
	s_delay_alu instid0(SALU_CYCLE_1)
	s_mov_b32 s2, exec_lo
	s_waitcnt lgkmcnt(0)
	s_waitcnt_vscnt null, 0x0
	s_barrier
	buffer_gl0_inv
	v_cmpx_lt_i32_e32 3, v84
	s_cbranch_execz .LBB32_83
; %bb.82:
	v_mul_f64 v[76:77], v[68:69], v[50:51]
	v_mul_f64 v[50:51], v[70:71], v[50:51]
	ds_load_2addr_b64 v[85:88], v78 offset0:8 offset1:9
	ds_load_2addr_b64 v[89:92], v78 offset0:10 offset1:11
	;; [unrolled: 1-line block ×13, first 2 shown]
	v_fma_f64 v[70:71], v[70:71], v[48:49], v[76:77]
	v_fma_f64 v[48:49], v[68:69], v[48:49], -v[50:51]
	s_waitcnt lgkmcnt(12)
	s_delay_alu instid0(VALU_DEP_2)
	v_mul_f64 v[50:51], v[87:88], v[70:71]
	v_mul_f64 v[68:69], v[85:86], v[70:71]
	s_waitcnt lgkmcnt(11)
	v_mul_f64 v[76:77], v[91:92], v[70:71]
	v_mul_f64 v[137:138], v[89:90], v[70:71]
	s_waitcnt lgkmcnt(10)
	;; [unrolled: 3-line block ×12, first 2 shown]
	v_mul_f64 v[179:180], v[135:136], v[70:71]
	v_mul_f64 v[181:182], v[133:134], v[70:71]
	v_fma_f64 v[50:51], v[85:86], v[48:49], -v[50:51]
	v_fma_f64 v[68:69], v[87:88], v[48:49], v[68:69]
	v_fma_f64 v[76:77], v[89:90], v[48:49], -v[76:77]
	v_fma_f64 v[85:86], v[91:92], v[48:49], v[137:138]
	;; [unrolled: 2-line block ×13, first 2 shown]
	v_add_f64 v[64:65], v[64:65], -v[50:51]
	v_add_f64 v[66:67], v[66:67], -v[68:69]
	;; [unrolled: 1-line block ×26, first 2 shown]
	v_dual_mov_b32 v50, v70 :: v_dual_mov_b32 v51, v71
.LBB32_83:
	s_or_b32 exec_lo, exec_lo, s2
	v_lshl_add_u32 v68, v84, 4, v78
	s_barrier
	buffer_gl0_inv
	v_mov_b32_e32 v76, 4
	ds_store_2addr_b64 v68, v[64:65], v[66:67] offset1:1
	s_waitcnt lgkmcnt(0)
	s_barrier
	buffer_gl0_inv
	ds_load_2addr_b64 v[68:71], v78 offset0:8 offset1:9
	s_cmp_lt_i32 s5, 6
	s_cbranch_scc1 .LBB32_86
; %bb.84:
	v_add3_u32 v77, v83, 0, 0x50
	v_mov_b32_e32 v76, 4
	s_mov_b32 s6, 5
	s_set_inst_prefetch_distance 0x1
	.p2align	6
.LBB32_85:                              ; =>This Inner Loop Header: Depth=1
	ds_load_2addr_b64 v[85:88], v77 offset1:1
	s_waitcnt lgkmcnt(1)
	v_cmp_gt_f64_e32 vcc_lo, 0, v[68:69]
	v_xor_b32_e32 v89, 0x80000000, v69
	v_cmp_gt_f64_e64 s2, 0, v[70:71]
	v_xor_b32_e32 v91, 0x80000000, v71
	v_add_nc_u32_e32 v77, 16, v77
	s_waitcnt lgkmcnt(0)
	v_cmp_gt_f64_e64 s3, 0, v[85:86]
	v_mov_b32_e32 v93, v85
	v_dual_mov_b32 v95, v87 :: v_dual_cndmask_b32 v90, v69, v89
	v_xor_b32_e32 v89, 0x80000000, v86
	v_cndmask_b32_e64 v92, v71, v91, s2
	v_xor_b32_e32 v91, 0x80000000, v88
	s_delay_alu instid0(VALU_DEP_3) | instskip(SKIP_2) | instid1(VALU_DEP_2)
	v_cndmask_b32_e64 v94, v86, v89, s3
	v_cmp_gt_f64_e64 s3, 0, v[87:88]
	v_cndmask_b32_e32 v89, v68, v68, vcc_lo
	v_cndmask_b32_e64 v96, v88, v91, s3
	v_cndmask_b32_e64 v91, v70, v70, s2
	s_delay_alu instid0(VALU_DEP_2) | instskip(NEXT) | instid1(VALU_DEP_2)
	v_add_f64 v[93:94], v[93:94], v[95:96]
	v_add_f64 v[89:90], v[89:90], v[91:92]
	s_delay_alu instid0(VALU_DEP_1) | instskip(SKIP_4) | instid1(SALU_CYCLE_1)
	v_cmp_lt_f64_e32 vcc_lo, v[89:90], v[93:94]
	v_dual_cndmask_b32 v70, v70, v87 :: v_dual_cndmask_b32 v69, v69, v86
	v_dual_cndmask_b32 v68, v68, v85 :: v_dual_cndmask_b32 v71, v71, v88
	v_cndmask_b32_e64 v76, v76, s6, vcc_lo
	s_add_i32 s6, s6, 1
	s_cmp_lg_u32 s5, s6
	s_cbranch_scc1 .LBB32_85
.LBB32_86:
	s_set_inst_prefetch_distance 0x2
	s_waitcnt lgkmcnt(0)
	v_cmp_eq_f64_e32 vcc_lo, 0, v[68:69]
	v_cmp_eq_f64_e64 s2, 0, v[70:71]
	s_delay_alu instid0(VALU_DEP_1) | instskip(NEXT) | instid1(SALU_CYCLE_1)
	s_and_b32 s2, vcc_lo, s2
	s_and_saveexec_b32 s3, s2
	s_delay_alu instid0(SALU_CYCLE_1)
	s_xor_b32 s2, exec_lo, s3
; %bb.87:
	v_cmp_ne_u32_e32 vcc_lo, 0, v82
	v_cndmask_b32_e32 v82, 5, v82, vcc_lo
; %bb.88:
	s_and_not1_saveexec_b32 s3, s2
	s_cbranch_execz .LBB32_94
; %bb.89:
	v_cmp_gt_f64_e32 vcc_lo, 0, v[68:69]
	v_cmp_gt_f64_e64 s2, 0, v[70:71]
	v_xor_b32_e32 v77, 0x80000000, v69
	v_xor_b32_e32 v85, 0x80000000, v71
	s_delay_alu instid0(VALU_DEP_2) | instskip(NEXT) | instid1(VALU_DEP_2)
	v_cndmask_b32_e32 v86, v69, v77, vcc_lo
	v_cndmask_b32_e64 v88, v71, v85, s2
	v_cndmask_b32_e32 v85, v68, v68, vcc_lo
	v_cndmask_b32_e64 v87, v70, v70, s2
	s_mov_b32 s2, exec_lo
	s_delay_alu instid0(VALU_DEP_1)
	v_cmpx_ngt_f64_e32 v[85:86], v[87:88]
	s_xor_b32 s2, exec_lo, s2
	s_cbranch_execz .LBB32_91
; %bb.90:
	v_div_scale_f64 v[85:86], null, v[70:71], v[70:71], v[68:69]
	v_div_scale_f64 v[91:92], vcc_lo, v[68:69], v[70:71], v[68:69]
	s_delay_alu instid0(VALU_DEP_2) | instskip(SKIP_2) | instid1(VALU_DEP_1)
	v_rcp_f64_e32 v[87:88], v[85:86]
	s_waitcnt_depctr 0xfff
	v_fma_f64 v[89:90], -v[85:86], v[87:88], 1.0
	v_fma_f64 v[87:88], v[87:88], v[89:90], v[87:88]
	s_delay_alu instid0(VALU_DEP_1) | instskip(NEXT) | instid1(VALU_DEP_1)
	v_fma_f64 v[89:90], -v[85:86], v[87:88], 1.0
	v_fma_f64 v[87:88], v[87:88], v[89:90], v[87:88]
	s_delay_alu instid0(VALU_DEP_1) | instskip(NEXT) | instid1(VALU_DEP_1)
	v_mul_f64 v[89:90], v[91:92], v[87:88]
	v_fma_f64 v[85:86], -v[85:86], v[89:90], v[91:92]
	s_delay_alu instid0(VALU_DEP_1) | instskip(NEXT) | instid1(VALU_DEP_1)
	v_div_fmas_f64 v[85:86], v[85:86], v[87:88], v[89:90]
	v_div_fixup_f64 v[85:86], v[85:86], v[70:71], v[68:69]
	s_delay_alu instid0(VALU_DEP_1) | instskip(NEXT) | instid1(VALU_DEP_1)
	v_fma_f64 v[68:69], v[68:69], v[85:86], v[70:71]
	v_div_scale_f64 v[70:71], null, v[68:69], v[68:69], 1.0
	s_delay_alu instid0(VALU_DEP_1) | instskip(SKIP_2) | instid1(VALU_DEP_1)
	v_rcp_f64_e32 v[87:88], v[70:71]
	s_waitcnt_depctr 0xfff
	v_fma_f64 v[89:90], -v[70:71], v[87:88], 1.0
	v_fma_f64 v[87:88], v[87:88], v[89:90], v[87:88]
	s_delay_alu instid0(VALU_DEP_1) | instskip(NEXT) | instid1(VALU_DEP_1)
	v_fma_f64 v[89:90], -v[70:71], v[87:88], 1.0
	v_fma_f64 v[87:88], v[87:88], v[89:90], v[87:88]
	v_div_scale_f64 v[89:90], vcc_lo, 1.0, v[68:69], 1.0
	s_delay_alu instid0(VALU_DEP_1) | instskip(NEXT) | instid1(VALU_DEP_1)
	v_mul_f64 v[91:92], v[89:90], v[87:88]
	v_fma_f64 v[70:71], -v[70:71], v[91:92], v[89:90]
	s_delay_alu instid0(VALU_DEP_1) | instskip(NEXT) | instid1(VALU_DEP_1)
	v_div_fmas_f64 v[70:71], v[70:71], v[87:88], v[91:92]
	v_div_fixup_f64 v[70:71], v[70:71], v[68:69], 1.0
	s_delay_alu instid0(VALU_DEP_1)
	v_mul_f64 v[68:69], v[85:86], v[70:71]
	v_xor_b32_e32 v71, 0x80000000, v71
.LBB32_91:
	s_and_not1_saveexec_b32 s2, s2
	s_cbranch_execz .LBB32_93
; %bb.92:
	s_delay_alu instid0(VALU_DEP_1) | instskip(SKIP_1) | instid1(VALU_DEP_2)
	v_div_scale_f64 v[85:86], null, v[68:69], v[68:69], v[70:71]
	v_div_scale_f64 v[91:92], vcc_lo, v[70:71], v[68:69], v[70:71]
	v_rcp_f64_e32 v[87:88], v[85:86]
	s_waitcnt_depctr 0xfff
	v_fma_f64 v[89:90], -v[85:86], v[87:88], 1.0
	s_delay_alu instid0(VALU_DEP_1) | instskip(NEXT) | instid1(VALU_DEP_1)
	v_fma_f64 v[87:88], v[87:88], v[89:90], v[87:88]
	v_fma_f64 v[89:90], -v[85:86], v[87:88], 1.0
	s_delay_alu instid0(VALU_DEP_1) | instskip(NEXT) | instid1(VALU_DEP_1)
	v_fma_f64 v[87:88], v[87:88], v[89:90], v[87:88]
	v_mul_f64 v[89:90], v[91:92], v[87:88]
	s_delay_alu instid0(VALU_DEP_1) | instskip(NEXT) | instid1(VALU_DEP_1)
	v_fma_f64 v[85:86], -v[85:86], v[89:90], v[91:92]
	v_div_fmas_f64 v[85:86], v[85:86], v[87:88], v[89:90]
	s_delay_alu instid0(VALU_DEP_1) | instskip(NEXT) | instid1(VALU_DEP_1)
	v_div_fixup_f64 v[85:86], v[85:86], v[68:69], v[70:71]
	v_fma_f64 v[68:69], v[70:71], v[85:86], v[68:69]
	s_delay_alu instid0(VALU_DEP_1) | instskip(NEXT) | instid1(VALU_DEP_1)
	v_div_scale_f64 v[70:71], null, v[68:69], v[68:69], 1.0
	v_rcp_f64_e32 v[87:88], v[70:71]
	s_waitcnt_depctr 0xfff
	v_fma_f64 v[89:90], -v[70:71], v[87:88], 1.0
	s_delay_alu instid0(VALU_DEP_1) | instskip(NEXT) | instid1(VALU_DEP_1)
	v_fma_f64 v[87:88], v[87:88], v[89:90], v[87:88]
	v_fma_f64 v[89:90], -v[70:71], v[87:88], 1.0
	s_delay_alu instid0(VALU_DEP_1) | instskip(SKIP_1) | instid1(VALU_DEP_1)
	v_fma_f64 v[87:88], v[87:88], v[89:90], v[87:88]
	v_div_scale_f64 v[89:90], vcc_lo, 1.0, v[68:69], 1.0
	v_mul_f64 v[91:92], v[89:90], v[87:88]
	s_delay_alu instid0(VALU_DEP_1) | instskip(NEXT) | instid1(VALU_DEP_1)
	v_fma_f64 v[70:71], -v[70:71], v[91:92], v[89:90]
	v_div_fmas_f64 v[70:71], v[70:71], v[87:88], v[91:92]
	s_delay_alu instid0(VALU_DEP_1) | instskip(NEXT) | instid1(VALU_DEP_1)
	v_div_fixup_f64 v[68:69], v[70:71], v[68:69], 1.0
	v_mul_f64 v[70:71], v[85:86], -v[68:69]
.LBB32_93:
	s_or_b32 exec_lo, exec_lo, s2
.LBB32_94:
	s_delay_alu instid0(SALU_CYCLE_1) | instskip(NEXT) | instid1(SALU_CYCLE_1)
	s_or_b32 exec_lo, exec_lo, s3
	s_mov_b32 s2, exec_lo
	v_cmpx_ne_u32_e64 v84, v76
	s_xor_b32 s2, exec_lo, s2
	s_cbranch_execz .LBB32_100
; %bb.95:
	s_mov_b32 s3, exec_lo
	v_cmpx_eq_u32_e32 4, v84
	s_cbranch_execz .LBB32_99
; %bb.96:
	v_cmp_ne_u32_e32 vcc_lo, 4, v76
	s_xor_b32 s6, s4, -1
	s_delay_alu instid0(SALU_CYCLE_1) | instskip(NEXT) | instid1(SALU_CYCLE_1)
	s_and_b32 s7, s6, vcc_lo
	s_and_saveexec_b32 s6, s7
	s_cbranch_execz .LBB32_98
; %bb.97:
	v_ashrrev_i32_e32 v77, 31, v76
	s_delay_alu instid0(VALU_DEP_1) | instskip(NEXT) | instid1(VALU_DEP_1)
	v_lshlrev_b64 v[84:85], 2, v[76:77]
	v_add_co_u32 v84, vcc_lo, v74, v84
	s_delay_alu instid0(VALU_DEP_2)
	v_add_co_ci_u32_e32 v85, vcc_lo, v75, v85, vcc_lo
	s_clause 0x1
	flat_load_b32 v77, v[84:85]
	flat_load_b32 v81, v[74:75] offset:16
	s_waitcnt vmcnt(1) lgkmcnt(1)
	flat_store_b32 v[74:75], v77 offset:16
	s_waitcnt vmcnt(0) lgkmcnt(1)
	flat_store_b32 v[84:85], v81
.LBB32_98:
	s_or_b32 exec_lo, exec_lo, s6
	v_mov_b32_e32 v84, v76
	v_mov_b32_e32 v81, v76
.LBB32_99:
	s_or_b32 exec_lo, exec_lo, s3
.LBB32_100:
	s_and_not1_saveexec_b32 s2, s2
	s_cbranch_execz .LBB32_102
; %bb.101:
	v_mov_b32_e32 v84, 4
	ds_store_2addr_b64 v78, v[40:41], v[42:43] offset0:10 offset1:11
	ds_store_2addr_b64 v78, v[44:45], v[46:47] offset0:12 offset1:13
	;; [unrolled: 1-line block ×12, first 2 shown]
.LBB32_102:
	s_or_b32 exec_lo, exec_lo, s2
	s_delay_alu instid0(SALU_CYCLE_1)
	s_mov_b32 s2, exec_lo
	s_waitcnt lgkmcnt(0)
	s_waitcnt_vscnt null, 0x0
	s_barrier
	buffer_gl0_inv
	v_cmpx_lt_i32_e32 4, v84
	s_cbranch_execz .LBB32_104
; %bb.103:
	v_mul_f64 v[76:77], v[68:69], v[66:67]
	v_mul_f64 v[66:67], v[70:71], v[66:67]
	ds_load_2addr_b64 v[85:88], v78 offset0:10 offset1:11
	ds_load_2addr_b64 v[89:92], v78 offset0:12 offset1:13
	;; [unrolled: 1-line block ×12, first 2 shown]
	v_fma_f64 v[70:71], v[70:71], v[64:65], v[76:77]
	v_fma_f64 v[64:65], v[68:69], v[64:65], -v[66:67]
	s_waitcnt lgkmcnt(11)
	s_delay_alu instid0(VALU_DEP_2)
	v_mul_f64 v[66:67], v[87:88], v[70:71]
	v_mul_f64 v[68:69], v[85:86], v[70:71]
	s_waitcnt lgkmcnt(10)
	v_mul_f64 v[76:77], v[91:92], v[70:71]
	v_mul_f64 v[133:134], v[89:90], v[70:71]
	s_waitcnt lgkmcnt(9)
	;; [unrolled: 3-line block ×11, first 2 shown]
	v_mul_f64 v[171:172], v[131:132], v[70:71]
	v_mul_f64 v[173:174], v[129:130], v[70:71]
	v_fma_f64 v[66:67], v[85:86], v[64:65], -v[66:67]
	v_fma_f64 v[68:69], v[87:88], v[64:65], v[68:69]
	v_fma_f64 v[76:77], v[89:90], v[64:65], -v[76:77]
	v_fma_f64 v[85:86], v[91:92], v[64:65], v[133:134]
	;; [unrolled: 2-line block ×12, first 2 shown]
	v_add_f64 v[40:41], v[40:41], -v[66:67]
	v_add_f64 v[42:43], v[42:43], -v[68:69]
	;; [unrolled: 1-line block ×24, first 2 shown]
	v_dual_mov_b32 v66, v70 :: v_dual_mov_b32 v67, v71
.LBB32_104:
	s_or_b32 exec_lo, exec_lo, s2
	v_lshl_add_u32 v68, v84, 4, v78
	s_barrier
	buffer_gl0_inv
	v_mov_b32_e32 v76, 5
	ds_store_2addr_b64 v68, v[40:41], v[42:43] offset1:1
	s_waitcnt lgkmcnt(0)
	s_barrier
	buffer_gl0_inv
	ds_load_2addr_b64 v[68:71], v78 offset0:10 offset1:11
	s_cmp_lt_i32 s5, 7
	s_cbranch_scc1 .LBB32_107
; %bb.105:
	v_add3_u32 v77, v83, 0, 0x60
	v_mov_b32_e32 v76, 5
	s_mov_b32 s6, 6
	s_set_inst_prefetch_distance 0x1
	.p2align	6
.LBB32_106:                             ; =>This Inner Loop Header: Depth=1
	ds_load_2addr_b64 v[85:88], v77 offset1:1
	s_waitcnt lgkmcnt(1)
	v_cmp_gt_f64_e32 vcc_lo, 0, v[68:69]
	v_xor_b32_e32 v89, 0x80000000, v69
	v_cmp_gt_f64_e64 s2, 0, v[70:71]
	v_xor_b32_e32 v91, 0x80000000, v71
	v_add_nc_u32_e32 v77, 16, v77
	s_waitcnt lgkmcnt(0)
	v_cmp_gt_f64_e64 s3, 0, v[85:86]
	v_mov_b32_e32 v93, v85
	v_dual_mov_b32 v95, v87 :: v_dual_cndmask_b32 v90, v69, v89
	v_xor_b32_e32 v89, 0x80000000, v86
	v_cndmask_b32_e64 v92, v71, v91, s2
	v_xor_b32_e32 v91, 0x80000000, v88
	s_delay_alu instid0(VALU_DEP_3) | instskip(SKIP_2) | instid1(VALU_DEP_2)
	v_cndmask_b32_e64 v94, v86, v89, s3
	v_cmp_gt_f64_e64 s3, 0, v[87:88]
	v_cndmask_b32_e32 v89, v68, v68, vcc_lo
	v_cndmask_b32_e64 v96, v88, v91, s3
	v_cndmask_b32_e64 v91, v70, v70, s2
	s_delay_alu instid0(VALU_DEP_2) | instskip(NEXT) | instid1(VALU_DEP_2)
	v_add_f64 v[93:94], v[93:94], v[95:96]
	v_add_f64 v[89:90], v[89:90], v[91:92]
	s_delay_alu instid0(VALU_DEP_1) | instskip(SKIP_4) | instid1(SALU_CYCLE_1)
	v_cmp_lt_f64_e32 vcc_lo, v[89:90], v[93:94]
	v_dual_cndmask_b32 v70, v70, v87 :: v_dual_cndmask_b32 v69, v69, v86
	v_dual_cndmask_b32 v68, v68, v85 :: v_dual_cndmask_b32 v71, v71, v88
	v_cndmask_b32_e64 v76, v76, s6, vcc_lo
	s_add_i32 s6, s6, 1
	s_cmp_lg_u32 s5, s6
	s_cbranch_scc1 .LBB32_106
.LBB32_107:
	s_set_inst_prefetch_distance 0x2
	s_waitcnt lgkmcnt(0)
	v_cmp_eq_f64_e32 vcc_lo, 0, v[68:69]
	v_cmp_eq_f64_e64 s2, 0, v[70:71]
	s_delay_alu instid0(VALU_DEP_1) | instskip(NEXT) | instid1(SALU_CYCLE_1)
	s_and_b32 s2, vcc_lo, s2
	s_and_saveexec_b32 s3, s2
	s_delay_alu instid0(SALU_CYCLE_1)
	s_xor_b32 s2, exec_lo, s3
; %bb.108:
	v_cmp_ne_u32_e32 vcc_lo, 0, v82
	v_cndmask_b32_e32 v82, 6, v82, vcc_lo
; %bb.109:
	s_and_not1_saveexec_b32 s3, s2
	s_cbranch_execz .LBB32_115
; %bb.110:
	v_cmp_gt_f64_e32 vcc_lo, 0, v[68:69]
	v_cmp_gt_f64_e64 s2, 0, v[70:71]
	v_xor_b32_e32 v77, 0x80000000, v69
	v_xor_b32_e32 v85, 0x80000000, v71
	s_delay_alu instid0(VALU_DEP_2) | instskip(NEXT) | instid1(VALU_DEP_2)
	v_cndmask_b32_e32 v86, v69, v77, vcc_lo
	v_cndmask_b32_e64 v88, v71, v85, s2
	v_cndmask_b32_e32 v85, v68, v68, vcc_lo
	v_cndmask_b32_e64 v87, v70, v70, s2
	s_mov_b32 s2, exec_lo
	s_delay_alu instid0(VALU_DEP_1)
	v_cmpx_ngt_f64_e32 v[85:86], v[87:88]
	s_xor_b32 s2, exec_lo, s2
	s_cbranch_execz .LBB32_112
; %bb.111:
	v_div_scale_f64 v[85:86], null, v[70:71], v[70:71], v[68:69]
	v_div_scale_f64 v[91:92], vcc_lo, v[68:69], v[70:71], v[68:69]
	s_delay_alu instid0(VALU_DEP_2) | instskip(SKIP_2) | instid1(VALU_DEP_1)
	v_rcp_f64_e32 v[87:88], v[85:86]
	s_waitcnt_depctr 0xfff
	v_fma_f64 v[89:90], -v[85:86], v[87:88], 1.0
	v_fma_f64 v[87:88], v[87:88], v[89:90], v[87:88]
	s_delay_alu instid0(VALU_DEP_1) | instskip(NEXT) | instid1(VALU_DEP_1)
	v_fma_f64 v[89:90], -v[85:86], v[87:88], 1.0
	v_fma_f64 v[87:88], v[87:88], v[89:90], v[87:88]
	s_delay_alu instid0(VALU_DEP_1) | instskip(NEXT) | instid1(VALU_DEP_1)
	v_mul_f64 v[89:90], v[91:92], v[87:88]
	v_fma_f64 v[85:86], -v[85:86], v[89:90], v[91:92]
	s_delay_alu instid0(VALU_DEP_1) | instskip(NEXT) | instid1(VALU_DEP_1)
	v_div_fmas_f64 v[85:86], v[85:86], v[87:88], v[89:90]
	v_div_fixup_f64 v[85:86], v[85:86], v[70:71], v[68:69]
	s_delay_alu instid0(VALU_DEP_1) | instskip(NEXT) | instid1(VALU_DEP_1)
	v_fma_f64 v[68:69], v[68:69], v[85:86], v[70:71]
	v_div_scale_f64 v[70:71], null, v[68:69], v[68:69], 1.0
	s_delay_alu instid0(VALU_DEP_1) | instskip(SKIP_2) | instid1(VALU_DEP_1)
	v_rcp_f64_e32 v[87:88], v[70:71]
	s_waitcnt_depctr 0xfff
	v_fma_f64 v[89:90], -v[70:71], v[87:88], 1.0
	v_fma_f64 v[87:88], v[87:88], v[89:90], v[87:88]
	s_delay_alu instid0(VALU_DEP_1) | instskip(NEXT) | instid1(VALU_DEP_1)
	v_fma_f64 v[89:90], -v[70:71], v[87:88], 1.0
	v_fma_f64 v[87:88], v[87:88], v[89:90], v[87:88]
	v_div_scale_f64 v[89:90], vcc_lo, 1.0, v[68:69], 1.0
	s_delay_alu instid0(VALU_DEP_1) | instskip(NEXT) | instid1(VALU_DEP_1)
	v_mul_f64 v[91:92], v[89:90], v[87:88]
	v_fma_f64 v[70:71], -v[70:71], v[91:92], v[89:90]
	s_delay_alu instid0(VALU_DEP_1) | instskip(NEXT) | instid1(VALU_DEP_1)
	v_div_fmas_f64 v[70:71], v[70:71], v[87:88], v[91:92]
	v_div_fixup_f64 v[70:71], v[70:71], v[68:69], 1.0
	s_delay_alu instid0(VALU_DEP_1)
	v_mul_f64 v[68:69], v[85:86], v[70:71]
	v_xor_b32_e32 v71, 0x80000000, v71
.LBB32_112:
	s_and_not1_saveexec_b32 s2, s2
	s_cbranch_execz .LBB32_114
; %bb.113:
	s_delay_alu instid0(VALU_DEP_1) | instskip(SKIP_1) | instid1(VALU_DEP_2)
	v_div_scale_f64 v[85:86], null, v[68:69], v[68:69], v[70:71]
	v_div_scale_f64 v[91:92], vcc_lo, v[70:71], v[68:69], v[70:71]
	v_rcp_f64_e32 v[87:88], v[85:86]
	s_waitcnt_depctr 0xfff
	v_fma_f64 v[89:90], -v[85:86], v[87:88], 1.0
	s_delay_alu instid0(VALU_DEP_1) | instskip(NEXT) | instid1(VALU_DEP_1)
	v_fma_f64 v[87:88], v[87:88], v[89:90], v[87:88]
	v_fma_f64 v[89:90], -v[85:86], v[87:88], 1.0
	s_delay_alu instid0(VALU_DEP_1) | instskip(NEXT) | instid1(VALU_DEP_1)
	v_fma_f64 v[87:88], v[87:88], v[89:90], v[87:88]
	v_mul_f64 v[89:90], v[91:92], v[87:88]
	s_delay_alu instid0(VALU_DEP_1) | instskip(NEXT) | instid1(VALU_DEP_1)
	v_fma_f64 v[85:86], -v[85:86], v[89:90], v[91:92]
	v_div_fmas_f64 v[85:86], v[85:86], v[87:88], v[89:90]
	s_delay_alu instid0(VALU_DEP_1) | instskip(NEXT) | instid1(VALU_DEP_1)
	v_div_fixup_f64 v[85:86], v[85:86], v[68:69], v[70:71]
	v_fma_f64 v[68:69], v[70:71], v[85:86], v[68:69]
	s_delay_alu instid0(VALU_DEP_1) | instskip(NEXT) | instid1(VALU_DEP_1)
	v_div_scale_f64 v[70:71], null, v[68:69], v[68:69], 1.0
	v_rcp_f64_e32 v[87:88], v[70:71]
	s_waitcnt_depctr 0xfff
	v_fma_f64 v[89:90], -v[70:71], v[87:88], 1.0
	s_delay_alu instid0(VALU_DEP_1) | instskip(NEXT) | instid1(VALU_DEP_1)
	v_fma_f64 v[87:88], v[87:88], v[89:90], v[87:88]
	v_fma_f64 v[89:90], -v[70:71], v[87:88], 1.0
	s_delay_alu instid0(VALU_DEP_1) | instskip(SKIP_1) | instid1(VALU_DEP_1)
	v_fma_f64 v[87:88], v[87:88], v[89:90], v[87:88]
	v_div_scale_f64 v[89:90], vcc_lo, 1.0, v[68:69], 1.0
	v_mul_f64 v[91:92], v[89:90], v[87:88]
	s_delay_alu instid0(VALU_DEP_1) | instskip(NEXT) | instid1(VALU_DEP_1)
	v_fma_f64 v[70:71], -v[70:71], v[91:92], v[89:90]
	v_div_fmas_f64 v[70:71], v[70:71], v[87:88], v[91:92]
	s_delay_alu instid0(VALU_DEP_1) | instskip(NEXT) | instid1(VALU_DEP_1)
	v_div_fixup_f64 v[68:69], v[70:71], v[68:69], 1.0
	v_mul_f64 v[70:71], v[85:86], -v[68:69]
.LBB32_114:
	s_or_b32 exec_lo, exec_lo, s2
.LBB32_115:
	s_delay_alu instid0(SALU_CYCLE_1) | instskip(NEXT) | instid1(SALU_CYCLE_1)
	s_or_b32 exec_lo, exec_lo, s3
	s_mov_b32 s2, exec_lo
	v_cmpx_ne_u32_e64 v84, v76
	s_xor_b32 s2, exec_lo, s2
	s_cbranch_execz .LBB32_121
; %bb.116:
	s_mov_b32 s3, exec_lo
	v_cmpx_eq_u32_e32 5, v84
	s_cbranch_execz .LBB32_120
; %bb.117:
	v_cmp_ne_u32_e32 vcc_lo, 5, v76
	s_xor_b32 s6, s4, -1
	s_delay_alu instid0(SALU_CYCLE_1) | instskip(NEXT) | instid1(SALU_CYCLE_1)
	s_and_b32 s7, s6, vcc_lo
	s_and_saveexec_b32 s6, s7
	s_cbranch_execz .LBB32_119
; %bb.118:
	v_ashrrev_i32_e32 v77, 31, v76
	s_delay_alu instid0(VALU_DEP_1) | instskip(NEXT) | instid1(VALU_DEP_1)
	v_lshlrev_b64 v[84:85], 2, v[76:77]
	v_add_co_u32 v84, vcc_lo, v74, v84
	s_delay_alu instid0(VALU_DEP_2)
	v_add_co_ci_u32_e32 v85, vcc_lo, v75, v85, vcc_lo
	s_clause 0x1
	flat_load_b32 v77, v[84:85]
	flat_load_b32 v81, v[74:75] offset:20
	s_waitcnt vmcnt(1) lgkmcnt(1)
	flat_store_b32 v[74:75], v77 offset:20
	s_waitcnt vmcnt(0) lgkmcnt(1)
	flat_store_b32 v[84:85], v81
.LBB32_119:
	s_or_b32 exec_lo, exec_lo, s6
	v_mov_b32_e32 v84, v76
	v_mov_b32_e32 v81, v76
.LBB32_120:
	s_or_b32 exec_lo, exec_lo, s3
.LBB32_121:
	s_and_not1_saveexec_b32 s2, s2
	s_cbranch_execz .LBB32_123
; %bb.122:
	v_mov_b32_e32 v84, 5
	ds_store_2addr_b64 v78, v[44:45], v[46:47] offset0:12 offset1:13
	ds_store_2addr_b64 v78, v[36:37], v[38:39] offset0:14 offset1:15
	;; [unrolled: 1-line block ×11, first 2 shown]
.LBB32_123:
	s_or_b32 exec_lo, exec_lo, s2
	s_delay_alu instid0(SALU_CYCLE_1)
	s_mov_b32 s2, exec_lo
	s_waitcnt lgkmcnt(0)
	s_waitcnt_vscnt null, 0x0
	s_barrier
	buffer_gl0_inv
	v_cmpx_lt_i32_e32 5, v84
	s_cbranch_execz .LBB32_125
; %bb.124:
	v_mul_f64 v[76:77], v[68:69], v[42:43]
	v_mul_f64 v[42:43], v[70:71], v[42:43]
	ds_load_2addr_b64 v[85:88], v78 offset0:12 offset1:13
	ds_load_2addr_b64 v[89:92], v78 offset0:14 offset1:15
	;; [unrolled: 1-line block ×11, first 2 shown]
	v_fma_f64 v[70:71], v[70:71], v[40:41], v[76:77]
	v_fma_f64 v[40:41], v[68:69], v[40:41], -v[42:43]
	s_waitcnt lgkmcnt(10)
	s_delay_alu instid0(VALU_DEP_2)
	v_mul_f64 v[42:43], v[87:88], v[70:71]
	v_mul_f64 v[68:69], v[85:86], v[70:71]
	s_waitcnt lgkmcnt(9)
	v_mul_f64 v[76:77], v[91:92], v[70:71]
	v_mul_f64 v[129:130], v[89:90], v[70:71]
	s_waitcnt lgkmcnt(8)
	v_mul_f64 v[131:132], v[95:96], v[70:71]
	v_mul_f64 v[133:134], v[93:94], v[70:71]
	s_waitcnt lgkmcnt(7)
	v_mul_f64 v[135:136], v[99:100], v[70:71]
	v_mul_f64 v[137:138], v[97:98], v[70:71]
	s_waitcnt lgkmcnt(6)
	v_mul_f64 v[139:140], v[103:104], v[70:71]
	v_mul_f64 v[141:142], v[101:102], v[70:71]
	s_waitcnt lgkmcnt(5)
	v_mul_f64 v[143:144], v[107:108], v[70:71]
	v_mul_f64 v[145:146], v[105:106], v[70:71]
	s_waitcnt lgkmcnt(4)
	v_mul_f64 v[147:148], v[111:112], v[70:71]
	v_mul_f64 v[149:150], v[109:110], v[70:71]
	s_waitcnt lgkmcnt(3)
	v_mul_f64 v[151:152], v[115:116], v[70:71]
	v_mul_f64 v[153:154], v[113:114], v[70:71]
	s_waitcnt lgkmcnt(2)
	v_mul_f64 v[155:156], v[119:120], v[70:71]
	v_mul_f64 v[157:158], v[117:118], v[70:71]
	s_waitcnt lgkmcnt(1)
	v_mul_f64 v[159:160], v[123:124], v[70:71]
	v_mul_f64 v[161:162], v[121:122], v[70:71]
	s_waitcnt lgkmcnt(0)
	v_mul_f64 v[163:164], v[127:128], v[70:71]
	v_mul_f64 v[165:166], v[125:126], v[70:71]
	v_fma_f64 v[42:43], v[85:86], v[40:41], -v[42:43]
	v_fma_f64 v[68:69], v[87:88], v[40:41], v[68:69]
	v_fma_f64 v[76:77], v[89:90], v[40:41], -v[76:77]
	v_fma_f64 v[85:86], v[91:92], v[40:41], v[129:130]
	;; [unrolled: 2-line block ×11, first 2 shown]
	v_add_f64 v[44:45], v[44:45], -v[42:43]
	v_add_f64 v[46:47], v[46:47], -v[68:69]
	;; [unrolled: 1-line block ×22, first 2 shown]
	v_dual_mov_b32 v42, v70 :: v_dual_mov_b32 v43, v71
.LBB32_125:
	s_or_b32 exec_lo, exec_lo, s2
	v_lshl_add_u32 v68, v84, 4, v78
	s_barrier
	buffer_gl0_inv
	v_mov_b32_e32 v76, 6
	ds_store_2addr_b64 v68, v[44:45], v[46:47] offset1:1
	s_waitcnt lgkmcnt(0)
	s_barrier
	buffer_gl0_inv
	ds_load_2addr_b64 v[68:71], v78 offset0:12 offset1:13
	s_cmp_lt_i32 s5, 8
	s_cbranch_scc1 .LBB32_128
; %bb.126:
	v_add3_u32 v77, v83, 0, 0x70
	v_mov_b32_e32 v76, 6
	s_mov_b32 s6, 7
	s_set_inst_prefetch_distance 0x1
	.p2align	6
.LBB32_127:                             ; =>This Inner Loop Header: Depth=1
	ds_load_2addr_b64 v[85:88], v77 offset1:1
	s_waitcnt lgkmcnt(1)
	v_cmp_gt_f64_e32 vcc_lo, 0, v[68:69]
	v_xor_b32_e32 v89, 0x80000000, v69
	v_cmp_gt_f64_e64 s2, 0, v[70:71]
	v_xor_b32_e32 v91, 0x80000000, v71
	v_add_nc_u32_e32 v77, 16, v77
	s_waitcnt lgkmcnt(0)
	v_cmp_gt_f64_e64 s3, 0, v[85:86]
	v_mov_b32_e32 v93, v85
	v_dual_mov_b32 v95, v87 :: v_dual_cndmask_b32 v90, v69, v89
	v_xor_b32_e32 v89, 0x80000000, v86
	v_cndmask_b32_e64 v92, v71, v91, s2
	v_xor_b32_e32 v91, 0x80000000, v88
	s_delay_alu instid0(VALU_DEP_3) | instskip(SKIP_2) | instid1(VALU_DEP_2)
	v_cndmask_b32_e64 v94, v86, v89, s3
	v_cmp_gt_f64_e64 s3, 0, v[87:88]
	v_cndmask_b32_e32 v89, v68, v68, vcc_lo
	v_cndmask_b32_e64 v96, v88, v91, s3
	v_cndmask_b32_e64 v91, v70, v70, s2
	s_delay_alu instid0(VALU_DEP_2) | instskip(NEXT) | instid1(VALU_DEP_2)
	v_add_f64 v[93:94], v[93:94], v[95:96]
	v_add_f64 v[89:90], v[89:90], v[91:92]
	s_delay_alu instid0(VALU_DEP_1) | instskip(SKIP_4) | instid1(SALU_CYCLE_1)
	v_cmp_lt_f64_e32 vcc_lo, v[89:90], v[93:94]
	v_dual_cndmask_b32 v70, v70, v87 :: v_dual_cndmask_b32 v69, v69, v86
	v_dual_cndmask_b32 v68, v68, v85 :: v_dual_cndmask_b32 v71, v71, v88
	v_cndmask_b32_e64 v76, v76, s6, vcc_lo
	s_add_i32 s6, s6, 1
	s_cmp_lg_u32 s5, s6
	s_cbranch_scc1 .LBB32_127
.LBB32_128:
	s_set_inst_prefetch_distance 0x2
	s_waitcnt lgkmcnt(0)
	v_cmp_eq_f64_e32 vcc_lo, 0, v[68:69]
	v_cmp_eq_f64_e64 s2, 0, v[70:71]
	s_delay_alu instid0(VALU_DEP_1) | instskip(NEXT) | instid1(SALU_CYCLE_1)
	s_and_b32 s2, vcc_lo, s2
	s_and_saveexec_b32 s3, s2
	s_delay_alu instid0(SALU_CYCLE_1)
	s_xor_b32 s2, exec_lo, s3
; %bb.129:
	v_cmp_ne_u32_e32 vcc_lo, 0, v82
	v_cndmask_b32_e32 v82, 7, v82, vcc_lo
; %bb.130:
	s_and_not1_saveexec_b32 s3, s2
	s_cbranch_execz .LBB32_136
; %bb.131:
	v_cmp_gt_f64_e32 vcc_lo, 0, v[68:69]
	v_cmp_gt_f64_e64 s2, 0, v[70:71]
	v_xor_b32_e32 v77, 0x80000000, v69
	v_xor_b32_e32 v85, 0x80000000, v71
	s_delay_alu instid0(VALU_DEP_2) | instskip(NEXT) | instid1(VALU_DEP_2)
	v_cndmask_b32_e32 v86, v69, v77, vcc_lo
	v_cndmask_b32_e64 v88, v71, v85, s2
	v_cndmask_b32_e32 v85, v68, v68, vcc_lo
	v_cndmask_b32_e64 v87, v70, v70, s2
	s_mov_b32 s2, exec_lo
	s_delay_alu instid0(VALU_DEP_1)
	v_cmpx_ngt_f64_e32 v[85:86], v[87:88]
	s_xor_b32 s2, exec_lo, s2
	s_cbranch_execz .LBB32_133
; %bb.132:
	v_div_scale_f64 v[85:86], null, v[70:71], v[70:71], v[68:69]
	v_div_scale_f64 v[91:92], vcc_lo, v[68:69], v[70:71], v[68:69]
	s_delay_alu instid0(VALU_DEP_2) | instskip(SKIP_2) | instid1(VALU_DEP_1)
	v_rcp_f64_e32 v[87:88], v[85:86]
	s_waitcnt_depctr 0xfff
	v_fma_f64 v[89:90], -v[85:86], v[87:88], 1.0
	v_fma_f64 v[87:88], v[87:88], v[89:90], v[87:88]
	s_delay_alu instid0(VALU_DEP_1) | instskip(NEXT) | instid1(VALU_DEP_1)
	v_fma_f64 v[89:90], -v[85:86], v[87:88], 1.0
	v_fma_f64 v[87:88], v[87:88], v[89:90], v[87:88]
	s_delay_alu instid0(VALU_DEP_1) | instskip(NEXT) | instid1(VALU_DEP_1)
	v_mul_f64 v[89:90], v[91:92], v[87:88]
	v_fma_f64 v[85:86], -v[85:86], v[89:90], v[91:92]
	s_delay_alu instid0(VALU_DEP_1) | instskip(NEXT) | instid1(VALU_DEP_1)
	v_div_fmas_f64 v[85:86], v[85:86], v[87:88], v[89:90]
	v_div_fixup_f64 v[85:86], v[85:86], v[70:71], v[68:69]
	s_delay_alu instid0(VALU_DEP_1) | instskip(NEXT) | instid1(VALU_DEP_1)
	v_fma_f64 v[68:69], v[68:69], v[85:86], v[70:71]
	v_div_scale_f64 v[70:71], null, v[68:69], v[68:69], 1.0
	s_delay_alu instid0(VALU_DEP_1) | instskip(SKIP_2) | instid1(VALU_DEP_1)
	v_rcp_f64_e32 v[87:88], v[70:71]
	s_waitcnt_depctr 0xfff
	v_fma_f64 v[89:90], -v[70:71], v[87:88], 1.0
	v_fma_f64 v[87:88], v[87:88], v[89:90], v[87:88]
	s_delay_alu instid0(VALU_DEP_1) | instskip(NEXT) | instid1(VALU_DEP_1)
	v_fma_f64 v[89:90], -v[70:71], v[87:88], 1.0
	v_fma_f64 v[87:88], v[87:88], v[89:90], v[87:88]
	v_div_scale_f64 v[89:90], vcc_lo, 1.0, v[68:69], 1.0
	s_delay_alu instid0(VALU_DEP_1) | instskip(NEXT) | instid1(VALU_DEP_1)
	v_mul_f64 v[91:92], v[89:90], v[87:88]
	v_fma_f64 v[70:71], -v[70:71], v[91:92], v[89:90]
	s_delay_alu instid0(VALU_DEP_1) | instskip(NEXT) | instid1(VALU_DEP_1)
	v_div_fmas_f64 v[70:71], v[70:71], v[87:88], v[91:92]
	v_div_fixup_f64 v[70:71], v[70:71], v[68:69], 1.0
	s_delay_alu instid0(VALU_DEP_1)
	v_mul_f64 v[68:69], v[85:86], v[70:71]
	v_xor_b32_e32 v71, 0x80000000, v71
.LBB32_133:
	s_and_not1_saveexec_b32 s2, s2
	s_cbranch_execz .LBB32_135
; %bb.134:
	s_delay_alu instid0(VALU_DEP_1) | instskip(SKIP_1) | instid1(VALU_DEP_2)
	v_div_scale_f64 v[85:86], null, v[68:69], v[68:69], v[70:71]
	v_div_scale_f64 v[91:92], vcc_lo, v[70:71], v[68:69], v[70:71]
	v_rcp_f64_e32 v[87:88], v[85:86]
	s_waitcnt_depctr 0xfff
	v_fma_f64 v[89:90], -v[85:86], v[87:88], 1.0
	s_delay_alu instid0(VALU_DEP_1) | instskip(NEXT) | instid1(VALU_DEP_1)
	v_fma_f64 v[87:88], v[87:88], v[89:90], v[87:88]
	v_fma_f64 v[89:90], -v[85:86], v[87:88], 1.0
	s_delay_alu instid0(VALU_DEP_1) | instskip(NEXT) | instid1(VALU_DEP_1)
	v_fma_f64 v[87:88], v[87:88], v[89:90], v[87:88]
	v_mul_f64 v[89:90], v[91:92], v[87:88]
	s_delay_alu instid0(VALU_DEP_1) | instskip(NEXT) | instid1(VALU_DEP_1)
	v_fma_f64 v[85:86], -v[85:86], v[89:90], v[91:92]
	v_div_fmas_f64 v[85:86], v[85:86], v[87:88], v[89:90]
	s_delay_alu instid0(VALU_DEP_1) | instskip(NEXT) | instid1(VALU_DEP_1)
	v_div_fixup_f64 v[85:86], v[85:86], v[68:69], v[70:71]
	v_fma_f64 v[68:69], v[70:71], v[85:86], v[68:69]
	s_delay_alu instid0(VALU_DEP_1) | instskip(NEXT) | instid1(VALU_DEP_1)
	v_div_scale_f64 v[70:71], null, v[68:69], v[68:69], 1.0
	v_rcp_f64_e32 v[87:88], v[70:71]
	s_waitcnt_depctr 0xfff
	v_fma_f64 v[89:90], -v[70:71], v[87:88], 1.0
	s_delay_alu instid0(VALU_DEP_1) | instskip(NEXT) | instid1(VALU_DEP_1)
	v_fma_f64 v[87:88], v[87:88], v[89:90], v[87:88]
	v_fma_f64 v[89:90], -v[70:71], v[87:88], 1.0
	s_delay_alu instid0(VALU_DEP_1) | instskip(SKIP_1) | instid1(VALU_DEP_1)
	v_fma_f64 v[87:88], v[87:88], v[89:90], v[87:88]
	v_div_scale_f64 v[89:90], vcc_lo, 1.0, v[68:69], 1.0
	v_mul_f64 v[91:92], v[89:90], v[87:88]
	s_delay_alu instid0(VALU_DEP_1) | instskip(NEXT) | instid1(VALU_DEP_1)
	v_fma_f64 v[70:71], -v[70:71], v[91:92], v[89:90]
	v_div_fmas_f64 v[70:71], v[70:71], v[87:88], v[91:92]
	s_delay_alu instid0(VALU_DEP_1) | instskip(NEXT) | instid1(VALU_DEP_1)
	v_div_fixup_f64 v[68:69], v[70:71], v[68:69], 1.0
	v_mul_f64 v[70:71], v[85:86], -v[68:69]
.LBB32_135:
	s_or_b32 exec_lo, exec_lo, s2
.LBB32_136:
	s_delay_alu instid0(SALU_CYCLE_1) | instskip(NEXT) | instid1(SALU_CYCLE_1)
	s_or_b32 exec_lo, exec_lo, s3
	s_mov_b32 s2, exec_lo
	v_cmpx_ne_u32_e64 v84, v76
	s_xor_b32 s2, exec_lo, s2
	s_cbranch_execz .LBB32_142
; %bb.137:
	s_mov_b32 s3, exec_lo
	v_cmpx_eq_u32_e32 6, v84
	s_cbranch_execz .LBB32_141
; %bb.138:
	v_cmp_ne_u32_e32 vcc_lo, 6, v76
	s_xor_b32 s6, s4, -1
	s_delay_alu instid0(SALU_CYCLE_1) | instskip(NEXT) | instid1(SALU_CYCLE_1)
	s_and_b32 s7, s6, vcc_lo
	s_and_saveexec_b32 s6, s7
	s_cbranch_execz .LBB32_140
; %bb.139:
	v_ashrrev_i32_e32 v77, 31, v76
	s_delay_alu instid0(VALU_DEP_1) | instskip(NEXT) | instid1(VALU_DEP_1)
	v_lshlrev_b64 v[84:85], 2, v[76:77]
	v_add_co_u32 v84, vcc_lo, v74, v84
	s_delay_alu instid0(VALU_DEP_2)
	v_add_co_ci_u32_e32 v85, vcc_lo, v75, v85, vcc_lo
	s_clause 0x1
	flat_load_b32 v77, v[84:85]
	flat_load_b32 v81, v[74:75] offset:24
	s_waitcnt vmcnt(1) lgkmcnt(1)
	flat_store_b32 v[74:75], v77 offset:24
	s_waitcnt vmcnt(0) lgkmcnt(1)
	flat_store_b32 v[84:85], v81
.LBB32_140:
	s_or_b32 exec_lo, exec_lo, s6
	v_mov_b32_e32 v84, v76
	v_mov_b32_e32 v81, v76
.LBB32_141:
	s_or_b32 exec_lo, exec_lo, s3
.LBB32_142:
	s_and_not1_saveexec_b32 s2, s2
	s_cbranch_execz .LBB32_144
; %bb.143:
	v_mov_b32_e32 v84, 6
	ds_store_2addr_b64 v78, v[36:37], v[38:39] offset0:14 offset1:15
	ds_store_2addr_b64 v78, v[32:33], v[34:35] offset0:16 offset1:17
	;; [unrolled: 1-line block ×10, first 2 shown]
.LBB32_144:
	s_or_b32 exec_lo, exec_lo, s2
	s_delay_alu instid0(SALU_CYCLE_1)
	s_mov_b32 s2, exec_lo
	s_waitcnt lgkmcnt(0)
	s_waitcnt_vscnt null, 0x0
	s_barrier
	buffer_gl0_inv
	v_cmpx_lt_i32_e32 6, v84
	s_cbranch_execz .LBB32_146
; %bb.145:
	v_mul_f64 v[76:77], v[68:69], v[46:47]
	v_mul_f64 v[46:47], v[70:71], v[46:47]
	ds_load_2addr_b64 v[85:88], v78 offset0:14 offset1:15
	ds_load_2addr_b64 v[89:92], v78 offset0:16 offset1:17
	;; [unrolled: 1-line block ×10, first 2 shown]
	v_fma_f64 v[70:71], v[70:71], v[44:45], v[76:77]
	v_fma_f64 v[44:45], v[68:69], v[44:45], -v[46:47]
	s_waitcnt lgkmcnt(9)
	s_delay_alu instid0(VALU_DEP_2)
	v_mul_f64 v[46:47], v[87:88], v[70:71]
	v_mul_f64 v[68:69], v[85:86], v[70:71]
	s_waitcnt lgkmcnt(8)
	v_mul_f64 v[76:77], v[91:92], v[70:71]
	v_mul_f64 v[125:126], v[89:90], v[70:71]
	s_waitcnt lgkmcnt(7)
	;; [unrolled: 3-line block ×9, first 2 shown]
	v_mul_f64 v[155:156], v[123:124], v[70:71]
	v_mul_f64 v[157:158], v[121:122], v[70:71]
	v_fma_f64 v[46:47], v[85:86], v[44:45], -v[46:47]
	v_fma_f64 v[68:69], v[87:88], v[44:45], v[68:69]
	v_fma_f64 v[76:77], v[89:90], v[44:45], -v[76:77]
	v_fma_f64 v[85:86], v[91:92], v[44:45], v[125:126]
	;; [unrolled: 2-line block ×10, first 2 shown]
	v_add_f64 v[36:37], v[36:37], -v[46:47]
	v_add_f64 v[38:39], v[38:39], -v[68:69]
	;; [unrolled: 1-line block ×20, first 2 shown]
	v_dual_mov_b32 v46, v70 :: v_dual_mov_b32 v47, v71
.LBB32_146:
	s_or_b32 exec_lo, exec_lo, s2
	v_lshl_add_u32 v68, v84, 4, v78
	s_barrier
	buffer_gl0_inv
	v_mov_b32_e32 v76, 7
	ds_store_2addr_b64 v68, v[36:37], v[38:39] offset1:1
	s_waitcnt lgkmcnt(0)
	s_barrier
	buffer_gl0_inv
	ds_load_2addr_b64 v[68:71], v78 offset0:14 offset1:15
	s_cmp_lt_i32 s5, 9
	s_cbranch_scc1 .LBB32_149
; %bb.147:
	v_add3_u32 v77, v83, 0, 0x80
	v_mov_b32_e32 v76, 7
	s_mov_b32 s6, 8
	s_set_inst_prefetch_distance 0x1
	.p2align	6
.LBB32_148:                             ; =>This Inner Loop Header: Depth=1
	ds_load_2addr_b64 v[85:88], v77 offset1:1
	s_waitcnt lgkmcnt(1)
	v_cmp_gt_f64_e32 vcc_lo, 0, v[68:69]
	v_xor_b32_e32 v89, 0x80000000, v69
	v_cmp_gt_f64_e64 s2, 0, v[70:71]
	v_xor_b32_e32 v91, 0x80000000, v71
	v_add_nc_u32_e32 v77, 16, v77
	s_waitcnt lgkmcnt(0)
	v_cmp_gt_f64_e64 s3, 0, v[85:86]
	v_mov_b32_e32 v93, v85
	v_dual_mov_b32 v95, v87 :: v_dual_cndmask_b32 v90, v69, v89
	v_xor_b32_e32 v89, 0x80000000, v86
	v_cndmask_b32_e64 v92, v71, v91, s2
	v_xor_b32_e32 v91, 0x80000000, v88
	s_delay_alu instid0(VALU_DEP_3) | instskip(SKIP_2) | instid1(VALU_DEP_2)
	v_cndmask_b32_e64 v94, v86, v89, s3
	v_cmp_gt_f64_e64 s3, 0, v[87:88]
	v_cndmask_b32_e32 v89, v68, v68, vcc_lo
	v_cndmask_b32_e64 v96, v88, v91, s3
	v_cndmask_b32_e64 v91, v70, v70, s2
	s_delay_alu instid0(VALU_DEP_2) | instskip(NEXT) | instid1(VALU_DEP_2)
	v_add_f64 v[93:94], v[93:94], v[95:96]
	v_add_f64 v[89:90], v[89:90], v[91:92]
	s_delay_alu instid0(VALU_DEP_1) | instskip(SKIP_4) | instid1(SALU_CYCLE_1)
	v_cmp_lt_f64_e32 vcc_lo, v[89:90], v[93:94]
	v_dual_cndmask_b32 v70, v70, v87 :: v_dual_cndmask_b32 v69, v69, v86
	v_dual_cndmask_b32 v68, v68, v85 :: v_dual_cndmask_b32 v71, v71, v88
	v_cndmask_b32_e64 v76, v76, s6, vcc_lo
	s_add_i32 s6, s6, 1
	s_cmp_lg_u32 s5, s6
	s_cbranch_scc1 .LBB32_148
.LBB32_149:
	s_set_inst_prefetch_distance 0x2
	s_waitcnt lgkmcnt(0)
	v_cmp_eq_f64_e32 vcc_lo, 0, v[68:69]
	v_cmp_eq_f64_e64 s2, 0, v[70:71]
	s_delay_alu instid0(VALU_DEP_1) | instskip(NEXT) | instid1(SALU_CYCLE_1)
	s_and_b32 s2, vcc_lo, s2
	s_and_saveexec_b32 s3, s2
	s_delay_alu instid0(SALU_CYCLE_1)
	s_xor_b32 s2, exec_lo, s3
; %bb.150:
	v_cmp_ne_u32_e32 vcc_lo, 0, v82
	v_cndmask_b32_e32 v82, 8, v82, vcc_lo
; %bb.151:
	s_and_not1_saveexec_b32 s3, s2
	s_cbranch_execz .LBB32_157
; %bb.152:
	v_cmp_gt_f64_e32 vcc_lo, 0, v[68:69]
	v_cmp_gt_f64_e64 s2, 0, v[70:71]
	v_xor_b32_e32 v77, 0x80000000, v69
	v_xor_b32_e32 v85, 0x80000000, v71
	s_delay_alu instid0(VALU_DEP_2) | instskip(NEXT) | instid1(VALU_DEP_2)
	v_cndmask_b32_e32 v86, v69, v77, vcc_lo
	v_cndmask_b32_e64 v88, v71, v85, s2
	v_cndmask_b32_e32 v85, v68, v68, vcc_lo
	v_cndmask_b32_e64 v87, v70, v70, s2
	s_mov_b32 s2, exec_lo
	s_delay_alu instid0(VALU_DEP_1)
	v_cmpx_ngt_f64_e32 v[85:86], v[87:88]
	s_xor_b32 s2, exec_lo, s2
	s_cbranch_execz .LBB32_154
; %bb.153:
	v_div_scale_f64 v[85:86], null, v[70:71], v[70:71], v[68:69]
	v_div_scale_f64 v[91:92], vcc_lo, v[68:69], v[70:71], v[68:69]
	s_delay_alu instid0(VALU_DEP_2) | instskip(SKIP_2) | instid1(VALU_DEP_1)
	v_rcp_f64_e32 v[87:88], v[85:86]
	s_waitcnt_depctr 0xfff
	v_fma_f64 v[89:90], -v[85:86], v[87:88], 1.0
	v_fma_f64 v[87:88], v[87:88], v[89:90], v[87:88]
	s_delay_alu instid0(VALU_DEP_1) | instskip(NEXT) | instid1(VALU_DEP_1)
	v_fma_f64 v[89:90], -v[85:86], v[87:88], 1.0
	v_fma_f64 v[87:88], v[87:88], v[89:90], v[87:88]
	s_delay_alu instid0(VALU_DEP_1) | instskip(NEXT) | instid1(VALU_DEP_1)
	v_mul_f64 v[89:90], v[91:92], v[87:88]
	v_fma_f64 v[85:86], -v[85:86], v[89:90], v[91:92]
	s_delay_alu instid0(VALU_DEP_1) | instskip(NEXT) | instid1(VALU_DEP_1)
	v_div_fmas_f64 v[85:86], v[85:86], v[87:88], v[89:90]
	v_div_fixup_f64 v[85:86], v[85:86], v[70:71], v[68:69]
	s_delay_alu instid0(VALU_DEP_1) | instskip(NEXT) | instid1(VALU_DEP_1)
	v_fma_f64 v[68:69], v[68:69], v[85:86], v[70:71]
	v_div_scale_f64 v[70:71], null, v[68:69], v[68:69], 1.0
	s_delay_alu instid0(VALU_DEP_1) | instskip(SKIP_2) | instid1(VALU_DEP_1)
	v_rcp_f64_e32 v[87:88], v[70:71]
	s_waitcnt_depctr 0xfff
	v_fma_f64 v[89:90], -v[70:71], v[87:88], 1.0
	v_fma_f64 v[87:88], v[87:88], v[89:90], v[87:88]
	s_delay_alu instid0(VALU_DEP_1) | instskip(NEXT) | instid1(VALU_DEP_1)
	v_fma_f64 v[89:90], -v[70:71], v[87:88], 1.0
	v_fma_f64 v[87:88], v[87:88], v[89:90], v[87:88]
	v_div_scale_f64 v[89:90], vcc_lo, 1.0, v[68:69], 1.0
	s_delay_alu instid0(VALU_DEP_1) | instskip(NEXT) | instid1(VALU_DEP_1)
	v_mul_f64 v[91:92], v[89:90], v[87:88]
	v_fma_f64 v[70:71], -v[70:71], v[91:92], v[89:90]
	s_delay_alu instid0(VALU_DEP_1) | instskip(NEXT) | instid1(VALU_DEP_1)
	v_div_fmas_f64 v[70:71], v[70:71], v[87:88], v[91:92]
	v_div_fixup_f64 v[70:71], v[70:71], v[68:69], 1.0
	s_delay_alu instid0(VALU_DEP_1)
	v_mul_f64 v[68:69], v[85:86], v[70:71]
	v_xor_b32_e32 v71, 0x80000000, v71
.LBB32_154:
	s_and_not1_saveexec_b32 s2, s2
	s_cbranch_execz .LBB32_156
; %bb.155:
	s_delay_alu instid0(VALU_DEP_1) | instskip(SKIP_1) | instid1(VALU_DEP_2)
	v_div_scale_f64 v[85:86], null, v[68:69], v[68:69], v[70:71]
	v_div_scale_f64 v[91:92], vcc_lo, v[70:71], v[68:69], v[70:71]
	v_rcp_f64_e32 v[87:88], v[85:86]
	s_waitcnt_depctr 0xfff
	v_fma_f64 v[89:90], -v[85:86], v[87:88], 1.0
	s_delay_alu instid0(VALU_DEP_1) | instskip(NEXT) | instid1(VALU_DEP_1)
	v_fma_f64 v[87:88], v[87:88], v[89:90], v[87:88]
	v_fma_f64 v[89:90], -v[85:86], v[87:88], 1.0
	s_delay_alu instid0(VALU_DEP_1) | instskip(NEXT) | instid1(VALU_DEP_1)
	v_fma_f64 v[87:88], v[87:88], v[89:90], v[87:88]
	v_mul_f64 v[89:90], v[91:92], v[87:88]
	s_delay_alu instid0(VALU_DEP_1) | instskip(NEXT) | instid1(VALU_DEP_1)
	v_fma_f64 v[85:86], -v[85:86], v[89:90], v[91:92]
	v_div_fmas_f64 v[85:86], v[85:86], v[87:88], v[89:90]
	s_delay_alu instid0(VALU_DEP_1) | instskip(NEXT) | instid1(VALU_DEP_1)
	v_div_fixup_f64 v[85:86], v[85:86], v[68:69], v[70:71]
	v_fma_f64 v[68:69], v[70:71], v[85:86], v[68:69]
	s_delay_alu instid0(VALU_DEP_1) | instskip(NEXT) | instid1(VALU_DEP_1)
	v_div_scale_f64 v[70:71], null, v[68:69], v[68:69], 1.0
	v_rcp_f64_e32 v[87:88], v[70:71]
	s_waitcnt_depctr 0xfff
	v_fma_f64 v[89:90], -v[70:71], v[87:88], 1.0
	s_delay_alu instid0(VALU_DEP_1) | instskip(NEXT) | instid1(VALU_DEP_1)
	v_fma_f64 v[87:88], v[87:88], v[89:90], v[87:88]
	v_fma_f64 v[89:90], -v[70:71], v[87:88], 1.0
	s_delay_alu instid0(VALU_DEP_1) | instskip(SKIP_1) | instid1(VALU_DEP_1)
	v_fma_f64 v[87:88], v[87:88], v[89:90], v[87:88]
	v_div_scale_f64 v[89:90], vcc_lo, 1.0, v[68:69], 1.0
	v_mul_f64 v[91:92], v[89:90], v[87:88]
	s_delay_alu instid0(VALU_DEP_1) | instskip(NEXT) | instid1(VALU_DEP_1)
	v_fma_f64 v[70:71], -v[70:71], v[91:92], v[89:90]
	v_div_fmas_f64 v[70:71], v[70:71], v[87:88], v[91:92]
	s_delay_alu instid0(VALU_DEP_1) | instskip(NEXT) | instid1(VALU_DEP_1)
	v_div_fixup_f64 v[68:69], v[70:71], v[68:69], 1.0
	v_mul_f64 v[70:71], v[85:86], -v[68:69]
.LBB32_156:
	s_or_b32 exec_lo, exec_lo, s2
.LBB32_157:
	s_delay_alu instid0(SALU_CYCLE_1) | instskip(NEXT) | instid1(SALU_CYCLE_1)
	s_or_b32 exec_lo, exec_lo, s3
	s_mov_b32 s2, exec_lo
	v_cmpx_ne_u32_e64 v84, v76
	s_xor_b32 s2, exec_lo, s2
	s_cbranch_execz .LBB32_163
; %bb.158:
	s_mov_b32 s3, exec_lo
	v_cmpx_eq_u32_e32 7, v84
	s_cbranch_execz .LBB32_162
; %bb.159:
	v_cmp_ne_u32_e32 vcc_lo, 7, v76
	s_xor_b32 s6, s4, -1
	s_delay_alu instid0(SALU_CYCLE_1) | instskip(NEXT) | instid1(SALU_CYCLE_1)
	s_and_b32 s7, s6, vcc_lo
	s_and_saveexec_b32 s6, s7
	s_cbranch_execz .LBB32_161
; %bb.160:
	v_ashrrev_i32_e32 v77, 31, v76
	s_delay_alu instid0(VALU_DEP_1) | instskip(NEXT) | instid1(VALU_DEP_1)
	v_lshlrev_b64 v[84:85], 2, v[76:77]
	v_add_co_u32 v84, vcc_lo, v74, v84
	s_delay_alu instid0(VALU_DEP_2)
	v_add_co_ci_u32_e32 v85, vcc_lo, v75, v85, vcc_lo
	s_clause 0x1
	flat_load_b32 v77, v[84:85]
	flat_load_b32 v81, v[74:75] offset:28
	s_waitcnt vmcnt(1) lgkmcnt(1)
	flat_store_b32 v[74:75], v77 offset:28
	s_waitcnt vmcnt(0) lgkmcnt(1)
	flat_store_b32 v[84:85], v81
.LBB32_161:
	s_or_b32 exec_lo, exec_lo, s6
	v_mov_b32_e32 v84, v76
	v_mov_b32_e32 v81, v76
.LBB32_162:
	s_or_b32 exec_lo, exec_lo, s3
.LBB32_163:
	s_and_not1_saveexec_b32 s2, s2
	s_cbranch_execz .LBB32_165
; %bb.164:
	v_mov_b32_e32 v84, 7
	ds_store_2addr_b64 v78, v[32:33], v[34:35] offset0:16 offset1:17
	ds_store_2addr_b64 v78, v[28:29], v[30:31] offset0:18 offset1:19
	;; [unrolled: 1-line block ×9, first 2 shown]
.LBB32_165:
	s_or_b32 exec_lo, exec_lo, s2
	s_delay_alu instid0(SALU_CYCLE_1)
	s_mov_b32 s2, exec_lo
	s_waitcnt lgkmcnt(0)
	s_waitcnt_vscnt null, 0x0
	s_barrier
	buffer_gl0_inv
	v_cmpx_lt_i32_e32 7, v84
	s_cbranch_execz .LBB32_167
; %bb.166:
	v_mul_f64 v[76:77], v[68:69], v[38:39]
	v_mul_f64 v[38:39], v[70:71], v[38:39]
	ds_load_2addr_b64 v[85:88], v78 offset0:16 offset1:17
	ds_load_2addr_b64 v[89:92], v78 offset0:18 offset1:19
	;; [unrolled: 1-line block ×9, first 2 shown]
	v_fma_f64 v[70:71], v[70:71], v[36:37], v[76:77]
	v_fma_f64 v[36:37], v[68:69], v[36:37], -v[38:39]
	s_waitcnt lgkmcnt(8)
	s_delay_alu instid0(VALU_DEP_2)
	v_mul_f64 v[38:39], v[87:88], v[70:71]
	v_mul_f64 v[68:69], v[85:86], v[70:71]
	s_waitcnt lgkmcnt(7)
	v_mul_f64 v[76:77], v[91:92], v[70:71]
	v_mul_f64 v[121:122], v[89:90], v[70:71]
	s_waitcnt lgkmcnt(6)
	;; [unrolled: 3-line block ×8, first 2 shown]
	v_mul_f64 v[147:148], v[119:120], v[70:71]
	v_mul_f64 v[149:150], v[117:118], v[70:71]
	v_fma_f64 v[38:39], v[85:86], v[36:37], -v[38:39]
	v_fma_f64 v[68:69], v[87:88], v[36:37], v[68:69]
	v_fma_f64 v[76:77], v[89:90], v[36:37], -v[76:77]
	v_fma_f64 v[85:86], v[91:92], v[36:37], v[121:122]
	;; [unrolled: 2-line block ×9, first 2 shown]
	v_add_f64 v[32:33], v[32:33], -v[38:39]
	v_add_f64 v[34:35], v[34:35], -v[68:69]
	;; [unrolled: 1-line block ×18, first 2 shown]
	v_dual_mov_b32 v38, v70 :: v_dual_mov_b32 v39, v71
.LBB32_167:
	s_or_b32 exec_lo, exec_lo, s2
	v_lshl_add_u32 v68, v84, 4, v78
	s_barrier
	buffer_gl0_inv
	v_mov_b32_e32 v76, 8
	ds_store_2addr_b64 v68, v[32:33], v[34:35] offset1:1
	s_waitcnt lgkmcnt(0)
	s_barrier
	buffer_gl0_inv
	ds_load_2addr_b64 v[68:71], v78 offset0:16 offset1:17
	s_cmp_lt_i32 s5, 10
	s_cbranch_scc1 .LBB32_170
; %bb.168:
	v_add3_u32 v77, v83, 0, 0x90
	v_mov_b32_e32 v76, 8
	s_mov_b32 s6, 9
	s_set_inst_prefetch_distance 0x1
	.p2align	6
.LBB32_169:                             ; =>This Inner Loop Header: Depth=1
	ds_load_2addr_b64 v[85:88], v77 offset1:1
	s_waitcnt lgkmcnt(1)
	v_cmp_gt_f64_e32 vcc_lo, 0, v[68:69]
	v_xor_b32_e32 v89, 0x80000000, v69
	v_cmp_gt_f64_e64 s2, 0, v[70:71]
	v_xor_b32_e32 v91, 0x80000000, v71
	v_add_nc_u32_e32 v77, 16, v77
	s_waitcnt lgkmcnt(0)
	v_cmp_gt_f64_e64 s3, 0, v[85:86]
	v_mov_b32_e32 v93, v85
	v_dual_mov_b32 v95, v87 :: v_dual_cndmask_b32 v90, v69, v89
	v_xor_b32_e32 v89, 0x80000000, v86
	v_cndmask_b32_e64 v92, v71, v91, s2
	v_xor_b32_e32 v91, 0x80000000, v88
	s_delay_alu instid0(VALU_DEP_3) | instskip(SKIP_2) | instid1(VALU_DEP_2)
	v_cndmask_b32_e64 v94, v86, v89, s3
	v_cmp_gt_f64_e64 s3, 0, v[87:88]
	v_cndmask_b32_e32 v89, v68, v68, vcc_lo
	v_cndmask_b32_e64 v96, v88, v91, s3
	v_cndmask_b32_e64 v91, v70, v70, s2
	s_delay_alu instid0(VALU_DEP_2) | instskip(NEXT) | instid1(VALU_DEP_2)
	v_add_f64 v[93:94], v[93:94], v[95:96]
	v_add_f64 v[89:90], v[89:90], v[91:92]
	s_delay_alu instid0(VALU_DEP_1) | instskip(SKIP_4) | instid1(SALU_CYCLE_1)
	v_cmp_lt_f64_e32 vcc_lo, v[89:90], v[93:94]
	v_dual_cndmask_b32 v70, v70, v87 :: v_dual_cndmask_b32 v69, v69, v86
	v_dual_cndmask_b32 v68, v68, v85 :: v_dual_cndmask_b32 v71, v71, v88
	v_cndmask_b32_e64 v76, v76, s6, vcc_lo
	s_add_i32 s6, s6, 1
	s_cmp_lg_u32 s5, s6
	s_cbranch_scc1 .LBB32_169
.LBB32_170:
	s_set_inst_prefetch_distance 0x2
	s_waitcnt lgkmcnt(0)
	v_cmp_eq_f64_e32 vcc_lo, 0, v[68:69]
	v_cmp_eq_f64_e64 s2, 0, v[70:71]
	s_delay_alu instid0(VALU_DEP_1) | instskip(NEXT) | instid1(SALU_CYCLE_1)
	s_and_b32 s2, vcc_lo, s2
	s_and_saveexec_b32 s3, s2
	s_delay_alu instid0(SALU_CYCLE_1)
	s_xor_b32 s2, exec_lo, s3
; %bb.171:
	v_cmp_ne_u32_e32 vcc_lo, 0, v82
	v_cndmask_b32_e32 v82, 9, v82, vcc_lo
; %bb.172:
	s_and_not1_saveexec_b32 s3, s2
	s_cbranch_execz .LBB32_178
; %bb.173:
	v_cmp_gt_f64_e32 vcc_lo, 0, v[68:69]
	v_cmp_gt_f64_e64 s2, 0, v[70:71]
	v_xor_b32_e32 v77, 0x80000000, v69
	v_xor_b32_e32 v85, 0x80000000, v71
	s_delay_alu instid0(VALU_DEP_2) | instskip(NEXT) | instid1(VALU_DEP_2)
	v_cndmask_b32_e32 v86, v69, v77, vcc_lo
	v_cndmask_b32_e64 v88, v71, v85, s2
	v_cndmask_b32_e32 v85, v68, v68, vcc_lo
	v_cndmask_b32_e64 v87, v70, v70, s2
	s_mov_b32 s2, exec_lo
	s_delay_alu instid0(VALU_DEP_1)
	v_cmpx_ngt_f64_e32 v[85:86], v[87:88]
	s_xor_b32 s2, exec_lo, s2
	s_cbranch_execz .LBB32_175
; %bb.174:
	v_div_scale_f64 v[85:86], null, v[70:71], v[70:71], v[68:69]
	v_div_scale_f64 v[91:92], vcc_lo, v[68:69], v[70:71], v[68:69]
	s_delay_alu instid0(VALU_DEP_2) | instskip(SKIP_2) | instid1(VALU_DEP_1)
	v_rcp_f64_e32 v[87:88], v[85:86]
	s_waitcnt_depctr 0xfff
	v_fma_f64 v[89:90], -v[85:86], v[87:88], 1.0
	v_fma_f64 v[87:88], v[87:88], v[89:90], v[87:88]
	s_delay_alu instid0(VALU_DEP_1) | instskip(NEXT) | instid1(VALU_DEP_1)
	v_fma_f64 v[89:90], -v[85:86], v[87:88], 1.0
	v_fma_f64 v[87:88], v[87:88], v[89:90], v[87:88]
	s_delay_alu instid0(VALU_DEP_1) | instskip(NEXT) | instid1(VALU_DEP_1)
	v_mul_f64 v[89:90], v[91:92], v[87:88]
	v_fma_f64 v[85:86], -v[85:86], v[89:90], v[91:92]
	s_delay_alu instid0(VALU_DEP_1) | instskip(NEXT) | instid1(VALU_DEP_1)
	v_div_fmas_f64 v[85:86], v[85:86], v[87:88], v[89:90]
	v_div_fixup_f64 v[85:86], v[85:86], v[70:71], v[68:69]
	s_delay_alu instid0(VALU_DEP_1) | instskip(NEXT) | instid1(VALU_DEP_1)
	v_fma_f64 v[68:69], v[68:69], v[85:86], v[70:71]
	v_div_scale_f64 v[70:71], null, v[68:69], v[68:69], 1.0
	s_delay_alu instid0(VALU_DEP_1) | instskip(SKIP_2) | instid1(VALU_DEP_1)
	v_rcp_f64_e32 v[87:88], v[70:71]
	s_waitcnt_depctr 0xfff
	v_fma_f64 v[89:90], -v[70:71], v[87:88], 1.0
	v_fma_f64 v[87:88], v[87:88], v[89:90], v[87:88]
	s_delay_alu instid0(VALU_DEP_1) | instskip(NEXT) | instid1(VALU_DEP_1)
	v_fma_f64 v[89:90], -v[70:71], v[87:88], 1.0
	v_fma_f64 v[87:88], v[87:88], v[89:90], v[87:88]
	v_div_scale_f64 v[89:90], vcc_lo, 1.0, v[68:69], 1.0
	s_delay_alu instid0(VALU_DEP_1) | instskip(NEXT) | instid1(VALU_DEP_1)
	v_mul_f64 v[91:92], v[89:90], v[87:88]
	v_fma_f64 v[70:71], -v[70:71], v[91:92], v[89:90]
	s_delay_alu instid0(VALU_DEP_1) | instskip(NEXT) | instid1(VALU_DEP_1)
	v_div_fmas_f64 v[70:71], v[70:71], v[87:88], v[91:92]
	v_div_fixup_f64 v[70:71], v[70:71], v[68:69], 1.0
	s_delay_alu instid0(VALU_DEP_1)
	v_mul_f64 v[68:69], v[85:86], v[70:71]
	v_xor_b32_e32 v71, 0x80000000, v71
.LBB32_175:
	s_and_not1_saveexec_b32 s2, s2
	s_cbranch_execz .LBB32_177
; %bb.176:
	s_delay_alu instid0(VALU_DEP_1) | instskip(SKIP_1) | instid1(VALU_DEP_2)
	v_div_scale_f64 v[85:86], null, v[68:69], v[68:69], v[70:71]
	v_div_scale_f64 v[91:92], vcc_lo, v[70:71], v[68:69], v[70:71]
	v_rcp_f64_e32 v[87:88], v[85:86]
	s_waitcnt_depctr 0xfff
	v_fma_f64 v[89:90], -v[85:86], v[87:88], 1.0
	s_delay_alu instid0(VALU_DEP_1) | instskip(NEXT) | instid1(VALU_DEP_1)
	v_fma_f64 v[87:88], v[87:88], v[89:90], v[87:88]
	v_fma_f64 v[89:90], -v[85:86], v[87:88], 1.0
	s_delay_alu instid0(VALU_DEP_1) | instskip(NEXT) | instid1(VALU_DEP_1)
	v_fma_f64 v[87:88], v[87:88], v[89:90], v[87:88]
	v_mul_f64 v[89:90], v[91:92], v[87:88]
	s_delay_alu instid0(VALU_DEP_1) | instskip(NEXT) | instid1(VALU_DEP_1)
	v_fma_f64 v[85:86], -v[85:86], v[89:90], v[91:92]
	v_div_fmas_f64 v[85:86], v[85:86], v[87:88], v[89:90]
	s_delay_alu instid0(VALU_DEP_1) | instskip(NEXT) | instid1(VALU_DEP_1)
	v_div_fixup_f64 v[85:86], v[85:86], v[68:69], v[70:71]
	v_fma_f64 v[68:69], v[70:71], v[85:86], v[68:69]
	s_delay_alu instid0(VALU_DEP_1) | instskip(NEXT) | instid1(VALU_DEP_1)
	v_div_scale_f64 v[70:71], null, v[68:69], v[68:69], 1.0
	v_rcp_f64_e32 v[87:88], v[70:71]
	s_waitcnt_depctr 0xfff
	v_fma_f64 v[89:90], -v[70:71], v[87:88], 1.0
	s_delay_alu instid0(VALU_DEP_1) | instskip(NEXT) | instid1(VALU_DEP_1)
	v_fma_f64 v[87:88], v[87:88], v[89:90], v[87:88]
	v_fma_f64 v[89:90], -v[70:71], v[87:88], 1.0
	s_delay_alu instid0(VALU_DEP_1) | instskip(SKIP_1) | instid1(VALU_DEP_1)
	v_fma_f64 v[87:88], v[87:88], v[89:90], v[87:88]
	v_div_scale_f64 v[89:90], vcc_lo, 1.0, v[68:69], 1.0
	v_mul_f64 v[91:92], v[89:90], v[87:88]
	s_delay_alu instid0(VALU_DEP_1) | instskip(NEXT) | instid1(VALU_DEP_1)
	v_fma_f64 v[70:71], -v[70:71], v[91:92], v[89:90]
	v_div_fmas_f64 v[70:71], v[70:71], v[87:88], v[91:92]
	s_delay_alu instid0(VALU_DEP_1) | instskip(NEXT) | instid1(VALU_DEP_1)
	v_div_fixup_f64 v[68:69], v[70:71], v[68:69], 1.0
	v_mul_f64 v[70:71], v[85:86], -v[68:69]
.LBB32_177:
	s_or_b32 exec_lo, exec_lo, s2
.LBB32_178:
	s_delay_alu instid0(SALU_CYCLE_1) | instskip(NEXT) | instid1(SALU_CYCLE_1)
	s_or_b32 exec_lo, exec_lo, s3
	s_mov_b32 s2, exec_lo
	v_cmpx_ne_u32_e64 v84, v76
	s_xor_b32 s2, exec_lo, s2
	s_cbranch_execz .LBB32_184
; %bb.179:
	s_mov_b32 s3, exec_lo
	v_cmpx_eq_u32_e32 8, v84
	s_cbranch_execz .LBB32_183
; %bb.180:
	v_cmp_ne_u32_e32 vcc_lo, 8, v76
	s_xor_b32 s6, s4, -1
	s_delay_alu instid0(SALU_CYCLE_1) | instskip(NEXT) | instid1(SALU_CYCLE_1)
	s_and_b32 s7, s6, vcc_lo
	s_and_saveexec_b32 s6, s7
	s_cbranch_execz .LBB32_182
; %bb.181:
	v_ashrrev_i32_e32 v77, 31, v76
	s_delay_alu instid0(VALU_DEP_1) | instskip(NEXT) | instid1(VALU_DEP_1)
	v_lshlrev_b64 v[84:85], 2, v[76:77]
	v_add_co_u32 v84, vcc_lo, v74, v84
	s_delay_alu instid0(VALU_DEP_2)
	v_add_co_ci_u32_e32 v85, vcc_lo, v75, v85, vcc_lo
	s_clause 0x1
	flat_load_b32 v77, v[84:85]
	flat_load_b32 v81, v[74:75] offset:32
	s_waitcnt vmcnt(1) lgkmcnt(1)
	flat_store_b32 v[74:75], v77 offset:32
	s_waitcnt vmcnt(0) lgkmcnt(1)
	flat_store_b32 v[84:85], v81
.LBB32_182:
	s_or_b32 exec_lo, exec_lo, s6
	v_mov_b32_e32 v84, v76
	v_mov_b32_e32 v81, v76
.LBB32_183:
	s_or_b32 exec_lo, exec_lo, s3
.LBB32_184:
	s_and_not1_saveexec_b32 s2, s2
	s_cbranch_execz .LBB32_186
; %bb.185:
	v_mov_b32_e32 v84, 8
	ds_store_2addr_b64 v78, v[28:29], v[30:31] offset0:18 offset1:19
	ds_store_2addr_b64 v78, v[24:25], v[26:27] offset0:20 offset1:21
	ds_store_2addr_b64 v78, v[20:21], v[22:23] offset0:22 offset1:23
	ds_store_2addr_b64 v78, v[16:17], v[18:19] offset0:24 offset1:25
	ds_store_2addr_b64 v78, v[12:13], v[14:15] offset0:26 offset1:27
	ds_store_2addr_b64 v78, v[8:9], v[10:11] offset0:28 offset1:29
	ds_store_2addr_b64 v78, v[4:5], v[6:7] offset0:30 offset1:31
	ds_store_2addr_b64 v78, v[0:1], v[2:3] offset0:32 offset1:33
.LBB32_186:
	s_or_b32 exec_lo, exec_lo, s2
	s_delay_alu instid0(SALU_CYCLE_1)
	s_mov_b32 s2, exec_lo
	s_waitcnt lgkmcnt(0)
	s_waitcnt_vscnt null, 0x0
	s_barrier
	buffer_gl0_inv
	v_cmpx_lt_i32_e32 8, v84
	s_cbranch_execz .LBB32_188
; %bb.187:
	v_mul_f64 v[76:77], v[68:69], v[34:35]
	v_mul_f64 v[34:35], v[70:71], v[34:35]
	ds_load_2addr_b64 v[85:88], v78 offset0:18 offset1:19
	ds_load_2addr_b64 v[89:92], v78 offset0:20 offset1:21
	;; [unrolled: 1-line block ×8, first 2 shown]
	v_fma_f64 v[70:71], v[70:71], v[32:33], v[76:77]
	v_fma_f64 v[32:33], v[68:69], v[32:33], -v[34:35]
	s_waitcnt lgkmcnt(7)
	s_delay_alu instid0(VALU_DEP_2)
	v_mul_f64 v[34:35], v[87:88], v[70:71]
	v_mul_f64 v[68:69], v[85:86], v[70:71]
	s_waitcnt lgkmcnt(6)
	v_mul_f64 v[76:77], v[91:92], v[70:71]
	v_mul_f64 v[117:118], v[89:90], v[70:71]
	s_waitcnt lgkmcnt(5)
	;; [unrolled: 3-line block ×7, first 2 shown]
	v_mul_f64 v[139:140], v[115:116], v[70:71]
	v_mul_f64 v[141:142], v[113:114], v[70:71]
	v_fma_f64 v[34:35], v[85:86], v[32:33], -v[34:35]
	v_fma_f64 v[68:69], v[87:88], v[32:33], v[68:69]
	v_fma_f64 v[76:77], v[89:90], v[32:33], -v[76:77]
	v_fma_f64 v[85:86], v[91:92], v[32:33], v[117:118]
	;; [unrolled: 2-line block ×8, first 2 shown]
	v_add_f64 v[28:29], v[28:29], -v[34:35]
	v_add_f64 v[30:31], v[30:31], -v[68:69]
	;; [unrolled: 1-line block ×16, first 2 shown]
	v_dual_mov_b32 v34, v70 :: v_dual_mov_b32 v35, v71
.LBB32_188:
	s_or_b32 exec_lo, exec_lo, s2
	v_lshl_add_u32 v68, v84, 4, v78
	s_barrier
	buffer_gl0_inv
	v_mov_b32_e32 v76, 9
	ds_store_2addr_b64 v68, v[28:29], v[30:31] offset1:1
	s_waitcnt lgkmcnt(0)
	s_barrier
	buffer_gl0_inv
	ds_load_2addr_b64 v[68:71], v78 offset0:18 offset1:19
	s_cmp_lt_i32 s5, 11
	s_cbranch_scc1 .LBB32_191
; %bb.189:
	v_add3_u32 v77, v83, 0, 0xa0
	v_mov_b32_e32 v76, 9
	s_mov_b32 s6, 10
	s_set_inst_prefetch_distance 0x1
	.p2align	6
.LBB32_190:                             ; =>This Inner Loop Header: Depth=1
	ds_load_2addr_b64 v[85:88], v77 offset1:1
	s_waitcnt lgkmcnt(1)
	v_cmp_gt_f64_e32 vcc_lo, 0, v[68:69]
	v_xor_b32_e32 v89, 0x80000000, v69
	v_cmp_gt_f64_e64 s2, 0, v[70:71]
	v_xor_b32_e32 v91, 0x80000000, v71
	v_add_nc_u32_e32 v77, 16, v77
	s_waitcnt lgkmcnt(0)
	v_cmp_gt_f64_e64 s3, 0, v[85:86]
	v_mov_b32_e32 v93, v85
	v_dual_mov_b32 v95, v87 :: v_dual_cndmask_b32 v90, v69, v89
	v_xor_b32_e32 v89, 0x80000000, v86
	v_cndmask_b32_e64 v92, v71, v91, s2
	v_xor_b32_e32 v91, 0x80000000, v88
	s_delay_alu instid0(VALU_DEP_3) | instskip(SKIP_2) | instid1(VALU_DEP_2)
	v_cndmask_b32_e64 v94, v86, v89, s3
	v_cmp_gt_f64_e64 s3, 0, v[87:88]
	v_cndmask_b32_e32 v89, v68, v68, vcc_lo
	v_cndmask_b32_e64 v96, v88, v91, s3
	v_cndmask_b32_e64 v91, v70, v70, s2
	s_delay_alu instid0(VALU_DEP_2) | instskip(NEXT) | instid1(VALU_DEP_2)
	v_add_f64 v[93:94], v[93:94], v[95:96]
	v_add_f64 v[89:90], v[89:90], v[91:92]
	s_delay_alu instid0(VALU_DEP_1) | instskip(SKIP_4) | instid1(SALU_CYCLE_1)
	v_cmp_lt_f64_e32 vcc_lo, v[89:90], v[93:94]
	v_dual_cndmask_b32 v70, v70, v87 :: v_dual_cndmask_b32 v69, v69, v86
	v_dual_cndmask_b32 v68, v68, v85 :: v_dual_cndmask_b32 v71, v71, v88
	v_cndmask_b32_e64 v76, v76, s6, vcc_lo
	s_add_i32 s6, s6, 1
	s_cmp_lg_u32 s5, s6
	s_cbranch_scc1 .LBB32_190
.LBB32_191:
	s_set_inst_prefetch_distance 0x2
	s_waitcnt lgkmcnt(0)
	v_cmp_eq_f64_e32 vcc_lo, 0, v[68:69]
	v_cmp_eq_f64_e64 s2, 0, v[70:71]
	s_delay_alu instid0(VALU_DEP_1) | instskip(NEXT) | instid1(SALU_CYCLE_1)
	s_and_b32 s2, vcc_lo, s2
	s_and_saveexec_b32 s3, s2
	s_delay_alu instid0(SALU_CYCLE_1)
	s_xor_b32 s2, exec_lo, s3
; %bb.192:
	v_cmp_ne_u32_e32 vcc_lo, 0, v82
	v_cndmask_b32_e32 v82, 10, v82, vcc_lo
; %bb.193:
	s_and_not1_saveexec_b32 s3, s2
	s_cbranch_execz .LBB32_199
; %bb.194:
	v_cmp_gt_f64_e32 vcc_lo, 0, v[68:69]
	v_cmp_gt_f64_e64 s2, 0, v[70:71]
	v_xor_b32_e32 v77, 0x80000000, v69
	v_xor_b32_e32 v85, 0x80000000, v71
	s_delay_alu instid0(VALU_DEP_2) | instskip(NEXT) | instid1(VALU_DEP_2)
	v_cndmask_b32_e32 v86, v69, v77, vcc_lo
	v_cndmask_b32_e64 v88, v71, v85, s2
	v_cndmask_b32_e32 v85, v68, v68, vcc_lo
	v_cndmask_b32_e64 v87, v70, v70, s2
	s_mov_b32 s2, exec_lo
	s_delay_alu instid0(VALU_DEP_1)
	v_cmpx_ngt_f64_e32 v[85:86], v[87:88]
	s_xor_b32 s2, exec_lo, s2
	s_cbranch_execz .LBB32_196
; %bb.195:
	v_div_scale_f64 v[85:86], null, v[70:71], v[70:71], v[68:69]
	v_div_scale_f64 v[91:92], vcc_lo, v[68:69], v[70:71], v[68:69]
	s_delay_alu instid0(VALU_DEP_2) | instskip(SKIP_2) | instid1(VALU_DEP_1)
	v_rcp_f64_e32 v[87:88], v[85:86]
	s_waitcnt_depctr 0xfff
	v_fma_f64 v[89:90], -v[85:86], v[87:88], 1.0
	v_fma_f64 v[87:88], v[87:88], v[89:90], v[87:88]
	s_delay_alu instid0(VALU_DEP_1) | instskip(NEXT) | instid1(VALU_DEP_1)
	v_fma_f64 v[89:90], -v[85:86], v[87:88], 1.0
	v_fma_f64 v[87:88], v[87:88], v[89:90], v[87:88]
	s_delay_alu instid0(VALU_DEP_1) | instskip(NEXT) | instid1(VALU_DEP_1)
	v_mul_f64 v[89:90], v[91:92], v[87:88]
	v_fma_f64 v[85:86], -v[85:86], v[89:90], v[91:92]
	s_delay_alu instid0(VALU_DEP_1) | instskip(NEXT) | instid1(VALU_DEP_1)
	v_div_fmas_f64 v[85:86], v[85:86], v[87:88], v[89:90]
	v_div_fixup_f64 v[85:86], v[85:86], v[70:71], v[68:69]
	s_delay_alu instid0(VALU_DEP_1) | instskip(NEXT) | instid1(VALU_DEP_1)
	v_fma_f64 v[68:69], v[68:69], v[85:86], v[70:71]
	v_div_scale_f64 v[70:71], null, v[68:69], v[68:69], 1.0
	s_delay_alu instid0(VALU_DEP_1) | instskip(SKIP_2) | instid1(VALU_DEP_1)
	v_rcp_f64_e32 v[87:88], v[70:71]
	s_waitcnt_depctr 0xfff
	v_fma_f64 v[89:90], -v[70:71], v[87:88], 1.0
	v_fma_f64 v[87:88], v[87:88], v[89:90], v[87:88]
	s_delay_alu instid0(VALU_DEP_1) | instskip(NEXT) | instid1(VALU_DEP_1)
	v_fma_f64 v[89:90], -v[70:71], v[87:88], 1.0
	v_fma_f64 v[87:88], v[87:88], v[89:90], v[87:88]
	v_div_scale_f64 v[89:90], vcc_lo, 1.0, v[68:69], 1.0
	s_delay_alu instid0(VALU_DEP_1) | instskip(NEXT) | instid1(VALU_DEP_1)
	v_mul_f64 v[91:92], v[89:90], v[87:88]
	v_fma_f64 v[70:71], -v[70:71], v[91:92], v[89:90]
	s_delay_alu instid0(VALU_DEP_1) | instskip(NEXT) | instid1(VALU_DEP_1)
	v_div_fmas_f64 v[70:71], v[70:71], v[87:88], v[91:92]
	v_div_fixup_f64 v[70:71], v[70:71], v[68:69], 1.0
	s_delay_alu instid0(VALU_DEP_1)
	v_mul_f64 v[68:69], v[85:86], v[70:71]
	v_xor_b32_e32 v71, 0x80000000, v71
.LBB32_196:
	s_and_not1_saveexec_b32 s2, s2
	s_cbranch_execz .LBB32_198
; %bb.197:
	s_delay_alu instid0(VALU_DEP_1) | instskip(SKIP_1) | instid1(VALU_DEP_2)
	v_div_scale_f64 v[85:86], null, v[68:69], v[68:69], v[70:71]
	v_div_scale_f64 v[91:92], vcc_lo, v[70:71], v[68:69], v[70:71]
	v_rcp_f64_e32 v[87:88], v[85:86]
	s_waitcnt_depctr 0xfff
	v_fma_f64 v[89:90], -v[85:86], v[87:88], 1.0
	s_delay_alu instid0(VALU_DEP_1) | instskip(NEXT) | instid1(VALU_DEP_1)
	v_fma_f64 v[87:88], v[87:88], v[89:90], v[87:88]
	v_fma_f64 v[89:90], -v[85:86], v[87:88], 1.0
	s_delay_alu instid0(VALU_DEP_1) | instskip(NEXT) | instid1(VALU_DEP_1)
	v_fma_f64 v[87:88], v[87:88], v[89:90], v[87:88]
	v_mul_f64 v[89:90], v[91:92], v[87:88]
	s_delay_alu instid0(VALU_DEP_1) | instskip(NEXT) | instid1(VALU_DEP_1)
	v_fma_f64 v[85:86], -v[85:86], v[89:90], v[91:92]
	v_div_fmas_f64 v[85:86], v[85:86], v[87:88], v[89:90]
	s_delay_alu instid0(VALU_DEP_1) | instskip(NEXT) | instid1(VALU_DEP_1)
	v_div_fixup_f64 v[85:86], v[85:86], v[68:69], v[70:71]
	v_fma_f64 v[68:69], v[70:71], v[85:86], v[68:69]
	s_delay_alu instid0(VALU_DEP_1) | instskip(NEXT) | instid1(VALU_DEP_1)
	v_div_scale_f64 v[70:71], null, v[68:69], v[68:69], 1.0
	v_rcp_f64_e32 v[87:88], v[70:71]
	s_waitcnt_depctr 0xfff
	v_fma_f64 v[89:90], -v[70:71], v[87:88], 1.0
	s_delay_alu instid0(VALU_DEP_1) | instskip(NEXT) | instid1(VALU_DEP_1)
	v_fma_f64 v[87:88], v[87:88], v[89:90], v[87:88]
	v_fma_f64 v[89:90], -v[70:71], v[87:88], 1.0
	s_delay_alu instid0(VALU_DEP_1) | instskip(SKIP_1) | instid1(VALU_DEP_1)
	v_fma_f64 v[87:88], v[87:88], v[89:90], v[87:88]
	v_div_scale_f64 v[89:90], vcc_lo, 1.0, v[68:69], 1.0
	v_mul_f64 v[91:92], v[89:90], v[87:88]
	s_delay_alu instid0(VALU_DEP_1) | instskip(NEXT) | instid1(VALU_DEP_1)
	v_fma_f64 v[70:71], -v[70:71], v[91:92], v[89:90]
	v_div_fmas_f64 v[70:71], v[70:71], v[87:88], v[91:92]
	s_delay_alu instid0(VALU_DEP_1) | instskip(NEXT) | instid1(VALU_DEP_1)
	v_div_fixup_f64 v[68:69], v[70:71], v[68:69], 1.0
	v_mul_f64 v[70:71], v[85:86], -v[68:69]
.LBB32_198:
	s_or_b32 exec_lo, exec_lo, s2
.LBB32_199:
	s_delay_alu instid0(SALU_CYCLE_1) | instskip(NEXT) | instid1(SALU_CYCLE_1)
	s_or_b32 exec_lo, exec_lo, s3
	s_mov_b32 s2, exec_lo
	v_cmpx_ne_u32_e64 v84, v76
	s_xor_b32 s2, exec_lo, s2
	s_cbranch_execz .LBB32_205
; %bb.200:
	s_mov_b32 s3, exec_lo
	v_cmpx_eq_u32_e32 9, v84
	s_cbranch_execz .LBB32_204
; %bb.201:
	v_cmp_ne_u32_e32 vcc_lo, 9, v76
	s_xor_b32 s6, s4, -1
	s_delay_alu instid0(SALU_CYCLE_1) | instskip(NEXT) | instid1(SALU_CYCLE_1)
	s_and_b32 s7, s6, vcc_lo
	s_and_saveexec_b32 s6, s7
	s_cbranch_execz .LBB32_203
; %bb.202:
	v_ashrrev_i32_e32 v77, 31, v76
	s_delay_alu instid0(VALU_DEP_1) | instskip(NEXT) | instid1(VALU_DEP_1)
	v_lshlrev_b64 v[84:85], 2, v[76:77]
	v_add_co_u32 v84, vcc_lo, v74, v84
	s_delay_alu instid0(VALU_DEP_2)
	v_add_co_ci_u32_e32 v85, vcc_lo, v75, v85, vcc_lo
	s_clause 0x1
	flat_load_b32 v77, v[84:85]
	flat_load_b32 v81, v[74:75] offset:36
	s_waitcnt vmcnt(1) lgkmcnt(1)
	flat_store_b32 v[74:75], v77 offset:36
	s_waitcnt vmcnt(0) lgkmcnt(1)
	flat_store_b32 v[84:85], v81
.LBB32_203:
	s_or_b32 exec_lo, exec_lo, s6
	v_mov_b32_e32 v84, v76
	v_mov_b32_e32 v81, v76
.LBB32_204:
	s_or_b32 exec_lo, exec_lo, s3
.LBB32_205:
	s_and_not1_saveexec_b32 s2, s2
	s_cbranch_execz .LBB32_207
; %bb.206:
	v_mov_b32_e32 v84, 9
	ds_store_2addr_b64 v78, v[24:25], v[26:27] offset0:20 offset1:21
	ds_store_2addr_b64 v78, v[20:21], v[22:23] offset0:22 offset1:23
	;; [unrolled: 1-line block ×7, first 2 shown]
.LBB32_207:
	s_or_b32 exec_lo, exec_lo, s2
	s_delay_alu instid0(SALU_CYCLE_1)
	s_mov_b32 s2, exec_lo
	s_waitcnt lgkmcnt(0)
	s_waitcnt_vscnt null, 0x0
	s_barrier
	buffer_gl0_inv
	v_cmpx_lt_i32_e32 9, v84
	s_cbranch_execz .LBB32_209
; %bb.208:
	v_mul_f64 v[76:77], v[68:69], v[30:31]
	v_mul_f64 v[30:31], v[70:71], v[30:31]
	ds_load_2addr_b64 v[85:88], v78 offset0:20 offset1:21
	ds_load_2addr_b64 v[89:92], v78 offset0:22 offset1:23
	;; [unrolled: 1-line block ×7, first 2 shown]
	v_fma_f64 v[70:71], v[70:71], v[28:29], v[76:77]
	v_fma_f64 v[28:29], v[68:69], v[28:29], -v[30:31]
	s_waitcnt lgkmcnt(6)
	s_delay_alu instid0(VALU_DEP_2)
	v_mul_f64 v[30:31], v[87:88], v[70:71]
	v_mul_f64 v[68:69], v[85:86], v[70:71]
	s_waitcnt lgkmcnt(5)
	v_mul_f64 v[76:77], v[91:92], v[70:71]
	v_mul_f64 v[113:114], v[89:90], v[70:71]
	s_waitcnt lgkmcnt(4)
	;; [unrolled: 3-line block ×6, first 2 shown]
	v_mul_f64 v[131:132], v[111:112], v[70:71]
	v_mul_f64 v[133:134], v[109:110], v[70:71]
	v_fma_f64 v[30:31], v[85:86], v[28:29], -v[30:31]
	v_fma_f64 v[68:69], v[87:88], v[28:29], v[68:69]
	v_fma_f64 v[76:77], v[89:90], v[28:29], -v[76:77]
	v_fma_f64 v[85:86], v[91:92], v[28:29], v[113:114]
	;; [unrolled: 2-line block ×7, first 2 shown]
	v_add_f64 v[24:25], v[24:25], -v[30:31]
	v_add_f64 v[26:27], v[26:27], -v[68:69]
	;; [unrolled: 1-line block ×14, first 2 shown]
	v_dual_mov_b32 v30, v70 :: v_dual_mov_b32 v31, v71
.LBB32_209:
	s_or_b32 exec_lo, exec_lo, s2
	v_lshl_add_u32 v68, v84, 4, v78
	s_barrier
	buffer_gl0_inv
	v_mov_b32_e32 v76, 10
	ds_store_2addr_b64 v68, v[24:25], v[26:27] offset1:1
	s_waitcnt lgkmcnt(0)
	s_barrier
	buffer_gl0_inv
	ds_load_2addr_b64 v[68:71], v78 offset0:20 offset1:21
	s_cmp_lt_i32 s5, 12
	s_cbranch_scc1 .LBB32_212
; %bb.210:
	v_add3_u32 v77, v83, 0, 0xb0
	v_mov_b32_e32 v76, 10
	s_mov_b32 s6, 11
	s_set_inst_prefetch_distance 0x1
	.p2align	6
.LBB32_211:                             ; =>This Inner Loop Header: Depth=1
	ds_load_2addr_b64 v[85:88], v77 offset1:1
	s_waitcnt lgkmcnt(1)
	v_cmp_gt_f64_e32 vcc_lo, 0, v[68:69]
	v_xor_b32_e32 v89, 0x80000000, v69
	v_cmp_gt_f64_e64 s2, 0, v[70:71]
	v_xor_b32_e32 v91, 0x80000000, v71
	v_add_nc_u32_e32 v77, 16, v77
	s_waitcnt lgkmcnt(0)
	v_cmp_gt_f64_e64 s3, 0, v[85:86]
	v_mov_b32_e32 v93, v85
	v_dual_mov_b32 v95, v87 :: v_dual_cndmask_b32 v90, v69, v89
	v_xor_b32_e32 v89, 0x80000000, v86
	v_cndmask_b32_e64 v92, v71, v91, s2
	v_xor_b32_e32 v91, 0x80000000, v88
	s_delay_alu instid0(VALU_DEP_3) | instskip(SKIP_2) | instid1(VALU_DEP_2)
	v_cndmask_b32_e64 v94, v86, v89, s3
	v_cmp_gt_f64_e64 s3, 0, v[87:88]
	v_cndmask_b32_e32 v89, v68, v68, vcc_lo
	v_cndmask_b32_e64 v96, v88, v91, s3
	v_cndmask_b32_e64 v91, v70, v70, s2
	s_delay_alu instid0(VALU_DEP_2) | instskip(NEXT) | instid1(VALU_DEP_2)
	v_add_f64 v[93:94], v[93:94], v[95:96]
	v_add_f64 v[89:90], v[89:90], v[91:92]
	s_delay_alu instid0(VALU_DEP_1) | instskip(SKIP_4) | instid1(SALU_CYCLE_1)
	v_cmp_lt_f64_e32 vcc_lo, v[89:90], v[93:94]
	v_dual_cndmask_b32 v70, v70, v87 :: v_dual_cndmask_b32 v69, v69, v86
	v_dual_cndmask_b32 v68, v68, v85 :: v_dual_cndmask_b32 v71, v71, v88
	v_cndmask_b32_e64 v76, v76, s6, vcc_lo
	s_add_i32 s6, s6, 1
	s_cmp_lg_u32 s5, s6
	s_cbranch_scc1 .LBB32_211
.LBB32_212:
	s_set_inst_prefetch_distance 0x2
	s_waitcnt lgkmcnt(0)
	v_cmp_eq_f64_e32 vcc_lo, 0, v[68:69]
	v_cmp_eq_f64_e64 s2, 0, v[70:71]
	s_delay_alu instid0(VALU_DEP_1) | instskip(NEXT) | instid1(SALU_CYCLE_1)
	s_and_b32 s2, vcc_lo, s2
	s_and_saveexec_b32 s3, s2
	s_delay_alu instid0(SALU_CYCLE_1)
	s_xor_b32 s2, exec_lo, s3
; %bb.213:
	v_cmp_ne_u32_e32 vcc_lo, 0, v82
	v_cndmask_b32_e32 v82, 11, v82, vcc_lo
; %bb.214:
	s_and_not1_saveexec_b32 s3, s2
	s_cbranch_execz .LBB32_220
; %bb.215:
	v_cmp_gt_f64_e32 vcc_lo, 0, v[68:69]
	v_cmp_gt_f64_e64 s2, 0, v[70:71]
	v_xor_b32_e32 v77, 0x80000000, v69
	v_xor_b32_e32 v85, 0x80000000, v71
	s_delay_alu instid0(VALU_DEP_2) | instskip(NEXT) | instid1(VALU_DEP_2)
	v_cndmask_b32_e32 v86, v69, v77, vcc_lo
	v_cndmask_b32_e64 v88, v71, v85, s2
	v_cndmask_b32_e32 v85, v68, v68, vcc_lo
	v_cndmask_b32_e64 v87, v70, v70, s2
	s_mov_b32 s2, exec_lo
	s_delay_alu instid0(VALU_DEP_1)
	v_cmpx_ngt_f64_e32 v[85:86], v[87:88]
	s_xor_b32 s2, exec_lo, s2
	s_cbranch_execz .LBB32_217
; %bb.216:
	v_div_scale_f64 v[85:86], null, v[70:71], v[70:71], v[68:69]
	v_div_scale_f64 v[91:92], vcc_lo, v[68:69], v[70:71], v[68:69]
	s_delay_alu instid0(VALU_DEP_2) | instskip(SKIP_2) | instid1(VALU_DEP_1)
	v_rcp_f64_e32 v[87:88], v[85:86]
	s_waitcnt_depctr 0xfff
	v_fma_f64 v[89:90], -v[85:86], v[87:88], 1.0
	v_fma_f64 v[87:88], v[87:88], v[89:90], v[87:88]
	s_delay_alu instid0(VALU_DEP_1) | instskip(NEXT) | instid1(VALU_DEP_1)
	v_fma_f64 v[89:90], -v[85:86], v[87:88], 1.0
	v_fma_f64 v[87:88], v[87:88], v[89:90], v[87:88]
	s_delay_alu instid0(VALU_DEP_1) | instskip(NEXT) | instid1(VALU_DEP_1)
	v_mul_f64 v[89:90], v[91:92], v[87:88]
	v_fma_f64 v[85:86], -v[85:86], v[89:90], v[91:92]
	s_delay_alu instid0(VALU_DEP_1) | instskip(NEXT) | instid1(VALU_DEP_1)
	v_div_fmas_f64 v[85:86], v[85:86], v[87:88], v[89:90]
	v_div_fixup_f64 v[85:86], v[85:86], v[70:71], v[68:69]
	s_delay_alu instid0(VALU_DEP_1) | instskip(NEXT) | instid1(VALU_DEP_1)
	v_fma_f64 v[68:69], v[68:69], v[85:86], v[70:71]
	v_div_scale_f64 v[70:71], null, v[68:69], v[68:69], 1.0
	s_delay_alu instid0(VALU_DEP_1) | instskip(SKIP_2) | instid1(VALU_DEP_1)
	v_rcp_f64_e32 v[87:88], v[70:71]
	s_waitcnt_depctr 0xfff
	v_fma_f64 v[89:90], -v[70:71], v[87:88], 1.0
	v_fma_f64 v[87:88], v[87:88], v[89:90], v[87:88]
	s_delay_alu instid0(VALU_DEP_1) | instskip(NEXT) | instid1(VALU_DEP_1)
	v_fma_f64 v[89:90], -v[70:71], v[87:88], 1.0
	v_fma_f64 v[87:88], v[87:88], v[89:90], v[87:88]
	v_div_scale_f64 v[89:90], vcc_lo, 1.0, v[68:69], 1.0
	s_delay_alu instid0(VALU_DEP_1) | instskip(NEXT) | instid1(VALU_DEP_1)
	v_mul_f64 v[91:92], v[89:90], v[87:88]
	v_fma_f64 v[70:71], -v[70:71], v[91:92], v[89:90]
	s_delay_alu instid0(VALU_DEP_1) | instskip(NEXT) | instid1(VALU_DEP_1)
	v_div_fmas_f64 v[70:71], v[70:71], v[87:88], v[91:92]
	v_div_fixup_f64 v[70:71], v[70:71], v[68:69], 1.0
	s_delay_alu instid0(VALU_DEP_1)
	v_mul_f64 v[68:69], v[85:86], v[70:71]
	v_xor_b32_e32 v71, 0x80000000, v71
.LBB32_217:
	s_and_not1_saveexec_b32 s2, s2
	s_cbranch_execz .LBB32_219
; %bb.218:
	s_delay_alu instid0(VALU_DEP_1) | instskip(SKIP_1) | instid1(VALU_DEP_2)
	v_div_scale_f64 v[85:86], null, v[68:69], v[68:69], v[70:71]
	v_div_scale_f64 v[91:92], vcc_lo, v[70:71], v[68:69], v[70:71]
	v_rcp_f64_e32 v[87:88], v[85:86]
	s_waitcnt_depctr 0xfff
	v_fma_f64 v[89:90], -v[85:86], v[87:88], 1.0
	s_delay_alu instid0(VALU_DEP_1) | instskip(NEXT) | instid1(VALU_DEP_1)
	v_fma_f64 v[87:88], v[87:88], v[89:90], v[87:88]
	v_fma_f64 v[89:90], -v[85:86], v[87:88], 1.0
	s_delay_alu instid0(VALU_DEP_1) | instskip(NEXT) | instid1(VALU_DEP_1)
	v_fma_f64 v[87:88], v[87:88], v[89:90], v[87:88]
	v_mul_f64 v[89:90], v[91:92], v[87:88]
	s_delay_alu instid0(VALU_DEP_1) | instskip(NEXT) | instid1(VALU_DEP_1)
	v_fma_f64 v[85:86], -v[85:86], v[89:90], v[91:92]
	v_div_fmas_f64 v[85:86], v[85:86], v[87:88], v[89:90]
	s_delay_alu instid0(VALU_DEP_1) | instskip(NEXT) | instid1(VALU_DEP_1)
	v_div_fixup_f64 v[85:86], v[85:86], v[68:69], v[70:71]
	v_fma_f64 v[68:69], v[70:71], v[85:86], v[68:69]
	s_delay_alu instid0(VALU_DEP_1) | instskip(NEXT) | instid1(VALU_DEP_1)
	v_div_scale_f64 v[70:71], null, v[68:69], v[68:69], 1.0
	v_rcp_f64_e32 v[87:88], v[70:71]
	s_waitcnt_depctr 0xfff
	v_fma_f64 v[89:90], -v[70:71], v[87:88], 1.0
	s_delay_alu instid0(VALU_DEP_1) | instskip(NEXT) | instid1(VALU_DEP_1)
	v_fma_f64 v[87:88], v[87:88], v[89:90], v[87:88]
	v_fma_f64 v[89:90], -v[70:71], v[87:88], 1.0
	s_delay_alu instid0(VALU_DEP_1) | instskip(SKIP_1) | instid1(VALU_DEP_1)
	v_fma_f64 v[87:88], v[87:88], v[89:90], v[87:88]
	v_div_scale_f64 v[89:90], vcc_lo, 1.0, v[68:69], 1.0
	v_mul_f64 v[91:92], v[89:90], v[87:88]
	s_delay_alu instid0(VALU_DEP_1) | instskip(NEXT) | instid1(VALU_DEP_1)
	v_fma_f64 v[70:71], -v[70:71], v[91:92], v[89:90]
	v_div_fmas_f64 v[70:71], v[70:71], v[87:88], v[91:92]
	s_delay_alu instid0(VALU_DEP_1) | instskip(NEXT) | instid1(VALU_DEP_1)
	v_div_fixup_f64 v[68:69], v[70:71], v[68:69], 1.0
	v_mul_f64 v[70:71], v[85:86], -v[68:69]
.LBB32_219:
	s_or_b32 exec_lo, exec_lo, s2
.LBB32_220:
	s_delay_alu instid0(SALU_CYCLE_1) | instskip(NEXT) | instid1(SALU_CYCLE_1)
	s_or_b32 exec_lo, exec_lo, s3
	s_mov_b32 s2, exec_lo
	v_cmpx_ne_u32_e64 v84, v76
	s_xor_b32 s2, exec_lo, s2
	s_cbranch_execz .LBB32_226
; %bb.221:
	s_mov_b32 s3, exec_lo
	v_cmpx_eq_u32_e32 10, v84
	s_cbranch_execz .LBB32_225
; %bb.222:
	v_cmp_ne_u32_e32 vcc_lo, 10, v76
	s_xor_b32 s6, s4, -1
	s_delay_alu instid0(SALU_CYCLE_1) | instskip(NEXT) | instid1(SALU_CYCLE_1)
	s_and_b32 s7, s6, vcc_lo
	s_and_saveexec_b32 s6, s7
	s_cbranch_execz .LBB32_224
; %bb.223:
	v_ashrrev_i32_e32 v77, 31, v76
	s_delay_alu instid0(VALU_DEP_1) | instskip(NEXT) | instid1(VALU_DEP_1)
	v_lshlrev_b64 v[84:85], 2, v[76:77]
	v_add_co_u32 v84, vcc_lo, v74, v84
	s_delay_alu instid0(VALU_DEP_2)
	v_add_co_ci_u32_e32 v85, vcc_lo, v75, v85, vcc_lo
	s_clause 0x1
	flat_load_b32 v77, v[84:85]
	flat_load_b32 v81, v[74:75] offset:40
	s_waitcnt vmcnt(1) lgkmcnt(1)
	flat_store_b32 v[74:75], v77 offset:40
	s_waitcnt vmcnt(0) lgkmcnt(1)
	flat_store_b32 v[84:85], v81
.LBB32_224:
	s_or_b32 exec_lo, exec_lo, s6
	v_mov_b32_e32 v84, v76
	v_mov_b32_e32 v81, v76
.LBB32_225:
	s_or_b32 exec_lo, exec_lo, s3
.LBB32_226:
	s_and_not1_saveexec_b32 s2, s2
	s_cbranch_execz .LBB32_228
; %bb.227:
	v_mov_b32_e32 v84, 10
	ds_store_2addr_b64 v78, v[20:21], v[22:23] offset0:22 offset1:23
	ds_store_2addr_b64 v78, v[16:17], v[18:19] offset0:24 offset1:25
	ds_store_2addr_b64 v78, v[12:13], v[14:15] offset0:26 offset1:27
	ds_store_2addr_b64 v78, v[8:9], v[10:11] offset0:28 offset1:29
	ds_store_2addr_b64 v78, v[4:5], v[6:7] offset0:30 offset1:31
	ds_store_2addr_b64 v78, v[0:1], v[2:3] offset0:32 offset1:33
.LBB32_228:
	s_or_b32 exec_lo, exec_lo, s2
	s_delay_alu instid0(SALU_CYCLE_1)
	s_mov_b32 s2, exec_lo
	s_waitcnt lgkmcnt(0)
	s_waitcnt_vscnt null, 0x0
	s_barrier
	buffer_gl0_inv
	v_cmpx_lt_i32_e32 10, v84
	s_cbranch_execz .LBB32_230
; %bb.229:
	v_mul_f64 v[76:77], v[68:69], v[26:27]
	v_mul_f64 v[26:27], v[70:71], v[26:27]
	ds_load_2addr_b64 v[85:88], v78 offset0:22 offset1:23
	ds_load_2addr_b64 v[89:92], v78 offset0:24 offset1:25
	;; [unrolled: 1-line block ×6, first 2 shown]
	v_fma_f64 v[70:71], v[70:71], v[24:25], v[76:77]
	v_fma_f64 v[24:25], v[68:69], v[24:25], -v[26:27]
	s_waitcnt lgkmcnt(5)
	s_delay_alu instid0(VALU_DEP_2)
	v_mul_f64 v[26:27], v[87:88], v[70:71]
	v_mul_f64 v[68:69], v[85:86], v[70:71]
	s_waitcnt lgkmcnt(4)
	v_mul_f64 v[76:77], v[91:92], v[70:71]
	v_mul_f64 v[109:110], v[89:90], v[70:71]
	s_waitcnt lgkmcnt(3)
	;; [unrolled: 3-line block ×5, first 2 shown]
	v_mul_f64 v[123:124], v[107:108], v[70:71]
	v_mul_f64 v[125:126], v[105:106], v[70:71]
	v_fma_f64 v[26:27], v[85:86], v[24:25], -v[26:27]
	v_fma_f64 v[68:69], v[87:88], v[24:25], v[68:69]
	v_fma_f64 v[76:77], v[89:90], v[24:25], -v[76:77]
	v_fma_f64 v[85:86], v[91:92], v[24:25], v[109:110]
	;; [unrolled: 2-line block ×6, first 2 shown]
	v_add_f64 v[20:21], v[20:21], -v[26:27]
	v_add_f64 v[22:23], v[22:23], -v[68:69]
	;; [unrolled: 1-line block ×12, first 2 shown]
	v_dual_mov_b32 v26, v70 :: v_dual_mov_b32 v27, v71
.LBB32_230:
	s_or_b32 exec_lo, exec_lo, s2
	v_lshl_add_u32 v68, v84, 4, v78
	s_barrier
	buffer_gl0_inv
	v_mov_b32_e32 v76, 11
	ds_store_2addr_b64 v68, v[20:21], v[22:23] offset1:1
	s_waitcnt lgkmcnt(0)
	s_barrier
	buffer_gl0_inv
	ds_load_2addr_b64 v[68:71], v78 offset0:22 offset1:23
	s_cmp_lt_i32 s5, 13
	s_cbranch_scc1 .LBB32_233
; %bb.231:
	v_add3_u32 v77, v83, 0, 0xc0
	v_mov_b32_e32 v76, 11
	s_mov_b32 s6, 12
	s_set_inst_prefetch_distance 0x1
	.p2align	6
.LBB32_232:                             ; =>This Inner Loop Header: Depth=1
	ds_load_2addr_b64 v[85:88], v77 offset1:1
	s_waitcnt lgkmcnt(1)
	v_cmp_gt_f64_e32 vcc_lo, 0, v[68:69]
	v_xor_b32_e32 v89, 0x80000000, v69
	v_cmp_gt_f64_e64 s2, 0, v[70:71]
	v_xor_b32_e32 v91, 0x80000000, v71
	v_add_nc_u32_e32 v77, 16, v77
	s_waitcnt lgkmcnt(0)
	v_cmp_gt_f64_e64 s3, 0, v[85:86]
	v_mov_b32_e32 v93, v85
	v_dual_mov_b32 v95, v87 :: v_dual_cndmask_b32 v90, v69, v89
	v_xor_b32_e32 v89, 0x80000000, v86
	v_cndmask_b32_e64 v92, v71, v91, s2
	v_xor_b32_e32 v91, 0x80000000, v88
	s_delay_alu instid0(VALU_DEP_3) | instskip(SKIP_2) | instid1(VALU_DEP_2)
	v_cndmask_b32_e64 v94, v86, v89, s3
	v_cmp_gt_f64_e64 s3, 0, v[87:88]
	v_cndmask_b32_e32 v89, v68, v68, vcc_lo
	v_cndmask_b32_e64 v96, v88, v91, s3
	v_cndmask_b32_e64 v91, v70, v70, s2
	s_delay_alu instid0(VALU_DEP_2) | instskip(NEXT) | instid1(VALU_DEP_2)
	v_add_f64 v[93:94], v[93:94], v[95:96]
	v_add_f64 v[89:90], v[89:90], v[91:92]
	s_delay_alu instid0(VALU_DEP_1) | instskip(SKIP_4) | instid1(SALU_CYCLE_1)
	v_cmp_lt_f64_e32 vcc_lo, v[89:90], v[93:94]
	v_dual_cndmask_b32 v70, v70, v87 :: v_dual_cndmask_b32 v69, v69, v86
	v_dual_cndmask_b32 v68, v68, v85 :: v_dual_cndmask_b32 v71, v71, v88
	v_cndmask_b32_e64 v76, v76, s6, vcc_lo
	s_add_i32 s6, s6, 1
	s_cmp_lg_u32 s5, s6
	s_cbranch_scc1 .LBB32_232
.LBB32_233:
	s_set_inst_prefetch_distance 0x2
	s_waitcnt lgkmcnt(0)
	v_cmp_eq_f64_e32 vcc_lo, 0, v[68:69]
	v_cmp_eq_f64_e64 s2, 0, v[70:71]
	s_delay_alu instid0(VALU_DEP_1) | instskip(NEXT) | instid1(SALU_CYCLE_1)
	s_and_b32 s2, vcc_lo, s2
	s_and_saveexec_b32 s3, s2
	s_delay_alu instid0(SALU_CYCLE_1)
	s_xor_b32 s2, exec_lo, s3
; %bb.234:
	v_cmp_ne_u32_e32 vcc_lo, 0, v82
	v_cndmask_b32_e32 v82, 12, v82, vcc_lo
; %bb.235:
	s_and_not1_saveexec_b32 s3, s2
	s_cbranch_execz .LBB32_241
; %bb.236:
	v_cmp_gt_f64_e32 vcc_lo, 0, v[68:69]
	v_cmp_gt_f64_e64 s2, 0, v[70:71]
	v_xor_b32_e32 v77, 0x80000000, v69
	v_xor_b32_e32 v85, 0x80000000, v71
	s_delay_alu instid0(VALU_DEP_2) | instskip(NEXT) | instid1(VALU_DEP_2)
	v_cndmask_b32_e32 v86, v69, v77, vcc_lo
	v_cndmask_b32_e64 v88, v71, v85, s2
	v_cndmask_b32_e32 v85, v68, v68, vcc_lo
	v_cndmask_b32_e64 v87, v70, v70, s2
	s_mov_b32 s2, exec_lo
	s_delay_alu instid0(VALU_DEP_1)
	v_cmpx_ngt_f64_e32 v[85:86], v[87:88]
	s_xor_b32 s2, exec_lo, s2
	s_cbranch_execz .LBB32_238
; %bb.237:
	v_div_scale_f64 v[85:86], null, v[70:71], v[70:71], v[68:69]
	v_div_scale_f64 v[91:92], vcc_lo, v[68:69], v[70:71], v[68:69]
	s_delay_alu instid0(VALU_DEP_2) | instskip(SKIP_2) | instid1(VALU_DEP_1)
	v_rcp_f64_e32 v[87:88], v[85:86]
	s_waitcnt_depctr 0xfff
	v_fma_f64 v[89:90], -v[85:86], v[87:88], 1.0
	v_fma_f64 v[87:88], v[87:88], v[89:90], v[87:88]
	s_delay_alu instid0(VALU_DEP_1) | instskip(NEXT) | instid1(VALU_DEP_1)
	v_fma_f64 v[89:90], -v[85:86], v[87:88], 1.0
	v_fma_f64 v[87:88], v[87:88], v[89:90], v[87:88]
	s_delay_alu instid0(VALU_DEP_1) | instskip(NEXT) | instid1(VALU_DEP_1)
	v_mul_f64 v[89:90], v[91:92], v[87:88]
	v_fma_f64 v[85:86], -v[85:86], v[89:90], v[91:92]
	s_delay_alu instid0(VALU_DEP_1) | instskip(NEXT) | instid1(VALU_DEP_1)
	v_div_fmas_f64 v[85:86], v[85:86], v[87:88], v[89:90]
	v_div_fixup_f64 v[85:86], v[85:86], v[70:71], v[68:69]
	s_delay_alu instid0(VALU_DEP_1) | instskip(NEXT) | instid1(VALU_DEP_1)
	v_fma_f64 v[68:69], v[68:69], v[85:86], v[70:71]
	v_div_scale_f64 v[70:71], null, v[68:69], v[68:69], 1.0
	s_delay_alu instid0(VALU_DEP_1) | instskip(SKIP_2) | instid1(VALU_DEP_1)
	v_rcp_f64_e32 v[87:88], v[70:71]
	s_waitcnt_depctr 0xfff
	v_fma_f64 v[89:90], -v[70:71], v[87:88], 1.0
	v_fma_f64 v[87:88], v[87:88], v[89:90], v[87:88]
	s_delay_alu instid0(VALU_DEP_1) | instskip(NEXT) | instid1(VALU_DEP_1)
	v_fma_f64 v[89:90], -v[70:71], v[87:88], 1.0
	v_fma_f64 v[87:88], v[87:88], v[89:90], v[87:88]
	v_div_scale_f64 v[89:90], vcc_lo, 1.0, v[68:69], 1.0
	s_delay_alu instid0(VALU_DEP_1) | instskip(NEXT) | instid1(VALU_DEP_1)
	v_mul_f64 v[91:92], v[89:90], v[87:88]
	v_fma_f64 v[70:71], -v[70:71], v[91:92], v[89:90]
	s_delay_alu instid0(VALU_DEP_1) | instskip(NEXT) | instid1(VALU_DEP_1)
	v_div_fmas_f64 v[70:71], v[70:71], v[87:88], v[91:92]
	v_div_fixup_f64 v[70:71], v[70:71], v[68:69], 1.0
	s_delay_alu instid0(VALU_DEP_1)
	v_mul_f64 v[68:69], v[85:86], v[70:71]
	v_xor_b32_e32 v71, 0x80000000, v71
.LBB32_238:
	s_and_not1_saveexec_b32 s2, s2
	s_cbranch_execz .LBB32_240
; %bb.239:
	s_delay_alu instid0(VALU_DEP_1) | instskip(SKIP_1) | instid1(VALU_DEP_2)
	v_div_scale_f64 v[85:86], null, v[68:69], v[68:69], v[70:71]
	v_div_scale_f64 v[91:92], vcc_lo, v[70:71], v[68:69], v[70:71]
	v_rcp_f64_e32 v[87:88], v[85:86]
	s_waitcnt_depctr 0xfff
	v_fma_f64 v[89:90], -v[85:86], v[87:88], 1.0
	s_delay_alu instid0(VALU_DEP_1) | instskip(NEXT) | instid1(VALU_DEP_1)
	v_fma_f64 v[87:88], v[87:88], v[89:90], v[87:88]
	v_fma_f64 v[89:90], -v[85:86], v[87:88], 1.0
	s_delay_alu instid0(VALU_DEP_1) | instskip(NEXT) | instid1(VALU_DEP_1)
	v_fma_f64 v[87:88], v[87:88], v[89:90], v[87:88]
	v_mul_f64 v[89:90], v[91:92], v[87:88]
	s_delay_alu instid0(VALU_DEP_1) | instskip(NEXT) | instid1(VALU_DEP_1)
	v_fma_f64 v[85:86], -v[85:86], v[89:90], v[91:92]
	v_div_fmas_f64 v[85:86], v[85:86], v[87:88], v[89:90]
	s_delay_alu instid0(VALU_DEP_1) | instskip(NEXT) | instid1(VALU_DEP_1)
	v_div_fixup_f64 v[85:86], v[85:86], v[68:69], v[70:71]
	v_fma_f64 v[68:69], v[70:71], v[85:86], v[68:69]
	s_delay_alu instid0(VALU_DEP_1) | instskip(NEXT) | instid1(VALU_DEP_1)
	v_div_scale_f64 v[70:71], null, v[68:69], v[68:69], 1.0
	v_rcp_f64_e32 v[87:88], v[70:71]
	s_waitcnt_depctr 0xfff
	v_fma_f64 v[89:90], -v[70:71], v[87:88], 1.0
	s_delay_alu instid0(VALU_DEP_1) | instskip(NEXT) | instid1(VALU_DEP_1)
	v_fma_f64 v[87:88], v[87:88], v[89:90], v[87:88]
	v_fma_f64 v[89:90], -v[70:71], v[87:88], 1.0
	s_delay_alu instid0(VALU_DEP_1) | instskip(SKIP_1) | instid1(VALU_DEP_1)
	v_fma_f64 v[87:88], v[87:88], v[89:90], v[87:88]
	v_div_scale_f64 v[89:90], vcc_lo, 1.0, v[68:69], 1.0
	v_mul_f64 v[91:92], v[89:90], v[87:88]
	s_delay_alu instid0(VALU_DEP_1) | instskip(NEXT) | instid1(VALU_DEP_1)
	v_fma_f64 v[70:71], -v[70:71], v[91:92], v[89:90]
	v_div_fmas_f64 v[70:71], v[70:71], v[87:88], v[91:92]
	s_delay_alu instid0(VALU_DEP_1) | instskip(NEXT) | instid1(VALU_DEP_1)
	v_div_fixup_f64 v[68:69], v[70:71], v[68:69], 1.0
	v_mul_f64 v[70:71], v[85:86], -v[68:69]
.LBB32_240:
	s_or_b32 exec_lo, exec_lo, s2
.LBB32_241:
	s_delay_alu instid0(SALU_CYCLE_1) | instskip(NEXT) | instid1(SALU_CYCLE_1)
	s_or_b32 exec_lo, exec_lo, s3
	s_mov_b32 s2, exec_lo
	v_cmpx_ne_u32_e64 v84, v76
	s_xor_b32 s2, exec_lo, s2
	s_cbranch_execz .LBB32_247
; %bb.242:
	s_mov_b32 s3, exec_lo
	v_cmpx_eq_u32_e32 11, v84
	s_cbranch_execz .LBB32_246
; %bb.243:
	v_cmp_ne_u32_e32 vcc_lo, 11, v76
	s_xor_b32 s6, s4, -1
	s_delay_alu instid0(SALU_CYCLE_1) | instskip(NEXT) | instid1(SALU_CYCLE_1)
	s_and_b32 s7, s6, vcc_lo
	s_and_saveexec_b32 s6, s7
	s_cbranch_execz .LBB32_245
; %bb.244:
	v_ashrrev_i32_e32 v77, 31, v76
	s_delay_alu instid0(VALU_DEP_1) | instskip(NEXT) | instid1(VALU_DEP_1)
	v_lshlrev_b64 v[84:85], 2, v[76:77]
	v_add_co_u32 v84, vcc_lo, v74, v84
	s_delay_alu instid0(VALU_DEP_2)
	v_add_co_ci_u32_e32 v85, vcc_lo, v75, v85, vcc_lo
	s_clause 0x1
	flat_load_b32 v77, v[84:85]
	flat_load_b32 v81, v[74:75] offset:44
	s_waitcnt vmcnt(1) lgkmcnt(1)
	flat_store_b32 v[74:75], v77 offset:44
	s_waitcnt vmcnt(0) lgkmcnt(1)
	flat_store_b32 v[84:85], v81
.LBB32_245:
	s_or_b32 exec_lo, exec_lo, s6
	v_mov_b32_e32 v84, v76
	v_mov_b32_e32 v81, v76
.LBB32_246:
	s_or_b32 exec_lo, exec_lo, s3
.LBB32_247:
	s_and_not1_saveexec_b32 s2, s2
	s_cbranch_execz .LBB32_249
; %bb.248:
	v_mov_b32_e32 v84, 11
	ds_store_2addr_b64 v78, v[16:17], v[18:19] offset0:24 offset1:25
	ds_store_2addr_b64 v78, v[12:13], v[14:15] offset0:26 offset1:27
	;; [unrolled: 1-line block ×5, first 2 shown]
.LBB32_249:
	s_or_b32 exec_lo, exec_lo, s2
	s_delay_alu instid0(SALU_CYCLE_1)
	s_mov_b32 s2, exec_lo
	s_waitcnt lgkmcnt(0)
	s_waitcnt_vscnt null, 0x0
	s_barrier
	buffer_gl0_inv
	v_cmpx_lt_i32_e32 11, v84
	s_cbranch_execz .LBB32_251
; %bb.250:
	v_mul_f64 v[76:77], v[68:69], v[22:23]
	v_mul_f64 v[22:23], v[70:71], v[22:23]
	ds_load_2addr_b64 v[85:88], v78 offset0:24 offset1:25
	ds_load_2addr_b64 v[89:92], v78 offset0:26 offset1:27
	;; [unrolled: 1-line block ×5, first 2 shown]
	v_fma_f64 v[70:71], v[70:71], v[20:21], v[76:77]
	v_fma_f64 v[20:21], v[68:69], v[20:21], -v[22:23]
	s_waitcnt lgkmcnt(4)
	s_delay_alu instid0(VALU_DEP_2)
	v_mul_f64 v[22:23], v[87:88], v[70:71]
	v_mul_f64 v[68:69], v[85:86], v[70:71]
	s_waitcnt lgkmcnt(3)
	v_mul_f64 v[76:77], v[91:92], v[70:71]
	v_mul_f64 v[105:106], v[89:90], v[70:71]
	s_waitcnt lgkmcnt(2)
	;; [unrolled: 3-line block ×4, first 2 shown]
	v_mul_f64 v[115:116], v[103:104], v[70:71]
	v_mul_f64 v[117:118], v[101:102], v[70:71]
	v_fma_f64 v[22:23], v[85:86], v[20:21], -v[22:23]
	v_fma_f64 v[68:69], v[87:88], v[20:21], v[68:69]
	v_fma_f64 v[76:77], v[89:90], v[20:21], -v[76:77]
	v_fma_f64 v[85:86], v[91:92], v[20:21], v[105:106]
	;; [unrolled: 2-line block ×5, first 2 shown]
	v_add_f64 v[16:17], v[16:17], -v[22:23]
	v_add_f64 v[18:19], v[18:19], -v[68:69]
	;; [unrolled: 1-line block ×10, first 2 shown]
	v_dual_mov_b32 v22, v70 :: v_dual_mov_b32 v23, v71
.LBB32_251:
	s_or_b32 exec_lo, exec_lo, s2
	v_lshl_add_u32 v68, v84, 4, v78
	s_barrier
	buffer_gl0_inv
	v_mov_b32_e32 v76, 12
	ds_store_2addr_b64 v68, v[16:17], v[18:19] offset1:1
	s_waitcnt lgkmcnt(0)
	s_barrier
	buffer_gl0_inv
	ds_load_2addr_b64 v[68:71], v78 offset0:24 offset1:25
	s_cmp_lt_i32 s5, 14
	s_cbranch_scc1 .LBB32_254
; %bb.252:
	v_add3_u32 v77, v83, 0, 0xd0
	v_mov_b32_e32 v76, 12
	s_mov_b32 s6, 13
	s_set_inst_prefetch_distance 0x1
	.p2align	6
.LBB32_253:                             ; =>This Inner Loop Header: Depth=1
	ds_load_2addr_b64 v[85:88], v77 offset1:1
	s_waitcnt lgkmcnt(1)
	v_cmp_gt_f64_e32 vcc_lo, 0, v[68:69]
	v_xor_b32_e32 v89, 0x80000000, v69
	v_cmp_gt_f64_e64 s2, 0, v[70:71]
	v_xor_b32_e32 v91, 0x80000000, v71
	v_add_nc_u32_e32 v77, 16, v77
	s_waitcnt lgkmcnt(0)
	v_cmp_gt_f64_e64 s3, 0, v[85:86]
	v_mov_b32_e32 v93, v85
	v_dual_mov_b32 v95, v87 :: v_dual_cndmask_b32 v90, v69, v89
	v_xor_b32_e32 v89, 0x80000000, v86
	v_cndmask_b32_e64 v92, v71, v91, s2
	v_xor_b32_e32 v91, 0x80000000, v88
	s_delay_alu instid0(VALU_DEP_3) | instskip(SKIP_2) | instid1(VALU_DEP_2)
	v_cndmask_b32_e64 v94, v86, v89, s3
	v_cmp_gt_f64_e64 s3, 0, v[87:88]
	v_cndmask_b32_e32 v89, v68, v68, vcc_lo
	v_cndmask_b32_e64 v96, v88, v91, s3
	v_cndmask_b32_e64 v91, v70, v70, s2
	s_delay_alu instid0(VALU_DEP_2) | instskip(NEXT) | instid1(VALU_DEP_2)
	v_add_f64 v[93:94], v[93:94], v[95:96]
	v_add_f64 v[89:90], v[89:90], v[91:92]
	s_delay_alu instid0(VALU_DEP_1) | instskip(SKIP_4) | instid1(SALU_CYCLE_1)
	v_cmp_lt_f64_e32 vcc_lo, v[89:90], v[93:94]
	v_dual_cndmask_b32 v70, v70, v87 :: v_dual_cndmask_b32 v69, v69, v86
	v_dual_cndmask_b32 v68, v68, v85 :: v_dual_cndmask_b32 v71, v71, v88
	v_cndmask_b32_e64 v76, v76, s6, vcc_lo
	s_add_i32 s6, s6, 1
	s_cmp_lg_u32 s5, s6
	s_cbranch_scc1 .LBB32_253
.LBB32_254:
	s_set_inst_prefetch_distance 0x2
	s_waitcnt lgkmcnt(0)
	v_cmp_eq_f64_e32 vcc_lo, 0, v[68:69]
	v_cmp_eq_f64_e64 s2, 0, v[70:71]
	s_delay_alu instid0(VALU_DEP_1) | instskip(NEXT) | instid1(SALU_CYCLE_1)
	s_and_b32 s2, vcc_lo, s2
	s_and_saveexec_b32 s3, s2
	s_delay_alu instid0(SALU_CYCLE_1)
	s_xor_b32 s2, exec_lo, s3
; %bb.255:
	v_cmp_ne_u32_e32 vcc_lo, 0, v82
	v_cndmask_b32_e32 v82, 13, v82, vcc_lo
; %bb.256:
	s_and_not1_saveexec_b32 s3, s2
	s_cbranch_execz .LBB32_262
; %bb.257:
	v_cmp_gt_f64_e32 vcc_lo, 0, v[68:69]
	v_cmp_gt_f64_e64 s2, 0, v[70:71]
	v_xor_b32_e32 v77, 0x80000000, v69
	v_xor_b32_e32 v85, 0x80000000, v71
	s_delay_alu instid0(VALU_DEP_2) | instskip(NEXT) | instid1(VALU_DEP_2)
	v_cndmask_b32_e32 v86, v69, v77, vcc_lo
	v_cndmask_b32_e64 v88, v71, v85, s2
	v_cndmask_b32_e32 v85, v68, v68, vcc_lo
	v_cndmask_b32_e64 v87, v70, v70, s2
	s_mov_b32 s2, exec_lo
	s_delay_alu instid0(VALU_DEP_1)
	v_cmpx_ngt_f64_e32 v[85:86], v[87:88]
	s_xor_b32 s2, exec_lo, s2
	s_cbranch_execz .LBB32_259
; %bb.258:
	v_div_scale_f64 v[85:86], null, v[70:71], v[70:71], v[68:69]
	v_div_scale_f64 v[91:92], vcc_lo, v[68:69], v[70:71], v[68:69]
	s_delay_alu instid0(VALU_DEP_2) | instskip(SKIP_2) | instid1(VALU_DEP_1)
	v_rcp_f64_e32 v[87:88], v[85:86]
	s_waitcnt_depctr 0xfff
	v_fma_f64 v[89:90], -v[85:86], v[87:88], 1.0
	v_fma_f64 v[87:88], v[87:88], v[89:90], v[87:88]
	s_delay_alu instid0(VALU_DEP_1) | instskip(NEXT) | instid1(VALU_DEP_1)
	v_fma_f64 v[89:90], -v[85:86], v[87:88], 1.0
	v_fma_f64 v[87:88], v[87:88], v[89:90], v[87:88]
	s_delay_alu instid0(VALU_DEP_1) | instskip(NEXT) | instid1(VALU_DEP_1)
	v_mul_f64 v[89:90], v[91:92], v[87:88]
	v_fma_f64 v[85:86], -v[85:86], v[89:90], v[91:92]
	s_delay_alu instid0(VALU_DEP_1) | instskip(NEXT) | instid1(VALU_DEP_1)
	v_div_fmas_f64 v[85:86], v[85:86], v[87:88], v[89:90]
	v_div_fixup_f64 v[85:86], v[85:86], v[70:71], v[68:69]
	s_delay_alu instid0(VALU_DEP_1) | instskip(NEXT) | instid1(VALU_DEP_1)
	v_fma_f64 v[68:69], v[68:69], v[85:86], v[70:71]
	v_div_scale_f64 v[70:71], null, v[68:69], v[68:69], 1.0
	s_delay_alu instid0(VALU_DEP_1) | instskip(SKIP_2) | instid1(VALU_DEP_1)
	v_rcp_f64_e32 v[87:88], v[70:71]
	s_waitcnt_depctr 0xfff
	v_fma_f64 v[89:90], -v[70:71], v[87:88], 1.0
	v_fma_f64 v[87:88], v[87:88], v[89:90], v[87:88]
	s_delay_alu instid0(VALU_DEP_1) | instskip(NEXT) | instid1(VALU_DEP_1)
	v_fma_f64 v[89:90], -v[70:71], v[87:88], 1.0
	v_fma_f64 v[87:88], v[87:88], v[89:90], v[87:88]
	v_div_scale_f64 v[89:90], vcc_lo, 1.0, v[68:69], 1.0
	s_delay_alu instid0(VALU_DEP_1) | instskip(NEXT) | instid1(VALU_DEP_1)
	v_mul_f64 v[91:92], v[89:90], v[87:88]
	v_fma_f64 v[70:71], -v[70:71], v[91:92], v[89:90]
	s_delay_alu instid0(VALU_DEP_1) | instskip(NEXT) | instid1(VALU_DEP_1)
	v_div_fmas_f64 v[70:71], v[70:71], v[87:88], v[91:92]
	v_div_fixup_f64 v[70:71], v[70:71], v[68:69], 1.0
	s_delay_alu instid0(VALU_DEP_1)
	v_mul_f64 v[68:69], v[85:86], v[70:71]
	v_xor_b32_e32 v71, 0x80000000, v71
.LBB32_259:
	s_and_not1_saveexec_b32 s2, s2
	s_cbranch_execz .LBB32_261
; %bb.260:
	s_delay_alu instid0(VALU_DEP_1) | instskip(SKIP_1) | instid1(VALU_DEP_2)
	v_div_scale_f64 v[85:86], null, v[68:69], v[68:69], v[70:71]
	v_div_scale_f64 v[91:92], vcc_lo, v[70:71], v[68:69], v[70:71]
	v_rcp_f64_e32 v[87:88], v[85:86]
	s_waitcnt_depctr 0xfff
	v_fma_f64 v[89:90], -v[85:86], v[87:88], 1.0
	s_delay_alu instid0(VALU_DEP_1) | instskip(NEXT) | instid1(VALU_DEP_1)
	v_fma_f64 v[87:88], v[87:88], v[89:90], v[87:88]
	v_fma_f64 v[89:90], -v[85:86], v[87:88], 1.0
	s_delay_alu instid0(VALU_DEP_1) | instskip(NEXT) | instid1(VALU_DEP_1)
	v_fma_f64 v[87:88], v[87:88], v[89:90], v[87:88]
	v_mul_f64 v[89:90], v[91:92], v[87:88]
	s_delay_alu instid0(VALU_DEP_1) | instskip(NEXT) | instid1(VALU_DEP_1)
	v_fma_f64 v[85:86], -v[85:86], v[89:90], v[91:92]
	v_div_fmas_f64 v[85:86], v[85:86], v[87:88], v[89:90]
	s_delay_alu instid0(VALU_DEP_1) | instskip(NEXT) | instid1(VALU_DEP_1)
	v_div_fixup_f64 v[85:86], v[85:86], v[68:69], v[70:71]
	v_fma_f64 v[68:69], v[70:71], v[85:86], v[68:69]
	s_delay_alu instid0(VALU_DEP_1) | instskip(NEXT) | instid1(VALU_DEP_1)
	v_div_scale_f64 v[70:71], null, v[68:69], v[68:69], 1.0
	v_rcp_f64_e32 v[87:88], v[70:71]
	s_waitcnt_depctr 0xfff
	v_fma_f64 v[89:90], -v[70:71], v[87:88], 1.0
	s_delay_alu instid0(VALU_DEP_1) | instskip(NEXT) | instid1(VALU_DEP_1)
	v_fma_f64 v[87:88], v[87:88], v[89:90], v[87:88]
	v_fma_f64 v[89:90], -v[70:71], v[87:88], 1.0
	s_delay_alu instid0(VALU_DEP_1) | instskip(SKIP_1) | instid1(VALU_DEP_1)
	v_fma_f64 v[87:88], v[87:88], v[89:90], v[87:88]
	v_div_scale_f64 v[89:90], vcc_lo, 1.0, v[68:69], 1.0
	v_mul_f64 v[91:92], v[89:90], v[87:88]
	s_delay_alu instid0(VALU_DEP_1) | instskip(NEXT) | instid1(VALU_DEP_1)
	v_fma_f64 v[70:71], -v[70:71], v[91:92], v[89:90]
	v_div_fmas_f64 v[70:71], v[70:71], v[87:88], v[91:92]
	s_delay_alu instid0(VALU_DEP_1) | instskip(NEXT) | instid1(VALU_DEP_1)
	v_div_fixup_f64 v[68:69], v[70:71], v[68:69], 1.0
	v_mul_f64 v[70:71], v[85:86], -v[68:69]
.LBB32_261:
	s_or_b32 exec_lo, exec_lo, s2
.LBB32_262:
	s_delay_alu instid0(SALU_CYCLE_1) | instskip(NEXT) | instid1(SALU_CYCLE_1)
	s_or_b32 exec_lo, exec_lo, s3
	s_mov_b32 s2, exec_lo
	v_cmpx_ne_u32_e64 v84, v76
	s_xor_b32 s2, exec_lo, s2
	s_cbranch_execz .LBB32_268
; %bb.263:
	s_mov_b32 s3, exec_lo
	v_cmpx_eq_u32_e32 12, v84
	s_cbranch_execz .LBB32_267
; %bb.264:
	v_cmp_ne_u32_e32 vcc_lo, 12, v76
	s_xor_b32 s6, s4, -1
	s_delay_alu instid0(SALU_CYCLE_1) | instskip(NEXT) | instid1(SALU_CYCLE_1)
	s_and_b32 s7, s6, vcc_lo
	s_and_saveexec_b32 s6, s7
	s_cbranch_execz .LBB32_266
; %bb.265:
	v_ashrrev_i32_e32 v77, 31, v76
	s_delay_alu instid0(VALU_DEP_1) | instskip(NEXT) | instid1(VALU_DEP_1)
	v_lshlrev_b64 v[84:85], 2, v[76:77]
	v_add_co_u32 v84, vcc_lo, v74, v84
	s_delay_alu instid0(VALU_DEP_2)
	v_add_co_ci_u32_e32 v85, vcc_lo, v75, v85, vcc_lo
	s_clause 0x1
	flat_load_b32 v77, v[84:85]
	flat_load_b32 v81, v[74:75] offset:48
	s_waitcnt vmcnt(1) lgkmcnt(1)
	flat_store_b32 v[74:75], v77 offset:48
	s_waitcnt vmcnt(0) lgkmcnt(1)
	flat_store_b32 v[84:85], v81
.LBB32_266:
	s_or_b32 exec_lo, exec_lo, s6
	v_mov_b32_e32 v84, v76
	v_mov_b32_e32 v81, v76
.LBB32_267:
	s_or_b32 exec_lo, exec_lo, s3
.LBB32_268:
	s_and_not1_saveexec_b32 s2, s2
	s_cbranch_execz .LBB32_270
; %bb.269:
	v_mov_b32_e32 v84, 12
	ds_store_2addr_b64 v78, v[12:13], v[14:15] offset0:26 offset1:27
	ds_store_2addr_b64 v78, v[8:9], v[10:11] offset0:28 offset1:29
	;; [unrolled: 1-line block ×4, first 2 shown]
.LBB32_270:
	s_or_b32 exec_lo, exec_lo, s2
	s_delay_alu instid0(SALU_CYCLE_1)
	s_mov_b32 s2, exec_lo
	s_waitcnt lgkmcnt(0)
	s_waitcnt_vscnt null, 0x0
	s_barrier
	buffer_gl0_inv
	v_cmpx_lt_i32_e32 12, v84
	s_cbranch_execz .LBB32_272
; %bb.271:
	v_mul_f64 v[76:77], v[68:69], v[18:19]
	v_mul_f64 v[18:19], v[70:71], v[18:19]
	ds_load_2addr_b64 v[85:88], v78 offset0:26 offset1:27
	ds_load_2addr_b64 v[89:92], v78 offset0:28 offset1:29
	;; [unrolled: 1-line block ×4, first 2 shown]
	v_fma_f64 v[70:71], v[70:71], v[16:17], v[76:77]
	v_fma_f64 v[16:17], v[68:69], v[16:17], -v[18:19]
	s_waitcnt lgkmcnt(3)
	s_delay_alu instid0(VALU_DEP_2)
	v_mul_f64 v[18:19], v[87:88], v[70:71]
	v_mul_f64 v[68:69], v[85:86], v[70:71]
	s_waitcnt lgkmcnt(2)
	v_mul_f64 v[76:77], v[91:92], v[70:71]
	v_mul_f64 v[101:102], v[89:90], v[70:71]
	s_waitcnt lgkmcnt(1)
	;; [unrolled: 3-line block ×3, first 2 shown]
	v_mul_f64 v[107:108], v[99:100], v[70:71]
	v_mul_f64 v[109:110], v[97:98], v[70:71]
	v_fma_f64 v[18:19], v[85:86], v[16:17], -v[18:19]
	v_fma_f64 v[68:69], v[87:88], v[16:17], v[68:69]
	v_fma_f64 v[76:77], v[89:90], v[16:17], -v[76:77]
	v_fma_f64 v[85:86], v[91:92], v[16:17], v[101:102]
	;; [unrolled: 2-line block ×4, first 2 shown]
	v_add_f64 v[12:13], v[12:13], -v[18:19]
	v_add_f64 v[14:15], v[14:15], -v[68:69]
	;; [unrolled: 1-line block ×8, first 2 shown]
	v_dual_mov_b32 v18, v70 :: v_dual_mov_b32 v19, v71
.LBB32_272:
	s_or_b32 exec_lo, exec_lo, s2
	v_lshl_add_u32 v68, v84, 4, v78
	s_barrier
	buffer_gl0_inv
	v_mov_b32_e32 v76, 13
	ds_store_2addr_b64 v68, v[12:13], v[14:15] offset1:1
	s_waitcnt lgkmcnt(0)
	s_barrier
	buffer_gl0_inv
	ds_load_2addr_b64 v[68:71], v78 offset0:26 offset1:27
	s_cmp_lt_i32 s5, 15
	s_cbranch_scc1 .LBB32_275
; %bb.273:
	v_add3_u32 v77, v83, 0, 0xe0
	v_mov_b32_e32 v76, 13
	s_mov_b32 s6, 14
	s_set_inst_prefetch_distance 0x1
	.p2align	6
.LBB32_274:                             ; =>This Inner Loop Header: Depth=1
	ds_load_2addr_b64 v[85:88], v77 offset1:1
	s_waitcnt lgkmcnt(1)
	v_cmp_gt_f64_e32 vcc_lo, 0, v[68:69]
	v_xor_b32_e32 v89, 0x80000000, v69
	v_cmp_gt_f64_e64 s2, 0, v[70:71]
	v_xor_b32_e32 v91, 0x80000000, v71
	v_add_nc_u32_e32 v77, 16, v77
	s_waitcnt lgkmcnt(0)
	v_cmp_gt_f64_e64 s3, 0, v[85:86]
	v_mov_b32_e32 v93, v85
	v_dual_mov_b32 v95, v87 :: v_dual_cndmask_b32 v90, v69, v89
	v_xor_b32_e32 v89, 0x80000000, v86
	v_cndmask_b32_e64 v92, v71, v91, s2
	v_xor_b32_e32 v91, 0x80000000, v88
	s_delay_alu instid0(VALU_DEP_3) | instskip(SKIP_2) | instid1(VALU_DEP_2)
	v_cndmask_b32_e64 v94, v86, v89, s3
	v_cmp_gt_f64_e64 s3, 0, v[87:88]
	v_cndmask_b32_e32 v89, v68, v68, vcc_lo
	v_cndmask_b32_e64 v96, v88, v91, s3
	v_cndmask_b32_e64 v91, v70, v70, s2
	s_delay_alu instid0(VALU_DEP_2) | instskip(NEXT) | instid1(VALU_DEP_2)
	v_add_f64 v[93:94], v[93:94], v[95:96]
	v_add_f64 v[89:90], v[89:90], v[91:92]
	s_delay_alu instid0(VALU_DEP_1) | instskip(SKIP_4) | instid1(SALU_CYCLE_1)
	v_cmp_lt_f64_e32 vcc_lo, v[89:90], v[93:94]
	v_dual_cndmask_b32 v70, v70, v87 :: v_dual_cndmask_b32 v69, v69, v86
	v_dual_cndmask_b32 v68, v68, v85 :: v_dual_cndmask_b32 v71, v71, v88
	v_cndmask_b32_e64 v76, v76, s6, vcc_lo
	s_add_i32 s6, s6, 1
	s_cmp_lg_u32 s5, s6
	s_cbranch_scc1 .LBB32_274
.LBB32_275:
	s_set_inst_prefetch_distance 0x2
	s_waitcnt lgkmcnt(0)
	v_cmp_eq_f64_e32 vcc_lo, 0, v[68:69]
	v_cmp_eq_f64_e64 s2, 0, v[70:71]
	s_delay_alu instid0(VALU_DEP_1) | instskip(NEXT) | instid1(SALU_CYCLE_1)
	s_and_b32 s2, vcc_lo, s2
	s_and_saveexec_b32 s3, s2
	s_delay_alu instid0(SALU_CYCLE_1)
	s_xor_b32 s2, exec_lo, s3
; %bb.276:
	v_cmp_ne_u32_e32 vcc_lo, 0, v82
	v_cndmask_b32_e32 v82, 14, v82, vcc_lo
; %bb.277:
	s_and_not1_saveexec_b32 s3, s2
	s_cbranch_execz .LBB32_283
; %bb.278:
	v_cmp_gt_f64_e32 vcc_lo, 0, v[68:69]
	v_cmp_gt_f64_e64 s2, 0, v[70:71]
	v_xor_b32_e32 v77, 0x80000000, v69
	v_xor_b32_e32 v85, 0x80000000, v71
	s_delay_alu instid0(VALU_DEP_2) | instskip(NEXT) | instid1(VALU_DEP_2)
	v_cndmask_b32_e32 v86, v69, v77, vcc_lo
	v_cndmask_b32_e64 v88, v71, v85, s2
	v_cndmask_b32_e32 v85, v68, v68, vcc_lo
	v_cndmask_b32_e64 v87, v70, v70, s2
	s_mov_b32 s2, exec_lo
	s_delay_alu instid0(VALU_DEP_1)
	v_cmpx_ngt_f64_e32 v[85:86], v[87:88]
	s_xor_b32 s2, exec_lo, s2
	s_cbranch_execz .LBB32_280
; %bb.279:
	v_div_scale_f64 v[85:86], null, v[70:71], v[70:71], v[68:69]
	v_div_scale_f64 v[91:92], vcc_lo, v[68:69], v[70:71], v[68:69]
	s_delay_alu instid0(VALU_DEP_2) | instskip(SKIP_2) | instid1(VALU_DEP_1)
	v_rcp_f64_e32 v[87:88], v[85:86]
	s_waitcnt_depctr 0xfff
	v_fma_f64 v[89:90], -v[85:86], v[87:88], 1.0
	v_fma_f64 v[87:88], v[87:88], v[89:90], v[87:88]
	s_delay_alu instid0(VALU_DEP_1) | instskip(NEXT) | instid1(VALU_DEP_1)
	v_fma_f64 v[89:90], -v[85:86], v[87:88], 1.0
	v_fma_f64 v[87:88], v[87:88], v[89:90], v[87:88]
	s_delay_alu instid0(VALU_DEP_1) | instskip(NEXT) | instid1(VALU_DEP_1)
	v_mul_f64 v[89:90], v[91:92], v[87:88]
	v_fma_f64 v[85:86], -v[85:86], v[89:90], v[91:92]
	s_delay_alu instid0(VALU_DEP_1) | instskip(NEXT) | instid1(VALU_DEP_1)
	v_div_fmas_f64 v[85:86], v[85:86], v[87:88], v[89:90]
	v_div_fixup_f64 v[85:86], v[85:86], v[70:71], v[68:69]
	s_delay_alu instid0(VALU_DEP_1) | instskip(NEXT) | instid1(VALU_DEP_1)
	v_fma_f64 v[68:69], v[68:69], v[85:86], v[70:71]
	v_div_scale_f64 v[70:71], null, v[68:69], v[68:69], 1.0
	s_delay_alu instid0(VALU_DEP_1) | instskip(SKIP_2) | instid1(VALU_DEP_1)
	v_rcp_f64_e32 v[87:88], v[70:71]
	s_waitcnt_depctr 0xfff
	v_fma_f64 v[89:90], -v[70:71], v[87:88], 1.0
	v_fma_f64 v[87:88], v[87:88], v[89:90], v[87:88]
	s_delay_alu instid0(VALU_DEP_1) | instskip(NEXT) | instid1(VALU_DEP_1)
	v_fma_f64 v[89:90], -v[70:71], v[87:88], 1.0
	v_fma_f64 v[87:88], v[87:88], v[89:90], v[87:88]
	v_div_scale_f64 v[89:90], vcc_lo, 1.0, v[68:69], 1.0
	s_delay_alu instid0(VALU_DEP_1) | instskip(NEXT) | instid1(VALU_DEP_1)
	v_mul_f64 v[91:92], v[89:90], v[87:88]
	v_fma_f64 v[70:71], -v[70:71], v[91:92], v[89:90]
	s_delay_alu instid0(VALU_DEP_1) | instskip(NEXT) | instid1(VALU_DEP_1)
	v_div_fmas_f64 v[70:71], v[70:71], v[87:88], v[91:92]
	v_div_fixup_f64 v[70:71], v[70:71], v[68:69], 1.0
	s_delay_alu instid0(VALU_DEP_1)
	v_mul_f64 v[68:69], v[85:86], v[70:71]
	v_xor_b32_e32 v71, 0x80000000, v71
.LBB32_280:
	s_and_not1_saveexec_b32 s2, s2
	s_cbranch_execz .LBB32_282
; %bb.281:
	s_delay_alu instid0(VALU_DEP_1) | instskip(SKIP_1) | instid1(VALU_DEP_2)
	v_div_scale_f64 v[85:86], null, v[68:69], v[68:69], v[70:71]
	v_div_scale_f64 v[91:92], vcc_lo, v[70:71], v[68:69], v[70:71]
	v_rcp_f64_e32 v[87:88], v[85:86]
	s_waitcnt_depctr 0xfff
	v_fma_f64 v[89:90], -v[85:86], v[87:88], 1.0
	s_delay_alu instid0(VALU_DEP_1) | instskip(NEXT) | instid1(VALU_DEP_1)
	v_fma_f64 v[87:88], v[87:88], v[89:90], v[87:88]
	v_fma_f64 v[89:90], -v[85:86], v[87:88], 1.0
	s_delay_alu instid0(VALU_DEP_1) | instskip(NEXT) | instid1(VALU_DEP_1)
	v_fma_f64 v[87:88], v[87:88], v[89:90], v[87:88]
	v_mul_f64 v[89:90], v[91:92], v[87:88]
	s_delay_alu instid0(VALU_DEP_1) | instskip(NEXT) | instid1(VALU_DEP_1)
	v_fma_f64 v[85:86], -v[85:86], v[89:90], v[91:92]
	v_div_fmas_f64 v[85:86], v[85:86], v[87:88], v[89:90]
	s_delay_alu instid0(VALU_DEP_1) | instskip(NEXT) | instid1(VALU_DEP_1)
	v_div_fixup_f64 v[85:86], v[85:86], v[68:69], v[70:71]
	v_fma_f64 v[68:69], v[70:71], v[85:86], v[68:69]
	s_delay_alu instid0(VALU_DEP_1) | instskip(NEXT) | instid1(VALU_DEP_1)
	v_div_scale_f64 v[70:71], null, v[68:69], v[68:69], 1.0
	v_rcp_f64_e32 v[87:88], v[70:71]
	s_waitcnt_depctr 0xfff
	v_fma_f64 v[89:90], -v[70:71], v[87:88], 1.0
	s_delay_alu instid0(VALU_DEP_1) | instskip(NEXT) | instid1(VALU_DEP_1)
	v_fma_f64 v[87:88], v[87:88], v[89:90], v[87:88]
	v_fma_f64 v[89:90], -v[70:71], v[87:88], 1.0
	s_delay_alu instid0(VALU_DEP_1) | instskip(SKIP_1) | instid1(VALU_DEP_1)
	v_fma_f64 v[87:88], v[87:88], v[89:90], v[87:88]
	v_div_scale_f64 v[89:90], vcc_lo, 1.0, v[68:69], 1.0
	v_mul_f64 v[91:92], v[89:90], v[87:88]
	s_delay_alu instid0(VALU_DEP_1) | instskip(NEXT) | instid1(VALU_DEP_1)
	v_fma_f64 v[70:71], -v[70:71], v[91:92], v[89:90]
	v_div_fmas_f64 v[70:71], v[70:71], v[87:88], v[91:92]
	s_delay_alu instid0(VALU_DEP_1) | instskip(NEXT) | instid1(VALU_DEP_1)
	v_div_fixup_f64 v[68:69], v[70:71], v[68:69], 1.0
	v_mul_f64 v[70:71], v[85:86], -v[68:69]
.LBB32_282:
	s_or_b32 exec_lo, exec_lo, s2
.LBB32_283:
	s_delay_alu instid0(SALU_CYCLE_1) | instskip(NEXT) | instid1(SALU_CYCLE_1)
	s_or_b32 exec_lo, exec_lo, s3
	s_mov_b32 s2, exec_lo
	v_cmpx_ne_u32_e64 v84, v76
	s_xor_b32 s2, exec_lo, s2
	s_cbranch_execz .LBB32_289
; %bb.284:
	s_mov_b32 s3, exec_lo
	v_cmpx_eq_u32_e32 13, v84
	s_cbranch_execz .LBB32_288
; %bb.285:
	v_cmp_ne_u32_e32 vcc_lo, 13, v76
	s_xor_b32 s6, s4, -1
	s_delay_alu instid0(SALU_CYCLE_1) | instskip(NEXT) | instid1(SALU_CYCLE_1)
	s_and_b32 s7, s6, vcc_lo
	s_and_saveexec_b32 s6, s7
	s_cbranch_execz .LBB32_287
; %bb.286:
	v_ashrrev_i32_e32 v77, 31, v76
	s_delay_alu instid0(VALU_DEP_1) | instskip(NEXT) | instid1(VALU_DEP_1)
	v_lshlrev_b64 v[84:85], 2, v[76:77]
	v_add_co_u32 v84, vcc_lo, v74, v84
	s_delay_alu instid0(VALU_DEP_2)
	v_add_co_ci_u32_e32 v85, vcc_lo, v75, v85, vcc_lo
	s_clause 0x1
	flat_load_b32 v77, v[84:85]
	flat_load_b32 v81, v[74:75] offset:52
	s_waitcnt vmcnt(1) lgkmcnt(1)
	flat_store_b32 v[74:75], v77 offset:52
	s_waitcnt vmcnt(0) lgkmcnt(1)
	flat_store_b32 v[84:85], v81
.LBB32_287:
	s_or_b32 exec_lo, exec_lo, s6
	v_mov_b32_e32 v84, v76
	v_mov_b32_e32 v81, v76
.LBB32_288:
	s_or_b32 exec_lo, exec_lo, s3
.LBB32_289:
	s_and_not1_saveexec_b32 s2, s2
	s_cbranch_execz .LBB32_291
; %bb.290:
	v_mov_b32_e32 v84, 13
	ds_store_2addr_b64 v78, v[8:9], v[10:11] offset0:28 offset1:29
	ds_store_2addr_b64 v78, v[4:5], v[6:7] offset0:30 offset1:31
	;; [unrolled: 1-line block ×3, first 2 shown]
.LBB32_291:
	s_or_b32 exec_lo, exec_lo, s2
	s_delay_alu instid0(SALU_CYCLE_1)
	s_mov_b32 s2, exec_lo
	s_waitcnt lgkmcnt(0)
	s_waitcnt_vscnt null, 0x0
	s_barrier
	buffer_gl0_inv
	v_cmpx_lt_i32_e32 13, v84
	s_cbranch_execz .LBB32_293
; %bb.292:
	v_mul_f64 v[76:77], v[68:69], v[14:15]
	v_mul_f64 v[14:15], v[70:71], v[14:15]
	ds_load_2addr_b64 v[85:88], v78 offset0:28 offset1:29
	ds_load_2addr_b64 v[89:92], v78 offset0:30 offset1:31
	ds_load_2addr_b64 v[93:96], v78 offset0:32 offset1:33
	v_fma_f64 v[70:71], v[70:71], v[12:13], v[76:77]
	v_fma_f64 v[12:13], v[68:69], v[12:13], -v[14:15]
	s_waitcnt lgkmcnt(2)
	s_delay_alu instid0(VALU_DEP_2)
	v_mul_f64 v[14:15], v[87:88], v[70:71]
	v_mul_f64 v[68:69], v[85:86], v[70:71]
	s_waitcnt lgkmcnt(1)
	v_mul_f64 v[76:77], v[91:92], v[70:71]
	v_mul_f64 v[97:98], v[89:90], v[70:71]
	s_waitcnt lgkmcnt(0)
	v_mul_f64 v[99:100], v[95:96], v[70:71]
	v_mul_f64 v[101:102], v[93:94], v[70:71]
	v_fma_f64 v[14:15], v[85:86], v[12:13], -v[14:15]
	v_fma_f64 v[68:69], v[87:88], v[12:13], v[68:69]
	v_fma_f64 v[76:77], v[89:90], v[12:13], -v[76:77]
	v_fma_f64 v[85:86], v[91:92], v[12:13], v[97:98]
	;; [unrolled: 2-line block ×3, first 2 shown]
	v_add_f64 v[8:9], v[8:9], -v[14:15]
	v_add_f64 v[10:11], v[10:11], -v[68:69]
	;; [unrolled: 1-line block ×6, first 2 shown]
	v_dual_mov_b32 v14, v70 :: v_dual_mov_b32 v15, v71
.LBB32_293:
	s_or_b32 exec_lo, exec_lo, s2
	v_lshl_add_u32 v68, v84, 4, v78
	s_barrier
	buffer_gl0_inv
	v_mov_b32_e32 v76, 14
	ds_store_2addr_b64 v68, v[8:9], v[10:11] offset1:1
	s_waitcnt lgkmcnt(0)
	s_barrier
	buffer_gl0_inv
	ds_load_2addr_b64 v[68:71], v78 offset0:28 offset1:29
	s_cmp_lt_i32 s5, 16
	s_cbranch_scc1 .LBB32_296
; %bb.294:
	v_add3_u32 v77, v83, 0, 0xf0
	v_mov_b32_e32 v76, 14
	s_mov_b32 s6, 15
	s_set_inst_prefetch_distance 0x1
	.p2align	6
.LBB32_295:                             ; =>This Inner Loop Header: Depth=1
	ds_load_2addr_b64 v[85:88], v77 offset1:1
	s_waitcnt lgkmcnt(1)
	v_cmp_gt_f64_e32 vcc_lo, 0, v[68:69]
	v_xor_b32_e32 v89, 0x80000000, v69
	v_cmp_gt_f64_e64 s2, 0, v[70:71]
	v_xor_b32_e32 v91, 0x80000000, v71
	v_add_nc_u32_e32 v77, 16, v77
	s_waitcnt lgkmcnt(0)
	v_cmp_gt_f64_e64 s3, 0, v[85:86]
	v_mov_b32_e32 v93, v85
	v_dual_mov_b32 v95, v87 :: v_dual_cndmask_b32 v90, v69, v89
	v_xor_b32_e32 v89, 0x80000000, v86
	v_cndmask_b32_e64 v92, v71, v91, s2
	v_xor_b32_e32 v91, 0x80000000, v88
	s_delay_alu instid0(VALU_DEP_3) | instskip(SKIP_2) | instid1(VALU_DEP_2)
	v_cndmask_b32_e64 v94, v86, v89, s3
	v_cmp_gt_f64_e64 s3, 0, v[87:88]
	v_cndmask_b32_e32 v89, v68, v68, vcc_lo
	v_cndmask_b32_e64 v96, v88, v91, s3
	v_cndmask_b32_e64 v91, v70, v70, s2
	s_delay_alu instid0(VALU_DEP_2) | instskip(NEXT) | instid1(VALU_DEP_2)
	v_add_f64 v[93:94], v[93:94], v[95:96]
	v_add_f64 v[89:90], v[89:90], v[91:92]
	s_delay_alu instid0(VALU_DEP_1) | instskip(SKIP_4) | instid1(SALU_CYCLE_1)
	v_cmp_lt_f64_e32 vcc_lo, v[89:90], v[93:94]
	v_dual_cndmask_b32 v70, v70, v87 :: v_dual_cndmask_b32 v69, v69, v86
	v_dual_cndmask_b32 v68, v68, v85 :: v_dual_cndmask_b32 v71, v71, v88
	v_cndmask_b32_e64 v76, v76, s6, vcc_lo
	s_add_i32 s6, s6, 1
	s_cmp_lg_u32 s5, s6
	s_cbranch_scc1 .LBB32_295
.LBB32_296:
	s_set_inst_prefetch_distance 0x2
	s_waitcnt lgkmcnt(0)
	v_cmp_eq_f64_e32 vcc_lo, 0, v[68:69]
	v_cmp_eq_f64_e64 s2, 0, v[70:71]
	s_delay_alu instid0(VALU_DEP_1) | instskip(NEXT) | instid1(SALU_CYCLE_1)
	s_and_b32 s2, vcc_lo, s2
	s_and_saveexec_b32 s3, s2
	s_delay_alu instid0(SALU_CYCLE_1)
	s_xor_b32 s2, exec_lo, s3
; %bb.297:
	v_cmp_ne_u32_e32 vcc_lo, 0, v82
	v_cndmask_b32_e32 v82, 15, v82, vcc_lo
; %bb.298:
	s_and_not1_saveexec_b32 s3, s2
	s_cbranch_execz .LBB32_304
; %bb.299:
	v_cmp_gt_f64_e32 vcc_lo, 0, v[68:69]
	v_cmp_gt_f64_e64 s2, 0, v[70:71]
	v_xor_b32_e32 v77, 0x80000000, v69
	v_xor_b32_e32 v85, 0x80000000, v71
	s_delay_alu instid0(VALU_DEP_2) | instskip(NEXT) | instid1(VALU_DEP_2)
	v_cndmask_b32_e32 v86, v69, v77, vcc_lo
	v_cndmask_b32_e64 v88, v71, v85, s2
	v_cndmask_b32_e32 v85, v68, v68, vcc_lo
	v_cndmask_b32_e64 v87, v70, v70, s2
	s_mov_b32 s2, exec_lo
	s_delay_alu instid0(VALU_DEP_1)
	v_cmpx_ngt_f64_e32 v[85:86], v[87:88]
	s_xor_b32 s2, exec_lo, s2
	s_cbranch_execz .LBB32_301
; %bb.300:
	v_div_scale_f64 v[85:86], null, v[70:71], v[70:71], v[68:69]
	v_div_scale_f64 v[91:92], vcc_lo, v[68:69], v[70:71], v[68:69]
	s_delay_alu instid0(VALU_DEP_2) | instskip(SKIP_2) | instid1(VALU_DEP_1)
	v_rcp_f64_e32 v[87:88], v[85:86]
	s_waitcnt_depctr 0xfff
	v_fma_f64 v[89:90], -v[85:86], v[87:88], 1.0
	v_fma_f64 v[87:88], v[87:88], v[89:90], v[87:88]
	s_delay_alu instid0(VALU_DEP_1) | instskip(NEXT) | instid1(VALU_DEP_1)
	v_fma_f64 v[89:90], -v[85:86], v[87:88], 1.0
	v_fma_f64 v[87:88], v[87:88], v[89:90], v[87:88]
	s_delay_alu instid0(VALU_DEP_1) | instskip(NEXT) | instid1(VALU_DEP_1)
	v_mul_f64 v[89:90], v[91:92], v[87:88]
	v_fma_f64 v[85:86], -v[85:86], v[89:90], v[91:92]
	s_delay_alu instid0(VALU_DEP_1) | instskip(NEXT) | instid1(VALU_DEP_1)
	v_div_fmas_f64 v[85:86], v[85:86], v[87:88], v[89:90]
	v_div_fixup_f64 v[85:86], v[85:86], v[70:71], v[68:69]
	s_delay_alu instid0(VALU_DEP_1) | instskip(NEXT) | instid1(VALU_DEP_1)
	v_fma_f64 v[68:69], v[68:69], v[85:86], v[70:71]
	v_div_scale_f64 v[70:71], null, v[68:69], v[68:69], 1.0
	s_delay_alu instid0(VALU_DEP_1) | instskip(SKIP_2) | instid1(VALU_DEP_1)
	v_rcp_f64_e32 v[87:88], v[70:71]
	s_waitcnt_depctr 0xfff
	v_fma_f64 v[89:90], -v[70:71], v[87:88], 1.0
	v_fma_f64 v[87:88], v[87:88], v[89:90], v[87:88]
	s_delay_alu instid0(VALU_DEP_1) | instskip(NEXT) | instid1(VALU_DEP_1)
	v_fma_f64 v[89:90], -v[70:71], v[87:88], 1.0
	v_fma_f64 v[87:88], v[87:88], v[89:90], v[87:88]
	v_div_scale_f64 v[89:90], vcc_lo, 1.0, v[68:69], 1.0
	s_delay_alu instid0(VALU_DEP_1) | instskip(NEXT) | instid1(VALU_DEP_1)
	v_mul_f64 v[91:92], v[89:90], v[87:88]
	v_fma_f64 v[70:71], -v[70:71], v[91:92], v[89:90]
	s_delay_alu instid0(VALU_DEP_1) | instskip(NEXT) | instid1(VALU_DEP_1)
	v_div_fmas_f64 v[70:71], v[70:71], v[87:88], v[91:92]
	v_div_fixup_f64 v[70:71], v[70:71], v[68:69], 1.0
	s_delay_alu instid0(VALU_DEP_1)
	v_mul_f64 v[68:69], v[85:86], v[70:71]
	v_xor_b32_e32 v71, 0x80000000, v71
.LBB32_301:
	s_and_not1_saveexec_b32 s2, s2
	s_cbranch_execz .LBB32_303
; %bb.302:
	s_delay_alu instid0(VALU_DEP_1) | instskip(SKIP_1) | instid1(VALU_DEP_2)
	v_div_scale_f64 v[85:86], null, v[68:69], v[68:69], v[70:71]
	v_div_scale_f64 v[91:92], vcc_lo, v[70:71], v[68:69], v[70:71]
	v_rcp_f64_e32 v[87:88], v[85:86]
	s_waitcnt_depctr 0xfff
	v_fma_f64 v[89:90], -v[85:86], v[87:88], 1.0
	s_delay_alu instid0(VALU_DEP_1) | instskip(NEXT) | instid1(VALU_DEP_1)
	v_fma_f64 v[87:88], v[87:88], v[89:90], v[87:88]
	v_fma_f64 v[89:90], -v[85:86], v[87:88], 1.0
	s_delay_alu instid0(VALU_DEP_1) | instskip(NEXT) | instid1(VALU_DEP_1)
	v_fma_f64 v[87:88], v[87:88], v[89:90], v[87:88]
	v_mul_f64 v[89:90], v[91:92], v[87:88]
	s_delay_alu instid0(VALU_DEP_1) | instskip(NEXT) | instid1(VALU_DEP_1)
	v_fma_f64 v[85:86], -v[85:86], v[89:90], v[91:92]
	v_div_fmas_f64 v[85:86], v[85:86], v[87:88], v[89:90]
	s_delay_alu instid0(VALU_DEP_1) | instskip(NEXT) | instid1(VALU_DEP_1)
	v_div_fixup_f64 v[85:86], v[85:86], v[68:69], v[70:71]
	v_fma_f64 v[68:69], v[70:71], v[85:86], v[68:69]
	s_delay_alu instid0(VALU_DEP_1) | instskip(NEXT) | instid1(VALU_DEP_1)
	v_div_scale_f64 v[70:71], null, v[68:69], v[68:69], 1.0
	v_rcp_f64_e32 v[87:88], v[70:71]
	s_waitcnt_depctr 0xfff
	v_fma_f64 v[89:90], -v[70:71], v[87:88], 1.0
	s_delay_alu instid0(VALU_DEP_1) | instskip(NEXT) | instid1(VALU_DEP_1)
	v_fma_f64 v[87:88], v[87:88], v[89:90], v[87:88]
	v_fma_f64 v[89:90], -v[70:71], v[87:88], 1.0
	s_delay_alu instid0(VALU_DEP_1) | instskip(SKIP_1) | instid1(VALU_DEP_1)
	v_fma_f64 v[87:88], v[87:88], v[89:90], v[87:88]
	v_div_scale_f64 v[89:90], vcc_lo, 1.0, v[68:69], 1.0
	v_mul_f64 v[91:92], v[89:90], v[87:88]
	s_delay_alu instid0(VALU_DEP_1) | instskip(NEXT) | instid1(VALU_DEP_1)
	v_fma_f64 v[70:71], -v[70:71], v[91:92], v[89:90]
	v_div_fmas_f64 v[70:71], v[70:71], v[87:88], v[91:92]
	s_delay_alu instid0(VALU_DEP_1) | instskip(NEXT) | instid1(VALU_DEP_1)
	v_div_fixup_f64 v[68:69], v[70:71], v[68:69], 1.0
	v_mul_f64 v[70:71], v[85:86], -v[68:69]
.LBB32_303:
	s_or_b32 exec_lo, exec_lo, s2
.LBB32_304:
	s_delay_alu instid0(SALU_CYCLE_1) | instskip(NEXT) | instid1(SALU_CYCLE_1)
	s_or_b32 exec_lo, exec_lo, s3
	s_mov_b32 s2, exec_lo
	v_cmpx_ne_u32_e64 v84, v76
	s_xor_b32 s2, exec_lo, s2
	s_cbranch_execz .LBB32_310
; %bb.305:
	s_mov_b32 s3, exec_lo
	v_cmpx_eq_u32_e32 14, v84
	s_cbranch_execz .LBB32_309
; %bb.306:
	v_cmp_ne_u32_e32 vcc_lo, 14, v76
	s_xor_b32 s6, s4, -1
	s_delay_alu instid0(SALU_CYCLE_1) | instskip(NEXT) | instid1(SALU_CYCLE_1)
	s_and_b32 s7, s6, vcc_lo
	s_and_saveexec_b32 s6, s7
	s_cbranch_execz .LBB32_308
; %bb.307:
	v_ashrrev_i32_e32 v77, 31, v76
	s_delay_alu instid0(VALU_DEP_1) | instskip(NEXT) | instid1(VALU_DEP_1)
	v_lshlrev_b64 v[84:85], 2, v[76:77]
	v_add_co_u32 v84, vcc_lo, v74, v84
	s_delay_alu instid0(VALU_DEP_2)
	v_add_co_ci_u32_e32 v85, vcc_lo, v75, v85, vcc_lo
	s_clause 0x1
	flat_load_b32 v77, v[84:85]
	flat_load_b32 v81, v[74:75] offset:56
	s_waitcnt vmcnt(1) lgkmcnt(1)
	flat_store_b32 v[74:75], v77 offset:56
	s_waitcnt vmcnt(0) lgkmcnt(1)
	flat_store_b32 v[84:85], v81
.LBB32_308:
	s_or_b32 exec_lo, exec_lo, s6
	v_mov_b32_e32 v84, v76
	v_mov_b32_e32 v81, v76
.LBB32_309:
	s_or_b32 exec_lo, exec_lo, s3
.LBB32_310:
	s_and_not1_saveexec_b32 s2, s2
	s_cbranch_execz .LBB32_312
; %bb.311:
	v_mov_b32_e32 v84, 14
	ds_store_2addr_b64 v78, v[4:5], v[6:7] offset0:30 offset1:31
	ds_store_2addr_b64 v78, v[0:1], v[2:3] offset0:32 offset1:33
.LBB32_312:
	s_or_b32 exec_lo, exec_lo, s2
	s_delay_alu instid0(SALU_CYCLE_1)
	s_mov_b32 s2, exec_lo
	s_waitcnt lgkmcnt(0)
	s_waitcnt_vscnt null, 0x0
	s_barrier
	buffer_gl0_inv
	v_cmpx_lt_i32_e32 14, v84
	s_cbranch_execz .LBB32_314
; %bb.313:
	v_mul_f64 v[76:77], v[68:69], v[10:11]
	v_mul_f64 v[10:11], v[70:71], v[10:11]
	ds_load_2addr_b64 v[85:88], v78 offset0:30 offset1:31
	ds_load_2addr_b64 v[89:92], v78 offset0:32 offset1:33
	v_fma_f64 v[70:71], v[70:71], v[8:9], v[76:77]
	v_fma_f64 v[8:9], v[68:69], v[8:9], -v[10:11]
	s_waitcnt lgkmcnt(1)
	s_delay_alu instid0(VALU_DEP_2) | instskip(SKIP_4) | instid1(VALU_DEP_4)
	v_mul_f64 v[10:11], v[87:88], v[70:71]
	v_mul_f64 v[68:69], v[85:86], v[70:71]
	s_waitcnt lgkmcnt(0)
	v_mul_f64 v[76:77], v[91:92], v[70:71]
	v_mul_f64 v[93:94], v[89:90], v[70:71]
	v_fma_f64 v[10:11], v[85:86], v[8:9], -v[10:11]
	s_delay_alu instid0(VALU_DEP_4) | instskip(NEXT) | instid1(VALU_DEP_4)
	v_fma_f64 v[68:69], v[87:88], v[8:9], v[68:69]
	v_fma_f64 v[76:77], v[89:90], v[8:9], -v[76:77]
	s_delay_alu instid0(VALU_DEP_4) | instskip(NEXT) | instid1(VALU_DEP_4)
	v_fma_f64 v[85:86], v[91:92], v[8:9], v[93:94]
	v_add_f64 v[4:5], v[4:5], -v[10:11]
	s_delay_alu instid0(VALU_DEP_4) | instskip(NEXT) | instid1(VALU_DEP_4)
	v_add_f64 v[6:7], v[6:7], -v[68:69]
	v_add_f64 v[0:1], v[0:1], -v[76:77]
	s_delay_alu instid0(VALU_DEP_4)
	v_add_f64 v[2:3], v[2:3], -v[85:86]
	v_dual_mov_b32 v10, v70 :: v_dual_mov_b32 v11, v71
.LBB32_314:
	s_or_b32 exec_lo, exec_lo, s2
	v_lshl_add_u32 v68, v84, 4, v78
	s_barrier
	buffer_gl0_inv
	v_mov_b32_e32 v76, 15
	ds_store_2addr_b64 v68, v[4:5], v[6:7] offset1:1
	s_waitcnt lgkmcnt(0)
	s_barrier
	buffer_gl0_inv
	ds_load_2addr_b64 v[68:71], v78 offset0:30 offset1:31
	s_cmp_lt_i32 s5, 17
	s_cbranch_scc1 .LBB32_317
; %bb.315:
	v_add3_u32 v77, v83, 0, 0x100
	v_mov_b32_e32 v76, 15
	s_mov_b32 s6, 16
	s_set_inst_prefetch_distance 0x1
	.p2align	6
.LBB32_316:                             ; =>This Inner Loop Header: Depth=1
	ds_load_2addr_b64 v[85:88], v77 offset1:1
	s_waitcnt lgkmcnt(1)
	v_cmp_gt_f64_e32 vcc_lo, 0, v[68:69]
	v_xor_b32_e32 v89, 0x80000000, v69
	v_cmp_gt_f64_e64 s2, 0, v[70:71]
	v_xor_b32_e32 v91, 0x80000000, v71
	v_add_nc_u32_e32 v77, 16, v77
	s_waitcnt lgkmcnt(0)
	v_cmp_gt_f64_e64 s3, 0, v[85:86]
	v_mov_b32_e32 v93, v85
	v_dual_mov_b32 v95, v87 :: v_dual_cndmask_b32 v90, v69, v89
	v_xor_b32_e32 v89, 0x80000000, v86
	v_cndmask_b32_e64 v92, v71, v91, s2
	v_xor_b32_e32 v91, 0x80000000, v88
	s_delay_alu instid0(VALU_DEP_3) | instskip(SKIP_2) | instid1(VALU_DEP_2)
	v_cndmask_b32_e64 v94, v86, v89, s3
	v_cmp_gt_f64_e64 s3, 0, v[87:88]
	v_cndmask_b32_e32 v89, v68, v68, vcc_lo
	v_cndmask_b32_e64 v96, v88, v91, s3
	v_cndmask_b32_e64 v91, v70, v70, s2
	s_delay_alu instid0(VALU_DEP_2) | instskip(NEXT) | instid1(VALU_DEP_2)
	v_add_f64 v[93:94], v[93:94], v[95:96]
	v_add_f64 v[89:90], v[89:90], v[91:92]
	s_delay_alu instid0(VALU_DEP_1) | instskip(SKIP_4) | instid1(SALU_CYCLE_1)
	v_cmp_lt_f64_e32 vcc_lo, v[89:90], v[93:94]
	v_dual_cndmask_b32 v70, v70, v87 :: v_dual_cndmask_b32 v69, v69, v86
	v_dual_cndmask_b32 v68, v68, v85 :: v_dual_cndmask_b32 v71, v71, v88
	v_cndmask_b32_e64 v76, v76, s6, vcc_lo
	s_add_i32 s6, s6, 1
	s_cmp_lg_u32 s5, s6
	s_cbranch_scc1 .LBB32_316
.LBB32_317:
	s_set_inst_prefetch_distance 0x2
	s_waitcnt lgkmcnt(0)
	v_cmp_eq_f64_e32 vcc_lo, 0, v[68:69]
	v_cmp_eq_f64_e64 s2, 0, v[70:71]
	s_delay_alu instid0(VALU_DEP_1) | instskip(NEXT) | instid1(SALU_CYCLE_1)
	s_and_b32 s2, vcc_lo, s2
	s_and_saveexec_b32 s3, s2
	s_delay_alu instid0(SALU_CYCLE_1)
	s_xor_b32 s2, exec_lo, s3
; %bb.318:
	v_cmp_ne_u32_e32 vcc_lo, 0, v82
	v_cndmask_b32_e32 v82, 16, v82, vcc_lo
; %bb.319:
	s_and_not1_saveexec_b32 s3, s2
	s_cbranch_execz .LBB32_325
; %bb.320:
	v_cmp_gt_f64_e32 vcc_lo, 0, v[68:69]
	v_cmp_gt_f64_e64 s2, 0, v[70:71]
	v_xor_b32_e32 v77, 0x80000000, v69
	v_xor_b32_e32 v85, 0x80000000, v71
	s_delay_alu instid0(VALU_DEP_2) | instskip(NEXT) | instid1(VALU_DEP_2)
	v_cndmask_b32_e32 v86, v69, v77, vcc_lo
	v_cndmask_b32_e64 v88, v71, v85, s2
	v_cndmask_b32_e32 v85, v68, v68, vcc_lo
	v_cndmask_b32_e64 v87, v70, v70, s2
	s_mov_b32 s2, exec_lo
	s_delay_alu instid0(VALU_DEP_1)
	v_cmpx_ngt_f64_e32 v[85:86], v[87:88]
	s_xor_b32 s2, exec_lo, s2
	s_cbranch_execz .LBB32_322
; %bb.321:
	v_div_scale_f64 v[85:86], null, v[70:71], v[70:71], v[68:69]
	v_div_scale_f64 v[91:92], vcc_lo, v[68:69], v[70:71], v[68:69]
	s_delay_alu instid0(VALU_DEP_2) | instskip(SKIP_2) | instid1(VALU_DEP_1)
	v_rcp_f64_e32 v[87:88], v[85:86]
	s_waitcnt_depctr 0xfff
	v_fma_f64 v[89:90], -v[85:86], v[87:88], 1.0
	v_fma_f64 v[87:88], v[87:88], v[89:90], v[87:88]
	s_delay_alu instid0(VALU_DEP_1) | instskip(NEXT) | instid1(VALU_DEP_1)
	v_fma_f64 v[89:90], -v[85:86], v[87:88], 1.0
	v_fma_f64 v[87:88], v[87:88], v[89:90], v[87:88]
	s_delay_alu instid0(VALU_DEP_1) | instskip(NEXT) | instid1(VALU_DEP_1)
	v_mul_f64 v[89:90], v[91:92], v[87:88]
	v_fma_f64 v[85:86], -v[85:86], v[89:90], v[91:92]
	s_delay_alu instid0(VALU_DEP_1) | instskip(NEXT) | instid1(VALU_DEP_1)
	v_div_fmas_f64 v[85:86], v[85:86], v[87:88], v[89:90]
	v_div_fixup_f64 v[85:86], v[85:86], v[70:71], v[68:69]
	s_delay_alu instid0(VALU_DEP_1) | instskip(NEXT) | instid1(VALU_DEP_1)
	v_fma_f64 v[68:69], v[68:69], v[85:86], v[70:71]
	v_div_scale_f64 v[70:71], null, v[68:69], v[68:69], 1.0
	s_delay_alu instid0(VALU_DEP_1) | instskip(SKIP_2) | instid1(VALU_DEP_1)
	v_rcp_f64_e32 v[87:88], v[70:71]
	s_waitcnt_depctr 0xfff
	v_fma_f64 v[89:90], -v[70:71], v[87:88], 1.0
	v_fma_f64 v[87:88], v[87:88], v[89:90], v[87:88]
	s_delay_alu instid0(VALU_DEP_1) | instskip(NEXT) | instid1(VALU_DEP_1)
	v_fma_f64 v[89:90], -v[70:71], v[87:88], 1.0
	v_fma_f64 v[87:88], v[87:88], v[89:90], v[87:88]
	v_div_scale_f64 v[89:90], vcc_lo, 1.0, v[68:69], 1.0
	s_delay_alu instid0(VALU_DEP_1) | instskip(NEXT) | instid1(VALU_DEP_1)
	v_mul_f64 v[91:92], v[89:90], v[87:88]
	v_fma_f64 v[70:71], -v[70:71], v[91:92], v[89:90]
	s_delay_alu instid0(VALU_DEP_1) | instskip(NEXT) | instid1(VALU_DEP_1)
	v_div_fmas_f64 v[70:71], v[70:71], v[87:88], v[91:92]
	v_div_fixup_f64 v[70:71], v[70:71], v[68:69], 1.0
	s_delay_alu instid0(VALU_DEP_1)
	v_mul_f64 v[68:69], v[85:86], v[70:71]
	v_xor_b32_e32 v71, 0x80000000, v71
.LBB32_322:
	s_and_not1_saveexec_b32 s2, s2
	s_cbranch_execz .LBB32_324
; %bb.323:
	s_delay_alu instid0(VALU_DEP_1) | instskip(SKIP_1) | instid1(VALU_DEP_2)
	v_div_scale_f64 v[85:86], null, v[68:69], v[68:69], v[70:71]
	v_div_scale_f64 v[91:92], vcc_lo, v[70:71], v[68:69], v[70:71]
	v_rcp_f64_e32 v[87:88], v[85:86]
	s_waitcnt_depctr 0xfff
	v_fma_f64 v[89:90], -v[85:86], v[87:88], 1.0
	s_delay_alu instid0(VALU_DEP_1) | instskip(NEXT) | instid1(VALU_DEP_1)
	v_fma_f64 v[87:88], v[87:88], v[89:90], v[87:88]
	v_fma_f64 v[89:90], -v[85:86], v[87:88], 1.0
	s_delay_alu instid0(VALU_DEP_1) | instskip(NEXT) | instid1(VALU_DEP_1)
	v_fma_f64 v[87:88], v[87:88], v[89:90], v[87:88]
	v_mul_f64 v[89:90], v[91:92], v[87:88]
	s_delay_alu instid0(VALU_DEP_1) | instskip(NEXT) | instid1(VALU_DEP_1)
	v_fma_f64 v[85:86], -v[85:86], v[89:90], v[91:92]
	v_div_fmas_f64 v[85:86], v[85:86], v[87:88], v[89:90]
	s_delay_alu instid0(VALU_DEP_1) | instskip(NEXT) | instid1(VALU_DEP_1)
	v_div_fixup_f64 v[85:86], v[85:86], v[68:69], v[70:71]
	v_fma_f64 v[68:69], v[70:71], v[85:86], v[68:69]
	s_delay_alu instid0(VALU_DEP_1) | instskip(NEXT) | instid1(VALU_DEP_1)
	v_div_scale_f64 v[70:71], null, v[68:69], v[68:69], 1.0
	v_rcp_f64_e32 v[87:88], v[70:71]
	s_waitcnt_depctr 0xfff
	v_fma_f64 v[89:90], -v[70:71], v[87:88], 1.0
	s_delay_alu instid0(VALU_DEP_1) | instskip(NEXT) | instid1(VALU_DEP_1)
	v_fma_f64 v[87:88], v[87:88], v[89:90], v[87:88]
	v_fma_f64 v[89:90], -v[70:71], v[87:88], 1.0
	s_delay_alu instid0(VALU_DEP_1) | instskip(SKIP_1) | instid1(VALU_DEP_1)
	v_fma_f64 v[87:88], v[87:88], v[89:90], v[87:88]
	v_div_scale_f64 v[89:90], vcc_lo, 1.0, v[68:69], 1.0
	v_mul_f64 v[91:92], v[89:90], v[87:88]
	s_delay_alu instid0(VALU_DEP_1) | instskip(NEXT) | instid1(VALU_DEP_1)
	v_fma_f64 v[70:71], -v[70:71], v[91:92], v[89:90]
	v_div_fmas_f64 v[70:71], v[70:71], v[87:88], v[91:92]
	s_delay_alu instid0(VALU_DEP_1) | instskip(NEXT) | instid1(VALU_DEP_1)
	v_div_fixup_f64 v[68:69], v[70:71], v[68:69], 1.0
	v_mul_f64 v[70:71], v[85:86], -v[68:69]
.LBB32_324:
	s_or_b32 exec_lo, exec_lo, s2
.LBB32_325:
	s_delay_alu instid0(SALU_CYCLE_1) | instskip(NEXT) | instid1(SALU_CYCLE_1)
	s_or_b32 exec_lo, exec_lo, s3
	s_mov_b32 s2, exec_lo
	v_cmpx_ne_u32_e64 v84, v76
	s_xor_b32 s2, exec_lo, s2
	s_cbranch_execz .LBB32_331
; %bb.326:
	s_mov_b32 s3, exec_lo
	v_cmpx_eq_u32_e32 15, v84
	s_cbranch_execz .LBB32_330
; %bb.327:
	v_cmp_ne_u32_e32 vcc_lo, 15, v76
	s_xor_b32 s6, s4, -1
	s_delay_alu instid0(SALU_CYCLE_1) | instskip(NEXT) | instid1(SALU_CYCLE_1)
	s_and_b32 s7, s6, vcc_lo
	s_and_saveexec_b32 s6, s7
	s_cbranch_execz .LBB32_329
; %bb.328:
	v_ashrrev_i32_e32 v77, 31, v76
	s_delay_alu instid0(VALU_DEP_1) | instskip(NEXT) | instid1(VALU_DEP_1)
	v_lshlrev_b64 v[84:85], 2, v[76:77]
	v_add_co_u32 v84, vcc_lo, v74, v84
	s_delay_alu instid0(VALU_DEP_2)
	v_add_co_ci_u32_e32 v85, vcc_lo, v75, v85, vcc_lo
	s_clause 0x1
	flat_load_b32 v77, v[84:85]
	flat_load_b32 v81, v[74:75] offset:60
	s_waitcnt vmcnt(1) lgkmcnt(1)
	flat_store_b32 v[74:75], v77 offset:60
	s_waitcnt vmcnt(0) lgkmcnt(1)
	flat_store_b32 v[84:85], v81
.LBB32_329:
	s_or_b32 exec_lo, exec_lo, s6
	v_mov_b32_e32 v84, v76
	v_mov_b32_e32 v81, v76
.LBB32_330:
	s_or_b32 exec_lo, exec_lo, s3
.LBB32_331:
	s_and_not1_saveexec_b32 s2, s2
	s_cbranch_execz .LBB32_333
; %bb.332:
	v_mov_b32_e32 v84, 15
	ds_store_2addr_b64 v78, v[0:1], v[2:3] offset0:32 offset1:33
.LBB32_333:
	s_or_b32 exec_lo, exec_lo, s2
	s_delay_alu instid0(SALU_CYCLE_1)
	s_mov_b32 s2, exec_lo
	s_waitcnt lgkmcnt(0)
	s_waitcnt_vscnt null, 0x0
	s_barrier
	buffer_gl0_inv
	v_cmpx_lt_i32_e32 15, v84
	s_cbranch_execz .LBB32_335
; %bb.334:
	v_mul_f64 v[76:77], v[68:69], v[6:7]
	v_mul_f64 v[6:7], v[70:71], v[6:7]
	ds_load_2addr_b64 v[85:88], v78 offset0:32 offset1:33
	v_fma_f64 v[70:71], v[70:71], v[4:5], v[76:77]
	v_fma_f64 v[4:5], v[68:69], v[4:5], -v[6:7]
	s_waitcnt lgkmcnt(0)
	s_delay_alu instid0(VALU_DEP_2) | instskip(SKIP_1) | instid1(VALU_DEP_2)
	v_mul_f64 v[6:7], v[87:88], v[70:71]
	v_mul_f64 v[68:69], v[85:86], v[70:71]
	v_fma_f64 v[6:7], v[85:86], v[4:5], -v[6:7]
	s_delay_alu instid0(VALU_DEP_2) | instskip(NEXT) | instid1(VALU_DEP_2)
	v_fma_f64 v[68:69], v[87:88], v[4:5], v[68:69]
	v_add_f64 v[0:1], v[0:1], -v[6:7]
	s_delay_alu instid0(VALU_DEP_2)
	v_add_f64 v[2:3], v[2:3], -v[68:69]
	v_dual_mov_b32 v6, v70 :: v_dual_mov_b32 v7, v71
.LBB32_335:
	s_or_b32 exec_lo, exec_lo, s2
	v_lshl_add_u32 v68, v84, 4, v78
	s_barrier
	buffer_gl0_inv
	v_mov_b32_e32 v76, 16
	ds_store_2addr_b64 v68, v[0:1], v[2:3] offset1:1
	s_waitcnt lgkmcnt(0)
	s_barrier
	buffer_gl0_inv
	ds_load_2addr_b64 v[68:71], v78 offset0:32 offset1:33
	s_cmp_lt_i32 s5, 18
	s_cbranch_scc1 .LBB32_338
; %bb.336:
	v_add3_u32 v77, v83, 0, 0x110
	v_mov_b32_e32 v76, 16
	s_mov_b32 s6, 17
	s_set_inst_prefetch_distance 0x1
	.p2align	6
.LBB32_337:                             ; =>This Inner Loop Header: Depth=1
	ds_load_2addr_b64 v[85:88], v77 offset1:1
	s_waitcnt lgkmcnt(1)
	v_cmp_gt_f64_e32 vcc_lo, 0, v[68:69]
	v_xor_b32_e32 v78, 0x80000000, v69
	v_cmp_gt_f64_e64 s2, 0, v[70:71]
	v_xor_b32_e32 v83, 0x80000000, v71
	v_add_nc_u32_e32 v77, 16, v77
	s_waitcnt lgkmcnt(0)
	v_cmp_gt_f64_e64 s3, 0, v[85:86]
	v_mov_b32_e32 v93, v85
	v_dual_mov_b32 v95, v87 :: v_dual_cndmask_b32 v90, v69, v78
	v_xor_b32_e32 v78, 0x80000000, v86
	v_cndmask_b32_e64 v92, v71, v83, s2
	v_xor_b32_e32 v83, 0x80000000, v88
	v_cndmask_b32_e32 v89, v68, v68, vcc_lo
	v_cndmask_b32_e64 v91, v70, v70, s2
	s_delay_alu instid0(VALU_DEP_1) | instskip(SKIP_2) | instid1(VALU_DEP_1)
	v_add_f64 v[89:90], v[89:90], v[91:92]
	v_cndmask_b32_e64 v94, v86, v78, s3
	v_cmp_gt_f64_e64 s3, 0, v[87:88]
	v_cndmask_b32_e64 v96, v88, v83, s3
	s_delay_alu instid0(VALU_DEP_1) | instskip(NEXT) | instid1(VALU_DEP_1)
	v_add_f64 v[93:94], v[93:94], v[95:96]
	v_cmp_lt_f64_e32 vcc_lo, v[89:90], v[93:94]
	v_dual_cndmask_b32 v70, v70, v87 :: v_dual_cndmask_b32 v69, v69, v86
	v_dual_cndmask_b32 v68, v68, v85 :: v_dual_cndmask_b32 v71, v71, v88
	v_cndmask_b32_e64 v76, v76, s6, vcc_lo
	s_add_i32 s6, s6, 1
	s_delay_alu instid0(SALU_CYCLE_1)
	s_cmp_lg_u32 s5, s6
	s_cbranch_scc1 .LBB32_337
.LBB32_338:
	s_set_inst_prefetch_distance 0x2
	s_waitcnt lgkmcnt(0)
	v_cmp_eq_f64_e32 vcc_lo, 0, v[68:69]
	v_cmp_eq_f64_e64 s2, 0, v[70:71]
	s_delay_alu instid0(VALU_DEP_1) | instskip(NEXT) | instid1(SALU_CYCLE_1)
	s_and_b32 s2, vcc_lo, s2
	s_and_saveexec_b32 s3, s2
	s_delay_alu instid0(SALU_CYCLE_1)
	s_xor_b32 s2, exec_lo, s3
; %bb.339:
	v_cmp_ne_u32_e32 vcc_lo, 0, v82
	v_cndmask_b32_e32 v82, 17, v82, vcc_lo
; %bb.340:
	s_and_not1_saveexec_b32 s3, s2
	s_cbranch_execz .LBB32_346
; %bb.341:
	v_cmp_gt_f64_e32 vcc_lo, 0, v[68:69]
	v_cmp_gt_f64_e64 s2, 0, v[70:71]
	v_xor_b32_e32 v77, 0x80000000, v69
	v_xor_b32_e32 v83, 0x80000000, v71
	s_delay_alu instid0(VALU_DEP_2) | instskip(NEXT) | instid1(VALU_DEP_2)
	v_dual_cndmask_b32 v78, v69, v77 :: v_dual_cndmask_b32 v77, v68, v68
	v_cndmask_b32_e64 v86, v71, v83, s2
	v_cndmask_b32_e64 v85, v70, v70, s2
	s_mov_b32 s2, exec_lo
	s_delay_alu instid0(VALU_DEP_1)
	v_cmpx_ngt_f64_e32 v[77:78], v[85:86]
	s_xor_b32 s2, exec_lo, s2
	s_cbranch_execz .LBB32_343
; %bb.342:
	v_div_scale_f64 v[77:78], null, v[70:71], v[70:71], v[68:69]
	v_div_scale_f64 v[89:90], vcc_lo, v[68:69], v[70:71], v[68:69]
	s_delay_alu instid0(VALU_DEP_2) | instskip(SKIP_2) | instid1(VALU_DEP_1)
	v_rcp_f64_e32 v[85:86], v[77:78]
	s_waitcnt_depctr 0xfff
	v_fma_f64 v[87:88], -v[77:78], v[85:86], 1.0
	v_fma_f64 v[85:86], v[85:86], v[87:88], v[85:86]
	s_delay_alu instid0(VALU_DEP_1) | instskip(NEXT) | instid1(VALU_DEP_1)
	v_fma_f64 v[87:88], -v[77:78], v[85:86], 1.0
	v_fma_f64 v[85:86], v[85:86], v[87:88], v[85:86]
	s_delay_alu instid0(VALU_DEP_1) | instskip(NEXT) | instid1(VALU_DEP_1)
	v_mul_f64 v[87:88], v[89:90], v[85:86]
	v_fma_f64 v[77:78], -v[77:78], v[87:88], v[89:90]
	s_delay_alu instid0(VALU_DEP_1) | instskip(NEXT) | instid1(VALU_DEP_1)
	v_div_fmas_f64 v[77:78], v[77:78], v[85:86], v[87:88]
	v_div_fixup_f64 v[77:78], v[77:78], v[70:71], v[68:69]
	s_delay_alu instid0(VALU_DEP_1) | instskip(NEXT) | instid1(VALU_DEP_1)
	v_fma_f64 v[68:69], v[68:69], v[77:78], v[70:71]
	v_div_scale_f64 v[70:71], null, v[68:69], v[68:69], 1.0
	s_delay_alu instid0(VALU_DEP_1) | instskip(SKIP_2) | instid1(VALU_DEP_1)
	v_rcp_f64_e32 v[85:86], v[70:71]
	s_waitcnt_depctr 0xfff
	v_fma_f64 v[87:88], -v[70:71], v[85:86], 1.0
	v_fma_f64 v[85:86], v[85:86], v[87:88], v[85:86]
	s_delay_alu instid0(VALU_DEP_1) | instskip(NEXT) | instid1(VALU_DEP_1)
	v_fma_f64 v[87:88], -v[70:71], v[85:86], 1.0
	v_fma_f64 v[85:86], v[85:86], v[87:88], v[85:86]
	v_div_scale_f64 v[87:88], vcc_lo, 1.0, v[68:69], 1.0
	s_delay_alu instid0(VALU_DEP_1) | instskip(NEXT) | instid1(VALU_DEP_1)
	v_mul_f64 v[89:90], v[87:88], v[85:86]
	v_fma_f64 v[70:71], -v[70:71], v[89:90], v[87:88]
	s_delay_alu instid0(VALU_DEP_1) | instskip(NEXT) | instid1(VALU_DEP_1)
	v_div_fmas_f64 v[70:71], v[70:71], v[85:86], v[89:90]
	v_div_fixup_f64 v[70:71], v[70:71], v[68:69], 1.0
	s_delay_alu instid0(VALU_DEP_1)
	v_mul_f64 v[68:69], v[77:78], v[70:71]
	v_xor_b32_e32 v71, 0x80000000, v71
.LBB32_343:
	s_and_not1_saveexec_b32 s2, s2
	s_cbranch_execz .LBB32_345
; %bb.344:
	s_delay_alu instid0(VALU_DEP_1) | instskip(SKIP_1) | instid1(VALU_DEP_2)
	v_div_scale_f64 v[77:78], null, v[68:69], v[68:69], v[70:71]
	v_div_scale_f64 v[89:90], vcc_lo, v[70:71], v[68:69], v[70:71]
	v_rcp_f64_e32 v[85:86], v[77:78]
	s_waitcnt_depctr 0xfff
	v_fma_f64 v[87:88], -v[77:78], v[85:86], 1.0
	s_delay_alu instid0(VALU_DEP_1) | instskip(NEXT) | instid1(VALU_DEP_1)
	v_fma_f64 v[85:86], v[85:86], v[87:88], v[85:86]
	v_fma_f64 v[87:88], -v[77:78], v[85:86], 1.0
	s_delay_alu instid0(VALU_DEP_1) | instskip(NEXT) | instid1(VALU_DEP_1)
	v_fma_f64 v[85:86], v[85:86], v[87:88], v[85:86]
	v_mul_f64 v[87:88], v[89:90], v[85:86]
	s_delay_alu instid0(VALU_DEP_1) | instskip(NEXT) | instid1(VALU_DEP_1)
	v_fma_f64 v[77:78], -v[77:78], v[87:88], v[89:90]
	v_div_fmas_f64 v[77:78], v[77:78], v[85:86], v[87:88]
	s_delay_alu instid0(VALU_DEP_1) | instskip(NEXT) | instid1(VALU_DEP_1)
	v_div_fixup_f64 v[77:78], v[77:78], v[68:69], v[70:71]
	v_fma_f64 v[68:69], v[70:71], v[77:78], v[68:69]
	s_delay_alu instid0(VALU_DEP_1) | instskip(NEXT) | instid1(VALU_DEP_1)
	v_div_scale_f64 v[70:71], null, v[68:69], v[68:69], 1.0
	v_rcp_f64_e32 v[85:86], v[70:71]
	s_waitcnt_depctr 0xfff
	v_fma_f64 v[87:88], -v[70:71], v[85:86], 1.0
	s_delay_alu instid0(VALU_DEP_1) | instskip(NEXT) | instid1(VALU_DEP_1)
	v_fma_f64 v[85:86], v[85:86], v[87:88], v[85:86]
	v_fma_f64 v[87:88], -v[70:71], v[85:86], 1.0
	s_delay_alu instid0(VALU_DEP_1) | instskip(SKIP_1) | instid1(VALU_DEP_1)
	v_fma_f64 v[85:86], v[85:86], v[87:88], v[85:86]
	v_div_scale_f64 v[87:88], vcc_lo, 1.0, v[68:69], 1.0
	v_mul_f64 v[89:90], v[87:88], v[85:86]
	s_delay_alu instid0(VALU_DEP_1) | instskip(NEXT) | instid1(VALU_DEP_1)
	v_fma_f64 v[70:71], -v[70:71], v[89:90], v[87:88]
	v_div_fmas_f64 v[70:71], v[70:71], v[85:86], v[89:90]
	s_delay_alu instid0(VALU_DEP_1) | instskip(NEXT) | instid1(VALU_DEP_1)
	v_div_fixup_f64 v[68:69], v[70:71], v[68:69], 1.0
	v_mul_f64 v[70:71], v[77:78], -v[68:69]
.LBB32_345:
	s_or_b32 exec_lo, exec_lo, s2
.LBB32_346:
	s_delay_alu instid0(SALU_CYCLE_1)
	s_or_b32 exec_lo, exec_lo, s3
	v_mov_b32_e32 v77, 16
	s_mov_b32 s2, exec_lo
	v_cmpx_ne_u32_e64 v84, v76
	s_cbranch_execz .LBB32_352
; %bb.347:
	s_mov_b32 s3, exec_lo
	v_cmpx_eq_u32_e32 16, v84
	s_cbranch_execz .LBB32_351
; %bb.348:
	v_cmp_ne_u32_e32 vcc_lo, 16, v76
	s_xor_b32 s4, s4, -1
	s_delay_alu instid0(SALU_CYCLE_1) | instskip(NEXT) | instid1(SALU_CYCLE_1)
	s_and_b32 s5, s4, vcc_lo
	s_and_saveexec_b32 s4, s5
	s_cbranch_execz .LBB32_350
; %bb.349:
	v_ashrrev_i32_e32 v77, 31, v76
	s_delay_alu instid0(VALU_DEP_1) | instskip(NEXT) | instid1(VALU_DEP_1)
	v_lshlrev_b64 v[77:78], 2, v[76:77]
	v_add_co_u32 v77, vcc_lo, v74, v77
	s_delay_alu instid0(VALU_DEP_2)
	v_add_co_ci_u32_e32 v78, vcc_lo, v75, v78, vcc_lo
	s_clause 0x1
	flat_load_b32 v81, v[77:78]
	flat_load_b32 v83, v[74:75] offset:64
	s_waitcnt vmcnt(1) lgkmcnt(1)
	flat_store_b32 v[74:75], v81 offset:64
	s_waitcnt vmcnt(0) lgkmcnt(1)
	flat_store_b32 v[77:78], v83
.LBB32_350:
	s_or_b32 exec_lo, exec_lo, s4
	v_mov_b32_e32 v84, v76
	v_mov_b32_e32 v81, v76
.LBB32_351:
	s_or_b32 exec_lo, exec_lo, s3
	s_delay_alu instid0(VALU_DEP_2)
	v_mov_b32_e32 v77, v84
.LBB32_352:
	s_or_b32 exec_lo, exec_lo, s2
	s_delay_alu instid0(SALU_CYCLE_1)
	s_mov_b32 s2, exec_lo
	s_waitcnt lgkmcnt(0)
	s_waitcnt_vscnt null, 0x0
	s_barrier
	buffer_gl0_inv
	v_cmpx_lt_i32_e32 16, v77
; %bb.353:
	v_mul_f64 v[74:75], v[70:71], v[2:3]
	v_mul_f64 v[2:3], v[68:69], v[2:3]
	s_delay_alu instid0(VALU_DEP_2) | instskip(NEXT) | instid1(VALU_DEP_2)
	v_fma_f64 v[68:69], v[68:69], v[0:1], -v[74:75]
	v_fma_f64 v[2:3], v[70:71], v[0:1], v[2:3]
	s_delay_alu instid0(VALU_DEP_2)
	v_dual_mov_b32 v0, v68 :: v_dual_mov_b32 v1, v69
; %bb.354:
	s_or_b32 exec_lo, exec_lo, s2
	s_load_b256 s[0:7], s[0:1], 0x28
	v_ashrrev_i32_e32 v78, 31, v77
	s_mov_b32 s9, exec_lo
	s_waitcnt lgkmcnt(0)
	s_barrier
	buffer_gl0_inv
	v_cmpx_gt_i32_e32 17, v77
	s_cbranch_execz .LBB32_356
; %bb.355:
	v_mul_lo_u32 v70, v73, s4
	v_mul_lo_u32 v71, v72, s5
	v_mad_u64_u32 v[68:69], null, v72, s4, 0
	s_lshl_b64 s[2:3], s[2:3], 2
	s_delay_alu instid0(SALU_CYCLE_1) | instskip(SKIP_1) | instid1(VALU_DEP_1)
	s_add_u32 s0, s2, s0
	s_addc_u32 s1, s3, s1
	v_add3_u32 v69, v69, v71, v70
	v_lshlrev_b64 v[70:71], 2, v[77:78]
	s_delay_alu instid0(VALU_DEP_2) | instskip(NEXT) | instid1(VALU_DEP_1)
	v_lshlrev_b64 v[68:69], 2, v[68:69]
	v_add_co_u32 v68, vcc_lo, s0, v68
	s_delay_alu instid0(VALU_DEP_2) | instskip(NEXT) | instid1(VALU_DEP_2)
	v_add_co_ci_u32_e32 v69, vcc_lo, s1, v69, vcc_lo
	v_add_co_u32 v68, vcc_lo, v68, v70
	s_delay_alu instid0(VALU_DEP_2)
	v_add_co_ci_u32_e32 v69, vcc_lo, v69, v71, vcc_lo
	v_add3_u32 v70, v81, s13, 1
	global_store_b32 v[68:69], v70, off
.LBB32_356:
	s_or_b32 exec_lo, exec_lo, s9
	s_delay_alu instid0(SALU_CYCLE_1)
	s_mov_b32 s1, exec_lo
	v_cmpx_eq_u32_e32 0, v77
	s_cbranch_execz .LBB32_359
; %bb.357:
	v_lshlrev_b64 v[68:69], 2, v[72:73]
	v_cmp_lt_i32_e64 s0, 0, v82
	s_delay_alu instid0(VALU_DEP_2) | instskip(NEXT) | instid1(VALU_DEP_3)
	v_add_co_u32 v68, vcc_lo, s6, v68
	v_add_co_ci_u32_e32 v69, vcc_lo, s7, v69, vcc_lo
	global_load_b32 v70, v[68:69], off
	s_waitcnt vmcnt(0)
	v_cmp_eq_u32_e32 vcc_lo, 0, v70
	s_and_b32 s0, vcc_lo, s0
	s_delay_alu instid0(SALU_CYCLE_1)
	s_and_b32 exec_lo, exec_lo, s0
	s_cbranch_execz .LBB32_359
; %bb.358:
	v_add_nc_u32_e32 v70, s13, v82
	global_store_b32 v[68:69], v70, off
.LBB32_359:
	s_or_b32 exec_lo, exec_lo, s1
	v_add3_u32 v68, s8, s8, v77
	v_lshlrev_b64 v[70:71], 4, v[77:78]
	s_delay_alu instid0(VALU_DEP_2) | instskip(SKIP_1) | instid1(VALU_DEP_3)
	v_add_nc_u32_e32 v72, s8, v68
	v_ashrrev_i32_e32 v69, 31, v68
	v_add_co_u32 v70, vcc_lo, v79, v70
	s_delay_alu instid0(VALU_DEP_4) | instskip(NEXT) | instid1(VALU_DEP_4)
	v_add_co_ci_u32_e32 v71, vcc_lo, v80, v71, vcc_lo
	v_add_nc_u32_e32 v76, s8, v72
	s_delay_alu instid0(VALU_DEP_3) | instskip(SKIP_1) | instid1(VALU_DEP_4)
	v_add_co_u32 v74, vcc_lo, v70, s10
	v_ashrrev_i32_e32 v73, 31, v72
	v_add_co_ci_u32_e32 v75, vcc_lo, s11, v71, vcc_lo
	v_lshlrev_b64 v[68:69], 4, v[68:69]
	v_ashrrev_i32_e32 v77, 31, v76
	s_clause 0x1
	global_store_b128 v[70:71], v[56:59], off
	global_store_b128 v[74:75], v[60:63], off
	v_lshlrev_b64 v[56:57], 4, v[72:73]
	v_add_nc_u32_e32 v62, s8, v76
	v_add_co_u32 v58, vcc_lo, v79, v68
	v_lshlrev_b64 v[60:61], 4, v[76:77]
	v_add_co_ci_u32_e32 v59, vcc_lo, v80, v69, vcc_lo
	v_add_co_u32 v56, vcc_lo, v79, v56
	v_add_co_ci_u32_e32 v57, vcc_lo, v80, v57, vcc_lo
	s_delay_alu instid0(VALU_DEP_4)
	v_add_co_u32 v60, vcc_lo, v79, v60
	v_add_nc_u32_e32 v68, s8, v62
	v_add_co_ci_u32_e32 v61, vcc_lo, v80, v61, vcc_lo
	v_ashrrev_i32_e32 v63, 31, v62
	global_store_b128 v[58:59], v[52:55], off
	v_ashrrev_i32_e32 v69, 31, v68
	s_clause 0x1
	global_store_b128 v[56:57], v[48:51], off
	global_store_b128 v[60:61], v[64:67], off
	v_add_nc_u32_e32 v50, s8, v68
	v_lshlrev_b64 v[52:53], 4, v[62:63]
	v_lshlrev_b64 v[48:49], 4, v[68:69]
	s_delay_alu instid0(VALU_DEP_3) | instskip(SKIP_1) | instid1(VALU_DEP_4)
	v_add_nc_u32_e32 v54, s8, v50
	v_ashrrev_i32_e32 v51, 31, v50
	v_add_co_u32 v52, vcc_lo, v79, v52
	v_add_co_ci_u32_e32 v53, vcc_lo, v80, v53, vcc_lo
	s_delay_alu instid0(VALU_DEP_4)
	v_add_nc_u32_e32 v56, s8, v54
	v_add_co_u32 v48, vcc_lo, v79, v48
	v_ashrrev_i32_e32 v55, 31, v54
	v_add_co_ci_u32_e32 v49, vcc_lo, v80, v49, vcc_lo
	v_lshlrev_b64 v[50:51], 4, v[50:51]
	v_ashrrev_i32_e32 v57, 31, v56
	s_clause 0x1
	global_store_b128 v[52:53], v[40:43], off
	global_store_b128 v[48:49], v[44:47], off
	v_lshlrev_b64 v[40:41], 4, v[54:55]
	v_add_nc_u32_e32 v46, s8, v56
	v_add_co_u32 v42, vcc_lo, v79, v50
	v_lshlrev_b64 v[44:45], 4, v[56:57]
	v_add_co_ci_u32_e32 v43, vcc_lo, v80, v51, vcc_lo
	v_add_co_u32 v40, vcc_lo, v79, v40
	v_add_nc_u32_e32 v48, s8, v46
	v_add_co_ci_u32_e32 v41, vcc_lo, v80, v41, vcc_lo
	v_ashrrev_i32_e32 v47, 31, v46
	v_add_co_u32 v44, vcc_lo, v79, v44
	v_add_co_ci_u32_e32 v45, vcc_lo, v80, v45, vcc_lo
	v_ashrrev_i32_e32 v49, 31, v48
	global_store_b128 v[42:43], v[36:39], off
	v_lshlrev_b64 v[36:37], 4, v[46:47]
	s_clause 0x1
	global_store_b128 v[40:41], v[32:35], off
	global_store_b128 v[44:45], v[28:31], off
	v_add_nc_u32_e32 v30, s8, v48
	v_lshlrev_b64 v[28:29], 4, v[48:49]
	v_add_co_u32 v32, vcc_lo, v79, v36
	s_delay_alu instid0(VALU_DEP_3) | instskip(SKIP_1) | instid1(VALU_DEP_4)
	v_add_nc_u32_e32 v34, s8, v30
	v_add_co_ci_u32_e32 v33, vcc_lo, v80, v37, vcc_lo
	v_add_co_u32 v28, vcc_lo, v79, v28
	v_add_co_ci_u32_e32 v29, vcc_lo, v80, v29, vcc_lo
	s_delay_alu instid0(VALU_DEP_4)
	v_add_nc_u32_e32 v36, s8, v34
	v_ashrrev_i32_e32 v31, 31, v30
	s_clause 0x1
	global_store_b128 v[32:33], v[24:27], off
	global_store_b128 v[28:29], v[20:23], off
	v_ashrrev_i32_e32 v35, 31, v34
	v_add_nc_u32_e32 v22, s8, v36
	v_lshlrev_b64 v[24:25], 4, v[30:31]
	v_ashrrev_i32_e32 v37, 31, v36
	s_delay_alu instid0(VALU_DEP_4) | instskip(NEXT) | instid1(VALU_DEP_4)
	v_lshlrev_b64 v[20:21], 4, v[34:35]
	v_add_nc_u32_e32 v28, s8, v22
	v_ashrrev_i32_e32 v23, 31, v22
	v_add_co_u32 v24, vcc_lo, v79, v24
	v_lshlrev_b64 v[26:27], 4, v[36:37]
	s_delay_alu instid0(VALU_DEP_4)
	v_ashrrev_i32_e32 v29, 31, v28
	v_add_co_ci_u32_e32 v25, vcc_lo, v80, v25, vcc_lo
	v_add_co_u32 v20, vcc_lo, v79, v20
	v_lshlrev_b64 v[22:23], 4, v[22:23]
	v_add_co_ci_u32_e32 v21, vcc_lo, v80, v21, vcc_lo
	v_add_co_u32 v26, vcc_lo, v79, v26
	v_lshlrev_b64 v[28:29], 4, v[28:29]
	v_add_co_ci_u32_e32 v27, vcc_lo, v80, v27, vcc_lo
	v_add_co_u32 v22, vcc_lo, v79, v22
	v_add_co_ci_u32_e32 v23, vcc_lo, v80, v23, vcc_lo
	s_delay_alu instid0(VALU_DEP_4)
	v_add_co_u32 v28, vcc_lo, v79, v28
	v_add_co_ci_u32_e32 v29, vcc_lo, v80, v29, vcc_lo
	s_clause 0x4
	global_store_b128 v[24:25], v[16:19], off
	global_store_b128 v[20:21], v[12:15], off
	;; [unrolled: 1-line block ×5, first 2 shown]
.LBB32_360:
	s_nop 0
	s_sendmsg sendmsg(MSG_DEALLOC_VGPRS)
	s_endpgm
	.section	.rodata,"a",@progbits
	.p2align	6, 0x0
	.amdhsa_kernel _ZN9rocsolver6v33100L18getf2_small_kernelILi17E19rocblas_complex_numIdEiiPKPS3_EEvT1_T3_lS7_lPS7_llPT2_S7_S7_S9_l
		.amdhsa_group_segment_fixed_size 0
		.amdhsa_private_segment_fixed_size 0
		.amdhsa_kernarg_size 352
		.amdhsa_user_sgpr_count 14
		.amdhsa_user_sgpr_dispatch_ptr 0
		.amdhsa_user_sgpr_queue_ptr 0
		.amdhsa_user_sgpr_kernarg_segment_ptr 1
		.amdhsa_user_sgpr_dispatch_id 0
		.amdhsa_user_sgpr_private_segment_size 0
		.amdhsa_wavefront_size32 1
		.amdhsa_uses_dynamic_stack 0
		.amdhsa_enable_private_segment 0
		.amdhsa_system_sgpr_workgroup_id_x 1
		.amdhsa_system_sgpr_workgroup_id_y 1
		.amdhsa_system_sgpr_workgroup_id_z 0
		.amdhsa_system_sgpr_workgroup_info 0
		.amdhsa_system_vgpr_workitem_id 1
		.amdhsa_next_free_vgpr 208
		.amdhsa_next_free_sgpr 16
		.amdhsa_reserve_vcc 1
		.amdhsa_float_round_mode_32 0
		.amdhsa_float_round_mode_16_64 0
		.amdhsa_float_denorm_mode_32 3
		.amdhsa_float_denorm_mode_16_64 3
		.amdhsa_dx10_clamp 1
		.amdhsa_ieee_mode 1
		.amdhsa_fp16_overflow 0
		.amdhsa_workgroup_processor_mode 1
		.amdhsa_memory_ordered 1
		.amdhsa_forward_progress 0
		.amdhsa_shared_vgpr_count 0
		.amdhsa_exception_fp_ieee_invalid_op 0
		.amdhsa_exception_fp_denorm_src 0
		.amdhsa_exception_fp_ieee_div_zero 0
		.amdhsa_exception_fp_ieee_overflow 0
		.amdhsa_exception_fp_ieee_underflow 0
		.amdhsa_exception_fp_ieee_inexact 0
		.amdhsa_exception_int_div_zero 0
	.end_amdhsa_kernel
	.section	.text._ZN9rocsolver6v33100L18getf2_small_kernelILi17E19rocblas_complex_numIdEiiPKPS3_EEvT1_T3_lS7_lPS7_llPT2_S7_S7_S9_l,"axG",@progbits,_ZN9rocsolver6v33100L18getf2_small_kernelILi17E19rocblas_complex_numIdEiiPKPS3_EEvT1_T3_lS7_lPS7_llPT2_S7_S7_S9_l,comdat
.Lfunc_end32:
	.size	_ZN9rocsolver6v33100L18getf2_small_kernelILi17E19rocblas_complex_numIdEiiPKPS3_EEvT1_T3_lS7_lPS7_llPT2_S7_S7_S9_l, .Lfunc_end32-_ZN9rocsolver6v33100L18getf2_small_kernelILi17E19rocblas_complex_numIdEiiPKPS3_EEvT1_T3_lS7_lPS7_llPT2_S7_S7_S9_l
                                        ; -- End function
	.section	.AMDGPU.csdata,"",@progbits
; Kernel info:
; codeLenInByte = 30796
; NumSgprs: 18
; NumVgprs: 208
; ScratchSize: 0
; MemoryBound: 0
; FloatMode: 240
; IeeeMode: 1
; LDSByteSize: 0 bytes/workgroup (compile time only)
; SGPRBlocks: 2
; VGPRBlocks: 25
; NumSGPRsForWavesPerEU: 18
; NumVGPRsForWavesPerEU: 208
; Occupancy: 7
; WaveLimiterHint : 1
; COMPUTE_PGM_RSRC2:SCRATCH_EN: 0
; COMPUTE_PGM_RSRC2:USER_SGPR: 14
; COMPUTE_PGM_RSRC2:TRAP_HANDLER: 0
; COMPUTE_PGM_RSRC2:TGID_X_EN: 1
; COMPUTE_PGM_RSRC2:TGID_Y_EN: 1
; COMPUTE_PGM_RSRC2:TGID_Z_EN: 0
; COMPUTE_PGM_RSRC2:TIDIG_COMP_CNT: 1
	.section	.text._ZN9rocsolver6v33100L23getf2_npvt_small_kernelILi17E19rocblas_complex_numIdEiiPKPS3_EEvT1_T3_lS7_lPT2_S7_S7_,"axG",@progbits,_ZN9rocsolver6v33100L23getf2_npvt_small_kernelILi17E19rocblas_complex_numIdEiiPKPS3_EEvT1_T3_lS7_lPT2_S7_S7_,comdat
	.globl	_ZN9rocsolver6v33100L23getf2_npvt_small_kernelILi17E19rocblas_complex_numIdEiiPKPS3_EEvT1_T3_lS7_lPT2_S7_S7_ ; -- Begin function _ZN9rocsolver6v33100L23getf2_npvt_small_kernelILi17E19rocblas_complex_numIdEiiPKPS3_EEvT1_T3_lS7_lPT2_S7_S7_
	.p2align	8
	.type	_ZN9rocsolver6v33100L23getf2_npvt_small_kernelILi17E19rocblas_complex_numIdEiiPKPS3_EEvT1_T3_lS7_lPT2_S7_S7_,@function
_ZN9rocsolver6v33100L23getf2_npvt_small_kernelILi17E19rocblas_complex_numIdEiiPKPS3_EEvT1_T3_lS7_lPT2_S7_S7_: ; @_ZN9rocsolver6v33100L23getf2_npvt_small_kernelILi17E19rocblas_complex_numIdEiiPKPS3_EEvT1_T3_lS7_lPT2_S7_S7_
; %bb.0:
	s_clause 0x1
	s_load_b32 s2, s[0:1], 0x44
	s_load_b64 s[8:9], s[0:1], 0x30
	v_bfe_u32 v68, v0, 10, 10
	s_waitcnt lgkmcnt(0)
	s_lshr_b32 s10, s2, 16
	s_mov_b32 s2, exec_lo
	s_delay_alu instid0(VALU_DEP_1) | instskip(NEXT) | instid1(VALU_DEP_1)
	v_mad_u64_u32 v[136:137], null, s15, s10, v[68:69]
	v_cmpx_gt_i32_e64 s8, v136
	s_cbranch_execz .LBB33_158
; %bb.1:
	s_clause 0x1
	s_load_b128 s[4:7], s[0:1], 0x8
	s_load_b32 s2, s[0:1], 0x18
	v_ashrrev_i32_e32 v137, 31, v136
	v_and_b32_e32 v174, 0x3ff, v0
	v_lshlrev_b32_e32 v69, 4, v68
	s_mulk_i32 s10, 0x110
	v_mad_u32_u24 v176, 0x110, v68, 0
	v_lshlrev_b64 v[1:2], 3, v[136:137]
	v_lshlrev_b32_e32 v33, 4, v174
	v_add3_u32 v175, 0, s10, v69
	s_waitcnt lgkmcnt(0)
	s_delay_alu instid0(VALU_DEP_3) | instskip(NEXT) | instid1(VALU_DEP_4)
	v_add_co_u32 v1, vcc_lo, s4, v1
	v_add_co_ci_u32_e32 v2, vcc_lo, s5, v2, vcc_lo
	v_add3_u32 v3, s2, s2, v174
	s_lshl_b64 s[4:5], s[6:7], 4
	s_ashr_i32 s3, s2, 31
	global_load_b64 v[1:2], v[1:2], off
	s_lshl_b64 s[6:7], s[2:3], 4
	v_add_nc_u32_e32 v5, s2, v3
	v_ashrrev_i32_e32 v4, 31, v3
	v_cmp_ne_u32_e64 s3, 0, v174
	s_delay_alu instid0(VALU_DEP_3) | instskip(SKIP_1) | instid1(VALU_DEP_4)
	v_add_nc_u32_e32 v7, s2, v5
	v_ashrrev_i32_e32 v6, 31, v5
	v_lshlrev_b64 v[3:4], 4, v[3:4]
	s_delay_alu instid0(VALU_DEP_3) | instskip(SKIP_1) | instid1(VALU_DEP_4)
	v_add_nc_u32_e32 v9, s2, v7
	v_ashrrev_i32_e32 v8, 31, v7
	v_lshlrev_b64 v[5:6], 4, v[5:6]
	s_delay_alu instid0(VALU_DEP_3) | instskip(SKIP_1) | instid1(VALU_DEP_4)
	v_add_nc_u32_e32 v11, s2, v9
	v_ashrrev_i32_e32 v10, 31, v9
	v_lshlrev_b64 v[7:8], 4, v[7:8]
	s_delay_alu instid0(VALU_DEP_3) | instskip(SKIP_1) | instid1(VALU_DEP_4)
	v_add_nc_u32_e32 v13, s2, v11
	v_ashrrev_i32_e32 v12, 31, v11
	v_lshlrev_b64 v[9:10], 4, v[9:10]
	s_delay_alu instid0(VALU_DEP_3) | instskip(SKIP_1) | instid1(VALU_DEP_4)
	v_add_nc_u32_e32 v15, s2, v13
	v_ashrrev_i32_e32 v14, 31, v13
	v_lshlrev_b64 v[11:12], 4, v[11:12]
	s_delay_alu instid0(VALU_DEP_3) | instskip(SKIP_1) | instid1(VALU_DEP_4)
	v_add_nc_u32_e32 v17, s2, v15
	v_ashrrev_i32_e32 v16, 31, v15
	v_lshlrev_b64 v[13:14], 4, v[13:14]
	s_delay_alu instid0(VALU_DEP_3) | instskip(SKIP_1) | instid1(VALU_DEP_4)
	v_add_nc_u32_e32 v19, s2, v17
	v_ashrrev_i32_e32 v18, 31, v17
	v_lshlrev_b64 v[15:16], 4, v[15:16]
	s_delay_alu instid0(VALU_DEP_3) | instskip(SKIP_1) | instid1(VALU_DEP_4)
	v_add_nc_u32_e32 v21, s2, v19
	v_ashrrev_i32_e32 v20, 31, v19
	v_lshlrev_b64 v[17:18], 4, v[17:18]
	s_delay_alu instid0(VALU_DEP_3) | instskip(SKIP_1) | instid1(VALU_DEP_4)
	v_add_nc_u32_e32 v23, s2, v21
	v_ashrrev_i32_e32 v22, 31, v21
	v_lshlrev_b64 v[19:20], 4, v[19:20]
	s_delay_alu instid0(VALU_DEP_3) | instskip(SKIP_1) | instid1(VALU_DEP_4)
	v_add_nc_u32_e32 v25, s2, v23
	v_ashrrev_i32_e32 v24, 31, v23
	v_lshlrev_b64 v[21:22], 4, v[21:22]
	s_delay_alu instid0(VALU_DEP_3) | instskip(SKIP_1) | instid1(VALU_DEP_4)
	v_add_nc_u32_e32 v27, s2, v25
	v_ashrrev_i32_e32 v26, 31, v25
	v_lshlrev_b64 v[23:24], 4, v[23:24]
	s_delay_alu instid0(VALU_DEP_3) | instskip(SKIP_1) | instid1(VALU_DEP_4)
	v_add_nc_u32_e32 v29, s2, v27
	v_ashrrev_i32_e32 v28, 31, v27
	v_lshlrev_b64 v[25:26], 4, v[25:26]
	s_delay_alu instid0(VALU_DEP_3) | instskip(SKIP_1) | instid1(VALU_DEP_4)
	v_add_nc_u32_e32 v31, s2, v29
	v_ashrrev_i32_e32 v30, 31, v29
	v_lshlrev_b64 v[27:28], 4, v[27:28]
	v_cmp_eq_u32_e64 s2, 0, v174
	s_delay_alu instid0(VALU_DEP_4) | instskip(NEXT) | instid1(VALU_DEP_4)
	v_ashrrev_i32_e32 v32, 31, v31
	v_lshlrev_b64 v[29:30], 4, v[29:30]
	s_waitcnt vmcnt(0)
	v_add_co_u32 v34, vcc_lo, v1, s4
	v_add_co_ci_u32_e32 v2, vcc_lo, s5, v2, vcc_lo
	v_lshlrev_b64 v[0:1], 4, v[31:32]
	s_delay_alu instid0(VALU_DEP_3) | instskip(NEXT) | instid1(VALU_DEP_3)
	v_add_co_u32 v168, vcc_lo, v34, v33
	v_add_co_ci_u32_e32 v169, vcc_lo, 0, v2, vcc_lo
	v_add_co_u32 v166, vcc_lo, v34, v3
	v_add_co_ci_u32_e32 v167, vcc_lo, v2, v4, vcc_lo
	;; [unrolled: 2-line block ×17, first 2 shown]
	s_clause 0x10
	global_load_b128 v[56:59], v[166:167], off
	global_load_b128 v[52:55], v[164:165], off
	;; [unrolled: 1-line block ×17, first 2 shown]
	s_and_saveexec_b32 s5, s2
	s_cbranch_execz .LBB33_8
; %bb.2:
	s_waitcnt vmcnt(2)
	ds_store_2addr_b64 v175, v[64:65], v[66:67] offset1:1
	s_waitcnt vmcnt(1)
	ds_store_2addr_b64 v176, v[60:61], v[62:63] offset0:2 offset1:3
	ds_store_2addr_b64 v176, v[56:57], v[58:59] offset0:4 offset1:5
	;; [unrolled: 1-line block ×15, first 2 shown]
	s_waitcnt vmcnt(0)
	ds_store_2addr_b64 v176, v[0:1], v[2:3] offset0:32 offset1:33
	ds_load_2addr_b64 v[68:71], v175 offset1:1
	s_waitcnt lgkmcnt(0)
	v_cmp_neq_f64_e32 vcc_lo, 0, v[68:69]
	v_cmp_neq_f64_e64 s4, 0, v[70:71]
	s_delay_alu instid0(VALU_DEP_1) | instskip(NEXT) | instid1(SALU_CYCLE_1)
	s_or_b32 s4, vcc_lo, s4
	s_and_b32 exec_lo, exec_lo, s4
	s_cbranch_execz .LBB33_8
; %bb.3:
	v_cmp_gt_f64_e32 vcc_lo, 0, v[68:69]
	v_cmp_gt_f64_e64 s4, 0, v[70:71]
	v_xor_b32_e32 v72, 0x80000000, v69
	v_xor_b32_e32 v74, 0x80000000, v71
                                        ; implicit-def: $vgpr76_vgpr77
	s_delay_alu instid0(VALU_DEP_2) | instskip(NEXT) | instid1(VALU_DEP_2)
	v_cndmask_b32_e32 v73, v69, v72, vcc_lo
	v_cndmask_b32_e64 v75, v71, v74, s4
	v_cndmask_b32_e32 v72, v68, v68, vcc_lo
	v_cndmask_b32_e64 v74, v70, v70, s4
	s_mov_b32 s4, exec_lo
	s_delay_alu instid0(VALU_DEP_1)
	v_cmpx_ngt_f64_e32 v[72:73], v[74:75]
	s_xor_b32 s4, exec_lo, s4
                                        ; implicit-def: $vgpr72_vgpr73_vgpr74_vgpr75
	s_cbranch_execz .LBB33_5
; %bb.4:
	v_div_scale_f64 v[72:73], null, v[70:71], v[70:71], v[68:69]
	v_div_scale_f64 v[78:79], vcc_lo, v[68:69], v[70:71], v[68:69]
	s_delay_alu instid0(VALU_DEP_2) | instskip(SKIP_2) | instid1(VALU_DEP_1)
	v_rcp_f64_e32 v[74:75], v[72:73]
	s_waitcnt_depctr 0xfff
	v_fma_f64 v[76:77], -v[72:73], v[74:75], 1.0
	v_fma_f64 v[74:75], v[74:75], v[76:77], v[74:75]
	s_delay_alu instid0(VALU_DEP_1) | instskip(NEXT) | instid1(VALU_DEP_1)
	v_fma_f64 v[76:77], -v[72:73], v[74:75], 1.0
	v_fma_f64 v[74:75], v[74:75], v[76:77], v[74:75]
	s_delay_alu instid0(VALU_DEP_1) | instskip(NEXT) | instid1(VALU_DEP_1)
	v_mul_f64 v[76:77], v[78:79], v[74:75]
	v_fma_f64 v[72:73], -v[72:73], v[76:77], v[78:79]
	s_delay_alu instid0(VALU_DEP_1) | instskip(NEXT) | instid1(VALU_DEP_1)
	v_div_fmas_f64 v[72:73], v[72:73], v[74:75], v[76:77]
	v_div_fixup_f64 v[72:73], v[72:73], v[70:71], v[68:69]
	s_delay_alu instid0(VALU_DEP_1) | instskip(NEXT) | instid1(VALU_DEP_1)
	v_fma_f64 v[68:69], v[68:69], v[72:73], v[70:71]
	v_div_scale_f64 v[70:71], null, v[68:69], v[68:69], 1.0
	s_delay_alu instid0(VALU_DEP_1) | instskip(SKIP_2) | instid1(VALU_DEP_1)
	v_rcp_f64_e32 v[74:75], v[70:71]
	s_waitcnt_depctr 0xfff
	v_fma_f64 v[76:77], -v[70:71], v[74:75], 1.0
	v_fma_f64 v[74:75], v[74:75], v[76:77], v[74:75]
	s_delay_alu instid0(VALU_DEP_1) | instskip(NEXT) | instid1(VALU_DEP_1)
	v_fma_f64 v[76:77], -v[70:71], v[74:75], 1.0
	v_fma_f64 v[74:75], v[74:75], v[76:77], v[74:75]
	v_div_scale_f64 v[76:77], vcc_lo, 1.0, v[68:69], 1.0
	s_delay_alu instid0(VALU_DEP_1) | instskip(NEXT) | instid1(VALU_DEP_1)
	v_mul_f64 v[78:79], v[76:77], v[74:75]
	v_fma_f64 v[70:71], -v[70:71], v[78:79], v[76:77]
	s_delay_alu instid0(VALU_DEP_1) | instskip(NEXT) | instid1(VALU_DEP_1)
	v_div_fmas_f64 v[70:71], v[70:71], v[74:75], v[78:79]
	v_div_fixup_f64 v[74:75], v[70:71], v[68:69], 1.0
                                        ; implicit-def: $vgpr68_vgpr69
	s_delay_alu instid0(VALU_DEP_1)
	v_mul_f64 v[76:77], v[72:73], v[74:75]
	v_xor_b32_e32 v75, 0x80000000, v75
.LBB33_5:
	s_and_not1_saveexec_b32 s4, s4
	s_cbranch_execz .LBB33_7
; %bb.6:
	v_div_scale_f64 v[72:73], null, v[68:69], v[68:69], v[70:71]
	v_div_scale_f64 v[78:79], vcc_lo, v[70:71], v[68:69], v[70:71]
	s_delay_alu instid0(VALU_DEP_2) | instskip(SKIP_2) | instid1(VALU_DEP_1)
	v_rcp_f64_e32 v[74:75], v[72:73]
	s_waitcnt_depctr 0xfff
	v_fma_f64 v[76:77], -v[72:73], v[74:75], 1.0
	v_fma_f64 v[74:75], v[74:75], v[76:77], v[74:75]
	s_delay_alu instid0(VALU_DEP_1) | instskip(NEXT) | instid1(VALU_DEP_1)
	v_fma_f64 v[76:77], -v[72:73], v[74:75], 1.0
	v_fma_f64 v[74:75], v[74:75], v[76:77], v[74:75]
	s_delay_alu instid0(VALU_DEP_1) | instskip(NEXT) | instid1(VALU_DEP_1)
	v_mul_f64 v[76:77], v[78:79], v[74:75]
	v_fma_f64 v[72:73], -v[72:73], v[76:77], v[78:79]
	s_delay_alu instid0(VALU_DEP_1) | instskip(NEXT) | instid1(VALU_DEP_1)
	v_div_fmas_f64 v[72:73], v[72:73], v[74:75], v[76:77]
	v_div_fixup_f64 v[72:73], v[72:73], v[68:69], v[70:71]
	s_delay_alu instid0(VALU_DEP_1) | instskip(NEXT) | instid1(VALU_DEP_1)
	v_fma_f64 v[68:69], v[70:71], v[72:73], v[68:69]
	v_div_scale_f64 v[70:71], null, v[68:69], v[68:69], 1.0
	s_delay_alu instid0(VALU_DEP_1) | instskip(SKIP_2) | instid1(VALU_DEP_1)
	v_rcp_f64_e32 v[74:75], v[70:71]
	s_waitcnt_depctr 0xfff
	v_fma_f64 v[76:77], -v[70:71], v[74:75], 1.0
	v_fma_f64 v[74:75], v[74:75], v[76:77], v[74:75]
	s_delay_alu instid0(VALU_DEP_1) | instskip(NEXT) | instid1(VALU_DEP_1)
	v_fma_f64 v[76:77], -v[70:71], v[74:75], 1.0
	v_fma_f64 v[74:75], v[74:75], v[76:77], v[74:75]
	v_div_scale_f64 v[76:77], vcc_lo, 1.0, v[68:69], 1.0
	s_delay_alu instid0(VALU_DEP_1) | instskip(NEXT) | instid1(VALU_DEP_1)
	v_mul_f64 v[78:79], v[76:77], v[74:75]
	v_fma_f64 v[70:71], -v[70:71], v[78:79], v[76:77]
	s_delay_alu instid0(VALU_DEP_1) | instskip(NEXT) | instid1(VALU_DEP_1)
	v_div_fmas_f64 v[70:71], v[70:71], v[74:75], v[78:79]
	v_div_fixup_f64 v[76:77], v[70:71], v[68:69], 1.0
	s_delay_alu instid0(VALU_DEP_1)
	v_mul_f64 v[74:75], v[72:73], -v[76:77]
.LBB33_7:
	s_or_b32 exec_lo, exec_lo, s4
	ds_store_2addr_b64 v175, v[76:77], v[74:75] offset1:1
.LBB33_8:
	s_or_b32 exec_lo, exec_lo, s5
	s_waitcnt vmcnt(0) lgkmcnt(0)
	s_barrier
	buffer_gl0_inv
	ds_load_2addr_b64 v[68:71], v175 offset1:1
	s_and_saveexec_b32 s4, s3
	s_cbranch_execz .LBB33_10
; %bb.9:
	s_waitcnt lgkmcnt(0)
	v_mul_f64 v[72:73], v[68:69], v[66:67]
	v_mul_f64 v[66:67], v[70:71], v[66:67]
	s_delay_alu instid0(VALU_DEP_2)
	v_fma_f64 v[172:173], v[70:71], v[64:65], v[72:73]
	ds_load_2addr_b64 v[72:75], v176 offset0:2 offset1:3
	ds_load_2addr_b64 v[76:79], v176 offset0:4 offset1:5
	;; [unrolled: 1-line block ×16, first 2 shown]
	v_fma_f64 v[64:65], v[68:69], v[64:65], -v[66:67]
	s_waitcnt lgkmcnt(15)
	v_mul_f64 v[66:67], v[74:75], v[172:173]
	v_mul_f64 v[177:178], v[72:73], v[172:173]
	s_waitcnt lgkmcnt(14)
	v_mul_f64 v[179:180], v[78:79], v[172:173]
	v_mul_f64 v[181:182], v[76:77], v[172:173]
	;; [unrolled: 3-line block ×16, first 2 shown]
	v_fma_f64 v[66:67], v[72:73], v[64:65], -v[66:67]
	v_fma_f64 v[72:73], v[74:75], v[64:65], v[177:178]
	v_fma_f64 v[74:75], v[76:77], v[64:65], -v[179:180]
	v_fma_f64 v[76:77], v[78:79], v[64:65], v[181:182]
	;; [unrolled: 2-line block ×16, first 2 shown]
	v_add_f64 v[60:61], v[60:61], -v[66:67]
	v_add_f64 v[62:63], v[62:63], -v[72:73]
	;; [unrolled: 1-line block ×32, first 2 shown]
	v_dual_mov_b32 v66, v172 :: v_dual_mov_b32 v67, v173
.LBB33_10:
	s_or_b32 exec_lo, exec_lo, s4
	s_delay_alu instid0(SALU_CYCLE_1)
	s_mov_b32 s4, exec_lo
	s_waitcnt lgkmcnt(0)
	s_barrier
	buffer_gl0_inv
	v_cmpx_eq_u32_e32 1, v174
	s_cbranch_execz .LBB33_17
; %bb.11:
	ds_store_2addr_b64 v175, v[60:61], v[62:63] offset1:1
	ds_store_2addr_b64 v176, v[56:57], v[58:59] offset0:4 offset1:5
	ds_store_2addr_b64 v176, v[52:53], v[54:55] offset0:6 offset1:7
	;; [unrolled: 1-line block ×15, first 2 shown]
	ds_load_2addr_b64 v[72:75], v175 offset1:1
	s_waitcnt lgkmcnt(0)
	v_cmp_neq_f64_e32 vcc_lo, 0, v[72:73]
	v_cmp_neq_f64_e64 s3, 0, v[74:75]
	s_delay_alu instid0(VALU_DEP_1) | instskip(NEXT) | instid1(SALU_CYCLE_1)
	s_or_b32 s3, vcc_lo, s3
	s_and_b32 exec_lo, exec_lo, s3
	s_cbranch_execz .LBB33_17
; %bb.12:
	v_cmp_gt_f64_e32 vcc_lo, 0, v[72:73]
	v_cmp_gt_f64_e64 s3, 0, v[74:75]
	v_xor_b32_e32 v76, 0x80000000, v73
	v_xor_b32_e32 v78, 0x80000000, v75
                                        ; implicit-def: $vgpr80_vgpr81
	s_delay_alu instid0(VALU_DEP_2) | instskip(NEXT) | instid1(VALU_DEP_2)
	v_cndmask_b32_e32 v77, v73, v76, vcc_lo
	v_cndmask_b32_e64 v79, v75, v78, s3
	v_cndmask_b32_e32 v76, v72, v72, vcc_lo
	v_cndmask_b32_e64 v78, v74, v74, s3
	s_mov_b32 s3, exec_lo
	s_delay_alu instid0(VALU_DEP_1)
	v_cmpx_ngt_f64_e32 v[76:77], v[78:79]
	s_xor_b32 s3, exec_lo, s3
                                        ; implicit-def: $vgpr76_vgpr77_vgpr78_vgpr79
	s_cbranch_execz .LBB33_14
; %bb.13:
	v_div_scale_f64 v[76:77], null, v[74:75], v[74:75], v[72:73]
	v_div_scale_f64 v[82:83], vcc_lo, v[72:73], v[74:75], v[72:73]
	s_delay_alu instid0(VALU_DEP_2) | instskip(SKIP_2) | instid1(VALU_DEP_1)
	v_rcp_f64_e32 v[78:79], v[76:77]
	s_waitcnt_depctr 0xfff
	v_fma_f64 v[80:81], -v[76:77], v[78:79], 1.0
	v_fma_f64 v[78:79], v[78:79], v[80:81], v[78:79]
	s_delay_alu instid0(VALU_DEP_1) | instskip(NEXT) | instid1(VALU_DEP_1)
	v_fma_f64 v[80:81], -v[76:77], v[78:79], 1.0
	v_fma_f64 v[78:79], v[78:79], v[80:81], v[78:79]
	s_delay_alu instid0(VALU_DEP_1) | instskip(NEXT) | instid1(VALU_DEP_1)
	v_mul_f64 v[80:81], v[82:83], v[78:79]
	v_fma_f64 v[76:77], -v[76:77], v[80:81], v[82:83]
	s_delay_alu instid0(VALU_DEP_1) | instskip(NEXT) | instid1(VALU_DEP_1)
	v_div_fmas_f64 v[76:77], v[76:77], v[78:79], v[80:81]
	v_div_fixup_f64 v[76:77], v[76:77], v[74:75], v[72:73]
	s_delay_alu instid0(VALU_DEP_1) | instskip(NEXT) | instid1(VALU_DEP_1)
	v_fma_f64 v[72:73], v[72:73], v[76:77], v[74:75]
	v_div_scale_f64 v[74:75], null, v[72:73], v[72:73], 1.0
	s_delay_alu instid0(VALU_DEP_1) | instskip(SKIP_2) | instid1(VALU_DEP_1)
	v_rcp_f64_e32 v[78:79], v[74:75]
	s_waitcnt_depctr 0xfff
	v_fma_f64 v[80:81], -v[74:75], v[78:79], 1.0
	v_fma_f64 v[78:79], v[78:79], v[80:81], v[78:79]
	s_delay_alu instid0(VALU_DEP_1) | instskip(NEXT) | instid1(VALU_DEP_1)
	v_fma_f64 v[80:81], -v[74:75], v[78:79], 1.0
	v_fma_f64 v[78:79], v[78:79], v[80:81], v[78:79]
	v_div_scale_f64 v[80:81], vcc_lo, 1.0, v[72:73], 1.0
	s_delay_alu instid0(VALU_DEP_1) | instskip(NEXT) | instid1(VALU_DEP_1)
	v_mul_f64 v[82:83], v[80:81], v[78:79]
	v_fma_f64 v[74:75], -v[74:75], v[82:83], v[80:81]
	s_delay_alu instid0(VALU_DEP_1) | instskip(NEXT) | instid1(VALU_DEP_1)
	v_div_fmas_f64 v[74:75], v[74:75], v[78:79], v[82:83]
	v_div_fixup_f64 v[78:79], v[74:75], v[72:73], 1.0
                                        ; implicit-def: $vgpr72_vgpr73
	s_delay_alu instid0(VALU_DEP_1)
	v_mul_f64 v[80:81], v[76:77], v[78:79]
	v_xor_b32_e32 v79, 0x80000000, v79
.LBB33_14:
	s_and_not1_saveexec_b32 s3, s3
	s_cbranch_execz .LBB33_16
; %bb.15:
	v_div_scale_f64 v[76:77], null, v[72:73], v[72:73], v[74:75]
	v_div_scale_f64 v[82:83], vcc_lo, v[74:75], v[72:73], v[74:75]
	s_delay_alu instid0(VALU_DEP_2) | instskip(SKIP_2) | instid1(VALU_DEP_1)
	v_rcp_f64_e32 v[78:79], v[76:77]
	s_waitcnt_depctr 0xfff
	v_fma_f64 v[80:81], -v[76:77], v[78:79], 1.0
	v_fma_f64 v[78:79], v[78:79], v[80:81], v[78:79]
	s_delay_alu instid0(VALU_DEP_1) | instskip(NEXT) | instid1(VALU_DEP_1)
	v_fma_f64 v[80:81], -v[76:77], v[78:79], 1.0
	v_fma_f64 v[78:79], v[78:79], v[80:81], v[78:79]
	s_delay_alu instid0(VALU_DEP_1) | instskip(NEXT) | instid1(VALU_DEP_1)
	v_mul_f64 v[80:81], v[82:83], v[78:79]
	v_fma_f64 v[76:77], -v[76:77], v[80:81], v[82:83]
	s_delay_alu instid0(VALU_DEP_1) | instskip(NEXT) | instid1(VALU_DEP_1)
	v_div_fmas_f64 v[76:77], v[76:77], v[78:79], v[80:81]
	v_div_fixup_f64 v[76:77], v[76:77], v[72:73], v[74:75]
	s_delay_alu instid0(VALU_DEP_1) | instskip(NEXT) | instid1(VALU_DEP_1)
	v_fma_f64 v[72:73], v[74:75], v[76:77], v[72:73]
	v_div_scale_f64 v[74:75], null, v[72:73], v[72:73], 1.0
	s_delay_alu instid0(VALU_DEP_1) | instskip(SKIP_2) | instid1(VALU_DEP_1)
	v_rcp_f64_e32 v[78:79], v[74:75]
	s_waitcnt_depctr 0xfff
	v_fma_f64 v[80:81], -v[74:75], v[78:79], 1.0
	v_fma_f64 v[78:79], v[78:79], v[80:81], v[78:79]
	s_delay_alu instid0(VALU_DEP_1) | instskip(NEXT) | instid1(VALU_DEP_1)
	v_fma_f64 v[80:81], -v[74:75], v[78:79], 1.0
	v_fma_f64 v[78:79], v[78:79], v[80:81], v[78:79]
	v_div_scale_f64 v[80:81], vcc_lo, 1.0, v[72:73], 1.0
	s_delay_alu instid0(VALU_DEP_1) | instskip(NEXT) | instid1(VALU_DEP_1)
	v_mul_f64 v[82:83], v[80:81], v[78:79]
	v_fma_f64 v[74:75], -v[74:75], v[82:83], v[80:81]
	s_delay_alu instid0(VALU_DEP_1) | instskip(NEXT) | instid1(VALU_DEP_1)
	v_div_fmas_f64 v[74:75], v[74:75], v[78:79], v[82:83]
	v_div_fixup_f64 v[80:81], v[74:75], v[72:73], 1.0
	s_delay_alu instid0(VALU_DEP_1)
	v_mul_f64 v[78:79], v[76:77], -v[80:81]
.LBB33_16:
	s_or_b32 exec_lo, exec_lo, s3
	ds_store_2addr_b64 v175, v[80:81], v[78:79] offset1:1
.LBB33_17:
	s_or_b32 exec_lo, exec_lo, s4
	s_waitcnt lgkmcnt(0)
	s_barrier
	buffer_gl0_inv
	ds_load_2addr_b64 v[72:75], v175 offset1:1
	s_mov_b32 s3, exec_lo
	v_cmpx_lt_u32_e32 1, v174
	s_cbranch_execz .LBB33_19
; %bb.18:
	s_waitcnt lgkmcnt(0)
	v_mul_f64 v[76:77], v[72:73], v[62:63]
	v_mul_f64 v[62:63], v[74:75], v[62:63]
	s_delay_alu instid0(VALU_DEP_2)
	v_fma_f64 v[172:173], v[74:75], v[60:61], v[76:77]
	ds_load_2addr_b64 v[76:79], v176 offset0:4 offset1:5
	ds_load_2addr_b64 v[80:83], v176 offset0:6 offset1:7
	;; [unrolled: 1-line block ×15, first 2 shown]
	v_fma_f64 v[60:61], v[72:73], v[60:61], -v[62:63]
	s_waitcnt lgkmcnt(14)
	v_mul_f64 v[62:63], v[78:79], v[172:173]
	v_mul_f64 v[177:178], v[76:77], v[172:173]
	s_waitcnt lgkmcnt(13)
	v_mul_f64 v[179:180], v[82:83], v[172:173]
	v_mul_f64 v[181:182], v[80:81], v[172:173]
	s_waitcnt lgkmcnt(12)
	v_mul_f64 v[183:184], v[86:87], v[172:173]
	v_mul_f64 v[185:186], v[84:85], v[172:173]
	s_waitcnt lgkmcnt(11)
	v_mul_f64 v[187:188], v[90:91], v[172:173]
	v_mul_f64 v[189:190], v[88:89], v[172:173]
	s_waitcnt lgkmcnt(10)
	v_mul_f64 v[191:192], v[94:95], v[172:173]
	v_mul_f64 v[193:194], v[92:93], v[172:173]
	s_waitcnt lgkmcnt(9)
	v_mul_f64 v[195:196], v[98:99], v[172:173]
	v_mul_f64 v[197:198], v[96:97], v[172:173]
	s_waitcnt lgkmcnt(8)
	v_mul_f64 v[199:200], v[102:103], v[172:173]
	v_mul_f64 v[201:202], v[100:101], v[172:173]
	s_waitcnt lgkmcnt(7)
	v_mul_f64 v[203:204], v[106:107], v[172:173]
	v_mul_f64 v[205:206], v[104:105], v[172:173]
	s_waitcnt lgkmcnt(6)
	v_mul_f64 v[207:208], v[110:111], v[172:173]
	v_mul_f64 v[209:210], v[108:109], v[172:173]
	s_waitcnt lgkmcnt(5)
	v_mul_f64 v[211:212], v[114:115], v[172:173]
	v_mul_f64 v[213:214], v[112:113], v[172:173]
	s_waitcnt lgkmcnt(4)
	v_mul_f64 v[215:216], v[118:119], v[172:173]
	v_mul_f64 v[217:218], v[116:117], v[172:173]
	s_waitcnt lgkmcnt(3)
	v_mul_f64 v[219:220], v[122:123], v[172:173]
	v_mul_f64 v[221:222], v[120:121], v[172:173]
	s_waitcnt lgkmcnt(2)
	v_mul_f64 v[223:224], v[126:127], v[172:173]
	v_mul_f64 v[225:226], v[124:125], v[172:173]
	s_waitcnt lgkmcnt(1)
	v_mul_f64 v[227:228], v[130:131], v[172:173]
	v_mul_f64 v[229:230], v[128:129], v[172:173]
	s_waitcnt lgkmcnt(0)
	v_mul_f64 v[231:232], v[134:135], v[172:173]
	v_mul_f64 v[233:234], v[132:133], v[172:173]
	v_fma_f64 v[62:63], v[76:77], v[60:61], -v[62:63]
	v_fma_f64 v[76:77], v[78:79], v[60:61], v[177:178]
	v_fma_f64 v[78:79], v[80:81], v[60:61], -v[179:180]
	v_fma_f64 v[80:81], v[82:83], v[60:61], v[181:182]
	v_fma_f64 v[82:83], v[84:85], v[60:61], -v[183:184]
	v_fma_f64 v[84:85], v[86:87], v[60:61], v[185:186]
	v_fma_f64 v[86:87], v[88:89], v[60:61], -v[187:188]
	v_fma_f64 v[88:89], v[90:91], v[60:61], v[189:190]
	v_fma_f64 v[90:91], v[92:93], v[60:61], -v[191:192]
	v_fma_f64 v[92:93], v[94:95], v[60:61], v[193:194]
	v_fma_f64 v[94:95], v[96:97], v[60:61], -v[195:196]
	v_fma_f64 v[96:97], v[98:99], v[60:61], v[197:198]
	v_fma_f64 v[98:99], v[100:101], v[60:61], -v[199:200]
	v_fma_f64 v[100:101], v[102:103], v[60:61], v[201:202]
	v_fma_f64 v[102:103], v[104:105], v[60:61], -v[203:204]
	v_fma_f64 v[104:105], v[106:107], v[60:61], v[205:206]
	v_fma_f64 v[106:107], v[108:109], v[60:61], -v[207:208]
	v_fma_f64 v[108:109], v[110:111], v[60:61], v[209:210]
	v_fma_f64 v[110:111], v[112:113], v[60:61], -v[211:212]
	v_fma_f64 v[112:113], v[114:115], v[60:61], v[213:214]
	v_fma_f64 v[114:115], v[116:117], v[60:61], -v[215:216]
	v_fma_f64 v[116:117], v[118:119], v[60:61], v[217:218]
	v_fma_f64 v[118:119], v[120:121], v[60:61], -v[219:220]
	v_fma_f64 v[120:121], v[122:123], v[60:61], v[221:222]
	v_fma_f64 v[122:123], v[124:125], v[60:61], -v[223:224]
	v_fma_f64 v[124:125], v[126:127], v[60:61], v[225:226]
	v_fma_f64 v[126:127], v[128:129], v[60:61], -v[227:228]
	v_fma_f64 v[128:129], v[130:131], v[60:61], v[229:230]
	v_fma_f64 v[130:131], v[132:133], v[60:61], -v[231:232]
	v_fma_f64 v[132:133], v[134:135], v[60:61], v[233:234]
	v_add_f64 v[56:57], v[56:57], -v[62:63]
	v_add_f64 v[58:59], v[58:59], -v[76:77]
	;; [unrolled: 1-line block ×30, first 2 shown]
	v_dual_mov_b32 v62, v172 :: v_dual_mov_b32 v63, v173
.LBB33_19:
	s_or_b32 exec_lo, exec_lo, s3
	s_delay_alu instid0(SALU_CYCLE_1)
	s_mov_b32 s4, exec_lo
	s_waitcnt lgkmcnt(0)
	s_barrier
	buffer_gl0_inv
	v_cmpx_eq_u32_e32 2, v174
	s_cbranch_execz .LBB33_26
; %bb.20:
	ds_store_2addr_b64 v175, v[56:57], v[58:59] offset1:1
	ds_store_2addr_b64 v176, v[52:53], v[54:55] offset0:6 offset1:7
	ds_store_2addr_b64 v176, v[48:49], v[50:51] offset0:8 offset1:9
	;; [unrolled: 1-line block ×14, first 2 shown]
	ds_load_2addr_b64 v[76:79], v175 offset1:1
	s_waitcnt lgkmcnt(0)
	v_cmp_neq_f64_e32 vcc_lo, 0, v[76:77]
	v_cmp_neq_f64_e64 s3, 0, v[78:79]
	s_delay_alu instid0(VALU_DEP_1) | instskip(NEXT) | instid1(SALU_CYCLE_1)
	s_or_b32 s3, vcc_lo, s3
	s_and_b32 exec_lo, exec_lo, s3
	s_cbranch_execz .LBB33_26
; %bb.21:
	v_cmp_gt_f64_e32 vcc_lo, 0, v[76:77]
	v_cmp_gt_f64_e64 s3, 0, v[78:79]
	v_xor_b32_e32 v80, 0x80000000, v77
	v_xor_b32_e32 v82, 0x80000000, v79
                                        ; implicit-def: $vgpr84_vgpr85
	s_delay_alu instid0(VALU_DEP_2) | instskip(NEXT) | instid1(VALU_DEP_2)
	v_cndmask_b32_e32 v81, v77, v80, vcc_lo
	v_cndmask_b32_e64 v83, v79, v82, s3
	v_cndmask_b32_e32 v80, v76, v76, vcc_lo
	v_cndmask_b32_e64 v82, v78, v78, s3
	s_mov_b32 s3, exec_lo
	s_delay_alu instid0(VALU_DEP_1)
	v_cmpx_ngt_f64_e32 v[80:81], v[82:83]
	s_xor_b32 s3, exec_lo, s3
                                        ; implicit-def: $vgpr80_vgpr81_vgpr82_vgpr83
	s_cbranch_execz .LBB33_23
; %bb.22:
	v_div_scale_f64 v[80:81], null, v[78:79], v[78:79], v[76:77]
	v_div_scale_f64 v[86:87], vcc_lo, v[76:77], v[78:79], v[76:77]
	s_delay_alu instid0(VALU_DEP_2) | instskip(SKIP_2) | instid1(VALU_DEP_1)
	v_rcp_f64_e32 v[82:83], v[80:81]
	s_waitcnt_depctr 0xfff
	v_fma_f64 v[84:85], -v[80:81], v[82:83], 1.0
	v_fma_f64 v[82:83], v[82:83], v[84:85], v[82:83]
	s_delay_alu instid0(VALU_DEP_1) | instskip(NEXT) | instid1(VALU_DEP_1)
	v_fma_f64 v[84:85], -v[80:81], v[82:83], 1.0
	v_fma_f64 v[82:83], v[82:83], v[84:85], v[82:83]
	s_delay_alu instid0(VALU_DEP_1) | instskip(NEXT) | instid1(VALU_DEP_1)
	v_mul_f64 v[84:85], v[86:87], v[82:83]
	v_fma_f64 v[80:81], -v[80:81], v[84:85], v[86:87]
	s_delay_alu instid0(VALU_DEP_1) | instskip(NEXT) | instid1(VALU_DEP_1)
	v_div_fmas_f64 v[80:81], v[80:81], v[82:83], v[84:85]
	v_div_fixup_f64 v[80:81], v[80:81], v[78:79], v[76:77]
	s_delay_alu instid0(VALU_DEP_1) | instskip(NEXT) | instid1(VALU_DEP_1)
	v_fma_f64 v[76:77], v[76:77], v[80:81], v[78:79]
	v_div_scale_f64 v[78:79], null, v[76:77], v[76:77], 1.0
	s_delay_alu instid0(VALU_DEP_1) | instskip(SKIP_2) | instid1(VALU_DEP_1)
	v_rcp_f64_e32 v[82:83], v[78:79]
	s_waitcnt_depctr 0xfff
	v_fma_f64 v[84:85], -v[78:79], v[82:83], 1.0
	v_fma_f64 v[82:83], v[82:83], v[84:85], v[82:83]
	s_delay_alu instid0(VALU_DEP_1) | instskip(NEXT) | instid1(VALU_DEP_1)
	v_fma_f64 v[84:85], -v[78:79], v[82:83], 1.0
	v_fma_f64 v[82:83], v[82:83], v[84:85], v[82:83]
	v_div_scale_f64 v[84:85], vcc_lo, 1.0, v[76:77], 1.0
	s_delay_alu instid0(VALU_DEP_1) | instskip(NEXT) | instid1(VALU_DEP_1)
	v_mul_f64 v[86:87], v[84:85], v[82:83]
	v_fma_f64 v[78:79], -v[78:79], v[86:87], v[84:85]
	s_delay_alu instid0(VALU_DEP_1) | instskip(NEXT) | instid1(VALU_DEP_1)
	v_div_fmas_f64 v[78:79], v[78:79], v[82:83], v[86:87]
	v_div_fixup_f64 v[82:83], v[78:79], v[76:77], 1.0
                                        ; implicit-def: $vgpr76_vgpr77
	s_delay_alu instid0(VALU_DEP_1)
	v_mul_f64 v[84:85], v[80:81], v[82:83]
	v_xor_b32_e32 v83, 0x80000000, v83
.LBB33_23:
	s_and_not1_saveexec_b32 s3, s3
	s_cbranch_execz .LBB33_25
; %bb.24:
	v_div_scale_f64 v[80:81], null, v[76:77], v[76:77], v[78:79]
	v_div_scale_f64 v[86:87], vcc_lo, v[78:79], v[76:77], v[78:79]
	s_delay_alu instid0(VALU_DEP_2) | instskip(SKIP_2) | instid1(VALU_DEP_1)
	v_rcp_f64_e32 v[82:83], v[80:81]
	s_waitcnt_depctr 0xfff
	v_fma_f64 v[84:85], -v[80:81], v[82:83], 1.0
	v_fma_f64 v[82:83], v[82:83], v[84:85], v[82:83]
	s_delay_alu instid0(VALU_DEP_1) | instskip(NEXT) | instid1(VALU_DEP_1)
	v_fma_f64 v[84:85], -v[80:81], v[82:83], 1.0
	v_fma_f64 v[82:83], v[82:83], v[84:85], v[82:83]
	s_delay_alu instid0(VALU_DEP_1) | instskip(NEXT) | instid1(VALU_DEP_1)
	v_mul_f64 v[84:85], v[86:87], v[82:83]
	v_fma_f64 v[80:81], -v[80:81], v[84:85], v[86:87]
	s_delay_alu instid0(VALU_DEP_1) | instskip(NEXT) | instid1(VALU_DEP_1)
	v_div_fmas_f64 v[80:81], v[80:81], v[82:83], v[84:85]
	v_div_fixup_f64 v[80:81], v[80:81], v[76:77], v[78:79]
	s_delay_alu instid0(VALU_DEP_1) | instskip(NEXT) | instid1(VALU_DEP_1)
	v_fma_f64 v[76:77], v[78:79], v[80:81], v[76:77]
	v_div_scale_f64 v[78:79], null, v[76:77], v[76:77], 1.0
	s_delay_alu instid0(VALU_DEP_1) | instskip(SKIP_2) | instid1(VALU_DEP_1)
	v_rcp_f64_e32 v[82:83], v[78:79]
	s_waitcnt_depctr 0xfff
	v_fma_f64 v[84:85], -v[78:79], v[82:83], 1.0
	v_fma_f64 v[82:83], v[82:83], v[84:85], v[82:83]
	s_delay_alu instid0(VALU_DEP_1) | instskip(NEXT) | instid1(VALU_DEP_1)
	v_fma_f64 v[84:85], -v[78:79], v[82:83], 1.0
	v_fma_f64 v[82:83], v[82:83], v[84:85], v[82:83]
	v_div_scale_f64 v[84:85], vcc_lo, 1.0, v[76:77], 1.0
	s_delay_alu instid0(VALU_DEP_1) | instskip(NEXT) | instid1(VALU_DEP_1)
	v_mul_f64 v[86:87], v[84:85], v[82:83]
	v_fma_f64 v[78:79], -v[78:79], v[86:87], v[84:85]
	s_delay_alu instid0(VALU_DEP_1) | instskip(NEXT) | instid1(VALU_DEP_1)
	v_div_fmas_f64 v[78:79], v[78:79], v[82:83], v[86:87]
	v_div_fixup_f64 v[84:85], v[78:79], v[76:77], 1.0
	s_delay_alu instid0(VALU_DEP_1)
	v_mul_f64 v[82:83], v[80:81], -v[84:85]
.LBB33_25:
	s_or_b32 exec_lo, exec_lo, s3
	ds_store_2addr_b64 v175, v[84:85], v[82:83] offset1:1
.LBB33_26:
	s_or_b32 exec_lo, exec_lo, s4
	s_waitcnt lgkmcnt(0)
	s_barrier
	buffer_gl0_inv
	ds_load_2addr_b64 v[76:79], v175 offset1:1
	s_mov_b32 s3, exec_lo
	v_cmpx_lt_u32_e32 2, v174
	s_cbranch_execz .LBB33_28
; %bb.27:
	s_waitcnt lgkmcnt(0)
	v_mul_f64 v[80:81], v[76:77], v[58:59]
	v_mul_f64 v[58:59], v[78:79], v[58:59]
	s_delay_alu instid0(VALU_DEP_2)
	v_fma_f64 v[172:173], v[78:79], v[56:57], v[80:81]
	ds_load_2addr_b64 v[80:83], v176 offset0:6 offset1:7
	ds_load_2addr_b64 v[84:87], v176 offset0:8 offset1:9
	;; [unrolled: 1-line block ×14, first 2 shown]
	v_fma_f64 v[56:57], v[76:77], v[56:57], -v[58:59]
	s_waitcnt lgkmcnt(13)
	v_mul_f64 v[58:59], v[82:83], v[172:173]
	v_mul_f64 v[177:178], v[80:81], v[172:173]
	s_waitcnt lgkmcnt(12)
	v_mul_f64 v[179:180], v[86:87], v[172:173]
	v_mul_f64 v[181:182], v[84:85], v[172:173]
	;; [unrolled: 3-line block ×14, first 2 shown]
	v_fma_f64 v[58:59], v[80:81], v[56:57], -v[58:59]
	v_fma_f64 v[80:81], v[82:83], v[56:57], v[177:178]
	v_fma_f64 v[82:83], v[84:85], v[56:57], -v[179:180]
	v_fma_f64 v[84:85], v[86:87], v[56:57], v[181:182]
	;; [unrolled: 2-line block ×14, first 2 shown]
	v_add_f64 v[52:53], v[52:53], -v[58:59]
	v_add_f64 v[54:55], v[54:55], -v[80:81]
	;; [unrolled: 1-line block ×28, first 2 shown]
	v_dual_mov_b32 v58, v172 :: v_dual_mov_b32 v59, v173
.LBB33_28:
	s_or_b32 exec_lo, exec_lo, s3
	s_delay_alu instid0(SALU_CYCLE_1)
	s_mov_b32 s4, exec_lo
	s_waitcnt lgkmcnt(0)
	s_barrier
	buffer_gl0_inv
	v_cmpx_eq_u32_e32 3, v174
	s_cbranch_execz .LBB33_35
; %bb.29:
	ds_store_2addr_b64 v175, v[52:53], v[54:55] offset1:1
	ds_store_2addr_b64 v176, v[48:49], v[50:51] offset0:8 offset1:9
	ds_store_2addr_b64 v176, v[44:45], v[46:47] offset0:10 offset1:11
	ds_store_2addr_b64 v176, v[40:41], v[42:43] offset0:12 offset1:13
	ds_store_2addr_b64 v176, v[36:37], v[38:39] offset0:14 offset1:15
	ds_store_2addr_b64 v176, v[32:33], v[34:35] offset0:16 offset1:17
	ds_store_2addr_b64 v176, v[28:29], v[30:31] offset0:18 offset1:19
	ds_store_2addr_b64 v176, v[24:25], v[26:27] offset0:20 offset1:21
	ds_store_2addr_b64 v176, v[20:21], v[22:23] offset0:22 offset1:23
	ds_store_2addr_b64 v176, v[16:17], v[18:19] offset0:24 offset1:25
	ds_store_2addr_b64 v176, v[12:13], v[14:15] offset0:26 offset1:27
	ds_store_2addr_b64 v176, v[8:9], v[10:11] offset0:28 offset1:29
	ds_store_2addr_b64 v176, v[4:5], v[6:7] offset0:30 offset1:31
	ds_store_2addr_b64 v176, v[0:1], v[2:3] offset0:32 offset1:33
	ds_load_2addr_b64 v[80:83], v175 offset1:1
	s_waitcnt lgkmcnt(0)
	v_cmp_neq_f64_e32 vcc_lo, 0, v[80:81]
	v_cmp_neq_f64_e64 s3, 0, v[82:83]
	s_delay_alu instid0(VALU_DEP_1) | instskip(NEXT) | instid1(SALU_CYCLE_1)
	s_or_b32 s3, vcc_lo, s3
	s_and_b32 exec_lo, exec_lo, s3
	s_cbranch_execz .LBB33_35
; %bb.30:
	v_cmp_gt_f64_e32 vcc_lo, 0, v[80:81]
	v_cmp_gt_f64_e64 s3, 0, v[82:83]
	v_xor_b32_e32 v84, 0x80000000, v81
	v_xor_b32_e32 v86, 0x80000000, v83
                                        ; implicit-def: $vgpr88_vgpr89
	s_delay_alu instid0(VALU_DEP_2) | instskip(NEXT) | instid1(VALU_DEP_2)
	v_cndmask_b32_e32 v85, v81, v84, vcc_lo
	v_cndmask_b32_e64 v87, v83, v86, s3
	v_cndmask_b32_e32 v84, v80, v80, vcc_lo
	v_cndmask_b32_e64 v86, v82, v82, s3
	s_mov_b32 s3, exec_lo
	s_delay_alu instid0(VALU_DEP_1)
	v_cmpx_ngt_f64_e32 v[84:85], v[86:87]
	s_xor_b32 s3, exec_lo, s3
                                        ; implicit-def: $vgpr84_vgpr85_vgpr86_vgpr87
	s_cbranch_execz .LBB33_32
; %bb.31:
	v_div_scale_f64 v[84:85], null, v[82:83], v[82:83], v[80:81]
	v_div_scale_f64 v[90:91], vcc_lo, v[80:81], v[82:83], v[80:81]
	s_delay_alu instid0(VALU_DEP_2) | instskip(SKIP_2) | instid1(VALU_DEP_1)
	v_rcp_f64_e32 v[86:87], v[84:85]
	s_waitcnt_depctr 0xfff
	v_fma_f64 v[88:89], -v[84:85], v[86:87], 1.0
	v_fma_f64 v[86:87], v[86:87], v[88:89], v[86:87]
	s_delay_alu instid0(VALU_DEP_1) | instskip(NEXT) | instid1(VALU_DEP_1)
	v_fma_f64 v[88:89], -v[84:85], v[86:87], 1.0
	v_fma_f64 v[86:87], v[86:87], v[88:89], v[86:87]
	s_delay_alu instid0(VALU_DEP_1) | instskip(NEXT) | instid1(VALU_DEP_1)
	v_mul_f64 v[88:89], v[90:91], v[86:87]
	v_fma_f64 v[84:85], -v[84:85], v[88:89], v[90:91]
	s_delay_alu instid0(VALU_DEP_1) | instskip(NEXT) | instid1(VALU_DEP_1)
	v_div_fmas_f64 v[84:85], v[84:85], v[86:87], v[88:89]
	v_div_fixup_f64 v[84:85], v[84:85], v[82:83], v[80:81]
	s_delay_alu instid0(VALU_DEP_1) | instskip(NEXT) | instid1(VALU_DEP_1)
	v_fma_f64 v[80:81], v[80:81], v[84:85], v[82:83]
	v_div_scale_f64 v[82:83], null, v[80:81], v[80:81], 1.0
	s_delay_alu instid0(VALU_DEP_1) | instskip(SKIP_2) | instid1(VALU_DEP_1)
	v_rcp_f64_e32 v[86:87], v[82:83]
	s_waitcnt_depctr 0xfff
	v_fma_f64 v[88:89], -v[82:83], v[86:87], 1.0
	v_fma_f64 v[86:87], v[86:87], v[88:89], v[86:87]
	s_delay_alu instid0(VALU_DEP_1) | instskip(NEXT) | instid1(VALU_DEP_1)
	v_fma_f64 v[88:89], -v[82:83], v[86:87], 1.0
	v_fma_f64 v[86:87], v[86:87], v[88:89], v[86:87]
	v_div_scale_f64 v[88:89], vcc_lo, 1.0, v[80:81], 1.0
	s_delay_alu instid0(VALU_DEP_1) | instskip(NEXT) | instid1(VALU_DEP_1)
	v_mul_f64 v[90:91], v[88:89], v[86:87]
	v_fma_f64 v[82:83], -v[82:83], v[90:91], v[88:89]
	s_delay_alu instid0(VALU_DEP_1) | instskip(NEXT) | instid1(VALU_DEP_1)
	v_div_fmas_f64 v[82:83], v[82:83], v[86:87], v[90:91]
	v_div_fixup_f64 v[86:87], v[82:83], v[80:81], 1.0
                                        ; implicit-def: $vgpr80_vgpr81
	s_delay_alu instid0(VALU_DEP_1)
	v_mul_f64 v[88:89], v[84:85], v[86:87]
	v_xor_b32_e32 v87, 0x80000000, v87
.LBB33_32:
	s_and_not1_saveexec_b32 s3, s3
	s_cbranch_execz .LBB33_34
; %bb.33:
	v_div_scale_f64 v[84:85], null, v[80:81], v[80:81], v[82:83]
	v_div_scale_f64 v[90:91], vcc_lo, v[82:83], v[80:81], v[82:83]
	s_delay_alu instid0(VALU_DEP_2) | instskip(SKIP_2) | instid1(VALU_DEP_1)
	v_rcp_f64_e32 v[86:87], v[84:85]
	s_waitcnt_depctr 0xfff
	v_fma_f64 v[88:89], -v[84:85], v[86:87], 1.0
	v_fma_f64 v[86:87], v[86:87], v[88:89], v[86:87]
	s_delay_alu instid0(VALU_DEP_1) | instskip(NEXT) | instid1(VALU_DEP_1)
	v_fma_f64 v[88:89], -v[84:85], v[86:87], 1.0
	v_fma_f64 v[86:87], v[86:87], v[88:89], v[86:87]
	s_delay_alu instid0(VALU_DEP_1) | instskip(NEXT) | instid1(VALU_DEP_1)
	v_mul_f64 v[88:89], v[90:91], v[86:87]
	v_fma_f64 v[84:85], -v[84:85], v[88:89], v[90:91]
	s_delay_alu instid0(VALU_DEP_1) | instskip(NEXT) | instid1(VALU_DEP_1)
	v_div_fmas_f64 v[84:85], v[84:85], v[86:87], v[88:89]
	v_div_fixup_f64 v[84:85], v[84:85], v[80:81], v[82:83]
	s_delay_alu instid0(VALU_DEP_1) | instskip(NEXT) | instid1(VALU_DEP_1)
	v_fma_f64 v[80:81], v[82:83], v[84:85], v[80:81]
	v_div_scale_f64 v[82:83], null, v[80:81], v[80:81], 1.0
	s_delay_alu instid0(VALU_DEP_1) | instskip(SKIP_2) | instid1(VALU_DEP_1)
	v_rcp_f64_e32 v[86:87], v[82:83]
	s_waitcnt_depctr 0xfff
	v_fma_f64 v[88:89], -v[82:83], v[86:87], 1.0
	v_fma_f64 v[86:87], v[86:87], v[88:89], v[86:87]
	s_delay_alu instid0(VALU_DEP_1) | instskip(NEXT) | instid1(VALU_DEP_1)
	v_fma_f64 v[88:89], -v[82:83], v[86:87], 1.0
	v_fma_f64 v[86:87], v[86:87], v[88:89], v[86:87]
	v_div_scale_f64 v[88:89], vcc_lo, 1.0, v[80:81], 1.0
	s_delay_alu instid0(VALU_DEP_1) | instskip(NEXT) | instid1(VALU_DEP_1)
	v_mul_f64 v[90:91], v[88:89], v[86:87]
	v_fma_f64 v[82:83], -v[82:83], v[90:91], v[88:89]
	s_delay_alu instid0(VALU_DEP_1) | instskip(NEXT) | instid1(VALU_DEP_1)
	v_div_fmas_f64 v[82:83], v[82:83], v[86:87], v[90:91]
	v_div_fixup_f64 v[88:89], v[82:83], v[80:81], 1.0
	s_delay_alu instid0(VALU_DEP_1)
	v_mul_f64 v[86:87], v[84:85], -v[88:89]
.LBB33_34:
	s_or_b32 exec_lo, exec_lo, s3
	ds_store_2addr_b64 v175, v[88:89], v[86:87] offset1:1
.LBB33_35:
	s_or_b32 exec_lo, exec_lo, s4
	s_waitcnt lgkmcnt(0)
	s_barrier
	buffer_gl0_inv
	ds_load_2addr_b64 v[80:83], v175 offset1:1
	s_mov_b32 s3, exec_lo
	v_cmpx_lt_u32_e32 3, v174
	s_cbranch_execz .LBB33_37
; %bb.36:
	s_waitcnt lgkmcnt(0)
	v_mul_f64 v[84:85], v[80:81], v[54:55]
	v_mul_f64 v[54:55], v[82:83], v[54:55]
	s_delay_alu instid0(VALU_DEP_2)
	v_fma_f64 v[172:173], v[82:83], v[52:53], v[84:85]
	ds_load_2addr_b64 v[84:87], v176 offset0:8 offset1:9
	ds_load_2addr_b64 v[88:91], v176 offset0:10 offset1:11
	;; [unrolled: 1-line block ×13, first 2 shown]
	v_fma_f64 v[52:53], v[80:81], v[52:53], -v[54:55]
	s_waitcnt lgkmcnt(12)
	v_mul_f64 v[54:55], v[86:87], v[172:173]
	v_mul_f64 v[177:178], v[84:85], v[172:173]
	s_waitcnt lgkmcnt(11)
	v_mul_f64 v[179:180], v[90:91], v[172:173]
	v_mul_f64 v[181:182], v[88:89], v[172:173]
	;; [unrolled: 3-line block ×13, first 2 shown]
	v_fma_f64 v[54:55], v[84:85], v[52:53], -v[54:55]
	v_fma_f64 v[84:85], v[86:87], v[52:53], v[177:178]
	v_fma_f64 v[86:87], v[88:89], v[52:53], -v[179:180]
	v_fma_f64 v[88:89], v[90:91], v[52:53], v[181:182]
	;; [unrolled: 2-line block ×13, first 2 shown]
	v_add_f64 v[48:49], v[48:49], -v[54:55]
	v_add_f64 v[50:51], v[50:51], -v[84:85]
	;; [unrolled: 1-line block ×26, first 2 shown]
	v_dual_mov_b32 v54, v172 :: v_dual_mov_b32 v55, v173
.LBB33_37:
	s_or_b32 exec_lo, exec_lo, s3
	s_delay_alu instid0(SALU_CYCLE_1)
	s_mov_b32 s4, exec_lo
	s_waitcnt lgkmcnt(0)
	s_barrier
	buffer_gl0_inv
	v_cmpx_eq_u32_e32 4, v174
	s_cbranch_execz .LBB33_44
; %bb.38:
	ds_store_2addr_b64 v175, v[48:49], v[50:51] offset1:1
	ds_store_2addr_b64 v176, v[44:45], v[46:47] offset0:10 offset1:11
	ds_store_2addr_b64 v176, v[40:41], v[42:43] offset0:12 offset1:13
	;; [unrolled: 1-line block ×12, first 2 shown]
	ds_load_2addr_b64 v[84:87], v175 offset1:1
	s_waitcnt lgkmcnt(0)
	v_cmp_neq_f64_e32 vcc_lo, 0, v[84:85]
	v_cmp_neq_f64_e64 s3, 0, v[86:87]
	s_delay_alu instid0(VALU_DEP_1) | instskip(NEXT) | instid1(SALU_CYCLE_1)
	s_or_b32 s3, vcc_lo, s3
	s_and_b32 exec_lo, exec_lo, s3
	s_cbranch_execz .LBB33_44
; %bb.39:
	v_cmp_gt_f64_e32 vcc_lo, 0, v[84:85]
	v_cmp_gt_f64_e64 s3, 0, v[86:87]
	v_xor_b32_e32 v88, 0x80000000, v85
	v_xor_b32_e32 v90, 0x80000000, v87
                                        ; implicit-def: $vgpr92_vgpr93
	s_delay_alu instid0(VALU_DEP_2) | instskip(NEXT) | instid1(VALU_DEP_2)
	v_cndmask_b32_e32 v89, v85, v88, vcc_lo
	v_cndmask_b32_e64 v91, v87, v90, s3
	v_cndmask_b32_e32 v88, v84, v84, vcc_lo
	v_cndmask_b32_e64 v90, v86, v86, s3
	s_mov_b32 s3, exec_lo
	s_delay_alu instid0(VALU_DEP_1)
	v_cmpx_ngt_f64_e32 v[88:89], v[90:91]
	s_xor_b32 s3, exec_lo, s3
                                        ; implicit-def: $vgpr88_vgpr89_vgpr90_vgpr91
	s_cbranch_execz .LBB33_41
; %bb.40:
	v_div_scale_f64 v[88:89], null, v[86:87], v[86:87], v[84:85]
	v_div_scale_f64 v[94:95], vcc_lo, v[84:85], v[86:87], v[84:85]
	s_delay_alu instid0(VALU_DEP_2) | instskip(SKIP_2) | instid1(VALU_DEP_1)
	v_rcp_f64_e32 v[90:91], v[88:89]
	s_waitcnt_depctr 0xfff
	v_fma_f64 v[92:93], -v[88:89], v[90:91], 1.0
	v_fma_f64 v[90:91], v[90:91], v[92:93], v[90:91]
	s_delay_alu instid0(VALU_DEP_1) | instskip(NEXT) | instid1(VALU_DEP_1)
	v_fma_f64 v[92:93], -v[88:89], v[90:91], 1.0
	v_fma_f64 v[90:91], v[90:91], v[92:93], v[90:91]
	s_delay_alu instid0(VALU_DEP_1) | instskip(NEXT) | instid1(VALU_DEP_1)
	v_mul_f64 v[92:93], v[94:95], v[90:91]
	v_fma_f64 v[88:89], -v[88:89], v[92:93], v[94:95]
	s_delay_alu instid0(VALU_DEP_1) | instskip(NEXT) | instid1(VALU_DEP_1)
	v_div_fmas_f64 v[88:89], v[88:89], v[90:91], v[92:93]
	v_div_fixup_f64 v[88:89], v[88:89], v[86:87], v[84:85]
	s_delay_alu instid0(VALU_DEP_1) | instskip(NEXT) | instid1(VALU_DEP_1)
	v_fma_f64 v[84:85], v[84:85], v[88:89], v[86:87]
	v_div_scale_f64 v[86:87], null, v[84:85], v[84:85], 1.0
	s_delay_alu instid0(VALU_DEP_1) | instskip(SKIP_2) | instid1(VALU_DEP_1)
	v_rcp_f64_e32 v[90:91], v[86:87]
	s_waitcnt_depctr 0xfff
	v_fma_f64 v[92:93], -v[86:87], v[90:91], 1.0
	v_fma_f64 v[90:91], v[90:91], v[92:93], v[90:91]
	s_delay_alu instid0(VALU_DEP_1) | instskip(NEXT) | instid1(VALU_DEP_1)
	v_fma_f64 v[92:93], -v[86:87], v[90:91], 1.0
	v_fma_f64 v[90:91], v[90:91], v[92:93], v[90:91]
	v_div_scale_f64 v[92:93], vcc_lo, 1.0, v[84:85], 1.0
	s_delay_alu instid0(VALU_DEP_1) | instskip(NEXT) | instid1(VALU_DEP_1)
	v_mul_f64 v[94:95], v[92:93], v[90:91]
	v_fma_f64 v[86:87], -v[86:87], v[94:95], v[92:93]
	s_delay_alu instid0(VALU_DEP_1) | instskip(NEXT) | instid1(VALU_DEP_1)
	v_div_fmas_f64 v[86:87], v[86:87], v[90:91], v[94:95]
	v_div_fixup_f64 v[90:91], v[86:87], v[84:85], 1.0
                                        ; implicit-def: $vgpr84_vgpr85
	s_delay_alu instid0(VALU_DEP_1)
	v_mul_f64 v[92:93], v[88:89], v[90:91]
	v_xor_b32_e32 v91, 0x80000000, v91
.LBB33_41:
	s_and_not1_saveexec_b32 s3, s3
	s_cbranch_execz .LBB33_43
; %bb.42:
	v_div_scale_f64 v[88:89], null, v[84:85], v[84:85], v[86:87]
	v_div_scale_f64 v[94:95], vcc_lo, v[86:87], v[84:85], v[86:87]
	s_delay_alu instid0(VALU_DEP_2) | instskip(SKIP_2) | instid1(VALU_DEP_1)
	v_rcp_f64_e32 v[90:91], v[88:89]
	s_waitcnt_depctr 0xfff
	v_fma_f64 v[92:93], -v[88:89], v[90:91], 1.0
	v_fma_f64 v[90:91], v[90:91], v[92:93], v[90:91]
	s_delay_alu instid0(VALU_DEP_1) | instskip(NEXT) | instid1(VALU_DEP_1)
	v_fma_f64 v[92:93], -v[88:89], v[90:91], 1.0
	v_fma_f64 v[90:91], v[90:91], v[92:93], v[90:91]
	s_delay_alu instid0(VALU_DEP_1) | instskip(NEXT) | instid1(VALU_DEP_1)
	v_mul_f64 v[92:93], v[94:95], v[90:91]
	v_fma_f64 v[88:89], -v[88:89], v[92:93], v[94:95]
	s_delay_alu instid0(VALU_DEP_1) | instskip(NEXT) | instid1(VALU_DEP_1)
	v_div_fmas_f64 v[88:89], v[88:89], v[90:91], v[92:93]
	v_div_fixup_f64 v[88:89], v[88:89], v[84:85], v[86:87]
	s_delay_alu instid0(VALU_DEP_1) | instskip(NEXT) | instid1(VALU_DEP_1)
	v_fma_f64 v[84:85], v[86:87], v[88:89], v[84:85]
	v_div_scale_f64 v[86:87], null, v[84:85], v[84:85], 1.0
	s_delay_alu instid0(VALU_DEP_1) | instskip(SKIP_2) | instid1(VALU_DEP_1)
	v_rcp_f64_e32 v[90:91], v[86:87]
	s_waitcnt_depctr 0xfff
	v_fma_f64 v[92:93], -v[86:87], v[90:91], 1.0
	v_fma_f64 v[90:91], v[90:91], v[92:93], v[90:91]
	s_delay_alu instid0(VALU_DEP_1) | instskip(NEXT) | instid1(VALU_DEP_1)
	v_fma_f64 v[92:93], -v[86:87], v[90:91], 1.0
	v_fma_f64 v[90:91], v[90:91], v[92:93], v[90:91]
	v_div_scale_f64 v[92:93], vcc_lo, 1.0, v[84:85], 1.0
	s_delay_alu instid0(VALU_DEP_1) | instskip(NEXT) | instid1(VALU_DEP_1)
	v_mul_f64 v[94:95], v[92:93], v[90:91]
	v_fma_f64 v[86:87], -v[86:87], v[94:95], v[92:93]
	s_delay_alu instid0(VALU_DEP_1) | instskip(NEXT) | instid1(VALU_DEP_1)
	v_div_fmas_f64 v[86:87], v[86:87], v[90:91], v[94:95]
	v_div_fixup_f64 v[92:93], v[86:87], v[84:85], 1.0
	s_delay_alu instid0(VALU_DEP_1)
	v_mul_f64 v[90:91], v[88:89], -v[92:93]
.LBB33_43:
	s_or_b32 exec_lo, exec_lo, s3
	ds_store_2addr_b64 v175, v[92:93], v[90:91] offset1:1
.LBB33_44:
	s_or_b32 exec_lo, exec_lo, s4
	s_waitcnt lgkmcnt(0)
	s_barrier
	buffer_gl0_inv
	ds_load_2addr_b64 v[84:87], v175 offset1:1
	s_mov_b32 s3, exec_lo
	v_cmpx_lt_u32_e32 4, v174
	s_cbranch_execz .LBB33_46
; %bb.45:
	s_waitcnt lgkmcnt(0)
	v_mul_f64 v[88:89], v[84:85], v[50:51]
	v_mul_f64 v[50:51], v[86:87], v[50:51]
	s_delay_alu instid0(VALU_DEP_2)
	v_fma_f64 v[172:173], v[86:87], v[48:49], v[88:89]
	ds_load_2addr_b64 v[88:91], v176 offset0:10 offset1:11
	ds_load_2addr_b64 v[92:95], v176 offset0:12 offset1:13
	;; [unrolled: 1-line block ×12, first 2 shown]
	v_fma_f64 v[48:49], v[84:85], v[48:49], -v[50:51]
	s_waitcnt lgkmcnt(11)
	v_mul_f64 v[50:51], v[90:91], v[172:173]
	v_mul_f64 v[177:178], v[88:89], v[172:173]
	s_waitcnt lgkmcnt(10)
	v_mul_f64 v[179:180], v[94:95], v[172:173]
	v_mul_f64 v[181:182], v[92:93], v[172:173]
	;; [unrolled: 3-line block ×12, first 2 shown]
	v_fma_f64 v[50:51], v[88:89], v[48:49], -v[50:51]
	v_fma_f64 v[88:89], v[90:91], v[48:49], v[177:178]
	v_fma_f64 v[90:91], v[92:93], v[48:49], -v[179:180]
	v_fma_f64 v[92:93], v[94:95], v[48:49], v[181:182]
	;; [unrolled: 2-line block ×12, first 2 shown]
	v_add_f64 v[44:45], v[44:45], -v[50:51]
	v_add_f64 v[46:47], v[46:47], -v[88:89]
	;; [unrolled: 1-line block ×24, first 2 shown]
	v_dual_mov_b32 v50, v172 :: v_dual_mov_b32 v51, v173
.LBB33_46:
	s_or_b32 exec_lo, exec_lo, s3
	s_delay_alu instid0(SALU_CYCLE_1)
	s_mov_b32 s4, exec_lo
	s_waitcnt lgkmcnt(0)
	s_barrier
	buffer_gl0_inv
	v_cmpx_eq_u32_e32 5, v174
	s_cbranch_execz .LBB33_53
; %bb.47:
	ds_store_2addr_b64 v175, v[44:45], v[46:47] offset1:1
	ds_store_2addr_b64 v176, v[40:41], v[42:43] offset0:12 offset1:13
	ds_store_2addr_b64 v176, v[36:37], v[38:39] offset0:14 offset1:15
	;; [unrolled: 1-line block ×11, first 2 shown]
	ds_load_2addr_b64 v[88:91], v175 offset1:1
	s_waitcnt lgkmcnt(0)
	v_cmp_neq_f64_e32 vcc_lo, 0, v[88:89]
	v_cmp_neq_f64_e64 s3, 0, v[90:91]
	s_delay_alu instid0(VALU_DEP_1) | instskip(NEXT) | instid1(SALU_CYCLE_1)
	s_or_b32 s3, vcc_lo, s3
	s_and_b32 exec_lo, exec_lo, s3
	s_cbranch_execz .LBB33_53
; %bb.48:
	v_cmp_gt_f64_e32 vcc_lo, 0, v[88:89]
	v_cmp_gt_f64_e64 s3, 0, v[90:91]
	v_xor_b32_e32 v92, 0x80000000, v89
	v_xor_b32_e32 v94, 0x80000000, v91
                                        ; implicit-def: $vgpr96_vgpr97
	s_delay_alu instid0(VALU_DEP_2) | instskip(NEXT) | instid1(VALU_DEP_2)
	v_cndmask_b32_e32 v93, v89, v92, vcc_lo
	v_cndmask_b32_e64 v95, v91, v94, s3
	v_cndmask_b32_e32 v92, v88, v88, vcc_lo
	v_cndmask_b32_e64 v94, v90, v90, s3
	s_mov_b32 s3, exec_lo
	s_delay_alu instid0(VALU_DEP_1)
	v_cmpx_ngt_f64_e32 v[92:93], v[94:95]
	s_xor_b32 s3, exec_lo, s3
                                        ; implicit-def: $vgpr92_vgpr93_vgpr94_vgpr95
	s_cbranch_execz .LBB33_50
; %bb.49:
	v_div_scale_f64 v[92:93], null, v[90:91], v[90:91], v[88:89]
	v_div_scale_f64 v[98:99], vcc_lo, v[88:89], v[90:91], v[88:89]
	s_delay_alu instid0(VALU_DEP_2) | instskip(SKIP_2) | instid1(VALU_DEP_1)
	v_rcp_f64_e32 v[94:95], v[92:93]
	s_waitcnt_depctr 0xfff
	v_fma_f64 v[96:97], -v[92:93], v[94:95], 1.0
	v_fma_f64 v[94:95], v[94:95], v[96:97], v[94:95]
	s_delay_alu instid0(VALU_DEP_1) | instskip(NEXT) | instid1(VALU_DEP_1)
	v_fma_f64 v[96:97], -v[92:93], v[94:95], 1.0
	v_fma_f64 v[94:95], v[94:95], v[96:97], v[94:95]
	s_delay_alu instid0(VALU_DEP_1) | instskip(NEXT) | instid1(VALU_DEP_1)
	v_mul_f64 v[96:97], v[98:99], v[94:95]
	v_fma_f64 v[92:93], -v[92:93], v[96:97], v[98:99]
	s_delay_alu instid0(VALU_DEP_1) | instskip(NEXT) | instid1(VALU_DEP_1)
	v_div_fmas_f64 v[92:93], v[92:93], v[94:95], v[96:97]
	v_div_fixup_f64 v[92:93], v[92:93], v[90:91], v[88:89]
	s_delay_alu instid0(VALU_DEP_1) | instskip(NEXT) | instid1(VALU_DEP_1)
	v_fma_f64 v[88:89], v[88:89], v[92:93], v[90:91]
	v_div_scale_f64 v[90:91], null, v[88:89], v[88:89], 1.0
	s_delay_alu instid0(VALU_DEP_1) | instskip(SKIP_2) | instid1(VALU_DEP_1)
	v_rcp_f64_e32 v[94:95], v[90:91]
	s_waitcnt_depctr 0xfff
	v_fma_f64 v[96:97], -v[90:91], v[94:95], 1.0
	v_fma_f64 v[94:95], v[94:95], v[96:97], v[94:95]
	s_delay_alu instid0(VALU_DEP_1) | instskip(NEXT) | instid1(VALU_DEP_1)
	v_fma_f64 v[96:97], -v[90:91], v[94:95], 1.0
	v_fma_f64 v[94:95], v[94:95], v[96:97], v[94:95]
	v_div_scale_f64 v[96:97], vcc_lo, 1.0, v[88:89], 1.0
	s_delay_alu instid0(VALU_DEP_1) | instskip(NEXT) | instid1(VALU_DEP_1)
	v_mul_f64 v[98:99], v[96:97], v[94:95]
	v_fma_f64 v[90:91], -v[90:91], v[98:99], v[96:97]
	s_delay_alu instid0(VALU_DEP_1) | instskip(NEXT) | instid1(VALU_DEP_1)
	v_div_fmas_f64 v[90:91], v[90:91], v[94:95], v[98:99]
	v_div_fixup_f64 v[94:95], v[90:91], v[88:89], 1.0
                                        ; implicit-def: $vgpr88_vgpr89
	s_delay_alu instid0(VALU_DEP_1)
	v_mul_f64 v[96:97], v[92:93], v[94:95]
	v_xor_b32_e32 v95, 0x80000000, v95
.LBB33_50:
	s_and_not1_saveexec_b32 s3, s3
	s_cbranch_execz .LBB33_52
; %bb.51:
	v_div_scale_f64 v[92:93], null, v[88:89], v[88:89], v[90:91]
	v_div_scale_f64 v[98:99], vcc_lo, v[90:91], v[88:89], v[90:91]
	s_delay_alu instid0(VALU_DEP_2) | instskip(SKIP_2) | instid1(VALU_DEP_1)
	v_rcp_f64_e32 v[94:95], v[92:93]
	s_waitcnt_depctr 0xfff
	v_fma_f64 v[96:97], -v[92:93], v[94:95], 1.0
	v_fma_f64 v[94:95], v[94:95], v[96:97], v[94:95]
	s_delay_alu instid0(VALU_DEP_1) | instskip(NEXT) | instid1(VALU_DEP_1)
	v_fma_f64 v[96:97], -v[92:93], v[94:95], 1.0
	v_fma_f64 v[94:95], v[94:95], v[96:97], v[94:95]
	s_delay_alu instid0(VALU_DEP_1) | instskip(NEXT) | instid1(VALU_DEP_1)
	v_mul_f64 v[96:97], v[98:99], v[94:95]
	v_fma_f64 v[92:93], -v[92:93], v[96:97], v[98:99]
	s_delay_alu instid0(VALU_DEP_1) | instskip(NEXT) | instid1(VALU_DEP_1)
	v_div_fmas_f64 v[92:93], v[92:93], v[94:95], v[96:97]
	v_div_fixup_f64 v[92:93], v[92:93], v[88:89], v[90:91]
	s_delay_alu instid0(VALU_DEP_1) | instskip(NEXT) | instid1(VALU_DEP_1)
	v_fma_f64 v[88:89], v[90:91], v[92:93], v[88:89]
	v_div_scale_f64 v[90:91], null, v[88:89], v[88:89], 1.0
	s_delay_alu instid0(VALU_DEP_1) | instskip(SKIP_2) | instid1(VALU_DEP_1)
	v_rcp_f64_e32 v[94:95], v[90:91]
	s_waitcnt_depctr 0xfff
	v_fma_f64 v[96:97], -v[90:91], v[94:95], 1.0
	v_fma_f64 v[94:95], v[94:95], v[96:97], v[94:95]
	s_delay_alu instid0(VALU_DEP_1) | instskip(NEXT) | instid1(VALU_DEP_1)
	v_fma_f64 v[96:97], -v[90:91], v[94:95], 1.0
	v_fma_f64 v[94:95], v[94:95], v[96:97], v[94:95]
	v_div_scale_f64 v[96:97], vcc_lo, 1.0, v[88:89], 1.0
	s_delay_alu instid0(VALU_DEP_1) | instskip(NEXT) | instid1(VALU_DEP_1)
	v_mul_f64 v[98:99], v[96:97], v[94:95]
	v_fma_f64 v[90:91], -v[90:91], v[98:99], v[96:97]
	s_delay_alu instid0(VALU_DEP_1) | instskip(NEXT) | instid1(VALU_DEP_1)
	v_div_fmas_f64 v[90:91], v[90:91], v[94:95], v[98:99]
	v_div_fixup_f64 v[96:97], v[90:91], v[88:89], 1.0
	s_delay_alu instid0(VALU_DEP_1)
	v_mul_f64 v[94:95], v[92:93], -v[96:97]
.LBB33_52:
	s_or_b32 exec_lo, exec_lo, s3
	ds_store_2addr_b64 v175, v[96:97], v[94:95] offset1:1
.LBB33_53:
	s_or_b32 exec_lo, exec_lo, s4
	s_waitcnt lgkmcnt(0)
	s_barrier
	buffer_gl0_inv
	ds_load_2addr_b64 v[88:91], v175 offset1:1
	s_mov_b32 s3, exec_lo
	v_cmpx_lt_u32_e32 5, v174
	s_cbranch_execz .LBB33_55
; %bb.54:
	s_waitcnt lgkmcnt(0)
	v_mul_f64 v[92:93], v[88:89], v[46:47]
	v_mul_f64 v[46:47], v[90:91], v[46:47]
	s_delay_alu instid0(VALU_DEP_2)
	v_fma_f64 v[172:173], v[90:91], v[44:45], v[92:93]
	ds_load_2addr_b64 v[92:95], v176 offset0:12 offset1:13
	ds_load_2addr_b64 v[96:99], v176 offset0:14 offset1:15
	;; [unrolled: 1-line block ×11, first 2 shown]
	v_fma_f64 v[44:45], v[88:89], v[44:45], -v[46:47]
	s_waitcnt lgkmcnt(10)
	v_mul_f64 v[46:47], v[94:95], v[172:173]
	v_mul_f64 v[177:178], v[92:93], v[172:173]
	s_waitcnt lgkmcnt(9)
	v_mul_f64 v[179:180], v[98:99], v[172:173]
	v_mul_f64 v[181:182], v[96:97], v[172:173]
	;; [unrolled: 3-line block ×11, first 2 shown]
	v_fma_f64 v[46:47], v[92:93], v[44:45], -v[46:47]
	v_fma_f64 v[92:93], v[94:95], v[44:45], v[177:178]
	v_fma_f64 v[94:95], v[96:97], v[44:45], -v[179:180]
	v_fma_f64 v[96:97], v[98:99], v[44:45], v[181:182]
	;; [unrolled: 2-line block ×11, first 2 shown]
	v_add_f64 v[40:41], v[40:41], -v[46:47]
	v_add_f64 v[42:43], v[42:43], -v[92:93]
	;; [unrolled: 1-line block ×22, first 2 shown]
	v_dual_mov_b32 v46, v172 :: v_dual_mov_b32 v47, v173
.LBB33_55:
	s_or_b32 exec_lo, exec_lo, s3
	s_delay_alu instid0(SALU_CYCLE_1)
	s_mov_b32 s4, exec_lo
	s_waitcnt lgkmcnt(0)
	s_barrier
	buffer_gl0_inv
	v_cmpx_eq_u32_e32 6, v174
	s_cbranch_execz .LBB33_62
; %bb.56:
	ds_store_2addr_b64 v175, v[40:41], v[42:43] offset1:1
	ds_store_2addr_b64 v176, v[36:37], v[38:39] offset0:14 offset1:15
	ds_store_2addr_b64 v176, v[32:33], v[34:35] offset0:16 offset1:17
	ds_store_2addr_b64 v176, v[28:29], v[30:31] offset0:18 offset1:19
	ds_store_2addr_b64 v176, v[24:25], v[26:27] offset0:20 offset1:21
	ds_store_2addr_b64 v176, v[20:21], v[22:23] offset0:22 offset1:23
	ds_store_2addr_b64 v176, v[16:17], v[18:19] offset0:24 offset1:25
	ds_store_2addr_b64 v176, v[12:13], v[14:15] offset0:26 offset1:27
	ds_store_2addr_b64 v176, v[8:9], v[10:11] offset0:28 offset1:29
	ds_store_2addr_b64 v176, v[4:5], v[6:7] offset0:30 offset1:31
	ds_store_2addr_b64 v176, v[0:1], v[2:3] offset0:32 offset1:33
	ds_load_2addr_b64 v[92:95], v175 offset1:1
	s_waitcnt lgkmcnt(0)
	v_cmp_neq_f64_e32 vcc_lo, 0, v[92:93]
	v_cmp_neq_f64_e64 s3, 0, v[94:95]
	s_delay_alu instid0(VALU_DEP_1) | instskip(NEXT) | instid1(SALU_CYCLE_1)
	s_or_b32 s3, vcc_lo, s3
	s_and_b32 exec_lo, exec_lo, s3
	s_cbranch_execz .LBB33_62
; %bb.57:
	v_cmp_gt_f64_e32 vcc_lo, 0, v[92:93]
	v_cmp_gt_f64_e64 s3, 0, v[94:95]
	v_xor_b32_e32 v96, 0x80000000, v93
	v_xor_b32_e32 v98, 0x80000000, v95
                                        ; implicit-def: $vgpr100_vgpr101
	s_delay_alu instid0(VALU_DEP_2) | instskip(NEXT) | instid1(VALU_DEP_2)
	v_cndmask_b32_e32 v97, v93, v96, vcc_lo
	v_cndmask_b32_e64 v99, v95, v98, s3
	v_cndmask_b32_e32 v96, v92, v92, vcc_lo
	v_cndmask_b32_e64 v98, v94, v94, s3
	s_mov_b32 s3, exec_lo
	s_delay_alu instid0(VALU_DEP_1)
	v_cmpx_ngt_f64_e32 v[96:97], v[98:99]
	s_xor_b32 s3, exec_lo, s3
                                        ; implicit-def: $vgpr96_vgpr97_vgpr98_vgpr99
	s_cbranch_execz .LBB33_59
; %bb.58:
	v_div_scale_f64 v[96:97], null, v[94:95], v[94:95], v[92:93]
	v_div_scale_f64 v[102:103], vcc_lo, v[92:93], v[94:95], v[92:93]
	s_delay_alu instid0(VALU_DEP_2) | instskip(SKIP_2) | instid1(VALU_DEP_1)
	v_rcp_f64_e32 v[98:99], v[96:97]
	s_waitcnt_depctr 0xfff
	v_fma_f64 v[100:101], -v[96:97], v[98:99], 1.0
	v_fma_f64 v[98:99], v[98:99], v[100:101], v[98:99]
	s_delay_alu instid0(VALU_DEP_1) | instskip(NEXT) | instid1(VALU_DEP_1)
	v_fma_f64 v[100:101], -v[96:97], v[98:99], 1.0
	v_fma_f64 v[98:99], v[98:99], v[100:101], v[98:99]
	s_delay_alu instid0(VALU_DEP_1) | instskip(NEXT) | instid1(VALU_DEP_1)
	v_mul_f64 v[100:101], v[102:103], v[98:99]
	v_fma_f64 v[96:97], -v[96:97], v[100:101], v[102:103]
	s_delay_alu instid0(VALU_DEP_1) | instskip(NEXT) | instid1(VALU_DEP_1)
	v_div_fmas_f64 v[96:97], v[96:97], v[98:99], v[100:101]
	v_div_fixup_f64 v[96:97], v[96:97], v[94:95], v[92:93]
	s_delay_alu instid0(VALU_DEP_1) | instskip(NEXT) | instid1(VALU_DEP_1)
	v_fma_f64 v[92:93], v[92:93], v[96:97], v[94:95]
	v_div_scale_f64 v[94:95], null, v[92:93], v[92:93], 1.0
	s_delay_alu instid0(VALU_DEP_1) | instskip(SKIP_2) | instid1(VALU_DEP_1)
	v_rcp_f64_e32 v[98:99], v[94:95]
	s_waitcnt_depctr 0xfff
	v_fma_f64 v[100:101], -v[94:95], v[98:99], 1.0
	v_fma_f64 v[98:99], v[98:99], v[100:101], v[98:99]
	s_delay_alu instid0(VALU_DEP_1) | instskip(NEXT) | instid1(VALU_DEP_1)
	v_fma_f64 v[100:101], -v[94:95], v[98:99], 1.0
	v_fma_f64 v[98:99], v[98:99], v[100:101], v[98:99]
	v_div_scale_f64 v[100:101], vcc_lo, 1.0, v[92:93], 1.0
	s_delay_alu instid0(VALU_DEP_1) | instskip(NEXT) | instid1(VALU_DEP_1)
	v_mul_f64 v[102:103], v[100:101], v[98:99]
	v_fma_f64 v[94:95], -v[94:95], v[102:103], v[100:101]
	s_delay_alu instid0(VALU_DEP_1) | instskip(NEXT) | instid1(VALU_DEP_1)
	v_div_fmas_f64 v[94:95], v[94:95], v[98:99], v[102:103]
	v_div_fixup_f64 v[98:99], v[94:95], v[92:93], 1.0
                                        ; implicit-def: $vgpr92_vgpr93
	s_delay_alu instid0(VALU_DEP_1)
	v_mul_f64 v[100:101], v[96:97], v[98:99]
	v_xor_b32_e32 v99, 0x80000000, v99
.LBB33_59:
	s_and_not1_saveexec_b32 s3, s3
	s_cbranch_execz .LBB33_61
; %bb.60:
	v_div_scale_f64 v[96:97], null, v[92:93], v[92:93], v[94:95]
	v_div_scale_f64 v[102:103], vcc_lo, v[94:95], v[92:93], v[94:95]
	s_delay_alu instid0(VALU_DEP_2) | instskip(SKIP_2) | instid1(VALU_DEP_1)
	v_rcp_f64_e32 v[98:99], v[96:97]
	s_waitcnt_depctr 0xfff
	v_fma_f64 v[100:101], -v[96:97], v[98:99], 1.0
	v_fma_f64 v[98:99], v[98:99], v[100:101], v[98:99]
	s_delay_alu instid0(VALU_DEP_1) | instskip(NEXT) | instid1(VALU_DEP_1)
	v_fma_f64 v[100:101], -v[96:97], v[98:99], 1.0
	v_fma_f64 v[98:99], v[98:99], v[100:101], v[98:99]
	s_delay_alu instid0(VALU_DEP_1) | instskip(NEXT) | instid1(VALU_DEP_1)
	v_mul_f64 v[100:101], v[102:103], v[98:99]
	v_fma_f64 v[96:97], -v[96:97], v[100:101], v[102:103]
	s_delay_alu instid0(VALU_DEP_1) | instskip(NEXT) | instid1(VALU_DEP_1)
	v_div_fmas_f64 v[96:97], v[96:97], v[98:99], v[100:101]
	v_div_fixup_f64 v[96:97], v[96:97], v[92:93], v[94:95]
	s_delay_alu instid0(VALU_DEP_1) | instskip(NEXT) | instid1(VALU_DEP_1)
	v_fma_f64 v[92:93], v[94:95], v[96:97], v[92:93]
	v_div_scale_f64 v[94:95], null, v[92:93], v[92:93], 1.0
	s_delay_alu instid0(VALU_DEP_1) | instskip(SKIP_2) | instid1(VALU_DEP_1)
	v_rcp_f64_e32 v[98:99], v[94:95]
	s_waitcnt_depctr 0xfff
	v_fma_f64 v[100:101], -v[94:95], v[98:99], 1.0
	v_fma_f64 v[98:99], v[98:99], v[100:101], v[98:99]
	s_delay_alu instid0(VALU_DEP_1) | instskip(NEXT) | instid1(VALU_DEP_1)
	v_fma_f64 v[100:101], -v[94:95], v[98:99], 1.0
	v_fma_f64 v[98:99], v[98:99], v[100:101], v[98:99]
	v_div_scale_f64 v[100:101], vcc_lo, 1.0, v[92:93], 1.0
	s_delay_alu instid0(VALU_DEP_1) | instskip(NEXT) | instid1(VALU_DEP_1)
	v_mul_f64 v[102:103], v[100:101], v[98:99]
	v_fma_f64 v[94:95], -v[94:95], v[102:103], v[100:101]
	s_delay_alu instid0(VALU_DEP_1) | instskip(NEXT) | instid1(VALU_DEP_1)
	v_div_fmas_f64 v[94:95], v[94:95], v[98:99], v[102:103]
	v_div_fixup_f64 v[100:101], v[94:95], v[92:93], 1.0
	s_delay_alu instid0(VALU_DEP_1)
	v_mul_f64 v[98:99], v[96:97], -v[100:101]
.LBB33_61:
	s_or_b32 exec_lo, exec_lo, s3
	ds_store_2addr_b64 v175, v[100:101], v[98:99] offset1:1
.LBB33_62:
	s_or_b32 exec_lo, exec_lo, s4
	s_waitcnt lgkmcnt(0)
	s_barrier
	buffer_gl0_inv
	ds_load_2addr_b64 v[92:95], v175 offset1:1
	s_mov_b32 s3, exec_lo
	v_cmpx_lt_u32_e32 6, v174
	s_cbranch_execz .LBB33_64
; %bb.63:
	s_waitcnt lgkmcnt(0)
	v_mul_f64 v[96:97], v[92:93], v[42:43]
	v_mul_f64 v[42:43], v[94:95], v[42:43]
	s_delay_alu instid0(VALU_DEP_2)
	v_fma_f64 v[172:173], v[94:95], v[40:41], v[96:97]
	ds_load_2addr_b64 v[96:99], v176 offset0:14 offset1:15
	ds_load_2addr_b64 v[100:103], v176 offset0:16 offset1:17
	;; [unrolled: 1-line block ×10, first 2 shown]
	v_fma_f64 v[40:41], v[92:93], v[40:41], -v[42:43]
	s_waitcnt lgkmcnt(9)
	v_mul_f64 v[42:43], v[98:99], v[172:173]
	v_mul_f64 v[177:178], v[96:97], v[172:173]
	s_waitcnt lgkmcnt(8)
	v_mul_f64 v[179:180], v[102:103], v[172:173]
	v_mul_f64 v[181:182], v[100:101], v[172:173]
	;; [unrolled: 3-line block ×10, first 2 shown]
	v_fma_f64 v[42:43], v[96:97], v[40:41], -v[42:43]
	v_fma_f64 v[96:97], v[98:99], v[40:41], v[177:178]
	v_fma_f64 v[98:99], v[100:101], v[40:41], -v[179:180]
	v_fma_f64 v[100:101], v[102:103], v[40:41], v[181:182]
	v_fma_f64 v[102:103], v[104:105], v[40:41], -v[183:184]
	v_fma_f64 v[104:105], v[106:107], v[40:41], v[185:186]
	v_fma_f64 v[106:107], v[108:109], v[40:41], -v[187:188]
	v_fma_f64 v[108:109], v[110:111], v[40:41], v[189:190]
	v_fma_f64 v[110:111], v[112:113], v[40:41], -v[191:192]
	v_fma_f64 v[112:113], v[114:115], v[40:41], v[193:194]
	v_fma_f64 v[114:115], v[116:117], v[40:41], -v[195:196]
	v_fma_f64 v[116:117], v[118:119], v[40:41], v[197:198]
	v_fma_f64 v[118:119], v[120:121], v[40:41], -v[199:200]
	v_fma_f64 v[120:121], v[122:123], v[40:41], v[201:202]
	v_fma_f64 v[122:123], v[124:125], v[40:41], -v[203:204]
	v_fma_f64 v[124:125], v[126:127], v[40:41], v[205:206]
	v_fma_f64 v[126:127], v[128:129], v[40:41], -v[207:208]
	v_fma_f64 v[128:129], v[130:131], v[40:41], v[209:210]
	v_fma_f64 v[130:131], v[132:133], v[40:41], -v[211:212]
	v_fma_f64 v[132:133], v[134:135], v[40:41], v[213:214]
	v_add_f64 v[36:37], v[36:37], -v[42:43]
	v_add_f64 v[38:39], v[38:39], -v[96:97]
	;; [unrolled: 1-line block ×20, first 2 shown]
	v_dual_mov_b32 v42, v172 :: v_dual_mov_b32 v43, v173
.LBB33_64:
	s_or_b32 exec_lo, exec_lo, s3
	s_delay_alu instid0(SALU_CYCLE_1)
	s_mov_b32 s4, exec_lo
	s_waitcnt lgkmcnt(0)
	s_barrier
	buffer_gl0_inv
	v_cmpx_eq_u32_e32 7, v174
	s_cbranch_execz .LBB33_71
; %bb.65:
	ds_store_2addr_b64 v175, v[36:37], v[38:39] offset1:1
	ds_store_2addr_b64 v176, v[32:33], v[34:35] offset0:16 offset1:17
	ds_store_2addr_b64 v176, v[28:29], v[30:31] offset0:18 offset1:19
	;; [unrolled: 1-line block ×9, first 2 shown]
	ds_load_2addr_b64 v[96:99], v175 offset1:1
	s_waitcnt lgkmcnt(0)
	v_cmp_neq_f64_e32 vcc_lo, 0, v[96:97]
	v_cmp_neq_f64_e64 s3, 0, v[98:99]
	s_delay_alu instid0(VALU_DEP_1) | instskip(NEXT) | instid1(SALU_CYCLE_1)
	s_or_b32 s3, vcc_lo, s3
	s_and_b32 exec_lo, exec_lo, s3
	s_cbranch_execz .LBB33_71
; %bb.66:
	v_cmp_gt_f64_e32 vcc_lo, 0, v[96:97]
	v_cmp_gt_f64_e64 s3, 0, v[98:99]
	v_xor_b32_e32 v100, 0x80000000, v97
	v_xor_b32_e32 v102, 0x80000000, v99
                                        ; implicit-def: $vgpr104_vgpr105
	s_delay_alu instid0(VALU_DEP_2) | instskip(NEXT) | instid1(VALU_DEP_2)
	v_cndmask_b32_e32 v101, v97, v100, vcc_lo
	v_cndmask_b32_e64 v103, v99, v102, s3
	v_cndmask_b32_e32 v100, v96, v96, vcc_lo
	v_cndmask_b32_e64 v102, v98, v98, s3
	s_mov_b32 s3, exec_lo
	s_delay_alu instid0(VALU_DEP_1)
	v_cmpx_ngt_f64_e32 v[100:101], v[102:103]
	s_xor_b32 s3, exec_lo, s3
                                        ; implicit-def: $vgpr100_vgpr101_vgpr102_vgpr103
	s_cbranch_execz .LBB33_68
; %bb.67:
	v_div_scale_f64 v[100:101], null, v[98:99], v[98:99], v[96:97]
	v_div_scale_f64 v[106:107], vcc_lo, v[96:97], v[98:99], v[96:97]
	s_delay_alu instid0(VALU_DEP_2) | instskip(SKIP_2) | instid1(VALU_DEP_1)
	v_rcp_f64_e32 v[102:103], v[100:101]
	s_waitcnt_depctr 0xfff
	v_fma_f64 v[104:105], -v[100:101], v[102:103], 1.0
	v_fma_f64 v[102:103], v[102:103], v[104:105], v[102:103]
	s_delay_alu instid0(VALU_DEP_1) | instskip(NEXT) | instid1(VALU_DEP_1)
	v_fma_f64 v[104:105], -v[100:101], v[102:103], 1.0
	v_fma_f64 v[102:103], v[102:103], v[104:105], v[102:103]
	s_delay_alu instid0(VALU_DEP_1) | instskip(NEXT) | instid1(VALU_DEP_1)
	v_mul_f64 v[104:105], v[106:107], v[102:103]
	v_fma_f64 v[100:101], -v[100:101], v[104:105], v[106:107]
	s_delay_alu instid0(VALU_DEP_1) | instskip(NEXT) | instid1(VALU_DEP_1)
	v_div_fmas_f64 v[100:101], v[100:101], v[102:103], v[104:105]
	v_div_fixup_f64 v[100:101], v[100:101], v[98:99], v[96:97]
	s_delay_alu instid0(VALU_DEP_1) | instskip(NEXT) | instid1(VALU_DEP_1)
	v_fma_f64 v[96:97], v[96:97], v[100:101], v[98:99]
	v_div_scale_f64 v[98:99], null, v[96:97], v[96:97], 1.0
	s_delay_alu instid0(VALU_DEP_1) | instskip(SKIP_2) | instid1(VALU_DEP_1)
	v_rcp_f64_e32 v[102:103], v[98:99]
	s_waitcnt_depctr 0xfff
	v_fma_f64 v[104:105], -v[98:99], v[102:103], 1.0
	v_fma_f64 v[102:103], v[102:103], v[104:105], v[102:103]
	s_delay_alu instid0(VALU_DEP_1) | instskip(NEXT) | instid1(VALU_DEP_1)
	v_fma_f64 v[104:105], -v[98:99], v[102:103], 1.0
	v_fma_f64 v[102:103], v[102:103], v[104:105], v[102:103]
	v_div_scale_f64 v[104:105], vcc_lo, 1.0, v[96:97], 1.0
	s_delay_alu instid0(VALU_DEP_1) | instskip(NEXT) | instid1(VALU_DEP_1)
	v_mul_f64 v[106:107], v[104:105], v[102:103]
	v_fma_f64 v[98:99], -v[98:99], v[106:107], v[104:105]
	s_delay_alu instid0(VALU_DEP_1) | instskip(NEXT) | instid1(VALU_DEP_1)
	v_div_fmas_f64 v[98:99], v[98:99], v[102:103], v[106:107]
	v_div_fixup_f64 v[102:103], v[98:99], v[96:97], 1.0
                                        ; implicit-def: $vgpr96_vgpr97
	s_delay_alu instid0(VALU_DEP_1)
	v_mul_f64 v[104:105], v[100:101], v[102:103]
	v_xor_b32_e32 v103, 0x80000000, v103
.LBB33_68:
	s_and_not1_saveexec_b32 s3, s3
	s_cbranch_execz .LBB33_70
; %bb.69:
	v_div_scale_f64 v[100:101], null, v[96:97], v[96:97], v[98:99]
	v_div_scale_f64 v[106:107], vcc_lo, v[98:99], v[96:97], v[98:99]
	s_delay_alu instid0(VALU_DEP_2) | instskip(SKIP_2) | instid1(VALU_DEP_1)
	v_rcp_f64_e32 v[102:103], v[100:101]
	s_waitcnt_depctr 0xfff
	v_fma_f64 v[104:105], -v[100:101], v[102:103], 1.0
	v_fma_f64 v[102:103], v[102:103], v[104:105], v[102:103]
	s_delay_alu instid0(VALU_DEP_1) | instskip(NEXT) | instid1(VALU_DEP_1)
	v_fma_f64 v[104:105], -v[100:101], v[102:103], 1.0
	v_fma_f64 v[102:103], v[102:103], v[104:105], v[102:103]
	s_delay_alu instid0(VALU_DEP_1) | instskip(NEXT) | instid1(VALU_DEP_1)
	v_mul_f64 v[104:105], v[106:107], v[102:103]
	v_fma_f64 v[100:101], -v[100:101], v[104:105], v[106:107]
	s_delay_alu instid0(VALU_DEP_1) | instskip(NEXT) | instid1(VALU_DEP_1)
	v_div_fmas_f64 v[100:101], v[100:101], v[102:103], v[104:105]
	v_div_fixup_f64 v[100:101], v[100:101], v[96:97], v[98:99]
	s_delay_alu instid0(VALU_DEP_1) | instskip(NEXT) | instid1(VALU_DEP_1)
	v_fma_f64 v[96:97], v[98:99], v[100:101], v[96:97]
	v_div_scale_f64 v[98:99], null, v[96:97], v[96:97], 1.0
	s_delay_alu instid0(VALU_DEP_1) | instskip(SKIP_2) | instid1(VALU_DEP_1)
	v_rcp_f64_e32 v[102:103], v[98:99]
	s_waitcnt_depctr 0xfff
	v_fma_f64 v[104:105], -v[98:99], v[102:103], 1.0
	v_fma_f64 v[102:103], v[102:103], v[104:105], v[102:103]
	s_delay_alu instid0(VALU_DEP_1) | instskip(NEXT) | instid1(VALU_DEP_1)
	v_fma_f64 v[104:105], -v[98:99], v[102:103], 1.0
	v_fma_f64 v[102:103], v[102:103], v[104:105], v[102:103]
	v_div_scale_f64 v[104:105], vcc_lo, 1.0, v[96:97], 1.0
	s_delay_alu instid0(VALU_DEP_1) | instskip(NEXT) | instid1(VALU_DEP_1)
	v_mul_f64 v[106:107], v[104:105], v[102:103]
	v_fma_f64 v[98:99], -v[98:99], v[106:107], v[104:105]
	s_delay_alu instid0(VALU_DEP_1) | instskip(NEXT) | instid1(VALU_DEP_1)
	v_div_fmas_f64 v[98:99], v[98:99], v[102:103], v[106:107]
	v_div_fixup_f64 v[104:105], v[98:99], v[96:97], 1.0
	s_delay_alu instid0(VALU_DEP_1)
	v_mul_f64 v[102:103], v[100:101], -v[104:105]
.LBB33_70:
	s_or_b32 exec_lo, exec_lo, s3
	ds_store_2addr_b64 v175, v[104:105], v[102:103] offset1:1
.LBB33_71:
	s_or_b32 exec_lo, exec_lo, s4
	s_waitcnt lgkmcnt(0)
	s_barrier
	buffer_gl0_inv
	ds_load_2addr_b64 v[96:99], v175 offset1:1
	s_mov_b32 s3, exec_lo
	v_cmpx_lt_u32_e32 7, v174
	s_cbranch_execz .LBB33_73
; %bb.72:
	s_waitcnt lgkmcnt(0)
	v_mul_f64 v[100:101], v[96:97], v[38:39]
	v_mul_f64 v[38:39], v[98:99], v[38:39]
	s_delay_alu instid0(VALU_DEP_2)
	v_fma_f64 v[172:173], v[98:99], v[36:37], v[100:101]
	ds_load_2addr_b64 v[100:103], v176 offset0:16 offset1:17
	ds_load_2addr_b64 v[104:107], v176 offset0:18 offset1:19
	;; [unrolled: 1-line block ×9, first 2 shown]
	v_fma_f64 v[36:37], v[96:97], v[36:37], -v[38:39]
	s_waitcnt lgkmcnt(8)
	v_mul_f64 v[38:39], v[102:103], v[172:173]
	v_mul_f64 v[177:178], v[100:101], v[172:173]
	s_waitcnt lgkmcnt(7)
	v_mul_f64 v[179:180], v[106:107], v[172:173]
	v_mul_f64 v[181:182], v[104:105], v[172:173]
	;; [unrolled: 3-line block ×9, first 2 shown]
	v_fma_f64 v[38:39], v[100:101], v[36:37], -v[38:39]
	v_fma_f64 v[100:101], v[102:103], v[36:37], v[177:178]
	v_fma_f64 v[102:103], v[104:105], v[36:37], -v[179:180]
	v_fma_f64 v[104:105], v[106:107], v[36:37], v[181:182]
	;; [unrolled: 2-line block ×9, first 2 shown]
	v_add_f64 v[32:33], v[32:33], -v[38:39]
	v_add_f64 v[34:35], v[34:35], -v[100:101]
	;; [unrolled: 1-line block ×18, first 2 shown]
	v_dual_mov_b32 v38, v172 :: v_dual_mov_b32 v39, v173
.LBB33_73:
	s_or_b32 exec_lo, exec_lo, s3
	s_delay_alu instid0(SALU_CYCLE_1)
	s_mov_b32 s4, exec_lo
	s_waitcnt lgkmcnt(0)
	s_barrier
	buffer_gl0_inv
	v_cmpx_eq_u32_e32 8, v174
	s_cbranch_execz .LBB33_80
; %bb.74:
	ds_store_2addr_b64 v175, v[32:33], v[34:35] offset1:1
	ds_store_2addr_b64 v176, v[28:29], v[30:31] offset0:18 offset1:19
	ds_store_2addr_b64 v176, v[24:25], v[26:27] offset0:20 offset1:21
	;; [unrolled: 1-line block ×8, first 2 shown]
	ds_load_2addr_b64 v[100:103], v175 offset1:1
	s_waitcnt lgkmcnt(0)
	v_cmp_neq_f64_e32 vcc_lo, 0, v[100:101]
	v_cmp_neq_f64_e64 s3, 0, v[102:103]
	s_delay_alu instid0(VALU_DEP_1) | instskip(NEXT) | instid1(SALU_CYCLE_1)
	s_or_b32 s3, vcc_lo, s3
	s_and_b32 exec_lo, exec_lo, s3
	s_cbranch_execz .LBB33_80
; %bb.75:
	v_cmp_gt_f64_e32 vcc_lo, 0, v[100:101]
	v_cmp_gt_f64_e64 s3, 0, v[102:103]
	v_xor_b32_e32 v104, 0x80000000, v101
	v_xor_b32_e32 v106, 0x80000000, v103
                                        ; implicit-def: $vgpr108_vgpr109
	s_delay_alu instid0(VALU_DEP_2) | instskip(NEXT) | instid1(VALU_DEP_2)
	v_cndmask_b32_e32 v105, v101, v104, vcc_lo
	v_cndmask_b32_e64 v107, v103, v106, s3
	v_cndmask_b32_e32 v104, v100, v100, vcc_lo
	v_cndmask_b32_e64 v106, v102, v102, s3
	s_mov_b32 s3, exec_lo
	s_delay_alu instid0(VALU_DEP_1)
	v_cmpx_ngt_f64_e32 v[104:105], v[106:107]
	s_xor_b32 s3, exec_lo, s3
                                        ; implicit-def: $vgpr104_vgpr105_vgpr106_vgpr107
	s_cbranch_execz .LBB33_77
; %bb.76:
	v_div_scale_f64 v[104:105], null, v[102:103], v[102:103], v[100:101]
	v_div_scale_f64 v[110:111], vcc_lo, v[100:101], v[102:103], v[100:101]
	s_delay_alu instid0(VALU_DEP_2) | instskip(SKIP_2) | instid1(VALU_DEP_1)
	v_rcp_f64_e32 v[106:107], v[104:105]
	s_waitcnt_depctr 0xfff
	v_fma_f64 v[108:109], -v[104:105], v[106:107], 1.0
	v_fma_f64 v[106:107], v[106:107], v[108:109], v[106:107]
	s_delay_alu instid0(VALU_DEP_1) | instskip(NEXT) | instid1(VALU_DEP_1)
	v_fma_f64 v[108:109], -v[104:105], v[106:107], 1.0
	v_fma_f64 v[106:107], v[106:107], v[108:109], v[106:107]
	s_delay_alu instid0(VALU_DEP_1) | instskip(NEXT) | instid1(VALU_DEP_1)
	v_mul_f64 v[108:109], v[110:111], v[106:107]
	v_fma_f64 v[104:105], -v[104:105], v[108:109], v[110:111]
	s_delay_alu instid0(VALU_DEP_1) | instskip(NEXT) | instid1(VALU_DEP_1)
	v_div_fmas_f64 v[104:105], v[104:105], v[106:107], v[108:109]
	v_div_fixup_f64 v[104:105], v[104:105], v[102:103], v[100:101]
	s_delay_alu instid0(VALU_DEP_1) | instskip(NEXT) | instid1(VALU_DEP_1)
	v_fma_f64 v[100:101], v[100:101], v[104:105], v[102:103]
	v_div_scale_f64 v[102:103], null, v[100:101], v[100:101], 1.0
	s_delay_alu instid0(VALU_DEP_1) | instskip(SKIP_2) | instid1(VALU_DEP_1)
	v_rcp_f64_e32 v[106:107], v[102:103]
	s_waitcnt_depctr 0xfff
	v_fma_f64 v[108:109], -v[102:103], v[106:107], 1.0
	v_fma_f64 v[106:107], v[106:107], v[108:109], v[106:107]
	s_delay_alu instid0(VALU_DEP_1) | instskip(NEXT) | instid1(VALU_DEP_1)
	v_fma_f64 v[108:109], -v[102:103], v[106:107], 1.0
	v_fma_f64 v[106:107], v[106:107], v[108:109], v[106:107]
	v_div_scale_f64 v[108:109], vcc_lo, 1.0, v[100:101], 1.0
	s_delay_alu instid0(VALU_DEP_1) | instskip(NEXT) | instid1(VALU_DEP_1)
	v_mul_f64 v[110:111], v[108:109], v[106:107]
	v_fma_f64 v[102:103], -v[102:103], v[110:111], v[108:109]
	s_delay_alu instid0(VALU_DEP_1) | instskip(NEXT) | instid1(VALU_DEP_1)
	v_div_fmas_f64 v[102:103], v[102:103], v[106:107], v[110:111]
	v_div_fixup_f64 v[106:107], v[102:103], v[100:101], 1.0
                                        ; implicit-def: $vgpr100_vgpr101
	s_delay_alu instid0(VALU_DEP_1)
	v_mul_f64 v[108:109], v[104:105], v[106:107]
	v_xor_b32_e32 v107, 0x80000000, v107
.LBB33_77:
	s_and_not1_saveexec_b32 s3, s3
	s_cbranch_execz .LBB33_79
; %bb.78:
	v_div_scale_f64 v[104:105], null, v[100:101], v[100:101], v[102:103]
	v_div_scale_f64 v[110:111], vcc_lo, v[102:103], v[100:101], v[102:103]
	s_delay_alu instid0(VALU_DEP_2) | instskip(SKIP_2) | instid1(VALU_DEP_1)
	v_rcp_f64_e32 v[106:107], v[104:105]
	s_waitcnt_depctr 0xfff
	v_fma_f64 v[108:109], -v[104:105], v[106:107], 1.0
	v_fma_f64 v[106:107], v[106:107], v[108:109], v[106:107]
	s_delay_alu instid0(VALU_DEP_1) | instskip(NEXT) | instid1(VALU_DEP_1)
	v_fma_f64 v[108:109], -v[104:105], v[106:107], 1.0
	v_fma_f64 v[106:107], v[106:107], v[108:109], v[106:107]
	s_delay_alu instid0(VALU_DEP_1) | instskip(NEXT) | instid1(VALU_DEP_1)
	v_mul_f64 v[108:109], v[110:111], v[106:107]
	v_fma_f64 v[104:105], -v[104:105], v[108:109], v[110:111]
	s_delay_alu instid0(VALU_DEP_1) | instskip(NEXT) | instid1(VALU_DEP_1)
	v_div_fmas_f64 v[104:105], v[104:105], v[106:107], v[108:109]
	v_div_fixup_f64 v[104:105], v[104:105], v[100:101], v[102:103]
	s_delay_alu instid0(VALU_DEP_1) | instskip(NEXT) | instid1(VALU_DEP_1)
	v_fma_f64 v[100:101], v[102:103], v[104:105], v[100:101]
	v_div_scale_f64 v[102:103], null, v[100:101], v[100:101], 1.0
	s_delay_alu instid0(VALU_DEP_1) | instskip(SKIP_2) | instid1(VALU_DEP_1)
	v_rcp_f64_e32 v[106:107], v[102:103]
	s_waitcnt_depctr 0xfff
	v_fma_f64 v[108:109], -v[102:103], v[106:107], 1.0
	v_fma_f64 v[106:107], v[106:107], v[108:109], v[106:107]
	s_delay_alu instid0(VALU_DEP_1) | instskip(NEXT) | instid1(VALU_DEP_1)
	v_fma_f64 v[108:109], -v[102:103], v[106:107], 1.0
	v_fma_f64 v[106:107], v[106:107], v[108:109], v[106:107]
	v_div_scale_f64 v[108:109], vcc_lo, 1.0, v[100:101], 1.0
	s_delay_alu instid0(VALU_DEP_1) | instskip(NEXT) | instid1(VALU_DEP_1)
	v_mul_f64 v[110:111], v[108:109], v[106:107]
	v_fma_f64 v[102:103], -v[102:103], v[110:111], v[108:109]
	s_delay_alu instid0(VALU_DEP_1) | instskip(NEXT) | instid1(VALU_DEP_1)
	v_div_fmas_f64 v[102:103], v[102:103], v[106:107], v[110:111]
	v_div_fixup_f64 v[108:109], v[102:103], v[100:101], 1.0
	s_delay_alu instid0(VALU_DEP_1)
	v_mul_f64 v[106:107], v[104:105], -v[108:109]
.LBB33_79:
	s_or_b32 exec_lo, exec_lo, s3
	ds_store_2addr_b64 v175, v[108:109], v[106:107] offset1:1
.LBB33_80:
	s_or_b32 exec_lo, exec_lo, s4
	s_waitcnt lgkmcnt(0)
	s_barrier
	buffer_gl0_inv
	ds_load_2addr_b64 v[100:103], v175 offset1:1
	s_mov_b32 s3, exec_lo
	v_cmpx_lt_u32_e32 8, v174
	s_cbranch_execz .LBB33_82
; %bb.81:
	s_waitcnt lgkmcnt(0)
	v_mul_f64 v[104:105], v[100:101], v[34:35]
	v_mul_f64 v[34:35], v[102:103], v[34:35]
	s_delay_alu instid0(VALU_DEP_2)
	v_fma_f64 v[172:173], v[102:103], v[32:33], v[104:105]
	ds_load_2addr_b64 v[104:107], v176 offset0:18 offset1:19
	ds_load_2addr_b64 v[108:111], v176 offset0:20 offset1:21
	;; [unrolled: 1-line block ×8, first 2 shown]
	v_fma_f64 v[32:33], v[100:101], v[32:33], -v[34:35]
	s_waitcnt lgkmcnt(7)
	v_mul_f64 v[34:35], v[106:107], v[172:173]
	v_mul_f64 v[177:178], v[104:105], v[172:173]
	s_waitcnt lgkmcnt(6)
	v_mul_f64 v[179:180], v[110:111], v[172:173]
	v_mul_f64 v[181:182], v[108:109], v[172:173]
	;; [unrolled: 3-line block ×8, first 2 shown]
	v_fma_f64 v[34:35], v[104:105], v[32:33], -v[34:35]
	v_fma_f64 v[104:105], v[106:107], v[32:33], v[177:178]
	v_fma_f64 v[106:107], v[108:109], v[32:33], -v[179:180]
	v_fma_f64 v[108:109], v[110:111], v[32:33], v[181:182]
	;; [unrolled: 2-line block ×8, first 2 shown]
	v_add_f64 v[28:29], v[28:29], -v[34:35]
	v_add_f64 v[30:31], v[30:31], -v[104:105]
	;; [unrolled: 1-line block ×16, first 2 shown]
	v_dual_mov_b32 v34, v172 :: v_dual_mov_b32 v35, v173
.LBB33_82:
	s_or_b32 exec_lo, exec_lo, s3
	s_delay_alu instid0(SALU_CYCLE_1)
	s_mov_b32 s4, exec_lo
	s_waitcnt lgkmcnt(0)
	s_barrier
	buffer_gl0_inv
	v_cmpx_eq_u32_e32 9, v174
	s_cbranch_execz .LBB33_89
; %bb.83:
	ds_store_2addr_b64 v175, v[28:29], v[30:31] offset1:1
	ds_store_2addr_b64 v176, v[24:25], v[26:27] offset0:20 offset1:21
	ds_store_2addr_b64 v176, v[20:21], v[22:23] offset0:22 offset1:23
	;; [unrolled: 1-line block ×7, first 2 shown]
	ds_load_2addr_b64 v[104:107], v175 offset1:1
	s_waitcnt lgkmcnt(0)
	v_cmp_neq_f64_e32 vcc_lo, 0, v[104:105]
	v_cmp_neq_f64_e64 s3, 0, v[106:107]
	s_delay_alu instid0(VALU_DEP_1) | instskip(NEXT) | instid1(SALU_CYCLE_1)
	s_or_b32 s3, vcc_lo, s3
	s_and_b32 exec_lo, exec_lo, s3
	s_cbranch_execz .LBB33_89
; %bb.84:
	v_cmp_gt_f64_e32 vcc_lo, 0, v[104:105]
	v_cmp_gt_f64_e64 s3, 0, v[106:107]
	v_xor_b32_e32 v108, 0x80000000, v105
	v_xor_b32_e32 v110, 0x80000000, v107
                                        ; implicit-def: $vgpr112_vgpr113
	s_delay_alu instid0(VALU_DEP_2) | instskip(NEXT) | instid1(VALU_DEP_2)
	v_cndmask_b32_e32 v109, v105, v108, vcc_lo
	v_cndmask_b32_e64 v111, v107, v110, s3
	v_cndmask_b32_e32 v108, v104, v104, vcc_lo
	v_cndmask_b32_e64 v110, v106, v106, s3
	s_mov_b32 s3, exec_lo
	s_delay_alu instid0(VALU_DEP_1)
	v_cmpx_ngt_f64_e32 v[108:109], v[110:111]
	s_xor_b32 s3, exec_lo, s3
                                        ; implicit-def: $vgpr108_vgpr109_vgpr110_vgpr111
	s_cbranch_execz .LBB33_86
; %bb.85:
	v_div_scale_f64 v[108:109], null, v[106:107], v[106:107], v[104:105]
	v_div_scale_f64 v[114:115], vcc_lo, v[104:105], v[106:107], v[104:105]
	s_delay_alu instid0(VALU_DEP_2) | instskip(SKIP_2) | instid1(VALU_DEP_1)
	v_rcp_f64_e32 v[110:111], v[108:109]
	s_waitcnt_depctr 0xfff
	v_fma_f64 v[112:113], -v[108:109], v[110:111], 1.0
	v_fma_f64 v[110:111], v[110:111], v[112:113], v[110:111]
	s_delay_alu instid0(VALU_DEP_1) | instskip(NEXT) | instid1(VALU_DEP_1)
	v_fma_f64 v[112:113], -v[108:109], v[110:111], 1.0
	v_fma_f64 v[110:111], v[110:111], v[112:113], v[110:111]
	s_delay_alu instid0(VALU_DEP_1) | instskip(NEXT) | instid1(VALU_DEP_1)
	v_mul_f64 v[112:113], v[114:115], v[110:111]
	v_fma_f64 v[108:109], -v[108:109], v[112:113], v[114:115]
	s_delay_alu instid0(VALU_DEP_1) | instskip(NEXT) | instid1(VALU_DEP_1)
	v_div_fmas_f64 v[108:109], v[108:109], v[110:111], v[112:113]
	v_div_fixup_f64 v[108:109], v[108:109], v[106:107], v[104:105]
	s_delay_alu instid0(VALU_DEP_1) | instskip(NEXT) | instid1(VALU_DEP_1)
	v_fma_f64 v[104:105], v[104:105], v[108:109], v[106:107]
	v_div_scale_f64 v[106:107], null, v[104:105], v[104:105], 1.0
	s_delay_alu instid0(VALU_DEP_1) | instskip(SKIP_2) | instid1(VALU_DEP_1)
	v_rcp_f64_e32 v[110:111], v[106:107]
	s_waitcnt_depctr 0xfff
	v_fma_f64 v[112:113], -v[106:107], v[110:111], 1.0
	v_fma_f64 v[110:111], v[110:111], v[112:113], v[110:111]
	s_delay_alu instid0(VALU_DEP_1) | instskip(NEXT) | instid1(VALU_DEP_1)
	v_fma_f64 v[112:113], -v[106:107], v[110:111], 1.0
	v_fma_f64 v[110:111], v[110:111], v[112:113], v[110:111]
	v_div_scale_f64 v[112:113], vcc_lo, 1.0, v[104:105], 1.0
	s_delay_alu instid0(VALU_DEP_1) | instskip(NEXT) | instid1(VALU_DEP_1)
	v_mul_f64 v[114:115], v[112:113], v[110:111]
	v_fma_f64 v[106:107], -v[106:107], v[114:115], v[112:113]
	s_delay_alu instid0(VALU_DEP_1) | instskip(NEXT) | instid1(VALU_DEP_1)
	v_div_fmas_f64 v[106:107], v[106:107], v[110:111], v[114:115]
	v_div_fixup_f64 v[110:111], v[106:107], v[104:105], 1.0
                                        ; implicit-def: $vgpr104_vgpr105
	s_delay_alu instid0(VALU_DEP_1)
	v_mul_f64 v[112:113], v[108:109], v[110:111]
	v_xor_b32_e32 v111, 0x80000000, v111
.LBB33_86:
	s_and_not1_saveexec_b32 s3, s3
	s_cbranch_execz .LBB33_88
; %bb.87:
	v_div_scale_f64 v[108:109], null, v[104:105], v[104:105], v[106:107]
	v_div_scale_f64 v[114:115], vcc_lo, v[106:107], v[104:105], v[106:107]
	s_delay_alu instid0(VALU_DEP_2) | instskip(SKIP_2) | instid1(VALU_DEP_1)
	v_rcp_f64_e32 v[110:111], v[108:109]
	s_waitcnt_depctr 0xfff
	v_fma_f64 v[112:113], -v[108:109], v[110:111], 1.0
	v_fma_f64 v[110:111], v[110:111], v[112:113], v[110:111]
	s_delay_alu instid0(VALU_DEP_1) | instskip(NEXT) | instid1(VALU_DEP_1)
	v_fma_f64 v[112:113], -v[108:109], v[110:111], 1.0
	v_fma_f64 v[110:111], v[110:111], v[112:113], v[110:111]
	s_delay_alu instid0(VALU_DEP_1) | instskip(NEXT) | instid1(VALU_DEP_1)
	v_mul_f64 v[112:113], v[114:115], v[110:111]
	v_fma_f64 v[108:109], -v[108:109], v[112:113], v[114:115]
	s_delay_alu instid0(VALU_DEP_1) | instskip(NEXT) | instid1(VALU_DEP_1)
	v_div_fmas_f64 v[108:109], v[108:109], v[110:111], v[112:113]
	v_div_fixup_f64 v[108:109], v[108:109], v[104:105], v[106:107]
	s_delay_alu instid0(VALU_DEP_1) | instskip(NEXT) | instid1(VALU_DEP_1)
	v_fma_f64 v[104:105], v[106:107], v[108:109], v[104:105]
	v_div_scale_f64 v[106:107], null, v[104:105], v[104:105], 1.0
	s_delay_alu instid0(VALU_DEP_1) | instskip(SKIP_2) | instid1(VALU_DEP_1)
	v_rcp_f64_e32 v[110:111], v[106:107]
	s_waitcnt_depctr 0xfff
	v_fma_f64 v[112:113], -v[106:107], v[110:111], 1.0
	v_fma_f64 v[110:111], v[110:111], v[112:113], v[110:111]
	s_delay_alu instid0(VALU_DEP_1) | instskip(NEXT) | instid1(VALU_DEP_1)
	v_fma_f64 v[112:113], -v[106:107], v[110:111], 1.0
	v_fma_f64 v[110:111], v[110:111], v[112:113], v[110:111]
	v_div_scale_f64 v[112:113], vcc_lo, 1.0, v[104:105], 1.0
	s_delay_alu instid0(VALU_DEP_1) | instskip(NEXT) | instid1(VALU_DEP_1)
	v_mul_f64 v[114:115], v[112:113], v[110:111]
	v_fma_f64 v[106:107], -v[106:107], v[114:115], v[112:113]
	s_delay_alu instid0(VALU_DEP_1) | instskip(NEXT) | instid1(VALU_DEP_1)
	v_div_fmas_f64 v[106:107], v[106:107], v[110:111], v[114:115]
	v_div_fixup_f64 v[112:113], v[106:107], v[104:105], 1.0
	s_delay_alu instid0(VALU_DEP_1)
	v_mul_f64 v[110:111], v[108:109], -v[112:113]
.LBB33_88:
	s_or_b32 exec_lo, exec_lo, s3
	ds_store_2addr_b64 v175, v[112:113], v[110:111] offset1:1
.LBB33_89:
	s_or_b32 exec_lo, exec_lo, s4
	s_waitcnt lgkmcnt(0)
	s_barrier
	buffer_gl0_inv
	ds_load_2addr_b64 v[104:107], v175 offset1:1
	s_mov_b32 s3, exec_lo
	v_cmpx_lt_u32_e32 9, v174
	s_cbranch_execz .LBB33_91
; %bb.90:
	s_waitcnt lgkmcnt(0)
	v_mul_f64 v[108:109], v[104:105], v[30:31]
	v_mul_f64 v[30:31], v[106:107], v[30:31]
	s_delay_alu instid0(VALU_DEP_2)
	v_fma_f64 v[172:173], v[106:107], v[28:29], v[108:109]
	ds_load_2addr_b64 v[108:111], v176 offset0:20 offset1:21
	ds_load_2addr_b64 v[112:115], v176 offset0:22 offset1:23
	;; [unrolled: 1-line block ×7, first 2 shown]
	v_fma_f64 v[28:29], v[104:105], v[28:29], -v[30:31]
	s_waitcnt lgkmcnt(6)
	v_mul_f64 v[30:31], v[110:111], v[172:173]
	v_mul_f64 v[177:178], v[108:109], v[172:173]
	s_waitcnt lgkmcnt(5)
	v_mul_f64 v[179:180], v[114:115], v[172:173]
	v_mul_f64 v[181:182], v[112:113], v[172:173]
	;; [unrolled: 3-line block ×7, first 2 shown]
	v_fma_f64 v[30:31], v[108:109], v[28:29], -v[30:31]
	v_fma_f64 v[108:109], v[110:111], v[28:29], v[177:178]
	v_fma_f64 v[110:111], v[112:113], v[28:29], -v[179:180]
	v_fma_f64 v[112:113], v[114:115], v[28:29], v[181:182]
	v_fma_f64 v[114:115], v[116:117], v[28:29], -v[183:184]
	v_fma_f64 v[116:117], v[118:119], v[28:29], v[185:186]
	v_fma_f64 v[118:119], v[120:121], v[28:29], -v[187:188]
	v_fma_f64 v[120:121], v[122:123], v[28:29], v[189:190]
	v_fma_f64 v[122:123], v[124:125], v[28:29], -v[191:192]
	v_fma_f64 v[124:125], v[126:127], v[28:29], v[193:194]
	v_fma_f64 v[126:127], v[128:129], v[28:29], -v[195:196]
	v_fma_f64 v[128:129], v[130:131], v[28:29], v[197:198]
	v_fma_f64 v[130:131], v[132:133], v[28:29], -v[199:200]
	v_fma_f64 v[132:133], v[134:135], v[28:29], v[201:202]
	v_add_f64 v[24:25], v[24:25], -v[30:31]
	v_add_f64 v[26:27], v[26:27], -v[108:109]
	v_add_f64 v[20:21], v[20:21], -v[110:111]
	v_add_f64 v[22:23], v[22:23], -v[112:113]
	v_add_f64 v[16:17], v[16:17], -v[114:115]
	v_add_f64 v[18:19], v[18:19], -v[116:117]
	v_add_f64 v[12:13], v[12:13], -v[118:119]
	v_add_f64 v[14:15], v[14:15], -v[120:121]
	v_add_f64 v[8:9], v[8:9], -v[122:123]
	v_add_f64 v[10:11], v[10:11], -v[124:125]
	v_add_f64 v[4:5], v[4:5], -v[126:127]
	v_add_f64 v[6:7], v[6:7], -v[128:129]
	v_add_f64 v[0:1], v[0:1], -v[130:131]
	v_add_f64 v[2:3], v[2:3], -v[132:133]
	v_dual_mov_b32 v30, v172 :: v_dual_mov_b32 v31, v173
.LBB33_91:
	s_or_b32 exec_lo, exec_lo, s3
	s_delay_alu instid0(SALU_CYCLE_1)
	s_mov_b32 s4, exec_lo
	s_waitcnt lgkmcnt(0)
	s_barrier
	buffer_gl0_inv
	v_cmpx_eq_u32_e32 10, v174
	s_cbranch_execz .LBB33_98
; %bb.92:
	ds_store_2addr_b64 v175, v[24:25], v[26:27] offset1:1
	ds_store_2addr_b64 v176, v[20:21], v[22:23] offset0:22 offset1:23
	ds_store_2addr_b64 v176, v[16:17], v[18:19] offset0:24 offset1:25
	;; [unrolled: 1-line block ×6, first 2 shown]
	ds_load_2addr_b64 v[108:111], v175 offset1:1
	s_waitcnt lgkmcnt(0)
	v_cmp_neq_f64_e32 vcc_lo, 0, v[108:109]
	v_cmp_neq_f64_e64 s3, 0, v[110:111]
	s_delay_alu instid0(VALU_DEP_1) | instskip(NEXT) | instid1(SALU_CYCLE_1)
	s_or_b32 s3, vcc_lo, s3
	s_and_b32 exec_lo, exec_lo, s3
	s_cbranch_execz .LBB33_98
; %bb.93:
	v_cmp_gt_f64_e32 vcc_lo, 0, v[108:109]
	v_cmp_gt_f64_e64 s3, 0, v[110:111]
	v_xor_b32_e32 v112, 0x80000000, v109
	v_xor_b32_e32 v114, 0x80000000, v111
                                        ; implicit-def: $vgpr116_vgpr117
	s_delay_alu instid0(VALU_DEP_2) | instskip(NEXT) | instid1(VALU_DEP_2)
	v_cndmask_b32_e32 v113, v109, v112, vcc_lo
	v_cndmask_b32_e64 v115, v111, v114, s3
	v_cndmask_b32_e32 v112, v108, v108, vcc_lo
	v_cndmask_b32_e64 v114, v110, v110, s3
	s_mov_b32 s3, exec_lo
	s_delay_alu instid0(VALU_DEP_1)
	v_cmpx_ngt_f64_e32 v[112:113], v[114:115]
	s_xor_b32 s3, exec_lo, s3
                                        ; implicit-def: $vgpr112_vgpr113_vgpr114_vgpr115
	s_cbranch_execz .LBB33_95
; %bb.94:
	v_div_scale_f64 v[112:113], null, v[110:111], v[110:111], v[108:109]
	v_div_scale_f64 v[118:119], vcc_lo, v[108:109], v[110:111], v[108:109]
	s_delay_alu instid0(VALU_DEP_2) | instskip(SKIP_2) | instid1(VALU_DEP_1)
	v_rcp_f64_e32 v[114:115], v[112:113]
	s_waitcnt_depctr 0xfff
	v_fma_f64 v[116:117], -v[112:113], v[114:115], 1.0
	v_fma_f64 v[114:115], v[114:115], v[116:117], v[114:115]
	s_delay_alu instid0(VALU_DEP_1) | instskip(NEXT) | instid1(VALU_DEP_1)
	v_fma_f64 v[116:117], -v[112:113], v[114:115], 1.0
	v_fma_f64 v[114:115], v[114:115], v[116:117], v[114:115]
	s_delay_alu instid0(VALU_DEP_1) | instskip(NEXT) | instid1(VALU_DEP_1)
	v_mul_f64 v[116:117], v[118:119], v[114:115]
	v_fma_f64 v[112:113], -v[112:113], v[116:117], v[118:119]
	s_delay_alu instid0(VALU_DEP_1) | instskip(NEXT) | instid1(VALU_DEP_1)
	v_div_fmas_f64 v[112:113], v[112:113], v[114:115], v[116:117]
	v_div_fixup_f64 v[112:113], v[112:113], v[110:111], v[108:109]
	s_delay_alu instid0(VALU_DEP_1) | instskip(NEXT) | instid1(VALU_DEP_1)
	v_fma_f64 v[108:109], v[108:109], v[112:113], v[110:111]
	v_div_scale_f64 v[110:111], null, v[108:109], v[108:109], 1.0
	s_delay_alu instid0(VALU_DEP_1) | instskip(SKIP_2) | instid1(VALU_DEP_1)
	v_rcp_f64_e32 v[114:115], v[110:111]
	s_waitcnt_depctr 0xfff
	v_fma_f64 v[116:117], -v[110:111], v[114:115], 1.0
	v_fma_f64 v[114:115], v[114:115], v[116:117], v[114:115]
	s_delay_alu instid0(VALU_DEP_1) | instskip(NEXT) | instid1(VALU_DEP_1)
	v_fma_f64 v[116:117], -v[110:111], v[114:115], 1.0
	v_fma_f64 v[114:115], v[114:115], v[116:117], v[114:115]
	v_div_scale_f64 v[116:117], vcc_lo, 1.0, v[108:109], 1.0
	s_delay_alu instid0(VALU_DEP_1) | instskip(NEXT) | instid1(VALU_DEP_1)
	v_mul_f64 v[118:119], v[116:117], v[114:115]
	v_fma_f64 v[110:111], -v[110:111], v[118:119], v[116:117]
	s_delay_alu instid0(VALU_DEP_1) | instskip(NEXT) | instid1(VALU_DEP_1)
	v_div_fmas_f64 v[110:111], v[110:111], v[114:115], v[118:119]
	v_div_fixup_f64 v[114:115], v[110:111], v[108:109], 1.0
                                        ; implicit-def: $vgpr108_vgpr109
	s_delay_alu instid0(VALU_DEP_1)
	v_mul_f64 v[116:117], v[112:113], v[114:115]
	v_xor_b32_e32 v115, 0x80000000, v115
.LBB33_95:
	s_and_not1_saveexec_b32 s3, s3
	s_cbranch_execz .LBB33_97
; %bb.96:
	v_div_scale_f64 v[112:113], null, v[108:109], v[108:109], v[110:111]
	v_div_scale_f64 v[118:119], vcc_lo, v[110:111], v[108:109], v[110:111]
	s_delay_alu instid0(VALU_DEP_2) | instskip(SKIP_2) | instid1(VALU_DEP_1)
	v_rcp_f64_e32 v[114:115], v[112:113]
	s_waitcnt_depctr 0xfff
	v_fma_f64 v[116:117], -v[112:113], v[114:115], 1.0
	v_fma_f64 v[114:115], v[114:115], v[116:117], v[114:115]
	s_delay_alu instid0(VALU_DEP_1) | instskip(NEXT) | instid1(VALU_DEP_1)
	v_fma_f64 v[116:117], -v[112:113], v[114:115], 1.0
	v_fma_f64 v[114:115], v[114:115], v[116:117], v[114:115]
	s_delay_alu instid0(VALU_DEP_1) | instskip(NEXT) | instid1(VALU_DEP_1)
	v_mul_f64 v[116:117], v[118:119], v[114:115]
	v_fma_f64 v[112:113], -v[112:113], v[116:117], v[118:119]
	s_delay_alu instid0(VALU_DEP_1) | instskip(NEXT) | instid1(VALU_DEP_1)
	v_div_fmas_f64 v[112:113], v[112:113], v[114:115], v[116:117]
	v_div_fixup_f64 v[112:113], v[112:113], v[108:109], v[110:111]
	s_delay_alu instid0(VALU_DEP_1) | instskip(NEXT) | instid1(VALU_DEP_1)
	v_fma_f64 v[108:109], v[110:111], v[112:113], v[108:109]
	v_div_scale_f64 v[110:111], null, v[108:109], v[108:109], 1.0
	s_delay_alu instid0(VALU_DEP_1) | instskip(SKIP_2) | instid1(VALU_DEP_1)
	v_rcp_f64_e32 v[114:115], v[110:111]
	s_waitcnt_depctr 0xfff
	v_fma_f64 v[116:117], -v[110:111], v[114:115], 1.0
	v_fma_f64 v[114:115], v[114:115], v[116:117], v[114:115]
	s_delay_alu instid0(VALU_DEP_1) | instskip(NEXT) | instid1(VALU_DEP_1)
	v_fma_f64 v[116:117], -v[110:111], v[114:115], 1.0
	v_fma_f64 v[114:115], v[114:115], v[116:117], v[114:115]
	v_div_scale_f64 v[116:117], vcc_lo, 1.0, v[108:109], 1.0
	s_delay_alu instid0(VALU_DEP_1) | instskip(NEXT) | instid1(VALU_DEP_1)
	v_mul_f64 v[118:119], v[116:117], v[114:115]
	v_fma_f64 v[110:111], -v[110:111], v[118:119], v[116:117]
	s_delay_alu instid0(VALU_DEP_1) | instskip(NEXT) | instid1(VALU_DEP_1)
	v_div_fmas_f64 v[110:111], v[110:111], v[114:115], v[118:119]
	v_div_fixup_f64 v[116:117], v[110:111], v[108:109], 1.0
	s_delay_alu instid0(VALU_DEP_1)
	v_mul_f64 v[114:115], v[112:113], -v[116:117]
.LBB33_97:
	s_or_b32 exec_lo, exec_lo, s3
	ds_store_2addr_b64 v175, v[116:117], v[114:115] offset1:1
.LBB33_98:
	s_or_b32 exec_lo, exec_lo, s4
	s_waitcnt lgkmcnt(0)
	s_barrier
	buffer_gl0_inv
	ds_load_2addr_b64 v[108:111], v175 offset1:1
	s_mov_b32 s3, exec_lo
	v_cmpx_lt_u32_e32 10, v174
	s_cbranch_execz .LBB33_100
; %bb.99:
	s_waitcnt lgkmcnt(0)
	v_mul_f64 v[112:113], v[108:109], v[26:27]
	v_mul_f64 v[26:27], v[110:111], v[26:27]
	s_delay_alu instid0(VALU_DEP_2)
	v_fma_f64 v[172:173], v[110:111], v[24:25], v[112:113]
	ds_load_2addr_b64 v[112:115], v176 offset0:22 offset1:23
	ds_load_2addr_b64 v[116:119], v176 offset0:24 offset1:25
	;; [unrolled: 1-line block ×6, first 2 shown]
	v_fma_f64 v[24:25], v[108:109], v[24:25], -v[26:27]
	s_waitcnt lgkmcnt(5)
	v_mul_f64 v[26:27], v[114:115], v[172:173]
	v_mul_f64 v[177:178], v[112:113], v[172:173]
	s_waitcnt lgkmcnt(4)
	v_mul_f64 v[179:180], v[118:119], v[172:173]
	v_mul_f64 v[181:182], v[116:117], v[172:173]
	;; [unrolled: 3-line block ×6, first 2 shown]
	v_fma_f64 v[26:27], v[112:113], v[24:25], -v[26:27]
	v_fma_f64 v[112:113], v[114:115], v[24:25], v[177:178]
	v_fma_f64 v[114:115], v[116:117], v[24:25], -v[179:180]
	v_fma_f64 v[116:117], v[118:119], v[24:25], v[181:182]
	;; [unrolled: 2-line block ×6, first 2 shown]
	v_add_f64 v[20:21], v[20:21], -v[26:27]
	v_add_f64 v[22:23], v[22:23], -v[112:113]
	;; [unrolled: 1-line block ×12, first 2 shown]
	v_dual_mov_b32 v26, v172 :: v_dual_mov_b32 v27, v173
.LBB33_100:
	s_or_b32 exec_lo, exec_lo, s3
	s_delay_alu instid0(SALU_CYCLE_1)
	s_mov_b32 s4, exec_lo
	s_waitcnt lgkmcnt(0)
	s_barrier
	buffer_gl0_inv
	v_cmpx_eq_u32_e32 11, v174
	s_cbranch_execz .LBB33_107
; %bb.101:
	ds_store_2addr_b64 v175, v[20:21], v[22:23] offset1:1
	ds_store_2addr_b64 v176, v[16:17], v[18:19] offset0:24 offset1:25
	ds_store_2addr_b64 v176, v[12:13], v[14:15] offset0:26 offset1:27
	;; [unrolled: 1-line block ×5, first 2 shown]
	ds_load_2addr_b64 v[112:115], v175 offset1:1
	s_waitcnt lgkmcnt(0)
	v_cmp_neq_f64_e32 vcc_lo, 0, v[112:113]
	v_cmp_neq_f64_e64 s3, 0, v[114:115]
	s_delay_alu instid0(VALU_DEP_1) | instskip(NEXT) | instid1(SALU_CYCLE_1)
	s_or_b32 s3, vcc_lo, s3
	s_and_b32 exec_lo, exec_lo, s3
	s_cbranch_execz .LBB33_107
; %bb.102:
	v_cmp_gt_f64_e32 vcc_lo, 0, v[112:113]
	v_cmp_gt_f64_e64 s3, 0, v[114:115]
	v_xor_b32_e32 v116, 0x80000000, v113
	v_xor_b32_e32 v118, 0x80000000, v115
                                        ; implicit-def: $vgpr120_vgpr121
	s_delay_alu instid0(VALU_DEP_2) | instskip(NEXT) | instid1(VALU_DEP_2)
	v_cndmask_b32_e32 v117, v113, v116, vcc_lo
	v_cndmask_b32_e64 v119, v115, v118, s3
	v_cndmask_b32_e32 v116, v112, v112, vcc_lo
	v_cndmask_b32_e64 v118, v114, v114, s3
	s_mov_b32 s3, exec_lo
	s_delay_alu instid0(VALU_DEP_1)
	v_cmpx_ngt_f64_e32 v[116:117], v[118:119]
	s_xor_b32 s3, exec_lo, s3
                                        ; implicit-def: $vgpr116_vgpr117_vgpr118_vgpr119
	s_cbranch_execz .LBB33_104
; %bb.103:
	v_div_scale_f64 v[116:117], null, v[114:115], v[114:115], v[112:113]
	v_div_scale_f64 v[122:123], vcc_lo, v[112:113], v[114:115], v[112:113]
	s_delay_alu instid0(VALU_DEP_2) | instskip(SKIP_2) | instid1(VALU_DEP_1)
	v_rcp_f64_e32 v[118:119], v[116:117]
	s_waitcnt_depctr 0xfff
	v_fma_f64 v[120:121], -v[116:117], v[118:119], 1.0
	v_fma_f64 v[118:119], v[118:119], v[120:121], v[118:119]
	s_delay_alu instid0(VALU_DEP_1) | instskip(NEXT) | instid1(VALU_DEP_1)
	v_fma_f64 v[120:121], -v[116:117], v[118:119], 1.0
	v_fma_f64 v[118:119], v[118:119], v[120:121], v[118:119]
	s_delay_alu instid0(VALU_DEP_1) | instskip(NEXT) | instid1(VALU_DEP_1)
	v_mul_f64 v[120:121], v[122:123], v[118:119]
	v_fma_f64 v[116:117], -v[116:117], v[120:121], v[122:123]
	s_delay_alu instid0(VALU_DEP_1) | instskip(NEXT) | instid1(VALU_DEP_1)
	v_div_fmas_f64 v[116:117], v[116:117], v[118:119], v[120:121]
	v_div_fixup_f64 v[116:117], v[116:117], v[114:115], v[112:113]
	s_delay_alu instid0(VALU_DEP_1) | instskip(NEXT) | instid1(VALU_DEP_1)
	v_fma_f64 v[112:113], v[112:113], v[116:117], v[114:115]
	v_div_scale_f64 v[114:115], null, v[112:113], v[112:113], 1.0
	s_delay_alu instid0(VALU_DEP_1) | instskip(SKIP_2) | instid1(VALU_DEP_1)
	v_rcp_f64_e32 v[118:119], v[114:115]
	s_waitcnt_depctr 0xfff
	v_fma_f64 v[120:121], -v[114:115], v[118:119], 1.0
	v_fma_f64 v[118:119], v[118:119], v[120:121], v[118:119]
	s_delay_alu instid0(VALU_DEP_1) | instskip(NEXT) | instid1(VALU_DEP_1)
	v_fma_f64 v[120:121], -v[114:115], v[118:119], 1.0
	v_fma_f64 v[118:119], v[118:119], v[120:121], v[118:119]
	v_div_scale_f64 v[120:121], vcc_lo, 1.0, v[112:113], 1.0
	s_delay_alu instid0(VALU_DEP_1) | instskip(NEXT) | instid1(VALU_DEP_1)
	v_mul_f64 v[122:123], v[120:121], v[118:119]
	v_fma_f64 v[114:115], -v[114:115], v[122:123], v[120:121]
	s_delay_alu instid0(VALU_DEP_1) | instskip(NEXT) | instid1(VALU_DEP_1)
	v_div_fmas_f64 v[114:115], v[114:115], v[118:119], v[122:123]
	v_div_fixup_f64 v[118:119], v[114:115], v[112:113], 1.0
                                        ; implicit-def: $vgpr112_vgpr113
	s_delay_alu instid0(VALU_DEP_1)
	v_mul_f64 v[120:121], v[116:117], v[118:119]
	v_xor_b32_e32 v119, 0x80000000, v119
.LBB33_104:
	s_and_not1_saveexec_b32 s3, s3
	s_cbranch_execz .LBB33_106
; %bb.105:
	v_div_scale_f64 v[116:117], null, v[112:113], v[112:113], v[114:115]
	v_div_scale_f64 v[122:123], vcc_lo, v[114:115], v[112:113], v[114:115]
	s_delay_alu instid0(VALU_DEP_2) | instskip(SKIP_2) | instid1(VALU_DEP_1)
	v_rcp_f64_e32 v[118:119], v[116:117]
	s_waitcnt_depctr 0xfff
	v_fma_f64 v[120:121], -v[116:117], v[118:119], 1.0
	v_fma_f64 v[118:119], v[118:119], v[120:121], v[118:119]
	s_delay_alu instid0(VALU_DEP_1) | instskip(NEXT) | instid1(VALU_DEP_1)
	v_fma_f64 v[120:121], -v[116:117], v[118:119], 1.0
	v_fma_f64 v[118:119], v[118:119], v[120:121], v[118:119]
	s_delay_alu instid0(VALU_DEP_1) | instskip(NEXT) | instid1(VALU_DEP_1)
	v_mul_f64 v[120:121], v[122:123], v[118:119]
	v_fma_f64 v[116:117], -v[116:117], v[120:121], v[122:123]
	s_delay_alu instid0(VALU_DEP_1) | instskip(NEXT) | instid1(VALU_DEP_1)
	v_div_fmas_f64 v[116:117], v[116:117], v[118:119], v[120:121]
	v_div_fixup_f64 v[116:117], v[116:117], v[112:113], v[114:115]
	s_delay_alu instid0(VALU_DEP_1) | instskip(NEXT) | instid1(VALU_DEP_1)
	v_fma_f64 v[112:113], v[114:115], v[116:117], v[112:113]
	v_div_scale_f64 v[114:115], null, v[112:113], v[112:113], 1.0
	s_delay_alu instid0(VALU_DEP_1) | instskip(SKIP_2) | instid1(VALU_DEP_1)
	v_rcp_f64_e32 v[118:119], v[114:115]
	s_waitcnt_depctr 0xfff
	v_fma_f64 v[120:121], -v[114:115], v[118:119], 1.0
	v_fma_f64 v[118:119], v[118:119], v[120:121], v[118:119]
	s_delay_alu instid0(VALU_DEP_1) | instskip(NEXT) | instid1(VALU_DEP_1)
	v_fma_f64 v[120:121], -v[114:115], v[118:119], 1.0
	v_fma_f64 v[118:119], v[118:119], v[120:121], v[118:119]
	v_div_scale_f64 v[120:121], vcc_lo, 1.0, v[112:113], 1.0
	s_delay_alu instid0(VALU_DEP_1) | instskip(NEXT) | instid1(VALU_DEP_1)
	v_mul_f64 v[122:123], v[120:121], v[118:119]
	v_fma_f64 v[114:115], -v[114:115], v[122:123], v[120:121]
	s_delay_alu instid0(VALU_DEP_1) | instskip(NEXT) | instid1(VALU_DEP_1)
	v_div_fmas_f64 v[114:115], v[114:115], v[118:119], v[122:123]
	v_div_fixup_f64 v[120:121], v[114:115], v[112:113], 1.0
	s_delay_alu instid0(VALU_DEP_1)
	v_mul_f64 v[118:119], v[116:117], -v[120:121]
.LBB33_106:
	s_or_b32 exec_lo, exec_lo, s3
	ds_store_2addr_b64 v175, v[120:121], v[118:119] offset1:1
.LBB33_107:
	s_or_b32 exec_lo, exec_lo, s4
	s_waitcnt lgkmcnt(0)
	s_barrier
	buffer_gl0_inv
	ds_load_2addr_b64 v[112:115], v175 offset1:1
	s_mov_b32 s3, exec_lo
	v_cmpx_lt_u32_e32 11, v174
	s_cbranch_execz .LBB33_109
; %bb.108:
	s_waitcnt lgkmcnt(0)
	v_mul_f64 v[116:117], v[112:113], v[22:23]
	v_mul_f64 v[22:23], v[114:115], v[22:23]
	s_delay_alu instid0(VALU_DEP_2)
	v_fma_f64 v[172:173], v[114:115], v[20:21], v[116:117]
	ds_load_2addr_b64 v[116:119], v176 offset0:24 offset1:25
	ds_load_2addr_b64 v[120:123], v176 offset0:26 offset1:27
	;; [unrolled: 1-line block ×5, first 2 shown]
	v_fma_f64 v[20:21], v[112:113], v[20:21], -v[22:23]
	s_waitcnt lgkmcnt(4)
	v_mul_f64 v[22:23], v[118:119], v[172:173]
	v_mul_f64 v[177:178], v[116:117], v[172:173]
	s_waitcnt lgkmcnt(3)
	v_mul_f64 v[179:180], v[122:123], v[172:173]
	v_mul_f64 v[181:182], v[120:121], v[172:173]
	;; [unrolled: 3-line block ×5, first 2 shown]
	v_fma_f64 v[22:23], v[116:117], v[20:21], -v[22:23]
	v_fma_f64 v[116:117], v[118:119], v[20:21], v[177:178]
	v_fma_f64 v[118:119], v[120:121], v[20:21], -v[179:180]
	v_fma_f64 v[120:121], v[122:123], v[20:21], v[181:182]
	;; [unrolled: 2-line block ×5, first 2 shown]
	v_add_f64 v[16:17], v[16:17], -v[22:23]
	v_add_f64 v[18:19], v[18:19], -v[116:117]
	;; [unrolled: 1-line block ×10, first 2 shown]
	v_dual_mov_b32 v22, v172 :: v_dual_mov_b32 v23, v173
.LBB33_109:
	s_or_b32 exec_lo, exec_lo, s3
	s_delay_alu instid0(SALU_CYCLE_1)
	s_mov_b32 s4, exec_lo
	s_waitcnt lgkmcnt(0)
	s_barrier
	buffer_gl0_inv
	v_cmpx_eq_u32_e32 12, v174
	s_cbranch_execz .LBB33_116
; %bb.110:
	ds_store_2addr_b64 v175, v[16:17], v[18:19] offset1:1
	ds_store_2addr_b64 v176, v[12:13], v[14:15] offset0:26 offset1:27
	ds_store_2addr_b64 v176, v[8:9], v[10:11] offset0:28 offset1:29
	ds_store_2addr_b64 v176, v[4:5], v[6:7] offset0:30 offset1:31
	ds_store_2addr_b64 v176, v[0:1], v[2:3] offset0:32 offset1:33
	ds_load_2addr_b64 v[116:119], v175 offset1:1
	s_waitcnt lgkmcnt(0)
	v_cmp_neq_f64_e32 vcc_lo, 0, v[116:117]
	v_cmp_neq_f64_e64 s3, 0, v[118:119]
	s_delay_alu instid0(VALU_DEP_1) | instskip(NEXT) | instid1(SALU_CYCLE_1)
	s_or_b32 s3, vcc_lo, s3
	s_and_b32 exec_lo, exec_lo, s3
	s_cbranch_execz .LBB33_116
; %bb.111:
	v_cmp_gt_f64_e32 vcc_lo, 0, v[116:117]
	v_cmp_gt_f64_e64 s3, 0, v[118:119]
	v_xor_b32_e32 v120, 0x80000000, v117
	v_xor_b32_e32 v122, 0x80000000, v119
                                        ; implicit-def: $vgpr124_vgpr125
	s_delay_alu instid0(VALU_DEP_2) | instskip(NEXT) | instid1(VALU_DEP_2)
	v_cndmask_b32_e32 v121, v117, v120, vcc_lo
	v_cndmask_b32_e64 v123, v119, v122, s3
	v_cndmask_b32_e32 v120, v116, v116, vcc_lo
	v_cndmask_b32_e64 v122, v118, v118, s3
	s_mov_b32 s3, exec_lo
	s_delay_alu instid0(VALU_DEP_1)
	v_cmpx_ngt_f64_e32 v[120:121], v[122:123]
	s_xor_b32 s3, exec_lo, s3
                                        ; implicit-def: $vgpr120_vgpr121_vgpr122_vgpr123
	s_cbranch_execz .LBB33_113
; %bb.112:
	v_div_scale_f64 v[120:121], null, v[118:119], v[118:119], v[116:117]
	v_div_scale_f64 v[126:127], vcc_lo, v[116:117], v[118:119], v[116:117]
	s_delay_alu instid0(VALU_DEP_2) | instskip(SKIP_2) | instid1(VALU_DEP_1)
	v_rcp_f64_e32 v[122:123], v[120:121]
	s_waitcnt_depctr 0xfff
	v_fma_f64 v[124:125], -v[120:121], v[122:123], 1.0
	v_fma_f64 v[122:123], v[122:123], v[124:125], v[122:123]
	s_delay_alu instid0(VALU_DEP_1) | instskip(NEXT) | instid1(VALU_DEP_1)
	v_fma_f64 v[124:125], -v[120:121], v[122:123], 1.0
	v_fma_f64 v[122:123], v[122:123], v[124:125], v[122:123]
	s_delay_alu instid0(VALU_DEP_1) | instskip(NEXT) | instid1(VALU_DEP_1)
	v_mul_f64 v[124:125], v[126:127], v[122:123]
	v_fma_f64 v[120:121], -v[120:121], v[124:125], v[126:127]
	s_delay_alu instid0(VALU_DEP_1) | instskip(NEXT) | instid1(VALU_DEP_1)
	v_div_fmas_f64 v[120:121], v[120:121], v[122:123], v[124:125]
	v_div_fixup_f64 v[120:121], v[120:121], v[118:119], v[116:117]
	s_delay_alu instid0(VALU_DEP_1) | instskip(NEXT) | instid1(VALU_DEP_1)
	v_fma_f64 v[116:117], v[116:117], v[120:121], v[118:119]
	v_div_scale_f64 v[118:119], null, v[116:117], v[116:117], 1.0
	s_delay_alu instid0(VALU_DEP_1) | instskip(SKIP_2) | instid1(VALU_DEP_1)
	v_rcp_f64_e32 v[122:123], v[118:119]
	s_waitcnt_depctr 0xfff
	v_fma_f64 v[124:125], -v[118:119], v[122:123], 1.0
	v_fma_f64 v[122:123], v[122:123], v[124:125], v[122:123]
	s_delay_alu instid0(VALU_DEP_1) | instskip(NEXT) | instid1(VALU_DEP_1)
	v_fma_f64 v[124:125], -v[118:119], v[122:123], 1.0
	v_fma_f64 v[122:123], v[122:123], v[124:125], v[122:123]
	v_div_scale_f64 v[124:125], vcc_lo, 1.0, v[116:117], 1.0
	s_delay_alu instid0(VALU_DEP_1) | instskip(NEXT) | instid1(VALU_DEP_1)
	v_mul_f64 v[126:127], v[124:125], v[122:123]
	v_fma_f64 v[118:119], -v[118:119], v[126:127], v[124:125]
	s_delay_alu instid0(VALU_DEP_1) | instskip(NEXT) | instid1(VALU_DEP_1)
	v_div_fmas_f64 v[118:119], v[118:119], v[122:123], v[126:127]
	v_div_fixup_f64 v[122:123], v[118:119], v[116:117], 1.0
                                        ; implicit-def: $vgpr116_vgpr117
	s_delay_alu instid0(VALU_DEP_1)
	v_mul_f64 v[124:125], v[120:121], v[122:123]
	v_xor_b32_e32 v123, 0x80000000, v123
.LBB33_113:
	s_and_not1_saveexec_b32 s3, s3
	s_cbranch_execz .LBB33_115
; %bb.114:
	v_div_scale_f64 v[120:121], null, v[116:117], v[116:117], v[118:119]
	v_div_scale_f64 v[126:127], vcc_lo, v[118:119], v[116:117], v[118:119]
	s_delay_alu instid0(VALU_DEP_2) | instskip(SKIP_2) | instid1(VALU_DEP_1)
	v_rcp_f64_e32 v[122:123], v[120:121]
	s_waitcnt_depctr 0xfff
	v_fma_f64 v[124:125], -v[120:121], v[122:123], 1.0
	v_fma_f64 v[122:123], v[122:123], v[124:125], v[122:123]
	s_delay_alu instid0(VALU_DEP_1) | instskip(NEXT) | instid1(VALU_DEP_1)
	v_fma_f64 v[124:125], -v[120:121], v[122:123], 1.0
	v_fma_f64 v[122:123], v[122:123], v[124:125], v[122:123]
	s_delay_alu instid0(VALU_DEP_1) | instskip(NEXT) | instid1(VALU_DEP_1)
	v_mul_f64 v[124:125], v[126:127], v[122:123]
	v_fma_f64 v[120:121], -v[120:121], v[124:125], v[126:127]
	s_delay_alu instid0(VALU_DEP_1) | instskip(NEXT) | instid1(VALU_DEP_1)
	v_div_fmas_f64 v[120:121], v[120:121], v[122:123], v[124:125]
	v_div_fixup_f64 v[120:121], v[120:121], v[116:117], v[118:119]
	s_delay_alu instid0(VALU_DEP_1) | instskip(NEXT) | instid1(VALU_DEP_1)
	v_fma_f64 v[116:117], v[118:119], v[120:121], v[116:117]
	v_div_scale_f64 v[118:119], null, v[116:117], v[116:117], 1.0
	s_delay_alu instid0(VALU_DEP_1) | instskip(SKIP_2) | instid1(VALU_DEP_1)
	v_rcp_f64_e32 v[122:123], v[118:119]
	s_waitcnt_depctr 0xfff
	v_fma_f64 v[124:125], -v[118:119], v[122:123], 1.0
	v_fma_f64 v[122:123], v[122:123], v[124:125], v[122:123]
	s_delay_alu instid0(VALU_DEP_1) | instskip(NEXT) | instid1(VALU_DEP_1)
	v_fma_f64 v[124:125], -v[118:119], v[122:123], 1.0
	v_fma_f64 v[122:123], v[122:123], v[124:125], v[122:123]
	v_div_scale_f64 v[124:125], vcc_lo, 1.0, v[116:117], 1.0
	s_delay_alu instid0(VALU_DEP_1) | instskip(NEXT) | instid1(VALU_DEP_1)
	v_mul_f64 v[126:127], v[124:125], v[122:123]
	v_fma_f64 v[118:119], -v[118:119], v[126:127], v[124:125]
	s_delay_alu instid0(VALU_DEP_1) | instskip(NEXT) | instid1(VALU_DEP_1)
	v_div_fmas_f64 v[118:119], v[118:119], v[122:123], v[126:127]
	v_div_fixup_f64 v[124:125], v[118:119], v[116:117], 1.0
	s_delay_alu instid0(VALU_DEP_1)
	v_mul_f64 v[122:123], v[120:121], -v[124:125]
.LBB33_115:
	s_or_b32 exec_lo, exec_lo, s3
	ds_store_2addr_b64 v175, v[124:125], v[122:123] offset1:1
.LBB33_116:
	s_or_b32 exec_lo, exec_lo, s4
	s_waitcnt lgkmcnt(0)
	s_barrier
	buffer_gl0_inv
	ds_load_2addr_b64 v[116:119], v175 offset1:1
	s_mov_b32 s3, exec_lo
	v_cmpx_lt_u32_e32 12, v174
	s_cbranch_execz .LBB33_118
; %bb.117:
	s_waitcnt lgkmcnt(0)
	v_mul_f64 v[120:121], v[116:117], v[18:19]
	v_mul_f64 v[18:19], v[118:119], v[18:19]
	s_delay_alu instid0(VALU_DEP_2)
	v_fma_f64 v[172:173], v[118:119], v[16:17], v[120:121]
	ds_load_2addr_b64 v[120:123], v176 offset0:26 offset1:27
	ds_load_2addr_b64 v[124:127], v176 offset0:28 offset1:29
	;; [unrolled: 1-line block ×4, first 2 shown]
	v_fma_f64 v[16:17], v[116:117], v[16:17], -v[18:19]
	s_waitcnt lgkmcnt(3)
	v_mul_f64 v[18:19], v[122:123], v[172:173]
	v_mul_f64 v[177:178], v[120:121], v[172:173]
	s_waitcnt lgkmcnt(2)
	v_mul_f64 v[179:180], v[126:127], v[172:173]
	v_mul_f64 v[181:182], v[124:125], v[172:173]
	;; [unrolled: 3-line block ×4, first 2 shown]
	v_fma_f64 v[18:19], v[120:121], v[16:17], -v[18:19]
	v_fma_f64 v[120:121], v[122:123], v[16:17], v[177:178]
	v_fma_f64 v[122:123], v[124:125], v[16:17], -v[179:180]
	v_fma_f64 v[124:125], v[126:127], v[16:17], v[181:182]
	;; [unrolled: 2-line block ×4, first 2 shown]
	v_add_f64 v[12:13], v[12:13], -v[18:19]
	v_add_f64 v[14:15], v[14:15], -v[120:121]
	;; [unrolled: 1-line block ×8, first 2 shown]
	v_dual_mov_b32 v18, v172 :: v_dual_mov_b32 v19, v173
.LBB33_118:
	s_or_b32 exec_lo, exec_lo, s3
	s_delay_alu instid0(SALU_CYCLE_1)
	s_mov_b32 s4, exec_lo
	s_waitcnt lgkmcnt(0)
	s_barrier
	buffer_gl0_inv
	v_cmpx_eq_u32_e32 13, v174
	s_cbranch_execz .LBB33_125
; %bb.119:
	ds_store_2addr_b64 v175, v[12:13], v[14:15] offset1:1
	ds_store_2addr_b64 v176, v[8:9], v[10:11] offset0:28 offset1:29
	ds_store_2addr_b64 v176, v[4:5], v[6:7] offset0:30 offset1:31
	;; [unrolled: 1-line block ×3, first 2 shown]
	ds_load_2addr_b64 v[120:123], v175 offset1:1
	s_waitcnt lgkmcnt(0)
	v_cmp_neq_f64_e32 vcc_lo, 0, v[120:121]
	v_cmp_neq_f64_e64 s3, 0, v[122:123]
	s_delay_alu instid0(VALU_DEP_1) | instskip(NEXT) | instid1(SALU_CYCLE_1)
	s_or_b32 s3, vcc_lo, s3
	s_and_b32 exec_lo, exec_lo, s3
	s_cbranch_execz .LBB33_125
; %bb.120:
	v_cmp_gt_f64_e32 vcc_lo, 0, v[120:121]
	v_cmp_gt_f64_e64 s3, 0, v[122:123]
	v_xor_b32_e32 v124, 0x80000000, v121
	v_xor_b32_e32 v126, 0x80000000, v123
                                        ; implicit-def: $vgpr128_vgpr129
	s_delay_alu instid0(VALU_DEP_2) | instskip(NEXT) | instid1(VALU_DEP_2)
	v_cndmask_b32_e32 v125, v121, v124, vcc_lo
	v_cndmask_b32_e64 v127, v123, v126, s3
	v_cndmask_b32_e32 v124, v120, v120, vcc_lo
	v_cndmask_b32_e64 v126, v122, v122, s3
	s_mov_b32 s3, exec_lo
	s_delay_alu instid0(VALU_DEP_1)
	v_cmpx_ngt_f64_e32 v[124:125], v[126:127]
	s_xor_b32 s3, exec_lo, s3
                                        ; implicit-def: $vgpr124_vgpr125_vgpr126_vgpr127
	s_cbranch_execz .LBB33_122
; %bb.121:
	v_div_scale_f64 v[124:125], null, v[122:123], v[122:123], v[120:121]
	v_div_scale_f64 v[130:131], vcc_lo, v[120:121], v[122:123], v[120:121]
	s_delay_alu instid0(VALU_DEP_2) | instskip(SKIP_2) | instid1(VALU_DEP_1)
	v_rcp_f64_e32 v[126:127], v[124:125]
	s_waitcnt_depctr 0xfff
	v_fma_f64 v[128:129], -v[124:125], v[126:127], 1.0
	v_fma_f64 v[126:127], v[126:127], v[128:129], v[126:127]
	s_delay_alu instid0(VALU_DEP_1) | instskip(NEXT) | instid1(VALU_DEP_1)
	v_fma_f64 v[128:129], -v[124:125], v[126:127], 1.0
	v_fma_f64 v[126:127], v[126:127], v[128:129], v[126:127]
	s_delay_alu instid0(VALU_DEP_1) | instskip(NEXT) | instid1(VALU_DEP_1)
	v_mul_f64 v[128:129], v[130:131], v[126:127]
	v_fma_f64 v[124:125], -v[124:125], v[128:129], v[130:131]
	s_delay_alu instid0(VALU_DEP_1) | instskip(NEXT) | instid1(VALU_DEP_1)
	v_div_fmas_f64 v[124:125], v[124:125], v[126:127], v[128:129]
	v_div_fixup_f64 v[124:125], v[124:125], v[122:123], v[120:121]
	s_delay_alu instid0(VALU_DEP_1) | instskip(NEXT) | instid1(VALU_DEP_1)
	v_fma_f64 v[120:121], v[120:121], v[124:125], v[122:123]
	v_div_scale_f64 v[122:123], null, v[120:121], v[120:121], 1.0
	s_delay_alu instid0(VALU_DEP_1) | instskip(SKIP_2) | instid1(VALU_DEP_1)
	v_rcp_f64_e32 v[126:127], v[122:123]
	s_waitcnt_depctr 0xfff
	v_fma_f64 v[128:129], -v[122:123], v[126:127], 1.0
	v_fma_f64 v[126:127], v[126:127], v[128:129], v[126:127]
	s_delay_alu instid0(VALU_DEP_1) | instskip(NEXT) | instid1(VALU_DEP_1)
	v_fma_f64 v[128:129], -v[122:123], v[126:127], 1.0
	v_fma_f64 v[126:127], v[126:127], v[128:129], v[126:127]
	v_div_scale_f64 v[128:129], vcc_lo, 1.0, v[120:121], 1.0
	s_delay_alu instid0(VALU_DEP_1) | instskip(NEXT) | instid1(VALU_DEP_1)
	v_mul_f64 v[130:131], v[128:129], v[126:127]
	v_fma_f64 v[122:123], -v[122:123], v[130:131], v[128:129]
	s_delay_alu instid0(VALU_DEP_1) | instskip(NEXT) | instid1(VALU_DEP_1)
	v_div_fmas_f64 v[122:123], v[122:123], v[126:127], v[130:131]
	v_div_fixup_f64 v[126:127], v[122:123], v[120:121], 1.0
                                        ; implicit-def: $vgpr120_vgpr121
	s_delay_alu instid0(VALU_DEP_1)
	v_mul_f64 v[128:129], v[124:125], v[126:127]
	v_xor_b32_e32 v127, 0x80000000, v127
.LBB33_122:
	s_and_not1_saveexec_b32 s3, s3
	s_cbranch_execz .LBB33_124
; %bb.123:
	v_div_scale_f64 v[124:125], null, v[120:121], v[120:121], v[122:123]
	v_div_scale_f64 v[130:131], vcc_lo, v[122:123], v[120:121], v[122:123]
	s_delay_alu instid0(VALU_DEP_2) | instskip(SKIP_2) | instid1(VALU_DEP_1)
	v_rcp_f64_e32 v[126:127], v[124:125]
	s_waitcnt_depctr 0xfff
	v_fma_f64 v[128:129], -v[124:125], v[126:127], 1.0
	v_fma_f64 v[126:127], v[126:127], v[128:129], v[126:127]
	s_delay_alu instid0(VALU_DEP_1) | instskip(NEXT) | instid1(VALU_DEP_1)
	v_fma_f64 v[128:129], -v[124:125], v[126:127], 1.0
	v_fma_f64 v[126:127], v[126:127], v[128:129], v[126:127]
	s_delay_alu instid0(VALU_DEP_1) | instskip(NEXT) | instid1(VALU_DEP_1)
	v_mul_f64 v[128:129], v[130:131], v[126:127]
	v_fma_f64 v[124:125], -v[124:125], v[128:129], v[130:131]
	s_delay_alu instid0(VALU_DEP_1) | instskip(NEXT) | instid1(VALU_DEP_1)
	v_div_fmas_f64 v[124:125], v[124:125], v[126:127], v[128:129]
	v_div_fixup_f64 v[124:125], v[124:125], v[120:121], v[122:123]
	s_delay_alu instid0(VALU_DEP_1) | instskip(NEXT) | instid1(VALU_DEP_1)
	v_fma_f64 v[120:121], v[122:123], v[124:125], v[120:121]
	v_div_scale_f64 v[122:123], null, v[120:121], v[120:121], 1.0
	s_delay_alu instid0(VALU_DEP_1) | instskip(SKIP_2) | instid1(VALU_DEP_1)
	v_rcp_f64_e32 v[126:127], v[122:123]
	s_waitcnt_depctr 0xfff
	v_fma_f64 v[128:129], -v[122:123], v[126:127], 1.0
	v_fma_f64 v[126:127], v[126:127], v[128:129], v[126:127]
	s_delay_alu instid0(VALU_DEP_1) | instskip(NEXT) | instid1(VALU_DEP_1)
	v_fma_f64 v[128:129], -v[122:123], v[126:127], 1.0
	v_fma_f64 v[126:127], v[126:127], v[128:129], v[126:127]
	v_div_scale_f64 v[128:129], vcc_lo, 1.0, v[120:121], 1.0
	s_delay_alu instid0(VALU_DEP_1) | instskip(NEXT) | instid1(VALU_DEP_1)
	v_mul_f64 v[130:131], v[128:129], v[126:127]
	v_fma_f64 v[122:123], -v[122:123], v[130:131], v[128:129]
	s_delay_alu instid0(VALU_DEP_1) | instskip(NEXT) | instid1(VALU_DEP_1)
	v_div_fmas_f64 v[122:123], v[122:123], v[126:127], v[130:131]
	v_div_fixup_f64 v[128:129], v[122:123], v[120:121], 1.0
	s_delay_alu instid0(VALU_DEP_1)
	v_mul_f64 v[126:127], v[124:125], -v[128:129]
.LBB33_124:
	s_or_b32 exec_lo, exec_lo, s3
	ds_store_2addr_b64 v175, v[128:129], v[126:127] offset1:1
.LBB33_125:
	s_or_b32 exec_lo, exec_lo, s4
	s_waitcnt lgkmcnt(0)
	s_barrier
	buffer_gl0_inv
	ds_load_2addr_b64 v[120:123], v175 offset1:1
	s_mov_b32 s3, exec_lo
	v_cmpx_lt_u32_e32 13, v174
	s_cbranch_execz .LBB33_127
; %bb.126:
	s_waitcnt lgkmcnt(0)
	v_mul_f64 v[124:125], v[120:121], v[14:15]
	v_mul_f64 v[14:15], v[122:123], v[14:15]
	s_delay_alu instid0(VALU_DEP_2)
	v_fma_f64 v[172:173], v[122:123], v[12:13], v[124:125]
	ds_load_2addr_b64 v[124:127], v176 offset0:28 offset1:29
	ds_load_2addr_b64 v[128:131], v176 offset0:30 offset1:31
	;; [unrolled: 1-line block ×3, first 2 shown]
	v_fma_f64 v[12:13], v[120:121], v[12:13], -v[14:15]
	s_waitcnt lgkmcnt(2)
	v_mul_f64 v[14:15], v[126:127], v[172:173]
	v_mul_f64 v[177:178], v[124:125], v[172:173]
	s_waitcnt lgkmcnt(1)
	v_mul_f64 v[179:180], v[130:131], v[172:173]
	v_mul_f64 v[181:182], v[128:129], v[172:173]
	;; [unrolled: 3-line block ×3, first 2 shown]
	v_fma_f64 v[14:15], v[124:125], v[12:13], -v[14:15]
	v_fma_f64 v[124:125], v[126:127], v[12:13], v[177:178]
	v_fma_f64 v[126:127], v[128:129], v[12:13], -v[179:180]
	v_fma_f64 v[128:129], v[130:131], v[12:13], v[181:182]
	;; [unrolled: 2-line block ×3, first 2 shown]
	v_add_f64 v[8:9], v[8:9], -v[14:15]
	v_add_f64 v[10:11], v[10:11], -v[124:125]
	;; [unrolled: 1-line block ×6, first 2 shown]
	v_dual_mov_b32 v14, v172 :: v_dual_mov_b32 v15, v173
.LBB33_127:
	s_or_b32 exec_lo, exec_lo, s3
	s_delay_alu instid0(SALU_CYCLE_1)
	s_mov_b32 s4, exec_lo
	s_waitcnt lgkmcnt(0)
	s_barrier
	buffer_gl0_inv
	v_cmpx_eq_u32_e32 14, v174
	s_cbranch_execz .LBB33_134
; %bb.128:
	ds_store_2addr_b64 v175, v[8:9], v[10:11] offset1:1
	ds_store_2addr_b64 v176, v[4:5], v[6:7] offset0:30 offset1:31
	ds_store_2addr_b64 v176, v[0:1], v[2:3] offset0:32 offset1:33
	ds_load_2addr_b64 v[124:127], v175 offset1:1
	s_waitcnt lgkmcnt(0)
	v_cmp_neq_f64_e32 vcc_lo, 0, v[124:125]
	v_cmp_neq_f64_e64 s3, 0, v[126:127]
	s_delay_alu instid0(VALU_DEP_1) | instskip(NEXT) | instid1(SALU_CYCLE_1)
	s_or_b32 s3, vcc_lo, s3
	s_and_b32 exec_lo, exec_lo, s3
	s_cbranch_execz .LBB33_134
; %bb.129:
	v_cmp_gt_f64_e32 vcc_lo, 0, v[124:125]
	v_cmp_gt_f64_e64 s3, 0, v[126:127]
	v_xor_b32_e32 v128, 0x80000000, v125
	v_xor_b32_e32 v130, 0x80000000, v127
                                        ; implicit-def: $vgpr132_vgpr133
	s_delay_alu instid0(VALU_DEP_2) | instskip(NEXT) | instid1(VALU_DEP_2)
	v_cndmask_b32_e32 v129, v125, v128, vcc_lo
	v_cndmask_b32_e64 v131, v127, v130, s3
	v_cndmask_b32_e32 v128, v124, v124, vcc_lo
	v_cndmask_b32_e64 v130, v126, v126, s3
	s_mov_b32 s3, exec_lo
	s_delay_alu instid0(VALU_DEP_1)
	v_cmpx_ngt_f64_e32 v[128:129], v[130:131]
	s_xor_b32 s3, exec_lo, s3
                                        ; implicit-def: $vgpr128_vgpr129_vgpr130_vgpr131
	s_cbranch_execz .LBB33_131
; %bb.130:
	v_div_scale_f64 v[128:129], null, v[126:127], v[126:127], v[124:125]
	v_div_scale_f64 v[134:135], vcc_lo, v[124:125], v[126:127], v[124:125]
	s_delay_alu instid0(VALU_DEP_2) | instskip(SKIP_2) | instid1(VALU_DEP_1)
	v_rcp_f64_e32 v[130:131], v[128:129]
	s_waitcnt_depctr 0xfff
	v_fma_f64 v[132:133], -v[128:129], v[130:131], 1.0
	v_fma_f64 v[130:131], v[130:131], v[132:133], v[130:131]
	s_delay_alu instid0(VALU_DEP_1) | instskip(NEXT) | instid1(VALU_DEP_1)
	v_fma_f64 v[132:133], -v[128:129], v[130:131], 1.0
	v_fma_f64 v[130:131], v[130:131], v[132:133], v[130:131]
	s_delay_alu instid0(VALU_DEP_1) | instskip(NEXT) | instid1(VALU_DEP_1)
	v_mul_f64 v[132:133], v[134:135], v[130:131]
	v_fma_f64 v[128:129], -v[128:129], v[132:133], v[134:135]
	s_delay_alu instid0(VALU_DEP_1) | instskip(NEXT) | instid1(VALU_DEP_1)
	v_div_fmas_f64 v[128:129], v[128:129], v[130:131], v[132:133]
	v_div_fixup_f64 v[128:129], v[128:129], v[126:127], v[124:125]
	s_delay_alu instid0(VALU_DEP_1) | instskip(NEXT) | instid1(VALU_DEP_1)
	v_fma_f64 v[124:125], v[124:125], v[128:129], v[126:127]
	v_div_scale_f64 v[126:127], null, v[124:125], v[124:125], 1.0
	s_delay_alu instid0(VALU_DEP_1) | instskip(SKIP_2) | instid1(VALU_DEP_1)
	v_rcp_f64_e32 v[130:131], v[126:127]
	s_waitcnt_depctr 0xfff
	v_fma_f64 v[132:133], -v[126:127], v[130:131], 1.0
	v_fma_f64 v[130:131], v[130:131], v[132:133], v[130:131]
	s_delay_alu instid0(VALU_DEP_1) | instskip(NEXT) | instid1(VALU_DEP_1)
	v_fma_f64 v[132:133], -v[126:127], v[130:131], 1.0
	v_fma_f64 v[130:131], v[130:131], v[132:133], v[130:131]
	v_div_scale_f64 v[132:133], vcc_lo, 1.0, v[124:125], 1.0
	s_delay_alu instid0(VALU_DEP_1) | instskip(NEXT) | instid1(VALU_DEP_1)
	v_mul_f64 v[134:135], v[132:133], v[130:131]
	v_fma_f64 v[126:127], -v[126:127], v[134:135], v[132:133]
	s_delay_alu instid0(VALU_DEP_1) | instskip(NEXT) | instid1(VALU_DEP_1)
	v_div_fmas_f64 v[126:127], v[126:127], v[130:131], v[134:135]
	v_div_fixup_f64 v[130:131], v[126:127], v[124:125], 1.0
                                        ; implicit-def: $vgpr124_vgpr125
	s_delay_alu instid0(VALU_DEP_1)
	v_mul_f64 v[132:133], v[128:129], v[130:131]
	v_xor_b32_e32 v131, 0x80000000, v131
.LBB33_131:
	s_and_not1_saveexec_b32 s3, s3
	s_cbranch_execz .LBB33_133
; %bb.132:
	v_div_scale_f64 v[128:129], null, v[124:125], v[124:125], v[126:127]
	v_div_scale_f64 v[134:135], vcc_lo, v[126:127], v[124:125], v[126:127]
	s_delay_alu instid0(VALU_DEP_2) | instskip(SKIP_2) | instid1(VALU_DEP_1)
	v_rcp_f64_e32 v[130:131], v[128:129]
	s_waitcnt_depctr 0xfff
	v_fma_f64 v[132:133], -v[128:129], v[130:131], 1.0
	v_fma_f64 v[130:131], v[130:131], v[132:133], v[130:131]
	s_delay_alu instid0(VALU_DEP_1) | instskip(NEXT) | instid1(VALU_DEP_1)
	v_fma_f64 v[132:133], -v[128:129], v[130:131], 1.0
	v_fma_f64 v[130:131], v[130:131], v[132:133], v[130:131]
	s_delay_alu instid0(VALU_DEP_1) | instskip(NEXT) | instid1(VALU_DEP_1)
	v_mul_f64 v[132:133], v[134:135], v[130:131]
	v_fma_f64 v[128:129], -v[128:129], v[132:133], v[134:135]
	s_delay_alu instid0(VALU_DEP_1) | instskip(NEXT) | instid1(VALU_DEP_1)
	v_div_fmas_f64 v[128:129], v[128:129], v[130:131], v[132:133]
	v_div_fixup_f64 v[128:129], v[128:129], v[124:125], v[126:127]
	s_delay_alu instid0(VALU_DEP_1) | instskip(NEXT) | instid1(VALU_DEP_1)
	v_fma_f64 v[124:125], v[126:127], v[128:129], v[124:125]
	v_div_scale_f64 v[126:127], null, v[124:125], v[124:125], 1.0
	s_delay_alu instid0(VALU_DEP_1) | instskip(SKIP_2) | instid1(VALU_DEP_1)
	v_rcp_f64_e32 v[130:131], v[126:127]
	s_waitcnt_depctr 0xfff
	v_fma_f64 v[132:133], -v[126:127], v[130:131], 1.0
	v_fma_f64 v[130:131], v[130:131], v[132:133], v[130:131]
	s_delay_alu instid0(VALU_DEP_1) | instskip(NEXT) | instid1(VALU_DEP_1)
	v_fma_f64 v[132:133], -v[126:127], v[130:131], 1.0
	v_fma_f64 v[130:131], v[130:131], v[132:133], v[130:131]
	v_div_scale_f64 v[132:133], vcc_lo, 1.0, v[124:125], 1.0
	s_delay_alu instid0(VALU_DEP_1) | instskip(NEXT) | instid1(VALU_DEP_1)
	v_mul_f64 v[134:135], v[132:133], v[130:131]
	v_fma_f64 v[126:127], -v[126:127], v[134:135], v[132:133]
	s_delay_alu instid0(VALU_DEP_1) | instskip(NEXT) | instid1(VALU_DEP_1)
	v_div_fmas_f64 v[126:127], v[126:127], v[130:131], v[134:135]
	v_div_fixup_f64 v[132:133], v[126:127], v[124:125], 1.0
	s_delay_alu instid0(VALU_DEP_1)
	v_mul_f64 v[130:131], v[128:129], -v[132:133]
.LBB33_133:
	s_or_b32 exec_lo, exec_lo, s3
	ds_store_2addr_b64 v175, v[132:133], v[130:131] offset1:1
.LBB33_134:
	s_or_b32 exec_lo, exec_lo, s4
	s_waitcnt lgkmcnt(0)
	s_barrier
	buffer_gl0_inv
	ds_load_2addr_b64 v[124:127], v175 offset1:1
	s_mov_b32 s3, exec_lo
	v_cmpx_lt_u32_e32 14, v174
	s_cbranch_execz .LBB33_136
; %bb.135:
	s_waitcnt lgkmcnt(0)
	v_mul_f64 v[128:129], v[124:125], v[10:11]
	v_mul_f64 v[10:11], v[126:127], v[10:11]
	s_delay_alu instid0(VALU_DEP_2)
	v_fma_f64 v[172:173], v[126:127], v[8:9], v[128:129]
	ds_load_2addr_b64 v[128:131], v176 offset0:30 offset1:31
	ds_load_2addr_b64 v[132:135], v176 offset0:32 offset1:33
	v_fma_f64 v[8:9], v[124:125], v[8:9], -v[10:11]
	s_waitcnt lgkmcnt(1)
	v_mul_f64 v[10:11], v[130:131], v[172:173]
	v_mul_f64 v[177:178], v[128:129], v[172:173]
	s_waitcnt lgkmcnt(0)
	v_mul_f64 v[179:180], v[134:135], v[172:173]
	v_mul_f64 v[181:182], v[132:133], v[172:173]
	s_delay_alu instid0(VALU_DEP_4) | instskip(NEXT) | instid1(VALU_DEP_4)
	v_fma_f64 v[10:11], v[128:129], v[8:9], -v[10:11]
	v_fma_f64 v[128:129], v[130:131], v[8:9], v[177:178]
	s_delay_alu instid0(VALU_DEP_4) | instskip(NEXT) | instid1(VALU_DEP_4)
	v_fma_f64 v[130:131], v[132:133], v[8:9], -v[179:180]
	v_fma_f64 v[132:133], v[134:135], v[8:9], v[181:182]
	s_delay_alu instid0(VALU_DEP_4) | instskip(NEXT) | instid1(VALU_DEP_4)
	v_add_f64 v[4:5], v[4:5], -v[10:11]
	v_add_f64 v[6:7], v[6:7], -v[128:129]
	s_delay_alu instid0(VALU_DEP_4) | instskip(NEXT) | instid1(VALU_DEP_4)
	v_add_f64 v[0:1], v[0:1], -v[130:131]
	v_add_f64 v[2:3], v[2:3], -v[132:133]
	v_dual_mov_b32 v10, v172 :: v_dual_mov_b32 v11, v173
.LBB33_136:
	s_or_b32 exec_lo, exec_lo, s3
	s_delay_alu instid0(SALU_CYCLE_1)
	s_mov_b32 s4, exec_lo
	s_waitcnt lgkmcnt(0)
	s_barrier
	buffer_gl0_inv
	v_cmpx_eq_u32_e32 15, v174
	s_cbranch_execz .LBB33_143
; %bb.137:
	ds_store_2addr_b64 v175, v[4:5], v[6:7] offset1:1
	ds_store_2addr_b64 v176, v[0:1], v[2:3] offset0:32 offset1:33
	ds_load_2addr_b64 v[128:131], v175 offset1:1
	s_waitcnt lgkmcnt(0)
	v_cmp_neq_f64_e32 vcc_lo, 0, v[128:129]
	v_cmp_neq_f64_e64 s3, 0, v[130:131]
	s_delay_alu instid0(VALU_DEP_1) | instskip(NEXT) | instid1(SALU_CYCLE_1)
	s_or_b32 s3, vcc_lo, s3
	s_and_b32 exec_lo, exec_lo, s3
	s_cbranch_execz .LBB33_143
; %bb.138:
	v_cmp_gt_f64_e32 vcc_lo, 0, v[128:129]
	v_cmp_gt_f64_e64 s3, 0, v[130:131]
	v_xor_b32_e32 v132, 0x80000000, v129
	v_xor_b32_e32 v134, 0x80000000, v131
                                        ; implicit-def: $vgpr172_vgpr173
	s_delay_alu instid0(VALU_DEP_2) | instskip(NEXT) | instid1(VALU_DEP_2)
	v_cndmask_b32_e32 v133, v129, v132, vcc_lo
	v_cndmask_b32_e64 v135, v131, v134, s3
	v_cndmask_b32_e32 v132, v128, v128, vcc_lo
	v_cndmask_b32_e64 v134, v130, v130, s3
	s_mov_b32 s3, exec_lo
	s_delay_alu instid0(VALU_DEP_1)
	v_cmpx_ngt_f64_e32 v[132:133], v[134:135]
	s_xor_b32 s3, exec_lo, s3
                                        ; implicit-def: $vgpr132_vgpr133_vgpr134_vgpr135
	s_cbranch_execz .LBB33_140
; %bb.139:
	v_div_scale_f64 v[132:133], null, v[130:131], v[130:131], v[128:129]
	v_div_scale_f64 v[177:178], vcc_lo, v[128:129], v[130:131], v[128:129]
	s_delay_alu instid0(VALU_DEP_2) | instskip(SKIP_2) | instid1(VALU_DEP_1)
	v_rcp_f64_e32 v[134:135], v[132:133]
	s_waitcnt_depctr 0xfff
	v_fma_f64 v[172:173], -v[132:133], v[134:135], 1.0
	v_fma_f64 v[134:135], v[134:135], v[172:173], v[134:135]
	s_delay_alu instid0(VALU_DEP_1) | instskip(NEXT) | instid1(VALU_DEP_1)
	v_fma_f64 v[172:173], -v[132:133], v[134:135], 1.0
	v_fma_f64 v[134:135], v[134:135], v[172:173], v[134:135]
	s_delay_alu instid0(VALU_DEP_1) | instskip(NEXT) | instid1(VALU_DEP_1)
	v_mul_f64 v[172:173], v[177:178], v[134:135]
	v_fma_f64 v[132:133], -v[132:133], v[172:173], v[177:178]
	s_delay_alu instid0(VALU_DEP_1) | instskip(NEXT) | instid1(VALU_DEP_1)
	v_div_fmas_f64 v[132:133], v[132:133], v[134:135], v[172:173]
	v_div_fixup_f64 v[132:133], v[132:133], v[130:131], v[128:129]
	s_delay_alu instid0(VALU_DEP_1) | instskip(NEXT) | instid1(VALU_DEP_1)
	v_fma_f64 v[128:129], v[128:129], v[132:133], v[130:131]
	v_div_scale_f64 v[130:131], null, v[128:129], v[128:129], 1.0
	s_delay_alu instid0(VALU_DEP_1) | instskip(SKIP_2) | instid1(VALU_DEP_1)
	v_rcp_f64_e32 v[134:135], v[130:131]
	s_waitcnt_depctr 0xfff
	v_fma_f64 v[172:173], -v[130:131], v[134:135], 1.0
	v_fma_f64 v[134:135], v[134:135], v[172:173], v[134:135]
	s_delay_alu instid0(VALU_DEP_1) | instskip(NEXT) | instid1(VALU_DEP_1)
	v_fma_f64 v[172:173], -v[130:131], v[134:135], 1.0
	v_fma_f64 v[134:135], v[134:135], v[172:173], v[134:135]
	v_div_scale_f64 v[172:173], vcc_lo, 1.0, v[128:129], 1.0
	s_delay_alu instid0(VALU_DEP_1) | instskip(NEXT) | instid1(VALU_DEP_1)
	v_mul_f64 v[177:178], v[172:173], v[134:135]
	v_fma_f64 v[130:131], -v[130:131], v[177:178], v[172:173]
	s_delay_alu instid0(VALU_DEP_1) | instskip(NEXT) | instid1(VALU_DEP_1)
	v_div_fmas_f64 v[130:131], v[130:131], v[134:135], v[177:178]
	v_div_fixup_f64 v[134:135], v[130:131], v[128:129], 1.0
                                        ; implicit-def: $vgpr128_vgpr129
	s_delay_alu instid0(VALU_DEP_1)
	v_mul_f64 v[172:173], v[132:133], v[134:135]
	v_xor_b32_e32 v135, 0x80000000, v135
.LBB33_140:
	s_and_not1_saveexec_b32 s3, s3
	s_cbranch_execz .LBB33_142
; %bb.141:
	v_div_scale_f64 v[132:133], null, v[128:129], v[128:129], v[130:131]
	v_div_scale_f64 v[177:178], vcc_lo, v[130:131], v[128:129], v[130:131]
	s_delay_alu instid0(VALU_DEP_2) | instskip(SKIP_2) | instid1(VALU_DEP_1)
	v_rcp_f64_e32 v[134:135], v[132:133]
	s_waitcnt_depctr 0xfff
	v_fma_f64 v[172:173], -v[132:133], v[134:135], 1.0
	v_fma_f64 v[134:135], v[134:135], v[172:173], v[134:135]
	s_delay_alu instid0(VALU_DEP_1) | instskip(NEXT) | instid1(VALU_DEP_1)
	v_fma_f64 v[172:173], -v[132:133], v[134:135], 1.0
	v_fma_f64 v[134:135], v[134:135], v[172:173], v[134:135]
	s_delay_alu instid0(VALU_DEP_1) | instskip(NEXT) | instid1(VALU_DEP_1)
	v_mul_f64 v[172:173], v[177:178], v[134:135]
	v_fma_f64 v[132:133], -v[132:133], v[172:173], v[177:178]
	s_delay_alu instid0(VALU_DEP_1) | instskip(NEXT) | instid1(VALU_DEP_1)
	v_div_fmas_f64 v[132:133], v[132:133], v[134:135], v[172:173]
	v_div_fixup_f64 v[132:133], v[132:133], v[128:129], v[130:131]
	s_delay_alu instid0(VALU_DEP_1) | instskip(NEXT) | instid1(VALU_DEP_1)
	v_fma_f64 v[128:129], v[130:131], v[132:133], v[128:129]
	v_div_scale_f64 v[130:131], null, v[128:129], v[128:129], 1.0
	s_delay_alu instid0(VALU_DEP_1) | instskip(SKIP_2) | instid1(VALU_DEP_1)
	v_rcp_f64_e32 v[134:135], v[130:131]
	s_waitcnt_depctr 0xfff
	v_fma_f64 v[172:173], -v[130:131], v[134:135], 1.0
	v_fma_f64 v[134:135], v[134:135], v[172:173], v[134:135]
	s_delay_alu instid0(VALU_DEP_1) | instskip(NEXT) | instid1(VALU_DEP_1)
	v_fma_f64 v[172:173], -v[130:131], v[134:135], 1.0
	v_fma_f64 v[134:135], v[134:135], v[172:173], v[134:135]
	v_div_scale_f64 v[172:173], vcc_lo, 1.0, v[128:129], 1.0
	s_delay_alu instid0(VALU_DEP_1) | instskip(NEXT) | instid1(VALU_DEP_1)
	v_mul_f64 v[177:178], v[172:173], v[134:135]
	v_fma_f64 v[130:131], -v[130:131], v[177:178], v[172:173]
	s_delay_alu instid0(VALU_DEP_1) | instskip(NEXT) | instid1(VALU_DEP_1)
	v_div_fmas_f64 v[130:131], v[130:131], v[134:135], v[177:178]
	v_div_fixup_f64 v[172:173], v[130:131], v[128:129], 1.0
	s_delay_alu instid0(VALU_DEP_1)
	v_mul_f64 v[134:135], v[132:133], -v[172:173]
.LBB33_142:
	s_or_b32 exec_lo, exec_lo, s3
	ds_store_2addr_b64 v175, v[172:173], v[134:135] offset1:1
.LBB33_143:
	s_or_b32 exec_lo, exec_lo, s4
	s_waitcnt lgkmcnt(0)
	s_barrier
	buffer_gl0_inv
	ds_load_2addr_b64 v[128:131], v175 offset1:1
	s_mov_b32 s3, exec_lo
	v_cmpx_lt_u32_e32 15, v174
	s_cbranch_execz .LBB33_145
; %bb.144:
	s_waitcnt lgkmcnt(0)
	v_mul_f64 v[132:133], v[128:129], v[6:7]
	v_mul_f64 v[6:7], v[130:131], v[6:7]
	s_delay_alu instid0(VALU_DEP_2)
	v_fma_f64 v[172:173], v[130:131], v[4:5], v[132:133]
	ds_load_2addr_b64 v[132:135], v176 offset0:32 offset1:33
	v_fma_f64 v[4:5], v[128:129], v[4:5], -v[6:7]
	s_waitcnt lgkmcnt(0)
	v_mul_f64 v[6:7], v[134:135], v[172:173]
	v_mul_f64 v[176:177], v[132:133], v[172:173]
	s_delay_alu instid0(VALU_DEP_2) | instskip(NEXT) | instid1(VALU_DEP_2)
	v_fma_f64 v[6:7], v[132:133], v[4:5], -v[6:7]
	v_fma_f64 v[132:133], v[134:135], v[4:5], v[176:177]
	s_delay_alu instid0(VALU_DEP_2) | instskip(NEXT) | instid1(VALU_DEP_2)
	v_add_f64 v[0:1], v[0:1], -v[6:7]
	v_add_f64 v[2:3], v[2:3], -v[132:133]
	v_dual_mov_b32 v6, v172 :: v_dual_mov_b32 v7, v173
.LBB33_145:
	s_or_b32 exec_lo, exec_lo, s3
	s_delay_alu instid0(SALU_CYCLE_1)
	s_mov_b32 s4, exec_lo
	s_waitcnt lgkmcnt(0)
	s_barrier
	buffer_gl0_inv
	v_cmpx_eq_u32_e32 16, v174
	s_cbranch_execz .LBB33_152
; %bb.146:
	v_cmp_neq_f64_e32 vcc_lo, 0, v[0:1]
	v_cmp_neq_f64_e64 s3, 0, v[2:3]
	ds_store_2addr_b64 v175, v[0:1], v[2:3] offset1:1
	s_or_b32 s3, vcc_lo, s3
	s_delay_alu instid0(SALU_CYCLE_1)
	s_and_b32 exec_lo, exec_lo, s3
	s_cbranch_execz .LBB33_152
; %bb.147:
	v_cmp_gt_f64_e32 vcc_lo, 0, v[0:1]
	v_cmp_gt_f64_e64 s3, 0, v[2:3]
	v_xor_b32_e32 v132, 0x80000000, v1
	v_xor_b32_e32 v134, 0x80000000, v3
                                        ; implicit-def: $vgpr172_vgpr173
	s_delay_alu instid0(VALU_DEP_2) | instskip(NEXT) | instid1(VALU_DEP_2)
	v_cndmask_b32_e32 v133, v1, v132, vcc_lo
	v_cndmask_b32_e64 v135, v3, v134, s3
	v_cndmask_b32_e32 v132, v0, v0, vcc_lo
	v_cndmask_b32_e64 v134, v2, v2, s3
	s_mov_b32 s3, exec_lo
	s_delay_alu instid0(VALU_DEP_1)
	v_cmpx_ngt_f64_e32 v[132:133], v[134:135]
	s_xor_b32 s3, exec_lo, s3
                                        ; implicit-def: $vgpr132_vgpr133_vgpr134_vgpr135
	s_cbranch_execz .LBB33_149
; %bb.148:
	v_div_scale_f64 v[132:133], null, v[2:3], v[2:3], v[0:1]
	v_div_scale_f64 v[176:177], vcc_lo, v[0:1], v[2:3], v[0:1]
	s_delay_alu instid0(VALU_DEP_2) | instskip(SKIP_2) | instid1(VALU_DEP_1)
	v_rcp_f64_e32 v[134:135], v[132:133]
	s_waitcnt_depctr 0xfff
	v_fma_f64 v[172:173], -v[132:133], v[134:135], 1.0
	v_fma_f64 v[134:135], v[134:135], v[172:173], v[134:135]
	s_delay_alu instid0(VALU_DEP_1) | instskip(NEXT) | instid1(VALU_DEP_1)
	v_fma_f64 v[172:173], -v[132:133], v[134:135], 1.0
	v_fma_f64 v[134:135], v[134:135], v[172:173], v[134:135]
	s_delay_alu instid0(VALU_DEP_1) | instskip(NEXT) | instid1(VALU_DEP_1)
	v_mul_f64 v[172:173], v[176:177], v[134:135]
	v_fma_f64 v[132:133], -v[132:133], v[172:173], v[176:177]
	s_delay_alu instid0(VALU_DEP_1) | instskip(NEXT) | instid1(VALU_DEP_1)
	v_div_fmas_f64 v[132:133], v[132:133], v[134:135], v[172:173]
	v_div_fixup_f64 v[132:133], v[132:133], v[2:3], v[0:1]
	s_delay_alu instid0(VALU_DEP_1) | instskip(NEXT) | instid1(VALU_DEP_1)
	v_fma_f64 v[134:135], v[0:1], v[132:133], v[2:3]
	v_div_scale_f64 v[172:173], null, v[134:135], v[134:135], 1.0
	s_delay_alu instid0(VALU_DEP_1) | instskip(SKIP_2) | instid1(VALU_DEP_1)
	v_rcp_f64_e32 v[176:177], v[172:173]
	s_waitcnt_depctr 0xfff
	v_fma_f64 v[178:179], -v[172:173], v[176:177], 1.0
	v_fma_f64 v[176:177], v[176:177], v[178:179], v[176:177]
	s_delay_alu instid0(VALU_DEP_1) | instskip(NEXT) | instid1(VALU_DEP_1)
	v_fma_f64 v[178:179], -v[172:173], v[176:177], 1.0
	v_fma_f64 v[176:177], v[176:177], v[178:179], v[176:177]
	v_div_scale_f64 v[178:179], vcc_lo, 1.0, v[134:135], 1.0
	s_delay_alu instid0(VALU_DEP_1) | instskip(NEXT) | instid1(VALU_DEP_1)
	v_mul_f64 v[180:181], v[178:179], v[176:177]
	v_fma_f64 v[172:173], -v[172:173], v[180:181], v[178:179]
	s_delay_alu instid0(VALU_DEP_1) | instskip(NEXT) | instid1(VALU_DEP_1)
	v_div_fmas_f64 v[172:173], v[172:173], v[176:177], v[180:181]
	v_div_fixup_f64 v[134:135], v[172:173], v[134:135], 1.0
	s_delay_alu instid0(VALU_DEP_1)
	v_mul_f64 v[172:173], v[132:133], v[134:135]
	v_xor_b32_e32 v135, 0x80000000, v135
.LBB33_149:
	s_and_not1_saveexec_b32 s3, s3
	s_cbranch_execz .LBB33_151
; %bb.150:
	v_div_scale_f64 v[132:133], null, v[0:1], v[0:1], v[2:3]
	v_div_scale_f64 v[176:177], vcc_lo, v[2:3], v[0:1], v[2:3]
	s_delay_alu instid0(VALU_DEP_2) | instskip(SKIP_2) | instid1(VALU_DEP_1)
	v_rcp_f64_e32 v[134:135], v[132:133]
	s_waitcnt_depctr 0xfff
	v_fma_f64 v[172:173], -v[132:133], v[134:135], 1.0
	v_fma_f64 v[134:135], v[134:135], v[172:173], v[134:135]
	s_delay_alu instid0(VALU_DEP_1) | instskip(NEXT) | instid1(VALU_DEP_1)
	v_fma_f64 v[172:173], -v[132:133], v[134:135], 1.0
	v_fma_f64 v[134:135], v[134:135], v[172:173], v[134:135]
	s_delay_alu instid0(VALU_DEP_1) | instskip(NEXT) | instid1(VALU_DEP_1)
	v_mul_f64 v[172:173], v[176:177], v[134:135]
	v_fma_f64 v[132:133], -v[132:133], v[172:173], v[176:177]
	s_delay_alu instid0(VALU_DEP_1) | instskip(NEXT) | instid1(VALU_DEP_1)
	v_div_fmas_f64 v[132:133], v[132:133], v[134:135], v[172:173]
	v_div_fixup_f64 v[132:133], v[132:133], v[0:1], v[2:3]
	s_delay_alu instid0(VALU_DEP_1) | instskip(NEXT) | instid1(VALU_DEP_1)
	v_fma_f64 v[134:135], v[2:3], v[132:133], v[0:1]
	v_div_scale_f64 v[172:173], null, v[134:135], v[134:135], 1.0
	s_delay_alu instid0(VALU_DEP_1) | instskip(SKIP_2) | instid1(VALU_DEP_1)
	v_rcp_f64_e32 v[176:177], v[172:173]
	s_waitcnt_depctr 0xfff
	v_fma_f64 v[178:179], -v[172:173], v[176:177], 1.0
	v_fma_f64 v[176:177], v[176:177], v[178:179], v[176:177]
	s_delay_alu instid0(VALU_DEP_1) | instskip(NEXT) | instid1(VALU_DEP_1)
	v_fma_f64 v[178:179], -v[172:173], v[176:177], 1.0
	v_fma_f64 v[176:177], v[176:177], v[178:179], v[176:177]
	v_div_scale_f64 v[178:179], vcc_lo, 1.0, v[134:135], 1.0
	s_delay_alu instid0(VALU_DEP_1) | instskip(NEXT) | instid1(VALU_DEP_1)
	v_mul_f64 v[180:181], v[178:179], v[176:177]
	v_fma_f64 v[172:173], -v[172:173], v[180:181], v[178:179]
	s_delay_alu instid0(VALU_DEP_1) | instskip(NEXT) | instid1(VALU_DEP_1)
	v_div_fmas_f64 v[172:173], v[172:173], v[176:177], v[180:181]
	v_div_fixup_f64 v[172:173], v[172:173], v[134:135], 1.0
	s_delay_alu instid0(VALU_DEP_1)
	v_mul_f64 v[134:135], v[132:133], -v[172:173]
.LBB33_151:
	s_or_b32 exec_lo, exec_lo, s3
	ds_store_2addr_b64 v175, v[172:173], v[134:135] offset1:1
.LBB33_152:
	s_or_b32 exec_lo, exec_lo, s4
	s_waitcnt lgkmcnt(0)
	s_barrier
	buffer_gl0_inv
	ds_load_2addr_b64 v[132:135], v175 offset1:1
	s_mov_b32 s3, exec_lo
	v_cmpx_lt_u32_e32 16, v174
	s_cbranch_execz .LBB33_154
; %bb.153:
	s_waitcnt lgkmcnt(0)
	v_mul_f64 v[172:173], v[134:135], v[2:3]
	v_mul_f64 v[2:3], v[132:133], v[2:3]
	s_delay_alu instid0(VALU_DEP_2) | instskip(NEXT) | instid1(VALU_DEP_2)
	v_fma_f64 v[172:173], v[132:133], v[0:1], -v[172:173]
	v_fma_f64 v[2:3], v[134:135], v[0:1], v[2:3]
	s_delay_alu instid0(VALU_DEP_2)
	v_dual_mov_b32 v0, v172 :: v_dual_mov_b32 v1, v173
.LBB33_154:
	s_or_b32 exec_lo, exec_lo, s3
	s_waitcnt lgkmcnt(0)
	s_barrier
	buffer_gl0_inv
	s_and_saveexec_b32 s10, s2
	s_cbranch_execz .LBB33_157
; %bb.155:
	s_load_b64 s[0:1], s[0:1], 0x28
	v_lshlrev_b64 v[136:137], 2, v[136:137]
	v_cmp_neq_f64_e64 s2, 0, v[74:75]
	v_cmp_eq_f64_e64 s3, 0, v[76:77]
	v_cmp_eq_f64_e64 s4, 0, v[78:79]
	;; [unrolled: 1-line block ×6, first 2 shown]
	s_waitcnt lgkmcnt(0)
	v_add_co_u32 v136, vcc_lo, s0, v136
	v_add_co_ci_u32_e32 v137, vcc_lo, s1, v137, vcc_lo
	v_cmp_eq_f64_e32 vcc_lo, 0, v[68:69]
	v_cmp_eq_f64_e64 s0, 0, v[70:71]
	v_cmp_neq_f64_e64 s1, 0, v[72:73]
	global_load_b32 v172, v[136:137], off
	s_and_b32 s0, vcc_lo, s0
	s_or_b32 s1, s1, s2
	v_cndmask_b32_e64 v68, 0, 1, s0
	s_or_b32 vcc_lo, s1, s0
	v_cmp_eq_f64_e64 s0, 0, v[90:91]
	s_and_b32 s2, s3, s4
	s_and_b32 s4, s5, s6
	v_cndmask_b32_e32 v68, 2, v68, vcc_lo
	v_cmp_eq_f64_e32 vcc_lo, 0, v[88:89]
	s_and_b32 s6, s7, s8
	s_delay_alu instid0(VALU_DEP_2) | instskip(NEXT) | instid1(VALU_DEP_1)
	v_cmp_eq_u32_e64 s1, 0, v68
	s_and_b32 s1, s2, s1
	v_cmp_eq_f64_e64 s2, 0, v[94:95]
	v_cndmask_b32_e64 v68, v68, 3, s1
	v_cmp_eq_f64_e64 s1, 0, v[92:93]
	s_delay_alu instid0(VALU_DEP_2) | instskip(NEXT) | instid1(VALU_DEP_1)
	v_cmp_eq_u32_e64 s3, 0, v68
	s_and_b32 s3, s4, s3
	v_cmp_eq_f64_e64 s4, 0, v[98:99]
	v_cndmask_b32_e64 v68, v68, 4, s3
	v_cmp_eq_f64_e64 s3, 0, v[96:97]
	;; [unrolled: 6-line block ×3, first 2 shown]
	s_and_b32 s0, vcc_lo, s0
	v_cmp_eq_f64_e32 vcc_lo, 0, v[104:105]
	s_delay_alu instid0(VALU_DEP_3) | instskip(NEXT) | instid1(VALU_DEP_1)
	v_cmp_eq_u32_e64 s7, 0, v68
	s_and_b32 s0, s0, s7
	s_delay_alu instid0(SALU_CYCLE_1) | instskip(SKIP_3) | instid1(VALU_DEP_3)
	v_cndmask_b32_e64 v68, v68, 6, s0
	v_cmp_eq_f64_e64 s0, 0, v[106:107]
	s_and_b32 s1, s1, s2
	v_cmp_eq_f64_e64 s2, 0, v[110:111]
	v_cmp_eq_u32_e64 s7, 0, v68
	s_delay_alu instid0(VALU_DEP_1) | instskip(NEXT) | instid1(SALU_CYCLE_1)
	s_and_b32 s1, s1, s7
	v_cndmask_b32_e64 v68, v68, 7, s1
	v_cmp_eq_f64_e64 s1, 0, v[108:109]
	s_and_b32 s3, s3, s4
	v_cmp_eq_f64_e64 s4, 0, v[114:115]
	s_delay_alu instid0(VALU_DEP_3) | instskip(NEXT) | instid1(VALU_DEP_1)
	v_cmp_eq_u32_e64 s7, 0, v68
	s_and_b32 s3, s3, s7
	s_delay_alu instid0(SALU_CYCLE_1) | instskip(SKIP_3) | instid1(VALU_DEP_3)
	v_cndmask_b32_e64 v68, v68, 8, s3
	v_cmp_eq_f64_e64 s3, 0, v[112:113]
	s_and_b32 s5, s5, s6
	v_cmp_eq_f64_e64 s6, 0, v[118:119]
	v_cmp_eq_u32_e64 s7, 0, v68
	s_delay_alu instid0(VALU_DEP_1) | instskip(NEXT) | instid1(SALU_CYCLE_1)
	s_and_b32 s5, s5, s7
	v_cndmask_b32_e64 v68, v68, 9, s5
	v_cmp_eq_f64_e64 s5, 0, v[116:117]
	s_and_b32 s0, vcc_lo, s0
	v_cmp_eq_f64_e32 vcc_lo, 0, v[120:121]
	s_delay_alu instid0(VALU_DEP_3) | instskip(NEXT) | instid1(VALU_DEP_1)
	v_cmp_eq_u32_e64 s7, 0, v68
	s_and_b32 s0, s0, s7
	s_delay_alu instid0(SALU_CYCLE_1) | instskip(SKIP_3) | instid1(VALU_DEP_3)
	v_cndmask_b32_e64 v68, v68, 10, s0
	v_cmp_eq_f64_e64 s0, 0, v[122:123]
	s_and_b32 s1, s1, s2
	v_cmp_eq_f64_e64 s2, 0, v[126:127]
	v_cmp_eq_u32_e64 s7, 0, v68
	s_delay_alu instid0(VALU_DEP_1) | instskip(NEXT) | instid1(SALU_CYCLE_1)
	s_and_b32 s1, s1, s7
	v_cndmask_b32_e64 v68, v68, 11, s1
	v_cmp_eq_f64_e64 s1, 0, v[124:125]
	s_and_b32 s3, s3, s4
	v_cmp_eq_f64_e64 s4, 0, v[130:131]
	s_delay_alu instid0(VALU_DEP_3) | instskip(NEXT) | instid1(VALU_DEP_1)
	v_cmp_eq_u32_e64 s7, 0, v68
	s_and_b32 s3, s3, s7
	s_delay_alu instid0(SALU_CYCLE_1) | instskip(SKIP_3) | instid1(VALU_DEP_3)
	v_cndmask_b32_e64 v68, v68, 12, s3
	v_cmp_eq_f64_e64 s3, 0, v[128:129]
	s_and_b32 s5, s5, s6
	v_cmp_eq_f64_e64 s6, 0, v[134:135]
	v_cmp_eq_u32_e64 s7, 0, v68
	s_delay_alu instid0(VALU_DEP_1) | instskip(NEXT) | instid1(SALU_CYCLE_1)
	s_and_b32 s5, s5, s7
	v_cndmask_b32_e64 v68, v68, 13, s5
	v_cmp_eq_f64_e64 s5, 0, v[132:133]
	s_and_b32 s0, vcc_lo, s0
	s_delay_alu instid0(VALU_DEP_2) | instskip(NEXT) | instid1(VALU_DEP_1)
	v_cmp_eq_u32_e64 s7, 0, v68
	s_and_b32 s0, s0, s7
	s_delay_alu instid0(SALU_CYCLE_1) | instskip(SKIP_1) | instid1(VALU_DEP_1)
	v_cndmask_b32_e64 v68, v68, 14, s0
	s_and_b32 s0, s1, s2
	v_cmp_eq_u32_e32 vcc_lo, 0, v68
	s_and_b32 s0, s0, vcc_lo
	s_delay_alu instid0(SALU_CYCLE_1) | instskip(SKIP_1) | instid1(VALU_DEP_1)
	v_cndmask_b32_e64 v68, v68, 15, s0
	s_and_b32 s0, s3, s4
	v_cmp_eq_u32_e32 vcc_lo, 0, v68
	s_and_b32 s0, s0, vcc_lo
	;; [unrolled: 5-line block ×3, first 2 shown]
	s_delay_alu instid0(SALU_CYCLE_1) | instskip(NEXT) | instid1(VALU_DEP_1)
	v_cndmask_b32_e64 v68, v68, 17, s0
	v_cmp_ne_u32_e64 s0, 0, v68
	s_waitcnt vmcnt(0)
	v_cmp_eq_u32_e32 vcc_lo, 0, v172
	s_delay_alu instid0(VALU_DEP_2) | instskip(NEXT) | instid1(SALU_CYCLE_1)
	s_and_b32 s0, vcc_lo, s0
	s_and_b32 exec_lo, exec_lo, s0
	s_cbranch_execz .LBB33_157
; %bb.156:
	v_add_nc_u32_e32 v68, s9, v68
	global_store_b32 v[136:137], v68, off
.LBB33_157:
	s_or_b32 exec_lo, exec_lo, s10
	s_clause 0x10
	global_store_b128 v[168:169], v[64:67], off
	global_store_b128 v[170:171], v[60:63], off
	;; [unrolled: 1-line block ×17, first 2 shown]
.LBB33_158:
	s_nop 0
	s_sendmsg sendmsg(MSG_DEALLOC_VGPRS)
	s_endpgm
	.section	.rodata,"a",@progbits
	.p2align	6, 0x0
	.amdhsa_kernel _ZN9rocsolver6v33100L23getf2_npvt_small_kernelILi17E19rocblas_complex_numIdEiiPKPS3_EEvT1_T3_lS7_lPT2_S7_S7_
		.amdhsa_group_segment_fixed_size 0
		.amdhsa_private_segment_fixed_size 0
		.amdhsa_kernarg_size 312
		.amdhsa_user_sgpr_count 14
		.amdhsa_user_sgpr_dispatch_ptr 0
		.amdhsa_user_sgpr_queue_ptr 0
		.amdhsa_user_sgpr_kernarg_segment_ptr 1
		.amdhsa_user_sgpr_dispatch_id 0
		.amdhsa_user_sgpr_private_segment_size 0
		.amdhsa_wavefront_size32 1
		.amdhsa_uses_dynamic_stack 0
		.amdhsa_enable_private_segment 0
		.amdhsa_system_sgpr_workgroup_id_x 1
		.amdhsa_system_sgpr_workgroup_id_y 1
		.amdhsa_system_sgpr_workgroup_id_z 0
		.amdhsa_system_sgpr_workgroup_info 0
		.amdhsa_system_vgpr_workitem_id 1
		.amdhsa_next_free_vgpr 239
		.amdhsa_next_free_sgpr 16
		.amdhsa_reserve_vcc 1
		.amdhsa_float_round_mode_32 0
		.amdhsa_float_round_mode_16_64 0
		.amdhsa_float_denorm_mode_32 3
		.amdhsa_float_denorm_mode_16_64 3
		.amdhsa_dx10_clamp 1
		.amdhsa_ieee_mode 1
		.amdhsa_fp16_overflow 0
		.amdhsa_workgroup_processor_mode 1
		.amdhsa_memory_ordered 1
		.amdhsa_forward_progress 0
		.amdhsa_shared_vgpr_count 0
		.amdhsa_exception_fp_ieee_invalid_op 0
		.amdhsa_exception_fp_denorm_src 0
		.amdhsa_exception_fp_ieee_div_zero 0
		.amdhsa_exception_fp_ieee_overflow 0
		.amdhsa_exception_fp_ieee_underflow 0
		.amdhsa_exception_fp_ieee_inexact 0
		.amdhsa_exception_int_div_zero 0
	.end_amdhsa_kernel
	.section	.text._ZN9rocsolver6v33100L23getf2_npvt_small_kernelILi17E19rocblas_complex_numIdEiiPKPS3_EEvT1_T3_lS7_lPT2_S7_S7_,"axG",@progbits,_ZN9rocsolver6v33100L23getf2_npvt_small_kernelILi17E19rocblas_complex_numIdEiiPKPS3_EEvT1_T3_lS7_lPT2_S7_S7_,comdat
.Lfunc_end33:
	.size	_ZN9rocsolver6v33100L23getf2_npvt_small_kernelILi17E19rocblas_complex_numIdEiiPKPS3_EEvT1_T3_lS7_lPT2_S7_S7_, .Lfunc_end33-_ZN9rocsolver6v33100L23getf2_npvt_small_kernelILi17E19rocblas_complex_numIdEiiPKPS3_EEvT1_T3_lS7_lPT2_S7_S7_
                                        ; -- End function
	.section	.AMDGPU.csdata,"",@progbits
; Kernel info:
; codeLenInByte = 23656
; NumSgprs: 18
; NumVgprs: 239
; ScratchSize: 0
; MemoryBound: 1
; FloatMode: 240
; IeeeMode: 1
; LDSByteSize: 0 bytes/workgroup (compile time only)
; SGPRBlocks: 2
; VGPRBlocks: 29
; NumSGPRsForWavesPerEU: 18
; NumVGPRsForWavesPerEU: 239
; Occupancy: 6
; WaveLimiterHint : 1
; COMPUTE_PGM_RSRC2:SCRATCH_EN: 0
; COMPUTE_PGM_RSRC2:USER_SGPR: 14
; COMPUTE_PGM_RSRC2:TRAP_HANDLER: 0
; COMPUTE_PGM_RSRC2:TGID_X_EN: 1
; COMPUTE_PGM_RSRC2:TGID_Y_EN: 1
; COMPUTE_PGM_RSRC2:TGID_Z_EN: 0
; COMPUTE_PGM_RSRC2:TIDIG_COMP_CNT: 1
	.section	.text._ZN9rocsolver6v33100L18getf2_small_kernelILi18E19rocblas_complex_numIdEiiPKPS3_EEvT1_T3_lS7_lPS7_llPT2_S7_S7_S9_l,"axG",@progbits,_ZN9rocsolver6v33100L18getf2_small_kernelILi18E19rocblas_complex_numIdEiiPKPS3_EEvT1_T3_lS7_lPS7_llPT2_S7_S7_S9_l,comdat
	.globl	_ZN9rocsolver6v33100L18getf2_small_kernelILi18E19rocblas_complex_numIdEiiPKPS3_EEvT1_T3_lS7_lPS7_llPT2_S7_S7_S9_l ; -- Begin function _ZN9rocsolver6v33100L18getf2_small_kernelILi18E19rocblas_complex_numIdEiiPKPS3_EEvT1_T3_lS7_lPS7_llPT2_S7_S7_S9_l
	.p2align	8
	.type	_ZN9rocsolver6v33100L18getf2_small_kernelILi18E19rocblas_complex_numIdEiiPKPS3_EEvT1_T3_lS7_lPS7_llPT2_S7_S7_S9_l,@function
_ZN9rocsolver6v33100L18getf2_small_kernelILi18E19rocblas_complex_numIdEiiPKPS3_EEvT1_T3_lS7_lPS7_llPT2_S7_S7_S9_l: ; @_ZN9rocsolver6v33100L18getf2_small_kernelILi18E19rocblas_complex_numIdEiiPKPS3_EEvT1_T3_lS7_lPS7_llPT2_S7_S7_S9_l
; %bb.0:
	s_clause 0x1
	s_load_b32 s2, s[0:1], 0x6c
	s_load_b64 s[12:13], s[0:1], 0x48
	v_bfe_u32 v72, v0, 10, 10
	s_waitcnt lgkmcnt(0)
	s_lshr_b32 s2, s2, 16
	s_delay_alu instid0(VALU_DEP_1) | instid1(SALU_CYCLE_1)
	v_mad_u64_u32 v[76:77], null, s15, s2, v[72:73]
	s_mov_b32 s2, exec_lo
	s_delay_alu instid0(VALU_DEP_1)
	v_cmpx_gt_i32_e64 s12, v76
	s_cbranch_execz .LBB34_381
; %bb.1:
	s_clause 0x1
	s_load_b128 s[4:7], s[0:1], 0x8
	s_load_b128 s[8:11], s[0:1], 0x50
	v_ashrrev_i32_e32 v77, 31, v76
	v_mov_b32_e32 v78, 0
	v_mov_b32_e32 v79, 0
	s_delay_alu instid0(VALU_DEP_3) | instskip(SKIP_1) | instid1(VALU_DEP_1)
	v_lshlrev_b64 v[1:2], 3, v[76:77]
	s_waitcnt lgkmcnt(0)
	v_add_co_u32 v1, vcc_lo, s4, v1
	s_delay_alu instid0(VALU_DEP_2)
	v_add_co_ci_u32_e32 v2, vcc_lo, s5, v2, vcc_lo
	s_cmp_eq_u64 s[8:9], 0
	s_cselect_b32 s4, -1, 0
	global_load_b64 v[1:2], v[1:2], off
	s_and_b32 vcc_lo, exec_lo, s4
	s_cbranch_vccnz .LBB34_3
; %bb.2:
	v_mul_lo_u32 v5, v77, s10
	v_mul_lo_u32 v6, v76, s11
	v_mad_u64_u32 v[3:4], null, v76, s10, 0
	s_delay_alu instid0(VALU_DEP_1) | instskip(NEXT) | instid1(VALU_DEP_1)
	v_add3_u32 v4, v4, v6, v5
	v_lshlrev_b64 v[3:4], 2, v[3:4]
	s_delay_alu instid0(VALU_DEP_1) | instskip(NEXT) | instid1(VALU_DEP_2)
	v_add_co_u32 v78, vcc_lo, s8, v3
	v_add_co_ci_u32_e32 v79, vcc_lo, s9, v4, vcc_lo
.LBB34_3:
	s_clause 0x1
	s_load_b32 s8, s[0:1], 0x18
	s_load_b32 s5, s[0:1], 0x0
	v_and_b32_e32 v85, 0x3ff, v0
	s_lshl_b64 s[2:3], s[6:7], 4
	s_waitcnt vmcnt(0)
	v_add_co_u32 v83, vcc_lo, v1, s2
	s_delay_alu instid0(VALU_DEP_2) | instskip(SKIP_1) | instid1(VALU_DEP_2)
	v_lshlrev_b32_e32 v75, 4, v85
	v_add_co_ci_u32_e32 v84, vcc_lo, s3, v2, vcc_lo
	v_add_co_u32 v2, vcc_lo, v83, v75
	s_delay_alu instid0(VALU_DEP_2)
	v_add_co_ci_u32_e32 v3, vcc_lo, 0, v84, vcc_lo
	s_waitcnt lgkmcnt(0)
	v_add3_u32 v0, s8, s8, v85
	s_ashr_i32 s9, s8, 31
	s_max_i32 s2, s5, 18
	s_lshl_b64 s[10:11], s[8:9], 4
	s_cmp_lt_i32 s5, 2
	v_add_nc_u32_e32 v4, s8, v0
	v_ashrrev_i32_e32 v1, 31, v0
	v_add_co_u32 v6, vcc_lo, v2, s10
	v_add_co_ci_u32_e32 v7, vcc_lo, s11, v3, vcc_lo
	s_delay_alu instid0(VALU_DEP_4)
	v_ashrrev_i32_e32 v5, 31, v4
	v_add_nc_u32_e32 v8, s8, v4
	v_lshlrev_b64 v[0:1], 4, v[0:1]
	s_clause 0x1
	global_load_b128 v[68:71], v[2:3], off
	global_load_b128 v[52:55], v[6:7], off
	v_lshlrev_b64 v[2:3], 4, v[4:5]
	v_add_nc_u32_e32 v4, s8, v8
	v_ashrrev_i32_e32 v9, 31, v8
	v_add_co_u32 v0, vcc_lo, v83, v0
	v_add_co_ci_u32_e32 v1, vcc_lo, v84, v1, vcc_lo
	s_delay_alu instid0(VALU_DEP_4) | instskip(NEXT) | instid1(VALU_DEP_4)
	v_ashrrev_i32_e32 v5, 31, v4
	v_lshlrev_b64 v[6:7], 4, v[8:9]
	v_add_nc_u32_e32 v8, s8, v4
	v_add_co_u32 v2, vcc_lo, v83, v2
	v_add_co_ci_u32_e32 v3, vcc_lo, v84, v3, vcc_lo
	v_lshlrev_b64 v[4:5], 4, v[4:5]
	s_delay_alu instid0(VALU_DEP_4)
	v_add_nc_u32_e32 v10, s8, v8
	s_clause 0x1
	global_load_b128 v[64:67], v[0:1], off
	global_load_b128 v[48:51], v[2:3], off
	v_add_co_u32 v0, vcc_lo, v83, v6
	v_add_co_ci_u32_e32 v1, vcc_lo, v84, v7, vcc_lo
	v_add_co_u32 v2, vcc_lo, v83, v4
	v_add_nc_u32_e32 v4, s8, v10
	v_ashrrev_i32_e32 v9, 31, v8
	v_add_co_ci_u32_e32 v3, vcc_lo, v84, v5, vcc_lo
	v_ashrrev_i32_e32 v11, 31, v10
	s_clause 0x1
	global_load_b128 v[60:63], v[0:1], off
	global_load_b128 v[56:59], v[2:3], off
	v_add_nc_u32_e32 v2, s8, v4
	v_lshlrev_b64 v[6:7], 4, v[8:9]
	v_ashrrev_i32_e32 v5, 31, v4
	v_lshlrev_b64 v[0:1], 4, v[10:11]
	s_delay_alu instid0(VALU_DEP_4) | instskip(NEXT) | instid1(VALU_DEP_4)
	v_ashrrev_i32_e32 v3, 31, v2
	v_add_co_u32 v6, vcc_lo, v83, v6
	s_delay_alu instid0(VALU_DEP_4)
	v_lshlrev_b64 v[4:5], 4, v[4:5]
	v_add_co_ci_u32_e32 v7, vcc_lo, v84, v7, vcc_lo
	v_add_co_u32 v0, vcc_lo, v83, v0
	v_lshlrev_b64 v[8:9], 4, v[2:3]
	v_add_nc_u32_e32 v2, s8, v2
	v_add_co_ci_u32_e32 v1, vcc_lo, v84, v1, vcc_lo
	v_add_co_u32 v4, vcc_lo, v83, v4
	v_add_co_ci_u32_e32 v5, vcc_lo, v84, v5, vcc_lo
	s_delay_alu instid0(VALU_DEP_4) | instskip(SKIP_3) | instid1(VALU_DEP_4)
	v_add_nc_u32_e32 v10, s8, v2
	v_add_co_u32 v8, vcc_lo, v83, v8
	v_ashrrev_i32_e32 v3, 31, v2
	v_add_co_ci_u32_e32 v9, vcc_lo, v84, v9, vcc_lo
	v_ashrrev_i32_e32 v11, 31, v10
	s_clause 0x1
	global_load_b128 v[44:47], v[6:7], off
	global_load_b128 v[40:43], v[0:1], off
	v_lshlrev_b64 v[0:1], 4, v[2:3]
	s_clause 0x1
	global_load_b128 v[28:31], v[4:5], off
	global_load_b128 v[24:27], v[8:9], off
	v_add_nc_u32_e32 v4, s8, v10
	v_lshlrev_b64 v[2:3], 4, v[10:11]
	v_add_co_u32 v0, vcc_lo, v83, v0
	s_delay_alu instid0(VALU_DEP_3) | instskip(SKIP_1) | instid1(VALU_DEP_4)
	v_add_nc_u32_e32 v6, s8, v4
	v_add_co_ci_u32_e32 v1, vcc_lo, v84, v1, vcc_lo
	v_add_co_u32 v2, vcc_lo, v83, v2
	s_delay_alu instid0(VALU_DEP_3)
	v_add_nc_u32_e32 v8, s8, v6
	v_add_co_ci_u32_e32 v3, vcc_lo, v84, v3, vcc_lo
	v_ashrrev_i32_e32 v5, 31, v4
	v_ashrrev_i32_e32 v7, 31, v6
	s_clause 0x1
	global_load_b128 v[36:39], v[0:1], off
	global_load_b128 v[20:23], v[2:3], off
	v_ashrrev_i32_e32 v9, 31, v8
	v_add_nc_u32_e32 v2, s8, v8
	v_lshlrev_b64 v[4:5], 4, v[4:5]
	v_lshlrev_b64 v[0:1], 4, v[6:7]
	s_delay_alu instid0(VALU_DEP_4) | instskip(NEXT) | instid1(VALU_DEP_4)
	v_lshlrev_b64 v[6:7], 4, v[8:9]
	v_add_nc_u32_e32 v8, s8, v2
	v_ashrrev_i32_e32 v3, 31, v2
	v_add_co_u32 v4, vcc_lo, v83, v4
	v_add_co_ci_u32_e32 v5, vcc_lo, v84, v5, vcc_lo
	s_delay_alu instid0(VALU_DEP_4) | instskip(SKIP_3) | instid1(VALU_DEP_4)
	v_add_nc_u32_e32 v10, s8, v8
	v_ashrrev_i32_e32 v9, 31, v8
	v_add_co_u32 v0, vcc_lo, v83, v0
	v_lshlrev_b64 v[2:3], 4, v[2:3]
	v_ashrrev_i32_e32 v11, 31, v10
	v_add_co_ci_u32_e32 v1, vcc_lo, v84, v1, vcc_lo
	v_add_co_u32 v6, vcc_lo, v83, v6
	v_lshlrev_b64 v[8:9], 4, v[8:9]
	v_add_co_ci_u32_e32 v7, vcc_lo, v84, v7, vcc_lo
	v_add_co_u32 v2, vcc_lo, v83, v2
	v_lshlrev_b64 v[10:11], 4, v[10:11]
	v_add_co_ci_u32_e32 v3, vcc_lo, v84, v3, vcc_lo
	v_add_co_u32 v73, vcc_lo, v83, v8
	v_add_co_ci_u32_e32 v74, vcc_lo, v84, v9, vcc_lo
	s_delay_alu instid0(VALU_DEP_4)
	v_add_co_u32 v80, vcc_lo, v83, v10
	v_add_co_ci_u32_e32 v81, vcc_lo, v84, v11, vcc_lo
	s_clause 0x5
	global_load_b128 v[32:35], v[4:5], off
	global_load_b128 v[16:19], v[0:1], off
	;; [unrolled: 1-line block ×6, first 2 shown]
	v_mov_b32_e32 v80, 0
	v_mul_lo_u32 v81, s2, v72
	s_delay_alu instid0(VALU_DEP_1) | instskip(SKIP_1) | instid1(VALU_DEP_2)
	v_lshl_add_u32 v82, v81, 4, 0
	v_lshlrev_b32_e32 v87, 4, v81
	v_add_nc_u32_e32 v72, v82, v75
	s_waitcnt vmcnt(17)
	ds_store_2addr_b64 v72, v[68:69], v[70:71] offset1:1
	s_waitcnt vmcnt(0) lgkmcnt(0)
	s_barrier
	buffer_gl0_inv
	ds_load_2addr_b64 v[72:75], v82 offset1:1
	s_cbranch_scc1 .LBB34_6
; %bb.4:
	v_add3_u32 v81, v87, 0, 16
	v_mov_b32_e32 v80, 0
	s_mov_b32 s6, 1
	s_set_inst_prefetch_distance 0x1
	.p2align	6
.LBB34_5:                               ; =>This Inner Loop Header: Depth=1
	ds_load_2addr_b64 v[88:91], v81 offset1:1
	s_waitcnt lgkmcnt(1)
	v_cmp_gt_f64_e32 vcc_lo, 0, v[72:73]
	v_xor_b32_e32 v86, 0x80000000, v73
	v_cmp_gt_f64_e64 s2, 0, v[74:75]
	v_xor_b32_e32 v92, 0x80000000, v75
	v_add_nc_u32_e32 v81, 16, v81
	s_waitcnt lgkmcnt(0)
	v_cmp_gt_f64_e64 s3, 0, v[88:89]
	v_mov_b32_e32 v96, v88
	v_dual_mov_b32 v98, v90 :: v_dual_cndmask_b32 v93, v73, v86
	v_xor_b32_e32 v86, 0x80000000, v89
	v_cndmask_b32_e64 v95, v75, v92, s2
	v_xor_b32_e32 v92, 0x80000000, v91
	v_cndmask_b32_e64 v94, v74, v74, s2
	s_delay_alu instid0(VALU_DEP_4) | instskip(SKIP_1) | instid1(VALU_DEP_1)
	v_cndmask_b32_e64 v97, v89, v86, s3
	v_cmp_gt_f64_e64 s3, 0, v[90:91]
	v_cndmask_b32_e64 v99, v91, v92, s3
	v_cndmask_b32_e32 v92, v72, v72, vcc_lo
	s_delay_alu instid0(VALU_DEP_2) | instskip(NEXT) | instid1(VALU_DEP_2)
	v_add_f64 v[96:97], v[96:97], v[98:99]
	v_add_f64 v[92:93], v[92:93], v[94:95]
	s_delay_alu instid0(VALU_DEP_1)
	v_cmp_lt_f64_e32 vcc_lo, v[92:93], v[96:97]
	v_cndmask_b32_e32 v75, v75, v91, vcc_lo
	v_dual_cndmask_b32 v73, v73, v89 :: v_dual_cndmask_b32 v72, v72, v88
	v_cndmask_b32_e32 v74, v74, v90, vcc_lo
	v_cndmask_b32_e64 v80, v80, s6, vcc_lo
	s_add_i32 s6, s6, 1
	s_delay_alu instid0(SALU_CYCLE_1)
	s_cmp_eq_u32 s5, s6
	s_cbranch_scc0 .LBB34_5
.LBB34_6:
	s_set_inst_prefetch_distance 0x2
	s_waitcnt lgkmcnt(0)
	v_cmp_neq_f64_e32 vcc_lo, 0, v[72:73]
	v_cmp_neq_f64_e64 s2, 0, v[74:75]
	v_dual_mov_b32 v86, 1 :: v_dual_mov_b32 v89, 1
	s_delay_alu instid0(VALU_DEP_2) | instskip(NEXT) | instid1(SALU_CYCLE_1)
	s_or_b32 s2, vcc_lo, s2
	s_and_saveexec_b32 s3, s2
	s_cbranch_execz .LBB34_12
; %bb.7:
	v_cmp_gt_f64_e32 vcc_lo, 0, v[72:73]
	v_cmp_gt_f64_e64 s2, 0, v[74:75]
	v_xor_b32_e32 v81, 0x80000000, v73
	v_xor_b32_e32 v86, 0x80000000, v75
                                        ; implicit-def: $sgpr6
                                        ; implicit-def: $sgpr7
	s_delay_alu instid0(VALU_DEP_2) | instskip(NEXT) | instid1(VALU_DEP_2)
	v_dual_cndmask_b32 v89, v73, v81 :: v_dual_cndmask_b32 v88, v72, v72
	v_cndmask_b32_e64 v91, v75, v86, s2
	v_cndmask_b32_e64 v90, v74, v74, s2
	s_mov_b32 s2, exec_lo
	s_delay_alu instid0(VALU_DEP_1)
	v_cmpx_ngt_f64_e32 v[88:89], v[90:91]
	s_xor_b32 s2, exec_lo, s2
	s_cbranch_execz .LBB34_9
; %bb.8:
	v_div_scale_f64 v[88:89], null, v[74:75], v[74:75], v[72:73]
	v_div_scale_f64 v[94:95], vcc_lo, v[72:73], v[74:75], v[72:73]
	s_mov_b32 s7, 2
	s_mov_b32 s6, 0
	s_delay_alu instid0(VALU_DEP_2) | instskip(SKIP_2) | instid1(VALU_DEP_1)
	v_rcp_f64_e32 v[90:91], v[88:89]
	s_waitcnt_depctr 0xfff
	v_fma_f64 v[92:93], -v[88:89], v[90:91], 1.0
	v_fma_f64 v[90:91], v[90:91], v[92:93], v[90:91]
	s_delay_alu instid0(VALU_DEP_1) | instskip(NEXT) | instid1(VALU_DEP_1)
	v_fma_f64 v[92:93], -v[88:89], v[90:91], 1.0
	v_fma_f64 v[90:91], v[90:91], v[92:93], v[90:91]
	s_delay_alu instid0(VALU_DEP_1) | instskip(NEXT) | instid1(VALU_DEP_1)
	v_mul_f64 v[92:93], v[94:95], v[90:91]
	v_fma_f64 v[88:89], -v[88:89], v[92:93], v[94:95]
	s_delay_alu instid0(VALU_DEP_1) | instskip(NEXT) | instid1(VALU_DEP_1)
	v_div_fmas_f64 v[88:89], v[88:89], v[90:91], v[92:93]
	v_div_fixup_f64 v[88:89], v[88:89], v[74:75], v[72:73]
	s_delay_alu instid0(VALU_DEP_1) | instskip(NEXT) | instid1(VALU_DEP_1)
	v_fma_f64 v[72:73], v[72:73], v[88:89], v[74:75]
	v_div_scale_f64 v[74:75], null, v[72:73], v[72:73], 1.0
	s_delay_alu instid0(VALU_DEP_1) | instskip(SKIP_2) | instid1(VALU_DEP_1)
	v_rcp_f64_e32 v[90:91], v[74:75]
	s_waitcnt_depctr 0xfff
	v_fma_f64 v[92:93], -v[74:75], v[90:91], 1.0
	v_fma_f64 v[90:91], v[90:91], v[92:93], v[90:91]
	s_delay_alu instid0(VALU_DEP_1) | instskip(NEXT) | instid1(VALU_DEP_1)
	v_fma_f64 v[92:93], -v[74:75], v[90:91], 1.0
	v_fma_f64 v[90:91], v[90:91], v[92:93], v[90:91]
	v_div_scale_f64 v[92:93], vcc_lo, 1.0, v[72:73], 1.0
	s_delay_alu instid0(VALU_DEP_1) | instskip(NEXT) | instid1(VALU_DEP_1)
	v_mul_f64 v[94:95], v[92:93], v[90:91]
	v_fma_f64 v[74:75], -v[74:75], v[94:95], v[92:93]
	s_delay_alu instid0(VALU_DEP_1) | instskip(NEXT) | instid1(VALU_DEP_1)
	v_div_fmas_f64 v[74:75], v[74:75], v[90:91], v[94:95]
	v_div_fixup_f64 v[74:75], v[74:75], v[72:73], 1.0
	s_delay_alu instid0(VALU_DEP_1)
	v_mul_f64 v[72:73], v[88:89], v[74:75]
	v_xor_b32_e32 v75, 0x80000000, v75
.LBB34_9:
	s_or_saveexec_b32 s2, s2
	v_dual_mov_b32 v89, s6 :: v_dual_mov_b32 v86, s7
	s_xor_b32 exec_lo, exec_lo, s2
	s_cbranch_execz .LBB34_11
; %bb.10:
	s_delay_alu instid0(VALU_DEP_3) | instskip(SKIP_2) | instid1(VALU_DEP_3)
	v_div_scale_f64 v[88:89], null, v[72:73], v[72:73], v[74:75]
	v_div_scale_f64 v[94:95], vcc_lo, v[74:75], v[72:73], v[74:75]
	v_mov_b32_e32 v86, 2
	v_rcp_f64_e32 v[90:91], v[88:89]
	s_waitcnt_depctr 0xfff
	v_fma_f64 v[92:93], -v[88:89], v[90:91], 1.0
	s_delay_alu instid0(VALU_DEP_1) | instskip(NEXT) | instid1(VALU_DEP_1)
	v_fma_f64 v[90:91], v[90:91], v[92:93], v[90:91]
	v_fma_f64 v[92:93], -v[88:89], v[90:91], 1.0
	s_delay_alu instid0(VALU_DEP_1) | instskip(NEXT) | instid1(VALU_DEP_1)
	v_fma_f64 v[90:91], v[90:91], v[92:93], v[90:91]
	v_mul_f64 v[92:93], v[94:95], v[90:91]
	s_delay_alu instid0(VALU_DEP_1) | instskip(NEXT) | instid1(VALU_DEP_1)
	v_fma_f64 v[88:89], -v[88:89], v[92:93], v[94:95]
	v_div_fmas_f64 v[88:89], v[88:89], v[90:91], v[92:93]
	s_delay_alu instid0(VALU_DEP_1) | instskip(NEXT) | instid1(VALU_DEP_1)
	v_div_fixup_f64 v[88:89], v[88:89], v[72:73], v[74:75]
	v_fma_f64 v[72:73], v[74:75], v[88:89], v[72:73]
	s_delay_alu instid0(VALU_DEP_1) | instskip(NEXT) | instid1(VALU_DEP_1)
	v_div_scale_f64 v[74:75], null, v[72:73], v[72:73], 1.0
	v_rcp_f64_e32 v[90:91], v[74:75]
	s_waitcnt_depctr 0xfff
	v_fma_f64 v[92:93], -v[74:75], v[90:91], 1.0
	s_delay_alu instid0(VALU_DEP_1) | instskip(NEXT) | instid1(VALU_DEP_1)
	v_fma_f64 v[90:91], v[90:91], v[92:93], v[90:91]
	v_fma_f64 v[92:93], -v[74:75], v[90:91], 1.0
	s_delay_alu instid0(VALU_DEP_1) | instskip(SKIP_1) | instid1(VALU_DEP_1)
	v_fma_f64 v[90:91], v[90:91], v[92:93], v[90:91]
	v_div_scale_f64 v[92:93], vcc_lo, 1.0, v[72:73], 1.0
	v_mul_f64 v[94:95], v[92:93], v[90:91]
	s_delay_alu instid0(VALU_DEP_1) | instskip(NEXT) | instid1(VALU_DEP_1)
	v_fma_f64 v[74:75], -v[74:75], v[94:95], v[92:93]
	v_div_fmas_f64 v[74:75], v[74:75], v[90:91], v[94:95]
	s_delay_alu instid0(VALU_DEP_1) | instskip(NEXT) | instid1(VALU_DEP_1)
	v_div_fixup_f64 v[72:73], v[74:75], v[72:73], 1.0
	v_mul_f64 v[74:75], v[88:89], -v[72:73]
	v_mov_b32_e32 v89, 0
.LBB34_11:
	s_or_b32 exec_lo, exec_lo, s2
.LBB34_12:
	s_delay_alu instid0(SALU_CYCLE_1) | instskip(NEXT) | instid1(SALU_CYCLE_1)
	s_or_b32 exec_lo, exec_lo, s3
	s_mov_b32 s2, exec_lo
	v_cmpx_ne_u32_e64 v85, v80
	s_xor_b32 s2, exec_lo, s2
	s_cbranch_execz .LBB34_18
; %bb.13:
	s_mov_b32 s3, exec_lo
	v_cmpx_eq_u32_e32 0, v85
	s_cbranch_execz .LBB34_17
; %bb.14:
	v_cmp_ne_u32_e32 vcc_lo, 0, v80
	s_xor_b32 s6, s4, -1
	s_delay_alu instid0(SALU_CYCLE_1) | instskip(NEXT) | instid1(SALU_CYCLE_1)
	s_and_b32 s7, s6, vcc_lo
	s_and_saveexec_b32 s6, s7
	s_cbranch_execz .LBB34_16
; %bb.15:
	v_ashrrev_i32_e32 v81, 31, v80
	s_delay_alu instid0(VALU_DEP_1) | instskip(NEXT) | instid1(VALU_DEP_1)
	v_lshlrev_b64 v[90:91], 2, v[80:81]
	v_add_co_u32 v90, vcc_lo, v78, v90
	s_delay_alu instid0(VALU_DEP_2)
	v_add_co_ci_u32_e32 v91, vcc_lo, v79, v91, vcc_lo
	s_clause 0x1
	flat_load_b32 v81, v[90:91]
	flat_load_b32 v85, v[78:79]
	s_waitcnt vmcnt(1) lgkmcnt(1)
	flat_store_b32 v[78:79], v81
	s_waitcnt vmcnt(0) lgkmcnt(1)
	flat_store_b32 v[90:91], v85
.LBB34_16:
	s_or_b32 exec_lo, exec_lo, s6
	v_mov_b32_e32 v85, v80
.LBB34_17:
	s_or_b32 exec_lo, exec_lo, s3
.LBB34_18:
	s_or_saveexec_b32 s2, s2
	s_delay_alu instid0(VALU_DEP_1)
	v_mov_b32_e32 v88, v85
	s_xor_b32 exec_lo, exec_lo, s2
	s_cbranch_execz .LBB34_20
; %bb.19:
	v_mov_b32_e32 v88, 0
	ds_store_2addr_b64 v82, v[52:53], v[54:55] offset0:2 offset1:3
	ds_store_2addr_b64 v82, v[64:65], v[66:67] offset0:4 offset1:5
	;; [unrolled: 1-line block ×17, first 2 shown]
.LBB34_20:
	s_or_b32 exec_lo, exec_lo, s2
	s_delay_alu instid0(SALU_CYCLE_1)
	s_mov_b32 s2, exec_lo
	s_waitcnt lgkmcnt(0)
	s_waitcnt_vscnt null, 0x0
	s_barrier
	buffer_gl0_inv
	v_cmpx_lt_i32_e32 0, v88
	s_cbranch_execz .LBB34_22
; %bb.21:
	v_mul_f64 v[80:81], v[72:73], v[70:71]
	v_mul_f64 v[158:159], v[74:75], v[70:71]
	ds_load_2addr_b64 v[90:93], v82 offset0:2 offset1:3
	ds_load_2addr_b64 v[94:97], v82 offset0:4 offset1:5
	;; [unrolled: 1-line block ×17, first 2 shown]
	v_fma_f64 v[70:71], v[74:75], v[68:69], v[80:81]
	v_fma_f64 v[68:69], v[72:73], v[68:69], -v[158:159]
	s_waitcnt lgkmcnt(16)
	s_delay_alu instid0(VALU_DEP_2)
	v_mul_f64 v[72:73], v[92:93], v[70:71]
	v_mul_f64 v[74:75], v[90:91], v[70:71]
	s_waitcnt lgkmcnt(15)
	v_mul_f64 v[80:81], v[96:97], v[70:71]
	v_mul_f64 v[158:159], v[94:95], v[70:71]
	s_waitcnt lgkmcnt(14)
	;; [unrolled: 3-line block ×16, first 2 shown]
	v_mul_f64 v[216:217], v[156:157], v[70:71]
	v_mul_f64 v[218:219], v[154:155], v[70:71]
	v_fma_f64 v[72:73], v[90:91], v[68:69], -v[72:73]
	v_fma_f64 v[74:75], v[92:93], v[68:69], v[74:75]
	v_fma_f64 v[80:81], v[94:95], v[68:69], -v[80:81]
	v_fma_f64 v[90:91], v[96:97], v[68:69], v[158:159]
	;; [unrolled: 2-line block ×17, first 2 shown]
	v_add_f64 v[52:53], v[52:53], -v[72:73]
	v_add_f64 v[54:55], v[54:55], -v[74:75]
	;; [unrolled: 1-line block ×34, first 2 shown]
.LBB34_22:
	s_or_b32 exec_lo, exec_lo, s2
	v_lshl_add_u32 v72, v88, 4, v82
	s_barrier
	buffer_gl0_inv
	v_mov_b32_e32 v80, 1
	ds_store_2addr_b64 v72, v[52:53], v[54:55] offset1:1
	s_waitcnt lgkmcnt(0)
	s_barrier
	buffer_gl0_inv
	ds_load_2addr_b64 v[72:75], v82 offset0:2 offset1:3
	s_cmp_lt_i32 s5, 3
	s_cbranch_scc1 .LBB34_25
; %bb.23:
	v_add3_u32 v81, v87, 0, 32
	v_mov_b32_e32 v80, 1
	s_mov_b32 s6, 2
	s_set_inst_prefetch_distance 0x1
	.p2align	6
.LBB34_24:                              ; =>This Inner Loop Header: Depth=1
	ds_load_2addr_b64 v[90:93], v81 offset1:1
	s_waitcnt lgkmcnt(1)
	v_cmp_gt_f64_e32 vcc_lo, 0, v[72:73]
	v_xor_b32_e32 v94, 0x80000000, v73
	v_cmp_gt_f64_e64 s2, 0, v[74:75]
	v_xor_b32_e32 v96, 0x80000000, v75
	v_add_nc_u32_e32 v81, 16, v81
	s_waitcnt lgkmcnt(0)
	v_cmp_gt_f64_e64 s3, 0, v[90:91]
	v_mov_b32_e32 v98, v90
	v_dual_mov_b32 v100, v92 :: v_dual_cndmask_b32 v95, v73, v94
	v_xor_b32_e32 v94, 0x80000000, v91
	v_cndmask_b32_e64 v97, v75, v96, s2
	v_xor_b32_e32 v96, 0x80000000, v93
	s_delay_alu instid0(VALU_DEP_3) | instskip(SKIP_2) | instid1(VALU_DEP_2)
	v_cndmask_b32_e64 v99, v91, v94, s3
	v_cmp_gt_f64_e64 s3, 0, v[92:93]
	v_cndmask_b32_e32 v94, v72, v72, vcc_lo
	v_cndmask_b32_e64 v101, v93, v96, s3
	v_cndmask_b32_e64 v96, v74, v74, s2
	s_delay_alu instid0(VALU_DEP_2) | instskip(NEXT) | instid1(VALU_DEP_2)
	v_add_f64 v[98:99], v[98:99], v[100:101]
	v_add_f64 v[94:95], v[94:95], v[96:97]
	s_delay_alu instid0(VALU_DEP_1)
	v_cmp_lt_f64_e32 vcc_lo, v[94:95], v[98:99]
	v_cndmask_b32_e32 v75, v75, v93, vcc_lo
	v_dual_cndmask_b32 v73, v73, v91 :: v_dual_cndmask_b32 v72, v72, v90
	v_cndmask_b32_e32 v74, v74, v92, vcc_lo
	v_cndmask_b32_e64 v80, v80, s6, vcc_lo
	s_add_i32 s6, s6, 1
	s_delay_alu instid0(SALU_CYCLE_1)
	s_cmp_lg_u32 s5, s6
	s_cbranch_scc1 .LBB34_24
.LBB34_25:
	s_set_inst_prefetch_distance 0x2
	s_waitcnt lgkmcnt(0)
	v_cmp_neq_f64_e32 vcc_lo, 0, v[72:73]
	v_cmp_neq_f64_e64 s2, 0, v[74:75]
	s_delay_alu instid0(VALU_DEP_1) | instskip(NEXT) | instid1(SALU_CYCLE_1)
	s_or_b32 s2, vcc_lo, s2
	s_and_saveexec_b32 s3, s2
	s_cbranch_execz .LBB34_31
; %bb.26:
	v_cmp_gt_f64_e32 vcc_lo, 0, v[72:73]
	v_cmp_gt_f64_e64 s2, 0, v[74:75]
	v_xor_b32_e32 v81, 0x80000000, v73
	v_xor_b32_e32 v86, 0x80000000, v75
	s_delay_alu instid0(VALU_DEP_2) | instskip(NEXT) | instid1(VALU_DEP_2)
	v_dual_cndmask_b32 v91, v73, v81 :: v_dual_cndmask_b32 v90, v72, v72
	v_cndmask_b32_e64 v93, v75, v86, s2
	v_cndmask_b32_e64 v92, v74, v74, s2
	s_mov_b32 s2, exec_lo
	s_delay_alu instid0(VALU_DEP_1)
	v_cmpx_ngt_f64_e32 v[90:91], v[92:93]
	s_xor_b32 s2, exec_lo, s2
	s_cbranch_execz .LBB34_28
; %bb.27:
	v_div_scale_f64 v[90:91], null, v[74:75], v[74:75], v[72:73]
	v_div_scale_f64 v[96:97], vcc_lo, v[72:73], v[74:75], v[72:73]
	s_delay_alu instid0(VALU_DEP_2) | instskip(SKIP_2) | instid1(VALU_DEP_1)
	v_rcp_f64_e32 v[92:93], v[90:91]
	s_waitcnt_depctr 0xfff
	v_fma_f64 v[94:95], -v[90:91], v[92:93], 1.0
	v_fma_f64 v[92:93], v[92:93], v[94:95], v[92:93]
	s_delay_alu instid0(VALU_DEP_1) | instskip(NEXT) | instid1(VALU_DEP_1)
	v_fma_f64 v[94:95], -v[90:91], v[92:93], 1.0
	v_fma_f64 v[92:93], v[92:93], v[94:95], v[92:93]
	s_delay_alu instid0(VALU_DEP_1) | instskip(NEXT) | instid1(VALU_DEP_1)
	v_mul_f64 v[94:95], v[96:97], v[92:93]
	v_fma_f64 v[90:91], -v[90:91], v[94:95], v[96:97]
	s_delay_alu instid0(VALU_DEP_1) | instskip(NEXT) | instid1(VALU_DEP_1)
	v_div_fmas_f64 v[90:91], v[90:91], v[92:93], v[94:95]
	v_div_fixup_f64 v[90:91], v[90:91], v[74:75], v[72:73]
	s_delay_alu instid0(VALU_DEP_1) | instskip(NEXT) | instid1(VALU_DEP_1)
	v_fma_f64 v[72:73], v[72:73], v[90:91], v[74:75]
	v_div_scale_f64 v[74:75], null, v[72:73], v[72:73], 1.0
	s_delay_alu instid0(VALU_DEP_1) | instskip(SKIP_2) | instid1(VALU_DEP_1)
	v_rcp_f64_e32 v[92:93], v[74:75]
	s_waitcnt_depctr 0xfff
	v_fma_f64 v[94:95], -v[74:75], v[92:93], 1.0
	v_fma_f64 v[92:93], v[92:93], v[94:95], v[92:93]
	s_delay_alu instid0(VALU_DEP_1) | instskip(NEXT) | instid1(VALU_DEP_1)
	v_fma_f64 v[94:95], -v[74:75], v[92:93], 1.0
	v_fma_f64 v[92:93], v[92:93], v[94:95], v[92:93]
	v_div_scale_f64 v[94:95], vcc_lo, 1.0, v[72:73], 1.0
	s_delay_alu instid0(VALU_DEP_1) | instskip(NEXT) | instid1(VALU_DEP_1)
	v_mul_f64 v[96:97], v[94:95], v[92:93]
	v_fma_f64 v[74:75], -v[74:75], v[96:97], v[94:95]
	s_delay_alu instid0(VALU_DEP_1) | instskip(NEXT) | instid1(VALU_DEP_1)
	v_div_fmas_f64 v[74:75], v[74:75], v[92:93], v[96:97]
	v_div_fixup_f64 v[74:75], v[74:75], v[72:73], 1.0
	s_delay_alu instid0(VALU_DEP_1)
	v_mul_f64 v[72:73], v[90:91], v[74:75]
	v_xor_b32_e32 v75, 0x80000000, v75
.LBB34_28:
	s_and_not1_saveexec_b32 s2, s2
	s_cbranch_execz .LBB34_30
; %bb.29:
	s_delay_alu instid0(VALU_DEP_1) | instskip(SKIP_1) | instid1(VALU_DEP_2)
	v_div_scale_f64 v[90:91], null, v[72:73], v[72:73], v[74:75]
	v_div_scale_f64 v[96:97], vcc_lo, v[74:75], v[72:73], v[74:75]
	v_rcp_f64_e32 v[92:93], v[90:91]
	s_waitcnt_depctr 0xfff
	v_fma_f64 v[94:95], -v[90:91], v[92:93], 1.0
	s_delay_alu instid0(VALU_DEP_1) | instskip(NEXT) | instid1(VALU_DEP_1)
	v_fma_f64 v[92:93], v[92:93], v[94:95], v[92:93]
	v_fma_f64 v[94:95], -v[90:91], v[92:93], 1.0
	s_delay_alu instid0(VALU_DEP_1) | instskip(NEXT) | instid1(VALU_DEP_1)
	v_fma_f64 v[92:93], v[92:93], v[94:95], v[92:93]
	v_mul_f64 v[94:95], v[96:97], v[92:93]
	s_delay_alu instid0(VALU_DEP_1) | instskip(NEXT) | instid1(VALU_DEP_1)
	v_fma_f64 v[90:91], -v[90:91], v[94:95], v[96:97]
	v_div_fmas_f64 v[90:91], v[90:91], v[92:93], v[94:95]
	s_delay_alu instid0(VALU_DEP_1) | instskip(NEXT) | instid1(VALU_DEP_1)
	v_div_fixup_f64 v[90:91], v[90:91], v[72:73], v[74:75]
	v_fma_f64 v[72:73], v[74:75], v[90:91], v[72:73]
	s_delay_alu instid0(VALU_DEP_1) | instskip(NEXT) | instid1(VALU_DEP_1)
	v_div_scale_f64 v[74:75], null, v[72:73], v[72:73], 1.0
	v_rcp_f64_e32 v[92:93], v[74:75]
	s_waitcnt_depctr 0xfff
	v_fma_f64 v[94:95], -v[74:75], v[92:93], 1.0
	s_delay_alu instid0(VALU_DEP_1) | instskip(NEXT) | instid1(VALU_DEP_1)
	v_fma_f64 v[92:93], v[92:93], v[94:95], v[92:93]
	v_fma_f64 v[94:95], -v[74:75], v[92:93], 1.0
	s_delay_alu instid0(VALU_DEP_1) | instskip(SKIP_1) | instid1(VALU_DEP_1)
	v_fma_f64 v[92:93], v[92:93], v[94:95], v[92:93]
	v_div_scale_f64 v[94:95], vcc_lo, 1.0, v[72:73], 1.0
	v_mul_f64 v[96:97], v[94:95], v[92:93]
	s_delay_alu instid0(VALU_DEP_1) | instskip(NEXT) | instid1(VALU_DEP_1)
	v_fma_f64 v[74:75], -v[74:75], v[96:97], v[94:95]
	v_div_fmas_f64 v[74:75], v[74:75], v[92:93], v[96:97]
	s_delay_alu instid0(VALU_DEP_1) | instskip(NEXT) | instid1(VALU_DEP_1)
	v_div_fixup_f64 v[72:73], v[74:75], v[72:73], 1.0
	v_mul_f64 v[74:75], v[90:91], -v[72:73]
.LBB34_30:
	s_or_b32 exec_lo, exec_lo, s2
	v_mov_b32_e32 v86, v89
.LBB34_31:
	s_or_b32 exec_lo, exec_lo, s3
	s_delay_alu instid0(SALU_CYCLE_1)
	s_mov_b32 s2, exec_lo
	v_cmpx_ne_u32_e64 v88, v80
	s_xor_b32 s2, exec_lo, s2
	s_cbranch_execz .LBB34_37
; %bb.32:
	s_mov_b32 s3, exec_lo
	v_cmpx_eq_u32_e32 1, v88
	s_cbranch_execz .LBB34_36
; %bb.33:
	v_cmp_ne_u32_e32 vcc_lo, 1, v80
	s_xor_b32 s6, s4, -1
	s_delay_alu instid0(SALU_CYCLE_1) | instskip(NEXT) | instid1(SALU_CYCLE_1)
	s_and_b32 s7, s6, vcc_lo
	s_and_saveexec_b32 s6, s7
	s_cbranch_execz .LBB34_35
; %bb.34:
	v_ashrrev_i32_e32 v81, 31, v80
	s_delay_alu instid0(VALU_DEP_1) | instskip(NEXT) | instid1(VALU_DEP_1)
	v_lshlrev_b64 v[88:89], 2, v[80:81]
	v_add_co_u32 v88, vcc_lo, v78, v88
	s_delay_alu instid0(VALU_DEP_2)
	v_add_co_ci_u32_e32 v89, vcc_lo, v79, v89, vcc_lo
	s_clause 0x1
	flat_load_b32 v81, v[88:89]
	flat_load_b32 v85, v[78:79] offset:4
	s_waitcnt vmcnt(1) lgkmcnt(1)
	flat_store_b32 v[78:79], v81 offset:4
	s_waitcnt vmcnt(0) lgkmcnt(1)
	flat_store_b32 v[88:89], v85
.LBB34_35:
	s_or_b32 exec_lo, exec_lo, s6
	v_mov_b32_e32 v88, v80
	v_mov_b32_e32 v85, v80
.LBB34_36:
	s_or_b32 exec_lo, exec_lo, s3
.LBB34_37:
	s_and_not1_saveexec_b32 s2, s2
	s_cbranch_execz .LBB34_39
; %bb.38:
	v_mov_b32_e32 v88, 1
	ds_store_2addr_b64 v82, v[64:65], v[66:67] offset0:4 offset1:5
	ds_store_2addr_b64 v82, v[48:49], v[50:51] offset0:6 offset1:7
	;; [unrolled: 1-line block ×16, first 2 shown]
.LBB34_39:
	s_or_b32 exec_lo, exec_lo, s2
	s_delay_alu instid0(SALU_CYCLE_1)
	s_mov_b32 s2, exec_lo
	s_waitcnt lgkmcnt(0)
	s_waitcnt_vscnt null, 0x0
	s_barrier
	buffer_gl0_inv
	v_cmpx_lt_i32_e32 1, v88
	s_cbranch_execz .LBB34_41
; %bb.40:
	v_mul_f64 v[80:81], v[72:73], v[54:55]
	v_mul_f64 v[54:55], v[74:75], v[54:55]
	ds_load_2addr_b64 v[89:92], v82 offset0:4 offset1:5
	ds_load_2addr_b64 v[93:96], v82 offset0:6 offset1:7
	ds_load_2addr_b64 v[97:100], v82 offset0:8 offset1:9
	ds_load_2addr_b64 v[101:104], v82 offset0:10 offset1:11
	ds_load_2addr_b64 v[105:108], v82 offset0:12 offset1:13
	ds_load_2addr_b64 v[109:112], v82 offset0:14 offset1:15
	ds_load_2addr_b64 v[113:116], v82 offset0:16 offset1:17
	ds_load_2addr_b64 v[117:120], v82 offset0:18 offset1:19
	ds_load_2addr_b64 v[121:124], v82 offset0:20 offset1:21
	ds_load_2addr_b64 v[125:128], v82 offset0:22 offset1:23
	ds_load_2addr_b64 v[129:132], v82 offset0:24 offset1:25
	ds_load_2addr_b64 v[133:136], v82 offset0:26 offset1:27
	ds_load_2addr_b64 v[137:140], v82 offset0:28 offset1:29
	ds_load_2addr_b64 v[141:144], v82 offset0:30 offset1:31
	ds_load_2addr_b64 v[145:148], v82 offset0:32 offset1:33
	ds_load_2addr_b64 v[149:152], v82 offset0:34 offset1:35
	v_fma_f64 v[74:75], v[74:75], v[52:53], v[80:81]
	v_fma_f64 v[52:53], v[72:73], v[52:53], -v[54:55]
	s_waitcnt lgkmcnt(15)
	s_delay_alu instid0(VALU_DEP_2)
	v_mul_f64 v[54:55], v[91:92], v[74:75]
	v_mul_f64 v[72:73], v[89:90], v[74:75]
	s_waitcnt lgkmcnt(14)
	v_mul_f64 v[80:81], v[95:96], v[74:75]
	v_mul_f64 v[153:154], v[93:94], v[74:75]
	s_waitcnt lgkmcnt(13)
	;; [unrolled: 3-line block ×15, first 2 shown]
	v_mul_f64 v[207:208], v[151:152], v[74:75]
	v_mul_f64 v[209:210], v[149:150], v[74:75]
	v_fma_f64 v[54:55], v[89:90], v[52:53], -v[54:55]
	v_fma_f64 v[72:73], v[91:92], v[52:53], v[72:73]
	v_fma_f64 v[80:81], v[93:94], v[52:53], -v[80:81]
	v_fma_f64 v[89:90], v[95:96], v[52:53], v[153:154]
	;; [unrolled: 2-line block ×16, first 2 shown]
	v_add_f64 v[64:65], v[64:65], -v[54:55]
	v_add_f64 v[66:67], v[66:67], -v[72:73]
	;; [unrolled: 1-line block ×32, first 2 shown]
	v_dual_mov_b32 v54, v74 :: v_dual_mov_b32 v55, v75
.LBB34_41:
	s_or_b32 exec_lo, exec_lo, s2
	v_lshl_add_u32 v72, v88, 4, v82
	s_barrier
	buffer_gl0_inv
	v_mov_b32_e32 v80, 2
	ds_store_2addr_b64 v72, v[64:65], v[66:67] offset1:1
	s_waitcnt lgkmcnt(0)
	s_barrier
	buffer_gl0_inv
	ds_load_2addr_b64 v[72:75], v82 offset0:4 offset1:5
	s_cmp_lt_i32 s5, 4
	s_cbranch_scc1 .LBB34_44
; %bb.42:
	v_add3_u32 v81, v87, 0, 48
	v_mov_b32_e32 v80, 2
	s_mov_b32 s6, 3
	s_set_inst_prefetch_distance 0x1
	.p2align	6
.LBB34_43:                              ; =>This Inner Loop Header: Depth=1
	ds_load_2addr_b64 v[89:92], v81 offset1:1
	s_waitcnt lgkmcnt(1)
	v_cmp_gt_f64_e32 vcc_lo, 0, v[72:73]
	v_xor_b32_e32 v93, 0x80000000, v73
	v_cmp_gt_f64_e64 s2, 0, v[74:75]
	v_xor_b32_e32 v95, 0x80000000, v75
	v_add_nc_u32_e32 v81, 16, v81
	s_waitcnt lgkmcnt(0)
	v_cmp_gt_f64_e64 s3, 0, v[89:90]
	v_mov_b32_e32 v97, v89
	v_dual_mov_b32 v99, v91 :: v_dual_cndmask_b32 v94, v73, v93
	v_xor_b32_e32 v93, 0x80000000, v90
	v_cndmask_b32_e64 v96, v75, v95, s2
	v_xor_b32_e32 v95, 0x80000000, v92
	s_delay_alu instid0(VALU_DEP_3) | instskip(SKIP_2) | instid1(VALU_DEP_2)
	v_cndmask_b32_e64 v98, v90, v93, s3
	v_cmp_gt_f64_e64 s3, 0, v[91:92]
	v_cndmask_b32_e32 v93, v72, v72, vcc_lo
	v_cndmask_b32_e64 v100, v92, v95, s3
	v_cndmask_b32_e64 v95, v74, v74, s2
	s_delay_alu instid0(VALU_DEP_2) | instskip(NEXT) | instid1(VALU_DEP_2)
	v_add_f64 v[97:98], v[97:98], v[99:100]
	v_add_f64 v[93:94], v[93:94], v[95:96]
	s_delay_alu instid0(VALU_DEP_1) | instskip(SKIP_4) | instid1(SALU_CYCLE_1)
	v_cmp_lt_f64_e32 vcc_lo, v[93:94], v[97:98]
	v_dual_cndmask_b32 v74, v74, v91 :: v_dual_cndmask_b32 v73, v73, v90
	v_dual_cndmask_b32 v72, v72, v89 :: v_dual_cndmask_b32 v75, v75, v92
	v_cndmask_b32_e64 v80, v80, s6, vcc_lo
	s_add_i32 s6, s6, 1
	s_cmp_lg_u32 s5, s6
	s_cbranch_scc1 .LBB34_43
.LBB34_44:
	s_set_inst_prefetch_distance 0x2
	s_waitcnt lgkmcnt(0)
	v_cmp_eq_f64_e32 vcc_lo, 0, v[72:73]
	v_cmp_eq_f64_e64 s2, 0, v[74:75]
	s_delay_alu instid0(VALU_DEP_1) | instskip(NEXT) | instid1(SALU_CYCLE_1)
	s_and_b32 s2, vcc_lo, s2
	s_and_saveexec_b32 s3, s2
	s_delay_alu instid0(SALU_CYCLE_1)
	s_xor_b32 s2, exec_lo, s3
; %bb.45:
	v_cmp_ne_u32_e32 vcc_lo, 0, v86
	v_cndmask_b32_e32 v86, 3, v86, vcc_lo
; %bb.46:
	s_and_not1_saveexec_b32 s3, s2
	s_cbranch_execz .LBB34_52
; %bb.47:
	v_cmp_gt_f64_e32 vcc_lo, 0, v[72:73]
	v_cmp_gt_f64_e64 s2, 0, v[74:75]
	v_xor_b32_e32 v81, 0x80000000, v73
	v_xor_b32_e32 v89, 0x80000000, v75
	s_delay_alu instid0(VALU_DEP_2) | instskip(NEXT) | instid1(VALU_DEP_2)
	v_cndmask_b32_e32 v90, v73, v81, vcc_lo
	v_cndmask_b32_e64 v92, v75, v89, s2
	v_cndmask_b32_e32 v89, v72, v72, vcc_lo
	v_cndmask_b32_e64 v91, v74, v74, s2
	s_mov_b32 s2, exec_lo
	s_delay_alu instid0(VALU_DEP_1)
	v_cmpx_ngt_f64_e32 v[89:90], v[91:92]
	s_xor_b32 s2, exec_lo, s2
	s_cbranch_execz .LBB34_49
; %bb.48:
	v_div_scale_f64 v[89:90], null, v[74:75], v[74:75], v[72:73]
	v_div_scale_f64 v[95:96], vcc_lo, v[72:73], v[74:75], v[72:73]
	s_delay_alu instid0(VALU_DEP_2) | instskip(SKIP_2) | instid1(VALU_DEP_1)
	v_rcp_f64_e32 v[91:92], v[89:90]
	s_waitcnt_depctr 0xfff
	v_fma_f64 v[93:94], -v[89:90], v[91:92], 1.0
	v_fma_f64 v[91:92], v[91:92], v[93:94], v[91:92]
	s_delay_alu instid0(VALU_DEP_1) | instskip(NEXT) | instid1(VALU_DEP_1)
	v_fma_f64 v[93:94], -v[89:90], v[91:92], 1.0
	v_fma_f64 v[91:92], v[91:92], v[93:94], v[91:92]
	s_delay_alu instid0(VALU_DEP_1) | instskip(NEXT) | instid1(VALU_DEP_1)
	v_mul_f64 v[93:94], v[95:96], v[91:92]
	v_fma_f64 v[89:90], -v[89:90], v[93:94], v[95:96]
	s_delay_alu instid0(VALU_DEP_1) | instskip(NEXT) | instid1(VALU_DEP_1)
	v_div_fmas_f64 v[89:90], v[89:90], v[91:92], v[93:94]
	v_div_fixup_f64 v[89:90], v[89:90], v[74:75], v[72:73]
	s_delay_alu instid0(VALU_DEP_1) | instskip(NEXT) | instid1(VALU_DEP_1)
	v_fma_f64 v[72:73], v[72:73], v[89:90], v[74:75]
	v_div_scale_f64 v[74:75], null, v[72:73], v[72:73], 1.0
	s_delay_alu instid0(VALU_DEP_1) | instskip(SKIP_2) | instid1(VALU_DEP_1)
	v_rcp_f64_e32 v[91:92], v[74:75]
	s_waitcnt_depctr 0xfff
	v_fma_f64 v[93:94], -v[74:75], v[91:92], 1.0
	v_fma_f64 v[91:92], v[91:92], v[93:94], v[91:92]
	s_delay_alu instid0(VALU_DEP_1) | instskip(NEXT) | instid1(VALU_DEP_1)
	v_fma_f64 v[93:94], -v[74:75], v[91:92], 1.0
	v_fma_f64 v[91:92], v[91:92], v[93:94], v[91:92]
	v_div_scale_f64 v[93:94], vcc_lo, 1.0, v[72:73], 1.0
	s_delay_alu instid0(VALU_DEP_1) | instskip(NEXT) | instid1(VALU_DEP_1)
	v_mul_f64 v[95:96], v[93:94], v[91:92]
	v_fma_f64 v[74:75], -v[74:75], v[95:96], v[93:94]
	s_delay_alu instid0(VALU_DEP_1) | instskip(NEXT) | instid1(VALU_DEP_1)
	v_div_fmas_f64 v[74:75], v[74:75], v[91:92], v[95:96]
	v_div_fixup_f64 v[74:75], v[74:75], v[72:73], 1.0
	s_delay_alu instid0(VALU_DEP_1)
	v_mul_f64 v[72:73], v[89:90], v[74:75]
	v_xor_b32_e32 v75, 0x80000000, v75
.LBB34_49:
	s_and_not1_saveexec_b32 s2, s2
	s_cbranch_execz .LBB34_51
; %bb.50:
	s_delay_alu instid0(VALU_DEP_1) | instskip(SKIP_1) | instid1(VALU_DEP_2)
	v_div_scale_f64 v[89:90], null, v[72:73], v[72:73], v[74:75]
	v_div_scale_f64 v[95:96], vcc_lo, v[74:75], v[72:73], v[74:75]
	v_rcp_f64_e32 v[91:92], v[89:90]
	s_waitcnt_depctr 0xfff
	v_fma_f64 v[93:94], -v[89:90], v[91:92], 1.0
	s_delay_alu instid0(VALU_DEP_1) | instskip(NEXT) | instid1(VALU_DEP_1)
	v_fma_f64 v[91:92], v[91:92], v[93:94], v[91:92]
	v_fma_f64 v[93:94], -v[89:90], v[91:92], 1.0
	s_delay_alu instid0(VALU_DEP_1) | instskip(NEXT) | instid1(VALU_DEP_1)
	v_fma_f64 v[91:92], v[91:92], v[93:94], v[91:92]
	v_mul_f64 v[93:94], v[95:96], v[91:92]
	s_delay_alu instid0(VALU_DEP_1) | instskip(NEXT) | instid1(VALU_DEP_1)
	v_fma_f64 v[89:90], -v[89:90], v[93:94], v[95:96]
	v_div_fmas_f64 v[89:90], v[89:90], v[91:92], v[93:94]
	s_delay_alu instid0(VALU_DEP_1) | instskip(NEXT) | instid1(VALU_DEP_1)
	v_div_fixup_f64 v[89:90], v[89:90], v[72:73], v[74:75]
	v_fma_f64 v[72:73], v[74:75], v[89:90], v[72:73]
	s_delay_alu instid0(VALU_DEP_1) | instskip(NEXT) | instid1(VALU_DEP_1)
	v_div_scale_f64 v[74:75], null, v[72:73], v[72:73], 1.0
	v_rcp_f64_e32 v[91:92], v[74:75]
	s_waitcnt_depctr 0xfff
	v_fma_f64 v[93:94], -v[74:75], v[91:92], 1.0
	s_delay_alu instid0(VALU_DEP_1) | instskip(NEXT) | instid1(VALU_DEP_1)
	v_fma_f64 v[91:92], v[91:92], v[93:94], v[91:92]
	v_fma_f64 v[93:94], -v[74:75], v[91:92], 1.0
	s_delay_alu instid0(VALU_DEP_1) | instskip(SKIP_1) | instid1(VALU_DEP_1)
	v_fma_f64 v[91:92], v[91:92], v[93:94], v[91:92]
	v_div_scale_f64 v[93:94], vcc_lo, 1.0, v[72:73], 1.0
	v_mul_f64 v[95:96], v[93:94], v[91:92]
	s_delay_alu instid0(VALU_DEP_1) | instskip(NEXT) | instid1(VALU_DEP_1)
	v_fma_f64 v[74:75], -v[74:75], v[95:96], v[93:94]
	v_div_fmas_f64 v[74:75], v[74:75], v[91:92], v[95:96]
	s_delay_alu instid0(VALU_DEP_1) | instskip(NEXT) | instid1(VALU_DEP_1)
	v_div_fixup_f64 v[72:73], v[74:75], v[72:73], 1.0
	v_mul_f64 v[74:75], v[89:90], -v[72:73]
.LBB34_51:
	s_or_b32 exec_lo, exec_lo, s2
.LBB34_52:
	s_delay_alu instid0(SALU_CYCLE_1) | instskip(NEXT) | instid1(SALU_CYCLE_1)
	s_or_b32 exec_lo, exec_lo, s3
	s_mov_b32 s2, exec_lo
	v_cmpx_ne_u32_e64 v88, v80
	s_xor_b32 s2, exec_lo, s2
	s_cbranch_execz .LBB34_58
; %bb.53:
	s_mov_b32 s3, exec_lo
	v_cmpx_eq_u32_e32 2, v88
	s_cbranch_execz .LBB34_57
; %bb.54:
	v_cmp_ne_u32_e32 vcc_lo, 2, v80
	s_xor_b32 s6, s4, -1
	s_delay_alu instid0(SALU_CYCLE_1) | instskip(NEXT) | instid1(SALU_CYCLE_1)
	s_and_b32 s7, s6, vcc_lo
	s_and_saveexec_b32 s6, s7
	s_cbranch_execz .LBB34_56
; %bb.55:
	v_ashrrev_i32_e32 v81, 31, v80
	s_delay_alu instid0(VALU_DEP_1) | instskip(NEXT) | instid1(VALU_DEP_1)
	v_lshlrev_b64 v[88:89], 2, v[80:81]
	v_add_co_u32 v88, vcc_lo, v78, v88
	s_delay_alu instid0(VALU_DEP_2)
	v_add_co_ci_u32_e32 v89, vcc_lo, v79, v89, vcc_lo
	s_clause 0x1
	flat_load_b32 v81, v[88:89]
	flat_load_b32 v85, v[78:79] offset:8
	s_waitcnt vmcnt(1) lgkmcnt(1)
	flat_store_b32 v[78:79], v81 offset:8
	s_waitcnt vmcnt(0) lgkmcnt(1)
	flat_store_b32 v[88:89], v85
.LBB34_56:
	s_or_b32 exec_lo, exec_lo, s6
	v_mov_b32_e32 v88, v80
	v_mov_b32_e32 v85, v80
.LBB34_57:
	s_or_b32 exec_lo, exec_lo, s3
.LBB34_58:
	s_and_not1_saveexec_b32 s2, s2
	s_cbranch_execz .LBB34_60
; %bb.59:
	v_mov_b32_e32 v88, 2
	ds_store_2addr_b64 v82, v[48:49], v[50:51] offset0:6 offset1:7
	ds_store_2addr_b64 v82, v[60:61], v[62:63] offset0:8 offset1:9
	;; [unrolled: 1-line block ×15, first 2 shown]
.LBB34_60:
	s_or_b32 exec_lo, exec_lo, s2
	s_delay_alu instid0(SALU_CYCLE_1)
	s_mov_b32 s2, exec_lo
	s_waitcnt lgkmcnt(0)
	s_waitcnt_vscnt null, 0x0
	s_barrier
	buffer_gl0_inv
	v_cmpx_lt_i32_e32 2, v88
	s_cbranch_execz .LBB34_62
; %bb.61:
	v_mul_f64 v[80:81], v[72:73], v[66:67]
	v_mul_f64 v[66:67], v[74:75], v[66:67]
	ds_load_2addr_b64 v[89:92], v82 offset0:6 offset1:7
	ds_load_2addr_b64 v[93:96], v82 offset0:8 offset1:9
	ds_load_2addr_b64 v[97:100], v82 offset0:10 offset1:11
	ds_load_2addr_b64 v[101:104], v82 offset0:12 offset1:13
	ds_load_2addr_b64 v[105:108], v82 offset0:14 offset1:15
	ds_load_2addr_b64 v[109:112], v82 offset0:16 offset1:17
	ds_load_2addr_b64 v[113:116], v82 offset0:18 offset1:19
	ds_load_2addr_b64 v[117:120], v82 offset0:20 offset1:21
	ds_load_2addr_b64 v[121:124], v82 offset0:22 offset1:23
	ds_load_2addr_b64 v[125:128], v82 offset0:24 offset1:25
	ds_load_2addr_b64 v[129:132], v82 offset0:26 offset1:27
	ds_load_2addr_b64 v[133:136], v82 offset0:28 offset1:29
	ds_load_2addr_b64 v[137:140], v82 offset0:30 offset1:31
	ds_load_2addr_b64 v[141:144], v82 offset0:32 offset1:33
	ds_load_2addr_b64 v[145:148], v82 offset0:34 offset1:35
	v_fma_f64 v[74:75], v[74:75], v[64:65], v[80:81]
	v_fma_f64 v[64:65], v[72:73], v[64:65], -v[66:67]
	s_waitcnt lgkmcnt(14)
	s_delay_alu instid0(VALU_DEP_2)
	v_mul_f64 v[66:67], v[91:92], v[74:75]
	v_mul_f64 v[72:73], v[89:90], v[74:75]
	s_waitcnt lgkmcnt(13)
	v_mul_f64 v[80:81], v[95:96], v[74:75]
	v_mul_f64 v[149:150], v[93:94], v[74:75]
	s_waitcnt lgkmcnt(12)
	;; [unrolled: 3-line block ×14, first 2 shown]
	v_mul_f64 v[199:200], v[147:148], v[74:75]
	v_mul_f64 v[201:202], v[145:146], v[74:75]
	v_fma_f64 v[66:67], v[89:90], v[64:65], -v[66:67]
	v_fma_f64 v[72:73], v[91:92], v[64:65], v[72:73]
	v_fma_f64 v[80:81], v[93:94], v[64:65], -v[80:81]
	v_fma_f64 v[89:90], v[95:96], v[64:65], v[149:150]
	;; [unrolled: 2-line block ×15, first 2 shown]
	v_add_f64 v[48:49], v[48:49], -v[66:67]
	v_add_f64 v[50:51], v[50:51], -v[72:73]
	;; [unrolled: 1-line block ×30, first 2 shown]
	v_dual_mov_b32 v66, v74 :: v_dual_mov_b32 v67, v75
.LBB34_62:
	s_or_b32 exec_lo, exec_lo, s2
	v_lshl_add_u32 v72, v88, 4, v82
	s_barrier
	buffer_gl0_inv
	v_mov_b32_e32 v80, 3
	ds_store_2addr_b64 v72, v[48:49], v[50:51] offset1:1
	s_waitcnt lgkmcnt(0)
	s_barrier
	buffer_gl0_inv
	ds_load_2addr_b64 v[72:75], v82 offset0:6 offset1:7
	s_cmp_lt_i32 s5, 5
	s_mov_b32 s6, 4
	s_cbranch_scc1 .LBB34_65
; %bb.63:
	v_add3_u32 v81, v87, 0, 64
	v_mov_b32_e32 v80, 3
	s_set_inst_prefetch_distance 0x1
	.p2align	6
.LBB34_64:                              ; =>This Inner Loop Header: Depth=1
	ds_load_2addr_b64 v[89:92], v81 offset1:1
	s_waitcnt lgkmcnt(1)
	v_cmp_gt_f64_e32 vcc_lo, 0, v[72:73]
	v_xor_b32_e32 v93, 0x80000000, v73
	v_cmp_gt_f64_e64 s2, 0, v[74:75]
	v_xor_b32_e32 v95, 0x80000000, v75
	v_add_nc_u32_e32 v81, 16, v81
	s_waitcnt lgkmcnt(0)
	v_cmp_gt_f64_e64 s3, 0, v[89:90]
	v_mov_b32_e32 v97, v89
	v_dual_mov_b32 v99, v91 :: v_dual_cndmask_b32 v94, v73, v93
	v_xor_b32_e32 v93, 0x80000000, v90
	v_cndmask_b32_e64 v96, v75, v95, s2
	v_xor_b32_e32 v95, 0x80000000, v92
	s_delay_alu instid0(VALU_DEP_3) | instskip(SKIP_2) | instid1(VALU_DEP_2)
	v_cndmask_b32_e64 v98, v90, v93, s3
	v_cmp_gt_f64_e64 s3, 0, v[91:92]
	v_cndmask_b32_e32 v93, v72, v72, vcc_lo
	v_cndmask_b32_e64 v100, v92, v95, s3
	v_cndmask_b32_e64 v95, v74, v74, s2
	s_delay_alu instid0(VALU_DEP_2) | instskip(NEXT) | instid1(VALU_DEP_2)
	v_add_f64 v[97:98], v[97:98], v[99:100]
	v_add_f64 v[93:94], v[93:94], v[95:96]
	s_delay_alu instid0(VALU_DEP_1) | instskip(SKIP_4) | instid1(SALU_CYCLE_1)
	v_cmp_lt_f64_e32 vcc_lo, v[93:94], v[97:98]
	v_dual_cndmask_b32 v74, v74, v91 :: v_dual_cndmask_b32 v73, v73, v90
	v_dual_cndmask_b32 v72, v72, v89 :: v_dual_cndmask_b32 v75, v75, v92
	v_cndmask_b32_e64 v80, v80, s6, vcc_lo
	s_add_i32 s6, s6, 1
	s_cmp_lg_u32 s5, s6
	s_cbranch_scc1 .LBB34_64
.LBB34_65:
	s_set_inst_prefetch_distance 0x2
	s_waitcnt lgkmcnt(0)
	v_cmp_eq_f64_e32 vcc_lo, 0, v[72:73]
	v_cmp_eq_f64_e64 s2, 0, v[74:75]
	s_delay_alu instid0(VALU_DEP_1) | instskip(NEXT) | instid1(SALU_CYCLE_1)
	s_and_b32 s2, vcc_lo, s2
	s_and_saveexec_b32 s3, s2
	s_delay_alu instid0(SALU_CYCLE_1)
	s_xor_b32 s2, exec_lo, s3
; %bb.66:
	v_cmp_ne_u32_e32 vcc_lo, 0, v86
	v_cndmask_b32_e32 v86, 4, v86, vcc_lo
; %bb.67:
	s_and_not1_saveexec_b32 s3, s2
	s_cbranch_execz .LBB34_73
; %bb.68:
	v_cmp_gt_f64_e32 vcc_lo, 0, v[72:73]
	v_cmp_gt_f64_e64 s2, 0, v[74:75]
	v_xor_b32_e32 v81, 0x80000000, v73
	v_xor_b32_e32 v89, 0x80000000, v75
	s_delay_alu instid0(VALU_DEP_2) | instskip(NEXT) | instid1(VALU_DEP_2)
	v_cndmask_b32_e32 v90, v73, v81, vcc_lo
	v_cndmask_b32_e64 v92, v75, v89, s2
	v_cndmask_b32_e32 v89, v72, v72, vcc_lo
	v_cndmask_b32_e64 v91, v74, v74, s2
	s_mov_b32 s2, exec_lo
	s_delay_alu instid0(VALU_DEP_1)
	v_cmpx_ngt_f64_e32 v[89:90], v[91:92]
	s_xor_b32 s2, exec_lo, s2
	s_cbranch_execz .LBB34_70
; %bb.69:
	v_div_scale_f64 v[89:90], null, v[74:75], v[74:75], v[72:73]
	v_div_scale_f64 v[95:96], vcc_lo, v[72:73], v[74:75], v[72:73]
	s_delay_alu instid0(VALU_DEP_2) | instskip(SKIP_2) | instid1(VALU_DEP_1)
	v_rcp_f64_e32 v[91:92], v[89:90]
	s_waitcnt_depctr 0xfff
	v_fma_f64 v[93:94], -v[89:90], v[91:92], 1.0
	v_fma_f64 v[91:92], v[91:92], v[93:94], v[91:92]
	s_delay_alu instid0(VALU_DEP_1) | instskip(NEXT) | instid1(VALU_DEP_1)
	v_fma_f64 v[93:94], -v[89:90], v[91:92], 1.0
	v_fma_f64 v[91:92], v[91:92], v[93:94], v[91:92]
	s_delay_alu instid0(VALU_DEP_1) | instskip(NEXT) | instid1(VALU_DEP_1)
	v_mul_f64 v[93:94], v[95:96], v[91:92]
	v_fma_f64 v[89:90], -v[89:90], v[93:94], v[95:96]
	s_delay_alu instid0(VALU_DEP_1) | instskip(NEXT) | instid1(VALU_DEP_1)
	v_div_fmas_f64 v[89:90], v[89:90], v[91:92], v[93:94]
	v_div_fixup_f64 v[89:90], v[89:90], v[74:75], v[72:73]
	s_delay_alu instid0(VALU_DEP_1) | instskip(NEXT) | instid1(VALU_DEP_1)
	v_fma_f64 v[72:73], v[72:73], v[89:90], v[74:75]
	v_div_scale_f64 v[74:75], null, v[72:73], v[72:73], 1.0
	s_delay_alu instid0(VALU_DEP_1) | instskip(SKIP_2) | instid1(VALU_DEP_1)
	v_rcp_f64_e32 v[91:92], v[74:75]
	s_waitcnt_depctr 0xfff
	v_fma_f64 v[93:94], -v[74:75], v[91:92], 1.0
	v_fma_f64 v[91:92], v[91:92], v[93:94], v[91:92]
	s_delay_alu instid0(VALU_DEP_1) | instskip(NEXT) | instid1(VALU_DEP_1)
	v_fma_f64 v[93:94], -v[74:75], v[91:92], 1.0
	v_fma_f64 v[91:92], v[91:92], v[93:94], v[91:92]
	v_div_scale_f64 v[93:94], vcc_lo, 1.0, v[72:73], 1.0
	s_delay_alu instid0(VALU_DEP_1) | instskip(NEXT) | instid1(VALU_DEP_1)
	v_mul_f64 v[95:96], v[93:94], v[91:92]
	v_fma_f64 v[74:75], -v[74:75], v[95:96], v[93:94]
	s_delay_alu instid0(VALU_DEP_1) | instskip(NEXT) | instid1(VALU_DEP_1)
	v_div_fmas_f64 v[74:75], v[74:75], v[91:92], v[95:96]
	v_div_fixup_f64 v[74:75], v[74:75], v[72:73], 1.0
	s_delay_alu instid0(VALU_DEP_1)
	v_mul_f64 v[72:73], v[89:90], v[74:75]
	v_xor_b32_e32 v75, 0x80000000, v75
.LBB34_70:
	s_and_not1_saveexec_b32 s2, s2
	s_cbranch_execz .LBB34_72
; %bb.71:
	s_delay_alu instid0(VALU_DEP_1) | instskip(SKIP_1) | instid1(VALU_DEP_2)
	v_div_scale_f64 v[89:90], null, v[72:73], v[72:73], v[74:75]
	v_div_scale_f64 v[95:96], vcc_lo, v[74:75], v[72:73], v[74:75]
	v_rcp_f64_e32 v[91:92], v[89:90]
	s_waitcnt_depctr 0xfff
	v_fma_f64 v[93:94], -v[89:90], v[91:92], 1.0
	s_delay_alu instid0(VALU_DEP_1) | instskip(NEXT) | instid1(VALU_DEP_1)
	v_fma_f64 v[91:92], v[91:92], v[93:94], v[91:92]
	v_fma_f64 v[93:94], -v[89:90], v[91:92], 1.0
	s_delay_alu instid0(VALU_DEP_1) | instskip(NEXT) | instid1(VALU_DEP_1)
	v_fma_f64 v[91:92], v[91:92], v[93:94], v[91:92]
	v_mul_f64 v[93:94], v[95:96], v[91:92]
	s_delay_alu instid0(VALU_DEP_1) | instskip(NEXT) | instid1(VALU_DEP_1)
	v_fma_f64 v[89:90], -v[89:90], v[93:94], v[95:96]
	v_div_fmas_f64 v[89:90], v[89:90], v[91:92], v[93:94]
	s_delay_alu instid0(VALU_DEP_1) | instskip(NEXT) | instid1(VALU_DEP_1)
	v_div_fixup_f64 v[89:90], v[89:90], v[72:73], v[74:75]
	v_fma_f64 v[72:73], v[74:75], v[89:90], v[72:73]
	s_delay_alu instid0(VALU_DEP_1) | instskip(NEXT) | instid1(VALU_DEP_1)
	v_div_scale_f64 v[74:75], null, v[72:73], v[72:73], 1.0
	v_rcp_f64_e32 v[91:92], v[74:75]
	s_waitcnt_depctr 0xfff
	v_fma_f64 v[93:94], -v[74:75], v[91:92], 1.0
	s_delay_alu instid0(VALU_DEP_1) | instskip(NEXT) | instid1(VALU_DEP_1)
	v_fma_f64 v[91:92], v[91:92], v[93:94], v[91:92]
	v_fma_f64 v[93:94], -v[74:75], v[91:92], 1.0
	s_delay_alu instid0(VALU_DEP_1) | instskip(SKIP_1) | instid1(VALU_DEP_1)
	v_fma_f64 v[91:92], v[91:92], v[93:94], v[91:92]
	v_div_scale_f64 v[93:94], vcc_lo, 1.0, v[72:73], 1.0
	v_mul_f64 v[95:96], v[93:94], v[91:92]
	s_delay_alu instid0(VALU_DEP_1) | instskip(NEXT) | instid1(VALU_DEP_1)
	v_fma_f64 v[74:75], -v[74:75], v[95:96], v[93:94]
	v_div_fmas_f64 v[74:75], v[74:75], v[91:92], v[95:96]
	s_delay_alu instid0(VALU_DEP_1) | instskip(NEXT) | instid1(VALU_DEP_1)
	v_div_fixup_f64 v[72:73], v[74:75], v[72:73], 1.0
	v_mul_f64 v[74:75], v[89:90], -v[72:73]
.LBB34_72:
	s_or_b32 exec_lo, exec_lo, s2
.LBB34_73:
	s_delay_alu instid0(SALU_CYCLE_1) | instskip(NEXT) | instid1(SALU_CYCLE_1)
	s_or_b32 exec_lo, exec_lo, s3
	s_mov_b32 s2, exec_lo
	v_cmpx_ne_u32_e64 v88, v80
	s_xor_b32 s2, exec_lo, s2
	s_cbranch_execz .LBB34_79
; %bb.74:
	s_mov_b32 s3, exec_lo
	v_cmpx_eq_u32_e32 3, v88
	s_cbranch_execz .LBB34_78
; %bb.75:
	v_cmp_ne_u32_e32 vcc_lo, 3, v80
	s_xor_b32 s6, s4, -1
	s_delay_alu instid0(SALU_CYCLE_1) | instskip(NEXT) | instid1(SALU_CYCLE_1)
	s_and_b32 s7, s6, vcc_lo
	s_and_saveexec_b32 s6, s7
	s_cbranch_execz .LBB34_77
; %bb.76:
	v_ashrrev_i32_e32 v81, 31, v80
	s_delay_alu instid0(VALU_DEP_1) | instskip(NEXT) | instid1(VALU_DEP_1)
	v_lshlrev_b64 v[88:89], 2, v[80:81]
	v_add_co_u32 v88, vcc_lo, v78, v88
	s_delay_alu instid0(VALU_DEP_2)
	v_add_co_ci_u32_e32 v89, vcc_lo, v79, v89, vcc_lo
	s_clause 0x1
	flat_load_b32 v81, v[88:89]
	flat_load_b32 v85, v[78:79] offset:12
	s_waitcnt vmcnt(1) lgkmcnt(1)
	flat_store_b32 v[78:79], v81 offset:12
	s_waitcnt vmcnt(0) lgkmcnt(1)
	flat_store_b32 v[88:89], v85
.LBB34_77:
	s_or_b32 exec_lo, exec_lo, s6
	v_mov_b32_e32 v88, v80
	v_mov_b32_e32 v85, v80
.LBB34_78:
	s_or_b32 exec_lo, exec_lo, s3
.LBB34_79:
	s_and_not1_saveexec_b32 s2, s2
	s_cbranch_execz .LBB34_81
; %bb.80:
	v_mov_b32_e32 v88, 3
	ds_store_2addr_b64 v82, v[60:61], v[62:63] offset0:8 offset1:9
	ds_store_2addr_b64 v82, v[56:57], v[58:59] offset0:10 offset1:11
	;; [unrolled: 1-line block ×14, first 2 shown]
.LBB34_81:
	s_or_b32 exec_lo, exec_lo, s2
	s_delay_alu instid0(SALU_CYCLE_1)
	s_mov_b32 s2, exec_lo
	s_waitcnt lgkmcnt(0)
	s_waitcnt_vscnt null, 0x0
	s_barrier
	buffer_gl0_inv
	v_cmpx_lt_i32_e32 3, v88
	s_cbranch_execz .LBB34_83
; %bb.82:
	v_mul_f64 v[80:81], v[72:73], v[50:51]
	v_mul_f64 v[50:51], v[74:75], v[50:51]
	ds_load_2addr_b64 v[89:92], v82 offset0:8 offset1:9
	ds_load_2addr_b64 v[93:96], v82 offset0:10 offset1:11
	ds_load_2addr_b64 v[97:100], v82 offset0:12 offset1:13
	ds_load_2addr_b64 v[101:104], v82 offset0:14 offset1:15
	ds_load_2addr_b64 v[105:108], v82 offset0:16 offset1:17
	ds_load_2addr_b64 v[109:112], v82 offset0:18 offset1:19
	ds_load_2addr_b64 v[113:116], v82 offset0:20 offset1:21
	ds_load_2addr_b64 v[117:120], v82 offset0:22 offset1:23
	ds_load_2addr_b64 v[121:124], v82 offset0:24 offset1:25
	ds_load_2addr_b64 v[125:128], v82 offset0:26 offset1:27
	ds_load_2addr_b64 v[129:132], v82 offset0:28 offset1:29
	ds_load_2addr_b64 v[133:136], v82 offset0:30 offset1:31
	ds_load_2addr_b64 v[137:140], v82 offset0:32 offset1:33
	ds_load_2addr_b64 v[141:144], v82 offset0:34 offset1:35
	v_fma_f64 v[74:75], v[74:75], v[48:49], v[80:81]
	v_fma_f64 v[48:49], v[72:73], v[48:49], -v[50:51]
	s_waitcnt lgkmcnt(13)
	s_delay_alu instid0(VALU_DEP_2)
	v_mul_f64 v[50:51], v[91:92], v[74:75]
	v_mul_f64 v[72:73], v[89:90], v[74:75]
	s_waitcnt lgkmcnt(12)
	v_mul_f64 v[80:81], v[95:96], v[74:75]
	v_mul_f64 v[145:146], v[93:94], v[74:75]
	s_waitcnt lgkmcnt(11)
	;; [unrolled: 3-line block ×13, first 2 shown]
	v_mul_f64 v[191:192], v[143:144], v[74:75]
	v_mul_f64 v[193:194], v[141:142], v[74:75]
	v_fma_f64 v[50:51], v[89:90], v[48:49], -v[50:51]
	v_fma_f64 v[72:73], v[91:92], v[48:49], v[72:73]
	v_fma_f64 v[80:81], v[93:94], v[48:49], -v[80:81]
	v_fma_f64 v[89:90], v[95:96], v[48:49], v[145:146]
	;; [unrolled: 2-line block ×14, first 2 shown]
	v_add_f64 v[60:61], v[60:61], -v[50:51]
	v_add_f64 v[62:63], v[62:63], -v[72:73]
	;; [unrolled: 1-line block ×28, first 2 shown]
	v_dual_mov_b32 v50, v74 :: v_dual_mov_b32 v51, v75
.LBB34_83:
	s_or_b32 exec_lo, exec_lo, s2
	v_lshl_add_u32 v72, v88, 4, v82
	s_barrier
	buffer_gl0_inv
	v_mov_b32_e32 v80, 4
	ds_store_2addr_b64 v72, v[60:61], v[62:63] offset1:1
	s_waitcnt lgkmcnt(0)
	s_barrier
	buffer_gl0_inv
	ds_load_2addr_b64 v[72:75], v82 offset0:8 offset1:9
	s_cmp_lt_i32 s5, 6
	s_cbranch_scc1 .LBB34_86
; %bb.84:
	v_add3_u32 v81, v87, 0, 0x50
	v_mov_b32_e32 v80, 4
	s_mov_b32 s6, 5
	s_set_inst_prefetch_distance 0x1
	.p2align	6
.LBB34_85:                              ; =>This Inner Loop Header: Depth=1
	ds_load_2addr_b64 v[89:92], v81 offset1:1
	s_waitcnt lgkmcnt(1)
	v_cmp_gt_f64_e32 vcc_lo, 0, v[72:73]
	v_xor_b32_e32 v93, 0x80000000, v73
	v_cmp_gt_f64_e64 s2, 0, v[74:75]
	v_xor_b32_e32 v95, 0x80000000, v75
	v_add_nc_u32_e32 v81, 16, v81
	s_waitcnt lgkmcnt(0)
	v_cmp_gt_f64_e64 s3, 0, v[89:90]
	v_mov_b32_e32 v97, v89
	v_dual_mov_b32 v99, v91 :: v_dual_cndmask_b32 v94, v73, v93
	v_xor_b32_e32 v93, 0x80000000, v90
	v_cndmask_b32_e64 v96, v75, v95, s2
	v_xor_b32_e32 v95, 0x80000000, v92
	s_delay_alu instid0(VALU_DEP_3) | instskip(SKIP_2) | instid1(VALU_DEP_2)
	v_cndmask_b32_e64 v98, v90, v93, s3
	v_cmp_gt_f64_e64 s3, 0, v[91:92]
	v_cndmask_b32_e32 v93, v72, v72, vcc_lo
	v_cndmask_b32_e64 v100, v92, v95, s3
	v_cndmask_b32_e64 v95, v74, v74, s2
	s_delay_alu instid0(VALU_DEP_2) | instskip(NEXT) | instid1(VALU_DEP_2)
	v_add_f64 v[97:98], v[97:98], v[99:100]
	v_add_f64 v[93:94], v[93:94], v[95:96]
	s_delay_alu instid0(VALU_DEP_1) | instskip(SKIP_4) | instid1(SALU_CYCLE_1)
	v_cmp_lt_f64_e32 vcc_lo, v[93:94], v[97:98]
	v_dual_cndmask_b32 v74, v74, v91 :: v_dual_cndmask_b32 v73, v73, v90
	v_dual_cndmask_b32 v72, v72, v89 :: v_dual_cndmask_b32 v75, v75, v92
	v_cndmask_b32_e64 v80, v80, s6, vcc_lo
	s_add_i32 s6, s6, 1
	s_cmp_lg_u32 s5, s6
	s_cbranch_scc1 .LBB34_85
.LBB34_86:
	s_set_inst_prefetch_distance 0x2
	s_waitcnt lgkmcnt(0)
	v_cmp_eq_f64_e32 vcc_lo, 0, v[72:73]
	v_cmp_eq_f64_e64 s2, 0, v[74:75]
	s_delay_alu instid0(VALU_DEP_1) | instskip(NEXT) | instid1(SALU_CYCLE_1)
	s_and_b32 s2, vcc_lo, s2
	s_and_saveexec_b32 s3, s2
	s_delay_alu instid0(SALU_CYCLE_1)
	s_xor_b32 s2, exec_lo, s3
; %bb.87:
	v_cmp_ne_u32_e32 vcc_lo, 0, v86
	v_cndmask_b32_e32 v86, 5, v86, vcc_lo
; %bb.88:
	s_and_not1_saveexec_b32 s3, s2
	s_cbranch_execz .LBB34_94
; %bb.89:
	v_cmp_gt_f64_e32 vcc_lo, 0, v[72:73]
	v_cmp_gt_f64_e64 s2, 0, v[74:75]
	v_xor_b32_e32 v81, 0x80000000, v73
	v_xor_b32_e32 v89, 0x80000000, v75
	s_delay_alu instid0(VALU_DEP_2) | instskip(NEXT) | instid1(VALU_DEP_2)
	v_cndmask_b32_e32 v90, v73, v81, vcc_lo
	v_cndmask_b32_e64 v92, v75, v89, s2
	v_cndmask_b32_e32 v89, v72, v72, vcc_lo
	v_cndmask_b32_e64 v91, v74, v74, s2
	s_mov_b32 s2, exec_lo
	s_delay_alu instid0(VALU_DEP_1)
	v_cmpx_ngt_f64_e32 v[89:90], v[91:92]
	s_xor_b32 s2, exec_lo, s2
	s_cbranch_execz .LBB34_91
; %bb.90:
	v_div_scale_f64 v[89:90], null, v[74:75], v[74:75], v[72:73]
	v_div_scale_f64 v[95:96], vcc_lo, v[72:73], v[74:75], v[72:73]
	s_delay_alu instid0(VALU_DEP_2) | instskip(SKIP_2) | instid1(VALU_DEP_1)
	v_rcp_f64_e32 v[91:92], v[89:90]
	s_waitcnt_depctr 0xfff
	v_fma_f64 v[93:94], -v[89:90], v[91:92], 1.0
	v_fma_f64 v[91:92], v[91:92], v[93:94], v[91:92]
	s_delay_alu instid0(VALU_DEP_1) | instskip(NEXT) | instid1(VALU_DEP_1)
	v_fma_f64 v[93:94], -v[89:90], v[91:92], 1.0
	v_fma_f64 v[91:92], v[91:92], v[93:94], v[91:92]
	s_delay_alu instid0(VALU_DEP_1) | instskip(NEXT) | instid1(VALU_DEP_1)
	v_mul_f64 v[93:94], v[95:96], v[91:92]
	v_fma_f64 v[89:90], -v[89:90], v[93:94], v[95:96]
	s_delay_alu instid0(VALU_DEP_1) | instskip(NEXT) | instid1(VALU_DEP_1)
	v_div_fmas_f64 v[89:90], v[89:90], v[91:92], v[93:94]
	v_div_fixup_f64 v[89:90], v[89:90], v[74:75], v[72:73]
	s_delay_alu instid0(VALU_DEP_1) | instskip(NEXT) | instid1(VALU_DEP_1)
	v_fma_f64 v[72:73], v[72:73], v[89:90], v[74:75]
	v_div_scale_f64 v[74:75], null, v[72:73], v[72:73], 1.0
	s_delay_alu instid0(VALU_DEP_1) | instskip(SKIP_2) | instid1(VALU_DEP_1)
	v_rcp_f64_e32 v[91:92], v[74:75]
	s_waitcnt_depctr 0xfff
	v_fma_f64 v[93:94], -v[74:75], v[91:92], 1.0
	v_fma_f64 v[91:92], v[91:92], v[93:94], v[91:92]
	s_delay_alu instid0(VALU_DEP_1) | instskip(NEXT) | instid1(VALU_DEP_1)
	v_fma_f64 v[93:94], -v[74:75], v[91:92], 1.0
	v_fma_f64 v[91:92], v[91:92], v[93:94], v[91:92]
	v_div_scale_f64 v[93:94], vcc_lo, 1.0, v[72:73], 1.0
	s_delay_alu instid0(VALU_DEP_1) | instskip(NEXT) | instid1(VALU_DEP_1)
	v_mul_f64 v[95:96], v[93:94], v[91:92]
	v_fma_f64 v[74:75], -v[74:75], v[95:96], v[93:94]
	s_delay_alu instid0(VALU_DEP_1) | instskip(NEXT) | instid1(VALU_DEP_1)
	v_div_fmas_f64 v[74:75], v[74:75], v[91:92], v[95:96]
	v_div_fixup_f64 v[74:75], v[74:75], v[72:73], 1.0
	s_delay_alu instid0(VALU_DEP_1)
	v_mul_f64 v[72:73], v[89:90], v[74:75]
	v_xor_b32_e32 v75, 0x80000000, v75
.LBB34_91:
	s_and_not1_saveexec_b32 s2, s2
	s_cbranch_execz .LBB34_93
; %bb.92:
	s_delay_alu instid0(VALU_DEP_1) | instskip(SKIP_1) | instid1(VALU_DEP_2)
	v_div_scale_f64 v[89:90], null, v[72:73], v[72:73], v[74:75]
	v_div_scale_f64 v[95:96], vcc_lo, v[74:75], v[72:73], v[74:75]
	v_rcp_f64_e32 v[91:92], v[89:90]
	s_waitcnt_depctr 0xfff
	v_fma_f64 v[93:94], -v[89:90], v[91:92], 1.0
	s_delay_alu instid0(VALU_DEP_1) | instskip(NEXT) | instid1(VALU_DEP_1)
	v_fma_f64 v[91:92], v[91:92], v[93:94], v[91:92]
	v_fma_f64 v[93:94], -v[89:90], v[91:92], 1.0
	s_delay_alu instid0(VALU_DEP_1) | instskip(NEXT) | instid1(VALU_DEP_1)
	v_fma_f64 v[91:92], v[91:92], v[93:94], v[91:92]
	v_mul_f64 v[93:94], v[95:96], v[91:92]
	s_delay_alu instid0(VALU_DEP_1) | instskip(NEXT) | instid1(VALU_DEP_1)
	v_fma_f64 v[89:90], -v[89:90], v[93:94], v[95:96]
	v_div_fmas_f64 v[89:90], v[89:90], v[91:92], v[93:94]
	s_delay_alu instid0(VALU_DEP_1) | instskip(NEXT) | instid1(VALU_DEP_1)
	v_div_fixup_f64 v[89:90], v[89:90], v[72:73], v[74:75]
	v_fma_f64 v[72:73], v[74:75], v[89:90], v[72:73]
	s_delay_alu instid0(VALU_DEP_1) | instskip(NEXT) | instid1(VALU_DEP_1)
	v_div_scale_f64 v[74:75], null, v[72:73], v[72:73], 1.0
	v_rcp_f64_e32 v[91:92], v[74:75]
	s_waitcnt_depctr 0xfff
	v_fma_f64 v[93:94], -v[74:75], v[91:92], 1.0
	s_delay_alu instid0(VALU_DEP_1) | instskip(NEXT) | instid1(VALU_DEP_1)
	v_fma_f64 v[91:92], v[91:92], v[93:94], v[91:92]
	v_fma_f64 v[93:94], -v[74:75], v[91:92], 1.0
	s_delay_alu instid0(VALU_DEP_1) | instskip(SKIP_1) | instid1(VALU_DEP_1)
	v_fma_f64 v[91:92], v[91:92], v[93:94], v[91:92]
	v_div_scale_f64 v[93:94], vcc_lo, 1.0, v[72:73], 1.0
	v_mul_f64 v[95:96], v[93:94], v[91:92]
	s_delay_alu instid0(VALU_DEP_1) | instskip(NEXT) | instid1(VALU_DEP_1)
	v_fma_f64 v[74:75], -v[74:75], v[95:96], v[93:94]
	v_div_fmas_f64 v[74:75], v[74:75], v[91:92], v[95:96]
	s_delay_alu instid0(VALU_DEP_1) | instskip(NEXT) | instid1(VALU_DEP_1)
	v_div_fixup_f64 v[72:73], v[74:75], v[72:73], 1.0
	v_mul_f64 v[74:75], v[89:90], -v[72:73]
.LBB34_93:
	s_or_b32 exec_lo, exec_lo, s2
.LBB34_94:
	s_delay_alu instid0(SALU_CYCLE_1) | instskip(NEXT) | instid1(SALU_CYCLE_1)
	s_or_b32 exec_lo, exec_lo, s3
	s_mov_b32 s2, exec_lo
	v_cmpx_ne_u32_e64 v88, v80
	s_xor_b32 s2, exec_lo, s2
	s_cbranch_execz .LBB34_100
; %bb.95:
	s_mov_b32 s3, exec_lo
	v_cmpx_eq_u32_e32 4, v88
	s_cbranch_execz .LBB34_99
; %bb.96:
	v_cmp_ne_u32_e32 vcc_lo, 4, v80
	s_xor_b32 s6, s4, -1
	s_delay_alu instid0(SALU_CYCLE_1) | instskip(NEXT) | instid1(SALU_CYCLE_1)
	s_and_b32 s7, s6, vcc_lo
	s_and_saveexec_b32 s6, s7
	s_cbranch_execz .LBB34_98
; %bb.97:
	v_ashrrev_i32_e32 v81, 31, v80
	s_delay_alu instid0(VALU_DEP_1) | instskip(NEXT) | instid1(VALU_DEP_1)
	v_lshlrev_b64 v[88:89], 2, v[80:81]
	v_add_co_u32 v88, vcc_lo, v78, v88
	s_delay_alu instid0(VALU_DEP_2)
	v_add_co_ci_u32_e32 v89, vcc_lo, v79, v89, vcc_lo
	s_clause 0x1
	flat_load_b32 v81, v[88:89]
	flat_load_b32 v85, v[78:79] offset:16
	s_waitcnt vmcnt(1) lgkmcnt(1)
	flat_store_b32 v[78:79], v81 offset:16
	s_waitcnt vmcnt(0) lgkmcnt(1)
	flat_store_b32 v[88:89], v85
.LBB34_98:
	s_or_b32 exec_lo, exec_lo, s6
	v_mov_b32_e32 v88, v80
	v_mov_b32_e32 v85, v80
.LBB34_99:
	s_or_b32 exec_lo, exec_lo, s3
.LBB34_100:
	s_and_not1_saveexec_b32 s2, s2
	s_cbranch_execz .LBB34_102
; %bb.101:
	v_mov_b32_e32 v88, 4
	ds_store_2addr_b64 v82, v[56:57], v[58:59] offset0:10 offset1:11
	ds_store_2addr_b64 v82, v[44:45], v[46:47] offset0:12 offset1:13
	;; [unrolled: 1-line block ×13, first 2 shown]
.LBB34_102:
	s_or_b32 exec_lo, exec_lo, s2
	s_delay_alu instid0(SALU_CYCLE_1)
	s_mov_b32 s2, exec_lo
	s_waitcnt lgkmcnt(0)
	s_waitcnt_vscnt null, 0x0
	s_barrier
	buffer_gl0_inv
	v_cmpx_lt_i32_e32 4, v88
	s_cbranch_execz .LBB34_104
; %bb.103:
	v_mul_f64 v[80:81], v[72:73], v[62:63]
	v_mul_f64 v[62:63], v[74:75], v[62:63]
	ds_load_2addr_b64 v[89:92], v82 offset0:10 offset1:11
	ds_load_2addr_b64 v[93:96], v82 offset0:12 offset1:13
	;; [unrolled: 1-line block ×13, first 2 shown]
	v_fma_f64 v[74:75], v[74:75], v[60:61], v[80:81]
	v_fma_f64 v[60:61], v[72:73], v[60:61], -v[62:63]
	s_waitcnt lgkmcnt(12)
	s_delay_alu instid0(VALU_DEP_2)
	v_mul_f64 v[62:63], v[91:92], v[74:75]
	v_mul_f64 v[72:73], v[89:90], v[74:75]
	s_waitcnt lgkmcnt(11)
	v_mul_f64 v[80:81], v[95:96], v[74:75]
	v_mul_f64 v[141:142], v[93:94], v[74:75]
	s_waitcnt lgkmcnt(10)
	;; [unrolled: 3-line block ×12, first 2 shown]
	v_mul_f64 v[183:184], v[139:140], v[74:75]
	v_mul_f64 v[185:186], v[137:138], v[74:75]
	v_fma_f64 v[62:63], v[89:90], v[60:61], -v[62:63]
	v_fma_f64 v[72:73], v[91:92], v[60:61], v[72:73]
	v_fma_f64 v[80:81], v[93:94], v[60:61], -v[80:81]
	v_fma_f64 v[89:90], v[95:96], v[60:61], v[141:142]
	;; [unrolled: 2-line block ×13, first 2 shown]
	v_add_f64 v[56:57], v[56:57], -v[62:63]
	v_add_f64 v[58:59], v[58:59], -v[72:73]
	;; [unrolled: 1-line block ×26, first 2 shown]
	v_dual_mov_b32 v62, v74 :: v_dual_mov_b32 v63, v75
.LBB34_104:
	s_or_b32 exec_lo, exec_lo, s2
	v_lshl_add_u32 v72, v88, 4, v82
	s_barrier
	buffer_gl0_inv
	v_mov_b32_e32 v80, 5
	ds_store_2addr_b64 v72, v[56:57], v[58:59] offset1:1
	s_waitcnt lgkmcnt(0)
	s_barrier
	buffer_gl0_inv
	ds_load_2addr_b64 v[72:75], v82 offset0:10 offset1:11
	s_cmp_lt_i32 s5, 7
	s_cbranch_scc1 .LBB34_107
; %bb.105:
	v_add3_u32 v81, v87, 0, 0x60
	v_mov_b32_e32 v80, 5
	s_mov_b32 s6, 6
	s_set_inst_prefetch_distance 0x1
	.p2align	6
.LBB34_106:                             ; =>This Inner Loop Header: Depth=1
	ds_load_2addr_b64 v[89:92], v81 offset1:1
	s_waitcnt lgkmcnt(1)
	v_cmp_gt_f64_e32 vcc_lo, 0, v[72:73]
	v_xor_b32_e32 v93, 0x80000000, v73
	v_cmp_gt_f64_e64 s2, 0, v[74:75]
	v_xor_b32_e32 v95, 0x80000000, v75
	v_add_nc_u32_e32 v81, 16, v81
	s_waitcnt lgkmcnt(0)
	v_cmp_gt_f64_e64 s3, 0, v[89:90]
	v_mov_b32_e32 v97, v89
	v_dual_mov_b32 v99, v91 :: v_dual_cndmask_b32 v94, v73, v93
	v_xor_b32_e32 v93, 0x80000000, v90
	v_cndmask_b32_e64 v96, v75, v95, s2
	v_xor_b32_e32 v95, 0x80000000, v92
	s_delay_alu instid0(VALU_DEP_3) | instskip(SKIP_2) | instid1(VALU_DEP_2)
	v_cndmask_b32_e64 v98, v90, v93, s3
	v_cmp_gt_f64_e64 s3, 0, v[91:92]
	v_cndmask_b32_e32 v93, v72, v72, vcc_lo
	v_cndmask_b32_e64 v100, v92, v95, s3
	v_cndmask_b32_e64 v95, v74, v74, s2
	s_delay_alu instid0(VALU_DEP_2) | instskip(NEXT) | instid1(VALU_DEP_2)
	v_add_f64 v[97:98], v[97:98], v[99:100]
	v_add_f64 v[93:94], v[93:94], v[95:96]
	s_delay_alu instid0(VALU_DEP_1) | instskip(SKIP_4) | instid1(SALU_CYCLE_1)
	v_cmp_lt_f64_e32 vcc_lo, v[93:94], v[97:98]
	v_dual_cndmask_b32 v74, v74, v91 :: v_dual_cndmask_b32 v73, v73, v90
	v_dual_cndmask_b32 v72, v72, v89 :: v_dual_cndmask_b32 v75, v75, v92
	v_cndmask_b32_e64 v80, v80, s6, vcc_lo
	s_add_i32 s6, s6, 1
	s_cmp_lg_u32 s5, s6
	s_cbranch_scc1 .LBB34_106
.LBB34_107:
	s_set_inst_prefetch_distance 0x2
	s_waitcnt lgkmcnt(0)
	v_cmp_eq_f64_e32 vcc_lo, 0, v[72:73]
	v_cmp_eq_f64_e64 s2, 0, v[74:75]
	s_delay_alu instid0(VALU_DEP_1) | instskip(NEXT) | instid1(SALU_CYCLE_1)
	s_and_b32 s2, vcc_lo, s2
	s_and_saveexec_b32 s3, s2
	s_delay_alu instid0(SALU_CYCLE_1)
	s_xor_b32 s2, exec_lo, s3
; %bb.108:
	v_cmp_ne_u32_e32 vcc_lo, 0, v86
	v_cndmask_b32_e32 v86, 6, v86, vcc_lo
; %bb.109:
	s_and_not1_saveexec_b32 s3, s2
	s_cbranch_execz .LBB34_115
; %bb.110:
	v_cmp_gt_f64_e32 vcc_lo, 0, v[72:73]
	v_cmp_gt_f64_e64 s2, 0, v[74:75]
	v_xor_b32_e32 v81, 0x80000000, v73
	v_xor_b32_e32 v89, 0x80000000, v75
	s_delay_alu instid0(VALU_DEP_2) | instskip(NEXT) | instid1(VALU_DEP_2)
	v_cndmask_b32_e32 v90, v73, v81, vcc_lo
	v_cndmask_b32_e64 v92, v75, v89, s2
	v_cndmask_b32_e32 v89, v72, v72, vcc_lo
	v_cndmask_b32_e64 v91, v74, v74, s2
	s_mov_b32 s2, exec_lo
	s_delay_alu instid0(VALU_DEP_1)
	v_cmpx_ngt_f64_e32 v[89:90], v[91:92]
	s_xor_b32 s2, exec_lo, s2
	s_cbranch_execz .LBB34_112
; %bb.111:
	v_div_scale_f64 v[89:90], null, v[74:75], v[74:75], v[72:73]
	v_div_scale_f64 v[95:96], vcc_lo, v[72:73], v[74:75], v[72:73]
	s_delay_alu instid0(VALU_DEP_2) | instskip(SKIP_2) | instid1(VALU_DEP_1)
	v_rcp_f64_e32 v[91:92], v[89:90]
	s_waitcnt_depctr 0xfff
	v_fma_f64 v[93:94], -v[89:90], v[91:92], 1.0
	v_fma_f64 v[91:92], v[91:92], v[93:94], v[91:92]
	s_delay_alu instid0(VALU_DEP_1) | instskip(NEXT) | instid1(VALU_DEP_1)
	v_fma_f64 v[93:94], -v[89:90], v[91:92], 1.0
	v_fma_f64 v[91:92], v[91:92], v[93:94], v[91:92]
	s_delay_alu instid0(VALU_DEP_1) | instskip(NEXT) | instid1(VALU_DEP_1)
	v_mul_f64 v[93:94], v[95:96], v[91:92]
	v_fma_f64 v[89:90], -v[89:90], v[93:94], v[95:96]
	s_delay_alu instid0(VALU_DEP_1) | instskip(NEXT) | instid1(VALU_DEP_1)
	v_div_fmas_f64 v[89:90], v[89:90], v[91:92], v[93:94]
	v_div_fixup_f64 v[89:90], v[89:90], v[74:75], v[72:73]
	s_delay_alu instid0(VALU_DEP_1) | instskip(NEXT) | instid1(VALU_DEP_1)
	v_fma_f64 v[72:73], v[72:73], v[89:90], v[74:75]
	v_div_scale_f64 v[74:75], null, v[72:73], v[72:73], 1.0
	s_delay_alu instid0(VALU_DEP_1) | instskip(SKIP_2) | instid1(VALU_DEP_1)
	v_rcp_f64_e32 v[91:92], v[74:75]
	s_waitcnt_depctr 0xfff
	v_fma_f64 v[93:94], -v[74:75], v[91:92], 1.0
	v_fma_f64 v[91:92], v[91:92], v[93:94], v[91:92]
	s_delay_alu instid0(VALU_DEP_1) | instskip(NEXT) | instid1(VALU_DEP_1)
	v_fma_f64 v[93:94], -v[74:75], v[91:92], 1.0
	v_fma_f64 v[91:92], v[91:92], v[93:94], v[91:92]
	v_div_scale_f64 v[93:94], vcc_lo, 1.0, v[72:73], 1.0
	s_delay_alu instid0(VALU_DEP_1) | instskip(NEXT) | instid1(VALU_DEP_1)
	v_mul_f64 v[95:96], v[93:94], v[91:92]
	v_fma_f64 v[74:75], -v[74:75], v[95:96], v[93:94]
	s_delay_alu instid0(VALU_DEP_1) | instskip(NEXT) | instid1(VALU_DEP_1)
	v_div_fmas_f64 v[74:75], v[74:75], v[91:92], v[95:96]
	v_div_fixup_f64 v[74:75], v[74:75], v[72:73], 1.0
	s_delay_alu instid0(VALU_DEP_1)
	v_mul_f64 v[72:73], v[89:90], v[74:75]
	v_xor_b32_e32 v75, 0x80000000, v75
.LBB34_112:
	s_and_not1_saveexec_b32 s2, s2
	s_cbranch_execz .LBB34_114
; %bb.113:
	s_delay_alu instid0(VALU_DEP_1) | instskip(SKIP_1) | instid1(VALU_DEP_2)
	v_div_scale_f64 v[89:90], null, v[72:73], v[72:73], v[74:75]
	v_div_scale_f64 v[95:96], vcc_lo, v[74:75], v[72:73], v[74:75]
	v_rcp_f64_e32 v[91:92], v[89:90]
	s_waitcnt_depctr 0xfff
	v_fma_f64 v[93:94], -v[89:90], v[91:92], 1.0
	s_delay_alu instid0(VALU_DEP_1) | instskip(NEXT) | instid1(VALU_DEP_1)
	v_fma_f64 v[91:92], v[91:92], v[93:94], v[91:92]
	v_fma_f64 v[93:94], -v[89:90], v[91:92], 1.0
	s_delay_alu instid0(VALU_DEP_1) | instskip(NEXT) | instid1(VALU_DEP_1)
	v_fma_f64 v[91:92], v[91:92], v[93:94], v[91:92]
	v_mul_f64 v[93:94], v[95:96], v[91:92]
	s_delay_alu instid0(VALU_DEP_1) | instskip(NEXT) | instid1(VALU_DEP_1)
	v_fma_f64 v[89:90], -v[89:90], v[93:94], v[95:96]
	v_div_fmas_f64 v[89:90], v[89:90], v[91:92], v[93:94]
	s_delay_alu instid0(VALU_DEP_1) | instskip(NEXT) | instid1(VALU_DEP_1)
	v_div_fixup_f64 v[89:90], v[89:90], v[72:73], v[74:75]
	v_fma_f64 v[72:73], v[74:75], v[89:90], v[72:73]
	s_delay_alu instid0(VALU_DEP_1) | instskip(NEXT) | instid1(VALU_DEP_1)
	v_div_scale_f64 v[74:75], null, v[72:73], v[72:73], 1.0
	v_rcp_f64_e32 v[91:92], v[74:75]
	s_waitcnt_depctr 0xfff
	v_fma_f64 v[93:94], -v[74:75], v[91:92], 1.0
	s_delay_alu instid0(VALU_DEP_1) | instskip(NEXT) | instid1(VALU_DEP_1)
	v_fma_f64 v[91:92], v[91:92], v[93:94], v[91:92]
	v_fma_f64 v[93:94], -v[74:75], v[91:92], 1.0
	s_delay_alu instid0(VALU_DEP_1) | instskip(SKIP_1) | instid1(VALU_DEP_1)
	v_fma_f64 v[91:92], v[91:92], v[93:94], v[91:92]
	v_div_scale_f64 v[93:94], vcc_lo, 1.0, v[72:73], 1.0
	v_mul_f64 v[95:96], v[93:94], v[91:92]
	s_delay_alu instid0(VALU_DEP_1) | instskip(NEXT) | instid1(VALU_DEP_1)
	v_fma_f64 v[74:75], -v[74:75], v[95:96], v[93:94]
	v_div_fmas_f64 v[74:75], v[74:75], v[91:92], v[95:96]
	s_delay_alu instid0(VALU_DEP_1) | instskip(NEXT) | instid1(VALU_DEP_1)
	v_div_fixup_f64 v[72:73], v[74:75], v[72:73], 1.0
	v_mul_f64 v[74:75], v[89:90], -v[72:73]
.LBB34_114:
	s_or_b32 exec_lo, exec_lo, s2
.LBB34_115:
	s_delay_alu instid0(SALU_CYCLE_1) | instskip(NEXT) | instid1(SALU_CYCLE_1)
	s_or_b32 exec_lo, exec_lo, s3
	s_mov_b32 s2, exec_lo
	v_cmpx_ne_u32_e64 v88, v80
	s_xor_b32 s2, exec_lo, s2
	s_cbranch_execz .LBB34_121
; %bb.116:
	s_mov_b32 s3, exec_lo
	v_cmpx_eq_u32_e32 5, v88
	s_cbranch_execz .LBB34_120
; %bb.117:
	v_cmp_ne_u32_e32 vcc_lo, 5, v80
	s_xor_b32 s6, s4, -1
	s_delay_alu instid0(SALU_CYCLE_1) | instskip(NEXT) | instid1(SALU_CYCLE_1)
	s_and_b32 s7, s6, vcc_lo
	s_and_saveexec_b32 s6, s7
	s_cbranch_execz .LBB34_119
; %bb.118:
	v_ashrrev_i32_e32 v81, 31, v80
	s_delay_alu instid0(VALU_DEP_1) | instskip(NEXT) | instid1(VALU_DEP_1)
	v_lshlrev_b64 v[88:89], 2, v[80:81]
	v_add_co_u32 v88, vcc_lo, v78, v88
	s_delay_alu instid0(VALU_DEP_2)
	v_add_co_ci_u32_e32 v89, vcc_lo, v79, v89, vcc_lo
	s_clause 0x1
	flat_load_b32 v81, v[88:89]
	flat_load_b32 v85, v[78:79] offset:20
	s_waitcnt vmcnt(1) lgkmcnt(1)
	flat_store_b32 v[78:79], v81 offset:20
	s_waitcnt vmcnt(0) lgkmcnt(1)
	flat_store_b32 v[88:89], v85
.LBB34_119:
	s_or_b32 exec_lo, exec_lo, s6
	v_mov_b32_e32 v88, v80
	v_mov_b32_e32 v85, v80
.LBB34_120:
	s_or_b32 exec_lo, exec_lo, s3
.LBB34_121:
	s_and_not1_saveexec_b32 s2, s2
	s_cbranch_execz .LBB34_123
; %bb.122:
	v_mov_b32_e32 v88, 5
	ds_store_2addr_b64 v82, v[44:45], v[46:47] offset0:12 offset1:13
	ds_store_2addr_b64 v82, v[40:41], v[42:43] offset0:14 offset1:15
	;; [unrolled: 1-line block ×12, first 2 shown]
.LBB34_123:
	s_or_b32 exec_lo, exec_lo, s2
	s_delay_alu instid0(SALU_CYCLE_1)
	s_mov_b32 s2, exec_lo
	s_waitcnt lgkmcnt(0)
	s_waitcnt_vscnt null, 0x0
	s_barrier
	buffer_gl0_inv
	v_cmpx_lt_i32_e32 5, v88
	s_cbranch_execz .LBB34_125
; %bb.124:
	v_mul_f64 v[80:81], v[72:73], v[58:59]
	v_mul_f64 v[58:59], v[74:75], v[58:59]
	ds_load_2addr_b64 v[89:92], v82 offset0:12 offset1:13
	ds_load_2addr_b64 v[93:96], v82 offset0:14 offset1:15
	;; [unrolled: 1-line block ×12, first 2 shown]
	v_fma_f64 v[74:75], v[74:75], v[56:57], v[80:81]
	v_fma_f64 v[56:57], v[72:73], v[56:57], -v[58:59]
	s_waitcnt lgkmcnt(11)
	s_delay_alu instid0(VALU_DEP_2)
	v_mul_f64 v[58:59], v[91:92], v[74:75]
	v_mul_f64 v[72:73], v[89:90], v[74:75]
	s_waitcnt lgkmcnt(10)
	v_mul_f64 v[80:81], v[95:96], v[74:75]
	v_mul_f64 v[137:138], v[93:94], v[74:75]
	s_waitcnt lgkmcnt(9)
	;; [unrolled: 3-line block ×11, first 2 shown]
	v_mul_f64 v[175:176], v[135:136], v[74:75]
	v_mul_f64 v[177:178], v[133:134], v[74:75]
	v_fma_f64 v[58:59], v[89:90], v[56:57], -v[58:59]
	v_fma_f64 v[72:73], v[91:92], v[56:57], v[72:73]
	v_fma_f64 v[80:81], v[93:94], v[56:57], -v[80:81]
	v_fma_f64 v[89:90], v[95:96], v[56:57], v[137:138]
	;; [unrolled: 2-line block ×12, first 2 shown]
	v_add_f64 v[44:45], v[44:45], -v[58:59]
	v_add_f64 v[46:47], v[46:47], -v[72:73]
	;; [unrolled: 1-line block ×24, first 2 shown]
	v_dual_mov_b32 v58, v74 :: v_dual_mov_b32 v59, v75
.LBB34_125:
	s_or_b32 exec_lo, exec_lo, s2
	v_lshl_add_u32 v72, v88, 4, v82
	s_barrier
	buffer_gl0_inv
	v_mov_b32_e32 v80, 6
	ds_store_2addr_b64 v72, v[44:45], v[46:47] offset1:1
	s_waitcnt lgkmcnt(0)
	s_barrier
	buffer_gl0_inv
	ds_load_2addr_b64 v[72:75], v82 offset0:12 offset1:13
	s_cmp_lt_i32 s5, 8
	s_cbranch_scc1 .LBB34_128
; %bb.126:
	v_add3_u32 v81, v87, 0, 0x70
	v_mov_b32_e32 v80, 6
	s_mov_b32 s6, 7
	s_set_inst_prefetch_distance 0x1
	.p2align	6
.LBB34_127:                             ; =>This Inner Loop Header: Depth=1
	ds_load_2addr_b64 v[89:92], v81 offset1:1
	s_waitcnt lgkmcnt(1)
	v_cmp_gt_f64_e32 vcc_lo, 0, v[72:73]
	v_xor_b32_e32 v93, 0x80000000, v73
	v_cmp_gt_f64_e64 s2, 0, v[74:75]
	v_xor_b32_e32 v95, 0x80000000, v75
	v_add_nc_u32_e32 v81, 16, v81
	s_waitcnt lgkmcnt(0)
	v_cmp_gt_f64_e64 s3, 0, v[89:90]
	v_mov_b32_e32 v97, v89
	v_dual_mov_b32 v99, v91 :: v_dual_cndmask_b32 v94, v73, v93
	v_xor_b32_e32 v93, 0x80000000, v90
	v_cndmask_b32_e64 v96, v75, v95, s2
	v_xor_b32_e32 v95, 0x80000000, v92
	s_delay_alu instid0(VALU_DEP_3) | instskip(SKIP_2) | instid1(VALU_DEP_2)
	v_cndmask_b32_e64 v98, v90, v93, s3
	v_cmp_gt_f64_e64 s3, 0, v[91:92]
	v_cndmask_b32_e32 v93, v72, v72, vcc_lo
	v_cndmask_b32_e64 v100, v92, v95, s3
	v_cndmask_b32_e64 v95, v74, v74, s2
	s_delay_alu instid0(VALU_DEP_2) | instskip(NEXT) | instid1(VALU_DEP_2)
	v_add_f64 v[97:98], v[97:98], v[99:100]
	v_add_f64 v[93:94], v[93:94], v[95:96]
	s_delay_alu instid0(VALU_DEP_1) | instskip(SKIP_4) | instid1(SALU_CYCLE_1)
	v_cmp_lt_f64_e32 vcc_lo, v[93:94], v[97:98]
	v_dual_cndmask_b32 v74, v74, v91 :: v_dual_cndmask_b32 v73, v73, v90
	v_dual_cndmask_b32 v72, v72, v89 :: v_dual_cndmask_b32 v75, v75, v92
	v_cndmask_b32_e64 v80, v80, s6, vcc_lo
	s_add_i32 s6, s6, 1
	s_cmp_lg_u32 s5, s6
	s_cbranch_scc1 .LBB34_127
.LBB34_128:
	s_set_inst_prefetch_distance 0x2
	s_waitcnt lgkmcnt(0)
	v_cmp_eq_f64_e32 vcc_lo, 0, v[72:73]
	v_cmp_eq_f64_e64 s2, 0, v[74:75]
	s_delay_alu instid0(VALU_DEP_1) | instskip(NEXT) | instid1(SALU_CYCLE_1)
	s_and_b32 s2, vcc_lo, s2
	s_and_saveexec_b32 s3, s2
	s_delay_alu instid0(SALU_CYCLE_1)
	s_xor_b32 s2, exec_lo, s3
; %bb.129:
	v_cmp_ne_u32_e32 vcc_lo, 0, v86
	v_cndmask_b32_e32 v86, 7, v86, vcc_lo
; %bb.130:
	s_and_not1_saveexec_b32 s3, s2
	s_cbranch_execz .LBB34_136
; %bb.131:
	v_cmp_gt_f64_e32 vcc_lo, 0, v[72:73]
	v_cmp_gt_f64_e64 s2, 0, v[74:75]
	v_xor_b32_e32 v81, 0x80000000, v73
	v_xor_b32_e32 v89, 0x80000000, v75
	s_delay_alu instid0(VALU_DEP_2) | instskip(NEXT) | instid1(VALU_DEP_2)
	v_cndmask_b32_e32 v90, v73, v81, vcc_lo
	v_cndmask_b32_e64 v92, v75, v89, s2
	v_cndmask_b32_e32 v89, v72, v72, vcc_lo
	v_cndmask_b32_e64 v91, v74, v74, s2
	s_mov_b32 s2, exec_lo
	s_delay_alu instid0(VALU_DEP_1)
	v_cmpx_ngt_f64_e32 v[89:90], v[91:92]
	s_xor_b32 s2, exec_lo, s2
	s_cbranch_execz .LBB34_133
; %bb.132:
	v_div_scale_f64 v[89:90], null, v[74:75], v[74:75], v[72:73]
	v_div_scale_f64 v[95:96], vcc_lo, v[72:73], v[74:75], v[72:73]
	s_delay_alu instid0(VALU_DEP_2) | instskip(SKIP_2) | instid1(VALU_DEP_1)
	v_rcp_f64_e32 v[91:92], v[89:90]
	s_waitcnt_depctr 0xfff
	v_fma_f64 v[93:94], -v[89:90], v[91:92], 1.0
	v_fma_f64 v[91:92], v[91:92], v[93:94], v[91:92]
	s_delay_alu instid0(VALU_DEP_1) | instskip(NEXT) | instid1(VALU_DEP_1)
	v_fma_f64 v[93:94], -v[89:90], v[91:92], 1.0
	v_fma_f64 v[91:92], v[91:92], v[93:94], v[91:92]
	s_delay_alu instid0(VALU_DEP_1) | instskip(NEXT) | instid1(VALU_DEP_1)
	v_mul_f64 v[93:94], v[95:96], v[91:92]
	v_fma_f64 v[89:90], -v[89:90], v[93:94], v[95:96]
	s_delay_alu instid0(VALU_DEP_1) | instskip(NEXT) | instid1(VALU_DEP_1)
	v_div_fmas_f64 v[89:90], v[89:90], v[91:92], v[93:94]
	v_div_fixup_f64 v[89:90], v[89:90], v[74:75], v[72:73]
	s_delay_alu instid0(VALU_DEP_1) | instskip(NEXT) | instid1(VALU_DEP_1)
	v_fma_f64 v[72:73], v[72:73], v[89:90], v[74:75]
	v_div_scale_f64 v[74:75], null, v[72:73], v[72:73], 1.0
	s_delay_alu instid0(VALU_DEP_1) | instskip(SKIP_2) | instid1(VALU_DEP_1)
	v_rcp_f64_e32 v[91:92], v[74:75]
	s_waitcnt_depctr 0xfff
	v_fma_f64 v[93:94], -v[74:75], v[91:92], 1.0
	v_fma_f64 v[91:92], v[91:92], v[93:94], v[91:92]
	s_delay_alu instid0(VALU_DEP_1) | instskip(NEXT) | instid1(VALU_DEP_1)
	v_fma_f64 v[93:94], -v[74:75], v[91:92], 1.0
	v_fma_f64 v[91:92], v[91:92], v[93:94], v[91:92]
	v_div_scale_f64 v[93:94], vcc_lo, 1.0, v[72:73], 1.0
	s_delay_alu instid0(VALU_DEP_1) | instskip(NEXT) | instid1(VALU_DEP_1)
	v_mul_f64 v[95:96], v[93:94], v[91:92]
	v_fma_f64 v[74:75], -v[74:75], v[95:96], v[93:94]
	s_delay_alu instid0(VALU_DEP_1) | instskip(NEXT) | instid1(VALU_DEP_1)
	v_div_fmas_f64 v[74:75], v[74:75], v[91:92], v[95:96]
	v_div_fixup_f64 v[74:75], v[74:75], v[72:73], 1.0
	s_delay_alu instid0(VALU_DEP_1)
	v_mul_f64 v[72:73], v[89:90], v[74:75]
	v_xor_b32_e32 v75, 0x80000000, v75
.LBB34_133:
	s_and_not1_saveexec_b32 s2, s2
	s_cbranch_execz .LBB34_135
; %bb.134:
	s_delay_alu instid0(VALU_DEP_1) | instskip(SKIP_1) | instid1(VALU_DEP_2)
	v_div_scale_f64 v[89:90], null, v[72:73], v[72:73], v[74:75]
	v_div_scale_f64 v[95:96], vcc_lo, v[74:75], v[72:73], v[74:75]
	v_rcp_f64_e32 v[91:92], v[89:90]
	s_waitcnt_depctr 0xfff
	v_fma_f64 v[93:94], -v[89:90], v[91:92], 1.0
	s_delay_alu instid0(VALU_DEP_1) | instskip(NEXT) | instid1(VALU_DEP_1)
	v_fma_f64 v[91:92], v[91:92], v[93:94], v[91:92]
	v_fma_f64 v[93:94], -v[89:90], v[91:92], 1.0
	s_delay_alu instid0(VALU_DEP_1) | instskip(NEXT) | instid1(VALU_DEP_1)
	v_fma_f64 v[91:92], v[91:92], v[93:94], v[91:92]
	v_mul_f64 v[93:94], v[95:96], v[91:92]
	s_delay_alu instid0(VALU_DEP_1) | instskip(NEXT) | instid1(VALU_DEP_1)
	v_fma_f64 v[89:90], -v[89:90], v[93:94], v[95:96]
	v_div_fmas_f64 v[89:90], v[89:90], v[91:92], v[93:94]
	s_delay_alu instid0(VALU_DEP_1) | instskip(NEXT) | instid1(VALU_DEP_1)
	v_div_fixup_f64 v[89:90], v[89:90], v[72:73], v[74:75]
	v_fma_f64 v[72:73], v[74:75], v[89:90], v[72:73]
	s_delay_alu instid0(VALU_DEP_1) | instskip(NEXT) | instid1(VALU_DEP_1)
	v_div_scale_f64 v[74:75], null, v[72:73], v[72:73], 1.0
	v_rcp_f64_e32 v[91:92], v[74:75]
	s_waitcnt_depctr 0xfff
	v_fma_f64 v[93:94], -v[74:75], v[91:92], 1.0
	s_delay_alu instid0(VALU_DEP_1) | instskip(NEXT) | instid1(VALU_DEP_1)
	v_fma_f64 v[91:92], v[91:92], v[93:94], v[91:92]
	v_fma_f64 v[93:94], -v[74:75], v[91:92], 1.0
	s_delay_alu instid0(VALU_DEP_1) | instskip(SKIP_1) | instid1(VALU_DEP_1)
	v_fma_f64 v[91:92], v[91:92], v[93:94], v[91:92]
	v_div_scale_f64 v[93:94], vcc_lo, 1.0, v[72:73], 1.0
	v_mul_f64 v[95:96], v[93:94], v[91:92]
	s_delay_alu instid0(VALU_DEP_1) | instskip(NEXT) | instid1(VALU_DEP_1)
	v_fma_f64 v[74:75], -v[74:75], v[95:96], v[93:94]
	v_div_fmas_f64 v[74:75], v[74:75], v[91:92], v[95:96]
	s_delay_alu instid0(VALU_DEP_1) | instskip(NEXT) | instid1(VALU_DEP_1)
	v_div_fixup_f64 v[72:73], v[74:75], v[72:73], 1.0
	v_mul_f64 v[74:75], v[89:90], -v[72:73]
.LBB34_135:
	s_or_b32 exec_lo, exec_lo, s2
.LBB34_136:
	s_delay_alu instid0(SALU_CYCLE_1) | instskip(NEXT) | instid1(SALU_CYCLE_1)
	s_or_b32 exec_lo, exec_lo, s3
	s_mov_b32 s2, exec_lo
	v_cmpx_ne_u32_e64 v88, v80
	s_xor_b32 s2, exec_lo, s2
	s_cbranch_execz .LBB34_142
; %bb.137:
	s_mov_b32 s3, exec_lo
	v_cmpx_eq_u32_e32 6, v88
	s_cbranch_execz .LBB34_141
; %bb.138:
	v_cmp_ne_u32_e32 vcc_lo, 6, v80
	s_xor_b32 s6, s4, -1
	s_delay_alu instid0(SALU_CYCLE_1) | instskip(NEXT) | instid1(SALU_CYCLE_1)
	s_and_b32 s7, s6, vcc_lo
	s_and_saveexec_b32 s6, s7
	s_cbranch_execz .LBB34_140
; %bb.139:
	v_ashrrev_i32_e32 v81, 31, v80
	s_delay_alu instid0(VALU_DEP_1) | instskip(NEXT) | instid1(VALU_DEP_1)
	v_lshlrev_b64 v[88:89], 2, v[80:81]
	v_add_co_u32 v88, vcc_lo, v78, v88
	s_delay_alu instid0(VALU_DEP_2)
	v_add_co_ci_u32_e32 v89, vcc_lo, v79, v89, vcc_lo
	s_clause 0x1
	flat_load_b32 v81, v[88:89]
	flat_load_b32 v85, v[78:79] offset:24
	s_waitcnt vmcnt(1) lgkmcnt(1)
	flat_store_b32 v[78:79], v81 offset:24
	s_waitcnt vmcnt(0) lgkmcnt(1)
	flat_store_b32 v[88:89], v85
.LBB34_140:
	s_or_b32 exec_lo, exec_lo, s6
	v_mov_b32_e32 v88, v80
	v_mov_b32_e32 v85, v80
.LBB34_141:
	s_or_b32 exec_lo, exec_lo, s3
.LBB34_142:
	s_and_not1_saveexec_b32 s2, s2
	s_cbranch_execz .LBB34_144
; %bb.143:
	v_mov_b32_e32 v88, 6
	ds_store_2addr_b64 v82, v[40:41], v[42:43] offset0:14 offset1:15
	ds_store_2addr_b64 v82, v[28:29], v[30:31] offset0:16 offset1:17
	;; [unrolled: 1-line block ×11, first 2 shown]
.LBB34_144:
	s_or_b32 exec_lo, exec_lo, s2
	s_delay_alu instid0(SALU_CYCLE_1)
	s_mov_b32 s2, exec_lo
	s_waitcnt lgkmcnt(0)
	s_waitcnt_vscnt null, 0x0
	s_barrier
	buffer_gl0_inv
	v_cmpx_lt_i32_e32 6, v88
	s_cbranch_execz .LBB34_146
; %bb.145:
	v_mul_f64 v[80:81], v[72:73], v[46:47]
	v_mul_f64 v[46:47], v[74:75], v[46:47]
	ds_load_2addr_b64 v[89:92], v82 offset0:14 offset1:15
	ds_load_2addr_b64 v[93:96], v82 offset0:16 offset1:17
	;; [unrolled: 1-line block ×11, first 2 shown]
	v_fma_f64 v[74:75], v[74:75], v[44:45], v[80:81]
	v_fma_f64 v[44:45], v[72:73], v[44:45], -v[46:47]
	s_waitcnt lgkmcnt(10)
	s_delay_alu instid0(VALU_DEP_2)
	v_mul_f64 v[46:47], v[91:92], v[74:75]
	v_mul_f64 v[72:73], v[89:90], v[74:75]
	s_waitcnt lgkmcnt(9)
	v_mul_f64 v[80:81], v[95:96], v[74:75]
	v_mul_f64 v[133:134], v[93:94], v[74:75]
	s_waitcnt lgkmcnt(8)
	;; [unrolled: 3-line block ×10, first 2 shown]
	v_mul_f64 v[167:168], v[131:132], v[74:75]
	v_mul_f64 v[169:170], v[129:130], v[74:75]
	v_fma_f64 v[46:47], v[89:90], v[44:45], -v[46:47]
	v_fma_f64 v[72:73], v[91:92], v[44:45], v[72:73]
	v_fma_f64 v[80:81], v[93:94], v[44:45], -v[80:81]
	v_fma_f64 v[89:90], v[95:96], v[44:45], v[133:134]
	;; [unrolled: 2-line block ×11, first 2 shown]
	v_add_f64 v[40:41], v[40:41], -v[46:47]
	v_add_f64 v[42:43], v[42:43], -v[72:73]
	;; [unrolled: 1-line block ×22, first 2 shown]
	v_dual_mov_b32 v46, v74 :: v_dual_mov_b32 v47, v75
.LBB34_146:
	s_or_b32 exec_lo, exec_lo, s2
	v_lshl_add_u32 v72, v88, 4, v82
	s_barrier
	buffer_gl0_inv
	v_mov_b32_e32 v80, 7
	ds_store_2addr_b64 v72, v[40:41], v[42:43] offset1:1
	s_waitcnt lgkmcnt(0)
	s_barrier
	buffer_gl0_inv
	ds_load_2addr_b64 v[72:75], v82 offset0:14 offset1:15
	s_cmp_lt_i32 s5, 9
	s_cbranch_scc1 .LBB34_149
; %bb.147:
	v_add3_u32 v81, v87, 0, 0x80
	v_mov_b32_e32 v80, 7
	s_mov_b32 s6, 8
	s_set_inst_prefetch_distance 0x1
	.p2align	6
.LBB34_148:                             ; =>This Inner Loop Header: Depth=1
	ds_load_2addr_b64 v[89:92], v81 offset1:1
	s_waitcnt lgkmcnt(1)
	v_cmp_gt_f64_e32 vcc_lo, 0, v[72:73]
	v_xor_b32_e32 v93, 0x80000000, v73
	v_cmp_gt_f64_e64 s2, 0, v[74:75]
	v_xor_b32_e32 v95, 0x80000000, v75
	v_add_nc_u32_e32 v81, 16, v81
	s_waitcnt lgkmcnt(0)
	v_cmp_gt_f64_e64 s3, 0, v[89:90]
	v_mov_b32_e32 v97, v89
	v_dual_mov_b32 v99, v91 :: v_dual_cndmask_b32 v94, v73, v93
	v_xor_b32_e32 v93, 0x80000000, v90
	v_cndmask_b32_e64 v96, v75, v95, s2
	v_xor_b32_e32 v95, 0x80000000, v92
	s_delay_alu instid0(VALU_DEP_3) | instskip(SKIP_2) | instid1(VALU_DEP_2)
	v_cndmask_b32_e64 v98, v90, v93, s3
	v_cmp_gt_f64_e64 s3, 0, v[91:92]
	v_cndmask_b32_e32 v93, v72, v72, vcc_lo
	v_cndmask_b32_e64 v100, v92, v95, s3
	v_cndmask_b32_e64 v95, v74, v74, s2
	s_delay_alu instid0(VALU_DEP_2) | instskip(NEXT) | instid1(VALU_DEP_2)
	v_add_f64 v[97:98], v[97:98], v[99:100]
	v_add_f64 v[93:94], v[93:94], v[95:96]
	s_delay_alu instid0(VALU_DEP_1) | instskip(SKIP_4) | instid1(SALU_CYCLE_1)
	v_cmp_lt_f64_e32 vcc_lo, v[93:94], v[97:98]
	v_dual_cndmask_b32 v74, v74, v91 :: v_dual_cndmask_b32 v73, v73, v90
	v_dual_cndmask_b32 v72, v72, v89 :: v_dual_cndmask_b32 v75, v75, v92
	v_cndmask_b32_e64 v80, v80, s6, vcc_lo
	s_add_i32 s6, s6, 1
	s_cmp_lg_u32 s5, s6
	s_cbranch_scc1 .LBB34_148
.LBB34_149:
	s_set_inst_prefetch_distance 0x2
	s_waitcnt lgkmcnt(0)
	v_cmp_eq_f64_e32 vcc_lo, 0, v[72:73]
	v_cmp_eq_f64_e64 s2, 0, v[74:75]
	s_delay_alu instid0(VALU_DEP_1) | instskip(NEXT) | instid1(SALU_CYCLE_1)
	s_and_b32 s2, vcc_lo, s2
	s_and_saveexec_b32 s3, s2
	s_delay_alu instid0(SALU_CYCLE_1)
	s_xor_b32 s2, exec_lo, s3
; %bb.150:
	v_cmp_ne_u32_e32 vcc_lo, 0, v86
	v_cndmask_b32_e32 v86, 8, v86, vcc_lo
; %bb.151:
	s_and_not1_saveexec_b32 s3, s2
	s_cbranch_execz .LBB34_157
; %bb.152:
	v_cmp_gt_f64_e32 vcc_lo, 0, v[72:73]
	v_cmp_gt_f64_e64 s2, 0, v[74:75]
	v_xor_b32_e32 v81, 0x80000000, v73
	v_xor_b32_e32 v89, 0x80000000, v75
	s_delay_alu instid0(VALU_DEP_2) | instskip(NEXT) | instid1(VALU_DEP_2)
	v_cndmask_b32_e32 v90, v73, v81, vcc_lo
	v_cndmask_b32_e64 v92, v75, v89, s2
	v_cndmask_b32_e32 v89, v72, v72, vcc_lo
	v_cndmask_b32_e64 v91, v74, v74, s2
	s_mov_b32 s2, exec_lo
	s_delay_alu instid0(VALU_DEP_1)
	v_cmpx_ngt_f64_e32 v[89:90], v[91:92]
	s_xor_b32 s2, exec_lo, s2
	s_cbranch_execz .LBB34_154
; %bb.153:
	v_div_scale_f64 v[89:90], null, v[74:75], v[74:75], v[72:73]
	v_div_scale_f64 v[95:96], vcc_lo, v[72:73], v[74:75], v[72:73]
	s_delay_alu instid0(VALU_DEP_2) | instskip(SKIP_2) | instid1(VALU_DEP_1)
	v_rcp_f64_e32 v[91:92], v[89:90]
	s_waitcnt_depctr 0xfff
	v_fma_f64 v[93:94], -v[89:90], v[91:92], 1.0
	v_fma_f64 v[91:92], v[91:92], v[93:94], v[91:92]
	s_delay_alu instid0(VALU_DEP_1) | instskip(NEXT) | instid1(VALU_DEP_1)
	v_fma_f64 v[93:94], -v[89:90], v[91:92], 1.0
	v_fma_f64 v[91:92], v[91:92], v[93:94], v[91:92]
	s_delay_alu instid0(VALU_DEP_1) | instskip(NEXT) | instid1(VALU_DEP_1)
	v_mul_f64 v[93:94], v[95:96], v[91:92]
	v_fma_f64 v[89:90], -v[89:90], v[93:94], v[95:96]
	s_delay_alu instid0(VALU_DEP_1) | instskip(NEXT) | instid1(VALU_DEP_1)
	v_div_fmas_f64 v[89:90], v[89:90], v[91:92], v[93:94]
	v_div_fixup_f64 v[89:90], v[89:90], v[74:75], v[72:73]
	s_delay_alu instid0(VALU_DEP_1) | instskip(NEXT) | instid1(VALU_DEP_1)
	v_fma_f64 v[72:73], v[72:73], v[89:90], v[74:75]
	v_div_scale_f64 v[74:75], null, v[72:73], v[72:73], 1.0
	s_delay_alu instid0(VALU_DEP_1) | instskip(SKIP_2) | instid1(VALU_DEP_1)
	v_rcp_f64_e32 v[91:92], v[74:75]
	s_waitcnt_depctr 0xfff
	v_fma_f64 v[93:94], -v[74:75], v[91:92], 1.0
	v_fma_f64 v[91:92], v[91:92], v[93:94], v[91:92]
	s_delay_alu instid0(VALU_DEP_1) | instskip(NEXT) | instid1(VALU_DEP_1)
	v_fma_f64 v[93:94], -v[74:75], v[91:92], 1.0
	v_fma_f64 v[91:92], v[91:92], v[93:94], v[91:92]
	v_div_scale_f64 v[93:94], vcc_lo, 1.0, v[72:73], 1.0
	s_delay_alu instid0(VALU_DEP_1) | instskip(NEXT) | instid1(VALU_DEP_1)
	v_mul_f64 v[95:96], v[93:94], v[91:92]
	v_fma_f64 v[74:75], -v[74:75], v[95:96], v[93:94]
	s_delay_alu instid0(VALU_DEP_1) | instskip(NEXT) | instid1(VALU_DEP_1)
	v_div_fmas_f64 v[74:75], v[74:75], v[91:92], v[95:96]
	v_div_fixup_f64 v[74:75], v[74:75], v[72:73], 1.0
	s_delay_alu instid0(VALU_DEP_1)
	v_mul_f64 v[72:73], v[89:90], v[74:75]
	v_xor_b32_e32 v75, 0x80000000, v75
.LBB34_154:
	s_and_not1_saveexec_b32 s2, s2
	s_cbranch_execz .LBB34_156
; %bb.155:
	s_delay_alu instid0(VALU_DEP_1) | instskip(SKIP_1) | instid1(VALU_DEP_2)
	v_div_scale_f64 v[89:90], null, v[72:73], v[72:73], v[74:75]
	v_div_scale_f64 v[95:96], vcc_lo, v[74:75], v[72:73], v[74:75]
	v_rcp_f64_e32 v[91:92], v[89:90]
	s_waitcnt_depctr 0xfff
	v_fma_f64 v[93:94], -v[89:90], v[91:92], 1.0
	s_delay_alu instid0(VALU_DEP_1) | instskip(NEXT) | instid1(VALU_DEP_1)
	v_fma_f64 v[91:92], v[91:92], v[93:94], v[91:92]
	v_fma_f64 v[93:94], -v[89:90], v[91:92], 1.0
	s_delay_alu instid0(VALU_DEP_1) | instskip(NEXT) | instid1(VALU_DEP_1)
	v_fma_f64 v[91:92], v[91:92], v[93:94], v[91:92]
	v_mul_f64 v[93:94], v[95:96], v[91:92]
	s_delay_alu instid0(VALU_DEP_1) | instskip(NEXT) | instid1(VALU_DEP_1)
	v_fma_f64 v[89:90], -v[89:90], v[93:94], v[95:96]
	v_div_fmas_f64 v[89:90], v[89:90], v[91:92], v[93:94]
	s_delay_alu instid0(VALU_DEP_1) | instskip(NEXT) | instid1(VALU_DEP_1)
	v_div_fixup_f64 v[89:90], v[89:90], v[72:73], v[74:75]
	v_fma_f64 v[72:73], v[74:75], v[89:90], v[72:73]
	s_delay_alu instid0(VALU_DEP_1) | instskip(NEXT) | instid1(VALU_DEP_1)
	v_div_scale_f64 v[74:75], null, v[72:73], v[72:73], 1.0
	v_rcp_f64_e32 v[91:92], v[74:75]
	s_waitcnt_depctr 0xfff
	v_fma_f64 v[93:94], -v[74:75], v[91:92], 1.0
	s_delay_alu instid0(VALU_DEP_1) | instskip(NEXT) | instid1(VALU_DEP_1)
	v_fma_f64 v[91:92], v[91:92], v[93:94], v[91:92]
	v_fma_f64 v[93:94], -v[74:75], v[91:92], 1.0
	s_delay_alu instid0(VALU_DEP_1) | instskip(SKIP_1) | instid1(VALU_DEP_1)
	v_fma_f64 v[91:92], v[91:92], v[93:94], v[91:92]
	v_div_scale_f64 v[93:94], vcc_lo, 1.0, v[72:73], 1.0
	v_mul_f64 v[95:96], v[93:94], v[91:92]
	s_delay_alu instid0(VALU_DEP_1) | instskip(NEXT) | instid1(VALU_DEP_1)
	v_fma_f64 v[74:75], -v[74:75], v[95:96], v[93:94]
	v_div_fmas_f64 v[74:75], v[74:75], v[91:92], v[95:96]
	s_delay_alu instid0(VALU_DEP_1) | instskip(NEXT) | instid1(VALU_DEP_1)
	v_div_fixup_f64 v[72:73], v[74:75], v[72:73], 1.0
	v_mul_f64 v[74:75], v[89:90], -v[72:73]
.LBB34_156:
	s_or_b32 exec_lo, exec_lo, s2
.LBB34_157:
	s_delay_alu instid0(SALU_CYCLE_1) | instskip(NEXT) | instid1(SALU_CYCLE_1)
	s_or_b32 exec_lo, exec_lo, s3
	s_mov_b32 s2, exec_lo
	v_cmpx_ne_u32_e64 v88, v80
	s_xor_b32 s2, exec_lo, s2
	s_cbranch_execz .LBB34_163
; %bb.158:
	s_mov_b32 s3, exec_lo
	v_cmpx_eq_u32_e32 7, v88
	s_cbranch_execz .LBB34_162
; %bb.159:
	v_cmp_ne_u32_e32 vcc_lo, 7, v80
	s_xor_b32 s6, s4, -1
	s_delay_alu instid0(SALU_CYCLE_1) | instskip(NEXT) | instid1(SALU_CYCLE_1)
	s_and_b32 s7, s6, vcc_lo
	s_and_saveexec_b32 s6, s7
	s_cbranch_execz .LBB34_161
; %bb.160:
	v_ashrrev_i32_e32 v81, 31, v80
	s_delay_alu instid0(VALU_DEP_1) | instskip(NEXT) | instid1(VALU_DEP_1)
	v_lshlrev_b64 v[88:89], 2, v[80:81]
	v_add_co_u32 v88, vcc_lo, v78, v88
	s_delay_alu instid0(VALU_DEP_2)
	v_add_co_ci_u32_e32 v89, vcc_lo, v79, v89, vcc_lo
	s_clause 0x1
	flat_load_b32 v81, v[88:89]
	flat_load_b32 v85, v[78:79] offset:28
	s_waitcnt vmcnt(1) lgkmcnt(1)
	flat_store_b32 v[78:79], v81 offset:28
	s_waitcnt vmcnt(0) lgkmcnt(1)
	flat_store_b32 v[88:89], v85
.LBB34_161:
	s_or_b32 exec_lo, exec_lo, s6
	v_mov_b32_e32 v88, v80
	v_mov_b32_e32 v85, v80
.LBB34_162:
	s_or_b32 exec_lo, exec_lo, s3
.LBB34_163:
	s_and_not1_saveexec_b32 s2, s2
	s_cbranch_execz .LBB34_165
; %bb.164:
	v_mov_b32_e32 v88, 7
	ds_store_2addr_b64 v82, v[28:29], v[30:31] offset0:16 offset1:17
	ds_store_2addr_b64 v82, v[24:25], v[26:27] offset0:18 offset1:19
	;; [unrolled: 1-line block ×10, first 2 shown]
.LBB34_165:
	s_or_b32 exec_lo, exec_lo, s2
	s_delay_alu instid0(SALU_CYCLE_1)
	s_mov_b32 s2, exec_lo
	s_waitcnt lgkmcnt(0)
	s_waitcnt_vscnt null, 0x0
	s_barrier
	buffer_gl0_inv
	v_cmpx_lt_i32_e32 7, v88
	s_cbranch_execz .LBB34_167
; %bb.166:
	v_mul_f64 v[80:81], v[72:73], v[42:43]
	v_mul_f64 v[42:43], v[74:75], v[42:43]
	ds_load_2addr_b64 v[89:92], v82 offset0:16 offset1:17
	ds_load_2addr_b64 v[93:96], v82 offset0:18 offset1:19
	;; [unrolled: 1-line block ×10, first 2 shown]
	v_fma_f64 v[74:75], v[74:75], v[40:41], v[80:81]
	v_fma_f64 v[40:41], v[72:73], v[40:41], -v[42:43]
	s_waitcnt lgkmcnt(9)
	s_delay_alu instid0(VALU_DEP_2)
	v_mul_f64 v[42:43], v[91:92], v[74:75]
	v_mul_f64 v[72:73], v[89:90], v[74:75]
	s_waitcnt lgkmcnt(8)
	v_mul_f64 v[80:81], v[95:96], v[74:75]
	v_mul_f64 v[129:130], v[93:94], v[74:75]
	s_waitcnt lgkmcnt(7)
	;; [unrolled: 3-line block ×9, first 2 shown]
	v_mul_f64 v[159:160], v[127:128], v[74:75]
	v_mul_f64 v[161:162], v[125:126], v[74:75]
	v_fma_f64 v[42:43], v[89:90], v[40:41], -v[42:43]
	v_fma_f64 v[72:73], v[91:92], v[40:41], v[72:73]
	v_fma_f64 v[80:81], v[93:94], v[40:41], -v[80:81]
	v_fma_f64 v[89:90], v[95:96], v[40:41], v[129:130]
	;; [unrolled: 2-line block ×10, first 2 shown]
	v_add_f64 v[28:29], v[28:29], -v[42:43]
	v_add_f64 v[30:31], v[30:31], -v[72:73]
	;; [unrolled: 1-line block ×20, first 2 shown]
	v_dual_mov_b32 v42, v74 :: v_dual_mov_b32 v43, v75
.LBB34_167:
	s_or_b32 exec_lo, exec_lo, s2
	v_lshl_add_u32 v72, v88, 4, v82
	s_barrier
	buffer_gl0_inv
	v_mov_b32_e32 v80, 8
	ds_store_2addr_b64 v72, v[28:29], v[30:31] offset1:1
	s_waitcnt lgkmcnt(0)
	s_barrier
	buffer_gl0_inv
	ds_load_2addr_b64 v[72:75], v82 offset0:16 offset1:17
	s_cmp_lt_i32 s5, 10
	s_cbranch_scc1 .LBB34_170
; %bb.168:
	v_add3_u32 v81, v87, 0, 0x90
	v_mov_b32_e32 v80, 8
	s_mov_b32 s6, 9
	s_set_inst_prefetch_distance 0x1
	.p2align	6
.LBB34_169:                             ; =>This Inner Loop Header: Depth=1
	ds_load_2addr_b64 v[89:92], v81 offset1:1
	s_waitcnt lgkmcnt(1)
	v_cmp_gt_f64_e32 vcc_lo, 0, v[72:73]
	v_xor_b32_e32 v93, 0x80000000, v73
	v_cmp_gt_f64_e64 s2, 0, v[74:75]
	v_xor_b32_e32 v95, 0x80000000, v75
	v_add_nc_u32_e32 v81, 16, v81
	s_waitcnt lgkmcnt(0)
	v_cmp_gt_f64_e64 s3, 0, v[89:90]
	v_mov_b32_e32 v97, v89
	v_dual_mov_b32 v99, v91 :: v_dual_cndmask_b32 v94, v73, v93
	v_xor_b32_e32 v93, 0x80000000, v90
	v_cndmask_b32_e64 v96, v75, v95, s2
	v_xor_b32_e32 v95, 0x80000000, v92
	s_delay_alu instid0(VALU_DEP_3) | instskip(SKIP_2) | instid1(VALU_DEP_2)
	v_cndmask_b32_e64 v98, v90, v93, s3
	v_cmp_gt_f64_e64 s3, 0, v[91:92]
	v_cndmask_b32_e32 v93, v72, v72, vcc_lo
	v_cndmask_b32_e64 v100, v92, v95, s3
	v_cndmask_b32_e64 v95, v74, v74, s2
	s_delay_alu instid0(VALU_DEP_2) | instskip(NEXT) | instid1(VALU_DEP_2)
	v_add_f64 v[97:98], v[97:98], v[99:100]
	v_add_f64 v[93:94], v[93:94], v[95:96]
	s_delay_alu instid0(VALU_DEP_1) | instskip(SKIP_4) | instid1(SALU_CYCLE_1)
	v_cmp_lt_f64_e32 vcc_lo, v[93:94], v[97:98]
	v_dual_cndmask_b32 v74, v74, v91 :: v_dual_cndmask_b32 v73, v73, v90
	v_dual_cndmask_b32 v72, v72, v89 :: v_dual_cndmask_b32 v75, v75, v92
	v_cndmask_b32_e64 v80, v80, s6, vcc_lo
	s_add_i32 s6, s6, 1
	s_cmp_lg_u32 s5, s6
	s_cbranch_scc1 .LBB34_169
.LBB34_170:
	s_set_inst_prefetch_distance 0x2
	s_waitcnt lgkmcnt(0)
	v_cmp_eq_f64_e32 vcc_lo, 0, v[72:73]
	v_cmp_eq_f64_e64 s2, 0, v[74:75]
	s_delay_alu instid0(VALU_DEP_1) | instskip(NEXT) | instid1(SALU_CYCLE_1)
	s_and_b32 s2, vcc_lo, s2
	s_and_saveexec_b32 s3, s2
	s_delay_alu instid0(SALU_CYCLE_1)
	s_xor_b32 s2, exec_lo, s3
; %bb.171:
	v_cmp_ne_u32_e32 vcc_lo, 0, v86
	v_cndmask_b32_e32 v86, 9, v86, vcc_lo
; %bb.172:
	s_and_not1_saveexec_b32 s3, s2
	s_cbranch_execz .LBB34_178
; %bb.173:
	v_cmp_gt_f64_e32 vcc_lo, 0, v[72:73]
	v_cmp_gt_f64_e64 s2, 0, v[74:75]
	v_xor_b32_e32 v81, 0x80000000, v73
	v_xor_b32_e32 v89, 0x80000000, v75
	s_delay_alu instid0(VALU_DEP_2) | instskip(NEXT) | instid1(VALU_DEP_2)
	v_cndmask_b32_e32 v90, v73, v81, vcc_lo
	v_cndmask_b32_e64 v92, v75, v89, s2
	v_cndmask_b32_e32 v89, v72, v72, vcc_lo
	v_cndmask_b32_e64 v91, v74, v74, s2
	s_mov_b32 s2, exec_lo
	s_delay_alu instid0(VALU_DEP_1)
	v_cmpx_ngt_f64_e32 v[89:90], v[91:92]
	s_xor_b32 s2, exec_lo, s2
	s_cbranch_execz .LBB34_175
; %bb.174:
	v_div_scale_f64 v[89:90], null, v[74:75], v[74:75], v[72:73]
	v_div_scale_f64 v[95:96], vcc_lo, v[72:73], v[74:75], v[72:73]
	s_delay_alu instid0(VALU_DEP_2) | instskip(SKIP_2) | instid1(VALU_DEP_1)
	v_rcp_f64_e32 v[91:92], v[89:90]
	s_waitcnt_depctr 0xfff
	v_fma_f64 v[93:94], -v[89:90], v[91:92], 1.0
	v_fma_f64 v[91:92], v[91:92], v[93:94], v[91:92]
	s_delay_alu instid0(VALU_DEP_1) | instskip(NEXT) | instid1(VALU_DEP_1)
	v_fma_f64 v[93:94], -v[89:90], v[91:92], 1.0
	v_fma_f64 v[91:92], v[91:92], v[93:94], v[91:92]
	s_delay_alu instid0(VALU_DEP_1) | instskip(NEXT) | instid1(VALU_DEP_1)
	v_mul_f64 v[93:94], v[95:96], v[91:92]
	v_fma_f64 v[89:90], -v[89:90], v[93:94], v[95:96]
	s_delay_alu instid0(VALU_DEP_1) | instskip(NEXT) | instid1(VALU_DEP_1)
	v_div_fmas_f64 v[89:90], v[89:90], v[91:92], v[93:94]
	v_div_fixup_f64 v[89:90], v[89:90], v[74:75], v[72:73]
	s_delay_alu instid0(VALU_DEP_1) | instskip(NEXT) | instid1(VALU_DEP_1)
	v_fma_f64 v[72:73], v[72:73], v[89:90], v[74:75]
	v_div_scale_f64 v[74:75], null, v[72:73], v[72:73], 1.0
	s_delay_alu instid0(VALU_DEP_1) | instskip(SKIP_2) | instid1(VALU_DEP_1)
	v_rcp_f64_e32 v[91:92], v[74:75]
	s_waitcnt_depctr 0xfff
	v_fma_f64 v[93:94], -v[74:75], v[91:92], 1.0
	v_fma_f64 v[91:92], v[91:92], v[93:94], v[91:92]
	s_delay_alu instid0(VALU_DEP_1) | instskip(NEXT) | instid1(VALU_DEP_1)
	v_fma_f64 v[93:94], -v[74:75], v[91:92], 1.0
	v_fma_f64 v[91:92], v[91:92], v[93:94], v[91:92]
	v_div_scale_f64 v[93:94], vcc_lo, 1.0, v[72:73], 1.0
	s_delay_alu instid0(VALU_DEP_1) | instskip(NEXT) | instid1(VALU_DEP_1)
	v_mul_f64 v[95:96], v[93:94], v[91:92]
	v_fma_f64 v[74:75], -v[74:75], v[95:96], v[93:94]
	s_delay_alu instid0(VALU_DEP_1) | instskip(NEXT) | instid1(VALU_DEP_1)
	v_div_fmas_f64 v[74:75], v[74:75], v[91:92], v[95:96]
	v_div_fixup_f64 v[74:75], v[74:75], v[72:73], 1.0
	s_delay_alu instid0(VALU_DEP_1)
	v_mul_f64 v[72:73], v[89:90], v[74:75]
	v_xor_b32_e32 v75, 0x80000000, v75
.LBB34_175:
	s_and_not1_saveexec_b32 s2, s2
	s_cbranch_execz .LBB34_177
; %bb.176:
	s_delay_alu instid0(VALU_DEP_1) | instskip(SKIP_1) | instid1(VALU_DEP_2)
	v_div_scale_f64 v[89:90], null, v[72:73], v[72:73], v[74:75]
	v_div_scale_f64 v[95:96], vcc_lo, v[74:75], v[72:73], v[74:75]
	v_rcp_f64_e32 v[91:92], v[89:90]
	s_waitcnt_depctr 0xfff
	v_fma_f64 v[93:94], -v[89:90], v[91:92], 1.0
	s_delay_alu instid0(VALU_DEP_1) | instskip(NEXT) | instid1(VALU_DEP_1)
	v_fma_f64 v[91:92], v[91:92], v[93:94], v[91:92]
	v_fma_f64 v[93:94], -v[89:90], v[91:92], 1.0
	s_delay_alu instid0(VALU_DEP_1) | instskip(NEXT) | instid1(VALU_DEP_1)
	v_fma_f64 v[91:92], v[91:92], v[93:94], v[91:92]
	v_mul_f64 v[93:94], v[95:96], v[91:92]
	s_delay_alu instid0(VALU_DEP_1) | instskip(NEXT) | instid1(VALU_DEP_1)
	v_fma_f64 v[89:90], -v[89:90], v[93:94], v[95:96]
	v_div_fmas_f64 v[89:90], v[89:90], v[91:92], v[93:94]
	s_delay_alu instid0(VALU_DEP_1) | instskip(NEXT) | instid1(VALU_DEP_1)
	v_div_fixup_f64 v[89:90], v[89:90], v[72:73], v[74:75]
	v_fma_f64 v[72:73], v[74:75], v[89:90], v[72:73]
	s_delay_alu instid0(VALU_DEP_1) | instskip(NEXT) | instid1(VALU_DEP_1)
	v_div_scale_f64 v[74:75], null, v[72:73], v[72:73], 1.0
	v_rcp_f64_e32 v[91:92], v[74:75]
	s_waitcnt_depctr 0xfff
	v_fma_f64 v[93:94], -v[74:75], v[91:92], 1.0
	s_delay_alu instid0(VALU_DEP_1) | instskip(NEXT) | instid1(VALU_DEP_1)
	v_fma_f64 v[91:92], v[91:92], v[93:94], v[91:92]
	v_fma_f64 v[93:94], -v[74:75], v[91:92], 1.0
	s_delay_alu instid0(VALU_DEP_1) | instskip(SKIP_1) | instid1(VALU_DEP_1)
	v_fma_f64 v[91:92], v[91:92], v[93:94], v[91:92]
	v_div_scale_f64 v[93:94], vcc_lo, 1.0, v[72:73], 1.0
	v_mul_f64 v[95:96], v[93:94], v[91:92]
	s_delay_alu instid0(VALU_DEP_1) | instskip(NEXT) | instid1(VALU_DEP_1)
	v_fma_f64 v[74:75], -v[74:75], v[95:96], v[93:94]
	v_div_fmas_f64 v[74:75], v[74:75], v[91:92], v[95:96]
	s_delay_alu instid0(VALU_DEP_1) | instskip(NEXT) | instid1(VALU_DEP_1)
	v_div_fixup_f64 v[72:73], v[74:75], v[72:73], 1.0
	v_mul_f64 v[74:75], v[89:90], -v[72:73]
.LBB34_177:
	s_or_b32 exec_lo, exec_lo, s2
.LBB34_178:
	s_delay_alu instid0(SALU_CYCLE_1) | instskip(NEXT) | instid1(SALU_CYCLE_1)
	s_or_b32 exec_lo, exec_lo, s3
	s_mov_b32 s2, exec_lo
	v_cmpx_ne_u32_e64 v88, v80
	s_xor_b32 s2, exec_lo, s2
	s_cbranch_execz .LBB34_184
; %bb.179:
	s_mov_b32 s3, exec_lo
	v_cmpx_eq_u32_e32 8, v88
	s_cbranch_execz .LBB34_183
; %bb.180:
	v_cmp_ne_u32_e32 vcc_lo, 8, v80
	s_xor_b32 s6, s4, -1
	s_delay_alu instid0(SALU_CYCLE_1) | instskip(NEXT) | instid1(SALU_CYCLE_1)
	s_and_b32 s7, s6, vcc_lo
	s_and_saveexec_b32 s6, s7
	s_cbranch_execz .LBB34_182
; %bb.181:
	v_ashrrev_i32_e32 v81, 31, v80
	s_delay_alu instid0(VALU_DEP_1) | instskip(NEXT) | instid1(VALU_DEP_1)
	v_lshlrev_b64 v[88:89], 2, v[80:81]
	v_add_co_u32 v88, vcc_lo, v78, v88
	s_delay_alu instid0(VALU_DEP_2)
	v_add_co_ci_u32_e32 v89, vcc_lo, v79, v89, vcc_lo
	s_clause 0x1
	flat_load_b32 v81, v[88:89]
	flat_load_b32 v85, v[78:79] offset:32
	s_waitcnt vmcnt(1) lgkmcnt(1)
	flat_store_b32 v[78:79], v81 offset:32
	s_waitcnt vmcnt(0) lgkmcnt(1)
	flat_store_b32 v[88:89], v85
.LBB34_182:
	s_or_b32 exec_lo, exec_lo, s6
	v_mov_b32_e32 v88, v80
	v_mov_b32_e32 v85, v80
.LBB34_183:
	s_or_b32 exec_lo, exec_lo, s3
.LBB34_184:
	s_and_not1_saveexec_b32 s2, s2
	s_cbranch_execz .LBB34_186
; %bb.185:
	v_mov_b32_e32 v88, 8
	ds_store_2addr_b64 v82, v[24:25], v[26:27] offset0:18 offset1:19
	ds_store_2addr_b64 v82, v[36:37], v[38:39] offset0:20 offset1:21
	;; [unrolled: 1-line block ×9, first 2 shown]
.LBB34_186:
	s_or_b32 exec_lo, exec_lo, s2
	s_delay_alu instid0(SALU_CYCLE_1)
	s_mov_b32 s2, exec_lo
	s_waitcnt lgkmcnt(0)
	s_waitcnt_vscnt null, 0x0
	s_barrier
	buffer_gl0_inv
	v_cmpx_lt_i32_e32 8, v88
	s_cbranch_execz .LBB34_188
; %bb.187:
	v_mul_f64 v[80:81], v[72:73], v[30:31]
	v_mul_f64 v[30:31], v[74:75], v[30:31]
	ds_load_2addr_b64 v[89:92], v82 offset0:18 offset1:19
	ds_load_2addr_b64 v[93:96], v82 offset0:20 offset1:21
	ds_load_2addr_b64 v[97:100], v82 offset0:22 offset1:23
	ds_load_2addr_b64 v[101:104], v82 offset0:24 offset1:25
	ds_load_2addr_b64 v[105:108], v82 offset0:26 offset1:27
	ds_load_2addr_b64 v[109:112], v82 offset0:28 offset1:29
	ds_load_2addr_b64 v[113:116], v82 offset0:30 offset1:31
	ds_load_2addr_b64 v[117:120], v82 offset0:32 offset1:33
	ds_load_2addr_b64 v[121:124], v82 offset0:34 offset1:35
	v_fma_f64 v[74:75], v[74:75], v[28:29], v[80:81]
	v_fma_f64 v[28:29], v[72:73], v[28:29], -v[30:31]
	s_waitcnt lgkmcnt(8)
	s_delay_alu instid0(VALU_DEP_2)
	v_mul_f64 v[30:31], v[91:92], v[74:75]
	v_mul_f64 v[72:73], v[89:90], v[74:75]
	s_waitcnt lgkmcnt(7)
	v_mul_f64 v[80:81], v[95:96], v[74:75]
	v_mul_f64 v[125:126], v[93:94], v[74:75]
	s_waitcnt lgkmcnt(6)
	;; [unrolled: 3-line block ×8, first 2 shown]
	v_mul_f64 v[151:152], v[123:124], v[74:75]
	v_mul_f64 v[153:154], v[121:122], v[74:75]
	v_fma_f64 v[30:31], v[89:90], v[28:29], -v[30:31]
	v_fma_f64 v[72:73], v[91:92], v[28:29], v[72:73]
	v_fma_f64 v[80:81], v[93:94], v[28:29], -v[80:81]
	v_fma_f64 v[89:90], v[95:96], v[28:29], v[125:126]
	;; [unrolled: 2-line block ×9, first 2 shown]
	v_add_f64 v[24:25], v[24:25], -v[30:31]
	v_add_f64 v[26:27], v[26:27], -v[72:73]
	;; [unrolled: 1-line block ×18, first 2 shown]
	v_dual_mov_b32 v30, v74 :: v_dual_mov_b32 v31, v75
.LBB34_188:
	s_or_b32 exec_lo, exec_lo, s2
	v_lshl_add_u32 v72, v88, 4, v82
	s_barrier
	buffer_gl0_inv
	v_mov_b32_e32 v80, 9
	ds_store_2addr_b64 v72, v[24:25], v[26:27] offset1:1
	s_waitcnt lgkmcnt(0)
	s_barrier
	buffer_gl0_inv
	ds_load_2addr_b64 v[72:75], v82 offset0:18 offset1:19
	s_cmp_lt_i32 s5, 11
	s_cbranch_scc1 .LBB34_191
; %bb.189:
	v_add3_u32 v81, v87, 0, 0xa0
	v_mov_b32_e32 v80, 9
	s_mov_b32 s6, 10
	s_set_inst_prefetch_distance 0x1
	.p2align	6
.LBB34_190:                             ; =>This Inner Loop Header: Depth=1
	ds_load_2addr_b64 v[89:92], v81 offset1:1
	s_waitcnt lgkmcnt(1)
	v_cmp_gt_f64_e32 vcc_lo, 0, v[72:73]
	v_xor_b32_e32 v93, 0x80000000, v73
	v_cmp_gt_f64_e64 s2, 0, v[74:75]
	v_xor_b32_e32 v95, 0x80000000, v75
	v_add_nc_u32_e32 v81, 16, v81
	s_waitcnt lgkmcnt(0)
	v_cmp_gt_f64_e64 s3, 0, v[89:90]
	v_mov_b32_e32 v97, v89
	v_dual_mov_b32 v99, v91 :: v_dual_cndmask_b32 v94, v73, v93
	v_xor_b32_e32 v93, 0x80000000, v90
	v_cndmask_b32_e64 v96, v75, v95, s2
	v_xor_b32_e32 v95, 0x80000000, v92
	s_delay_alu instid0(VALU_DEP_3) | instskip(SKIP_2) | instid1(VALU_DEP_2)
	v_cndmask_b32_e64 v98, v90, v93, s3
	v_cmp_gt_f64_e64 s3, 0, v[91:92]
	v_cndmask_b32_e32 v93, v72, v72, vcc_lo
	v_cndmask_b32_e64 v100, v92, v95, s3
	v_cndmask_b32_e64 v95, v74, v74, s2
	s_delay_alu instid0(VALU_DEP_2) | instskip(NEXT) | instid1(VALU_DEP_2)
	v_add_f64 v[97:98], v[97:98], v[99:100]
	v_add_f64 v[93:94], v[93:94], v[95:96]
	s_delay_alu instid0(VALU_DEP_1) | instskip(SKIP_4) | instid1(SALU_CYCLE_1)
	v_cmp_lt_f64_e32 vcc_lo, v[93:94], v[97:98]
	v_dual_cndmask_b32 v74, v74, v91 :: v_dual_cndmask_b32 v73, v73, v90
	v_dual_cndmask_b32 v72, v72, v89 :: v_dual_cndmask_b32 v75, v75, v92
	v_cndmask_b32_e64 v80, v80, s6, vcc_lo
	s_add_i32 s6, s6, 1
	s_cmp_lg_u32 s5, s6
	s_cbranch_scc1 .LBB34_190
.LBB34_191:
	s_set_inst_prefetch_distance 0x2
	s_waitcnt lgkmcnt(0)
	v_cmp_eq_f64_e32 vcc_lo, 0, v[72:73]
	v_cmp_eq_f64_e64 s2, 0, v[74:75]
	s_delay_alu instid0(VALU_DEP_1) | instskip(NEXT) | instid1(SALU_CYCLE_1)
	s_and_b32 s2, vcc_lo, s2
	s_and_saveexec_b32 s3, s2
	s_delay_alu instid0(SALU_CYCLE_1)
	s_xor_b32 s2, exec_lo, s3
; %bb.192:
	v_cmp_ne_u32_e32 vcc_lo, 0, v86
	v_cndmask_b32_e32 v86, 10, v86, vcc_lo
; %bb.193:
	s_and_not1_saveexec_b32 s3, s2
	s_cbranch_execz .LBB34_199
; %bb.194:
	v_cmp_gt_f64_e32 vcc_lo, 0, v[72:73]
	v_cmp_gt_f64_e64 s2, 0, v[74:75]
	v_xor_b32_e32 v81, 0x80000000, v73
	v_xor_b32_e32 v89, 0x80000000, v75
	s_delay_alu instid0(VALU_DEP_2) | instskip(NEXT) | instid1(VALU_DEP_2)
	v_cndmask_b32_e32 v90, v73, v81, vcc_lo
	v_cndmask_b32_e64 v92, v75, v89, s2
	v_cndmask_b32_e32 v89, v72, v72, vcc_lo
	v_cndmask_b32_e64 v91, v74, v74, s2
	s_mov_b32 s2, exec_lo
	s_delay_alu instid0(VALU_DEP_1)
	v_cmpx_ngt_f64_e32 v[89:90], v[91:92]
	s_xor_b32 s2, exec_lo, s2
	s_cbranch_execz .LBB34_196
; %bb.195:
	v_div_scale_f64 v[89:90], null, v[74:75], v[74:75], v[72:73]
	v_div_scale_f64 v[95:96], vcc_lo, v[72:73], v[74:75], v[72:73]
	s_delay_alu instid0(VALU_DEP_2) | instskip(SKIP_2) | instid1(VALU_DEP_1)
	v_rcp_f64_e32 v[91:92], v[89:90]
	s_waitcnt_depctr 0xfff
	v_fma_f64 v[93:94], -v[89:90], v[91:92], 1.0
	v_fma_f64 v[91:92], v[91:92], v[93:94], v[91:92]
	s_delay_alu instid0(VALU_DEP_1) | instskip(NEXT) | instid1(VALU_DEP_1)
	v_fma_f64 v[93:94], -v[89:90], v[91:92], 1.0
	v_fma_f64 v[91:92], v[91:92], v[93:94], v[91:92]
	s_delay_alu instid0(VALU_DEP_1) | instskip(NEXT) | instid1(VALU_DEP_1)
	v_mul_f64 v[93:94], v[95:96], v[91:92]
	v_fma_f64 v[89:90], -v[89:90], v[93:94], v[95:96]
	s_delay_alu instid0(VALU_DEP_1) | instskip(NEXT) | instid1(VALU_DEP_1)
	v_div_fmas_f64 v[89:90], v[89:90], v[91:92], v[93:94]
	v_div_fixup_f64 v[89:90], v[89:90], v[74:75], v[72:73]
	s_delay_alu instid0(VALU_DEP_1) | instskip(NEXT) | instid1(VALU_DEP_1)
	v_fma_f64 v[72:73], v[72:73], v[89:90], v[74:75]
	v_div_scale_f64 v[74:75], null, v[72:73], v[72:73], 1.0
	s_delay_alu instid0(VALU_DEP_1) | instskip(SKIP_2) | instid1(VALU_DEP_1)
	v_rcp_f64_e32 v[91:92], v[74:75]
	s_waitcnt_depctr 0xfff
	v_fma_f64 v[93:94], -v[74:75], v[91:92], 1.0
	v_fma_f64 v[91:92], v[91:92], v[93:94], v[91:92]
	s_delay_alu instid0(VALU_DEP_1) | instskip(NEXT) | instid1(VALU_DEP_1)
	v_fma_f64 v[93:94], -v[74:75], v[91:92], 1.0
	v_fma_f64 v[91:92], v[91:92], v[93:94], v[91:92]
	v_div_scale_f64 v[93:94], vcc_lo, 1.0, v[72:73], 1.0
	s_delay_alu instid0(VALU_DEP_1) | instskip(NEXT) | instid1(VALU_DEP_1)
	v_mul_f64 v[95:96], v[93:94], v[91:92]
	v_fma_f64 v[74:75], -v[74:75], v[95:96], v[93:94]
	s_delay_alu instid0(VALU_DEP_1) | instskip(NEXT) | instid1(VALU_DEP_1)
	v_div_fmas_f64 v[74:75], v[74:75], v[91:92], v[95:96]
	v_div_fixup_f64 v[74:75], v[74:75], v[72:73], 1.0
	s_delay_alu instid0(VALU_DEP_1)
	v_mul_f64 v[72:73], v[89:90], v[74:75]
	v_xor_b32_e32 v75, 0x80000000, v75
.LBB34_196:
	s_and_not1_saveexec_b32 s2, s2
	s_cbranch_execz .LBB34_198
; %bb.197:
	s_delay_alu instid0(VALU_DEP_1) | instskip(SKIP_1) | instid1(VALU_DEP_2)
	v_div_scale_f64 v[89:90], null, v[72:73], v[72:73], v[74:75]
	v_div_scale_f64 v[95:96], vcc_lo, v[74:75], v[72:73], v[74:75]
	v_rcp_f64_e32 v[91:92], v[89:90]
	s_waitcnt_depctr 0xfff
	v_fma_f64 v[93:94], -v[89:90], v[91:92], 1.0
	s_delay_alu instid0(VALU_DEP_1) | instskip(NEXT) | instid1(VALU_DEP_1)
	v_fma_f64 v[91:92], v[91:92], v[93:94], v[91:92]
	v_fma_f64 v[93:94], -v[89:90], v[91:92], 1.0
	s_delay_alu instid0(VALU_DEP_1) | instskip(NEXT) | instid1(VALU_DEP_1)
	v_fma_f64 v[91:92], v[91:92], v[93:94], v[91:92]
	v_mul_f64 v[93:94], v[95:96], v[91:92]
	s_delay_alu instid0(VALU_DEP_1) | instskip(NEXT) | instid1(VALU_DEP_1)
	v_fma_f64 v[89:90], -v[89:90], v[93:94], v[95:96]
	v_div_fmas_f64 v[89:90], v[89:90], v[91:92], v[93:94]
	s_delay_alu instid0(VALU_DEP_1) | instskip(NEXT) | instid1(VALU_DEP_1)
	v_div_fixup_f64 v[89:90], v[89:90], v[72:73], v[74:75]
	v_fma_f64 v[72:73], v[74:75], v[89:90], v[72:73]
	s_delay_alu instid0(VALU_DEP_1) | instskip(NEXT) | instid1(VALU_DEP_1)
	v_div_scale_f64 v[74:75], null, v[72:73], v[72:73], 1.0
	v_rcp_f64_e32 v[91:92], v[74:75]
	s_waitcnt_depctr 0xfff
	v_fma_f64 v[93:94], -v[74:75], v[91:92], 1.0
	s_delay_alu instid0(VALU_DEP_1) | instskip(NEXT) | instid1(VALU_DEP_1)
	v_fma_f64 v[91:92], v[91:92], v[93:94], v[91:92]
	v_fma_f64 v[93:94], -v[74:75], v[91:92], 1.0
	s_delay_alu instid0(VALU_DEP_1) | instskip(SKIP_1) | instid1(VALU_DEP_1)
	v_fma_f64 v[91:92], v[91:92], v[93:94], v[91:92]
	v_div_scale_f64 v[93:94], vcc_lo, 1.0, v[72:73], 1.0
	v_mul_f64 v[95:96], v[93:94], v[91:92]
	s_delay_alu instid0(VALU_DEP_1) | instskip(NEXT) | instid1(VALU_DEP_1)
	v_fma_f64 v[74:75], -v[74:75], v[95:96], v[93:94]
	v_div_fmas_f64 v[74:75], v[74:75], v[91:92], v[95:96]
	s_delay_alu instid0(VALU_DEP_1) | instskip(NEXT) | instid1(VALU_DEP_1)
	v_div_fixup_f64 v[72:73], v[74:75], v[72:73], 1.0
	v_mul_f64 v[74:75], v[89:90], -v[72:73]
.LBB34_198:
	s_or_b32 exec_lo, exec_lo, s2
.LBB34_199:
	s_delay_alu instid0(SALU_CYCLE_1) | instskip(NEXT) | instid1(SALU_CYCLE_1)
	s_or_b32 exec_lo, exec_lo, s3
	s_mov_b32 s2, exec_lo
	v_cmpx_ne_u32_e64 v88, v80
	s_xor_b32 s2, exec_lo, s2
	s_cbranch_execz .LBB34_205
; %bb.200:
	s_mov_b32 s3, exec_lo
	v_cmpx_eq_u32_e32 9, v88
	s_cbranch_execz .LBB34_204
; %bb.201:
	v_cmp_ne_u32_e32 vcc_lo, 9, v80
	s_xor_b32 s6, s4, -1
	s_delay_alu instid0(SALU_CYCLE_1) | instskip(NEXT) | instid1(SALU_CYCLE_1)
	s_and_b32 s7, s6, vcc_lo
	s_and_saveexec_b32 s6, s7
	s_cbranch_execz .LBB34_203
; %bb.202:
	v_ashrrev_i32_e32 v81, 31, v80
	s_delay_alu instid0(VALU_DEP_1) | instskip(NEXT) | instid1(VALU_DEP_1)
	v_lshlrev_b64 v[88:89], 2, v[80:81]
	v_add_co_u32 v88, vcc_lo, v78, v88
	s_delay_alu instid0(VALU_DEP_2)
	v_add_co_ci_u32_e32 v89, vcc_lo, v79, v89, vcc_lo
	s_clause 0x1
	flat_load_b32 v81, v[88:89]
	flat_load_b32 v85, v[78:79] offset:36
	s_waitcnt vmcnt(1) lgkmcnt(1)
	flat_store_b32 v[78:79], v81 offset:36
	s_waitcnt vmcnt(0) lgkmcnt(1)
	flat_store_b32 v[88:89], v85
.LBB34_203:
	s_or_b32 exec_lo, exec_lo, s6
	v_mov_b32_e32 v88, v80
	v_mov_b32_e32 v85, v80
.LBB34_204:
	s_or_b32 exec_lo, exec_lo, s3
.LBB34_205:
	s_and_not1_saveexec_b32 s2, s2
	s_cbranch_execz .LBB34_207
; %bb.206:
	v_mov_b32_e32 v88, 9
	ds_store_2addr_b64 v82, v[36:37], v[38:39] offset0:20 offset1:21
	ds_store_2addr_b64 v82, v[20:21], v[22:23] offset0:22 offset1:23
	ds_store_2addr_b64 v82, v[32:33], v[34:35] offset0:24 offset1:25
	ds_store_2addr_b64 v82, v[16:17], v[18:19] offset0:26 offset1:27
	ds_store_2addr_b64 v82, v[12:13], v[14:15] offset0:28 offset1:29
	ds_store_2addr_b64 v82, v[8:9], v[10:11] offset0:30 offset1:31
	ds_store_2addr_b64 v82, v[4:5], v[6:7] offset0:32 offset1:33
	ds_store_2addr_b64 v82, v[0:1], v[2:3] offset0:34 offset1:35
.LBB34_207:
	s_or_b32 exec_lo, exec_lo, s2
	s_delay_alu instid0(SALU_CYCLE_1)
	s_mov_b32 s2, exec_lo
	s_waitcnt lgkmcnt(0)
	s_waitcnt_vscnt null, 0x0
	s_barrier
	buffer_gl0_inv
	v_cmpx_lt_i32_e32 9, v88
	s_cbranch_execz .LBB34_209
; %bb.208:
	v_mul_f64 v[80:81], v[72:73], v[26:27]
	v_mul_f64 v[26:27], v[74:75], v[26:27]
	ds_load_2addr_b64 v[89:92], v82 offset0:20 offset1:21
	ds_load_2addr_b64 v[93:96], v82 offset0:22 offset1:23
	;; [unrolled: 1-line block ×8, first 2 shown]
	v_fma_f64 v[74:75], v[74:75], v[24:25], v[80:81]
	v_fma_f64 v[24:25], v[72:73], v[24:25], -v[26:27]
	s_waitcnt lgkmcnt(7)
	s_delay_alu instid0(VALU_DEP_2)
	v_mul_f64 v[26:27], v[91:92], v[74:75]
	v_mul_f64 v[72:73], v[89:90], v[74:75]
	s_waitcnt lgkmcnt(6)
	v_mul_f64 v[80:81], v[95:96], v[74:75]
	v_mul_f64 v[121:122], v[93:94], v[74:75]
	s_waitcnt lgkmcnt(5)
	;; [unrolled: 3-line block ×7, first 2 shown]
	v_mul_f64 v[143:144], v[119:120], v[74:75]
	v_mul_f64 v[145:146], v[117:118], v[74:75]
	v_fma_f64 v[26:27], v[89:90], v[24:25], -v[26:27]
	v_fma_f64 v[72:73], v[91:92], v[24:25], v[72:73]
	v_fma_f64 v[80:81], v[93:94], v[24:25], -v[80:81]
	v_fma_f64 v[89:90], v[95:96], v[24:25], v[121:122]
	v_fma_f64 v[91:92], v[97:98], v[24:25], -v[123:124]
	v_fma_f64 v[93:94], v[99:100], v[24:25], v[125:126]
	v_fma_f64 v[95:96], v[101:102], v[24:25], -v[127:128]
	v_fma_f64 v[97:98], v[103:104], v[24:25], v[129:130]
	v_fma_f64 v[99:100], v[105:106], v[24:25], -v[131:132]
	v_fma_f64 v[101:102], v[107:108], v[24:25], v[133:134]
	v_fma_f64 v[103:104], v[109:110], v[24:25], -v[135:136]
	v_fma_f64 v[105:106], v[111:112], v[24:25], v[137:138]
	v_fma_f64 v[107:108], v[113:114], v[24:25], -v[139:140]
	v_fma_f64 v[109:110], v[115:116], v[24:25], v[141:142]
	v_fma_f64 v[111:112], v[117:118], v[24:25], -v[143:144]
	v_fma_f64 v[113:114], v[119:120], v[24:25], v[145:146]
	v_add_f64 v[36:37], v[36:37], -v[26:27]
	v_add_f64 v[38:39], v[38:39], -v[72:73]
	v_add_f64 v[20:21], v[20:21], -v[80:81]
	v_add_f64 v[22:23], v[22:23], -v[89:90]
	v_add_f64 v[32:33], v[32:33], -v[91:92]
	v_add_f64 v[34:35], v[34:35], -v[93:94]
	v_add_f64 v[16:17], v[16:17], -v[95:96]
	v_add_f64 v[18:19], v[18:19], -v[97:98]
	v_add_f64 v[12:13], v[12:13], -v[99:100]
	v_add_f64 v[14:15], v[14:15], -v[101:102]
	v_add_f64 v[8:9], v[8:9], -v[103:104]
	v_add_f64 v[10:11], v[10:11], -v[105:106]
	v_add_f64 v[4:5], v[4:5], -v[107:108]
	v_add_f64 v[6:7], v[6:7], -v[109:110]
	v_add_f64 v[0:1], v[0:1], -v[111:112]
	v_add_f64 v[2:3], v[2:3], -v[113:114]
	v_dual_mov_b32 v26, v74 :: v_dual_mov_b32 v27, v75
.LBB34_209:
	s_or_b32 exec_lo, exec_lo, s2
	v_lshl_add_u32 v72, v88, 4, v82
	s_barrier
	buffer_gl0_inv
	v_mov_b32_e32 v80, 10
	ds_store_2addr_b64 v72, v[36:37], v[38:39] offset1:1
	s_waitcnt lgkmcnt(0)
	s_barrier
	buffer_gl0_inv
	ds_load_2addr_b64 v[72:75], v82 offset0:20 offset1:21
	s_cmp_lt_i32 s5, 12
	s_cbranch_scc1 .LBB34_212
; %bb.210:
	v_add3_u32 v81, v87, 0, 0xb0
	v_mov_b32_e32 v80, 10
	s_mov_b32 s6, 11
	s_set_inst_prefetch_distance 0x1
	.p2align	6
.LBB34_211:                             ; =>This Inner Loop Header: Depth=1
	ds_load_2addr_b64 v[89:92], v81 offset1:1
	s_waitcnt lgkmcnt(1)
	v_cmp_gt_f64_e32 vcc_lo, 0, v[72:73]
	v_xor_b32_e32 v93, 0x80000000, v73
	v_cmp_gt_f64_e64 s2, 0, v[74:75]
	v_xor_b32_e32 v95, 0x80000000, v75
	v_add_nc_u32_e32 v81, 16, v81
	s_waitcnt lgkmcnt(0)
	v_cmp_gt_f64_e64 s3, 0, v[89:90]
	v_mov_b32_e32 v97, v89
	v_dual_mov_b32 v99, v91 :: v_dual_cndmask_b32 v94, v73, v93
	v_xor_b32_e32 v93, 0x80000000, v90
	v_cndmask_b32_e64 v96, v75, v95, s2
	v_xor_b32_e32 v95, 0x80000000, v92
	s_delay_alu instid0(VALU_DEP_3) | instskip(SKIP_2) | instid1(VALU_DEP_2)
	v_cndmask_b32_e64 v98, v90, v93, s3
	v_cmp_gt_f64_e64 s3, 0, v[91:92]
	v_cndmask_b32_e32 v93, v72, v72, vcc_lo
	v_cndmask_b32_e64 v100, v92, v95, s3
	v_cndmask_b32_e64 v95, v74, v74, s2
	s_delay_alu instid0(VALU_DEP_2) | instskip(NEXT) | instid1(VALU_DEP_2)
	v_add_f64 v[97:98], v[97:98], v[99:100]
	v_add_f64 v[93:94], v[93:94], v[95:96]
	s_delay_alu instid0(VALU_DEP_1) | instskip(SKIP_4) | instid1(SALU_CYCLE_1)
	v_cmp_lt_f64_e32 vcc_lo, v[93:94], v[97:98]
	v_dual_cndmask_b32 v74, v74, v91 :: v_dual_cndmask_b32 v73, v73, v90
	v_dual_cndmask_b32 v72, v72, v89 :: v_dual_cndmask_b32 v75, v75, v92
	v_cndmask_b32_e64 v80, v80, s6, vcc_lo
	s_add_i32 s6, s6, 1
	s_cmp_lg_u32 s5, s6
	s_cbranch_scc1 .LBB34_211
.LBB34_212:
	s_set_inst_prefetch_distance 0x2
	s_waitcnt lgkmcnt(0)
	v_cmp_eq_f64_e32 vcc_lo, 0, v[72:73]
	v_cmp_eq_f64_e64 s2, 0, v[74:75]
	s_delay_alu instid0(VALU_DEP_1) | instskip(NEXT) | instid1(SALU_CYCLE_1)
	s_and_b32 s2, vcc_lo, s2
	s_and_saveexec_b32 s3, s2
	s_delay_alu instid0(SALU_CYCLE_1)
	s_xor_b32 s2, exec_lo, s3
; %bb.213:
	v_cmp_ne_u32_e32 vcc_lo, 0, v86
	v_cndmask_b32_e32 v86, 11, v86, vcc_lo
; %bb.214:
	s_and_not1_saveexec_b32 s3, s2
	s_cbranch_execz .LBB34_220
; %bb.215:
	v_cmp_gt_f64_e32 vcc_lo, 0, v[72:73]
	v_cmp_gt_f64_e64 s2, 0, v[74:75]
	v_xor_b32_e32 v81, 0x80000000, v73
	v_xor_b32_e32 v89, 0x80000000, v75
	s_delay_alu instid0(VALU_DEP_2) | instskip(NEXT) | instid1(VALU_DEP_2)
	v_cndmask_b32_e32 v90, v73, v81, vcc_lo
	v_cndmask_b32_e64 v92, v75, v89, s2
	v_cndmask_b32_e32 v89, v72, v72, vcc_lo
	v_cndmask_b32_e64 v91, v74, v74, s2
	s_mov_b32 s2, exec_lo
	s_delay_alu instid0(VALU_DEP_1)
	v_cmpx_ngt_f64_e32 v[89:90], v[91:92]
	s_xor_b32 s2, exec_lo, s2
	s_cbranch_execz .LBB34_217
; %bb.216:
	v_div_scale_f64 v[89:90], null, v[74:75], v[74:75], v[72:73]
	v_div_scale_f64 v[95:96], vcc_lo, v[72:73], v[74:75], v[72:73]
	s_delay_alu instid0(VALU_DEP_2) | instskip(SKIP_2) | instid1(VALU_DEP_1)
	v_rcp_f64_e32 v[91:92], v[89:90]
	s_waitcnt_depctr 0xfff
	v_fma_f64 v[93:94], -v[89:90], v[91:92], 1.0
	v_fma_f64 v[91:92], v[91:92], v[93:94], v[91:92]
	s_delay_alu instid0(VALU_DEP_1) | instskip(NEXT) | instid1(VALU_DEP_1)
	v_fma_f64 v[93:94], -v[89:90], v[91:92], 1.0
	v_fma_f64 v[91:92], v[91:92], v[93:94], v[91:92]
	s_delay_alu instid0(VALU_DEP_1) | instskip(NEXT) | instid1(VALU_DEP_1)
	v_mul_f64 v[93:94], v[95:96], v[91:92]
	v_fma_f64 v[89:90], -v[89:90], v[93:94], v[95:96]
	s_delay_alu instid0(VALU_DEP_1) | instskip(NEXT) | instid1(VALU_DEP_1)
	v_div_fmas_f64 v[89:90], v[89:90], v[91:92], v[93:94]
	v_div_fixup_f64 v[89:90], v[89:90], v[74:75], v[72:73]
	s_delay_alu instid0(VALU_DEP_1) | instskip(NEXT) | instid1(VALU_DEP_1)
	v_fma_f64 v[72:73], v[72:73], v[89:90], v[74:75]
	v_div_scale_f64 v[74:75], null, v[72:73], v[72:73], 1.0
	s_delay_alu instid0(VALU_DEP_1) | instskip(SKIP_2) | instid1(VALU_DEP_1)
	v_rcp_f64_e32 v[91:92], v[74:75]
	s_waitcnt_depctr 0xfff
	v_fma_f64 v[93:94], -v[74:75], v[91:92], 1.0
	v_fma_f64 v[91:92], v[91:92], v[93:94], v[91:92]
	s_delay_alu instid0(VALU_DEP_1) | instskip(NEXT) | instid1(VALU_DEP_1)
	v_fma_f64 v[93:94], -v[74:75], v[91:92], 1.0
	v_fma_f64 v[91:92], v[91:92], v[93:94], v[91:92]
	v_div_scale_f64 v[93:94], vcc_lo, 1.0, v[72:73], 1.0
	s_delay_alu instid0(VALU_DEP_1) | instskip(NEXT) | instid1(VALU_DEP_1)
	v_mul_f64 v[95:96], v[93:94], v[91:92]
	v_fma_f64 v[74:75], -v[74:75], v[95:96], v[93:94]
	s_delay_alu instid0(VALU_DEP_1) | instskip(NEXT) | instid1(VALU_DEP_1)
	v_div_fmas_f64 v[74:75], v[74:75], v[91:92], v[95:96]
	v_div_fixup_f64 v[74:75], v[74:75], v[72:73], 1.0
	s_delay_alu instid0(VALU_DEP_1)
	v_mul_f64 v[72:73], v[89:90], v[74:75]
	v_xor_b32_e32 v75, 0x80000000, v75
.LBB34_217:
	s_and_not1_saveexec_b32 s2, s2
	s_cbranch_execz .LBB34_219
; %bb.218:
	s_delay_alu instid0(VALU_DEP_1) | instskip(SKIP_1) | instid1(VALU_DEP_2)
	v_div_scale_f64 v[89:90], null, v[72:73], v[72:73], v[74:75]
	v_div_scale_f64 v[95:96], vcc_lo, v[74:75], v[72:73], v[74:75]
	v_rcp_f64_e32 v[91:92], v[89:90]
	s_waitcnt_depctr 0xfff
	v_fma_f64 v[93:94], -v[89:90], v[91:92], 1.0
	s_delay_alu instid0(VALU_DEP_1) | instskip(NEXT) | instid1(VALU_DEP_1)
	v_fma_f64 v[91:92], v[91:92], v[93:94], v[91:92]
	v_fma_f64 v[93:94], -v[89:90], v[91:92], 1.0
	s_delay_alu instid0(VALU_DEP_1) | instskip(NEXT) | instid1(VALU_DEP_1)
	v_fma_f64 v[91:92], v[91:92], v[93:94], v[91:92]
	v_mul_f64 v[93:94], v[95:96], v[91:92]
	s_delay_alu instid0(VALU_DEP_1) | instskip(NEXT) | instid1(VALU_DEP_1)
	v_fma_f64 v[89:90], -v[89:90], v[93:94], v[95:96]
	v_div_fmas_f64 v[89:90], v[89:90], v[91:92], v[93:94]
	s_delay_alu instid0(VALU_DEP_1) | instskip(NEXT) | instid1(VALU_DEP_1)
	v_div_fixup_f64 v[89:90], v[89:90], v[72:73], v[74:75]
	v_fma_f64 v[72:73], v[74:75], v[89:90], v[72:73]
	s_delay_alu instid0(VALU_DEP_1) | instskip(NEXT) | instid1(VALU_DEP_1)
	v_div_scale_f64 v[74:75], null, v[72:73], v[72:73], 1.0
	v_rcp_f64_e32 v[91:92], v[74:75]
	s_waitcnt_depctr 0xfff
	v_fma_f64 v[93:94], -v[74:75], v[91:92], 1.0
	s_delay_alu instid0(VALU_DEP_1) | instskip(NEXT) | instid1(VALU_DEP_1)
	v_fma_f64 v[91:92], v[91:92], v[93:94], v[91:92]
	v_fma_f64 v[93:94], -v[74:75], v[91:92], 1.0
	s_delay_alu instid0(VALU_DEP_1) | instskip(SKIP_1) | instid1(VALU_DEP_1)
	v_fma_f64 v[91:92], v[91:92], v[93:94], v[91:92]
	v_div_scale_f64 v[93:94], vcc_lo, 1.0, v[72:73], 1.0
	v_mul_f64 v[95:96], v[93:94], v[91:92]
	s_delay_alu instid0(VALU_DEP_1) | instskip(NEXT) | instid1(VALU_DEP_1)
	v_fma_f64 v[74:75], -v[74:75], v[95:96], v[93:94]
	v_div_fmas_f64 v[74:75], v[74:75], v[91:92], v[95:96]
	s_delay_alu instid0(VALU_DEP_1) | instskip(NEXT) | instid1(VALU_DEP_1)
	v_div_fixup_f64 v[72:73], v[74:75], v[72:73], 1.0
	v_mul_f64 v[74:75], v[89:90], -v[72:73]
.LBB34_219:
	s_or_b32 exec_lo, exec_lo, s2
.LBB34_220:
	s_delay_alu instid0(SALU_CYCLE_1) | instskip(NEXT) | instid1(SALU_CYCLE_1)
	s_or_b32 exec_lo, exec_lo, s3
	s_mov_b32 s2, exec_lo
	v_cmpx_ne_u32_e64 v88, v80
	s_xor_b32 s2, exec_lo, s2
	s_cbranch_execz .LBB34_226
; %bb.221:
	s_mov_b32 s3, exec_lo
	v_cmpx_eq_u32_e32 10, v88
	s_cbranch_execz .LBB34_225
; %bb.222:
	v_cmp_ne_u32_e32 vcc_lo, 10, v80
	s_xor_b32 s6, s4, -1
	s_delay_alu instid0(SALU_CYCLE_1) | instskip(NEXT) | instid1(SALU_CYCLE_1)
	s_and_b32 s7, s6, vcc_lo
	s_and_saveexec_b32 s6, s7
	s_cbranch_execz .LBB34_224
; %bb.223:
	v_ashrrev_i32_e32 v81, 31, v80
	s_delay_alu instid0(VALU_DEP_1) | instskip(NEXT) | instid1(VALU_DEP_1)
	v_lshlrev_b64 v[88:89], 2, v[80:81]
	v_add_co_u32 v88, vcc_lo, v78, v88
	s_delay_alu instid0(VALU_DEP_2)
	v_add_co_ci_u32_e32 v89, vcc_lo, v79, v89, vcc_lo
	s_clause 0x1
	flat_load_b32 v81, v[88:89]
	flat_load_b32 v85, v[78:79] offset:40
	s_waitcnt vmcnt(1) lgkmcnt(1)
	flat_store_b32 v[78:79], v81 offset:40
	s_waitcnt vmcnt(0) lgkmcnt(1)
	flat_store_b32 v[88:89], v85
.LBB34_224:
	s_or_b32 exec_lo, exec_lo, s6
	v_mov_b32_e32 v88, v80
	v_mov_b32_e32 v85, v80
.LBB34_225:
	s_or_b32 exec_lo, exec_lo, s3
.LBB34_226:
	s_and_not1_saveexec_b32 s2, s2
	s_cbranch_execz .LBB34_228
; %bb.227:
	v_mov_b32_e32 v88, 10
	ds_store_2addr_b64 v82, v[20:21], v[22:23] offset0:22 offset1:23
	ds_store_2addr_b64 v82, v[32:33], v[34:35] offset0:24 offset1:25
	ds_store_2addr_b64 v82, v[16:17], v[18:19] offset0:26 offset1:27
	ds_store_2addr_b64 v82, v[12:13], v[14:15] offset0:28 offset1:29
	ds_store_2addr_b64 v82, v[8:9], v[10:11] offset0:30 offset1:31
	ds_store_2addr_b64 v82, v[4:5], v[6:7] offset0:32 offset1:33
	ds_store_2addr_b64 v82, v[0:1], v[2:3] offset0:34 offset1:35
.LBB34_228:
	s_or_b32 exec_lo, exec_lo, s2
	s_delay_alu instid0(SALU_CYCLE_1)
	s_mov_b32 s2, exec_lo
	s_waitcnt lgkmcnt(0)
	s_waitcnt_vscnt null, 0x0
	s_barrier
	buffer_gl0_inv
	v_cmpx_lt_i32_e32 10, v88
	s_cbranch_execz .LBB34_230
; %bb.229:
	v_mul_f64 v[80:81], v[72:73], v[38:39]
	v_mul_f64 v[38:39], v[74:75], v[38:39]
	ds_load_2addr_b64 v[89:92], v82 offset0:22 offset1:23
	ds_load_2addr_b64 v[93:96], v82 offset0:24 offset1:25
	;; [unrolled: 1-line block ×7, first 2 shown]
	v_fma_f64 v[74:75], v[74:75], v[36:37], v[80:81]
	v_fma_f64 v[36:37], v[72:73], v[36:37], -v[38:39]
	s_waitcnt lgkmcnt(6)
	s_delay_alu instid0(VALU_DEP_2)
	v_mul_f64 v[38:39], v[91:92], v[74:75]
	v_mul_f64 v[72:73], v[89:90], v[74:75]
	s_waitcnt lgkmcnt(5)
	v_mul_f64 v[80:81], v[95:96], v[74:75]
	v_mul_f64 v[117:118], v[93:94], v[74:75]
	s_waitcnt lgkmcnt(4)
	v_mul_f64 v[119:120], v[99:100], v[74:75]
	v_mul_f64 v[121:122], v[97:98], v[74:75]
	s_waitcnt lgkmcnt(3)
	v_mul_f64 v[123:124], v[103:104], v[74:75]
	v_mul_f64 v[125:126], v[101:102], v[74:75]
	s_waitcnt lgkmcnt(2)
	v_mul_f64 v[127:128], v[107:108], v[74:75]
	v_mul_f64 v[129:130], v[105:106], v[74:75]
	s_waitcnt lgkmcnt(1)
	v_mul_f64 v[131:132], v[111:112], v[74:75]
	v_mul_f64 v[133:134], v[109:110], v[74:75]
	s_waitcnt lgkmcnt(0)
	v_mul_f64 v[135:136], v[115:116], v[74:75]
	v_mul_f64 v[137:138], v[113:114], v[74:75]
	v_fma_f64 v[38:39], v[89:90], v[36:37], -v[38:39]
	v_fma_f64 v[72:73], v[91:92], v[36:37], v[72:73]
	v_fma_f64 v[80:81], v[93:94], v[36:37], -v[80:81]
	v_fma_f64 v[89:90], v[95:96], v[36:37], v[117:118]
	;; [unrolled: 2-line block ×7, first 2 shown]
	v_add_f64 v[20:21], v[20:21], -v[38:39]
	v_add_f64 v[22:23], v[22:23], -v[72:73]
	;; [unrolled: 1-line block ×14, first 2 shown]
	v_dual_mov_b32 v38, v74 :: v_dual_mov_b32 v39, v75
.LBB34_230:
	s_or_b32 exec_lo, exec_lo, s2
	v_lshl_add_u32 v72, v88, 4, v82
	s_barrier
	buffer_gl0_inv
	v_mov_b32_e32 v80, 11
	ds_store_2addr_b64 v72, v[20:21], v[22:23] offset1:1
	s_waitcnt lgkmcnt(0)
	s_barrier
	buffer_gl0_inv
	ds_load_2addr_b64 v[72:75], v82 offset0:22 offset1:23
	s_cmp_lt_i32 s5, 13
	s_cbranch_scc1 .LBB34_233
; %bb.231:
	v_add3_u32 v81, v87, 0, 0xc0
	v_mov_b32_e32 v80, 11
	s_mov_b32 s6, 12
	s_set_inst_prefetch_distance 0x1
	.p2align	6
.LBB34_232:                             ; =>This Inner Loop Header: Depth=1
	ds_load_2addr_b64 v[89:92], v81 offset1:1
	s_waitcnt lgkmcnt(1)
	v_cmp_gt_f64_e32 vcc_lo, 0, v[72:73]
	v_xor_b32_e32 v93, 0x80000000, v73
	v_cmp_gt_f64_e64 s2, 0, v[74:75]
	v_xor_b32_e32 v95, 0x80000000, v75
	v_add_nc_u32_e32 v81, 16, v81
	s_waitcnt lgkmcnt(0)
	v_cmp_gt_f64_e64 s3, 0, v[89:90]
	v_mov_b32_e32 v97, v89
	v_dual_mov_b32 v99, v91 :: v_dual_cndmask_b32 v94, v73, v93
	v_xor_b32_e32 v93, 0x80000000, v90
	v_cndmask_b32_e64 v96, v75, v95, s2
	v_xor_b32_e32 v95, 0x80000000, v92
	s_delay_alu instid0(VALU_DEP_3) | instskip(SKIP_2) | instid1(VALU_DEP_2)
	v_cndmask_b32_e64 v98, v90, v93, s3
	v_cmp_gt_f64_e64 s3, 0, v[91:92]
	v_cndmask_b32_e32 v93, v72, v72, vcc_lo
	v_cndmask_b32_e64 v100, v92, v95, s3
	v_cndmask_b32_e64 v95, v74, v74, s2
	s_delay_alu instid0(VALU_DEP_2) | instskip(NEXT) | instid1(VALU_DEP_2)
	v_add_f64 v[97:98], v[97:98], v[99:100]
	v_add_f64 v[93:94], v[93:94], v[95:96]
	s_delay_alu instid0(VALU_DEP_1) | instskip(SKIP_4) | instid1(SALU_CYCLE_1)
	v_cmp_lt_f64_e32 vcc_lo, v[93:94], v[97:98]
	v_dual_cndmask_b32 v74, v74, v91 :: v_dual_cndmask_b32 v73, v73, v90
	v_dual_cndmask_b32 v72, v72, v89 :: v_dual_cndmask_b32 v75, v75, v92
	v_cndmask_b32_e64 v80, v80, s6, vcc_lo
	s_add_i32 s6, s6, 1
	s_cmp_lg_u32 s5, s6
	s_cbranch_scc1 .LBB34_232
.LBB34_233:
	s_set_inst_prefetch_distance 0x2
	s_waitcnt lgkmcnt(0)
	v_cmp_eq_f64_e32 vcc_lo, 0, v[72:73]
	v_cmp_eq_f64_e64 s2, 0, v[74:75]
	s_delay_alu instid0(VALU_DEP_1) | instskip(NEXT) | instid1(SALU_CYCLE_1)
	s_and_b32 s2, vcc_lo, s2
	s_and_saveexec_b32 s3, s2
	s_delay_alu instid0(SALU_CYCLE_1)
	s_xor_b32 s2, exec_lo, s3
; %bb.234:
	v_cmp_ne_u32_e32 vcc_lo, 0, v86
	v_cndmask_b32_e32 v86, 12, v86, vcc_lo
; %bb.235:
	s_and_not1_saveexec_b32 s3, s2
	s_cbranch_execz .LBB34_241
; %bb.236:
	v_cmp_gt_f64_e32 vcc_lo, 0, v[72:73]
	v_cmp_gt_f64_e64 s2, 0, v[74:75]
	v_xor_b32_e32 v81, 0x80000000, v73
	v_xor_b32_e32 v89, 0x80000000, v75
	s_delay_alu instid0(VALU_DEP_2) | instskip(NEXT) | instid1(VALU_DEP_2)
	v_cndmask_b32_e32 v90, v73, v81, vcc_lo
	v_cndmask_b32_e64 v92, v75, v89, s2
	v_cndmask_b32_e32 v89, v72, v72, vcc_lo
	v_cndmask_b32_e64 v91, v74, v74, s2
	s_mov_b32 s2, exec_lo
	s_delay_alu instid0(VALU_DEP_1)
	v_cmpx_ngt_f64_e32 v[89:90], v[91:92]
	s_xor_b32 s2, exec_lo, s2
	s_cbranch_execz .LBB34_238
; %bb.237:
	v_div_scale_f64 v[89:90], null, v[74:75], v[74:75], v[72:73]
	v_div_scale_f64 v[95:96], vcc_lo, v[72:73], v[74:75], v[72:73]
	s_delay_alu instid0(VALU_DEP_2) | instskip(SKIP_2) | instid1(VALU_DEP_1)
	v_rcp_f64_e32 v[91:92], v[89:90]
	s_waitcnt_depctr 0xfff
	v_fma_f64 v[93:94], -v[89:90], v[91:92], 1.0
	v_fma_f64 v[91:92], v[91:92], v[93:94], v[91:92]
	s_delay_alu instid0(VALU_DEP_1) | instskip(NEXT) | instid1(VALU_DEP_1)
	v_fma_f64 v[93:94], -v[89:90], v[91:92], 1.0
	v_fma_f64 v[91:92], v[91:92], v[93:94], v[91:92]
	s_delay_alu instid0(VALU_DEP_1) | instskip(NEXT) | instid1(VALU_DEP_1)
	v_mul_f64 v[93:94], v[95:96], v[91:92]
	v_fma_f64 v[89:90], -v[89:90], v[93:94], v[95:96]
	s_delay_alu instid0(VALU_DEP_1) | instskip(NEXT) | instid1(VALU_DEP_1)
	v_div_fmas_f64 v[89:90], v[89:90], v[91:92], v[93:94]
	v_div_fixup_f64 v[89:90], v[89:90], v[74:75], v[72:73]
	s_delay_alu instid0(VALU_DEP_1) | instskip(NEXT) | instid1(VALU_DEP_1)
	v_fma_f64 v[72:73], v[72:73], v[89:90], v[74:75]
	v_div_scale_f64 v[74:75], null, v[72:73], v[72:73], 1.0
	s_delay_alu instid0(VALU_DEP_1) | instskip(SKIP_2) | instid1(VALU_DEP_1)
	v_rcp_f64_e32 v[91:92], v[74:75]
	s_waitcnt_depctr 0xfff
	v_fma_f64 v[93:94], -v[74:75], v[91:92], 1.0
	v_fma_f64 v[91:92], v[91:92], v[93:94], v[91:92]
	s_delay_alu instid0(VALU_DEP_1) | instskip(NEXT) | instid1(VALU_DEP_1)
	v_fma_f64 v[93:94], -v[74:75], v[91:92], 1.0
	v_fma_f64 v[91:92], v[91:92], v[93:94], v[91:92]
	v_div_scale_f64 v[93:94], vcc_lo, 1.0, v[72:73], 1.0
	s_delay_alu instid0(VALU_DEP_1) | instskip(NEXT) | instid1(VALU_DEP_1)
	v_mul_f64 v[95:96], v[93:94], v[91:92]
	v_fma_f64 v[74:75], -v[74:75], v[95:96], v[93:94]
	s_delay_alu instid0(VALU_DEP_1) | instskip(NEXT) | instid1(VALU_DEP_1)
	v_div_fmas_f64 v[74:75], v[74:75], v[91:92], v[95:96]
	v_div_fixup_f64 v[74:75], v[74:75], v[72:73], 1.0
	s_delay_alu instid0(VALU_DEP_1)
	v_mul_f64 v[72:73], v[89:90], v[74:75]
	v_xor_b32_e32 v75, 0x80000000, v75
.LBB34_238:
	s_and_not1_saveexec_b32 s2, s2
	s_cbranch_execz .LBB34_240
; %bb.239:
	s_delay_alu instid0(VALU_DEP_1) | instskip(SKIP_1) | instid1(VALU_DEP_2)
	v_div_scale_f64 v[89:90], null, v[72:73], v[72:73], v[74:75]
	v_div_scale_f64 v[95:96], vcc_lo, v[74:75], v[72:73], v[74:75]
	v_rcp_f64_e32 v[91:92], v[89:90]
	s_waitcnt_depctr 0xfff
	v_fma_f64 v[93:94], -v[89:90], v[91:92], 1.0
	s_delay_alu instid0(VALU_DEP_1) | instskip(NEXT) | instid1(VALU_DEP_1)
	v_fma_f64 v[91:92], v[91:92], v[93:94], v[91:92]
	v_fma_f64 v[93:94], -v[89:90], v[91:92], 1.0
	s_delay_alu instid0(VALU_DEP_1) | instskip(NEXT) | instid1(VALU_DEP_1)
	v_fma_f64 v[91:92], v[91:92], v[93:94], v[91:92]
	v_mul_f64 v[93:94], v[95:96], v[91:92]
	s_delay_alu instid0(VALU_DEP_1) | instskip(NEXT) | instid1(VALU_DEP_1)
	v_fma_f64 v[89:90], -v[89:90], v[93:94], v[95:96]
	v_div_fmas_f64 v[89:90], v[89:90], v[91:92], v[93:94]
	s_delay_alu instid0(VALU_DEP_1) | instskip(NEXT) | instid1(VALU_DEP_1)
	v_div_fixup_f64 v[89:90], v[89:90], v[72:73], v[74:75]
	v_fma_f64 v[72:73], v[74:75], v[89:90], v[72:73]
	s_delay_alu instid0(VALU_DEP_1) | instskip(NEXT) | instid1(VALU_DEP_1)
	v_div_scale_f64 v[74:75], null, v[72:73], v[72:73], 1.0
	v_rcp_f64_e32 v[91:92], v[74:75]
	s_waitcnt_depctr 0xfff
	v_fma_f64 v[93:94], -v[74:75], v[91:92], 1.0
	s_delay_alu instid0(VALU_DEP_1) | instskip(NEXT) | instid1(VALU_DEP_1)
	v_fma_f64 v[91:92], v[91:92], v[93:94], v[91:92]
	v_fma_f64 v[93:94], -v[74:75], v[91:92], 1.0
	s_delay_alu instid0(VALU_DEP_1) | instskip(SKIP_1) | instid1(VALU_DEP_1)
	v_fma_f64 v[91:92], v[91:92], v[93:94], v[91:92]
	v_div_scale_f64 v[93:94], vcc_lo, 1.0, v[72:73], 1.0
	v_mul_f64 v[95:96], v[93:94], v[91:92]
	s_delay_alu instid0(VALU_DEP_1) | instskip(NEXT) | instid1(VALU_DEP_1)
	v_fma_f64 v[74:75], -v[74:75], v[95:96], v[93:94]
	v_div_fmas_f64 v[74:75], v[74:75], v[91:92], v[95:96]
	s_delay_alu instid0(VALU_DEP_1) | instskip(NEXT) | instid1(VALU_DEP_1)
	v_div_fixup_f64 v[72:73], v[74:75], v[72:73], 1.0
	v_mul_f64 v[74:75], v[89:90], -v[72:73]
.LBB34_240:
	s_or_b32 exec_lo, exec_lo, s2
.LBB34_241:
	s_delay_alu instid0(SALU_CYCLE_1) | instskip(NEXT) | instid1(SALU_CYCLE_1)
	s_or_b32 exec_lo, exec_lo, s3
	s_mov_b32 s2, exec_lo
	v_cmpx_ne_u32_e64 v88, v80
	s_xor_b32 s2, exec_lo, s2
	s_cbranch_execz .LBB34_247
; %bb.242:
	s_mov_b32 s3, exec_lo
	v_cmpx_eq_u32_e32 11, v88
	s_cbranch_execz .LBB34_246
; %bb.243:
	v_cmp_ne_u32_e32 vcc_lo, 11, v80
	s_xor_b32 s6, s4, -1
	s_delay_alu instid0(SALU_CYCLE_1) | instskip(NEXT) | instid1(SALU_CYCLE_1)
	s_and_b32 s7, s6, vcc_lo
	s_and_saveexec_b32 s6, s7
	s_cbranch_execz .LBB34_245
; %bb.244:
	v_ashrrev_i32_e32 v81, 31, v80
	s_delay_alu instid0(VALU_DEP_1) | instskip(NEXT) | instid1(VALU_DEP_1)
	v_lshlrev_b64 v[88:89], 2, v[80:81]
	v_add_co_u32 v88, vcc_lo, v78, v88
	s_delay_alu instid0(VALU_DEP_2)
	v_add_co_ci_u32_e32 v89, vcc_lo, v79, v89, vcc_lo
	s_clause 0x1
	flat_load_b32 v81, v[88:89]
	flat_load_b32 v85, v[78:79] offset:44
	s_waitcnt vmcnt(1) lgkmcnt(1)
	flat_store_b32 v[78:79], v81 offset:44
	s_waitcnt vmcnt(0) lgkmcnt(1)
	flat_store_b32 v[88:89], v85
.LBB34_245:
	s_or_b32 exec_lo, exec_lo, s6
	v_mov_b32_e32 v88, v80
	v_mov_b32_e32 v85, v80
.LBB34_246:
	s_or_b32 exec_lo, exec_lo, s3
.LBB34_247:
	s_and_not1_saveexec_b32 s2, s2
	s_cbranch_execz .LBB34_249
; %bb.248:
	v_mov_b32_e32 v88, 11
	ds_store_2addr_b64 v82, v[32:33], v[34:35] offset0:24 offset1:25
	ds_store_2addr_b64 v82, v[16:17], v[18:19] offset0:26 offset1:27
	;; [unrolled: 1-line block ×6, first 2 shown]
.LBB34_249:
	s_or_b32 exec_lo, exec_lo, s2
	s_delay_alu instid0(SALU_CYCLE_1)
	s_mov_b32 s2, exec_lo
	s_waitcnt lgkmcnt(0)
	s_waitcnt_vscnt null, 0x0
	s_barrier
	buffer_gl0_inv
	v_cmpx_lt_i32_e32 11, v88
	s_cbranch_execz .LBB34_251
; %bb.250:
	v_mul_f64 v[80:81], v[72:73], v[22:23]
	v_mul_f64 v[22:23], v[74:75], v[22:23]
	ds_load_2addr_b64 v[89:92], v82 offset0:24 offset1:25
	ds_load_2addr_b64 v[93:96], v82 offset0:26 offset1:27
	;; [unrolled: 1-line block ×6, first 2 shown]
	v_fma_f64 v[74:75], v[74:75], v[20:21], v[80:81]
	v_fma_f64 v[20:21], v[72:73], v[20:21], -v[22:23]
	s_waitcnt lgkmcnt(5)
	s_delay_alu instid0(VALU_DEP_2)
	v_mul_f64 v[22:23], v[91:92], v[74:75]
	v_mul_f64 v[72:73], v[89:90], v[74:75]
	s_waitcnt lgkmcnt(4)
	v_mul_f64 v[80:81], v[95:96], v[74:75]
	v_mul_f64 v[113:114], v[93:94], v[74:75]
	s_waitcnt lgkmcnt(3)
	;; [unrolled: 3-line block ×5, first 2 shown]
	v_mul_f64 v[127:128], v[111:112], v[74:75]
	v_mul_f64 v[129:130], v[109:110], v[74:75]
	v_fma_f64 v[22:23], v[89:90], v[20:21], -v[22:23]
	v_fma_f64 v[72:73], v[91:92], v[20:21], v[72:73]
	v_fma_f64 v[80:81], v[93:94], v[20:21], -v[80:81]
	v_fma_f64 v[89:90], v[95:96], v[20:21], v[113:114]
	;; [unrolled: 2-line block ×6, first 2 shown]
	v_add_f64 v[32:33], v[32:33], -v[22:23]
	v_add_f64 v[34:35], v[34:35], -v[72:73]
	;; [unrolled: 1-line block ×12, first 2 shown]
	v_dual_mov_b32 v22, v74 :: v_dual_mov_b32 v23, v75
.LBB34_251:
	s_or_b32 exec_lo, exec_lo, s2
	v_lshl_add_u32 v72, v88, 4, v82
	s_barrier
	buffer_gl0_inv
	v_mov_b32_e32 v80, 12
	ds_store_2addr_b64 v72, v[32:33], v[34:35] offset1:1
	s_waitcnt lgkmcnt(0)
	s_barrier
	buffer_gl0_inv
	ds_load_2addr_b64 v[72:75], v82 offset0:24 offset1:25
	s_cmp_lt_i32 s5, 14
	s_cbranch_scc1 .LBB34_254
; %bb.252:
	v_add3_u32 v81, v87, 0, 0xd0
	v_mov_b32_e32 v80, 12
	s_mov_b32 s6, 13
	s_set_inst_prefetch_distance 0x1
	.p2align	6
.LBB34_253:                             ; =>This Inner Loop Header: Depth=1
	ds_load_2addr_b64 v[89:92], v81 offset1:1
	s_waitcnt lgkmcnt(1)
	v_cmp_gt_f64_e32 vcc_lo, 0, v[72:73]
	v_xor_b32_e32 v93, 0x80000000, v73
	v_cmp_gt_f64_e64 s2, 0, v[74:75]
	v_xor_b32_e32 v95, 0x80000000, v75
	v_add_nc_u32_e32 v81, 16, v81
	s_waitcnt lgkmcnt(0)
	v_cmp_gt_f64_e64 s3, 0, v[89:90]
	v_mov_b32_e32 v97, v89
	v_dual_mov_b32 v99, v91 :: v_dual_cndmask_b32 v94, v73, v93
	v_xor_b32_e32 v93, 0x80000000, v90
	v_cndmask_b32_e64 v96, v75, v95, s2
	v_xor_b32_e32 v95, 0x80000000, v92
	s_delay_alu instid0(VALU_DEP_3) | instskip(SKIP_2) | instid1(VALU_DEP_2)
	v_cndmask_b32_e64 v98, v90, v93, s3
	v_cmp_gt_f64_e64 s3, 0, v[91:92]
	v_cndmask_b32_e32 v93, v72, v72, vcc_lo
	v_cndmask_b32_e64 v100, v92, v95, s3
	v_cndmask_b32_e64 v95, v74, v74, s2
	s_delay_alu instid0(VALU_DEP_2) | instskip(NEXT) | instid1(VALU_DEP_2)
	v_add_f64 v[97:98], v[97:98], v[99:100]
	v_add_f64 v[93:94], v[93:94], v[95:96]
	s_delay_alu instid0(VALU_DEP_1) | instskip(SKIP_4) | instid1(SALU_CYCLE_1)
	v_cmp_lt_f64_e32 vcc_lo, v[93:94], v[97:98]
	v_dual_cndmask_b32 v74, v74, v91 :: v_dual_cndmask_b32 v73, v73, v90
	v_dual_cndmask_b32 v72, v72, v89 :: v_dual_cndmask_b32 v75, v75, v92
	v_cndmask_b32_e64 v80, v80, s6, vcc_lo
	s_add_i32 s6, s6, 1
	s_cmp_lg_u32 s5, s6
	s_cbranch_scc1 .LBB34_253
.LBB34_254:
	s_set_inst_prefetch_distance 0x2
	s_waitcnt lgkmcnt(0)
	v_cmp_eq_f64_e32 vcc_lo, 0, v[72:73]
	v_cmp_eq_f64_e64 s2, 0, v[74:75]
	s_delay_alu instid0(VALU_DEP_1) | instskip(NEXT) | instid1(SALU_CYCLE_1)
	s_and_b32 s2, vcc_lo, s2
	s_and_saveexec_b32 s3, s2
	s_delay_alu instid0(SALU_CYCLE_1)
	s_xor_b32 s2, exec_lo, s3
; %bb.255:
	v_cmp_ne_u32_e32 vcc_lo, 0, v86
	v_cndmask_b32_e32 v86, 13, v86, vcc_lo
; %bb.256:
	s_and_not1_saveexec_b32 s3, s2
	s_cbranch_execz .LBB34_262
; %bb.257:
	v_cmp_gt_f64_e32 vcc_lo, 0, v[72:73]
	v_cmp_gt_f64_e64 s2, 0, v[74:75]
	v_xor_b32_e32 v81, 0x80000000, v73
	v_xor_b32_e32 v89, 0x80000000, v75
	s_delay_alu instid0(VALU_DEP_2) | instskip(NEXT) | instid1(VALU_DEP_2)
	v_cndmask_b32_e32 v90, v73, v81, vcc_lo
	v_cndmask_b32_e64 v92, v75, v89, s2
	v_cndmask_b32_e32 v89, v72, v72, vcc_lo
	v_cndmask_b32_e64 v91, v74, v74, s2
	s_mov_b32 s2, exec_lo
	s_delay_alu instid0(VALU_DEP_1)
	v_cmpx_ngt_f64_e32 v[89:90], v[91:92]
	s_xor_b32 s2, exec_lo, s2
	s_cbranch_execz .LBB34_259
; %bb.258:
	v_div_scale_f64 v[89:90], null, v[74:75], v[74:75], v[72:73]
	v_div_scale_f64 v[95:96], vcc_lo, v[72:73], v[74:75], v[72:73]
	s_delay_alu instid0(VALU_DEP_2) | instskip(SKIP_2) | instid1(VALU_DEP_1)
	v_rcp_f64_e32 v[91:92], v[89:90]
	s_waitcnt_depctr 0xfff
	v_fma_f64 v[93:94], -v[89:90], v[91:92], 1.0
	v_fma_f64 v[91:92], v[91:92], v[93:94], v[91:92]
	s_delay_alu instid0(VALU_DEP_1) | instskip(NEXT) | instid1(VALU_DEP_1)
	v_fma_f64 v[93:94], -v[89:90], v[91:92], 1.0
	v_fma_f64 v[91:92], v[91:92], v[93:94], v[91:92]
	s_delay_alu instid0(VALU_DEP_1) | instskip(NEXT) | instid1(VALU_DEP_1)
	v_mul_f64 v[93:94], v[95:96], v[91:92]
	v_fma_f64 v[89:90], -v[89:90], v[93:94], v[95:96]
	s_delay_alu instid0(VALU_DEP_1) | instskip(NEXT) | instid1(VALU_DEP_1)
	v_div_fmas_f64 v[89:90], v[89:90], v[91:92], v[93:94]
	v_div_fixup_f64 v[89:90], v[89:90], v[74:75], v[72:73]
	s_delay_alu instid0(VALU_DEP_1) | instskip(NEXT) | instid1(VALU_DEP_1)
	v_fma_f64 v[72:73], v[72:73], v[89:90], v[74:75]
	v_div_scale_f64 v[74:75], null, v[72:73], v[72:73], 1.0
	s_delay_alu instid0(VALU_DEP_1) | instskip(SKIP_2) | instid1(VALU_DEP_1)
	v_rcp_f64_e32 v[91:92], v[74:75]
	s_waitcnt_depctr 0xfff
	v_fma_f64 v[93:94], -v[74:75], v[91:92], 1.0
	v_fma_f64 v[91:92], v[91:92], v[93:94], v[91:92]
	s_delay_alu instid0(VALU_DEP_1) | instskip(NEXT) | instid1(VALU_DEP_1)
	v_fma_f64 v[93:94], -v[74:75], v[91:92], 1.0
	v_fma_f64 v[91:92], v[91:92], v[93:94], v[91:92]
	v_div_scale_f64 v[93:94], vcc_lo, 1.0, v[72:73], 1.0
	s_delay_alu instid0(VALU_DEP_1) | instskip(NEXT) | instid1(VALU_DEP_1)
	v_mul_f64 v[95:96], v[93:94], v[91:92]
	v_fma_f64 v[74:75], -v[74:75], v[95:96], v[93:94]
	s_delay_alu instid0(VALU_DEP_1) | instskip(NEXT) | instid1(VALU_DEP_1)
	v_div_fmas_f64 v[74:75], v[74:75], v[91:92], v[95:96]
	v_div_fixup_f64 v[74:75], v[74:75], v[72:73], 1.0
	s_delay_alu instid0(VALU_DEP_1)
	v_mul_f64 v[72:73], v[89:90], v[74:75]
	v_xor_b32_e32 v75, 0x80000000, v75
.LBB34_259:
	s_and_not1_saveexec_b32 s2, s2
	s_cbranch_execz .LBB34_261
; %bb.260:
	s_delay_alu instid0(VALU_DEP_1) | instskip(SKIP_1) | instid1(VALU_DEP_2)
	v_div_scale_f64 v[89:90], null, v[72:73], v[72:73], v[74:75]
	v_div_scale_f64 v[95:96], vcc_lo, v[74:75], v[72:73], v[74:75]
	v_rcp_f64_e32 v[91:92], v[89:90]
	s_waitcnt_depctr 0xfff
	v_fma_f64 v[93:94], -v[89:90], v[91:92], 1.0
	s_delay_alu instid0(VALU_DEP_1) | instskip(NEXT) | instid1(VALU_DEP_1)
	v_fma_f64 v[91:92], v[91:92], v[93:94], v[91:92]
	v_fma_f64 v[93:94], -v[89:90], v[91:92], 1.0
	s_delay_alu instid0(VALU_DEP_1) | instskip(NEXT) | instid1(VALU_DEP_1)
	v_fma_f64 v[91:92], v[91:92], v[93:94], v[91:92]
	v_mul_f64 v[93:94], v[95:96], v[91:92]
	s_delay_alu instid0(VALU_DEP_1) | instskip(NEXT) | instid1(VALU_DEP_1)
	v_fma_f64 v[89:90], -v[89:90], v[93:94], v[95:96]
	v_div_fmas_f64 v[89:90], v[89:90], v[91:92], v[93:94]
	s_delay_alu instid0(VALU_DEP_1) | instskip(NEXT) | instid1(VALU_DEP_1)
	v_div_fixup_f64 v[89:90], v[89:90], v[72:73], v[74:75]
	v_fma_f64 v[72:73], v[74:75], v[89:90], v[72:73]
	s_delay_alu instid0(VALU_DEP_1) | instskip(NEXT) | instid1(VALU_DEP_1)
	v_div_scale_f64 v[74:75], null, v[72:73], v[72:73], 1.0
	v_rcp_f64_e32 v[91:92], v[74:75]
	s_waitcnt_depctr 0xfff
	v_fma_f64 v[93:94], -v[74:75], v[91:92], 1.0
	s_delay_alu instid0(VALU_DEP_1) | instskip(NEXT) | instid1(VALU_DEP_1)
	v_fma_f64 v[91:92], v[91:92], v[93:94], v[91:92]
	v_fma_f64 v[93:94], -v[74:75], v[91:92], 1.0
	s_delay_alu instid0(VALU_DEP_1) | instskip(SKIP_1) | instid1(VALU_DEP_1)
	v_fma_f64 v[91:92], v[91:92], v[93:94], v[91:92]
	v_div_scale_f64 v[93:94], vcc_lo, 1.0, v[72:73], 1.0
	v_mul_f64 v[95:96], v[93:94], v[91:92]
	s_delay_alu instid0(VALU_DEP_1) | instskip(NEXT) | instid1(VALU_DEP_1)
	v_fma_f64 v[74:75], -v[74:75], v[95:96], v[93:94]
	v_div_fmas_f64 v[74:75], v[74:75], v[91:92], v[95:96]
	s_delay_alu instid0(VALU_DEP_1) | instskip(NEXT) | instid1(VALU_DEP_1)
	v_div_fixup_f64 v[72:73], v[74:75], v[72:73], 1.0
	v_mul_f64 v[74:75], v[89:90], -v[72:73]
.LBB34_261:
	s_or_b32 exec_lo, exec_lo, s2
.LBB34_262:
	s_delay_alu instid0(SALU_CYCLE_1) | instskip(NEXT) | instid1(SALU_CYCLE_1)
	s_or_b32 exec_lo, exec_lo, s3
	s_mov_b32 s2, exec_lo
	v_cmpx_ne_u32_e64 v88, v80
	s_xor_b32 s2, exec_lo, s2
	s_cbranch_execz .LBB34_268
; %bb.263:
	s_mov_b32 s3, exec_lo
	v_cmpx_eq_u32_e32 12, v88
	s_cbranch_execz .LBB34_267
; %bb.264:
	v_cmp_ne_u32_e32 vcc_lo, 12, v80
	s_xor_b32 s6, s4, -1
	s_delay_alu instid0(SALU_CYCLE_1) | instskip(NEXT) | instid1(SALU_CYCLE_1)
	s_and_b32 s7, s6, vcc_lo
	s_and_saveexec_b32 s6, s7
	s_cbranch_execz .LBB34_266
; %bb.265:
	v_ashrrev_i32_e32 v81, 31, v80
	s_delay_alu instid0(VALU_DEP_1) | instskip(NEXT) | instid1(VALU_DEP_1)
	v_lshlrev_b64 v[88:89], 2, v[80:81]
	v_add_co_u32 v88, vcc_lo, v78, v88
	s_delay_alu instid0(VALU_DEP_2)
	v_add_co_ci_u32_e32 v89, vcc_lo, v79, v89, vcc_lo
	s_clause 0x1
	flat_load_b32 v81, v[88:89]
	flat_load_b32 v85, v[78:79] offset:48
	s_waitcnt vmcnt(1) lgkmcnt(1)
	flat_store_b32 v[78:79], v81 offset:48
	s_waitcnt vmcnt(0) lgkmcnt(1)
	flat_store_b32 v[88:89], v85
.LBB34_266:
	s_or_b32 exec_lo, exec_lo, s6
	v_mov_b32_e32 v88, v80
	v_mov_b32_e32 v85, v80
.LBB34_267:
	s_or_b32 exec_lo, exec_lo, s3
.LBB34_268:
	s_and_not1_saveexec_b32 s2, s2
	s_cbranch_execz .LBB34_270
; %bb.269:
	v_mov_b32_e32 v88, 12
	ds_store_2addr_b64 v82, v[16:17], v[18:19] offset0:26 offset1:27
	ds_store_2addr_b64 v82, v[12:13], v[14:15] offset0:28 offset1:29
	;; [unrolled: 1-line block ×5, first 2 shown]
.LBB34_270:
	s_or_b32 exec_lo, exec_lo, s2
	s_delay_alu instid0(SALU_CYCLE_1)
	s_mov_b32 s2, exec_lo
	s_waitcnt lgkmcnt(0)
	s_waitcnt_vscnt null, 0x0
	s_barrier
	buffer_gl0_inv
	v_cmpx_lt_i32_e32 12, v88
	s_cbranch_execz .LBB34_272
; %bb.271:
	v_mul_f64 v[80:81], v[72:73], v[34:35]
	v_mul_f64 v[34:35], v[74:75], v[34:35]
	ds_load_2addr_b64 v[89:92], v82 offset0:26 offset1:27
	ds_load_2addr_b64 v[93:96], v82 offset0:28 offset1:29
	;; [unrolled: 1-line block ×5, first 2 shown]
	v_fma_f64 v[74:75], v[74:75], v[32:33], v[80:81]
	v_fma_f64 v[32:33], v[72:73], v[32:33], -v[34:35]
	s_waitcnt lgkmcnt(4)
	s_delay_alu instid0(VALU_DEP_2)
	v_mul_f64 v[34:35], v[91:92], v[74:75]
	v_mul_f64 v[72:73], v[89:90], v[74:75]
	s_waitcnt lgkmcnt(3)
	v_mul_f64 v[80:81], v[95:96], v[74:75]
	v_mul_f64 v[109:110], v[93:94], v[74:75]
	s_waitcnt lgkmcnt(2)
	;; [unrolled: 3-line block ×4, first 2 shown]
	v_mul_f64 v[119:120], v[107:108], v[74:75]
	v_mul_f64 v[121:122], v[105:106], v[74:75]
	v_fma_f64 v[34:35], v[89:90], v[32:33], -v[34:35]
	v_fma_f64 v[72:73], v[91:92], v[32:33], v[72:73]
	v_fma_f64 v[80:81], v[93:94], v[32:33], -v[80:81]
	v_fma_f64 v[89:90], v[95:96], v[32:33], v[109:110]
	;; [unrolled: 2-line block ×5, first 2 shown]
	v_add_f64 v[16:17], v[16:17], -v[34:35]
	v_add_f64 v[18:19], v[18:19], -v[72:73]
	;; [unrolled: 1-line block ×10, first 2 shown]
	v_dual_mov_b32 v34, v74 :: v_dual_mov_b32 v35, v75
.LBB34_272:
	s_or_b32 exec_lo, exec_lo, s2
	v_lshl_add_u32 v72, v88, 4, v82
	s_barrier
	buffer_gl0_inv
	v_mov_b32_e32 v80, 13
	ds_store_2addr_b64 v72, v[16:17], v[18:19] offset1:1
	s_waitcnt lgkmcnt(0)
	s_barrier
	buffer_gl0_inv
	ds_load_2addr_b64 v[72:75], v82 offset0:26 offset1:27
	s_cmp_lt_i32 s5, 15
	s_cbranch_scc1 .LBB34_275
; %bb.273:
	v_add3_u32 v81, v87, 0, 0xe0
	v_mov_b32_e32 v80, 13
	s_mov_b32 s6, 14
	s_set_inst_prefetch_distance 0x1
	.p2align	6
.LBB34_274:                             ; =>This Inner Loop Header: Depth=1
	ds_load_2addr_b64 v[89:92], v81 offset1:1
	s_waitcnt lgkmcnt(1)
	v_cmp_gt_f64_e32 vcc_lo, 0, v[72:73]
	v_xor_b32_e32 v93, 0x80000000, v73
	v_cmp_gt_f64_e64 s2, 0, v[74:75]
	v_xor_b32_e32 v95, 0x80000000, v75
	v_add_nc_u32_e32 v81, 16, v81
	s_waitcnt lgkmcnt(0)
	v_cmp_gt_f64_e64 s3, 0, v[89:90]
	v_mov_b32_e32 v97, v89
	v_dual_mov_b32 v99, v91 :: v_dual_cndmask_b32 v94, v73, v93
	v_xor_b32_e32 v93, 0x80000000, v90
	v_cndmask_b32_e64 v96, v75, v95, s2
	v_xor_b32_e32 v95, 0x80000000, v92
	s_delay_alu instid0(VALU_DEP_3) | instskip(SKIP_2) | instid1(VALU_DEP_2)
	v_cndmask_b32_e64 v98, v90, v93, s3
	v_cmp_gt_f64_e64 s3, 0, v[91:92]
	v_cndmask_b32_e32 v93, v72, v72, vcc_lo
	v_cndmask_b32_e64 v100, v92, v95, s3
	v_cndmask_b32_e64 v95, v74, v74, s2
	s_delay_alu instid0(VALU_DEP_2) | instskip(NEXT) | instid1(VALU_DEP_2)
	v_add_f64 v[97:98], v[97:98], v[99:100]
	v_add_f64 v[93:94], v[93:94], v[95:96]
	s_delay_alu instid0(VALU_DEP_1) | instskip(SKIP_4) | instid1(SALU_CYCLE_1)
	v_cmp_lt_f64_e32 vcc_lo, v[93:94], v[97:98]
	v_dual_cndmask_b32 v74, v74, v91 :: v_dual_cndmask_b32 v73, v73, v90
	v_dual_cndmask_b32 v72, v72, v89 :: v_dual_cndmask_b32 v75, v75, v92
	v_cndmask_b32_e64 v80, v80, s6, vcc_lo
	s_add_i32 s6, s6, 1
	s_cmp_lg_u32 s5, s6
	s_cbranch_scc1 .LBB34_274
.LBB34_275:
	s_set_inst_prefetch_distance 0x2
	s_waitcnt lgkmcnt(0)
	v_cmp_eq_f64_e32 vcc_lo, 0, v[72:73]
	v_cmp_eq_f64_e64 s2, 0, v[74:75]
	s_delay_alu instid0(VALU_DEP_1) | instskip(NEXT) | instid1(SALU_CYCLE_1)
	s_and_b32 s2, vcc_lo, s2
	s_and_saveexec_b32 s3, s2
	s_delay_alu instid0(SALU_CYCLE_1)
	s_xor_b32 s2, exec_lo, s3
; %bb.276:
	v_cmp_ne_u32_e32 vcc_lo, 0, v86
	v_cndmask_b32_e32 v86, 14, v86, vcc_lo
; %bb.277:
	s_and_not1_saveexec_b32 s3, s2
	s_cbranch_execz .LBB34_283
; %bb.278:
	v_cmp_gt_f64_e32 vcc_lo, 0, v[72:73]
	v_cmp_gt_f64_e64 s2, 0, v[74:75]
	v_xor_b32_e32 v81, 0x80000000, v73
	v_xor_b32_e32 v89, 0x80000000, v75
	s_delay_alu instid0(VALU_DEP_2) | instskip(NEXT) | instid1(VALU_DEP_2)
	v_cndmask_b32_e32 v90, v73, v81, vcc_lo
	v_cndmask_b32_e64 v92, v75, v89, s2
	v_cndmask_b32_e32 v89, v72, v72, vcc_lo
	v_cndmask_b32_e64 v91, v74, v74, s2
	s_mov_b32 s2, exec_lo
	s_delay_alu instid0(VALU_DEP_1)
	v_cmpx_ngt_f64_e32 v[89:90], v[91:92]
	s_xor_b32 s2, exec_lo, s2
	s_cbranch_execz .LBB34_280
; %bb.279:
	v_div_scale_f64 v[89:90], null, v[74:75], v[74:75], v[72:73]
	v_div_scale_f64 v[95:96], vcc_lo, v[72:73], v[74:75], v[72:73]
	s_delay_alu instid0(VALU_DEP_2) | instskip(SKIP_2) | instid1(VALU_DEP_1)
	v_rcp_f64_e32 v[91:92], v[89:90]
	s_waitcnt_depctr 0xfff
	v_fma_f64 v[93:94], -v[89:90], v[91:92], 1.0
	v_fma_f64 v[91:92], v[91:92], v[93:94], v[91:92]
	s_delay_alu instid0(VALU_DEP_1) | instskip(NEXT) | instid1(VALU_DEP_1)
	v_fma_f64 v[93:94], -v[89:90], v[91:92], 1.0
	v_fma_f64 v[91:92], v[91:92], v[93:94], v[91:92]
	s_delay_alu instid0(VALU_DEP_1) | instskip(NEXT) | instid1(VALU_DEP_1)
	v_mul_f64 v[93:94], v[95:96], v[91:92]
	v_fma_f64 v[89:90], -v[89:90], v[93:94], v[95:96]
	s_delay_alu instid0(VALU_DEP_1) | instskip(NEXT) | instid1(VALU_DEP_1)
	v_div_fmas_f64 v[89:90], v[89:90], v[91:92], v[93:94]
	v_div_fixup_f64 v[89:90], v[89:90], v[74:75], v[72:73]
	s_delay_alu instid0(VALU_DEP_1) | instskip(NEXT) | instid1(VALU_DEP_1)
	v_fma_f64 v[72:73], v[72:73], v[89:90], v[74:75]
	v_div_scale_f64 v[74:75], null, v[72:73], v[72:73], 1.0
	s_delay_alu instid0(VALU_DEP_1) | instskip(SKIP_2) | instid1(VALU_DEP_1)
	v_rcp_f64_e32 v[91:92], v[74:75]
	s_waitcnt_depctr 0xfff
	v_fma_f64 v[93:94], -v[74:75], v[91:92], 1.0
	v_fma_f64 v[91:92], v[91:92], v[93:94], v[91:92]
	s_delay_alu instid0(VALU_DEP_1) | instskip(NEXT) | instid1(VALU_DEP_1)
	v_fma_f64 v[93:94], -v[74:75], v[91:92], 1.0
	v_fma_f64 v[91:92], v[91:92], v[93:94], v[91:92]
	v_div_scale_f64 v[93:94], vcc_lo, 1.0, v[72:73], 1.0
	s_delay_alu instid0(VALU_DEP_1) | instskip(NEXT) | instid1(VALU_DEP_1)
	v_mul_f64 v[95:96], v[93:94], v[91:92]
	v_fma_f64 v[74:75], -v[74:75], v[95:96], v[93:94]
	s_delay_alu instid0(VALU_DEP_1) | instskip(NEXT) | instid1(VALU_DEP_1)
	v_div_fmas_f64 v[74:75], v[74:75], v[91:92], v[95:96]
	v_div_fixup_f64 v[74:75], v[74:75], v[72:73], 1.0
	s_delay_alu instid0(VALU_DEP_1)
	v_mul_f64 v[72:73], v[89:90], v[74:75]
	v_xor_b32_e32 v75, 0x80000000, v75
.LBB34_280:
	s_and_not1_saveexec_b32 s2, s2
	s_cbranch_execz .LBB34_282
; %bb.281:
	s_delay_alu instid0(VALU_DEP_1) | instskip(SKIP_1) | instid1(VALU_DEP_2)
	v_div_scale_f64 v[89:90], null, v[72:73], v[72:73], v[74:75]
	v_div_scale_f64 v[95:96], vcc_lo, v[74:75], v[72:73], v[74:75]
	v_rcp_f64_e32 v[91:92], v[89:90]
	s_waitcnt_depctr 0xfff
	v_fma_f64 v[93:94], -v[89:90], v[91:92], 1.0
	s_delay_alu instid0(VALU_DEP_1) | instskip(NEXT) | instid1(VALU_DEP_1)
	v_fma_f64 v[91:92], v[91:92], v[93:94], v[91:92]
	v_fma_f64 v[93:94], -v[89:90], v[91:92], 1.0
	s_delay_alu instid0(VALU_DEP_1) | instskip(NEXT) | instid1(VALU_DEP_1)
	v_fma_f64 v[91:92], v[91:92], v[93:94], v[91:92]
	v_mul_f64 v[93:94], v[95:96], v[91:92]
	s_delay_alu instid0(VALU_DEP_1) | instskip(NEXT) | instid1(VALU_DEP_1)
	v_fma_f64 v[89:90], -v[89:90], v[93:94], v[95:96]
	v_div_fmas_f64 v[89:90], v[89:90], v[91:92], v[93:94]
	s_delay_alu instid0(VALU_DEP_1) | instskip(NEXT) | instid1(VALU_DEP_1)
	v_div_fixup_f64 v[89:90], v[89:90], v[72:73], v[74:75]
	v_fma_f64 v[72:73], v[74:75], v[89:90], v[72:73]
	s_delay_alu instid0(VALU_DEP_1) | instskip(NEXT) | instid1(VALU_DEP_1)
	v_div_scale_f64 v[74:75], null, v[72:73], v[72:73], 1.0
	v_rcp_f64_e32 v[91:92], v[74:75]
	s_waitcnt_depctr 0xfff
	v_fma_f64 v[93:94], -v[74:75], v[91:92], 1.0
	s_delay_alu instid0(VALU_DEP_1) | instskip(NEXT) | instid1(VALU_DEP_1)
	v_fma_f64 v[91:92], v[91:92], v[93:94], v[91:92]
	v_fma_f64 v[93:94], -v[74:75], v[91:92], 1.0
	s_delay_alu instid0(VALU_DEP_1) | instskip(SKIP_1) | instid1(VALU_DEP_1)
	v_fma_f64 v[91:92], v[91:92], v[93:94], v[91:92]
	v_div_scale_f64 v[93:94], vcc_lo, 1.0, v[72:73], 1.0
	v_mul_f64 v[95:96], v[93:94], v[91:92]
	s_delay_alu instid0(VALU_DEP_1) | instskip(NEXT) | instid1(VALU_DEP_1)
	v_fma_f64 v[74:75], -v[74:75], v[95:96], v[93:94]
	v_div_fmas_f64 v[74:75], v[74:75], v[91:92], v[95:96]
	s_delay_alu instid0(VALU_DEP_1) | instskip(NEXT) | instid1(VALU_DEP_1)
	v_div_fixup_f64 v[72:73], v[74:75], v[72:73], 1.0
	v_mul_f64 v[74:75], v[89:90], -v[72:73]
.LBB34_282:
	s_or_b32 exec_lo, exec_lo, s2
.LBB34_283:
	s_delay_alu instid0(SALU_CYCLE_1) | instskip(NEXT) | instid1(SALU_CYCLE_1)
	s_or_b32 exec_lo, exec_lo, s3
	s_mov_b32 s2, exec_lo
	v_cmpx_ne_u32_e64 v88, v80
	s_xor_b32 s2, exec_lo, s2
	s_cbranch_execz .LBB34_289
; %bb.284:
	s_mov_b32 s3, exec_lo
	v_cmpx_eq_u32_e32 13, v88
	s_cbranch_execz .LBB34_288
; %bb.285:
	v_cmp_ne_u32_e32 vcc_lo, 13, v80
	s_xor_b32 s6, s4, -1
	s_delay_alu instid0(SALU_CYCLE_1) | instskip(NEXT) | instid1(SALU_CYCLE_1)
	s_and_b32 s7, s6, vcc_lo
	s_and_saveexec_b32 s6, s7
	s_cbranch_execz .LBB34_287
; %bb.286:
	v_ashrrev_i32_e32 v81, 31, v80
	s_delay_alu instid0(VALU_DEP_1) | instskip(NEXT) | instid1(VALU_DEP_1)
	v_lshlrev_b64 v[88:89], 2, v[80:81]
	v_add_co_u32 v88, vcc_lo, v78, v88
	s_delay_alu instid0(VALU_DEP_2)
	v_add_co_ci_u32_e32 v89, vcc_lo, v79, v89, vcc_lo
	s_clause 0x1
	flat_load_b32 v81, v[88:89]
	flat_load_b32 v85, v[78:79] offset:52
	s_waitcnt vmcnt(1) lgkmcnt(1)
	flat_store_b32 v[78:79], v81 offset:52
	s_waitcnt vmcnt(0) lgkmcnt(1)
	flat_store_b32 v[88:89], v85
.LBB34_287:
	s_or_b32 exec_lo, exec_lo, s6
	v_mov_b32_e32 v88, v80
	v_mov_b32_e32 v85, v80
.LBB34_288:
	s_or_b32 exec_lo, exec_lo, s3
.LBB34_289:
	s_and_not1_saveexec_b32 s2, s2
	s_cbranch_execz .LBB34_291
; %bb.290:
	v_mov_b32_e32 v88, 13
	ds_store_2addr_b64 v82, v[12:13], v[14:15] offset0:28 offset1:29
	ds_store_2addr_b64 v82, v[8:9], v[10:11] offset0:30 offset1:31
	;; [unrolled: 1-line block ×4, first 2 shown]
.LBB34_291:
	s_or_b32 exec_lo, exec_lo, s2
	s_delay_alu instid0(SALU_CYCLE_1)
	s_mov_b32 s2, exec_lo
	s_waitcnt lgkmcnt(0)
	s_waitcnt_vscnt null, 0x0
	s_barrier
	buffer_gl0_inv
	v_cmpx_lt_i32_e32 13, v88
	s_cbranch_execz .LBB34_293
; %bb.292:
	v_mul_f64 v[80:81], v[72:73], v[18:19]
	v_mul_f64 v[18:19], v[74:75], v[18:19]
	ds_load_2addr_b64 v[89:92], v82 offset0:28 offset1:29
	ds_load_2addr_b64 v[93:96], v82 offset0:30 offset1:31
	;; [unrolled: 1-line block ×4, first 2 shown]
	v_fma_f64 v[74:75], v[74:75], v[16:17], v[80:81]
	v_fma_f64 v[16:17], v[72:73], v[16:17], -v[18:19]
	s_waitcnt lgkmcnt(3)
	s_delay_alu instid0(VALU_DEP_2)
	v_mul_f64 v[18:19], v[91:92], v[74:75]
	v_mul_f64 v[72:73], v[89:90], v[74:75]
	s_waitcnt lgkmcnt(2)
	v_mul_f64 v[80:81], v[95:96], v[74:75]
	v_mul_f64 v[105:106], v[93:94], v[74:75]
	s_waitcnt lgkmcnt(1)
	;; [unrolled: 3-line block ×3, first 2 shown]
	v_mul_f64 v[111:112], v[103:104], v[74:75]
	v_mul_f64 v[113:114], v[101:102], v[74:75]
	v_fma_f64 v[18:19], v[89:90], v[16:17], -v[18:19]
	v_fma_f64 v[72:73], v[91:92], v[16:17], v[72:73]
	v_fma_f64 v[80:81], v[93:94], v[16:17], -v[80:81]
	v_fma_f64 v[89:90], v[95:96], v[16:17], v[105:106]
	;; [unrolled: 2-line block ×4, first 2 shown]
	v_add_f64 v[12:13], v[12:13], -v[18:19]
	v_add_f64 v[14:15], v[14:15], -v[72:73]
	;; [unrolled: 1-line block ×8, first 2 shown]
	v_dual_mov_b32 v18, v74 :: v_dual_mov_b32 v19, v75
.LBB34_293:
	s_or_b32 exec_lo, exec_lo, s2
	v_lshl_add_u32 v72, v88, 4, v82
	s_barrier
	buffer_gl0_inv
	v_mov_b32_e32 v80, 14
	ds_store_2addr_b64 v72, v[12:13], v[14:15] offset1:1
	s_waitcnt lgkmcnt(0)
	s_barrier
	buffer_gl0_inv
	ds_load_2addr_b64 v[72:75], v82 offset0:28 offset1:29
	s_cmp_lt_i32 s5, 16
	s_cbranch_scc1 .LBB34_296
; %bb.294:
	v_add3_u32 v81, v87, 0, 0xf0
	v_mov_b32_e32 v80, 14
	s_mov_b32 s6, 15
	s_set_inst_prefetch_distance 0x1
	.p2align	6
.LBB34_295:                             ; =>This Inner Loop Header: Depth=1
	ds_load_2addr_b64 v[89:92], v81 offset1:1
	s_waitcnt lgkmcnt(1)
	v_cmp_gt_f64_e32 vcc_lo, 0, v[72:73]
	v_xor_b32_e32 v93, 0x80000000, v73
	v_cmp_gt_f64_e64 s2, 0, v[74:75]
	v_xor_b32_e32 v95, 0x80000000, v75
	v_add_nc_u32_e32 v81, 16, v81
	s_waitcnt lgkmcnt(0)
	v_cmp_gt_f64_e64 s3, 0, v[89:90]
	v_mov_b32_e32 v97, v89
	v_dual_mov_b32 v99, v91 :: v_dual_cndmask_b32 v94, v73, v93
	v_xor_b32_e32 v93, 0x80000000, v90
	v_cndmask_b32_e64 v96, v75, v95, s2
	v_xor_b32_e32 v95, 0x80000000, v92
	s_delay_alu instid0(VALU_DEP_3) | instskip(SKIP_2) | instid1(VALU_DEP_2)
	v_cndmask_b32_e64 v98, v90, v93, s3
	v_cmp_gt_f64_e64 s3, 0, v[91:92]
	v_cndmask_b32_e32 v93, v72, v72, vcc_lo
	v_cndmask_b32_e64 v100, v92, v95, s3
	v_cndmask_b32_e64 v95, v74, v74, s2
	s_delay_alu instid0(VALU_DEP_2) | instskip(NEXT) | instid1(VALU_DEP_2)
	v_add_f64 v[97:98], v[97:98], v[99:100]
	v_add_f64 v[93:94], v[93:94], v[95:96]
	s_delay_alu instid0(VALU_DEP_1) | instskip(SKIP_4) | instid1(SALU_CYCLE_1)
	v_cmp_lt_f64_e32 vcc_lo, v[93:94], v[97:98]
	v_dual_cndmask_b32 v74, v74, v91 :: v_dual_cndmask_b32 v73, v73, v90
	v_dual_cndmask_b32 v72, v72, v89 :: v_dual_cndmask_b32 v75, v75, v92
	v_cndmask_b32_e64 v80, v80, s6, vcc_lo
	s_add_i32 s6, s6, 1
	s_cmp_lg_u32 s5, s6
	s_cbranch_scc1 .LBB34_295
.LBB34_296:
	s_set_inst_prefetch_distance 0x2
	s_waitcnt lgkmcnt(0)
	v_cmp_eq_f64_e32 vcc_lo, 0, v[72:73]
	v_cmp_eq_f64_e64 s2, 0, v[74:75]
	s_delay_alu instid0(VALU_DEP_1) | instskip(NEXT) | instid1(SALU_CYCLE_1)
	s_and_b32 s2, vcc_lo, s2
	s_and_saveexec_b32 s3, s2
	s_delay_alu instid0(SALU_CYCLE_1)
	s_xor_b32 s2, exec_lo, s3
; %bb.297:
	v_cmp_ne_u32_e32 vcc_lo, 0, v86
	v_cndmask_b32_e32 v86, 15, v86, vcc_lo
; %bb.298:
	s_and_not1_saveexec_b32 s3, s2
	s_cbranch_execz .LBB34_304
; %bb.299:
	v_cmp_gt_f64_e32 vcc_lo, 0, v[72:73]
	v_cmp_gt_f64_e64 s2, 0, v[74:75]
	v_xor_b32_e32 v81, 0x80000000, v73
	v_xor_b32_e32 v89, 0x80000000, v75
	s_delay_alu instid0(VALU_DEP_2) | instskip(NEXT) | instid1(VALU_DEP_2)
	v_cndmask_b32_e32 v90, v73, v81, vcc_lo
	v_cndmask_b32_e64 v92, v75, v89, s2
	v_cndmask_b32_e32 v89, v72, v72, vcc_lo
	v_cndmask_b32_e64 v91, v74, v74, s2
	s_mov_b32 s2, exec_lo
	s_delay_alu instid0(VALU_DEP_1)
	v_cmpx_ngt_f64_e32 v[89:90], v[91:92]
	s_xor_b32 s2, exec_lo, s2
	s_cbranch_execz .LBB34_301
; %bb.300:
	v_div_scale_f64 v[89:90], null, v[74:75], v[74:75], v[72:73]
	v_div_scale_f64 v[95:96], vcc_lo, v[72:73], v[74:75], v[72:73]
	s_delay_alu instid0(VALU_DEP_2) | instskip(SKIP_2) | instid1(VALU_DEP_1)
	v_rcp_f64_e32 v[91:92], v[89:90]
	s_waitcnt_depctr 0xfff
	v_fma_f64 v[93:94], -v[89:90], v[91:92], 1.0
	v_fma_f64 v[91:92], v[91:92], v[93:94], v[91:92]
	s_delay_alu instid0(VALU_DEP_1) | instskip(NEXT) | instid1(VALU_DEP_1)
	v_fma_f64 v[93:94], -v[89:90], v[91:92], 1.0
	v_fma_f64 v[91:92], v[91:92], v[93:94], v[91:92]
	s_delay_alu instid0(VALU_DEP_1) | instskip(NEXT) | instid1(VALU_DEP_1)
	v_mul_f64 v[93:94], v[95:96], v[91:92]
	v_fma_f64 v[89:90], -v[89:90], v[93:94], v[95:96]
	s_delay_alu instid0(VALU_DEP_1) | instskip(NEXT) | instid1(VALU_DEP_1)
	v_div_fmas_f64 v[89:90], v[89:90], v[91:92], v[93:94]
	v_div_fixup_f64 v[89:90], v[89:90], v[74:75], v[72:73]
	s_delay_alu instid0(VALU_DEP_1) | instskip(NEXT) | instid1(VALU_DEP_1)
	v_fma_f64 v[72:73], v[72:73], v[89:90], v[74:75]
	v_div_scale_f64 v[74:75], null, v[72:73], v[72:73], 1.0
	s_delay_alu instid0(VALU_DEP_1) | instskip(SKIP_2) | instid1(VALU_DEP_1)
	v_rcp_f64_e32 v[91:92], v[74:75]
	s_waitcnt_depctr 0xfff
	v_fma_f64 v[93:94], -v[74:75], v[91:92], 1.0
	v_fma_f64 v[91:92], v[91:92], v[93:94], v[91:92]
	s_delay_alu instid0(VALU_DEP_1) | instskip(NEXT) | instid1(VALU_DEP_1)
	v_fma_f64 v[93:94], -v[74:75], v[91:92], 1.0
	v_fma_f64 v[91:92], v[91:92], v[93:94], v[91:92]
	v_div_scale_f64 v[93:94], vcc_lo, 1.0, v[72:73], 1.0
	s_delay_alu instid0(VALU_DEP_1) | instskip(NEXT) | instid1(VALU_DEP_1)
	v_mul_f64 v[95:96], v[93:94], v[91:92]
	v_fma_f64 v[74:75], -v[74:75], v[95:96], v[93:94]
	s_delay_alu instid0(VALU_DEP_1) | instskip(NEXT) | instid1(VALU_DEP_1)
	v_div_fmas_f64 v[74:75], v[74:75], v[91:92], v[95:96]
	v_div_fixup_f64 v[74:75], v[74:75], v[72:73], 1.0
	s_delay_alu instid0(VALU_DEP_1)
	v_mul_f64 v[72:73], v[89:90], v[74:75]
	v_xor_b32_e32 v75, 0x80000000, v75
.LBB34_301:
	s_and_not1_saveexec_b32 s2, s2
	s_cbranch_execz .LBB34_303
; %bb.302:
	s_delay_alu instid0(VALU_DEP_1) | instskip(SKIP_1) | instid1(VALU_DEP_2)
	v_div_scale_f64 v[89:90], null, v[72:73], v[72:73], v[74:75]
	v_div_scale_f64 v[95:96], vcc_lo, v[74:75], v[72:73], v[74:75]
	v_rcp_f64_e32 v[91:92], v[89:90]
	s_waitcnt_depctr 0xfff
	v_fma_f64 v[93:94], -v[89:90], v[91:92], 1.0
	s_delay_alu instid0(VALU_DEP_1) | instskip(NEXT) | instid1(VALU_DEP_1)
	v_fma_f64 v[91:92], v[91:92], v[93:94], v[91:92]
	v_fma_f64 v[93:94], -v[89:90], v[91:92], 1.0
	s_delay_alu instid0(VALU_DEP_1) | instskip(NEXT) | instid1(VALU_DEP_1)
	v_fma_f64 v[91:92], v[91:92], v[93:94], v[91:92]
	v_mul_f64 v[93:94], v[95:96], v[91:92]
	s_delay_alu instid0(VALU_DEP_1) | instskip(NEXT) | instid1(VALU_DEP_1)
	v_fma_f64 v[89:90], -v[89:90], v[93:94], v[95:96]
	v_div_fmas_f64 v[89:90], v[89:90], v[91:92], v[93:94]
	s_delay_alu instid0(VALU_DEP_1) | instskip(NEXT) | instid1(VALU_DEP_1)
	v_div_fixup_f64 v[89:90], v[89:90], v[72:73], v[74:75]
	v_fma_f64 v[72:73], v[74:75], v[89:90], v[72:73]
	s_delay_alu instid0(VALU_DEP_1) | instskip(NEXT) | instid1(VALU_DEP_1)
	v_div_scale_f64 v[74:75], null, v[72:73], v[72:73], 1.0
	v_rcp_f64_e32 v[91:92], v[74:75]
	s_waitcnt_depctr 0xfff
	v_fma_f64 v[93:94], -v[74:75], v[91:92], 1.0
	s_delay_alu instid0(VALU_DEP_1) | instskip(NEXT) | instid1(VALU_DEP_1)
	v_fma_f64 v[91:92], v[91:92], v[93:94], v[91:92]
	v_fma_f64 v[93:94], -v[74:75], v[91:92], 1.0
	s_delay_alu instid0(VALU_DEP_1) | instskip(SKIP_1) | instid1(VALU_DEP_1)
	v_fma_f64 v[91:92], v[91:92], v[93:94], v[91:92]
	v_div_scale_f64 v[93:94], vcc_lo, 1.0, v[72:73], 1.0
	v_mul_f64 v[95:96], v[93:94], v[91:92]
	s_delay_alu instid0(VALU_DEP_1) | instskip(NEXT) | instid1(VALU_DEP_1)
	v_fma_f64 v[74:75], -v[74:75], v[95:96], v[93:94]
	v_div_fmas_f64 v[74:75], v[74:75], v[91:92], v[95:96]
	s_delay_alu instid0(VALU_DEP_1) | instskip(NEXT) | instid1(VALU_DEP_1)
	v_div_fixup_f64 v[72:73], v[74:75], v[72:73], 1.0
	v_mul_f64 v[74:75], v[89:90], -v[72:73]
.LBB34_303:
	s_or_b32 exec_lo, exec_lo, s2
.LBB34_304:
	s_delay_alu instid0(SALU_CYCLE_1) | instskip(NEXT) | instid1(SALU_CYCLE_1)
	s_or_b32 exec_lo, exec_lo, s3
	s_mov_b32 s2, exec_lo
	v_cmpx_ne_u32_e64 v88, v80
	s_xor_b32 s2, exec_lo, s2
	s_cbranch_execz .LBB34_310
; %bb.305:
	s_mov_b32 s3, exec_lo
	v_cmpx_eq_u32_e32 14, v88
	s_cbranch_execz .LBB34_309
; %bb.306:
	v_cmp_ne_u32_e32 vcc_lo, 14, v80
	s_xor_b32 s6, s4, -1
	s_delay_alu instid0(SALU_CYCLE_1) | instskip(NEXT) | instid1(SALU_CYCLE_1)
	s_and_b32 s7, s6, vcc_lo
	s_and_saveexec_b32 s6, s7
	s_cbranch_execz .LBB34_308
; %bb.307:
	v_ashrrev_i32_e32 v81, 31, v80
	s_delay_alu instid0(VALU_DEP_1) | instskip(NEXT) | instid1(VALU_DEP_1)
	v_lshlrev_b64 v[88:89], 2, v[80:81]
	v_add_co_u32 v88, vcc_lo, v78, v88
	s_delay_alu instid0(VALU_DEP_2)
	v_add_co_ci_u32_e32 v89, vcc_lo, v79, v89, vcc_lo
	s_clause 0x1
	flat_load_b32 v81, v[88:89]
	flat_load_b32 v85, v[78:79] offset:56
	s_waitcnt vmcnt(1) lgkmcnt(1)
	flat_store_b32 v[78:79], v81 offset:56
	s_waitcnt vmcnt(0) lgkmcnt(1)
	flat_store_b32 v[88:89], v85
.LBB34_308:
	s_or_b32 exec_lo, exec_lo, s6
	v_mov_b32_e32 v88, v80
	v_mov_b32_e32 v85, v80
.LBB34_309:
	s_or_b32 exec_lo, exec_lo, s3
.LBB34_310:
	s_and_not1_saveexec_b32 s2, s2
	s_cbranch_execz .LBB34_312
; %bb.311:
	v_mov_b32_e32 v88, 14
	ds_store_2addr_b64 v82, v[8:9], v[10:11] offset0:30 offset1:31
	ds_store_2addr_b64 v82, v[4:5], v[6:7] offset0:32 offset1:33
	;; [unrolled: 1-line block ×3, first 2 shown]
.LBB34_312:
	s_or_b32 exec_lo, exec_lo, s2
	s_delay_alu instid0(SALU_CYCLE_1)
	s_mov_b32 s2, exec_lo
	s_waitcnt lgkmcnt(0)
	s_waitcnt_vscnt null, 0x0
	s_barrier
	buffer_gl0_inv
	v_cmpx_lt_i32_e32 14, v88
	s_cbranch_execz .LBB34_314
; %bb.313:
	v_mul_f64 v[80:81], v[72:73], v[14:15]
	v_mul_f64 v[14:15], v[74:75], v[14:15]
	ds_load_2addr_b64 v[89:92], v82 offset0:30 offset1:31
	ds_load_2addr_b64 v[93:96], v82 offset0:32 offset1:33
	;; [unrolled: 1-line block ×3, first 2 shown]
	v_fma_f64 v[74:75], v[74:75], v[12:13], v[80:81]
	v_fma_f64 v[12:13], v[72:73], v[12:13], -v[14:15]
	s_waitcnt lgkmcnt(2)
	s_delay_alu instid0(VALU_DEP_2)
	v_mul_f64 v[14:15], v[91:92], v[74:75]
	v_mul_f64 v[72:73], v[89:90], v[74:75]
	s_waitcnt lgkmcnt(1)
	v_mul_f64 v[80:81], v[95:96], v[74:75]
	v_mul_f64 v[101:102], v[93:94], v[74:75]
	s_waitcnt lgkmcnt(0)
	v_mul_f64 v[103:104], v[99:100], v[74:75]
	v_mul_f64 v[105:106], v[97:98], v[74:75]
	v_fma_f64 v[14:15], v[89:90], v[12:13], -v[14:15]
	v_fma_f64 v[72:73], v[91:92], v[12:13], v[72:73]
	v_fma_f64 v[80:81], v[93:94], v[12:13], -v[80:81]
	v_fma_f64 v[89:90], v[95:96], v[12:13], v[101:102]
	;; [unrolled: 2-line block ×3, first 2 shown]
	v_add_f64 v[8:9], v[8:9], -v[14:15]
	v_add_f64 v[10:11], v[10:11], -v[72:73]
	v_add_f64 v[4:5], v[4:5], -v[80:81]
	v_add_f64 v[6:7], v[6:7], -v[89:90]
	v_add_f64 v[0:1], v[0:1], -v[91:92]
	v_add_f64 v[2:3], v[2:3], -v[93:94]
	v_dual_mov_b32 v14, v74 :: v_dual_mov_b32 v15, v75
.LBB34_314:
	s_or_b32 exec_lo, exec_lo, s2
	v_lshl_add_u32 v72, v88, 4, v82
	s_barrier
	buffer_gl0_inv
	v_mov_b32_e32 v80, 15
	ds_store_2addr_b64 v72, v[8:9], v[10:11] offset1:1
	s_waitcnt lgkmcnt(0)
	s_barrier
	buffer_gl0_inv
	ds_load_2addr_b64 v[72:75], v82 offset0:30 offset1:31
	s_cmp_lt_i32 s5, 17
	s_cbranch_scc1 .LBB34_317
; %bb.315:
	v_add3_u32 v81, v87, 0, 0x100
	v_mov_b32_e32 v80, 15
	s_mov_b32 s6, 16
	s_set_inst_prefetch_distance 0x1
	.p2align	6
.LBB34_316:                             ; =>This Inner Loop Header: Depth=1
	ds_load_2addr_b64 v[89:92], v81 offset1:1
	s_waitcnt lgkmcnt(1)
	v_cmp_gt_f64_e32 vcc_lo, 0, v[72:73]
	v_xor_b32_e32 v93, 0x80000000, v73
	v_cmp_gt_f64_e64 s2, 0, v[74:75]
	v_xor_b32_e32 v95, 0x80000000, v75
	v_add_nc_u32_e32 v81, 16, v81
	s_waitcnt lgkmcnt(0)
	v_cmp_gt_f64_e64 s3, 0, v[89:90]
	v_mov_b32_e32 v97, v89
	v_dual_mov_b32 v99, v91 :: v_dual_cndmask_b32 v94, v73, v93
	v_xor_b32_e32 v93, 0x80000000, v90
	v_cndmask_b32_e64 v96, v75, v95, s2
	v_xor_b32_e32 v95, 0x80000000, v92
	s_delay_alu instid0(VALU_DEP_3) | instskip(SKIP_2) | instid1(VALU_DEP_2)
	v_cndmask_b32_e64 v98, v90, v93, s3
	v_cmp_gt_f64_e64 s3, 0, v[91:92]
	v_cndmask_b32_e32 v93, v72, v72, vcc_lo
	v_cndmask_b32_e64 v100, v92, v95, s3
	v_cndmask_b32_e64 v95, v74, v74, s2
	s_delay_alu instid0(VALU_DEP_2) | instskip(NEXT) | instid1(VALU_DEP_2)
	v_add_f64 v[97:98], v[97:98], v[99:100]
	v_add_f64 v[93:94], v[93:94], v[95:96]
	s_delay_alu instid0(VALU_DEP_1) | instskip(SKIP_4) | instid1(SALU_CYCLE_1)
	v_cmp_lt_f64_e32 vcc_lo, v[93:94], v[97:98]
	v_dual_cndmask_b32 v74, v74, v91 :: v_dual_cndmask_b32 v73, v73, v90
	v_dual_cndmask_b32 v72, v72, v89 :: v_dual_cndmask_b32 v75, v75, v92
	v_cndmask_b32_e64 v80, v80, s6, vcc_lo
	s_add_i32 s6, s6, 1
	s_cmp_lg_u32 s5, s6
	s_cbranch_scc1 .LBB34_316
.LBB34_317:
	s_set_inst_prefetch_distance 0x2
	s_waitcnt lgkmcnt(0)
	v_cmp_eq_f64_e32 vcc_lo, 0, v[72:73]
	v_cmp_eq_f64_e64 s2, 0, v[74:75]
	s_delay_alu instid0(VALU_DEP_1) | instskip(NEXT) | instid1(SALU_CYCLE_1)
	s_and_b32 s2, vcc_lo, s2
	s_and_saveexec_b32 s3, s2
	s_delay_alu instid0(SALU_CYCLE_1)
	s_xor_b32 s2, exec_lo, s3
; %bb.318:
	v_cmp_ne_u32_e32 vcc_lo, 0, v86
	v_cndmask_b32_e32 v86, 16, v86, vcc_lo
; %bb.319:
	s_and_not1_saveexec_b32 s3, s2
	s_cbranch_execz .LBB34_325
; %bb.320:
	v_cmp_gt_f64_e32 vcc_lo, 0, v[72:73]
	v_cmp_gt_f64_e64 s2, 0, v[74:75]
	v_xor_b32_e32 v81, 0x80000000, v73
	v_xor_b32_e32 v89, 0x80000000, v75
	s_delay_alu instid0(VALU_DEP_2) | instskip(NEXT) | instid1(VALU_DEP_2)
	v_cndmask_b32_e32 v90, v73, v81, vcc_lo
	v_cndmask_b32_e64 v92, v75, v89, s2
	v_cndmask_b32_e32 v89, v72, v72, vcc_lo
	v_cndmask_b32_e64 v91, v74, v74, s2
	s_mov_b32 s2, exec_lo
	s_delay_alu instid0(VALU_DEP_1)
	v_cmpx_ngt_f64_e32 v[89:90], v[91:92]
	s_xor_b32 s2, exec_lo, s2
	s_cbranch_execz .LBB34_322
; %bb.321:
	v_div_scale_f64 v[89:90], null, v[74:75], v[74:75], v[72:73]
	v_div_scale_f64 v[95:96], vcc_lo, v[72:73], v[74:75], v[72:73]
	s_delay_alu instid0(VALU_DEP_2) | instskip(SKIP_2) | instid1(VALU_DEP_1)
	v_rcp_f64_e32 v[91:92], v[89:90]
	s_waitcnt_depctr 0xfff
	v_fma_f64 v[93:94], -v[89:90], v[91:92], 1.0
	v_fma_f64 v[91:92], v[91:92], v[93:94], v[91:92]
	s_delay_alu instid0(VALU_DEP_1) | instskip(NEXT) | instid1(VALU_DEP_1)
	v_fma_f64 v[93:94], -v[89:90], v[91:92], 1.0
	v_fma_f64 v[91:92], v[91:92], v[93:94], v[91:92]
	s_delay_alu instid0(VALU_DEP_1) | instskip(NEXT) | instid1(VALU_DEP_1)
	v_mul_f64 v[93:94], v[95:96], v[91:92]
	v_fma_f64 v[89:90], -v[89:90], v[93:94], v[95:96]
	s_delay_alu instid0(VALU_DEP_1) | instskip(NEXT) | instid1(VALU_DEP_1)
	v_div_fmas_f64 v[89:90], v[89:90], v[91:92], v[93:94]
	v_div_fixup_f64 v[89:90], v[89:90], v[74:75], v[72:73]
	s_delay_alu instid0(VALU_DEP_1) | instskip(NEXT) | instid1(VALU_DEP_1)
	v_fma_f64 v[72:73], v[72:73], v[89:90], v[74:75]
	v_div_scale_f64 v[74:75], null, v[72:73], v[72:73], 1.0
	s_delay_alu instid0(VALU_DEP_1) | instskip(SKIP_2) | instid1(VALU_DEP_1)
	v_rcp_f64_e32 v[91:92], v[74:75]
	s_waitcnt_depctr 0xfff
	v_fma_f64 v[93:94], -v[74:75], v[91:92], 1.0
	v_fma_f64 v[91:92], v[91:92], v[93:94], v[91:92]
	s_delay_alu instid0(VALU_DEP_1) | instskip(NEXT) | instid1(VALU_DEP_1)
	v_fma_f64 v[93:94], -v[74:75], v[91:92], 1.0
	v_fma_f64 v[91:92], v[91:92], v[93:94], v[91:92]
	v_div_scale_f64 v[93:94], vcc_lo, 1.0, v[72:73], 1.0
	s_delay_alu instid0(VALU_DEP_1) | instskip(NEXT) | instid1(VALU_DEP_1)
	v_mul_f64 v[95:96], v[93:94], v[91:92]
	v_fma_f64 v[74:75], -v[74:75], v[95:96], v[93:94]
	s_delay_alu instid0(VALU_DEP_1) | instskip(NEXT) | instid1(VALU_DEP_1)
	v_div_fmas_f64 v[74:75], v[74:75], v[91:92], v[95:96]
	v_div_fixup_f64 v[74:75], v[74:75], v[72:73], 1.0
	s_delay_alu instid0(VALU_DEP_1)
	v_mul_f64 v[72:73], v[89:90], v[74:75]
	v_xor_b32_e32 v75, 0x80000000, v75
.LBB34_322:
	s_and_not1_saveexec_b32 s2, s2
	s_cbranch_execz .LBB34_324
; %bb.323:
	s_delay_alu instid0(VALU_DEP_1) | instskip(SKIP_1) | instid1(VALU_DEP_2)
	v_div_scale_f64 v[89:90], null, v[72:73], v[72:73], v[74:75]
	v_div_scale_f64 v[95:96], vcc_lo, v[74:75], v[72:73], v[74:75]
	v_rcp_f64_e32 v[91:92], v[89:90]
	s_waitcnt_depctr 0xfff
	v_fma_f64 v[93:94], -v[89:90], v[91:92], 1.0
	s_delay_alu instid0(VALU_DEP_1) | instskip(NEXT) | instid1(VALU_DEP_1)
	v_fma_f64 v[91:92], v[91:92], v[93:94], v[91:92]
	v_fma_f64 v[93:94], -v[89:90], v[91:92], 1.0
	s_delay_alu instid0(VALU_DEP_1) | instskip(NEXT) | instid1(VALU_DEP_1)
	v_fma_f64 v[91:92], v[91:92], v[93:94], v[91:92]
	v_mul_f64 v[93:94], v[95:96], v[91:92]
	s_delay_alu instid0(VALU_DEP_1) | instskip(NEXT) | instid1(VALU_DEP_1)
	v_fma_f64 v[89:90], -v[89:90], v[93:94], v[95:96]
	v_div_fmas_f64 v[89:90], v[89:90], v[91:92], v[93:94]
	s_delay_alu instid0(VALU_DEP_1) | instskip(NEXT) | instid1(VALU_DEP_1)
	v_div_fixup_f64 v[89:90], v[89:90], v[72:73], v[74:75]
	v_fma_f64 v[72:73], v[74:75], v[89:90], v[72:73]
	s_delay_alu instid0(VALU_DEP_1) | instskip(NEXT) | instid1(VALU_DEP_1)
	v_div_scale_f64 v[74:75], null, v[72:73], v[72:73], 1.0
	v_rcp_f64_e32 v[91:92], v[74:75]
	s_waitcnt_depctr 0xfff
	v_fma_f64 v[93:94], -v[74:75], v[91:92], 1.0
	s_delay_alu instid0(VALU_DEP_1) | instskip(NEXT) | instid1(VALU_DEP_1)
	v_fma_f64 v[91:92], v[91:92], v[93:94], v[91:92]
	v_fma_f64 v[93:94], -v[74:75], v[91:92], 1.0
	s_delay_alu instid0(VALU_DEP_1) | instskip(SKIP_1) | instid1(VALU_DEP_1)
	v_fma_f64 v[91:92], v[91:92], v[93:94], v[91:92]
	v_div_scale_f64 v[93:94], vcc_lo, 1.0, v[72:73], 1.0
	v_mul_f64 v[95:96], v[93:94], v[91:92]
	s_delay_alu instid0(VALU_DEP_1) | instskip(NEXT) | instid1(VALU_DEP_1)
	v_fma_f64 v[74:75], -v[74:75], v[95:96], v[93:94]
	v_div_fmas_f64 v[74:75], v[74:75], v[91:92], v[95:96]
	s_delay_alu instid0(VALU_DEP_1) | instskip(NEXT) | instid1(VALU_DEP_1)
	v_div_fixup_f64 v[72:73], v[74:75], v[72:73], 1.0
	v_mul_f64 v[74:75], v[89:90], -v[72:73]
.LBB34_324:
	s_or_b32 exec_lo, exec_lo, s2
.LBB34_325:
	s_delay_alu instid0(SALU_CYCLE_1) | instskip(NEXT) | instid1(SALU_CYCLE_1)
	s_or_b32 exec_lo, exec_lo, s3
	s_mov_b32 s2, exec_lo
	v_cmpx_ne_u32_e64 v88, v80
	s_xor_b32 s2, exec_lo, s2
	s_cbranch_execz .LBB34_331
; %bb.326:
	s_mov_b32 s3, exec_lo
	v_cmpx_eq_u32_e32 15, v88
	s_cbranch_execz .LBB34_330
; %bb.327:
	v_cmp_ne_u32_e32 vcc_lo, 15, v80
	s_xor_b32 s6, s4, -1
	s_delay_alu instid0(SALU_CYCLE_1) | instskip(NEXT) | instid1(SALU_CYCLE_1)
	s_and_b32 s7, s6, vcc_lo
	s_and_saveexec_b32 s6, s7
	s_cbranch_execz .LBB34_329
; %bb.328:
	v_ashrrev_i32_e32 v81, 31, v80
	s_delay_alu instid0(VALU_DEP_1) | instskip(NEXT) | instid1(VALU_DEP_1)
	v_lshlrev_b64 v[88:89], 2, v[80:81]
	v_add_co_u32 v88, vcc_lo, v78, v88
	s_delay_alu instid0(VALU_DEP_2)
	v_add_co_ci_u32_e32 v89, vcc_lo, v79, v89, vcc_lo
	s_clause 0x1
	flat_load_b32 v81, v[88:89]
	flat_load_b32 v85, v[78:79] offset:60
	s_waitcnt vmcnt(1) lgkmcnt(1)
	flat_store_b32 v[78:79], v81 offset:60
	s_waitcnt vmcnt(0) lgkmcnt(1)
	flat_store_b32 v[88:89], v85
.LBB34_329:
	s_or_b32 exec_lo, exec_lo, s6
	v_mov_b32_e32 v88, v80
	v_mov_b32_e32 v85, v80
.LBB34_330:
	s_or_b32 exec_lo, exec_lo, s3
.LBB34_331:
	s_and_not1_saveexec_b32 s2, s2
	s_cbranch_execz .LBB34_333
; %bb.332:
	v_mov_b32_e32 v88, 15
	ds_store_2addr_b64 v82, v[4:5], v[6:7] offset0:32 offset1:33
	ds_store_2addr_b64 v82, v[0:1], v[2:3] offset0:34 offset1:35
.LBB34_333:
	s_or_b32 exec_lo, exec_lo, s2
	s_delay_alu instid0(SALU_CYCLE_1)
	s_mov_b32 s2, exec_lo
	s_waitcnt lgkmcnt(0)
	s_waitcnt_vscnt null, 0x0
	s_barrier
	buffer_gl0_inv
	v_cmpx_lt_i32_e32 15, v88
	s_cbranch_execz .LBB34_335
; %bb.334:
	v_mul_f64 v[80:81], v[72:73], v[10:11]
	v_mul_f64 v[10:11], v[74:75], v[10:11]
	ds_load_2addr_b64 v[89:92], v82 offset0:32 offset1:33
	ds_load_2addr_b64 v[93:96], v82 offset0:34 offset1:35
	v_fma_f64 v[74:75], v[74:75], v[8:9], v[80:81]
	v_fma_f64 v[8:9], v[72:73], v[8:9], -v[10:11]
	s_waitcnt lgkmcnt(1)
	s_delay_alu instid0(VALU_DEP_2) | instskip(SKIP_4) | instid1(VALU_DEP_4)
	v_mul_f64 v[10:11], v[91:92], v[74:75]
	v_mul_f64 v[72:73], v[89:90], v[74:75]
	s_waitcnt lgkmcnt(0)
	v_mul_f64 v[80:81], v[95:96], v[74:75]
	v_mul_f64 v[97:98], v[93:94], v[74:75]
	v_fma_f64 v[10:11], v[89:90], v[8:9], -v[10:11]
	s_delay_alu instid0(VALU_DEP_4) | instskip(NEXT) | instid1(VALU_DEP_4)
	v_fma_f64 v[72:73], v[91:92], v[8:9], v[72:73]
	v_fma_f64 v[80:81], v[93:94], v[8:9], -v[80:81]
	s_delay_alu instid0(VALU_DEP_4) | instskip(NEXT) | instid1(VALU_DEP_4)
	v_fma_f64 v[89:90], v[95:96], v[8:9], v[97:98]
	v_add_f64 v[4:5], v[4:5], -v[10:11]
	s_delay_alu instid0(VALU_DEP_4) | instskip(NEXT) | instid1(VALU_DEP_4)
	v_add_f64 v[6:7], v[6:7], -v[72:73]
	v_add_f64 v[0:1], v[0:1], -v[80:81]
	s_delay_alu instid0(VALU_DEP_4)
	v_add_f64 v[2:3], v[2:3], -v[89:90]
	v_dual_mov_b32 v10, v74 :: v_dual_mov_b32 v11, v75
.LBB34_335:
	s_or_b32 exec_lo, exec_lo, s2
	v_lshl_add_u32 v72, v88, 4, v82
	s_barrier
	buffer_gl0_inv
	v_mov_b32_e32 v80, 16
	ds_store_2addr_b64 v72, v[4:5], v[6:7] offset1:1
	s_waitcnt lgkmcnt(0)
	s_barrier
	buffer_gl0_inv
	ds_load_2addr_b64 v[72:75], v82 offset0:32 offset1:33
	s_cmp_lt_i32 s5, 18
	s_cbranch_scc1 .LBB34_338
; %bb.336:
	v_add3_u32 v81, v87, 0, 0x110
	v_mov_b32_e32 v80, 16
	s_mov_b32 s6, 17
	s_set_inst_prefetch_distance 0x1
	.p2align	6
.LBB34_337:                             ; =>This Inner Loop Header: Depth=1
	ds_load_2addr_b64 v[89:92], v81 offset1:1
	s_waitcnt lgkmcnt(1)
	v_cmp_gt_f64_e32 vcc_lo, 0, v[72:73]
	v_xor_b32_e32 v93, 0x80000000, v73
	v_cmp_gt_f64_e64 s2, 0, v[74:75]
	v_xor_b32_e32 v95, 0x80000000, v75
	v_add_nc_u32_e32 v81, 16, v81
	s_waitcnt lgkmcnt(0)
	v_cmp_gt_f64_e64 s3, 0, v[89:90]
	v_mov_b32_e32 v97, v89
	v_dual_mov_b32 v99, v91 :: v_dual_cndmask_b32 v94, v73, v93
	v_xor_b32_e32 v93, 0x80000000, v90
	v_cndmask_b32_e64 v96, v75, v95, s2
	v_xor_b32_e32 v95, 0x80000000, v92
	s_delay_alu instid0(VALU_DEP_3) | instskip(SKIP_2) | instid1(VALU_DEP_2)
	v_cndmask_b32_e64 v98, v90, v93, s3
	v_cmp_gt_f64_e64 s3, 0, v[91:92]
	v_cndmask_b32_e32 v93, v72, v72, vcc_lo
	v_cndmask_b32_e64 v100, v92, v95, s3
	v_cndmask_b32_e64 v95, v74, v74, s2
	s_delay_alu instid0(VALU_DEP_2) | instskip(NEXT) | instid1(VALU_DEP_2)
	v_add_f64 v[97:98], v[97:98], v[99:100]
	v_add_f64 v[93:94], v[93:94], v[95:96]
	s_delay_alu instid0(VALU_DEP_1) | instskip(SKIP_4) | instid1(SALU_CYCLE_1)
	v_cmp_lt_f64_e32 vcc_lo, v[93:94], v[97:98]
	v_dual_cndmask_b32 v74, v74, v91 :: v_dual_cndmask_b32 v73, v73, v90
	v_dual_cndmask_b32 v72, v72, v89 :: v_dual_cndmask_b32 v75, v75, v92
	v_cndmask_b32_e64 v80, v80, s6, vcc_lo
	s_add_i32 s6, s6, 1
	s_cmp_lg_u32 s5, s6
	s_cbranch_scc1 .LBB34_337
.LBB34_338:
	s_set_inst_prefetch_distance 0x2
	s_waitcnt lgkmcnt(0)
	v_cmp_eq_f64_e32 vcc_lo, 0, v[72:73]
	v_cmp_eq_f64_e64 s2, 0, v[74:75]
	s_delay_alu instid0(VALU_DEP_1) | instskip(NEXT) | instid1(SALU_CYCLE_1)
	s_and_b32 s2, vcc_lo, s2
	s_and_saveexec_b32 s3, s2
	s_delay_alu instid0(SALU_CYCLE_1)
	s_xor_b32 s2, exec_lo, s3
; %bb.339:
	v_cmp_ne_u32_e32 vcc_lo, 0, v86
	v_cndmask_b32_e32 v86, 17, v86, vcc_lo
; %bb.340:
	s_and_not1_saveexec_b32 s3, s2
	s_cbranch_execz .LBB34_346
; %bb.341:
	v_cmp_gt_f64_e32 vcc_lo, 0, v[72:73]
	v_cmp_gt_f64_e64 s2, 0, v[74:75]
	v_xor_b32_e32 v81, 0x80000000, v73
	v_xor_b32_e32 v89, 0x80000000, v75
	s_delay_alu instid0(VALU_DEP_2) | instskip(NEXT) | instid1(VALU_DEP_2)
	v_cndmask_b32_e32 v90, v73, v81, vcc_lo
	v_cndmask_b32_e64 v92, v75, v89, s2
	v_cndmask_b32_e32 v89, v72, v72, vcc_lo
	v_cndmask_b32_e64 v91, v74, v74, s2
	s_mov_b32 s2, exec_lo
	s_delay_alu instid0(VALU_DEP_1)
	v_cmpx_ngt_f64_e32 v[89:90], v[91:92]
	s_xor_b32 s2, exec_lo, s2
	s_cbranch_execz .LBB34_343
; %bb.342:
	v_div_scale_f64 v[89:90], null, v[74:75], v[74:75], v[72:73]
	v_div_scale_f64 v[95:96], vcc_lo, v[72:73], v[74:75], v[72:73]
	s_delay_alu instid0(VALU_DEP_2) | instskip(SKIP_2) | instid1(VALU_DEP_1)
	v_rcp_f64_e32 v[91:92], v[89:90]
	s_waitcnt_depctr 0xfff
	v_fma_f64 v[93:94], -v[89:90], v[91:92], 1.0
	v_fma_f64 v[91:92], v[91:92], v[93:94], v[91:92]
	s_delay_alu instid0(VALU_DEP_1) | instskip(NEXT) | instid1(VALU_DEP_1)
	v_fma_f64 v[93:94], -v[89:90], v[91:92], 1.0
	v_fma_f64 v[91:92], v[91:92], v[93:94], v[91:92]
	s_delay_alu instid0(VALU_DEP_1) | instskip(NEXT) | instid1(VALU_DEP_1)
	v_mul_f64 v[93:94], v[95:96], v[91:92]
	v_fma_f64 v[89:90], -v[89:90], v[93:94], v[95:96]
	s_delay_alu instid0(VALU_DEP_1) | instskip(NEXT) | instid1(VALU_DEP_1)
	v_div_fmas_f64 v[89:90], v[89:90], v[91:92], v[93:94]
	v_div_fixup_f64 v[89:90], v[89:90], v[74:75], v[72:73]
	s_delay_alu instid0(VALU_DEP_1) | instskip(NEXT) | instid1(VALU_DEP_1)
	v_fma_f64 v[72:73], v[72:73], v[89:90], v[74:75]
	v_div_scale_f64 v[74:75], null, v[72:73], v[72:73], 1.0
	s_delay_alu instid0(VALU_DEP_1) | instskip(SKIP_2) | instid1(VALU_DEP_1)
	v_rcp_f64_e32 v[91:92], v[74:75]
	s_waitcnt_depctr 0xfff
	v_fma_f64 v[93:94], -v[74:75], v[91:92], 1.0
	v_fma_f64 v[91:92], v[91:92], v[93:94], v[91:92]
	s_delay_alu instid0(VALU_DEP_1) | instskip(NEXT) | instid1(VALU_DEP_1)
	v_fma_f64 v[93:94], -v[74:75], v[91:92], 1.0
	v_fma_f64 v[91:92], v[91:92], v[93:94], v[91:92]
	v_div_scale_f64 v[93:94], vcc_lo, 1.0, v[72:73], 1.0
	s_delay_alu instid0(VALU_DEP_1) | instskip(NEXT) | instid1(VALU_DEP_1)
	v_mul_f64 v[95:96], v[93:94], v[91:92]
	v_fma_f64 v[74:75], -v[74:75], v[95:96], v[93:94]
	s_delay_alu instid0(VALU_DEP_1) | instskip(NEXT) | instid1(VALU_DEP_1)
	v_div_fmas_f64 v[74:75], v[74:75], v[91:92], v[95:96]
	v_div_fixup_f64 v[74:75], v[74:75], v[72:73], 1.0
	s_delay_alu instid0(VALU_DEP_1)
	v_mul_f64 v[72:73], v[89:90], v[74:75]
	v_xor_b32_e32 v75, 0x80000000, v75
.LBB34_343:
	s_and_not1_saveexec_b32 s2, s2
	s_cbranch_execz .LBB34_345
; %bb.344:
	s_delay_alu instid0(VALU_DEP_1) | instskip(SKIP_1) | instid1(VALU_DEP_2)
	v_div_scale_f64 v[89:90], null, v[72:73], v[72:73], v[74:75]
	v_div_scale_f64 v[95:96], vcc_lo, v[74:75], v[72:73], v[74:75]
	v_rcp_f64_e32 v[91:92], v[89:90]
	s_waitcnt_depctr 0xfff
	v_fma_f64 v[93:94], -v[89:90], v[91:92], 1.0
	s_delay_alu instid0(VALU_DEP_1) | instskip(NEXT) | instid1(VALU_DEP_1)
	v_fma_f64 v[91:92], v[91:92], v[93:94], v[91:92]
	v_fma_f64 v[93:94], -v[89:90], v[91:92], 1.0
	s_delay_alu instid0(VALU_DEP_1) | instskip(NEXT) | instid1(VALU_DEP_1)
	v_fma_f64 v[91:92], v[91:92], v[93:94], v[91:92]
	v_mul_f64 v[93:94], v[95:96], v[91:92]
	s_delay_alu instid0(VALU_DEP_1) | instskip(NEXT) | instid1(VALU_DEP_1)
	v_fma_f64 v[89:90], -v[89:90], v[93:94], v[95:96]
	v_div_fmas_f64 v[89:90], v[89:90], v[91:92], v[93:94]
	s_delay_alu instid0(VALU_DEP_1) | instskip(NEXT) | instid1(VALU_DEP_1)
	v_div_fixup_f64 v[89:90], v[89:90], v[72:73], v[74:75]
	v_fma_f64 v[72:73], v[74:75], v[89:90], v[72:73]
	s_delay_alu instid0(VALU_DEP_1) | instskip(NEXT) | instid1(VALU_DEP_1)
	v_div_scale_f64 v[74:75], null, v[72:73], v[72:73], 1.0
	v_rcp_f64_e32 v[91:92], v[74:75]
	s_waitcnt_depctr 0xfff
	v_fma_f64 v[93:94], -v[74:75], v[91:92], 1.0
	s_delay_alu instid0(VALU_DEP_1) | instskip(NEXT) | instid1(VALU_DEP_1)
	v_fma_f64 v[91:92], v[91:92], v[93:94], v[91:92]
	v_fma_f64 v[93:94], -v[74:75], v[91:92], 1.0
	s_delay_alu instid0(VALU_DEP_1) | instskip(SKIP_1) | instid1(VALU_DEP_1)
	v_fma_f64 v[91:92], v[91:92], v[93:94], v[91:92]
	v_div_scale_f64 v[93:94], vcc_lo, 1.0, v[72:73], 1.0
	v_mul_f64 v[95:96], v[93:94], v[91:92]
	s_delay_alu instid0(VALU_DEP_1) | instskip(NEXT) | instid1(VALU_DEP_1)
	v_fma_f64 v[74:75], -v[74:75], v[95:96], v[93:94]
	v_div_fmas_f64 v[74:75], v[74:75], v[91:92], v[95:96]
	s_delay_alu instid0(VALU_DEP_1) | instskip(NEXT) | instid1(VALU_DEP_1)
	v_div_fixup_f64 v[72:73], v[74:75], v[72:73], 1.0
	v_mul_f64 v[74:75], v[89:90], -v[72:73]
.LBB34_345:
	s_or_b32 exec_lo, exec_lo, s2
.LBB34_346:
	s_delay_alu instid0(SALU_CYCLE_1) | instskip(NEXT) | instid1(SALU_CYCLE_1)
	s_or_b32 exec_lo, exec_lo, s3
	s_mov_b32 s2, exec_lo
	v_cmpx_ne_u32_e64 v88, v80
	s_xor_b32 s2, exec_lo, s2
	s_cbranch_execz .LBB34_352
; %bb.347:
	s_mov_b32 s3, exec_lo
	v_cmpx_eq_u32_e32 16, v88
	s_cbranch_execz .LBB34_351
; %bb.348:
	v_cmp_ne_u32_e32 vcc_lo, 16, v80
	s_xor_b32 s6, s4, -1
	s_delay_alu instid0(SALU_CYCLE_1) | instskip(NEXT) | instid1(SALU_CYCLE_1)
	s_and_b32 s7, s6, vcc_lo
	s_and_saveexec_b32 s6, s7
	s_cbranch_execz .LBB34_350
; %bb.349:
	v_ashrrev_i32_e32 v81, 31, v80
	s_delay_alu instid0(VALU_DEP_1) | instskip(NEXT) | instid1(VALU_DEP_1)
	v_lshlrev_b64 v[88:89], 2, v[80:81]
	v_add_co_u32 v88, vcc_lo, v78, v88
	s_delay_alu instid0(VALU_DEP_2)
	v_add_co_ci_u32_e32 v89, vcc_lo, v79, v89, vcc_lo
	s_clause 0x1
	flat_load_b32 v81, v[88:89]
	flat_load_b32 v85, v[78:79] offset:64
	s_waitcnt vmcnt(1) lgkmcnt(1)
	flat_store_b32 v[78:79], v81 offset:64
	s_waitcnt vmcnt(0) lgkmcnt(1)
	flat_store_b32 v[88:89], v85
.LBB34_350:
	s_or_b32 exec_lo, exec_lo, s6
	v_mov_b32_e32 v88, v80
	v_mov_b32_e32 v85, v80
.LBB34_351:
	s_or_b32 exec_lo, exec_lo, s3
.LBB34_352:
	s_and_not1_saveexec_b32 s2, s2
	s_cbranch_execz .LBB34_354
; %bb.353:
	v_mov_b32_e32 v88, 16
	ds_store_2addr_b64 v82, v[0:1], v[2:3] offset0:34 offset1:35
.LBB34_354:
	s_or_b32 exec_lo, exec_lo, s2
	s_delay_alu instid0(SALU_CYCLE_1)
	s_mov_b32 s2, exec_lo
	s_waitcnt lgkmcnt(0)
	s_waitcnt_vscnt null, 0x0
	s_barrier
	buffer_gl0_inv
	v_cmpx_lt_i32_e32 16, v88
	s_cbranch_execz .LBB34_356
; %bb.355:
	v_mul_f64 v[80:81], v[72:73], v[6:7]
	v_mul_f64 v[6:7], v[74:75], v[6:7]
	ds_load_2addr_b64 v[89:92], v82 offset0:34 offset1:35
	v_fma_f64 v[74:75], v[74:75], v[4:5], v[80:81]
	v_fma_f64 v[4:5], v[72:73], v[4:5], -v[6:7]
	s_waitcnt lgkmcnt(0)
	s_delay_alu instid0(VALU_DEP_2) | instskip(SKIP_1) | instid1(VALU_DEP_2)
	v_mul_f64 v[6:7], v[91:92], v[74:75]
	v_mul_f64 v[72:73], v[89:90], v[74:75]
	v_fma_f64 v[6:7], v[89:90], v[4:5], -v[6:7]
	s_delay_alu instid0(VALU_DEP_2) | instskip(NEXT) | instid1(VALU_DEP_2)
	v_fma_f64 v[72:73], v[91:92], v[4:5], v[72:73]
	v_add_f64 v[0:1], v[0:1], -v[6:7]
	s_delay_alu instid0(VALU_DEP_2)
	v_add_f64 v[2:3], v[2:3], -v[72:73]
	v_dual_mov_b32 v6, v74 :: v_dual_mov_b32 v7, v75
.LBB34_356:
	s_or_b32 exec_lo, exec_lo, s2
	v_lshl_add_u32 v72, v88, 4, v82
	s_barrier
	buffer_gl0_inv
	v_mov_b32_e32 v80, 17
	ds_store_2addr_b64 v72, v[0:1], v[2:3] offset1:1
	s_waitcnt lgkmcnt(0)
	s_barrier
	buffer_gl0_inv
	ds_load_2addr_b64 v[72:75], v82 offset0:34 offset1:35
	s_cmp_lt_i32 s5, 19
	s_cbranch_scc1 .LBB34_359
; %bb.357:
	v_add3_u32 v81, v87, 0, 0x120
	v_mov_b32_e32 v80, 17
	s_mov_b32 s6, 18
	s_set_inst_prefetch_distance 0x1
	.p2align	6
.LBB34_358:                             ; =>This Inner Loop Header: Depth=1
	ds_load_2addr_b64 v[89:92], v81 offset1:1
	s_waitcnt lgkmcnt(1)
	v_cmp_gt_f64_e32 vcc_lo, 0, v[72:73]
	v_xor_b32_e32 v82, 0x80000000, v73
	v_cmp_gt_f64_e64 s2, 0, v[74:75]
	v_xor_b32_e32 v87, 0x80000000, v75
	v_add_nc_u32_e32 v81, 16, v81
	s_waitcnt lgkmcnt(0)
	v_cmp_gt_f64_e64 s3, 0, v[89:90]
	v_mov_b32_e32 v97, v89
	v_dual_mov_b32 v99, v91 :: v_dual_cndmask_b32 v94, v73, v82
	v_xor_b32_e32 v82, 0x80000000, v90
	v_cndmask_b32_e64 v96, v75, v87, s2
	v_xor_b32_e32 v87, 0x80000000, v92
	v_cndmask_b32_e32 v93, v72, v72, vcc_lo
	v_cndmask_b32_e64 v95, v74, v74, s2
	s_delay_alu instid0(VALU_DEP_1) | instskip(SKIP_2) | instid1(VALU_DEP_1)
	v_add_f64 v[93:94], v[93:94], v[95:96]
	v_cndmask_b32_e64 v98, v90, v82, s3
	v_cmp_gt_f64_e64 s3, 0, v[91:92]
	v_cndmask_b32_e64 v100, v92, v87, s3
	s_delay_alu instid0(VALU_DEP_1) | instskip(NEXT) | instid1(VALU_DEP_1)
	v_add_f64 v[97:98], v[97:98], v[99:100]
	v_cmp_lt_f64_e32 vcc_lo, v[93:94], v[97:98]
	v_dual_cndmask_b32 v74, v74, v91 :: v_dual_cndmask_b32 v73, v73, v90
	v_dual_cndmask_b32 v72, v72, v89 :: v_dual_cndmask_b32 v75, v75, v92
	v_cndmask_b32_e64 v80, v80, s6, vcc_lo
	s_add_i32 s6, s6, 1
	s_delay_alu instid0(SALU_CYCLE_1)
	s_cmp_lg_u32 s5, s6
	s_cbranch_scc1 .LBB34_358
.LBB34_359:
	s_set_inst_prefetch_distance 0x2
	s_waitcnt lgkmcnt(0)
	v_cmp_eq_f64_e32 vcc_lo, 0, v[72:73]
	v_cmp_eq_f64_e64 s2, 0, v[74:75]
	s_delay_alu instid0(VALU_DEP_1) | instskip(NEXT) | instid1(SALU_CYCLE_1)
	s_and_b32 s2, vcc_lo, s2
	s_and_saveexec_b32 s3, s2
	s_delay_alu instid0(SALU_CYCLE_1)
	s_xor_b32 s2, exec_lo, s3
; %bb.360:
	v_cmp_ne_u32_e32 vcc_lo, 0, v86
	v_cndmask_b32_e32 v86, 18, v86, vcc_lo
; %bb.361:
	s_and_not1_saveexec_b32 s3, s2
	s_cbranch_execz .LBB34_367
; %bb.362:
	v_cmp_gt_f64_e32 vcc_lo, 0, v[72:73]
	v_cmp_gt_f64_e64 s2, 0, v[74:75]
	v_xor_b32_e32 v81, 0x80000000, v73
	v_xor_b32_e32 v87, 0x80000000, v75
	s_delay_alu instid0(VALU_DEP_2) | instskip(NEXT) | instid1(VALU_DEP_2)
	v_dual_cndmask_b32 v82, v73, v81 :: v_dual_cndmask_b32 v81, v72, v72
	v_cndmask_b32_e64 v90, v75, v87, s2
	v_cndmask_b32_e64 v89, v74, v74, s2
	s_mov_b32 s2, exec_lo
	s_delay_alu instid0(VALU_DEP_1)
	v_cmpx_ngt_f64_e32 v[81:82], v[89:90]
	s_xor_b32 s2, exec_lo, s2
	s_cbranch_execz .LBB34_364
; %bb.363:
	v_div_scale_f64 v[81:82], null, v[74:75], v[74:75], v[72:73]
	v_div_scale_f64 v[93:94], vcc_lo, v[72:73], v[74:75], v[72:73]
	s_delay_alu instid0(VALU_DEP_2) | instskip(SKIP_2) | instid1(VALU_DEP_1)
	v_rcp_f64_e32 v[89:90], v[81:82]
	s_waitcnt_depctr 0xfff
	v_fma_f64 v[91:92], -v[81:82], v[89:90], 1.0
	v_fma_f64 v[89:90], v[89:90], v[91:92], v[89:90]
	s_delay_alu instid0(VALU_DEP_1) | instskip(NEXT) | instid1(VALU_DEP_1)
	v_fma_f64 v[91:92], -v[81:82], v[89:90], 1.0
	v_fma_f64 v[89:90], v[89:90], v[91:92], v[89:90]
	s_delay_alu instid0(VALU_DEP_1) | instskip(NEXT) | instid1(VALU_DEP_1)
	v_mul_f64 v[91:92], v[93:94], v[89:90]
	v_fma_f64 v[81:82], -v[81:82], v[91:92], v[93:94]
	s_delay_alu instid0(VALU_DEP_1) | instskip(NEXT) | instid1(VALU_DEP_1)
	v_div_fmas_f64 v[81:82], v[81:82], v[89:90], v[91:92]
	v_div_fixup_f64 v[81:82], v[81:82], v[74:75], v[72:73]
	s_delay_alu instid0(VALU_DEP_1) | instskip(NEXT) | instid1(VALU_DEP_1)
	v_fma_f64 v[72:73], v[72:73], v[81:82], v[74:75]
	v_div_scale_f64 v[74:75], null, v[72:73], v[72:73], 1.0
	s_delay_alu instid0(VALU_DEP_1) | instskip(SKIP_2) | instid1(VALU_DEP_1)
	v_rcp_f64_e32 v[89:90], v[74:75]
	s_waitcnt_depctr 0xfff
	v_fma_f64 v[91:92], -v[74:75], v[89:90], 1.0
	v_fma_f64 v[89:90], v[89:90], v[91:92], v[89:90]
	s_delay_alu instid0(VALU_DEP_1) | instskip(NEXT) | instid1(VALU_DEP_1)
	v_fma_f64 v[91:92], -v[74:75], v[89:90], 1.0
	v_fma_f64 v[89:90], v[89:90], v[91:92], v[89:90]
	v_div_scale_f64 v[91:92], vcc_lo, 1.0, v[72:73], 1.0
	s_delay_alu instid0(VALU_DEP_1) | instskip(NEXT) | instid1(VALU_DEP_1)
	v_mul_f64 v[93:94], v[91:92], v[89:90]
	v_fma_f64 v[74:75], -v[74:75], v[93:94], v[91:92]
	s_delay_alu instid0(VALU_DEP_1) | instskip(NEXT) | instid1(VALU_DEP_1)
	v_div_fmas_f64 v[74:75], v[74:75], v[89:90], v[93:94]
	v_div_fixup_f64 v[74:75], v[74:75], v[72:73], 1.0
	s_delay_alu instid0(VALU_DEP_1)
	v_mul_f64 v[72:73], v[81:82], v[74:75]
	v_xor_b32_e32 v75, 0x80000000, v75
.LBB34_364:
	s_and_not1_saveexec_b32 s2, s2
	s_cbranch_execz .LBB34_366
; %bb.365:
	s_delay_alu instid0(VALU_DEP_1) | instskip(SKIP_1) | instid1(VALU_DEP_2)
	v_div_scale_f64 v[81:82], null, v[72:73], v[72:73], v[74:75]
	v_div_scale_f64 v[93:94], vcc_lo, v[74:75], v[72:73], v[74:75]
	v_rcp_f64_e32 v[89:90], v[81:82]
	s_waitcnt_depctr 0xfff
	v_fma_f64 v[91:92], -v[81:82], v[89:90], 1.0
	s_delay_alu instid0(VALU_DEP_1) | instskip(NEXT) | instid1(VALU_DEP_1)
	v_fma_f64 v[89:90], v[89:90], v[91:92], v[89:90]
	v_fma_f64 v[91:92], -v[81:82], v[89:90], 1.0
	s_delay_alu instid0(VALU_DEP_1) | instskip(NEXT) | instid1(VALU_DEP_1)
	v_fma_f64 v[89:90], v[89:90], v[91:92], v[89:90]
	v_mul_f64 v[91:92], v[93:94], v[89:90]
	s_delay_alu instid0(VALU_DEP_1) | instskip(NEXT) | instid1(VALU_DEP_1)
	v_fma_f64 v[81:82], -v[81:82], v[91:92], v[93:94]
	v_div_fmas_f64 v[81:82], v[81:82], v[89:90], v[91:92]
	s_delay_alu instid0(VALU_DEP_1) | instskip(NEXT) | instid1(VALU_DEP_1)
	v_div_fixup_f64 v[81:82], v[81:82], v[72:73], v[74:75]
	v_fma_f64 v[72:73], v[74:75], v[81:82], v[72:73]
	s_delay_alu instid0(VALU_DEP_1) | instskip(NEXT) | instid1(VALU_DEP_1)
	v_div_scale_f64 v[74:75], null, v[72:73], v[72:73], 1.0
	v_rcp_f64_e32 v[89:90], v[74:75]
	s_waitcnt_depctr 0xfff
	v_fma_f64 v[91:92], -v[74:75], v[89:90], 1.0
	s_delay_alu instid0(VALU_DEP_1) | instskip(NEXT) | instid1(VALU_DEP_1)
	v_fma_f64 v[89:90], v[89:90], v[91:92], v[89:90]
	v_fma_f64 v[91:92], -v[74:75], v[89:90], 1.0
	s_delay_alu instid0(VALU_DEP_1) | instskip(SKIP_1) | instid1(VALU_DEP_1)
	v_fma_f64 v[89:90], v[89:90], v[91:92], v[89:90]
	v_div_scale_f64 v[91:92], vcc_lo, 1.0, v[72:73], 1.0
	v_mul_f64 v[93:94], v[91:92], v[89:90]
	s_delay_alu instid0(VALU_DEP_1) | instskip(NEXT) | instid1(VALU_DEP_1)
	v_fma_f64 v[74:75], -v[74:75], v[93:94], v[91:92]
	v_div_fmas_f64 v[74:75], v[74:75], v[89:90], v[93:94]
	s_delay_alu instid0(VALU_DEP_1) | instskip(NEXT) | instid1(VALU_DEP_1)
	v_div_fixup_f64 v[72:73], v[74:75], v[72:73], 1.0
	v_mul_f64 v[74:75], v[81:82], -v[72:73]
.LBB34_366:
	s_or_b32 exec_lo, exec_lo, s2
.LBB34_367:
	s_delay_alu instid0(SALU_CYCLE_1)
	s_or_b32 exec_lo, exec_lo, s3
	v_mov_b32_e32 v81, 17
	s_mov_b32 s2, exec_lo
	v_cmpx_ne_u32_e64 v88, v80
	s_cbranch_execz .LBB34_373
; %bb.368:
	s_mov_b32 s3, exec_lo
	v_cmpx_eq_u32_e32 17, v88
	s_cbranch_execz .LBB34_372
; %bb.369:
	v_cmp_ne_u32_e32 vcc_lo, 17, v80
	s_xor_b32 s4, s4, -1
	s_delay_alu instid0(SALU_CYCLE_1) | instskip(NEXT) | instid1(SALU_CYCLE_1)
	s_and_b32 s5, s4, vcc_lo
	s_and_saveexec_b32 s4, s5
	s_cbranch_execz .LBB34_371
; %bb.370:
	v_ashrrev_i32_e32 v81, 31, v80
	s_delay_alu instid0(VALU_DEP_1) | instskip(NEXT) | instid1(VALU_DEP_1)
	v_lshlrev_b64 v[81:82], 2, v[80:81]
	v_add_co_u32 v81, vcc_lo, v78, v81
	s_delay_alu instid0(VALU_DEP_2)
	v_add_co_ci_u32_e32 v82, vcc_lo, v79, v82, vcc_lo
	s_clause 0x1
	flat_load_b32 v85, v[81:82]
	flat_load_b32 v87, v[78:79] offset:68
	s_waitcnt vmcnt(1) lgkmcnt(1)
	flat_store_b32 v[78:79], v85 offset:68
	s_waitcnt vmcnt(0) lgkmcnt(1)
	flat_store_b32 v[81:82], v87
.LBB34_371:
	s_or_b32 exec_lo, exec_lo, s4
	v_mov_b32_e32 v88, v80
	v_mov_b32_e32 v85, v80
.LBB34_372:
	s_or_b32 exec_lo, exec_lo, s3
	s_delay_alu instid0(VALU_DEP_2)
	v_mov_b32_e32 v81, v88
.LBB34_373:
	s_or_b32 exec_lo, exec_lo, s2
	s_delay_alu instid0(SALU_CYCLE_1)
	s_mov_b32 s2, exec_lo
	s_waitcnt lgkmcnt(0)
	s_waitcnt_vscnt null, 0x0
	s_barrier
	buffer_gl0_inv
	v_cmpx_lt_i32_e32 17, v81
; %bb.374:
	v_mul_f64 v[78:79], v[74:75], v[2:3]
	v_mul_f64 v[2:3], v[72:73], v[2:3]
	s_delay_alu instid0(VALU_DEP_2) | instskip(NEXT) | instid1(VALU_DEP_2)
	v_fma_f64 v[72:73], v[72:73], v[0:1], -v[78:79]
	v_fma_f64 v[2:3], v[74:75], v[0:1], v[2:3]
	s_delay_alu instid0(VALU_DEP_2)
	v_dual_mov_b32 v0, v72 :: v_dual_mov_b32 v1, v73
; %bb.375:
	s_or_b32 exec_lo, exec_lo, s2
	s_load_b256 s[0:7], s[0:1], 0x28
	v_ashrrev_i32_e32 v82, 31, v81
	s_mov_b32 s9, exec_lo
	s_waitcnt lgkmcnt(0)
	s_barrier
	buffer_gl0_inv
	v_cmpx_gt_i32_e32 18, v81
	s_cbranch_execz .LBB34_377
; %bb.376:
	v_mul_lo_u32 v74, v77, s4
	v_mul_lo_u32 v75, v76, s5
	v_mad_u64_u32 v[72:73], null, v76, s4, 0
	s_lshl_b64 s[2:3], s[2:3], 2
	s_delay_alu instid0(SALU_CYCLE_1) | instskip(SKIP_1) | instid1(VALU_DEP_1)
	s_add_u32 s0, s2, s0
	s_addc_u32 s1, s3, s1
	v_add3_u32 v73, v73, v75, v74
	v_lshlrev_b64 v[74:75], 2, v[81:82]
	s_delay_alu instid0(VALU_DEP_2) | instskip(NEXT) | instid1(VALU_DEP_1)
	v_lshlrev_b64 v[72:73], 2, v[72:73]
	v_add_co_u32 v72, vcc_lo, s0, v72
	s_delay_alu instid0(VALU_DEP_2) | instskip(NEXT) | instid1(VALU_DEP_2)
	v_add_co_ci_u32_e32 v73, vcc_lo, s1, v73, vcc_lo
	v_add_co_u32 v72, vcc_lo, v72, v74
	s_delay_alu instid0(VALU_DEP_2)
	v_add_co_ci_u32_e32 v73, vcc_lo, v73, v75, vcc_lo
	v_add3_u32 v74, v85, s13, 1
	global_store_b32 v[72:73], v74, off
.LBB34_377:
	s_or_b32 exec_lo, exec_lo, s9
	s_delay_alu instid0(SALU_CYCLE_1)
	s_mov_b32 s1, exec_lo
	v_cmpx_eq_u32_e32 0, v81
	s_cbranch_execz .LBB34_380
; %bb.378:
	v_lshlrev_b64 v[72:73], 2, v[76:77]
	v_cmp_lt_i32_e64 s0, 0, v86
	s_delay_alu instid0(VALU_DEP_2) | instskip(NEXT) | instid1(VALU_DEP_3)
	v_add_co_u32 v72, vcc_lo, s6, v72
	v_add_co_ci_u32_e32 v73, vcc_lo, s7, v73, vcc_lo
	global_load_b32 v74, v[72:73], off
	s_waitcnt vmcnt(0)
	v_cmp_eq_u32_e32 vcc_lo, 0, v74
	s_and_b32 s0, vcc_lo, s0
	s_delay_alu instid0(SALU_CYCLE_1)
	s_and_b32 exec_lo, exec_lo, s0
	s_cbranch_execz .LBB34_380
; %bb.379:
	v_add_nc_u32_e32 v74, s13, v86
	global_store_b32 v[72:73], v74, off
.LBB34_380:
	s_or_b32 exec_lo, exec_lo, s1
	v_lshlrev_b64 v[74:75], 4, v[81:82]
	v_add3_u32 v72, s8, s8, v81
	s_delay_alu instid0(VALU_DEP_1) | instskip(NEXT) | instid1(VALU_DEP_3)
	v_ashrrev_i32_e32 v73, 31, v72
	v_add_co_u32 v74, vcc_lo, v83, v74
	s_delay_alu instid0(VALU_DEP_4) | instskip(SKIP_1) | instid1(VALU_DEP_4)
	v_add_co_ci_u32_e32 v75, vcc_lo, v84, v75, vcc_lo
	v_add_nc_u32_e32 v76, s8, v72
	v_lshlrev_b64 v[72:73], 4, v[72:73]
	global_store_b128 v[74:75], v[68:71], off
	v_add_co_u32 v68, vcc_lo, v74, s10
	v_add_nc_u32_e32 v70, s8, v76
	v_ashrrev_i32_e32 v77, 31, v76
	v_add_co_ci_u32_e32 v69, vcc_lo, s11, v75, vcc_lo
	v_add_co_u32 v72, vcc_lo, v83, v72
	s_delay_alu instid0(VALU_DEP_4) | instskip(SKIP_3) | instid1(VALU_DEP_4)
	v_add_nc_u32_e32 v74, s8, v70
	v_ashrrev_i32_e32 v71, 31, v70
	v_add_co_ci_u32_e32 v73, vcc_lo, v84, v73, vcc_lo
	v_lshlrev_b64 v[76:77], 4, v[76:77]
	v_ashrrev_i32_e32 v75, 31, v74
	s_clause 0x1
	global_store_b128 v[68:69], v[52:55], off
	global_store_b128 v[72:73], v[64:67], off
	v_lshlrev_b64 v[52:53], 4, v[70:71]
	v_add_nc_u32_e32 v66, s8, v74
	v_add_co_u32 v54, vcc_lo, v83, v76
	v_lshlrev_b64 v[64:65], 4, v[74:75]
	v_add_co_ci_u32_e32 v55, vcc_lo, v84, v77, vcc_lo
	v_add_co_u32 v52, vcc_lo, v83, v52
	v_add_co_ci_u32_e32 v53, vcc_lo, v84, v53, vcc_lo
	s_delay_alu instid0(VALU_DEP_4)
	v_add_co_u32 v64, vcc_lo, v83, v64
	v_add_nc_u32_e32 v68, s8, v66
	v_add_co_ci_u32_e32 v65, vcc_lo, v84, v65, vcc_lo
	v_ashrrev_i32_e32 v67, 31, v66
	global_store_b128 v[54:55], v[48:51], off
	v_ashrrev_i32_e32 v69, 31, v68
	s_clause 0x1
	global_store_b128 v[52:53], v[60:63], off
	global_store_b128 v[64:65], v[56:59], off
	v_add_nc_u32_e32 v52, s8, v68
	v_lshlrev_b64 v[48:49], 4, v[66:67]
	v_lshlrev_b64 v[50:51], 4, v[68:69]
	s_delay_alu instid0(VALU_DEP_3) | instskip(SKIP_1) | instid1(VALU_DEP_4)
	v_add_nc_u32_e32 v54, s8, v52
	v_ashrrev_i32_e32 v53, 31, v52
	v_add_co_u32 v48, vcc_lo, v83, v48
	v_add_co_ci_u32_e32 v49, vcc_lo, v84, v49, vcc_lo
	s_delay_alu instid0(VALU_DEP_4)
	v_add_nc_u32_e32 v56, s8, v54
	v_add_co_u32 v50, vcc_lo, v83, v50
	v_ashrrev_i32_e32 v55, 31, v54
	v_add_co_ci_u32_e32 v51, vcc_lo, v84, v51, vcc_lo
	v_lshlrev_b64 v[52:53], 4, v[52:53]
	v_ashrrev_i32_e32 v57, 31, v56
	s_clause 0x1
	global_store_b128 v[48:49], v[44:47], off
	global_store_b128 v[50:51], v[40:43], off
	v_lshlrev_b64 v[40:41], 4, v[54:55]
	v_add_nc_u32_e32 v46, s8, v56
	v_add_co_u32 v42, vcc_lo, v83, v52
	v_lshlrev_b64 v[44:45], 4, v[56:57]
	v_add_co_ci_u32_e32 v43, vcc_lo, v84, v53, vcc_lo
	v_add_co_u32 v40, vcc_lo, v83, v40
	v_add_nc_u32_e32 v48, s8, v46
	v_add_co_ci_u32_e32 v41, vcc_lo, v84, v41, vcc_lo
	v_ashrrev_i32_e32 v47, 31, v46
	v_add_co_u32 v44, vcc_lo, v83, v44
	v_add_co_ci_u32_e32 v45, vcc_lo, v84, v45, vcc_lo
	v_ashrrev_i32_e32 v49, 31, v48
	global_store_b128 v[42:43], v[28:31], off
	v_lshlrev_b64 v[28:29], 4, v[46:47]
	s_clause 0x1
	global_store_b128 v[40:41], v[24:27], off
	global_store_b128 v[44:45], v[36:39], off
	v_add_nc_u32_e32 v26, s8, v48
	v_lshlrev_b64 v[24:25], 4, v[48:49]
	v_add_co_u32 v28, vcc_lo, v83, v28
	s_delay_alu instid0(VALU_DEP_3) | instskip(SKIP_1) | instid1(VALU_DEP_4)
	v_add_nc_u32_e32 v30, s8, v26
	v_add_co_ci_u32_e32 v29, vcc_lo, v84, v29, vcc_lo
	v_add_co_u32 v24, vcc_lo, v83, v24
	v_add_co_ci_u32_e32 v25, vcc_lo, v84, v25, vcc_lo
	s_delay_alu instid0(VALU_DEP_4)
	v_add_nc_u32_e32 v36, s8, v30
	v_ashrrev_i32_e32 v27, 31, v26
	s_clause 0x1
	global_store_b128 v[28:29], v[20:23], off
	global_store_b128 v[24:25], v[32:35], off
	v_ashrrev_i32_e32 v31, 31, v30
	v_add_nc_u32_e32 v24, s8, v36
	v_lshlrev_b64 v[20:21], 4, v[26:27]
	v_ashrrev_i32_e32 v37, 31, v36
	s_delay_alu instid0(VALU_DEP_4) | instskip(NEXT) | instid1(VALU_DEP_4)
	v_lshlrev_b64 v[22:23], 4, v[30:31]
	v_add_nc_u32_e32 v28, s8, v24
	v_ashrrev_i32_e32 v25, 31, v24
	v_add_co_u32 v20, vcc_lo, v83, v20
	v_lshlrev_b64 v[26:27], 4, v[36:37]
	s_delay_alu instid0(VALU_DEP_4)
	v_ashrrev_i32_e32 v29, 31, v28
	v_add_co_ci_u32_e32 v21, vcc_lo, v84, v21, vcc_lo
	v_add_co_u32 v22, vcc_lo, v83, v22
	v_lshlrev_b64 v[24:25], 4, v[24:25]
	v_add_co_ci_u32_e32 v23, vcc_lo, v84, v23, vcc_lo
	v_add_co_u32 v26, vcc_lo, v83, v26
	v_lshlrev_b64 v[28:29], 4, v[28:29]
	v_add_co_ci_u32_e32 v27, vcc_lo, v84, v27, vcc_lo
	v_add_co_u32 v24, vcc_lo, v83, v24
	v_add_co_ci_u32_e32 v25, vcc_lo, v84, v25, vcc_lo
	s_delay_alu instid0(VALU_DEP_4)
	v_add_co_u32 v28, vcc_lo, v83, v28
	v_add_co_ci_u32_e32 v29, vcc_lo, v84, v29, vcc_lo
	s_clause 0x4
	global_store_b128 v[20:21], v[16:19], off
	global_store_b128 v[22:23], v[12:15], off
	;; [unrolled: 1-line block ×5, first 2 shown]
.LBB34_381:
	s_nop 0
	s_sendmsg sendmsg(MSG_DEALLOC_VGPRS)
	s_endpgm
	.section	.rodata,"a",@progbits
	.p2align	6, 0x0
	.amdhsa_kernel _ZN9rocsolver6v33100L18getf2_small_kernelILi18E19rocblas_complex_numIdEiiPKPS3_EEvT1_T3_lS7_lPS7_llPT2_S7_S7_S9_l
		.amdhsa_group_segment_fixed_size 0
		.amdhsa_private_segment_fixed_size 0
		.amdhsa_kernarg_size 352
		.amdhsa_user_sgpr_count 14
		.amdhsa_user_sgpr_dispatch_ptr 0
		.amdhsa_user_sgpr_queue_ptr 0
		.amdhsa_user_sgpr_kernarg_segment_ptr 1
		.amdhsa_user_sgpr_dispatch_id 0
		.amdhsa_user_sgpr_private_segment_size 0
		.amdhsa_wavefront_size32 1
		.amdhsa_uses_dynamic_stack 0
		.amdhsa_enable_private_segment 0
		.amdhsa_system_sgpr_workgroup_id_x 1
		.amdhsa_system_sgpr_workgroup_id_y 1
		.amdhsa_system_sgpr_workgroup_id_z 0
		.amdhsa_system_sgpr_workgroup_info 0
		.amdhsa_system_vgpr_workitem_id 1
		.amdhsa_next_free_vgpr 220
		.amdhsa_next_free_sgpr 16
		.amdhsa_reserve_vcc 1
		.amdhsa_float_round_mode_32 0
		.amdhsa_float_round_mode_16_64 0
		.amdhsa_float_denorm_mode_32 3
		.amdhsa_float_denorm_mode_16_64 3
		.amdhsa_dx10_clamp 1
		.amdhsa_ieee_mode 1
		.amdhsa_fp16_overflow 0
		.amdhsa_workgroup_processor_mode 1
		.amdhsa_memory_ordered 1
		.amdhsa_forward_progress 0
		.amdhsa_shared_vgpr_count 0
		.amdhsa_exception_fp_ieee_invalid_op 0
		.amdhsa_exception_fp_denorm_src 0
		.amdhsa_exception_fp_ieee_div_zero 0
		.amdhsa_exception_fp_ieee_overflow 0
		.amdhsa_exception_fp_ieee_underflow 0
		.amdhsa_exception_fp_ieee_inexact 0
		.amdhsa_exception_int_div_zero 0
	.end_amdhsa_kernel
	.section	.text._ZN9rocsolver6v33100L18getf2_small_kernelILi18E19rocblas_complex_numIdEiiPKPS3_EEvT1_T3_lS7_lPS7_llPT2_S7_S7_S9_l,"axG",@progbits,_ZN9rocsolver6v33100L18getf2_small_kernelILi18E19rocblas_complex_numIdEiiPKPS3_EEvT1_T3_lS7_lPS7_llPT2_S7_S7_S9_l,comdat
.Lfunc_end34:
	.size	_ZN9rocsolver6v33100L18getf2_small_kernelILi18E19rocblas_complex_numIdEiiPKPS3_EEvT1_T3_lS7_lPS7_llPT2_S7_S7_S9_l, .Lfunc_end34-_ZN9rocsolver6v33100L18getf2_small_kernelILi18E19rocblas_complex_numIdEiiPKPS3_EEvT1_T3_lS7_lPS7_llPT2_S7_S7_S9_l
                                        ; -- End function
	.section	.AMDGPU.csdata,"",@progbits
; Kernel info:
; codeLenInByte = 33184
; NumSgprs: 18
; NumVgprs: 220
; ScratchSize: 0
; MemoryBound: 0
; FloatMode: 240
; IeeeMode: 1
; LDSByteSize: 0 bytes/workgroup (compile time only)
; SGPRBlocks: 2
; VGPRBlocks: 27
; NumSGPRsForWavesPerEU: 18
; NumVGPRsForWavesPerEU: 220
; Occupancy: 6
; WaveLimiterHint : 1
; COMPUTE_PGM_RSRC2:SCRATCH_EN: 0
; COMPUTE_PGM_RSRC2:USER_SGPR: 14
; COMPUTE_PGM_RSRC2:TRAP_HANDLER: 0
; COMPUTE_PGM_RSRC2:TGID_X_EN: 1
; COMPUTE_PGM_RSRC2:TGID_Y_EN: 1
; COMPUTE_PGM_RSRC2:TGID_Z_EN: 0
; COMPUTE_PGM_RSRC2:TIDIG_COMP_CNT: 1
	.section	.text._ZN9rocsolver6v33100L23getf2_npvt_small_kernelILi18E19rocblas_complex_numIdEiiPKPS3_EEvT1_T3_lS7_lPT2_S7_S7_,"axG",@progbits,_ZN9rocsolver6v33100L23getf2_npvt_small_kernelILi18E19rocblas_complex_numIdEiiPKPS3_EEvT1_T3_lS7_lPT2_S7_S7_,comdat
	.globl	_ZN9rocsolver6v33100L23getf2_npvt_small_kernelILi18E19rocblas_complex_numIdEiiPKPS3_EEvT1_T3_lS7_lPT2_S7_S7_ ; -- Begin function _ZN9rocsolver6v33100L23getf2_npvt_small_kernelILi18E19rocblas_complex_numIdEiiPKPS3_EEvT1_T3_lS7_lPT2_S7_S7_
	.p2align	8
	.type	_ZN9rocsolver6v33100L23getf2_npvt_small_kernelILi18E19rocblas_complex_numIdEiiPKPS3_EEvT1_T3_lS7_lPT2_S7_S7_,@function
_ZN9rocsolver6v33100L23getf2_npvt_small_kernelILi18E19rocblas_complex_numIdEiiPKPS3_EEvT1_T3_lS7_lPT2_S7_S7_: ; @_ZN9rocsolver6v33100L23getf2_npvt_small_kernelILi18E19rocblas_complex_numIdEiiPKPS3_EEvT1_T3_lS7_lPT2_S7_S7_
; %bb.0:
	s_clause 0x1
	s_load_b32 s2, s[0:1], 0x44
	s_load_b64 s[8:9], s[0:1], 0x30
	v_bfe_u32 v72, v0, 10, 10
	s_waitcnt lgkmcnt(0)
	s_lshr_b32 s10, s2, 16
	s_mov_b32 s2, exec_lo
	s_delay_alu instid0(VALU_DEP_1) | instskip(NEXT) | instid1(VALU_DEP_1)
	v_mad_u64_u32 v[144:145], null, s15, s10, v[72:73]
	v_cmpx_gt_i32_e64 s8, v144
	s_cbranch_execz .LBB35_167
; %bb.1:
	s_clause 0x1
	s_load_b128 s[4:7], s[0:1], 0x8
	s_load_b32 s2, s[0:1], 0x18
	v_ashrrev_i32_e32 v145, 31, v144
	v_and_b32_e32 v184, 0x3ff, v0
	v_lshlrev_b32_e32 v73, 4, v72
	s_mulk_i32 s10, 0x120
	v_mad_u32_u24 v186, 0x120, v72, 0
	v_lshlrev_b64 v[1:2], 3, v[144:145]
	v_lshlrev_b32_e32 v35, 4, v184
	v_add3_u32 v185, 0, s10, v73
	s_waitcnt lgkmcnt(0)
	s_delay_alu instid0(VALU_DEP_3) | instskip(NEXT) | instid1(VALU_DEP_4)
	v_add_co_u32 v1, vcc_lo, s4, v1
	v_add_co_ci_u32_e32 v2, vcc_lo, s5, v2, vcc_lo
	v_add3_u32 v3, s2, s2, v184
	s_lshl_b64 s[4:5], s[6:7], 4
	s_ashr_i32 s3, s2, 31
	global_load_b64 v[1:2], v[1:2], off
	s_lshl_b64 s[6:7], s[2:3], 4
	v_add_nc_u32_e32 v5, s2, v3
	v_ashrrev_i32_e32 v4, 31, v3
	v_cmp_ne_u32_e64 s3, 0, v184
	s_delay_alu instid0(VALU_DEP_3) | instskip(SKIP_1) | instid1(VALU_DEP_4)
	v_add_nc_u32_e32 v7, s2, v5
	v_ashrrev_i32_e32 v6, 31, v5
	v_lshlrev_b64 v[3:4], 4, v[3:4]
	s_delay_alu instid0(VALU_DEP_3) | instskip(SKIP_1) | instid1(VALU_DEP_4)
	v_add_nc_u32_e32 v9, s2, v7
	v_ashrrev_i32_e32 v8, 31, v7
	v_lshlrev_b64 v[5:6], 4, v[5:6]
	;; [unrolled: 4-line block ×14, first 2 shown]
	v_cmp_eq_u32_e64 s2, 0, v184
	s_delay_alu instid0(VALU_DEP_4) | instskip(NEXT) | instid1(VALU_DEP_4)
	v_ashrrev_i32_e32 v34, 31, v33
	v_lshlrev_b64 v[31:32], 4, v[31:32]
	s_waitcnt vmcnt(0)
	v_add_co_u32 v36, vcc_lo, v1, s4
	v_add_co_ci_u32_e32 v2, vcc_lo, s5, v2, vcc_lo
	v_lshlrev_b64 v[0:1], 4, v[33:34]
	s_delay_alu instid0(VALU_DEP_3) | instskip(NEXT) | instid1(VALU_DEP_3)
	v_add_co_u32 v178, vcc_lo, v36, v35
	v_add_co_ci_u32_e32 v179, vcc_lo, 0, v2, vcc_lo
	v_add_co_u32 v176, vcc_lo, v36, v3
	v_add_co_ci_u32_e32 v177, vcc_lo, v2, v4, vcc_lo
	;; [unrolled: 2-line block ×18, first 2 shown]
	s_clause 0x11
	global_load_b128 v[60:63], v[176:177], off
	global_load_b128 v[56:59], v[174:175], off
	global_load_b128 v[52:55], v[172:173], off
	global_load_b128 v[48:51], v[170:171], off
	global_load_b128 v[44:47], v[168:169], off
	global_load_b128 v[40:43], v[166:167], off
	global_load_b128 v[36:39], v[164:165], off
	global_load_b128 v[32:35], v[162:163], off
	global_load_b128 v[28:31], v[160:161], off
	global_load_b128 v[24:27], v[158:159], off
	global_load_b128 v[20:23], v[156:157], off
	global_load_b128 v[16:19], v[154:155], off
	global_load_b128 v[12:15], v[152:153], off
	global_load_b128 v[8:11], v[150:151], off
	global_load_b128 v[68:71], v[178:179], off
	global_load_b128 v[64:67], v[180:181], off
	global_load_b128 v[4:7], v[148:149], off
	global_load_b128 v[0:3], v[146:147], off
	s_and_saveexec_b32 s5, s2
	s_cbranch_execz .LBB35_8
; %bb.2:
	s_waitcnt vmcnt(3)
	ds_store_2addr_b64 v185, v[68:69], v[70:71] offset1:1
	s_waitcnt vmcnt(2)
	ds_store_2addr_b64 v186, v[64:65], v[66:67] offset0:2 offset1:3
	ds_store_2addr_b64 v186, v[60:61], v[62:63] offset0:4 offset1:5
	;; [unrolled: 1-line block ×15, first 2 shown]
	s_waitcnt vmcnt(1)
	ds_store_2addr_b64 v186, v[4:5], v[6:7] offset0:32 offset1:33
	s_waitcnt vmcnt(0)
	ds_store_2addr_b64 v186, v[0:1], v[2:3] offset0:34 offset1:35
	ds_load_2addr_b64 v[72:75], v185 offset1:1
	s_waitcnt lgkmcnt(0)
	v_cmp_neq_f64_e32 vcc_lo, 0, v[72:73]
	v_cmp_neq_f64_e64 s4, 0, v[74:75]
	s_delay_alu instid0(VALU_DEP_1) | instskip(NEXT) | instid1(SALU_CYCLE_1)
	s_or_b32 s4, vcc_lo, s4
	s_and_b32 exec_lo, exec_lo, s4
	s_cbranch_execz .LBB35_8
; %bb.3:
	v_cmp_gt_f64_e32 vcc_lo, 0, v[72:73]
	v_cmp_gt_f64_e64 s4, 0, v[74:75]
	v_xor_b32_e32 v76, 0x80000000, v73
	v_xor_b32_e32 v78, 0x80000000, v75
                                        ; implicit-def: $vgpr80_vgpr81
	s_delay_alu instid0(VALU_DEP_2) | instskip(NEXT) | instid1(VALU_DEP_2)
	v_cndmask_b32_e32 v77, v73, v76, vcc_lo
	v_cndmask_b32_e64 v79, v75, v78, s4
	v_cndmask_b32_e32 v76, v72, v72, vcc_lo
	v_cndmask_b32_e64 v78, v74, v74, s4
	s_mov_b32 s4, exec_lo
	s_delay_alu instid0(VALU_DEP_1)
	v_cmpx_ngt_f64_e32 v[76:77], v[78:79]
	s_xor_b32 s4, exec_lo, s4
                                        ; implicit-def: $vgpr76_vgpr77_vgpr78_vgpr79
	s_cbranch_execz .LBB35_5
; %bb.4:
	v_div_scale_f64 v[76:77], null, v[74:75], v[74:75], v[72:73]
	v_div_scale_f64 v[82:83], vcc_lo, v[72:73], v[74:75], v[72:73]
	s_delay_alu instid0(VALU_DEP_2) | instskip(SKIP_2) | instid1(VALU_DEP_1)
	v_rcp_f64_e32 v[78:79], v[76:77]
	s_waitcnt_depctr 0xfff
	v_fma_f64 v[80:81], -v[76:77], v[78:79], 1.0
	v_fma_f64 v[78:79], v[78:79], v[80:81], v[78:79]
	s_delay_alu instid0(VALU_DEP_1) | instskip(NEXT) | instid1(VALU_DEP_1)
	v_fma_f64 v[80:81], -v[76:77], v[78:79], 1.0
	v_fma_f64 v[78:79], v[78:79], v[80:81], v[78:79]
	s_delay_alu instid0(VALU_DEP_1) | instskip(NEXT) | instid1(VALU_DEP_1)
	v_mul_f64 v[80:81], v[82:83], v[78:79]
	v_fma_f64 v[76:77], -v[76:77], v[80:81], v[82:83]
	s_delay_alu instid0(VALU_DEP_1) | instskip(NEXT) | instid1(VALU_DEP_1)
	v_div_fmas_f64 v[76:77], v[76:77], v[78:79], v[80:81]
	v_div_fixup_f64 v[76:77], v[76:77], v[74:75], v[72:73]
	s_delay_alu instid0(VALU_DEP_1) | instskip(NEXT) | instid1(VALU_DEP_1)
	v_fma_f64 v[72:73], v[72:73], v[76:77], v[74:75]
	v_div_scale_f64 v[74:75], null, v[72:73], v[72:73], 1.0
	s_delay_alu instid0(VALU_DEP_1) | instskip(SKIP_2) | instid1(VALU_DEP_1)
	v_rcp_f64_e32 v[78:79], v[74:75]
	s_waitcnt_depctr 0xfff
	v_fma_f64 v[80:81], -v[74:75], v[78:79], 1.0
	v_fma_f64 v[78:79], v[78:79], v[80:81], v[78:79]
	s_delay_alu instid0(VALU_DEP_1) | instskip(NEXT) | instid1(VALU_DEP_1)
	v_fma_f64 v[80:81], -v[74:75], v[78:79], 1.0
	v_fma_f64 v[78:79], v[78:79], v[80:81], v[78:79]
	v_div_scale_f64 v[80:81], vcc_lo, 1.0, v[72:73], 1.0
	s_delay_alu instid0(VALU_DEP_1) | instskip(NEXT) | instid1(VALU_DEP_1)
	v_mul_f64 v[82:83], v[80:81], v[78:79]
	v_fma_f64 v[74:75], -v[74:75], v[82:83], v[80:81]
	s_delay_alu instid0(VALU_DEP_1) | instskip(NEXT) | instid1(VALU_DEP_1)
	v_div_fmas_f64 v[74:75], v[74:75], v[78:79], v[82:83]
	v_div_fixup_f64 v[78:79], v[74:75], v[72:73], 1.0
                                        ; implicit-def: $vgpr72_vgpr73
	s_delay_alu instid0(VALU_DEP_1)
	v_mul_f64 v[80:81], v[76:77], v[78:79]
	v_xor_b32_e32 v79, 0x80000000, v79
.LBB35_5:
	s_and_not1_saveexec_b32 s4, s4
	s_cbranch_execz .LBB35_7
; %bb.6:
	v_div_scale_f64 v[76:77], null, v[72:73], v[72:73], v[74:75]
	v_div_scale_f64 v[82:83], vcc_lo, v[74:75], v[72:73], v[74:75]
	s_delay_alu instid0(VALU_DEP_2) | instskip(SKIP_2) | instid1(VALU_DEP_1)
	v_rcp_f64_e32 v[78:79], v[76:77]
	s_waitcnt_depctr 0xfff
	v_fma_f64 v[80:81], -v[76:77], v[78:79], 1.0
	v_fma_f64 v[78:79], v[78:79], v[80:81], v[78:79]
	s_delay_alu instid0(VALU_DEP_1) | instskip(NEXT) | instid1(VALU_DEP_1)
	v_fma_f64 v[80:81], -v[76:77], v[78:79], 1.0
	v_fma_f64 v[78:79], v[78:79], v[80:81], v[78:79]
	s_delay_alu instid0(VALU_DEP_1) | instskip(NEXT) | instid1(VALU_DEP_1)
	v_mul_f64 v[80:81], v[82:83], v[78:79]
	v_fma_f64 v[76:77], -v[76:77], v[80:81], v[82:83]
	s_delay_alu instid0(VALU_DEP_1) | instskip(NEXT) | instid1(VALU_DEP_1)
	v_div_fmas_f64 v[76:77], v[76:77], v[78:79], v[80:81]
	v_div_fixup_f64 v[76:77], v[76:77], v[72:73], v[74:75]
	s_delay_alu instid0(VALU_DEP_1) | instskip(NEXT) | instid1(VALU_DEP_1)
	v_fma_f64 v[72:73], v[74:75], v[76:77], v[72:73]
	v_div_scale_f64 v[74:75], null, v[72:73], v[72:73], 1.0
	s_delay_alu instid0(VALU_DEP_1) | instskip(SKIP_2) | instid1(VALU_DEP_1)
	v_rcp_f64_e32 v[78:79], v[74:75]
	s_waitcnt_depctr 0xfff
	v_fma_f64 v[80:81], -v[74:75], v[78:79], 1.0
	v_fma_f64 v[78:79], v[78:79], v[80:81], v[78:79]
	s_delay_alu instid0(VALU_DEP_1) | instskip(NEXT) | instid1(VALU_DEP_1)
	v_fma_f64 v[80:81], -v[74:75], v[78:79], 1.0
	v_fma_f64 v[78:79], v[78:79], v[80:81], v[78:79]
	v_div_scale_f64 v[80:81], vcc_lo, 1.0, v[72:73], 1.0
	s_delay_alu instid0(VALU_DEP_1) | instskip(NEXT) | instid1(VALU_DEP_1)
	v_mul_f64 v[82:83], v[80:81], v[78:79]
	v_fma_f64 v[74:75], -v[74:75], v[82:83], v[80:81]
	s_delay_alu instid0(VALU_DEP_1) | instskip(NEXT) | instid1(VALU_DEP_1)
	v_div_fmas_f64 v[74:75], v[74:75], v[78:79], v[82:83]
	v_div_fixup_f64 v[80:81], v[74:75], v[72:73], 1.0
	s_delay_alu instid0(VALU_DEP_1)
	v_mul_f64 v[78:79], v[76:77], -v[80:81]
.LBB35_7:
	s_or_b32 exec_lo, exec_lo, s4
	ds_store_2addr_b64 v185, v[80:81], v[78:79] offset1:1
.LBB35_8:
	s_or_b32 exec_lo, exec_lo, s5
	s_waitcnt vmcnt(0) lgkmcnt(0)
	s_barrier
	buffer_gl0_inv
	ds_load_2addr_b64 v[72:75], v185 offset1:1
	s_and_saveexec_b32 s4, s3
	s_cbranch_execz .LBB35_10
; %bb.9:
	s_waitcnt lgkmcnt(0)
	v_mul_f64 v[76:77], v[72:73], v[70:71]
	v_mul_f64 v[182:183], v[74:75], v[70:71]
	s_delay_alu instid0(VALU_DEP_2)
	v_fma_f64 v[70:71], v[74:75], v[68:69], v[76:77]
	ds_load_2addr_b64 v[76:79], v186 offset0:2 offset1:3
	ds_load_2addr_b64 v[80:83], v186 offset0:4 offset1:5
	;; [unrolled: 1-line block ×17, first 2 shown]
	v_fma_f64 v[68:69], v[72:73], v[68:69], -v[182:183]
	s_waitcnt lgkmcnt(16)
	v_mul_f64 v[182:183], v[78:79], v[70:71]
	v_mul_f64 v[187:188], v[76:77], v[70:71]
	s_waitcnt lgkmcnt(15)
	v_mul_f64 v[189:190], v[82:83], v[70:71]
	v_mul_f64 v[191:192], v[80:81], v[70:71]
	;; [unrolled: 3-line block ×17, first 2 shown]
	v_fma_f64 v[76:77], v[76:77], v[68:69], -v[182:183]
	v_fma_f64 v[78:79], v[78:79], v[68:69], v[187:188]
	v_fma_f64 v[80:81], v[80:81], v[68:69], -v[189:190]
	v_fma_f64 v[82:83], v[82:83], v[68:69], v[191:192]
	;; [unrolled: 2-line block ×17, first 2 shown]
	v_add_f64 v[64:65], v[64:65], -v[76:77]
	v_add_f64 v[66:67], v[66:67], -v[78:79]
	;; [unrolled: 1-line block ×34, first 2 shown]
.LBB35_10:
	s_or_b32 exec_lo, exec_lo, s4
	s_delay_alu instid0(SALU_CYCLE_1)
	s_mov_b32 s4, exec_lo
	s_waitcnt lgkmcnt(0)
	s_barrier
	buffer_gl0_inv
	v_cmpx_eq_u32_e32 1, v184
	s_cbranch_execz .LBB35_17
; %bb.11:
	ds_store_2addr_b64 v185, v[64:65], v[66:67] offset1:1
	ds_store_2addr_b64 v186, v[60:61], v[62:63] offset0:4 offset1:5
	ds_store_2addr_b64 v186, v[56:57], v[58:59] offset0:6 offset1:7
	;; [unrolled: 1-line block ×16, first 2 shown]
	ds_load_2addr_b64 v[76:79], v185 offset1:1
	s_waitcnt lgkmcnt(0)
	v_cmp_neq_f64_e32 vcc_lo, 0, v[76:77]
	v_cmp_neq_f64_e64 s3, 0, v[78:79]
	s_delay_alu instid0(VALU_DEP_1) | instskip(NEXT) | instid1(SALU_CYCLE_1)
	s_or_b32 s3, vcc_lo, s3
	s_and_b32 exec_lo, exec_lo, s3
	s_cbranch_execz .LBB35_17
; %bb.12:
	v_cmp_gt_f64_e32 vcc_lo, 0, v[76:77]
	v_cmp_gt_f64_e64 s3, 0, v[78:79]
	v_xor_b32_e32 v80, 0x80000000, v77
	v_xor_b32_e32 v82, 0x80000000, v79
                                        ; implicit-def: $vgpr84_vgpr85
	s_delay_alu instid0(VALU_DEP_2) | instskip(NEXT) | instid1(VALU_DEP_2)
	v_cndmask_b32_e32 v81, v77, v80, vcc_lo
	v_cndmask_b32_e64 v83, v79, v82, s3
	v_cndmask_b32_e32 v80, v76, v76, vcc_lo
	v_cndmask_b32_e64 v82, v78, v78, s3
	s_mov_b32 s3, exec_lo
	s_delay_alu instid0(VALU_DEP_1)
	v_cmpx_ngt_f64_e32 v[80:81], v[82:83]
	s_xor_b32 s3, exec_lo, s3
                                        ; implicit-def: $vgpr80_vgpr81_vgpr82_vgpr83
	s_cbranch_execz .LBB35_14
; %bb.13:
	v_div_scale_f64 v[80:81], null, v[78:79], v[78:79], v[76:77]
	v_div_scale_f64 v[86:87], vcc_lo, v[76:77], v[78:79], v[76:77]
	s_delay_alu instid0(VALU_DEP_2) | instskip(SKIP_2) | instid1(VALU_DEP_1)
	v_rcp_f64_e32 v[82:83], v[80:81]
	s_waitcnt_depctr 0xfff
	v_fma_f64 v[84:85], -v[80:81], v[82:83], 1.0
	v_fma_f64 v[82:83], v[82:83], v[84:85], v[82:83]
	s_delay_alu instid0(VALU_DEP_1) | instskip(NEXT) | instid1(VALU_DEP_1)
	v_fma_f64 v[84:85], -v[80:81], v[82:83], 1.0
	v_fma_f64 v[82:83], v[82:83], v[84:85], v[82:83]
	s_delay_alu instid0(VALU_DEP_1) | instskip(NEXT) | instid1(VALU_DEP_1)
	v_mul_f64 v[84:85], v[86:87], v[82:83]
	v_fma_f64 v[80:81], -v[80:81], v[84:85], v[86:87]
	s_delay_alu instid0(VALU_DEP_1) | instskip(NEXT) | instid1(VALU_DEP_1)
	v_div_fmas_f64 v[80:81], v[80:81], v[82:83], v[84:85]
	v_div_fixup_f64 v[80:81], v[80:81], v[78:79], v[76:77]
	s_delay_alu instid0(VALU_DEP_1) | instskip(NEXT) | instid1(VALU_DEP_1)
	v_fma_f64 v[76:77], v[76:77], v[80:81], v[78:79]
	v_div_scale_f64 v[78:79], null, v[76:77], v[76:77], 1.0
	s_delay_alu instid0(VALU_DEP_1) | instskip(SKIP_2) | instid1(VALU_DEP_1)
	v_rcp_f64_e32 v[82:83], v[78:79]
	s_waitcnt_depctr 0xfff
	v_fma_f64 v[84:85], -v[78:79], v[82:83], 1.0
	v_fma_f64 v[82:83], v[82:83], v[84:85], v[82:83]
	s_delay_alu instid0(VALU_DEP_1) | instskip(NEXT) | instid1(VALU_DEP_1)
	v_fma_f64 v[84:85], -v[78:79], v[82:83], 1.0
	v_fma_f64 v[82:83], v[82:83], v[84:85], v[82:83]
	v_div_scale_f64 v[84:85], vcc_lo, 1.0, v[76:77], 1.0
	s_delay_alu instid0(VALU_DEP_1) | instskip(NEXT) | instid1(VALU_DEP_1)
	v_mul_f64 v[86:87], v[84:85], v[82:83]
	v_fma_f64 v[78:79], -v[78:79], v[86:87], v[84:85]
	s_delay_alu instid0(VALU_DEP_1) | instskip(NEXT) | instid1(VALU_DEP_1)
	v_div_fmas_f64 v[78:79], v[78:79], v[82:83], v[86:87]
	v_div_fixup_f64 v[82:83], v[78:79], v[76:77], 1.0
                                        ; implicit-def: $vgpr76_vgpr77
	s_delay_alu instid0(VALU_DEP_1)
	v_mul_f64 v[84:85], v[80:81], v[82:83]
	v_xor_b32_e32 v83, 0x80000000, v83
.LBB35_14:
	s_and_not1_saveexec_b32 s3, s3
	s_cbranch_execz .LBB35_16
; %bb.15:
	v_div_scale_f64 v[80:81], null, v[76:77], v[76:77], v[78:79]
	v_div_scale_f64 v[86:87], vcc_lo, v[78:79], v[76:77], v[78:79]
	s_delay_alu instid0(VALU_DEP_2) | instskip(SKIP_2) | instid1(VALU_DEP_1)
	v_rcp_f64_e32 v[82:83], v[80:81]
	s_waitcnt_depctr 0xfff
	v_fma_f64 v[84:85], -v[80:81], v[82:83], 1.0
	v_fma_f64 v[82:83], v[82:83], v[84:85], v[82:83]
	s_delay_alu instid0(VALU_DEP_1) | instskip(NEXT) | instid1(VALU_DEP_1)
	v_fma_f64 v[84:85], -v[80:81], v[82:83], 1.0
	v_fma_f64 v[82:83], v[82:83], v[84:85], v[82:83]
	s_delay_alu instid0(VALU_DEP_1) | instskip(NEXT) | instid1(VALU_DEP_1)
	v_mul_f64 v[84:85], v[86:87], v[82:83]
	v_fma_f64 v[80:81], -v[80:81], v[84:85], v[86:87]
	s_delay_alu instid0(VALU_DEP_1) | instskip(NEXT) | instid1(VALU_DEP_1)
	v_div_fmas_f64 v[80:81], v[80:81], v[82:83], v[84:85]
	v_div_fixup_f64 v[80:81], v[80:81], v[76:77], v[78:79]
	s_delay_alu instid0(VALU_DEP_1) | instskip(NEXT) | instid1(VALU_DEP_1)
	v_fma_f64 v[76:77], v[78:79], v[80:81], v[76:77]
	v_div_scale_f64 v[78:79], null, v[76:77], v[76:77], 1.0
	s_delay_alu instid0(VALU_DEP_1) | instskip(SKIP_2) | instid1(VALU_DEP_1)
	v_rcp_f64_e32 v[82:83], v[78:79]
	s_waitcnt_depctr 0xfff
	v_fma_f64 v[84:85], -v[78:79], v[82:83], 1.0
	v_fma_f64 v[82:83], v[82:83], v[84:85], v[82:83]
	s_delay_alu instid0(VALU_DEP_1) | instskip(NEXT) | instid1(VALU_DEP_1)
	v_fma_f64 v[84:85], -v[78:79], v[82:83], 1.0
	v_fma_f64 v[82:83], v[82:83], v[84:85], v[82:83]
	v_div_scale_f64 v[84:85], vcc_lo, 1.0, v[76:77], 1.0
	s_delay_alu instid0(VALU_DEP_1) | instskip(NEXT) | instid1(VALU_DEP_1)
	v_mul_f64 v[86:87], v[84:85], v[82:83]
	v_fma_f64 v[78:79], -v[78:79], v[86:87], v[84:85]
	s_delay_alu instid0(VALU_DEP_1) | instskip(NEXT) | instid1(VALU_DEP_1)
	v_div_fmas_f64 v[78:79], v[78:79], v[82:83], v[86:87]
	v_div_fixup_f64 v[84:85], v[78:79], v[76:77], 1.0
	s_delay_alu instid0(VALU_DEP_1)
	v_mul_f64 v[82:83], v[80:81], -v[84:85]
.LBB35_16:
	s_or_b32 exec_lo, exec_lo, s3
	ds_store_2addr_b64 v185, v[84:85], v[82:83] offset1:1
.LBB35_17:
	s_or_b32 exec_lo, exec_lo, s4
	s_waitcnt lgkmcnt(0)
	s_barrier
	buffer_gl0_inv
	ds_load_2addr_b64 v[76:79], v185 offset1:1
	s_mov_b32 s3, exec_lo
	v_cmpx_lt_u32_e32 1, v184
	s_cbranch_execz .LBB35_19
; %bb.18:
	s_waitcnt lgkmcnt(0)
	v_mul_f64 v[80:81], v[76:77], v[66:67]
	v_mul_f64 v[66:67], v[78:79], v[66:67]
	s_delay_alu instid0(VALU_DEP_2)
	v_fma_f64 v[182:183], v[78:79], v[64:65], v[80:81]
	ds_load_2addr_b64 v[80:83], v186 offset0:4 offset1:5
	ds_load_2addr_b64 v[84:87], v186 offset0:6 offset1:7
	;; [unrolled: 1-line block ×16, first 2 shown]
	v_fma_f64 v[64:65], v[76:77], v[64:65], -v[66:67]
	s_waitcnt lgkmcnt(15)
	v_mul_f64 v[66:67], v[82:83], v[182:183]
	v_mul_f64 v[187:188], v[80:81], v[182:183]
	s_waitcnt lgkmcnt(14)
	v_mul_f64 v[189:190], v[86:87], v[182:183]
	v_mul_f64 v[191:192], v[84:85], v[182:183]
	;; [unrolled: 3-line block ×16, first 2 shown]
	v_fma_f64 v[66:67], v[80:81], v[64:65], -v[66:67]
	v_fma_f64 v[80:81], v[82:83], v[64:65], v[187:188]
	v_fma_f64 v[82:83], v[84:85], v[64:65], -v[189:190]
	v_fma_f64 v[84:85], v[86:87], v[64:65], v[191:192]
	;; [unrolled: 2-line block ×16, first 2 shown]
	v_add_f64 v[60:61], v[60:61], -v[66:67]
	v_add_f64 v[62:63], v[62:63], -v[80:81]
	;; [unrolled: 1-line block ×32, first 2 shown]
	v_dual_mov_b32 v66, v182 :: v_dual_mov_b32 v67, v183
.LBB35_19:
	s_or_b32 exec_lo, exec_lo, s3
	s_delay_alu instid0(SALU_CYCLE_1)
	s_mov_b32 s4, exec_lo
	s_waitcnt lgkmcnt(0)
	s_barrier
	buffer_gl0_inv
	v_cmpx_eq_u32_e32 2, v184
	s_cbranch_execz .LBB35_26
; %bb.20:
	ds_store_2addr_b64 v185, v[60:61], v[62:63] offset1:1
	ds_store_2addr_b64 v186, v[56:57], v[58:59] offset0:6 offset1:7
	ds_store_2addr_b64 v186, v[52:53], v[54:55] offset0:8 offset1:9
	;; [unrolled: 1-line block ×15, first 2 shown]
	ds_load_2addr_b64 v[80:83], v185 offset1:1
	s_waitcnt lgkmcnt(0)
	v_cmp_neq_f64_e32 vcc_lo, 0, v[80:81]
	v_cmp_neq_f64_e64 s3, 0, v[82:83]
	s_delay_alu instid0(VALU_DEP_1) | instskip(NEXT) | instid1(SALU_CYCLE_1)
	s_or_b32 s3, vcc_lo, s3
	s_and_b32 exec_lo, exec_lo, s3
	s_cbranch_execz .LBB35_26
; %bb.21:
	v_cmp_gt_f64_e32 vcc_lo, 0, v[80:81]
	v_cmp_gt_f64_e64 s3, 0, v[82:83]
	v_xor_b32_e32 v84, 0x80000000, v81
	v_xor_b32_e32 v86, 0x80000000, v83
                                        ; implicit-def: $vgpr88_vgpr89
	s_delay_alu instid0(VALU_DEP_2) | instskip(NEXT) | instid1(VALU_DEP_2)
	v_cndmask_b32_e32 v85, v81, v84, vcc_lo
	v_cndmask_b32_e64 v87, v83, v86, s3
	v_cndmask_b32_e32 v84, v80, v80, vcc_lo
	v_cndmask_b32_e64 v86, v82, v82, s3
	s_mov_b32 s3, exec_lo
	s_delay_alu instid0(VALU_DEP_1)
	v_cmpx_ngt_f64_e32 v[84:85], v[86:87]
	s_xor_b32 s3, exec_lo, s3
                                        ; implicit-def: $vgpr84_vgpr85_vgpr86_vgpr87
	s_cbranch_execz .LBB35_23
; %bb.22:
	v_div_scale_f64 v[84:85], null, v[82:83], v[82:83], v[80:81]
	v_div_scale_f64 v[90:91], vcc_lo, v[80:81], v[82:83], v[80:81]
	s_delay_alu instid0(VALU_DEP_2) | instskip(SKIP_2) | instid1(VALU_DEP_1)
	v_rcp_f64_e32 v[86:87], v[84:85]
	s_waitcnt_depctr 0xfff
	v_fma_f64 v[88:89], -v[84:85], v[86:87], 1.0
	v_fma_f64 v[86:87], v[86:87], v[88:89], v[86:87]
	s_delay_alu instid0(VALU_DEP_1) | instskip(NEXT) | instid1(VALU_DEP_1)
	v_fma_f64 v[88:89], -v[84:85], v[86:87], 1.0
	v_fma_f64 v[86:87], v[86:87], v[88:89], v[86:87]
	s_delay_alu instid0(VALU_DEP_1) | instskip(NEXT) | instid1(VALU_DEP_1)
	v_mul_f64 v[88:89], v[90:91], v[86:87]
	v_fma_f64 v[84:85], -v[84:85], v[88:89], v[90:91]
	s_delay_alu instid0(VALU_DEP_1) | instskip(NEXT) | instid1(VALU_DEP_1)
	v_div_fmas_f64 v[84:85], v[84:85], v[86:87], v[88:89]
	v_div_fixup_f64 v[84:85], v[84:85], v[82:83], v[80:81]
	s_delay_alu instid0(VALU_DEP_1) | instskip(NEXT) | instid1(VALU_DEP_1)
	v_fma_f64 v[80:81], v[80:81], v[84:85], v[82:83]
	v_div_scale_f64 v[82:83], null, v[80:81], v[80:81], 1.0
	s_delay_alu instid0(VALU_DEP_1) | instskip(SKIP_2) | instid1(VALU_DEP_1)
	v_rcp_f64_e32 v[86:87], v[82:83]
	s_waitcnt_depctr 0xfff
	v_fma_f64 v[88:89], -v[82:83], v[86:87], 1.0
	v_fma_f64 v[86:87], v[86:87], v[88:89], v[86:87]
	s_delay_alu instid0(VALU_DEP_1) | instskip(NEXT) | instid1(VALU_DEP_1)
	v_fma_f64 v[88:89], -v[82:83], v[86:87], 1.0
	v_fma_f64 v[86:87], v[86:87], v[88:89], v[86:87]
	v_div_scale_f64 v[88:89], vcc_lo, 1.0, v[80:81], 1.0
	s_delay_alu instid0(VALU_DEP_1) | instskip(NEXT) | instid1(VALU_DEP_1)
	v_mul_f64 v[90:91], v[88:89], v[86:87]
	v_fma_f64 v[82:83], -v[82:83], v[90:91], v[88:89]
	s_delay_alu instid0(VALU_DEP_1) | instskip(NEXT) | instid1(VALU_DEP_1)
	v_div_fmas_f64 v[82:83], v[82:83], v[86:87], v[90:91]
	v_div_fixup_f64 v[86:87], v[82:83], v[80:81], 1.0
                                        ; implicit-def: $vgpr80_vgpr81
	s_delay_alu instid0(VALU_DEP_1)
	v_mul_f64 v[88:89], v[84:85], v[86:87]
	v_xor_b32_e32 v87, 0x80000000, v87
.LBB35_23:
	s_and_not1_saveexec_b32 s3, s3
	s_cbranch_execz .LBB35_25
; %bb.24:
	v_div_scale_f64 v[84:85], null, v[80:81], v[80:81], v[82:83]
	v_div_scale_f64 v[90:91], vcc_lo, v[82:83], v[80:81], v[82:83]
	s_delay_alu instid0(VALU_DEP_2) | instskip(SKIP_2) | instid1(VALU_DEP_1)
	v_rcp_f64_e32 v[86:87], v[84:85]
	s_waitcnt_depctr 0xfff
	v_fma_f64 v[88:89], -v[84:85], v[86:87], 1.0
	v_fma_f64 v[86:87], v[86:87], v[88:89], v[86:87]
	s_delay_alu instid0(VALU_DEP_1) | instskip(NEXT) | instid1(VALU_DEP_1)
	v_fma_f64 v[88:89], -v[84:85], v[86:87], 1.0
	v_fma_f64 v[86:87], v[86:87], v[88:89], v[86:87]
	s_delay_alu instid0(VALU_DEP_1) | instskip(NEXT) | instid1(VALU_DEP_1)
	v_mul_f64 v[88:89], v[90:91], v[86:87]
	v_fma_f64 v[84:85], -v[84:85], v[88:89], v[90:91]
	s_delay_alu instid0(VALU_DEP_1) | instskip(NEXT) | instid1(VALU_DEP_1)
	v_div_fmas_f64 v[84:85], v[84:85], v[86:87], v[88:89]
	v_div_fixup_f64 v[84:85], v[84:85], v[80:81], v[82:83]
	s_delay_alu instid0(VALU_DEP_1) | instskip(NEXT) | instid1(VALU_DEP_1)
	v_fma_f64 v[80:81], v[82:83], v[84:85], v[80:81]
	v_div_scale_f64 v[82:83], null, v[80:81], v[80:81], 1.0
	s_delay_alu instid0(VALU_DEP_1) | instskip(SKIP_2) | instid1(VALU_DEP_1)
	v_rcp_f64_e32 v[86:87], v[82:83]
	s_waitcnt_depctr 0xfff
	v_fma_f64 v[88:89], -v[82:83], v[86:87], 1.0
	v_fma_f64 v[86:87], v[86:87], v[88:89], v[86:87]
	s_delay_alu instid0(VALU_DEP_1) | instskip(NEXT) | instid1(VALU_DEP_1)
	v_fma_f64 v[88:89], -v[82:83], v[86:87], 1.0
	v_fma_f64 v[86:87], v[86:87], v[88:89], v[86:87]
	v_div_scale_f64 v[88:89], vcc_lo, 1.0, v[80:81], 1.0
	s_delay_alu instid0(VALU_DEP_1) | instskip(NEXT) | instid1(VALU_DEP_1)
	v_mul_f64 v[90:91], v[88:89], v[86:87]
	v_fma_f64 v[82:83], -v[82:83], v[90:91], v[88:89]
	s_delay_alu instid0(VALU_DEP_1) | instskip(NEXT) | instid1(VALU_DEP_1)
	v_div_fmas_f64 v[82:83], v[82:83], v[86:87], v[90:91]
	v_div_fixup_f64 v[88:89], v[82:83], v[80:81], 1.0
	s_delay_alu instid0(VALU_DEP_1)
	v_mul_f64 v[86:87], v[84:85], -v[88:89]
.LBB35_25:
	s_or_b32 exec_lo, exec_lo, s3
	ds_store_2addr_b64 v185, v[88:89], v[86:87] offset1:1
.LBB35_26:
	s_or_b32 exec_lo, exec_lo, s4
	s_waitcnt lgkmcnt(0)
	s_barrier
	buffer_gl0_inv
	ds_load_2addr_b64 v[80:83], v185 offset1:1
	s_mov_b32 s3, exec_lo
	v_cmpx_lt_u32_e32 2, v184
	s_cbranch_execz .LBB35_28
; %bb.27:
	s_waitcnt lgkmcnt(0)
	v_mul_f64 v[84:85], v[80:81], v[62:63]
	v_mul_f64 v[62:63], v[82:83], v[62:63]
	s_delay_alu instid0(VALU_DEP_2)
	v_fma_f64 v[182:183], v[82:83], v[60:61], v[84:85]
	ds_load_2addr_b64 v[84:87], v186 offset0:6 offset1:7
	ds_load_2addr_b64 v[88:91], v186 offset0:8 offset1:9
	;; [unrolled: 1-line block ×15, first 2 shown]
	v_fma_f64 v[60:61], v[80:81], v[60:61], -v[62:63]
	s_waitcnt lgkmcnt(14)
	v_mul_f64 v[62:63], v[86:87], v[182:183]
	v_mul_f64 v[187:188], v[84:85], v[182:183]
	s_waitcnt lgkmcnt(13)
	v_mul_f64 v[189:190], v[90:91], v[182:183]
	v_mul_f64 v[191:192], v[88:89], v[182:183]
	;; [unrolled: 3-line block ×15, first 2 shown]
	v_fma_f64 v[62:63], v[84:85], v[60:61], -v[62:63]
	v_fma_f64 v[84:85], v[86:87], v[60:61], v[187:188]
	v_fma_f64 v[86:87], v[88:89], v[60:61], -v[189:190]
	v_fma_f64 v[88:89], v[90:91], v[60:61], v[191:192]
	;; [unrolled: 2-line block ×15, first 2 shown]
	v_add_f64 v[56:57], v[56:57], -v[62:63]
	v_add_f64 v[58:59], v[58:59], -v[84:85]
	;; [unrolled: 1-line block ×30, first 2 shown]
	v_dual_mov_b32 v62, v182 :: v_dual_mov_b32 v63, v183
.LBB35_28:
	s_or_b32 exec_lo, exec_lo, s3
	s_delay_alu instid0(SALU_CYCLE_1)
	s_mov_b32 s4, exec_lo
	s_waitcnt lgkmcnt(0)
	s_barrier
	buffer_gl0_inv
	v_cmpx_eq_u32_e32 3, v184
	s_cbranch_execz .LBB35_35
; %bb.29:
	ds_store_2addr_b64 v185, v[56:57], v[58:59] offset1:1
	ds_store_2addr_b64 v186, v[52:53], v[54:55] offset0:8 offset1:9
	ds_store_2addr_b64 v186, v[48:49], v[50:51] offset0:10 offset1:11
	;; [unrolled: 1-line block ×14, first 2 shown]
	ds_load_2addr_b64 v[84:87], v185 offset1:1
	s_waitcnt lgkmcnt(0)
	v_cmp_neq_f64_e32 vcc_lo, 0, v[84:85]
	v_cmp_neq_f64_e64 s3, 0, v[86:87]
	s_delay_alu instid0(VALU_DEP_1) | instskip(NEXT) | instid1(SALU_CYCLE_1)
	s_or_b32 s3, vcc_lo, s3
	s_and_b32 exec_lo, exec_lo, s3
	s_cbranch_execz .LBB35_35
; %bb.30:
	v_cmp_gt_f64_e32 vcc_lo, 0, v[84:85]
	v_cmp_gt_f64_e64 s3, 0, v[86:87]
	v_xor_b32_e32 v88, 0x80000000, v85
	v_xor_b32_e32 v90, 0x80000000, v87
                                        ; implicit-def: $vgpr92_vgpr93
	s_delay_alu instid0(VALU_DEP_2) | instskip(NEXT) | instid1(VALU_DEP_2)
	v_cndmask_b32_e32 v89, v85, v88, vcc_lo
	v_cndmask_b32_e64 v91, v87, v90, s3
	v_cndmask_b32_e32 v88, v84, v84, vcc_lo
	v_cndmask_b32_e64 v90, v86, v86, s3
	s_mov_b32 s3, exec_lo
	s_delay_alu instid0(VALU_DEP_1)
	v_cmpx_ngt_f64_e32 v[88:89], v[90:91]
	s_xor_b32 s3, exec_lo, s3
                                        ; implicit-def: $vgpr88_vgpr89_vgpr90_vgpr91
	s_cbranch_execz .LBB35_32
; %bb.31:
	v_div_scale_f64 v[88:89], null, v[86:87], v[86:87], v[84:85]
	v_div_scale_f64 v[94:95], vcc_lo, v[84:85], v[86:87], v[84:85]
	s_delay_alu instid0(VALU_DEP_2) | instskip(SKIP_2) | instid1(VALU_DEP_1)
	v_rcp_f64_e32 v[90:91], v[88:89]
	s_waitcnt_depctr 0xfff
	v_fma_f64 v[92:93], -v[88:89], v[90:91], 1.0
	v_fma_f64 v[90:91], v[90:91], v[92:93], v[90:91]
	s_delay_alu instid0(VALU_DEP_1) | instskip(NEXT) | instid1(VALU_DEP_1)
	v_fma_f64 v[92:93], -v[88:89], v[90:91], 1.0
	v_fma_f64 v[90:91], v[90:91], v[92:93], v[90:91]
	s_delay_alu instid0(VALU_DEP_1) | instskip(NEXT) | instid1(VALU_DEP_1)
	v_mul_f64 v[92:93], v[94:95], v[90:91]
	v_fma_f64 v[88:89], -v[88:89], v[92:93], v[94:95]
	s_delay_alu instid0(VALU_DEP_1) | instskip(NEXT) | instid1(VALU_DEP_1)
	v_div_fmas_f64 v[88:89], v[88:89], v[90:91], v[92:93]
	v_div_fixup_f64 v[88:89], v[88:89], v[86:87], v[84:85]
	s_delay_alu instid0(VALU_DEP_1) | instskip(NEXT) | instid1(VALU_DEP_1)
	v_fma_f64 v[84:85], v[84:85], v[88:89], v[86:87]
	v_div_scale_f64 v[86:87], null, v[84:85], v[84:85], 1.0
	s_delay_alu instid0(VALU_DEP_1) | instskip(SKIP_2) | instid1(VALU_DEP_1)
	v_rcp_f64_e32 v[90:91], v[86:87]
	s_waitcnt_depctr 0xfff
	v_fma_f64 v[92:93], -v[86:87], v[90:91], 1.0
	v_fma_f64 v[90:91], v[90:91], v[92:93], v[90:91]
	s_delay_alu instid0(VALU_DEP_1) | instskip(NEXT) | instid1(VALU_DEP_1)
	v_fma_f64 v[92:93], -v[86:87], v[90:91], 1.0
	v_fma_f64 v[90:91], v[90:91], v[92:93], v[90:91]
	v_div_scale_f64 v[92:93], vcc_lo, 1.0, v[84:85], 1.0
	s_delay_alu instid0(VALU_DEP_1) | instskip(NEXT) | instid1(VALU_DEP_1)
	v_mul_f64 v[94:95], v[92:93], v[90:91]
	v_fma_f64 v[86:87], -v[86:87], v[94:95], v[92:93]
	s_delay_alu instid0(VALU_DEP_1) | instskip(NEXT) | instid1(VALU_DEP_1)
	v_div_fmas_f64 v[86:87], v[86:87], v[90:91], v[94:95]
	v_div_fixup_f64 v[90:91], v[86:87], v[84:85], 1.0
                                        ; implicit-def: $vgpr84_vgpr85
	s_delay_alu instid0(VALU_DEP_1)
	v_mul_f64 v[92:93], v[88:89], v[90:91]
	v_xor_b32_e32 v91, 0x80000000, v91
.LBB35_32:
	s_and_not1_saveexec_b32 s3, s3
	s_cbranch_execz .LBB35_34
; %bb.33:
	v_div_scale_f64 v[88:89], null, v[84:85], v[84:85], v[86:87]
	v_div_scale_f64 v[94:95], vcc_lo, v[86:87], v[84:85], v[86:87]
	s_delay_alu instid0(VALU_DEP_2) | instskip(SKIP_2) | instid1(VALU_DEP_1)
	v_rcp_f64_e32 v[90:91], v[88:89]
	s_waitcnt_depctr 0xfff
	v_fma_f64 v[92:93], -v[88:89], v[90:91], 1.0
	v_fma_f64 v[90:91], v[90:91], v[92:93], v[90:91]
	s_delay_alu instid0(VALU_DEP_1) | instskip(NEXT) | instid1(VALU_DEP_1)
	v_fma_f64 v[92:93], -v[88:89], v[90:91], 1.0
	v_fma_f64 v[90:91], v[90:91], v[92:93], v[90:91]
	s_delay_alu instid0(VALU_DEP_1) | instskip(NEXT) | instid1(VALU_DEP_1)
	v_mul_f64 v[92:93], v[94:95], v[90:91]
	v_fma_f64 v[88:89], -v[88:89], v[92:93], v[94:95]
	s_delay_alu instid0(VALU_DEP_1) | instskip(NEXT) | instid1(VALU_DEP_1)
	v_div_fmas_f64 v[88:89], v[88:89], v[90:91], v[92:93]
	v_div_fixup_f64 v[88:89], v[88:89], v[84:85], v[86:87]
	s_delay_alu instid0(VALU_DEP_1) | instskip(NEXT) | instid1(VALU_DEP_1)
	v_fma_f64 v[84:85], v[86:87], v[88:89], v[84:85]
	v_div_scale_f64 v[86:87], null, v[84:85], v[84:85], 1.0
	s_delay_alu instid0(VALU_DEP_1) | instskip(SKIP_2) | instid1(VALU_DEP_1)
	v_rcp_f64_e32 v[90:91], v[86:87]
	s_waitcnt_depctr 0xfff
	v_fma_f64 v[92:93], -v[86:87], v[90:91], 1.0
	v_fma_f64 v[90:91], v[90:91], v[92:93], v[90:91]
	s_delay_alu instid0(VALU_DEP_1) | instskip(NEXT) | instid1(VALU_DEP_1)
	v_fma_f64 v[92:93], -v[86:87], v[90:91], 1.0
	v_fma_f64 v[90:91], v[90:91], v[92:93], v[90:91]
	v_div_scale_f64 v[92:93], vcc_lo, 1.0, v[84:85], 1.0
	s_delay_alu instid0(VALU_DEP_1) | instskip(NEXT) | instid1(VALU_DEP_1)
	v_mul_f64 v[94:95], v[92:93], v[90:91]
	v_fma_f64 v[86:87], -v[86:87], v[94:95], v[92:93]
	s_delay_alu instid0(VALU_DEP_1) | instskip(NEXT) | instid1(VALU_DEP_1)
	v_div_fmas_f64 v[86:87], v[86:87], v[90:91], v[94:95]
	v_div_fixup_f64 v[92:93], v[86:87], v[84:85], 1.0
	s_delay_alu instid0(VALU_DEP_1)
	v_mul_f64 v[90:91], v[88:89], -v[92:93]
.LBB35_34:
	s_or_b32 exec_lo, exec_lo, s3
	ds_store_2addr_b64 v185, v[92:93], v[90:91] offset1:1
.LBB35_35:
	s_or_b32 exec_lo, exec_lo, s4
	s_waitcnt lgkmcnt(0)
	s_barrier
	buffer_gl0_inv
	ds_load_2addr_b64 v[84:87], v185 offset1:1
	s_mov_b32 s3, exec_lo
	v_cmpx_lt_u32_e32 3, v184
	s_cbranch_execz .LBB35_37
; %bb.36:
	s_waitcnt lgkmcnt(0)
	v_mul_f64 v[88:89], v[84:85], v[58:59]
	v_mul_f64 v[58:59], v[86:87], v[58:59]
	s_delay_alu instid0(VALU_DEP_2)
	v_fma_f64 v[182:183], v[86:87], v[56:57], v[88:89]
	ds_load_2addr_b64 v[88:91], v186 offset0:8 offset1:9
	ds_load_2addr_b64 v[92:95], v186 offset0:10 offset1:11
	ds_load_2addr_b64 v[96:99], v186 offset0:12 offset1:13
	ds_load_2addr_b64 v[100:103], v186 offset0:14 offset1:15
	ds_load_2addr_b64 v[104:107], v186 offset0:16 offset1:17
	ds_load_2addr_b64 v[108:111], v186 offset0:18 offset1:19
	ds_load_2addr_b64 v[112:115], v186 offset0:20 offset1:21
	ds_load_2addr_b64 v[116:119], v186 offset0:22 offset1:23
	ds_load_2addr_b64 v[120:123], v186 offset0:24 offset1:25
	ds_load_2addr_b64 v[124:127], v186 offset0:26 offset1:27
	ds_load_2addr_b64 v[128:131], v186 offset0:28 offset1:29
	ds_load_2addr_b64 v[132:135], v186 offset0:30 offset1:31
	ds_load_2addr_b64 v[136:139], v186 offset0:32 offset1:33
	ds_load_2addr_b64 v[140:143], v186 offset0:34 offset1:35
	v_fma_f64 v[56:57], v[84:85], v[56:57], -v[58:59]
	s_waitcnt lgkmcnt(13)
	v_mul_f64 v[58:59], v[90:91], v[182:183]
	v_mul_f64 v[187:188], v[88:89], v[182:183]
	s_waitcnt lgkmcnt(12)
	v_mul_f64 v[189:190], v[94:95], v[182:183]
	v_mul_f64 v[191:192], v[92:93], v[182:183]
	;; [unrolled: 3-line block ×14, first 2 shown]
	v_fma_f64 v[58:59], v[88:89], v[56:57], -v[58:59]
	v_fma_f64 v[88:89], v[90:91], v[56:57], v[187:188]
	v_fma_f64 v[90:91], v[92:93], v[56:57], -v[189:190]
	v_fma_f64 v[92:93], v[94:95], v[56:57], v[191:192]
	v_fma_f64 v[94:95], v[96:97], v[56:57], -v[193:194]
	v_fma_f64 v[96:97], v[98:99], v[56:57], v[195:196]
	v_fma_f64 v[98:99], v[100:101], v[56:57], -v[197:198]
	v_fma_f64 v[100:101], v[102:103], v[56:57], v[199:200]
	v_fma_f64 v[102:103], v[104:105], v[56:57], -v[201:202]
	v_fma_f64 v[104:105], v[106:107], v[56:57], v[203:204]
	v_fma_f64 v[106:107], v[108:109], v[56:57], -v[205:206]
	v_fma_f64 v[108:109], v[110:111], v[56:57], v[207:208]
	v_fma_f64 v[110:111], v[112:113], v[56:57], -v[209:210]
	v_fma_f64 v[112:113], v[114:115], v[56:57], v[211:212]
	v_fma_f64 v[114:115], v[116:117], v[56:57], -v[213:214]
	v_fma_f64 v[116:117], v[118:119], v[56:57], v[215:216]
	v_fma_f64 v[118:119], v[120:121], v[56:57], -v[217:218]
	v_fma_f64 v[120:121], v[122:123], v[56:57], v[219:220]
	v_fma_f64 v[122:123], v[124:125], v[56:57], -v[221:222]
	v_fma_f64 v[124:125], v[126:127], v[56:57], v[223:224]
	v_fma_f64 v[126:127], v[128:129], v[56:57], -v[225:226]
	v_fma_f64 v[128:129], v[130:131], v[56:57], v[227:228]
	v_fma_f64 v[130:131], v[132:133], v[56:57], -v[229:230]
	v_fma_f64 v[132:133], v[134:135], v[56:57], v[231:232]
	v_fma_f64 v[134:135], v[136:137], v[56:57], -v[233:234]
	v_fma_f64 v[136:137], v[138:139], v[56:57], v[235:236]
	v_fma_f64 v[138:139], v[140:141], v[56:57], -v[237:238]
	v_fma_f64 v[140:141], v[142:143], v[56:57], v[239:240]
	v_add_f64 v[52:53], v[52:53], -v[58:59]
	v_add_f64 v[54:55], v[54:55], -v[88:89]
	;; [unrolled: 1-line block ×28, first 2 shown]
	v_dual_mov_b32 v58, v182 :: v_dual_mov_b32 v59, v183
.LBB35_37:
	s_or_b32 exec_lo, exec_lo, s3
	s_delay_alu instid0(SALU_CYCLE_1)
	s_mov_b32 s4, exec_lo
	s_waitcnt lgkmcnt(0)
	s_barrier
	buffer_gl0_inv
	v_cmpx_eq_u32_e32 4, v184
	s_cbranch_execz .LBB35_44
; %bb.38:
	ds_store_2addr_b64 v185, v[52:53], v[54:55] offset1:1
	ds_store_2addr_b64 v186, v[48:49], v[50:51] offset0:10 offset1:11
	ds_store_2addr_b64 v186, v[44:45], v[46:47] offset0:12 offset1:13
	;; [unrolled: 1-line block ×13, first 2 shown]
	ds_load_2addr_b64 v[88:91], v185 offset1:1
	s_waitcnt lgkmcnt(0)
	v_cmp_neq_f64_e32 vcc_lo, 0, v[88:89]
	v_cmp_neq_f64_e64 s3, 0, v[90:91]
	s_delay_alu instid0(VALU_DEP_1) | instskip(NEXT) | instid1(SALU_CYCLE_1)
	s_or_b32 s3, vcc_lo, s3
	s_and_b32 exec_lo, exec_lo, s3
	s_cbranch_execz .LBB35_44
; %bb.39:
	v_cmp_gt_f64_e32 vcc_lo, 0, v[88:89]
	v_cmp_gt_f64_e64 s3, 0, v[90:91]
	v_xor_b32_e32 v92, 0x80000000, v89
	v_xor_b32_e32 v94, 0x80000000, v91
                                        ; implicit-def: $vgpr96_vgpr97
	s_delay_alu instid0(VALU_DEP_2) | instskip(NEXT) | instid1(VALU_DEP_2)
	v_cndmask_b32_e32 v93, v89, v92, vcc_lo
	v_cndmask_b32_e64 v95, v91, v94, s3
	v_cndmask_b32_e32 v92, v88, v88, vcc_lo
	v_cndmask_b32_e64 v94, v90, v90, s3
	s_mov_b32 s3, exec_lo
	s_delay_alu instid0(VALU_DEP_1)
	v_cmpx_ngt_f64_e32 v[92:93], v[94:95]
	s_xor_b32 s3, exec_lo, s3
                                        ; implicit-def: $vgpr92_vgpr93_vgpr94_vgpr95
	s_cbranch_execz .LBB35_41
; %bb.40:
	v_div_scale_f64 v[92:93], null, v[90:91], v[90:91], v[88:89]
	v_div_scale_f64 v[98:99], vcc_lo, v[88:89], v[90:91], v[88:89]
	s_delay_alu instid0(VALU_DEP_2) | instskip(SKIP_2) | instid1(VALU_DEP_1)
	v_rcp_f64_e32 v[94:95], v[92:93]
	s_waitcnt_depctr 0xfff
	v_fma_f64 v[96:97], -v[92:93], v[94:95], 1.0
	v_fma_f64 v[94:95], v[94:95], v[96:97], v[94:95]
	s_delay_alu instid0(VALU_DEP_1) | instskip(NEXT) | instid1(VALU_DEP_1)
	v_fma_f64 v[96:97], -v[92:93], v[94:95], 1.0
	v_fma_f64 v[94:95], v[94:95], v[96:97], v[94:95]
	s_delay_alu instid0(VALU_DEP_1) | instskip(NEXT) | instid1(VALU_DEP_1)
	v_mul_f64 v[96:97], v[98:99], v[94:95]
	v_fma_f64 v[92:93], -v[92:93], v[96:97], v[98:99]
	s_delay_alu instid0(VALU_DEP_1) | instskip(NEXT) | instid1(VALU_DEP_1)
	v_div_fmas_f64 v[92:93], v[92:93], v[94:95], v[96:97]
	v_div_fixup_f64 v[92:93], v[92:93], v[90:91], v[88:89]
	s_delay_alu instid0(VALU_DEP_1) | instskip(NEXT) | instid1(VALU_DEP_1)
	v_fma_f64 v[88:89], v[88:89], v[92:93], v[90:91]
	v_div_scale_f64 v[90:91], null, v[88:89], v[88:89], 1.0
	s_delay_alu instid0(VALU_DEP_1) | instskip(SKIP_2) | instid1(VALU_DEP_1)
	v_rcp_f64_e32 v[94:95], v[90:91]
	s_waitcnt_depctr 0xfff
	v_fma_f64 v[96:97], -v[90:91], v[94:95], 1.0
	v_fma_f64 v[94:95], v[94:95], v[96:97], v[94:95]
	s_delay_alu instid0(VALU_DEP_1) | instskip(NEXT) | instid1(VALU_DEP_1)
	v_fma_f64 v[96:97], -v[90:91], v[94:95], 1.0
	v_fma_f64 v[94:95], v[94:95], v[96:97], v[94:95]
	v_div_scale_f64 v[96:97], vcc_lo, 1.0, v[88:89], 1.0
	s_delay_alu instid0(VALU_DEP_1) | instskip(NEXT) | instid1(VALU_DEP_1)
	v_mul_f64 v[98:99], v[96:97], v[94:95]
	v_fma_f64 v[90:91], -v[90:91], v[98:99], v[96:97]
	s_delay_alu instid0(VALU_DEP_1) | instskip(NEXT) | instid1(VALU_DEP_1)
	v_div_fmas_f64 v[90:91], v[90:91], v[94:95], v[98:99]
	v_div_fixup_f64 v[94:95], v[90:91], v[88:89], 1.0
                                        ; implicit-def: $vgpr88_vgpr89
	s_delay_alu instid0(VALU_DEP_1)
	v_mul_f64 v[96:97], v[92:93], v[94:95]
	v_xor_b32_e32 v95, 0x80000000, v95
.LBB35_41:
	s_and_not1_saveexec_b32 s3, s3
	s_cbranch_execz .LBB35_43
; %bb.42:
	v_div_scale_f64 v[92:93], null, v[88:89], v[88:89], v[90:91]
	v_div_scale_f64 v[98:99], vcc_lo, v[90:91], v[88:89], v[90:91]
	s_delay_alu instid0(VALU_DEP_2) | instskip(SKIP_2) | instid1(VALU_DEP_1)
	v_rcp_f64_e32 v[94:95], v[92:93]
	s_waitcnt_depctr 0xfff
	v_fma_f64 v[96:97], -v[92:93], v[94:95], 1.0
	v_fma_f64 v[94:95], v[94:95], v[96:97], v[94:95]
	s_delay_alu instid0(VALU_DEP_1) | instskip(NEXT) | instid1(VALU_DEP_1)
	v_fma_f64 v[96:97], -v[92:93], v[94:95], 1.0
	v_fma_f64 v[94:95], v[94:95], v[96:97], v[94:95]
	s_delay_alu instid0(VALU_DEP_1) | instskip(NEXT) | instid1(VALU_DEP_1)
	v_mul_f64 v[96:97], v[98:99], v[94:95]
	v_fma_f64 v[92:93], -v[92:93], v[96:97], v[98:99]
	s_delay_alu instid0(VALU_DEP_1) | instskip(NEXT) | instid1(VALU_DEP_1)
	v_div_fmas_f64 v[92:93], v[92:93], v[94:95], v[96:97]
	v_div_fixup_f64 v[92:93], v[92:93], v[88:89], v[90:91]
	s_delay_alu instid0(VALU_DEP_1) | instskip(NEXT) | instid1(VALU_DEP_1)
	v_fma_f64 v[88:89], v[90:91], v[92:93], v[88:89]
	v_div_scale_f64 v[90:91], null, v[88:89], v[88:89], 1.0
	s_delay_alu instid0(VALU_DEP_1) | instskip(SKIP_2) | instid1(VALU_DEP_1)
	v_rcp_f64_e32 v[94:95], v[90:91]
	s_waitcnt_depctr 0xfff
	v_fma_f64 v[96:97], -v[90:91], v[94:95], 1.0
	v_fma_f64 v[94:95], v[94:95], v[96:97], v[94:95]
	s_delay_alu instid0(VALU_DEP_1) | instskip(NEXT) | instid1(VALU_DEP_1)
	v_fma_f64 v[96:97], -v[90:91], v[94:95], 1.0
	v_fma_f64 v[94:95], v[94:95], v[96:97], v[94:95]
	v_div_scale_f64 v[96:97], vcc_lo, 1.0, v[88:89], 1.0
	s_delay_alu instid0(VALU_DEP_1) | instskip(NEXT) | instid1(VALU_DEP_1)
	v_mul_f64 v[98:99], v[96:97], v[94:95]
	v_fma_f64 v[90:91], -v[90:91], v[98:99], v[96:97]
	s_delay_alu instid0(VALU_DEP_1) | instskip(NEXT) | instid1(VALU_DEP_1)
	v_div_fmas_f64 v[90:91], v[90:91], v[94:95], v[98:99]
	v_div_fixup_f64 v[96:97], v[90:91], v[88:89], 1.0
	s_delay_alu instid0(VALU_DEP_1)
	v_mul_f64 v[94:95], v[92:93], -v[96:97]
.LBB35_43:
	s_or_b32 exec_lo, exec_lo, s3
	ds_store_2addr_b64 v185, v[96:97], v[94:95] offset1:1
.LBB35_44:
	s_or_b32 exec_lo, exec_lo, s4
	s_waitcnt lgkmcnt(0)
	s_barrier
	buffer_gl0_inv
	ds_load_2addr_b64 v[88:91], v185 offset1:1
	s_mov_b32 s3, exec_lo
	v_cmpx_lt_u32_e32 4, v184
	s_cbranch_execz .LBB35_46
; %bb.45:
	s_waitcnt lgkmcnt(0)
	v_mul_f64 v[92:93], v[88:89], v[54:55]
	v_mul_f64 v[54:55], v[90:91], v[54:55]
	s_delay_alu instid0(VALU_DEP_2)
	v_fma_f64 v[182:183], v[90:91], v[52:53], v[92:93]
	ds_load_2addr_b64 v[92:95], v186 offset0:10 offset1:11
	ds_load_2addr_b64 v[96:99], v186 offset0:12 offset1:13
	;; [unrolled: 1-line block ×13, first 2 shown]
	v_fma_f64 v[52:53], v[88:89], v[52:53], -v[54:55]
	s_waitcnt lgkmcnt(12)
	v_mul_f64 v[54:55], v[94:95], v[182:183]
	v_mul_f64 v[187:188], v[92:93], v[182:183]
	s_waitcnt lgkmcnt(11)
	v_mul_f64 v[189:190], v[98:99], v[182:183]
	v_mul_f64 v[191:192], v[96:97], v[182:183]
	;; [unrolled: 3-line block ×13, first 2 shown]
	v_fma_f64 v[54:55], v[92:93], v[52:53], -v[54:55]
	v_fma_f64 v[92:93], v[94:95], v[52:53], v[187:188]
	v_fma_f64 v[94:95], v[96:97], v[52:53], -v[189:190]
	v_fma_f64 v[96:97], v[98:99], v[52:53], v[191:192]
	;; [unrolled: 2-line block ×13, first 2 shown]
	v_add_f64 v[48:49], v[48:49], -v[54:55]
	v_add_f64 v[50:51], v[50:51], -v[92:93]
	;; [unrolled: 1-line block ×26, first 2 shown]
	v_dual_mov_b32 v54, v182 :: v_dual_mov_b32 v55, v183
.LBB35_46:
	s_or_b32 exec_lo, exec_lo, s3
	s_delay_alu instid0(SALU_CYCLE_1)
	s_mov_b32 s4, exec_lo
	s_waitcnt lgkmcnt(0)
	s_barrier
	buffer_gl0_inv
	v_cmpx_eq_u32_e32 5, v184
	s_cbranch_execz .LBB35_53
; %bb.47:
	ds_store_2addr_b64 v185, v[48:49], v[50:51] offset1:1
	ds_store_2addr_b64 v186, v[44:45], v[46:47] offset0:12 offset1:13
	ds_store_2addr_b64 v186, v[40:41], v[42:43] offset0:14 offset1:15
	;; [unrolled: 1-line block ×12, first 2 shown]
	ds_load_2addr_b64 v[92:95], v185 offset1:1
	s_waitcnt lgkmcnt(0)
	v_cmp_neq_f64_e32 vcc_lo, 0, v[92:93]
	v_cmp_neq_f64_e64 s3, 0, v[94:95]
	s_delay_alu instid0(VALU_DEP_1) | instskip(NEXT) | instid1(SALU_CYCLE_1)
	s_or_b32 s3, vcc_lo, s3
	s_and_b32 exec_lo, exec_lo, s3
	s_cbranch_execz .LBB35_53
; %bb.48:
	v_cmp_gt_f64_e32 vcc_lo, 0, v[92:93]
	v_cmp_gt_f64_e64 s3, 0, v[94:95]
	v_xor_b32_e32 v96, 0x80000000, v93
	v_xor_b32_e32 v98, 0x80000000, v95
                                        ; implicit-def: $vgpr100_vgpr101
	s_delay_alu instid0(VALU_DEP_2) | instskip(NEXT) | instid1(VALU_DEP_2)
	v_cndmask_b32_e32 v97, v93, v96, vcc_lo
	v_cndmask_b32_e64 v99, v95, v98, s3
	v_cndmask_b32_e32 v96, v92, v92, vcc_lo
	v_cndmask_b32_e64 v98, v94, v94, s3
	s_mov_b32 s3, exec_lo
	s_delay_alu instid0(VALU_DEP_1)
	v_cmpx_ngt_f64_e32 v[96:97], v[98:99]
	s_xor_b32 s3, exec_lo, s3
                                        ; implicit-def: $vgpr96_vgpr97_vgpr98_vgpr99
	s_cbranch_execz .LBB35_50
; %bb.49:
	v_div_scale_f64 v[96:97], null, v[94:95], v[94:95], v[92:93]
	v_div_scale_f64 v[102:103], vcc_lo, v[92:93], v[94:95], v[92:93]
	s_delay_alu instid0(VALU_DEP_2) | instskip(SKIP_2) | instid1(VALU_DEP_1)
	v_rcp_f64_e32 v[98:99], v[96:97]
	s_waitcnt_depctr 0xfff
	v_fma_f64 v[100:101], -v[96:97], v[98:99], 1.0
	v_fma_f64 v[98:99], v[98:99], v[100:101], v[98:99]
	s_delay_alu instid0(VALU_DEP_1) | instskip(NEXT) | instid1(VALU_DEP_1)
	v_fma_f64 v[100:101], -v[96:97], v[98:99], 1.0
	v_fma_f64 v[98:99], v[98:99], v[100:101], v[98:99]
	s_delay_alu instid0(VALU_DEP_1) | instskip(NEXT) | instid1(VALU_DEP_1)
	v_mul_f64 v[100:101], v[102:103], v[98:99]
	v_fma_f64 v[96:97], -v[96:97], v[100:101], v[102:103]
	s_delay_alu instid0(VALU_DEP_1) | instskip(NEXT) | instid1(VALU_DEP_1)
	v_div_fmas_f64 v[96:97], v[96:97], v[98:99], v[100:101]
	v_div_fixup_f64 v[96:97], v[96:97], v[94:95], v[92:93]
	s_delay_alu instid0(VALU_DEP_1) | instskip(NEXT) | instid1(VALU_DEP_1)
	v_fma_f64 v[92:93], v[92:93], v[96:97], v[94:95]
	v_div_scale_f64 v[94:95], null, v[92:93], v[92:93], 1.0
	s_delay_alu instid0(VALU_DEP_1) | instskip(SKIP_2) | instid1(VALU_DEP_1)
	v_rcp_f64_e32 v[98:99], v[94:95]
	s_waitcnt_depctr 0xfff
	v_fma_f64 v[100:101], -v[94:95], v[98:99], 1.0
	v_fma_f64 v[98:99], v[98:99], v[100:101], v[98:99]
	s_delay_alu instid0(VALU_DEP_1) | instskip(NEXT) | instid1(VALU_DEP_1)
	v_fma_f64 v[100:101], -v[94:95], v[98:99], 1.0
	v_fma_f64 v[98:99], v[98:99], v[100:101], v[98:99]
	v_div_scale_f64 v[100:101], vcc_lo, 1.0, v[92:93], 1.0
	s_delay_alu instid0(VALU_DEP_1) | instskip(NEXT) | instid1(VALU_DEP_1)
	v_mul_f64 v[102:103], v[100:101], v[98:99]
	v_fma_f64 v[94:95], -v[94:95], v[102:103], v[100:101]
	s_delay_alu instid0(VALU_DEP_1) | instskip(NEXT) | instid1(VALU_DEP_1)
	v_div_fmas_f64 v[94:95], v[94:95], v[98:99], v[102:103]
	v_div_fixup_f64 v[98:99], v[94:95], v[92:93], 1.0
                                        ; implicit-def: $vgpr92_vgpr93
	s_delay_alu instid0(VALU_DEP_1)
	v_mul_f64 v[100:101], v[96:97], v[98:99]
	v_xor_b32_e32 v99, 0x80000000, v99
.LBB35_50:
	s_and_not1_saveexec_b32 s3, s3
	s_cbranch_execz .LBB35_52
; %bb.51:
	v_div_scale_f64 v[96:97], null, v[92:93], v[92:93], v[94:95]
	v_div_scale_f64 v[102:103], vcc_lo, v[94:95], v[92:93], v[94:95]
	s_delay_alu instid0(VALU_DEP_2) | instskip(SKIP_2) | instid1(VALU_DEP_1)
	v_rcp_f64_e32 v[98:99], v[96:97]
	s_waitcnt_depctr 0xfff
	v_fma_f64 v[100:101], -v[96:97], v[98:99], 1.0
	v_fma_f64 v[98:99], v[98:99], v[100:101], v[98:99]
	s_delay_alu instid0(VALU_DEP_1) | instskip(NEXT) | instid1(VALU_DEP_1)
	v_fma_f64 v[100:101], -v[96:97], v[98:99], 1.0
	v_fma_f64 v[98:99], v[98:99], v[100:101], v[98:99]
	s_delay_alu instid0(VALU_DEP_1) | instskip(NEXT) | instid1(VALU_DEP_1)
	v_mul_f64 v[100:101], v[102:103], v[98:99]
	v_fma_f64 v[96:97], -v[96:97], v[100:101], v[102:103]
	s_delay_alu instid0(VALU_DEP_1) | instskip(NEXT) | instid1(VALU_DEP_1)
	v_div_fmas_f64 v[96:97], v[96:97], v[98:99], v[100:101]
	v_div_fixup_f64 v[96:97], v[96:97], v[92:93], v[94:95]
	s_delay_alu instid0(VALU_DEP_1) | instskip(NEXT) | instid1(VALU_DEP_1)
	v_fma_f64 v[92:93], v[94:95], v[96:97], v[92:93]
	v_div_scale_f64 v[94:95], null, v[92:93], v[92:93], 1.0
	s_delay_alu instid0(VALU_DEP_1) | instskip(SKIP_2) | instid1(VALU_DEP_1)
	v_rcp_f64_e32 v[98:99], v[94:95]
	s_waitcnt_depctr 0xfff
	v_fma_f64 v[100:101], -v[94:95], v[98:99], 1.0
	v_fma_f64 v[98:99], v[98:99], v[100:101], v[98:99]
	s_delay_alu instid0(VALU_DEP_1) | instskip(NEXT) | instid1(VALU_DEP_1)
	v_fma_f64 v[100:101], -v[94:95], v[98:99], 1.0
	v_fma_f64 v[98:99], v[98:99], v[100:101], v[98:99]
	v_div_scale_f64 v[100:101], vcc_lo, 1.0, v[92:93], 1.0
	s_delay_alu instid0(VALU_DEP_1) | instskip(NEXT) | instid1(VALU_DEP_1)
	v_mul_f64 v[102:103], v[100:101], v[98:99]
	v_fma_f64 v[94:95], -v[94:95], v[102:103], v[100:101]
	s_delay_alu instid0(VALU_DEP_1) | instskip(NEXT) | instid1(VALU_DEP_1)
	v_div_fmas_f64 v[94:95], v[94:95], v[98:99], v[102:103]
	v_div_fixup_f64 v[100:101], v[94:95], v[92:93], 1.0
	s_delay_alu instid0(VALU_DEP_1)
	v_mul_f64 v[98:99], v[96:97], -v[100:101]
.LBB35_52:
	s_or_b32 exec_lo, exec_lo, s3
	ds_store_2addr_b64 v185, v[100:101], v[98:99] offset1:1
.LBB35_53:
	s_or_b32 exec_lo, exec_lo, s4
	s_waitcnt lgkmcnt(0)
	s_barrier
	buffer_gl0_inv
	ds_load_2addr_b64 v[92:95], v185 offset1:1
	s_mov_b32 s3, exec_lo
	v_cmpx_lt_u32_e32 5, v184
	s_cbranch_execz .LBB35_55
; %bb.54:
	s_waitcnt lgkmcnt(0)
	v_mul_f64 v[96:97], v[92:93], v[50:51]
	v_mul_f64 v[50:51], v[94:95], v[50:51]
	s_delay_alu instid0(VALU_DEP_2)
	v_fma_f64 v[182:183], v[94:95], v[48:49], v[96:97]
	ds_load_2addr_b64 v[96:99], v186 offset0:12 offset1:13
	ds_load_2addr_b64 v[100:103], v186 offset0:14 offset1:15
	;; [unrolled: 1-line block ×12, first 2 shown]
	v_fma_f64 v[48:49], v[92:93], v[48:49], -v[50:51]
	s_waitcnt lgkmcnt(11)
	v_mul_f64 v[50:51], v[98:99], v[182:183]
	v_mul_f64 v[187:188], v[96:97], v[182:183]
	s_waitcnt lgkmcnt(10)
	v_mul_f64 v[189:190], v[102:103], v[182:183]
	v_mul_f64 v[191:192], v[100:101], v[182:183]
	;; [unrolled: 3-line block ×12, first 2 shown]
	v_fma_f64 v[50:51], v[96:97], v[48:49], -v[50:51]
	v_fma_f64 v[96:97], v[98:99], v[48:49], v[187:188]
	v_fma_f64 v[98:99], v[100:101], v[48:49], -v[189:190]
	v_fma_f64 v[100:101], v[102:103], v[48:49], v[191:192]
	;; [unrolled: 2-line block ×12, first 2 shown]
	v_add_f64 v[44:45], v[44:45], -v[50:51]
	v_add_f64 v[46:47], v[46:47], -v[96:97]
	;; [unrolled: 1-line block ×24, first 2 shown]
	v_dual_mov_b32 v50, v182 :: v_dual_mov_b32 v51, v183
.LBB35_55:
	s_or_b32 exec_lo, exec_lo, s3
	s_delay_alu instid0(SALU_CYCLE_1)
	s_mov_b32 s4, exec_lo
	s_waitcnt lgkmcnt(0)
	s_barrier
	buffer_gl0_inv
	v_cmpx_eq_u32_e32 6, v184
	s_cbranch_execz .LBB35_62
; %bb.56:
	ds_store_2addr_b64 v185, v[44:45], v[46:47] offset1:1
	ds_store_2addr_b64 v186, v[40:41], v[42:43] offset0:14 offset1:15
	ds_store_2addr_b64 v186, v[36:37], v[38:39] offset0:16 offset1:17
	;; [unrolled: 1-line block ×11, first 2 shown]
	ds_load_2addr_b64 v[96:99], v185 offset1:1
	s_waitcnt lgkmcnt(0)
	v_cmp_neq_f64_e32 vcc_lo, 0, v[96:97]
	v_cmp_neq_f64_e64 s3, 0, v[98:99]
	s_delay_alu instid0(VALU_DEP_1) | instskip(NEXT) | instid1(SALU_CYCLE_1)
	s_or_b32 s3, vcc_lo, s3
	s_and_b32 exec_lo, exec_lo, s3
	s_cbranch_execz .LBB35_62
; %bb.57:
	v_cmp_gt_f64_e32 vcc_lo, 0, v[96:97]
	v_cmp_gt_f64_e64 s3, 0, v[98:99]
	v_xor_b32_e32 v100, 0x80000000, v97
	v_xor_b32_e32 v102, 0x80000000, v99
                                        ; implicit-def: $vgpr104_vgpr105
	s_delay_alu instid0(VALU_DEP_2) | instskip(NEXT) | instid1(VALU_DEP_2)
	v_cndmask_b32_e32 v101, v97, v100, vcc_lo
	v_cndmask_b32_e64 v103, v99, v102, s3
	v_cndmask_b32_e32 v100, v96, v96, vcc_lo
	v_cndmask_b32_e64 v102, v98, v98, s3
	s_mov_b32 s3, exec_lo
	s_delay_alu instid0(VALU_DEP_1)
	v_cmpx_ngt_f64_e32 v[100:101], v[102:103]
	s_xor_b32 s3, exec_lo, s3
                                        ; implicit-def: $vgpr100_vgpr101_vgpr102_vgpr103
	s_cbranch_execz .LBB35_59
; %bb.58:
	v_div_scale_f64 v[100:101], null, v[98:99], v[98:99], v[96:97]
	v_div_scale_f64 v[106:107], vcc_lo, v[96:97], v[98:99], v[96:97]
	s_delay_alu instid0(VALU_DEP_2) | instskip(SKIP_2) | instid1(VALU_DEP_1)
	v_rcp_f64_e32 v[102:103], v[100:101]
	s_waitcnt_depctr 0xfff
	v_fma_f64 v[104:105], -v[100:101], v[102:103], 1.0
	v_fma_f64 v[102:103], v[102:103], v[104:105], v[102:103]
	s_delay_alu instid0(VALU_DEP_1) | instskip(NEXT) | instid1(VALU_DEP_1)
	v_fma_f64 v[104:105], -v[100:101], v[102:103], 1.0
	v_fma_f64 v[102:103], v[102:103], v[104:105], v[102:103]
	s_delay_alu instid0(VALU_DEP_1) | instskip(NEXT) | instid1(VALU_DEP_1)
	v_mul_f64 v[104:105], v[106:107], v[102:103]
	v_fma_f64 v[100:101], -v[100:101], v[104:105], v[106:107]
	s_delay_alu instid0(VALU_DEP_1) | instskip(NEXT) | instid1(VALU_DEP_1)
	v_div_fmas_f64 v[100:101], v[100:101], v[102:103], v[104:105]
	v_div_fixup_f64 v[100:101], v[100:101], v[98:99], v[96:97]
	s_delay_alu instid0(VALU_DEP_1) | instskip(NEXT) | instid1(VALU_DEP_1)
	v_fma_f64 v[96:97], v[96:97], v[100:101], v[98:99]
	v_div_scale_f64 v[98:99], null, v[96:97], v[96:97], 1.0
	s_delay_alu instid0(VALU_DEP_1) | instskip(SKIP_2) | instid1(VALU_DEP_1)
	v_rcp_f64_e32 v[102:103], v[98:99]
	s_waitcnt_depctr 0xfff
	v_fma_f64 v[104:105], -v[98:99], v[102:103], 1.0
	v_fma_f64 v[102:103], v[102:103], v[104:105], v[102:103]
	s_delay_alu instid0(VALU_DEP_1) | instskip(NEXT) | instid1(VALU_DEP_1)
	v_fma_f64 v[104:105], -v[98:99], v[102:103], 1.0
	v_fma_f64 v[102:103], v[102:103], v[104:105], v[102:103]
	v_div_scale_f64 v[104:105], vcc_lo, 1.0, v[96:97], 1.0
	s_delay_alu instid0(VALU_DEP_1) | instskip(NEXT) | instid1(VALU_DEP_1)
	v_mul_f64 v[106:107], v[104:105], v[102:103]
	v_fma_f64 v[98:99], -v[98:99], v[106:107], v[104:105]
	s_delay_alu instid0(VALU_DEP_1) | instskip(NEXT) | instid1(VALU_DEP_1)
	v_div_fmas_f64 v[98:99], v[98:99], v[102:103], v[106:107]
	v_div_fixup_f64 v[102:103], v[98:99], v[96:97], 1.0
                                        ; implicit-def: $vgpr96_vgpr97
	s_delay_alu instid0(VALU_DEP_1)
	v_mul_f64 v[104:105], v[100:101], v[102:103]
	v_xor_b32_e32 v103, 0x80000000, v103
.LBB35_59:
	s_and_not1_saveexec_b32 s3, s3
	s_cbranch_execz .LBB35_61
; %bb.60:
	v_div_scale_f64 v[100:101], null, v[96:97], v[96:97], v[98:99]
	v_div_scale_f64 v[106:107], vcc_lo, v[98:99], v[96:97], v[98:99]
	s_delay_alu instid0(VALU_DEP_2) | instskip(SKIP_2) | instid1(VALU_DEP_1)
	v_rcp_f64_e32 v[102:103], v[100:101]
	s_waitcnt_depctr 0xfff
	v_fma_f64 v[104:105], -v[100:101], v[102:103], 1.0
	v_fma_f64 v[102:103], v[102:103], v[104:105], v[102:103]
	s_delay_alu instid0(VALU_DEP_1) | instskip(NEXT) | instid1(VALU_DEP_1)
	v_fma_f64 v[104:105], -v[100:101], v[102:103], 1.0
	v_fma_f64 v[102:103], v[102:103], v[104:105], v[102:103]
	s_delay_alu instid0(VALU_DEP_1) | instskip(NEXT) | instid1(VALU_DEP_1)
	v_mul_f64 v[104:105], v[106:107], v[102:103]
	v_fma_f64 v[100:101], -v[100:101], v[104:105], v[106:107]
	s_delay_alu instid0(VALU_DEP_1) | instskip(NEXT) | instid1(VALU_DEP_1)
	v_div_fmas_f64 v[100:101], v[100:101], v[102:103], v[104:105]
	v_div_fixup_f64 v[100:101], v[100:101], v[96:97], v[98:99]
	s_delay_alu instid0(VALU_DEP_1) | instskip(NEXT) | instid1(VALU_DEP_1)
	v_fma_f64 v[96:97], v[98:99], v[100:101], v[96:97]
	v_div_scale_f64 v[98:99], null, v[96:97], v[96:97], 1.0
	s_delay_alu instid0(VALU_DEP_1) | instskip(SKIP_2) | instid1(VALU_DEP_1)
	v_rcp_f64_e32 v[102:103], v[98:99]
	s_waitcnt_depctr 0xfff
	v_fma_f64 v[104:105], -v[98:99], v[102:103], 1.0
	v_fma_f64 v[102:103], v[102:103], v[104:105], v[102:103]
	s_delay_alu instid0(VALU_DEP_1) | instskip(NEXT) | instid1(VALU_DEP_1)
	v_fma_f64 v[104:105], -v[98:99], v[102:103], 1.0
	v_fma_f64 v[102:103], v[102:103], v[104:105], v[102:103]
	v_div_scale_f64 v[104:105], vcc_lo, 1.0, v[96:97], 1.0
	s_delay_alu instid0(VALU_DEP_1) | instskip(NEXT) | instid1(VALU_DEP_1)
	v_mul_f64 v[106:107], v[104:105], v[102:103]
	v_fma_f64 v[98:99], -v[98:99], v[106:107], v[104:105]
	s_delay_alu instid0(VALU_DEP_1) | instskip(NEXT) | instid1(VALU_DEP_1)
	v_div_fmas_f64 v[98:99], v[98:99], v[102:103], v[106:107]
	v_div_fixup_f64 v[104:105], v[98:99], v[96:97], 1.0
	s_delay_alu instid0(VALU_DEP_1)
	v_mul_f64 v[102:103], v[100:101], -v[104:105]
.LBB35_61:
	s_or_b32 exec_lo, exec_lo, s3
	ds_store_2addr_b64 v185, v[104:105], v[102:103] offset1:1
.LBB35_62:
	s_or_b32 exec_lo, exec_lo, s4
	s_waitcnt lgkmcnt(0)
	s_barrier
	buffer_gl0_inv
	ds_load_2addr_b64 v[96:99], v185 offset1:1
	s_mov_b32 s3, exec_lo
	v_cmpx_lt_u32_e32 6, v184
	s_cbranch_execz .LBB35_64
; %bb.63:
	s_waitcnt lgkmcnt(0)
	v_mul_f64 v[100:101], v[96:97], v[46:47]
	v_mul_f64 v[46:47], v[98:99], v[46:47]
	s_delay_alu instid0(VALU_DEP_2)
	v_fma_f64 v[182:183], v[98:99], v[44:45], v[100:101]
	ds_load_2addr_b64 v[100:103], v186 offset0:14 offset1:15
	ds_load_2addr_b64 v[104:107], v186 offset0:16 offset1:17
	;; [unrolled: 1-line block ×11, first 2 shown]
	v_fma_f64 v[44:45], v[96:97], v[44:45], -v[46:47]
	s_waitcnt lgkmcnt(10)
	v_mul_f64 v[46:47], v[102:103], v[182:183]
	v_mul_f64 v[187:188], v[100:101], v[182:183]
	s_waitcnt lgkmcnt(9)
	v_mul_f64 v[189:190], v[106:107], v[182:183]
	v_mul_f64 v[191:192], v[104:105], v[182:183]
	;; [unrolled: 3-line block ×11, first 2 shown]
	v_fma_f64 v[46:47], v[100:101], v[44:45], -v[46:47]
	v_fma_f64 v[100:101], v[102:103], v[44:45], v[187:188]
	v_fma_f64 v[102:103], v[104:105], v[44:45], -v[189:190]
	v_fma_f64 v[104:105], v[106:107], v[44:45], v[191:192]
	v_fma_f64 v[106:107], v[108:109], v[44:45], -v[193:194]
	v_fma_f64 v[108:109], v[110:111], v[44:45], v[195:196]
	v_fma_f64 v[110:111], v[112:113], v[44:45], -v[197:198]
	v_fma_f64 v[112:113], v[114:115], v[44:45], v[199:200]
	v_fma_f64 v[114:115], v[116:117], v[44:45], -v[201:202]
	v_fma_f64 v[116:117], v[118:119], v[44:45], v[203:204]
	v_fma_f64 v[118:119], v[120:121], v[44:45], -v[205:206]
	v_fma_f64 v[120:121], v[122:123], v[44:45], v[207:208]
	v_fma_f64 v[122:123], v[124:125], v[44:45], -v[209:210]
	v_fma_f64 v[124:125], v[126:127], v[44:45], v[211:212]
	v_fma_f64 v[126:127], v[128:129], v[44:45], -v[213:214]
	v_fma_f64 v[128:129], v[130:131], v[44:45], v[215:216]
	v_fma_f64 v[130:131], v[132:133], v[44:45], -v[217:218]
	v_fma_f64 v[132:133], v[134:135], v[44:45], v[219:220]
	v_fma_f64 v[134:135], v[136:137], v[44:45], -v[221:222]
	v_fma_f64 v[136:137], v[138:139], v[44:45], v[223:224]
	v_fma_f64 v[138:139], v[140:141], v[44:45], -v[225:226]
	v_fma_f64 v[140:141], v[142:143], v[44:45], v[227:228]
	v_add_f64 v[40:41], v[40:41], -v[46:47]
	v_add_f64 v[42:43], v[42:43], -v[100:101]
	;; [unrolled: 1-line block ×22, first 2 shown]
	v_dual_mov_b32 v46, v182 :: v_dual_mov_b32 v47, v183
.LBB35_64:
	s_or_b32 exec_lo, exec_lo, s3
	s_delay_alu instid0(SALU_CYCLE_1)
	s_mov_b32 s4, exec_lo
	s_waitcnt lgkmcnt(0)
	s_barrier
	buffer_gl0_inv
	v_cmpx_eq_u32_e32 7, v184
	s_cbranch_execz .LBB35_71
; %bb.65:
	ds_store_2addr_b64 v185, v[40:41], v[42:43] offset1:1
	ds_store_2addr_b64 v186, v[36:37], v[38:39] offset0:16 offset1:17
	ds_store_2addr_b64 v186, v[32:33], v[34:35] offset0:18 offset1:19
	;; [unrolled: 1-line block ×10, first 2 shown]
	ds_load_2addr_b64 v[100:103], v185 offset1:1
	s_waitcnt lgkmcnt(0)
	v_cmp_neq_f64_e32 vcc_lo, 0, v[100:101]
	v_cmp_neq_f64_e64 s3, 0, v[102:103]
	s_delay_alu instid0(VALU_DEP_1) | instskip(NEXT) | instid1(SALU_CYCLE_1)
	s_or_b32 s3, vcc_lo, s3
	s_and_b32 exec_lo, exec_lo, s3
	s_cbranch_execz .LBB35_71
; %bb.66:
	v_cmp_gt_f64_e32 vcc_lo, 0, v[100:101]
	v_cmp_gt_f64_e64 s3, 0, v[102:103]
	v_xor_b32_e32 v104, 0x80000000, v101
	v_xor_b32_e32 v106, 0x80000000, v103
                                        ; implicit-def: $vgpr108_vgpr109
	s_delay_alu instid0(VALU_DEP_2) | instskip(NEXT) | instid1(VALU_DEP_2)
	v_cndmask_b32_e32 v105, v101, v104, vcc_lo
	v_cndmask_b32_e64 v107, v103, v106, s3
	v_cndmask_b32_e32 v104, v100, v100, vcc_lo
	v_cndmask_b32_e64 v106, v102, v102, s3
	s_mov_b32 s3, exec_lo
	s_delay_alu instid0(VALU_DEP_1)
	v_cmpx_ngt_f64_e32 v[104:105], v[106:107]
	s_xor_b32 s3, exec_lo, s3
                                        ; implicit-def: $vgpr104_vgpr105_vgpr106_vgpr107
	s_cbranch_execz .LBB35_68
; %bb.67:
	v_div_scale_f64 v[104:105], null, v[102:103], v[102:103], v[100:101]
	v_div_scale_f64 v[110:111], vcc_lo, v[100:101], v[102:103], v[100:101]
	s_delay_alu instid0(VALU_DEP_2) | instskip(SKIP_2) | instid1(VALU_DEP_1)
	v_rcp_f64_e32 v[106:107], v[104:105]
	s_waitcnt_depctr 0xfff
	v_fma_f64 v[108:109], -v[104:105], v[106:107], 1.0
	v_fma_f64 v[106:107], v[106:107], v[108:109], v[106:107]
	s_delay_alu instid0(VALU_DEP_1) | instskip(NEXT) | instid1(VALU_DEP_1)
	v_fma_f64 v[108:109], -v[104:105], v[106:107], 1.0
	v_fma_f64 v[106:107], v[106:107], v[108:109], v[106:107]
	s_delay_alu instid0(VALU_DEP_1) | instskip(NEXT) | instid1(VALU_DEP_1)
	v_mul_f64 v[108:109], v[110:111], v[106:107]
	v_fma_f64 v[104:105], -v[104:105], v[108:109], v[110:111]
	s_delay_alu instid0(VALU_DEP_1) | instskip(NEXT) | instid1(VALU_DEP_1)
	v_div_fmas_f64 v[104:105], v[104:105], v[106:107], v[108:109]
	v_div_fixup_f64 v[104:105], v[104:105], v[102:103], v[100:101]
	s_delay_alu instid0(VALU_DEP_1) | instskip(NEXT) | instid1(VALU_DEP_1)
	v_fma_f64 v[100:101], v[100:101], v[104:105], v[102:103]
	v_div_scale_f64 v[102:103], null, v[100:101], v[100:101], 1.0
	s_delay_alu instid0(VALU_DEP_1) | instskip(SKIP_2) | instid1(VALU_DEP_1)
	v_rcp_f64_e32 v[106:107], v[102:103]
	s_waitcnt_depctr 0xfff
	v_fma_f64 v[108:109], -v[102:103], v[106:107], 1.0
	v_fma_f64 v[106:107], v[106:107], v[108:109], v[106:107]
	s_delay_alu instid0(VALU_DEP_1) | instskip(NEXT) | instid1(VALU_DEP_1)
	v_fma_f64 v[108:109], -v[102:103], v[106:107], 1.0
	v_fma_f64 v[106:107], v[106:107], v[108:109], v[106:107]
	v_div_scale_f64 v[108:109], vcc_lo, 1.0, v[100:101], 1.0
	s_delay_alu instid0(VALU_DEP_1) | instskip(NEXT) | instid1(VALU_DEP_1)
	v_mul_f64 v[110:111], v[108:109], v[106:107]
	v_fma_f64 v[102:103], -v[102:103], v[110:111], v[108:109]
	s_delay_alu instid0(VALU_DEP_1) | instskip(NEXT) | instid1(VALU_DEP_1)
	v_div_fmas_f64 v[102:103], v[102:103], v[106:107], v[110:111]
	v_div_fixup_f64 v[106:107], v[102:103], v[100:101], 1.0
                                        ; implicit-def: $vgpr100_vgpr101
	s_delay_alu instid0(VALU_DEP_1)
	v_mul_f64 v[108:109], v[104:105], v[106:107]
	v_xor_b32_e32 v107, 0x80000000, v107
.LBB35_68:
	s_and_not1_saveexec_b32 s3, s3
	s_cbranch_execz .LBB35_70
; %bb.69:
	v_div_scale_f64 v[104:105], null, v[100:101], v[100:101], v[102:103]
	v_div_scale_f64 v[110:111], vcc_lo, v[102:103], v[100:101], v[102:103]
	s_delay_alu instid0(VALU_DEP_2) | instskip(SKIP_2) | instid1(VALU_DEP_1)
	v_rcp_f64_e32 v[106:107], v[104:105]
	s_waitcnt_depctr 0xfff
	v_fma_f64 v[108:109], -v[104:105], v[106:107], 1.0
	v_fma_f64 v[106:107], v[106:107], v[108:109], v[106:107]
	s_delay_alu instid0(VALU_DEP_1) | instskip(NEXT) | instid1(VALU_DEP_1)
	v_fma_f64 v[108:109], -v[104:105], v[106:107], 1.0
	v_fma_f64 v[106:107], v[106:107], v[108:109], v[106:107]
	s_delay_alu instid0(VALU_DEP_1) | instskip(NEXT) | instid1(VALU_DEP_1)
	v_mul_f64 v[108:109], v[110:111], v[106:107]
	v_fma_f64 v[104:105], -v[104:105], v[108:109], v[110:111]
	s_delay_alu instid0(VALU_DEP_1) | instskip(NEXT) | instid1(VALU_DEP_1)
	v_div_fmas_f64 v[104:105], v[104:105], v[106:107], v[108:109]
	v_div_fixup_f64 v[104:105], v[104:105], v[100:101], v[102:103]
	s_delay_alu instid0(VALU_DEP_1) | instskip(NEXT) | instid1(VALU_DEP_1)
	v_fma_f64 v[100:101], v[102:103], v[104:105], v[100:101]
	v_div_scale_f64 v[102:103], null, v[100:101], v[100:101], 1.0
	s_delay_alu instid0(VALU_DEP_1) | instskip(SKIP_2) | instid1(VALU_DEP_1)
	v_rcp_f64_e32 v[106:107], v[102:103]
	s_waitcnt_depctr 0xfff
	v_fma_f64 v[108:109], -v[102:103], v[106:107], 1.0
	v_fma_f64 v[106:107], v[106:107], v[108:109], v[106:107]
	s_delay_alu instid0(VALU_DEP_1) | instskip(NEXT) | instid1(VALU_DEP_1)
	v_fma_f64 v[108:109], -v[102:103], v[106:107], 1.0
	v_fma_f64 v[106:107], v[106:107], v[108:109], v[106:107]
	v_div_scale_f64 v[108:109], vcc_lo, 1.0, v[100:101], 1.0
	s_delay_alu instid0(VALU_DEP_1) | instskip(NEXT) | instid1(VALU_DEP_1)
	v_mul_f64 v[110:111], v[108:109], v[106:107]
	v_fma_f64 v[102:103], -v[102:103], v[110:111], v[108:109]
	s_delay_alu instid0(VALU_DEP_1) | instskip(NEXT) | instid1(VALU_DEP_1)
	v_div_fmas_f64 v[102:103], v[102:103], v[106:107], v[110:111]
	v_div_fixup_f64 v[108:109], v[102:103], v[100:101], 1.0
	s_delay_alu instid0(VALU_DEP_1)
	v_mul_f64 v[106:107], v[104:105], -v[108:109]
.LBB35_70:
	s_or_b32 exec_lo, exec_lo, s3
	ds_store_2addr_b64 v185, v[108:109], v[106:107] offset1:1
.LBB35_71:
	s_or_b32 exec_lo, exec_lo, s4
	s_waitcnt lgkmcnt(0)
	s_barrier
	buffer_gl0_inv
	ds_load_2addr_b64 v[100:103], v185 offset1:1
	s_mov_b32 s3, exec_lo
	v_cmpx_lt_u32_e32 7, v184
	s_cbranch_execz .LBB35_73
; %bb.72:
	s_waitcnt lgkmcnt(0)
	v_mul_f64 v[104:105], v[100:101], v[42:43]
	v_mul_f64 v[42:43], v[102:103], v[42:43]
	s_delay_alu instid0(VALU_DEP_2)
	v_fma_f64 v[182:183], v[102:103], v[40:41], v[104:105]
	ds_load_2addr_b64 v[104:107], v186 offset0:16 offset1:17
	ds_load_2addr_b64 v[108:111], v186 offset0:18 offset1:19
	;; [unrolled: 1-line block ×10, first 2 shown]
	v_fma_f64 v[40:41], v[100:101], v[40:41], -v[42:43]
	s_waitcnt lgkmcnt(9)
	v_mul_f64 v[42:43], v[106:107], v[182:183]
	v_mul_f64 v[187:188], v[104:105], v[182:183]
	s_waitcnt lgkmcnt(8)
	v_mul_f64 v[189:190], v[110:111], v[182:183]
	v_mul_f64 v[191:192], v[108:109], v[182:183]
	;; [unrolled: 3-line block ×10, first 2 shown]
	v_fma_f64 v[42:43], v[104:105], v[40:41], -v[42:43]
	v_fma_f64 v[104:105], v[106:107], v[40:41], v[187:188]
	v_fma_f64 v[106:107], v[108:109], v[40:41], -v[189:190]
	v_fma_f64 v[108:109], v[110:111], v[40:41], v[191:192]
	;; [unrolled: 2-line block ×10, first 2 shown]
	v_add_f64 v[36:37], v[36:37], -v[42:43]
	v_add_f64 v[38:39], v[38:39], -v[104:105]
	;; [unrolled: 1-line block ×20, first 2 shown]
	v_dual_mov_b32 v42, v182 :: v_dual_mov_b32 v43, v183
.LBB35_73:
	s_or_b32 exec_lo, exec_lo, s3
	s_delay_alu instid0(SALU_CYCLE_1)
	s_mov_b32 s4, exec_lo
	s_waitcnt lgkmcnt(0)
	s_barrier
	buffer_gl0_inv
	v_cmpx_eq_u32_e32 8, v184
	s_cbranch_execz .LBB35_80
; %bb.74:
	ds_store_2addr_b64 v185, v[36:37], v[38:39] offset1:1
	ds_store_2addr_b64 v186, v[32:33], v[34:35] offset0:18 offset1:19
	ds_store_2addr_b64 v186, v[28:29], v[30:31] offset0:20 offset1:21
	;; [unrolled: 1-line block ×9, first 2 shown]
	ds_load_2addr_b64 v[104:107], v185 offset1:1
	s_waitcnt lgkmcnt(0)
	v_cmp_neq_f64_e32 vcc_lo, 0, v[104:105]
	v_cmp_neq_f64_e64 s3, 0, v[106:107]
	s_delay_alu instid0(VALU_DEP_1) | instskip(NEXT) | instid1(SALU_CYCLE_1)
	s_or_b32 s3, vcc_lo, s3
	s_and_b32 exec_lo, exec_lo, s3
	s_cbranch_execz .LBB35_80
; %bb.75:
	v_cmp_gt_f64_e32 vcc_lo, 0, v[104:105]
	v_cmp_gt_f64_e64 s3, 0, v[106:107]
	v_xor_b32_e32 v108, 0x80000000, v105
	v_xor_b32_e32 v110, 0x80000000, v107
                                        ; implicit-def: $vgpr112_vgpr113
	s_delay_alu instid0(VALU_DEP_2) | instskip(NEXT) | instid1(VALU_DEP_2)
	v_cndmask_b32_e32 v109, v105, v108, vcc_lo
	v_cndmask_b32_e64 v111, v107, v110, s3
	v_cndmask_b32_e32 v108, v104, v104, vcc_lo
	v_cndmask_b32_e64 v110, v106, v106, s3
	s_mov_b32 s3, exec_lo
	s_delay_alu instid0(VALU_DEP_1)
	v_cmpx_ngt_f64_e32 v[108:109], v[110:111]
	s_xor_b32 s3, exec_lo, s3
                                        ; implicit-def: $vgpr108_vgpr109_vgpr110_vgpr111
	s_cbranch_execz .LBB35_77
; %bb.76:
	v_div_scale_f64 v[108:109], null, v[106:107], v[106:107], v[104:105]
	v_div_scale_f64 v[114:115], vcc_lo, v[104:105], v[106:107], v[104:105]
	s_delay_alu instid0(VALU_DEP_2) | instskip(SKIP_2) | instid1(VALU_DEP_1)
	v_rcp_f64_e32 v[110:111], v[108:109]
	s_waitcnt_depctr 0xfff
	v_fma_f64 v[112:113], -v[108:109], v[110:111], 1.0
	v_fma_f64 v[110:111], v[110:111], v[112:113], v[110:111]
	s_delay_alu instid0(VALU_DEP_1) | instskip(NEXT) | instid1(VALU_DEP_1)
	v_fma_f64 v[112:113], -v[108:109], v[110:111], 1.0
	v_fma_f64 v[110:111], v[110:111], v[112:113], v[110:111]
	s_delay_alu instid0(VALU_DEP_1) | instskip(NEXT) | instid1(VALU_DEP_1)
	v_mul_f64 v[112:113], v[114:115], v[110:111]
	v_fma_f64 v[108:109], -v[108:109], v[112:113], v[114:115]
	s_delay_alu instid0(VALU_DEP_1) | instskip(NEXT) | instid1(VALU_DEP_1)
	v_div_fmas_f64 v[108:109], v[108:109], v[110:111], v[112:113]
	v_div_fixup_f64 v[108:109], v[108:109], v[106:107], v[104:105]
	s_delay_alu instid0(VALU_DEP_1) | instskip(NEXT) | instid1(VALU_DEP_1)
	v_fma_f64 v[104:105], v[104:105], v[108:109], v[106:107]
	v_div_scale_f64 v[106:107], null, v[104:105], v[104:105], 1.0
	s_delay_alu instid0(VALU_DEP_1) | instskip(SKIP_2) | instid1(VALU_DEP_1)
	v_rcp_f64_e32 v[110:111], v[106:107]
	s_waitcnt_depctr 0xfff
	v_fma_f64 v[112:113], -v[106:107], v[110:111], 1.0
	v_fma_f64 v[110:111], v[110:111], v[112:113], v[110:111]
	s_delay_alu instid0(VALU_DEP_1) | instskip(NEXT) | instid1(VALU_DEP_1)
	v_fma_f64 v[112:113], -v[106:107], v[110:111], 1.0
	v_fma_f64 v[110:111], v[110:111], v[112:113], v[110:111]
	v_div_scale_f64 v[112:113], vcc_lo, 1.0, v[104:105], 1.0
	s_delay_alu instid0(VALU_DEP_1) | instskip(NEXT) | instid1(VALU_DEP_1)
	v_mul_f64 v[114:115], v[112:113], v[110:111]
	v_fma_f64 v[106:107], -v[106:107], v[114:115], v[112:113]
	s_delay_alu instid0(VALU_DEP_1) | instskip(NEXT) | instid1(VALU_DEP_1)
	v_div_fmas_f64 v[106:107], v[106:107], v[110:111], v[114:115]
	v_div_fixup_f64 v[110:111], v[106:107], v[104:105], 1.0
                                        ; implicit-def: $vgpr104_vgpr105
	s_delay_alu instid0(VALU_DEP_1)
	v_mul_f64 v[112:113], v[108:109], v[110:111]
	v_xor_b32_e32 v111, 0x80000000, v111
.LBB35_77:
	s_and_not1_saveexec_b32 s3, s3
	s_cbranch_execz .LBB35_79
; %bb.78:
	v_div_scale_f64 v[108:109], null, v[104:105], v[104:105], v[106:107]
	v_div_scale_f64 v[114:115], vcc_lo, v[106:107], v[104:105], v[106:107]
	s_delay_alu instid0(VALU_DEP_2) | instskip(SKIP_2) | instid1(VALU_DEP_1)
	v_rcp_f64_e32 v[110:111], v[108:109]
	s_waitcnt_depctr 0xfff
	v_fma_f64 v[112:113], -v[108:109], v[110:111], 1.0
	v_fma_f64 v[110:111], v[110:111], v[112:113], v[110:111]
	s_delay_alu instid0(VALU_DEP_1) | instskip(NEXT) | instid1(VALU_DEP_1)
	v_fma_f64 v[112:113], -v[108:109], v[110:111], 1.0
	v_fma_f64 v[110:111], v[110:111], v[112:113], v[110:111]
	s_delay_alu instid0(VALU_DEP_1) | instskip(NEXT) | instid1(VALU_DEP_1)
	v_mul_f64 v[112:113], v[114:115], v[110:111]
	v_fma_f64 v[108:109], -v[108:109], v[112:113], v[114:115]
	s_delay_alu instid0(VALU_DEP_1) | instskip(NEXT) | instid1(VALU_DEP_1)
	v_div_fmas_f64 v[108:109], v[108:109], v[110:111], v[112:113]
	v_div_fixup_f64 v[108:109], v[108:109], v[104:105], v[106:107]
	s_delay_alu instid0(VALU_DEP_1) | instskip(NEXT) | instid1(VALU_DEP_1)
	v_fma_f64 v[104:105], v[106:107], v[108:109], v[104:105]
	v_div_scale_f64 v[106:107], null, v[104:105], v[104:105], 1.0
	s_delay_alu instid0(VALU_DEP_1) | instskip(SKIP_2) | instid1(VALU_DEP_1)
	v_rcp_f64_e32 v[110:111], v[106:107]
	s_waitcnt_depctr 0xfff
	v_fma_f64 v[112:113], -v[106:107], v[110:111], 1.0
	v_fma_f64 v[110:111], v[110:111], v[112:113], v[110:111]
	s_delay_alu instid0(VALU_DEP_1) | instskip(NEXT) | instid1(VALU_DEP_1)
	v_fma_f64 v[112:113], -v[106:107], v[110:111], 1.0
	v_fma_f64 v[110:111], v[110:111], v[112:113], v[110:111]
	v_div_scale_f64 v[112:113], vcc_lo, 1.0, v[104:105], 1.0
	s_delay_alu instid0(VALU_DEP_1) | instskip(NEXT) | instid1(VALU_DEP_1)
	v_mul_f64 v[114:115], v[112:113], v[110:111]
	v_fma_f64 v[106:107], -v[106:107], v[114:115], v[112:113]
	s_delay_alu instid0(VALU_DEP_1) | instskip(NEXT) | instid1(VALU_DEP_1)
	v_div_fmas_f64 v[106:107], v[106:107], v[110:111], v[114:115]
	v_div_fixup_f64 v[112:113], v[106:107], v[104:105], 1.0
	s_delay_alu instid0(VALU_DEP_1)
	v_mul_f64 v[110:111], v[108:109], -v[112:113]
.LBB35_79:
	s_or_b32 exec_lo, exec_lo, s3
	ds_store_2addr_b64 v185, v[112:113], v[110:111] offset1:1
.LBB35_80:
	s_or_b32 exec_lo, exec_lo, s4
	s_waitcnt lgkmcnt(0)
	s_barrier
	buffer_gl0_inv
	ds_load_2addr_b64 v[104:107], v185 offset1:1
	s_mov_b32 s3, exec_lo
	v_cmpx_lt_u32_e32 8, v184
	s_cbranch_execz .LBB35_82
; %bb.81:
	s_waitcnt lgkmcnt(0)
	v_mul_f64 v[108:109], v[104:105], v[38:39]
	v_mul_f64 v[38:39], v[106:107], v[38:39]
	s_delay_alu instid0(VALU_DEP_2)
	v_fma_f64 v[182:183], v[106:107], v[36:37], v[108:109]
	ds_load_2addr_b64 v[108:111], v186 offset0:18 offset1:19
	ds_load_2addr_b64 v[112:115], v186 offset0:20 offset1:21
	;; [unrolled: 1-line block ×9, first 2 shown]
	v_fma_f64 v[36:37], v[104:105], v[36:37], -v[38:39]
	s_waitcnt lgkmcnt(8)
	v_mul_f64 v[38:39], v[110:111], v[182:183]
	v_mul_f64 v[187:188], v[108:109], v[182:183]
	s_waitcnt lgkmcnt(7)
	v_mul_f64 v[189:190], v[114:115], v[182:183]
	v_mul_f64 v[191:192], v[112:113], v[182:183]
	;; [unrolled: 3-line block ×9, first 2 shown]
	v_fma_f64 v[38:39], v[108:109], v[36:37], -v[38:39]
	v_fma_f64 v[108:109], v[110:111], v[36:37], v[187:188]
	v_fma_f64 v[110:111], v[112:113], v[36:37], -v[189:190]
	v_fma_f64 v[112:113], v[114:115], v[36:37], v[191:192]
	;; [unrolled: 2-line block ×9, first 2 shown]
	v_add_f64 v[32:33], v[32:33], -v[38:39]
	v_add_f64 v[34:35], v[34:35], -v[108:109]
	v_add_f64 v[28:29], v[28:29], -v[110:111]
	v_add_f64 v[30:31], v[30:31], -v[112:113]
	v_add_f64 v[24:25], v[24:25], -v[114:115]
	v_add_f64 v[26:27], v[26:27], -v[116:117]
	v_add_f64 v[20:21], v[20:21], -v[118:119]
	v_add_f64 v[22:23], v[22:23], -v[120:121]
	v_add_f64 v[16:17], v[16:17], -v[122:123]
	v_add_f64 v[18:19], v[18:19], -v[124:125]
	v_add_f64 v[12:13], v[12:13], -v[126:127]
	v_add_f64 v[14:15], v[14:15], -v[128:129]
	v_add_f64 v[8:9], v[8:9], -v[130:131]
	v_add_f64 v[10:11], v[10:11], -v[132:133]
	v_add_f64 v[4:5], v[4:5], -v[134:135]
	v_add_f64 v[6:7], v[6:7], -v[136:137]
	v_add_f64 v[0:1], v[0:1], -v[138:139]
	v_add_f64 v[2:3], v[2:3], -v[140:141]
	v_dual_mov_b32 v38, v182 :: v_dual_mov_b32 v39, v183
.LBB35_82:
	s_or_b32 exec_lo, exec_lo, s3
	s_delay_alu instid0(SALU_CYCLE_1)
	s_mov_b32 s4, exec_lo
	s_waitcnt lgkmcnt(0)
	s_barrier
	buffer_gl0_inv
	v_cmpx_eq_u32_e32 9, v184
	s_cbranch_execz .LBB35_89
; %bb.83:
	ds_store_2addr_b64 v185, v[32:33], v[34:35] offset1:1
	ds_store_2addr_b64 v186, v[28:29], v[30:31] offset0:20 offset1:21
	ds_store_2addr_b64 v186, v[24:25], v[26:27] offset0:22 offset1:23
	;; [unrolled: 1-line block ×8, first 2 shown]
	ds_load_2addr_b64 v[108:111], v185 offset1:1
	s_waitcnt lgkmcnt(0)
	v_cmp_neq_f64_e32 vcc_lo, 0, v[108:109]
	v_cmp_neq_f64_e64 s3, 0, v[110:111]
	s_delay_alu instid0(VALU_DEP_1) | instskip(NEXT) | instid1(SALU_CYCLE_1)
	s_or_b32 s3, vcc_lo, s3
	s_and_b32 exec_lo, exec_lo, s3
	s_cbranch_execz .LBB35_89
; %bb.84:
	v_cmp_gt_f64_e32 vcc_lo, 0, v[108:109]
	v_cmp_gt_f64_e64 s3, 0, v[110:111]
	v_xor_b32_e32 v112, 0x80000000, v109
	v_xor_b32_e32 v114, 0x80000000, v111
                                        ; implicit-def: $vgpr116_vgpr117
	s_delay_alu instid0(VALU_DEP_2) | instskip(NEXT) | instid1(VALU_DEP_2)
	v_cndmask_b32_e32 v113, v109, v112, vcc_lo
	v_cndmask_b32_e64 v115, v111, v114, s3
	v_cndmask_b32_e32 v112, v108, v108, vcc_lo
	v_cndmask_b32_e64 v114, v110, v110, s3
	s_mov_b32 s3, exec_lo
	s_delay_alu instid0(VALU_DEP_1)
	v_cmpx_ngt_f64_e32 v[112:113], v[114:115]
	s_xor_b32 s3, exec_lo, s3
                                        ; implicit-def: $vgpr112_vgpr113_vgpr114_vgpr115
	s_cbranch_execz .LBB35_86
; %bb.85:
	v_div_scale_f64 v[112:113], null, v[110:111], v[110:111], v[108:109]
	v_div_scale_f64 v[118:119], vcc_lo, v[108:109], v[110:111], v[108:109]
	s_delay_alu instid0(VALU_DEP_2) | instskip(SKIP_2) | instid1(VALU_DEP_1)
	v_rcp_f64_e32 v[114:115], v[112:113]
	s_waitcnt_depctr 0xfff
	v_fma_f64 v[116:117], -v[112:113], v[114:115], 1.0
	v_fma_f64 v[114:115], v[114:115], v[116:117], v[114:115]
	s_delay_alu instid0(VALU_DEP_1) | instskip(NEXT) | instid1(VALU_DEP_1)
	v_fma_f64 v[116:117], -v[112:113], v[114:115], 1.0
	v_fma_f64 v[114:115], v[114:115], v[116:117], v[114:115]
	s_delay_alu instid0(VALU_DEP_1) | instskip(NEXT) | instid1(VALU_DEP_1)
	v_mul_f64 v[116:117], v[118:119], v[114:115]
	v_fma_f64 v[112:113], -v[112:113], v[116:117], v[118:119]
	s_delay_alu instid0(VALU_DEP_1) | instskip(NEXT) | instid1(VALU_DEP_1)
	v_div_fmas_f64 v[112:113], v[112:113], v[114:115], v[116:117]
	v_div_fixup_f64 v[112:113], v[112:113], v[110:111], v[108:109]
	s_delay_alu instid0(VALU_DEP_1) | instskip(NEXT) | instid1(VALU_DEP_1)
	v_fma_f64 v[108:109], v[108:109], v[112:113], v[110:111]
	v_div_scale_f64 v[110:111], null, v[108:109], v[108:109], 1.0
	s_delay_alu instid0(VALU_DEP_1) | instskip(SKIP_2) | instid1(VALU_DEP_1)
	v_rcp_f64_e32 v[114:115], v[110:111]
	s_waitcnt_depctr 0xfff
	v_fma_f64 v[116:117], -v[110:111], v[114:115], 1.0
	v_fma_f64 v[114:115], v[114:115], v[116:117], v[114:115]
	s_delay_alu instid0(VALU_DEP_1) | instskip(NEXT) | instid1(VALU_DEP_1)
	v_fma_f64 v[116:117], -v[110:111], v[114:115], 1.0
	v_fma_f64 v[114:115], v[114:115], v[116:117], v[114:115]
	v_div_scale_f64 v[116:117], vcc_lo, 1.0, v[108:109], 1.0
	s_delay_alu instid0(VALU_DEP_1) | instskip(NEXT) | instid1(VALU_DEP_1)
	v_mul_f64 v[118:119], v[116:117], v[114:115]
	v_fma_f64 v[110:111], -v[110:111], v[118:119], v[116:117]
	s_delay_alu instid0(VALU_DEP_1) | instskip(NEXT) | instid1(VALU_DEP_1)
	v_div_fmas_f64 v[110:111], v[110:111], v[114:115], v[118:119]
	v_div_fixup_f64 v[114:115], v[110:111], v[108:109], 1.0
                                        ; implicit-def: $vgpr108_vgpr109
	s_delay_alu instid0(VALU_DEP_1)
	v_mul_f64 v[116:117], v[112:113], v[114:115]
	v_xor_b32_e32 v115, 0x80000000, v115
.LBB35_86:
	s_and_not1_saveexec_b32 s3, s3
	s_cbranch_execz .LBB35_88
; %bb.87:
	v_div_scale_f64 v[112:113], null, v[108:109], v[108:109], v[110:111]
	v_div_scale_f64 v[118:119], vcc_lo, v[110:111], v[108:109], v[110:111]
	s_delay_alu instid0(VALU_DEP_2) | instskip(SKIP_2) | instid1(VALU_DEP_1)
	v_rcp_f64_e32 v[114:115], v[112:113]
	s_waitcnt_depctr 0xfff
	v_fma_f64 v[116:117], -v[112:113], v[114:115], 1.0
	v_fma_f64 v[114:115], v[114:115], v[116:117], v[114:115]
	s_delay_alu instid0(VALU_DEP_1) | instskip(NEXT) | instid1(VALU_DEP_1)
	v_fma_f64 v[116:117], -v[112:113], v[114:115], 1.0
	v_fma_f64 v[114:115], v[114:115], v[116:117], v[114:115]
	s_delay_alu instid0(VALU_DEP_1) | instskip(NEXT) | instid1(VALU_DEP_1)
	v_mul_f64 v[116:117], v[118:119], v[114:115]
	v_fma_f64 v[112:113], -v[112:113], v[116:117], v[118:119]
	s_delay_alu instid0(VALU_DEP_1) | instskip(NEXT) | instid1(VALU_DEP_1)
	v_div_fmas_f64 v[112:113], v[112:113], v[114:115], v[116:117]
	v_div_fixup_f64 v[112:113], v[112:113], v[108:109], v[110:111]
	s_delay_alu instid0(VALU_DEP_1) | instskip(NEXT) | instid1(VALU_DEP_1)
	v_fma_f64 v[108:109], v[110:111], v[112:113], v[108:109]
	v_div_scale_f64 v[110:111], null, v[108:109], v[108:109], 1.0
	s_delay_alu instid0(VALU_DEP_1) | instskip(SKIP_2) | instid1(VALU_DEP_1)
	v_rcp_f64_e32 v[114:115], v[110:111]
	s_waitcnt_depctr 0xfff
	v_fma_f64 v[116:117], -v[110:111], v[114:115], 1.0
	v_fma_f64 v[114:115], v[114:115], v[116:117], v[114:115]
	s_delay_alu instid0(VALU_DEP_1) | instskip(NEXT) | instid1(VALU_DEP_1)
	v_fma_f64 v[116:117], -v[110:111], v[114:115], 1.0
	v_fma_f64 v[114:115], v[114:115], v[116:117], v[114:115]
	v_div_scale_f64 v[116:117], vcc_lo, 1.0, v[108:109], 1.0
	s_delay_alu instid0(VALU_DEP_1) | instskip(NEXT) | instid1(VALU_DEP_1)
	v_mul_f64 v[118:119], v[116:117], v[114:115]
	v_fma_f64 v[110:111], -v[110:111], v[118:119], v[116:117]
	s_delay_alu instid0(VALU_DEP_1) | instskip(NEXT) | instid1(VALU_DEP_1)
	v_div_fmas_f64 v[110:111], v[110:111], v[114:115], v[118:119]
	v_div_fixup_f64 v[116:117], v[110:111], v[108:109], 1.0
	s_delay_alu instid0(VALU_DEP_1)
	v_mul_f64 v[114:115], v[112:113], -v[116:117]
.LBB35_88:
	s_or_b32 exec_lo, exec_lo, s3
	ds_store_2addr_b64 v185, v[116:117], v[114:115] offset1:1
.LBB35_89:
	s_or_b32 exec_lo, exec_lo, s4
	s_waitcnt lgkmcnt(0)
	s_barrier
	buffer_gl0_inv
	ds_load_2addr_b64 v[108:111], v185 offset1:1
	s_mov_b32 s3, exec_lo
	v_cmpx_lt_u32_e32 9, v184
	s_cbranch_execz .LBB35_91
; %bb.90:
	s_waitcnt lgkmcnt(0)
	v_mul_f64 v[112:113], v[108:109], v[34:35]
	v_mul_f64 v[34:35], v[110:111], v[34:35]
	s_delay_alu instid0(VALU_DEP_2)
	v_fma_f64 v[182:183], v[110:111], v[32:33], v[112:113]
	ds_load_2addr_b64 v[112:115], v186 offset0:20 offset1:21
	ds_load_2addr_b64 v[116:119], v186 offset0:22 offset1:23
	;; [unrolled: 1-line block ×8, first 2 shown]
	v_fma_f64 v[32:33], v[108:109], v[32:33], -v[34:35]
	s_waitcnt lgkmcnt(7)
	v_mul_f64 v[34:35], v[114:115], v[182:183]
	v_mul_f64 v[187:188], v[112:113], v[182:183]
	s_waitcnt lgkmcnt(6)
	v_mul_f64 v[189:190], v[118:119], v[182:183]
	v_mul_f64 v[191:192], v[116:117], v[182:183]
	;; [unrolled: 3-line block ×8, first 2 shown]
	v_fma_f64 v[34:35], v[112:113], v[32:33], -v[34:35]
	v_fma_f64 v[112:113], v[114:115], v[32:33], v[187:188]
	v_fma_f64 v[114:115], v[116:117], v[32:33], -v[189:190]
	v_fma_f64 v[116:117], v[118:119], v[32:33], v[191:192]
	;; [unrolled: 2-line block ×8, first 2 shown]
	v_add_f64 v[28:29], v[28:29], -v[34:35]
	v_add_f64 v[30:31], v[30:31], -v[112:113]
	;; [unrolled: 1-line block ×16, first 2 shown]
	v_dual_mov_b32 v34, v182 :: v_dual_mov_b32 v35, v183
.LBB35_91:
	s_or_b32 exec_lo, exec_lo, s3
	s_delay_alu instid0(SALU_CYCLE_1)
	s_mov_b32 s4, exec_lo
	s_waitcnt lgkmcnt(0)
	s_barrier
	buffer_gl0_inv
	v_cmpx_eq_u32_e32 10, v184
	s_cbranch_execz .LBB35_98
; %bb.92:
	ds_store_2addr_b64 v185, v[28:29], v[30:31] offset1:1
	ds_store_2addr_b64 v186, v[24:25], v[26:27] offset0:22 offset1:23
	ds_store_2addr_b64 v186, v[20:21], v[22:23] offset0:24 offset1:25
	;; [unrolled: 1-line block ×7, first 2 shown]
	ds_load_2addr_b64 v[112:115], v185 offset1:1
	s_waitcnt lgkmcnt(0)
	v_cmp_neq_f64_e32 vcc_lo, 0, v[112:113]
	v_cmp_neq_f64_e64 s3, 0, v[114:115]
	s_delay_alu instid0(VALU_DEP_1) | instskip(NEXT) | instid1(SALU_CYCLE_1)
	s_or_b32 s3, vcc_lo, s3
	s_and_b32 exec_lo, exec_lo, s3
	s_cbranch_execz .LBB35_98
; %bb.93:
	v_cmp_gt_f64_e32 vcc_lo, 0, v[112:113]
	v_cmp_gt_f64_e64 s3, 0, v[114:115]
	v_xor_b32_e32 v116, 0x80000000, v113
	v_xor_b32_e32 v118, 0x80000000, v115
                                        ; implicit-def: $vgpr120_vgpr121
	s_delay_alu instid0(VALU_DEP_2) | instskip(NEXT) | instid1(VALU_DEP_2)
	v_cndmask_b32_e32 v117, v113, v116, vcc_lo
	v_cndmask_b32_e64 v119, v115, v118, s3
	v_cndmask_b32_e32 v116, v112, v112, vcc_lo
	v_cndmask_b32_e64 v118, v114, v114, s3
	s_mov_b32 s3, exec_lo
	s_delay_alu instid0(VALU_DEP_1)
	v_cmpx_ngt_f64_e32 v[116:117], v[118:119]
	s_xor_b32 s3, exec_lo, s3
                                        ; implicit-def: $vgpr116_vgpr117_vgpr118_vgpr119
	s_cbranch_execz .LBB35_95
; %bb.94:
	v_div_scale_f64 v[116:117], null, v[114:115], v[114:115], v[112:113]
	v_div_scale_f64 v[122:123], vcc_lo, v[112:113], v[114:115], v[112:113]
	s_delay_alu instid0(VALU_DEP_2) | instskip(SKIP_2) | instid1(VALU_DEP_1)
	v_rcp_f64_e32 v[118:119], v[116:117]
	s_waitcnt_depctr 0xfff
	v_fma_f64 v[120:121], -v[116:117], v[118:119], 1.0
	v_fma_f64 v[118:119], v[118:119], v[120:121], v[118:119]
	s_delay_alu instid0(VALU_DEP_1) | instskip(NEXT) | instid1(VALU_DEP_1)
	v_fma_f64 v[120:121], -v[116:117], v[118:119], 1.0
	v_fma_f64 v[118:119], v[118:119], v[120:121], v[118:119]
	s_delay_alu instid0(VALU_DEP_1) | instskip(NEXT) | instid1(VALU_DEP_1)
	v_mul_f64 v[120:121], v[122:123], v[118:119]
	v_fma_f64 v[116:117], -v[116:117], v[120:121], v[122:123]
	s_delay_alu instid0(VALU_DEP_1) | instskip(NEXT) | instid1(VALU_DEP_1)
	v_div_fmas_f64 v[116:117], v[116:117], v[118:119], v[120:121]
	v_div_fixup_f64 v[116:117], v[116:117], v[114:115], v[112:113]
	s_delay_alu instid0(VALU_DEP_1) | instskip(NEXT) | instid1(VALU_DEP_1)
	v_fma_f64 v[112:113], v[112:113], v[116:117], v[114:115]
	v_div_scale_f64 v[114:115], null, v[112:113], v[112:113], 1.0
	s_delay_alu instid0(VALU_DEP_1) | instskip(SKIP_2) | instid1(VALU_DEP_1)
	v_rcp_f64_e32 v[118:119], v[114:115]
	s_waitcnt_depctr 0xfff
	v_fma_f64 v[120:121], -v[114:115], v[118:119], 1.0
	v_fma_f64 v[118:119], v[118:119], v[120:121], v[118:119]
	s_delay_alu instid0(VALU_DEP_1) | instskip(NEXT) | instid1(VALU_DEP_1)
	v_fma_f64 v[120:121], -v[114:115], v[118:119], 1.0
	v_fma_f64 v[118:119], v[118:119], v[120:121], v[118:119]
	v_div_scale_f64 v[120:121], vcc_lo, 1.0, v[112:113], 1.0
	s_delay_alu instid0(VALU_DEP_1) | instskip(NEXT) | instid1(VALU_DEP_1)
	v_mul_f64 v[122:123], v[120:121], v[118:119]
	v_fma_f64 v[114:115], -v[114:115], v[122:123], v[120:121]
	s_delay_alu instid0(VALU_DEP_1) | instskip(NEXT) | instid1(VALU_DEP_1)
	v_div_fmas_f64 v[114:115], v[114:115], v[118:119], v[122:123]
	v_div_fixup_f64 v[118:119], v[114:115], v[112:113], 1.0
                                        ; implicit-def: $vgpr112_vgpr113
	s_delay_alu instid0(VALU_DEP_1)
	v_mul_f64 v[120:121], v[116:117], v[118:119]
	v_xor_b32_e32 v119, 0x80000000, v119
.LBB35_95:
	s_and_not1_saveexec_b32 s3, s3
	s_cbranch_execz .LBB35_97
; %bb.96:
	v_div_scale_f64 v[116:117], null, v[112:113], v[112:113], v[114:115]
	v_div_scale_f64 v[122:123], vcc_lo, v[114:115], v[112:113], v[114:115]
	s_delay_alu instid0(VALU_DEP_2) | instskip(SKIP_2) | instid1(VALU_DEP_1)
	v_rcp_f64_e32 v[118:119], v[116:117]
	s_waitcnt_depctr 0xfff
	v_fma_f64 v[120:121], -v[116:117], v[118:119], 1.0
	v_fma_f64 v[118:119], v[118:119], v[120:121], v[118:119]
	s_delay_alu instid0(VALU_DEP_1) | instskip(NEXT) | instid1(VALU_DEP_1)
	v_fma_f64 v[120:121], -v[116:117], v[118:119], 1.0
	v_fma_f64 v[118:119], v[118:119], v[120:121], v[118:119]
	s_delay_alu instid0(VALU_DEP_1) | instskip(NEXT) | instid1(VALU_DEP_1)
	v_mul_f64 v[120:121], v[122:123], v[118:119]
	v_fma_f64 v[116:117], -v[116:117], v[120:121], v[122:123]
	s_delay_alu instid0(VALU_DEP_1) | instskip(NEXT) | instid1(VALU_DEP_1)
	v_div_fmas_f64 v[116:117], v[116:117], v[118:119], v[120:121]
	v_div_fixup_f64 v[116:117], v[116:117], v[112:113], v[114:115]
	s_delay_alu instid0(VALU_DEP_1) | instskip(NEXT) | instid1(VALU_DEP_1)
	v_fma_f64 v[112:113], v[114:115], v[116:117], v[112:113]
	v_div_scale_f64 v[114:115], null, v[112:113], v[112:113], 1.0
	s_delay_alu instid0(VALU_DEP_1) | instskip(SKIP_2) | instid1(VALU_DEP_1)
	v_rcp_f64_e32 v[118:119], v[114:115]
	s_waitcnt_depctr 0xfff
	v_fma_f64 v[120:121], -v[114:115], v[118:119], 1.0
	v_fma_f64 v[118:119], v[118:119], v[120:121], v[118:119]
	s_delay_alu instid0(VALU_DEP_1) | instskip(NEXT) | instid1(VALU_DEP_1)
	v_fma_f64 v[120:121], -v[114:115], v[118:119], 1.0
	v_fma_f64 v[118:119], v[118:119], v[120:121], v[118:119]
	v_div_scale_f64 v[120:121], vcc_lo, 1.0, v[112:113], 1.0
	s_delay_alu instid0(VALU_DEP_1) | instskip(NEXT) | instid1(VALU_DEP_1)
	v_mul_f64 v[122:123], v[120:121], v[118:119]
	v_fma_f64 v[114:115], -v[114:115], v[122:123], v[120:121]
	s_delay_alu instid0(VALU_DEP_1) | instskip(NEXT) | instid1(VALU_DEP_1)
	v_div_fmas_f64 v[114:115], v[114:115], v[118:119], v[122:123]
	v_div_fixup_f64 v[120:121], v[114:115], v[112:113], 1.0
	s_delay_alu instid0(VALU_DEP_1)
	v_mul_f64 v[118:119], v[116:117], -v[120:121]
.LBB35_97:
	s_or_b32 exec_lo, exec_lo, s3
	ds_store_2addr_b64 v185, v[120:121], v[118:119] offset1:1
.LBB35_98:
	s_or_b32 exec_lo, exec_lo, s4
	s_waitcnt lgkmcnt(0)
	s_barrier
	buffer_gl0_inv
	ds_load_2addr_b64 v[112:115], v185 offset1:1
	s_mov_b32 s3, exec_lo
	v_cmpx_lt_u32_e32 10, v184
	s_cbranch_execz .LBB35_100
; %bb.99:
	s_waitcnt lgkmcnt(0)
	v_mul_f64 v[116:117], v[112:113], v[30:31]
	v_mul_f64 v[30:31], v[114:115], v[30:31]
	s_delay_alu instid0(VALU_DEP_2)
	v_fma_f64 v[182:183], v[114:115], v[28:29], v[116:117]
	ds_load_2addr_b64 v[116:119], v186 offset0:22 offset1:23
	ds_load_2addr_b64 v[120:123], v186 offset0:24 offset1:25
	;; [unrolled: 1-line block ×7, first 2 shown]
	v_fma_f64 v[28:29], v[112:113], v[28:29], -v[30:31]
	s_waitcnt lgkmcnt(6)
	v_mul_f64 v[30:31], v[118:119], v[182:183]
	v_mul_f64 v[187:188], v[116:117], v[182:183]
	s_waitcnt lgkmcnt(5)
	v_mul_f64 v[189:190], v[122:123], v[182:183]
	v_mul_f64 v[191:192], v[120:121], v[182:183]
	;; [unrolled: 3-line block ×7, first 2 shown]
	v_fma_f64 v[30:31], v[116:117], v[28:29], -v[30:31]
	v_fma_f64 v[116:117], v[118:119], v[28:29], v[187:188]
	v_fma_f64 v[118:119], v[120:121], v[28:29], -v[189:190]
	v_fma_f64 v[120:121], v[122:123], v[28:29], v[191:192]
	;; [unrolled: 2-line block ×7, first 2 shown]
	v_add_f64 v[24:25], v[24:25], -v[30:31]
	v_add_f64 v[26:27], v[26:27], -v[116:117]
	v_add_f64 v[20:21], v[20:21], -v[118:119]
	v_add_f64 v[22:23], v[22:23], -v[120:121]
	v_add_f64 v[16:17], v[16:17], -v[122:123]
	v_add_f64 v[18:19], v[18:19], -v[124:125]
	v_add_f64 v[12:13], v[12:13], -v[126:127]
	v_add_f64 v[14:15], v[14:15], -v[128:129]
	v_add_f64 v[8:9], v[8:9], -v[130:131]
	v_add_f64 v[10:11], v[10:11], -v[132:133]
	v_add_f64 v[4:5], v[4:5], -v[134:135]
	v_add_f64 v[6:7], v[6:7], -v[136:137]
	v_add_f64 v[0:1], v[0:1], -v[138:139]
	v_add_f64 v[2:3], v[2:3], -v[140:141]
	v_dual_mov_b32 v30, v182 :: v_dual_mov_b32 v31, v183
.LBB35_100:
	s_or_b32 exec_lo, exec_lo, s3
	s_delay_alu instid0(SALU_CYCLE_1)
	s_mov_b32 s4, exec_lo
	s_waitcnt lgkmcnt(0)
	s_barrier
	buffer_gl0_inv
	v_cmpx_eq_u32_e32 11, v184
	s_cbranch_execz .LBB35_107
; %bb.101:
	ds_store_2addr_b64 v185, v[24:25], v[26:27] offset1:1
	ds_store_2addr_b64 v186, v[20:21], v[22:23] offset0:24 offset1:25
	ds_store_2addr_b64 v186, v[16:17], v[18:19] offset0:26 offset1:27
	;; [unrolled: 1-line block ×6, first 2 shown]
	ds_load_2addr_b64 v[116:119], v185 offset1:1
	s_waitcnt lgkmcnt(0)
	v_cmp_neq_f64_e32 vcc_lo, 0, v[116:117]
	v_cmp_neq_f64_e64 s3, 0, v[118:119]
	s_delay_alu instid0(VALU_DEP_1) | instskip(NEXT) | instid1(SALU_CYCLE_1)
	s_or_b32 s3, vcc_lo, s3
	s_and_b32 exec_lo, exec_lo, s3
	s_cbranch_execz .LBB35_107
; %bb.102:
	v_cmp_gt_f64_e32 vcc_lo, 0, v[116:117]
	v_cmp_gt_f64_e64 s3, 0, v[118:119]
	v_xor_b32_e32 v120, 0x80000000, v117
	v_xor_b32_e32 v122, 0x80000000, v119
                                        ; implicit-def: $vgpr124_vgpr125
	s_delay_alu instid0(VALU_DEP_2) | instskip(NEXT) | instid1(VALU_DEP_2)
	v_cndmask_b32_e32 v121, v117, v120, vcc_lo
	v_cndmask_b32_e64 v123, v119, v122, s3
	v_cndmask_b32_e32 v120, v116, v116, vcc_lo
	v_cndmask_b32_e64 v122, v118, v118, s3
	s_mov_b32 s3, exec_lo
	s_delay_alu instid0(VALU_DEP_1)
	v_cmpx_ngt_f64_e32 v[120:121], v[122:123]
	s_xor_b32 s3, exec_lo, s3
                                        ; implicit-def: $vgpr120_vgpr121_vgpr122_vgpr123
	s_cbranch_execz .LBB35_104
; %bb.103:
	v_div_scale_f64 v[120:121], null, v[118:119], v[118:119], v[116:117]
	v_div_scale_f64 v[126:127], vcc_lo, v[116:117], v[118:119], v[116:117]
	s_delay_alu instid0(VALU_DEP_2) | instskip(SKIP_2) | instid1(VALU_DEP_1)
	v_rcp_f64_e32 v[122:123], v[120:121]
	s_waitcnt_depctr 0xfff
	v_fma_f64 v[124:125], -v[120:121], v[122:123], 1.0
	v_fma_f64 v[122:123], v[122:123], v[124:125], v[122:123]
	s_delay_alu instid0(VALU_DEP_1) | instskip(NEXT) | instid1(VALU_DEP_1)
	v_fma_f64 v[124:125], -v[120:121], v[122:123], 1.0
	v_fma_f64 v[122:123], v[122:123], v[124:125], v[122:123]
	s_delay_alu instid0(VALU_DEP_1) | instskip(NEXT) | instid1(VALU_DEP_1)
	v_mul_f64 v[124:125], v[126:127], v[122:123]
	v_fma_f64 v[120:121], -v[120:121], v[124:125], v[126:127]
	s_delay_alu instid0(VALU_DEP_1) | instskip(NEXT) | instid1(VALU_DEP_1)
	v_div_fmas_f64 v[120:121], v[120:121], v[122:123], v[124:125]
	v_div_fixup_f64 v[120:121], v[120:121], v[118:119], v[116:117]
	s_delay_alu instid0(VALU_DEP_1) | instskip(NEXT) | instid1(VALU_DEP_1)
	v_fma_f64 v[116:117], v[116:117], v[120:121], v[118:119]
	v_div_scale_f64 v[118:119], null, v[116:117], v[116:117], 1.0
	s_delay_alu instid0(VALU_DEP_1) | instskip(SKIP_2) | instid1(VALU_DEP_1)
	v_rcp_f64_e32 v[122:123], v[118:119]
	s_waitcnt_depctr 0xfff
	v_fma_f64 v[124:125], -v[118:119], v[122:123], 1.0
	v_fma_f64 v[122:123], v[122:123], v[124:125], v[122:123]
	s_delay_alu instid0(VALU_DEP_1) | instskip(NEXT) | instid1(VALU_DEP_1)
	v_fma_f64 v[124:125], -v[118:119], v[122:123], 1.0
	v_fma_f64 v[122:123], v[122:123], v[124:125], v[122:123]
	v_div_scale_f64 v[124:125], vcc_lo, 1.0, v[116:117], 1.0
	s_delay_alu instid0(VALU_DEP_1) | instskip(NEXT) | instid1(VALU_DEP_1)
	v_mul_f64 v[126:127], v[124:125], v[122:123]
	v_fma_f64 v[118:119], -v[118:119], v[126:127], v[124:125]
	s_delay_alu instid0(VALU_DEP_1) | instskip(NEXT) | instid1(VALU_DEP_1)
	v_div_fmas_f64 v[118:119], v[118:119], v[122:123], v[126:127]
	v_div_fixup_f64 v[122:123], v[118:119], v[116:117], 1.0
                                        ; implicit-def: $vgpr116_vgpr117
	s_delay_alu instid0(VALU_DEP_1)
	v_mul_f64 v[124:125], v[120:121], v[122:123]
	v_xor_b32_e32 v123, 0x80000000, v123
.LBB35_104:
	s_and_not1_saveexec_b32 s3, s3
	s_cbranch_execz .LBB35_106
; %bb.105:
	v_div_scale_f64 v[120:121], null, v[116:117], v[116:117], v[118:119]
	v_div_scale_f64 v[126:127], vcc_lo, v[118:119], v[116:117], v[118:119]
	s_delay_alu instid0(VALU_DEP_2) | instskip(SKIP_2) | instid1(VALU_DEP_1)
	v_rcp_f64_e32 v[122:123], v[120:121]
	s_waitcnt_depctr 0xfff
	v_fma_f64 v[124:125], -v[120:121], v[122:123], 1.0
	v_fma_f64 v[122:123], v[122:123], v[124:125], v[122:123]
	s_delay_alu instid0(VALU_DEP_1) | instskip(NEXT) | instid1(VALU_DEP_1)
	v_fma_f64 v[124:125], -v[120:121], v[122:123], 1.0
	v_fma_f64 v[122:123], v[122:123], v[124:125], v[122:123]
	s_delay_alu instid0(VALU_DEP_1) | instskip(NEXT) | instid1(VALU_DEP_1)
	v_mul_f64 v[124:125], v[126:127], v[122:123]
	v_fma_f64 v[120:121], -v[120:121], v[124:125], v[126:127]
	s_delay_alu instid0(VALU_DEP_1) | instskip(NEXT) | instid1(VALU_DEP_1)
	v_div_fmas_f64 v[120:121], v[120:121], v[122:123], v[124:125]
	v_div_fixup_f64 v[120:121], v[120:121], v[116:117], v[118:119]
	s_delay_alu instid0(VALU_DEP_1) | instskip(NEXT) | instid1(VALU_DEP_1)
	v_fma_f64 v[116:117], v[118:119], v[120:121], v[116:117]
	v_div_scale_f64 v[118:119], null, v[116:117], v[116:117], 1.0
	s_delay_alu instid0(VALU_DEP_1) | instskip(SKIP_2) | instid1(VALU_DEP_1)
	v_rcp_f64_e32 v[122:123], v[118:119]
	s_waitcnt_depctr 0xfff
	v_fma_f64 v[124:125], -v[118:119], v[122:123], 1.0
	v_fma_f64 v[122:123], v[122:123], v[124:125], v[122:123]
	s_delay_alu instid0(VALU_DEP_1) | instskip(NEXT) | instid1(VALU_DEP_1)
	v_fma_f64 v[124:125], -v[118:119], v[122:123], 1.0
	v_fma_f64 v[122:123], v[122:123], v[124:125], v[122:123]
	v_div_scale_f64 v[124:125], vcc_lo, 1.0, v[116:117], 1.0
	s_delay_alu instid0(VALU_DEP_1) | instskip(NEXT) | instid1(VALU_DEP_1)
	v_mul_f64 v[126:127], v[124:125], v[122:123]
	v_fma_f64 v[118:119], -v[118:119], v[126:127], v[124:125]
	s_delay_alu instid0(VALU_DEP_1) | instskip(NEXT) | instid1(VALU_DEP_1)
	v_div_fmas_f64 v[118:119], v[118:119], v[122:123], v[126:127]
	v_div_fixup_f64 v[124:125], v[118:119], v[116:117], 1.0
	s_delay_alu instid0(VALU_DEP_1)
	v_mul_f64 v[122:123], v[120:121], -v[124:125]
.LBB35_106:
	s_or_b32 exec_lo, exec_lo, s3
	ds_store_2addr_b64 v185, v[124:125], v[122:123] offset1:1
.LBB35_107:
	s_or_b32 exec_lo, exec_lo, s4
	s_waitcnt lgkmcnt(0)
	s_barrier
	buffer_gl0_inv
	ds_load_2addr_b64 v[116:119], v185 offset1:1
	s_mov_b32 s3, exec_lo
	v_cmpx_lt_u32_e32 11, v184
	s_cbranch_execz .LBB35_109
; %bb.108:
	s_waitcnt lgkmcnt(0)
	v_mul_f64 v[120:121], v[116:117], v[26:27]
	v_mul_f64 v[26:27], v[118:119], v[26:27]
	s_delay_alu instid0(VALU_DEP_2)
	v_fma_f64 v[182:183], v[118:119], v[24:25], v[120:121]
	ds_load_2addr_b64 v[120:123], v186 offset0:24 offset1:25
	ds_load_2addr_b64 v[124:127], v186 offset0:26 offset1:27
	;; [unrolled: 1-line block ×6, first 2 shown]
	v_fma_f64 v[24:25], v[116:117], v[24:25], -v[26:27]
	s_waitcnt lgkmcnt(5)
	v_mul_f64 v[26:27], v[122:123], v[182:183]
	v_mul_f64 v[187:188], v[120:121], v[182:183]
	s_waitcnt lgkmcnt(4)
	v_mul_f64 v[189:190], v[126:127], v[182:183]
	v_mul_f64 v[191:192], v[124:125], v[182:183]
	;; [unrolled: 3-line block ×6, first 2 shown]
	v_fma_f64 v[26:27], v[120:121], v[24:25], -v[26:27]
	v_fma_f64 v[120:121], v[122:123], v[24:25], v[187:188]
	v_fma_f64 v[122:123], v[124:125], v[24:25], -v[189:190]
	v_fma_f64 v[124:125], v[126:127], v[24:25], v[191:192]
	;; [unrolled: 2-line block ×6, first 2 shown]
	v_add_f64 v[20:21], v[20:21], -v[26:27]
	v_add_f64 v[22:23], v[22:23], -v[120:121]
	;; [unrolled: 1-line block ×12, first 2 shown]
	v_dual_mov_b32 v26, v182 :: v_dual_mov_b32 v27, v183
.LBB35_109:
	s_or_b32 exec_lo, exec_lo, s3
	s_delay_alu instid0(SALU_CYCLE_1)
	s_mov_b32 s4, exec_lo
	s_waitcnt lgkmcnt(0)
	s_barrier
	buffer_gl0_inv
	v_cmpx_eq_u32_e32 12, v184
	s_cbranch_execz .LBB35_116
; %bb.110:
	ds_store_2addr_b64 v185, v[20:21], v[22:23] offset1:1
	ds_store_2addr_b64 v186, v[16:17], v[18:19] offset0:26 offset1:27
	ds_store_2addr_b64 v186, v[12:13], v[14:15] offset0:28 offset1:29
	;; [unrolled: 1-line block ×5, first 2 shown]
	ds_load_2addr_b64 v[120:123], v185 offset1:1
	s_waitcnt lgkmcnt(0)
	v_cmp_neq_f64_e32 vcc_lo, 0, v[120:121]
	v_cmp_neq_f64_e64 s3, 0, v[122:123]
	s_delay_alu instid0(VALU_DEP_1) | instskip(NEXT) | instid1(SALU_CYCLE_1)
	s_or_b32 s3, vcc_lo, s3
	s_and_b32 exec_lo, exec_lo, s3
	s_cbranch_execz .LBB35_116
; %bb.111:
	v_cmp_gt_f64_e32 vcc_lo, 0, v[120:121]
	v_cmp_gt_f64_e64 s3, 0, v[122:123]
	v_xor_b32_e32 v124, 0x80000000, v121
	v_xor_b32_e32 v126, 0x80000000, v123
                                        ; implicit-def: $vgpr128_vgpr129
	s_delay_alu instid0(VALU_DEP_2) | instskip(NEXT) | instid1(VALU_DEP_2)
	v_cndmask_b32_e32 v125, v121, v124, vcc_lo
	v_cndmask_b32_e64 v127, v123, v126, s3
	v_cndmask_b32_e32 v124, v120, v120, vcc_lo
	v_cndmask_b32_e64 v126, v122, v122, s3
	s_mov_b32 s3, exec_lo
	s_delay_alu instid0(VALU_DEP_1)
	v_cmpx_ngt_f64_e32 v[124:125], v[126:127]
	s_xor_b32 s3, exec_lo, s3
                                        ; implicit-def: $vgpr124_vgpr125_vgpr126_vgpr127
	s_cbranch_execz .LBB35_113
; %bb.112:
	v_div_scale_f64 v[124:125], null, v[122:123], v[122:123], v[120:121]
	v_div_scale_f64 v[130:131], vcc_lo, v[120:121], v[122:123], v[120:121]
	s_delay_alu instid0(VALU_DEP_2) | instskip(SKIP_2) | instid1(VALU_DEP_1)
	v_rcp_f64_e32 v[126:127], v[124:125]
	s_waitcnt_depctr 0xfff
	v_fma_f64 v[128:129], -v[124:125], v[126:127], 1.0
	v_fma_f64 v[126:127], v[126:127], v[128:129], v[126:127]
	s_delay_alu instid0(VALU_DEP_1) | instskip(NEXT) | instid1(VALU_DEP_1)
	v_fma_f64 v[128:129], -v[124:125], v[126:127], 1.0
	v_fma_f64 v[126:127], v[126:127], v[128:129], v[126:127]
	s_delay_alu instid0(VALU_DEP_1) | instskip(NEXT) | instid1(VALU_DEP_1)
	v_mul_f64 v[128:129], v[130:131], v[126:127]
	v_fma_f64 v[124:125], -v[124:125], v[128:129], v[130:131]
	s_delay_alu instid0(VALU_DEP_1) | instskip(NEXT) | instid1(VALU_DEP_1)
	v_div_fmas_f64 v[124:125], v[124:125], v[126:127], v[128:129]
	v_div_fixup_f64 v[124:125], v[124:125], v[122:123], v[120:121]
	s_delay_alu instid0(VALU_DEP_1) | instskip(NEXT) | instid1(VALU_DEP_1)
	v_fma_f64 v[120:121], v[120:121], v[124:125], v[122:123]
	v_div_scale_f64 v[122:123], null, v[120:121], v[120:121], 1.0
	s_delay_alu instid0(VALU_DEP_1) | instskip(SKIP_2) | instid1(VALU_DEP_1)
	v_rcp_f64_e32 v[126:127], v[122:123]
	s_waitcnt_depctr 0xfff
	v_fma_f64 v[128:129], -v[122:123], v[126:127], 1.0
	v_fma_f64 v[126:127], v[126:127], v[128:129], v[126:127]
	s_delay_alu instid0(VALU_DEP_1) | instskip(NEXT) | instid1(VALU_DEP_1)
	v_fma_f64 v[128:129], -v[122:123], v[126:127], 1.0
	v_fma_f64 v[126:127], v[126:127], v[128:129], v[126:127]
	v_div_scale_f64 v[128:129], vcc_lo, 1.0, v[120:121], 1.0
	s_delay_alu instid0(VALU_DEP_1) | instskip(NEXT) | instid1(VALU_DEP_1)
	v_mul_f64 v[130:131], v[128:129], v[126:127]
	v_fma_f64 v[122:123], -v[122:123], v[130:131], v[128:129]
	s_delay_alu instid0(VALU_DEP_1) | instskip(NEXT) | instid1(VALU_DEP_1)
	v_div_fmas_f64 v[122:123], v[122:123], v[126:127], v[130:131]
	v_div_fixup_f64 v[126:127], v[122:123], v[120:121], 1.0
                                        ; implicit-def: $vgpr120_vgpr121
	s_delay_alu instid0(VALU_DEP_1)
	v_mul_f64 v[128:129], v[124:125], v[126:127]
	v_xor_b32_e32 v127, 0x80000000, v127
.LBB35_113:
	s_and_not1_saveexec_b32 s3, s3
	s_cbranch_execz .LBB35_115
; %bb.114:
	v_div_scale_f64 v[124:125], null, v[120:121], v[120:121], v[122:123]
	v_div_scale_f64 v[130:131], vcc_lo, v[122:123], v[120:121], v[122:123]
	s_delay_alu instid0(VALU_DEP_2) | instskip(SKIP_2) | instid1(VALU_DEP_1)
	v_rcp_f64_e32 v[126:127], v[124:125]
	s_waitcnt_depctr 0xfff
	v_fma_f64 v[128:129], -v[124:125], v[126:127], 1.0
	v_fma_f64 v[126:127], v[126:127], v[128:129], v[126:127]
	s_delay_alu instid0(VALU_DEP_1) | instskip(NEXT) | instid1(VALU_DEP_1)
	v_fma_f64 v[128:129], -v[124:125], v[126:127], 1.0
	v_fma_f64 v[126:127], v[126:127], v[128:129], v[126:127]
	s_delay_alu instid0(VALU_DEP_1) | instskip(NEXT) | instid1(VALU_DEP_1)
	v_mul_f64 v[128:129], v[130:131], v[126:127]
	v_fma_f64 v[124:125], -v[124:125], v[128:129], v[130:131]
	s_delay_alu instid0(VALU_DEP_1) | instskip(NEXT) | instid1(VALU_DEP_1)
	v_div_fmas_f64 v[124:125], v[124:125], v[126:127], v[128:129]
	v_div_fixup_f64 v[124:125], v[124:125], v[120:121], v[122:123]
	s_delay_alu instid0(VALU_DEP_1) | instskip(NEXT) | instid1(VALU_DEP_1)
	v_fma_f64 v[120:121], v[122:123], v[124:125], v[120:121]
	v_div_scale_f64 v[122:123], null, v[120:121], v[120:121], 1.0
	s_delay_alu instid0(VALU_DEP_1) | instskip(SKIP_2) | instid1(VALU_DEP_1)
	v_rcp_f64_e32 v[126:127], v[122:123]
	s_waitcnt_depctr 0xfff
	v_fma_f64 v[128:129], -v[122:123], v[126:127], 1.0
	v_fma_f64 v[126:127], v[126:127], v[128:129], v[126:127]
	s_delay_alu instid0(VALU_DEP_1) | instskip(NEXT) | instid1(VALU_DEP_1)
	v_fma_f64 v[128:129], -v[122:123], v[126:127], 1.0
	v_fma_f64 v[126:127], v[126:127], v[128:129], v[126:127]
	v_div_scale_f64 v[128:129], vcc_lo, 1.0, v[120:121], 1.0
	s_delay_alu instid0(VALU_DEP_1) | instskip(NEXT) | instid1(VALU_DEP_1)
	v_mul_f64 v[130:131], v[128:129], v[126:127]
	v_fma_f64 v[122:123], -v[122:123], v[130:131], v[128:129]
	s_delay_alu instid0(VALU_DEP_1) | instskip(NEXT) | instid1(VALU_DEP_1)
	v_div_fmas_f64 v[122:123], v[122:123], v[126:127], v[130:131]
	v_div_fixup_f64 v[128:129], v[122:123], v[120:121], 1.0
	s_delay_alu instid0(VALU_DEP_1)
	v_mul_f64 v[126:127], v[124:125], -v[128:129]
.LBB35_115:
	s_or_b32 exec_lo, exec_lo, s3
	ds_store_2addr_b64 v185, v[128:129], v[126:127] offset1:1
.LBB35_116:
	s_or_b32 exec_lo, exec_lo, s4
	s_waitcnt lgkmcnt(0)
	s_barrier
	buffer_gl0_inv
	ds_load_2addr_b64 v[120:123], v185 offset1:1
	s_mov_b32 s3, exec_lo
	v_cmpx_lt_u32_e32 12, v184
	s_cbranch_execz .LBB35_118
; %bb.117:
	s_waitcnt lgkmcnt(0)
	v_mul_f64 v[124:125], v[120:121], v[22:23]
	v_mul_f64 v[22:23], v[122:123], v[22:23]
	s_delay_alu instid0(VALU_DEP_2)
	v_fma_f64 v[182:183], v[122:123], v[20:21], v[124:125]
	ds_load_2addr_b64 v[124:127], v186 offset0:26 offset1:27
	ds_load_2addr_b64 v[128:131], v186 offset0:28 offset1:29
	;; [unrolled: 1-line block ×5, first 2 shown]
	v_fma_f64 v[20:21], v[120:121], v[20:21], -v[22:23]
	s_waitcnt lgkmcnt(4)
	v_mul_f64 v[22:23], v[126:127], v[182:183]
	v_mul_f64 v[187:188], v[124:125], v[182:183]
	s_waitcnt lgkmcnt(3)
	v_mul_f64 v[189:190], v[130:131], v[182:183]
	v_mul_f64 v[191:192], v[128:129], v[182:183]
	;; [unrolled: 3-line block ×5, first 2 shown]
	v_fma_f64 v[22:23], v[124:125], v[20:21], -v[22:23]
	v_fma_f64 v[124:125], v[126:127], v[20:21], v[187:188]
	v_fma_f64 v[126:127], v[128:129], v[20:21], -v[189:190]
	v_fma_f64 v[128:129], v[130:131], v[20:21], v[191:192]
	;; [unrolled: 2-line block ×5, first 2 shown]
	v_add_f64 v[16:17], v[16:17], -v[22:23]
	v_add_f64 v[18:19], v[18:19], -v[124:125]
	;; [unrolled: 1-line block ×10, first 2 shown]
	v_dual_mov_b32 v22, v182 :: v_dual_mov_b32 v23, v183
.LBB35_118:
	s_or_b32 exec_lo, exec_lo, s3
	s_delay_alu instid0(SALU_CYCLE_1)
	s_mov_b32 s4, exec_lo
	s_waitcnt lgkmcnt(0)
	s_barrier
	buffer_gl0_inv
	v_cmpx_eq_u32_e32 13, v184
	s_cbranch_execz .LBB35_125
; %bb.119:
	ds_store_2addr_b64 v185, v[16:17], v[18:19] offset1:1
	ds_store_2addr_b64 v186, v[12:13], v[14:15] offset0:28 offset1:29
	ds_store_2addr_b64 v186, v[8:9], v[10:11] offset0:30 offset1:31
	;; [unrolled: 1-line block ×4, first 2 shown]
	ds_load_2addr_b64 v[124:127], v185 offset1:1
	s_waitcnt lgkmcnt(0)
	v_cmp_neq_f64_e32 vcc_lo, 0, v[124:125]
	v_cmp_neq_f64_e64 s3, 0, v[126:127]
	s_delay_alu instid0(VALU_DEP_1) | instskip(NEXT) | instid1(SALU_CYCLE_1)
	s_or_b32 s3, vcc_lo, s3
	s_and_b32 exec_lo, exec_lo, s3
	s_cbranch_execz .LBB35_125
; %bb.120:
	v_cmp_gt_f64_e32 vcc_lo, 0, v[124:125]
	v_cmp_gt_f64_e64 s3, 0, v[126:127]
	v_xor_b32_e32 v128, 0x80000000, v125
	v_xor_b32_e32 v130, 0x80000000, v127
                                        ; implicit-def: $vgpr132_vgpr133
	s_delay_alu instid0(VALU_DEP_2) | instskip(NEXT) | instid1(VALU_DEP_2)
	v_cndmask_b32_e32 v129, v125, v128, vcc_lo
	v_cndmask_b32_e64 v131, v127, v130, s3
	v_cndmask_b32_e32 v128, v124, v124, vcc_lo
	v_cndmask_b32_e64 v130, v126, v126, s3
	s_mov_b32 s3, exec_lo
	s_delay_alu instid0(VALU_DEP_1)
	v_cmpx_ngt_f64_e32 v[128:129], v[130:131]
	s_xor_b32 s3, exec_lo, s3
                                        ; implicit-def: $vgpr128_vgpr129_vgpr130_vgpr131
	s_cbranch_execz .LBB35_122
; %bb.121:
	v_div_scale_f64 v[128:129], null, v[126:127], v[126:127], v[124:125]
	v_div_scale_f64 v[134:135], vcc_lo, v[124:125], v[126:127], v[124:125]
	s_delay_alu instid0(VALU_DEP_2) | instskip(SKIP_2) | instid1(VALU_DEP_1)
	v_rcp_f64_e32 v[130:131], v[128:129]
	s_waitcnt_depctr 0xfff
	v_fma_f64 v[132:133], -v[128:129], v[130:131], 1.0
	v_fma_f64 v[130:131], v[130:131], v[132:133], v[130:131]
	s_delay_alu instid0(VALU_DEP_1) | instskip(NEXT) | instid1(VALU_DEP_1)
	v_fma_f64 v[132:133], -v[128:129], v[130:131], 1.0
	v_fma_f64 v[130:131], v[130:131], v[132:133], v[130:131]
	s_delay_alu instid0(VALU_DEP_1) | instskip(NEXT) | instid1(VALU_DEP_1)
	v_mul_f64 v[132:133], v[134:135], v[130:131]
	v_fma_f64 v[128:129], -v[128:129], v[132:133], v[134:135]
	s_delay_alu instid0(VALU_DEP_1) | instskip(NEXT) | instid1(VALU_DEP_1)
	v_div_fmas_f64 v[128:129], v[128:129], v[130:131], v[132:133]
	v_div_fixup_f64 v[128:129], v[128:129], v[126:127], v[124:125]
	s_delay_alu instid0(VALU_DEP_1) | instskip(NEXT) | instid1(VALU_DEP_1)
	v_fma_f64 v[124:125], v[124:125], v[128:129], v[126:127]
	v_div_scale_f64 v[126:127], null, v[124:125], v[124:125], 1.0
	s_delay_alu instid0(VALU_DEP_1) | instskip(SKIP_2) | instid1(VALU_DEP_1)
	v_rcp_f64_e32 v[130:131], v[126:127]
	s_waitcnt_depctr 0xfff
	v_fma_f64 v[132:133], -v[126:127], v[130:131], 1.0
	v_fma_f64 v[130:131], v[130:131], v[132:133], v[130:131]
	s_delay_alu instid0(VALU_DEP_1) | instskip(NEXT) | instid1(VALU_DEP_1)
	v_fma_f64 v[132:133], -v[126:127], v[130:131], 1.0
	v_fma_f64 v[130:131], v[130:131], v[132:133], v[130:131]
	v_div_scale_f64 v[132:133], vcc_lo, 1.0, v[124:125], 1.0
	s_delay_alu instid0(VALU_DEP_1) | instskip(NEXT) | instid1(VALU_DEP_1)
	v_mul_f64 v[134:135], v[132:133], v[130:131]
	v_fma_f64 v[126:127], -v[126:127], v[134:135], v[132:133]
	s_delay_alu instid0(VALU_DEP_1) | instskip(NEXT) | instid1(VALU_DEP_1)
	v_div_fmas_f64 v[126:127], v[126:127], v[130:131], v[134:135]
	v_div_fixup_f64 v[130:131], v[126:127], v[124:125], 1.0
                                        ; implicit-def: $vgpr124_vgpr125
	s_delay_alu instid0(VALU_DEP_1)
	v_mul_f64 v[132:133], v[128:129], v[130:131]
	v_xor_b32_e32 v131, 0x80000000, v131
.LBB35_122:
	s_and_not1_saveexec_b32 s3, s3
	s_cbranch_execz .LBB35_124
; %bb.123:
	v_div_scale_f64 v[128:129], null, v[124:125], v[124:125], v[126:127]
	v_div_scale_f64 v[134:135], vcc_lo, v[126:127], v[124:125], v[126:127]
	s_delay_alu instid0(VALU_DEP_2) | instskip(SKIP_2) | instid1(VALU_DEP_1)
	v_rcp_f64_e32 v[130:131], v[128:129]
	s_waitcnt_depctr 0xfff
	v_fma_f64 v[132:133], -v[128:129], v[130:131], 1.0
	v_fma_f64 v[130:131], v[130:131], v[132:133], v[130:131]
	s_delay_alu instid0(VALU_DEP_1) | instskip(NEXT) | instid1(VALU_DEP_1)
	v_fma_f64 v[132:133], -v[128:129], v[130:131], 1.0
	v_fma_f64 v[130:131], v[130:131], v[132:133], v[130:131]
	s_delay_alu instid0(VALU_DEP_1) | instskip(NEXT) | instid1(VALU_DEP_1)
	v_mul_f64 v[132:133], v[134:135], v[130:131]
	v_fma_f64 v[128:129], -v[128:129], v[132:133], v[134:135]
	s_delay_alu instid0(VALU_DEP_1) | instskip(NEXT) | instid1(VALU_DEP_1)
	v_div_fmas_f64 v[128:129], v[128:129], v[130:131], v[132:133]
	v_div_fixup_f64 v[128:129], v[128:129], v[124:125], v[126:127]
	s_delay_alu instid0(VALU_DEP_1) | instskip(NEXT) | instid1(VALU_DEP_1)
	v_fma_f64 v[124:125], v[126:127], v[128:129], v[124:125]
	v_div_scale_f64 v[126:127], null, v[124:125], v[124:125], 1.0
	s_delay_alu instid0(VALU_DEP_1) | instskip(SKIP_2) | instid1(VALU_DEP_1)
	v_rcp_f64_e32 v[130:131], v[126:127]
	s_waitcnt_depctr 0xfff
	v_fma_f64 v[132:133], -v[126:127], v[130:131], 1.0
	v_fma_f64 v[130:131], v[130:131], v[132:133], v[130:131]
	s_delay_alu instid0(VALU_DEP_1) | instskip(NEXT) | instid1(VALU_DEP_1)
	v_fma_f64 v[132:133], -v[126:127], v[130:131], 1.0
	v_fma_f64 v[130:131], v[130:131], v[132:133], v[130:131]
	v_div_scale_f64 v[132:133], vcc_lo, 1.0, v[124:125], 1.0
	s_delay_alu instid0(VALU_DEP_1) | instskip(NEXT) | instid1(VALU_DEP_1)
	v_mul_f64 v[134:135], v[132:133], v[130:131]
	v_fma_f64 v[126:127], -v[126:127], v[134:135], v[132:133]
	s_delay_alu instid0(VALU_DEP_1) | instskip(NEXT) | instid1(VALU_DEP_1)
	v_div_fmas_f64 v[126:127], v[126:127], v[130:131], v[134:135]
	v_div_fixup_f64 v[132:133], v[126:127], v[124:125], 1.0
	s_delay_alu instid0(VALU_DEP_1)
	v_mul_f64 v[130:131], v[128:129], -v[132:133]
.LBB35_124:
	s_or_b32 exec_lo, exec_lo, s3
	ds_store_2addr_b64 v185, v[132:133], v[130:131] offset1:1
.LBB35_125:
	s_or_b32 exec_lo, exec_lo, s4
	s_waitcnt lgkmcnt(0)
	s_barrier
	buffer_gl0_inv
	ds_load_2addr_b64 v[124:127], v185 offset1:1
	s_mov_b32 s3, exec_lo
	v_cmpx_lt_u32_e32 13, v184
	s_cbranch_execz .LBB35_127
; %bb.126:
	s_waitcnt lgkmcnt(0)
	v_mul_f64 v[128:129], v[124:125], v[18:19]
	v_mul_f64 v[18:19], v[126:127], v[18:19]
	s_delay_alu instid0(VALU_DEP_2)
	v_fma_f64 v[182:183], v[126:127], v[16:17], v[128:129]
	ds_load_2addr_b64 v[128:131], v186 offset0:28 offset1:29
	ds_load_2addr_b64 v[132:135], v186 offset0:30 offset1:31
	;; [unrolled: 1-line block ×4, first 2 shown]
	v_fma_f64 v[16:17], v[124:125], v[16:17], -v[18:19]
	s_waitcnt lgkmcnt(3)
	v_mul_f64 v[18:19], v[130:131], v[182:183]
	v_mul_f64 v[187:188], v[128:129], v[182:183]
	s_waitcnt lgkmcnt(2)
	v_mul_f64 v[189:190], v[134:135], v[182:183]
	v_mul_f64 v[191:192], v[132:133], v[182:183]
	;; [unrolled: 3-line block ×4, first 2 shown]
	v_fma_f64 v[18:19], v[128:129], v[16:17], -v[18:19]
	v_fma_f64 v[128:129], v[130:131], v[16:17], v[187:188]
	v_fma_f64 v[130:131], v[132:133], v[16:17], -v[189:190]
	v_fma_f64 v[132:133], v[134:135], v[16:17], v[191:192]
	;; [unrolled: 2-line block ×4, first 2 shown]
	v_add_f64 v[12:13], v[12:13], -v[18:19]
	v_add_f64 v[14:15], v[14:15], -v[128:129]
	;; [unrolled: 1-line block ×8, first 2 shown]
	v_dual_mov_b32 v18, v182 :: v_dual_mov_b32 v19, v183
.LBB35_127:
	s_or_b32 exec_lo, exec_lo, s3
	s_delay_alu instid0(SALU_CYCLE_1)
	s_mov_b32 s4, exec_lo
	s_waitcnt lgkmcnt(0)
	s_barrier
	buffer_gl0_inv
	v_cmpx_eq_u32_e32 14, v184
	s_cbranch_execz .LBB35_134
; %bb.128:
	ds_store_2addr_b64 v185, v[12:13], v[14:15] offset1:1
	ds_store_2addr_b64 v186, v[8:9], v[10:11] offset0:30 offset1:31
	ds_store_2addr_b64 v186, v[4:5], v[6:7] offset0:32 offset1:33
	;; [unrolled: 1-line block ×3, first 2 shown]
	ds_load_2addr_b64 v[128:131], v185 offset1:1
	s_waitcnt lgkmcnt(0)
	v_cmp_neq_f64_e32 vcc_lo, 0, v[128:129]
	v_cmp_neq_f64_e64 s3, 0, v[130:131]
	s_delay_alu instid0(VALU_DEP_1) | instskip(NEXT) | instid1(SALU_CYCLE_1)
	s_or_b32 s3, vcc_lo, s3
	s_and_b32 exec_lo, exec_lo, s3
	s_cbranch_execz .LBB35_134
; %bb.129:
	v_cmp_gt_f64_e32 vcc_lo, 0, v[128:129]
	v_cmp_gt_f64_e64 s3, 0, v[130:131]
	v_xor_b32_e32 v132, 0x80000000, v129
	v_xor_b32_e32 v134, 0x80000000, v131
                                        ; implicit-def: $vgpr136_vgpr137
	s_delay_alu instid0(VALU_DEP_2) | instskip(NEXT) | instid1(VALU_DEP_2)
	v_cndmask_b32_e32 v133, v129, v132, vcc_lo
	v_cndmask_b32_e64 v135, v131, v134, s3
	v_cndmask_b32_e32 v132, v128, v128, vcc_lo
	v_cndmask_b32_e64 v134, v130, v130, s3
	s_mov_b32 s3, exec_lo
	s_delay_alu instid0(VALU_DEP_1)
	v_cmpx_ngt_f64_e32 v[132:133], v[134:135]
	s_xor_b32 s3, exec_lo, s3
                                        ; implicit-def: $vgpr132_vgpr133_vgpr134_vgpr135
	s_cbranch_execz .LBB35_131
; %bb.130:
	v_div_scale_f64 v[132:133], null, v[130:131], v[130:131], v[128:129]
	v_div_scale_f64 v[138:139], vcc_lo, v[128:129], v[130:131], v[128:129]
	s_delay_alu instid0(VALU_DEP_2) | instskip(SKIP_2) | instid1(VALU_DEP_1)
	v_rcp_f64_e32 v[134:135], v[132:133]
	s_waitcnt_depctr 0xfff
	v_fma_f64 v[136:137], -v[132:133], v[134:135], 1.0
	v_fma_f64 v[134:135], v[134:135], v[136:137], v[134:135]
	s_delay_alu instid0(VALU_DEP_1) | instskip(NEXT) | instid1(VALU_DEP_1)
	v_fma_f64 v[136:137], -v[132:133], v[134:135], 1.0
	v_fma_f64 v[134:135], v[134:135], v[136:137], v[134:135]
	s_delay_alu instid0(VALU_DEP_1) | instskip(NEXT) | instid1(VALU_DEP_1)
	v_mul_f64 v[136:137], v[138:139], v[134:135]
	v_fma_f64 v[132:133], -v[132:133], v[136:137], v[138:139]
	s_delay_alu instid0(VALU_DEP_1) | instskip(NEXT) | instid1(VALU_DEP_1)
	v_div_fmas_f64 v[132:133], v[132:133], v[134:135], v[136:137]
	v_div_fixup_f64 v[132:133], v[132:133], v[130:131], v[128:129]
	s_delay_alu instid0(VALU_DEP_1) | instskip(NEXT) | instid1(VALU_DEP_1)
	v_fma_f64 v[128:129], v[128:129], v[132:133], v[130:131]
	v_div_scale_f64 v[130:131], null, v[128:129], v[128:129], 1.0
	s_delay_alu instid0(VALU_DEP_1) | instskip(SKIP_2) | instid1(VALU_DEP_1)
	v_rcp_f64_e32 v[134:135], v[130:131]
	s_waitcnt_depctr 0xfff
	v_fma_f64 v[136:137], -v[130:131], v[134:135], 1.0
	v_fma_f64 v[134:135], v[134:135], v[136:137], v[134:135]
	s_delay_alu instid0(VALU_DEP_1) | instskip(NEXT) | instid1(VALU_DEP_1)
	v_fma_f64 v[136:137], -v[130:131], v[134:135], 1.0
	v_fma_f64 v[134:135], v[134:135], v[136:137], v[134:135]
	v_div_scale_f64 v[136:137], vcc_lo, 1.0, v[128:129], 1.0
	s_delay_alu instid0(VALU_DEP_1) | instskip(NEXT) | instid1(VALU_DEP_1)
	v_mul_f64 v[138:139], v[136:137], v[134:135]
	v_fma_f64 v[130:131], -v[130:131], v[138:139], v[136:137]
	s_delay_alu instid0(VALU_DEP_1) | instskip(NEXT) | instid1(VALU_DEP_1)
	v_div_fmas_f64 v[130:131], v[130:131], v[134:135], v[138:139]
	v_div_fixup_f64 v[134:135], v[130:131], v[128:129], 1.0
                                        ; implicit-def: $vgpr128_vgpr129
	s_delay_alu instid0(VALU_DEP_1)
	v_mul_f64 v[136:137], v[132:133], v[134:135]
	v_xor_b32_e32 v135, 0x80000000, v135
.LBB35_131:
	s_and_not1_saveexec_b32 s3, s3
	s_cbranch_execz .LBB35_133
; %bb.132:
	v_div_scale_f64 v[132:133], null, v[128:129], v[128:129], v[130:131]
	v_div_scale_f64 v[138:139], vcc_lo, v[130:131], v[128:129], v[130:131]
	s_delay_alu instid0(VALU_DEP_2) | instskip(SKIP_2) | instid1(VALU_DEP_1)
	v_rcp_f64_e32 v[134:135], v[132:133]
	s_waitcnt_depctr 0xfff
	v_fma_f64 v[136:137], -v[132:133], v[134:135], 1.0
	v_fma_f64 v[134:135], v[134:135], v[136:137], v[134:135]
	s_delay_alu instid0(VALU_DEP_1) | instskip(NEXT) | instid1(VALU_DEP_1)
	v_fma_f64 v[136:137], -v[132:133], v[134:135], 1.0
	v_fma_f64 v[134:135], v[134:135], v[136:137], v[134:135]
	s_delay_alu instid0(VALU_DEP_1) | instskip(NEXT) | instid1(VALU_DEP_1)
	v_mul_f64 v[136:137], v[138:139], v[134:135]
	v_fma_f64 v[132:133], -v[132:133], v[136:137], v[138:139]
	s_delay_alu instid0(VALU_DEP_1) | instskip(NEXT) | instid1(VALU_DEP_1)
	v_div_fmas_f64 v[132:133], v[132:133], v[134:135], v[136:137]
	v_div_fixup_f64 v[132:133], v[132:133], v[128:129], v[130:131]
	s_delay_alu instid0(VALU_DEP_1) | instskip(NEXT) | instid1(VALU_DEP_1)
	v_fma_f64 v[128:129], v[130:131], v[132:133], v[128:129]
	v_div_scale_f64 v[130:131], null, v[128:129], v[128:129], 1.0
	s_delay_alu instid0(VALU_DEP_1) | instskip(SKIP_2) | instid1(VALU_DEP_1)
	v_rcp_f64_e32 v[134:135], v[130:131]
	s_waitcnt_depctr 0xfff
	v_fma_f64 v[136:137], -v[130:131], v[134:135], 1.0
	v_fma_f64 v[134:135], v[134:135], v[136:137], v[134:135]
	s_delay_alu instid0(VALU_DEP_1) | instskip(NEXT) | instid1(VALU_DEP_1)
	v_fma_f64 v[136:137], -v[130:131], v[134:135], 1.0
	v_fma_f64 v[134:135], v[134:135], v[136:137], v[134:135]
	v_div_scale_f64 v[136:137], vcc_lo, 1.0, v[128:129], 1.0
	s_delay_alu instid0(VALU_DEP_1) | instskip(NEXT) | instid1(VALU_DEP_1)
	v_mul_f64 v[138:139], v[136:137], v[134:135]
	v_fma_f64 v[130:131], -v[130:131], v[138:139], v[136:137]
	s_delay_alu instid0(VALU_DEP_1) | instskip(NEXT) | instid1(VALU_DEP_1)
	v_div_fmas_f64 v[130:131], v[130:131], v[134:135], v[138:139]
	v_div_fixup_f64 v[136:137], v[130:131], v[128:129], 1.0
	s_delay_alu instid0(VALU_DEP_1)
	v_mul_f64 v[134:135], v[132:133], -v[136:137]
.LBB35_133:
	s_or_b32 exec_lo, exec_lo, s3
	ds_store_2addr_b64 v185, v[136:137], v[134:135] offset1:1
.LBB35_134:
	s_or_b32 exec_lo, exec_lo, s4
	s_waitcnt lgkmcnt(0)
	s_barrier
	buffer_gl0_inv
	ds_load_2addr_b64 v[128:131], v185 offset1:1
	s_mov_b32 s3, exec_lo
	v_cmpx_lt_u32_e32 14, v184
	s_cbranch_execz .LBB35_136
; %bb.135:
	s_waitcnt lgkmcnt(0)
	v_mul_f64 v[132:133], v[128:129], v[14:15]
	v_mul_f64 v[14:15], v[130:131], v[14:15]
	s_delay_alu instid0(VALU_DEP_2)
	v_fma_f64 v[182:183], v[130:131], v[12:13], v[132:133]
	ds_load_2addr_b64 v[132:135], v186 offset0:30 offset1:31
	ds_load_2addr_b64 v[136:139], v186 offset0:32 offset1:33
	;; [unrolled: 1-line block ×3, first 2 shown]
	v_fma_f64 v[12:13], v[128:129], v[12:13], -v[14:15]
	s_waitcnt lgkmcnt(2)
	v_mul_f64 v[14:15], v[134:135], v[182:183]
	v_mul_f64 v[187:188], v[132:133], v[182:183]
	s_waitcnt lgkmcnt(1)
	v_mul_f64 v[189:190], v[138:139], v[182:183]
	v_mul_f64 v[191:192], v[136:137], v[182:183]
	;; [unrolled: 3-line block ×3, first 2 shown]
	v_fma_f64 v[14:15], v[132:133], v[12:13], -v[14:15]
	v_fma_f64 v[132:133], v[134:135], v[12:13], v[187:188]
	v_fma_f64 v[134:135], v[136:137], v[12:13], -v[189:190]
	v_fma_f64 v[136:137], v[138:139], v[12:13], v[191:192]
	;; [unrolled: 2-line block ×3, first 2 shown]
	v_add_f64 v[8:9], v[8:9], -v[14:15]
	v_add_f64 v[10:11], v[10:11], -v[132:133]
	;; [unrolled: 1-line block ×6, first 2 shown]
	v_dual_mov_b32 v14, v182 :: v_dual_mov_b32 v15, v183
.LBB35_136:
	s_or_b32 exec_lo, exec_lo, s3
	s_delay_alu instid0(SALU_CYCLE_1)
	s_mov_b32 s4, exec_lo
	s_waitcnt lgkmcnt(0)
	s_barrier
	buffer_gl0_inv
	v_cmpx_eq_u32_e32 15, v184
	s_cbranch_execz .LBB35_143
; %bb.137:
	ds_store_2addr_b64 v185, v[8:9], v[10:11] offset1:1
	ds_store_2addr_b64 v186, v[4:5], v[6:7] offset0:32 offset1:33
	ds_store_2addr_b64 v186, v[0:1], v[2:3] offset0:34 offset1:35
	ds_load_2addr_b64 v[132:135], v185 offset1:1
	s_waitcnt lgkmcnt(0)
	v_cmp_neq_f64_e32 vcc_lo, 0, v[132:133]
	v_cmp_neq_f64_e64 s3, 0, v[134:135]
	s_delay_alu instid0(VALU_DEP_1) | instskip(NEXT) | instid1(SALU_CYCLE_1)
	s_or_b32 s3, vcc_lo, s3
	s_and_b32 exec_lo, exec_lo, s3
	s_cbranch_execz .LBB35_143
; %bb.138:
	v_cmp_gt_f64_e32 vcc_lo, 0, v[132:133]
	v_cmp_gt_f64_e64 s3, 0, v[134:135]
	v_xor_b32_e32 v136, 0x80000000, v133
	v_xor_b32_e32 v138, 0x80000000, v135
                                        ; implicit-def: $vgpr140_vgpr141
	s_delay_alu instid0(VALU_DEP_2) | instskip(NEXT) | instid1(VALU_DEP_2)
	v_cndmask_b32_e32 v137, v133, v136, vcc_lo
	v_cndmask_b32_e64 v139, v135, v138, s3
	v_cndmask_b32_e32 v136, v132, v132, vcc_lo
	v_cndmask_b32_e64 v138, v134, v134, s3
	s_mov_b32 s3, exec_lo
	s_delay_alu instid0(VALU_DEP_1)
	v_cmpx_ngt_f64_e32 v[136:137], v[138:139]
	s_xor_b32 s3, exec_lo, s3
                                        ; implicit-def: $vgpr136_vgpr137_vgpr138_vgpr139
	s_cbranch_execz .LBB35_140
; %bb.139:
	v_div_scale_f64 v[136:137], null, v[134:135], v[134:135], v[132:133]
	v_div_scale_f64 v[142:143], vcc_lo, v[132:133], v[134:135], v[132:133]
	s_delay_alu instid0(VALU_DEP_2) | instskip(SKIP_2) | instid1(VALU_DEP_1)
	v_rcp_f64_e32 v[138:139], v[136:137]
	s_waitcnt_depctr 0xfff
	v_fma_f64 v[140:141], -v[136:137], v[138:139], 1.0
	v_fma_f64 v[138:139], v[138:139], v[140:141], v[138:139]
	s_delay_alu instid0(VALU_DEP_1) | instskip(NEXT) | instid1(VALU_DEP_1)
	v_fma_f64 v[140:141], -v[136:137], v[138:139], 1.0
	v_fma_f64 v[138:139], v[138:139], v[140:141], v[138:139]
	s_delay_alu instid0(VALU_DEP_1) | instskip(NEXT) | instid1(VALU_DEP_1)
	v_mul_f64 v[140:141], v[142:143], v[138:139]
	v_fma_f64 v[136:137], -v[136:137], v[140:141], v[142:143]
	s_delay_alu instid0(VALU_DEP_1) | instskip(NEXT) | instid1(VALU_DEP_1)
	v_div_fmas_f64 v[136:137], v[136:137], v[138:139], v[140:141]
	v_div_fixup_f64 v[136:137], v[136:137], v[134:135], v[132:133]
	s_delay_alu instid0(VALU_DEP_1) | instskip(NEXT) | instid1(VALU_DEP_1)
	v_fma_f64 v[132:133], v[132:133], v[136:137], v[134:135]
	v_div_scale_f64 v[134:135], null, v[132:133], v[132:133], 1.0
	s_delay_alu instid0(VALU_DEP_1) | instskip(SKIP_2) | instid1(VALU_DEP_1)
	v_rcp_f64_e32 v[138:139], v[134:135]
	s_waitcnt_depctr 0xfff
	v_fma_f64 v[140:141], -v[134:135], v[138:139], 1.0
	v_fma_f64 v[138:139], v[138:139], v[140:141], v[138:139]
	s_delay_alu instid0(VALU_DEP_1) | instskip(NEXT) | instid1(VALU_DEP_1)
	v_fma_f64 v[140:141], -v[134:135], v[138:139], 1.0
	v_fma_f64 v[138:139], v[138:139], v[140:141], v[138:139]
	v_div_scale_f64 v[140:141], vcc_lo, 1.0, v[132:133], 1.0
	s_delay_alu instid0(VALU_DEP_1) | instskip(NEXT) | instid1(VALU_DEP_1)
	v_mul_f64 v[142:143], v[140:141], v[138:139]
	v_fma_f64 v[134:135], -v[134:135], v[142:143], v[140:141]
	s_delay_alu instid0(VALU_DEP_1) | instskip(NEXT) | instid1(VALU_DEP_1)
	v_div_fmas_f64 v[134:135], v[134:135], v[138:139], v[142:143]
	v_div_fixup_f64 v[138:139], v[134:135], v[132:133], 1.0
                                        ; implicit-def: $vgpr132_vgpr133
	s_delay_alu instid0(VALU_DEP_1)
	v_mul_f64 v[140:141], v[136:137], v[138:139]
	v_xor_b32_e32 v139, 0x80000000, v139
.LBB35_140:
	s_and_not1_saveexec_b32 s3, s3
	s_cbranch_execz .LBB35_142
; %bb.141:
	v_div_scale_f64 v[136:137], null, v[132:133], v[132:133], v[134:135]
	v_div_scale_f64 v[142:143], vcc_lo, v[134:135], v[132:133], v[134:135]
	s_delay_alu instid0(VALU_DEP_2) | instskip(SKIP_2) | instid1(VALU_DEP_1)
	v_rcp_f64_e32 v[138:139], v[136:137]
	s_waitcnt_depctr 0xfff
	v_fma_f64 v[140:141], -v[136:137], v[138:139], 1.0
	v_fma_f64 v[138:139], v[138:139], v[140:141], v[138:139]
	s_delay_alu instid0(VALU_DEP_1) | instskip(NEXT) | instid1(VALU_DEP_1)
	v_fma_f64 v[140:141], -v[136:137], v[138:139], 1.0
	v_fma_f64 v[138:139], v[138:139], v[140:141], v[138:139]
	s_delay_alu instid0(VALU_DEP_1) | instskip(NEXT) | instid1(VALU_DEP_1)
	v_mul_f64 v[140:141], v[142:143], v[138:139]
	v_fma_f64 v[136:137], -v[136:137], v[140:141], v[142:143]
	s_delay_alu instid0(VALU_DEP_1) | instskip(NEXT) | instid1(VALU_DEP_1)
	v_div_fmas_f64 v[136:137], v[136:137], v[138:139], v[140:141]
	v_div_fixup_f64 v[136:137], v[136:137], v[132:133], v[134:135]
	s_delay_alu instid0(VALU_DEP_1) | instskip(NEXT) | instid1(VALU_DEP_1)
	v_fma_f64 v[132:133], v[134:135], v[136:137], v[132:133]
	v_div_scale_f64 v[134:135], null, v[132:133], v[132:133], 1.0
	s_delay_alu instid0(VALU_DEP_1) | instskip(SKIP_2) | instid1(VALU_DEP_1)
	v_rcp_f64_e32 v[138:139], v[134:135]
	s_waitcnt_depctr 0xfff
	v_fma_f64 v[140:141], -v[134:135], v[138:139], 1.0
	v_fma_f64 v[138:139], v[138:139], v[140:141], v[138:139]
	s_delay_alu instid0(VALU_DEP_1) | instskip(NEXT) | instid1(VALU_DEP_1)
	v_fma_f64 v[140:141], -v[134:135], v[138:139], 1.0
	v_fma_f64 v[138:139], v[138:139], v[140:141], v[138:139]
	v_div_scale_f64 v[140:141], vcc_lo, 1.0, v[132:133], 1.0
	s_delay_alu instid0(VALU_DEP_1) | instskip(NEXT) | instid1(VALU_DEP_1)
	v_mul_f64 v[142:143], v[140:141], v[138:139]
	v_fma_f64 v[134:135], -v[134:135], v[142:143], v[140:141]
	s_delay_alu instid0(VALU_DEP_1) | instskip(NEXT) | instid1(VALU_DEP_1)
	v_div_fmas_f64 v[134:135], v[134:135], v[138:139], v[142:143]
	v_div_fixup_f64 v[140:141], v[134:135], v[132:133], 1.0
	s_delay_alu instid0(VALU_DEP_1)
	v_mul_f64 v[138:139], v[136:137], -v[140:141]
.LBB35_142:
	s_or_b32 exec_lo, exec_lo, s3
	ds_store_2addr_b64 v185, v[140:141], v[138:139] offset1:1
.LBB35_143:
	s_or_b32 exec_lo, exec_lo, s4
	s_waitcnt lgkmcnt(0)
	s_barrier
	buffer_gl0_inv
	ds_load_2addr_b64 v[132:135], v185 offset1:1
	s_mov_b32 s3, exec_lo
	v_cmpx_lt_u32_e32 15, v184
	s_cbranch_execz .LBB35_145
; %bb.144:
	s_waitcnt lgkmcnt(0)
	v_mul_f64 v[136:137], v[132:133], v[10:11]
	v_mul_f64 v[10:11], v[134:135], v[10:11]
	s_delay_alu instid0(VALU_DEP_2)
	v_fma_f64 v[182:183], v[134:135], v[8:9], v[136:137]
	ds_load_2addr_b64 v[136:139], v186 offset0:32 offset1:33
	ds_load_2addr_b64 v[140:143], v186 offset0:34 offset1:35
	v_fma_f64 v[8:9], v[132:133], v[8:9], -v[10:11]
	s_waitcnt lgkmcnt(1)
	v_mul_f64 v[10:11], v[138:139], v[182:183]
	v_mul_f64 v[187:188], v[136:137], v[182:183]
	s_waitcnt lgkmcnt(0)
	v_mul_f64 v[189:190], v[142:143], v[182:183]
	v_mul_f64 v[191:192], v[140:141], v[182:183]
	s_delay_alu instid0(VALU_DEP_4) | instskip(NEXT) | instid1(VALU_DEP_4)
	v_fma_f64 v[10:11], v[136:137], v[8:9], -v[10:11]
	v_fma_f64 v[136:137], v[138:139], v[8:9], v[187:188]
	s_delay_alu instid0(VALU_DEP_4) | instskip(NEXT) | instid1(VALU_DEP_4)
	v_fma_f64 v[138:139], v[140:141], v[8:9], -v[189:190]
	v_fma_f64 v[140:141], v[142:143], v[8:9], v[191:192]
	s_delay_alu instid0(VALU_DEP_4) | instskip(NEXT) | instid1(VALU_DEP_4)
	v_add_f64 v[4:5], v[4:5], -v[10:11]
	v_add_f64 v[6:7], v[6:7], -v[136:137]
	s_delay_alu instid0(VALU_DEP_4) | instskip(NEXT) | instid1(VALU_DEP_4)
	v_add_f64 v[0:1], v[0:1], -v[138:139]
	v_add_f64 v[2:3], v[2:3], -v[140:141]
	v_dual_mov_b32 v10, v182 :: v_dual_mov_b32 v11, v183
.LBB35_145:
	s_or_b32 exec_lo, exec_lo, s3
	s_delay_alu instid0(SALU_CYCLE_1)
	s_mov_b32 s4, exec_lo
	s_waitcnt lgkmcnt(0)
	s_barrier
	buffer_gl0_inv
	v_cmpx_eq_u32_e32 16, v184
	s_cbranch_execz .LBB35_152
; %bb.146:
	ds_store_2addr_b64 v185, v[4:5], v[6:7] offset1:1
	ds_store_2addr_b64 v186, v[0:1], v[2:3] offset0:34 offset1:35
	ds_load_2addr_b64 v[136:139], v185 offset1:1
	s_waitcnt lgkmcnt(0)
	v_cmp_neq_f64_e32 vcc_lo, 0, v[136:137]
	v_cmp_neq_f64_e64 s3, 0, v[138:139]
	s_delay_alu instid0(VALU_DEP_1) | instskip(NEXT) | instid1(SALU_CYCLE_1)
	s_or_b32 s3, vcc_lo, s3
	s_and_b32 exec_lo, exec_lo, s3
	s_cbranch_execz .LBB35_152
; %bb.147:
	v_cmp_gt_f64_e32 vcc_lo, 0, v[136:137]
	v_cmp_gt_f64_e64 s3, 0, v[138:139]
	v_xor_b32_e32 v140, 0x80000000, v137
	v_xor_b32_e32 v142, 0x80000000, v139
                                        ; implicit-def: $vgpr182_vgpr183
	s_delay_alu instid0(VALU_DEP_2) | instskip(NEXT) | instid1(VALU_DEP_2)
	v_cndmask_b32_e32 v141, v137, v140, vcc_lo
	v_cndmask_b32_e64 v143, v139, v142, s3
	v_cndmask_b32_e32 v140, v136, v136, vcc_lo
	v_cndmask_b32_e64 v142, v138, v138, s3
	s_mov_b32 s3, exec_lo
	s_delay_alu instid0(VALU_DEP_1)
	v_cmpx_ngt_f64_e32 v[140:141], v[142:143]
	s_xor_b32 s3, exec_lo, s3
                                        ; implicit-def: $vgpr140_vgpr141_vgpr142_vgpr143
	s_cbranch_execz .LBB35_149
; %bb.148:
	v_div_scale_f64 v[140:141], null, v[138:139], v[138:139], v[136:137]
	v_div_scale_f64 v[187:188], vcc_lo, v[136:137], v[138:139], v[136:137]
	s_delay_alu instid0(VALU_DEP_2) | instskip(SKIP_2) | instid1(VALU_DEP_1)
	v_rcp_f64_e32 v[142:143], v[140:141]
	s_waitcnt_depctr 0xfff
	v_fma_f64 v[182:183], -v[140:141], v[142:143], 1.0
	v_fma_f64 v[142:143], v[142:143], v[182:183], v[142:143]
	s_delay_alu instid0(VALU_DEP_1) | instskip(NEXT) | instid1(VALU_DEP_1)
	v_fma_f64 v[182:183], -v[140:141], v[142:143], 1.0
	v_fma_f64 v[142:143], v[142:143], v[182:183], v[142:143]
	s_delay_alu instid0(VALU_DEP_1) | instskip(NEXT) | instid1(VALU_DEP_1)
	v_mul_f64 v[182:183], v[187:188], v[142:143]
	v_fma_f64 v[140:141], -v[140:141], v[182:183], v[187:188]
	s_delay_alu instid0(VALU_DEP_1) | instskip(NEXT) | instid1(VALU_DEP_1)
	v_div_fmas_f64 v[140:141], v[140:141], v[142:143], v[182:183]
	v_div_fixup_f64 v[140:141], v[140:141], v[138:139], v[136:137]
	s_delay_alu instid0(VALU_DEP_1) | instskip(NEXT) | instid1(VALU_DEP_1)
	v_fma_f64 v[136:137], v[136:137], v[140:141], v[138:139]
	v_div_scale_f64 v[138:139], null, v[136:137], v[136:137], 1.0
	s_delay_alu instid0(VALU_DEP_1) | instskip(SKIP_2) | instid1(VALU_DEP_1)
	v_rcp_f64_e32 v[142:143], v[138:139]
	s_waitcnt_depctr 0xfff
	v_fma_f64 v[182:183], -v[138:139], v[142:143], 1.0
	v_fma_f64 v[142:143], v[142:143], v[182:183], v[142:143]
	s_delay_alu instid0(VALU_DEP_1) | instskip(NEXT) | instid1(VALU_DEP_1)
	v_fma_f64 v[182:183], -v[138:139], v[142:143], 1.0
	v_fma_f64 v[142:143], v[142:143], v[182:183], v[142:143]
	v_div_scale_f64 v[182:183], vcc_lo, 1.0, v[136:137], 1.0
	s_delay_alu instid0(VALU_DEP_1) | instskip(NEXT) | instid1(VALU_DEP_1)
	v_mul_f64 v[187:188], v[182:183], v[142:143]
	v_fma_f64 v[138:139], -v[138:139], v[187:188], v[182:183]
	s_delay_alu instid0(VALU_DEP_1) | instskip(NEXT) | instid1(VALU_DEP_1)
	v_div_fmas_f64 v[138:139], v[138:139], v[142:143], v[187:188]
	v_div_fixup_f64 v[142:143], v[138:139], v[136:137], 1.0
                                        ; implicit-def: $vgpr136_vgpr137
	s_delay_alu instid0(VALU_DEP_1)
	v_mul_f64 v[182:183], v[140:141], v[142:143]
	v_xor_b32_e32 v143, 0x80000000, v143
.LBB35_149:
	s_and_not1_saveexec_b32 s3, s3
	s_cbranch_execz .LBB35_151
; %bb.150:
	v_div_scale_f64 v[140:141], null, v[136:137], v[136:137], v[138:139]
	v_div_scale_f64 v[187:188], vcc_lo, v[138:139], v[136:137], v[138:139]
	s_delay_alu instid0(VALU_DEP_2) | instskip(SKIP_2) | instid1(VALU_DEP_1)
	v_rcp_f64_e32 v[142:143], v[140:141]
	s_waitcnt_depctr 0xfff
	v_fma_f64 v[182:183], -v[140:141], v[142:143], 1.0
	v_fma_f64 v[142:143], v[142:143], v[182:183], v[142:143]
	s_delay_alu instid0(VALU_DEP_1) | instskip(NEXT) | instid1(VALU_DEP_1)
	v_fma_f64 v[182:183], -v[140:141], v[142:143], 1.0
	v_fma_f64 v[142:143], v[142:143], v[182:183], v[142:143]
	s_delay_alu instid0(VALU_DEP_1) | instskip(NEXT) | instid1(VALU_DEP_1)
	v_mul_f64 v[182:183], v[187:188], v[142:143]
	v_fma_f64 v[140:141], -v[140:141], v[182:183], v[187:188]
	s_delay_alu instid0(VALU_DEP_1) | instskip(NEXT) | instid1(VALU_DEP_1)
	v_div_fmas_f64 v[140:141], v[140:141], v[142:143], v[182:183]
	v_div_fixup_f64 v[140:141], v[140:141], v[136:137], v[138:139]
	s_delay_alu instid0(VALU_DEP_1) | instskip(NEXT) | instid1(VALU_DEP_1)
	v_fma_f64 v[136:137], v[138:139], v[140:141], v[136:137]
	v_div_scale_f64 v[138:139], null, v[136:137], v[136:137], 1.0
	s_delay_alu instid0(VALU_DEP_1) | instskip(SKIP_2) | instid1(VALU_DEP_1)
	v_rcp_f64_e32 v[142:143], v[138:139]
	s_waitcnt_depctr 0xfff
	v_fma_f64 v[182:183], -v[138:139], v[142:143], 1.0
	v_fma_f64 v[142:143], v[142:143], v[182:183], v[142:143]
	s_delay_alu instid0(VALU_DEP_1) | instskip(NEXT) | instid1(VALU_DEP_1)
	v_fma_f64 v[182:183], -v[138:139], v[142:143], 1.0
	v_fma_f64 v[142:143], v[142:143], v[182:183], v[142:143]
	v_div_scale_f64 v[182:183], vcc_lo, 1.0, v[136:137], 1.0
	s_delay_alu instid0(VALU_DEP_1) | instskip(NEXT) | instid1(VALU_DEP_1)
	v_mul_f64 v[187:188], v[182:183], v[142:143]
	v_fma_f64 v[138:139], -v[138:139], v[187:188], v[182:183]
	s_delay_alu instid0(VALU_DEP_1) | instskip(NEXT) | instid1(VALU_DEP_1)
	v_div_fmas_f64 v[138:139], v[138:139], v[142:143], v[187:188]
	v_div_fixup_f64 v[182:183], v[138:139], v[136:137], 1.0
	s_delay_alu instid0(VALU_DEP_1)
	v_mul_f64 v[142:143], v[140:141], -v[182:183]
.LBB35_151:
	s_or_b32 exec_lo, exec_lo, s3
	ds_store_2addr_b64 v185, v[182:183], v[142:143] offset1:1
.LBB35_152:
	s_or_b32 exec_lo, exec_lo, s4
	s_waitcnt lgkmcnt(0)
	s_barrier
	buffer_gl0_inv
	ds_load_2addr_b64 v[136:139], v185 offset1:1
	s_mov_b32 s3, exec_lo
	v_cmpx_lt_u32_e32 16, v184
	s_cbranch_execz .LBB35_154
; %bb.153:
	s_waitcnt lgkmcnt(0)
	v_mul_f64 v[140:141], v[136:137], v[6:7]
	v_mul_f64 v[6:7], v[138:139], v[6:7]
	s_delay_alu instid0(VALU_DEP_2)
	v_fma_f64 v[182:183], v[138:139], v[4:5], v[140:141]
	ds_load_2addr_b64 v[140:143], v186 offset0:34 offset1:35
	v_fma_f64 v[4:5], v[136:137], v[4:5], -v[6:7]
	s_waitcnt lgkmcnt(0)
	v_mul_f64 v[6:7], v[142:143], v[182:183]
	v_mul_f64 v[186:187], v[140:141], v[182:183]
	s_delay_alu instid0(VALU_DEP_2) | instskip(NEXT) | instid1(VALU_DEP_2)
	v_fma_f64 v[6:7], v[140:141], v[4:5], -v[6:7]
	v_fma_f64 v[140:141], v[142:143], v[4:5], v[186:187]
	s_delay_alu instid0(VALU_DEP_2) | instskip(NEXT) | instid1(VALU_DEP_2)
	v_add_f64 v[0:1], v[0:1], -v[6:7]
	v_add_f64 v[2:3], v[2:3], -v[140:141]
	v_dual_mov_b32 v6, v182 :: v_dual_mov_b32 v7, v183
.LBB35_154:
	s_or_b32 exec_lo, exec_lo, s3
	s_delay_alu instid0(SALU_CYCLE_1)
	s_mov_b32 s4, exec_lo
	s_waitcnt lgkmcnt(0)
	s_barrier
	buffer_gl0_inv
	v_cmpx_eq_u32_e32 17, v184
	s_cbranch_execz .LBB35_161
; %bb.155:
	v_cmp_neq_f64_e32 vcc_lo, 0, v[0:1]
	v_cmp_neq_f64_e64 s3, 0, v[2:3]
	ds_store_2addr_b64 v185, v[0:1], v[2:3] offset1:1
	s_or_b32 s3, vcc_lo, s3
	s_delay_alu instid0(SALU_CYCLE_1)
	s_and_b32 exec_lo, exec_lo, s3
	s_cbranch_execz .LBB35_161
; %bb.156:
	v_cmp_gt_f64_e32 vcc_lo, 0, v[0:1]
	v_cmp_gt_f64_e64 s3, 0, v[2:3]
	v_xor_b32_e32 v140, 0x80000000, v1
	v_xor_b32_e32 v142, 0x80000000, v3
                                        ; implicit-def: $vgpr182_vgpr183
	s_delay_alu instid0(VALU_DEP_2) | instskip(NEXT) | instid1(VALU_DEP_2)
	v_cndmask_b32_e32 v141, v1, v140, vcc_lo
	v_cndmask_b32_e64 v143, v3, v142, s3
	v_cndmask_b32_e32 v140, v0, v0, vcc_lo
	v_cndmask_b32_e64 v142, v2, v2, s3
	s_mov_b32 s3, exec_lo
	s_delay_alu instid0(VALU_DEP_1)
	v_cmpx_ngt_f64_e32 v[140:141], v[142:143]
	s_xor_b32 s3, exec_lo, s3
                                        ; implicit-def: $vgpr140_vgpr141_vgpr142_vgpr143
	s_cbranch_execz .LBB35_158
; %bb.157:
	v_div_scale_f64 v[140:141], null, v[2:3], v[2:3], v[0:1]
	v_div_scale_f64 v[186:187], vcc_lo, v[0:1], v[2:3], v[0:1]
	s_delay_alu instid0(VALU_DEP_2) | instskip(SKIP_2) | instid1(VALU_DEP_1)
	v_rcp_f64_e32 v[142:143], v[140:141]
	s_waitcnt_depctr 0xfff
	v_fma_f64 v[182:183], -v[140:141], v[142:143], 1.0
	v_fma_f64 v[142:143], v[142:143], v[182:183], v[142:143]
	s_delay_alu instid0(VALU_DEP_1) | instskip(NEXT) | instid1(VALU_DEP_1)
	v_fma_f64 v[182:183], -v[140:141], v[142:143], 1.0
	v_fma_f64 v[142:143], v[142:143], v[182:183], v[142:143]
	s_delay_alu instid0(VALU_DEP_1) | instskip(NEXT) | instid1(VALU_DEP_1)
	v_mul_f64 v[182:183], v[186:187], v[142:143]
	v_fma_f64 v[140:141], -v[140:141], v[182:183], v[186:187]
	s_delay_alu instid0(VALU_DEP_1) | instskip(NEXT) | instid1(VALU_DEP_1)
	v_div_fmas_f64 v[140:141], v[140:141], v[142:143], v[182:183]
	v_div_fixup_f64 v[140:141], v[140:141], v[2:3], v[0:1]
	s_delay_alu instid0(VALU_DEP_1) | instskip(NEXT) | instid1(VALU_DEP_1)
	v_fma_f64 v[142:143], v[0:1], v[140:141], v[2:3]
	v_div_scale_f64 v[182:183], null, v[142:143], v[142:143], 1.0
	s_delay_alu instid0(VALU_DEP_1) | instskip(SKIP_2) | instid1(VALU_DEP_1)
	v_rcp_f64_e32 v[186:187], v[182:183]
	s_waitcnt_depctr 0xfff
	v_fma_f64 v[188:189], -v[182:183], v[186:187], 1.0
	v_fma_f64 v[186:187], v[186:187], v[188:189], v[186:187]
	s_delay_alu instid0(VALU_DEP_1) | instskip(NEXT) | instid1(VALU_DEP_1)
	v_fma_f64 v[188:189], -v[182:183], v[186:187], 1.0
	v_fma_f64 v[186:187], v[186:187], v[188:189], v[186:187]
	v_div_scale_f64 v[188:189], vcc_lo, 1.0, v[142:143], 1.0
	s_delay_alu instid0(VALU_DEP_1) | instskip(NEXT) | instid1(VALU_DEP_1)
	v_mul_f64 v[190:191], v[188:189], v[186:187]
	v_fma_f64 v[182:183], -v[182:183], v[190:191], v[188:189]
	s_delay_alu instid0(VALU_DEP_1) | instskip(NEXT) | instid1(VALU_DEP_1)
	v_div_fmas_f64 v[182:183], v[182:183], v[186:187], v[190:191]
	v_div_fixup_f64 v[142:143], v[182:183], v[142:143], 1.0
	s_delay_alu instid0(VALU_DEP_1)
	v_mul_f64 v[182:183], v[140:141], v[142:143]
	v_xor_b32_e32 v143, 0x80000000, v143
.LBB35_158:
	s_and_not1_saveexec_b32 s3, s3
	s_cbranch_execz .LBB35_160
; %bb.159:
	v_div_scale_f64 v[140:141], null, v[0:1], v[0:1], v[2:3]
	v_div_scale_f64 v[186:187], vcc_lo, v[2:3], v[0:1], v[2:3]
	s_delay_alu instid0(VALU_DEP_2) | instskip(SKIP_2) | instid1(VALU_DEP_1)
	v_rcp_f64_e32 v[142:143], v[140:141]
	s_waitcnt_depctr 0xfff
	v_fma_f64 v[182:183], -v[140:141], v[142:143], 1.0
	v_fma_f64 v[142:143], v[142:143], v[182:183], v[142:143]
	s_delay_alu instid0(VALU_DEP_1) | instskip(NEXT) | instid1(VALU_DEP_1)
	v_fma_f64 v[182:183], -v[140:141], v[142:143], 1.0
	v_fma_f64 v[142:143], v[142:143], v[182:183], v[142:143]
	s_delay_alu instid0(VALU_DEP_1) | instskip(NEXT) | instid1(VALU_DEP_1)
	v_mul_f64 v[182:183], v[186:187], v[142:143]
	v_fma_f64 v[140:141], -v[140:141], v[182:183], v[186:187]
	s_delay_alu instid0(VALU_DEP_1) | instskip(NEXT) | instid1(VALU_DEP_1)
	v_div_fmas_f64 v[140:141], v[140:141], v[142:143], v[182:183]
	v_div_fixup_f64 v[140:141], v[140:141], v[0:1], v[2:3]
	s_delay_alu instid0(VALU_DEP_1) | instskip(NEXT) | instid1(VALU_DEP_1)
	v_fma_f64 v[142:143], v[2:3], v[140:141], v[0:1]
	v_div_scale_f64 v[182:183], null, v[142:143], v[142:143], 1.0
	s_delay_alu instid0(VALU_DEP_1) | instskip(SKIP_2) | instid1(VALU_DEP_1)
	v_rcp_f64_e32 v[186:187], v[182:183]
	s_waitcnt_depctr 0xfff
	v_fma_f64 v[188:189], -v[182:183], v[186:187], 1.0
	v_fma_f64 v[186:187], v[186:187], v[188:189], v[186:187]
	s_delay_alu instid0(VALU_DEP_1) | instskip(NEXT) | instid1(VALU_DEP_1)
	v_fma_f64 v[188:189], -v[182:183], v[186:187], 1.0
	v_fma_f64 v[186:187], v[186:187], v[188:189], v[186:187]
	v_div_scale_f64 v[188:189], vcc_lo, 1.0, v[142:143], 1.0
	s_delay_alu instid0(VALU_DEP_1) | instskip(NEXT) | instid1(VALU_DEP_1)
	v_mul_f64 v[190:191], v[188:189], v[186:187]
	v_fma_f64 v[182:183], -v[182:183], v[190:191], v[188:189]
	s_delay_alu instid0(VALU_DEP_1) | instskip(NEXT) | instid1(VALU_DEP_1)
	v_div_fmas_f64 v[182:183], v[182:183], v[186:187], v[190:191]
	v_div_fixup_f64 v[182:183], v[182:183], v[142:143], 1.0
	s_delay_alu instid0(VALU_DEP_1)
	v_mul_f64 v[142:143], v[140:141], -v[182:183]
.LBB35_160:
	s_or_b32 exec_lo, exec_lo, s3
	ds_store_2addr_b64 v185, v[182:183], v[142:143] offset1:1
.LBB35_161:
	s_or_b32 exec_lo, exec_lo, s4
	s_waitcnt lgkmcnt(0)
	s_barrier
	buffer_gl0_inv
	ds_load_2addr_b64 v[140:143], v185 offset1:1
	s_mov_b32 s3, exec_lo
	v_cmpx_lt_u32_e32 17, v184
	s_cbranch_execz .LBB35_163
; %bb.162:
	s_waitcnt lgkmcnt(0)
	v_mul_f64 v[182:183], v[142:143], v[2:3]
	v_mul_f64 v[2:3], v[140:141], v[2:3]
	s_delay_alu instid0(VALU_DEP_2) | instskip(NEXT) | instid1(VALU_DEP_2)
	v_fma_f64 v[182:183], v[140:141], v[0:1], -v[182:183]
	v_fma_f64 v[2:3], v[142:143], v[0:1], v[2:3]
	s_delay_alu instid0(VALU_DEP_2)
	v_dual_mov_b32 v0, v182 :: v_dual_mov_b32 v1, v183
.LBB35_163:
	s_or_b32 exec_lo, exec_lo, s3
	s_waitcnt lgkmcnt(0)
	s_barrier
	buffer_gl0_inv
	s_and_saveexec_b32 s10, s2
	s_cbranch_execz .LBB35_166
; %bb.164:
	s_load_b64 s[0:1], s[0:1], 0x28
	v_lshlrev_b64 v[144:145], 2, v[144:145]
	v_cmp_neq_f64_e64 s2, 0, v[78:79]
	v_cmp_eq_f64_e64 s3, 0, v[80:81]
	v_cmp_eq_f64_e64 s4, 0, v[82:83]
	;; [unrolled: 1-line block ×6, first 2 shown]
	s_waitcnt lgkmcnt(0)
	v_add_co_u32 v144, vcc_lo, s0, v144
	v_add_co_ci_u32_e32 v145, vcc_lo, s1, v145, vcc_lo
	v_cmp_eq_f64_e32 vcc_lo, 0, v[72:73]
	v_cmp_eq_f64_e64 s0, 0, v[74:75]
	v_cmp_neq_f64_e64 s1, 0, v[76:77]
	global_load_b32 v182, v[144:145], off
	s_and_b32 s0, vcc_lo, s0
	s_or_b32 s1, s1, s2
	v_cndmask_b32_e64 v72, 0, 1, s0
	s_or_b32 vcc_lo, s1, s0
	v_cmp_eq_f64_e64 s0, 0, v[94:95]
	s_and_b32 s2, s3, s4
	s_and_b32 s4, s5, s6
	v_cndmask_b32_e32 v72, 2, v72, vcc_lo
	v_cmp_eq_f64_e32 vcc_lo, 0, v[92:93]
	s_and_b32 s6, s7, s8
	s_delay_alu instid0(VALU_DEP_2) | instskip(NEXT) | instid1(VALU_DEP_1)
	v_cmp_eq_u32_e64 s1, 0, v72
	s_and_b32 s1, s2, s1
	v_cmp_eq_f64_e64 s2, 0, v[98:99]
	v_cndmask_b32_e64 v72, v72, 3, s1
	v_cmp_eq_f64_e64 s1, 0, v[96:97]
	s_delay_alu instid0(VALU_DEP_2) | instskip(NEXT) | instid1(VALU_DEP_1)
	v_cmp_eq_u32_e64 s3, 0, v72
	s_and_b32 s3, s4, s3
	v_cmp_eq_f64_e64 s4, 0, v[102:103]
	v_cndmask_b32_e64 v72, v72, 4, s3
	v_cmp_eq_f64_e64 s3, 0, v[100:101]
	;; [unrolled: 6-line block ×3, first 2 shown]
	s_and_b32 s0, vcc_lo, s0
	v_cmp_eq_f64_e32 vcc_lo, 0, v[108:109]
	s_delay_alu instid0(VALU_DEP_3) | instskip(NEXT) | instid1(VALU_DEP_1)
	v_cmp_eq_u32_e64 s7, 0, v72
	s_and_b32 s0, s0, s7
	s_delay_alu instid0(SALU_CYCLE_1) | instskip(SKIP_3) | instid1(VALU_DEP_3)
	v_cndmask_b32_e64 v72, v72, 6, s0
	v_cmp_eq_f64_e64 s0, 0, v[110:111]
	s_and_b32 s1, s1, s2
	v_cmp_eq_f64_e64 s2, 0, v[114:115]
	v_cmp_eq_u32_e64 s7, 0, v72
	s_delay_alu instid0(VALU_DEP_1) | instskip(NEXT) | instid1(SALU_CYCLE_1)
	s_and_b32 s1, s1, s7
	v_cndmask_b32_e64 v72, v72, 7, s1
	v_cmp_eq_f64_e64 s1, 0, v[112:113]
	s_and_b32 s3, s3, s4
	v_cmp_eq_f64_e64 s4, 0, v[118:119]
	s_delay_alu instid0(VALU_DEP_3) | instskip(NEXT) | instid1(VALU_DEP_1)
	v_cmp_eq_u32_e64 s7, 0, v72
	s_and_b32 s3, s3, s7
	s_delay_alu instid0(SALU_CYCLE_1) | instskip(SKIP_3) | instid1(VALU_DEP_3)
	v_cndmask_b32_e64 v72, v72, 8, s3
	v_cmp_eq_f64_e64 s3, 0, v[116:117]
	s_and_b32 s5, s5, s6
	v_cmp_eq_f64_e64 s6, 0, v[122:123]
	v_cmp_eq_u32_e64 s7, 0, v72
	s_delay_alu instid0(VALU_DEP_1) | instskip(NEXT) | instid1(SALU_CYCLE_1)
	s_and_b32 s5, s5, s7
	v_cndmask_b32_e64 v72, v72, 9, s5
	v_cmp_eq_f64_e64 s5, 0, v[120:121]
	s_and_b32 s0, vcc_lo, s0
	v_cmp_eq_f64_e32 vcc_lo, 0, v[124:125]
	s_delay_alu instid0(VALU_DEP_3) | instskip(NEXT) | instid1(VALU_DEP_1)
	v_cmp_eq_u32_e64 s7, 0, v72
	s_and_b32 s0, s0, s7
	s_delay_alu instid0(SALU_CYCLE_1) | instskip(SKIP_3) | instid1(VALU_DEP_3)
	v_cndmask_b32_e64 v72, v72, 10, s0
	v_cmp_eq_f64_e64 s0, 0, v[126:127]
	s_and_b32 s1, s1, s2
	v_cmp_eq_f64_e64 s2, 0, v[130:131]
	v_cmp_eq_u32_e64 s7, 0, v72
	s_delay_alu instid0(VALU_DEP_1) | instskip(NEXT) | instid1(SALU_CYCLE_1)
	s_and_b32 s1, s1, s7
	v_cndmask_b32_e64 v72, v72, 11, s1
	v_cmp_eq_f64_e64 s1, 0, v[128:129]
	s_and_b32 s3, s3, s4
	v_cmp_eq_f64_e64 s4, 0, v[134:135]
	s_delay_alu instid0(VALU_DEP_3) | instskip(NEXT) | instid1(VALU_DEP_1)
	v_cmp_eq_u32_e64 s7, 0, v72
	s_and_b32 s3, s3, s7
	s_delay_alu instid0(SALU_CYCLE_1) | instskip(SKIP_3) | instid1(VALU_DEP_3)
	v_cndmask_b32_e64 v72, v72, 12, s3
	v_cmp_eq_f64_e64 s3, 0, v[132:133]
	s_and_b32 s5, s5, s6
	v_cmp_eq_f64_e64 s6, 0, v[138:139]
	v_cmp_eq_u32_e64 s7, 0, v72
	s_delay_alu instid0(VALU_DEP_1) | instskip(NEXT) | instid1(SALU_CYCLE_1)
	s_and_b32 s5, s5, s7
	v_cndmask_b32_e64 v72, v72, 13, s5
	v_cmp_eq_f64_e64 s5, 0, v[136:137]
	s_and_b32 s0, vcc_lo, s0
	v_cmp_eq_f64_e32 vcc_lo, 0, v[140:141]
	s_delay_alu instid0(VALU_DEP_3) | instskip(NEXT) | instid1(VALU_DEP_1)
	v_cmp_eq_u32_e64 s7, 0, v72
	s_and_b32 s0, s0, s7
	s_delay_alu instid0(SALU_CYCLE_1) | instskip(SKIP_2) | instid1(VALU_DEP_2)
	v_cndmask_b32_e64 v72, v72, 14, s0
	v_cmp_eq_f64_e64 s0, 0, v[142:143]
	s_and_b32 s1, s1, s2
	v_cmp_eq_u32_e64 s7, 0, v72
	s_delay_alu instid0(VALU_DEP_1) | instskip(NEXT) | instid1(SALU_CYCLE_1)
	s_and_b32 s1, s1, s7
	v_cndmask_b32_e64 v72, v72, 15, s1
	s_and_b32 s2, s3, s4
	s_delay_alu instid0(VALU_DEP_1) | instskip(NEXT) | instid1(VALU_DEP_1)
	v_cmp_eq_u32_e64 s1, 0, v72
	s_and_b32 s1, s2, s1
	s_delay_alu instid0(SALU_CYCLE_1) | instskip(SKIP_1) | instid1(VALU_DEP_1)
	v_cndmask_b32_e64 v72, v72, 16, s1
	s_and_b32 s2, s5, s6
	v_cmp_eq_u32_e64 s1, 0, v72
	s_delay_alu instid0(VALU_DEP_1) | instskip(NEXT) | instid1(SALU_CYCLE_1)
	s_and_b32 s1, s2, s1
	v_cndmask_b32_e64 v72, v72, 17, s1
	s_and_b32 s0, vcc_lo, s0
	s_delay_alu instid0(VALU_DEP_1) | instskip(NEXT) | instid1(VALU_DEP_1)
	v_cmp_eq_u32_e64 s1, 0, v72
	s_and_b32 s0, s0, s1
	s_delay_alu instid0(SALU_CYCLE_1) | instskip(NEXT) | instid1(VALU_DEP_1)
	v_cndmask_b32_e64 v72, v72, 18, s0
	v_cmp_ne_u32_e64 s0, 0, v72
	s_waitcnt vmcnt(0)
	v_cmp_eq_u32_e32 vcc_lo, 0, v182
	s_delay_alu instid0(VALU_DEP_2) | instskip(NEXT) | instid1(SALU_CYCLE_1)
	s_and_b32 s0, vcc_lo, s0
	s_and_b32 exec_lo, exec_lo, s0
	s_cbranch_execz .LBB35_166
; %bb.165:
	v_add_nc_u32_e32 v72, s9, v72
	global_store_b32 v[144:145], v72, off
.LBB35_166:
	s_or_b32 exec_lo, exec_lo, s10
	s_clause 0x11
	global_store_b128 v[178:179], v[68:71], off
	global_store_b128 v[180:181], v[64:67], off
	global_store_b128 v[176:177], v[60:63], off
	global_store_b128 v[174:175], v[56:59], off
	global_store_b128 v[172:173], v[52:55], off
	global_store_b128 v[170:171], v[48:51], off
	global_store_b128 v[168:169], v[44:47], off
	global_store_b128 v[166:167], v[40:43], off
	global_store_b128 v[164:165], v[36:39], off
	global_store_b128 v[162:163], v[32:35], off
	global_store_b128 v[160:161], v[28:31], off
	global_store_b128 v[158:159], v[24:27], off
	global_store_b128 v[156:157], v[20:23], off
	global_store_b128 v[154:155], v[16:19], off
	global_store_b128 v[152:153], v[12:15], off
	global_store_b128 v[150:151], v[8:11], off
	global_store_b128 v[148:149], v[4:7], off
	global_store_b128 v[146:147], v[0:3], off
.LBB35_167:
	s_nop 0
	s_sendmsg sendmsg(MSG_DEALLOC_VGPRS)
	s_endpgm
	.section	.rodata,"a",@progbits
	.p2align	6, 0x0
	.amdhsa_kernel _ZN9rocsolver6v33100L23getf2_npvt_small_kernelILi18E19rocblas_complex_numIdEiiPKPS3_EEvT1_T3_lS7_lPT2_S7_S7_
		.amdhsa_group_segment_fixed_size 0
		.amdhsa_private_segment_fixed_size 0
		.amdhsa_kernarg_size 312
		.amdhsa_user_sgpr_count 14
		.amdhsa_user_sgpr_dispatch_ptr 0
		.amdhsa_user_sgpr_queue_ptr 0
		.amdhsa_user_sgpr_kernarg_segment_ptr 1
		.amdhsa_user_sgpr_dispatch_id 0
		.amdhsa_user_sgpr_private_segment_size 0
		.amdhsa_wavefront_size32 1
		.amdhsa_uses_dynamic_stack 0
		.amdhsa_enable_private_segment 0
		.amdhsa_system_sgpr_workgroup_id_x 1
		.amdhsa_system_sgpr_workgroup_id_y 1
		.amdhsa_system_sgpr_workgroup_id_z 0
		.amdhsa_system_sgpr_workgroup_info 0
		.amdhsa_system_vgpr_workitem_id 1
		.amdhsa_next_free_vgpr 253
		.amdhsa_next_free_sgpr 16
		.amdhsa_reserve_vcc 1
		.amdhsa_float_round_mode_32 0
		.amdhsa_float_round_mode_16_64 0
		.amdhsa_float_denorm_mode_32 3
		.amdhsa_float_denorm_mode_16_64 3
		.amdhsa_dx10_clamp 1
		.amdhsa_ieee_mode 1
		.amdhsa_fp16_overflow 0
		.amdhsa_workgroup_processor_mode 1
		.amdhsa_memory_ordered 1
		.amdhsa_forward_progress 0
		.amdhsa_shared_vgpr_count 0
		.amdhsa_exception_fp_ieee_invalid_op 0
		.amdhsa_exception_fp_denorm_src 0
		.amdhsa_exception_fp_ieee_div_zero 0
		.amdhsa_exception_fp_ieee_overflow 0
		.amdhsa_exception_fp_ieee_underflow 0
		.amdhsa_exception_fp_ieee_inexact 0
		.amdhsa_exception_int_div_zero 0
	.end_amdhsa_kernel
	.section	.text._ZN9rocsolver6v33100L23getf2_npvt_small_kernelILi18E19rocblas_complex_numIdEiiPKPS3_EEvT1_T3_lS7_lPT2_S7_S7_,"axG",@progbits,_ZN9rocsolver6v33100L23getf2_npvt_small_kernelILi18E19rocblas_complex_numIdEiiPKPS3_EEvT1_T3_lS7_lPT2_S7_S7_,comdat
.Lfunc_end35:
	.size	_ZN9rocsolver6v33100L23getf2_npvt_small_kernelILi18E19rocblas_complex_numIdEiiPKPS3_EEvT1_T3_lS7_lPT2_S7_S7_, .Lfunc_end35-_ZN9rocsolver6v33100L23getf2_npvt_small_kernelILi18E19rocblas_complex_numIdEiiPKPS3_EEvT1_T3_lS7_lPT2_S7_S7_
                                        ; -- End function
	.section	.AMDGPU.csdata,"",@progbits
; Kernel info:
; codeLenInByte = 25656
; NumSgprs: 18
; NumVgprs: 253
; ScratchSize: 0
; MemoryBound: 1
; FloatMode: 240
; IeeeMode: 1
; LDSByteSize: 0 bytes/workgroup (compile time only)
; SGPRBlocks: 2
; VGPRBlocks: 31
; NumSGPRsForWavesPerEU: 18
; NumVGPRsForWavesPerEU: 253
; Occupancy: 5
; WaveLimiterHint : 1
; COMPUTE_PGM_RSRC2:SCRATCH_EN: 0
; COMPUTE_PGM_RSRC2:USER_SGPR: 14
; COMPUTE_PGM_RSRC2:TRAP_HANDLER: 0
; COMPUTE_PGM_RSRC2:TGID_X_EN: 1
; COMPUTE_PGM_RSRC2:TGID_Y_EN: 1
; COMPUTE_PGM_RSRC2:TGID_Z_EN: 0
; COMPUTE_PGM_RSRC2:TIDIG_COMP_CNT: 1
	.section	.text._ZN9rocsolver6v33100L18getf2_small_kernelILi19E19rocblas_complex_numIdEiiPKPS3_EEvT1_T3_lS7_lPS7_llPT2_S7_S7_S9_l,"axG",@progbits,_ZN9rocsolver6v33100L18getf2_small_kernelILi19E19rocblas_complex_numIdEiiPKPS3_EEvT1_T3_lS7_lPS7_llPT2_S7_S7_S9_l,comdat
	.globl	_ZN9rocsolver6v33100L18getf2_small_kernelILi19E19rocblas_complex_numIdEiiPKPS3_EEvT1_T3_lS7_lPS7_llPT2_S7_S7_S9_l ; -- Begin function _ZN9rocsolver6v33100L18getf2_small_kernelILi19E19rocblas_complex_numIdEiiPKPS3_EEvT1_T3_lS7_lPS7_llPT2_S7_S7_S9_l
	.p2align	8
	.type	_ZN9rocsolver6v33100L18getf2_small_kernelILi19E19rocblas_complex_numIdEiiPKPS3_EEvT1_T3_lS7_lPS7_llPT2_S7_S7_S9_l,@function
_ZN9rocsolver6v33100L18getf2_small_kernelILi19E19rocblas_complex_numIdEiiPKPS3_EEvT1_T3_lS7_lPS7_llPT2_S7_S7_S9_l: ; @_ZN9rocsolver6v33100L18getf2_small_kernelILi19E19rocblas_complex_numIdEiiPKPS3_EEvT1_T3_lS7_lPS7_llPT2_S7_S7_S9_l
; %bb.0:
	s_clause 0x1
	s_load_b32 s2, s[0:1], 0x6c
	s_load_b64 s[12:13], s[0:1], 0x48
	v_bfe_u32 v76, v0, 10, 10
	s_waitcnt lgkmcnt(0)
	s_lshr_b32 s2, s2, 16
	s_delay_alu instid0(VALU_DEP_1) | instid1(SALU_CYCLE_1)
	v_mad_u64_u32 v[80:81], null, s15, s2, v[76:77]
	s_mov_b32 s2, exec_lo
	s_delay_alu instid0(VALU_DEP_1)
	v_cmpx_gt_i32_e64 s12, v80
	s_cbranch_execz .LBB36_402
; %bb.1:
	s_clause 0x1
	s_load_b128 s[4:7], s[0:1], 0x8
	s_load_b128 s[8:11], s[0:1], 0x50
	v_ashrrev_i32_e32 v81, 31, v80
	v_mov_b32_e32 v82, 0
	v_mov_b32_e32 v83, 0
	s_delay_alu instid0(VALU_DEP_3) | instskip(SKIP_1) | instid1(VALU_DEP_1)
	v_lshlrev_b64 v[1:2], 3, v[80:81]
	s_waitcnt lgkmcnt(0)
	v_add_co_u32 v1, vcc_lo, s4, v1
	s_delay_alu instid0(VALU_DEP_2)
	v_add_co_ci_u32_e32 v2, vcc_lo, s5, v2, vcc_lo
	s_cmp_eq_u64 s[8:9], 0
	s_cselect_b32 s4, -1, 0
	global_load_b64 v[1:2], v[1:2], off
	s_and_b32 vcc_lo, exec_lo, s4
	s_cbranch_vccnz .LBB36_3
; %bb.2:
	v_mul_lo_u32 v5, v81, s10
	v_mul_lo_u32 v6, v80, s11
	v_mad_u64_u32 v[3:4], null, v80, s10, 0
	s_delay_alu instid0(VALU_DEP_1) | instskip(NEXT) | instid1(VALU_DEP_1)
	v_add3_u32 v4, v4, v6, v5
	v_lshlrev_b64 v[3:4], 2, v[3:4]
	s_delay_alu instid0(VALU_DEP_1) | instskip(NEXT) | instid1(VALU_DEP_2)
	v_add_co_u32 v82, vcc_lo, s8, v3
	v_add_co_ci_u32_e32 v83, vcc_lo, s9, v4, vcc_lo
.LBB36_3:
	s_clause 0x1
	s_load_b32 s8, s[0:1], 0x18
	s_load_b32 s5, s[0:1], 0x0
	v_dual_mov_b32 v84, 0 :: v_dual_and_b32 v89, 0x3ff, v0
	s_lshl_b64 s[2:3], s[6:7], 4
	s_waitcnt vmcnt(0)
	v_add_co_u32 v87, vcc_lo, v1, s2
	s_delay_alu instid0(VALU_DEP_2) | instskip(SKIP_1) | instid1(VALU_DEP_2)
	v_lshlrev_b32_e32 v79, 4, v89
	v_add_co_ci_u32_e32 v88, vcc_lo, s3, v2, vcc_lo
	v_add_co_u32 v2, vcc_lo, v87, v79
	s_delay_alu instid0(VALU_DEP_2)
	v_add_co_ci_u32_e32 v3, vcc_lo, 0, v88, vcc_lo
	s_waitcnt lgkmcnt(0)
	v_add3_u32 v0, s8, s8, v89
	s_ashr_i32 s9, s8, 31
	s_max_i32 s2, s5, 19
	s_lshl_b64 s[10:11], s[8:9], 4
	v_mul_lo_u32 v85, s2, v76
	v_add_nc_u32_e32 v4, s8, v0
	v_add_co_u32 v6, vcc_lo, v2, s10
	v_ashrrev_i32_e32 v1, 31, v0
	v_add_co_ci_u32_e32 v7, vcc_lo, s11, v3, vcc_lo
	s_delay_alu instid0(VALU_DEP_4)
	v_ashrrev_i32_e32 v5, 31, v4
	v_add_nc_u32_e32 v8, s8, v4
	s_clause 0x1
	global_load_b128 v[72:75], v[2:3], off
	global_load_b128 v[68:71], v[6:7], off
	v_lshlrev_b64 v[0:1], 4, v[0:1]
	v_lshl_add_u32 v86, v85, 4, 0
	v_lshlrev_b64 v[2:3], 4, v[4:5]
	v_add_nc_u32_e32 v4, s8, v8
	v_ashrrev_i32_e32 v9, 31, v8
	v_lshlrev_b32_e32 v91, 4, v85
	v_add_co_u32 v0, vcc_lo, v87, v0
	s_delay_alu instid0(VALU_DEP_4) | instskip(NEXT) | instid1(VALU_DEP_4)
	v_ashrrev_i32_e32 v5, 31, v4
	v_lshlrev_b64 v[6:7], 4, v[8:9]
	v_add_co_ci_u32_e32 v1, vcc_lo, v88, v1, vcc_lo
	v_add_nc_u32_e32 v8, s8, v4
	v_add_co_u32 v2, vcc_lo, v87, v2
	v_lshlrev_b64 v[4:5], 4, v[4:5]
	v_add_co_ci_u32_e32 v3, vcc_lo, v88, v3, vcc_lo
	v_add_co_u32 v6, vcc_lo, v87, v6
	v_add_nc_u32_e32 v10, s8, v8
	v_add_co_ci_u32_e32 v7, vcc_lo, v88, v7, vcc_lo
	v_add_co_u32 v4, vcc_lo, v87, v4
	v_ashrrev_i32_e32 v9, 31, v8
	v_add_co_ci_u32_e32 v5, vcc_lo, v88, v5, vcc_lo
	v_ashrrev_i32_e32 v11, 31, v10
	s_clause 0x1
	global_load_b128 v[64:67], v[0:1], off
	global_load_b128 v[60:63], v[2:3], off
	v_lshlrev_b64 v[0:1], 4, v[8:9]
	s_clause 0x1
	global_load_b128 v[48:51], v[6:7], off
	global_load_b128 v[44:47], v[4:5], off
	v_add_nc_u32_e32 v4, s8, v10
	v_lshlrev_b64 v[2:3], 4, v[10:11]
	v_add_nc_u32_e32 v76, v86, v79
	s_cmp_lt_i32 s5, 2
	v_add_co_u32 v0, vcc_lo, v87, v0
	v_add_nc_u32_e32 v6, s8, v4
	v_add_co_ci_u32_e32 v1, vcc_lo, v88, v1, vcc_lo
	v_add_co_u32 v2, vcc_lo, v87, v2
	s_delay_alu instid0(VALU_DEP_3)
	v_add_nc_u32_e32 v8, s8, v6
	v_add_co_ci_u32_e32 v3, vcc_lo, v88, v3, vcc_lo
	s_clause 0x1
	global_load_b128 v[56:59], v[0:1], off
	global_load_b128 v[40:43], v[2:3], off
	v_add_nc_u32_e32 v2, s8, v8
	v_ashrrev_i32_e32 v5, 31, v4
	v_ashrrev_i32_e32 v7, 31, v6
	;; [unrolled: 1-line block ×3, first 2 shown]
	s_delay_alu instid0(VALU_DEP_4) | instskip(NEXT) | instid1(VALU_DEP_4)
	v_ashrrev_i32_e32 v3, 31, v2
	v_lshlrev_b64 v[4:5], 4, v[4:5]
	s_delay_alu instid0(VALU_DEP_4) | instskip(NEXT) | instid1(VALU_DEP_4)
	v_lshlrev_b64 v[0:1], 4, v[6:7]
	v_lshlrev_b64 v[6:7], 4, v[8:9]
	s_delay_alu instid0(VALU_DEP_4) | instskip(SKIP_4) | instid1(VALU_DEP_4)
	v_lshlrev_b64 v[8:9], 4, v[2:3]
	v_add_nc_u32_e32 v2, s8, v2
	v_add_co_u32 v4, vcc_lo, v87, v4
	v_add_co_ci_u32_e32 v5, vcc_lo, v88, v5, vcc_lo
	v_add_co_u32 v0, vcc_lo, v87, v0
	v_add_nc_u32_e32 v10, s8, v2
	v_add_co_ci_u32_e32 v1, vcc_lo, v88, v1, vcc_lo
	v_ashrrev_i32_e32 v3, 31, v2
	v_add_co_u32 v6, vcc_lo, v87, v6
	v_add_co_ci_u32_e32 v7, vcc_lo, v88, v7, vcc_lo
	v_ashrrev_i32_e32 v11, 31, v10
	v_add_co_u32 v8, vcc_lo, v87, v8
	s_clause 0x1
	global_load_b128 v[52:55], v[4:5], off
	global_load_b128 v[36:39], v[0:1], off
	v_lshlrev_b64 v[0:1], 4, v[2:3]
	v_add_nc_u32_e32 v4, s8, v10
	v_add_co_ci_u32_e32 v9, vcc_lo, v88, v9, vcc_lo
	v_lshlrev_b64 v[2:3], 4, v[10:11]
	s_clause 0x1
	global_load_b128 v[32:35], v[6:7], off
	global_load_b128 v[28:31], v[8:9], off
	v_add_nc_u32_e32 v6, s8, v4
	v_add_co_u32 v0, vcc_lo, v87, v0
	v_add_co_ci_u32_e32 v1, vcc_lo, v88, v1, vcc_lo
	v_add_co_u32 v2, vcc_lo, v87, v2
	s_delay_alu instid0(VALU_DEP_4)
	v_add_nc_u32_e32 v8, s8, v6
	v_add_co_ci_u32_e32 v3, vcc_lo, v88, v3, vcc_lo
	v_ashrrev_i32_e32 v5, 31, v4
	v_ashrrev_i32_e32 v7, 31, v6
	s_clause 0x1
	global_load_b128 v[24:27], v[0:1], off
	global_load_b128 v[20:23], v[2:3], off
	v_ashrrev_i32_e32 v9, 31, v8
	v_add_nc_u32_e32 v2, s8, v8
	v_lshlrev_b64 v[4:5], 4, v[4:5]
	v_lshlrev_b64 v[0:1], 4, v[6:7]
	s_delay_alu instid0(VALU_DEP_4) | instskip(NEXT) | instid1(VALU_DEP_4)
	v_lshlrev_b64 v[6:7], 4, v[8:9]
	v_add_nc_u32_e32 v8, s8, v2
	v_ashrrev_i32_e32 v3, 31, v2
	v_add_co_u32 v4, vcc_lo, v87, v4
	v_add_co_ci_u32_e32 v5, vcc_lo, v88, v5, vcc_lo
	s_delay_alu instid0(VALU_DEP_4)
	v_ashrrev_i32_e32 v9, 31, v8
	v_add_co_u32 v0, vcc_lo, v87, v0
	v_lshlrev_b64 v[2:3], 4, v[2:3]
	v_add_co_ci_u32_e32 v1, vcc_lo, v88, v1, vcc_lo
	v_add_co_u32 v6, vcc_lo, v87, v6
	v_lshlrev_b64 v[8:9], 4, v[8:9]
	v_add_co_ci_u32_e32 v7, vcc_lo, v88, v7, vcc_lo
	v_add_co_u32 v2, vcc_lo, v87, v2
	v_add_co_ci_u32_e32 v3, vcc_lo, v88, v3, vcc_lo
	s_delay_alu instid0(VALU_DEP_4)
	v_add_co_u32 v77, vcc_lo, v87, v8
	v_add_co_ci_u32_e32 v78, vcc_lo, v88, v9, vcc_lo
	s_clause 0x4
	global_load_b128 v[16:19], v[4:5], off
	global_load_b128 v[12:15], v[0:1], off
	;; [unrolled: 1-line block ×5, first 2 shown]
	s_waitcnt vmcnt(18)
	ds_store_2addr_b64 v76, v[72:73], v[74:75] offset1:1
	s_waitcnt vmcnt(0) lgkmcnt(0)
	s_barrier
	buffer_gl0_inv
	ds_load_2addr_b64 v[76:79], v86 offset1:1
	s_cbranch_scc1 .LBB36_6
; %bb.4:
	v_add3_u32 v85, v91, 0, 16
	v_mov_b32_e32 v84, 0
	s_mov_b32 s6, 1
	s_set_inst_prefetch_distance 0x1
	.p2align	6
.LBB36_5:                               ; =>This Inner Loop Header: Depth=1
	ds_load_2addr_b64 v[92:95], v85 offset1:1
	s_waitcnt lgkmcnt(1)
	v_cmp_gt_f64_e32 vcc_lo, 0, v[76:77]
	v_xor_b32_e32 v90, 0x80000000, v77
	v_cmp_gt_f64_e64 s2, 0, v[78:79]
	v_xor_b32_e32 v96, 0x80000000, v79
	v_add_nc_u32_e32 v85, 16, v85
	s_waitcnt lgkmcnt(0)
	v_cmp_gt_f64_e64 s3, 0, v[92:93]
	v_mov_b32_e32 v100, v92
	v_dual_mov_b32 v102, v94 :: v_dual_cndmask_b32 v97, v77, v90
	v_xor_b32_e32 v90, 0x80000000, v93
	v_cndmask_b32_e64 v99, v79, v96, s2
	v_xor_b32_e32 v96, 0x80000000, v95
	v_cndmask_b32_e64 v98, v78, v78, s2
	s_delay_alu instid0(VALU_DEP_4) | instskip(SKIP_1) | instid1(VALU_DEP_1)
	v_cndmask_b32_e64 v101, v93, v90, s3
	v_cmp_gt_f64_e64 s3, 0, v[94:95]
	v_cndmask_b32_e64 v103, v95, v96, s3
	v_cndmask_b32_e32 v96, v76, v76, vcc_lo
	s_delay_alu instid0(VALU_DEP_2) | instskip(NEXT) | instid1(VALU_DEP_2)
	v_add_f64 v[100:101], v[100:101], v[102:103]
	v_add_f64 v[96:97], v[96:97], v[98:99]
	s_delay_alu instid0(VALU_DEP_1)
	v_cmp_lt_f64_e32 vcc_lo, v[96:97], v[100:101]
	v_cndmask_b32_e32 v79, v79, v95, vcc_lo
	v_dual_cndmask_b32 v77, v77, v93 :: v_dual_cndmask_b32 v76, v76, v92
	v_cndmask_b32_e32 v78, v78, v94, vcc_lo
	v_cndmask_b32_e64 v84, v84, s6, vcc_lo
	s_add_i32 s6, s6, 1
	s_delay_alu instid0(SALU_CYCLE_1)
	s_cmp_eq_u32 s5, s6
	s_cbranch_scc0 .LBB36_5
.LBB36_6:
	s_set_inst_prefetch_distance 0x2
	s_waitcnt lgkmcnt(0)
	v_cmp_neq_f64_e32 vcc_lo, 0, v[76:77]
	v_cmp_neq_f64_e64 s2, 0, v[78:79]
	v_dual_mov_b32 v90, 1 :: v_dual_mov_b32 v93, 1
	s_delay_alu instid0(VALU_DEP_2) | instskip(NEXT) | instid1(SALU_CYCLE_1)
	s_or_b32 s2, vcc_lo, s2
	s_and_saveexec_b32 s3, s2
	s_cbranch_execz .LBB36_12
; %bb.7:
	v_cmp_gt_f64_e32 vcc_lo, 0, v[76:77]
	v_cmp_gt_f64_e64 s2, 0, v[78:79]
	v_xor_b32_e32 v85, 0x80000000, v77
	v_xor_b32_e32 v90, 0x80000000, v79
                                        ; implicit-def: $sgpr6
                                        ; implicit-def: $sgpr7
	s_delay_alu instid0(VALU_DEP_2) | instskip(NEXT) | instid1(VALU_DEP_2)
	v_dual_cndmask_b32 v93, v77, v85 :: v_dual_cndmask_b32 v92, v76, v76
	v_cndmask_b32_e64 v95, v79, v90, s2
	v_cndmask_b32_e64 v94, v78, v78, s2
	s_mov_b32 s2, exec_lo
	s_delay_alu instid0(VALU_DEP_1)
	v_cmpx_ngt_f64_e32 v[92:93], v[94:95]
	s_xor_b32 s2, exec_lo, s2
	s_cbranch_execz .LBB36_9
; %bb.8:
	v_div_scale_f64 v[92:93], null, v[78:79], v[78:79], v[76:77]
	v_div_scale_f64 v[98:99], vcc_lo, v[76:77], v[78:79], v[76:77]
	s_mov_b32 s7, 2
	s_mov_b32 s6, 0
	s_delay_alu instid0(VALU_DEP_2) | instskip(SKIP_2) | instid1(VALU_DEP_1)
	v_rcp_f64_e32 v[94:95], v[92:93]
	s_waitcnt_depctr 0xfff
	v_fma_f64 v[96:97], -v[92:93], v[94:95], 1.0
	v_fma_f64 v[94:95], v[94:95], v[96:97], v[94:95]
	s_delay_alu instid0(VALU_DEP_1) | instskip(NEXT) | instid1(VALU_DEP_1)
	v_fma_f64 v[96:97], -v[92:93], v[94:95], 1.0
	v_fma_f64 v[94:95], v[94:95], v[96:97], v[94:95]
	s_delay_alu instid0(VALU_DEP_1) | instskip(NEXT) | instid1(VALU_DEP_1)
	v_mul_f64 v[96:97], v[98:99], v[94:95]
	v_fma_f64 v[92:93], -v[92:93], v[96:97], v[98:99]
	s_delay_alu instid0(VALU_DEP_1) | instskip(NEXT) | instid1(VALU_DEP_1)
	v_div_fmas_f64 v[92:93], v[92:93], v[94:95], v[96:97]
	v_div_fixup_f64 v[92:93], v[92:93], v[78:79], v[76:77]
	s_delay_alu instid0(VALU_DEP_1) | instskip(NEXT) | instid1(VALU_DEP_1)
	v_fma_f64 v[76:77], v[76:77], v[92:93], v[78:79]
	v_div_scale_f64 v[78:79], null, v[76:77], v[76:77], 1.0
	s_delay_alu instid0(VALU_DEP_1) | instskip(SKIP_2) | instid1(VALU_DEP_1)
	v_rcp_f64_e32 v[94:95], v[78:79]
	s_waitcnt_depctr 0xfff
	v_fma_f64 v[96:97], -v[78:79], v[94:95], 1.0
	v_fma_f64 v[94:95], v[94:95], v[96:97], v[94:95]
	s_delay_alu instid0(VALU_DEP_1) | instskip(NEXT) | instid1(VALU_DEP_1)
	v_fma_f64 v[96:97], -v[78:79], v[94:95], 1.0
	v_fma_f64 v[94:95], v[94:95], v[96:97], v[94:95]
	v_div_scale_f64 v[96:97], vcc_lo, 1.0, v[76:77], 1.0
	s_delay_alu instid0(VALU_DEP_1) | instskip(NEXT) | instid1(VALU_DEP_1)
	v_mul_f64 v[98:99], v[96:97], v[94:95]
	v_fma_f64 v[78:79], -v[78:79], v[98:99], v[96:97]
	s_delay_alu instid0(VALU_DEP_1) | instskip(NEXT) | instid1(VALU_DEP_1)
	v_div_fmas_f64 v[78:79], v[78:79], v[94:95], v[98:99]
	v_div_fixup_f64 v[78:79], v[78:79], v[76:77], 1.0
	s_delay_alu instid0(VALU_DEP_1)
	v_mul_f64 v[76:77], v[92:93], v[78:79]
	v_xor_b32_e32 v79, 0x80000000, v79
.LBB36_9:
	s_or_saveexec_b32 s2, s2
	v_dual_mov_b32 v93, s6 :: v_dual_mov_b32 v90, s7
	s_xor_b32 exec_lo, exec_lo, s2
	s_cbranch_execz .LBB36_11
; %bb.10:
	s_delay_alu instid0(VALU_DEP_3) | instskip(SKIP_2) | instid1(VALU_DEP_3)
	v_div_scale_f64 v[92:93], null, v[76:77], v[76:77], v[78:79]
	v_div_scale_f64 v[98:99], vcc_lo, v[78:79], v[76:77], v[78:79]
	v_mov_b32_e32 v90, 2
	v_rcp_f64_e32 v[94:95], v[92:93]
	s_waitcnt_depctr 0xfff
	v_fma_f64 v[96:97], -v[92:93], v[94:95], 1.0
	s_delay_alu instid0(VALU_DEP_1) | instskip(NEXT) | instid1(VALU_DEP_1)
	v_fma_f64 v[94:95], v[94:95], v[96:97], v[94:95]
	v_fma_f64 v[96:97], -v[92:93], v[94:95], 1.0
	s_delay_alu instid0(VALU_DEP_1) | instskip(NEXT) | instid1(VALU_DEP_1)
	v_fma_f64 v[94:95], v[94:95], v[96:97], v[94:95]
	v_mul_f64 v[96:97], v[98:99], v[94:95]
	s_delay_alu instid0(VALU_DEP_1) | instskip(NEXT) | instid1(VALU_DEP_1)
	v_fma_f64 v[92:93], -v[92:93], v[96:97], v[98:99]
	v_div_fmas_f64 v[92:93], v[92:93], v[94:95], v[96:97]
	s_delay_alu instid0(VALU_DEP_1) | instskip(NEXT) | instid1(VALU_DEP_1)
	v_div_fixup_f64 v[92:93], v[92:93], v[76:77], v[78:79]
	v_fma_f64 v[76:77], v[78:79], v[92:93], v[76:77]
	s_delay_alu instid0(VALU_DEP_1) | instskip(NEXT) | instid1(VALU_DEP_1)
	v_div_scale_f64 v[78:79], null, v[76:77], v[76:77], 1.0
	v_rcp_f64_e32 v[94:95], v[78:79]
	s_waitcnt_depctr 0xfff
	v_fma_f64 v[96:97], -v[78:79], v[94:95], 1.0
	s_delay_alu instid0(VALU_DEP_1) | instskip(NEXT) | instid1(VALU_DEP_1)
	v_fma_f64 v[94:95], v[94:95], v[96:97], v[94:95]
	v_fma_f64 v[96:97], -v[78:79], v[94:95], 1.0
	s_delay_alu instid0(VALU_DEP_1) | instskip(SKIP_1) | instid1(VALU_DEP_1)
	v_fma_f64 v[94:95], v[94:95], v[96:97], v[94:95]
	v_div_scale_f64 v[96:97], vcc_lo, 1.0, v[76:77], 1.0
	v_mul_f64 v[98:99], v[96:97], v[94:95]
	s_delay_alu instid0(VALU_DEP_1) | instskip(NEXT) | instid1(VALU_DEP_1)
	v_fma_f64 v[78:79], -v[78:79], v[98:99], v[96:97]
	v_div_fmas_f64 v[78:79], v[78:79], v[94:95], v[98:99]
	s_delay_alu instid0(VALU_DEP_1) | instskip(NEXT) | instid1(VALU_DEP_1)
	v_div_fixup_f64 v[76:77], v[78:79], v[76:77], 1.0
	v_mul_f64 v[78:79], v[92:93], -v[76:77]
	v_mov_b32_e32 v93, 0
.LBB36_11:
	s_or_b32 exec_lo, exec_lo, s2
.LBB36_12:
	s_delay_alu instid0(SALU_CYCLE_1) | instskip(NEXT) | instid1(SALU_CYCLE_1)
	s_or_b32 exec_lo, exec_lo, s3
	s_mov_b32 s2, exec_lo
	v_cmpx_ne_u32_e64 v89, v84
	s_xor_b32 s2, exec_lo, s2
	s_cbranch_execz .LBB36_18
; %bb.13:
	s_mov_b32 s3, exec_lo
	v_cmpx_eq_u32_e32 0, v89
	s_cbranch_execz .LBB36_17
; %bb.14:
	v_cmp_ne_u32_e32 vcc_lo, 0, v84
	s_xor_b32 s6, s4, -1
	s_delay_alu instid0(SALU_CYCLE_1) | instskip(NEXT) | instid1(SALU_CYCLE_1)
	s_and_b32 s7, s6, vcc_lo
	s_and_saveexec_b32 s6, s7
	s_cbranch_execz .LBB36_16
; %bb.15:
	v_ashrrev_i32_e32 v85, 31, v84
	s_delay_alu instid0(VALU_DEP_1) | instskip(NEXT) | instid1(VALU_DEP_1)
	v_lshlrev_b64 v[94:95], 2, v[84:85]
	v_add_co_u32 v94, vcc_lo, v82, v94
	s_delay_alu instid0(VALU_DEP_2)
	v_add_co_ci_u32_e32 v95, vcc_lo, v83, v95, vcc_lo
	s_clause 0x1
	flat_load_b32 v85, v[94:95]
	flat_load_b32 v89, v[82:83]
	s_waitcnt vmcnt(1) lgkmcnt(1)
	flat_store_b32 v[82:83], v85
	s_waitcnt vmcnt(0) lgkmcnt(1)
	flat_store_b32 v[94:95], v89
.LBB36_16:
	s_or_b32 exec_lo, exec_lo, s6
	v_mov_b32_e32 v89, v84
.LBB36_17:
	s_or_b32 exec_lo, exec_lo, s3
.LBB36_18:
	s_or_saveexec_b32 s2, s2
	s_delay_alu instid0(VALU_DEP_1)
	v_mov_b32_e32 v92, v89
	s_xor_b32 exec_lo, exec_lo, s2
	s_cbranch_execz .LBB36_20
; %bb.19:
	v_mov_b32_e32 v92, 0
	ds_store_2addr_b64 v86, v[68:69], v[70:71] offset0:2 offset1:3
	ds_store_2addr_b64 v86, v[64:65], v[66:67] offset0:4 offset1:5
	;; [unrolled: 1-line block ×18, first 2 shown]
.LBB36_20:
	s_or_b32 exec_lo, exec_lo, s2
	s_delay_alu instid0(SALU_CYCLE_1)
	s_mov_b32 s2, exec_lo
	s_waitcnt lgkmcnt(0)
	s_waitcnt_vscnt null, 0x0
	s_barrier
	buffer_gl0_inv
	v_cmpx_lt_i32_e32 0, v92
	s_cbranch_execz .LBB36_22
; %bb.21:
	v_mul_f64 v[84:85], v[76:77], v[74:75]
	v_mul_f64 v[134:135], v[78:79], v[74:75]
	ds_load_2addr_b64 v[94:97], v86 offset0:2 offset1:3
	ds_load_2addr_b64 v[98:101], v86 offset0:4 offset1:5
	ds_load_2addr_b64 v[102:105], v86 offset0:6 offset1:7
	ds_load_2addr_b64 v[106:109], v86 offset0:8 offset1:9
	ds_load_2addr_b64 v[110:113], v86 offset0:10 offset1:11
	ds_load_2addr_b64 v[114:117], v86 offset0:12 offset1:13
	ds_load_2addr_b64 v[118:121], v86 offset0:14 offset1:15
	ds_load_2addr_b64 v[122:125], v86 offset0:16 offset1:17
	ds_load_2addr_b64 v[126:129], v86 offset0:18 offset1:19
	ds_load_2addr_b64 v[130:133], v86 offset0:20 offset1:21
	v_fma_f64 v[74:75], v[78:79], v[72:73], v[84:85]
	v_fma_f64 v[72:73], v[76:77], v[72:73], -v[134:135]
	ds_load_2addr_b64 v[76:79], v86 offset0:22 offset1:23
	ds_load_2addr_b64 v[134:137], v86 offset0:24 offset1:25
	;; [unrolled: 1-line block ×8, first 2 shown]
	s_waitcnt lgkmcnt(17)
	v_mul_f64 v[84:85], v[96:97], v[74:75]
	v_mul_f64 v[162:163], v[94:95], v[74:75]
	s_waitcnt lgkmcnt(16)
	v_mul_f64 v[164:165], v[100:101], v[74:75]
	v_mul_f64 v[166:167], v[98:99], v[74:75]
	;; [unrolled: 3-line block ×15, first 2 shown]
	v_fma_f64 v[84:85], v[94:95], v[72:73], -v[84:85]
	v_fma_f64 v[94:95], v[96:97], v[72:73], v[162:163]
	s_waitcnt lgkmcnt(2)
	v_mul_f64 v[96:97], v[152:153], v[74:75]
	v_mul_f64 v[162:163], v[150:151], v[74:75]
	v_fma_f64 v[98:99], v[98:99], v[72:73], -v[164:165]
	v_fma_f64 v[100:101], v[100:101], v[72:73], v[166:167]
	s_waitcnt lgkmcnt(1)
	v_mul_f64 v[164:165], v[156:157], v[74:75]
	v_mul_f64 v[166:167], v[154:155], v[74:75]
	;; [unrolled: 5-line block ×3, first 2 shown]
	v_fma_f64 v[106:107], v[106:107], v[72:73], -v[172:173]
	v_fma_f64 v[108:109], v[108:109], v[72:73], v[174:175]
	v_fma_f64 v[110:111], v[110:111], v[72:73], -v[176:177]
	v_fma_f64 v[112:113], v[112:113], v[72:73], v[178:179]
	v_fma_f64 v[114:115], v[114:115], v[72:73], -v[180:181]
	v_fma_f64 v[116:117], v[116:117], v[72:73], v[182:183]
	v_fma_f64 v[118:119], v[118:119], v[72:73], -v[184:185]
	v_fma_f64 v[120:121], v[120:121], v[72:73], v[186:187]
	v_fma_f64 v[122:123], v[122:123], v[72:73], -v[188:189]
	v_fma_f64 v[124:125], v[124:125], v[72:73], v[190:191]
	v_fma_f64 v[126:127], v[126:127], v[72:73], -v[192:193]
	v_fma_f64 v[128:129], v[128:129], v[72:73], v[194:195]
	v_fma_f64 v[130:131], v[130:131], v[72:73], -v[196:197]
	v_fma_f64 v[132:133], v[132:133], v[72:73], v[198:199]
	v_fma_f64 v[76:77], v[76:77], v[72:73], -v[200:201]
	v_fma_f64 v[78:79], v[78:79], v[72:73], v[202:203]
	v_fma_f64 v[134:135], v[134:135], v[72:73], -v[204:205]
	v_fma_f64 v[136:137], v[136:137], v[72:73], v[206:207]
	v_fma_f64 v[138:139], v[138:139], v[72:73], -v[208:209]
	v_fma_f64 v[140:141], v[140:141], v[72:73], v[210:211]
	v_fma_f64 v[142:143], v[142:143], v[72:73], -v[212:213]
	v_fma_f64 v[144:145], v[144:145], v[72:73], v[214:215]
	v_fma_f64 v[146:147], v[146:147], v[72:73], -v[216:217]
	v_fma_f64 v[148:149], v[148:149], v[72:73], v[218:219]
	v_add_f64 v[68:69], v[68:69], -v[84:85]
	v_add_f64 v[70:71], v[70:71], -v[94:95]
	v_fma_f64 v[96:97], v[150:151], v[72:73], -v[96:97]
	v_fma_f64 v[150:151], v[152:153], v[72:73], v[162:163]
	v_add_f64 v[64:65], v[64:65], -v[98:99]
	v_add_f64 v[66:67], v[66:67], -v[100:101]
	v_fma_f64 v[152:153], v[154:155], v[72:73], -v[164:165]
	v_fma_f64 v[154:155], v[156:157], v[72:73], v[166:167]
	;; [unrolled: 4-line block ×3, first 2 shown]
	v_add_f64 v[48:49], v[48:49], -v[106:107]
	v_add_f64 v[50:51], v[50:51], -v[108:109]
	;; [unrolled: 1-line block ×30, first 2 shown]
.LBB36_22:
	s_or_b32 exec_lo, exec_lo, s2
	v_lshl_add_u32 v76, v92, 4, v86
	s_barrier
	buffer_gl0_inv
	v_mov_b32_e32 v84, 1
	ds_store_2addr_b64 v76, v[68:69], v[70:71] offset1:1
	s_waitcnt lgkmcnt(0)
	s_barrier
	buffer_gl0_inv
	ds_load_2addr_b64 v[76:79], v86 offset0:2 offset1:3
	s_cmp_lt_i32 s5, 3
	s_cbranch_scc1 .LBB36_25
; %bb.23:
	v_add3_u32 v85, v91, 0, 32
	v_mov_b32_e32 v84, 1
	s_mov_b32 s6, 2
	s_set_inst_prefetch_distance 0x1
	.p2align	6
.LBB36_24:                              ; =>This Inner Loop Header: Depth=1
	ds_load_2addr_b64 v[94:97], v85 offset1:1
	s_waitcnt lgkmcnt(1)
	v_cmp_gt_f64_e32 vcc_lo, 0, v[76:77]
	v_xor_b32_e32 v98, 0x80000000, v77
	v_cmp_gt_f64_e64 s2, 0, v[78:79]
	v_xor_b32_e32 v100, 0x80000000, v79
	v_add_nc_u32_e32 v85, 16, v85
	s_waitcnt lgkmcnt(0)
	v_cmp_gt_f64_e64 s3, 0, v[94:95]
	v_mov_b32_e32 v102, v94
	v_dual_mov_b32 v104, v96 :: v_dual_cndmask_b32 v99, v77, v98
	v_xor_b32_e32 v98, 0x80000000, v95
	v_cndmask_b32_e64 v101, v79, v100, s2
	v_xor_b32_e32 v100, 0x80000000, v97
	s_delay_alu instid0(VALU_DEP_3) | instskip(SKIP_2) | instid1(VALU_DEP_2)
	v_cndmask_b32_e64 v103, v95, v98, s3
	v_cmp_gt_f64_e64 s3, 0, v[96:97]
	v_cndmask_b32_e32 v98, v76, v76, vcc_lo
	v_cndmask_b32_e64 v105, v97, v100, s3
	v_cndmask_b32_e64 v100, v78, v78, s2
	s_delay_alu instid0(VALU_DEP_2) | instskip(NEXT) | instid1(VALU_DEP_2)
	v_add_f64 v[102:103], v[102:103], v[104:105]
	v_add_f64 v[98:99], v[98:99], v[100:101]
	s_delay_alu instid0(VALU_DEP_1)
	v_cmp_lt_f64_e32 vcc_lo, v[98:99], v[102:103]
	v_cndmask_b32_e32 v79, v79, v97, vcc_lo
	v_dual_cndmask_b32 v77, v77, v95 :: v_dual_cndmask_b32 v76, v76, v94
	v_cndmask_b32_e32 v78, v78, v96, vcc_lo
	v_cndmask_b32_e64 v84, v84, s6, vcc_lo
	s_add_i32 s6, s6, 1
	s_delay_alu instid0(SALU_CYCLE_1)
	s_cmp_lg_u32 s5, s6
	s_cbranch_scc1 .LBB36_24
.LBB36_25:
	s_set_inst_prefetch_distance 0x2
	s_waitcnt lgkmcnt(0)
	v_cmp_neq_f64_e32 vcc_lo, 0, v[76:77]
	v_cmp_neq_f64_e64 s2, 0, v[78:79]
	s_delay_alu instid0(VALU_DEP_1) | instskip(NEXT) | instid1(SALU_CYCLE_1)
	s_or_b32 s2, vcc_lo, s2
	s_and_saveexec_b32 s3, s2
	s_cbranch_execz .LBB36_31
; %bb.26:
	v_cmp_gt_f64_e32 vcc_lo, 0, v[76:77]
	v_cmp_gt_f64_e64 s2, 0, v[78:79]
	v_xor_b32_e32 v85, 0x80000000, v77
	v_xor_b32_e32 v90, 0x80000000, v79
	s_delay_alu instid0(VALU_DEP_2) | instskip(NEXT) | instid1(VALU_DEP_2)
	v_dual_cndmask_b32 v95, v77, v85 :: v_dual_cndmask_b32 v94, v76, v76
	v_cndmask_b32_e64 v97, v79, v90, s2
	v_cndmask_b32_e64 v96, v78, v78, s2
	s_mov_b32 s2, exec_lo
	s_delay_alu instid0(VALU_DEP_1)
	v_cmpx_ngt_f64_e32 v[94:95], v[96:97]
	s_xor_b32 s2, exec_lo, s2
	s_cbranch_execz .LBB36_28
; %bb.27:
	v_div_scale_f64 v[94:95], null, v[78:79], v[78:79], v[76:77]
	v_div_scale_f64 v[100:101], vcc_lo, v[76:77], v[78:79], v[76:77]
	s_delay_alu instid0(VALU_DEP_2) | instskip(SKIP_2) | instid1(VALU_DEP_1)
	v_rcp_f64_e32 v[96:97], v[94:95]
	s_waitcnt_depctr 0xfff
	v_fma_f64 v[98:99], -v[94:95], v[96:97], 1.0
	v_fma_f64 v[96:97], v[96:97], v[98:99], v[96:97]
	s_delay_alu instid0(VALU_DEP_1) | instskip(NEXT) | instid1(VALU_DEP_1)
	v_fma_f64 v[98:99], -v[94:95], v[96:97], 1.0
	v_fma_f64 v[96:97], v[96:97], v[98:99], v[96:97]
	s_delay_alu instid0(VALU_DEP_1) | instskip(NEXT) | instid1(VALU_DEP_1)
	v_mul_f64 v[98:99], v[100:101], v[96:97]
	v_fma_f64 v[94:95], -v[94:95], v[98:99], v[100:101]
	s_delay_alu instid0(VALU_DEP_1) | instskip(NEXT) | instid1(VALU_DEP_1)
	v_div_fmas_f64 v[94:95], v[94:95], v[96:97], v[98:99]
	v_div_fixup_f64 v[94:95], v[94:95], v[78:79], v[76:77]
	s_delay_alu instid0(VALU_DEP_1) | instskip(NEXT) | instid1(VALU_DEP_1)
	v_fma_f64 v[76:77], v[76:77], v[94:95], v[78:79]
	v_div_scale_f64 v[78:79], null, v[76:77], v[76:77], 1.0
	s_delay_alu instid0(VALU_DEP_1) | instskip(SKIP_2) | instid1(VALU_DEP_1)
	v_rcp_f64_e32 v[96:97], v[78:79]
	s_waitcnt_depctr 0xfff
	v_fma_f64 v[98:99], -v[78:79], v[96:97], 1.0
	v_fma_f64 v[96:97], v[96:97], v[98:99], v[96:97]
	s_delay_alu instid0(VALU_DEP_1) | instskip(NEXT) | instid1(VALU_DEP_1)
	v_fma_f64 v[98:99], -v[78:79], v[96:97], 1.0
	v_fma_f64 v[96:97], v[96:97], v[98:99], v[96:97]
	v_div_scale_f64 v[98:99], vcc_lo, 1.0, v[76:77], 1.0
	s_delay_alu instid0(VALU_DEP_1) | instskip(NEXT) | instid1(VALU_DEP_1)
	v_mul_f64 v[100:101], v[98:99], v[96:97]
	v_fma_f64 v[78:79], -v[78:79], v[100:101], v[98:99]
	s_delay_alu instid0(VALU_DEP_1) | instskip(NEXT) | instid1(VALU_DEP_1)
	v_div_fmas_f64 v[78:79], v[78:79], v[96:97], v[100:101]
	v_div_fixup_f64 v[78:79], v[78:79], v[76:77], 1.0
	s_delay_alu instid0(VALU_DEP_1)
	v_mul_f64 v[76:77], v[94:95], v[78:79]
	v_xor_b32_e32 v79, 0x80000000, v79
.LBB36_28:
	s_and_not1_saveexec_b32 s2, s2
	s_cbranch_execz .LBB36_30
; %bb.29:
	s_delay_alu instid0(VALU_DEP_1) | instskip(SKIP_1) | instid1(VALU_DEP_2)
	v_div_scale_f64 v[94:95], null, v[76:77], v[76:77], v[78:79]
	v_div_scale_f64 v[100:101], vcc_lo, v[78:79], v[76:77], v[78:79]
	v_rcp_f64_e32 v[96:97], v[94:95]
	s_waitcnt_depctr 0xfff
	v_fma_f64 v[98:99], -v[94:95], v[96:97], 1.0
	s_delay_alu instid0(VALU_DEP_1) | instskip(NEXT) | instid1(VALU_DEP_1)
	v_fma_f64 v[96:97], v[96:97], v[98:99], v[96:97]
	v_fma_f64 v[98:99], -v[94:95], v[96:97], 1.0
	s_delay_alu instid0(VALU_DEP_1) | instskip(NEXT) | instid1(VALU_DEP_1)
	v_fma_f64 v[96:97], v[96:97], v[98:99], v[96:97]
	v_mul_f64 v[98:99], v[100:101], v[96:97]
	s_delay_alu instid0(VALU_DEP_1) | instskip(NEXT) | instid1(VALU_DEP_1)
	v_fma_f64 v[94:95], -v[94:95], v[98:99], v[100:101]
	v_div_fmas_f64 v[94:95], v[94:95], v[96:97], v[98:99]
	s_delay_alu instid0(VALU_DEP_1) | instskip(NEXT) | instid1(VALU_DEP_1)
	v_div_fixup_f64 v[94:95], v[94:95], v[76:77], v[78:79]
	v_fma_f64 v[76:77], v[78:79], v[94:95], v[76:77]
	s_delay_alu instid0(VALU_DEP_1) | instskip(NEXT) | instid1(VALU_DEP_1)
	v_div_scale_f64 v[78:79], null, v[76:77], v[76:77], 1.0
	v_rcp_f64_e32 v[96:97], v[78:79]
	s_waitcnt_depctr 0xfff
	v_fma_f64 v[98:99], -v[78:79], v[96:97], 1.0
	s_delay_alu instid0(VALU_DEP_1) | instskip(NEXT) | instid1(VALU_DEP_1)
	v_fma_f64 v[96:97], v[96:97], v[98:99], v[96:97]
	v_fma_f64 v[98:99], -v[78:79], v[96:97], 1.0
	s_delay_alu instid0(VALU_DEP_1) | instskip(SKIP_1) | instid1(VALU_DEP_1)
	v_fma_f64 v[96:97], v[96:97], v[98:99], v[96:97]
	v_div_scale_f64 v[98:99], vcc_lo, 1.0, v[76:77], 1.0
	v_mul_f64 v[100:101], v[98:99], v[96:97]
	s_delay_alu instid0(VALU_DEP_1) | instskip(NEXT) | instid1(VALU_DEP_1)
	v_fma_f64 v[78:79], -v[78:79], v[100:101], v[98:99]
	v_div_fmas_f64 v[78:79], v[78:79], v[96:97], v[100:101]
	s_delay_alu instid0(VALU_DEP_1) | instskip(NEXT) | instid1(VALU_DEP_1)
	v_div_fixup_f64 v[76:77], v[78:79], v[76:77], 1.0
	v_mul_f64 v[78:79], v[94:95], -v[76:77]
.LBB36_30:
	s_or_b32 exec_lo, exec_lo, s2
	v_mov_b32_e32 v90, v93
.LBB36_31:
	s_or_b32 exec_lo, exec_lo, s3
	s_delay_alu instid0(SALU_CYCLE_1)
	s_mov_b32 s2, exec_lo
	v_cmpx_ne_u32_e64 v92, v84
	s_xor_b32 s2, exec_lo, s2
	s_cbranch_execz .LBB36_37
; %bb.32:
	s_mov_b32 s3, exec_lo
	v_cmpx_eq_u32_e32 1, v92
	s_cbranch_execz .LBB36_36
; %bb.33:
	v_cmp_ne_u32_e32 vcc_lo, 1, v84
	s_xor_b32 s6, s4, -1
	s_delay_alu instid0(SALU_CYCLE_1) | instskip(NEXT) | instid1(SALU_CYCLE_1)
	s_and_b32 s7, s6, vcc_lo
	s_and_saveexec_b32 s6, s7
	s_cbranch_execz .LBB36_35
; %bb.34:
	v_ashrrev_i32_e32 v85, 31, v84
	s_delay_alu instid0(VALU_DEP_1) | instskip(NEXT) | instid1(VALU_DEP_1)
	v_lshlrev_b64 v[92:93], 2, v[84:85]
	v_add_co_u32 v92, vcc_lo, v82, v92
	s_delay_alu instid0(VALU_DEP_2)
	v_add_co_ci_u32_e32 v93, vcc_lo, v83, v93, vcc_lo
	s_clause 0x1
	flat_load_b32 v85, v[92:93]
	flat_load_b32 v89, v[82:83] offset:4
	s_waitcnt vmcnt(1) lgkmcnt(1)
	flat_store_b32 v[82:83], v85 offset:4
	s_waitcnt vmcnt(0) lgkmcnt(1)
	flat_store_b32 v[92:93], v89
.LBB36_35:
	s_or_b32 exec_lo, exec_lo, s6
	v_mov_b32_e32 v92, v84
	v_mov_b32_e32 v89, v84
.LBB36_36:
	s_or_b32 exec_lo, exec_lo, s3
.LBB36_37:
	s_and_not1_saveexec_b32 s2, s2
	s_cbranch_execz .LBB36_39
; %bb.38:
	v_mov_b32_e32 v92, 1
	ds_store_2addr_b64 v86, v[64:65], v[66:67] offset0:4 offset1:5
	ds_store_2addr_b64 v86, v[60:61], v[62:63] offset0:6 offset1:7
	;; [unrolled: 1-line block ×17, first 2 shown]
.LBB36_39:
	s_or_b32 exec_lo, exec_lo, s2
	s_delay_alu instid0(SALU_CYCLE_1)
	s_mov_b32 s2, exec_lo
	s_waitcnt lgkmcnt(0)
	s_waitcnt_vscnt null, 0x0
	s_barrier
	buffer_gl0_inv
	v_cmpx_lt_i32_e32 1, v92
	s_cbranch_execz .LBB36_41
; %bb.40:
	v_mul_f64 v[84:85], v[76:77], v[70:71]
	v_mul_f64 v[161:162], v[78:79], v[70:71]
	ds_load_2addr_b64 v[93:96], v86 offset0:4 offset1:5
	ds_load_2addr_b64 v[97:100], v86 offset0:6 offset1:7
	;; [unrolled: 1-line block ×17, first 2 shown]
	v_fma_f64 v[70:71], v[78:79], v[68:69], v[84:85]
	v_fma_f64 v[68:69], v[76:77], v[68:69], -v[161:162]
	s_waitcnt lgkmcnt(16)
	s_delay_alu instid0(VALU_DEP_2)
	v_mul_f64 v[76:77], v[95:96], v[70:71]
	v_mul_f64 v[78:79], v[93:94], v[70:71]
	s_waitcnt lgkmcnt(15)
	v_mul_f64 v[84:85], v[99:100], v[70:71]
	v_mul_f64 v[161:162], v[97:98], v[70:71]
	s_waitcnt lgkmcnt(14)
	;; [unrolled: 3-line block ×16, first 2 shown]
	v_mul_f64 v[219:220], v[159:160], v[70:71]
	v_mul_f64 v[221:222], v[157:158], v[70:71]
	v_fma_f64 v[76:77], v[93:94], v[68:69], -v[76:77]
	v_fma_f64 v[78:79], v[95:96], v[68:69], v[78:79]
	v_fma_f64 v[84:85], v[97:98], v[68:69], -v[84:85]
	v_fma_f64 v[93:94], v[99:100], v[68:69], v[161:162]
	;; [unrolled: 2-line block ×17, first 2 shown]
	v_add_f64 v[64:65], v[64:65], -v[76:77]
	v_add_f64 v[66:67], v[66:67], -v[78:79]
	;; [unrolled: 1-line block ×34, first 2 shown]
.LBB36_41:
	s_or_b32 exec_lo, exec_lo, s2
	v_lshl_add_u32 v76, v92, 4, v86
	s_barrier
	buffer_gl0_inv
	v_mov_b32_e32 v84, 2
	ds_store_2addr_b64 v76, v[64:65], v[66:67] offset1:1
	s_waitcnt lgkmcnt(0)
	s_barrier
	buffer_gl0_inv
	ds_load_2addr_b64 v[76:79], v86 offset0:4 offset1:5
	s_cmp_lt_i32 s5, 4
	s_cbranch_scc1 .LBB36_44
; %bb.42:
	v_add3_u32 v85, v91, 0, 48
	v_mov_b32_e32 v84, 2
	s_mov_b32 s6, 3
	s_set_inst_prefetch_distance 0x1
	.p2align	6
.LBB36_43:                              ; =>This Inner Loop Header: Depth=1
	ds_load_2addr_b64 v[93:96], v85 offset1:1
	s_waitcnt lgkmcnt(1)
	v_cmp_gt_f64_e32 vcc_lo, 0, v[76:77]
	v_xor_b32_e32 v97, 0x80000000, v77
	v_cmp_gt_f64_e64 s2, 0, v[78:79]
	v_xor_b32_e32 v99, 0x80000000, v79
	v_add_nc_u32_e32 v85, 16, v85
	s_waitcnt lgkmcnt(0)
	v_cmp_gt_f64_e64 s3, 0, v[93:94]
	v_mov_b32_e32 v101, v93
	v_dual_mov_b32 v103, v95 :: v_dual_cndmask_b32 v98, v77, v97
	v_xor_b32_e32 v97, 0x80000000, v94
	v_cndmask_b32_e64 v100, v79, v99, s2
	v_xor_b32_e32 v99, 0x80000000, v96
	s_delay_alu instid0(VALU_DEP_3) | instskip(SKIP_2) | instid1(VALU_DEP_2)
	v_cndmask_b32_e64 v102, v94, v97, s3
	v_cmp_gt_f64_e64 s3, 0, v[95:96]
	v_cndmask_b32_e32 v97, v76, v76, vcc_lo
	v_cndmask_b32_e64 v104, v96, v99, s3
	v_cndmask_b32_e64 v99, v78, v78, s2
	s_delay_alu instid0(VALU_DEP_2) | instskip(NEXT) | instid1(VALU_DEP_2)
	v_add_f64 v[101:102], v[101:102], v[103:104]
	v_add_f64 v[97:98], v[97:98], v[99:100]
	s_delay_alu instid0(VALU_DEP_1) | instskip(SKIP_4) | instid1(SALU_CYCLE_1)
	v_cmp_lt_f64_e32 vcc_lo, v[97:98], v[101:102]
	v_dual_cndmask_b32 v78, v78, v95 :: v_dual_cndmask_b32 v77, v77, v94
	v_dual_cndmask_b32 v76, v76, v93 :: v_dual_cndmask_b32 v79, v79, v96
	v_cndmask_b32_e64 v84, v84, s6, vcc_lo
	s_add_i32 s6, s6, 1
	s_cmp_lg_u32 s5, s6
	s_cbranch_scc1 .LBB36_43
.LBB36_44:
	s_set_inst_prefetch_distance 0x2
	s_waitcnt lgkmcnt(0)
	v_cmp_eq_f64_e32 vcc_lo, 0, v[76:77]
	v_cmp_eq_f64_e64 s2, 0, v[78:79]
	s_delay_alu instid0(VALU_DEP_1) | instskip(NEXT) | instid1(SALU_CYCLE_1)
	s_and_b32 s2, vcc_lo, s2
	s_and_saveexec_b32 s3, s2
	s_delay_alu instid0(SALU_CYCLE_1)
	s_xor_b32 s2, exec_lo, s3
; %bb.45:
	v_cmp_ne_u32_e32 vcc_lo, 0, v90
	v_cndmask_b32_e32 v90, 3, v90, vcc_lo
; %bb.46:
	s_and_not1_saveexec_b32 s3, s2
	s_cbranch_execz .LBB36_52
; %bb.47:
	v_cmp_gt_f64_e32 vcc_lo, 0, v[76:77]
	v_cmp_gt_f64_e64 s2, 0, v[78:79]
	v_xor_b32_e32 v85, 0x80000000, v77
	v_xor_b32_e32 v93, 0x80000000, v79
	s_delay_alu instid0(VALU_DEP_2) | instskip(NEXT) | instid1(VALU_DEP_2)
	v_cndmask_b32_e32 v94, v77, v85, vcc_lo
	v_cndmask_b32_e64 v96, v79, v93, s2
	v_cndmask_b32_e32 v93, v76, v76, vcc_lo
	v_cndmask_b32_e64 v95, v78, v78, s2
	s_mov_b32 s2, exec_lo
	s_delay_alu instid0(VALU_DEP_1)
	v_cmpx_ngt_f64_e32 v[93:94], v[95:96]
	s_xor_b32 s2, exec_lo, s2
	s_cbranch_execz .LBB36_49
; %bb.48:
	v_div_scale_f64 v[93:94], null, v[78:79], v[78:79], v[76:77]
	v_div_scale_f64 v[99:100], vcc_lo, v[76:77], v[78:79], v[76:77]
	s_delay_alu instid0(VALU_DEP_2) | instskip(SKIP_2) | instid1(VALU_DEP_1)
	v_rcp_f64_e32 v[95:96], v[93:94]
	s_waitcnt_depctr 0xfff
	v_fma_f64 v[97:98], -v[93:94], v[95:96], 1.0
	v_fma_f64 v[95:96], v[95:96], v[97:98], v[95:96]
	s_delay_alu instid0(VALU_DEP_1) | instskip(NEXT) | instid1(VALU_DEP_1)
	v_fma_f64 v[97:98], -v[93:94], v[95:96], 1.0
	v_fma_f64 v[95:96], v[95:96], v[97:98], v[95:96]
	s_delay_alu instid0(VALU_DEP_1) | instskip(NEXT) | instid1(VALU_DEP_1)
	v_mul_f64 v[97:98], v[99:100], v[95:96]
	v_fma_f64 v[93:94], -v[93:94], v[97:98], v[99:100]
	s_delay_alu instid0(VALU_DEP_1) | instskip(NEXT) | instid1(VALU_DEP_1)
	v_div_fmas_f64 v[93:94], v[93:94], v[95:96], v[97:98]
	v_div_fixup_f64 v[93:94], v[93:94], v[78:79], v[76:77]
	s_delay_alu instid0(VALU_DEP_1) | instskip(NEXT) | instid1(VALU_DEP_1)
	v_fma_f64 v[76:77], v[76:77], v[93:94], v[78:79]
	v_div_scale_f64 v[78:79], null, v[76:77], v[76:77], 1.0
	s_delay_alu instid0(VALU_DEP_1) | instskip(SKIP_2) | instid1(VALU_DEP_1)
	v_rcp_f64_e32 v[95:96], v[78:79]
	s_waitcnt_depctr 0xfff
	v_fma_f64 v[97:98], -v[78:79], v[95:96], 1.0
	v_fma_f64 v[95:96], v[95:96], v[97:98], v[95:96]
	s_delay_alu instid0(VALU_DEP_1) | instskip(NEXT) | instid1(VALU_DEP_1)
	v_fma_f64 v[97:98], -v[78:79], v[95:96], 1.0
	v_fma_f64 v[95:96], v[95:96], v[97:98], v[95:96]
	v_div_scale_f64 v[97:98], vcc_lo, 1.0, v[76:77], 1.0
	s_delay_alu instid0(VALU_DEP_1) | instskip(NEXT) | instid1(VALU_DEP_1)
	v_mul_f64 v[99:100], v[97:98], v[95:96]
	v_fma_f64 v[78:79], -v[78:79], v[99:100], v[97:98]
	s_delay_alu instid0(VALU_DEP_1) | instskip(NEXT) | instid1(VALU_DEP_1)
	v_div_fmas_f64 v[78:79], v[78:79], v[95:96], v[99:100]
	v_div_fixup_f64 v[78:79], v[78:79], v[76:77], 1.0
	s_delay_alu instid0(VALU_DEP_1)
	v_mul_f64 v[76:77], v[93:94], v[78:79]
	v_xor_b32_e32 v79, 0x80000000, v79
.LBB36_49:
	s_and_not1_saveexec_b32 s2, s2
	s_cbranch_execz .LBB36_51
; %bb.50:
	s_delay_alu instid0(VALU_DEP_1) | instskip(SKIP_1) | instid1(VALU_DEP_2)
	v_div_scale_f64 v[93:94], null, v[76:77], v[76:77], v[78:79]
	v_div_scale_f64 v[99:100], vcc_lo, v[78:79], v[76:77], v[78:79]
	v_rcp_f64_e32 v[95:96], v[93:94]
	s_waitcnt_depctr 0xfff
	v_fma_f64 v[97:98], -v[93:94], v[95:96], 1.0
	s_delay_alu instid0(VALU_DEP_1) | instskip(NEXT) | instid1(VALU_DEP_1)
	v_fma_f64 v[95:96], v[95:96], v[97:98], v[95:96]
	v_fma_f64 v[97:98], -v[93:94], v[95:96], 1.0
	s_delay_alu instid0(VALU_DEP_1) | instskip(NEXT) | instid1(VALU_DEP_1)
	v_fma_f64 v[95:96], v[95:96], v[97:98], v[95:96]
	v_mul_f64 v[97:98], v[99:100], v[95:96]
	s_delay_alu instid0(VALU_DEP_1) | instskip(NEXT) | instid1(VALU_DEP_1)
	v_fma_f64 v[93:94], -v[93:94], v[97:98], v[99:100]
	v_div_fmas_f64 v[93:94], v[93:94], v[95:96], v[97:98]
	s_delay_alu instid0(VALU_DEP_1) | instskip(NEXT) | instid1(VALU_DEP_1)
	v_div_fixup_f64 v[93:94], v[93:94], v[76:77], v[78:79]
	v_fma_f64 v[76:77], v[78:79], v[93:94], v[76:77]
	s_delay_alu instid0(VALU_DEP_1) | instskip(NEXT) | instid1(VALU_DEP_1)
	v_div_scale_f64 v[78:79], null, v[76:77], v[76:77], 1.0
	v_rcp_f64_e32 v[95:96], v[78:79]
	s_waitcnt_depctr 0xfff
	v_fma_f64 v[97:98], -v[78:79], v[95:96], 1.0
	s_delay_alu instid0(VALU_DEP_1) | instskip(NEXT) | instid1(VALU_DEP_1)
	v_fma_f64 v[95:96], v[95:96], v[97:98], v[95:96]
	v_fma_f64 v[97:98], -v[78:79], v[95:96], 1.0
	s_delay_alu instid0(VALU_DEP_1) | instskip(SKIP_1) | instid1(VALU_DEP_1)
	v_fma_f64 v[95:96], v[95:96], v[97:98], v[95:96]
	v_div_scale_f64 v[97:98], vcc_lo, 1.0, v[76:77], 1.0
	v_mul_f64 v[99:100], v[97:98], v[95:96]
	s_delay_alu instid0(VALU_DEP_1) | instskip(NEXT) | instid1(VALU_DEP_1)
	v_fma_f64 v[78:79], -v[78:79], v[99:100], v[97:98]
	v_div_fmas_f64 v[78:79], v[78:79], v[95:96], v[99:100]
	s_delay_alu instid0(VALU_DEP_1) | instskip(NEXT) | instid1(VALU_DEP_1)
	v_div_fixup_f64 v[76:77], v[78:79], v[76:77], 1.0
	v_mul_f64 v[78:79], v[93:94], -v[76:77]
.LBB36_51:
	s_or_b32 exec_lo, exec_lo, s2
.LBB36_52:
	s_delay_alu instid0(SALU_CYCLE_1) | instskip(NEXT) | instid1(SALU_CYCLE_1)
	s_or_b32 exec_lo, exec_lo, s3
	s_mov_b32 s2, exec_lo
	v_cmpx_ne_u32_e64 v92, v84
	s_xor_b32 s2, exec_lo, s2
	s_cbranch_execz .LBB36_58
; %bb.53:
	s_mov_b32 s3, exec_lo
	v_cmpx_eq_u32_e32 2, v92
	s_cbranch_execz .LBB36_57
; %bb.54:
	v_cmp_ne_u32_e32 vcc_lo, 2, v84
	s_xor_b32 s6, s4, -1
	s_delay_alu instid0(SALU_CYCLE_1) | instskip(NEXT) | instid1(SALU_CYCLE_1)
	s_and_b32 s7, s6, vcc_lo
	s_and_saveexec_b32 s6, s7
	s_cbranch_execz .LBB36_56
; %bb.55:
	v_ashrrev_i32_e32 v85, 31, v84
	s_delay_alu instid0(VALU_DEP_1) | instskip(NEXT) | instid1(VALU_DEP_1)
	v_lshlrev_b64 v[92:93], 2, v[84:85]
	v_add_co_u32 v92, vcc_lo, v82, v92
	s_delay_alu instid0(VALU_DEP_2)
	v_add_co_ci_u32_e32 v93, vcc_lo, v83, v93, vcc_lo
	s_clause 0x1
	flat_load_b32 v85, v[92:93]
	flat_load_b32 v89, v[82:83] offset:8
	s_waitcnt vmcnt(1) lgkmcnt(1)
	flat_store_b32 v[82:83], v85 offset:8
	s_waitcnt vmcnt(0) lgkmcnt(1)
	flat_store_b32 v[92:93], v89
.LBB36_56:
	s_or_b32 exec_lo, exec_lo, s6
	v_mov_b32_e32 v92, v84
	v_mov_b32_e32 v89, v84
.LBB36_57:
	s_or_b32 exec_lo, exec_lo, s3
.LBB36_58:
	s_and_not1_saveexec_b32 s2, s2
	s_cbranch_execz .LBB36_60
; %bb.59:
	v_mov_b32_e32 v92, 2
	ds_store_2addr_b64 v86, v[60:61], v[62:63] offset0:6 offset1:7
	ds_store_2addr_b64 v86, v[48:49], v[50:51] offset0:8 offset1:9
	;; [unrolled: 1-line block ×16, first 2 shown]
.LBB36_60:
	s_or_b32 exec_lo, exec_lo, s2
	s_delay_alu instid0(SALU_CYCLE_1)
	s_mov_b32 s2, exec_lo
	s_waitcnt lgkmcnt(0)
	s_waitcnt_vscnt null, 0x0
	s_barrier
	buffer_gl0_inv
	v_cmpx_lt_i32_e32 2, v92
	s_cbranch_execz .LBB36_62
; %bb.61:
	v_mul_f64 v[84:85], v[76:77], v[66:67]
	v_mul_f64 v[66:67], v[78:79], v[66:67]
	ds_load_2addr_b64 v[93:96], v86 offset0:6 offset1:7
	ds_load_2addr_b64 v[97:100], v86 offset0:8 offset1:9
	;; [unrolled: 1-line block ×16, first 2 shown]
	v_fma_f64 v[78:79], v[78:79], v[64:65], v[84:85]
	v_fma_f64 v[64:65], v[76:77], v[64:65], -v[66:67]
	s_waitcnt lgkmcnt(15)
	s_delay_alu instid0(VALU_DEP_2)
	v_mul_f64 v[66:67], v[95:96], v[78:79]
	v_mul_f64 v[76:77], v[93:94], v[78:79]
	s_waitcnt lgkmcnt(14)
	v_mul_f64 v[84:85], v[99:100], v[78:79]
	v_mul_f64 v[157:158], v[97:98], v[78:79]
	s_waitcnt lgkmcnt(13)
	v_mul_f64 v[159:160], v[103:104], v[78:79]
	v_mul_f64 v[161:162], v[101:102], v[78:79]
	s_waitcnt lgkmcnt(12)
	v_mul_f64 v[163:164], v[107:108], v[78:79]
	v_mul_f64 v[165:166], v[105:106], v[78:79]
	s_waitcnt lgkmcnt(11)
	v_mul_f64 v[167:168], v[111:112], v[78:79]
	v_mul_f64 v[169:170], v[109:110], v[78:79]
	s_waitcnt lgkmcnt(10)
	v_mul_f64 v[171:172], v[115:116], v[78:79]
	v_mul_f64 v[173:174], v[113:114], v[78:79]
	s_waitcnt lgkmcnt(9)
	v_mul_f64 v[175:176], v[119:120], v[78:79]
	v_mul_f64 v[177:178], v[117:118], v[78:79]
	s_waitcnt lgkmcnt(8)
	v_mul_f64 v[179:180], v[123:124], v[78:79]
	v_mul_f64 v[181:182], v[121:122], v[78:79]
	s_waitcnt lgkmcnt(7)
	v_mul_f64 v[183:184], v[127:128], v[78:79]
	v_mul_f64 v[185:186], v[125:126], v[78:79]
	s_waitcnt lgkmcnt(6)
	v_mul_f64 v[187:188], v[131:132], v[78:79]
	v_mul_f64 v[189:190], v[129:130], v[78:79]
	s_waitcnt lgkmcnt(5)
	v_mul_f64 v[191:192], v[135:136], v[78:79]
	v_mul_f64 v[193:194], v[133:134], v[78:79]
	s_waitcnt lgkmcnt(4)
	v_mul_f64 v[195:196], v[139:140], v[78:79]
	v_mul_f64 v[197:198], v[137:138], v[78:79]
	s_waitcnt lgkmcnt(3)
	v_mul_f64 v[199:200], v[143:144], v[78:79]
	v_mul_f64 v[201:202], v[141:142], v[78:79]
	s_waitcnt lgkmcnt(2)
	v_mul_f64 v[203:204], v[147:148], v[78:79]
	v_mul_f64 v[205:206], v[145:146], v[78:79]
	s_waitcnt lgkmcnt(1)
	v_mul_f64 v[207:208], v[151:152], v[78:79]
	v_mul_f64 v[209:210], v[149:150], v[78:79]
	s_waitcnt lgkmcnt(0)
	v_mul_f64 v[211:212], v[155:156], v[78:79]
	v_mul_f64 v[213:214], v[153:154], v[78:79]
	v_fma_f64 v[66:67], v[93:94], v[64:65], -v[66:67]
	v_fma_f64 v[76:77], v[95:96], v[64:65], v[76:77]
	v_fma_f64 v[84:85], v[97:98], v[64:65], -v[84:85]
	v_fma_f64 v[93:94], v[99:100], v[64:65], v[157:158]
	;; [unrolled: 2-line block ×16, first 2 shown]
	v_add_f64 v[60:61], v[60:61], -v[66:67]
	v_add_f64 v[62:63], v[62:63], -v[76:77]
	;; [unrolled: 1-line block ×32, first 2 shown]
	v_dual_mov_b32 v66, v78 :: v_dual_mov_b32 v67, v79
.LBB36_62:
	s_or_b32 exec_lo, exec_lo, s2
	v_lshl_add_u32 v76, v92, 4, v86
	s_barrier
	buffer_gl0_inv
	v_mov_b32_e32 v84, 3
	ds_store_2addr_b64 v76, v[60:61], v[62:63] offset1:1
	s_waitcnt lgkmcnt(0)
	s_barrier
	buffer_gl0_inv
	ds_load_2addr_b64 v[76:79], v86 offset0:6 offset1:7
	s_cmp_lt_i32 s5, 5
	s_mov_b32 s6, 4
	s_cbranch_scc1 .LBB36_65
; %bb.63:
	v_add3_u32 v85, v91, 0, 64
	v_mov_b32_e32 v84, 3
	s_set_inst_prefetch_distance 0x1
	.p2align	6
.LBB36_64:                              ; =>This Inner Loop Header: Depth=1
	ds_load_2addr_b64 v[93:96], v85 offset1:1
	s_waitcnt lgkmcnt(1)
	v_cmp_gt_f64_e32 vcc_lo, 0, v[76:77]
	v_xor_b32_e32 v97, 0x80000000, v77
	v_cmp_gt_f64_e64 s2, 0, v[78:79]
	v_xor_b32_e32 v99, 0x80000000, v79
	v_add_nc_u32_e32 v85, 16, v85
	s_waitcnt lgkmcnt(0)
	v_cmp_gt_f64_e64 s3, 0, v[93:94]
	v_mov_b32_e32 v101, v93
	v_dual_mov_b32 v103, v95 :: v_dual_cndmask_b32 v98, v77, v97
	v_xor_b32_e32 v97, 0x80000000, v94
	v_cndmask_b32_e64 v100, v79, v99, s2
	v_xor_b32_e32 v99, 0x80000000, v96
	s_delay_alu instid0(VALU_DEP_3) | instskip(SKIP_2) | instid1(VALU_DEP_2)
	v_cndmask_b32_e64 v102, v94, v97, s3
	v_cmp_gt_f64_e64 s3, 0, v[95:96]
	v_cndmask_b32_e32 v97, v76, v76, vcc_lo
	v_cndmask_b32_e64 v104, v96, v99, s3
	v_cndmask_b32_e64 v99, v78, v78, s2
	s_delay_alu instid0(VALU_DEP_2) | instskip(NEXT) | instid1(VALU_DEP_2)
	v_add_f64 v[101:102], v[101:102], v[103:104]
	v_add_f64 v[97:98], v[97:98], v[99:100]
	s_delay_alu instid0(VALU_DEP_1) | instskip(SKIP_4) | instid1(SALU_CYCLE_1)
	v_cmp_lt_f64_e32 vcc_lo, v[97:98], v[101:102]
	v_dual_cndmask_b32 v78, v78, v95 :: v_dual_cndmask_b32 v77, v77, v94
	v_dual_cndmask_b32 v76, v76, v93 :: v_dual_cndmask_b32 v79, v79, v96
	v_cndmask_b32_e64 v84, v84, s6, vcc_lo
	s_add_i32 s6, s6, 1
	s_cmp_lg_u32 s5, s6
	s_cbranch_scc1 .LBB36_64
.LBB36_65:
	s_set_inst_prefetch_distance 0x2
	s_waitcnt lgkmcnt(0)
	v_cmp_eq_f64_e32 vcc_lo, 0, v[76:77]
	v_cmp_eq_f64_e64 s2, 0, v[78:79]
	s_delay_alu instid0(VALU_DEP_1) | instskip(NEXT) | instid1(SALU_CYCLE_1)
	s_and_b32 s2, vcc_lo, s2
	s_and_saveexec_b32 s3, s2
	s_delay_alu instid0(SALU_CYCLE_1)
	s_xor_b32 s2, exec_lo, s3
; %bb.66:
	v_cmp_ne_u32_e32 vcc_lo, 0, v90
	v_cndmask_b32_e32 v90, 4, v90, vcc_lo
; %bb.67:
	s_and_not1_saveexec_b32 s3, s2
	s_cbranch_execz .LBB36_73
; %bb.68:
	v_cmp_gt_f64_e32 vcc_lo, 0, v[76:77]
	v_cmp_gt_f64_e64 s2, 0, v[78:79]
	v_xor_b32_e32 v85, 0x80000000, v77
	v_xor_b32_e32 v93, 0x80000000, v79
	s_delay_alu instid0(VALU_DEP_2) | instskip(NEXT) | instid1(VALU_DEP_2)
	v_cndmask_b32_e32 v94, v77, v85, vcc_lo
	v_cndmask_b32_e64 v96, v79, v93, s2
	v_cndmask_b32_e32 v93, v76, v76, vcc_lo
	v_cndmask_b32_e64 v95, v78, v78, s2
	s_mov_b32 s2, exec_lo
	s_delay_alu instid0(VALU_DEP_1)
	v_cmpx_ngt_f64_e32 v[93:94], v[95:96]
	s_xor_b32 s2, exec_lo, s2
	s_cbranch_execz .LBB36_70
; %bb.69:
	v_div_scale_f64 v[93:94], null, v[78:79], v[78:79], v[76:77]
	v_div_scale_f64 v[99:100], vcc_lo, v[76:77], v[78:79], v[76:77]
	s_delay_alu instid0(VALU_DEP_2) | instskip(SKIP_2) | instid1(VALU_DEP_1)
	v_rcp_f64_e32 v[95:96], v[93:94]
	s_waitcnt_depctr 0xfff
	v_fma_f64 v[97:98], -v[93:94], v[95:96], 1.0
	v_fma_f64 v[95:96], v[95:96], v[97:98], v[95:96]
	s_delay_alu instid0(VALU_DEP_1) | instskip(NEXT) | instid1(VALU_DEP_1)
	v_fma_f64 v[97:98], -v[93:94], v[95:96], 1.0
	v_fma_f64 v[95:96], v[95:96], v[97:98], v[95:96]
	s_delay_alu instid0(VALU_DEP_1) | instskip(NEXT) | instid1(VALU_DEP_1)
	v_mul_f64 v[97:98], v[99:100], v[95:96]
	v_fma_f64 v[93:94], -v[93:94], v[97:98], v[99:100]
	s_delay_alu instid0(VALU_DEP_1) | instskip(NEXT) | instid1(VALU_DEP_1)
	v_div_fmas_f64 v[93:94], v[93:94], v[95:96], v[97:98]
	v_div_fixup_f64 v[93:94], v[93:94], v[78:79], v[76:77]
	s_delay_alu instid0(VALU_DEP_1) | instskip(NEXT) | instid1(VALU_DEP_1)
	v_fma_f64 v[76:77], v[76:77], v[93:94], v[78:79]
	v_div_scale_f64 v[78:79], null, v[76:77], v[76:77], 1.0
	s_delay_alu instid0(VALU_DEP_1) | instskip(SKIP_2) | instid1(VALU_DEP_1)
	v_rcp_f64_e32 v[95:96], v[78:79]
	s_waitcnt_depctr 0xfff
	v_fma_f64 v[97:98], -v[78:79], v[95:96], 1.0
	v_fma_f64 v[95:96], v[95:96], v[97:98], v[95:96]
	s_delay_alu instid0(VALU_DEP_1) | instskip(NEXT) | instid1(VALU_DEP_1)
	v_fma_f64 v[97:98], -v[78:79], v[95:96], 1.0
	v_fma_f64 v[95:96], v[95:96], v[97:98], v[95:96]
	v_div_scale_f64 v[97:98], vcc_lo, 1.0, v[76:77], 1.0
	s_delay_alu instid0(VALU_DEP_1) | instskip(NEXT) | instid1(VALU_DEP_1)
	v_mul_f64 v[99:100], v[97:98], v[95:96]
	v_fma_f64 v[78:79], -v[78:79], v[99:100], v[97:98]
	s_delay_alu instid0(VALU_DEP_1) | instskip(NEXT) | instid1(VALU_DEP_1)
	v_div_fmas_f64 v[78:79], v[78:79], v[95:96], v[99:100]
	v_div_fixup_f64 v[78:79], v[78:79], v[76:77], 1.0
	s_delay_alu instid0(VALU_DEP_1)
	v_mul_f64 v[76:77], v[93:94], v[78:79]
	v_xor_b32_e32 v79, 0x80000000, v79
.LBB36_70:
	s_and_not1_saveexec_b32 s2, s2
	s_cbranch_execz .LBB36_72
; %bb.71:
	s_delay_alu instid0(VALU_DEP_1) | instskip(SKIP_1) | instid1(VALU_DEP_2)
	v_div_scale_f64 v[93:94], null, v[76:77], v[76:77], v[78:79]
	v_div_scale_f64 v[99:100], vcc_lo, v[78:79], v[76:77], v[78:79]
	v_rcp_f64_e32 v[95:96], v[93:94]
	s_waitcnt_depctr 0xfff
	v_fma_f64 v[97:98], -v[93:94], v[95:96], 1.0
	s_delay_alu instid0(VALU_DEP_1) | instskip(NEXT) | instid1(VALU_DEP_1)
	v_fma_f64 v[95:96], v[95:96], v[97:98], v[95:96]
	v_fma_f64 v[97:98], -v[93:94], v[95:96], 1.0
	s_delay_alu instid0(VALU_DEP_1) | instskip(NEXT) | instid1(VALU_DEP_1)
	v_fma_f64 v[95:96], v[95:96], v[97:98], v[95:96]
	v_mul_f64 v[97:98], v[99:100], v[95:96]
	s_delay_alu instid0(VALU_DEP_1) | instskip(NEXT) | instid1(VALU_DEP_1)
	v_fma_f64 v[93:94], -v[93:94], v[97:98], v[99:100]
	v_div_fmas_f64 v[93:94], v[93:94], v[95:96], v[97:98]
	s_delay_alu instid0(VALU_DEP_1) | instskip(NEXT) | instid1(VALU_DEP_1)
	v_div_fixup_f64 v[93:94], v[93:94], v[76:77], v[78:79]
	v_fma_f64 v[76:77], v[78:79], v[93:94], v[76:77]
	s_delay_alu instid0(VALU_DEP_1) | instskip(NEXT) | instid1(VALU_DEP_1)
	v_div_scale_f64 v[78:79], null, v[76:77], v[76:77], 1.0
	v_rcp_f64_e32 v[95:96], v[78:79]
	s_waitcnt_depctr 0xfff
	v_fma_f64 v[97:98], -v[78:79], v[95:96], 1.0
	s_delay_alu instid0(VALU_DEP_1) | instskip(NEXT) | instid1(VALU_DEP_1)
	v_fma_f64 v[95:96], v[95:96], v[97:98], v[95:96]
	v_fma_f64 v[97:98], -v[78:79], v[95:96], 1.0
	s_delay_alu instid0(VALU_DEP_1) | instskip(SKIP_1) | instid1(VALU_DEP_1)
	v_fma_f64 v[95:96], v[95:96], v[97:98], v[95:96]
	v_div_scale_f64 v[97:98], vcc_lo, 1.0, v[76:77], 1.0
	v_mul_f64 v[99:100], v[97:98], v[95:96]
	s_delay_alu instid0(VALU_DEP_1) | instskip(NEXT) | instid1(VALU_DEP_1)
	v_fma_f64 v[78:79], -v[78:79], v[99:100], v[97:98]
	v_div_fmas_f64 v[78:79], v[78:79], v[95:96], v[99:100]
	s_delay_alu instid0(VALU_DEP_1) | instskip(NEXT) | instid1(VALU_DEP_1)
	v_div_fixup_f64 v[76:77], v[78:79], v[76:77], 1.0
	v_mul_f64 v[78:79], v[93:94], -v[76:77]
.LBB36_72:
	s_or_b32 exec_lo, exec_lo, s2
.LBB36_73:
	s_delay_alu instid0(SALU_CYCLE_1) | instskip(NEXT) | instid1(SALU_CYCLE_1)
	s_or_b32 exec_lo, exec_lo, s3
	s_mov_b32 s2, exec_lo
	v_cmpx_ne_u32_e64 v92, v84
	s_xor_b32 s2, exec_lo, s2
	s_cbranch_execz .LBB36_79
; %bb.74:
	s_mov_b32 s3, exec_lo
	v_cmpx_eq_u32_e32 3, v92
	s_cbranch_execz .LBB36_78
; %bb.75:
	v_cmp_ne_u32_e32 vcc_lo, 3, v84
	s_xor_b32 s6, s4, -1
	s_delay_alu instid0(SALU_CYCLE_1) | instskip(NEXT) | instid1(SALU_CYCLE_1)
	s_and_b32 s7, s6, vcc_lo
	s_and_saveexec_b32 s6, s7
	s_cbranch_execz .LBB36_77
; %bb.76:
	v_ashrrev_i32_e32 v85, 31, v84
	s_delay_alu instid0(VALU_DEP_1) | instskip(NEXT) | instid1(VALU_DEP_1)
	v_lshlrev_b64 v[92:93], 2, v[84:85]
	v_add_co_u32 v92, vcc_lo, v82, v92
	s_delay_alu instid0(VALU_DEP_2)
	v_add_co_ci_u32_e32 v93, vcc_lo, v83, v93, vcc_lo
	s_clause 0x1
	flat_load_b32 v85, v[92:93]
	flat_load_b32 v89, v[82:83] offset:12
	s_waitcnt vmcnt(1) lgkmcnt(1)
	flat_store_b32 v[82:83], v85 offset:12
	s_waitcnt vmcnt(0) lgkmcnt(1)
	flat_store_b32 v[92:93], v89
.LBB36_77:
	s_or_b32 exec_lo, exec_lo, s6
	v_mov_b32_e32 v92, v84
	v_mov_b32_e32 v89, v84
.LBB36_78:
	s_or_b32 exec_lo, exec_lo, s3
.LBB36_79:
	s_and_not1_saveexec_b32 s2, s2
	s_cbranch_execz .LBB36_81
; %bb.80:
	v_mov_b32_e32 v92, 3
	ds_store_2addr_b64 v86, v[48:49], v[50:51] offset0:8 offset1:9
	ds_store_2addr_b64 v86, v[44:45], v[46:47] offset0:10 offset1:11
	;; [unrolled: 1-line block ×15, first 2 shown]
.LBB36_81:
	s_or_b32 exec_lo, exec_lo, s2
	s_delay_alu instid0(SALU_CYCLE_1)
	s_mov_b32 s2, exec_lo
	s_waitcnt lgkmcnt(0)
	s_waitcnt_vscnt null, 0x0
	s_barrier
	buffer_gl0_inv
	v_cmpx_lt_i32_e32 3, v92
	s_cbranch_execz .LBB36_83
; %bb.82:
	v_mul_f64 v[84:85], v[76:77], v[62:63]
	v_mul_f64 v[62:63], v[78:79], v[62:63]
	ds_load_2addr_b64 v[93:96], v86 offset0:8 offset1:9
	ds_load_2addr_b64 v[97:100], v86 offset0:10 offset1:11
	;; [unrolled: 1-line block ×15, first 2 shown]
	v_fma_f64 v[78:79], v[78:79], v[60:61], v[84:85]
	v_fma_f64 v[60:61], v[76:77], v[60:61], -v[62:63]
	s_waitcnt lgkmcnt(14)
	s_delay_alu instid0(VALU_DEP_2)
	v_mul_f64 v[62:63], v[95:96], v[78:79]
	v_mul_f64 v[76:77], v[93:94], v[78:79]
	s_waitcnt lgkmcnt(13)
	v_mul_f64 v[84:85], v[99:100], v[78:79]
	v_mul_f64 v[153:154], v[97:98], v[78:79]
	s_waitcnt lgkmcnt(12)
	v_mul_f64 v[155:156], v[103:104], v[78:79]
	v_mul_f64 v[157:158], v[101:102], v[78:79]
	s_waitcnt lgkmcnt(11)
	v_mul_f64 v[159:160], v[107:108], v[78:79]
	v_mul_f64 v[161:162], v[105:106], v[78:79]
	s_waitcnt lgkmcnt(10)
	v_mul_f64 v[163:164], v[111:112], v[78:79]
	v_mul_f64 v[165:166], v[109:110], v[78:79]
	s_waitcnt lgkmcnt(9)
	v_mul_f64 v[167:168], v[115:116], v[78:79]
	v_mul_f64 v[169:170], v[113:114], v[78:79]
	s_waitcnt lgkmcnt(8)
	v_mul_f64 v[171:172], v[119:120], v[78:79]
	v_mul_f64 v[173:174], v[117:118], v[78:79]
	s_waitcnt lgkmcnt(7)
	v_mul_f64 v[175:176], v[123:124], v[78:79]
	v_mul_f64 v[177:178], v[121:122], v[78:79]
	s_waitcnt lgkmcnt(6)
	v_mul_f64 v[179:180], v[127:128], v[78:79]
	v_mul_f64 v[181:182], v[125:126], v[78:79]
	s_waitcnt lgkmcnt(5)
	v_mul_f64 v[183:184], v[131:132], v[78:79]
	v_mul_f64 v[185:186], v[129:130], v[78:79]
	s_waitcnt lgkmcnt(4)
	v_mul_f64 v[187:188], v[135:136], v[78:79]
	v_mul_f64 v[189:190], v[133:134], v[78:79]
	s_waitcnt lgkmcnt(3)
	v_mul_f64 v[191:192], v[139:140], v[78:79]
	v_mul_f64 v[193:194], v[137:138], v[78:79]
	s_waitcnt lgkmcnt(2)
	v_mul_f64 v[195:196], v[143:144], v[78:79]
	v_mul_f64 v[197:198], v[141:142], v[78:79]
	s_waitcnt lgkmcnt(1)
	v_mul_f64 v[199:200], v[147:148], v[78:79]
	v_mul_f64 v[201:202], v[145:146], v[78:79]
	s_waitcnt lgkmcnt(0)
	v_mul_f64 v[203:204], v[151:152], v[78:79]
	v_mul_f64 v[205:206], v[149:150], v[78:79]
	v_fma_f64 v[62:63], v[93:94], v[60:61], -v[62:63]
	v_fma_f64 v[76:77], v[95:96], v[60:61], v[76:77]
	v_fma_f64 v[84:85], v[97:98], v[60:61], -v[84:85]
	v_fma_f64 v[93:94], v[99:100], v[60:61], v[153:154]
	;; [unrolled: 2-line block ×15, first 2 shown]
	v_add_f64 v[48:49], v[48:49], -v[62:63]
	v_add_f64 v[50:51], v[50:51], -v[76:77]
	;; [unrolled: 1-line block ×30, first 2 shown]
	v_dual_mov_b32 v62, v78 :: v_dual_mov_b32 v63, v79
.LBB36_83:
	s_or_b32 exec_lo, exec_lo, s2
	v_lshl_add_u32 v76, v92, 4, v86
	s_barrier
	buffer_gl0_inv
	v_mov_b32_e32 v84, 4
	ds_store_2addr_b64 v76, v[48:49], v[50:51] offset1:1
	s_waitcnt lgkmcnt(0)
	s_barrier
	buffer_gl0_inv
	ds_load_2addr_b64 v[76:79], v86 offset0:8 offset1:9
	s_cmp_lt_i32 s5, 6
	s_cbranch_scc1 .LBB36_86
; %bb.84:
	v_add3_u32 v85, v91, 0, 0x50
	v_mov_b32_e32 v84, 4
	s_mov_b32 s6, 5
	s_set_inst_prefetch_distance 0x1
	.p2align	6
.LBB36_85:                              ; =>This Inner Loop Header: Depth=1
	ds_load_2addr_b64 v[93:96], v85 offset1:1
	s_waitcnt lgkmcnt(1)
	v_cmp_gt_f64_e32 vcc_lo, 0, v[76:77]
	v_xor_b32_e32 v97, 0x80000000, v77
	v_cmp_gt_f64_e64 s2, 0, v[78:79]
	v_xor_b32_e32 v99, 0x80000000, v79
	v_add_nc_u32_e32 v85, 16, v85
	s_waitcnt lgkmcnt(0)
	v_cmp_gt_f64_e64 s3, 0, v[93:94]
	v_mov_b32_e32 v101, v93
	v_dual_mov_b32 v103, v95 :: v_dual_cndmask_b32 v98, v77, v97
	v_xor_b32_e32 v97, 0x80000000, v94
	v_cndmask_b32_e64 v100, v79, v99, s2
	v_xor_b32_e32 v99, 0x80000000, v96
	s_delay_alu instid0(VALU_DEP_3) | instskip(SKIP_2) | instid1(VALU_DEP_2)
	v_cndmask_b32_e64 v102, v94, v97, s3
	v_cmp_gt_f64_e64 s3, 0, v[95:96]
	v_cndmask_b32_e32 v97, v76, v76, vcc_lo
	v_cndmask_b32_e64 v104, v96, v99, s3
	v_cndmask_b32_e64 v99, v78, v78, s2
	s_delay_alu instid0(VALU_DEP_2) | instskip(NEXT) | instid1(VALU_DEP_2)
	v_add_f64 v[101:102], v[101:102], v[103:104]
	v_add_f64 v[97:98], v[97:98], v[99:100]
	s_delay_alu instid0(VALU_DEP_1) | instskip(SKIP_4) | instid1(SALU_CYCLE_1)
	v_cmp_lt_f64_e32 vcc_lo, v[97:98], v[101:102]
	v_dual_cndmask_b32 v78, v78, v95 :: v_dual_cndmask_b32 v77, v77, v94
	v_dual_cndmask_b32 v76, v76, v93 :: v_dual_cndmask_b32 v79, v79, v96
	v_cndmask_b32_e64 v84, v84, s6, vcc_lo
	s_add_i32 s6, s6, 1
	s_cmp_lg_u32 s5, s6
	s_cbranch_scc1 .LBB36_85
.LBB36_86:
	s_set_inst_prefetch_distance 0x2
	s_waitcnt lgkmcnt(0)
	v_cmp_eq_f64_e32 vcc_lo, 0, v[76:77]
	v_cmp_eq_f64_e64 s2, 0, v[78:79]
	s_delay_alu instid0(VALU_DEP_1) | instskip(NEXT) | instid1(SALU_CYCLE_1)
	s_and_b32 s2, vcc_lo, s2
	s_and_saveexec_b32 s3, s2
	s_delay_alu instid0(SALU_CYCLE_1)
	s_xor_b32 s2, exec_lo, s3
; %bb.87:
	v_cmp_ne_u32_e32 vcc_lo, 0, v90
	v_cndmask_b32_e32 v90, 5, v90, vcc_lo
; %bb.88:
	s_and_not1_saveexec_b32 s3, s2
	s_cbranch_execz .LBB36_94
; %bb.89:
	v_cmp_gt_f64_e32 vcc_lo, 0, v[76:77]
	v_cmp_gt_f64_e64 s2, 0, v[78:79]
	v_xor_b32_e32 v85, 0x80000000, v77
	v_xor_b32_e32 v93, 0x80000000, v79
	s_delay_alu instid0(VALU_DEP_2) | instskip(NEXT) | instid1(VALU_DEP_2)
	v_cndmask_b32_e32 v94, v77, v85, vcc_lo
	v_cndmask_b32_e64 v96, v79, v93, s2
	v_cndmask_b32_e32 v93, v76, v76, vcc_lo
	v_cndmask_b32_e64 v95, v78, v78, s2
	s_mov_b32 s2, exec_lo
	s_delay_alu instid0(VALU_DEP_1)
	v_cmpx_ngt_f64_e32 v[93:94], v[95:96]
	s_xor_b32 s2, exec_lo, s2
	s_cbranch_execz .LBB36_91
; %bb.90:
	v_div_scale_f64 v[93:94], null, v[78:79], v[78:79], v[76:77]
	v_div_scale_f64 v[99:100], vcc_lo, v[76:77], v[78:79], v[76:77]
	s_delay_alu instid0(VALU_DEP_2) | instskip(SKIP_2) | instid1(VALU_DEP_1)
	v_rcp_f64_e32 v[95:96], v[93:94]
	s_waitcnt_depctr 0xfff
	v_fma_f64 v[97:98], -v[93:94], v[95:96], 1.0
	v_fma_f64 v[95:96], v[95:96], v[97:98], v[95:96]
	s_delay_alu instid0(VALU_DEP_1) | instskip(NEXT) | instid1(VALU_DEP_1)
	v_fma_f64 v[97:98], -v[93:94], v[95:96], 1.0
	v_fma_f64 v[95:96], v[95:96], v[97:98], v[95:96]
	s_delay_alu instid0(VALU_DEP_1) | instskip(NEXT) | instid1(VALU_DEP_1)
	v_mul_f64 v[97:98], v[99:100], v[95:96]
	v_fma_f64 v[93:94], -v[93:94], v[97:98], v[99:100]
	s_delay_alu instid0(VALU_DEP_1) | instskip(NEXT) | instid1(VALU_DEP_1)
	v_div_fmas_f64 v[93:94], v[93:94], v[95:96], v[97:98]
	v_div_fixup_f64 v[93:94], v[93:94], v[78:79], v[76:77]
	s_delay_alu instid0(VALU_DEP_1) | instskip(NEXT) | instid1(VALU_DEP_1)
	v_fma_f64 v[76:77], v[76:77], v[93:94], v[78:79]
	v_div_scale_f64 v[78:79], null, v[76:77], v[76:77], 1.0
	s_delay_alu instid0(VALU_DEP_1) | instskip(SKIP_2) | instid1(VALU_DEP_1)
	v_rcp_f64_e32 v[95:96], v[78:79]
	s_waitcnt_depctr 0xfff
	v_fma_f64 v[97:98], -v[78:79], v[95:96], 1.0
	v_fma_f64 v[95:96], v[95:96], v[97:98], v[95:96]
	s_delay_alu instid0(VALU_DEP_1) | instskip(NEXT) | instid1(VALU_DEP_1)
	v_fma_f64 v[97:98], -v[78:79], v[95:96], 1.0
	v_fma_f64 v[95:96], v[95:96], v[97:98], v[95:96]
	v_div_scale_f64 v[97:98], vcc_lo, 1.0, v[76:77], 1.0
	s_delay_alu instid0(VALU_DEP_1) | instskip(NEXT) | instid1(VALU_DEP_1)
	v_mul_f64 v[99:100], v[97:98], v[95:96]
	v_fma_f64 v[78:79], -v[78:79], v[99:100], v[97:98]
	s_delay_alu instid0(VALU_DEP_1) | instskip(NEXT) | instid1(VALU_DEP_1)
	v_div_fmas_f64 v[78:79], v[78:79], v[95:96], v[99:100]
	v_div_fixup_f64 v[78:79], v[78:79], v[76:77], 1.0
	s_delay_alu instid0(VALU_DEP_1)
	v_mul_f64 v[76:77], v[93:94], v[78:79]
	v_xor_b32_e32 v79, 0x80000000, v79
.LBB36_91:
	s_and_not1_saveexec_b32 s2, s2
	s_cbranch_execz .LBB36_93
; %bb.92:
	s_delay_alu instid0(VALU_DEP_1) | instskip(SKIP_1) | instid1(VALU_DEP_2)
	v_div_scale_f64 v[93:94], null, v[76:77], v[76:77], v[78:79]
	v_div_scale_f64 v[99:100], vcc_lo, v[78:79], v[76:77], v[78:79]
	v_rcp_f64_e32 v[95:96], v[93:94]
	s_waitcnt_depctr 0xfff
	v_fma_f64 v[97:98], -v[93:94], v[95:96], 1.0
	s_delay_alu instid0(VALU_DEP_1) | instskip(NEXT) | instid1(VALU_DEP_1)
	v_fma_f64 v[95:96], v[95:96], v[97:98], v[95:96]
	v_fma_f64 v[97:98], -v[93:94], v[95:96], 1.0
	s_delay_alu instid0(VALU_DEP_1) | instskip(NEXT) | instid1(VALU_DEP_1)
	v_fma_f64 v[95:96], v[95:96], v[97:98], v[95:96]
	v_mul_f64 v[97:98], v[99:100], v[95:96]
	s_delay_alu instid0(VALU_DEP_1) | instskip(NEXT) | instid1(VALU_DEP_1)
	v_fma_f64 v[93:94], -v[93:94], v[97:98], v[99:100]
	v_div_fmas_f64 v[93:94], v[93:94], v[95:96], v[97:98]
	s_delay_alu instid0(VALU_DEP_1) | instskip(NEXT) | instid1(VALU_DEP_1)
	v_div_fixup_f64 v[93:94], v[93:94], v[76:77], v[78:79]
	v_fma_f64 v[76:77], v[78:79], v[93:94], v[76:77]
	s_delay_alu instid0(VALU_DEP_1) | instskip(NEXT) | instid1(VALU_DEP_1)
	v_div_scale_f64 v[78:79], null, v[76:77], v[76:77], 1.0
	v_rcp_f64_e32 v[95:96], v[78:79]
	s_waitcnt_depctr 0xfff
	v_fma_f64 v[97:98], -v[78:79], v[95:96], 1.0
	s_delay_alu instid0(VALU_DEP_1) | instskip(NEXT) | instid1(VALU_DEP_1)
	v_fma_f64 v[95:96], v[95:96], v[97:98], v[95:96]
	v_fma_f64 v[97:98], -v[78:79], v[95:96], 1.0
	s_delay_alu instid0(VALU_DEP_1) | instskip(SKIP_1) | instid1(VALU_DEP_1)
	v_fma_f64 v[95:96], v[95:96], v[97:98], v[95:96]
	v_div_scale_f64 v[97:98], vcc_lo, 1.0, v[76:77], 1.0
	v_mul_f64 v[99:100], v[97:98], v[95:96]
	s_delay_alu instid0(VALU_DEP_1) | instskip(NEXT) | instid1(VALU_DEP_1)
	v_fma_f64 v[78:79], -v[78:79], v[99:100], v[97:98]
	v_div_fmas_f64 v[78:79], v[78:79], v[95:96], v[99:100]
	s_delay_alu instid0(VALU_DEP_1) | instskip(NEXT) | instid1(VALU_DEP_1)
	v_div_fixup_f64 v[76:77], v[78:79], v[76:77], 1.0
	v_mul_f64 v[78:79], v[93:94], -v[76:77]
.LBB36_93:
	s_or_b32 exec_lo, exec_lo, s2
.LBB36_94:
	s_delay_alu instid0(SALU_CYCLE_1) | instskip(NEXT) | instid1(SALU_CYCLE_1)
	s_or_b32 exec_lo, exec_lo, s3
	s_mov_b32 s2, exec_lo
	v_cmpx_ne_u32_e64 v92, v84
	s_xor_b32 s2, exec_lo, s2
	s_cbranch_execz .LBB36_100
; %bb.95:
	s_mov_b32 s3, exec_lo
	v_cmpx_eq_u32_e32 4, v92
	s_cbranch_execz .LBB36_99
; %bb.96:
	v_cmp_ne_u32_e32 vcc_lo, 4, v84
	s_xor_b32 s6, s4, -1
	s_delay_alu instid0(SALU_CYCLE_1) | instskip(NEXT) | instid1(SALU_CYCLE_1)
	s_and_b32 s7, s6, vcc_lo
	s_and_saveexec_b32 s6, s7
	s_cbranch_execz .LBB36_98
; %bb.97:
	v_ashrrev_i32_e32 v85, 31, v84
	s_delay_alu instid0(VALU_DEP_1) | instskip(NEXT) | instid1(VALU_DEP_1)
	v_lshlrev_b64 v[92:93], 2, v[84:85]
	v_add_co_u32 v92, vcc_lo, v82, v92
	s_delay_alu instid0(VALU_DEP_2)
	v_add_co_ci_u32_e32 v93, vcc_lo, v83, v93, vcc_lo
	s_clause 0x1
	flat_load_b32 v85, v[92:93]
	flat_load_b32 v89, v[82:83] offset:16
	s_waitcnt vmcnt(1) lgkmcnt(1)
	flat_store_b32 v[82:83], v85 offset:16
	s_waitcnt vmcnt(0) lgkmcnt(1)
	flat_store_b32 v[92:93], v89
.LBB36_98:
	s_or_b32 exec_lo, exec_lo, s6
	v_mov_b32_e32 v92, v84
	v_mov_b32_e32 v89, v84
.LBB36_99:
	s_or_b32 exec_lo, exec_lo, s3
.LBB36_100:
	s_and_not1_saveexec_b32 s2, s2
	s_cbranch_execz .LBB36_102
; %bb.101:
	v_mov_b32_e32 v92, 4
	ds_store_2addr_b64 v86, v[44:45], v[46:47] offset0:10 offset1:11
	ds_store_2addr_b64 v86, v[56:57], v[58:59] offset0:12 offset1:13
	;; [unrolled: 1-line block ×14, first 2 shown]
.LBB36_102:
	s_or_b32 exec_lo, exec_lo, s2
	s_delay_alu instid0(SALU_CYCLE_1)
	s_mov_b32 s2, exec_lo
	s_waitcnt lgkmcnt(0)
	s_waitcnt_vscnt null, 0x0
	s_barrier
	buffer_gl0_inv
	v_cmpx_lt_i32_e32 4, v92
	s_cbranch_execz .LBB36_104
; %bb.103:
	v_mul_f64 v[84:85], v[76:77], v[50:51]
	v_mul_f64 v[50:51], v[78:79], v[50:51]
	ds_load_2addr_b64 v[93:96], v86 offset0:10 offset1:11
	ds_load_2addr_b64 v[97:100], v86 offset0:12 offset1:13
	;; [unrolled: 1-line block ×14, first 2 shown]
	v_fma_f64 v[78:79], v[78:79], v[48:49], v[84:85]
	v_fma_f64 v[48:49], v[76:77], v[48:49], -v[50:51]
	s_waitcnt lgkmcnt(13)
	s_delay_alu instid0(VALU_DEP_2)
	v_mul_f64 v[50:51], v[95:96], v[78:79]
	v_mul_f64 v[76:77], v[93:94], v[78:79]
	s_waitcnt lgkmcnt(12)
	v_mul_f64 v[84:85], v[99:100], v[78:79]
	v_mul_f64 v[149:150], v[97:98], v[78:79]
	s_waitcnt lgkmcnt(11)
	;; [unrolled: 3-line block ×13, first 2 shown]
	v_mul_f64 v[195:196], v[147:148], v[78:79]
	v_mul_f64 v[197:198], v[145:146], v[78:79]
	v_fma_f64 v[50:51], v[93:94], v[48:49], -v[50:51]
	v_fma_f64 v[76:77], v[95:96], v[48:49], v[76:77]
	v_fma_f64 v[84:85], v[97:98], v[48:49], -v[84:85]
	v_fma_f64 v[93:94], v[99:100], v[48:49], v[149:150]
	;; [unrolled: 2-line block ×14, first 2 shown]
	v_add_f64 v[44:45], v[44:45], -v[50:51]
	v_add_f64 v[46:47], v[46:47], -v[76:77]
	;; [unrolled: 1-line block ×28, first 2 shown]
	v_dual_mov_b32 v50, v78 :: v_dual_mov_b32 v51, v79
.LBB36_104:
	s_or_b32 exec_lo, exec_lo, s2
	v_lshl_add_u32 v76, v92, 4, v86
	s_barrier
	buffer_gl0_inv
	v_mov_b32_e32 v84, 5
	ds_store_2addr_b64 v76, v[44:45], v[46:47] offset1:1
	s_waitcnt lgkmcnt(0)
	s_barrier
	buffer_gl0_inv
	ds_load_2addr_b64 v[76:79], v86 offset0:10 offset1:11
	s_cmp_lt_i32 s5, 7
	s_cbranch_scc1 .LBB36_107
; %bb.105:
	v_add3_u32 v85, v91, 0, 0x60
	v_mov_b32_e32 v84, 5
	s_mov_b32 s6, 6
	s_set_inst_prefetch_distance 0x1
	.p2align	6
.LBB36_106:                             ; =>This Inner Loop Header: Depth=1
	ds_load_2addr_b64 v[93:96], v85 offset1:1
	s_waitcnt lgkmcnt(1)
	v_cmp_gt_f64_e32 vcc_lo, 0, v[76:77]
	v_xor_b32_e32 v97, 0x80000000, v77
	v_cmp_gt_f64_e64 s2, 0, v[78:79]
	v_xor_b32_e32 v99, 0x80000000, v79
	v_add_nc_u32_e32 v85, 16, v85
	s_waitcnt lgkmcnt(0)
	v_cmp_gt_f64_e64 s3, 0, v[93:94]
	v_mov_b32_e32 v101, v93
	v_dual_mov_b32 v103, v95 :: v_dual_cndmask_b32 v98, v77, v97
	v_xor_b32_e32 v97, 0x80000000, v94
	v_cndmask_b32_e64 v100, v79, v99, s2
	v_xor_b32_e32 v99, 0x80000000, v96
	s_delay_alu instid0(VALU_DEP_3) | instskip(SKIP_2) | instid1(VALU_DEP_2)
	v_cndmask_b32_e64 v102, v94, v97, s3
	v_cmp_gt_f64_e64 s3, 0, v[95:96]
	v_cndmask_b32_e32 v97, v76, v76, vcc_lo
	v_cndmask_b32_e64 v104, v96, v99, s3
	v_cndmask_b32_e64 v99, v78, v78, s2
	s_delay_alu instid0(VALU_DEP_2) | instskip(NEXT) | instid1(VALU_DEP_2)
	v_add_f64 v[101:102], v[101:102], v[103:104]
	v_add_f64 v[97:98], v[97:98], v[99:100]
	s_delay_alu instid0(VALU_DEP_1) | instskip(SKIP_4) | instid1(SALU_CYCLE_1)
	v_cmp_lt_f64_e32 vcc_lo, v[97:98], v[101:102]
	v_dual_cndmask_b32 v78, v78, v95 :: v_dual_cndmask_b32 v77, v77, v94
	v_dual_cndmask_b32 v76, v76, v93 :: v_dual_cndmask_b32 v79, v79, v96
	v_cndmask_b32_e64 v84, v84, s6, vcc_lo
	s_add_i32 s6, s6, 1
	s_cmp_lg_u32 s5, s6
	s_cbranch_scc1 .LBB36_106
.LBB36_107:
	s_set_inst_prefetch_distance 0x2
	s_waitcnt lgkmcnt(0)
	v_cmp_eq_f64_e32 vcc_lo, 0, v[76:77]
	v_cmp_eq_f64_e64 s2, 0, v[78:79]
	s_delay_alu instid0(VALU_DEP_1) | instskip(NEXT) | instid1(SALU_CYCLE_1)
	s_and_b32 s2, vcc_lo, s2
	s_and_saveexec_b32 s3, s2
	s_delay_alu instid0(SALU_CYCLE_1)
	s_xor_b32 s2, exec_lo, s3
; %bb.108:
	v_cmp_ne_u32_e32 vcc_lo, 0, v90
	v_cndmask_b32_e32 v90, 6, v90, vcc_lo
; %bb.109:
	s_and_not1_saveexec_b32 s3, s2
	s_cbranch_execz .LBB36_115
; %bb.110:
	v_cmp_gt_f64_e32 vcc_lo, 0, v[76:77]
	v_cmp_gt_f64_e64 s2, 0, v[78:79]
	v_xor_b32_e32 v85, 0x80000000, v77
	v_xor_b32_e32 v93, 0x80000000, v79
	s_delay_alu instid0(VALU_DEP_2) | instskip(NEXT) | instid1(VALU_DEP_2)
	v_cndmask_b32_e32 v94, v77, v85, vcc_lo
	v_cndmask_b32_e64 v96, v79, v93, s2
	v_cndmask_b32_e32 v93, v76, v76, vcc_lo
	v_cndmask_b32_e64 v95, v78, v78, s2
	s_mov_b32 s2, exec_lo
	s_delay_alu instid0(VALU_DEP_1)
	v_cmpx_ngt_f64_e32 v[93:94], v[95:96]
	s_xor_b32 s2, exec_lo, s2
	s_cbranch_execz .LBB36_112
; %bb.111:
	v_div_scale_f64 v[93:94], null, v[78:79], v[78:79], v[76:77]
	v_div_scale_f64 v[99:100], vcc_lo, v[76:77], v[78:79], v[76:77]
	s_delay_alu instid0(VALU_DEP_2) | instskip(SKIP_2) | instid1(VALU_DEP_1)
	v_rcp_f64_e32 v[95:96], v[93:94]
	s_waitcnt_depctr 0xfff
	v_fma_f64 v[97:98], -v[93:94], v[95:96], 1.0
	v_fma_f64 v[95:96], v[95:96], v[97:98], v[95:96]
	s_delay_alu instid0(VALU_DEP_1) | instskip(NEXT) | instid1(VALU_DEP_1)
	v_fma_f64 v[97:98], -v[93:94], v[95:96], 1.0
	v_fma_f64 v[95:96], v[95:96], v[97:98], v[95:96]
	s_delay_alu instid0(VALU_DEP_1) | instskip(NEXT) | instid1(VALU_DEP_1)
	v_mul_f64 v[97:98], v[99:100], v[95:96]
	v_fma_f64 v[93:94], -v[93:94], v[97:98], v[99:100]
	s_delay_alu instid0(VALU_DEP_1) | instskip(NEXT) | instid1(VALU_DEP_1)
	v_div_fmas_f64 v[93:94], v[93:94], v[95:96], v[97:98]
	v_div_fixup_f64 v[93:94], v[93:94], v[78:79], v[76:77]
	s_delay_alu instid0(VALU_DEP_1) | instskip(NEXT) | instid1(VALU_DEP_1)
	v_fma_f64 v[76:77], v[76:77], v[93:94], v[78:79]
	v_div_scale_f64 v[78:79], null, v[76:77], v[76:77], 1.0
	s_delay_alu instid0(VALU_DEP_1) | instskip(SKIP_2) | instid1(VALU_DEP_1)
	v_rcp_f64_e32 v[95:96], v[78:79]
	s_waitcnt_depctr 0xfff
	v_fma_f64 v[97:98], -v[78:79], v[95:96], 1.0
	v_fma_f64 v[95:96], v[95:96], v[97:98], v[95:96]
	s_delay_alu instid0(VALU_DEP_1) | instskip(NEXT) | instid1(VALU_DEP_1)
	v_fma_f64 v[97:98], -v[78:79], v[95:96], 1.0
	v_fma_f64 v[95:96], v[95:96], v[97:98], v[95:96]
	v_div_scale_f64 v[97:98], vcc_lo, 1.0, v[76:77], 1.0
	s_delay_alu instid0(VALU_DEP_1) | instskip(NEXT) | instid1(VALU_DEP_1)
	v_mul_f64 v[99:100], v[97:98], v[95:96]
	v_fma_f64 v[78:79], -v[78:79], v[99:100], v[97:98]
	s_delay_alu instid0(VALU_DEP_1) | instskip(NEXT) | instid1(VALU_DEP_1)
	v_div_fmas_f64 v[78:79], v[78:79], v[95:96], v[99:100]
	v_div_fixup_f64 v[78:79], v[78:79], v[76:77], 1.0
	s_delay_alu instid0(VALU_DEP_1)
	v_mul_f64 v[76:77], v[93:94], v[78:79]
	v_xor_b32_e32 v79, 0x80000000, v79
.LBB36_112:
	s_and_not1_saveexec_b32 s2, s2
	s_cbranch_execz .LBB36_114
; %bb.113:
	s_delay_alu instid0(VALU_DEP_1) | instskip(SKIP_1) | instid1(VALU_DEP_2)
	v_div_scale_f64 v[93:94], null, v[76:77], v[76:77], v[78:79]
	v_div_scale_f64 v[99:100], vcc_lo, v[78:79], v[76:77], v[78:79]
	v_rcp_f64_e32 v[95:96], v[93:94]
	s_waitcnt_depctr 0xfff
	v_fma_f64 v[97:98], -v[93:94], v[95:96], 1.0
	s_delay_alu instid0(VALU_DEP_1) | instskip(NEXT) | instid1(VALU_DEP_1)
	v_fma_f64 v[95:96], v[95:96], v[97:98], v[95:96]
	v_fma_f64 v[97:98], -v[93:94], v[95:96], 1.0
	s_delay_alu instid0(VALU_DEP_1) | instskip(NEXT) | instid1(VALU_DEP_1)
	v_fma_f64 v[95:96], v[95:96], v[97:98], v[95:96]
	v_mul_f64 v[97:98], v[99:100], v[95:96]
	s_delay_alu instid0(VALU_DEP_1) | instskip(NEXT) | instid1(VALU_DEP_1)
	v_fma_f64 v[93:94], -v[93:94], v[97:98], v[99:100]
	v_div_fmas_f64 v[93:94], v[93:94], v[95:96], v[97:98]
	s_delay_alu instid0(VALU_DEP_1) | instskip(NEXT) | instid1(VALU_DEP_1)
	v_div_fixup_f64 v[93:94], v[93:94], v[76:77], v[78:79]
	v_fma_f64 v[76:77], v[78:79], v[93:94], v[76:77]
	s_delay_alu instid0(VALU_DEP_1) | instskip(NEXT) | instid1(VALU_DEP_1)
	v_div_scale_f64 v[78:79], null, v[76:77], v[76:77], 1.0
	v_rcp_f64_e32 v[95:96], v[78:79]
	s_waitcnt_depctr 0xfff
	v_fma_f64 v[97:98], -v[78:79], v[95:96], 1.0
	s_delay_alu instid0(VALU_DEP_1) | instskip(NEXT) | instid1(VALU_DEP_1)
	v_fma_f64 v[95:96], v[95:96], v[97:98], v[95:96]
	v_fma_f64 v[97:98], -v[78:79], v[95:96], 1.0
	s_delay_alu instid0(VALU_DEP_1) | instskip(SKIP_1) | instid1(VALU_DEP_1)
	v_fma_f64 v[95:96], v[95:96], v[97:98], v[95:96]
	v_div_scale_f64 v[97:98], vcc_lo, 1.0, v[76:77], 1.0
	v_mul_f64 v[99:100], v[97:98], v[95:96]
	s_delay_alu instid0(VALU_DEP_1) | instskip(NEXT) | instid1(VALU_DEP_1)
	v_fma_f64 v[78:79], -v[78:79], v[99:100], v[97:98]
	v_div_fmas_f64 v[78:79], v[78:79], v[95:96], v[99:100]
	s_delay_alu instid0(VALU_DEP_1) | instskip(NEXT) | instid1(VALU_DEP_1)
	v_div_fixup_f64 v[76:77], v[78:79], v[76:77], 1.0
	v_mul_f64 v[78:79], v[93:94], -v[76:77]
.LBB36_114:
	s_or_b32 exec_lo, exec_lo, s2
.LBB36_115:
	s_delay_alu instid0(SALU_CYCLE_1) | instskip(NEXT) | instid1(SALU_CYCLE_1)
	s_or_b32 exec_lo, exec_lo, s3
	s_mov_b32 s2, exec_lo
	v_cmpx_ne_u32_e64 v92, v84
	s_xor_b32 s2, exec_lo, s2
	s_cbranch_execz .LBB36_121
; %bb.116:
	s_mov_b32 s3, exec_lo
	v_cmpx_eq_u32_e32 5, v92
	s_cbranch_execz .LBB36_120
; %bb.117:
	v_cmp_ne_u32_e32 vcc_lo, 5, v84
	s_xor_b32 s6, s4, -1
	s_delay_alu instid0(SALU_CYCLE_1) | instskip(NEXT) | instid1(SALU_CYCLE_1)
	s_and_b32 s7, s6, vcc_lo
	s_and_saveexec_b32 s6, s7
	s_cbranch_execz .LBB36_119
; %bb.118:
	v_ashrrev_i32_e32 v85, 31, v84
	s_delay_alu instid0(VALU_DEP_1) | instskip(NEXT) | instid1(VALU_DEP_1)
	v_lshlrev_b64 v[92:93], 2, v[84:85]
	v_add_co_u32 v92, vcc_lo, v82, v92
	s_delay_alu instid0(VALU_DEP_2)
	v_add_co_ci_u32_e32 v93, vcc_lo, v83, v93, vcc_lo
	s_clause 0x1
	flat_load_b32 v85, v[92:93]
	flat_load_b32 v89, v[82:83] offset:20
	s_waitcnt vmcnt(1) lgkmcnt(1)
	flat_store_b32 v[82:83], v85 offset:20
	s_waitcnt vmcnt(0) lgkmcnt(1)
	flat_store_b32 v[92:93], v89
.LBB36_119:
	s_or_b32 exec_lo, exec_lo, s6
	v_mov_b32_e32 v92, v84
	v_mov_b32_e32 v89, v84
.LBB36_120:
	s_or_b32 exec_lo, exec_lo, s3
.LBB36_121:
	s_and_not1_saveexec_b32 s2, s2
	s_cbranch_execz .LBB36_123
; %bb.122:
	v_mov_b32_e32 v92, 5
	ds_store_2addr_b64 v86, v[56:57], v[58:59] offset0:12 offset1:13
	ds_store_2addr_b64 v86, v[40:41], v[42:43] offset0:14 offset1:15
	;; [unrolled: 1-line block ×13, first 2 shown]
.LBB36_123:
	s_or_b32 exec_lo, exec_lo, s2
	s_delay_alu instid0(SALU_CYCLE_1)
	s_mov_b32 s2, exec_lo
	s_waitcnt lgkmcnt(0)
	s_waitcnt_vscnt null, 0x0
	s_barrier
	buffer_gl0_inv
	v_cmpx_lt_i32_e32 5, v92
	s_cbranch_execz .LBB36_125
; %bb.124:
	v_mul_f64 v[84:85], v[76:77], v[46:47]
	v_mul_f64 v[46:47], v[78:79], v[46:47]
	ds_load_2addr_b64 v[93:96], v86 offset0:12 offset1:13
	ds_load_2addr_b64 v[97:100], v86 offset0:14 offset1:15
	;; [unrolled: 1-line block ×13, first 2 shown]
	v_fma_f64 v[78:79], v[78:79], v[44:45], v[84:85]
	v_fma_f64 v[44:45], v[76:77], v[44:45], -v[46:47]
	s_waitcnt lgkmcnt(12)
	s_delay_alu instid0(VALU_DEP_2)
	v_mul_f64 v[46:47], v[95:96], v[78:79]
	v_mul_f64 v[76:77], v[93:94], v[78:79]
	s_waitcnt lgkmcnt(11)
	v_mul_f64 v[84:85], v[99:100], v[78:79]
	v_mul_f64 v[145:146], v[97:98], v[78:79]
	s_waitcnt lgkmcnt(10)
	;; [unrolled: 3-line block ×12, first 2 shown]
	v_mul_f64 v[187:188], v[143:144], v[78:79]
	v_mul_f64 v[189:190], v[141:142], v[78:79]
	v_fma_f64 v[46:47], v[93:94], v[44:45], -v[46:47]
	v_fma_f64 v[76:77], v[95:96], v[44:45], v[76:77]
	v_fma_f64 v[84:85], v[97:98], v[44:45], -v[84:85]
	v_fma_f64 v[93:94], v[99:100], v[44:45], v[145:146]
	v_fma_f64 v[95:96], v[101:102], v[44:45], -v[147:148]
	v_fma_f64 v[97:98], v[103:104], v[44:45], v[149:150]
	v_fma_f64 v[99:100], v[105:106], v[44:45], -v[151:152]
	v_fma_f64 v[101:102], v[107:108], v[44:45], v[153:154]
	v_fma_f64 v[103:104], v[109:110], v[44:45], -v[155:156]
	v_fma_f64 v[105:106], v[111:112], v[44:45], v[157:158]
	v_fma_f64 v[107:108], v[113:114], v[44:45], -v[159:160]
	v_fma_f64 v[109:110], v[115:116], v[44:45], v[161:162]
	v_fma_f64 v[111:112], v[117:118], v[44:45], -v[163:164]
	v_fma_f64 v[113:114], v[119:120], v[44:45], v[165:166]
	v_fma_f64 v[115:116], v[121:122], v[44:45], -v[167:168]
	v_fma_f64 v[117:118], v[123:124], v[44:45], v[169:170]
	v_fma_f64 v[119:120], v[125:126], v[44:45], -v[171:172]
	v_fma_f64 v[121:122], v[127:128], v[44:45], v[173:174]
	v_fma_f64 v[123:124], v[129:130], v[44:45], -v[175:176]
	v_fma_f64 v[125:126], v[131:132], v[44:45], v[177:178]
	v_fma_f64 v[127:128], v[133:134], v[44:45], -v[179:180]
	v_fma_f64 v[129:130], v[135:136], v[44:45], v[181:182]
	v_fma_f64 v[131:132], v[137:138], v[44:45], -v[183:184]
	v_fma_f64 v[133:134], v[139:140], v[44:45], v[185:186]
	v_fma_f64 v[135:136], v[141:142], v[44:45], -v[187:188]
	v_fma_f64 v[137:138], v[143:144], v[44:45], v[189:190]
	v_add_f64 v[56:57], v[56:57], -v[46:47]
	v_add_f64 v[58:59], v[58:59], -v[76:77]
	;; [unrolled: 1-line block ×26, first 2 shown]
	v_dual_mov_b32 v46, v78 :: v_dual_mov_b32 v47, v79
.LBB36_125:
	s_or_b32 exec_lo, exec_lo, s2
	v_lshl_add_u32 v76, v92, 4, v86
	s_barrier
	buffer_gl0_inv
	v_mov_b32_e32 v84, 6
	ds_store_2addr_b64 v76, v[56:57], v[58:59] offset1:1
	s_waitcnt lgkmcnt(0)
	s_barrier
	buffer_gl0_inv
	ds_load_2addr_b64 v[76:79], v86 offset0:12 offset1:13
	s_cmp_lt_i32 s5, 8
	s_cbranch_scc1 .LBB36_128
; %bb.126:
	v_add3_u32 v85, v91, 0, 0x70
	v_mov_b32_e32 v84, 6
	s_mov_b32 s6, 7
	s_set_inst_prefetch_distance 0x1
	.p2align	6
.LBB36_127:                             ; =>This Inner Loop Header: Depth=1
	ds_load_2addr_b64 v[93:96], v85 offset1:1
	s_waitcnt lgkmcnt(1)
	v_cmp_gt_f64_e32 vcc_lo, 0, v[76:77]
	v_xor_b32_e32 v97, 0x80000000, v77
	v_cmp_gt_f64_e64 s2, 0, v[78:79]
	v_xor_b32_e32 v99, 0x80000000, v79
	v_add_nc_u32_e32 v85, 16, v85
	s_waitcnt lgkmcnt(0)
	v_cmp_gt_f64_e64 s3, 0, v[93:94]
	v_mov_b32_e32 v101, v93
	v_dual_mov_b32 v103, v95 :: v_dual_cndmask_b32 v98, v77, v97
	v_xor_b32_e32 v97, 0x80000000, v94
	v_cndmask_b32_e64 v100, v79, v99, s2
	v_xor_b32_e32 v99, 0x80000000, v96
	s_delay_alu instid0(VALU_DEP_3) | instskip(SKIP_2) | instid1(VALU_DEP_2)
	v_cndmask_b32_e64 v102, v94, v97, s3
	v_cmp_gt_f64_e64 s3, 0, v[95:96]
	v_cndmask_b32_e32 v97, v76, v76, vcc_lo
	v_cndmask_b32_e64 v104, v96, v99, s3
	v_cndmask_b32_e64 v99, v78, v78, s2
	s_delay_alu instid0(VALU_DEP_2) | instskip(NEXT) | instid1(VALU_DEP_2)
	v_add_f64 v[101:102], v[101:102], v[103:104]
	v_add_f64 v[97:98], v[97:98], v[99:100]
	s_delay_alu instid0(VALU_DEP_1) | instskip(SKIP_4) | instid1(SALU_CYCLE_1)
	v_cmp_lt_f64_e32 vcc_lo, v[97:98], v[101:102]
	v_dual_cndmask_b32 v78, v78, v95 :: v_dual_cndmask_b32 v77, v77, v94
	v_dual_cndmask_b32 v76, v76, v93 :: v_dual_cndmask_b32 v79, v79, v96
	v_cndmask_b32_e64 v84, v84, s6, vcc_lo
	s_add_i32 s6, s6, 1
	s_cmp_lg_u32 s5, s6
	s_cbranch_scc1 .LBB36_127
.LBB36_128:
	s_set_inst_prefetch_distance 0x2
	s_waitcnt lgkmcnt(0)
	v_cmp_eq_f64_e32 vcc_lo, 0, v[76:77]
	v_cmp_eq_f64_e64 s2, 0, v[78:79]
	s_delay_alu instid0(VALU_DEP_1) | instskip(NEXT) | instid1(SALU_CYCLE_1)
	s_and_b32 s2, vcc_lo, s2
	s_and_saveexec_b32 s3, s2
	s_delay_alu instid0(SALU_CYCLE_1)
	s_xor_b32 s2, exec_lo, s3
; %bb.129:
	v_cmp_ne_u32_e32 vcc_lo, 0, v90
	v_cndmask_b32_e32 v90, 7, v90, vcc_lo
; %bb.130:
	s_and_not1_saveexec_b32 s3, s2
	s_cbranch_execz .LBB36_136
; %bb.131:
	v_cmp_gt_f64_e32 vcc_lo, 0, v[76:77]
	v_cmp_gt_f64_e64 s2, 0, v[78:79]
	v_xor_b32_e32 v85, 0x80000000, v77
	v_xor_b32_e32 v93, 0x80000000, v79
	s_delay_alu instid0(VALU_DEP_2) | instskip(NEXT) | instid1(VALU_DEP_2)
	v_cndmask_b32_e32 v94, v77, v85, vcc_lo
	v_cndmask_b32_e64 v96, v79, v93, s2
	v_cndmask_b32_e32 v93, v76, v76, vcc_lo
	v_cndmask_b32_e64 v95, v78, v78, s2
	s_mov_b32 s2, exec_lo
	s_delay_alu instid0(VALU_DEP_1)
	v_cmpx_ngt_f64_e32 v[93:94], v[95:96]
	s_xor_b32 s2, exec_lo, s2
	s_cbranch_execz .LBB36_133
; %bb.132:
	v_div_scale_f64 v[93:94], null, v[78:79], v[78:79], v[76:77]
	v_div_scale_f64 v[99:100], vcc_lo, v[76:77], v[78:79], v[76:77]
	s_delay_alu instid0(VALU_DEP_2) | instskip(SKIP_2) | instid1(VALU_DEP_1)
	v_rcp_f64_e32 v[95:96], v[93:94]
	s_waitcnt_depctr 0xfff
	v_fma_f64 v[97:98], -v[93:94], v[95:96], 1.0
	v_fma_f64 v[95:96], v[95:96], v[97:98], v[95:96]
	s_delay_alu instid0(VALU_DEP_1) | instskip(NEXT) | instid1(VALU_DEP_1)
	v_fma_f64 v[97:98], -v[93:94], v[95:96], 1.0
	v_fma_f64 v[95:96], v[95:96], v[97:98], v[95:96]
	s_delay_alu instid0(VALU_DEP_1) | instskip(NEXT) | instid1(VALU_DEP_1)
	v_mul_f64 v[97:98], v[99:100], v[95:96]
	v_fma_f64 v[93:94], -v[93:94], v[97:98], v[99:100]
	s_delay_alu instid0(VALU_DEP_1) | instskip(NEXT) | instid1(VALU_DEP_1)
	v_div_fmas_f64 v[93:94], v[93:94], v[95:96], v[97:98]
	v_div_fixup_f64 v[93:94], v[93:94], v[78:79], v[76:77]
	s_delay_alu instid0(VALU_DEP_1) | instskip(NEXT) | instid1(VALU_DEP_1)
	v_fma_f64 v[76:77], v[76:77], v[93:94], v[78:79]
	v_div_scale_f64 v[78:79], null, v[76:77], v[76:77], 1.0
	s_delay_alu instid0(VALU_DEP_1) | instskip(SKIP_2) | instid1(VALU_DEP_1)
	v_rcp_f64_e32 v[95:96], v[78:79]
	s_waitcnt_depctr 0xfff
	v_fma_f64 v[97:98], -v[78:79], v[95:96], 1.0
	v_fma_f64 v[95:96], v[95:96], v[97:98], v[95:96]
	s_delay_alu instid0(VALU_DEP_1) | instskip(NEXT) | instid1(VALU_DEP_1)
	v_fma_f64 v[97:98], -v[78:79], v[95:96], 1.0
	v_fma_f64 v[95:96], v[95:96], v[97:98], v[95:96]
	v_div_scale_f64 v[97:98], vcc_lo, 1.0, v[76:77], 1.0
	s_delay_alu instid0(VALU_DEP_1) | instskip(NEXT) | instid1(VALU_DEP_1)
	v_mul_f64 v[99:100], v[97:98], v[95:96]
	v_fma_f64 v[78:79], -v[78:79], v[99:100], v[97:98]
	s_delay_alu instid0(VALU_DEP_1) | instskip(NEXT) | instid1(VALU_DEP_1)
	v_div_fmas_f64 v[78:79], v[78:79], v[95:96], v[99:100]
	v_div_fixup_f64 v[78:79], v[78:79], v[76:77], 1.0
	s_delay_alu instid0(VALU_DEP_1)
	v_mul_f64 v[76:77], v[93:94], v[78:79]
	v_xor_b32_e32 v79, 0x80000000, v79
.LBB36_133:
	s_and_not1_saveexec_b32 s2, s2
	s_cbranch_execz .LBB36_135
; %bb.134:
	s_delay_alu instid0(VALU_DEP_1) | instskip(SKIP_1) | instid1(VALU_DEP_2)
	v_div_scale_f64 v[93:94], null, v[76:77], v[76:77], v[78:79]
	v_div_scale_f64 v[99:100], vcc_lo, v[78:79], v[76:77], v[78:79]
	v_rcp_f64_e32 v[95:96], v[93:94]
	s_waitcnt_depctr 0xfff
	v_fma_f64 v[97:98], -v[93:94], v[95:96], 1.0
	s_delay_alu instid0(VALU_DEP_1) | instskip(NEXT) | instid1(VALU_DEP_1)
	v_fma_f64 v[95:96], v[95:96], v[97:98], v[95:96]
	v_fma_f64 v[97:98], -v[93:94], v[95:96], 1.0
	s_delay_alu instid0(VALU_DEP_1) | instskip(NEXT) | instid1(VALU_DEP_1)
	v_fma_f64 v[95:96], v[95:96], v[97:98], v[95:96]
	v_mul_f64 v[97:98], v[99:100], v[95:96]
	s_delay_alu instid0(VALU_DEP_1) | instskip(NEXT) | instid1(VALU_DEP_1)
	v_fma_f64 v[93:94], -v[93:94], v[97:98], v[99:100]
	v_div_fmas_f64 v[93:94], v[93:94], v[95:96], v[97:98]
	s_delay_alu instid0(VALU_DEP_1) | instskip(NEXT) | instid1(VALU_DEP_1)
	v_div_fixup_f64 v[93:94], v[93:94], v[76:77], v[78:79]
	v_fma_f64 v[76:77], v[78:79], v[93:94], v[76:77]
	s_delay_alu instid0(VALU_DEP_1) | instskip(NEXT) | instid1(VALU_DEP_1)
	v_div_scale_f64 v[78:79], null, v[76:77], v[76:77], 1.0
	v_rcp_f64_e32 v[95:96], v[78:79]
	s_waitcnt_depctr 0xfff
	v_fma_f64 v[97:98], -v[78:79], v[95:96], 1.0
	s_delay_alu instid0(VALU_DEP_1) | instskip(NEXT) | instid1(VALU_DEP_1)
	v_fma_f64 v[95:96], v[95:96], v[97:98], v[95:96]
	v_fma_f64 v[97:98], -v[78:79], v[95:96], 1.0
	s_delay_alu instid0(VALU_DEP_1) | instskip(SKIP_1) | instid1(VALU_DEP_1)
	v_fma_f64 v[95:96], v[95:96], v[97:98], v[95:96]
	v_div_scale_f64 v[97:98], vcc_lo, 1.0, v[76:77], 1.0
	v_mul_f64 v[99:100], v[97:98], v[95:96]
	s_delay_alu instid0(VALU_DEP_1) | instskip(NEXT) | instid1(VALU_DEP_1)
	v_fma_f64 v[78:79], -v[78:79], v[99:100], v[97:98]
	v_div_fmas_f64 v[78:79], v[78:79], v[95:96], v[99:100]
	s_delay_alu instid0(VALU_DEP_1) | instskip(NEXT) | instid1(VALU_DEP_1)
	v_div_fixup_f64 v[76:77], v[78:79], v[76:77], 1.0
	v_mul_f64 v[78:79], v[93:94], -v[76:77]
.LBB36_135:
	s_or_b32 exec_lo, exec_lo, s2
.LBB36_136:
	s_delay_alu instid0(SALU_CYCLE_1) | instskip(NEXT) | instid1(SALU_CYCLE_1)
	s_or_b32 exec_lo, exec_lo, s3
	s_mov_b32 s2, exec_lo
	v_cmpx_ne_u32_e64 v92, v84
	s_xor_b32 s2, exec_lo, s2
	s_cbranch_execz .LBB36_142
; %bb.137:
	s_mov_b32 s3, exec_lo
	v_cmpx_eq_u32_e32 6, v92
	s_cbranch_execz .LBB36_141
; %bb.138:
	v_cmp_ne_u32_e32 vcc_lo, 6, v84
	s_xor_b32 s6, s4, -1
	s_delay_alu instid0(SALU_CYCLE_1) | instskip(NEXT) | instid1(SALU_CYCLE_1)
	s_and_b32 s7, s6, vcc_lo
	s_and_saveexec_b32 s6, s7
	s_cbranch_execz .LBB36_140
; %bb.139:
	v_ashrrev_i32_e32 v85, 31, v84
	s_delay_alu instid0(VALU_DEP_1) | instskip(NEXT) | instid1(VALU_DEP_1)
	v_lshlrev_b64 v[92:93], 2, v[84:85]
	v_add_co_u32 v92, vcc_lo, v82, v92
	s_delay_alu instid0(VALU_DEP_2)
	v_add_co_ci_u32_e32 v93, vcc_lo, v83, v93, vcc_lo
	s_clause 0x1
	flat_load_b32 v85, v[92:93]
	flat_load_b32 v89, v[82:83] offset:24
	s_waitcnt vmcnt(1) lgkmcnt(1)
	flat_store_b32 v[82:83], v85 offset:24
	s_waitcnt vmcnt(0) lgkmcnt(1)
	flat_store_b32 v[92:93], v89
.LBB36_140:
	s_or_b32 exec_lo, exec_lo, s6
	v_mov_b32_e32 v92, v84
	v_mov_b32_e32 v89, v84
.LBB36_141:
	s_or_b32 exec_lo, exec_lo, s3
.LBB36_142:
	s_and_not1_saveexec_b32 s2, s2
	s_cbranch_execz .LBB36_144
; %bb.143:
	v_mov_b32_e32 v92, 6
	ds_store_2addr_b64 v86, v[40:41], v[42:43] offset0:14 offset1:15
	ds_store_2addr_b64 v86, v[52:53], v[54:55] offset0:16 offset1:17
	;; [unrolled: 1-line block ×12, first 2 shown]
.LBB36_144:
	s_or_b32 exec_lo, exec_lo, s2
	s_delay_alu instid0(SALU_CYCLE_1)
	s_mov_b32 s2, exec_lo
	s_waitcnt lgkmcnt(0)
	s_waitcnt_vscnt null, 0x0
	s_barrier
	buffer_gl0_inv
	v_cmpx_lt_i32_e32 6, v92
	s_cbranch_execz .LBB36_146
; %bb.145:
	v_mul_f64 v[84:85], v[76:77], v[58:59]
	v_mul_f64 v[58:59], v[78:79], v[58:59]
	ds_load_2addr_b64 v[93:96], v86 offset0:14 offset1:15
	ds_load_2addr_b64 v[97:100], v86 offset0:16 offset1:17
	;; [unrolled: 1-line block ×12, first 2 shown]
	v_fma_f64 v[78:79], v[78:79], v[56:57], v[84:85]
	v_fma_f64 v[56:57], v[76:77], v[56:57], -v[58:59]
	s_waitcnt lgkmcnt(11)
	s_delay_alu instid0(VALU_DEP_2)
	v_mul_f64 v[58:59], v[95:96], v[78:79]
	v_mul_f64 v[76:77], v[93:94], v[78:79]
	s_waitcnt lgkmcnt(10)
	v_mul_f64 v[84:85], v[99:100], v[78:79]
	v_mul_f64 v[141:142], v[97:98], v[78:79]
	s_waitcnt lgkmcnt(9)
	;; [unrolled: 3-line block ×11, first 2 shown]
	v_mul_f64 v[179:180], v[139:140], v[78:79]
	v_mul_f64 v[181:182], v[137:138], v[78:79]
	v_fma_f64 v[58:59], v[93:94], v[56:57], -v[58:59]
	v_fma_f64 v[76:77], v[95:96], v[56:57], v[76:77]
	v_fma_f64 v[84:85], v[97:98], v[56:57], -v[84:85]
	v_fma_f64 v[93:94], v[99:100], v[56:57], v[141:142]
	;; [unrolled: 2-line block ×12, first 2 shown]
	v_add_f64 v[40:41], v[40:41], -v[58:59]
	v_add_f64 v[42:43], v[42:43], -v[76:77]
	;; [unrolled: 1-line block ×24, first 2 shown]
	v_dual_mov_b32 v58, v78 :: v_dual_mov_b32 v59, v79
.LBB36_146:
	s_or_b32 exec_lo, exec_lo, s2
	v_lshl_add_u32 v76, v92, 4, v86
	s_barrier
	buffer_gl0_inv
	v_mov_b32_e32 v84, 7
	ds_store_2addr_b64 v76, v[40:41], v[42:43] offset1:1
	s_waitcnt lgkmcnt(0)
	s_barrier
	buffer_gl0_inv
	ds_load_2addr_b64 v[76:79], v86 offset0:14 offset1:15
	s_cmp_lt_i32 s5, 9
	s_cbranch_scc1 .LBB36_149
; %bb.147:
	v_add3_u32 v85, v91, 0, 0x80
	v_mov_b32_e32 v84, 7
	s_mov_b32 s6, 8
	s_set_inst_prefetch_distance 0x1
	.p2align	6
.LBB36_148:                             ; =>This Inner Loop Header: Depth=1
	ds_load_2addr_b64 v[93:96], v85 offset1:1
	s_waitcnt lgkmcnt(1)
	v_cmp_gt_f64_e32 vcc_lo, 0, v[76:77]
	v_xor_b32_e32 v97, 0x80000000, v77
	v_cmp_gt_f64_e64 s2, 0, v[78:79]
	v_xor_b32_e32 v99, 0x80000000, v79
	v_add_nc_u32_e32 v85, 16, v85
	s_waitcnt lgkmcnt(0)
	v_cmp_gt_f64_e64 s3, 0, v[93:94]
	v_mov_b32_e32 v101, v93
	v_dual_mov_b32 v103, v95 :: v_dual_cndmask_b32 v98, v77, v97
	v_xor_b32_e32 v97, 0x80000000, v94
	v_cndmask_b32_e64 v100, v79, v99, s2
	v_xor_b32_e32 v99, 0x80000000, v96
	s_delay_alu instid0(VALU_DEP_3) | instskip(SKIP_2) | instid1(VALU_DEP_2)
	v_cndmask_b32_e64 v102, v94, v97, s3
	v_cmp_gt_f64_e64 s3, 0, v[95:96]
	v_cndmask_b32_e32 v97, v76, v76, vcc_lo
	v_cndmask_b32_e64 v104, v96, v99, s3
	v_cndmask_b32_e64 v99, v78, v78, s2
	s_delay_alu instid0(VALU_DEP_2) | instskip(NEXT) | instid1(VALU_DEP_2)
	v_add_f64 v[101:102], v[101:102], v[103:104]
	v_add_f64 v[97:98], v[97:98], v[99:100]
	s_delay_alu instid0(VALU_DEP_1) | instskip(SKIP_4) | instid1(SALU_CYCLE_1)
	v_cmp_lt_f64_e32 vcc_lo, v[97:98], v[101:102]
	v_dual_cndmask_b32 v78, v78, v95 :: v_dual_cndmask_b32 v77, v77, v94
	v_dual_cndmask_b32 v76, v76, v93 :: v_dual_cndmask_b32 v79, v79, v96
	v_cndmask_b32_e64 v84, v84, s6, vcc_lo
	s_add_i32 s6, s6, 1
	s_cmp_lg_u32 s5, s6
	s_cbranch_scc1 .LBB36_148
.LBB36_149:
	s_set_inst_prefetch_distance 0x2
	s_waitcnt lgkmcnt(0)
	v_cmp_eq_f64_e32 vcc_lo, 0, v[76:77]
	v_cmp_eq_f64_e64 s2, 0, v[78:79]
	s_delay_alu instid0(VALU_DEP_1) | instskip(NEXT) | instid1(SALU_CYCLE_1)
	s_and_b32 s2, vcc_lo, s2
	s_and_saveexec_b32 s3, s2
	s_delay_alu instid0(SALU_CYCLE_1)
	s_xor_b32 s2, exec_lo, s3
; %bb.150:
	v_cmp_ne_u32_e32 vcc_lo, 0, v90
	v_cndmask_b32_e32 v90, 8, v90, vcc_lo
; %bb.151:
	s_and_not1_saveexec_b32 s3, s2
	s_cbranch_execz .LBB36_157
; %bb.152:
	v_cmp_gt_f64_e32 vcc_lo, 0, v[76:77]
	v_cmp_gt_f64_e64 s2, 0, v[78:79]
	v_xor_b32_e32 v85, 0x80000000, v77
	v_xor_b32_e32 v93, 0x80000000, v79
	s_delay_alu instid0(VALU_DEP_2) | instskip(NEXT) | instid1(VALU_DEP_2)
	v_cndmask_b32_e32 v94, v77, v85, vcc_lo
	v_cndmask_b32_e64 v96, v79, v93, s2
	v_cndmask_b32_e32 v93, v76, v76, vcc_lo
	v_cndmask_b32_e64 v95, v78, v78, s2
	s_mov_b32 s2, exec_lo
	s_delay_alu instid0(VALU_DEP_1)
	v_cmpx_ngt_f64_e32 v[93:94], v[95:96]
	s_xor_b32 s2, exec_lo, s2
	s_cbranch_execz .LBB36_154
; %bb.153:
	v_div_scale_f64 v[93:94], null, v[78:79], v[78:79], v[76:77]
	v_div_scale_f64 v[99:100], vcc_lo, v[76:77], v[78:79], v[76:77]
	s_delay_alu instid0(VALU_DEP_2) | instskip(SKIP_2) | instid1(VALU_DEP_1)
	v_rcp_f64_e32 v[95:96], v[93:94]
	s_waitcnt_depctr 0xfff
	v_fma_f64 v[97:98], -v[93:94], v[95:96], 1.0
	v_fma_f64 v[95:96], v[95:96], v[97:98], v[95:96]
	s_delay_alu instid0(VALU_DEP_1) | instskip(NEXT) | instid1(VALU_DEP_1)
	v_fma_f64 v[97:98], -v[93:94], v[95:96], 1.0
	v_fma_f64 v[95:96], v[95:96], v[97:98], v[95:96]
	s_delay_alu instid0(VALU_DEP_1) | instskip(NEXT) | instid1(VALU_DEP_1)
	v_mul_f64 v[97:98], v[99:100], v[95:96]
	v_fma_f64 v[93:94], -v[93:94], v[97:98], v[99:100]
	s_delay_alu instid0(VALU_DEP_1) | instskip(NEXT) | instid1(VALU_DEP_1)
	v_div_fmas_f64 v[93:94], v[93:94], v[95:96], v[97:98]
	v_div_fixup_f64 v[93:94], v[93:94], v[78:79], v[76:77]
	s_delay_alu instid0(VALU_DEP_1) | instskip(NEXT) | instid1(VALU_DEP_1)
	v_fma_f64 v[76:77], v[76:77], v[93:94], v[78:79]
	v_div_scale_f64 v[78:79], null, v[76:77], v[76:77], 1.0
	s_delay_alu instid0(VALU_DEP_1) | instskip(SKIP_2) | instid1(VALU_DEP_1)
	v_rcp_f64_e32 v[95:96], v[78:79]
	s_waitcnt_depctr 0xfff
	v_fma_f64 v[97:98], -v[78:79], v[95:96], 1.0
	v_fma_f64 v[95:96], v[95:96], v[97:98], v[95:96]
	s_delay_alu instid0(VALU_DEP_1) | instskip(NEXT) | instid1(VALU_DEP_1)
	v_fma_f64 v[97:98], -v[78:79], v[95:96], 1.0
	v_fma_f64 v[95:96], v[95:96], v[97:98], v[95:96]
	v_div_scale_f64 v[97:98], vcc_lo, 1.0, v[76:77], 1.0
	s_delay_alu instid0(VALU_DEP_1) | instskip(NEXT) | instid1(VALU_DEP_1)
	v_mul_f64 v[99:100], v[97:98], v[95:96]
	v_fma_f64 v[78:79], -v[78:79], v[99:100], v[97:98]
	s_delay_alu instid0(VALU_DEP_1) | instskip(NEXT) | instid1(VALU_DEP_1)
	v_div_fmas_f64 v[78:79], v[78:79], v[95:96], v[99:100]
	v_div_fixup_f64 v[78:79], v[78:79], v[76:77], 1.0
	s_delay_alu instid0(VALU_DEP_1)
	v_mul_f64 v[76:77], v[93:94], v[78:79]
	v_xor_b32_e32 v79, 0x80000000, v79
.LBB36_154:
	s_and_not1_saveexec_b32 s2, s2
	s_cbranch_execz .LBB36_156
; %bb.155:
	s_delay_alu instid0(VALU_DEP_1) | instskip(SKIP_1) | instid1(VALU_DEP_2)
	v_div_scale_f64 v[93:94], null, v[76:77], v[76:77], v[78:79]
	v_div_scale_f64 v[99:100], vcc_lo, v[78:79], v[76:77], v[78:79]
	v_rcp_f64_e32 v[95:96], v[93:94]
	s_waitcnt_depctr 0xfff
	v_fma_f64 v[97:98], -v[93:94], v[95:96], 1.0
	s_delay_alu instid0(VALU_DEP_1) | instskip(NEXT) | instid1(VALU_DEP_1)
	v_fma_f64 v[95:96], v[95:96], v[97:98], v[95:96]
	v_fma_f64 v[97:98], -v[93:94], v[95:96], 1.0
	s_delay_alu instid0(VALU_DEP_1) | instskip(NEXT) | instid1(VALU_DEP_1)
	v_fma_f64 v[95:96], v[95:96], v[97:98], v[95:96]
	v_mul_f64 v[97:98], v[99:100], v[95:96]
	s_delay_alu instid0(VALU_DEP_1) | instskip(NEXT) | instid1(VALU_DEP_1)
	v_fma_f64 v[93:94], -v[93:94], v[97:98], v[99:100]
	v_div_fmas_f64 v[93:94], v[93:94], v[95:96], v[97:98]
	s_delay_alu instid0(VALU_DEP_1) | instskip(NEXT) | instid1(VALU_DEP_1)
	v_div_fixup_f64 v[93:94], v[93:94], v[76:77], v[78:79]
	v_fma_f64 v[76:77], v[78:79], v[93:94], v[76:77]
	s_delay_alu instid0(VALU_DEP_1) | instskip(NEXT) | instid1(VALU_DEP_1)
	v_div_scale_f64 v[78:79], null, v[76:77], v[76:77], 1.0
	v_rcp_f64_e32 v[95:96], v[78:79]
	s_waitcnt_depctr 0xfff
	v_fma_f64 v[97:98], -v[78:79], v[95:96], 1.0
	s_delay_alu instid0(VALU_DEP_1) | instskip(NEXT) | instid1(VALU_DEP_1)
	v_fma_f64 v[95:96], v[95:96], v[97:98], v[95:96]
	v_fma_f64 v[97:98], -v[78:79], v[95:96], 1.0
	s_delay_alu instid0(VALU_DEP_1) | instskip(SKIP_1) | instid1(VALU_DEP_1)
	v_fma_f64 v[95:96], v[95:96], v[97:98], v[95:96]
	v_div_scale_f64 v[97:98], vcc_lo, 1.0, v[76:77], 1.0
	v_mul_f64 v[99:100], v[97:98], v[95:96]
	s_delay_alu instid0(VALU_DEP_1) | instskip(NEXT) | instid1(VALU_DEP_1)
	v_fma_f64 v[78:79], -v[78:79], v[99:100], v[97:98]
	v_div_fmas_f64 v[78:79], v[78:79], v[95:96], v[99:100]
	s_delay_alu instid0(VALU_DEP_1) | instskip(NEXT) | instid1(VALU_DEP_1)
	v_div_fixup_f64 v[76:77], v[78:79], v[76:77], 1.0
	v_mul_f64 v[78:79], v[93:94], -v[76:77]
.LBB36_156:
	s_or_b32 exec_lo, exec_lo, s2
.LBB36_157:
	s_delay_alu instid0(SALU_CYCLE_1) | instskip(NEXT) | instid1(SALU_CYCLE_1)
	s_or_b32 exec_lo, exec_lo, s3
	s_mov_b32 s2, exec_lo
	v_cmpx_ne_u32_e64 v92, v84
	s_xor_b32 s2, exec_lo, s2
	s_cbranch_execz .LBB36_163
; %bb.158:
	s_mov_b32 s3, exec_lo
	v_cmpx_eq_u32_e32 7, v92
	s_cbranch_execz .LBB36_162
; %bb.159:
	v_cmp_ne_u32_e32 vcc_lo, 7, v84
	s_xor_b32 s6, s4, -1
	s_delay_alu instid0(SALU_CYCLE_1) | instskip(NEXT) | instid1(SALU_CYCLE_1)
	s_and_b32 s7, s6, vcc_lo
	s_and_saveexec_b32 s6, s7
	s_cbranch_execz .LBB36_161
; %bb.160:
	v_ashrrev_i32_e32 v85, 31, v84
	s_delay_alu instid0(VALU_DEP_1) | instskip(NEXT) | instid1(VALU_DEP_1)
	v_lshlrev_b64 v[92:93], 2, v[84:85]
	v_add_co_u32 v92, vcc_lo, v82, v92
	s_delay_alu instid0(VALU_DEP_2)
	v_add_co_ci_u32_e32 v93, vcc_lo, v83, v93, vcc_lo
	s_clause 0x1
	flat_load_b32 v85, v[92:93]
	flat_load_b32 v89, v[82:83] offset:28
	s_waitcnt vmcnt(1) lgkmcnt(1)
	flat_store_b32 v[82:83], v85 offset:28
	s_waitcnt vmcnt(0) lgkmcnt(1)
	flat_store_b32 v[92:93], v89
.LBB36_161:
	s_or_b32 exec_lo, exec_lo, s6
	v_mov_b32_e32 v92, v84
	v_mov_b32_e32 v89, v84
.LBB36_162:
	s_or_b32 exec_lo, exec_lo, s3
.LBB36_163:
	s_and_not1_saveexec_b32 s2, s2
	s_cbranch_execz .LBB36_165
; %bb.164:
	v_mov_b32_e32 v92, 7
	ds_store_2addr_b64 v86, v[52:53], v[54:55] offset0:16 offset1:17
	ds_store_2addr_b64 v86, v[36:37], v[38:39] offset0:18 offset1:19
	;; [unrolled: 1-line block ×11, first 2 shown]
.LBB36_165:
	s_or_b32 exec_lo, exec_lo, s2
	s_delay_alu instid0(SALU_CYCLE_1)
	s_mov_b32 s2, exec_lo
	s_waitcnt lgkmcnt(0)
	s_waitcnt_vscnt null, 0x0
	s_barrier
	buffer_gl0_inv
	v_cmpx_lt_i32_e32 7, v92
	s_cbranch_execz .LBB36_167
; %bb.166:
	v_mul_f64 v[84:85], v[76:77], v[42:43]
	v_mul_f64 v[42:43], v[78:79], v[42:43]
	ds_load_2addr_b64 v[93:96], v86 offset0:16 offset1:17
	ds_load_2addr_b64 v[97:100], v86 offset0:18 offset1:19
	ds_load_2addr_b64 v[101:104], v86 offset0:20 offset1:21
	ds_load_2addr_b64 v[105:108], v86 offset0:22 offset1:23
	ds_load_2addr_b64 v[109:112], v86 offset0:24 offset1:25
	ds_load_2addr_b64 v[113:116], v86 offset0:26 offset1:27
	ds_load_2addr_b64 v[117:120], v86 offset0:28 offset1:29
	ds_load_2addr_b64 v[121:124], v86 offset0:30 offset1:31
	ds_load_2addr_b64 v[125:128], v86 offset0:32 offset1:33
	ds_load_2addr_b64 v[129:132], v86 offset0:34 offset1:35
	ds_load_2addr_b64 v[133:136], v86 offset0:36 offset1:37
	v_fma_f64 v[78:79], v[78:79], v[40:41], v[84:85]
	v_fma_f64 v[40:41], v[76:77], v[40:41], -v[42:43]
	s_waitcnt lgkmcnt(10)
	s_delay_alu instid0(VALU_DEP_2)
	v_mul_f64 v[42:43], v[95:96], v[78:79]
	v_mul_f64 v[76:77], v[93:94], v[78:79]
	s_waitcnt lgkmcnt(9)
	v_mul_f64 v[84:85], v[99:100], v[78:79]
	v_mul_f64 v[137:138], v[97:98], v[78:79]
	s_waitcnt lgkmcnt(8)
	;; [unrolled: 3-line block ×10, first 2 shown]
	v_mul_f64 v[171:172], v[135:136], v[78:79]
	v_mul_f64 v[173:174], v[133:134], v[78:79]
	v_fma_f64 v[42:43], v[93:94], v[40:41], -v[42:43]
	v_fma_f64 v[76:77], v[95:96], v[40:41], v[76:77]
	v_fma_f64 v[84:85], v[97:98], v[40:41], -v[84:85]
	v_fma_f64 v[93:94], v[99:100], v[40:41], v[137:138]
	;; [unrolled: 2-line block ×11, first 2 shown]
	v_add_f64 v[52:53], v[52:53], -v[42:43]
	v_add_f64 v[54:55], v[54:55], -v[76:77]
	;; [unrolled: 1-line block ×22, first 2 shown]
	v_dual_mov_b32 v42, v78 :: v_dual_mov_b32 v43, v79
.LBB36_167:
	s_or_b32 exec_lo, exec_lo, s2
	v_lshl_add_u32 v76, v92, 4, v86
	s_barrier
	buffer_gl0_inv
	v_mov_b32_e32 v84, 8
	ds_store_2addr_b64 v76, v[52:53], v[54:55] offset1:1
	s_waitcnt lgkmcnt(0)
	s_barrier
	buffer_gl0_inv
	ds_load_2addr_b64 v[76:79], v86 offset0:16 offset1:17
	s_cmp_lt_i32 s5, 10
	s_cbranch_scc1 .LBB36_170
; %bb.168:
	v_add3_u32 v85, v91, 0, 0x90
	v_mov_b32_e32 v84, 8
	s_mov_b32 s6, 9
	s_set_inst_prefetch_distance 0x1
	.p2align	6
.LBB36_169:                             ; =>This Inner Loop Header: Depth=1
	ds_load_2addr_b64 v[93:96], v85 offset1:1
	s_waitcnt lgkmcnt(1)
	v_cmp_gt_f64_e32 vcc_lo, 0, v[76:77]
	v_xor_b32_e32 v97, 0x80000000, v77
	v_cmp_gt_f64_e64 s2, 0, v[78:79]
	v_xor_b32_e32 v99, 0x80000000, v79
	v_add_nc_u32_e32 v85, 16, v85
	s_waitcnt lgkmcnt(0)
	v_cmp_gt_f64_e64 s3, 0, v[93:94]
	v_mov_b32_e32 v101, v93
	v_dual_mov_b32 v103, v95 :: v_dual_cndmask_b32 v98, v77, v97
	v_xor_b32_e32 v97, 0x80000000, v94
	v_cndmask_b32_e64 v100, v79, v99, s2
	v_xor_b32_e32 v99, 0x80000000, v96
	s_delay_alu instid0(VALU_DEP_3) | instskip(SKIP_2) | instid1(VALU_DEP_2)
	v_cndmask_b32_e64 v102, v94, v97, s3
	v_cmp_gt_f64_e64 s3, 0, v[95:96]
	v_cndmask_b32_e32 v97, v76, v76, vcc_lo
	v_cndmask_b32_e64 v104, v96, v99, s3
	v_cndmask_b32_e64 v99, v78, v78, s2
	s_delay_alu instid0(VALU_DEP_2) | instskip(NEXT) | instid1(VALU_DEP_2)
	v_add_f64 v[101:102], v[101:102], v[103:104]
	v_add_f64 v[97:98], v[97:98], v[99:100]
	s_delay_alu instid0(VALU_DEP_1) | instskip(SKIP_4) | instid1(SALU_CYCLE_1)
	v_cmp_lt_f64_e32 vcc_lo, v[97:98], v[101:102]
	v_dual_cndmask_b32 v78, v78, v95 :: v_dual_cndmask_b32 v77, v77, v94
	v_dual_cndmask_b32 v76, v76, v93 :: v_dual_cndmask_b32 v79, v79, v96
	v_cndmask_b32_e64 v84, v84, s6, vcc_lo
	s_add_i32 s6, s6, 1
	s_cmp_lg_u32 s5, s6
	s_cbranch_scc1 .LBB36_169
.LBB36_170:
	s_set_inst_prefetch_distance 0x2
	s_waitcnt lgkmcnt(0)
	v_cmp_eq_f64_e32 vcc_lo, 0, v[76:77]
	v_cmp_eq_f64_e64 s2, 0, v[78:79]
	s_delay_alu instid0(VALU_DEP_1) | instskip(NEXT) | instid1(SALU_CYCLE_1)
	s_and_b32 s2, vcc_lo, s2
	s_and_saveexec_b32 s3, s2
	s_delay_alu instid0(SALU_CYCLE_1)
	s_xor_b32 s2, exec_lo, s3
; %bb.171:
	v_cmp_ne_u32_e32 vcc_lo, 0, v90
	v_cndmask_b32_e32 v90, 9, v90, vcc_lo
; %bb.172:
	s_and_not1_saveexec_b32 s3, s2
	s_cbranch_execz .LBB36_178
; %bb.173:
	v_cmp_gt_f64_e32 vcc_lo, 0, v[76:77]
	v_cmp_gt_f64_e64 s2, 0, v[78:79]
	v_xor_b32_e32 v85, 0x80000000, v77
	v_xor_b32_e32 v93, 0x80000000, v79
	s_delay_alu instid0(VALU_DEP_2) | instskip(NEXT) | instid1(VALU_DEP_2)
	v_cndmask_b32_e32 v94, v77, v85, vcc_lo
	v_cndmask_b32_e64 v96, v79, v93, s2
	v_cndmask_b32_e32 v93, v76, v76, vcc_lo
	v_cndmask_b32_e64 v95, v78, v78, s2
	s_mov_b32 s2, exec_lo
	s_delay_alu instid0(VALU_DEP_1)
	v_cmpx_ngt_f64_e32 v[93:94], v[95:96]
	s_xor_b32 s2, exec_lo, s2
	s_cbranch_execz .LBB36_175
; %bb.174:
	v_div_scale_f64 v[93:94], null, v[78:79], v[78:79], v[76:77]
	v_div_scale_f64 v[99:100], vcc_lo, v[76:77], v[78:79], v[76:77]
	s_delay_alu instid0(VALU_DEP_2) | instskip(SKIP_2) | instid1(VALU_DEP_1)
	v_rcp_f64_e32 v[95:96], v[93:94]
	s_waitcnt_depctr 0xfff
	v_fma_f64 v[97:98], -v[93:94], v[95:96], 1.0
	v_fma_f64 v[95:96], v[95:96], v[97:98], v[95:96]
	s_delay_alu instid0(VALU_DEP_1) | instskip(NEXT) | instid1(VALU_DEP_1)
	v_fma_f64 v[97:98], -v[93:94], v[95:96], 1.0
	v_fma_f64 v[95:96], v[95:96], v[97:98], v[95:96]
	s_delay_alu instid0(VALU_DEP_1) | instskip(NEXT) | instid1(VALU_DEP_1)
	v_mul_f64 v[97:98], v[99:100], v[95:96]
	v_fma_f64 v[93:94], -v[93:94], v[97:98], v[99:100]
	s_delay_alu instid0(VALU_DEP_1) | instskip(NEXT) | instid1(VALU_DEP_1)
	v_div_fmas_f64 v[93:94], v[93:94], v[95:96], v[97:98]
	v_div_fixup_f64 v[93:94], v[93:94], v[78:79], v[76:77]
	s_delay_alu instid0(VALU_DEP_1) | instskip(NEXT) | instid1(VALU_DEP_1)
	v_fma_f64 v[76:77], v[76:77], v[93:94], v[78:79]
	v_div_scale_f64 v[78:79], null, v[76:77], v[76:77], 1.0
	s_delay_alu instid0(VALU_DEP_1) | instskip(SKIP_2) | instid1(VALU_DEP_1)
	v_rcp_f64_e32 v[95:96], v[78:79]
	s_waitcnt_depctr 0xfff
	v_fma_f64 v[97:98], -v[78:79], v[95:96], 1.0
	v_fma_f64 v[95:96], v[95:96], v[97:98], v[95:96]
	s_delay_alu instid0(VALU_DEP_1) | instskip(NEXT) | instid1(VALU_DEP_1)
	v_fma_f64 v[97:98], -v[78:79], v[95:96], 1.0
	v_fma_f64 v[95:96], v[95:96], v[97:98], v[95:96]
	v_div_scale_f64 v[97:98], vcc_lo, 1.0, v[76:77], 1.0
	s_delay_alu instid0(VALU_DEP_1) | instskip(NEXT) | instid1(VALU_DEP_1)
	v_mul_f64 v[99:100], v[97:98], v[95:96]
	v_fma_f64 v[78:79], -v[78:79], v[99:100], v[97:98]
	s_delay_alu instid0(VALU_DEP_1) | instskip(NEXT) | instid1(VALU_DEP_1)
	v_div_fmas_f64 v[78:79], v[78:79], v[95:96], v[99:100]
	v_div_fixup_f64 v[78:79], v[78:79], v[76:77], 1.0
	s_delay_alu instid0(VALU_DEP_1)
	v_mul_f64 v[76:77], v[93:94], v[78:79]
	v_xor_b32_e32 v79, 0x80000000, v79
.LBB36_175:
	s_and_not1_saveexec_b32 s2, s2
	s_cbranch_execz .LBB36_177
; %bb.176:
	s_delay_alu instid0(VALU_DEP_1) | instskip(SKIP_1) | instid1(VALU_DEP_2)
	v_div_scale_f64 v[93:94], null, v[76:77], v[76:77], v[78:79]
	v_div_scale_f64 v[99:100], vcc_lo, v[78:79], v[76:77], v[78:79]
	v_rcp_f64_e32 v[95:96], v[93:94]
	s_waitcnt_depctr 0xfff
	v_fma_f64 v[97:98], -v[93:94], v[95:96], 1.0
	s_delay_alu instid0(VALU_DEP_1) | instskip(NEXT) | instid1(VALU_DEP_1)
	v_fma_f64 v[95:96], v[95:96], v[97:98], v[95:96]
	v_fma_f64 v[97:98], -v[93:94], v[95:96], 1.0
	s_delay_alu instid0(VALU_DEP_1) | instskip(NEXT) | instid1(VALU_DEP_1)
	v_fma_f64 v[95:96], v[95:96], v[97:98], v[95:96]
	v_mul_f64 v[97:98], v[99:100], v[95:96]
	s_delay_alu instid0(VALU_DEP_1) | instskip(NEXT) | instid1(VALU_DEP_1)
	v_fma_f64 v[93:94], -v[93:94], v[97:98], v[99:100]
	v_div_fmas_f64 v[93:94], v[93:94], v[95:96], v[97:98]
	s_delay_alu instid0(VALU_DEP_1) | instskip(NEXT) | instid1(VALU_DEP_1)
	v_div_fixup_f64 v[93:94], v[93:94], v[76:77], v[78:79]
	v_fma_f64 v[76:77], v[78:79], v[93:94], v[76:77]
	s_delay_alu instid0(VALU_DEP_1) | instskip(NEXT) | instid1(VALU_DEP_1)
	v_div_scale_f64 v[78:79], null, v[76:77], v[76:77], 1.0
	v_rcp_f64_e32 v[95:96], v[78:79]
	s_waitcnt_depctr 0xfff
	v_fma_f64 v[97:98], -v[78:79], v[95:96], 1.0
	s_delay_alu instid0(VALU_DEP_1) | instskip(NEXT) | instid1(VALU_DEP_1)
	v_fma_f64 v[95:96], v[95:96], v[97:98], v[95:96]
	v_fma_f64 v[97:98], -v[78:79], v[95:96], 1.0
	s_delay_alu instid0(VALU_DEP_1) | instskip(SKIP_1) | instid1(VALU_DEP_1)
	v_fma_f64 v[95:96], v[95:96], v[97:98], v[95:96]
	v_div_scale_f64 v[97:98], vcc_lo, 1.0, v[76:77], 1.0
	v_mul_f64 v[99:100], v[97:98], v[95:96]
	s_delay_alu instid0(VALU_DEP_1) | instskip(NEXT) | instid1(VALU_DEP_1)
	v_fma_f64 v[78:79], -v[78:79], v[99:100], v[97:98]
	v_div_fmas_f64 v[78:79], v[78:79], v[95:96], v[99:100]
	s_delay_alu instid0(VALU_DEP_1) | instskip(NEXT) | instid1(VALU_DEP_1)
	v_div_fixup_f64 v[76:77], v[78:79], v[76:77], 1.0
	v_mul_f64 v[78:79], v[93:94], -v[76:77]
.LBB36_177:
	s_or_b32 exec_lo, exec_lo, s2
.LBB36_178:
	s_delay_alu instid0(SALU_CYCLE_1) | instskip(NEXT) | instid1(SALU_CYCLE_1)
	s_or_b32 exec_lo, exec_lo, s3
	s_mov_b32 s2, exec_lo
	v_cmpx_ne_u32_e64 v92, v84
	s_xor_b32 s2, exec_lo, s2
	s_cbranch_execz .LBB36_184
; %bb.179:
	s_mov_b32 s3, exec_lo
	v_cmpx_eq_u32_e32 8, v92
	s_cbranch_execz .LBB36_183
; %bb.180:
	v_cmp_ne_u32_e32 vcc_lo, 8, v84
	s_xor_b32 s6, s4, -1
	s_delay_alu instid0(SALU_CYCLE_1) | instskip(NEXT) | instid1(SALU_CYCLE_1)
	s_and_b32 s7, s6, vcc_lo
	s_and_saveexec_b32 s6, s7
	s_cbranch_execz .LBB36_182
; %bb.181:
	v_ashrrev_i32_e32 v85, 31, v84
	s_delay_alu instid0(VALU_DEP_1) | instskip(NEXT) | instid1(VALU_DEP_1)
	v_lshlrev_b64 v[92:93], 2, v[84:85]
	v_add_co_u32 v92, vcc_lo, v82, v92
	s_delay_alu instid0(VALU_DEP_2)
	v_add_co_ci_u32_e32 v93, vcc_lo, v83, v93, vcc_lo
	s_clause 0x1
	flat_load_b32 v85, v[92:93]
	flat_load_b32 v89, v[82:83] offset:32
	s_waitcnt vmcnt(1) lgkmcnt(1)
	flat_store_b32 v[82:83], v85 offset:32
	s_waitcnt vmcnt(0) lgkmcnt(1)
	flat_store_b32 v[92:93], v89
.LBB36_182:
	s_or_b32 exec_lo, exec_lo, s6
	v_mov_b32_e32 v92, v84
	v_mov_b32_e32 v89, v84
.LBB36_183:
	s_or_b32 exec_lo, exec_lo, s3
.LBB36_184:
	s_and_not1_saveexec_b32 s2, s2
	s_cbranch_execz .LBB36_186
; %bb.185:
	v_mov_b32_e32 v92, 8
	ds_store_2addr_b64 v86, v[36:37], v[38:39] offset0:18 offset1:19
	ds_store_2addr_b64 v86, v[32:33], v[34:35] offset0:20 offset1:21
	;; [unrolled: 1-line block ×10, first 2 shown]
.LBB36_186:
	s_or_b32 exec_lo, exec_lo, s2
	s_delay_alu instid0(SALU_CYCLE_1)
	s_mov_b32 s2, exec_lo
	s_waitcnt lgkmcnt(0)
	s_waitcnt_vscnt null, 0x0
	s_barrier
	buffer_gl0_inv
	v_cmpx_lt_i32_e32 8, v92
	s_cbranch_execz .LBB36_188
; %bb.187:
	v_mul_f64 v[84:85], v[76:77], v[54:55]
	v_mul_f64 v[54:55], v[78:79], v[54:55]
	ds_load_2addr_b64 v[93:96], v86 offset0:18 offset1:19
	ds_load_2addr_b64 v[97:100], v86 offset0:20 offset1:21
	;; [unrolled: 1-line block ×10, first 2 shown]
	v_fma_f64 v[78:79], v[78:79], v[52:53], v[84:85]
	v_fma_f64 v[52:53], v[76:77], v[52:53], -v[54:55]
	s_waitcnt lgkmcnt(9)
	s_delay_alu instid0(VALU_DEP_2)
	v_mul_f64 v[54:55], v[95:96], v[78:79]
	v_mul_f64 v[76:77], v[93:94], v[78:79]
	s_waitcnt lgkmcnt(8)
	v_mul_f64 v[84:85], v[99:100], v[78:79]
	v_mul_f64 v[133:134], v[97:98], v[78:79]
	s_waitcnt lgkmcnt(7)
	;; [unrolled: 3-line block ×9, first 2 shown]
	v_mul_f64 v[163:164], v[131:132], v[78:79]
	v_mul_f64 v[165:166], v[129:130], v[78:79]
	v_fma_f64 v[54:55], v[93:94], v[52:53], -v[54:55]
	v_fma_f64 v[76:77], v[95:96], v[52:53], v[76:77]
	v_fma_f64 v[84:85], v[97:98], v[52:53], -v[84:85]
	v_fma_f64 v[93:94], v[99:100], v[52:53], v[133:134]
	v_fma_f64 v[95:96], v[101:102], v[52:53], -v[135:136]
	v_fma_f64 v[97:98], v[103:104], v[52:53], v[137:138]
	v_fma_f64 v[99:100], v[105:106], v[52:53], -v[139:140]
	v_fma_f64 v[101:102], v[107:108], v[52:53], v[141:142]
	v_fma_f64 v[103:104], v[109:110], v[52:53], -v[143:144]
	v_fma_f64 v[105:106], v[111:112], v[52:53], v[145:146]
	v_fma_f64 v[107:108], v[113:114], v[52:53], -v[147:148]
	v_fma_f64 v[109:110], v[115:116], v[52:53], v[149:150]
	v_fma_f64 v[111:112], v[117:118], v[52:53], -v[151:152]
	v_fma_f64 v[113:114], v[119:120], v[52:53], v[153:154]
	v_fma_f64 v[115:116], v[121:122], v[52:53], -v[155:156]
	v_fma_f64 v[117:118], v[123:124], v[52:53], v[157:158]
	v_fma_f64 v[119:120], v[125:126], v[52:53], -v[159:160]
	v_fma_f64 v[121:122], v[127:128], v[52:53], v[161:162]
	v_fma_f64 v[123:124], v[129:130], v[52:53], -v[163:164]
	v_fma_f64 v[125:126], v[131:132], v[52:53], v[165:166]
	v_add_f64 v[36:37], v[36:37], -v[54:55]
	v_add_f64 v[38:39], v[38:39], -v[76:77]
	v_add_f64 v[32:33], v[32:33], -v[84:85]
	v_add_f64 v[34:35], v[34:35], -v[93:94]
	v_add_f64 v[28:29], v[28:29], -v[95:96]
	v_add_f64 v[30:31], v[30:31], -v[97:98]
	v_add_f64 v[24:25], v[24:25], -v[99:100]
	v_add_f64 v[26:27], v[26:27], -v[101:102]
	v_add_f64 v[20:21], v[20:21], -v[103:104]
	v_add_f64 v[22:23], v[22:23], -v[105:106]
	v_add_f64 v[16:17], v[16:17], -v[107:108]
	v_add_f64 v[18:19], v[18:19], -v[109:110]
	v_add_f64 v[12:13], v[12:13], -v[111:112]
	v_add_f64 v[14:15], v[14:15], -v[113:114]
	v_add_f64 v[8:9], v[8:9], -v[115:116]
	v_add_f64 v[10:11], v[10:11], -v[117:118]
	v_add_f64 v[4:5], v[4:5], -v[119:120]
	v_add_f64 v[6:7], v[6:7], -v[121:122]
	v_add_f64 v[0:1], v[0:1], -v[123:124]
	v_add_f64 v[2:3], v[2:3], -v[125:126]
	v_dual_mov_b32 v54, v78 :: v_dual_mov_b32 v55, v79
.LBB36_188:
	s_or_b32 exec_lo, exec_lo, s2
	v_lshl_add_u32 v76, v92, 4, v86
	s_barrier
	buffer_gl0_inv
	v_mov_b32_e32 v84, 9
	ds_store_2addr_b64 v76, v[36:37], v[38:39] offset1:1
	s_waitcnt lgkmcnt(0)
	s_barrier
	buffer_gl0_inv
	ds_load_2addr_b64 v[76:79], v86 offset0:18 offset1:19
	s_cmp_lt_i32 s5, 11
	s_cbranch_scc1 .LBB36_191
; %bb.189:
	v_add3_u32 v85, v91, 0, 0xa0
	v_mov_b32_e32 v84, 9
	s_mov_b32 s6, 10
	s_set_inst_prefetch_distance 0x1
	.p2align	6
.LBB36_190:                             ; =>This Inner Loop Header: Depth=1
	ds_load_2addr_b64 v[93:96], v85 offset1:1
	s_waitcnt lgkmcnt(1)
	v_cmp_gt_f64_e32 vcc_lo, 0, v[76:77]
	v_xor_b32_e32 v97, 0x80000000, v77
	v_cmp_gt_f64_e64 s2, 0, v[78:79]
	v_xor_b32_e32 v99, 0x80000000, v79
	v_add_nc_u32_e32 v85, 16, v85
	s_waitcnt lgkmcnt(0)
	v_cmp_gt_f64_e64 s3, 0, v[93:94]
	v_mov_b32_e32 v101, v93
	v_dual_mov_b32 v103, v95 :: v_dual_cndmask_b32 v98, v77, v97
	v_xor_b32_e32 v97, 0x80000000, v94
	v_cndmask_b32_e64 v100, v79, v99, s2
	v_xor_b32_e32 v99, 0x80000000, v96
	s_delay_alu instid0(VALU_DEP_3) | instskip(SKIP_2) | instid1(VALU_DEP_2)
	v_cndmask_b32_e64 v102, v94, v97, s3
	v_cmp_gt_f64_e64 s3, 0, v[95:96]
	v_cndmask_b32_e32 v97, v76, v76, vcc_lo
	v_cndmask_b32_e64 v104, v96, v99, s3
	v_cndmask_b32_e64 v99, v78, v78, s2
	s_delay_alu instid0(VALU_DEP_2) | instskip(NEXT) | instid1(VALU_DEP_2)
	v_add_f64 v[101:102], v[101:102], v[103:104]
	v_add_f64 v[97:98], v[97:98], v[99:100]
	s_delay_alu instid0(VALU_DEP_1) | instskip(SKIP_4) | instid1(SALU_CYCLE_1)
	v_cmp_lt_f64_e32 vcc_lo, v[97:98], v[101:102]
	v_dual_cndmask_b32 v78, v78, v95 :: v_dual_cndmask_b32 v77, v77, v94
	v_dual_cndmask_b32 v76, v76, v93 :: v_dual_cndmask_b32 v79, v79, v96
	v_cndmask_b32_e64 v84, v84, s6, vcc_lo
	s_add_i32 s6, s6, 1
	s_cmp_lg_u32 s5, s6
	s_cbranch_scc1 .LBB36_190
.LBB36_191:
	s_set_inst_prefetch_distance 0x2
	s_waitcnt lgkmcnt(0)
	v_cmp_eq_f64_e32 vcc_lo, 0, v[76:77]
	v_cmp_eq_f64_e64 s2, 0, v[78:79]
	s_delay_alu instid0(VALU_DEP_1) | instskip(NEXT) | instid1(SALU_CYCLE_1)
	s_and_b32 s2, vcc_lo, s2
	s_and_saveexec_b32 s3, s2
	s_delay_alu instid0(SALU_CYCLE_1)
	s_xor_b32 s2, exec_lo, s3
; %bb.192:
	v_cmp_ne_u32_e32 vcc_lo, 0, v90
	v_cndmask_b32_e32 v90, 10, v90, vcc_lo
; %bb.193:
	s_and_not1_saveexec_b32 s3, s2
	s_cbranch_execz .LBB36_199
; %bb.194:
	v_cmp_gt_f64_e32 vcc_lo, 0, v[76:77]
	v_cmp_gt_f64_e64 s2, 0, v[78:79]
	v_xor_b32_e32 v85, 0x80000000, v77
	v_xor_b32_e32 v93, 0x80000000, v79
	s_delay_alu instid0(VALU_DEP_2) | instskip(NEXT) | instid1(VALU_DEP_2)
	v_cndmask_b32_e32 v94, v77, v85, vcc_lo
	v_cndmask_b32_e64 v96, v79, v93, s2
	v_cndmask_b32_e32 v93, v76, v76, vcc_lo
	v_cndmask_b32_e64 v95, v78, v78, s2
	s_mov_b32 s2, exec_lo
	s_delay_alu instid0(VALU_DEP_1)
	v_cmpx_ngt_f64_e32 v[93:94], v[95:96]
	s_xor_b32 s2, exec_lo, s2
	s_cbranch_execz .LBB36_196
; %bb.195:
	v_div_scale_f64 v[93:94], null, v[78:79], v[78:79], v[76:77]
	v_div_scale_f64 v[99:100], vcc_lo, v[76:77], v[78:79], v[76:77]
	s_delay_alu instid0(VALU_DEP_2) | instskip(SKIP_2) | instid1(VALU_DEP_1)
	v_rcp_f64_e32 v[95:96], v[93:94]
	s_waitcnt_depctr 0xfff
	v_fma_f64 v[97:98], -v[93:94], v[95:96], 1.0
	v_fma_f64 v[95:96], v[95:96], v[97:98], v[95:96]
	s_delay_alu instid0(VALU_DEP_1) | instskip(NEXT) | instid1(VALU_DEP_1)
	v_fma_f64 v[97:98], -v[93:94], v[95:96], 1.0
	v_fma_f64 v[95:96], v[95:96], v[97:98], v[95:96]
	s_delay_alu instid0(VALU_DEP_1) | instskip(NEXT) | instid1(VALU_DEP_1)
	v_mul_f64 v[97:98], v[99:100], v[95:96]
	v_fma_f64 v[93:94], -v[93:94], v[97:98], v[99:100]
	s_delay_alu instid0(VALU_DEP_1) | instskip(NEXT) | instid1(VALU_DEP_1)
	v_div_fmas_f64 v[93:94], v[93:94], v[95:96], v[97:98]
	v_div_fixup_f64 v[93:94], v[93:94], v[78:79], v[76:77]
	s_delay_alu instid0(VALU_DEP_1) | instskip(NEXT) | instid1(VALU_DEP_1)
	v_fma_f64 v[76:77], v[76:77], v[93:94], v[78:79]
	v_div_scale_f64 v[78:79], null, v[76:77], v[76:77], 1.0
	s_delay_alu instid0(VALU_DEP_1) | instskip(SKIP_2) | instid1(VALU_DEP_1)
	v_rcp_f64_e32 v[95:96], v[78:79]
	s_waitcnt_depctr 0xfff
	v_fma_f64 v[97:98], -v[78:79], v[95:96], 1.0
	v_fma_f64 v[95:96], v[95:96], v[97:98], v[95:96]
	s_delay_alu instid0(VALU_DEP_1) | instskip(NEXT) | instid1(VALU_DEP_1)
	v_fma_f64 v[97:98], -v[78:79], v[95:96], 1.0
	v_fma_f64 v[95:96], v[95:96], v[97:98], v[95:96]
	v_div_scale_f64 v[97:98], vcc_lo, 1.0, v[76:77], 1.0
	s_delay_alu instid0(VALU_DEP_1) | instskip(NEXT) | instid1(VALU_DEP_1)
	v_mul_f64 v[99:100], v[97:98], v[95:96]
	v_fma_f64 v[78:79], -v[78:79], v[99:100], v[97:98]
	s_delay_alu instid0(VALU_DEP_1) | instskip(NEXT) | instid1(VALU_DEP_1)
	v_div_fmas_f64 v[78:79], v[78:79], v[95:96], v[99:100]
	v_div_fixup_f64 v[78:79], v[78:79], v[76:77], 1.0
	s_delay_alu instid0(VALU_DEP_1)
	v_mul_f64 v[76:77], v[93:94], v[78:79]
	v_xor_b32_e32 v79, 0x80000000, v79
.LBB36_196:
	s_and_not1_saveexec_b32 s2, s2
	s_cbranch_execz .LBB36_198
; %bb.197:
	s_delay_alu instid0(VALU_DEP_1) | instskip(SKIP_1) | instid1(VALU_DEP_2)
	v_div_scale_f64 v[93:94], null, v[76:77], v[76:77], v[78:79]
	v_div_scale_f64 v[99:100], vcc_lo, v[78:79], v[76:77], v[78:79]
	v_rcp_f64_e32 v[95:96], v[93:94]
	s_waitcnt_depctr 0xfff
	v_fma_f64 v[97:98], -v[93:94], v[95:96], 1.0
	s_delay_alu instid0(VALU_DEP_1) | instskip(NEXT) | instid1(VALU_DEP_1)
	v_fma_f64 v[95:96], v[95:96], v[97:98], v[95:96]
	v_fma_f64 v[97:98], -v[93:94], v[95:96], 1.0
	s_delay_alu instid0(VALU_DEP_1) | instskip(NEXT) | instid1(VALU_DEP_1)
	v_fma_f64 v[95:96], v[95:96], v[97:98], v[95:96]
	v_mul_f64 v[97:98], v[99:100], v[95:96]
	s_delay_alu instid0(VALU_DEP_1) | instskip(NEXT) | instid1(VALU_DEP_1)
	v_fma_f64 v[93:94], -v[93:94], v[97:98], v[99:100]
	v_div_fmas_f64 v[93:94], v[93:94], v[95:96], v[97:98]
	s_delay_alu instid0(VALU_DEP_1) | instskip(NEXT) | instid1(VALU_DEP_1)
	v_div_fixup_f64 v[93:94], v[93:94], v[76:77], v[78:79]
	v_fma_f64 v[76:77], v[78:79], v[93:94], v[76:77]
	s_delay_alu instid0(VALU_DEP_1) | instskip(NEXT) | instid1(VALU_DEP_1)
	v_div_scale_f64 v[78:79], null, v[76:77], v[76:77], 1.0
	v_rcp_f64_e32 v[95:96], v[78:79]
	s_waitcnt_depctr 0xfff
	v_fma_f64 v[97:98], -v[78:79], v[95:96], 1.0
	s_delay_alu instid0(VALU_DEP_1) | instskip(NEXT) | instid1(VALU_DEP_1)
	v_fma_f64 v[95:96], v[95:96], v[97:98], v[95:96]
	v_fma_f64 v[97:98], -v[78:79], v[95:96], 1.0
	s_delay_alu instid0(VALU_DEP_1) | instskip(SKIP_1) | instid1(VALU_DEP_1)
	v_fma_f64 v[95:96], v[95:96], v[97:98], v[95:96]
	v_div_scale_f64 v[97:98], vcc_lo, 1.0, v[76:77], 1.0
	v_mul_f64 v[99:100], v[97:98], v[95:96]
	s_delay_alu instid0(VALU_DEP_1) | instskip(NEXT) | instid1(VALU_DEP_1)
	v_fma_f64 v[78:79], -v[78:79], v[99:100], v[97:98]
	v_div_fmas_f64 v[78:79], v[78:79], v[95:96], v[99:100]
	s_delay_alu instid0(VALU_DEP_1) | instskip(NEXT) | instid1(VALU_DEP_1)
	v_div_fixup_f64 v[76:77], v[78:79], v[76:77], 1.0
	v_mul_f64 v[78:79], v[93:94], -v[76:77]
.LBB36_198:
	s_or_b32 exec_lo, exec_lo, s2
.LBB36_199:
	s_delay_alu instid0(SALU_CYCLE_1) | instskip(NEXT) | instid1(SALU_CYCLE_1)
	s_or_b32 exec_lo, exec_lo, s3
	s_mov_b32 s2, exec_lo
	v_cmpx_ne_u32_e64 v92, v84
	s_xor_b32 s2, exec_lo, s2
	s_cbranch_execz .LBB36_205
; %bb.200:
	s_mov_b32 s3, exec_lo
	v_cmpx_eq_u32_e32 9, v92
	s_cbranch_execz .LBB36_204
; %bb.201:
	v_cmp_ne_u32_e32 vcc_lo, 9, v84
	s_xor_b32 s6, s4, -1
	s_delay_alu instid0(SALU_CYCLE_1) | instskip(NEXT) | instid1(SALU_CYCLE_1)
	s_and_b32 s7, s6, vcc_lo
	s_and_saveexec_b32 s6, s7
	s_cbranch_execz .LBB36_203
; %bb.202:
	v_ashrrev_i32_e32 v85, 31, v84
	s_delay_alu instid0(VALU_DEP_1) | instskip(NEXT) | instid1(VALU_DEP_1)
	v_lshlrev_b64 v[92:93], 2, v[84:85]
	v_add_co_u32 v92, vcc_lo, v82, v92
	s_delay_alu instid0(VALU_DEP_2)
	v_add_co_ci_u32_e32 v93, vcc_lo, v83, v93, vcc_lo
	s_clause 0x1
	flat_load_b32 v85, v[92:93]
	flat_load_b32 v89, v[82:83] offset:36
	s_waitcnt vmcnt(1) lgkmcnt(1)
	flat_store_b32 v[82:83], v85 offset:36
	s_waitcnt vmcnt(0) lgkmcnt(1)
	flat_store_b32 v[92:93], v89
.LBB36_203:
	s_or_b32 exec_lo, exec_lo, s6
	v_mov_b32_e32 v92, v84
	v_mov_b32_e32 v89, v84
.LBB36_204:
	s_or_b32 exec_lo, exec_lo, s3
.LBB36_205:
	s_and_not1_saveexec_b32 s2, s2
	s_cbranch_execz .LBB36_207
; %bb.206:
	v_mov_b32_e32 v92, 9
	ds_store_2addr_b64 v86, v[32:33], v[34:35] offset0:20 offset1:21
	ds_store_2addr_b64 v86, v[28:29], v[30:31] offset0:22 offset1:23
	;; [unrolled: 1-line block ×9, first 2 shown]
.LBB36_207:
	s_or_b32 exec_lo, exec_lo, s2
	s_delay_alu instid0(SALU_CYCLE_1)
	s_mov_b32 s2, exec_lo
	s_waitcnt lgkmcnt(0)
	s_waitcnt_vscnt null, 0x0
	s_barrier
	buffer_gl0_inv
	v_cmpx_lt_i32_e32 9, v92
	s_cbranch_execz .LBB36_209
; %bb.208:
	v_mul_f64 v[84:85], v[76:77], v[38:39]
	v_mul_f64 v[38:39], v[78:79], v[38:39]
	ds_load_2addr_b64 v[93:96], v86 offset0:20 offset1:21
	ds_load_2addr_b64 v[97:100], v86 offset0:22 offset1:23
	;; [unrolled: 1-line block ×9, first 2 shown]
	v_fma_f64 v[78:79], v[78:79], v[36:37], v[84:85]
	v_fma_f64 v[36:37], v[76:77], v[36:37], -v[38:39]
	s_waitcnt lgkmcnt(8)
	s_delay_alu instid0(VALU_DEP_2)
	v_mul_f64 v[38:39], v[95:96], v[78:79]
	v_mul_f64 v[76:77], v[93:94], v[78:79]
	s_waitcnt lgkmcnt(7)
	v_mul_f64 v[84:85], v[99:100], v[78:79]
	v_mul_f64 v[129:130], v[97:98], v[78:79]
	s_waitcnt lgkmcnt(6)
	;; [unrolled: 3-line block ×8, first 2 shown]
	v_mul_f64 v[155:156], v[127:128], v[78:79]
	v_mul_f64 v[157:158], v[125:126], v[78:79]
	v_fma_f64 v[38:39], v[93:94], v[36:37], -v[38:39]
	v_fma_f64 v[76:77], v[95:96], v[36:37], v[76:77]
	v_fma_f64 v[84:85], v[97:98], v[36:37], -v[84:85]
	v_fma_f64 v[93:94], v[99:100], v[36:37], v[129:130]
	;; [unrolled: 2-line block ×9, first 2 shown]
	v_add_f64 v[32:33], v[32:33], -v[38:39]
	v_add_f64 v[34:35], v[34:35], -v[76:77]
	;; [unrolled: 1-line block ×18, first 2 shown]
	v_dual_mov_b32 v38, v78 :: v_dual_mov_b32 v39, v79
.LBB36_209:
	s_or_b32 exec_lo, exec_lo, s2
	v_lshl_add_u32 v76, v92, 4, v86
	s_barrier
	buffer_gl0_inv
	v_mov_b32_e32 v84, 10
	ds_store_2addr_b64 v76, v[32:33], v[34:35] offset1:1
	s_waitcnt lgkmcnt(0)
	s_barrier
	buffer_gl0_inv
	ds_load_2addr_b64 v[76:79], v86 offset0:20 offset1:21
	s_cmp_lt_i32 s5, 12
	s_cbranch_scc1 .LBB36_212
; %bb.210:
	v_add3_u32 v85, v91, 0, 0xb0
	v_mov_b32_e32 v84, 10
	s_mov_b32 s6, 11
	s_set_inst_prefetch_distance 0x1
	.p2align	6
.LBB36_211:                             ; =>This Inner Loop Header: Depth=1
	ds_load_2addr_b64 v[93:96], v85 offset1:1
	s_waitcnt lgkmcnt(1)
	v_cmp_gt_f64_e32 vcc_lo, 0, v[76:77]
	v_xor_b32_e32 v97, 0x80000000, v77
	v_cmp_gt_f64_e64 s2, 0, v[78:79]
	v_xor_b32_e32 v99, 0x80000000, v79
	v_add_nc_u32_e32 v85, 16, v85
	s_waitcnt lgkmcnt(0)
	v_cmp_gt_f64_e64 s3, 0, v[93:94]
	v_mov_b32_e32 v101, v93
	v_dual_mov_b32 v103, v95 :: v_dual_cndmask_b32 v98, v77, v97
	v_xor_b32_e32 v97, 0x80000000, v94
	v_cndmask_b32_e64 v100, v79, v99, s2
	v_xor_b32_e32 v99, 0x80000000, v96
	s_delay_alu instid0(VALU_DEP_3) | instskip(SKIP_2) | instid1(VALU_DEP_2)
	v_cndmask_b32_e64 v102, v94, v97, s3
	v_cmp_gt_f64_e64 s3, 0, v[95:96]
	v_cndmask_b32_e32 v97, v76, v76, vcc_lo
	v_cndmask_b32_e64 v104, v96, v99, s3
	v_cndmask_b32_e64 v99, v78, v78, s2
	s_delay_alu instid0(VALU_DEP_2) | instskip(NEXT) | instid1(VALU_DEP_2)
	v_add_f64 v[101:102], v[101:102], v[103:104]
	v_add_f64 v[97:98], v[97:98], v[99:100]
	s_delay_alu instid0(VALU_DEP_1) | instskip(SKIP_4) | instid1(SALU_CYCLE_1)
	v_cmp_lt_f64_e32 vcc_lo, v[97:98], v[101:102]
	v_dual_cndmask_b32 v78, v78, v95 :: v_dual_cndmask_b32 v77, v77, v94
	v_dual_cndmask_b32 v76, v76, v93 :: v_dual_cndmask_b32 v79, v79, v96
	v_cndmask_b32_e64 v84, v84, s6, vcc_lo
	s_add_i32 s6, s6, 1
	s_cmp_lg_u32 s5, s6
	s_cbranch_scc1 .LBB36_211
.LBB36_212:
	s_set_inst_prefetch_distance 0x2
	s_waitcnt lgkmcnt(0)
	v_cmp_eq_f64_e32 vcc_lo, 0, v[76:77]
	v_cmp_eq_f64_e64 s2, 0, v[78:79]
	s_delay_alu instid0(VALU_DEP_1) | instskip(NEXT) | instid1(SALU_CYCLE_1)
	s_and_b32 s2, vcc_lo, s2
	s_and_saveexec_b32 s3, s2
	s_delay_alu instid0(SALU_CYCLE_1)
	s_xor_b32 s2, exec_lo, s3
; %bb.213:
	v_cmp_ne_u32_e32 vcc_lo, 0, v90
	v_cndmask_b32_e32 v90, 11, v90, vcc_lo
; %bb.214:
	s_and_not1_saveexec_b32 s3, s2
	s_cbranch_execz .LBB36_220
; %bb.215:
	v_cmp_gt_f64_e32 vcc_lo, 0, v[76:77]
	v_cmp_gt_f64_e64 s2, 0, v[78:79]
	v_xor_b32_e32 v85, 0x80000000, v77
	v_xor_b32_e32 v93, 0x80000000, v79
	s_delay_alu instid0(VALU_DEP_2) | instskip(NEXT) | instid1(VALU_DEP_2)
	v_cndmask_b32_e32 v94, v77, v85, vcc_lo
	v_cndmask_b32_e64 v96, v79, v93, s2
	v_cndmask_b32_e32 v93, v76, v76, vcc_lo
	v_cndmask_b32_e64 v95, v78, v78, s2
	s_mov_b32 s2, exec_lo
	s_delay_alu instid0(VALU_DEP_1)
	v_cmpx_ngt_f64_e32 v[93:94], v[95:96]
	s_xor_b32 s2, exec_lo, s2
	s_cbranch_execz .LBB36_217
; %bb.216:
	v_div_scale_f64 v[93:94], null, v[78:79], v[78:79], v[76:77]
	v_div_scale_f64 v[99:100], vcc_lo, v[76:77], v[78:79], v[76:77]
	s_delay_alu instid0(VALU_DEP_2) | instskip(SKIP_2) | instid1(VALU_DEP_1)
	v_rcp_f64_e32 v[95:96], v[93:94]
	s_waitcnt_depctr 0xfff
	v_fma_f64 v[97:98], -v[93:94], v[95:96], 1.0
	v_fma_f64 v[95:96], v[95:96], v[97:98], v[95:96]
	s_delay_alu instid0(VALU_DEP_1) | instskip(NEXT) | instid1(VALU_DEP_1)
	v_fma_f64 v[97:98], -v[93:94], v[95:96], 1.0
	v_fma_f64 v[95:96], v[95:96], v[97:98], v[95:96]
	s_delay_alu instid0(VALU_DEP_1) | instskip(NEXT) | instid1(VALU_DEP_1)
	v_mul_f64 v[97:98], v[99:100], v[95:96]
	v_fma_f64 v[93:94], -v[93:94], v[97:98], v[99:100]
	s_delay_alu instid0(VALU_DEP_1) | instskip(NEXT) | instid1(VALU_DEP_1)
	v_div_fmas_f64 v[93:94], v[93:94], v[95:96], v[97:98]
	v_div_fixup_f64 v[93:94], v[93:94], v[78:79], v[76:77]
	s_delay_alu instid0(VALU_DEP_1) | instskip(NEXT) | instid1(VALU_DEP_1)
	v_fma_f64 v[76:77], v[76:77], v[93:94], v[78:79]
	v_div_scale_f64 v[78:79], null, v[76:77], v[76:77], 1.0
	s_delay_alu instid0(VALU_DEP_1) | instskip(SKIP_2) | instid1(VALU_DEP_1)
	v_rcp_f64_e32 v[95:96], v[78:79]
	s_waitcnt_depctr 0xfff
	v_fma_f64 v[97:98], -v[78:79], v[95:96], 1.0
	v_fma_f64 v[95:96], v[95:96], v[97:98], v[95:96]
	s_delay_alu instid0(VALU_DEP_1) | instskip(NEXT) | instid1(VALU_DEP_1)
	v_fma_f64 v[97:98], -v[78:79], v[95:96], 1.0
	v_fma_f64 v[95:96], v[95:96], v[97:98], v[95:96]
	v_div_scale_f64 v[97:98], vcc_lo, 1.0, v[76:77], 1.0
	s_delay_alu instid0(VALU_DEP_1) | instskip(NEXT) | instid1(VALU_DEP_1)
	v_mul_f64 v[99:100], v[97:98], v[95:96]
	v_fma_f64 v[78:79], -v[78:79], v[99:100], v[97:98]
	s_delay_alu instid0(VALU_DEP_1) | instskip(NEXT) | instid1(VALU_DEP_1)
	v_div_fmas_f64 v[78:79], v[78:79], v[95:96], v[99:100]
	v_div_fixup_f64 v[78:79], v[78:79], v[76:77], 1.0
	s_delay_alu instid0(VALU_DEP_1)
	v_mul_f64 v[76:77], v[93:94], v[78:79]
	v_xor_b32_e32 v79, 0x80000000, v79
.LBB36_217:
	s_and_not1_saveexec_b32 s2, s2
	s_cbranch_execz .LBB36_219
; %bb.218:
	s_delay_alu instid0(VALU_DEP_1) | instskip(SKIP_1) | instid1(VALU_DEP_2)
	v_div_scale_f64 v[93:94], null, v[76:77], v[76:77], v[78:79]
	v_div_scale_f64 v[99:100], vcc_lo, v[78:79], v[76:77], v[78:79]
	v_rcp_f64_e32 v[95:96], v[93:94]
	s_waitcnt_depctr 0xfff
	v_fma_f64 v[97:98], -v[93:94], v[95:96], 1.0
	s_delay_alu instid0(VALU_DEP_1) | instskip(NEXT) | instid1(VALU_DEP_1)
	v_fma_f64 v[95:96], v[95:96], v[97:98], v[95:96]
	v_fma_f64 v[97:98], -v[93:94], v[95:96], 1.0
	s_delay_alu instid0(VALU_DEP_1) | instskip(NEXT) | instid1(VALU_DEP_1)
	v_fma_f64 v[95:96], v[95:96], v[97:98], v[95:96]
	v_mul_f64 v[97:98], v[99:100], v[95:96]
	s_delay_alu instid0(VALU_DEP_1) | instskip(NEXT) | instid1(VALU_DEP_1)
	v_fma_f64 v[93:94], -v[93:94], v[97:98], v[99:100]
	v_div_fmas_f64 v[93:94], v[93:94], v[95:96], v[97:98]
	s_delay_alu instid0(VALU_DEP_1) | instskip(NEXT) | instid1(VALU_DEP_1)
	v_div_fixup_f64 v[93:94], v[93:94], v[76:77], v[78:79]
	v_fma_f64 v[76:77], v[78:79], v[93:94], v[76:77]
	s_delay_alu instid0(VALU_DEP_1) | instskip(NEXT) | instid1(VALU_DEP_1)
	v_div_scale_f64 v[78:79], null, v[76:77], v[76:77], 1.0
	v_rcp_f64_e32 v[95:96], v[78:79]
	s_waitcnt_depctr 0xfff
	v_fma_f64 v[97:98], -v[78:79], v[95:96], 1.0
	s_delay_alu instid0(VALU_DEP_1) | instskip(NEXT) | instid1(VALU_DEP_1)
	v_fma_f64 v[95:96], v[95:96], v[97:98], v[95:96]
	v_fma_f64 v[97:98], -v[78:79], v[95:96], 1.0
	s_delay_alu instid0(VALU_DEP_1) | instskip(SKIP_1) | instid1(VALU_DEP_1)
	v_fma_f64 v[95:96], v[95:96], v[97:98], v[95:96]
	v_div_scale_f64 v[97:98], vcc_lo, 1.0, v[76:77], 1.0
	v_mul_f64 v[99:100], v[97:98], v[95:96]
	s_delay_alu instid0(VALU_DEP_1) | instskip(NEXT) | instid1(VALU_DEP_1)
	v_fma_f64 v[78:79], -v[78:79], v[99:100], v[97:98]
	v_div_fmas_f64 v[78:79], v[78:79], v[95:96], v[99:100]
	s_delay_alu instid0(VALU_DEP_1) | instskip(NEXT) | instid1(VALU_DEP_1)
	v_div_fixup_f64 v[76:77], v[78:79], v[76:77], 1.0
	v_mul_f64 v[78:79], v[93:94], -v[76:77]
.LBB36_219:
	s_or_b32 exec_lo, exec_lo, s2
.LBB36_220:
	s_delay_alu instid0(SALU_CYCLE_1) | instskip(NEXT) | instid1(SALU_CYCLE_1)
	s_or_b32 exec_lo, exec_lo, s3
	s_mov_b32 s2, exec_lo
	v_cmpx_ne_u32_e64 v92, v84
	s_xor_b32 s2, exec_lo, s2
	s_cbranch_execz .LBB36_226
; %bb.221:
	s_mov_b32 s3, exec_lo
	v_cmpx_eq_u32_e32 10, v92
	s_cbranch_execz .LBB36_225
; %bb.222:
	v_cmp_ne_u32_e32 vcc_lo, 10, v84
	s_xor_b32 s6, s4, -1
	s_delay_alu instid0(SALU_CYCLE_1) | instskip(NEXT) | instid1(SALU_CYCLE_1)
	s_and_b32 s7, s6, vcc_lo
	s_and_saveexec_b32 s6, s7
	s_cbranch_execz .LBB36_224
; %bb.223:
	v_ashrrev_i32_e32 v85, 31, v84
	s_delay_alu instid0(VALU_DEP_1) | instskip(NEXT) | instid1(VALU_DEP_1)
	v_lshlrev_b64 v[92:93], 2, v[84:85]
	v_add_co_u32 v92, vcc_lo, v82, v92
	s_delay_alu instid0(VALU_DEP_2)
	v_add_co_ci_u32_e32 v93, vcc_lo, v83, v93, vcc_lo
	s_clause 0x1
	flat_load_b32 v85, v[92:93]
	flat_load_b32 v89, v[82:83] offset:40
	s_waitcnt vmcnt(1) lgkmcnt(1)
	flat_store_b32 v[82:83], v85 offset:40
	s_waitcnt vmcnt(0) lgkmcnt(1)
	flat_store_b32 v[92:93], v89
.LBB36_224:
	s_or_b32 exec_lo, exec_lo, s6
	v_mov_b32_e32 v92, v84
	v_mov_b32_e32 v89, v84
.LBB36_225:
	s_or_b32 exec_lo, exec_lo, s3
.LBB36_226:
	s_and_not1_saveexec_b32 s2, s2
	s_cbranch_execz .LBB36_228
; %bb.227:
	v_mov_b32_e32 v92, 10
	ds_store_2addr_b64 v86, v[28:29], v[30:31] offset0:22 offset1:23
	ds_store_2addr_b64 v86, v[24:25], v[26:27] offset0:24 offset1:25
	;; [unrolled: 1-line block ×8, first 2 shown]
.LBB36_228:
	s_or_b32 exec_lo, exec_lo, s2
	s_delay_alu instid0(SALU_CYCLE_1)
	s_mov_b32 s2, exec_lo
	s_waitcnt lgkmcnt(0)
	s_waitcnt_vscnt null, 0x0
	s_barrier
	buffer_gl0_inv
	v_cmpx_lt_i32_e32 10, v92
	s_cbranch_execz .LBB36_230
; %bb.229:
	v_mul_f64 v[84:85], v[76:77], v[34:35]
	v_mul_f64 v[34:35], v[78:79], v[34:35]
	ds_load_2addr_b64 v[93:96], v86 offset0:22 offset1:23
	ds_load_2addr_b64 v[97:100], v86 offset0:24 offset1:25
	;; [unrolled: 1-line block ×8, first 2 shown]
	v_fma_f64 v[78:79], v[78:79], v[32:33], v[84:85]
	v_fma_f64 v[32:33], v[76:77], v[32:33], -v[34:35]
	s_waitcnt lgkmcnt(7)
	s_delay_alu instid0(VALU_DEP_2)
	v_mul_f64 v[34:35], v[95:96], v[78:79]
	v_mul_f64 v[76:77], v[93:94], v[78:79]
	s_waitcnt lgkmcnt(6)
	v_mul_f64 v[84:85], v[99:100], v[78:79]
	v_mul_f64 v[125:126], v[97:98], v[78:79]
	s_waitcnt lgkmcnt(5)
	;; [unrolled: 3-line block ×7, first 2 shown]
	v_mul_f64 v[147:148], v[123:124], v[78:79]
	v_mul_f64 v[149:150], v[121:122], v[78:79]
	v_fma_f64 v[34:35], v[93:94], v[32:33], -v[34:35]
	v_fma_f64 v[76:77], v[95:96], v[32:33], v[76:77]
	v_fma_f64 v[84:85], v[97:98], v[32:33], -v[84:85]
	v_fma_f64 v[93:94], v[99:100], v[32:33], v[125:126]
	;; [unrolled: 2-line block ×8, first 2 shown]
	v_add_f64 v[28:29], v[28:29], -v[34:35]
	v_add_f64 v[30:31], v[30:31], -v[76:77]
	;; [unrolled: 1-line block ×16, first 2 shown]
	v_dual_mov_b32 v34, v78 :: v_dual_mov_b32 v35, v79
.LBB36_230:
	s_or_b32 exec_lo, exec_lo, s2
	v_lshl_add_u32 v76, v92, 4, v86
	s_barrier
	buffer_gl0_inv
	v_mov_b32_e32 v84, 11
	ds_store_2addr_b64 v76, v[28:29], v[30:31] offset1:1
	s_waitcnt lgkmcnt(0)
	s_barrier
	buffer_gl0_inv
	ds_load_2addr_b64 v[76:79], v86 offset0:22 offset1:23
	s_cmp_lt_i32 s5, 13
	s_cbranch_scc1 .LBB36_233
; %bb.231:
	v_add3_u32 v85, v91, 0, 0xc0
	v_mov_b32_e32 v84, 11
	s_mov_b32 s6, 12
	s_set_inst_prefetch_distance 0x1
	.p2align	6
.LBB36_232:                             ; =>This Inner Loop Header: Depth=1
	ds_load_2addr_b64 v[93:96], v85 offset1:1
	s_waitcnt lgkmcnt(1)
	v_cmp_gt_f64_e32 vcc_lo, 0, v[76:77]
	v_xor_b32_e32 v97, 0x80000000, v77
	v_cmp_gt_f64_e64 s2, 0, v[78:79]
	v_xor_b32_e32 v99, 0x80000000, v79
	v_add_nc_u32_e32 v85, 16, v85
	s_waitcnt lgkmcnt(0)
	v_cmp_gt_f64_e64 s3, 0, v[93:94]
	v_mov_b32_e32 v101, v93
	v_dual_mov_b32 v103, v95 :: v_dual_cndmask_b32 v98, v77, v97
	v_xor_b32_e32 v97, 0x80000000, v94
	v_cndmask_b32_e64 v100, v79, v99, s2
	v_xor_b32_e32 v99, 0x80000000, v96
	s_delay_alu instid0(VALU_DEP_3) | instskip(SKIP_2) | instid1(VALU_DEP_2)
	v_cndmask_b32_e64 v102, v94, v97, s3
	v_cmp_gt_f64_e64 s3, 0, v[95:96]
	v_cndmask_b32_e32 v97, v76, v76, vcc_lo
	v_cndmask_b32_e64 v104, v96, v99, s3
	v_cndmask_b32_e64 v99, v78, v78, s2
	s_delay_alu instid0(VALU_DEP_2) | instskip(NEXT) | instid1(VALU_DEP_2)
	v_add_f64 v[101:102], v[101:102], v[103:104]
	v_add_f64 v[97:98], v[97:98], v[99:100]
	s_delay_alu instid0(VALU_DEP_1) | instskip(SKIP_4) | instid1(SALU_CYCLE_1)
	v_cmp_lt_f64_e32 vcc_lo, v[97:98], v[101:102]
	v_dual_cndmask_b32 v78, v78, v95 :: v_dual_cndmask_b32 v77, v77, v94
	v_dual_cndmask_b32 v76, v76, v93 :: v_dual_cndmask_b32 v79, v79, v96
	v_cndmask_b32_e64 v84, v84, s6, vcc_lo
	s_add_i32 s6, s6, 1
	s_cmp_lg_u32 s5, s6
	s_cbranch_scc1 .LBB36_232
.LBB36_233:
	s_set_inst_prefetch_distance 0x2
	s_waitcnt lgkmcnt(0)
	v_cmp_eq_f64_e32 vcc_lo, 0, v[76:77]
	v_cmp_eq_f64_e64 s2, 0, v[78:79]
	s_delay_alu instid0(VALU_DEP_1) | instskip(NEXT) | instid1(SALU_CYCLE_1)
	s_and_b32 s2, vcc_lo, s2
	s_and_saveexec_b32 s3, s2
	s_delay_alu instid0(SALU_CYCLE_1)
	s_xor_b32 s2, exec_lo, s3
; %bb.234:
	v_cmp_ne_u32_e32 vcc_lo, 0, v90
	v_cndmask_b32_e32 v90, 12, v90, vcc_lo
; %bb.235:
	s_and_not1_saveexec_b32 s3, s2
	s_cbranch_execz .LBB36_241
; %bb.236:
	v_cmp_gt_f64_e32 vcc_lo, 0, v[76:77]
	v_cmp_gt_f64_e64 s2, 0, v[78:79]
	v_xor_b32_e32 v85, 0x80000000, v77
	v_xor_b32_e32 v93, 0x80000000, v79
	s_delay_alu instid0(VALU_DEP_2) | instskip(NEXT) | instid1(VALU_DEP_2)
	v_cndmask_b32_e32 v94, v77, v85, vcc_lo
	v_cndmask_b32_e64 v96, v79, v93, s2
	v_cndmask_b32_e32 v93, v76, v76, vcc_lo
	v_cndmask_b32_e64 v95, v78, v78, s2
	s_mov_b32 s2, exec_lo
	s_delay_alu instid0(VALU_DEP_1)
	v_cmpx_ngt_f64_e32 v[93:94], v[95:96]
	s_xor_b32 s2, exec_lo, s2
	s_cbranch_execz .LBB36_238
; %bb.237:
	v_div_scale_f64 v[93:94], null, v[78:79], v[78:79], v[76:77]
	v_div_scale_f64 v[99:100], vcc_lo, v[76:77], v[78:79], v[76:77]
	s_delay_alu instid0(VALU_DEP_2) | instskip(SKIP_2) | instid1(VALU_DEP_1)
	v_rcp_f64_e32 v[95:96], v[93:94]
	s_waitcnt_depctr 0xfff
	v_fma_f64 v[97:98], -v[93:94], v[95:96], 1.0
	v_fma_f64 v[95:96], v[95:96], v[97:98], v[95:96]
	s_delay_alu instid0(VALU_DEP_1) | instskip(NEXT) | instid1(VALU_DEP_1)
	v_fma_f64 v[97:98], -v[93:94], v[95:96], 1.0
	v_fma_f64 v[95:96], v[95:96], v[97:98], v[95:96]
	s_delay_alu instid0(VALU_DEP_1) | instskip(NEXT) | instid1(VALU_DEP_1)
	v_mul_f64 v[97:98], v[99:100], v[95:96]
	v_fma_f64 v[93:94], -v[93:94], v[97:98], v[99:100]
	s_delay_alu instid0(VALU_DEP_1) | instskip(NEXT) | instid1(VALU_DEP_1)
	v_div_fmas_f64 v[93:94], v[93:94], v[95:96], v[97:98]
	v_div_fixup_f64 v[93:94], v[93:94], v[78:79], v[76:77]
	s_delay_alu instid0(VALU_DEP_1) | instskip(NEXT) | instid1(VALU_DEP_1)
	v_fma_f64 v[76:77], v[76:77], v[93:94], v[78:79]
	v_div_scale_f64 v[78:79], null, v[76:77], v[76:77], 1.0
	s_delay_alu instid0(VALU_DEP_1) | instskip(SKIP_2) | instid1(VALU_DEP_1)
	v_rcp_f64_e32 v[95:96], v[78:79]
	s_waitcnt_depctr 0xfff
	v_fma_f64 v[97:98], -v[78:79], v[95:96], 1.0
	v_fma_f64 v[95:96], v[95:96], v[97:98], v[95:96]
	s_delay_alu instid0(VALU_DEP_1) | instskip(NEXT) | instid1(VALU_DEP_1)
	v_fma_f64 v[97:98], -v[78:79], v[95:96], 1.0
	v_fma_f64 v[95:96], v[95:96], v[97:98], v[95:96]
	v_div_scale_f64 v[97:98], vcc_lo, 1.0, v[76:77], 1.0
	s_delay_alu instid0(VALU_DEP_1) | instskip(NEXT) | instid1(VALU_DEP_1)
	v_mul_f64 v[99:100], v[97:98], v[95:96]
	v_fma_f64 v[78:79], -v[78:79], v[99:100], v[97:98]
	s_delay_alu instid0(VALU_DEP_1) | instskip(NEXT) | instid1(VALU_DEP_1)
	v_div_fmas_f64 v[78:79], v[78:79], v[95:96], v[99:100]
	v_div_fixup_f64 v[78:79], v[78:79], v[76:77], 1.0
	s_delay_alu instid0(VALU_DEP_1)
	v_mul_f64 v[76:77], v[93:94], v[78:79]
	v_xor_b32_e32 v79, 0x80000000, v79
.LBB36_238:
	s_and_not1_saveexec_b32 s2, s2
	s_cbranch_execz .LBB36_240
; %bb.239:
	s_delay_alu instid0(VALU_DEP_1) | instskip(SKIP_1) | instid1(VALU_DEP_2)
	v_div_scale_f64 v[93:94], null, v[76:77], v[76:77], v[78:79]
	v_div_scale_f64 v[99:100], vcc_lo, v[78:79], v[76:77], v[78:79]
	v_rcp_f64_e32 v[95:96], v[93:94]
	s_waitcnt_depctr 0xfff
	v_fma_f64 v[97:98], -v[93:94], v[95:96], 1.0
	s_delay_alu instid0(VALU_DEP_1) | instskip(NEXT) | instid1(VALU_DEP_1)
	v_fma_f64 v[95:96], v[95:96], v[97:98], v[95:96]
	v_fma_f64 v[97:98], -v[93:94], v[95:96], 1.0
	s_delay_alu instid0(VALU_DEP_1) | instskip(NEXT) | instid1(VALU_DEP_1)
	v_fma_f64 v[95:96], v[95:96], v[97:98], v[95:96]
	v_mul_f64 v[97:98], v[99:100], v[95:96]
	s_delay_alu instid0(VALU_DEP_1) | instskip(NEXT) | instid1(VALU_DEP_1)
	v_fma_f64 v[93:94], -v[93:94], v[97:98], v[99:100]
	v_div_fmas_f64 v[93:94], v[93:94], v[95:96], v[97:98]
	s_delay_alu instid0(VALU_DEP_1) | instskip(NEXT) | instid1(VALU_DEP_1)
	v_div_fixup_f64 v[93:94], v[93:94], v[76:77], v[78:79]
	v_fma_f64 v[76:77], v[78:79], v[93:94], v[76:77]
	s_delay_alu instid0(VALU_DEP_1) | instskip(NEXT) | instid1(VALU_DEP_1)
	v_div_scale_f64 v[78:79], null, v[76:77], v[76:77], 1.0
	v_rcp_f64_e32 v[95:96], v[78:79]
	s_waitcnt_depctr 0xfff
	v_fma_f64 v[97:98], -v[78:79], v[95:96], 1.0
	s_delay_alu instid0(VALU_DEP_1) | instskip(NEXT) | instid1(VALU_DEP_1)
	v_fma_f64 v[95:96], v[95:96], v[97:98], v[95:96]
	v_fma_f64 v[97:98], -v[78:79], v[95:96], 1.0
	s_delay_alu instid0(VALU_DEP_1) | instskip(SKIP_1) | instid1(VALU_DEP_1)
	v_fma_f64 v[95:96], v[95:96], v[97:98], v[95:96]
	v_div_scale_f64 v[97:98], vcc_lo, 1.0, v[76:77], 1.0
	v_mul_f64 v[99:100], v[97:98], v[95:96]
	s_delay_alu instid0(VALU_DEP_1) | instskip(NEXT) | instid1(VALU_DEP_1)
	v_fma_f64 v[78:79], -v[78:79], v[99:100], v[97:98]
	v_div_fmas_f64 v[78:79], v[78:79], v[95:96], v[99:100]
	s_delay_alu instid0(VALU_DEP_1) | instskip(NEXT) | instid1(VALU_DEP_1)
	v_div_fixup_f64 v[76:77], v[78:79], v[76:77], 1.0
	v_mul_f64 v[78:79], v[93:94], -v[76:77]
.LBB36_240:
	s_or_b32 exec_lo, exec_lo, s2
.LBB36_241:
	s_delay_alu instid0(SALU_CYCLE_1) | instskip(NEXT) | instid1(SALU_CYCLE_1)
	s_or_b32 exec_lo, exec_lo, s3
	s_mov_b32 s2, exec_lo
	v_cmpx_ne_u32_e64 v92, v84
	s_xor_b32 s2, exec_lo, s2
	s_cbranch_execz .LBB36_247
; %bb.242:
	s_mov_b32 s3, exec_lo
	v_cmpx_eq_u32_e32 11, v92
	s_cbranch_execz .LBB36_246
; %bb.243:
	v_cmp_ne_u32_e32 vcc_lo, 11, v84
	s_xor_b32 s6, s4, -1
	s_delay_alu instid0(SALU_CYCLE_1) | instskip(NEXT) | instid1(SALU_CYCLE_1)
	s_and_b32 s7, s6, vcc_lo
	s_and_saveexec_b32 s6, s7
	s_cbranch_execz .LBB36_245
; %bb.244:
	v_ashrrev_i32_e32 v85, 31, v84
	s_delay_alu instid0(VALU_DEP_1) | instskip(NEXT) | instid1(VALU_DEP_1)
	v_lshlrev_b64 v[92:93], 2, v[84:85]
	v_add_co_u32 v92, vcc_lo, v82, v92
	s_delay_alu instid0(VALU_DEP_2)
	v_add_co_ci_u32_e32 v93, vcc_lo, v83, v93, vcc_lo
	s_clause 0x1
	flat_load_b32 v85, v[92:93]
	flat_load_b32 v89, v[82:83] offset:44
	s_waitcnt vmcnt(1) lgkmcnt(1)
	flat_store_b32 v[82:83], v85 offset:44
	s_waitcnt vmcnt(0) lgkmcnt(1)
	flat_store_b32 v[92:93], v89
.LBB36_245:
	s_or_b32 exec_lo, exec_lo, s6
	v_mov_b32_e32 v92, v84
	v_mov_b32_e32 v89, v84
.LBB36_246:
	s_or_b32 exec_lo, exec_lo, s3
.LBB36_247:
	s_and_not1_saveexec_b32 s2, s2
	s_cbranch_execz .LBB36_249
; %bb.248:
	v_mov_b32_e32 v92, 11
	ds_store_2addr_b64 v86, v[24:25], v[26:27] offset0:24 offset1:25
	ds_store_2addr_b64 v86, v[20:21], v[22:23] offset0:26 offset1:27
	;; [unrolled: 1-line block ×7, first 2 shown]
.LBB36_249:
	s_or_b32 exec_lo, exec_lo, s2
	s_delay_alu instid0(SALU_CYCLE_1)
	s_mov_b32 s2, exec_lo
	s_waitcnt lgkmcnt(0)
	s_waitcnt_vscnt null, 0x0
	s_barrier
	buffer_gl0_inv
	v_cmpx_lt_i32_e32 11, v92
	s_cbranch_execz .LBB36_251
; %bb.250:
	v_mul_f64 v[84:85], v[76:77], v[30:31]
	v_mul_f64 v[30:31], v[78:79], v[30:31]
	ds_load_2addr_b64 v[93:96], v86 offset0:24 offset1:25
	ds_load_2addr_b64 v[97:100], v86 offset0:26 offset1:27
	;; [unrolled: 1-line block ×7, first 2 shown]
	v_fma_f64 v[78:79], v[78:79], v[28:29], v[84:85]
	v_fma_f64 v[28:29], v[76:77], v[28:29], -v[30:31]
	s_waitcnt lgkmcnt(6)
	s_delay_alu instid0(VALU_DEP_2)
	v_mul_f64 v[30:31], v[95:96], v[78:79]
	v_mul_f64 v[76:77], v[93:94], v[78:79]
	s_waitcnt lgkmcnt(5)
	v_mul_f64 v[84:85], v[99:100], v[78:79]
	v_mul_f64 v[121:122], v[97:98], v[78:79]
	s_waitcnt lgkmcnt(4)
	;; [unrolled: 3-line block ×6, first 2 shown]
	v_mul_f64 v[139:140], v[119:120], v[78:79]
	v_mul_f64 v[141:142], v[117:118], v[78:79]
	v_fma_f64 v[30:31], v[93:94], v[28:29], -v[30:31]
	v_fma_f64 v[76:77], v[95:96], v[28:29], v[76:77]
	v_fma_f64 v[84:85], v[97:98], v[28:29], -v[84:85]
	v_fma_f64 v[93:94], v[99:100], v[28:29], v[121:122]
	;; [unrolled: 2-line block ×7, first 2 shown]
	v_add_f64 v[24:25], v[24:25], -v[30:31]
	v_add_f64 v[26:27], v[26:27], -v[76:77]
	;; [unrolled: 1-line block ×14, first 2 shown]
	v_dual_mov_b32 v30, v78 :: v_dual_mov_b32 v31, v79
.LBB36_251:
	s_or_b32 exec_lo, exec_lo, s2
	v_lshl_add_u32 v76, v92, 4, v86
	s_barrier
	buffer_gl0_inv
	v_mov_b32_e32 v84, 12
	ds_store_2addr_b64 v76, v[24:25], v[26:27] offset1:1
	s_waitcnt lgkmcnt(0)
	s_barrier
	buffer_gl0_inv
	ds_load_2addr_b64 v[76:79], v86 offset0:24 offset1:25
	s_cmp_lt_i32 s5, 14
	s_cbranch_scc1 .LBB36_254
; %bb.252:
	v_add3_u32 v85, v91, 0, 0xd0
	v_mov_b32_e32 v84, 12
	s_mov_b32 s6, 13
	s_set_inst_prefetch_distance 0x1
	.p2align	6
.LBB36_253:                             ; =>This Inner Loop Header: Depth=1
	ds_load_2addr_b64 v[93:96], v85 offset1:1
	s_waitcnt lgkmcnt(1)
	v_cmp_gt_f64_e32 vcc_lo, 0, v[76:77]
	v_xor_b32_e32 v97, 0x80000000, v77
	v_cmp_gt_f64_e64 s2, 0, v[78:79]
	v_xor_b32_e32 v99, 0x80000000, v79
	v_add_nc_u32_e32 v85, 16, v85
	s_waitcnt lgkmcnt(0)
	v_cmp_gt_f64_e64 s3, 0, v[93:94]
	v_mov_b32_e32 v101, v93
	v_dual_mov_b32 v103, v95 :: v_dual_cndmask_b32 v98, v77, v97
	v_xor_b32_e32 v97, 0x80000000, v94
	v_cndmask_b32_e64 v100, v79, v99, s2
	v_xor_b32_e32 v99, 0x80000000, v96
	s_delay_alu instid0(VALU_DEP_3) | instskip(SKIP_2) | instid1(VALU_DEP_2)
	v_cndmask_b32_e64 v102, v94, v97, s3
	v_cmp_gt_f64_e64 s3, 0, v[95:96]
	v_cndmask_b32_e32 v97, v76, v76, vcc_lo
	v_cndmask_b32_e64 v104, v96, v99, s3
	v_cndmask_b32_e64 v99, v78, v78, s2
	s_delay_alu instid0(VALU_DEP_2) | instskip(NEXT) | instid1(VALU_DEP_2)
	v_add_f64 v[101:102], v[101:102], v[103:104]
	v_add_f64 v[97:98], v[97:98], v[99:100]
	s_delay_alu instid0(VALU_DEP_1) | instskip(SKIP_4) | instid1(SALU_CYCLE_1)
	v_cmp_lt_f64_e32 vcc_lo, v[97:98], v[101:102]
	v_dual_cndmask_b32 v78, v78, v95 :: v_dual_cndmask_b32 v77, v77, v94
	v_dual_cndmask_b32 v76, v76, v93 :: v_dual_cndmask_b32 v79, v79, v96
	v_cndmask_b32_e64 v84, v84, s6, vcc_lo
	s_add_i32 s6, s6, 1
	s_cmp_lg_u32 s5, s6
	s_cbranch_scc1 .LBB36_253
.LBB36_254:
	s_set_inst_prefetch_distance 0x2
	s_waitcnt lgkmcnt(0)
	v_cmp_eq_f64_e32 vcc_lo, 0, v[76:77]
	v_cmp_eq_f64_e64 s2, 0, v[78:79]
	s_delay_alu instid0(VALU_DEP_1) | instskip(NEXT) | instid1(SALU_CYCLE_1)
	s_and_b32 s2, vcc_lo, s2
	s_and_saveexec_b32 s3, s2
	s_delay_alu instid0(SALU_CYCLE_1)
	s_xor_b32 s2, exec_lo, s3
; %bb.255:
	v_cmp_ne_u32_e32 vcc_lo, 0, v90
	v_cndmask_b32_e32 v90, 13, v90, vcc_lo
; %bb.256:
	s_and_not1_saveexec_b32 s3, s2
	s_cbranch_execz .LBB36_262
; %bb.257:
	v_cmp_gt_f64_e32 vcc_lo, 0, v[76:77]
	v_cmp_gt_f64_e64 s2, 0, v[78:79]
	v_xor_b32_e32 v85, 0x80000000, v77
	v_xor_b32_e32 v93, 0x80000000, v79
	s_delay_alu instid0(VALU_DEP_2) | instskip(NEXT) | instid1(VALU_DEP_2)
	v_cndmask_b32_e32 v94, v77, v85, vcc_lo
	v_cndmask_b32_e64 v96, v79, v93, s2
	v_cndmask_b32_e32 v93, v76, v76, vcc_lo
	v_cndmask_b32_e64 v95, v78, v78, s2
	s_mov_b32 s2, exec_lo
	s_delay_alu instid0(VALU_DEP_1)
	v_cmpx_ngt_f64_e32 v[93:94], v[95:96]
	s_xor_b32 s2, exec_lo, s2
	s_cbranch_execz .LBB36_259
; %bb.258:
	v_div_scale_f64 v[93:94], null, v[78:79], v[78:79], v[76:77]
	v_div_scale_f64 v[99:100], vcc_lo, v[76:77], v[78:79], v[76:77]
	s_delay_alu instid0(VALU_DEP_2) | instskip(SKIP_2) | instid1(VALU_DEP_1)
	v_rcp_f64_e32 v[95:96], v[93:94]
	s_waitcnt_depctr 0xfff
	v_fma_f64 v[97:98], -v[93:94], v[95:96], 1.0
	v_fma_f64 v[95:96], v[95:96], v[97:98], v[95:96]
	s_delay_alu instid0(VALU_DEP_1) | instskip(NEXT) | instid1(VALU_DEP_1)
	v_fma_f64 v[97:98], -v[93:94], v[95:96], 1.0
	v_fma_f64 v[95:96], v[95:96], v[97:98], v[95:96]
	s_delay_alu instid0(VALU_DEP_1) | instskip(NEXT) | instid1(VALU_DEP_1)
	v_mul_f64 v[97:98], v[99:100], v[95:96]
	v_fma_f64 v[93:94], -v[93:94], v[97:98], v[99:100]
	s_delay_alu instid0(VALU_DEP_1) | instskip(NEXT) | instid1(VALU_DEP_1)
	v_div_fmas_f64 v[93:94], v[93:94], v[95:96], v[97:98]
	v_div_fixup_f64 v[93:94], v[93:94], v[78:79], v[76:77]
	s_delay_alu instid0(VALU_DEP_1) | instskip(NEXT) | instid1(VALU_DEP_1)
	v_fma_f64 v[76:77], v[76:77], v[93:94], v[78:79]
	v_div_scale_f64 v[78:79], null, v[76:77], v[76:77], 1.0
	s_delay_alu instid0(VALU_DEP_1) | instskip(SKIP_2) | instid1(VALU_DEP_1)
	v_rcp_f64_e32 v[95:96], v[78:79]
	s_waitcnt_depctr 0xfff
	v_fma_f64 v[97:98], -v[78:79], v[95:96], 1.0
	v_fma_f64 v[95:96], v[95:96], v[97:98], v[95:96]
	s_delay_alu instid0(VALU_DEP_1) | instskip(NEXT) | instid1(VALU_DEP_1)
	v_fma_f64 v[97:98], -v[78:79], v[95:96], 1.0
	v_fma_f64 v[95:96], v[95:96], v[97:98], v[95:96]
	v_div_scale_f64 v[97:98], vcc_lo, 1.0, v[76:77], 1.0
	s_delay_alu instid0(VALU_DEP_1) | instskip(NEXT) | instid1(VALU_DEP_1)
	v_mul_f64 v[99:100], v[97:98], v[95:96]
	v_fma_f64 v[78:79], -v[78:79], v[99:100], v[97:98]
	s_delay_alu instid0(VALU_DEP_1) | instskip(NEXT) | instid1(VALU_DEP_1)
	v_div_fmas_f64 v[78:79], v[78:79], v[95:96], v[99:100]
	v_div_fixup_f64 v[78:79], v[78:79], v[76:77], 1.0
	s_delay_alu instid0(VALU_DEP_1)
	v_mul_f64 v[76:77], v[93:94], v[78:79]
	v_xor_b32_e32 v79, 0x80000000, v79
.LBB36_259:
	s_and_not1_saveexec_b32 s2, s2
	s_cbranch_execz .LBB36_261
; %bb.260:
	s_delay_alu instid0(VALU_DEP_1) | instskip(SKIP_1) | instid1(VALU_DEP_2)
	v_div_scale_f64 v[93:94], null, v[76:77], v[76:77], v[78:79]
	v_div_scale_f64 v[99:100], vcc_lo, v[78:79], v[76:77], v[78:79]
	v_rcp_f64_e32 v[95:96], v[93:94]
	s_waitcnt_depctr 0xfff
	v_fma_f64 v[97:98], -v[93:94], v[95:96], 1.0
	s_delay_alu instid0(VALU_DEP_1) | instskip(NEXT) | instid1(VALU_DEP_1)
	v_fma_f64 v[95:96], v[95:96], v[97:98], v[95:96]
	v_fma_f64 v[97:98], -v[93:94], v[95:96], 1.0
	s_delay_alu instid0(VALU_DEP_1) | instskip(NEXT) | instid1(VALU_DEP_1)
	v_fma_f64 v[95:96], v[95:96], v[97:98], v[95:96]
	v_mul_f64 v[97:98], v[99:100], v[95:96]
	s_delay_alu instid0(VALU_DEP_1) | instskip(NEXT) | instid1(VALU_DEP_1)
	v_fma_f64 v[93:94], -v[93:94], v[97:98], v[99:100]
	v_div_fmas_f64 v[93:94], v[93:94], v[95:96], v[97:98]
	s_delay_alu instid0(VALU_DEP_1) | instskip(NEXT) | instid1(VALU_DEP_1)
	v_div_fixup_f64 v[93:94], v[93:94], v[76:77], v[78:79]
	v_fma_f64 v[76:77], v[78:79], v[93:94], v[76:77]
	s_delay_alu instid0(VALU_DEP_1) | instskip(NEXT) | instid1(VALU_DEP_1)
	v_div_scale_f64 v[78:79], null, v[76:77], v[76:77], 1.0
	v_rcp_f64_e32 v[95:96], v[78:79]
	s_waitcnt_depctr 0xfff
	v_fma_f64 v[97:98], -v[78:79], v[95:96], 1.0
	s_delay_alu instid0(VALU_DEP_1) | instskip(NEXT) | instid1(VALU_DEP_1)
	v_fma_f64 v[95:96], v[95:96], v[97:98], v[95:96]
	v_fma_f64 v[97:98], -v[78:79], v[95:96], 1.0
	s_delay_alu instid0(VALU_DEP_1) | instskip(SKIP_1) | instid1(VALU_DEP_1)
	v_fma_f64 v[95:96], v[95:96], v[97:98], v[95:96]
	v_div_scale_f64 v[97:98], vcc_lo, 1.0, v[76:77], 1.0
	v_mul_f64 v[99:100], v[97:98], v[95:96]
	s_delay_alu instid0(VALU_DEP_1) | instskip(NEXT) | instid1(VALU_DEP_1)
	v_fma_f64 v[78:79], -v[78:79], v[99:100], v[97:98]
	v_div_fmas_f64 v[78:79], v[78:79], v[95:96], v[99:100]
	s_delay_alu instid0(VALU_DEP_1) | instskip(NEXT) | instid1(VALU_DEP_1)
	v_div_fixup_f64 v[76:77], v[78:79], v[76:77], 1.0
	v_mul_f64 v[78:79], v[93:94], -v[76:77]
.LBB36_261:
	s_or_b32 exec_lo, exec_lo, s2
.LBB36_262:
	s_delay_alu instid0(SALU_CYCLE_1) | instskip(NEXT) | instid1(SALU_CYCLE_1)
	s_or_b32 exec_lo, exec_lo, s3
	s_mov_b32 s2, exec_lo
	v_cmpx_ne_u32_e64 v92, v84
	s_xor_b32 s2, exec_lo, s2
	s_cbranch_execz .LBB36_268
; %bb.263:
	s_mov_b32 s3, exec_lo
	v_cmpx_eq_u32_e32 12, v92
	s_cbranch_execz .LBB36_267
; %bb.264:
	v_cmp_ne_u32_e32 vcc_lo, 12, v84
	s_xor_b32 s6, s4, -1
	s_delay_alu instid0(SALU_CYCLE_1) | instskip(NEXT) | instid1(SALU_CYCLE_1)
	s_and_b32 s7, s6, vcc_lo
	s_and_saveexec_b32 s6, s7
	s_cbranch_execz .LBB36_266
; %bb.265:
	v_ashrrev_i32_e32 v85, 31, v84
	s_delay_alu instid0(VALU_DEP_1) | instskip(NEXT) | instid1(VALU_DEP_1)
	v_lshlrev_b64 v[92:93], 2, v[84:85]
	v_add_co_u32 v92, vcc_lo, v82, v92
	s_delay_alu instid0(VALU_DEP_2)
	v_add_co_ci_u32_e32 v93, vcc_lo, v83, v93, vcc_lo
	s_clause 0x1
	flat_load_b32 v85, v[92:93]
	flat_load_b32 v89, v[82:83] offset:48
	s_waitcnt vmcnt(1) lgkmcnt(1)
	flat_store_b32 v[82:83], v85 offset:48
	s_waitcnt vmcnt(0) lgkmcnt(1)
	flat_store_b32 v[92:93], v89
.LBB36_266:
	s_or_b32 exec_lo, exec_lo, s6
	v_mov_b32_e32 v92, v84
	v_mov_b32_e32 v89, v84
.LBB36_267:
	s_or_b32 exec_lo, exec_lo, s3
.LBB36_268:
	s_and_not1_saveexec_b32 s2, s2
	s_cbranch_execz .LBB36_270
; %bb.269:
	v_mov_b32_e32 v92, 12
	ds_store_2addr_b64 v86, v[20:21], v[22:23] offset0:26 offset1:27
	ds_store_2addr_b64 v86, v[16:17], v[18:19] offset0:28 offset1:29
	;; [unrolled: 1-line block ×6, first 2 shown]
.LBB36_270:
	s_or_b32 exec_lo, exec_lo, s2
	s_delay_alu instid0(SALU_CYCLE_1)
	s_mov_b32 s2, exec_lo
	s_waitcnt lgkmcnt(0)
	s_waitcnt_vscnt null, 0x0
	s_barrier
	buffer_gl0_inv
	v_cmpx_lt_i32_e32 12, v92
	s_cbranch_execz .LBB36_272
; %bb.271:
	v_mul_f64 v[84:85], v[76:77], v[26:27]
	v_mul_f64 v[26:27], v[78:79], v[26:27]
	ds_load_2addr_b64 v[93:96], v86 offset0:26 offset1:27
	ds_load_2addr_b64 v[97:100], v86 offset0:28 offset1:29
	;; [unrolled: 1-line block ×6, first 2 shown]
	v_fma_f64 v[78:79], v[78:79], v[24:25], v[84:85]
	v_fma_f64 v[24:25], v[76:77], v[24:25], -v[26:27]
	s_waitcnt lgkmcnt(5)
	s_delay_alu instid0(VALU_DEP_2)
	v_mul_f64 v[26:27], v[95:96], v[78:79]
	v_mul_f64 v[76:77], v[93:94], v[78:79]
	s_waitcnt lgkmcnt(4)
	v_mul_f64 v[84:85], v[99:100], v[78:79]
	v_mul_f64 v[117:118], v[97:98], v[78:79]
	s_waitcnt lgkmcnt(3)
	;; [unrolled: 3-line block ×5, first 2 shown]
	v_mul_f64 v[131:132], v[115:116], v[78:79]
	v_mul_f64 v[133:134], v[113:114], v[78:79]
	v_fma_f64 v[26:27], v[93:94], v[24:25], -v[26:27]
	v_fma_f64 v[76:77], v[95:96], v[24:25], v[76:77]
	v_fma_f64 v[84:85], v[97:98], v[24:25], -v[84:85]
	v_fma_f64 v[93:94], v[99:100], v[24:25], v[117:118]
	;; [unrolled: 2-line block ×6, first 2 shown]
	v_add_f64 v[20:21], v[20:21], -v[26:27]
	v_add_f64 v[22:23], v[22:23], -v[76:77]
	;; [unrolled: 1-line block ×12, first 2 shown]
	v_dual_mov_b32 v26, v78 :: v_dual_mov_b32 v27, v79
.LBB36_272:
	s_or_b32 exec_lo, exec_lo, s2
	v_lshl_add_u32 v76, v92, 4, v86
	s_barrier
	buffer_gl0_inv
	v_mov_b32_e32 v84, 13
	ds_store_2addr_b64 v76, v[20:21], v[22:23] offset1:1
	s_waitcnt lgkmcnt(0)
	s_barrier
	buffer_gl0_inv
	ds_load_2addr_b64 v[76:79], v86 offset0:26 offset1:27
	s_cmp_lt_i32 s5, 15
	s_cbranch_scc1 .LBB36_275
; %bb.273:
	v_add3_u32 v85, v91, 0, 0xe0
	v_mov_b32_e32 v84, 13
	s_mov_b32 s6, 14
	s_set_inst_prefetch_distance 0x1
	.p2align	6
.LBB36_274:                             ; =>This Inner Loop Header: Depth=1
	ds_load_2addr_b64 v[93:96], v85 offset1:1
	s_waitcnt lgkmcnt(1)
	v_cmp_gt_f64_e32 vcc_lo, 0, v[76:77]
	v_xor_b32_e32 v97, 0x80000000, v77
	v_cmp_gt_f64_e64 s2, 0, v[78:79]
	v_xor_b32_e32 v99, 0x80000000, v79
	v_add_nc_u32_e32 v85, 16, v85
	s_waitcnt lgkmcnt(0)
	v_cmp_gt_f64_e64 s3, 0, v[93:94]
	v_mov_b32_e32 v101, v93
	v_dual_mov_b32 v103, v95 :: v_dual_cndmask_b32 v98, v77, v97
	v_xor_b32_e32 v97, 0x80000000, v94
	v_cndmask_b32_e64 v100, v79, v99, s2
	v_xor_b32_e32 v99, 0x80000000, v96
	s_delay_alu instid0(VALU_DEP_3) | instskip(SKIP_2) | instid1(VALU_DEP_2)
	v_cndmask_b32_e64 v102, v94, v97, s3
	v_cmp_gt_f64_e64 s3, 0, v[95:96]
	v_cndmask_b32_e32 v97, v76, v76, vcc_lo
	v_cndmask_b32_e64 v104, v96, v99, s3
	v_cndmask_b32_e64 v99, v78, v78, s2
	s_delay_alu instid0(VALU_DEP_2) | instskip(NEXT) | instid1(VALU_DEP_2)
	v_add_f64 v[101:102], v[101:102], v[103:104]
	v_add_f64 v[97:98], v[97:98], v[99:100]
	s_delay_alu instid0(VALU_DEP_1) | instskip(SKIP_4) | instid1(SALU_CYCLE_1)
	v_cmp_lt_f64_e32 vcc_lo, v[97:98], v[101:102]
	v_dual_cndmask_b32 v78, v78, v95 :: v_dual_cndmask_b32 v77, v77, v94
	v_dual_cndmask_b32 v76, v76, v93 :: v_dual_cndmask_b32 v79, v79, v96
	v_cndmask_b32_e64 v84, v84, s6, vcc_lo
	s_add_i32 s6, s6, 1
	s_cmp_lg_u32 s5, s6
	s_cbranch_scc1 .LBB36_274
.LBB36_275:
	s_set_inst_prefetch_distance 0x2
	s_waitcnt lgkmcnt(0)
	v_cmp_eq_f64_e32 vcc_lo, 0, v[76:77]
	v_cmp_eq_f64_e64 s2, 0, v[78:79]
	s_delay_alu instid0(VALU_DEP_1) | instskip(NEXT) | instid1(SALU_CYCLE_1)
	s_and_b32 s2, vcc_lo, s2
	s_and_saveexec_b32 s3, s2
	s_delay_alu instid0(SALU_CYCLE_1)
	s_xor_b32 s2, exec_lo, s3
; %bb.276:
	v_cmp_ne_u32_e32 vcc_lo, 0, v90
	v_cndmask_b32_e32 v90, 14, v90, vcc_lo
; %bb.277:
	s_and_not1_saveexec_b32 s3, s2
	s_cbranch_execz .LBB36_283
; %bb.278:
	v_cmp_gt_f64_e32 vcc_lo, 0, v[76:77]
	v_cmp_gt_f64_e64 s2, 0, v[78:79]
	v_xor_b32_e32 v85, 0x80000000, v77
	v_xor_b32_e32 v93, 0x80000000, v79
	s_delay_alu instid0(VALU_DEP_2) | instskip(NEXT) | instid1(VALU_DEP_2)
	v_cndmask_b32_e32 v94, v77, v85, vcc_lo
	v_cndmask_b32_e64 v96, v79, v93, s2
	v_cndmask_b32_e32 v93, v76, v76, vcc_lo
	v_cndmask_b32_e64 v95, v78, v78, s2
	s_mov_b32 s2, exec_lo
	s_delay_alu instid0(VALU_DEP_1)
	v_cmpx_ngt_f64_e32 v[93:94], v[95:96]
	s_xor_b32 s2, exec_lo, s2
	s_cbranch_execz .LBB36_280
; %bb.279:
	v_div_scale_f64 v[93:94], null, v[78:79], v[78:79], v[76:77]
	v_div_scale_f64 v[99:100], vcc_lo, v[76:77], v[78:79], v[76:77]
	s_delay_alu instid0(VALU_DEP_2) | instskip(SKIP_2) | instid1(VALU_DEP_1)
	v_rcp_f64_e32 v[95:96], v[93:94]
	s_waitcnt_depctr 0xfff
	v_fma_f64 v[97:98], -v[93:94], v[95:96], 1.0
	v_fma_f64 v[95:96], v[95:96], v[97:98], v[95:96]
	s_delay_alu instid0(VALU_DEP_1) | instskip(NEXT) | instid1(VALU_DEP_1)
	v_fma_f64 v[97:98], -v[93:94], v[95:96], 1.0
	v_fma_f64 v[95:96], v[95:96], v[97:98], v[95:96]
	s_delay_alu instid0(VALU_DEP_1) | instskip(NEXT) | instid1(VALU_DEP_1)
	v_mul_f64 v[97:98], v[99:100], v[95:96]
	v_fma_f64 v[93:94], -v[93:94], v[97:98], v[99:100]
	s_delay_alu instid0(VALU_DEP_1) | instskip(NEXT) | instid1(VALU_DEP_1)
	v_div_fmas_f64 v[93:94], v[93:94], v[95:96], v[97:98]
	v_div_fixup_f64 v[93:94], v[93:94], v[78:79], v[76:77]
	s_delay_alu instid0(VALU_DEP_1) | instskip(NEXT) | instid1(VALU_DEP_1)
	v_fma_f64 v[76:77], v[76:77], v[93:94], v[78:79]
	v_div_scale_f64 v[78:79], null, v[76:77], v[76:77], 1.0
	s_delay_alu instid0(VALU_DEP_1) | instskip(SKIP_2) | instid1(VALU_DEP_1)
	v_rcp_f64_e32 v[95:96], v[78:79]
	s_waitcnt_depctr 0xfff
	v_fma_f64 v[97:98], -v[78:79], v[95:96], 1.0
	v_fma_f64 v[95:96], v[95:96], v[97:98], v[95:96]
	s_delay_alu instid0(VALU_DEP_1) | instskip(NEXT) | instid1(VALU_DEP_1)
	v_fma_f64 v[97:98], -v[78:79], v[95:96], 1.0
	v_fma_f64 v[95:96], v[95:96], v[97:98], v[95:96]
	v_div_scale_f64 v[97:98], vcc_lo, 1.0, v[76:77], 1.0
	s_delay_alu instid0(VALU_DEP_1) | instskip(NEXT) | instid1(VALU_DEP_1)
	v_mul_f64 v[99:100], v[97:98], v[95:96]
	v_fma_f64 v[78:79], -v[78:79], v[99:100], v[97:98]
	s_delay_alu instid0(VALU_DEP_1) | instskip(NEXT) | instid1(VALU_DEP_1)
	v_div_fmas_f64 v[78:79], v[78:79], v[95:96], v[99:100]
	v_div_fixup_f64 v[78:79], v[78:79], v[76:77], 1.0
	s_delay_alu instid0(VALU_DEP_1)
	v_mul_f64 v[76:77], v[93:94], v[78:79]
	v_xor_b32_e32 v79, 0x80000000, v79
.LBB36_280:
	s_and_not1_saveexec_b32 s2, s2
	s_cbranch_execz .LBB36_282
; %bb.281:
	s_delay_alu instid0(VALU_DEP_1) | instskip(SKIP_1) | instid1(VALU_DEP_2)
	v_div_scale_f64 v[93:94], null, v[76:77], v[76:77], v[78:79]
	v_div_scale_f64 v[99:100], vcc_lo, v[78:79], v[76:77], v[78:79]
	v_rcp_f64_e32 v[95:96], v[93:94]
	s_waitcnt_depctr 0xfff
	v_fma_f64 v[97:98], -v[93:94], v[95:96], 1.0
	s_delay_alu instid0(VALU_DEP_1) | instskip(NEXT) | instid1(VALU_DEP_1)
	v_fma_f64 v[95:96], v[95:96], v[97:98], v[95:96]
	v_fma_f64 v[97:98], -v[93:94], v[95:96], 1.0
	s_delay_alu instid0(VALU_DEP_1) | instskip(NEXT) | instid1(VALU_DEP_1)
	v_fma_f64 v[95:96], v[95:96], v[97:98], v[95:96]
	v_mul_f64 v[97:98], v[99:100], v[95:96]
	s_delay_alu instid0(VALU_DEP_1) | instskip(NEXT) | instid1(VALU_DEP_1)
	v_fma_f64 v[93:94], -v[93:94], v[97:98], v[99:100]
	v_div_fmas_f64 v[93:94], v[93:94], v[95:96], v[97:98]
	s_delay_alu instid0(VALU_DEP_1) | instskip(NEXT) | instid1(VALU_DEP_1)
	v_div_fixup_f64 v[93:94], v[93:94], v[76:77], v[78:79]
	v_fma_f64 v[76:77], v[78:79], v[93:94], v[76:77]
	s_delay_alu instid0(VALU_DEP_1) | instskip(NEXT) | instid1(VALU_DEP_1)
	v_div_scale_f64 v[78:79], null, v[76:77], v[76:77], 1.0
	v_rcp_f64_e32 v[95:96], v[78:79]
	s_waitcnt_depctr 0xfff
	v_fma_f64 v[97:98], -v[78:79], v[95:96], 1.0
	s_delay_alu instid0(VALU_DEP_1) | instskip(NEXT) | instid1(VALU_DEP_1)
	v_fma_f64 v[95:96], v[95:96], v[97:98], v[95:96]
	v_fma_f64 v[97:98], -v[78:79], v[95:96], 1.0
	s_delay_alu instid0(VALU_DEP_1) | instskip(SKIP_1) | instid1(VALU_DEP_1)
	v_fma_f64 v[95:96], v[95:96], v[97:98], v[95:96]
	v_div_scale_f64 v[97:98], vcc_lo, 1.0, v[76:77], 1.0
	v_mul_f64 v[99:100], v[97:98], v[95:96]
	s_delay_alu instid0(VALU_DEP_1) | instskip(NEXT) | instid1(VALU_DEP_1)
	v_fma_f64 v[78:79], -v[78:79], v[99:100], v[97:98]
	v_div_fmas_f64 v[78:79], v[78:79], v[95:96], v[99:100]
	s_delay_alu instid0(VALU_DEP_1) | instskip(NEXT) | instid1(VALU_DEP_1)
	v_div_fixup_f64 v[76:77], v[78:79], v[76:77], 1.0
	v_mul_f64 v[78:79], v[93:94], -v[76:77]
.LBB36_282:
	s_or_b32 exec_lo, exec_lo, s2
.LBB36_283:
	s_delay_alu instid0(SALU_CYCLE_1) | instskip(NEXT) | instid1(SALU_CYCLE_1)
	s_or_b32 exec_lo, exec_lo, s3
	s_mov_b32 s2, exec_lo
	v_cmpx_ne_u32_e64 v92, v84
	s_xor_b32 s2, exec_lo, s2
	s_cbranch_execz .LBB36_289
; %bb.284:
	s_mov_b32 s3, exec_lo
	v_cmpx_eq_u32_e32 13, v92
	s_cbranch_execz .LBB36_288
; %bb.285:
	v_cmp_ne_u32_e32 vcc_lo, 13, v84
	s_xor_b32 s6, s4, -1
	s_delay_alu instid0(SALU_CYCLE_1) | instskip(NEXT) | instid1(SALU_CYCLE_1)
	s_and_b32 s7, s6, vcc_lo
	s_and_saveexec_b32 s6, s7
	s_cbranch_execz .LBB36_287
; %bb.286:
	v_ashrrev_i32_e32 v85, 31, v84
	s_delay_alu instid0(VALU_DEP_1) | instskip(NEXT) | instid1(VALU_DEP_1)
	v_lshlrev_b64 v[92:93], 2, v[84:85]
	v_add_co_u32 v92, vcc_lo, v82, v92
	s_delay_alu instid0(VALU_DEP_2)
	v_add_co_ci_u32_e32 v93, vcc_lo, v83, v93, vcc_lo
	s_clause 0x1
	flat_load_b32 v85, v[92:93]
	flat_load_b32 v89, v[82:83] offset:52
	s_waitcnt vmcnt(1) lgkmcnt(1)
	flat_store_b32 v[82:83], v85 offset:52
	s_waitcnt vmcnt(0) lgkmcnt(1)
	flat_store_b32 v[92:93], v89
.LBB36_287:
	s_or_b32 exec_lo, exec_lo, s6
	v_mov_b32_e32 v92, v84
	v_mov_b32_e32 v89, v84
.LBB36_288:
	s_or_b32 exec_lo, exec_lo, s3
.LBB36_289:
	s_and_not1_saveexec_b32 s2, s2
	s_cbranch_execz .LBB36_291
; %bb.290:
	v_mov_b32_e32 v92, 13
	ds_store_2addr_b64 v86, v[16:17], v[18:19] offset0:28 offset1:29
	ds_store_2addr_b64 v86, v[12:13], v[14:15] offset0:30 offset1:31
	;; [unrolled: 1-line block ×5, first 2 shown]
.LBB36_291:
	s_or_b32 exec_lo, exec_lo, s2
	s_delay_alu instid0(SALU_CYCLE_1)
	s_mov_b32 s2, exec_lo
	s_waitcnt lgkmcnt(0)
	s_waitcnt_vscnt null, 0x0
	s_barrier
	buffer_gl0_inv
	v_cmpx_lt_i32_e32 13, v92
	s_cbranch_execz .LBB36_293
; %bb.292:
	v_mul_f64 v[84:85], v[76:77], v[22:23]
	v_mul_f64 v[22:23], v[78:79], v[22:23]
	ds_load_2addr_b64 v[93:96], v86 offset0:28 offset1:29
	ds_load_2addr_b64 v[97:100], v86 offset0:30 offset1:31
	ds_load_2addr_b64 v[101:104], v86 offset0:32 offset1:33
	ds_load_2addr_b64 v[105:108], v86 offset0:34 offset1:35
	ds_load_2addr_b64 v[109:112], v86 offset0:36 offset1:37
	v_fma_f64 v[78:79], v[78:79], v[20:21], v[84:85]
	v_fma_f64 v[20:21], v[76:77], v[20:21], -v[22:23]
	s_waitcnt lgkmcnt(4)
	s_delay_alu instid0(VALU_DEP_2)
	v_mul_f64 v[22:23], v[95:96], v[78:79]
	v_mul_f64 v[76:77], v[93:94], v[78:79]
	s_waitcnt lgkmcnt(3)
	v_mul_f64 v[84:85], v[99:100], v[78:79]
	v_mul_f64 v[113:114], v[97:98], v[78:79]
	s_waitcnt lgkmcnt(2)
	;; [unrolled: 3-line block ×4, first 2 shown]
	v_mul_f64 v[123:124], v[111:112], v[78:79]
	v_mul_f64 v[125:126], v[109:110], v[78:79]
	v_fma_f64 v[22:23], v[93:94], v[20:21], -v[22:23]
	v_fma_f64 v[76:77], v[95:96], v[20:21], v[76:77]
	v_fma_f64 v[84:85], v[97:98], v[20:21], -v[84:85]
	v_fma_f64 v[93:94], v[99:100], v[20:21], v[113:114]
	;; [unrolled: 2-line block ×5, first 2 shown]
	v_add_f64 v[16:17], v[16:17], -v[22:23]
	v_add_f64 v[18:19], v[18:19], -v[76:77]
	;; [unrolled: 1-line block ×10, first 2 shown]
	v_dual_mov_b32 v22, v78 :: v_dual_mov_b32 v23, v79
.LBB36_293:
	s_or_b32 exec_lo, exec_lo, s2
	v_lshl_add_u32 v76, v92, 4, v86
	s_barrier
	buffer_gl0_inv
	v_mov_b32_e32 v84, 14
	ds_store_2addr_b64 v76, v[16:17], v[18:19] offset1:1
	s_waitcnt lgkmcnt(0)
	s_barrier
	buffer_gl0_inv
	ds_load_2addr_b64 v[76:79], v86 offset0:28 offset1:29
	s_cmp_lt_i32 s5, 16
	s_cbranch_scc1 .LBB36_296
; %bb.294:
	v_add3_u32 v85, v91, 0, 0xf0
	v_mov_b32_e32 v84, 14
	s_mov_b32 s6, 15
	s_set_inst_prefetch_distance 0x1
	.p2align	6
.LBB36_295:                             ; =>This Inner Loop Header: Depth=1
	ds_load_2addr_b64 v[93:96], v85 offset1:1
	s_waitcnt lgkmcnt(1)
	v_cmp_gt_f64_e32 vcc_lo, 0, v[76:77]
	v_xor_b32_e32 v97, 0x80000000, v77
	v_cmp_gt_f64_e64 s2, 0, v[78:79]
	v_xor_b32_e32 v99, 0x80000000, v79
	v_add_nc_u32_e32 v85, 16, v85
	s_waitcnt lgkmcnt(0)
	v_cmp_gt_f64_e64 s3, 0, v[93:94]
	v_mov_b32_e32 v101, v93
	v_dual_mov_b32 v103, v95 :: v_dual_cndmask_b32 v98, v77, v97
	v_xor_b32_e32 v97, 0x80000000, v94
	v_cndmask_b32_e64 v100, v79, v99, s2
	v_xor_b32_e32 v99, 0x80000000, v96
	s_delay_alu instid0(VALU_DEP_3) | instskip(SKIP_2) | instid1(VALU_DEP_2)
	v_cndmask_b32_e64 v102, v94, v97, s3
	v_cmp_gt_f64_e64 s3, 0, v[95:96]
	v_cndmask_b32_e32 v97, v76, v76, vcc_lo
	v_cndmask_b32_e64 v104, v96, v99, s3
	v_cndmask_b32_e64 v99, v78, v78, s2
	s_delay_alu instid0(VALU_DEP_2) | instskip(NEXT) | instid1(VALU_DEP_2)
	v_add_f64 v[101:102], v[101:102], v[103:104]
	v_add_f64 v[97:98], v[97:98], v[99:100]
	s_delay_alu instid0(VALU_DEP_1) | instskip(SKIP_4) | instid1(SALU_CYCLE_1)
	v_cmp_lt_f64_e32 vcc_lo, v[97:98], v[101:102]
	v_dual_cndmask_b32 v78, v78, v95 :: v_dual_cndmask_b32 v77, v77, v94
	v_dual_cndmask_b32 v76, v76, v93 :: v_dual_cndmask_b32 v79, v79, v96
	v_cndmask_b32_e64 v84, v84, s6, vcc_lo
	s_add_i32 s6, s6, 1
	s_cmp_lg_u32 s5, s6
	s_cbranch_scc1 .LBB36_295
.LBB36_296:
	s_set_inst_prefetch_distance 0x2
	s_waitcnt lgkmcnt(0)
	v_cmp_eq_f64_e32 vcc_lo, 0, v[76:77]
	v_cmp_eq_f64_e64 s2, 0, v[78:79]
	s_delay_alu instid0(VALU_DEP_1) | instskip(NEXT) | instid1(SALU_CYCLE_1)
	s_and_b32 s2, vcc_lo, s2
	s_and_saveexec_b32 s3, s2
	s_delay_alu instid0(SALU_CYCLE_1)
	s_xor_b32 s2, exec_lo, s3
; %bb.297:
	v_cmp_ne_u32_e32 vcc_lo, 0, v90
	v_cndmask_b32_e32 v90, 15, v90, vcc_lo
; %bb.298:
	s_and_not1_saveexec_b32 s3, s2
	s_cbranch_execz .LBB36_304
; %bb.299:
	v_cmp_gt_f64_e32 vcc_lo, 0, v[76:77]
	v_cmp_gt_f64_e64 s2, 0, v[78:79]
	v_xor_b32_e32 v85, 0x80000000, v77
	v_xor_b32_e32 v93, 0x80000000, v79
	s_delay_alu instid0(VALU_DEP_2) | instskip(NEXT) | instid1(VALU_DEP_2)
	v_cndmask_b32_e32 v94, v77, v85, vcc_lo
	v_cndmask_b32_e64 v96, v79, v93, s2
	v_cndmask_b32_e32 v93, v76, v76, vcc_lo
	v_cndmask_b32_e64 v95, v78, v78, s2
	s_mov_b32 s2, exec_lo
	s_delay_alu instid0(VALU_DEP_1)
	v_cmpx_ngt_f64_e32 v[93:94], v[95:96]
	s_xor_b32 s2, exec_lo, s2
	s_cbranch_execz .LBB36_301
; %bb.300:
	v_div_scale_f64 v[93:94], null, v[78:79], v[78:79], v[76:77]
	v_div_scale_f64 v[99:100], vcc_lo, v[76:77], v[78:79], v[76:77]
	s_delay_alu instid0(VALU_DEP_2) | instskip(SKIP_2) | instid1(VALU_DEP_1)
	v_rcp_f64_e32 v[95:96], v[93:94]
	s_waitcnt_depctr 0xfff
	v_fma_f64 v[97:98], -v[93:94], v[95:96], 1.0
	v_fma_f64 v[95:96], v[95:96], v[97:98], v[95:96]
	s_delay_alu instid0(VALU_DEP_1) | instskip(NEXT) | instid1(VALU_DEP_1)
	v_fma_f64 v[97:98], -v[93:94], v[95:96], 1.0
	v_fma_f64 v[95:96], v[95:96], v[97:98], v[95:96]
	s_delay_alu instid0(VALU_DEP_1) | instskip(NEXT) | instid1(VALU_DEP_1)
	v_mul_f64 v[97:98], v[99:100], v[95:96]
	v_fma_f64 v[93:94], -v[93:94], v[97:98], v[99:100]
	s_delay_alu instid0(VALU_DEP_1) | instskip(NEXT) | instid1(VALU_DEP_1)
	v_div_fmas_f64 v[93:94], v[93:94], v[95:96], v[97:98]
	v_div_fixup_f64 v[93:94], v[93:94], v[78:79], v[76:77]
	s_delay_alu instid0(VALU_DEP_1) | instskip(NEXT) | instid1(VALU_DEP_1)
	v_fma_f64 v[76:77], v[76:77], v[93:94], v[78:79]
	v_div_scale_f64 v[78:79], null, v[76:77], v[76:77], 1.0
	s_delay_alu instid0(VALU_DEP_1) | instskip(SKIP_2) | instid1(VALU_DEP_1)
	v_rcp_f64_e32 v[95:96], v[78:79]
	s_waitcnt_depctr 0xfff
	v_fma_f64 v[97:98], -v[78:79], v[95:96], 1.0
	v_fma_f64 v[95:96], v[95:96], v[97:98], v[95:96]
	s_delay_alu instid0(VALU_DEP_1) | instskip(NEXT) | instid1(VALU_DEP_1)
	v_fma_f64 v[97:98], -v[78:79], v[95:96], 1.0
	v_fma_f64 v[95:96], v[95:96], v[97:98], v[95:96]
	v_div_scale_f64 v[97:98], vcc_lo, 1.0, v[76:77], 1.0
	s_delay_alu instid0(VALU_DEP_1) | instskip(NEXT) | instid1(VALU_DEP_1)
	v_mul_f64 v[99:100], v[97:98], v[95:96]
	v_fma_f64 v[78:79], -v[78:79], v[99:100], v[97:98]
	s_delay_alu instid0(VALU_DEP_1) | instskip(NEXT) | instid1(VALU_DEP_1)
	v_div_fmas_f64 v[78:79], v[78:79], v[95:96], v[99:100]
	v_div_fixup_f64 v[78:79], v[78:79], v[76:77], 1.0
	s_delay_alu instid0(VALU_DEP_1)
	v_mul_f64 v[76:77], v[93:94], v[78:79]
	v_xor_b32_e32 v79, 0x80000000, v79
.LBB36_301:
	s_and_not1_saveexec_b32 s2, s2
	s_cbranch_execz .LBB36_303
; %bb.302:
	s_delay_alu instid0(VALU_DEP_1) | instskip(SKIP_1) | instid1(VALU_DEP_2)
	v_div_scale_f64 v[93:94], null, v[76:77], v[76:77], v[78:79]
	v_div_scale_f64 v[99:100], vcc_lo, v[78:79], v[76:77], v[78:79]
	v_rcp_f64_e32 v[95:96], v[93:94]
	s_waitcnt_depctr 0xfff
	v_fma_f64 v[97:98], -v[93:94], v[95:96], 1.0
	s_delay_alu instid0(VALU_DEP_1) | instskip(NEXT) | instid1(VALU_DEP_1)
	v_fma_f64 v[95:96], v[95:96], v[97:98], v[95:96]
	v_fma_f64 v[97:98], -v[93:94], v[95:96], 1.0
	s_delay_alu instid0(VALU_DEP_1) | instskip(NEXT) | instid1(VALU_DEP_1)
	v_fma_f64 v[95:96], v[95:96], v[97:98], v[95:96]
	v_mul_f64 v[97:98], v[99:100], v[95:96]
	s_delay_alu instid0(VALU_DEP_1) | instskip(NEXT) | instid1(VALU_DEP_1)
	v_fma_f64 v[93:94], -v[93:94], v[97:98], v[99:100]
	v_div_fmas_f64 v[93:94], v[93:94], v[95:96], v[97:98]
	s_delay_alu instid0(VALU_DEP_1) | instskip(NEXT) | instid1(VALU_DEP_1)
	v_div_fixup_f64 v[93:94], v[93:94], v[76:77], v[78:79]
	v_fma_f64 v[76:77], v[78:79], v[93:94], v[76:77]
	s_delay_alu instid0(VALU_DEP_1) | instskip(NEXT) | instid1(VALU_DEP_1)
	v_div_scale_f64 v[78:79], null, v[76:77], v[76:77], 1.0
	v_rcp_f64_e32 v[95:96], v[78:79]
	s_waitcnt_depctr 0xfff
	v_fma_f64 v[97:98], -v[78:79], v[95:96], 1.0
	s_delay_alu instid0(VALU_DEP_1) | instskip(NEXT) | instid1(VALU_DEP_1)
	v_fma_f64 v[95:96], v[95:96], v[97:98], v[95:96]
	v_fma_f64 v[97:98], -v[78:79], v[95:96], 1.0
	s_delay_alu instid0(VALU_DEP_1) | instskip(SKIP_1) | instid1(VALU_DEP_1)
	v_fma_f64 v[95:96], v[95:96], v[97:98], v[95:96]
	v_div_scale_f64 v[97:98], vcc_lo, 1.0, v[76:77], 1.0
	v_mul_f64 v[99:100], v[97:98], v[95:96]
	s_delay_alu instid0(VALU_DEP_1) | instskip(NEXT) | instid1(VALU_DEP_1)
	v_fma_f64 v[78:79], -v[78:79], v[99:100], v[97:98]
	v_div_fmas_f64 v[78:79], v[78:79], v[95:96], v[99:100]
	s_delay_alu instid0(VALU_DEP_1) | instskip(NEXT) | instid1(VALU_DEP_1)
	v_div_fixup_f64 v[76:77], v[78:79], v[76:77], 1.0
	v_mul_f64 v[78:79], v[93:94], -v[76:77]
.LBB36_303:
	s_or_b32 exec_lo, exec_lo, s2
.LBB36_304:
	s_delay_alu instid0(SALU_CYCLE_1) | instskip(NEXT) | instid1(SALU_CYCLE_1)
	s_or_b32 exec_lo, exec_lo, s3
	s_mov_b32 s2, exec_lo
	v_cmpx_ne_u32_e64 v92, v84
	s_xor_b32 s2, exec_lo, s2
	s_cbranch_execz .LBB36_310
; %bb.305:
	s_mov_b32 s3, exec_lo
	v_cmpx_eq_u32_e32 14, v92
	s_cbranch_execz .LBB36_309
; %bb.306:
	v_cmp_ne_u32_e32 vcc_lo, 14, v84
	s_xor_b32 s6, s4, -1
	s_delay_alu instid0(SALU_CYCLE_1) | instskip(NEXT) | instid1(SALU_CYCLE_1)
	s_and_b32 s7, s6, vcc_lo
	s_and_saveexec_b32 s6, s7
	s_cbranch_execz .LBB36_308
; %bb.307:
	v_ashrrev_i32_e32 v85, 31, v84
	s_delay_alu instid0(VALU_DEP_1) | instskip(NEXT) | instid1(VALU_DEP_1)
	v_lshlrev_b64 v[92:93], 2, v[84:85]
	v_add_co_u32 v92, vcc_lo, v82, v92
	s_delay_alu instid0(VALU_DEP_2)
	v_add_co_ci_u32_e32 v93, vcc_lo, v83, v93, vcc_lo
	s_clause 0x1
	flat_load_b32 v85, v[92:93]
	flat_load_b32 v89, v[82:83] offset:56
	s_waitcnt vmcnt(1) lgkmcnt(1)
	flat_store_b32 v[82:83], v85 offset:56
	s_waitcnt vmcnt(0) lgkmcnt(1)
	flat_store_b32 v[92:93], v89
.LBB36_308:
	s_or_b32 exec_lo, exec_lo, s6
	v_mov_b32_e32 v92, v84
	v_mov_b32_e32 v89, v84
.LBB36_309:
	s_or_b32 exec_lo, exec_lo, s3
.LBB36_310:
	s_and_not1_saveexec_b32 s2, s2
	s_cbranch_execz .LBB36_312
; %bb.311:
	v_mov_b32_e32 v92, 14
	ds_store_2addr_b64 v86, v[12:13], v[14:15] offset0:30 offset1:31
	ds_store_2addr_b64 v86, v[8:9], v[10:11] offset0:32 offset1:33
	;; [unrolled: 1-line block ×4, first 2 shown]
.LBB36_312:
	s_or_b32 exec_lo, exec_lo, s2
	s_delay_alu instid0(SALU_CYCLE_1)
	s_mov_b32 s2, exec_lo
	s_waitcnt lgkmcnt(0)
	s_waitcnt_vscnt null, 0x0
	s_barrier
	buffer_gl0_inv
	v_cmpx_lt_i32_e32 14, v92
	s_cbranch_execz .LBB36_314
; %bb.313:
	v_mul_f64 v[84:85], v[76:77], v[18:19]
	v_mul_f64 v[18:19], v[78:79], v[18:19]
	ds_load_2addr_b64 v[93:96], v86 offset0:30 offset1:31
	ds_load_2addr_b64 v[97:100], v86 offset0:32 offset1:33
	;; [unrolled: 1-line block ×4, first 2 shown]
	v_fma_f64 v[78:79], v[78:79], v[16:17], v[84:85]
	v_fma_f64 v[16:17], v[76:77], v[16:17], -v[18:19]
	s_waitcnt lgkmcnt(3)
	s_delay_alu instid0(VALU_DEP_2)
	v_mul_f64 v[18:19], v[95:96], v[78:79]
	v_mul_f64 v[76:77], v[93:94], v[78:79]
	s_waitcnt lgkmcnt(2)
	v_mul_f64 v[84:85], v[99:100], v[78:79]
	v_mul_f64 v[109:110], v[97:98], v[78:79]
	s_waitcnt lgkmcnt(1)
	;; [unrolled: 3-line block ×3, first 2 shown]
	v_mul_f64 v[115:116], v[107:108], v[78:79]
	v_mul_f64 v[117:118], v[105:106], v[78:79]
	v_fma_f64 v[18:19], v[93:94], v[16:17], -v[18:19]
	v_fma_f64 v[76:77], v[95:96], v[16:17], v[76:77]
	v_fma_f64 v[84:85], v[97:98], v[16:17], -v[84:85]
	v_fma_f64 v[93:94], v[99:100], v[16:17], v[109:110]
	;; [unrolled: 2-line block ×4, first 2 shown]
	v_add_f64 v[12:13], v[12:13], -v[18:19]
	v_add_f64 v[14:15], v[14:15], -v[76:77]
	;; [unrolled: 1-line block ×8, first 2 shown]
	v_dual_mov_b32 v18, v78 :: v_dual_mov_b32 v19, v79
.LBB36_314:
	s_or_b32 exec_lo, exec_lo, s2
	v_lshl_add_u32 v76, v92, 4, v86
	s_barrier
	buffer_gl0_inv
	v_mov_b32_e32 v84, 15
	ds_store_2addr_b64 v76, v[12:13], v[14:15] offset1:1
	s_waitcnt lgkmcnt(0)
	s_barrier
	buffer_gl0_inv
	ds_load_2addr_b64 v[76:79], v86 offset0:30 offset1:31
	s_cmp_lt_i32 s5, 17
	s_cbranch_scc1 .LBB36_317
; %bb.315:
	v_add3_u32 v85, v91, 0, 0x100
	v_mov_b32_e32 v84, 15
	s_mov_b32 s6, 16
	s_set_inst_prefetch_distance 0x1
	.p2align	6
.LBB36_316:                             ; =>This Inner Loop Header: Depth=1
	ds_load_2addr_b64 v[93:96], v85 offset1:1
	s_waitcnt lgkmcnt(1)
	v_cmp_gt_f64_e32 vcc_lo, 0, v[76:77]
	v_xor_b32_e32 v97, 0x80000000, v77
	v_cmp_gt_f64_e64 s2, 0, v[78:79]
	v_xor_b32_e32 v99, 0x80000000, v79
	v_add_nc_u32_e32 v85, 16, v85
	s_waitcnt lgkmcnt(0)
	v_cmp_gt_f64_e64 s3, 0, v[93:94]
	v_mov_b32_e32 v101, v93
	v_dual_mov_b32 v103, v95 :: v_dual_cndmask_b32 v98, v77, v97
	v_xor_b32_e32 v97, 0x80000000, v94
	v_cndmask_b32_e64 v100, v79, v99, s2
	v_xor_b32_e32 v99, 0x80000000, v96
	s_delay_alu instid0(VALU_DEP_3) | instskip(SKIP_2) | instid1(VALU_DEP_2)
	v_cndmask_b32_e64 v102, v94, v97, s3
	v_cmp_gt_f64_e64 s3, 0, v[95:96]
	v_cndmask_b32_e32 v97, v76, v76, vcc_lo
	v_cndmask_b32_e64 v104, v96, v99, s3
	v_cndmask_b32_e64 v99, v78, v78, s2
	s_delay_alu instid0(VALU_DEP_2) | instskip(NEXT) | instid1(VALU_DEP_2)
	v_add_f64 v[101:102], v[101:102], v[103:104]
	v_add_f64 v[97:98], v[97:98], v[99:100]
	s_delay_alu instid0(VALU_DEP_1) | instskip(SKIP_4) | instid1(SALU_CYCLE_1)
	v_cmp_lt_f64_e32 vcc_lo, v[97:98], v[101:102]
	v_dual_cndmask_b32 v78, v78, v95 :: v_dual_cndmask_b32 v77, v77, v94
	v_dual_cndmask_b32 v76, v76, v93 :: v_dual_cndmask_b32 v79, v79, v96
	v_cndmask_b32_e64 v84, v84, s6, vcc_lo
	s_add_i32 s6, s6, 1
	s_cmp_lg_u32 s5, s6
	s_cbranch_scc1 .LBB36_316
.LBB36_317:
	s_set_inst_prefetch_distance 0x2
	s_waitcnt lgkmcnt(0)
	v_cmp_eq_f64_e32 vcc_lo, 0, v[76:77]
	v_cmp_eq_f64_e64 s2, 0, v[78:79]
	s_delay_alu instid0(VALU_DEP_1) | instskip(NEXT) | instid1(SALU_CYCLE_1)
	s_and_b32 s2, vcc_lo, s2
	s_and_saveexec_b32 s3, s2
	s_delay_alu instid0(SALU_CYCLE_1)
	s_xor_b32 s2, exec_lo, s3
; %bb.318:
	v_cmp_ne_u32_e32 vcc_lo, 0, v90
	v_cndmask_b32_e32 v90, 16, v90, vcc_lo
; %bb.319:
	s_and_not1_saveexec_b32 s3, s2
	s_cbranch_execz .LBB36_325
; %bb.320:
	v_cmp_gt_f64_e32 vcc_lo, 0, v[76:77]
	v_cmp_gt_f64_e64 s2, 0, v[78:79]
	v_xor_b32_e32 v85, 0x80000000, v77
	v_xor_b32_e32 v93, 0x80000000, v79
	s_delay_alu instid0(VALU_DEP_2) | instskip(NEXT) | instid1(VALU_DEP_2)
	v_cndmask_b32_e32 v94, v77, v85, vcc_lo
	v_cndmask_b32_e64 v96, v79, v93, s2
	v_cndmask_b32_e32 v93, v76, v76, vcc_lo
	v_cndmask_b32_e64 v95, v78, v78, s2
	s_mov_b32 s2, exec_lo
	s_delay_alu instid0(VALU_DEP_1)
	v_cmpx_ngt_f64_e32 v[93:94], v[95:96]
	s_xor_b32 s2, exec_lo, s2
	s_cbranch_execz .LBB36_322
; %bb.321:
	v_div_scale_f64 v[93:94], null, v[78:79], v[78:79], v[76:77]
	v_div_scale_f64 v[99:100], vcc_lo, v[76:77], v[78:79], v[76:77]
	s_delay_alu instid0(VALU_DEP_2) | instskip(SKIP_2) | instid1(VALU_DEP_1)
	v_rcp_f64_e32 v[95:96], v[93:94]
	s_waitcnt_depctr 0xfff
	v_fma_f64 v[97:98], -v[93:94], v[95:96], 1.0
	v_fma_f64 v[95:96], v[95:96], v[97:98], v[95:96]
	s_delay_alu instid0(VALU_DEP_1) | instskip(NEXT) | instid1(VALU_DEP_1)
	v_fma_f64 v[97:98], -v[93:94], v[95:96], 1.0
	v_fma_f64 v[95:96], v[95:96], v[97:98], v[95:96]
	s_delay_alu instid0(VALU_DEP_1) | instskip(NEXT) | instid1(VALU_DEP_1)
	v_mul_f64 v[97:98], v[99:100], v[95:96]
	v_fma_f64 v[93:94], -v[93:94], v[97:98], v[99:100]
	s_delay_alu instid0(VALU_DEP_1) | instskip(NEXT) | instid1(VALU_DEP_1)
	v_div_fmas_f64 v[93:94], v[93:94], v[95:96], v[97:98]
	v_div_fixup_f64 v[93:94], v[93:94], v[78:79], v[76:77]
	s_delay_alu instid0(VALU_DEP_1) | instskip(NEXT) | instid1(VALU_DEP_1)
	v_fma_f64 v[76:77], v[76:77], v[93:94], v[78:79]
	v_div_scale_f64 v[78:79], null, v[76:77], v[76:77], 1.0
	s_delay_alu instid0(VALU_DEP_1) | instskip(SKIP_2) | instid1(VALU_DEP_1)
	v_rcp_f64_e32 v[95:96], v[78:79]
	s_waitcnt_depctr 0xfff
	v_fma_f64 v[97:98], -v[78:79], v[95:96], 1.0
	v_fma_f64 v[95:96], v[95:96], v[97:98], v[95:96]
	s_delay_alu instid0(VALU_DEP_1) | instskip(NEXT) | instid1(VALU_DEP_1)
	v_fma_f64 v[97:98], -v[78:79], v[95:96], 1.0
	v_fma_f64 v[95:96], v[95:96], v[97:98], v[95:96]
	v_div_scale_f64 v[97:98], vcc_lo, 1.0, v[76:77], 1.0
	s_delay_alu instid0(VALU_DEP_1) | instskip(NEXT) | instid1(VALU_DEP_1)
	v_mul_f64 v[99:100], v[97:98], v[95:96]
	v_fma_f64 v[78:79], -v[78:79], v[99:100], v[97:98]
	s_delay_alu instid0(VALU_DEP_1) | instskip(NEXT) | instid1(VALU_DEP_1)
	v_div_fmas_f64 v[78:79], v[78:79], v[95:96], v[99:100]
	v_div_fixup_f64 v[78:79], v[78:79], v[76:77], 1.0
	s_delay_alu instid0(VALU_DEP_1)
	v_mul_f64 v[76:77], v[93:94], v[78:79]
	v_xor_b32_e32 v79, 0x80000000, v79
.LBB36_322:
	s_and_not1_saveexec_b32 s2, s2
	s_cbranch_execz .LBB36_324
; %bb.323:
	s_delay_alu instid0(VALU_DEP_1) | instskip(SKIP_1) | instid1(VALU_DEP_2)
	v_div_scale_f64 v[93:94], null, v[76:77], v[76:77], v[78:79]
	v_div_scale_f64 v[99:100], vcc_lo, v[78:79], v[76:77], v[78:79]
	v_rcp_f64_e32 v[95:96], v[93:94]
	s_waitcnt_depctr 0xfff
	v_fma_f64 v[97:98], -v[93:94], v[95:96], 1.0
	s_delay_alu instid0(VALU_DEP_1) | instskip(NEXT) | instid1(VALU_DEP_1)
	v_fma_f64 v[95:96], v[95:96], v[97:98], v[95:96]
	v_fma_f64 v[97:98], -v[93:94], v[95:96], 1.0
	s_delay_alu instid0(VALU_DEP_1) | instskip(NEXT) | instid1(VALU_DEP_1)
	v_fma_f64 v[95:96], v[95:96], v[97:98], v[95:96]
	v_mul_f64 v[97:98], v[99:100], v[95:96]
	s_delay_alu instid0(VALU_DEP_1) | instskip(NEXT) | instid1(VALU_DEP_1)
	v_fma_f64 v[93:94], -v[93:94], v[97:98], v[99:100]
	v_div_fmas_f64 v[93:94], v[93:94], v[95:96], v[97:98]
	s_delay_alu instid0(VALU_DEP_1) | instskip(NEXT) | instid1(VALU_DEP_1)
	v_div_fixup_f64 v[93:94], v[93:94], v[76:77], v[78:79]
	v_fma_f64 v[76:77], v[78:79], v[93:94], v[76:77]
	s_delay_alu instid0(VALU_DEP_1) | instskip(NEXT) | instid1(VALU_DEP_1)
	v_div_scale_f64 v[78:79], null, v[76:77], v[76:77], 1.0
	v_rcp_f64_e32 v[95:96], v[78:79]
	s_waitcnt_depctr 0xfff
	v_fma_f64 v[97:98], -v[78:79], v[95:96], 1.0
	s_delay_alu instid0(VALU_DEP_1) | instskip(NEXT) | instid1(VALU_DEP_1)
	v_fma_f64 v[95:96], v[95:96], v[97:98], v[95:96]
	v_fma_f64 v[97:98], -v[78:79], v[95:96], 1.0
	s_delay_alu instid0(VALU_DEP_1) | instskip(SKIP_1) | instid1(VALU_DEP_1)
	v_fma_f64 v[95:96], v[95:96], v[97:98], v[95:96]
	v_div_scale_f64 v[97:98], vcc_lo, 1.0, v[76:77], 1.0
	v_mul_f64 v[99:100], v[97:98], v[95:96]
	s_delay_alu instid0(VALU_DEP_1) | instskip(NEXT) | instid1(VALU_DEP_1)
	v_fma_f64 v[78:79], -v[78:79], v[99:100], v[97:98]
	v_div_fmas_f64 v[78:79], v[78:79], v[95:96], v[99:100]
	s_delay_alu instid0(VALU_DEP_1) | instskip(NEXT) | instid1(VALU_DEP_1)
	v_div_fixup_f64 v[76:77], v[78:79], v[76:77], 1.0
	v_mul_f64 v[78:79], v[93:94], -v[76:77]
.LBB36_324:
	s_or_b32 exec_lo, exec_lo, s2
.LBB36_325:
	s_delay_alu instid0(SALU_CYCLE_1) | instskip(NEXT) | instid1(SALU_CYCLE_1)
	s_or_b32 exec_lo, exec_lo, s3
	s_mov_b32 s2, exec_lo
	v_cmpx_ne_u32_e64 v92, v84
	s_xor_b32 s2, exec_lo, s2
	s_cbranch_execz .LBB36_331
; %bb.326:
	s_mov_b32 s3, exec_lo
	v_cmpx_eq_u32_e32 15, v92
	s_cbranch_execz .LBB36_330
; %bb.327:
	v_cmp_ne_u32_e32 vcc_lo, 15, v84
	s_xor_b32 s6, s4, -1
	s_delay_alu instid0(SALU_CYCLE_1) | instskip(NEXT) | instid1(SALU_CYCLE_1)
	s_and_b32 s7, s6, vcc_lo
	s_and_saveexec_b32 s6, s7
	s_cbranch_execz .LBB36_329
; %bb.328:
	v_ashrrev_i32_e32 v85, 31, v84
	s_delay_alu instid0(VALU_DEP_1) | instskip(NEXT) | instid1(VALU_DEP_1)
	v_lshlrev_b64 v[92:93], 2, v[84:85]
	v_add_co_u32 v92, vcc_lo, v82, v92
	s_delay_alu instid0(VALU_DEP_2)
	v_add_co_ci_u32_e32 v93, vcc_lo, v83, v93, vcc_lo
	s_clause 0x1
	flat_load_b32 v85, v[92:93]
	flat_load_b32 v89, v[82:83] offset:60
	s_waitcnt vmcnt(1) lgkmcnt(1)
	flat_store_b32 v[82:83], v85 offset:60
	s_waitcnt vmcnt(0) lgkmcnt(1)
	flat_store_b32 v[92:93], v89
.LBB36_329:
	s_or_b32 exec_lo, exec_lo, s6
	v_mov_b32_e32 v92, v84
	v_mov_b32_e32 v89, v84
.LBB36_330:
	s_or_b32 exec_lo, exec_lo, s3
.LBB36_331:
	s_and_not1_saveexec_b32 s2, s2
	s_cbranch_execz .LBB36_333
; %bb.332:
	v_mov_b32_e32 v92, 15
	ds_store_2addr_b64 v86, v[8:9], v[10:11] offset0:32 offset1:33
	ds_store_2addr_b64 v86, v[4:5], v[6:7] offset0:34 offset1:35
	;; [unrolled: 1-line block ×3, first 2 shown]
.LBB36_333:
	s_or_b32 exec_lo, exec_lo, s2
	s_delay_alu instid0(SALU_CYCLE_1)
	s_mov_b32 s2, exec_lo
	s_waitcnt lgkmcnt(0)
	s_waitcnt_vscnt null, 0x0
	s_barrier
	buffer_gl0_inv
	v_cmpx_lt_i32_e32 15, v92
	s_cbranch_execz .LBB36_335
; %bb.334:
	v_mul_f64 v[84:85], v[76:77], v[14:15]
	v_mul_f64 v[14:15], v[78:79], v[14:15]
	ds_load_2addr_b64 v[93:96], v86 offset0:32 offset1:33
	ds_load_2addr_b64 v[97:100], v86 offset0:34 offset1:35
	;; [unrolled: 1-line block ×3, first 2 shown]
	v_fma_f64 v[78:79], v[78:79], v[12:13], v[84:85]
	v_fma_f64 v[12:13], v[76:77], v[12:13], -v[14:15]
	s_waitcnt lgkmcnt(2)
	s_delay_alu instid0(VALU_DEP_2)
	v_mul_f64 v[14:15], v[95:96], v[78:79]
	v_mul_f64 v[76:77], v[93:94], v[78:79]
	s_waitcnt lgkmcnt(1)
	v_mul_f64 v[84:85], v[99:100], v[78:79]
	v_mul_f64 v[105:106], v[97:98], v[78:79]
	s_waitcnt lgkmcnt(0)
	v_mul_f64 v[107:108], v[103:104], v[78:79]
	v_mul_f64 v[109:110], v[101:102], v[78:79]
	v_fma_f64 v[14:15], v[93:94], v[12:13], -v[14:15]
	v_fma_f64 v[76:77], v[95:96], v[12:13], v[76:77]
	v_fma_f64 v[84:85], v[97:98], v[12:13], -v[84:85]
	v_fma_f64 v[93:94], v[99:100], v[12:13], v[105:106]
	;; [unrolled: 2-line block ×3, first 2 shown]
	v_add_f64 v[8:9], v[8:9], -v[14:15]
	v_add_f64 v[10:11], v[10:11], -v[76:77]
	;; [unrolled: 1-line block ×6, first 2 shown]
	v_dual_mov_b32 v14, v78 :: v_dual_mov_b32 v15, v79
.LBB36_335:
	s_or_b32 exec_lo, exec_lo, s2
	v_lshl_add_u32 v76, v92, 4, v86
	s_barrier
	buffer_gl0_inv
	v_mov_b32_e32 v84, 16
	ds_store_2addr_b64 v76, v[8:9], v[10:11] offset1:1
	s_waitcnt lgkmcnt(0)
	s_barrier
	buffer_gl0_inv
	ds_load_2addr_b64 v[76:79], v86 offset0:32 offset1:33
	s_cmp_lt_i32 s5, 18
	s_cbranch_scc1 .LBB36_338
; %bb.336:
	v_add3_u32 v85, v91, 0, 0x110
	v_mov_b32_e32 v84, 16
	s_mov_b32 s6, 17
	s_set_inst_prefetch_distance 0x1
	.p2align	6
.LBB36_337:                             ; =>This Inner Loop Header: Depth=1
	ds_load_2addr_b64 v[93:96], v85 offset1:1
	s_waitcnt lgkmcnt(1)
	v_cmp_gt_f64_e32 vcc_lo, 0, v[76:77]
	v_xor_b32_e32 v97, 0x80000000, v77
	v_cmp_gt_f64_e64 s2, 0, v[78:79]
	v_xor_b32_e32 v99, 0x80000000, v79
	v_add_nc_u32_e32 v85, 16, v85
	s_waitcnt lgkmcnt(0)
	v_cmp_gt_f64_e64 s3, 0, v[93:94]
	v_mov_b32_e32 v101, v93
	v_dual_mov_b32 v103, v95 :: v_dual_cndmask_b32 v98, v77, v97
	v_xor_b32_e32 v97, 0x80000000, v94
	v_cndmask_b32_e64 v100, v79, v99, s2
	v_xor_b32_e32 v99, 0x80000000, v96
	s_delay_alu instid0(VALU_DEP_3) | instskip(SKIP_2) | instid1(VALU_DEP_2)
	v_cndmask_b32_e64 v102, v94, v97, s3
	v_cmp_gt_f64_e64 s3, 0, v[95:96]
	v_cndmask_b32_e32 v97, v76, v76, vcc_lo
	v_cndmask_b32_e64 v104, v96, v99, s3
	v_cndmask_b32_e64 v99, v78, v78, s2
	s_delay_alu instid0(VALU_DEP_2) | instskip(NEXT) | instid1(VALU_DEP_2)
	v_add_f64 v[101:102], v[101:102], v[103:104]
	v_add_f64 v[97:98], v[97:98], v[99:100]
	s_delay_alu instid0(VALU_DEP_1) | instskip(SKIP_4) | instid1(SALU_CYCLE_1)
	v_cmp_lt_f64_e32 vcc_lo, v[97:98], v[101:102]
	v_dual_cndmask_b32 v78, v78, v95 :: v_dual_cndmask_b32 v77, v77, v94
	v_dual_cndmask_b32 v76, v76, v93 :: v_dual_cndmask_b32 v79, v79, v96
	v_cndmask_b32_e64 v84, v84, s6, vcc_lo
	s_add_i32 s6, s6, 1
	s_cmp_lg_u32 s5, s6
	s_cbranch_scc1 .LBB36_337
.LBB36_338:
	s_set_inst_prefetch_distance 0x2
	s_waitcnt lgkmcnt(0)
	v_cmp_eq_f64_e32 vcc_lo, 0, v[76:77]
	v_cmp_eq_f64_e64 s2, 0, v[78:79]
	s_delay_alu instid0(VALU_DEP_1) | instskip(NEXT) | instid1(SALU_CYCLE_1)
	s_and_b32 s2, vcc_lo, s2
	s_and_saveexec_b32 s3, s2
	s_delay_alu instid0(SALU_CYCLE_1)
	s_xor_b32 s2, exec_lo, s3
; %bb.339:
	v_cmp_ne_u32_e32 vcc_lo, 0, v90
	v_cndmask_b32_e32 v90, 17, v90, vcc_lo
; %bb.340:
	s_and_not1_saveexec_b32 s3, s2
	s_cbranch_execz .LBB36_346
; %bb.341:
	v_cmp_gt_f64_e32 vcc_lo, 0, v[76:77]
	v_cmp_gt_f64_e64 s2, 0, v[78:79]
	v_xor_b32_e32 v85, 0x80000000, v77
	v_xor_b32_e32 v93, 0x80000000, v79
	s_delay_alu instid0(VALU_DEP_2) | instskip(NEXT) | instid1(VALU_DEP_2)
	v_cndmask_b32_e32 v94, v77, v85, vcc_lo
	v_cndmask_b32_e64 v96, v79, v93, s2
	v_cndmask_b32_e32 v93, v76, v76, vcc_lo
	v_cndmask_b32_e64 v95, v78, v78, s2
	s_mov_b32 s2, exec_lo
	s_delay_alu instid0(VALU_DEP_1)
	v_cmpx_ngt_f64_e32 v[93:94], v[95:96]
	s_xor_b32 s2, exec_lo, s2
	s_cbranch_execz .LBB36_343
; %bb.342:
	v_div_scale_f64 v[93:94], null, v[78:79], v[78:79], v[76:77]
	v_div_scale_f64 v[99:100], vcc_lo, v[76:77], v[78:79], v[76:77]
	s_delay_alu instid0(VALU_DEP_2) | instskip(SKIP_2) | instid1(VALU_DEP_1)
	v_rcp_f64_e32 v[95:96], v[93:94]
	s_waitcnt_depctr 0xfff
	v_fma_f64 v[97:98], -v[93:94], v[95:96], 1.0
	v_fma_f64 v[95:96], v[95:96], v[97:98], v[95:96]
	s_delay_alu instid0(VALU_DEP_1) | instskip(NEXT) | instid1(VALU_DEP_1)
	v_fma_f64 v[97:98], -v[93:94], v[95:96], 1.0
	v_fma_f64 v[95:96], v[95:96], v[97:98], v[95:96]
	s_delay_alu instid0(VALU_DEP_1) | instskip(NEXT) | instid1(VALU_DEP_1)
	v_mul_f64 v[97:98], v[99:100], v[95:96]
	v_fma_f64 v[93:94], -v[93:94], v[97:98], v[99:100]
	s_delay_alu instid0(VALU_DEP_1) | instskip(NEXT) | instid1(VALU_DEP_1)
	v_div_fmas_f64 v[93:94], v[93:94], v[95:96], v[97:98]
	v_div_fixup_f64 v[93:94], v[93:94], v[78:79], v[76:77]
	s_delay_alu instid0(VALU_DEP_1) | instskip(NEXT) | instid1(VALU_DEP_1)
	v_fma_f64 v[76:77], v[76:77], v[93:94], v[78:79]
	v_div_scale_f64 v[78:79], null, v[76:77], v[76:77], 1.0
	s_delay_alu instid0(VALU_DEP_1) | instskip(SKIP_2) | instid1(VALU_DEP_1)
	v_rcp_f64_e32 v[95:96], v[78:79]
	s_waitcnt_depctr 0xfff
	v_fma_f64 v[97:98], -v[78:79], v[95:96], 1.0
	v_fma_f64 v[95:96], v[95:96], v[97:98], v[95:96]
	s_delay_alu instid0(VALU_DEP_1) | instskip(NEXT) | instid1(VALU_DEP_1)
	v_fma_f64 v[97:98], -v[78:79], v[95:96], 1.0
	v_fma_f64 v[95:96], v[95:96], v[97:98], v[95:96]
	v_div_scale_f64 v[97:98], vcc_lo, 1.0, v[76:77], 1.0
	s_delay_alu instid0(VALU_DEP_1) | instskip(NEXT) | instid1(VALU_DEP_1)
	v_mul_f64 v[99:100], v[97:98], v[95:96]
	v_fma_f64 v[78:79], -v[78:79], v[99:100], v[97:98]
	s_delay_alu instid0(VALU_DEP_1) | instskip(NEXT) | instid1(VALU_DEP_1)
	v_div_fmas_f64 v[78:79], v[78:79], v[95:96], v[99:100]
	v_div_fixup_f64 v[78:79], v[78:79], v[76:77], 1.0
	s_delay_alu instid0(VALU_DEP_1)
	v_mul_f64 v[76:77], v[93:94], v[78:79]
	v_xor_b32_e32 v79, 0x80000000, v79
.LBB36_343:
	s_and_not1_saveexec_b32 s2, s2
	s_cbranch_execz .LBB36_345
; %bb.344:
	s_delay_alu instid0(VALU_DEP_1) | instskip(SKIP_1) | instid1(VALU_DEP_2)
	v_div_scale_f64 v[93:94], null, v[76:77], v[76:77], v[78:79]
	v_div_scale_f64 v[99:100], vcc_lo, v[78:79], v[76:77], v[78:79]
	v_rcp_f64_e32 v[95:96], v[93:94]
	s_waitcnt_depctr 0xfff
	v_fma_f64 v[97:98], -v[93:94], v[95:96], 1.0
	s_delay_alu instid0(VALU_DEP_1) | instskip(NEXT) | instid1(VALU_DEP_1)
	v_fma_f64 v[95:96], v[95:96], v[97:98], v[95:96]
	v_fma_f64 v[97:98], -v[93:94], v[95:96], 1.0
	s_delay_alu instid0(VALU_DEP_1) | instskip(NEXT) | instid1(VALU_DEP_1)
	v_fma_f64 v[95:96], v[95:96], v[97:98], v[95:96]
	v_mul_f64 v[97:98], v[99:100], v[95:96]
	s_delay_alu instid0(VALU_DEP_1) | instskip(NEXT) | instid1(VALU_DEP_1)
	v_fma_f64 v[93:94], -v[93:94], v[97:98], v[99:100]
	v_div_fmas_f64 v[93:94], v[93:94], v[95:96], v[97:98]
	s_delay_alu instid0(VALU_DEP_1) | instskip(NEXT) | instid1(VALU_DEP_1)
	v_div_fixup_f64 v[93:94], v[93:94], v[76:77], v[78:79]
	v_fma_f64 v[76:77], v[78:79], v[93:94], v[76:77]
	s_delay_alu instid0(VALU_DEP_1) | instskip(NEXT) | instid1(VALU_DEP_1)
	v_div_scale_f64 v[78:79], null, v[76:77], v[76:77], 1.0
	v_rcp_f64_e32 v[95:96], v[78:79]
	s_waitcnt_depctr 0xfff
	v_fma_f64 v[97:98], -v[78:79], v[95:96], 1.0
	s_delay_alu instid0(VALU_DEP_1) | instskip(NEXT) | instid1(VALU_DEP_1)
	v_fma_f64 v[95:96], v[95:96], v[97:98], v[95:96]
	v_fma_f64 v[97:98], -v[78:79], v[95:96], 1.0
	s_delay_alu instid0(VALU_DEP_1) | instskip(SKIP_1) | instid1(VALU_DEP_1)
	v_fma_f64 v[95:96], v[95:96], v[97:98], v[95:96]
	v_div_scale_f64 v[97:98], vcc_lo, 1.0, v[76:77], 1.0
	v_mul_f64 v[99:100], v[97:98], v[95:96]
	s_delay_alu instid0(VALU_DEP_1) | instskip(NEXT) | instid1(VALU_DEP_1)
	v_fma_f64 v[78:79], -v[78:79], v[99:100], v[97:98]
	v_div_fmas_f64 v[78:79], v[78:79], v[95:96], v[99:100]
	s_delay_alu instid0(VALU_DEP_1) | instskip(NEXT) | instid1(VALU_DEP_1)
	v_div_fixup_f64 v[76:77], v[78:79], v[76:77], 1.0
	v_mul_f64 v[78:79], v[93:94], -v[76:77]
.LBB36_345:
	s_or_b32 exec_lo, exec_lo, s2
.LBB36_346:
	s_delay_alu instid0(SALU_CYCLE_1) | instskip(NEXT) | instid1(SALU_CYCLE_1)
	s_or_b32 exec_lo, exec_lo, s3
	s_mov_b32 s2, exec_lo
	v_cmpx_ne_u32_e64 v92, v84
	s_xor_b32 s2, exec_lo, s2
	s_cbranch_execz .LBB36_352
; %bb.347:
	s_mov_b32 s3, exec_lo
	v_cmpx_eq_u32_e32 16, v92
	s_cbranch_execz .LBB36_351
; %bb.348:
	v_cmp_ne_u32_e32 vcc_lo, 16, v84
	s_xor_b32 s6, s4, -1
	s_delay_alu instid0(SALU_CYCLE_1) | instskip(NEXT) | instid1(SALU_CYCLE_1)
	s_and_b32 s7, s6, vcc_lo
	s_and_saveexec_b32 s6, s7
	s_cbranch_execz .LBB36_350
; %bb.349:
	v_ashrrev_i32_e32 v85, 31, v84
	s_delay_alu instid0(VALU_DEP_1) | instskip(NEXT) | instid1(VALU_DEP_1)
	v_lshlrev_b64 v[92:93], 2, v[84:85]
	v_add_co_u32 v92, vcc_lo, v82, v92
	s_delay_alu instid0(VALU_DEP_2)
	v_add_co_ci_u32_e32 v93, vcc_lo, v83, v93, vcc_lo
	s_clause 0x1
	flat_load_b32 v85, v[92:93]
	flat_load_b32 v89, v[82:83] offset:64
	s_waitcnt vmcnt(1) lgkmcnt(1)
	flat_store_b32 v[82:83], v85 offset:64
	s_waitcnt vmcnt(0) lgkmcnt(1)
	flat_store_b32 v[92:93], v89
.LBB36_350:
	s_or_b32 exec_lo, exec_lo, s6
	v_mov_b32_e32 v92, v84
	v_mov_b32_e32 v89, v84
.LBB36_351:
	s_or_b32 exec_lo, exec_lo, s3
.LBB36_352:
	s_and_not1_saveexec_b32 s2, s2
	s_cbranch_execz .LBB36_354
; %bb.353:
	v_mov_b32_e32 v92, 16
	ds_store_2addr_b64 v86, v[4:5], v[6:7] offset0:34 offset1:35
	ds_store_2addr_b64 v86, v[0:1], v[2:3] offset0:36 offset1:37
.LBB36_354:
	s_or_b32 exec_lo, exec_lo, s2
	s_delay_alu instid0(SALU_CYCLE_1)
	s_mov_b32 s2, exec_lo
	s_waitcnt lgkmcnt(0)
	s_waitcnt_vscnt null, 0x0
	s_barrier
	buffer_gl0_inv
	v_cmpx_lt_i32_e32 16, v92
	s_cbranch_execz .LBB36_356
; %bb.355:
	v_mul_f64 v[84:85], v[76:77], v[10:11]
	v_mul_f64 v[10:11], v[78:79], v[10:11]
	ds_load_2addr_b64 v[93:96], v86 offset0:34 offset1:35
	ds_load_2addr_b64 v[97:100], v86 offset0:36 offset1:37
	v_fma_f64 v[78:79], v[78:79], v[8:9], v[84:85]
	v_fma_f64 v[8:9], v[76:77], v[8:9], -v[10:11]
	s_waitcnt lgkmcnt(1)
	s_delay_alu instid0(VALU_DEP_2) | instskip(SKIP_4) | instid1(VALU_DEP_4)
	v_mul_f64 v[10:11], v[95:96], v[78:79]
	v_mul_f64 v[76:77], v[93:94], v[78:79]
	s_waitcnt lgkmcnt(0)
	v_mul_f64 v[84:85], v[99:100], v[78:79]
	v_mul_f64 v[101:102], v[97:98], v[78:79]
	v_fma_f64 v[10:11], v[93:94], v[8:9], -v[10:11]
	s_delay_alu instid0(VALU_DEP_4) | instskip(NEXT) | instid1(VALU_DEP_4)
	v_fma_f64 v[76:77], v[95:96], v[8:9], v[76:77]
	v_fma_f64 v[84:85], v[97:98], v[8:9], -v[84:85]
	s_delay_alu instid0(VALU_DEP_4) | instskip(NEXT) | instid1(VALU_DEP_4)
	v_fma_f64 v[93:94], v[99:100], v[8:9], v[101:102]
	v_add_f64 v[4:5], v[4:5], -v[10:11]
	s_delay_alu instid0(VALU_DEP_4) | instskip(NEXT) | instid1(VALU_DEP_4)
	v_add_f64 v[6:7], v[6:7], -v[76:77]
	v_add_f64 v[0:1], v[0:1], -v[84:85]
	s_delay_alu instid0(VALU_DEP_4)
	v_add_f64 v[2:3], v[2:3], -v[93:94]
	v_dual_mov_b32 v10, v78 :: v_dual_mov_b32 v11, v79
.LBB36_356:
	s_or_b32 exec_lo, exec_lo, s2
	v_lshl_add_u32 v76, v92, 4, v86
	s_barrier
	buffer_gl0_inv
	v_mov_b32_e32 v84, 17
	ds_store_2addr_b64 v76, v[4:5], v[6:7] offset1:1
	s_waitcnt lgkmcnt(0)
	s_barrier
	buffer_gl0_inv
	ds_load_2addr_b64 v[76:79], v86 offset0:34 offset1:35
	s_cmp_lt_i32 s5, 19
	s_cbranch_scc1 .LBB36_359
; %bb.357:
	v_add3_u32 v85, v91, 0, 0x120
	v_mov_b32_e32 v84, 17
	s_mov_b32 s6, 18
	s_set_inst_prefetch_distance 0x1
	.p2align	6
.LBB36_358:                             ; =>This Inner Loop Header: Depth=1
	ds_load_2addr_b64 v[93:96], v85 offset1:1
	s_waitcnt lgkmcnt(1)
	v_cmp_gt_f64_e32 vcc_lo, 0, v[76:77]
	v_xor_b32_e32 v97, 0x80000000, v77
	v_cmp_gt_f64_e64 s2, 0, v[78:79]
	v_xor_b32_e32 v99, 0x80000000, v79
	v_add_nc_u32_e32 v85, 16, v85
	s_waitcnt lgkmcnt(0)
	v_cmp_gt_f64_e64 s3, 0, v[93:94]
	v_mov_b32_e32 v101, v93
	v_dual_mov_b32 v103, v95 :: v_dual_cndmask_b32 v98, v77, v97
	v_xor_b32_e32 v97, 0x80000000, v94
	v_cndmask_b32_e64 v100, v79, v99, s2
	v_xor_b32_e32 v99, 0x80000000, v96
	s_delay_alu instid0(VALU_DEP_3) | instskip(SKIP_2) | instid1(VALU_DEP_2)
	v_cndmask_b32_e64 v102, v94, v97, s3
	v_cmp_gt_f64_e64 s3, 0, v[95:96]
	v_cndmask_b32_e32 v97, v76, v76, vcc_lo
	v_cndmask_b32_e64 v104, v96, v99, s3
	v_cndmask_b32_e64 v99, v78, v78, s2
	s_delay_alu instid0(VALU_DEP_2) | instskip(NEXT) | instid1(VALU_DEP_2)
	v_add_f64 v[101:102], v[101:102], v[103:104]
	v_add_f64 v[97:98], v[97:98], v[99:100]
	s_delay_alu instid0(VALU_DEP_1) | instskip(SKIP_4) | instid1(SALU_CYCLE_1)
	v_cmp_lt_f64_e32 vcc_lo, v[97:98], v[101:102]
	v_dual_cndmask_b32 v78, v78, v95 :: v_dual_cndmask_b32 v77, v77, v94
	v_dual_cndmask_b32 v76, v76, v93 :: v_dual_cndmask_b32 v79, v79, v96
	v_cndmask_b32_e64 v84, v84, s6, vcc_lo
	s_add_i32 s6, s6, 1
	s_cmp_lg_u32 s5, s6
	s_cbranch_scc1 .LBB36_358
.LBB36_359:
	s_set_inst_prefetch_distance 0x2
	s_waitcnt lgkmcnt(0)
	v_cmp_eq_f64_e32 vcc_lo, 0, v[76:77]
	v_cmp_eq_f64_e64 s2, 0, v[78:79]
	s_delay_alu instid0(VALU_DEP_1) | instskip(NEXT) | instid1(SALU_CYCLE_1)
	s_and_b32 s2, vcc_lo, s2
	s_and_saveexec_b32 s3, s2
	s_delay_alu instid0(SALU_CYCLE_1)
	s_xor_b32 s2, exec_lo, s3
; %bb.360:
	v_cmp_ne_u32_e32 vcc_lo, 0, v90
	v_cndmask_b32_e32 v90, 18, v90, vcc_lo
; %bb.361:
	s_and_not1_saveexec_b32 s3, s2
	s_cbranch_execz .LBB36_367
; %bb.362:
	v_cmp_gt_f64_e32 vcc_lo, 0, v[76:77]
	v_cmp_gt_f64_e64 s2, 0, v[78:79]
	v_xor_b32_e32 v85, 0x80000000, v77
	v_xor_b32_e32 v93, 0x80000000, v79
	s_delay_alu instid0(VALU_DEP_2) | instskip(NEXT) | instid1(VALU_DEP_2)
	v_cndmask_b32_e32 v94, v77, v85, vcc_lo
	v_cndmask_b32_e64 v96, v79, v93, s2
	v_cndmask_b32_e32 v93, v76, v76, vcc_lo
	v_cndmask_b32_e64 v95, v78, v78, s2
	s_mov_b32 s2, exec_lo
	s_delay_alu instid0(VALU_DEP_1)
	v_cmpx_ngt_f64_e32 v[93:94], v[95:96]
	s_xor_b32 s2, exec_lo, s2
	s_cbranch_execz .LBB36_364
; %bb.363:
	v_div_scale_f64 v[93:94], null, v[78:79], v[78:79], v[76:77]
	v_div_scale_f64 v[99:100], vcc_lo, v[76:77], v[78:79], v[76:77]
	s_delay_alu instid0(VALU_DEP_2) | instskip(SKIP_2) | instid1(VALU_DEP_1)
	v_rcp_f64_e32 v[95:96], v[93:94]
	s_waitcnt_depctr 0xfff
	v_fma_f64 v[97:98], -v[93:94], v[95:96], 1.0
	v_fma_f64 v[95:96], v[95:96], v[97:98], v[95:96]
	s_delay_alu instid0(VALU_DEP_1) | instskip(NEXT) | instid1(VALU_DEP_1)
	v_fma_f64 v[97:98], -v[93:94], v[95:96], 1.0
	v_fma_f64 v[95:96], v[95:96], v[97:98], v[95:96]
	s_delay_alu instid0(VALU_DEP_1) | instskip(NEXT) | instid1(VALU_DEP_1)
	v_mul_f64 v[97:98], v[99:100], v[95:96]
	v_fma_f64 v[93:94], -v[93:94], v[97:98], v[99:100]
	s_delay_alu instid0(VALU_DEP_1) | instskip(NEXT) | instid1(VALU_DEP_1)
	v_div_fmas_f64 v[93:94], v[93:94], v[95:96], v[97:98]
	v_div_fixup_f64 v[93:94], v[93:94], v[78:79], v[76:77]
	s_delay_alu instid0(VALU_DEP_1) | instskip(NEXT) | instid1(VALU_DEP_1)
	v_fma_f64 v[76:77], v[76:77], v[93:94], v[78:79]
	v_div_scale_f64 v[78:79], null, v[76:77], v[76:77], 1.0
	s_delay_alu instid0(VALU_DEP_1) | instskip(SKIP_2) | instid1(VALU_DEP_1)
	v_rcp_f64_e32 v[95:96], v[78:79]
	s_waitcnt_depctr 0xfff
	v_fma_f64 v[97:98], -v[78:79], v[95:96], 1.0
	v_fma_f64 v[95:96], v[95:96], v[97:98], v[95:96]
	s_delay_alu instid0(VALU_DEP_1) | instskip(NEXT) | instid1(VALU_DEP_1)
	v_fma_f64 v[97:98], -v[78:79], v[95:96], 1.0
	v_fma_f64 v[95:96], v[95:96], v[97:98], v[95:96]
	v_div_scale_f64 v[97:98], vcc_lo, 1.0, v[76:77], 1.0
	s_delay_alu instid0(VALU_DEP_1) | instskip(NEXT) | instid1(VALU_DEP_1)
	v_mul_f64 v[99:100], v[97:98], v[95:96]
	v_fma_f64 v[78:79], -v[78:79], v[99:100], v[97:98]
	s_delay_alu instid0(VALU_DEP_1) | instskip(NEXT) | instid1(VALU_DEP_1)
	v_div_fmas_f64 v[78:79], v[78:79], v[95:96], v[99:100]
	v_div_fixup_f64 v[78:79], v[78:79], v[76:77], 1.0
	s_delay_alu instid0(VALU_DEP_1)
	v_mul_f64 v[76:77], v[93:94], v[78:79]
	v_xor_b32_e32 v79, 0x80000000, v79
.LBB36_364:
	s_and_not1_saveexec_b32 s2, s2
	s_cbranch_execz .LBB36_366
; %bb.365:
	s_delay_alu instid0(VALU_DEP_1) | instskip(SKIP_1) | instid1(VALU_DEP_2)
	v_div_scale_f64 v[93:94], null, v[76:77], v[76:77], v[78:79]
	v_div_scale_f64 v[99:100], vcc_lo, v[78:79], v[76:77], v[78:79]
	v_rcp_f64_e32 v[95:96], v[93:94]
	s_waitcnt_depctr 0xfff
	v_fma_f64 v[97:98], -v[93:94], v[95:96], 1.0
	s_delay_alu instid0(VALU_DEP_1) | instskip(NEXT) | instid1(VALU_DEP_1)
	v_fma_f64 v[95:96], v[95:96], v[97:98], v[95:96]
	v_fma_f64 v[97:98], -v[93:94], v[95:96], 1.0
	s_delay_alu instid0(VALU_DEP_1) | instskip(NEXT) | instid1(VALU_DEP_1)
	v_fma_f64 v[95:96], v[95:96], v[97:98], v[95:96]
	v_mul_f64 v[97:98], v[99:100], v[95:96]
	s_delay_alu instid0(VALU_DEP_1) | instskip(NEXT) | instid1(VALU_DEP_1)
	v_fma_f64 v[93:94], -v[93:94], v[97:98], v[99:100]
	v_div_fmas_f64 v[93:94], v[93:94], v[95:96], v[97:98]
	s_delay_alu instid0(VALU_DEP_1) | instskip(NEXT) | instid1(VALU_DEP_1)
	v_div_fixup_f64 v[93:94], v[93:94], v[76:77], v[78:79]
	v_fma_f64 v[76:77], v[78:79], v[93:94], v[76:77]
	s_delay_alu instid0(VALU_DEP_1) | instskip(NEXT) | instid1(VALU_DEP_1)
	v_div_scale_f64 v[78:79], null, v[76:77], v[76:77], 1.0
	v_rcp_f64_e32 v[95:96], v[78:79]
	s_waitcnt_depctr 0xfff
	v_fma_f64 v[97:98], -v[78:79], v[95:96], 1.0
	s_delay_alu instid0(VALU_DEP_1) | instskip(NEXT) | instid1(VALU_DEP_1)
	v_fma_f64 v[95:96], v[95:96], v[97:98], v[95:96]
	v_fma_f64 v[97:98], -v[78:79], v[95:96], 1.0
	s_delay_alu instid0(VALU_DEP_1) | instskip(SKIP_1) | instid1(VALU_DEP_1)
	v_fma_f64 v[95:96], v[95:96], v[97:98], v[95:96]
	v_div_scale_f64 v[97:98], vcc_lo, 1.0, v[76:77], 1.0
	v_mul_f64 v[99:100], v[97:98], v[95:96]
	s_delay_alu instid0(VALU_DEP_1) | instskip(NEXT) | instid1(VALU_DEP_1)
	v_fma_f64 v[78:79], -v[78:79], v[99:100], v[97:98]
	v_div_fmas_f64 v[78:79], v[78:79], v[95:96], v[99:100]
	s_delay_alu instid0(VALU_DEP_1) | instskip(NEXT) | instid1(VALU_DEP_1)
	v_div_fixup_f64 v[76:77], v[78:79], v[76:77], 1.0
	v_mul_f64 v[78:79], v[93:94], -v[76:77]
.LBB36_366:
	s_or_b32 exec_lo, exec_lo, s2
.LBB36_367:
	s_delay_alu instid0(SALU_CYCLE_1) | instskip(NEXT) | instid1(SALU_CYCLE_1)
	s_or_b32 exec_lo, exec_lo, s3
	s_mov_b32 s2, exec_lo
	v_cmpx_ne_u32_e64 v92, v84
	s_xor_b32 s2, exec_lo, s2
	s_cbranch_execz .LBB36_373
; %bb.368:
	s_mov_b32 s3, exec_lo
	v_cmpx_eq_u32_e32 17, v92
	s_cbranch_execz .LBB36_372
; %bb.369:
	v_cmp_ne_u32_e32 vcc_lo, 17, v84
	s_xor_b32 s6, s4, -1
	s_delay_alu instid0(SALU_CYCLE_1) | instskip(NEXT) | instid1(SALU_CYCLE_1)
	s_and_b32 s7, s6, vcc_lo
	s_and_saveexec_b32 s6, s7
	s_cbranch_execz .LBB36_371
; %bb.370:
	v_ashrrev_i32_e32 v85, 31, v84
	s_delay_alu instid0(VALU_DEP_1) | instskip(NEXT) | instid1(VALU_DEP_1)
	v_lshlrev_b64 v[92:93], 2, v[84:85]
	v_add_co_u32 v92, vcc_lo, v82, v92
	s_delay_alu instid0(VALU_DEP_2)
	v_add_co_ci_u32_e32 v93, vcc_lo, v83, v93, vcc_lo
	s_clause 0x1
	flat_load_b32 v85, v[92:93]
	flat_load_b32 v89, v[82:83] offset:68
	s_waitcnt vmcnt(1) lgkmcnt(1)
	flat_store_b32 v[82:83], v85 offset:68
	s_waitcnt vmcnt(0) lgkmcnt(1)
	flat_store_b32 v[92:93], v89
.LBB36_371:
	s_or_b32 exec_lo, exec_lo, s6
	v_mov_b32_e32 v92, v84
	v_mov_b32_e32 v89, v84
.LBB36_372:
	s_or_b32 exec_lo, exec_lo, s3
.LBB36_373:
	s_and_not1_saveexec_b32 s2, s2
	s_cbranch_execz .LBB36_375
; %bb.374:
	v_mov_b32_e32 v92, 17
	ds_store_2addr_b64 v86, v[0:1], v[2:3] offset0:36 offset1:37
.LBB36_375:
	s_or_b32 exec_lo, exec_lo, s2
	s_delay_alu instid0(SALU_CYCLE_1)
	s_mov_b32 s2, exec_lo
	s_waitcnt lgkmcnt(0)
	s_waitcnt_vscnt null, 0x0
	s_barrier
	buffer_gl0_inv
	v_cmpx_lt_i32_e32 17, v92
	s_cbranch_execz .LBB36_377
; %bb.376:
	v_mul_f64 v[84:85], v[76:77], v[6:7]
	v_mul_f64 v[6:7], v[78:79], v[6:7]
	ds_load_2addr_b64 v[93:96], v86 offset0:36 offset1:37
	v_fma_f64 v[78:79], v[78:79], v[4:5], v[84:85]
	v_fma_f64 v[4:5], v[76:77], v[4:5], -v[6:7]
	s_waitcnt lgkmcnt(0)
	s_delay_alu instid0(VALU_DEP_2) | instskip(SKIP_1) | instid1(VALU_DEP_2)
	v_mul_f64 v[6:7], v[95:96], v[78:79]
	v_mul_f64 v[76:77], v[93:94], v[78:79]
	v_fma_f64 v[6:7], v[93:94], v[4:5], -v[6:7]
	s_delay_alu instid0(VALU_DEP_2) | instskip(NEXT) | instid1(VALU_DEP_2)
	v_fma_f64 v[76:77], v[95:96], v[4:5], v[76:77]
	v_add_f64 v[0:1], v[0:1], -v[6:7]
	s_delay_alu instid0(VALU_DEP_2)
	v_add_f64 v[2:3], v[2:3], -v[76:77]
	v_dual_mov_b32 v6, v78 :: v_dual_mov_b32 v7, v79
.LBB36_377:
	s_or_b32 exec_lo, exec_lo, s2
	v_lshl_add_u32 v76, v92, 4, v86
	s_barrier
	buffer_gl0_inv
	v_mov_b32_e32 v84, 18
	ds_store_2addr_b64 v76, v[0:1], v[2:3] offset1:1
	s_waitcnt lgkmcnt(0)
	s_barrier
	buffer_gl0_inv
	ds_load_2addr_b64 v[76:79], v86 offset0:36 offset1:37
	s_cmp_lt_i32 s5, 20
	s_cbranch_scc1 .LBB36_380
; %bb.378:
	v_add3_u32 v85, v91, 0, 0x130
	v_mov_b32_e32 v84, 18
	s_mov_b32 s6, 19
	s_set_inst_prefetch_distance 0x1
	.p2align	6
.LBB36_379:                             ; =>This Inner Loop Header: Depth=1
	ds_load_2addr_b64 v[93:96], v85 offset1:1
	s_waitcnt lgkmcnt(1)
	v_cmp_gt_f64_e32 vcc_lo, 0, v[76:77]
	v_xor_b32_e32 v86, 0x80000000, v77
	v_cmp_gt_f64_e64 s2, 0, v[78:79]
	v_xor_b32_e32 v91, 0x80000000, v79
	v_add_nc_u32_e32 v85, 16, v85
	s_waitcnt lgkmcnt(0)
	v_cmp_gt_f64_e64 s3, 0, v[93:94]
	v_mov_b32_e32 v101, v93
	v_dual_mov_b32 v103, v95 :: v_dual_cndmask_b32 v98, v77, v86
	v_xor_b32_e32 v86, 0x80000000, v94
	v_cndmask_b32_e64 v100, v79, v91, s2
	v_xor_b32_e32 v91, 0x80000000, v96
	v_cndmask_b32_e32 v97, v76, v76, vcc_lo
	v_cndmask_b32_e64 v99, v78, v78, s2
	s_delay_alu instid0(VALU_DEP_1) | instskip(SKIP_2) | instid1(VALU_DEP_1)
	v_add_f64 v[97:98], v[97:98], v[99:100]
	v_cndmask_b32_e64 v102, v94, v86, s3
	v_cmp_gt_f64_e64 s3, 0, v[95:96]
	v_cndmask_b32_e64 v104, v96, v91, s3
	s_delay_alu instid0(VALU_DEP_1) | instskip(NEXT) | instid1(VALU_DEP_1)
	v_add_f64 v[101:102], v[101:102], v[103:104]
	v_cmp_lt_f64_e32 vcc_lo, v[97:98], v[101:102]
	v_dual_cndmask_b32 v78, v78, v95 :: v_dual_cndmask_b32 v77, v77, v94
	v_dual_cndmask_b32 v76, v76, v93 :: v_dual_cndmask_b32 v79, v79, v96
	v_cndmask_b32_e64 v84, v84, s6, vcc_lo
	s_add_i32 s6, s6, 1
	s_delay_alu instid0(SALU_CYCLE_1)
	s_cmp_lg_u32 s5, s6
	s_cbranch_scc1 .LBB36_379
.LBB36_380:
	s_set_inst_prefetch_distance 0x2
	s_waitcnt lgkmcnt(0)
	v_cmp_eq_f64_e32 vcc_lo, 0, v[76:77]
	v_cmp_eq_f64_e64 s2, 0, v[78:79]
	s_delay_alu instid0(VALU_DEP_1) | instskip(NEXT) | instid1(SALU_CYCLE_1)
	s_and_b32 s2, vcc_lo, s2
	s_and_saveexec_b32 s3, s2
	s_delay_alu instid0(SALU_CYCLE_1)
	s_xor_b32 s2, exec_lo, s3
; %bb.381:
	v_cmp_ne_u32_e32 vcc_lo, 0, v90
	v_cndmask_b32_e32 v90, 19, v90, vcc_lo
; %bb.382:
	s_and_not1_saveexec_b32 s3, s2
	s_cbranch_execz .LBB36_388
; %bb.383:
	v_cmp_gt_f64_e32 vcc_lo, 0, v[76:77]
	v_cmp_gt_f64_e64 s2, 0, v[78:79]
	v_xor_b32_e32 v85, 0x80000000, v77
	v_xor_b32_e32 v91, 0x80000000, v79
	s_delay_alu instid0(VALU_DEP_2) | instskip(NEXT) | instid1(VALU_DEP_2)
	v_dual_cndmask_b32 v86, v77, v85 :: v_dual_cndmask_b32 v85, v76, v76
	v_cndmask_b32_e64 v94, v79, v91, s2
	v_cndmask_b32_e64 v93, v78, v78, s2
	s_mov_b32 s2, exec_lo
	s_delay_alu instid0(VALU_DEP_1)
	v_cmpx_ngt_f64_e32 v[85:86], v[93:94]
	s_xor_b32 s2, exec_lo, s2
	s_cbranch_execz .LBB36_385
; %bb.384:
	v_div_scale_f64 v[85:86], null, v[78:79], v[78:79], v[76:77]
	v_div_scale_f64 v[97:98], vcc_lo, v[76:77], v[78:79], v[76:77]
	s_delay_alu instid0(VALU_DEP_2) | instskip(SKIP_2) | instid1(VALU_DEP_1)
	v_rcp_f64_e32 v[93:94], v[85:86]
	s_waitcnt_depctr 0xfff
	v_fma_f64 v[95:96], -v[85:86], v[93:94], 1.0
	v_fma_f64 v[93:94], v[93:94], v[95:96], v[93:94]
	s_delay_alu instid0(VALU_DEP_1) | instskip(NEXT) | instid1(VALU_DEP_1)
	v_fma_f64 v[95:96], -v[85:86], v[93:94], 1.0
	v_fma_f64 v[93:94], v[93:94], v[95:96], v[93:94]
	s_delay_alu instid0(VALU_DEP_1) | instskip(NEXT) | instid1(VALU_DEP_1)
	v_mul_f64 v[95:96], v[97:98], v[93:94]
	v_fma_f64 v[85:86], -v[85:86], v[95:96], v[97:98]
	s_delay_alu instid0(VALU_DEP_1) | instskip(NEXT) | instid1(VALU_DEP_1)
	v_div_fmas_f64 v[85:86], v[85:86], v[93:94], v[95:96]
	v_div_fixup_f64 v[85:86], v[85:86], v[78:79], v[76:77]
	s_delay_alu instid0(VALU_DEP_1) | instskip(NEXT) | instid1(VALU_DEP_1)
	v_fma_f64 v[76:77], v[76:77], v[85:86], v[78:79]
	v_div_scale_f64 v[78:79], null, v[76:77], v[76:77], 1.0
	s_delay_alu instid0(VALU_DEP_1) | instskip(SKIP_2) | instid1(VALU_DEP_1)
	v_rcp_f64_e32 v[93:94], v[78:79]
	s_waitcnt_depctr 0xfff
	v_fma_f64 v[95:96], -v[78:79], v[93:94], 1.0
	v_fma_f64 v[93:94], v[93:94], v[95:96], v[93:94]
	s_delay_alu instid0(VALU_DEP_1) | instskip(NEXT) | instid1(VALU_DEP_1)
	v_fma_f64 v[95:96], -v[78:79], v[93:94], 1.0
	v_fma_f64 v[93:94], v[93:94], v[95:96], v[93:94]
	v_div_scale_f64 v[95:96], vcc_lo, 1.0, v[76:77], 1.0
	s_delay_alu instid0(VALU_DEP_1) | instskip(NEXT) | instid1(VALU_DEP_1)
	v_mul_f64 v[97:98], v[95:96], v[93:94]
	v_fma_f64 v[78:79], -v[78:79], v[97:98], v[95:96]
	s_delay_alu instid0(VALU_DEP_1) | instskip(NEXT) | instid1(VALU_DEP_1)
	v_div_fmas_f64 v[78:79], v[78:79], v[93:94], v[97:98]
	v_div_fixup_f64 v[78:79], v[78:79], v[76:77], 1.0
	s_delay_alu instid0(VALU_DEP_1)
	v_mul_f64 v[76:77], v[85:86], v[78:79]
	v_xor_b32_e32 v79, 0x80000000, v79
.LBB36_385:
	s_and_not1_saveexec_b32 s2, s2
	s_cbranch_execz .LBB36_387
; %bb.386:
	s_delay_alu instid0(VALU_DEP_1) | instskip(SKIP_1) | instid1(VALU_DEP_2)
	v_div_scale_f64 v[85:86], null, v[76:77], v[76:77], v[78:79]
	v_div_scale_f64 v[97:98], vcc_lo, v[78:79], v[76:77], v[78:79]
	v_rcp_f64_e32 v[93:94], v[85:86]
	s_waitcnt_depctr 0xfff
	v_fma_f64 v[95:96], -v[85:86], v[93:94], 1.0
	s_delay_alu instid0(VALU_DEP_1) | instskip(NEXT) | instid1(VALU_DEP_1)
	v_fma_f64 v[93:94], v[93:94], v[95:96], v[93:94]
	v_fma_f64 v[95:96], -v[85:86], v[93:94], 1.0
	s_delay_alu instid0(VALU_DEP_1) | instskip(NEXT) | instid1(VALU_DEP_1)
	v_fma_f64 v[93:94], v[93:94], v[95:96], v[93:94]
	v_mul_f64 v[95:96], v[97:98], v[93:94]
	s_delay_alu instid0(VALU_DEP_1) | instskip(NEXT) | instid1(VALU_DEP_1)
	v_fma_f64 v[85:86], -v[85:86], v[95:96], v[97:98]
	v_div_fmas_f64 v[85:86], v[85:86], v[93:94], v[95:96]
	s_delay_alu instid0(VALU_DEP_1) | instskip(NEXT) | instid1(VALU_DEP_1)
	v_div_fixup_f64 v[85:86], v[85:86], v[76:77], v[78:79]
	v_fma_f64 v[76:77], v[78:79], v[85:86], v[76:77]
	s_delay_alu instid0(VALU_DEP_1) | instskip(NEXT) | instid1(VALU_DEP_1)
	v_div_scale_f64 v[78:79], null, v[76:77], v[76:77], 1.0
	v_rcp_f64_e32 v[93:94], v[78:79]
	s_waitcnt_depctr 0xfff
	v_fma_f64 v[95:96], -v[78:79], v[93:94], 1.0
	s_delay_alu instid0(VALU_DEP_1) | instskip(NEXT) | instid1(VALU_DEP_1)
	v_fma_f64 v[93:94], v[93:94], v[95:96], v[93:94]
	v_fma_f64 v[95:96], -v[78:79], v[93:94], 1.0
	s_delay_alu instid0(VALU_DEP_1) | instskip(SKIP_1) | instid1(VALU_DEP_1)
	v_fma_f64 v[93:94], v[93:94], v[95:96], v[93:94]
	v_div_scale_f64 v[95:96], vcc_lo, 1.0, v[76:77], 1.0
	v_mul_f64 v[97:98], v[95:96], v[93:94]
	s_delay_alu instid0(VALU_DEP_1) | instskip(NEXT) | instid1(VALU_DEP_1)
	v_fma_f64 v[78:79], -v[78:79], v[97:98], v[95:96]
	v_div_fmas_f64 v[78:79], v[78:79], v[93:94], v[97:98]
	s_delay_alu instid0(VALU_DEP_1) | instskip(NEXT) | instid1(VALU_DEP_1)
	v_div_fixup_f64 v[76:77], v[78:79], v[76:77], 1.0
	v_mul_f64 v[78:79], v[85:86], -v[76:77]
.LBB36_387:
	s_or_b32 exec_lo, exec_lo, s2
.LBB36_388:
	s_delay_alu instid0(SALU_CYCLE_1)
	s_or_b32 exec_lo, exec_lo, s3
	v_mov_b32_e32 v85, 18
	s_mov_b32 s2, exec_lo
	v_cmpx_ne_u32_e64 v92, v84
	s_cbranch_execz .LBB36_394
; %bb.389:
	s_mov_b32 s3, exec_lo
	v_cmpx_eq_u32_e32 18, v92
	s_cbranch_execz .LBB36_393
; %bb.390:
	v_cmp_ne_u32_e32 vcc_lo, 18, v84
	s_xor_b32 s4, s4, -1
	s_delay_alu instid0(SALU_CYCLE_1) | instskip(NEXT) | instid1(SALU_CYCLE_1)
	s_and_b32 s5, s4, vcc_lo
	s_and_saveexec_b32 s4, s5
	s_cbranch_execz .LBB36_392
; %bb.391:
	v_ashrrev_i32_e32 v85, 31, v84
	s_delay_alu instid0(VALU_DEP_1) | instskip(NEXT) | instid1(VALU_DEP_1)
	v_lshlrev_b64 v[85:86], 2, v[84:85]
	v_add_co_u32 v85, vcc_lo, v82, v85
	s_delay_alu instid0(VALU_DEP_2)
	v_add_co_ci_u32_e32 v86, vcc_lo, v83, v86, vcc_lo
	s_clause 0x1
	flat_load_b32 v89, v[85:86]
	flat_load_b32 v91, v[82:83] offset:72
	s_waitcnt vmcnt(1) lgkmcnt(1)
	flat_store_b32 v[82:83], v89 offset:72
	s_waitcnt vmcnt(0) lgkmcnt(1)
	flat_store_b32 v[85:86], v91
.LBB36_392:
	s_or_b32 exec_lo, exec_lo, s4
	v_mov_b32_e32 v92, v84
	v_mov_b32_e32 v89, v84
.LBB36_393:
	s_or_b32 exec_lo, exec_lo, s3
	s_delay_alu instid0(VALU_DEP_2)
	v_mov_b32_e32 v85, v92
.LBB36_394:
	s_or_b32 exec_lo, exec_lo, s2
	s_delay_alu instid0(SALU_CYCLE_1)
	s_mov_b32 s2, exec_lo
	s_waitcnt lgkmcnt(0)
	s_waitcnt_vscnt null, 0x0
	s_barrier
	buffer_gl0_inv
	v_cmpx_lt_i32_e32 18, v85
; %bb.395:
	v_mul_f64 v[82:83], v[78:79], v[2:3]
	v_mul_f64 v[2:3], v[76:77], v[2:3]
	s_delay_alu instid0(VALU_DEP_2) | instskip(NEXT) | instid1(VALU_DEP_2)
	v_fma_f64 v[76:77], v[76:77], v[0:1], -v[82:83]
	v_fma_f64 v[2:3], v[78:79], v[0:1], v[2:3]
	s_delay_alu instid0(VALU_DEP_2)
	v_dual_mov_b32 v0, v76 :: v_dual_mov_b32 v1, v77
; %bb.396:
	s_or_b32 exec_lo, exec_lo, s2
	s_load_b256 s[0:7], s[0:1], 0x28
	v_ashrrev_i32_e32 v86, 31, v85
	s_mov_b32 s9, exec_lo
	s_waitcnt lgkmcnt(0)
	s_barrier
	buffer_gl0_inv
	v_cmpx_gt_i32_e32 19, v85
	s_cbranch_execz .LBB36_398
; %bb.397:
	v_mul_lo_u32 v78, v81, s4
	v_mul_lo_u32 v79, v80, s5
	v_mad_u64_u32 v[76:77], null, v80, s4, 0
	s_lshl_b64 s[2:3], s[2:3], 2
	s_delay_alu instid0(SALU_CYCLE_1) | instskip(SKIP_1) | instid1(VALU_DEP_1)
	s_add_u32 s0, s2, s0
	s_addc_u32 s1, s3, s1
	v_add3_u32 v77, v77, v79, v78
	v_lshlrev_b64 v[78:79], 2, v[85:86]
	s_delay_alu instid0(VALU_DEP_2) | instskip(NEXT) | instid1(VALU_DEP_1)
	v_lshlrev_b64 v[76:77], 2, v[76:77]
	v_add_co_u32 v76, vcc_lo, s0, v76
	s_delay_alu instid0(VALU_DEP_2) | instskip(NEXT) | instid1(VALU_DEP_2)
	v_add_co_ci_u32_e32 v77, vcc_lo, s1, v77, vcc_lo
	v_add_co_u32 v76, vcc_lo, v76, v78
	s_delay_alu instid0(VALU_DEP_2)
	v_add_co_ci_u32_e32 v77, vcc_lo, v77, v79, vcc_lo
	v_add3_u32 v78, v89, s13, 1
	global_store_b32 v[76:77], v78, off
.LBB36_398:
	s_or_b32 exec_lo, exec_lo, s9
	s_delay_alu instid0(SALU_CYCLE_1)
	s_mov_b32 s1, exec_lo
	v_cmpx_eq_u32_e32 0, v85
	s_cbranch_execz .LBB36_401
; %bb.399:
	v_lshlrev_b64 v[76:77], 2, v[80:81]
	v_cmp_lt_i32_e64 s0, 0, v90
	s_delay_alu instid0(VALU_DEP_2) | instskip(NEXT) | instid1(VALU_DEP_3)
	v_add_co_u32 v76, vcc_lo, s6, v76
	v_add_co_ci_u32_e32 v77, vcc_lo, s7, v77, vcc_lo
	global_load_b32 v78, v[76:77], off
	s_waitcnt vmcnt(0)
	v_cmp_eq_u32_e32 vcc_lo, 0, v78
	s_and_b32 s0, vcc_lo, s0
	s_delay_alu instid0(SALU_CYCLE_1)
	s_and_b32 exec_lo, exec_lo, s0
	s_cbranch_execz .LBB36_401
; %bb.400:
	v_add_nc_u32_e32 v78, s13, v90
	global_store_b32 v[76:77], v78, off
.LBB36_401:
	s_or_b32 exec_lo, exec_lo, s1
	v_lshlrev_b64 v[78:79], 4, v[85:86]
	v_add3_u32 v76, s8, s8, v85
	s_delay_alu instid0(VALU_DEP_1) | instskip(NEXT) | instid1(VALU_DEP_3)
	v_add_nc_u32_e32 v80, s8, v76
	v_add_co_u32 v78, vcc_lo, v87, v78
	s_delay_alu instid0(VALU_DEP_4) | instskip(SKIP_1) | instid1(VALU_DEP_3)
	v_add_co_ci_u32_e32 v79, vcc_lo, v88, v79, vcc_lo
	v_ashrrev_i32_e32 v77, 31, v76
	v_add_co_u32 v82, vcc_lo, v78, s10
	s_delay_alu instid0(VALU_DEP_3)
	v_add_co_ci_u32_e32 v83, vcc_lo, s11, v79, vcc_lo
	v_ashrrev_i32_e32 v81, 31, v80
	global_store_b128 v[78:79], v[72:75], off
	v_lshlrev_b64 v[76:77], 4, v[76:77]
	global_store_b128 v[82:83], v[68:71], off
	v_add_nc_u32_e32 v68, s8, v80
	v_lshlrev_b64 v[72:73], 4, v[80:81]
	v_add_co_u32 v70, vcc_lo, v87, v76
	s_delay_alu instid0(VALU_DEP_3) | instskip(SKIP_3) | instid1(VALU_DEP_4)
	v_add_nc_u32_e32 v74, s8, v68
	v_ashrrev_i32_e32 v69, 31, v68
	v_add_co_ci_u32_e32 v71, vcc_lo, v88, v77, vcc_lo
	v_add_co_u32 v72, vcc_lo, v87, v72
	v_add_nc_u32_e32 v76, s8, v74
	v_ashrrev_i32_e32 v75, 31, v74
	v_add_co_ci_u32_e32 v73, vcc_lo, v88, v73, vcc_lo
	v_lshlrev_b64 v[68:69], 4, v[68:69]
	s_delay_alu instid0(VALU_DEP_4)
	v_ashrrev_i32_e32 v77, 31, v76
	s_clause 0x1
	global_store_b128 v[70:71], v[64:67], off
	global_store_b128 v[72:73], v[60:63], off
	v_lshlrev_b64 v[60:61], 4, v[74:75]
	v_add_nc_u32_e32 v66, s8, v76
	v_add_co_u32 v62, vcc_lo, v87, v68
	v_lshlrev_b64 v[64:65], 4, v[76:77]
	v_add_co_ci_u32_e32 v63, vcc_lo, v88, v69, vcc_lo
	v_add_co_u32 v60, vcc_lo, v87, v60
	v_add_co_ci_u32_e32 v61, vcc_lo, v88, v61, vcc_lo
	s_delay_alu instid0(VALU_DEP_4)
	v_add_co_u32 v64, vcc_lo, v87, v64
	v_add_nc_u32_e32 v68, s8, v66
	v_add_co_ci_u32_e32 v65, vcc_lo, v88, v65, vcc_lo
	v_ashrrev_i32_e32 v67, 31, v66
	global_store_b128 v[62:63], v[48:51], off
	v_ashrrev_i32_e32 v69, 31, v68
	s_clause 0x1
	global_store_b128 v[60:61], v[44:47], off
	global_store_b128 v[64:65], v[56:59], off
	v_add_nc_u32_e32 v46, s8, v68
	v_lshlrev_b64 v[48:49], 4, v[66:67]
	v_lshlrev_b64 v[44:45], 4, v[68:69]
	s_delay_alu instid0(VALU_DEP_3) | instskip(SKIP_1) | instid1(VALU_DEP_4)
	v_add_nc_u32_e32 v50, s8, v46
	v_ashrrev_i32_e32 v47, 31, v46
	v_add_co_u32 v48, vcc_lo, v87, v48
	v_add_co_ci_u32_e32 v49, vcc_lo, v88, v49, vcc_lo
	s_delay_alu instid0(VALU_DEP_4)
	v_add_nc_u32_e32 v56, s8, v50
	v_add_co_u32 v44, vcc_lo, v87, v44
	v_ashrrev_i32_e32 v51, 31, v50
	v_add_co_ci_u32_e32 v45, vcc_lo, v88, v45, vcc_lo
	v_lshlrev_b64 v[46:47], 4, v[46:47]
	v_ashrrev_i32_e32 v57, 31, v56
	s_clause 0x1
	global_store_b128 v[48:49], v[40:43], off
	global_store_b128 v[44:45], v[52:55], off
	v_lshlrev_b64 v[40:41], 4, v[50:51]
	v_add_co_u32 v42, vcc_lo, v87, v46
	v_add_nc_u32_e32 v46, s8, v56
	v_lshlrev_b64 v[44:45], 4, v[56:57]
	v_add_co_ci_u32_e32 v43, vcc_lo, v88, v47, vcc_lo
	v_add_co_u32 v40, vcc_lo, v87, v40
	s_delay_alu instid0(VALU_DEP_4)
	v_add_nc_u32_e32 v48, s8, v46
	v_add_co_ci_u32_e32 v41, vcc_lo, v88, v41, vcc_lo
	v_ashrrev_i32_e32 v47, 31, v46
	v_add_co_u32 v44, vcc_lo, v87, v44
	v_add_co_ci_u32_e32 v45, vcc_lo, v88, v45, vcc_lo
	v_ashrrev_i32_e32 v49, 31, v48
	global_store_b128 v[42:43], v[36:39], off
	v_lshlrev_b64 v[36:37], 4, v[46:47]
	s_clause 0x1
	global_store_b128 v[40:41], v[32:35], off
	global_store_b128 v[44:45], v[28:31], off
	v_add_nc_u32_e32 v30, s8, v48
	v_lshlrev_b64 v[28:29], 4, v[48:49]
	v_add_co_u32 v32, vcc_lo, v87, v36
	s_delay_alu instid0(VALU_DEP_3) | instskip(SKIP_1) | instid1(VALU_DEP_4)
	v_add_nc_u32_e32 v34, s8, v30
	v_add_co_ci_u32_e32 v33, vcc_lo, v88, v37, vcc_lo
	v_add_co_u32 v28, vcc_lo, v87, v28
	v_add_co_ci_u32_e32 v29, vcc_lo, v88, v29, vcc_lo
	s_delay_alu instid0(VALU_DEP_4)
	v_add_nc_u32_e32 v36, s8, v34
	v_ashrrev_i32_e32 v31, 31, v30
	s_clause 0x1
	global_store_b128 v[32:33], v[24:27], off
	global_store_b128 v[28:29], v[20:23], off
	v_ashrrev_i32_e32 v35, 31, v34
	v_add_nc_u32_e32 v22, s8, v36
	v_lshlrev_b64 v[24:25], 4, v[30:31]
	v_ashrrev_i32_e32 v37, 31, v36
	s_delay_alu instid0(VALU_DEP_4) | instskip(NEXT) | instid1(VALU_DEP_4)
	v_lshlrev_b64 v[20:21], 4, v[34:35]
	v_add_nc_u32_e32 v28, s8, v22
	v_ashrrev_i32_e32 v23, 31, v22
	v_add_co_u32 v24, vcc_lo, v87, v24
	v_lshlrev_b64 v[26:27], 4, v[36:37]
	s_delay_alu instid0(VALU_DEP_4)
	v_ashrrev_i32_e32 v29, 31, v28
	v_add_co_ci_u32_e32 v25, vcc_lo, v88, v25, vcc_lo
	v_add_co_u32 v20, vcc_lo, v87, v20
	v_lshlrev_b64 v[22:23], 4, v[22:23]
	v_add_co_ci_u32_e32 v21, vcc_lo, v88, v21, vcc_lo
	v_add_co_u32 v26, vcc_lo, v87, v26
	v_lshlrev_b64 v[28:29], 4, v[28:29]
	v_add_co_ci_u32_e32 v27, vcc_lo, v88, v27, vcc_lo
	v_add_co_u32 v22, vcc_lo, v87, v22
	v_add_co_ci_u32_e32 v23, vcc_lo, v88, v23, vcc_lo
	s_delay_alu instid0(VALU_DEP_4)
	v_add_co_u32 v28, vcc_lo, v87, v28
	v_add_co_ci_u32_e32 v29, vcc_lo, v88, v29, vcc_lo
	s_clause 0x4
	global_store_b128 v[24:25], v[16:19], off
	global_store_b128 v[20:21], v[12:15], off
	;; [unrolled: 1-line block ×5, first 2 shown]
.LBB36_402:
	s_nop 0
	s_sendmsg sendmsg(MSG_DEALLOC_VGPRS)
	s_endpgm
	.section	.rodata,"a",@progbits
	.p2align	6, 0x0
	.amdhsa_kernel _ZN9rocsolver6v33100L18getf2_small_kernelILi19E19rocblas_complex_numIdEiiPKPS3_EEvT1_T3_lS7_lPS7_llPT2_S7_S7_S9_l
		.amdhsa_group_segment_fixed_size 0
		.amdhsa_private_segment_fixed_size 0
		.amdhsa_kernarg_size 352
		.amdhsa_user_sgpr_count 14
		.amdhsa_user_sgpr_dispatch_ptr 0
		.amdhsa_user_sgpr_queue_ptr 0
		.amdhsa_user_sgpr_kernarg_segment_ptr 1
		.amdhsa_user_sgpr_dispatch_id 0
		.amdhsa_user_sgpr_private_segment_size 0
		.amdhsa_wavefront_size32 1
		.amdhsa_uses_dynamic_stack 0
		.amdhsa_enable_private_segment 0
		.amdhsa_system_sgpr_workgroup_id_x 1
		.amdhsa_system_sgpr_workgroup_id_y 1
		.amdhsa_system_sgpr_workgroup_id_z 0
		.amdhsa_system_sgpr_workgroup_info 0
		.amdhsa_system_vgpr_workitem_id 1
		.amdhsa_next_free_vgpr 223
		.amdhsa_next_free_sgpr 16
		.amdhsa_reserve_vcc 1
		.amdhsa_float_round_mode_32 0
		.amdhsa_float_round_mode_16_64 0
		.amdhsa_float_denorm_mode_32 3
		.amdhsa_float_denorm_mode_16_64 3
		.amdhsa_dx10_clamp 1
		.amdhsa_ieee_mode 1
		.amdhsa_fp16_overflow 0
		.amdhsa_workgroup_processor_mode 1
		.amdhsa_memory_ordered 1
		.amdhsa_forward_progress 0
		.amdhsa_shared_vgpr_count 0
		.amdhsa_exception_fp_ieee_invalid_op 0
		.amdhsa_exception_fp_denorm_src 0
		.amdhsa_exception_fp_ieee_div_zero 0
		.amdhsa_exception_fp_ieee_overflow 0
		.amdhsa_exception_fp_ieee_underflow 0
		.amdhsa_exception_fp_ieee_inexact 0
		.amdhsa_exception_int_div_zero 0
	.end_amdhsa_kernel
	.section	.text._ZN9rocsolver6v33100L18getf2_small_kernelILi19E19rocblas_complex_numIdEiiPKPS3_EEvT1_T3_lS7_lPS7_llPT2_S7_S7_S9_l,"axG",@progbits,_ZN9rocsolver6v33100L18getf2_small_kernelILi19E19rocblas_complex_numIdEiiPKPS3_EEvT1_T3_lS7_lPS7_llPT2_S7_S7_S9_l,comdat
.Lfunc_end36:
	.size	_ZN9rocsolver6v33100L18getf2_small_kernelILi19E19rocblas_complex_numIdEiiPKPS3_EEvT1_T3_lS7_lPS7_llPT2_S7_S7_S9_l, .Lfunc_end36-_ZN9rocsolver6v33100L18getf2_small_kernelILi19E19rocblas_complex_numIdEiiPKPS3_EEvT1_T3_lS7_lPS7_llPT2_S7_S7_S9_l
                                        ; -- End function
	.section	.AMDGPU.csdata,"",@progbits
; Kernel info:
; codeLenInByte = 35632
; NumSgprs: 18
; NumVgprs: 223
; ScratchSize: 0
; MemoryBound: 0
; FloatMode: 240
; IeeeMode: 1
; LDSByteSize: 0 bytes/workgroup (compile time only)
; SGPRBlocks: 2
; VGPRBlocks: 27
; NumSGPRsForWavesPerEU: 18
; NumVGPRsForWavesPerEU: 223
; Occupancy: 6
; WaveLimiterHint : 1
; COMPUTE_PGM_RSRC2:SCRATCH_EN: 0
; COMPUTE_PGM_RSRC2:USER_SGPR: 14
; COMPUTE_PGM_RSRC2:TRAP_HANDLER: 0
; COMPUTE_PGM_RSRC2:TGID_X_EN: 1
; COMPUTE_PGM_RSRC2:TGID_Y_EN: 1
; COMPUTE_PGM_RSRC2:TGID_Z_EN: 0
; COMPUTE_PGM_RSRC2:TIDIG_COMP_CNT: 1
	.section	.text._ZN9rocsolver6v33100L23getf2_npvt_small_kernelILi19E19rocblas_complex_numIdEiiPKPS3_EEvT1_T3_lS7_lPT2_S7_S7_,"axG",@progbits,_ZN9rocsolver6v33100L23getf2_npvt_small_kernelILi19E19rocblas_complex_numIdEiiPKPS3_EEvT1_T3_lS7_lPT2_S7_S7_,comdat
	.globl	_ZN9rocsolver6v33100L23getf2_npvt_small_kernelILi19E19rocblas_complex_numIdEiiPKPS3_EEvT1_T3_lS7_lPT2_S7_S7_ ; -- Begin function _ZN9rocsolver6v33100L23getf2_npvt_small_kernelILi19E19rocblas_complex_numIdEiiPKPS3_EEvT1_T3_lS7_lPT2_S7_S7_
	.p2align	8
	.type	_ZN9rocsolver6v33100L23getf2_npvt_small_kernelILi19E19rocblas_complex_numIdEiiPKPS3_EEvT1_T3_lS7_lPT2_S7_S7_,@function
_ZN9rocsolver6v33100L23getf2_npvt_small_kernelILi19E19rocblas_complex_numIdEiiPKPS3_EEvT1_T3_lS7_lPT2_S7_S7_: ; @_ZN9rocsolver6v33100L23getf2_npvt_small_kernelILi19E19rocblas_complex_numIdEiiPKPS3_EEvT1_T3_lS7_lPT2_S7_S7_
; %bb.0:
	s_clause 0x1
	s_load_b32 s2, s[0:1], 0x44
	s_load_b64 s[8:9], s[0:1], 0x30
	v_bfe_u32 v76, v0, 10, 10
	s_waitcnt lgkmcnt(0)
	s_lshr_b32 s10, s2, 16
	s_mov_b32 s2, exec_lo
	s_delay_alu instid0(VALU_DEP_1) | instskip(NEXT) | instid1(VALU_DEP_1)
	v_mad_u64_u32 v[152:153], null, s15, s10, v[76:77]
	v_cmpx_gt_i32_e64 s8, v152
	s_cbranch_execz .LBB37_176
; %bb.1:
	s_clause 0x1
	s_load_b128 s[4:7], s[0:1], 0x8
	s_load_b32 s2, s[0:1], 0x18
	v_ashrrev_i32_e32 v153, 31, v152
	v_and_b32_e32 v255, 0x3ff, v0
	v_lshlrev_b32_e32 v77, 4, v76
	s_mulk_i32 s10, 0x130
	v_mad_u32_u24 v196, 0x130, v76, 0
	v_lshlrev_b64 v[1:2], 3, v[152:153]
	v_lshlrev_b32_e32 v37, 4, v255
	v_add3_u32 v74, 0, s10, v77
	s_waitcnt lgkmcnt(0)
	s_delay_alu instid0(VALU_DEP_3) | instskip(NEXT) | instid1(VALU_DEP_4)
	v_add_co_u32 v1, vcc_lo, s4, v1
	v_add_co_ci_u32_e32 v2, vcc_lo, s5, v2, vcc_lo
	v_add3_u32 v3, s2, s2, v255
	s_lshl_b64 s[4:5], s[6:7], 4
	s_ashr_i32 s3, s2, 31
	global_load_b64 v[1:2], v[1:2], off
	s_lshl_b64 s[6:7], s[2:3], 4
	v_add_nc_u32_e32 v5, s2, v3
	v_ashrrev_i32_e32 v4, 31, v3
	v_cmp_ne_u32_e64 s3, 0, v255
	s_delay_alu instid0(VALU_DEP_3) | instskip(SKIP_1) | instid1(VALU_DEP_4)
	v_add_nc_u32_e32 v7, s2, v5
	v_ashrrev_i32_e32 v6, 31, v5
	v_lshlrev_b64 v[3:4], 4, v[3:4]
	s_delay_alu instid0(VALU_DEP_3) | instskip(SKIP_1) | instid1(VALU_DEP_4)
	v_add_nc_u32_e32 v9, s2, v7
	v_ashrrev_i32_e32 v8, 31, v7
	v_lshlrev_b64 v[5:6], 4, v[5:6]
	;; [unrolled: 4-line block ×15, first 2 shown]
	v_cmp_eq_u32_e64 s2, 0, v255
	s_delay_alu instid0(VALU_DEP_4) | instskip(NEXT) | instid1(VALU_DEP_4)
	v_ashrrev_i32_e32 v36, 31, v35
	v_lshlrev_b64 v[33:34], 4, v[33:34]
	s_waitcnt vmcnt(0)
	v_add_co_u32 v38, vcc_lo, v1, s4
	v_add_co_ci_u32_e32 v2, vcc_lo, s5, v2, vcc_lo
	v_lshlrev_b64 v[0:1], 4, v[35:36]
	s_delay_alu instid0(VALU_DEP_3) | instskip(NEXT) | instid1(VALU_DEP_3)
	v_add_co_u32 v72, vcc_lo, v38, v37
	v_add_co_ci_u32_e32 v73, vcc_lo, 0, v2, vcc_lo
	v_add_co_u32 v194, vcc_lo, v38, v3
	v_add_co_ci_u32_e32 v195, vcc_lo, v2, v4, vcc_lo
	;; [unrolled: 2-line block ×17, first 2 shown]
	v_add_co_u32 v239, vcc_lo, v38, v0
	s_clause 0x10
	global_load_b128 v[245:248], v[194:195], off
	global_load_b128 v[249:252], v[188:189], off
	;; [unrolled: 1-line block ×17, first 2 shown]
	v_add_co_ci_u32_e32 v240, vcc_lo, v2, v1, vcc_lo
	v_add_co_u32 v0, vcc_lo, v72, s6
	v_add_co_ci_u32_e32 v1, vcc_lo, s7, v73, vcc_lo
	scratch_store_b64 off, v[0:1], off      ; 8-byte Folded Spill
	s_clause 0x1
	global_load_b128 v[241:244], v[0:1], off
	global_load_b128 v[0:3], v[239:240], off
	s_and_saveexec_b32 s5, s2
	s_cbranch_execz .LBB37_8
; %bb.2:
	s_waitcnt vmcnt(2)
	ds_store_2addr_b64 v74, v[60:61], v[62:63] offset1:1
	s_waitcnt vmcnt(1)
	ds_store_2addr_b64 v196, v[241:242], v[243:244] offset0:2 offset1:3
	ds_store_2addr_b64 v196, v[245:246], v[247:248] offset0:4 offset1:5
	;; [unrolled: 1-line block ×17, first 2 shown]
	s_waitcnt vmcnt(0)
	ds_store_2addr_b64 v196, v[0:1], v[2:3] offset0:36 offset1:37
	ds_load_2addr_b64 v[76:79], v74 offset1:1
	s_waitcnt lgkmcnt(0)
	v_cmp_neq_f64_e32 vcc_lo, 0, v[76:77]
	v_cmp_neq_f64_e64 s4, 0, v[78:79]
	s_delay_alu instid0(VALU_DEP_1) | instskip(NEXT) | instid1(SALU_CYCLE_1)
	s_or_b32 s4, vcc_lo, s4
	s_and_b32 exec_lo, exec_lo, s4
	s_cbranch_execz .LBB37_8
; %bb.3:
	v_cmp_gt_f64_e32 vcc_lo, 0, v[76:77]
	v_cmp_gt_f64_e64 s4, 0, v[78:79]
	v_xor_b32_e32 v80, 0x80000000, v77
	v_xor_b32_e32 v82, 0x80000000, v79
                                        ; implicit-def: $vgpr84_vgpr85
	s_delay_alu instid0(VALU_DEP_2) | instskip(NEXT) | instid1(VALU_DEP_2)
	v_cndmask_b32_e32 v81, v77, v80, vcc_lo
	v_cndmask_b32_e64 v83, v79, v82, s4
	v_cndmask_b32_e32 v80, v76, v76, vcc_lo
	v_cndmask_b32_e64 v82, v78, v78, s4
	s_mov_b32 s4, exec_lo
	s_delay_alu instid0(VALU_DEP_1)
	v_cmpx_ngt_f64_e32 v[80:81], v[82:83]
	s_xor_b32 s4, exec_lo, s4
                                        ; implicit-def: $vgpr80_vgpr81_vgpr82_vgpr83
	s_cbranch_execz .LBB37_5
; %bb.4:
	v_div_scale_f64 v[80:81], null, v[78:79], v[78:79], v[76:77]
	v_div_scale_f64 v[86:87], vcc_lo, v[76:77], v[78:79], v[76:77]
	s_delay_alu instid0(VALU_DEP_2) | instskip(SKIP_2) | instid1(VALU_DEP_1)
	v_rcp_f64_e32 v[82:83], v[80:81]
	s_waitcnt_depctr 0xfff
	v_fma_f64 v[84:85], -v[80:81], v[82:83], 1.0
	v_fma_f64 v[82:83], v[82:83], v[84:85], v[82:83]
	s_delay_alu instid0(VALU_DEP_1) | instskip(NEXT) | instid1(VALU_DEP_1)
	v_fma_f64 v[84:85], -v[80:81], v[82:83], 1.0
	v_fma_f64 v[82:83], v[82:83], v[84:85], v[82:83]
	s_delay_alu instid0(VALU_DEP_1) | instskip(NEXT) | instid1(VALU_DEP_1)
	v_mul_f64 v[84:85], v[86:87], v[82:83]
	v_fma_f64 v[80:81], -v[80:81], v[84:85], v[86:87]
	s_delay_alu instid0(VALU_DEP_1) | instskip(NEXT) | instid1(VALU_DEP_1)
	v_div_fmas_f64 v[80:81], v[80:81], v[82:83], v[84:85]
	v_div_fixup_f64 v[80:81], v[80:81], v[78:79], v[76:77]
	s_delay_alu instid0(VALU_DEP_1) | instskip(NEXT) | instid1(VALU_DEP_1)
	v_fma_f64 v[76:77], v[76:77], v[80:81], v[78:79]
	v_div_scale_f64 v[78:79], null, v[76:77], v[76:77], 1.0
	s_delay_alu instid0(VALU_DEP_1) | instskip(SKIP_2) | instid1(VALU_DEP_1)
	v_rcp_f64_e32 v[82:83], v[78:79]
	s_waitcnt_depctr 0xfff
	v_fma_f64 v[84:85], -v[78:79], v[82:83], 1.0
	v_fma_f64 v[82:83], v[82:83], v[84:85], v[82:83]
	s_delay_alu instid0(VALU_DEP_1) | instskip(NEXT) | instid1(VALU_DEP_1)
	v_fma_f64 v[84:85], -v[78:79], v[82:83], 1.0
	v_fma_f64 v[82:83], v[82:83], v[84:85], v[82:83]
	v_div_scale_f64 v[84:85], vcc_lo, 1.0, v[76:77], 1.0
	s_delay_alu instid0(VALU_DEP_1) | instskip(NEXT) | instid1(VALU_DEP_1)
	v_mul_f64 v[86:87], v[84:85], v[82:83]
	v_fma_f64 v[78:79], -v[78:79], v[86:87], v[84:85]
	s_delay_alu instid0(VALU_DEP_1) | instskip(NEXT) | instid1(VALU_DEP_1)
	v_div_fmas_f64 v[78:79], v[78:79], v[82:83], v[86:87]
	v_div_fixup_f64 v[82:83], v[78:79], v[76:77], 1.0
                                        ; implicit-def: $vgpr76_vgpr77
	s_delay_alu instid0(VALU_DEP_1)
	v_mul_f64 v[84:85], v[80:81], v[82:83]
	v_xor_b32_e32 v83, 0x80000000, v83
.LBB37_5:
	s_and_not1_saveexec_b32 s4, s4
	s_cbranch_execz .LBB37_7
; %bb.6:
	v_div_scale_f64 v[80:81], null, v[76:77], v[76:77], v[78:79]
	v_div_scale_f64 v[86:87], vcc_lo, v[78:79], v[76:77], v[78:79]
	s_delay_alu instid0(VALU_DEP_2) | instskip(SKIP_2) | instid1(VALU_DEP_1)
	v_rcp_f64_e32 v[82:83], v[80:81]
	s_waitcnt_depctr 0xfff
	v_fma_f64 v[84:85], -v[80:81], v[82:83], 1.0
	v_fma_f64 v[82:83], v[82:83], v[84:85], v[82:83]
	s_delay_alu instid0(VALU_DEP_1) | instskip(NEXT) | instid1(VALU_DEP_1)
	v_fma_f64 v[84:85], -v[80:81], v[82:83], 1.0
	v_fma_f64 v[82:83], v[82:83], v[84:85], v[82:83]
	s_delay_alu instid0(VALU_DEP_1) | instskip(NEXT) | instid1(VALU_DEP_1)
	v_mul_f64 v[84:85], v[86:87], v[82:83]
	v_fma_f64 v[80:81], -v[80:81], v[84:85], v[86:87]
	s_delay_alu instid0(VALU_DEP_1) | instskip(NEXT) | instid1(VALU_DEP_1)
	v_div_fmas_f64 v[80:81], v[80:81], v[82:83], v[84:85]
	v_div_fixup_f64 v[80:81], v[80:81], v[76:77], v[78:79]
	s_delay_alu instid0(VALU_DEP_1) | instskip(NEXT) | instid1(VALU_DEP_1)
	v_fma_f64 v[76:77], v[78:79], v[80:81], v[76:77]
	v_div_scale_f64 v[78:79], null, v[76:77], v[76:77], 1.0
	s_delay_alu instid0(VALU_DEP_1) | instskip(SKIP_2) | instid1(VALU_DEP_1)
	v_rcp_f64_e32 v[82:83], v[78:79]
	s_waitcnt_depctr 0xfff
	v_fma_f64 v[84:85], -v[78:79], v[82:83], 1.0
	v_fma_f64 v[82:83], v[82:83], v[84:85], v[82:83]
	s_delay_alu instid0(VALU_DEP_1) | instskip(NEXT) | instid1(VALU_DEP_1)
	v_fma_f64 v[84:85], -v[78:79], v[82:83], 1.0
	v_fma_f64 v[82:83], v[82:83], v[84:85], v[82:83]
	v_div_scale_f64 v[84:85], vcc_lo, 1.0, v[76:77], 1.0
	s_delay_alu instid0(VALU_DEP_1) | instskip(NEXT) | instid1(VALU_DEP_1)
	v_mul_f64 v[86:87], v[84:85], v[82:83]
	v_fma_f64 v[78:79], -v[78:79], v[86:87], v[84:85]
	s_delay_alu instid0(VALU_DEP_1) | instskip(NEXT) | instid1(VALU_DEP_1)
	v_div_fmas_f64 v[78:79], v[78:79], v[82:83], v[86:87]
	v_div_fixup_f64 v[84:85], v[78:79], v[76:77], 1.0
	s_delay_alu instid0(VALU_DEP_1)
	v_mul_f64 v[82:83], v[80:81], -v[84:85]
.LBB37_7:
	s_or_b32 exec_lo, exec_lo, s4
	ds_store_2addr_b64 v74, v[84:85], v[82:83] offset1:1
.LBB37_8:
	s_or_b32 exec_lo, exec_lo, s5
	s_waitcnt vmcnt(0) lgkmcnt(0)
	s_waitcnt_vscnt null, 0x0
	s_barrier
	buffer_gl0_inv
	ds_load_2addr_b64 v[64:67], v74 offset1:1
	s_waitcnt lgkmcnt(0)
	scratch_store_b128 off, v[64:67], off offset:8 ; 16-byte Folded Spill
	s_and_saveexec_b32 s4, s3
	s_cbranch_execz .LBB37_10
; %bb.9:
	scratch_load_b128 v[64:67], off, off offset:8 ; 16-byte Folded Reload
	s_waitcnt vmcnt(0)
	v_mul_f64 v[80:81], v[64:65], v[62:63]
	v_mul_f64 v[192:193], v[66:67], v[62:63]
	s_delay_alu instid0(VALU_DEP_2)
	v_fma_f64 v[62:63], v[66:67], v[60:61], v[80:81]
	ds_load_2addr_b64 v[80:83], v196 offset0:2 offset1:3
	ds_load_2addr_b64 v[84:87], v196 offset0:4 offset1:5
	;; [unrolled: 1-line block ×18, first 2 shown]
	s_waitcnt lgkmcnt(4)
	v_mul_f64 v[68:69], v[132:133], v[62:63]
	scratch_store_b64 off, v[72:73], off offset:24 ; 8-byte Folded Spill
	v_fma_f64 v[72:73], v[64:65], v[60:61], -v[192:193]
	v_mul_f64 v[60:61], v[126:127], v[62:63]
	v_mul_f64 v[192:193], v[82:83], v[62:63]
	;; [unrolled: 1-line block ×26, first 2 shown]
	s_waitcnt lgkmcnt(3)
	v_mul_f64 v[253:254], v[136:137], v[62:63]
	s_waitcnt lgkmcnt(2)
	v_mul_f64 v[76:77], v[142:143], v[62:63]
	v_mul_f64 v[78:79], v[140:141], v[62:63]
	s_waitcnt lgkmcnt(1)
	v_mul_f64 v[154:155], v[146:147], v[62:63]
	v_mul_f64 v[156:157], v[144:145], v[62:63]
	s_waitcnt lgkmcnt(0)
	v_mul_f64 v[158:159], v[150:151], v[62:63]
	v_mul_f64 v[160:161], v[148:149], v[62:63]
	scratch_store_b64 off, v[68:69], off offset:32 ; 8-byte Folded Spill
	v_mul_f64 v[68:69], v[138:139], v[62:63]
	scratch_store_b64 off, v[60:61], off offset:40 ; 8-byte Folded Spill
	v_mul_f64 v[60:61], v[134:135], v[62:63]
	v_fma_f64 v[80:81], v[80:81], v[72:73], -v[192:193]
	scratch_load_b64 v[192:193], off, off offset:40 ; 8-byte Folded Reload
	v_fma_f64 v[82:83], v[82:83], v[72:73], v[197:198]
	v_fma_f64 v[84:85], v[84:85], v[72:73], -v[199:200]
	v_fma_f64 v[86:87], v[86:87], v[72:73], v[201:202]
	v_fma_f64 v[88:89], v[88:89], v[72:73], -v[203:204]
	;; [unrolled: 2-line block ×10, first 2 shown]
	v_fma_f64 v[122:123], v[122:123], v[72:73], v[237:238]
	v_fma_f64 v[126:127], v[126:127], v[72:73], v[70:71]
	v_fma_f64 v[128:129], v[128:129], v[72:73], -v[64:65]
	v_fma_f64 v[130:131], v[130:131], v[72:73], v[66:67]
	v_fma_f64 v[138:139], v[138:139], v[72:73], v[253:254]
	v_fma_f64 v[76:77], v[140:141], v[72:73], -v[76:77]
	v_fma_f64 v[78:79], v[142:143], v[72:73], v[78:79]
	v_fma_f64 v[140:141], v[144:145], v[72:73], -v[154:155]
	;; [unrolled: 2-line block ×4, first 2 shown]
	v_fma_f64 v[132:133], v[132:133], v[72:73], -v[60:61]
	scratch_load_b64 v[60:61], off, off offset:32 ; 8-byte Folded Reload
	v_add_f64 v[241:242], v[241:242], -v[80:81]
	v_add_f64 v[243:244], v[243:244], -v[82:83]
	;; [unrolled: 1-line block ×34, first 2 shown]
	s_waitcnt vmcnt(1)
	v_fma_f64 v[124:125], v[124:125], v[72:73], -v[192:193]
	s_waitcnt vmcnt(0)
	v_fma_f64 v[134:135], v[134:135], v[72:73], v[60:61]
	v_dual_mov_b32 v60, v72 :: v_dual_mov_b32 v61, v73
	scratch_load_b64 v[72:73], off, off offset:24 ; 8-byte Folded Reload
	v_add_f64 v[24:25], v[24:25], -v[124:125]
	v_add_f64 v[18:19], v[18:19], -v[134:135]
.LBB37_10:
	s_or_b32 exec_lo, exec_lo, s4
	s_delay_alu instid0(SALU_CYCLE_1)
	s_mov_b32 s4, exec_lo
	s_waitcnt vmcnt(0)
	s_waitcnt_vscnt null, 0x0
	s_barrier
	buffer_gl0_inv
	v_cmpx_eq_u32_e32 1, v255
	s_cbranch_execz .LBB37_17
; %bb.11:
	ds_store_2addr_b64 v74, v[241:242], v[243:244] offset1:1
	ds_store_2addr_b64 v196, v[245:246], v[247:248] offset0:4 offset1:5
	ds_store_2addr_b64 v196, v[249:250], v[251:252] offset0:6 offset1:7
	;; [unrolled: 1-line block ×17, first 2 shown]
	ds_load_2addr_b64 v[80:83], v74 offset1:1
	s_waitcnt lgkmcnt(0)
	v_cmp_neq_f64_e32 vcc_lo, 0, v[80:81]
	v_cmp_neq_f64_e64 s3, 0, v[82:83]
	s_delay_alu instid0(VALU_DEP_1) | instskip(NEXT) | instid1(SALU_CYCLE_1)
	s_or_b32 s3, vcc_lo, s3
	s_and_b32 exec_lo, exec_lo, s3
	s_cbranch_execz .LBB37_17
; %bb.12:
	v_cmp_gt_f64_e32 vcc_lo, 0, v[80:81]
	v_cmp_gt_f64_e64 s3, 0, v[82:83]
	v_xor_b32_e32 v76, 0x80000000, v81
	v_xor_b32_e32 v78, 0x80000000, v83
                                        ; implicit-def: $vgpr88_vgpr89
	s_delay_alu instid0(VALU_DEP_2) | instskip(NEXT) | instid1(VALU_DEP_2)
	v_cndmask_b32_e32 v77, v81, v76, vcc_lo
	v_cndmask_b32_e64 v79, v83, v78, s3
	v_cndmask_b32_e32 v76, v80, v80, vcc_lo
	v_cndmask_b32_e64 v78, v82, v82, s3
	s_mov_b32 s3, exec_lo
	s_delay_alu instid0(VALU_DEP_1)
	v_cmpx_ngt_f64_e32 v[76:77], v[78:79]
	s_xor_b32 s3, exec_lo, s3
                                        ; implicit-def: $vgpr84_vgpr85_vgpr86_vgpr87
	s_cbranch_execz .LBB37_14
; %bb.13:
	v_div_scale_f64 v[76:77], null, v[82:83], v[82:83], v[80:81]
	v_div_scale_f64 v[86:87], vcc_lo, v[80:81], v[82:83], v[80:81]
	s_delay_alu instid0(VALU_DEP_2) | instskip(SKIP_2) | instid1(VALU_DEP_1)
	v_rcp_f64_e32 v[78:79], v[76:77]
	s_waitcnt_depctr 0xfff
	v_fma_f64 v[84:85], -v[76:77], v[78:79], 1.0
	v_fma_f64 v[78:79], v[78:79], v[84:85], v[78:79]
	s_delay_alu instid0(VALU_DEP_1) | instskip(NEXT) | instid1(VALU_DEP_1)
	v_fma_f64 v[84:85], -v[76:77], v[78:79], 1.0
	v_fma_f64 v[78:79], v[78:79], v[84:85], v[78:79]
	s_delay_alu instid0(VALU_DEP_1) | instskip(NEXT) | instid1(VALU_DEP_1)
	v_mul_f64 v[84:85], v[86:87], v[78:79]
	v_fma_f64 v[76:77], -v[76:77], v[84:85], v[86:87]
	s_delay_alu instid0(VALU_DEP_1) | instskip(NEXT) | instid1(VALU_DEP_1)
	v_div_fmas_f64 v[76:77], v[76:77], v[78:79], v[84:85]
	v_div_fixup_f64 v[76:77], v[76:77], v[82:83], v[80:81]
	s_delay_alu instid0(VALU_DEP_1) | instskip(NEXT) | instid1(VALU_DEP_1)
	v_fma_f64 v[78:79], v[80:81], v[76:77], v[82:83]
	v_div_scale_f64 v[80:81], null, v[78:79], v[78:79], 1.0
	s_delay_alu instid0(VALU_DEP_1) | instskip(SKIP_2) | instid1(VALU_DEP_1)
	v_rcp_f64_e32 v[82:83], v[80:81]
	s_waitcnt_depctr 0xfff
	v_fma_f64 v[84:85], -v[80:81], v[82:83], 1.0
	v_fma_f64 v[82:83], v[82:83], v[84:85], v[82:83]
	s_delay_alu instid0(VALU_DEP_1) | instskip(NEXT) | instid1(VALU_DEP_1)
	v_fma_f64 v[84:85], -v[80:81], v[82:83], 1.0
	v_fma_f64 v[82:83], v[82:83], v[84:85], v[82:83]
	v_div_scale_f64 v[84:85], vcc_lo, 1.0, v[78:79], 1.0
	s_delay_alu instid0(VALU_DEP_1) | instskip(NEXT) | instid1(VALU_DEP_1)
	v_mul_f64 v[86:87], v[84:85], v[82:83]
	v_fma_f64 v[80:81], -v[80:81], v[86:87], v[84:85]
	s_delay_alu instid0(VALU_DEP_1) | instskip(NEXT) | instid1(VALU_DEP_1)
	v_div_fmas_f64 v[80:81], v[80:81], v[82:83], v[86:87]
	v_div_fixup_f64 v[86:87], v[80:81], v[78:79], 1.0
                                        ; implicit-def: $vgpr80_vgpr81
	s_delay_alu instid0(VALU_DEP_1)
	v_mul_f64 v[88:89], v[76:77], v[86:87]
	v_xor_b32_e32 v87, 0x80000000, v87
.LBB37_14:
	s_and_not1_saveexec_b32 s3, s3
	s_cbranch_execz .LBB37_16
; %bb.15:
	v_div_scale_f64 v[76:77], null, v[80:81], v[80:81], v[82:83]
	v_div_scale_f64 v[86:87], vcc_lo, v[82:83], v[80:81], v[82:83]
	s_delay_alu instid0(VALU_DEP_2) | instskip(SKIP_2) | instid1(VALU_DEP_1)
	v_rcp_f64_e32 v[78:79], v[76:77]
	s_waitcnt_depctr 0xfff
	v_fma_f64 v[84:85], -v[76:77], v[78:79], 1.0
	v_fma_f64 v[78:79], v[78:79], v[84:85], v[78:79]
	s_delay_alu instid0(VALU_DEP_1) | instskip(NEXT) | instid1(VALU_DEP_1)
	v_fma_f64 v[84:85], -v[76:77], v[78:79], 1.0
	v_fma_f64 v[78:79], v[78:79], v[84:85], v[78:79]
	s_delay_alu instid0(VALU_DEP_1) | instskip(NEXT) | instid1(VALU_DEP_1)
	v_mul_f64 v[84:85], v[86:87], v[78:79]
	v_fma_f64 v[76:77], -v[76:77], v[84:85], v[86:87]
	s_delay_alu instid0(VALU_DEP_1) | instskip(NEXT) | instid1(VALU_DEP_1)
	v_div_fmas_f64 v[76:77], v[76:77], v[78:79], v[84:85]
	v_div_fixup_f64 v[76:77], v[76:77], v[80:81], v[82:83]
	s_delay_alu instid0(VALU_DEP_1) | instskip(NEXT) | instid1(VALU_DEP_1)
	v_fma_f64 v[78:79], v[82:83], v[76:77], v[80:81]
	v_div_scale_f64 v[80:81], null, v[78:79], v[78:79], 1.0
	s_delay_alu instid0(VALU_DEP_1) | instskip(SKIP_2) | instid1(VALU_DEP_1)
	v_rcp_f64_e32 v[82:83], v[80:81]
	s_waitcnt_depctr 0xfff
	v_fma_f64 v[84:85], -v[80:81], v[82:83], 1.0
	v_fma_f64 v[82:83], v[82:83], v[84:85], v[82:83]
	s_delay_alu instid0(VALU_DEP_1) | instskip(NEXT) | instid1(VALU_DEP_1)
	v_fma_f64 v[84:85], -v[80:81], v[82:83], 1.0
	v_fma_f64 v[82:83], v[82:83], v[84:85], v[82:83]
	v_div_scale_f64 v[84:85], vcc_lo, 1.0, v[78:79], 1.0
	s_delay_alu instid0(VALU_DEP_1) | instskip(NEXT) | instid1(VALU_DEP_1)
	v_mul_f64 v[86:87], v[84:85], v[82:83]
	v_fma_f64 v[80:81], -v[80:81], v[86:87], v[84:85]
	s_delay_alu instid0(VALU_DEP_1) | instskip(NEXT) | instid1(VALU_DEP_1)
	v_div_fmas_f64 v[80:81], v[80:81], v[82:83], v[86:87]
	v_div_fixup_f64 v[88:89], v[80:81], v[78:79], 1.0
	s_delay_alu instid0(VALU_DEP_1)
	v_mul_f64 v[86:87], v[76:77], -v[88:89]
.LBB37_16:
	s_or_b32 exec_lo, exec_lo, s3
	ds_store_2addr_b64 v74, v[88:89], v[86:87] offset1:1
.LBB37_17:
	s_or_b32 exec_lo, exec_lo, s4
	s_waitcnt lgkmcnt(0)
	s_barrier
	buffer_gl0_inv
	ds_load_2addr_b64 v[80:83], v74 offset1:1
	s_mov_b32 s3, exec_lo
	v_cmpx_lt_u32_e32 1, v255
	s_cbranch_execz .LBB37_19
; %bb.18:
	s_waitcnt lgkmcnt(0)
	v_mul_f64 v[70:71], v[80:81], v[243:244]
	v_mul_f64 v[76:77], v[82:83], v[243:244]
	ds_load_2addr_b64 v[84:87], v196 offset0:4 offset1:5
	ds_load_2addr_b64 v[88:91], v196 offset0:6 offset1:7
	v_fma_f64 v[243:244], v[82:83], v[241:242], v[70:71]
	v_fma_f64 v[76:77], v[80:81], v[241:242], -v[76:77]
	s_waitcnt lgkmcnt(1)
	s_delay_alu instid0(VALU_DEP_2) | instskip(SKIP_1) | instid1(VALU_DEP_3)
	v_mul_f64 v[68:69], v[86:87], v[243:244]
	v_mul_f64 v[78:79], v[84:85], v[243:244]
	v_dual_mov_b32 v242, v77 :: v_dual_mov_b32 v241, v76
	s_delay_alu instid0(VALU_DEP_3) | instskip(SKIP_2) | instid1(VALU_DEP_4)
	v_fma_f64 v[68:69], v[84:85], v[76:77], -v[68:69]
	s_waitcnt lgkmcnt(0)
	v_mul_f64 v[84:85], v[90:91], v[243:244]
	v_fma_f64 v[78:79], v[86:87], v[76:77], v[78:79]
	s_delay_alu instid0(VALU_DEP_3) | instskip(NEXT) | instid1(VALU_DEP_3)
	v_add_f64 v[245:246], v[245:246], -v[68:69]
	v_fma_f64 v[92:93], v[88:89], v[76:77], -v[84:85]
	v_mul_f64 v[84:85], v[88:89], v[243:244]
	s_delay_alu instid0(VALU_DEP_4) | instskip(NEXT) | instid1(VALU_DEP_3)
	v_add_f64 v[247:248], v[247:248], -v[78:79]
	v_add_f64 v[249:250], v[249:250], -v[92:93]
	s_delay_alu instid0(VALU_DEP_3)
	v_fma_f64 v[94:95], v[90:91], v[76:77], v[84:85]
	ds_load_2addr_b64 v[84:87], v196 offset0:8 offset1:9
	ds_load_2addr_b64 v[88:91], v196 offset0:10 offset1:11
	s_waitcnt lgkmcnt(1)
	v_mul_f64 v[96:97], v[86:87], v[243:244]
	v_add_f64 v[251:252], v[251:252], -v[94:95]
	s_delay_alu instid0(VALU_DEP_2) | instskip(SKIP_1) | instid1(VALU_DEP_2)
	v_fma_f64 v[96:97], v[84:85], v[76:77], -v[96:97]
	v_mul_f64 v[84:85], v[84:85], v[243:244]
	v_add_f64 v[56:57], v[56:57], -v[96:97]
	s_delay_alu instid0(VALU_DEP_2) | instskip(SKIP_2) | instid1(VALU_DEP_2)
	v_fma_f64 v[98:99], v[86:87], v[76:77], v[84:85]
	s_waitcnt lgkmcnt(0)
	v_mul_f64 v[84:85], v[90:91], v[243:244]
	v_add_f64 v[58:59], v[58:59], -v[98:99]
	s_delay_alu instid0(VALU_DEP_2) | instskip(SKIP_1) | instid1(VALU_DEP_2)
	v_fma_f64 v[100:101], v[88:89], v[76:77], -v[84:85]
	v_mul_f64 v[84:85], v[88:89], v[243:244]
	v_add_f64 v[52:53], v[52:53], -v[100:101]
	s_delay_alu instid0(VALU_DEP_2)
	v_fma_f64 v[102:103], v[90:91], v[76:77], v[84:85]
	ds_load_2addr_b64 v[84:87], v196 offset0:12 offset1:13
	ds_load_2addr_b64 v[88:91], v196 offset0:14 offset1:15
	s_waitcnt lgkmcnt(1)
	v_mul_f64 v[104:105], v[86:87], v[243:244]
	v_add_f64 v[54:55], v[54:55], -v[102:103]
	s_delay_alu instid0(VALU_DEP_2) | instskip(SKIP_1) | instid1(VALU_DEP_2)
	v_fma_f64 v[104:105], v[84:85], v[76:77], -v[104:105]
	v_mul_f64 v[84:85], v[84:85], v[243:244]
	v_add_f64 v[48:49], v[48:49], -v[104:105]
	s_delay_alu instid0(VALU_DEP_2) | instskip(SKIP_2) | instid1(VALU_DEP_2)
	v_fma_f64 v[106:107], v[86:87], v[76:77], v[84:85]
	s_waitcnt lgkmcnt(0)
	v_mul_f64 v[84:85], v[90:91], v[243:244]
	v_add_f64 v[50:51], v[50:51], -v[106:107]
	s_delay_alu instid0(VALU_DEP_2) | instskip(SKIP_1) | instid1(VALU_DEP_2)
	v_fma_f64 v[108:109], v[88:89], v[76:77], -v[84:85]
	v_mul_f64 v[84:85], v[88:89], v[243:244]
	v_add_f64 v[44:45], v[44:45], -v[108:109]
	s_delay_alu instid0(VALU_DEP_2)
	;; [unrolled: 20-line block ×6, first 2 shown]
	v_fma_f64 v[142:143], v[90:91], v[76:77], v[84:85]
	ds_load_2addr_b64 v[84:87], v196 offset0:32 offset1:33
	ds_load_2addr_b64 v[88:91], v196 offset0:34 offset1:35
	s_waitcnt lgkmcnt(1)
	v_mul_f64 v[144:145], v[86:87], v[243:244]
	v_add_f64 v[14:15], v[14:15], -v[142:143]
	s_delay_alu instid0(VALU_DEP_2) | instskip(SKIP_1) | instid1(VALU_DEP_2)
	v_fma_f64 v[144:145], v[84:85], v[76:77], -v[144:145]
	v_mul_f64 v[84:85], v[84:85], v[243:244]
	v_add_f64 v[8:9], v[8:9], -v[144:145]
	s_delay_alu instid0(VALU_DEP_2) | instskip(SKIP_2) | instid1(VALU_DEP_2)
	v_fma_f64 v[146:147], v[86:87], v[76:77], v[84:85]
	s_waitcnt lgkmcnt(0)
	v_mul_f64 v[84:85], v[90:91], v[243:244]
	v_add_f64 v[10:11], v[10:11], -v[146:147]
	s_delay_alu instid0(VALU_DEP_2) | instskip(SKIP_1) | instid1(VALU_DEP_2)
	v_fma_f64 v[148:149], v[88:89], v[76:77], -v[84:85]
	v_mul_f64 v[84:85], v[88:89], v[243:244]
	v_add_f64 v[4:5], v[4:5], -v[148:149]
	s_delay_alu instid0(VALU_DEP_2) | instskip(SKIP_4) | instid1(VALU_DEP_2)
	v_fma_f64 v[88:89], v[90:91], v[76:77], v[84:85]
	ds_load_2addr_b64 v[84:87], v196 offset0:36 offset1:37
	s_waitcnt lgkmcnt(0)
	v_mul_f64 v[90:91], v[86:87], v[243:244]
	v_add_f64 v[6:7], v[6:7], -v[88:89]
	v_fma_f64 v[90:91], v[84:85], v[76:77], -v[90:91]
	v_mul_f64 v[84:85], v[84:85], v[243:244]
	s_delay_alu instid0(VALU_DEP_2) | instskip(NEXT) | instid1(VALU_DEP_2)
	v_add_f64 v[0:1], v[0:1], -v[90:91]
	v_fma_f64 v[84:85], v[86:87], v[76:77], v[84:85]
	s_delay_alu instid0(VALU_DEP_1)
	v_add_f64 v[2:3], v[2:3], -v[84:85]
.LBB37_19:
	s_or_b32 exec_lo, exec_lo, s3
	s_delay_alu instid0(SALU_CYCLE_1)
	s_mov_b32 s4, exec_lo
	s_waitcnt lgkmcnt(0)
	s_barrier
	buffer_gl0_inv
	v_cmpx_eq_u32_e32 2, v255
	s_cbranch_execz .LBB37_26
; %bb.20:
	ds_store_2addr_b64 v74, v[245:246], v[247:248] offset1:1
	ds_store_2addr_b64 v196, v[249:250], v[251:252] offset0:6 offset1:7
	ds_store_2addr_b64 v196, v[56:57], v[58:59] offset0:8 offset1:9
	;; [unrolled: 1-line block ×16, first 2 shown]
	ds_load_2addr_b64 v[84:87], v74 offset1:1
	s_waitcnt lgkmcnt(0)
	v_cmp_neq_f64_e32 vcc_lo, 0, v[84:85]
	v_cmp_neq_f64_e64 s3, 0, v[86:87]
	s_delay_alu instid0(VALU_DEP_1) | instskip(NEXT) | instid1(SALU_CYCLE_1)
	s_or_b32 s3, vcc_lo, s3
	s_and_b32 exec_lo, exec_lo, s3
	s_cbranch_execz .LBB37_26
; %bb.21:
	v_cmp_gt_f64_e32 vcc_lo, 0, v[84:85]
	v_cmp_gt_f64_e64 s3, 0, v[86:87]
	v_xor_b32_e32 v76, 0x80000000, v85
	v_xor_b32_e32 v78, 0x80000000, v87
                                        ; implicit-def: $vgpr92_vgpr93
	s_delay_alu instid0(VALU_DEP_2) | instskip(NEXT) | instid1(VALU_DEP_2)
	v_cndmask_b32_e32 v77, v85, v76, vcc_lo
	v_cndmask_b32_e64 v79, v87, v78, s3
	v_cndmask_b32_e32 v76, v84, v84, vcc_lo
	v_cndmask_b32_e64 v78, v86, v86, s3
	s_mov_b32 s3, exec_lo
	s_delay_alu instid0(VALU_DEP_1)
	v_cmpx_ngt_f64_e32 v[76:77], v[78:79]
	s_xor_b32 s3, exec_lo, s3
                                        ; implicit-def: $vgpr88_vgpr89_vgpr90_vgpr91
	s_cbranch_execz .LBB37_23
; %bb.22:
	v_div_scale_f64 v[76:77], null, v[86:87], v[86:87], v[84:85]
	v_div_scale_f64 v[90:91], vcc_lo, v[84:85], v[86:87], v[84:85]
	s_delay_alu instid0(VALU_DEP_2) | instskip(SKIP_2) | instid1(VALU_DEP_1)
	v_rcp_f64_e32 v[78:79], v[76:77]
	s_waitcnt_depctr 0xfff
	v_fma_f64 v[88:89], -v[76:77], v[78:79], 1.0
	v_fma_f64 v[78:79], v[78:79], v[88:89], v[78:79]
	s_delay_alu instid0(VALU_DEP_1) | instskip(NEXT) | instid1(VALU_DEP_1)
	v_fma_f64 v[88:89], -v[76:77], v[78:79], 1.0
	v_fma_f64 v[78:79], v[78:79], v[88:89], v[78:79]
	s_delay_alu instid0(VALU_DEP_1) | instskip(NEXT) | instid1(VALU_DEP_1)
	v_mul_f64 v[88:89], v[90:91], v[78:79]
	v_fma_f64 v[76:77], -v[76:77], v[88:89], v[90:91]
	s_delay_alu instid0(VALU_DEP_1) | instskip(NEXT) | instid1(VALU_DEP_1)
	v_div_fmas_f64 v[76:77], v[76:77], v[78:79], v[88:89]
	v_div_fixup_f64 v[76:77], v[76:77], v[86:87], v[84:85]
	s_delay_alu instid0(VALU_DEP_1) | instskip(NEXT) | instid1(VALU_DEP_1)
	v_fma_f64 v[78:79], v[84:85], v[76:77], v[86:87]
	v_div_scale_f64 v[84:85], null, v[78:79], v[78:79], 1.0
	s_delay_alu instid0(VALU_DEP_1) | instskip(SKIP_2) | instid1(VALU_DEP_1)
	v_rcp_f64_e32 v[86:87], v[84:85]
	s_waitcnt_depctr 0xfff
	v_fma_f64 v[88:89], -v[84:85], v[86:87], 1.0
	v_fma_f64 v[86:87], v[86:87], v[88:89], v[86:87]
	s_delay_alu instid0(VALU_DEP_1) | instskip(NEXT) | instid1(VALU_DEP_1)
	v_fma_f64 v[88:89], -v[84:85], v[86:87], 1.0
	v_fma_f64 v[86:87], v[86:87], v[88:89], v[86:87]
	v_div_scale_f64 v[88:89], vcc_lo, 1.0, v[78:79], 1.0
	s_delay_alu instid0(VALU_DEP_1) | instskip(NEXT) | instid1(VALU_DEP_1)
	v_mul_f64 v[90:91], v[88:89], v[86:87]
	v_fma_f64 v[84:85], -v[84:85], v[90:91], v[88:89]
	s_delay_alu instid0(VALU_DEP_1) | instskip(NEXT) | instid1(VALU_DEP_1)
	v_div_fmas_f64 v[84:85], v[84:85], v[86:87], v[90:91]
	v_div_fixup_f64 v[90:91], v[84:85], v[78:79], 1.0
                                        ; implicit-def: $vgpr84_vgpr85
	s_delay_alu instid0(VALU_DEP_1)
	v_mul_f64 v[92:93], v[76:77], v[90:91]
	v_xor_b32_e32 v91, 0x80000000, v91
.LBB37_23:
	s_and_not1_saveexec_b32 s3, s3
	s_cbranch_execz .LBB37_25
; %bb.24:
	v_div_scale_f64 v[76:77], null, v[84:85], v[84:85], v[86:87]
	v_div_scale_f64 v[90:91], vcc_lo, v[86:87], v[84:85], v[86:87]
	s_delay_alu instid0(VALU_DEP_2) | instskip(SKIP_2) | instid1(VALU_DEP_1)
	v_rcp_f64_e32 v[78:79], v[76:77]
	s_waitcnt_depctr 0xfff
	v_fma_f64 v[88:89], -v[76:77], v[78:79], 1.0
	v_fma_f64 v[78:79], v[78:79], v[88:89], v[78:79]
	s_delay_alu instid0(VALU_DEP_1) | instskip(NEXT) | instid1(VALU_DEP_1)
	v_fma_f64 v[88:89], -v[76:77], v[78:79], 1.0
	v_fma_f64 v[78:79], v[78:79], v[88:89], v[78:79]
	s_delay_alu instid0(VALU_DEP_1) | instskip(NEXT) | instid1(VALU_DEP_1)
	v_mul_f64 v[88:89], v[90:91], v[78:79]
	v_fma_f64 v[76:77], -v[76:77], v[88:89], v[90:91]
	s_delay_alu instid0(VALU_DEP_1) | instskip(NEXT) | instid1(VALU_DEP_1)
	v_div_fmas_f64 v[76:77], v[76:77], v[78:79], v[88:89]
	v_div_fixup_f64 v[76:77], v[76:77], v[84:85], v[86:87]
	s_delay_alu instid0(VALU_DEP_1) | instskip(NEXT) | instid1(VALU_DEP_1)
	v_fma_f64 v[78:79], v[86:87], v[76:77], v[84:85]
	v_div_scale_f64 v[84:85], null, v[78:79], v[78:79], 1.0
	s_delay_alu instid0(VALU_DEP_1) | instskip(SKIP_2) | instid1(VALU_DEP_1)
	v_rcp_f64_e32 v[86:87], v[84:85]
	s_waitcnt_depctr 0xfff
	v_fma_f64 v[88:89], -v[84:85], v[86:87], 1.0
	v_fma_f64 v[86:87], v[86:87], v[88:89], v[86:87]
	s_delay_alu instid0(VALU_DEP_1) | instskip(NEXT) | instid1(VALU_DEP_1)
	v_fma_f64 v[88:89], -v[84:85], v[86:87], 1.0
	v_fma_f64 v[86:87], v[86:87], v[88:89], v[86:87]
	v_div_scale_f64 v[88:89], vcc_lo, 1.0, v[78:79], 1.0
	s_delay_alu instid0(VALU_DEP_1) | instskip(NEXT) | instid1(VALU_DEP_1)
	v_mul_f64 v[90:91], v[88:89], v[86:87]
	v_fma_f64 v[84:85], -v[84:85], v[90:91], v[88:89]
	s_delay_alu instid0(VALU_DEP_1) | instskip(NEXT) | instid1(VALU_DEP_1)
	v_div_fmas_f64 v[84:85], v[84:85], v[86:87], v[90:91]
	v_div_fixup_f64 v[92:93], v[84:85], v[78:79], 1.0
	s_delay_alu instid0(VALU_DEP_1)
	v_mul_f64 v[90:91], v[76:77], -v[92:93]
.LBB37_25:
	s_or_b32 exec_lo, exec_lo, s3
	ds_store_2addr_b64 v74, v[92:93], v[90:91] offset1:1
.LBB37_26:
	s_or_b32 exec_lo, exec_lo, s4
	s_waitcnt lgkmcnt(0)
	s_barrier
	buffer_gl0_inv
	ds_load_2addr_b64 v[84:87], v74 offset1:1
	s_mov_b32 s3, exec_lo
	v_cmpx_lt_u32_e32 2, v255
	s_cbranch_execz .LBB37_28
; %bb.27:
	s_waitcnt lgkmcnt(0)
	v_mul_f64 v[76:77], v[84:85], v[247:248]
	v_mul_f64 v[66:67], v[86:87], v[247:248]
	ds_load_2addr_b64 v[88:91], v196 offset0:6 offset1:7
	ds_load_2addr_b64 v[92:95], v196 offset0:8 offset1:9
	v_fma_f64 v[76:77], v[86:87], v[245:246], v[76:77]
	v_fma_f64 v[245:246], v[84:85], v[245:246], -v[66:67]
	s_waitcnt lgkmcnt(1)
	s_delay_alu instid0(VALU_DEP_2) | instskip(SKIP_2) | instid1(VALU_DEP_3)
	v_mul_f64 v[66:67], v[90:91], v[76:77]
	v_mul_f64 v[78:79], v[88:89], v[76:77]
	v_dual_mov_b32 v248, v77 :: v_dual_mov_b32 v247, v76
	v_fma_f64 v[66:67], v[88:89], v[245:246], -v[66:67]
	s_waitcnt lgkmcnt(0)
	v_mul_f64 v[88:89], v[94:95], v[76:77]
	s_delay_alu instid0(VALU_DEP_4) | instskip(NEXT) | instid1(VALU_DEP_3)
	v_fma_f64 v[78:79], v[90:91], v[245:246], v[78:79]
	v_add_f64 v[249:250], v[249:250], -v[66:67]
	s_delay_alu instid0(VALU_DEP_3) | instskip(SKIP_1) | instid1(VALU_DEP_4)
	v_fma_f64 v[96:97], v[92:93], v[245:246], -v[88:89]
	v_mul_f64 v[88:89], v[92:93], v[76:77]
	v_add_f64 v[251:252], v[251:252], -v[78:79]
	s_delay_alu instid0(VALU_DEP_3) | instskip(NEXT) | instid1(VALU_DEP_3)
	v_add_f64 v[56:57], v[56:57], -v[96:97]
	v_fma_f64 v[98:99], v[94:95], v[245:246], v[88:89]
	ds_load_2addr_b64 v[88:91], v196 offset0:10 offset1:11
	ds_load_2addr_b64 v[92:95], v196 offset0:12 offset1:13
	s_waitcnt lgkmcnt(1)
	v_mul_f64 v[100:101], v[90:91], v[76:77]
	v_add_f64 v[58:59], v[58:59], -v[98:99]
	s_delay_alu instid0(VALU_DEP_2) | instskip(SKIP_1) | instid1(VALU_DEP_2)
	v_fma_f64 v[100:101], v[88:89], v[245:246], -v[100:101]
	v_mul_f64 v[88:89], v[88:89], v[76:77]
	v_add_f64 v[52:53], v[52:53], -v[100:101]
	s_delay_alu instid0(VALU_DEP_2) | instskip(SKIP_2) | instid1(VALU_DEP_2)
	v_fma_f64 v[102:103], v[90:91], v[245:246], v[88:89]
	s_waitcnt lgkmcnt(0)
	v_mul_f64 v[88:89], v[94:95], v[76:77]
	v_add_f64 v[54:55], v[54:55], -v[102:103]
	s_delay_alu instid0(VALU_DEP_2) | instskip(SKIP_1) | instid1(VALU_DEP_2)
	v_fma_f64 v[104:105], v[92:93], v[245:246], -v[88:89]
	v_mul_f64 v[88:89], v[92:93], v[76:77]
	v_add_f64 v[48:49], v[48:49], -v[104:105]
	s_delay_alu instid0(VALU_DEP_2)
	v_fma_f64 v[106:107], v[94:95], v[245:246], v[88:89]
	ds_load_2addr_b64 v[88:91], v196 offset0:14 offset1:15
	ds_load_2addr_b64 v[92:95], v196 offset0:16 offset1:17
	s_waitcnt lgkmcnt(1)
	v_mul_f64 v[108:109], v[90:91], v[76:77]
	v_add_f64 v[50:51], v[50:51], -v[106:107]
	s_delay_alu instid0(VALU_DEP_2) | instskip(SKIP_1) | instid1(VALU_DEP_2)
	v_fma_f64 v[108:109], v[88:89], v[245:246], -v[108:109]
	v_mul_f64 v[88:89], v[88:89], v[76:77]
	v_add_f64 v[44:45], v[44:45], -v[108:109]
	s_delay_alu instid0(VALU_DEP_2) | instskip(SKIP_2) | instid1(VALU_DEP_2)
	v_fma_f64 v[110:111], v[90:91], v[245:246], v[88:89]
	s_waitcnt lgkmcnt(0)
	v_mul_f64 v[88:89], v[94:95], v[76:77]
	v_add_f64 v[46:47], v[46:47], -v[110:111]
	s_delay_alu instid0(VALU_DEP_2) | instskip(SKIP_1) | instid1(VALU_DEP_2)
	v_fma_f64 v[112:113], v[92:93], v[245:246], -v[88:89]
	v_mul_f64 v[88:89], v[92:93], v[76:77]
	v_add_f64 v[40:41], v[40:41], -v[112:113]
	s_delay_alu instid0(VALU_DEP_2)
	;; [unrolled: 20-line block ×6, first 2 shown]
	v_fma_f64 v[146:147], v[94:95], v[245:246], v[88:89]
	ds_load_2addr_b64 v[88:91], v196 offset0:34 offset1:35
	ds_load_2addr_b64 v[92:95], v196 offset0:36 offset1:37
	s_waitcnt lgkmcnt(1)
	v_mul_f64 v[148:149], v[90:91], v[76:77]
	v_add_f64 v[10:11], v[10:11], -v[146:147]
	s_delay_alu instid0(VALU_DEP_2) | instskip(SKIP_1) | instid1(VALU_DEP_2)
	v_fma_f64 v[148:149], v[88:89], v[245:246], -v[148:149]
	v_mul_f64 v[88:89], v[88:89], v[76:77]
	v_add_f64 v[4:5], v[4:5], -v[148:149]
	s_delay_alu instid0(VALU_DEP_2) | instskip(SKIP_2) | instid1(VALU_DEP_2)
	v_fma_f64 v[88:89], v[90:91], v[245:246], v[88:89]
	s_waitcnt lgkmcnt(0)
	v_mul_f64 v[90:91], v[94:95], v[76:77]
	v_add_f64 v[6:7], v[6:7], -v[88:89]
	s_delay_alu instid0(VALU_DEP_2) | instskip(SKIP_1) | instid1(VALU_DEP_2)
	v_fma_f64 v[90:91], v[92:93], v[245:246], -v[90:91]
	v_mul_f64 v[92:93], v[92:93], v[76:77]
	v_add_f64 v[0:1], v[0:1], -v[90:91]
	s_delay_alu instid0(VALU_DEP_2) | instskip(NEXT) | instid1(VALU_DEP_1)
	v_fma_f64 v[92:93], v[94:95], v[245:246], v[92:93]
	v_add_f64 v[2:3], v[2:3], -v[92:93]
.LBB37_28:
	s_or_b32 exec_lo, exec_lo, s3
	s_delay_alu instid0(SALU_CYCLE_1)
	s_mov_b32 s4, exec_lo
	s_waitcnt lgkmcnt(0)
	s_barrier
	buffer_gl0_inv
	v_cmpx_eq_u32_e32 3, v255
	s_cbranch_execz .LBB37_35
; %bb.29:
	ds_store_2addr_b64 v74, v[249:250], v[251:252] offset1:1
	ds_store_2addr_b64 v196, v[56:57], v[58:59] offset0:8 offset1:9
	ds_store_2addr_b64 v196, v[52:53], v[54:55] offset0:10 offset1:11
	;; [unrolled: 1-line block ×15, first 2 shown]
	ds_load_2addr_b64 v[88:91], v74 offset1:1
	s_waitcnt lgkmcnt(0)
	v_cmp_neq_f64_e32 vcc_lo, 0, v[88:89]
	v_cmp_neq_f64_e64 s3, 0, v[90:91]
	s_delay_alu instid0(VALU_DEP_1) | instskip(NEXT) | instid1(SALU_CYCLE_1)
	s_or_b32 s3, vcc_lo, s3
	s_and_b32 exec_lo, exec_lo, s3
	s_cbranch_execz .LBB37_35
; %bb.30:
	v_cmp_gt_f64_e32 vcc_lo, 0, v[88:89]
	v_cmp_gt_f64_e64 s3, 0, v[90:91]
	v_xor_b32_e32 v76, 0x80000000, v89
	v_xor_b32_e32 v78, 0x80000000, v91
                                        ; implicit-def: $vgpr96_vgpr97
	s_delay_alu instid0(VALU_DEP_2) | instskip(NEXT) | instid1(VALU_DEP_2)
	v_cndmask_b32_e32 v77, v89, v76, vcc_lo
	v_cndmask_b32_e64 v79, v91, v78, s3
	v_cndmask_b32_e32 v76, v88, v88, vcc_lo
	v_cndmask_b32_e64 v78, v90, v90, s3
	s_mov_b32 s3, exec_lo
	s_delay_alu instid0(VALU_DEP_1)
	v_cmpx_ngt_f64_e32 v[76:77], v[78:79]
	s_xor_b32 s3, exec_lo, s3
                                        ; implicit-def: $vgpr92_vgpr93_vgpr94_vgpr95
	s_cbranch_execz .LBB37_32
; %bb.31:
	v_div_scale_f64 v[76:77], null, v[90:91], v[90:91], v[88:89]
	v_div_scale_f64 v[94:95], vcc_lo, v[88:89], v[90:91], v[88:89]
	s_delay_alu instid0(VALU_DEP_2) | instskip(SKIP_2) | instid1(VALU_DEP_1)
	v_rcp_f64_e32 v[78:79], v[76:77]
	s_waitcnt_depctr 0xfff
	v_fma_f64 v[92:93], -v[76:77], v[78:79], 1.0
	v_fma_f64 v[78:79], v[78:79], v[92:93], v[78:79]
	s_delay_alu instid0(VALU_DEP_1) | instskip(NEXT) | instid1(VALU_DEP_1)
	v_fma_f64 v[92:93], -v[76:77], v[78:79], 1.0
	v_fma_f64 v[78:79], v[78:79], v[92:93], v[78:79]
	s_delay_alu instid0(VALU_DEP_1) | instskip(NEXT) | instid1(VALU_DEP_1)
	v_mul_f64 v[92:93], v[94:95], v[78:79]
	v_fma_f64 v[76:77], -v[76:77], v[92:93], v[94:95]
	s_delay_alu instid0(VALU_DEP_1) | instskip(NEXT) | instid1(VALU_DEP_1)
	v_div_fmas_f64 v[76:77], v[76:77], v[78:79], v[92:93]
	v_div_fixup_f64 v[76:77], v[76:77], v[90:91], v[88:89]
	s_delay_alu instid0(VALU_DEP_1) | instskip(NEXT) | instid1(VALU_DEP_1)
	v_fma_f64 v[78:79], v[88:89], v[76:77], v[90:91]
	v_div_scale_f64 v[88:89], null, v[78:79], v[78:79], 1.0
	s_delay_alu instid0(VALU_DEP_1) | instskip(SKIP_2) | instid1(VALU_DEP_1)
	v_rcp_f64_e32 v[90:91], v[88:89]
	s_waitcnt_depctr 0xfff
	v_fma_f64 v[92:93], -v[88:89], v[90:91], 1.0
	v_fma_f64 v[90:91], v[90:91], v[92:93], v[90:91]
	s_delay_alu instid0(VALU_DEP_1) | instskip(NEXT) | instid1(VALU_DEP_1)
	v_fma_f64 v[92:93], -v[88:89], v[90:91], 1.0
	v_fma_f64 v[90:91], v[90:91], v[92:93], v[90:91]
	v_div_scale_f64 v[92:93], vcc_lo, 1.0, v[78:79], 1.0
	s_delay_alu instid0(VALU_DEP_1) | instskip(NEXT) | instid1(VALU_DEP_1)
	v_mul_f64 v[94:95], v[92:93], v[90:91]
	v_fma_f64 v[88:89], -v[88:89], v[94:95], v[92:93]
	s_delay_alu instid0(VALU_DEP_1) | instskip(NEXT) | instid1(VALU_DEP_1)
	v_div_fmas_f64 v[88:89], v[88:89], v[90:91], v[94:95]
	v_div_fixup_f64 v[94:95], v[88:89], v[78:79], 1.0
                                        ; implicit-def: $vgpr88_vgpr89
	s_delay_alu instid0(VALU_DEP_1)
	v_mul_f64 v[96:97], v[76:77], v[94:95]
	v_xor_b32_e32 v95, 0x80000000, v95
.LBB37_32:
	s_and_not1_saveexec_b32 s3, s3
	s_cbranch_execz .LBB37_34
; %bb.33:
	v_div_scale_f64 v[76:77], null, v[88:89], v[88:89], v[90:91]
	v_div_scale_f64 v[94:95], vcc_lo, v[90:91], v[88:89], v[90:91]
	s_delay_alu instid0(VALU_DEP_2) | instskip(SKIP_2) | instid1(VALU_DEP_1)
	v_rcp_f64_e32 v[78:79], v[76:77]
	s_waitcnt_depctr 0xfff
	v_fma_f64 v[92:93], -v[76:77], v[78:79], 1.0
	v_fma_f64 v[78:79], v[78:79], v[92:93], v[78:79]
	s_delay_alu instid0(VALU_DEP_1) | instskip(NEXT) | instid1(VALU_DEP_1)
	v_fma_f64 v[92:93], -v[76:77], v[78:79], 1.0
	v_fma_f64 v[78:79], v[78:79], v[92:93], v[78:79]
	s_delay_alu instid0(VALU_DEP_1) | instskip(NEXT) | instid1(VALU_DEP_1)
	v_mul_f64 v[92:93], v[94:95], v[78:79]
	v_fma_f64 v[76:77], -v[76:77], v[92:93], v[94:95]
	s_delay_alu instid0(VALU_DEP_1) | instskip(NEXT) | instid1(VALU_DEP_1)
	v_div_fmas_f64 v[76:77], v[76:77], v[78:79], v[92:93]
	v_div_fixup_f64 v[76:77], v[76:77], v[88:89], v[90:91]
	s_delay_alu instid0(VALU_DEP_1) | instskip(NEXT) | instid1(VALU_DEP_1)
	v_fma_f64 v[78:79], v[90:91], v[76:77], v[88:89]
	v_div_scale_f64 v[88:89], null, v[78:79], v[78:79], 1.0
	s_delay_alu instid0(VALU_DEP_1) | instskip(SKIP_2) | instid1(VALU_DEP_1)
	v_rcp_f64_e32 v[90:91], v[88:89]
	s_waitcnt_depctr 0xfff
	v_fma_f64 v[92:93], -v[88:89], v[90:91], 1.0
	v_fma_f64 v[90:91], v[90:91], v[92:93], v[90:91]
	s_delay_alu instid0(VALU_DEP_1) | instskip(NEXT) | instid1(VALU_DEP_1)
	v_fma_f64 v[92:93], -v[88:89], v[90:91], 1.0
	v_fma_f64 v[90:91], v[90:91], v[92:93], v[90:91]
	v_div_scale_f64 v[92:93], vcc_lo, 1.0, v[78:79], 1.0
	s_delay_alu instid0(VALU_DEP_1) | instskip(NEXT) | instid1(VALU_DEP_1)
	v_mul_f64 v[94:95], v[92:93], v[90:91]
	v_fma_f64 v[88:89], -v[88:89], v[94:95], v[92:93]
	s_delay_alu instid0(VALU_DEP_1) | instskip(NEXT) | instid1(VALU_DEP_1)
	v_div_fmas_f64 v[88:89], v[88:89], v[90:91], v[94:95]
	v_div_fixup_f64 v[96:97], v[88:89], v[78:79], 1.0
	s_delay_alu instid0(VALU_DEP_1)
	v_mul_f64 v[94:95], v[76:77], -v[96:97]
.LBB37_34:
	s_or_b32 exec_lo, exec_lo, s3
	ds_store_2addr_b64 v74, v[96:97], v[94:95] offset1:1
.LBB37_35:
	s_or_b32 exec_lo, exec_lo, s4
	s_waitcnt lgkmcnt(0)
	s_barrier
	buffer_gl0_inv
	ds_load_2addr_b64 v[88:91], v74 offset1:1
	s_mov_b32 s3, exec_lo
	v_cmpx_lt_u32_e32 3, v255
	s_cbranch_execz .LBB37_37
; %bb.36:
	s_waitcnt lgkmcnt(0)
	v_mul_f64 v[76:77], v[88:89], v[251:252]
	v_dual_mov_b32 v67, v63 :: v_dual_mov_b32 v66, v62
	v_dual_mov_b32 v65, v61 :: v_dual_mov_b32 v64, v60
	v_mul_f64 v[62:63], v[90:91], v[251:252]
	ds_load_2addr_b64 v[92:95], v196 offset0:8 offset1:9
	ds_load_2addr_b64 v[96:99], v196 offset0:10 offset1:11
	v_fma_f64 v[76:77], v[90:91], v[249:250], v[76:77]
	v_fma_f64 v[249:250], v[88:89], v[249:250], -v[62:63]
	s_waitcnt lgkmcnt(1)
	s_delay_alu instid0(VALU_DEP_2) | instskip(SKIP_2) | instid1(VALU_DEP_3)
	v_mul_f64 v[62:63], v[94:95], v[76:77]
	v_mul_f64 v[78:79], v[92:93], v[76:77]
	v_dual_mov_b32 v252, v77 :: v_dual_mov_b32 v251, v76
	v_fma_f64 v[62:63], v[92:93], v[249:250], -v[62:63]
	s_waitcnt lgkmcnt(0)
	v_mul_f64 v[92:93], v[98:99], v[76:77]
	s_delay_alu instid0(VALU_DEP_4) | instskip(NEXT) | instid1(VALU_DEP_3)
	v_fma_f64 v[78:79], v[94:95], v[249:250], v[78:79]
	v_add_f64 v[56:57], v[56:57], -v[62:63]
	s_delay_alu instid0(VALU_DEP_3) | instskip(SKIP_1) | instid1(VALU_DEP_4)
	v_fma_f64 v[100:101], v[96:97], v[249:250], -v[92:93]
	v_mul_f64 v[92:93], v[96:97], v[76:77]
	v_add_f64 v[58:59], v[58:59], -v[78:79]
	v_dual_mov_b32 v60, v64 :: v_dual_mov_b32 v61, v65
	v_dual_mov_b32 v62, v66 :: v_dual_mov_b32 v63, v67
	v_add_f64 v[52:53], v[52:53], -v[100:101]
	v_fma_f64 v[102:103], v[98:99], v[249:250], v[92:93]
	ds_load_2addr_b64 v[92:95], v196 offset0:12 offset1:13
	ds_load_2addr_b64 v[96:99], v196 offset0:14 offset1:15
	s_waitcnt lgkmcnt(1)
	v_mul_f64 v[104:105], v[94:95], v[76:77]
	v_add_f64 v[54:55], v[54:55], -v[102:103]
	s_delay_alu instid0(VALU_DEP_2) | instskip(SKIP_1) | instid1(VALU_DEP_2)
	v_fma_f64 v[104:105], v[92:93], v[249:250], -v[104:105]
	v_mul_f64 v[92:93], v[92:93], v[76:77]
	v_add_f64 v[48:49], v[48:49], -v[104:105]
	s_delay_alu instid0(VALU_DEP_2) | instskip(SKIP_2) | instid1(VALU_DEP_2)
	v_fma_f64 v[106:107], v[94:95], v[249:250], v[92:93]
	s_waitcnt lgkmcnt(0)
	v_mul_f64 v[92:93], v[98:99], v[76:77]
	v_add_f64 v[50:51], v[50:51], -v[106:107]
	s_delay_alu instid0(VALU_DEP_2) | instskip(SKIP_1) | instid1(VALU_DEP_2)
	v_fma_f64 v[108:109], v[96:97], v[249:250], -v[92:93]
	v_mul_f64 v[92:93], v[96:97], v[76:77]
	v_add_f64 v[44:45], v[44:45], -v[108:109]
	s_delay_alu instid0(VALU_DEP_2)
	v_fma_f64 v[110:111], v[98:99], v[249:250], v[92:93]
	ds_load_2addr_b64 v[92:95], v196 offset0:16 offset1:17
	ds_load_2addr_b64 v[96:99], v196 offset0:18 offset1:19
	s_waitcnt lgkmcnt(1)
	v_mul_f64 v[112:113], v[94:95], v[76:77]
	v_add_f64 v[46:47], v[46:47], -v[110:111]
	s_delay_alu instid0(VALU_DEP_2) | instskip(SKIP_1) | instid1(VALU_DEP_2)
	v_fma_f64 v[112:113], v[92:93], v[249:250], -v[112:113]
	v_mul_f64 v[92:93], v[92:93], v[76:77]
	v_add_f64 v[40:41], v[40:41], -v[112:113]
	s_delay_alu instid0(VALU_DEP_2) | instskip(SKIP_2) | instid1(VALU_DEP_2)
	v_fma_f64 v[114:115], v[94:95], v[249:250], v[92:93]
	s_waitcnt lgkmcnt(0)
	v_mul_f64 v[92:93], v[98:99], v[76:77]
	v_add_f64 v[42:43], v[42:43], -v[114:115]
	s_delay_alu instid0(VALU_DEP_2) | instskip(SKIP_1) | instid1(VALU_DEP_2)
	v_fma_f64 v[116:117], v[96:97], v[249:250], -v[92:93]
	v_mul_f64 v[92:93], v[96:97], v[76:77]
	v_add_f64 v[36:37], v[36:37], -v[116:117]
	s_delay_alu instid0(VALU_DEP_2)
	;; [unrolled: 20-line block ×5, first 2 shown]
	v_fma_f64 v[142:143], v[98:99], v[249:250], v[92:93]
	ds_load_2addr_b64 v[92:95], v196 offset0:32 offset1:33
	ds_load_2addr_b64 v[96:99], v196 offset0:34 offset1:35
	s_waitcnt lgkmcnt(1)
	v_mul_f64 v[144:145], v[94:95], v[76:77]
	v_add_f64 v[14:15], v[14:15], -v[142:143]
	s_delay_alu instid0(VALU_DEP_2) | instskip(SKIP_1) | instid1(VALU_DEP_2)
	v_fma_f64 v[144:145], v[92:93], v[249:250], -v[144:145]
	v_mul_f64 v[92:93], v[92:93], v[76:77]
	v_add_f64 v[8:9], v[8:9], -v[144:145]
	s_delay_alu instid0(VALU_DEP_2) | instskip(SKIP_2) | instid1(VALU_DEP_2)
	v_fma_f64 v[146:147], v[94:95], v[249:250], v[92:93]
	s_waitcnt lgkmcnt(0)
	v_mul_f64 v[92:93], v[98:99], v[76:77]
	v_add_f64 v[10:11], v[10:11], -v[146:147]
	s_delay_alu instid0(VALU_DEP_2) | instskip(SKIP_1) | instid1(VALU_DEP_2)
	v_fma_f64 v[148:149], v[96:97], v[249:250], -v[92:93]
	v_mul_f64 v[92:93], v[96:97], v[76:77]
	v_add_f64 v[4:5], v[4:5], -v[148:149]
	s_delay_alu instid0(VALU_DEP_2) | instskip(SKIP_4) | instid1(VALU_DEP_2)
	v_fma_f64 v[96:97], v[98:99], v[249:250], v[92:93]
	ds_load_2addr_b64 v[92:95], v196 offset0:36 offset1:37
	s_waitcnt lgkmcnt(0)
	v_mul_f64 v[98:99], v[94:95], v[76:77]
	v_add_f64 v[6:7], v[6:7], -v[96:97]
	v_fma_f64 v[98:99], v[92:93], v[249:250], -v[98:99]
	v_mul_f64 v[92:93], v[92:93], v[76:77]
	s_delay_alu instid0(VALU_DEP_2) | instskip(NEXT) | instid1(VALU_DEP_2)
	v_add_f64 v[0:1], v[0:1], -v[98:99]
	v_fma_f64 v[92:93], v[94:95], v[249:250], v[92:93]
	s_delay_alu instid0(VALU_DEP_1)
	v_add_f64 v[2:3], v[2:3], -v[92:93]
.LBB37_37:
	s_or_b32 exec_lo, exec_lo, s3
	s_delay_alu instid0(SALU_CYCLE_1)
	s_mov_b32 s4, exec_lo
	s_waitcnt lgkmcnt(0)
	s_barrier
	buffer_gl0_inv
	v_cmpx_eq_u32_e32 4, v255
	s_cbranch_execz .LBB37_44
; %bb.38:
	ds_store_2addr_b64 v74, v[56:57], v[58:59] offset1:1
	ds_store_2addr_b64 v196, v[52:53], v[54:55] offset0:10 offset1:11
	ds_store_2addr_b64 v196, v[48:49], v[50:51] offset0:12 offset1:13
	ds_store_2addr_b64 v196, v[44:45], v[46:47] offset0:14 offset1:15
	ds_store_2addr_b64 v196, v[40:41], v[42:43] offset0:16 offset1:17
	ds_store_2addr_b64 v196, v[36:37], v[38:39] offset0:18 offset1:19
	ds_store_2addr_b64 v196, v[32:33], v[34:35] offset0:20 offset1:21
	ds_store_2addr_b64 v196, v[28:29], v[30:31] offset0:22 offset1:23
	ds_store_2addr_b64 v196, v[24:25], v[26:27] offset0:24 offset1:25
	ds_store_2addr_b64 v196, v[20:21], v[22:23] offset0:26 offset1:27
	ds_store_2addr_b64 v196, v[16:17], v[18:19] offset0:28 offset1:29
	ds_store_2addr_b64 v196, v[12:13], v[14:15] offset0:30 offset1:31
	ds_store_2addr_b64 v196, v[8:9], v[10:11] offset0:32 offset1:33
	ds_store_2addr_b64 v196, v[4:5], v[6:7] offset0:34 offset1:35
	ds_store_2addr_b64 v196, v[0:1], v[2:3] offset0:36 offset1:37
	ds_load_2addr_b64 v[92:95], v74 offset1:1
	s_waitcnt lgkmcnt(0)
	v_cmp_neq_f64_e32 vcc_lo, 0, v[92:93]
	v_cmp_neq_f64_e64 s3, 0, v[94:95]
	s_delay_alu instid0(VALU_DEP_1) | instskip(NEXT) | instid1(SALU_CYCLE_1)
	s_or_b32 s3, vcc_lo, s3
	s_and_b32 exec_lo, exec_lo, s3
	s_cbranch_execz .LBB37_44
; %bb.39:
	v_cmp_gt_f64_e32 vcc_lo, 0, v[92:93]
	v_cmp_gt_f64_e64 s3, 0, v[94:95]
	v_xor_b32_e32 v76, 0x80000000, v93
	v_xor_b32_e32 v78, 0x80000000, v95
                                        ; implicit-def: $vgpr100_vgpr101
	s_delay_alu instid0(VALU_DEP_2) | instskip(NEXT) | instid1(VALU_DEP_2)
	v_cndmask_b32_e32 v77, v93, v76, vcc_lo
	v_cndmask_b32_e64 v79, v95, v78, s3
	v_cndmask_b32_e32 v76, v92, v92, vcc_lo
	v_cndmask_b32_e64 v78, v94, v94, s3
	s_mov_b32 s3, exec_lo
	s_delay_alu instid0(VALU_DEP_1)
	v_cmpx_ngt_f64_e32 v[76:77], v[78:79]
	s_xor_b32 s3, exec_lo, s3
                                        ; implicit-def: $vgpr96_vgpr97_vgpr98_vgpr99
	s_cbranch_execz .LBB37_41
; %bb.40:
	v_div_scale_f64 v[76:77], null, v[94:95], v[94:95], v[92:93]
	v_div_scale_f64 v[98:99], vcc_lo, v[92:93], v[94:95], v[92:93]
	s_delay_alu instid0(VALU_DEP_2) | instskip(SKIP_2) | instid1(VALU_DEP_1)
	v_rcp_f64_e32 v[78:79], v[76:77]
	s_waitcnt_depctr 0xfff
	v_fma_f64 v[96:97], -v[76:77], v[78:79], 1.0
	v_fma_f64 v[78:79], v[78:79], v[96:97], v[78:79]
	s_delay_alu instid0(VALU_DEP_1) | instskip(NEXT) | instid1(VALU_DEP_1)
	v_fma_f64 v[96:97], -v[76:77], v[78:79], 1.0
	v_fma_f64 v[78:79], v[78:79], v[96:97], v[78:79]
	s_delay_alu instid0(VALU_DEP_1) | instskip(NEXT) | instid1(VALU_DEP_1)
	v_mul_f64 v[96:97], v[98:99], v[78:79]
	v_fma_f64 v[76:77], -v[76:77], v[96:97], v[98:99]
	s_delay_alu instid0(VALU_DEP_1) | instskip(NEXT) | instid1(VALU_DEP_1)
	v_div_fmas_f64 v[76:77], v[76:77], v[78:79], v[96:97]
	v_div_fixup_f64 v[76:77], v[76:77], v[94:95], v[92:93]
	s_delay_alu instid0(VALU_DEP_1) | instskip(NEXT) | instid1(VALU_DEP_1)
	v_fma_f64 v[78:79], v[92:93], v[76:77], v[94:95]
	v_div_scale_f64 v[92:93], null, v[78:79], v[78:79], 1.0
	s_delay_alu instid0(VALU_DEP_1) | instskip(SKIP_2) | instid1(VALU_DEP_1)
	v_rcp_f64_e32 v[94:95], v[92:93]
	s_waitcnt_depctr 0xfff
	v_fma_f64 v[96:97], -v[92:93], v[94:95], 1.0
	v_fma_f64 v[94:95], v[94:95], v[96:97], v[94:95]
	s_delay_alu instid0(VALU_DEP_1) | instskip(NEXT) | instid1(VALU_DEP_1)
	v_fma_f64 v[96:97], -v[92:93], v[94:95], 1.0
	v_fma_f64 v[94:95], v[94:95], v[96:97], v[94:95]
	v_div_scale_f64 v[96:97], vcc_lo, 1.0, v[78:79], 1.0
	s_delay_alu instid0(VALU_DEP_1) | instskip(NEXT) | instid1(VALU_DEP_1)
	v_mul_f64 v[98:99], v[96:97], v[94:95]
	v_fma_f64 v[92:93], -v[92:93], v[98:99], v[96:97]
	s_delay_alu instid0(VALU_DEP_1) | instskip(NEXT) | instid1(VALU_DEP_1)
	v_div_fmas_f64 v[92:93], v[92:93], v[94:95], v[98:99]
	v_div_fixup_f64 v[98:99], v[92:93], v[78:79], 1.0
                                        ; implicit-def: $vgpr92_vgpr93
	s_delay_alu instid0(VALU_DEP_1)
	v_mul_f64 v[100:101], v[76:77], v[98:99]
	v_xor_b32_e32 v99, 0x80000000, v99
.LBB37_41:
	s_and_not1_saveexec_b32 s3, s3
	s_cbranch_execz .LBB37_43
; %bb.42:
	v_div_scale_f64 v[76:77], null, v[92:93], v[92:93], v[94:95]
	v_div_scale_f64 v[98:99], vcc_lo, v[94:95], v[92:93], v[94:95]
	s_delay_alu instid0(VALU_DEP_2) | instskip(SKIP_2) | instid1(VALU_DEP_1)
	v_rcp_f64_e32 v[78:79], v[76:77]
	s_waitcnt_depctr 0xfff
	v_fma_f64 v[96:97], -v[76:77], v[78:79], 1.0
	v_fma_f64 v[78:79], v[78:79], v[96:97], v[78:79]
	s_delay_alu instid0(VALU_DEP_1) | instskip(NEXT) | instid1(VALU_DEP_1)
	v_fma_f64 v[96:97], -v[76:77], v[78:79], 1.0
	v_fma_f64 v[78:79], v[78:79], v[96:97], v[78:79]
	s_delay_alu instid0(VALU_DEP_1) | instskip(NEXT) | instid1(VALU_DEP_1)
	v_mul_f64 v[96:97], v[98:99], v[78:79]
	v_fma_f64 v[76:77], -v[76:77], v[96:97], v[98:99]
	s_delay_alu instid0(VALU_DEP_1) | instskip(NEXT) | instid1(VALU_DEP_1)
	v_div_fmas_f64 v[76:77], v[76:77], v[78:79], v[96:97]
	v_div_fixup_f64 v[76:77], v[76:77], v[92:93], v[94:95]
	s_delay_alu instid0(VALU_DEP_1) | instskip(NEXT) | instid1(VALU_DEP_1)
	v_fma_f64 v[78:79], v[94:95], v[76:77], v[92:93]
	v_div_scale_f64 v[92:93], null, v[78:79], v[78:79], 1.0
	s_delay_alu instid0(VALU_DEP_1) | instskip(SKIP_2) | instid1(VALU_DEP_1)
	v_rcp_f64_e32 v[94:95], v[92:93]
	s_waitcnt_depctr 0xfff
	v_fma_f64 v[96:97], -v[92:93], v[94:95], 1.0
	v_fma_f64 v[94:95], v[94:95], v[96:97], v[94:95]
	s_delay_alu instid0(VALU_DEP_1) | instskip(NEXT) | instid1(VALU_DEP_1)
	v_fma_f64 v[96:97], -v[92:93], v[94:95], 1.0
	v_fma_f64 v[94:95], v[94:95], v[96:97], v[94:95]
	v_div_scale_f64 v[96:97], vcc_lo, 1.0, v[78:79], 1.0
	s_delay_alu instid0(VALU_DEP_1) | instskip(NEXT) | instid1(VALU_DEP_1)
	v_mul_f64 v[98:99], v[96:97], v[94:95]
	v_fma_f64 v[92:93], -v[92:93], v[98:99], v[96:97]
	s_delay_alu instid0(VALU_DEP_1) | instskip(NEXT) | instid1(VALU_DEP_1)
	v_div_fmas_f64 v[92:93], v[92:93], v[94:95], v[98:99]
	v_div_fixup_f64 v[100:101], v[92:93], v[78:79], 1.0
	s_delay_alu instid0(VALU_DEP_1)
	v_mul_f64 v[98:99], v[76:77], -v[100:101]
.LBB37_43:
	s_or_b32 exec_lo, exec_lo, s3
	ds_store_2addr_b64 v74, v[100:101], v[98:99] offset1:1
.LBB37_44:
	s_or_b32 exec_lo, exec_lo, s4
	s_waitcnt lgkmcnt(0)
	s_barrier
	buffer_gl0_inv
	ds_load_2addr_b64 v[92:95], v74 offset1:1
	s_mov_b32 s3, exec_lo
	v_cmpx_lt_u32_e32 4, v255
	s_cbranch_execz .LBB37_46
; %bb.45:
	s_waitcnt lgkmcnt(0)
	v_mul_f64 v[76:77], v[92:93], v[58:59]
	v_mul_f64 v[58:59], v[94:95], v[58:59]
	ds_load_2addr_b64 v[96:99], v196 offset0:10 offset1:11
	ds_load_2addr_b64 v[100:103], v196 offset0:12 offset1:13
	ds_load_2addr_b64 v[104:107], v196 offset0:14 offset1:15
	ds_load_2addr_b64 v[108:111], v196 offset0:16 offset1:17
	ds_load_2addr_b64 v[112:115], v196 offset0:18 offset1:19
	ds_load_2addr_b64 v[116:119], v196 offset0:20 offset1:21
	ds_load_2addr_b64 v[120:123], v196 offset0:22 offset1:23
	ds_load_2addr_b64 v[124:127], v196 offset0:24 offset1:25
	ds_load_2addr_b64 v[128:131], v196 offset0:26 offset1:27
	ds_load_2addr_b64 v[132:135], v196 offset0:28 offset1:29
	ds_load_2addr_b64 v[136:139], v196 offset0:30 offset1:31
	ds_load_2addr_b64 v[140:143], v196 offset0:32 offset1:33
	ds_load_2addr_b64 v[144:147], v196 offset0:34 offset1:35
	ds_load_2addr_b64 v[148:151], v196 offset0:36 offset1:37
	v_fma_f64 v[76:77], v[94:95], v[56:57], v[76:77]
	v_fma_f64 v[56:57], v[92:93], v[56:57], -v[58:59]
	s_waitcnt lgkmcnt(13)
	s_delay_alu instid0(VALU_DEP_2)
	v_mul_f64 v[58:59], v[98:99], v[76:77]
	v_mul_f64 v[78:79], v[96:97], v[76:77]
	s_waitcnt lgkmcnt(12)
	v_mul_f64 v[154:155], v[102:103], v[76:77]
	v_mul_f64 v[156:157], v[100:101], v[76:77]
	s_waitcnt lgkmcnt(11)
	;; [unrolled: 3-line block ×13, first 2 shown]
	v_mul_f64 v[235:236], v[150:151], v[76:77]
	v_mul_f64 v[237:238], v[148:149], v[76:77]
	v_fma_f64 v[58:59], v[96:97], v[56:57], -v[58:59]
	v_fma_f64 v[78:79], v[98:99], v[56:57], v[78:79]
	v_fma_f64 v[96:97], v[100:101], v[56:57], -v[154:155]
	v_fma_f64 v[98:99], v[102:103], v[56:57], v[156:157]
	;; [unrolled: 2-line block ×14, first 2 shown]
	v_add_f64 v[52:53], v[52:53], -v[58:59]
	v_add_f64 v[54:55], v[54:55], -v[78:79]
	;; [unrolled: 1-line block ×28, first 2 shown]
	v_dual_mov_b32 v58, v76 :: v_dual_mov_b32 v59, v77
.LBB37_46:
	s_or_b32 exec_lo, exec_lo, s3
	s_delay_alu instid0(SALU_CYCLE_1)
	s_mov_b32 s4, exec_lo
	s_waitcnt lgkmcnt(0)
	s_barrier
	buffer_gl0_inv
	v_cmpx_eq_u32_e32 5, v255
	s_cbranch_execz .LBB37_53
; %bb.47:
	ds_store_2addr_b64 v74, v[52:53], v[54:55] offset1:1
	ds_store_2addr_b64 v196, v[48:49], v[50:51] offset0:12 offset1:13
	ds_store_2addr_b64 v196, v[44:45], v[46:47] offset0:14 offset1:15
	;; [unrolled: 1-line block ×13, first 2 shown]
	ds_load_2addr_b64 v[96:99], v74 offset1:1
	s_waitcnt lgkmcnt(0)
	v_cmp_neq_f64_e32 vcc_lo, 0, v[96:97]
	v_cmp_neq_f64_e64 s3, 0, v[98:99]
	s_delay_alu instid0(VALU_DEP_1) | instskip(NEXT) | instid1(SALU_CYCLE_1)
	s_or_b32 s3, vcc_lo, s3
	s_and_b32 exec_lo, exec_lo, s3
	s_cbranch_execz .LBB37_53
; %bb.48:
	v_cmp_gt_f64_e32 vcc_lo, 0, v[96:97]
	v_cmp_gt_f64_e64 s3, 0, v[98:99]
	v_xor_b32_e32 v76, 0x80000000, v97
	v_xor_b32_e32 v78, 0x80000000, v99
                                        ; implicit-def: $vgpr104_vgpr105
	s_delay_alu instid0(VALU_DEP_2) | instskip(NEXT) | instid1(VALU_DEP_2)
	v_cndmask_b32_e32 v77, v97, v76, vcc_lo
	v_cndmask_b32_e64 v79, v99, v78, s3
	v_cndmask_b32_e32 v76, v96, v96, vcc_lo
	v_cndmask_b32_e64 v78, v98, v98, s3
	s_mov_b32 s3, exec_lo
	s_delay_alu instid0(VALU_DEP_1)
	v_cmpx_ngt_f64_e32 v[76:77], v[78:79]
	s_xor_b32 s3, exec_lo, s3
                                        ; implicit-def: $vgpr100_vgpr101_vgpr102_vgpr103
	s_cbranch_execz .LBB37_50
; %bb.49:
	v_div_scale_f64 v[76:77], null, v[98:99], v[98:99], v[96:97]
	v_div_scale_f64 v[102:103], vcc_lo, v[96:97], v[98:99], v[96:97]
	s_delay_alu instid0(VALU_DEP_2) | instskip(SKIP_2) | instid1(VALU_DEP_1)
	v_rcp_f64_e32 v[78:79], v[76:77]
	s_waitcnt_depctr 0xfff
	v_fma_f64 v[100:101], -v[76:77], v[78:79], 1.0
	v_fma_f64 v[78:79], v[78:79], v[100:101], v[78:79]
	s_delay_alu instid0(VALU_DEP_1) | instskip(NEXT) | instid1(VALU_DEP_1)
	v_fma_f64 v[100:101], -v[76:77], v[78:79], 1.0
	v_fma_f64 v[78:79], v[78:79], v[100:101], v[78:79]
	s_delay_alu instid0(VALU_DEP_1) | instskip(NEXT) | instid1(VALU_DEP_1)
	v_mul_f64 v[100:101], v[102:103], v[78:79]
	v_fma_f64 v[76:77], -v[76:77], v[100:101], v[102:103]
	s_delay_alu instid0(VALU_DEP_1) | instskip(NEXT) | instid1(VALU_DEP_1)
	v_div_fmas_f64 v[76:77], v[76:77], v[78:79], v[100:101]
	v_div_fixup_f64 v[76:77], v[76:77], v[98:99], v[96:97]
	s_delay_alu instid0(VALU_DEP_1) | instskip(NEXT) | instid1(VALU_DEP_1)
	v_fma_f64 v[78:79], v[96:97], v[76:77], v[98:99]
	v_div_scale_f64 v[96:97], null, v[78:79], v[78:79], 1.0
	s_delay_alu instid0(VALU_DEP_1) | instskip(SKIP_2) | instid1(VALU_DEP_1)
	v_rcp_f64_e32 v[98:99], v[96:97]
	s_waitcnt_depctr 0xfff
	v_fma_f64 v[100:101], -v[96:97], v[98:99], 1.0
	v_fma_f64 v[98:99], v[98:99], v[100:101], v[98:99]
	s_delay_alu instid0(VALU_DEP_1) | instskip(NEXT) | instid1(VALU_DEP_1)
	v_fma_f64 v[100:101], -v[96:97], v[98:99], 1.0
	v_fma_f64 v[98:99], v[98:99], v[100:101], v[98:99]
	v_div_scale_f64 v[100:101], vcc_lo, 1.0, v[78:79], 1.0
	s_delay_alu instid0(VALU_DEP_1) | instskip(NEXT) | instid1(VALU_DEP_1)
	v_mul_f64 v[102:103], v[100:101], v[98:99]
	v_fma_f64 v[96:97], -v[96:97], v[102:103], v[100:101]
	s_delay_alu instid0(VALU_DEP_1) | instskip(NEXT) | instid1(VALU_DEP_1)
	v_div_fmas_f64 v[96:97], v[96:97], v[98:99], v[102:103]
	v_div_fixup_f64 v[102:103], v[96:97], v[78:79], 1.0
                                        ; implicit-def: $vgpr96_vgpr97
	s_delay_alu instid0(VALU_DEP_1)
	v_mul_f64 v[104:105], v[76:77], v[102:103]
	v_xor_b32_e32 v103, 0x80000000, v103
.LBB37_50:
	s_and_not1_saveexec_b32 s3, s3
	s_cbranch_execz .LBB37_52
; %bb.51:
	v_div_scale_f64 v[76:77], null, v[96:97], v[96:97], v[98:99]
	v_div_scale_f64 v[102:103], vcc_lo, v[98:99], v[96:97], v[98:99]
	s_delay_alu instid0(VALU_DEP_2) | instskip(SKIP_2) | instid1(VALU_DEP_1)
	v_rcp_f64_e32 v[78:79], v[76:77]
	s_waitcnt_depctr 0xfff
	v_fma_f64 v[100:101], -v[76:77], v[78:79], 1.0
	v_fma_f64 v[78:79], v[78:79], v[100:101], v[78:79]
	s_delay_alu instid0(VALU_DEP_1) | instskip(NEXT) | instid1(VALU_DEP_1)
	v_fma_f64 v[100:101], -v[76:77], v[78:79], 1.0
	v_fma_f64 v[78:79], v[78:79], v[100:101], v[78:79]
	s_delay_alu instid0(VALU_DEP_1) | instskip(NEXT) | instid1(VALU_DEP_1)
	v_mul_f64 v[100:101], v[102:103], v[78:79]
	v_fma_f64 v[76:77], -v[76:77], v[100:101], v[102:103]
	s_delay_alu instid0(VALU_DEP_1) | instskip(NEXT) | instid1(VALU_DEP_1)
	v_div_fmas_f64 v[76:77], v[76:77], v[78:79], v[100:101]
	v_div_fixup_f64 v[76:77], v[76:77], v[96:97], v[98:99]
	s_delay_alu instid0(VALU_DEP_1) | instskip(NEXT) | instid1(VALU_DEP_1)
	v_fma_f64 v[78:79], v[98:99], v[76:77], v[96:97]
	v_div_scale_f64 v[96:97], null, v[78:79], v[78:79], 1.0
	s_delay_alu instid0(VALU_DEP_1) | instskip(SKIP_2) | instid1(VALU_DEP_1)
	v_rcp_f64_e32 v[98:99], v[96:97]
	s_waitcnt_depctr 0xfff
	v_fma_f64 v[100:101], -v[96:97], v[98:99], 1.0
	v_fma_f64 v[98:99], v[98:99], v[100:101], v[98:99]
	s_delay_alu instid0(VALU_DEP_1) | instskip(NEXT) | instid1(VALU_DEP_1)
	v_fma_f64 v[100:101], -v[96:97], v[98:99], 1.0
	v_fma_f64 v[98:99], v[98:99], v[100:101], v[98:99]
	v_div_scale_f64 v[100:101], vcc_lo, 1.0, v[78:79], 1.0
	s_delay_alu instid0(VALU_DEP_1) | instskip(NEXT) | instid1(VALU_DEP_1)
	v_mul_f64 v[102:103], v[100:101], v[98:99]
	v_fma_f64 v[96:97], -v[96:97], v[102:103], v[100:101]
	s_delay_alu instid0(VALU_DEP_1) | instskip(NEXT) | instid1(VALU_DEP_1)
	v_div_fmas_f64 v[96:97], v[96:97], v[98:99], v[102:103]
	v_div_fixup_f64 v[104:105], v[96:97], v[78:79], 1.0
	s_delay_alu instid0(VALU_DEP_1)
	v_mul_f64 v[102:103], v[76:77], -v[104:105]
.LBB37_52:
	s_or_b32 exec_lo, exec_lo, s3
	ds_store_2addr_b64 v74, v[104:105], v[102:103] offset1:1
.LBB37_53:
	s_or_b32 exec_lo, exec_lo, s4
	s_waitcnt lgkmcnt(0)
	s_barrier
	buffer_gl0_inv
	ds_load_2addr_b64 v[96:99], v74 offset1:1
	s_mov_b32 s3, exec_lo
	v_cmpx_lt_u32_e32 5, v255
	s_cbranch_execz .LBB37_55
; %bb.54:
	s_waitcnt lgkmcnt(0)
	v_mul_f64 v[76:77], v[96:97], v[54:55]
	v_mul_f64 v[54:55], v[98:99], v[54:55]
	ds_load_2addr_b64 v[100:103], v196 offset0:12 offset1:13
	ds_load_2addr_b64 v[104:107], v196 offset0:14 offset1:15
	;; [unrolled: 1-line block ×13, first 2 shown]
	v_fma_f64 v[76:77], v[98:99], v[52:53], v[76:77]
	v_fma_f64 v[52:53], v[96:97], v[52:53], -v[54:55]
	s_waitcnt lgkmcnt(12)
	s_delay_alu instid0(VALU_DEP_2)
	v_mul_f64 v[54:55], v[102:103], v[76:77]
	v_mul_f64 v[78:79], v[100:101], v[76:77]
	s_waitcnt lgkmcnt(11)
	v_mul_f64 v[154:155], v[106:107], v[76:77]
	v_mul_f64 v[156:157], v[104:105], v[76:77]
	s_waitcnt lgkmcnt(10)
	;; [unrolled: 3-line block ×12, first 2 shown]
	v_mul_f64 v[231:232], v[150:151], v[76:77]
	v_mul_f64 v[233:234], v[148:149], v[76:77]
	v_fma_f64 v[54:55], v[100:101], v[52:53], -v[54:55]
	v_fma_f64 v[78:79], v[102:103], v[52:53], v[78:79]
	v_fma_f64 v[100:101], v[104:105], v[52:53], -v[154:155]
	v_fma_f64 v[102:103], v[106:107], v[52:53], v[156:157]
	;; [unrolled: 2-line block ×13, first 2 shown]
	v_add_f64 v[48:49], v[48:49], -v[54:55]
	v_add_f64 v[50:51], v[50:51], -v[78:79]
	;; [unrolled: 1-line block ×26, first 2 shown]
	v_dual_mov_b32 v54, v76 :: v_dual_mov_b32 v55, v77
.LBB37_55:
	s_or_b32 exec_lo, exec_lo, s3
	s_delay_alu instid0(SALU_CYCLE_1)
	s_mov_b32 s4, exec_lo
	s_waitcnt lgkmcnt(0)
	s_barrier
	buffer_gl0_inv
	v_cmpx_eq_u32_e32 6, v255
	s_cbranch_execz .LBB37_62
; %bb.56:
	ds_store_2addr_b64 v74, v[48:49], v[50:51] offset1:1
	ds_store_2addr_b64 v196, v[44:45], v[46:47] offset0:14 offset1:15
	ds_store_2addr_b64 v196, v[40:41], v[42:43] offset0:16 offset1:17
	;; [unrolled: 1-line block ×12, first 2 shown]
	ds_load_2addr_b64 v[100:103], v74 offset1:1
	s_waitcnt lgkmcnt(0)
	v_cmp_neq_f64_e32 vcc_lo, 0, v[100:101]
	v_cmp_neq_f64_e64 s3, 0, v[102:103]
	s_delay_alu instid0(VALU_DEP_1) | instskip(NEXT) | instid1(SALU_CYCLE_1)
	s_or_b32 s3, vcc_lo, s3
	s_and_b32 exec_lo, exec_lo, s3
	s_cbranch_execz .LBB37_62
; %bb.57:
	v_cmp_gt_f64_e32 vcc_lo, 0, v[100:101]
	v_cmp_gt_f64_e64 s3, 0, v[102:103]
	v_xor_b32_e32 v76, 0x80000000, v101
	v_xor_b32_e32 v78, 0x80000000, v103
                                        ; implicit-def: $vgpr108_vgpr109
	s_delay_alu instid0(VALU_DEP_2) | instskip(NEXT) | instid1(VALU_DEP_2)
	v_cndmask_b32_e32 v77, v101, v76, vcc_lo
	v_cndmask_b32_e64 v79, v103, v78, s3
	v_cndmask_b32_e32 v76, v100, v100, vcc_lo
	v_cndmask_b32_e64 v78, v102, v102, s3
	s_mov_b32 s3, exec_lo
	s_delay_alu instid0(VALU_DEP_1)
	v_cmpx_ngt_f64_e32 v[76:77], v[78:79]
	s_xor_b32 s3, exec_lo, s3
                                        ; implicit-def: $vgpr104_vgpr105_vgpr106_vgpr107
	s_cbranch_execz .LBB37_59
; %bb.58:
	v_div_scale_f64 v[76:77], null, v[102:103], v[102:103], v[100:101]
	v_div_scale_f64 v[106:107], vcc_lo, v[100:101], v[102:103], v[100:101]
	s_delay_alu instid0(VALU_DEP_2) | instskip(SKIP_2) | instid1(VALU_DEP_1)
	v_rcp_f64_e32 v[78:79], v[76:77]
	s_waitcnt_depctr 0xfff
	v_fma_f64 v[104:105], -v[76:77], v[78:79], 1.0
	v_fma_f64 v[78:79], v[78:79], v[104:105], v[78:79]
	s_delay_alu instid0(VALU_DEP_1) | instskip(NEXT) | instid1(VALU_DEP_1)
	v_fma_f64 v[104:105], -v[76:77], v[78:79], 1.0
	v_fma_f64 v[78:79], v[78:79], v[104:105], v[78:79]
	s_delay_alu instid0(VALU_DEP_1) | instskip(NEXT) | instid1(VALU_DEP_1)
	v_mul_f64 v[104:105], v[106:107], v[78:79]
	v_fma_f64 v[76:77], -v[76:77], v[104:105], v[106:107]
	s_delay_alu instid0(VALU_DEP_1) | instskip(NEXT) | instid1(VALU_DEP_1)
	v_div_fmas_f64 v[76:77], v[76:77], v[78:79], v[104:105]
	v_div_fixup_f64 v[76:77], v[76:77], v[102:103], v[100:101]
	s_delay_alu instid0(VALU_DEP_1) | instskip(NEXT) | instid1(VALU_DEP_1)
	v_fma_f64 v[78:79], v[100:101], v[76:77], v[102:103]
	v_div_scale_f64 v[100:101], null, v[78:79], v[78:79], 1.0
	s_delay_alu instid0(VALU_DEP_1) | instskip(SKIP_2) | instid1(VALU_DEP_1)
	v_rcp_f64_e32 v[102:103], v[100:101]
	s_waitcnt_depctr 0xfff
	v_fma_f64 v[104:105], -v[100:101], v[102:103], 1.0
	v_fma_f64 v[102:103], v[102:103], v[104:105], v[102:103]
	s_delay_alu instid0(VALU_DEP_1) | instskip(NEXT) | instid1(VALU_DEP_1)
	v_fma_f64 v[104:105], -v[100:101], v[102:103], 1.0
	v_fma_f64 v[102:103], v[102:103], v[104:105], v[102:103]
	v_div_scale_f64 v[104:105], vcc_lo, 1.0, v[78:79], 1.0
	s_delay_alu instid0(VALU_DEP_1) | instskip(NEXT) | instid1(VALU_DEP_1)
	v_mul_f64 v[106:107], v[104:105], v[102:103]
	v_fma_f64 v[100:101], -v[100:101], v[106:107], v[104:105]
	s_delay_alu instid0(VALU_DEP_1) | instskip(NEXT) | instid1(VALU_DEP_1)
	v_div_fmas_f64 v[100:101], v[100:101], v[102:103], v[106:107]
	v_div_fixup_f64 v[106:107], v[100:101], v[78:79], 1.0
                                        ; implicit-def: $vgpr100_vgpr101
	s_delay_alu instid0(VALU_DEP_1)
	v_mul_f64 v[108:109], v[76:77], v[106:107]
	v_xor_b32_e32 v107, 0x80000000, v107
.LBB37_59:
	s_and_not1_saveexec_b32 s3, s3
	s_cbranch_execz .LBB37_61
; %bb.60:
	v_div_scale_f64 v[76:77], null, v[100:101], v[100:101], v[102:103]
	v_div_scale_f64 v[106:107], vcc_lo, v[102:103], v[100:101], v[102:103]
	s_delay_alu instid0(VALU_DEP_2) | instskip(SKIP_2) | instid1(VALU_DEP_1)
	v_rcp_f64_e32 v[78:79], v[76:77]
	s_waitcnt_depctr 0xfff
	v_fma_f64 v[104:105], -v[76:77], v[78:79], 1.0
	v_fma_f64 v[78:79], v[78:79], v[104:105], v[78:79]
	s_delay_alu instid0(VALU_DEP_1) | instskip(NEXT) | instid1(VALU_DEP_1)
	v_fma_f64 v[104:105], -v[76:77], v[78:79], 1.0
	v_fma_f64 v[78:79], v[78:79], v[104:105], v[78:79]
	s_delay_alu instid0(VALU_DEP_1) | instskip(NEXT) | instid1(VALU_DEP_1)
	v_mul_f64 v[104:105], v[106:107], v[78:79]
	v_fma_f64 v[76:77], -v[76:77], v[104:105], v[106:107]
	s_delay_alu instid0(VALU_DEP_1) | instskip(NEXT) | instid1(VALU_DEP_1)
	v_div_fmas_f64 v[76:77], v[76:77], v[78:79], v[104:105]
	v_div_fixup_f64 v[76:77], v[76:77], v[100:101], v[102:103]
	s_delay_alu instid0(VALU_DEP_1) | instskip(NEXT) | instid1(VALU_DEP_1)
	v_fma_f64 v[78:79], v[102:103], v[76:77], v[100:101]
	v_div_scale_f64 v[100:101], null, v[78:79], v[78:79], 1.0
	s_delay_alu instid0(VALU_DEP_1) | instskip(SKIP_2) | instid1(VALU_DEP_1)
	v_rcp_f64_e32 v[102:103], v[100:101]
	s_waitcnt_depctr 0xfff
	v_fma_f64 v[104:105], -v[100:101], v[102:103], 1.0
	v_fma_f64 v[102:103], v[102:103], v[104:105], v[102:103]
	s_delay_alu instid0(VALU_DEP_1) | instskip(NEXT) | instid1(VALU_DEP_1)
	v_fma_f64 v[104:105], -v[100:101], v[102:103], 1.0
	v_fma_f64 v[102:103], v[102:103], v[104:105], v[102:103]
	v_div_scale_f64 v[104:105], vcc_lo, 1.0, v[78:79], 1.0
	s_delay_alu instid0(VALU_DEP_1) | instskip(NEXT) | instid1(VALU_DEP_1)
	v_mul_f64 v[106:107], v[104:105], v[102:103]
	v_fma_f64 v[100:101], -v[100:101], v[106:107], v[104:105]
	s_delay_alu instid0(VALU_DEP_1) | instskip(NEXT) | instid1(VALU_DEP_1)
	v_div_fmas_f64 v[100:101], v[100:101], v[102:103], v[106:107]
	v_div_fixup_f64 v[108:109], v[100:101], v[78:79], 1.0
	s_delay_alu instid0(VALU_DEP_1)
	v_mul_f64 v[106:107], v[76:77], -v[108:109]
.LBB37_61:
	s_or_b32 exec_lo, exec_lo, s3
	ds_store_2addr_b64 v74, v[108:109], v[106:107] offset1:1
.LBB37_62:
	s_or_b32 exec_lo, exec_lo, s4
	s_waitcnt lgkmcnt(0)
	s_barrier
	buffer_gl0_inv
	ds_load_2addr_b64 v[100:103], v74 offset1:1
	s_mov_b32 s3, exec_lo
	v_cmpx_lt_u32_e32 6, v255
	s_cbranch_execz .LBB37_64
; %bb.63:
	s_waitcnt lgkmcnt(0)
	v_mul_f64 v[76:77], v[100:101], v[50:51]
	v_mul_f64 v[50:51], v[102:103], v[50:51]
	ds_load_2addr_b64 v[104:107], v196 offset0:14 offset1:15
	ds_load_2addr_b64 v[108:111], v196 offset0:16 offset1:17
	;; [unrolled: 1-line block ×12, first 2 shown]
	v_fma_f64 v[76:77], v[102:103], v[48:49], v[76:77]
	v_fma_f64 v[48:49], v[100:101], v[48:49], -v[50:51]
	s_waitcnt lgkmcnt(11)
	s_delay_alu instid0(VALU_DEP_2)
	v_mul_f64 v[50:51], v[106:107], v[76:77]
	v_mul_f64 v[78:79], v[104:105], v[76:77]
	s_waitcnt lgkmcnt(10)
	v_mul_f64 v[154:155], v[110:111], v[76:77]
	v_mul_f64 v[156:157], v[108:109], v[76:77]
	s_waitcnt lgkmcnt(9)
	;; [unrolled: 3-line block ×11, first 2 shown]
	v_mul_f64 v[227:228], v[150:151], v[76:77]
	v_mul_f64 v[229:230], v[148:149], v[76:77]
	v_fma_f64 v[50:51], v[104:105], v[48:49], -v[50:51]
	v_fma_f64 v[78:79], v[106:107], v[48:49], v[78:79]
	v_fma_f64 v[104:105], v[108:109], v[48:49], -v[154:155]
	v_fma_f64 v[106:107], v[110:111], v[48:49], v[156:157]
	;; [unrolled: 2-line block ×12, first 2 shown]
	v_add_f64 v[44:45], v[44:45], -v[50:51]
	v_add_f64 v[46:47], v[46:47], -v[78:79]
	;; [unrolled: 1-line block ×24, first 2 shown]
	v_dual_mov_b32 v50, v76 :: v_dual_mov_b32 v51, v77
.LBB37_64:
	s_or_b32 exec_lo, exec_lo, s3
	s_delay_alu instid0(SALU_CYCLE_1)
	s_mov_b32 s4, exec_lo
	s_waitcnt lgkmcnt(0)
	s_barrier
	buffer_gl0_inv
	v_cmpx_eq_u32_e32 7, v255
	s_cbranch_execz .LBB37_71
; %bb.65:
	ds_store_2addr_b64 v74, v[44:45], v[46:47] offset1:1
	ds_store_2addr_b64 v196, v[40:41], v[42:43] offset0:16 offset1:17
	ds_store_2addr_b64 v196, v[36:37], v[38:39] offset0:18 offset1:19
	;; [unrolled: 1-line block ×11, first 2 shown]
	ds_load_2addr_b64 v[104:107], v74 offset1:1
	s_waitcnt lgkmcnt(0)
	v_cmp_neq_f64_e32 vcc_lo, 0, v[104:105]
	v_cmp_neq_f64_e64 s3, 0, v[106:107]
	s_delay_alu instid0(VALU_DEP_1) | instskip(NEXT) | instid1(SALU_CYCLE_1)
	s_or_b32 s3, vcc_lo, s3
	s_and_b32 exec_lo, exec_lo, s3
	s_cbranch_execz .LBB37_71
; %bb.66:
	v_cmp_gt_f64_e32 vcc_lo, 0, v[104:105]
	v_cmp_gt_f64_e64 s3, 0, v[106:107]
	v_xor_b32_e32 v76, 0x80000000, v105
	v_xor_b32_e32 v78, 0x80000000, v107
                                        ; implicit-def: $vgpr112_vgpr113
	s_delay_alu instid0(VALU_DEP_2) | instskip(NEXT) | instid1(VALU_DEP_2)
	v_cndmask_b32_e32 v77, v105, v76, vcc_lo
	v_cndmask_b32_e64 v79, v107, v78, s3
	v_cndmask_b32_e32 v76, v104, v104, vcc_lo
	v_cndmask_b32_e64 v78, v106, v106, s3
	s_mov_b32 s3, exec_lo
	s_delay_alu instid0(VALU_DEP_1)
	v_cmpx_ngt_f64_e32 v[76:77], v[78:79]
	s_xor_b32 s3, exec_lo, s3
                                        ; implicit-def: $vgpr108_vgpr109_vgpr110_vgpr111
	s_cbranch_execz .LBB37_68
; %bb.67:
	v_div_scale_f64 v[76:77], null, v[106:107], v[106:107], v[104:105]
	v_div_scale_f64 v[110:111], vcc_lo, v[104:105], v[106:107], v[104:105]
	s_delay_alu instid0(VALU_DEP_2) | instskip(SKIP_2) | instid1(VALU_DEP_1)
	v_rcp_f64_e32 v[78:79], v[76:77]
	s_waitcnt_depctr 0xfff
	v_fma_f64 v[108:109], -v[76:77], v[78:79], 1.0
	v_fma_f64 v[78:79], v[78:79], v[108:109], v[78:79]
	s_delay_alu instid0(VALU_DEP_1) | instskip(NEXT) | instid1(VALU_DEP_1)
	v_fma_f64 v[108:109], -v[76:77], v[78:79], 1.0
	v_fma_f64 v[78:79], v[78:79], v[108:109], v[78:79]
	s_delay_alu instid0(VALU_DEP_1) | instskip(NEXT) | instid1(VALU_DEP_1)
	v_mul_f64 v[108:109], v[110:111], v[78:79]
	v_fma_f64 v[76:77], -v[76:77], v[108:109], v[110:111]
	s_delay_alu instid0(VALU_DEP_1) | instskip(NEXT) | instid1(VALU_DEP_1)
	v_div_fmas_f64 v[76:77], v[76:77], v[78:79], v[108:109]
	v_div_fixup_f64 v[76:77], v[76:77], v[106:107], v[104:105]
	s_delay_alu instid0(VALU_DEP_1) | instskip(NEXT) | instid1(VALU_DEP_1)
	v_fma_f64 v[78:79], v[104:105], v[76:77], v[106:107]
	v_div_scale_f64 v[104:105], null, v[78:79], v[78:79], 1.0
	s_delay_alu instid0(VALU_DEP_1) | instskip(SKIP_2) | instid1(VALU_DEP_1)
	v_rcp_f64_e32 v[106:107], v[104:105]
	s_waitcnt_depctr 0xfff
	v_fma_f64 v[108:109], -v[104:105], v[106:107], 1.0
	v_fma_f64 v[106:107], v[106:107], v[108:109], v[106:107]
	s_delay_alu instid0(VALU_DEP_1) | instskip(NEXT) | instid1(VALU_DEP_1)
	v_fma_f64 v[108:109], -v[104:105], v[106:107], 1.0
	v_fma_f64 v[106:107], v[106:107], v[108:109], v[106:107]
	v_div_scale_f64 v[108:109], vcc_lo, 1.0, v[78:79], 1.0
	s_delay_alu instid0(VALU_DEP_1) | instskip(NEXT) | instid1(VALU_DEP_1)
	v_mul_f64 v[110:111], v[108:109], v[106:107]
	v_fma_f64 v[104:105], -v[104:105], v[110:111], v[108:109]
	s_delay_alu instid0(VALU_DEP_1) | instskip(NEXT) | instid1(VALU_DEP_1)
	v_div_fmas_f64 v[104:105], v[104:105], v[106:107], v[110:111]
	v_div_fixup_f64 v[110:111], v[104:105], v[78:79], 1.0
                                        ; implicit-def: $vgpr104_vgpr105
	s_delay_alu instid0(VALU_DEP_1)
	v_mul_f64 v[112:113], v[76:77], v[110:111]
	v_xor_b32_e32 v111, 0x80000000, v111
.LBB37_68:
	s_and_not1_saveexec_b32 s3, s3
	s_cbranch_execz .LBB37_70
; %bb.69:
	v_div_scale_f64 v[76:77], null, v[104:105], v[104:105], v[106:107]
	v_div_scale_f64 v[110:111], vcc_lo, v[106:107], v[104:105], v[106:107]
	s_delay_alu instid0(VALU_DEP_2) | instskip(SKIP_2) | instid1(VALU_DEP_1)
	v_rcp_f64_e32 v[78:79], v[76:77]
	s_waitcnt_depctr 0xfff
	v_fma_f64 v[108:109], -v[76:77], v[78:79], 1.0
	v_fma_f64 v[78:79], v[78:79], v[108:109], v[78:79]
	s_delay_alu instid0(VALU_DEP_1) | instskip(NEXT) | instid1(VALU_DEP_1)
	v_fma_f64 v[108:109], -v[76:77], v[78:79], 1.0
	v_fma_f64 v[78:79], v[78:79], v[108:109], v[78:79]
	s_delay_alu instid0(VALU_DEP_1) | instskip(NEXT) | instid1(VALU_DEP_1)
	v_mul_f64 v[108:109], v[110:111], v[78:79]
	v_fma_f64 v[76:77], -v[76:77], v[108:109], v[110:111]
	s_delay_alu instid0(VALU_DEP_1) | instskip(NEXT) | instid1(VALU_DEP_1)
	v_div_fmas_f64 v[76:77], v[76:77], v[78:79], v[108:109]
	v_div_fixup_f64 v[76:77], v[76:77], v[104:105], v[106:107]
	s_delay_alu instid0(VALU_DEP_1) | instskip(NEXT) | instid1(VALU_DEP_1)
	v_fma_f64 v[78:79], v[106:107], v[76:77], v[104:105]
	v_div_scale_f64 v[104:105], null, v[78:79], v[78:79], 1.0
	s_delay_alu instid0(VALU_DEP_1) | instskip(SKIP_2) | instid1(VALU_DEP_1)
	v_rcp_f64_e32 v[106:107], v[104:105]
	s_waitcnt_depctr 0xfff
	v_fma_f64 v[108:109], -v[104:105], v[106:107], 1.0
	v_fma_f64 v[106:107], v[106:107], v[108:109], v[106:107]
	s_delay_alu instid0(VALU_DEP_1) | instskip(NEXT) | instid1(VALU_DEP_1)
	v_fma_f64 v[108:109], -v[104:105], v[106:107], 1.0
	v_fma_f64 v[106:107], v[106:107], v[108:109], v[106:107]
	v_div_scale_f64 v[108:109], vcc_lo, 1.0, v[78:79], 1.0
	s_delay_alu instid0(VALU_DEP_1) | instskip(NEXT) | instid1(VALU_DEP_1)
	v_mul_f64 v[110:111], v[108:109], v[106:107]
	v_fma_f64 v[104:105], -v[104:105], v[110:111], v[108:109]
	s_delay_alu instid0(VALU_DEP_1) | instskip(NEXT) | instid1(VALU_DEP_1)
	v_div_fmas_f64 v[104:105], v[104:105], v[106:107], v[110:111]
	v_div_fixup_f64 v[112:113], v[104:105], v[78:79], 1.0
	s_delay_alu instid0(VALU_DEP_1)
	v_mul_f64 v[110:111], v[76:77], -v[112:113]
.LBB37_70:
	s_or_b32 exec_lo, exec_lo, s3
	ds_store_2addr_b64 v74, v[112:113], v[110:111] offset1:1
.LBB37_71:
	s_or_b32 exec_lo, exec_lo, s4
	s_waitcnt lgkmcnt(0)
	s_barrier
	buffer_gl0_inv
	ds_load_2addr_b64 v[104:107], v74 offset1:1
	s_mov_b32 s3, exec_lo
	v_cmpx_lt_u32_e32 7, v255
	s_cbranch_execz .LBB37_73
; %bb.72:
	s_waitcnt lgkmcnt(0)
	v_mul_f64 v[76:77], v[104:105], v[46:47]
	v_mul_f64 v[46:47], v[106:107], v[46:47]
	ds_load_2addr_b64 v[108:111], v196 offset0:16 offset1:17
	ds_load_2addr_b64 v[112:115], v196 offset0:18 offset1:19
	;; [unrolled: 1-line block ×11, first 2 shown]
	v_fma_f64 v[76:77], v[106:107], v[44:45], v[76:77]
	v_fma_f64 v[44:45], v[104:105], v[44:45], -v[46:47]
	s_waitcnt lgkmcnt(10)
	s_delay_alu instid0(VALU_DEP_2)
	v_mul_f64 v[46:47], v[110:111], v[76:77]
	v_mul_f64 v[78:79], v[108:109], v[76:77]
	s_waitcnt lgkmcnt(9)
	v_mul_f64 v[154:155], v[114:115], v[76:77]
	v_mul_f64 v[156:157], v[112:113], v[76:77]
	s_waitcnt lgkmcnt(8)
	;; [unrolled: 3-line block ×10, first 2 shown]
	v_mul_f64 v[223:224], v[150:151], v[76:77]
	v_mul_f64 v[225:226], v[148:149], v[76:77]
	v_fma_f64 v[46:47], v[108:109], v[44:45], -v[46:47]
	v_fma_f64 v[78:79], v[110:111], v[44:45], v[78:79]
	v_fma_f64 v[108:109], v[112:113], v[44:45], -v[154:155]
	v_fma_f64 v[110:111], v[114:115], v[44:45], v[156:157]
	;; [unrolled: 2-line block ×11, first 2 shown]
	v_add_f64 v[40:41], v[40:41], -v[46:47]
	v_add_f64 v[42:43], v[42:43], -v[78:79]
	v_add_f64 v[36:37], v[36:37], -v[108:109]
	v_add_f64 v[38:39], v[38:39], -v[110:111]
	v_add_f64 v[32:33], v[32:33], -v[112:113]
	v_add_f64 v[34:35], v[34:35], -v[114:115]
	v_add_f64 v[28:29], v[28:29], -v[116:117]
	v_add_f64 v[30:31], v[30:31], -v[118:119]
	v_add_f64 v[24:25], v[24:25], -v[120:121]
	v_add_f64 v[26:27], v[26:27], -v[122:123]
	v_add_f64 v[20:21], v[20:21], -v[124:125]
	v_add_f64 v[22:23], v[22:23], -v[126:127]
	v_add_f64 v[16:17], v[16:17], -v[128:129]
	v_add_f64 v[18:19], v[18:19], -v[130:131]
	v_add_f64 v[12:13], v[12:13], -v[132:133]
	v_add_f64 v[14:15], v[14:15], -v[134:135]
	v_add_f64 v[8:9], v[8:9], -v[136:137]
	v_add_f64 v[10:11], v[10:11], -v[138:139]
	v_add_f64 v[4:5], v[4:5], -v[140:141]
	v_add_f64 v[6:7], v[6:7], -v[142:143]
	v_add_f64 v[0:1], v[0:1], -v[144:145]
	v_add_f64 v[2:3], v[2:3], -v[146:147]
	v_dual_mov_b32 v46, v76 :: v_dual_mov_b32 v47, v77
.LBB37_73:
	s_or_b32 exec_lo, exec_lo, s3
	s_delay_alu instid0(SALU_CYCLE_1)
	s_mov_b32 s4, exec_lo
	s_waitcnt lgkmcnt(0)
	s_barrier
	buffer_gl0_inv
	v_cmpx_eq_u32_e32 8, v255
	s_cbranch_execz .LBB37_80
; %bb.74:
	ds_store_2addr_b64 v74, v[40:41], v[42:43] offset1:1
	ds_store_2addr_b64 v196, v[36:37], v[38:39] offset0:18 offset1:19
	ds_store_2addr_b64 v196, v[32:33], v[34:35] offset0:20 offset1:21
	;; [unrolled: 1-line block ×10, first 2 shown]
	ds_load_2addr_b64 v[108:111], v74 offset1:1
	s_waitcnt lgkmcnt(0)
	v_cmp_neq_f64_e32 vcc_lo, 0, v[108:109]
	v_cmp_neq_f64_e64 s3, 0, v[110:111]
	s_delay_alu instid0(VALU_DEP_1) | instskip(NEXT) | instid1(SALU_CYCLE_1)
	s_or_b32 s3, vcc_lo, s3
	s_and_b32 exec_lo, exec_lo, s3
	s_cbranch_execz .LBB37_80
; %bb.75:
	v_cmp_gt_f64_e32 vcc_lo, 0, v[108:109]
	v_cmp_gt_f64_e64 s3, 0, v[110:111]
	v_xor_b32_e32 v76, 0x80000000, v109
	v_xor_b32_e32 v78, 0x80000000, v111
                                        ; implicit-def: $vgpr116_vgpr117
	s_delay_alu instid0(VALU_DEP_2) | instskip(NEXT) | instid1(VALU_DEP_2)
	v_cndmask_b32_e32 v77, v109, v76, vcc_lo
	v_cndmask_b32_e64 v79, v111, v78, s3
	v_cndmask_b32_e32 v76, v108, v108, vcc_lo
	v_cndmask_b32_e64 v78, v110, v110, s3
	s_mov_b32 s3, exec_lo
	s_delay_alu instid0(VALU_DEP_1)
	v_cmpx_ngt_f64_e32 v[76:77], v[78:79]
	s_xor_b32 s3, exec_lo, s3
                                        ; implicit-def: $vgpr112_vgpr113_vgpr114_vgpr115
	s_cbranch_execz .LBB37_77
; %bb.76:
	v_div_scale_f64 v[76:77], null, v[110:111], v[110:111], v[108:109]
	v_div_scale_f64 v[114:115], vcc_lo, v[108:109], v[110:111], v[108:109]
	s_delay_alu instid0(VALU_DEP_2) | instskip(SKIP_2) | instid1(VALU_DEP_1)
	v_rcp_f64_e32 v[78:79], v[76:77]
	s_waitcnt_depctr 0xfff
	v_fma_f64 v[112:113], -v[76:77], v[78:79], 1.0
	v_fma_f64 v[78:79], v[78:79], v[112:113], v[78:79]
	s_delay_alu instid0(VALU_DEP_1) | instskip(NEXT) | instid1(VALU_DEP_1)
	v_fma_f64 v[112:113], -v[76:77], v[78:79], 1.0
	v_fma_f64 v[78:79], v[78:79], v[112:113], v[78:79]
	s_delay_alu instid0(VALU_DEP_1) | instskip(NEXT) | instid1(VALU_DEP_1)
	v_mul_f64 v[112:113], v[114:115], v[78:79]
	v_fma_f64 v[76:77], -v[76:77], v[112:113], v[114:115]
	s_delay_alu instid0(VALU_DEP_1) | instskip(NEXT) | instid1(VALU_DEP_1)
	v_div_fmas_f64 v[76:77], v[76:77], v[78:79], v[112:113]
	v_div_fixup_f64 v[76:77], v[76:77], v[110:111], v[108:109]
	s_delay_alu instid0(VALU_DEP_1) | instskip(NEXT) | instid1(VALU_DEP_1)
	v_fma_f64 v[78:79], v[108:109], v[76:77], v[110:111]
	v_div_scale_f64 v[108:109], null, v[78:79], v[78:79], 1.0
	s_delay_alu instid0(VALU_DEP_1) | instskip(SKIP_2) | instid1(VALU_DEP_1)
	v_rcp_f64_e32 v[110:111], v[108:109]
	s_waitcnt_depctr 0xfff
	v_fma_f64 v[112:113], -v[108:109], v[110:111], 1.0
	v_fma_f64 v[110:111], v[110:111], v[112:113], v[110:111]
	s_delay_alu instid0(VALU_DEP_1) | instskip(NEXT) | instid1(VALU_DEP_1)
	v_fma_f64 v[112:113], -v[108:109], v[110:111], 1.0
	v_fma_f64 v[110:111], v[110:111], v[112:113], v[110:111]
	v_div_scale_f64 v[112:113], vcc_lo, 1.0, v[78:79], 1.0
	s_delay_alu instid0(VALU_DEP_1) | instskip(NEXT) | instid1(VALU_DEP_1)
	v_mul_f64 v[114:115], v[112:113], v[110:111]
	v_fma_f64 v[108:109], -v[108:109], v[114:115], v[112:113]
	s_delay_alu instid0(VALU_DEP_1) | instskip(NEXT) | instid1(VALU_DEP_1)
	v_div_fmas_f64 v[108:109], v[108:109], v[110:111], v[114:115]
	v_div_fixup_f64 v[114:115], v[108:109], v[78:79], 1.0
                                        ; implicit-def: $vgpr108_vgpr109
	s_delay_alu instid0(VALU_DEP_1)
	v_mul_f64 v[116:117], v[76:77], v[114:115]
	v_xor_b32_e32 v115, 0x80000000, v115
.LBB37_77:
	s_and_not1_saveexec_b32 s3, s3
	s_cbranch_execz .LBB37_79
; %bb.78:
	v_div_scale_f64 v[76:77], null, v[108:109], v[108:109], v[110:111]
	v_div_scale_f64 v[114:115], vcc_lo, v[110:111], v[108:109], v[110:111]
	s_delay_alu instid0(VALU_DEP_2) | instskip(SKIP_2) | instid1(VALU_DEP_1)
	v_rcp_f64_e32 v[78:79], v[76:77]
	s_waitcnt_depctr 0xfff
	v_fma_f64 v[112:113], -v[76:77], v[78:79], 1.0
	v_fma_f64 v[78:79], v[78:79], v[112:113], v[78:79]
	s_delay_alu instid0(VALU_DEP_1) | instskip(NEXT) | instid1(VALU_DEP_1)
	v_fma_f64 v[112:113], -v[76:77], v[78:79], 1.0
	v_fma_f64 v[78:79], v[78:79], v[112:113], v[78:79]
	s_delay_alu instid0(VALU_DEP_1) | instskip(NEXT) | instid1(VALU_DEP_1)
	v_mul_f64 v[112:113], v[114:115], v[78:79]
	v_fma_f64 v[76:77], -v[76:77], v[112:113], v[114:115]
	s_delay_alu instid0(VALU_DEP_1) | instskip(NEXT) | instid1(VALU_DEP_1)
	v_div_fmas_f64 v[76:77], v[76:77], v[78:79], v[112:113]
	v_div_fixup_f64 v[76:77], v[76:77], v[108:109], v[110:111]
	s_delay_alu instid0(VALU_DEP_1) | instskip(NEXT) | instid1(VALU_DEP_1)
	v_fma_f64 v[78:79], v[110:111], v[76:77], v[108:109]
	v_div_scale_f64 v[108:109], null, v[78:79], v[78:79], 1.0
	s_delay_alu instid0(VALU_DEP_1) | instskip(SKIP_2) | instid1(VALU_DEP_1)
	v_rcp_f64_e32 v[110:111], v[108:109]
	s_waitcnt_depctr 0xfff
	v_fma_f64 v[112:113], -v[108:109], v[110:111], 1.0
	v_fma_f64 v[110:111], v[110:111], v[112:113], v[110:111]
	s_delay_alu instid0(VALU_DEP_1) | instskip(NEXT) | instid1(VALU_DEP_1)
	v_fma_f64 v[112:113], -v[108:109], v[110:111], 1.0
	v_fma_f64 v[110:111], v[110:111], v[112:113], v[110:111]
	v_div_scale_f64 v[112:113], vcc_lo, 1.0, v[78:79], 1.0
	s_delay_alu instid0(VALU_DEP_1) | instskip(NEXT) | instid1(VALU_DEP_1)
	v_mul_f64 v[114:115], v[112:113], v[110:111]
	v_fma_f64 v[108:109], -v[108:109], v[114:115], v[112:113]
	s_delay_alu instid0(VALU_DEP_1) | instskip(NEXT) | instid1(VALU_DEP_1)
	v_div_fmas_f64 v[108:109], v[108:109], v[110:111], v[114:115]
	v_div_fixup_f64 v[116:117], v[108:109], v[78:79], 1.0
	s_delay_alu instid0(VALU_DEP_1)
	v_mul_f64 v[114:115], v[76:77], -v[116:117]
.LBB37_79:
	s_or_b32 exec_lo, exec_lo, s3
	ds_store_2addr_b64 v74, v[116:117], v[114:115] offset1:1
.LBB37_80:
	s_or_b32 exec_lo, exec_lo, s4
	s_waitcnt lgkmcnt(0)
	s_barrier
	buffer_gl0_inv
	ds_load_2addr_b64 v[108:111], v74 offset1:1
	s_mov_b32 s3, exec_lo
	v_cmpx_lt_u32_e32 8, v255
	s_cbranch_execz .LBB37_82
; %bb.81:
	s_waitcnt lgkmcnt(0)
	v_mul_f64 v[76:77], v[108:109], v[42:43]
	v_mul_f64 v[42:43], v[110:111], v[42:43]
	ds_load_2addr_b64 v[112:115], v196 offset0:18 offset1:19
	ds_load_2addr_b64 v[116:119], v196 offset0:20 offset1:21
	ds_load_2addr_b64 v[120:123], v196 offset0:22 offset1:23
	ds_load_2addr_b64 v[124:127], v196 offset0:24 offset1:25
	ds_load_2addr_b64 v[128:131], v196 offset0:26 offset1:27
	ds_load_2addr_b64 v[132:135], v196 offset0:28 offset1:29
	ds_load_2addr_b64 v[136:139], v196 offset0:30 offset1:31
	ds_load_2addr_b64 v[140:143], v196 offset0:32 offset1:33
	ds_load_2addr_b64 v[144:147], v196 offset0:34 offset1:35
	ds_load_2addr_b64 v[148:151], v196 offset0:36 offset1:37
	v_fma_f64 v[76:77], v[110:111], v[40:41], v[76:77]
	v_fma_f64 v[40:41], v[108:109], v[40:41], -v[42:43]
	s_waitcnt lgkmcnt(9)
	s_delay_alu instid0(VALU_DEP_2)
	v_mul_f64 v[42:43], v[114:115], v[76:77]
	v_mul_f64 v[78:79], v[112:113], v[76:77]
	s_waitcnt lgkmcnt(8)
	v_mul_f64 v[154:155], v[118:119], v[76:77]
	v_mul_f64 v[156:157], v[116:117], v[76:77]
	s_waitcnt lgkmcnt(7)
	;; [unrolled: 3-line block ×9, first 2 shown]
	v_mul_f64 v[219:220], v[150:151], v[76:77]
	v_mul_f64 v[221:222], v[148:149], v[76:77]
	v_fma_f64 v[42:43], v[112:113], v[40:41], -v[42:43]
	v_fma_f64 v[78:79], v[114:115], v[40:41], v[78:79]
	v_fma_f64 v[112:113], v[116:117], v[40:41], -v[154:155]
	v_fma_f64 v[114:115], v[118:119], v[40:41], v[156:157]
	;; [unrolled: 2-line block ×10, first 2 shown]
	v_add_f64 v[36:37], v[36:37], -v[42:43]
	v_add_f64 v[38:39], v[38:39], -v[78:79]
	;; [unrolled: 1-line block ×20, first 2 shown]
	v_dual_mov_b32 v42, v76 :: v_dual_mov_b32 v43, v77
.LBB37_82:
	s_or_b32 exec_lo, exec_lo, s3
	s_delay_alu instid0(SALU_CYCLE_1)
	s_mov_b32 s4, exec_lo
	s_waitcnt lgkmcnt(0)
	s_barrier
	buffer_gl0_inv
	v_cmpx_eq_u32_e32 9, v255
	s_cbranch_execz .LBB37_89
; %bb.83:
	ds_store_2addr_b64 v74, v[36:37], v[38:39] offset1:1
	ds_store_2addr_b64 v196, v[32:33], v[34:35] offset0:20 offset1:21
	ds_store_2addr_b64 v196, v[28:29], v[30:31] offset0:22 offset1:23
	;; [unrolled: 1-line block ×9, first 2 shown]
	ds_load_2addr_b64 v[112:115], v74 offset1:1
	s_waitcnt lgkmcnt(0)
	v_cmp_neq_f64_e32 vcc_lo, 0, v[112:113]
	v_cmp_neq_f64_e64 s3, 0, v[114:115]
	s_delay_alu instid0(VALU_DEP_1) | instskip(NEXT) | instid1(SALU_CYCLE_1)
	s_or_b32 s3, vcc_lo, s3
	s_and_b32 exec_lo, exec_lo, s3
	s_cbranch_execz .LBB37_89
; %bb.84:
	v_cmp_gt_f64_e32 vcc_lo, 0, v[112:113]
	v_cmp_gt_f64_e64 s3, 0, v[114:115]
	v_xor_b32_e32 v76, 0x80000000, v113
	v_xor_b32_e32 v78, 0x80000000, v115
                                        ; implicit-def: $vgpr120_vgpr121
	s_delay_alu instid0(VALU_DEP_2) | instskip(NEXT) | instid1(VALU_DEP_2)
	v_cndmask_b32_e32 v77, v113, v76, vcc_lo
	v_cndmask_b32_e64 v79, v115, v78, s3
	v_cndmask_b32_e32 v76, v112, v112, vcc_lo
	v_cndmask_b32_e64 v78, v114, v114, s3
	s_mov_b32 s3, exec_lo
	s_delay_alu instid0(VALU_DEP_1)
	v_cmpx_ngt_f64_e32 v[76:77], v[78:79]
	s_xor_b32 s3, exec_lo, s3
                                        ; implicit-def: $vgpr116_vgpr117_vgpr118_vgpr119
	s_cbranch_execz .LBB37_86
; %bb.85:
	v_div_scale_f64 v[76:77], null, v[114:115], v[114:115], v[112:113]
	v_div_scale_f64 v[118:119], vcc_lo, v[112:113], v[114:115], v[112:113]
	s_delay_alu instid0(VALU_DEP_2) | instskip(SKIP_2) | instid1(VALU_DEP_1)
	v_rcp_f64_e32 v[78:79], v[76:77]
	s_waitcnt_depctr 0xfff
	v_fma_f64 v[116:117], -v[76:77], v[78:79], 1.0
	v_fma_f64 v[78:79], v[78:79], v[116:117], v[78:79]
	s_delay_alu instid0(VALU_DEP_1) | instskip(NEXT) | instid1(VALU_DEP_1)
	v_fma_f64 v[116:117], -v[76:77], v[78:79], 1.0
	v_fma_f64 v[78:79], v[78:79], v[116:117], v[78:79]
	s_delay_alu instid0(VALU_DEP_1) | instskip(NEXT) | instid1(VALU_DEP_1)
	v_mul_f64 v[116:117], v[118:119], v[78:79]
	v_fma_f64 v[76:77], -v[76:77], v[116:117], v[118:119]
	s_delay_alu instid0(VALU_DEP_1) | instskip(NEXT) | instid1(VALU_DEP_1)
	v_div_fmas_f64 v[76:77], v[76:77], v[78:79], v[116:117]
	v_div_fixup_f64 v[76:77], v[76:77], v[114:115], v[112:113]
	s_delay_alu instid0(VALU_DEP_1) | instskip(NEXT) | instid1(VALU_DEP_1)
	v_fma_f64 v[78:79], v[112:113], v[76:77], v[114:115]
	v_div_scale_f64 v[112:113], null, v[78:79], v[78:79], 1.0
	s_delay_alu instid0(VALU_DEP_1) | instskip(SKIP_2) | instid1(VALU_DEP_1)
	v_rcp_f64_e32 v[114:115], v[112:113]
	s_waitcnt_depctr 0xfff
	v_fma_f64 v[116:117], -v[112:113], v[114:115], 1.0
	v_fma_f64 v[114:115], v[114:115], v[116:117], v[114:115]
	s_delay_alu instid0(VALU_DEP_1) | instskip(NEXT) | instid1(VALU_DEP_1)
	v_fma_f64 v[116:117], -v[112:113], v[114:115], 1.0
	v_fma_f64 v[114:115], v[114:115], v[116:117], v[114:115]
	v_div_scale_f64 v[116:117], vcc_lo, 1.0, v[78:79], 1.0
	s_delay_alu instid0(VALU_DEP_1) | instskip(NEXT) | instid1(VALU_DEP_1)
	v_mul_f64 v[118:119], v[116:117], v[114:115]
	v_fma_f64 v[112:113], -v[112:113], v[118:119], v[116:117]
	s_delay_alu instid0(VALU_DEP_1) | instskip(NEXT) | instid1(VALU_DEP_1)
	v_div_fmas_f64 v[112:113], v[112:113], v[114:115], v[118:119]
	v_div_fixup_f64 v[118:119], v[112:113], v[78:79], 1.0
                                        ; implicit-def: $vgpr112_vgpr113
	s_delay_alu instid0(VALU_DEP_1)
	v_mul_f64 v[120:121], v[76:77], v[118:119]
	v_xor_b32_e32 v119, 0x80000000, v119
.LBB37_86:
	s_and_not1_saveexec_b32 s3, s3
	s_cbranch_execz .LBB37_88
; %bb.87:
	v_div_scale_f64 v[76:77], null, v[112:113], v[112:113], v[114:115]
	v_div_scale_f64 v[118:119], vcc_lo, v[114:115], v[112:113], v[114:115]
	s_delay_alu instid0(VALU_DEP_2) | instskip(SKIP_2) | instid1(VALU_DEP_1)
	v_rcp_f64_e32 v[78:79], v[76:77]
	s_waitcnt_depctr 0xfff
	v_fma_f64 v[116:117], -v[76:77], v[78:79], 1.0
	v_fma_f64 v[78:79], v[78:79], v[116:117], v[78:79]
	s_delay_alu instid0(VALU_DEP_1) | instskip(NEXT) | instid1(VALU_DEP_1)
	v_fma_f64 v[116:117], -v[76:77], v[78:79], 1.0
	v_fma_f64 v[78:79], v[78:79], v[116:117], v[78:79]
	s_delay_alu instid0(VALU_DEP_1) | instskip(NEXT) | instid1(VALU_DEP_1)
	v_mul_f64 v[116:117], v[118:119], v[78:79]
	v_fma_f64 v[76:77], -v[76:77], v[116:117], v[118:119]
	s_delay_alu instid0(VALU_DEP_1) | instskip(NEXT) | instid1(VALU_DEP_1)
	v_div_fmas_f64 v[76:77], v[76:77], v[78:79], v[116:117]
	v_div_fixup_f64 v[76:77], v[76:77], v[112:113], v[114:115]
	s_delay_alu instid0(VALU_DEP_1) | instskip(NEXT) | instid1(VALU_DEP_1)
	v_fma_f64 v[78:79], v[114:115], v[76:77], v[112:113]
	v_div_scale_f64 v[112:113], null, v[78:79], v[78:79], 1.0
	s_delay_alu instid0(VALU_DEP_1) | instskip(SKIP_2) | instid1(VALU_DEP_1)
	v_rcp_f64_e32 v[114:115], v[112:113]
	s_waitcnt_depctr 0xfff
	v_fma_f64 v[116:117], -v[112:113], v[114:115], 1.0
	v_fma_f64 v[114:115], v[114:115], v[116:117], v[114:115]
	s_delay_alu instid0(VALU_DEP_1) | instskip(NEXT) | instid1(VALU_DEP_1)
	v_fma_f64 v[116:117], -v[112:113], v[114:115], 1.0
	v_fma_f64 v[114:115], v[114:115], v[116:117], v[114:115]
	v_div_scale_f64 v[116:117], vcc_lo, 1.0, v[78:79], 1.0
	s_delay_alu instid0(VALU_DEP_1) | instskip(NEXT) | instid1(VALU_DEP_1)
	v_mul_f64 v[118:119], v[116:117], v[114:115]
	v_fma_f64 v[112:113], -v[112:113], v[118:119], v[116:117]
	s_delay_alu instid0(VALU_DEP_1) | instskip(NEXT) | instid1(VALU_DEP_1)
	v_div_fmas_f64 v[112:113], v[112:113], v[114:115], v[118:119]
	v_div_fixup_f64 v[120:121], v[112:113], v[78:79], 1.0
	s_delay_alu instid0(VALU_DEP_1)
	v_mul_f64 v[118:119], v[76:77], -v[120:121]
.LBB37_88:
	s_or_b32 exec_lo, exec_lo, s3
	ds_store_2addr_b64 v74, v[120:121], v[118:119] offset1:1
.LBB37_89:
	s_or_b32 exec_lo, exec_lo, s4
	s_waitcnt lgkmcnt(0)
	s_barrier
	buffer_gl0_inv
	ds_load_2addr_b64 v[112:115], v74 offset1:1
	s_mov_b32 s3, exec_lo
	v_cmpx_lt_u32_e32 9, v255
	s_cbranch_execz .LBB37_91
; %bb.90:
	s_waitcnt lgkmcnt(0)
	v_mul_f64 v[76:77], v[112:113], v[38:39]
	v_mul_f64 v[38:39], v[114:115], v[38:39]
	ds_load_2addr_b64 v[116:119], v196 offset0:20 offset1:21
	ds_load_2addr_b64 v[120:123], v196 offset0:22 offset1:23
	ds_load_2addr_b64 v[124:127], v196 offset0:24 offset1:25
	ds_load_2addr_b64 v[128:131], v196 offset0:26 offset1:27
	ds_load_2addr_b64 v[132:135], v196 offset0:28 offset1:29
	ds_load_2addr_b64 v[136:139], v196 offset0:30 offset1:31
	ds_load_2addr_b64 v[140:143], v196 offset0:32 offset1:33
	ds_load_2addr_b64 v[144:147], v196 offset0:34 offset1:35
	ds_load_2addr_b64 v[148:151], v196 offset0:36 offset1:37
	v_fma_f64 v[76:77], v[114:115], v[36:37], v[76:77]
	v_fma_f64 v[36:37], v[112:113], v[36:37], -v[38:39]
	s_waitcnt lgkmcnt(8)
	s_delay_alu instid0(VALU_DEP_2)
	v_mul_f64 v[38:39], v[118:119], v[76:77]
	v_mul_f64 v[78:79], v[116:117], v[76:77]
	s_waitcnt lgkmcnt(7)
	v_mul_f64 v[154:155], v[122:123], v[76:77]
	v_mul_f64 v[156:157], v[120:121], v[76:77]
	s_waitcnt lgkmcnt(6)
	;; [unrolled: 3-line block ×8, first 2 shown]
	v_mul_f64 v[215:216], v[150:151], v[76:77]
	v_mul_f64 v[217:218], v[148:149], v[76:77]
	v_fma_f64 v[38:39], v[116:117], v[36:37], -v[38:39]
	v_fma_f64 v[78:79], v[118:119], v[36:37], v[78:79]
	v_fma_f64 v[116:117], v[120:121], v[36:37], -v[154:155]
	v_fma_f64 v[118:119], v[122:123], v[36:37], v[156:157]
	;; [unrolled: 2-line block ×9, first 2 shown]
	v_add_f64 v[32:33], v[32:33], -v[38:39]
	v_add_f64 v[34:35], v[34:35], -v[78:79]
	;; [unrolled: 1-line block ×18, first 2 shown]
	v_dual_mov_b32 v38, v76 :: v_dual_mov_b32 v39, v77
.LBB37_91:
	s_or_b32 exec_lo, exec_lo, s3
	s_delay_alu instid0(SALU_CYCLE_1)
	s_mov_b32 s4, exec_lo
	s_waitcnt lgkmcnt(0)
	s_barrier
	buffer_gl0_inv
	v_cmpx_eq_u32_e32 10, v255
	s_cbranch_execz .LBB37_98
; %bb.92:
	ds_store_2addr_b64 v74, v[32:33], v[34:35] offset1:1
	ds_store_2addr_b64 v196, v[28:29], v[30:31] offset0:22 offset1:23
	ds_store_2addr_b64 v196, v[24:25], v[26:27] offset0:24 offset1:25
	;; [unrolled: 1-line block ×8, first 2 shown]
	ds_load_2addr_b64 v[116:119], v74 offset1:1
	s_waitcnt lgkmcnt(0)
	v_cmp_neq_f64_e32 vcc_lo, 0, v[116:117]
	v_cmp_neq_f64_e64 s3, 0, v[118:119]
	s_delay_alu instid0(VALU_DEP_1) | instskip(NEXT) | instid1(SALU_CYCLE_1)
	s_or_b32 s3, vcc_lo, s3
	s_and_b32 exec_lo, exec_lo, s3
	s_cbranch_execz .LBB37_98
; %bb.93:
	v_cmp_gt_f64_e32 vcc_lo, 0, v[116:117]
	v_cmp_gt_f64_e64 s3, 0, v[118:119]
	v_xor_b32_e32 v76, 0x80000000, v117
	v_xor_b32_e32 v78, 0x80000000, v119
                                        ; implicit-def: $vgpr124_vgpr125
	s_delay_alu instid0(VALU_DEP_2) | instskip(NEXT) | instid1(VALU_DEP_2)
	v_cndmask_b32_e32 v77, v117, v76, vcc_lo
	v_cndmask_b32_e64 v79, v119, v78, s3
	v_cndmask_b32_e32 v76, v116, v116, vcc_lo
	v_cndmask_b32_e64 v78, v118, v118, s3
	s_mov_b32 s3, exec_lo
	s_delay_alu instid0(VALU_DEP_1)
	v_cmpx_ngt_f64_e32 v[76:77], v[78:79]
	s_xor_b32 s3, exec_lo, s3
                                        ; implicit-def: $vgpr120_vgpr121_vgpr122_vgpr123
	s_cbranch_execz .LBB37_95
; %bb.94:
	v_div_scale_f64 v[76:77], null, v[118:119], v[118:119], v[116:117]
	v_div_scale_f64 v[122:123], vcc_lo, v[116:117], v[118:119], v[116:117]
	s_delay_alu instid0(VALU_DEP_2) | instskip(SKIP_2) | instid1(VALU_DEP_1)
	v_rcp_f64_e32 v[78:79], v[76:77]
	s_waitcnt_depctr 0xfff
	v_fma_f64 v[120:121], -v[76:77], v[78:79], 1.0
	v_fma_f64 v[78:79], v[78:79], v[120:121], v[78:79]
	s_delay_alu instid0(VALU_DEP_1) | instskip(NEXT) | instid1(VALU_DEP_1)
	v_fma_f64 v[120:121], -v[76:77], v[78:79], 1.0
	v_fma_f64 v[78:79], v[78:79], v[120:121], v[78:79]
	s_delay_alu instid0(VALU_DEP_1) | instskip(NEXT) | instid1(VALU_DEP_1)
	v_mul_f64 v[120:121], v[122:123], v[78:79]
	v_fma_f64 v[76:77], -v[76:77], v[120:121], v[122:123]
	s_delay_alu instid0(VALU_DEP_1) | instskip(NEXT) | instid1(VALU_DEP_1)
	v_div_fmas_f64 v[76:77], v[76:77], v[78:79], v[120:121]
	v_div_fixup_f64 v[76:77], v[76:77], v[118:119], v[116:117]
	s_delay_alu instid0(VALU_DEP_1) | instskip(NEXT) | instid1(VALU_DEP_1)
	v_fma_f64 v[78:79], v[116:117], v[76:77], v[118:119]
	v_div_scale_f64 v[116:117], null, v[78:79], v[78:79], 1.0
	s_delay_alu instid0(VALU_DEP_1) | instskip(SKIP_2) | instid1(VALU_DEP_1)
	v_rcp_f64_e32 v[118:119], v[116:117]
	s_waitcnt_depctr 0xfff
	v_fma_f64 v[120:121], -v[116:117], v[118:119], 1.0
	v_fma_f64 v[118:119], v[118:119], v[120:121], v[118:119]
	s_delay_alu instid0(VALU_DEP_1) | instskip(NEXT) | instid1(VALU_DEP_1)
	v_fma_f64 v[120:121], -v[116:117], v[118:119], 1.0
	v_fma_f64 v[118:119], v[118:119], v[120:121], v[118:119]
	v_div_scale_f64 v[120:121], vcc_lo, 1.0, v[78:79], 1.0
	s_delay_alu instid0(VALU_DEP_1) | instskip(NEXT) | instid1(VALU_DEP_1)
	v_mul_f64 v[122:123], v[120:121], v[118:119]
	v_fma_f64 v[116:117], -v[116:117], v[122:123], v[120:121]
	s_delay_alu instid0(VALU_DEP_1) | instskip(NEXT) | instid1(VALU_DEP_1)
	v_div_fmas_f64 v[116:117], v[116:117], v[118:119], v[122:123]
	v_div_fixup_f64 v[122:123], v[116:117], v[78:79], 1.0
                                        ; implicit-def: $vgpr116_vgpr117
	s_delay_alu instid0(VALU_DEP_1)
	v_mul_f64 v[124:125], v[76:77], v[122:123]
	v_xor_b32_e32 v123, 0x80000000, v123
.LBB37_95:
	s_and_not1_saveexec_b32 s3, s3
	s_cbranch_execz .LBB37_97
; %bb.96:
	v_div_scale_f64 v[76:77], null, v[116:117], v[116:117], v[118:119]
	v_div_scale_f64 v[122:123], vcc_lo, v[118:119], v[116:117], v[118:119]
	s_delay_alu instid0(VALU_DEP_2) | instskip(SKIP_2) | instid1(VALU_DEP_1)
	v_rcp_f64_e32 v[78:79], v[76:77]
	s_waitcnt_depctr 0xfff
	v_fma_f64 v[120:121], -v[76:77], v[78:79], 1.0
	v_fma_f64 v[78:79], v[78:79], v[120:121], v[78:79]
	s_delay_alu instid0(VALU_DEP_1) | instskip(NEXT) | instid1(VALU_DEP_1)
	v_fma_f64 v[120:121], -v[76:77], v[78:79], 1.0
	v_fma_f64 v[78:79], v[78:79], v[120:121], v[78:79]
	s_delay_alu instid0(VALU_DEP_1) | instskip(NEXT) | instid1(VALU_DEP_1)
	v_mul_f64 v[120:121], v[122:123], v[78:79]
	v_fma_f64 v[76:77], -v[76:77], v[120:121], v[122:123]
	s_delay_alu instid0(VALU_DEP_1) | instskip(NEXT) | instid1(VALU_DEP_1)
	v_div_fmas_f64 v[76:77], v[76:77], v[78:79], v[120:121]
	v_div_fixup_f64 v[76:77], v[76:77], v[116:117], v[118:119]
	s_delay_alu instid0(VALU_DEP_1) | instskip(NEXT) | instid1(VALU_DEP_1)
	v_fma_f64 v[78:79], v[118:119], v[76:77], v[116:117]
	v_div_scale_f64 v[116:117], null, v[78:79], v[78:79], 1.0
	s_delay_alu instid0(VALU_DEP_1) | instskip(SKIP_2) | instid1(VALU_DEP_1)
	v_rcp_f64_e32 v[118:119], v[116:117]
	s_waitcnt_depctr 0xfff
	v_fma_f64 v[120:121], -v[116:117], v[118:119], 1.0
	v_fma_f64 v[118:119], v[118:119], v[120:121], v[118:119]
	s_delay_alu instid0(VALU_DEP_1) | instskip(NEXT) | instid1(VALU_DEP_1)
	v_fma_f64 v[120:121], -v[116:117], v[118:119], 1.0
	v_fma_f64 v[118:119], v[118:119], v[120:121], v[118:119]
	v_div_scale_f64 v[120:121], vcc_lo, 1.0, v[78:79], 1.0
	s_delay_alu instid0(VALU_DEP_1) | instskip(NEXT) | instid1(VALU_DEP_1)
	v_mul_f64 v[122:123], v[120:121], v[118:119]
	v_fma_f64 v[116:117], -v[116:117], v[122:123], v[120:121]
	s_delay_alu instid0(VALU_DEP_1) | instskip(NEXT) | instid1(VALU_DEP_1)
	v_div_fmas_f64 v[116:117], v[116:117], v[118:119], v[122:123]
	v_div_fixup_f64 v[124:125], v[116:117], v[78:79], 1.0
	s_delay_alu instid0(VALU_DEP_1)
	v_mul_f64 v[122:123], v[76:77], -v[124:125]
.LBB37_97:
	s_or_b32 exec_lo, exec_lo, s3
	ds_store_2addr_b64 v74, v[124:125], v[122:123] offset1:1
.LBB37_98:
	s_or_b32 exec_lo, exec_lo, s4
	s_waitcnt lgkmcnt(0)
	s_barrier
	buffer_gl0_inv
	ds_load_2addr_b64 v[116:119], v74 offset1:1
	s_mov_b32 s3, exec_lo
	v_cmpx_lt_u32_e32 10, v255
	s_cbranch_execz .LBB37_100
; %bb.99:
	s_waitcnt lgkmcnt(0)
	v_mul_f64 v[76:77], v[116:117], v[34:35]
	v_mul_f64 v[34:35], v[118:119], v[34:35]
	ds_load_2addr_b64 v[120:123], v196 offset0:22 offset1:23
	ds_load_2addr_b64 v[124:127], v196 offset0:24 offset1:25
	;; [unrolled: 1-line block ×8, first 2 shown]
	v_fma_f64 v[76:77], v[118:119], v[32:33], v[76:77]
	v_fma_f64 v[32:33], v[116:117], v[32:33], -v[34:35]
	s_waitcnt lgkmcnt(7)
	s_delay_alu instid0(VALU_DEP_2)
	v_mul_f64 v[34:35], v[122:123], v[76:77]
	v_mul_f64 v[78:79], v[120:121], v[76:77]
	s_waitcnt lgkmcnt(6)
	v_mul_f64 v[154:155], v[126:127], v[76:77]
	v_mul_f64 v[156:157], v[124:125], v[76:77]
	s_waitcnt lgkmcnt(5)
	;; [unrolled: 3-line block ×7, first 2 shown]
	v_mul_f64 v[211:212], v[150:151], v[76:77]
	v_mul_f64 v[213:214], v[148:149], v[76:77]
	v_fma_f64 v[34:35], v[120:121], v[32:33], -v[34:35]
	v_fma_f64 v[78:79], v[122:123], v[32:33], v[78:79]
	v_fma_f64 v[120:121], v[124:125], v[32:33], -v[154:155]
	v_fma_f64 v[122:123], v[126:127], v[32:33], v[156:157]
	;; [unrolled: 2-line block ×8, first 2 shown]
	v_add_f64 v[28:29], v[28:29], -v[34:35]
	v_add_f64 v[30:31], v[30:31], -v[78:79]
	;; [unrolled: 1-line block ×16, first 2 shown]
	v_dual_mov_b32 v34, v76 :: v_dual_mov_b32 v35, v77
.LBB37_100:
	s_or_b32 exec_lo, exec_lo, s3
	s_delay_alu instid0(SALU_CYCLE_1)
	s_mov_b32 s4, exec_lo
	s_waitcnt lgkmcnt(0)
	s_barrier
	buffer_gl0_inv
	v_cmpx_eq_u32_e32 11, v255
	s_cbranch_execz .LBB37_107
; %bb.101:
	ds_store_2addr_b64 v74, v[28:29], v[30:31] offset1:1
	ds_store_2addr_b64 v196, v[24:25], v[26:27] offset0:24 offset1:25
	ds_store_2addr_b64 v196, v[20:21], v[22:23] offset0:26 offset1:27
	;; [unrolled: 1-line block ×7, first 2 shown]
	ds_load_2addr_b64 v[120:123], v74 offset1:1
	s_waitcnt lgkmcnt(0)
	v_cmp_neq_f64_e32 vcc_lo, 0, v[120:121]
	v_cmp_neq_f64_e64 s3, 0, v[122:123]
	s_delay_alu instid0(VALU_DEP_1) | instskip(NEXT) | instid1(SALU_CYCLE_1)
	s_or_b32 s3, vcc_lo, s3
	s_and_b32 exec_lo, exec_lo, s3
	s_cbranch_execz .LBB37_107
; %bb.102:
	v_cmp_gt_f64_e32 vcc_lo, 0, v[120:121]
	v_cmp_gt_f64_e64 s3, 0, v[122:123]
	v_xor_b32_e32 v76, 0x80000000, v121
	v_xor_b32_e32 v78, 0x80000000, v123
                                        ; implicit-def: $vgpr128_vgpr129
	s_delay_alu instid0(VALU_DEP_2) | instskip(NEXT) | instid1(VALU_DEP_2)
	v_cndmask_b32_e32 v77, v121, v76, vcc_lo
	v_cndmask_b32_e64 v79, v123, v78, s3
	v_cndmask_b32_e32 v76, v120, v120, vcc_lo
	v_cndmask_b32_e64 v78, v122, v122, s3
	s_mov_b32 s3, exec_lo
	s_delay_alu instid0(VALU_DEP_1)
	v_cmpx_ngt_f64_e32 v[76:77], v[78:79]
	s_xor_b32 s3, exec_lo, s3
                                        ; implicit-def: $vgpr124_vgpr125_vgpr126_vgpr127
	s_cbranch_execz .LBB37_104
; %bb.103:
	v_div_scale_f64 v[76:77], null, v[122:123], v[122:123], v[120:121]
	v_div_scale_f64 v[126:127], vcc_lo, v[120:121], v[122:123], v[120:121]
	s_delay_alu instid0(VALU_DEP_2) | instskip(SKIP_2) | instid1(VALU_DEP_1)
	v_rcp_f64_e32 v[78:79], v[76:77]
	s_waitcnt_depctr 0xfff
	v_fma_f64 v[124:125], -v[76:77], v[78:79], 1.0
	v_fma_f64 v[78:79], v[78:79], v[124:125], v[78:79]
	s_delay_alu instid0(VALU_DEP_1) | instskip(NEXT) | instid1(VALU_DEP_1)
	v_fma_f64 v[124:125], -v[76:77], v[78:79], 1.0
	v_fma_f64 v[78:79], v[78:79], v[124:125], v[78:79]
	s_delay_alu instid0(VALU_DEP_1) | instskip(NEXT) | instid1(VALU_DEP_1)
	v_mul_f64 v[124:125], v[126:127], v[78:79]
	v_fma_f64 v[76:77], -v[76:77], v[124:125], v[126:127]
	s_delay_alu instid0(VALU_DEP_1) | instskip(NEXT) | instid1(VALU_DEP_1)
	v_div_fmas_f64 v[76:77], v[76:77], v[78:79], v[124:125]
	v_div_fixup_f64 v[76:77], v[76:77], v[122:123], v[120:121]
	s_delay_alu instid0(VALU_DEP_1) | instskip(NEXT) | instid1(VALU_DEP_1)
	v_fma_f64 v[78:79], v[120:121], v[76:77], v[122:123]
	v_div_scale_f64 v[120:121], null, v[78:79], v[78:79], 1.0
	s_delay_alu instid0(VALU_DEP_1) | instskip(SKIP_2) | instid1(VALU_DEP_1)
	v_rcp_f64_e32 v[122:123], v[120:121]
	s_waitcnt_depctr 0xfff
	v_fma_f64 v[124:125], -v[120:121], v[122:123], 1.0
	v_fma_f64 v[122:123], v[122:123], v[124:125], v[122:123]
	s_delay_alu instid0(VALU_DEP_1) | instskip(NEXT) | instid1(VALU_DEP_1)
	v_fma_f64 v[124:125], -v[120:121], v[122:123], 1.0
	v_fma_f64 v[122:123], v[122:123], v[124:125], v[122:123]
	v_div_scale_f64 v[124:125], vcc_lo, 1.0, v[78:79], 1.0
	s_delay_alu instid0(VALU_DEP_1) | instskip(NEXT) | instid1(VALU_DEP_1)
	v_mul_f64 v[126:127], v[124:125], v[122:123]
	v_fma_f64 v[120:121], -v[120:121], v[126:127], v[124:125]
	s_delay_alu instid0(VALU_DEP_1) | instskip(NEXT) | instid1(VALU_DEP_1)
	v_div_fmas_f64 v[120:121], v[120:121], v[122:123], v[126:127]
	v_div_fixup_f64 v[126:127], v[120:121], v[78:79], 1.0
                                        ; implicit-def: $vgpr120_vgpr121
	s_delay_alu instid0(VALU_DEP_1)
	v_mul_f64 v[128:129], v[76:77], v[126:127]
	v_xor_b32_e32 v127, 0x80000000, v127
.LBB37_104:
	s_and_not1_saveexec_b32 s3, s3
	s_cbranch_execz .LBB37_106
; %bb.105:
	v_div_scale_f64 v[76:77], null, v[120:121], v[120:121], v[122:123]
	v_div_scale_f64 v[126:127], vcc_lo, v[122:123], v[120:121], v[122:123]
	s_delay_alu instid0(VALU_DEP_2) | instskip(SKIP_2) | instid1(VALU_DEP_1)
	v_rcp_f64_e32 v[78:79], v[76:77]
	s_waitcnt_depctr 0xfff
	v_fma_f64 v[124:125], -v[76:77], v[78:79], 1.0
	v_fma_f64 v[78:79], v[78:79], v[124:125], v[78:79]
	s_delay_alu instid0(VALU_DEP_1) | instskip(NEXT) | instid1(VALU_DEP_1)
	v_fma_f64 v[124:125], -v[76:77], v[78:79], 1.0
	v_fma_f64 v[78:79], v[78:79], v[124:125], v[78:79]
	s_delay_alu instid0(VALU_DEP_1) | instskip(NEXT) | instid1(VALU_DEP_1)
	v_mul_f64 v[124:125], v[126:127], v[78:79]
	v_fma_f64 v[76:77], -v[76:77], v[124:125], v[126:127]
	s_delay_alu instid0(VALU_DEP_1) | instskip(NEXT) | instid1(VALU_DEP_1)
	v_div_fmas_f64 v[76:77], v[76:77], v[78:79], v[124:125]
	v_div_fixup_f64 v[76:77], v[76:77], v[120:121], v[122:123]
	s_delay_alu instid0(VALU_DEP_1) | instskip(NEXT) | instid1(VALU_DEP_1)
	v_fma_f64 v[78:79], v[122:123], v[76:77], v[120:121]
	v_div_scale_f64 v[120:121], null, v[78:79], v[78:79], 1.0
	s_delay_alu instid0(VALU_DEP_1) | instskip(SKIP_2) | instid1(VALU_DEP_1)
	v_rcp_f64_e32 v[122:123], v[120:121]
	s_waitcnt_depctr 0xfff
	v_fma_f64 v[124:125], -v[120:121], v[122:123], 1.0
	v_fma_f64 v[122:123], v[122:123], v[124:125], v[122:123]
	s_delay_alu instid0(VALU_DEP_1) | instskip(NEXT) | instid1(VALU_DEP_1)
	v_fma_f64 v[124:125], -v[120:121], v[122:123], 1.0
	v_fma_f64 v[122:123], v[122:123], v[124:125], v[122:123]
	v_div_scale_f64 v[124:125], vcc_lo, 1.0, v[78:79], 1.0
	s_delay_alu instid0(VALU_DEP_1) | instskip(NEXT) | instid1(VALU_DEP_1)
	v_mul_f64 v[126:127], v[124:125], v[122:123]
	v_fma_f64 v[120:121], -v[120:121], v[126:127], v[124:125]
	s_delay_alu instid0(VALU_DEP_1) | instskip(NEXT) | instid1(VALU_DEP_1)
	v_div_fmas_f64 v[120:121], v[120:121], v[122:123], v[126:127]
	v_div_fixup_f64 v[128:129], v[120:121], v[78:79], 1.0
	s_delay_alu instid0(VALU_DEP_1)
	v_mul_f64 v[126:127], v[76:77], -v[128:129]
.LBB37_106:
	s_or_b32 exec_lo, exec_lo, s3
	ds_store_2addr_b64 v74, v[128:129], v[126:127] offset1:1
.LBB37_107:
	s_or_b32 exec_lo, exec_lo, s4
	s_waitcnt lgkmcnt(0)
	s_barrier
	buffer_gl0_inv
	ds_load_2addr_b64 v[120:123], v74 offset1:1
	s_mov_b32 s3, exec_lo
	v_cmpx_lt_u32_e32 11, v255
	s_cbranch_execz .LBB37_109
; %bb.108:
	s_waitcnt lgkmcnt(0)
	v_mul_f64 v[76:77], v[120:121], v[30:31]
	v_mul_f64 v[30:31], v[122:123], v[30:31]
	ds_load_2addr_b64 v[124:127], v196 offset0:24 offset1:25
	ds_load_2addr_b64 v[128:131], v196 offset0:26 offset1:27
	;; [unrolled: 1-line block ×7, first 2 shown]
	v_fma_f64 v[76:77], v[122:123], v[28:29], v[76:77]
	v_fma_f64 v[28:29], v[120:121], v[28:29], -v[30:31]
	s_waitcnt lgkmcnt(6)
	s_delay_alu instid0(VALU_DEP_2)
	v_mul_f64 v[30:31], v[126:127], v[76:77]
	v_mul_f64 v[78:79], v[124:125], v[76:77]
	s_waitcnt lgkmcnt(5)
	v_mul_f64 v[154:155], v[130:131], v[76:77]
	v_mul_f64 v[156:157], v[128:129], v[76:77]
	s_waitcnt lgkmcnt(4)
	;; [unrolled: 3-line block ×6, first 2 shown]
	v_mul_f64 v[207:208], v[150:151], v[76:77]
	v_mul_f64 v[209:210], v[148:149], v[76:77]
	v_fma_f64 v[30:31], v[124:125], v[28:29], -v[30:31]
	v_fma_f64 v[78:79], v[126:127], v[28:29], v[78:79]
	v_fma_f64 v[124:125], v[128:129], v[28:29], -v[154:155]
	v_fma_f64 v[126:127], v[130:131], v[28:29], v[156:157]
	;; [unrolled: 2-line block ×7, first 2 shown]
	v_add_f64 v[24:25], v[24:25], -v[30:31]
	v_add_f64 v[26:27], v[26:27], -v[78:79]
	;; [unrolled: 1-line block ×14, first 2 shown]
	v_dual_mov_b32 v30, v76 :: v_dual_mov_b32 v31, v77
.LBB37_109:
	s_or_b32 exec_lo, exec_lo, s3
	s_delay_alu instid0(SALU_CYCLE_1)
	s_mov_b32 s4, exec_lo
	s_waitcnt lgkmcnt(0)
	s_barrier
	buffer_gl0_inv
	v_cmpx_eq_u32_e32 12, v255
	s_cbranch_execz .LBB37_116
; %bb.110:
	ds_store_2addr_b64 v74, v[24:25], v[26:27] offset1:1
	ds_store_2addr_b64 v196, v[20:21], v[22:23] offset0:26 offset1:27
	ds_store_2addr_b64 v196, v[16:17], v[18:19] offset0:28 offset1:29
	;; [unrolled: 1-line block ×6, first 2 shown]
	ds_load_2addr_b64 v[124:127], v74 offset1:1
	s_waitcnt lgkmcnt(0)
	v_cmp_neq_f64_e32 vcc_lo, 0, v[124:125]
	v_cmp_neq_f64_e64 s3, 0, v[126:127]
	s_delay_alu instid0(VALU_DEP_1) | instskip(NEXT) | instid1(SALU_CYCLE_1)
	s_or_b32 s3, vcc_lo, s3
	s_and_b32 exec_lo, exec_lo, s3
	s_cbranch_execz .LBB37_116
; %bb.111:
	v_cmp_gt_f64_e32 vcc_lo, 0, v[124:125]
	v_cmp_gt_f64_e64 s3, 0, v[126:127]
	v_xor_b32_e32 v76, 0x80000000, v125
	v_xor_b32_e32 v78, 0x80000000, v127
                                        ; implicit-def: $vgpr132_vgpr133
	s_delay_alu instid0(VALU_DEP_2) | instskip(NEXT) | instid1(VALU_DEP_2)
	v_cndmask_b32_e32 v77, v125, v76, vcc_lo
	v_cndmask_b32_e64 v79, v127, v78, s3
	v_cndmask_b32_e32 v76, v124, v124, vcc_lo
	v_cndmask_b32_e64 v78, v126, v126, s3
	s_mov_b32 s3, exec_lo
	s_delay_alu instid0(VALU_DEP_1)
	v_cmpx_ngt_f64_e32 v[76:77], v[78:79]
	s_xor_b32 s3, exec_lo, s3
                                        ; implicit-def: $vgpr128_vgpr129_vgpr130_vgpr131
	s_cbranch_execz .LBB37_113
; %bb.112:
	v_div_scale_f64 v[76:77], null, v[126:127], v[126:127], v[124:125]
	v_div_scale_f64 v[130:131], vcc_lo, v[124:125], v[126:127], v[124:125]
	s_delay_alu instid0(VALU_DEP_2) | instskip(SKIP_2) | instid1(VALU_DEP_1)
	v_rcp_f64_e32 v[78:79], v[76:77]
	s_waitcnt_depctr 0xfff
	v_fma_f64 v[128:129], -v[76:77], v[78:79], 1.0
	v_fma_f64 v[78:79], v[78:79], v[128:129], v[78:79]
	s_delay_alu instid0(VALU_DEP_1) | instskip(NEXT) | instid1(VALU_DEP_1)
	v_fma_f64 v[128:129], -v[76:77], v[78:79], 1.0
	v_fma_f64 v[78:79], v[78:79], v[128:129], v[78:79]
	s_delay_alu instid0(VALU_DEP_1) | instskip(NEXT) | instid1(VALU_DEP_1)
	v_mul_f64 v[128:129], v[130:131], v[78:79]
	v_fma_f64 v[76:77], -v[76:77], v[128:129], v[130:131]
	s_delay_alu instid0(VALU_DEP_1) | instskip(NEXT) | instid1(VALU_DEP_1)
	v_div_fmas_f64 v[76:77], v[76:77], v[78:79], v[128:129]
	v_div_fixup_f64 v[76:77], v[76:77], v[126:127], v[124:125]
	s_delay_alu instid0(VALU_DEP_1) | instskip(NEXT) | instid1(VALU_DEP_1)
	v_fma_f64 v[78:79], v[124:125], v[76:77], v[126:127]
	v_div_scale_f64 v[124:125], null, v[78:79], v[78:79], 1.0
	s_delay_alu instid0(VALU_DEP_1) | instskip(SKIP_2) | instid1(VALU_DEP_1)
	v_rcp_f64_e32 v[126:127], v[124:125]
	s_waitcnt_depctr 0xfff
	v_fma_f64 v[128:129], -v[124:125], v[126:127], 1.0
	v_fma_f64 v[126:127], v[126:127], v[128:129], v[126:127]
	s_delay_alu instid0(VALU_DEP_1) | instskip(NEXT) | instid1(VALU_DEP_1)
	v_fma_f64 v[128:129], -v[124:125], v[126:127], 1.0
	v_fma_f64 v[126:127], v[126:127], v[128:129], v[126:127]
	v_div_scale_f64 v[128:129], vcc_lo, 1.0, v[78:79], 1.0
	s_delay_alu instid0(VALU_DEP_1) | instskip(NEXT) | instid1(VALU_DEP_1)
	v_mul_f64 v[130:131], v[128:129], v[126:127]
	v_fma_f64 v[124:125], -v[124:125], v[130:131], v[128:129]
	s_delay_alu instid0(VALU_DEP_1) | instskip(NEXT) | instid1(VALU_DEP_1)
	v_div_fmas_f64 v[124:125], v[124:125], v[126:127], v[130:131]
	v_div_fixup_f64 v[130:131], v[124:125], v[78:79], 1.0
                                        ; implicit-def: $vgpr124_vgpr125
	s_delay_alu instid0(VALU_DEP_1)
	v_mul_f64 v[132:133], v[76:77], v[130:131]
	v_xor_b32_e32 v131, 0x80000000, v131
.LBB37_113:
	s_and_not1_saveexec_b32 s3, s3
	s_cbranch_execz .LBB37_115
; %bb.114:
	v_div_scale_f64 v[76:77], null, v[124:125], v[124:125], v[126:127]
	v_div_scale_f64 v[130:131], vcc_lo, v[126:127], v[124:125], v[126:127]
	s_delay_alu instid0(VALU_DEP_2) | instskip(SKIP_2) | instid1(VALU_DEP_1)
	v_rcp_f64_e32 v[78:79], v[76:77]
	s_waitcnt_depctr 0xfff
	v_fma_f64 v[128:129], -v[76:77], v[78:79], 1.0
	v_fma_f64 v[78:79], v[78:79], v[128:129], v[78:79]
	s_delay_alu instid0(VALU_DEP_1) | instskip(NEXT) | instid1(VALU_DEP_1)
	v_fma_f64 v[128:129], -v[76:77], v[78:79], 1.0
	v_fma_f64 v[78:79], v[78:79], v[128:129], v[78:79]
	s_delay_alu instid0(VALU_DEP_1) | instskip(NEXT) | instid1(VALU_DEP_1)
	v_mul_f64 v[128:129], v[130:131], v[78:79]
	v_fma_f64 v[76:77], -v[76:77], v[128:129], v[130:131]
	s_delay_alu instid0(VALU_DEP_1) | instskip(NEXT) | instid1(VALU_DEP_1)
	v_div_fmas_f64 v[76:77], v[76:77], v[78:79], v[128:129]
	v_div_fixup_f64 v[76:77], v[76:77], v[124:125], v[126:127]
	s_delay_alu instid0(VALU_DEP_1) | instskip(NEXT) | instid1(VALU_DEP_1)
	v_fma_f64 v[78:79], v[126:127], v[76:77], v[124:125]
	v_div_scale_f64 v[124:125], null, v[78:79], v[78:79], 1.0
	s_delay_alu instid0(VALU_DEP_1) | instskip(SKIP_2) | instid1(VALU_DEP_1)
	v_rcp_f64_e32 v[126:127], v[124:125]
	s_waitcnt_depctr 0xfff
	v_fma_f64 v[128:129], -v[124:125], v[126:127], 1.0
	v_fma_f64 v[126:127], v[126:127], v[128:129], v[126:127]
	s_delay_alu instid0(VALU_DEP_1) | instskip(NEXT) | instid1(VALU_DEP_1)
	v_fma_f64 v[128:129], -v[124:125], v[126:127], 1.0
	v_fma_f64 v[126:127], v[126:127], v[128:129], v[126:127]
	v_div_scale_f64 v[128:129], vcc_lo, 1.0, v[78:79], 1.0
	s_delay_alu instid0(VALU_DEP_1) | instskip(NEXT) | instid1(VALU_DEP_1)
	v_mul_f64 v[130:131], v[128:129], v[126:127]
	v_fma_f64 v[124:125], -v[124:125], v[130:131], v[128:129]
	s_delay_alu instid0(VALU_DEP_1) | instskip(NEXT) | instid1(VALU_DEP_1)
	v_div_fmas_f64 v[124:125], v[124:125], v[126:127], v[130:131]
	v_div_fixup_f64 v[132:133], v[124:125], v[78:79], 1.0
	s_delay_alu instid0(VALU_DEP_1)
	v_mul_f64 v[130:131], v[76:77], -v[132:133]
.LBB37_115:
	s_or_b32 exec_lo, exec_lo, s3
	ds_store_2addr_b64 v74, v[132:133], v[130:131] offset1:1
.LBB37_116:
	s_or_b32 exec_lo, exec_lo, s4
	s_waitcnt lgkmcnt(0)
	s_barrier
	buffer_gl0_inv
	ds_load_2addr_b64 v[124:127], v74 offset1:1
	s_mov_b32 s3, exec_lo
	v_cmpx_lt_u32_e32 12, v255
	s_cbranch_execz .LBB37_118
; %bb.117:
	s_waitcnt lgkmcnt(0)
	v_mul_f64 v[76:77], v[124:125], v[26:27]
	v_mul_f64 v[26:27], v[126:127], v[26:27]
	ds_load_2addr_b64 v[128:131], v196 offset0:26 offset1:27
	ds_load_2addr_b64 v[132:135], v196 offset0:28 offset1:29
	;; [unrolled: 1-line block ×6, first 2 shown]
	v_fma_f64 v[76:77], v[126:127], v[24:25], v[76:77]
	v_fma_f64 v[24:25], v[124:125], v[24:25], -v[26:27]
	s_waitcnt lgkmcnt(5)
	s_delay_alu instid0(VALU_DEP_2)
	v_mul_f64 v[26:27], v[130:131], v[76:77]
	v_mul_f64 v[78:79], v[128:129], v[76:77]
	s_waitcnt lgkmcnt(4)
	v_mul_f64 v[154:155], v[134:135], v[76:77]
	v_mul_f64 v[156:157], v[132:133], v[76:77]
	s_waitcnt lgkmcnt(3)
	;; [unrolled: 3-line block ×5, first 2 shown]
	v_mul_f64 v[203:204], v[150:151], v[76:77]
	v_mul_f64 v[205:206], v[148:149], v[76:77]
	v_fma_f64 v[26:27], v[128:129], v[24:25], -v[26:27]
	v_fma_f64 v[78:79], v[130:131], v[24:25], v[78:79]
	v_fma_f64 v[128:129], v[132:133], v[24:25], -v[154:155]
	v_fma_f64 v[130:131], v[134:135], v[24:25], v[156:157]
	;; [unrolled: 2-line block ×6, first 2 shown]
	v_add_f64 v[20:21], v[20:21], -v[26:27]
	v_add_f64 v[22:23], v[22:23], -v[78:79]
	;; [unrolled: 1-line block ×12, first 2 shown]
	v_dual_mov_b32 v26, v76 :: v_dual_mov_b32 v27, v77
.LBB37_118:
	s_or_b32 exec_lo, exec_lo, s3
	s_delay_alu instid0(SALU_CYCLE_1)
	s_mov_b32 s4, exec_lo
	s_waitcnt lgkmcnt(0)
	s_barrier
	buffer_gl0_inv
	v_cmpx_eq_u32_e32 13, v255
	s_cbranch_execz .LBB37_125
; %bb.119:
	ds_store_2addr_b64 v74, v[20:21], v[22:23] offset1:1
	ds_store_2addr_b64 v196, v[16:17], v[18:19] offset0:28 offset1:29
	ds_store_2addr_b64 v196, v[12:13], v[14:15] offset0:30 offset1:31
	;; [unrolled: 1-line block ×5, first 2 shown]
	ds_load_2addr_b64 v[128:131], v74 offset1:1
	s_waitcnt lgkmcnt(0)
	v_cmp_neq_f64_e32 vcc_lo, 0, v[128:129]
	v_cmp_neq_f64_e64 s3, 0, v[130:131]
	s_delay_alu instid0(VALU_DEP_1) | instskip(NEXT) | instid1(SALU_CYCLE_1)
	s_or_b32 s3, vcc_lo, s3
	s_and_b32 exec_lo, exec_lo, s3
	s_cbranch_execz .LBB37_125
; %bb.120:
	v_cmp_gt_f64_e32 vcc_lo, 0, v[128:129]
	v_cmp_gt_f64_e64 s3, 0, v[130:131]
	v_xor_b32_e32 v76, 0x80000000, v129
	v_xor_b32_e32 v78, 0x80000000, v131
                                        ; implicit-def: $vgpr136_vgpr137
	s_delay_alu instid0(VALU_DEP_2) | instskip(NEXT) | instid1(VALU_DEP_2)
	v_cndmask_b32_e32 v77, v129, v76, vcc_lo
	v_cndmask_b32_e64 v79, v131, v78, s3
	v_cndmask_b32_e32 v76, v128, v128, vcc_lo
	v_cndmask_b32_e64 v78, v130, v130, s3
	s_mov_b32 s3, exec_lo
	s_delay_alu instid0(VALU_DEP_1)
	v_cmpx_ngt_f64_e32 v[76:77], v[78:79]
	s_xor_b32 s3, exec_lo, s3
                                        ; implicit-def: $vgpr132_vgpr133_vgpr134_vgpr135
	s_cbranch_execz .LBB37_122
; %bb.121:
	v_div_scale_f64 v[76:77], null, v[130:131], v[130:131], v[128:129]
	v_div_scale_f64 v[134:135], vcc_lo, v[128:129], v[130:131], v[128:129]
	s_delay_alu instid0(VALU_DEP_2) | instskip(SKIP_2) | instid1(VALU_DEP_1)
	v_rcp_f64_e32 v[78:79], v[76:77]
	s_waitcnt_depctr 0xfff
	v_fma_f64 v[132:133], -v[76:77], v[78:79], 1.0
	v_fma_f64 v[78:79], v[78:79], v[132:133], v[78:79]
	s_delay_alu instid0(VALU_DEP_1) | instskip(NEXT) | instid1(VALU_DEP_1)
	v_fma_f64 v[132:133], -v[76:77], v[78:79], 1.0
	v_fma_f64 v[78:79], v[78:79], v[132:133], v[78:79]
	s_delay_alu instid0(VALU_DEP_1) | instskip(NEXT) | instid1(VALU_DEP_1)
	v_mul_f64 v[132:133], v[134:135], v[78:79]
	v_fma_f64 v[76:77], -v[76:77], v[132:133], v[134:135]
	s_delay_alu instid0(VALU_DEP_1) | instskip(NEXT) | instid1(VALU_DEP_1)
	v_div_fmas_f64 v[76:77], v[76:77], v[78:79], v[132:133]
	v_div_fixup_f64 v[76:77], v[76:77], v[130:131], v[128:129]
	s_delay_alu instid0(VALU_DEP_1) | instskip(NEXT) | instid1(VALU_DEP_1)
	v_fma_f64 v[78:79], v[128:129], v[76:77], v[130:131]
	v_div_scale_f64 v[128:129], null, v[78:79], v[78:79], 1.0
	s_delay_alu instid0(VALU_DEP_1) | instskip(SKIP_2) | instid1(VALU_DEP_1)
	v_rcp_f64_e32 v[130:131], v[128:129]
	s_waitcnt_depctr 0xfff
	v_fma_f64 v[132:133], -v[128:129], v[130:131], 1.0
	v_fma_f64 v[130:131], v[130:131], v[132:133], v[130:131]
	s_delay_alu instid0(VALU_DEP_1) | instskip(NEXT) | instid1(VALU_DEP_1)
	v_fma_f64 v[132:133], -v[128:129], v[130:131], 1.0
	v_fma_f64 v[130:131], v[130:131], v[132:133], v[130:131]
	v_div_scale_f64 v[132:133], vcc_lo, 1.0, v[78:79], 1.0
	s_delay_alu instid0(VALU_DEP_1) | instskip(NEXT) | instid1(VALU_DEP_1)
	v_mul_f64 v[134:135], v[132:133], v[130:131]
	v_fma_f64 v[128:129], -v[128:129], v[134:135], v[132:133]
	s_delay_alu instid0(VALU_DEP_1) | instskip(NEXT) | instid1(VALU_DEP_1)
	v_div_fmas_f64 v[128:129], v[128:129], v[130:131], v[134:135]
	v_div_fixup_f64 v[134:135], v[128:129], v[78:79], 1.0
                                        ; implicit-def: $vgpr128_vgpr129
	s_delay_alu instid0(VALU_DEP_1)
	v_mul_f64 v[136:137], v[76:77], v[134:135]
	v_xor_b32_e32 v135, 0x80000000, v135
.LBB37_122:
	s_and_not1_saveexec_b32 s3, s3
	s_cbranch_execz .LBB37_124
; %bb.123:
	v_div_scale_f64 v[76:77], null, v[128:129], v[128:129], v[130:131]
	v_div_scale_f64 v[134:135], vcc_lo, v[130:131], v[128:129], v[130:131]
	s_delay_alu instid0(VALU_DEP_2) | instskip(SKIP_2) | instid1(VALU_DEP_1)
	v_rcp_f64_e32 v[78:79], v[76:77]
	s_waitcnt_depctr 0xfff
	v_fma_f64 v[132:133], -v[76:77], v[78:79], 1.0
	v_fma_f64 v[78:79], v[78:79], v[132:133], v[78:79]
	s_delay_alu instid0(VALU_DEP_1) | instskip(NEXT) | instid1(VALU_DEP_1)
	v_fma_f64 v[132:133], -v[76:77], v[78:79], 1.0
	v_fma_f64 v[78:79], v[78:79], v[132:133], v[78:79]
	s_delay_alu instid0(VALU_DEP_1) | instskip(NEXT) | instid1(VALU_DEP_1)
	v_mul_f64 v[132:133], v[134:135], v[78:79]
	v_fma_f64 v[76:77], -v[76:77], v[132:133], v[134:135]
	s_delay_alu instid0(VALU_DEP_1) | instskip(NEXT) | instid1(VALU_DEP_1)
	v_div_fmas_f64 v[76:77], v[76:77], v[78:79], v[132:133]
	v_div_fixup_f64 v[76:77], v[76:77], v[128:129], v[130:131]
	s_delay_alu instid0(VALU_DEP_1) | instskip(NEXT) | instid1(VALU_DEP_1)
	v_fma_f64 v[78:79], v[130:131], v[76:77], v[128:129]
	v_div_scale_f64 v[128:129], null, v[78:79], v[78:79], 1.0
	s_delay_alu instid0(VALU_DEP_1) | instskip(SKIP_2) | instid1(VALU_DEP_1)
	v_rcp_f64_e32 v[130:131], v[128:129]
	s_waitcnt_depctr 0xfff
	v_fma_f64 v[132:133], -v[128:129], v[130:131], 1.0
	v_fma_f64 v[130:131], v[130:131], v[132:133], v[130:131]
	s_delay_alu instid0(VALU_DEP_1) | instskip(NEXT) | instid1(VALU_DEP_1)
	v_fma_f64 v[132:133], -v[128:129], v[130:131], 1.0
	v_fma_f64 v[130:131], v[130:131], v[132:133], v[130:131]
	v_div_scale_f64 v[132:133], vcc_lo, 1.0, v[78:79], 1.0
	s_delay_alu instid0(VALU_DEP_1) | instskip(NEXT) | instid1(VALU_DEP_1)
	v_mul_f64 v[134:135], v[132:133], v[130:131]
	v_fma_f64 v[128:129], -v[128:129], v[134:135], v[132:133]
	s_delay_alu instid0(VALU_DEP_1) | instskip(NEXT) | instid1(VALU_DEP_1)
	v_div_fmas_f64 v[128:129], v[128:129], v[130:131], v[134:135]
	v_div_fixup_f64 v[136:137], v[128:129], v[78:79], 1.0
	s_delay_alu instid0(VALU_DEP_1)
	v_mul_f64 v[134:135], v[76:77], -v[136:137]
.LBB37_124:
	s_or_b32 exec_lo, exec_lo, s3
	ds_store_2addr_b64 v74, v[136:137], v[134:135] offset1:1
.LBB37_125:
	s_or_b32 exec_lo, exec_lo, s4
	s_waitcnt lgkmcnt(0)
	s_barrier
	buffer_gl0_inv
	ds_load_2addr_b64 v[128:131], v74 offset1:1
	s_mov_b32 s3, exec_lo
	v_cmpx_lt_u32_e32 13, v255
	s_cbranch_execz .LBB37_127
; %bb.126:
	s_waitcnt lgkmcnt(0)
	v_mul_f64 v[76:77], v[128:129], v[22:23]
	v_mul_f64 v[22:23], v[130:131], v[22:23]
	ds_load_2addr_b64 v[132:135], v196 offset0:28 offset1:29
	ds_load_2addr_b64 v[136:139], v196 offset0:30 offset1:31
	;; [unrolled: 1-line block ×5, first 2 shown]
	v_fma_f64 v[76:77], v[130:131], v[20:21], v[76:77]
	v_fma_f64 v[20:21], v[128:129], v[20:21], -v[22:23]
	s_waitcnt lgkmcnt(4)
	s_delay_alu instid0(VALU_DEP_2)
	v_mul_f64 v[22:23], v[134:135], v[76:77]
	v_mul_f64 v[78:79], v[132:133], v[76:77]
	s_waitcnt lgkmcnt(3)
	v_mul_f64 v[154:155], v[138:139], v[76:77]
	v_mul_f64 v[156:157], v[136:137], v[76:77]
	s_waitcnt lgkmcnt(2)
	;; [unrolled: 3-line block ×4, first 2 shown]
	v_mul_f64 v[199:200], v[150:151], v[76:77]
	v_mul_f64 v[201:202], v[148:149], v[76:77]
	v_fma_f64 v[22:23], v[132:133], v[20:21], -v[22:23]
	v_fma_f64 v[78:79], v[134:135], v[20:21], v[78:79]
	v_fma_f64 v[132:133], v[136:137], v[20:21], -v[154:155]
	v_fma_f64 v[134:135], v[138:139], v[20:21], v[156:157]
	;; [unrolled: 2-line block ×5, first 2 shown]
	v_add_f64 v[16:17], v[16:17], -v[22:23]
	v_add_f64 v[18:19], v[18:19], -v[78:79]
	;; [unrolled: 1-line block ×10, first 2 shown]
	v_dual_mov_b32 v22, v76 :: v_dual_mov_b32 v23, v77
.LBB37_127:
	s_or_b32 exec_lo, exec_lo, s3
	s_delay_alu instid0(SALU_CYCLE_1)
	s_mov_b32 s4, exec_lo
	s_waitcnt lgkmcnt(0)
	s_barrier
	buffer_gl0_inv
	v_cmpx_eq_u32_e32 14, v255
	s_cbranch_execz .LBB37_134
; %bb.128:
	ds_store_2addr_b64 v74, v[16:17], v[18:19] offset1:1
	ds_store_2addr_b64 v196, v[12:13], v[14:15] offset0:30 offset1:31
	ds_store_2addr_b64 v196, v[8:9], v[10:11] offset0:32 offset1:33
	;; [unrolled: 1-line block ×4, first 2 shown]
	ds_load_2addr_b64 v[132:135], v74 offset1:1
	s_waitcnt lgkmcnt(0)
	v_cmp_neq_f64_e32 vcc_lo, 0, v[132:133]
	v_cmp_neq_f64_e64 s3, 0, v[134:135]
	s_delay_alu instid0(VALU_DEP_1) | instskip(NEXT) | instid1(SALU_CYCLE_1)
	s_or_b32 s3, vcc_lo, s3
	s_and_b32 exec_lo, exec_lo, s3
	s_cbranch_execz .LBB37_134
; %bb.129:
	v_cmp_gt_f64_e32 vcc_lo, 0, v[132:133]
	v_cmp_gt_f64_e64 s3, 0, v[134:135]
	v_xor_b32_e32 v76, 0x80000000, v133
	v_xor_b32_e32 v78, 0x80000000, v135
                                        ; implicit-def: $vgpr140_vgpr141
	s_delay_alu instid0(VALU_DEP_2) | instskip(NEXT) | instid1(VALU_DEP_2)
	v_cndmask_b32_e32 v77, v133, v76, vcc_lo
	v_cndmask_b32_e64 v79, v135, v78, s3
	v_cndmask_b32_e32 v76, v132, v132, vcc_lo
	v_cndmask_b32_e64 v78, v134, v134, s3
	s_mov_b32 s3, exec_lo
	s_delay_alu instid0(VALU_DEP_1)
	v_cmpx_ngt_f64_e32 v[76:77], v[78:79]
	s_xor_b32 s3, exec_lo, s3
                                        ; implicit-def: $vgpr136_vgpr137_vgpr138_vgpr139
	s_cbranch_execz .LBB37_131
; %bb.130:
	v_div_scale_f64 v[76:77], null, v[134:135], v[134:135], v[132:133]
	v_div_scale_f64 v[138:139], vcc_lo, v[132:133], v[134:135], v[132:133]
	s_delay_alu instid0(VALU_DEP_2) | instskip(SKIP_2) | instid1(VALU_DEP_1)
	v_rcp_f64_e32 v[78:79], v[76:77]
	s_waitcnt_depctr 0xfff
	v_fma_f64 v[136:137], -v[76:77], v[78:79], 1.0
	v_fma_f64 v[78:79], v[78:79], v[136:137], v[78:79]
	s_delay_alu instid0(VALU_DEP_1) | instskip(NEXT) | instid1(VALU_DEP_1)
	v_fma_f64 v[136:137], -v[76:77], v[78:79], 1.0
	v_fma_f64 v[78:79], v[78:79], v[136:137], v[78:79]
	s_delay_alu instid0(VALU_DEP_1) | instskip(NEXT) | instid1(VALU_DEP_1)
	v_mul_f64 v[136:137], v[138:139], v[78:79]
	v_fma_f64 v[76:77], -v[76:77], v[136:137], v[138:139]
	s_delay_alu instid0(VALU_DEP_1) | instskip(NEXT) | instid1(VALU_DEP_1)
	v_div_fmas_f64 v[76:77], v[76:77], v[78:79], v[136:137]
	v_div_fixup_f64 v[76:77], v[76:77], v[134:135], v[132:133]
	s_delay_alu instid0(VALU_DEP_1) | instskip(NEXT) | instid1(VALU_DEP_1)
	v_fma_f64 v[78:79], v[132:133], v[76:77], v[134:135]
	v_div_scale_f64 v[132:133], null, v[78:79], v[78:79], 1.0
	s_delay_alu instid0(VALU_DEP_1) | instskip(SKIP_2) | instid1(VALU_DEP_1)
	v_rcp_f64_e32 v[134:135], v[132:133]
	s_waitcnt_depctr 0xfff
	v_fma_f64 v[136:137], -v[132:133], v[134:135], 1.0
	v_fma_f64 v[134:135], v[134:135], v[136:137], v[134:135]
	s_delay_alu instid0(VALU_DEP_1) | instskip(NEXT) | instid1(VALU_DEP_1)
	v_fma_f64 v[136:137], -v[132:133], v[134:135], 1.0
	v_fma_f64 v[134:135], v[134:135], v[136:137], v[134:135]
	v_div_scale_f64 v[136:137], vcc_lo, 1.0, v[78:79], 1.0
	s_delay_alu instid0(VALU_DEP_1) | instskip(NEXT) | instid1(VALU_DEP_1)
	v_mul_f64 v[138:139], v[136:137], v[134:135]
	v_fma_f64 v[132:133], -v[132:133], v[138:139], v[136:137]
	s_delay_alu instid0(VALU_DEP_1) | instskip(NEXT) | instid1(VALU_DEP_1)
	v_div_fmas_f64 v[132:133], v[132:133], v[134:135], v[138:139]
	v_div_fixup_f64 v[138:139], v[132:133], v[78:79], 1.0
                                        ; implicit-def: $vgpr132_vgpr133
	s_delay_alu instid0(VALU_DEP_1)
	v_mul_f64 v[140:141], v[76:77], v[138:139]
	v_xor_b32_e32 v139, 0x80000000, v139
.LBB37_131:
	s_and_not1_saveexec_b32 s3, s3
	s_cbranch_execz .LBB37_133
; %bb.132:
	v_div_scale_f64 v[76:77], null, v[132:133], v[132:133], v[134:135]
	v_div_scale_f64 v[138:139], vcc_lo, v[134:135], v[132:133], v[134:135]
	s_delay_alu instid0(VALU_DEP_2) | instskip(SKIP_2) | instid1(VALU_DEP_1)
	v_rcp_f64_e32 v[78:79], v[76:77]
	s_waitcnt_depctr 0xfff
	v_fma_f64 v[136:137], -v[76:77], v[78:79], 1.0
	v_fma_f64 v[78:79], v[78:79], v[136:137], v[78:79]
	s_delay_alu instid0(VALU_DEP_1) | instskip(NEXT) | instid1(VALU_DEP_1)
	v_fma_f64 v[136:137], -v[76:77], v[78:79], 1.0
	v_fma_f64 v[78:79], v[78:79], v[136:137], v[78:79]
	s_delay_alu instid0(VALU_DEP_1) | instskip(NEXT) | instid1(VALU_DEP_1)
	v_mul_f64 v[136:137], v[138:139], v[78:79]
	v_fma_f64 v[76:77], -v[76:77], v[136:137], v[138:139]
	s_delay_alu instid0(VALU_DEP_1) | instskip(NEXT) | instid1(VALU_DEP_1)
	v_div_fmas_f64 v[76:77], v[76:77], v[78:79], v[136:137]
	v_div_fixup_f64 v[76:77], v[76:77], v[132:133], v[134:135]
	s_delay_alu instid0(VALU_DEP_1) | instskip(NEXT) | instid1(VALU_DEP_1)
	v_fma_f64 v[78:79], v[134:135], v[76:77], v[132:133]
	v_div_scale_f64 v[132:133], null, v[78:79], v[78:79], 1.0
	s_delay_alu instid0(VALU_DEP_1) | instskip(SKIP_2) | instid1(VALU_DEP_1)
	v_rcp_f64_e32 v[134:135], v[132:133]
	s_waitcnt_depctr 0xfff
	v_fma_f64 v[136:137], -v[132:133], v[134:135], 1.0
	v_fma_f64 v[134:135], v[134:135], v[136:137], v[134:135]
	s_delay_alu instid0(VALU_DEP_1) | instskip(NEXT) | instid1(VALU_DEP_1)
	v_fma_f64 v[136:137], -v[132:133], v[134:135], 1.0
	v_fma_f64 v[134:135], v[134:135], v[136:137], v[134:135]
	v_div_scale_f64 v[136:137], vcc_lo, 1.0, v[78:79], 1.0
	s_delay_alu instid0(VALU_DEP_1) | instskip(NEXT) | instid1(VALU_DEP_1)
	v_mul_f64 v[138:139], v[136:137], v[134:135]
	v_fma_f64 v[132:133], -v[132:133], v[138:139], v[136:137]
	s_delay_alu instid0(VALU_DEP_1) | instskip(NEXT) | instid1(VALU_DEP_1)
	v_div_fmas_f64 v[132:133], v[132:133], v[134:135], v[138:139]
	v_div_fixup_f64 v[140:141], v[132:133], v[78:79], 1.0
	s_delay_alu instid0(VALU_DEP_1)
	v_mul_f64 v[138:139], v[76:77], -v[140:141]
.LBB37_133:
	s_or_b32 exec_lo, exec_lo, s3
	ds_store_2addr_b64 v74, v[140:141], v[138:139] offset1:1
.LBB37_134:
	s_or_b32 exec_lo, exec_lo, s4
	s_waitcnt lgkmcnt(0)
	s_barrier
	buffer_gl0_inv
	ds_load_2addr_b64 v[132:135], v74 offset1:1
	s_mov_b32 s3, exec_lo
	v_cmpx_lt_u32_e32 14, v255
	s_cbranch_execz .LBB37_136
; %bb.135:
	s_waitcnt lgkmcnt(0)
	v_mul_f64 v[76:77], v[132:133], v[18:19]
	v_mul_f64 v[18:19], v[134:135], v[18:19]
	ds_load_2addr_b64 v[136:139], v196 offset0:30 offset1:31
	ds_load_2addr_b64 v[140:143], v196 offset0:32 offset1:33
	;; [unrolled: 1-line block ×4, first 2 shown]
	v_fma_f64 v[76:77], v[134:135], v[16:17], v[76:77]
	v_fma_f64 v[16:17], v[132:133], v[16:17], -v[18:19]
	s_waitcnt lgkmcnt(3)
	s_delay_alu instid0(VALU_DEP_2)
	v_mul_f64 v[18:19], v[138:139], v[76:77]
	v_mul_f64 v[78:79], v[136:137], v[76:77]
	s_waitcnt lgkmcnt(2)
	v_mul_f64 v[154:155], v[142:143], v[76:77]
	v_mul_f64 v[156:157], v[140:141], v[76:77]
	s_waitcnt lgkmcnt(1)
	;; [unrolled: 3-line block ×3, first 2 shown]
	v_mul_f64 v[192:193], v[150:151], v[76:77]
	v_mul_f64 v[197:198], v[148:149], v[76:77]
	v_fma_f64 v[18:19], v[136:137], v[16:17], -v[18:19]
	v_fma_f64 v[78:79], v[138:139], v[16:17], v[78:79]
	v_fma_f64 v[136:137], v[140:141], v[16:17], -v[154:155]
	v_fma_f64 v[138:139], v[142:143], v[16:17], v[156:157]
	;; [unrolled: 2-line block ×4, first 2 shown]
	v_add_f64 v[12:13], v[12:13], -v[18:19]
	v_add_f64 v[14:15], v[14:15], -v[78:79]
	;; [unrolled: 1-line block ×8, first 2 shown]
	v_dual_mov_b32 v18, v76 :: v_dual_mov_b32 v19, v77
.LBB37_136:
	s_or_b32 exec_lo, exec_lo, s3
	s_delay_alu instid0(SALU_CYCLE_1)
	s_mov_b32 s4, exec_lo
	s_waitcnt lgkmcnt(0)
	s_barrier
	buffer_gl0_inv
	v_cmpx_eq_u32_e32 15, v255
	s_cbranch_execz .LBB37_143
; %bb.137:
	ds_store_2addr_b64 v74, v[12:13], v[14:15] offset1:1
	ds_store_2addr_b64 v196, v[8:9], v[10:11] offset0:32 offset1:33
	ds_store_2addr_b64 v196, v[4:5], v[6:7] offset0:34 offset1:35
	;; [unrolled: 1-line block ×3, first 2 shown]
	ds_load_2addr_b64 v[136:139], v74 offset1:1
	s_waitcnt lgkmcnt(0)
	v_cmp_neq_f64_e32 vcc_lo, 0, v[136:137]
	v_cmp_neq_f64_e64 s3, 0, v[138:139]
	s_delay_alu instid0(VALU_DEP_1) | instskip(NEXT) | instid1(SALU_CYCLE_1)
	s_or_b32 s3, vcc_lo, s3
	s_and_b32 exec_lo, exec_lo, s3
	s_cbranch_execz .LBB37_143
; %bb.138:
	v_cmp_gt_f64_e32 vcc_lo, 0, v[136:137]
	v_cmp_gt_f64_e64 s3, 0, v[138:139]
	v_xor_b32_e32 v76, 0x80000000, v137
	v_xor_b32_e32 v78, 0x80000000, v139
                                        ; implicit-def: $vgpr144_vgpr145
	s_delay_alu instid0(VALU_DEP_2) | instskip(NEXT) | instid1(VALU_DEP_2)
	v_cndmask_b32_e32 v77, v137, v76, vcc_lo
	v_cndmask_b32_e64 v79, v139, v78, s3
	v_cndmask_b32_e32 v76, v136, v136, vcc_lo
	v_cndmask_b32_e64 v78, v138, v138, s3
	s_mov_b32 s3, exec_lo
	s_delay_alu instid0(VALU_DEP_1)
	v_cmpx_ngt_f64_e32 v[76:77], v[78:79]
	s_xor_b32 s3, exec_lo, s3
                                        ; implicit-def: $vgpr140_vgpr141_vgpr142_vgpr143
	s_cbranch_execz .LBB37_140
; %bb.139:
	v_div_scale_f64 v[76:77], null, v[138:139], v[138:139], v[136:137]
	v_div_scale_f64 v[142:143], vcc_lo, v[136:137], v[138:139], v[136:137]
	s_delay_alu instid0(VALU_DEP_2) | instskip(SKIP_2) | instid1(VALU_DEP_1)
	v_rcp_f64_e32 v[78:79], v[76:77]
	s_waitcnt_depctr 0xfff
	v_fma_f64 v[140:141], -v[76:77], v[78:79], 1.0
	v_fma_f64 v[78:79], v[78:79], v[140:141], v[78:79]
	s_delay_alu instid0(VALU_DEP_1) | instskip(NEXT) | instid1(VALU_DEP_1)
	v_fma_f64 v[140:141], -v[76:77], v[78:79], 1.0
	v_fma_f64 v[78:79], v[78:79], v[140:141], v[78:79]
	s_delay_alu instid0(VALU_DEP_1) | instskip(NEXT) | instid1(VALU_DEP_1)
	v_mul_f64 v[140:141], v[142:143], v[78:79]
	v_fma_f64 v[76:77], -v[76:77], v[140:141], v[142:143]
	s_delay_alu instid0(VALU_DEP_1) | instskip(NEXT) | instid1(VALU_DEP_1)
	v_div_fmas_f64 v[76:77], v[76:77], v[78:79], v[140:141]
	v_div_fixup_f64 v[76:77], v[76:77], v[138:139], v[136:137]
	s_delay_alu instid0(VALU_DEP_1) | instskip(NEXT) | instid1(VALU_DEP_1)
	v_fma_f64 v[78:79], v[136:137], v[76:77], v[138:139]
	v_div_scale_f64 v[136:137], null, v[78:79], v[78:79], 1.0
	s_delay_alu instid0(VALU_DEP_1) | instskip(SKIP_2) | instid1(VALU_DEP_1)
	v_rcp_f64_e32 v[138:139], v[136:137]
	s_waitcnt_depctr 0xfff
	v_fma_f64 v[140:141], -v[136:137], v[138:139], 1.0
	v_fma_f64 v[138:139], v[138:139], v[140:141], v[138:139]
	s_delay_alu instid0(VALU_DEP_1) | instskip(NEXT) | instid1(VALU_DEP_1)
	v_fma_f64 v[140:141], -v[136:137], v[138:139], 1.0
	v_fma_f64 v[138:139], v[138:139], v[140:141], v[138:139]
	v_div_scale_f64 v[140:141], vcc_lo, 1.0, v[78:79], 1.0
	s_delay_alu instid0(VALU_DEP_1) | instskip(NEXT) | instid1(VALU_DEP_1)
	v_mul_f64 v[142:143], v[140:141], v[138:139]
	v_fma_f64 v[136:137], -v[136:137], v[142:143], v[140:141]
	s_delay_alu instid0(VALU_DEP_1) | instskip(NEXT) | instid1(VALU_DEP_1)
	v_div_fmas_f64 v[136:137], v[136:137], v[138:139], v[142:143]
	v_div_fixup_f64 v[142:143], v[136:137], v[78:79], 1.0
                                        ; implicit-def: $vgpr136_vgpr137
	s_delay_alu instid0(VALU_DEP_1)
	v_mul_f64 v[144:145], v[76:77], v[142:143]
	v_xor_b32_e32 v143, 0x80000000, v143
.LBB37_140:
	s_and_not1_saveexec_b32 s3, s3
	s_cbranch_execz .LBB37_142
; %bb.141:
	v_div_scale_f64 v[76:77], null, v[136:137], v[136:137], v[138:139]
	v_div_scale_f64 v[142:143], vcc_lo, v[138:139], v[136:137], v[138:139]
	s_delay_alu instid0(VALU_DEP_2) | instskip(SKIP_2) | instid1(VALU_DEP_1)
	v_rcp_f64_e32 v[78:79], v[76:77]
	s_waitcnt_depctr 0xfff
	v_fma_f64 v[140:141], -v[76:77], v[78:79], 1.0
	v_fma_f64 v[78:79], v[78:79], v[140:141], v[78:79]
	s_delay_alu instid0(VALU_DEP_1) | instskip(NEXT) | instid1(VALU_DEP_1)
	v_fma_f64 v[140:141], -v[76:77], v[78:79], 1.0
	v_fma_f64 v[78:79], v[78:79], v[140:141], v[78:79]
	s_delay_alu instid0(VALU_DEP_1) | instskip(NEXT) | instid1(VALU_DEP_1)
	v_mul_f64 v[140:141], v[142:143], v[78:79]
	v_fma_f64 v[76:77], -v[76:77], v[140:141], v[142:143]
	s_delay_alu instid0(VALU_DEP_1) | instskip(NEXT) | instid1(VALU_DEP_1)
	v_div_fmas_f64 v[76:77], v[76:77], v[78:79], v[140:141]
	v_div_fixup_f64 v[76:77], v[76:77], v[136:137], v[138:139]
	s_delay_alu instid0(VALU_DEP_1) | instskip(NEXT) | instid1(VALU_DEP_1)
	v_fma_f64 v[78:79], v[138:139], v[76:77], v[136:137]
	v_div_scale_f64 v[136:137], null, v[78:79], v[78:79], 1.0
	s_delay_alu instid0(VALU_DEP_1) | instskip(SKIP_2) | instid1(VALU_DEP_1)
	v_rcp_f64_e32 v[138:139], v[136:137]
	s_waitcnt_depctr 0xfff
	v_fma_f64 v[140:141], -v[136:137], v[138:139], 1.0
	v_fma_f64 v[138:139], v[138:139], v[140:141], v[138:139]
	s_delay_alu instid0(VALU_DEP_1) | instskip(NEXT) | instid1(VALU_DEP_1)
	v_fma_f64 v[140:141], -v[136:137], v[138:139], 1.0
	v_fma_f64 v[138:139], v[138:139], v[140:141], v[138:139]
	v_div_scale_f64 v[140:141], vcc_lo, 1.0, v[78:79], 1.0
	s_delay_alu instid0(VALU_DEP_1) | instskip(NEXT) | instid1(VALU_DEP_1)
	v_mul_f64 v[142:143], v[140:141], v[138:139]
	v_fma_f64 v[136:137], -v[136:137], v[142:143], v[140:141]
	s_delay_alu instid0(VALU_DEP_1) | instskip(NEXT) | instid1(VALU_DEP_1)
	v_div_fmas_f64 v[136:137], v[136:137], v[138:139], v[142:143]
	v_div_fixup_f64 v[144:145], v[136:137], v[78:79], 1.0
	s_delay_alu instid0(VALU_DEP_1)
	v_mul_f64 v[142:143], v[76:77], -v[144:145]
.LBB37_142:
	s_or_b32 exec_lo, exec_lo, s3
	ds_store_2addr_b64 v74, v[144:145], v[142:143] offset1:1
.LBB37_143:
	s_or_b32 exec_lo, exec_lo, s4
	s_waitcnt lgkmcnt(0)
	s_barrier
	buffer_gl0_inv
	ds_load_2addr_b64 v[136:139], v74 offset1:1
	s_mov_b32 s3, exec_lo
	v_cmpx_lt_u32_e32 15, v255
	s_cbranch_execz .LBB37_145
; %bb.144:
	s_waitcnt lgkmcnt(0)
	v_mul_f64 v[76:77], v[136:137], v[14:15]
	v_mul_f64 v[14:15], v[138:139], v[14:15]
	ds_load_2addr_b64 v[140:143], v196 offset0:32 offset1:33
	ds_load_2addr_b64 v[144:147], v196 offset0:34 offset1:35
	;; [unrolled: 1-line block ×3, first 2 shown]
	v_fma_f64 v[76:77], v[138:139], v[12:13], v[76:77]
	v_fma_f64 v[12:13], v[136:137], v[12:13], -v[14:15]
	s_waitcnt lgkmcnt(2)
	s_delay_alu instid0(VALU_DEP_2)
	v_mul_f64 v[14:15], v[142:143], v[76:77]
	v_mul_f64 v[78:79], v[140:141], v[76:77]
	s_waitcnt lgkmcnt(1)
	v_mul_f64 v[154:155], v[146:147], v[76:77]
	v_mul_f64 v[156:157], v[144:145], v[76:77]
	s_waitcnt lgkmcnt(0)
	v_mul_f64 v[158:159], v[150:151], v[76:77]
	v_mul_f64 v[160:161], v[148:149], v[76:77]
	v_fma_f64 v[14:15], v[140:141], v[12:13], -v[14:15]
	v_fma_f64 v[78:79], v[142:143], v[12:13], v[78:79]
	v_fma_f64 v[140:141], v[144:145], v[12:13], -v[154:155]
	v_fma_f64 v[142:143], v[146:147], v[12:13], v[156:157]
	;; [unrolled: 2-line block ×3, first 2 shown]
	v_add_f64 v[8:9], v[8:9], -v[14:15]
	v_add_f64 v[10:11], v[10:11], -v[78:79]
	;; [unrolled: 1-line block ×6, first 2 shown]
	v_dual_mov_b32 v14, v76 :: v_dual_mov_b32 v15, v77
.LBB37_145:
	s_or_b32 exec_lo, exec_lo, s3
	s_delay_alu instid0(SALU_CYCLE_1)
	s_mov_b32 s4, exec_lo
	s_waitcnt lgkmcnt(0)
	s_barrier
	buffer_gl0_inv
	v_cmpx_eq_u32_e32 16, v255
	s_cbranch_execz .LBB37_152
; %bb.146:
	ds_store_2addr_b64 v74, v[8:9], v[10:11] offset1:1
	ds_store_2addr_b64 v196, v[4:5], v[6:7] offset0:34 offset1:35
	ds_store_2addr_b64 v196, v[0:1], v[2:3] offset0:36 offset1:37
	ds_load_2addr_b64 v[140:143], v74 offset1:1
	s_waitcnt lgkmcnt(0)
	v_cmp_neq_f64_e32 vcc_lo, 0, v[140:141]
	v_cmp_neq_f64_e64 s3, 0, v[142:143]
	s_delay_alu instid0(VALU_DEP_1) | instskip(NEXT) | instid1(SALU_CYCLE_1)
	s_or_b32 s3, vcc_lo, s3
	s_and_b32 exec_lo, exec_lo, s3
	s_cbranch_execz .LBB37_152
; %bb.147:
	v_cmp_gt_f64_e32 vcc_lo, 0, v[140:141]
	v_cmp_gt_f64_e64 s3, 0, v[142:143]
	v_xor_b32_e32 v76, 0x80000000, v141
	v_xor_b32_e32 v78, 0x80000000, v143
                                        ; implicit-def: $vgpr148_vgpr149
	s_delay_alu instid0(VALU_DEP_2) | instskip(NEXT) | instid1(VALU_DEP_2)
	v_cndmask_b32_e32 v77, v141, v76, vcc_lo
	v_cndmask_b32_e64 v79, v143, v78, s3
	v_cndmask_b32_e32 v76, v140, v140, vcc_lo
	v_cndmask_b32_e64 v78, v142, v142, s3
	s_mov_b32 s3, exec_lo
	s_delay_alu instid0(VALU_DEP_1)
	v_cmpx_ngt_f64_e32 v[76:77], v[78:79]
	s_xor_b32 s3, exec_lo, s3
                                        ; implicit-def: $vgpr144_vgpr145_vgpr146_vgpr147
	s_cbranch_execz .LBB37_149
; %bb.148:
	v_div_scale_f64 v[76:77], null, v[142:143], v[142:143], v[140:141]
	v_div_scale_f64 v[146:147], vcc_lo, v[140:141], v[142:143], v[140:141]
	s_delay_alu instid0(VALU_DEP_2) | instskip(SKIP_2) | instid1(VALU_DEP_1)
	v_rcp_f64_e32 v[78:79], v[76:77]
	s_waitcnt_depctr 0xfff
	v_fma_f64 v[144:145], -v[76:77], v[78:79], 1.0
	v_fma_f64 v[78:79], v[78:79], v[144:145], v[78:79]
	s_delay_alu instid0(VALU_DEP_1) | instskip(NEXT) | instid1(VALU_DEP_1)
	v_fma_f64 v[144:145], -v[76:77], v[78:79], 1.0
	v_fma_f64 v[78:79], v[78:79], v[144:145], v[78:79]
	s_delay_alu instid0(VALU_DEP_1) | instskip(NEXT) | instid1(VALU_DEP_1)
	v_mul_f64 v[144:145], v[146:147], v[78:79]
	v_fma_f64 v[76:77], -v[76:77], v[144:145], v[146:147]
	s_delay_alu instid0(VALU_DEP_1) | instskip(NEXT) | instid1(VALU_DEP_1)
	v_div_fmas_f64 v[76:77], v[76:77], v[78:79], v[144:145]
	v_div_fixup_f64 v[76:77], v[76:77], v[142:143], v[140:141]
	s_delay_alu instid0(VALU_DEP_1) | instskip(NEXT) | instid1(VALU_DEP_1)
	v_fma_f64 v[78:79], v[140:141], v[76:77], v[142:143]
	v_div_scale_f64 v[140:141], null, v[78:79], v[78:79], 1.0
	s_delay_alu instid0(VALU_DEP_1) | instskip(SKIP_2) | instid1(VALU_DEP_1)
	v_rcp_f64_e32 v[142:143], v[140:141]
	s_waitcnt_depctr 0xfff
	v_fma_f64 v[144:145], -v[140:141], v[142:143], 1.0
	v_fma_f64 v[142:143], v[142:143], v[144:145], v[142:143]
	s_delay_alu instid0(VALU_DEP_1) | instskip(NEXT) | instid1(VALU_DEP_1)
	v_fma_f64 v[144:145], -v[140:141], v[142:143], 1.0
	v_fma_f64 v[142:143], v[142:143], v[144:145], v[142:143]
	v_div_scale_f64 v[144:145], vcc_lo, 1.0, v[78:79], 1.0
	s_delay_alu instid0(VALU_DEP_1) | instskip(NEXT) | instid1(VALU_DEP_1)
	v_mul_f64 v[146:147], v[144:145], v[142:143]
	v_fma_f64 v[140:141], -v[140:141], v[146:147], v[144:145]
	s_delay_alu instid0(VALU_DEP_1) | instskip(NEXT) | instid1(VALU_DEP_1)
	v_div_fmas_f64 v[140:141], v[140:141], v[142:143], v[146:147]
	v_div_fixup_f64 v[146:147], v[140:141], v[78:79], 1.0
                                        ; implicit-def: $vgpr140_vgpr141
	s_delay_alu instid0(VALU_DEP_1)
	v_mul_f64 v[148:149], v[76:77], v[146:147]
	v_xor_b32_e32 v147, 0x80000000, v147
.LBB37_149:
	s_and_not1_saveexec_b32 s3, s3
	s_cbranch_execz .LBB37_151
; %bb.150:
	v_div_scale_f64 v[76:77], null, v[140:141], v[140:141], v[142:143]
	v_div_scale_f64 v[146:147], vcc_lo, v[142:143], v[140:141], v[142:143]
	s_delay_alu instid0(VALU_DEP_2) | instskip(SKIP_2) | instid1(VALU_DEP_1)
	v_rcp_f64_e32 v[78:79], v[76:77]
	s_waitcnt_depctr 0xfff
	v_fma_f64 v[144:145], -v[76:77], v[78:79], 1.0
	v_fma_f64 v[78:79], v[78:79], v[144:145], v[78:79]
	s_delay_alu instid0(VALU_DEP_1) | instskip(NEXT) | instid1(VALU_DEP_1)
	v_fma_f64 v[144:145], -v[76:77], v[78:79], 1.0
	v_fma_f64 v[78:79], v[78:79], v[144:145], v[78:79]
	s_delay_alu instid0(VALU_DEP_1) | instskip(NEXT) | instid1(VALU_DEP_1)
	v_mul_f64 v[144:145], v[146:147], v[78:79]
	v_fma_f64 v[76:77], -v[76:77], v[144:145], v[146:147]
	s_delay_alu instid0(VALU_DEP_1) | instskip(NEXT) | instid1(VALU_DEP_1)
	v_div_fmas_f64 v[76:77], v[76:77], v[78:79], v[144:145]
	v_div_fixup_f64 v[76:77], v[76:77], v[140:141], v[142:143]
	s_delay_alu instid0(VALU_DEP_1) | instskip(NEXT) | instid1(VALU_DEP_1)
	v_fma_f64 v[78:79], v[142:143], v[76:77], v[140:141]
	v_div_scale_f64 v[140:141], null, v[78:79], v[78:79], 1.0
	s_delay_alu instid0(VALU_DEP_1) | instskip(SKIP_2) | instid1(VALU_DEP_1)
	v_rcp_f64_e32 v[142:143], v[140:141]
	s_waitcnt_depctr 0xfff
	v_fma_f64 v[144:145], -v[140:141], v[142:143], 1.0
	v_fma_f64 v[142:143], v[142:143], v[144:145], v[142:143]
	s_delay_alu instid0(VALU_DEP_1) | instskip(NEXT) | instid1(VALU_DEP_1)
	v_fma_f64 v[144:145], -v[140:141], v[142:143], 1.0
	v_fma_f64 v[142:143], v[142:143], v[144:145], v[142:143]
	v_div_scale_f64 v[144:145], vcc_lo, 1.0, v[78:79], 1.0
	s_delay_alu instid0(VALU_DEP_1) | instskip(NEXT) | instid1(VALU_DEP_1)
	v_mul_f64 v[146:147], v[144:145], v[142:143]
	v_fma_f64 v[140:141], -v[140:141], v[146:147], v[144:145]
	s_delay_alu instid0(VALU_DEP_1) | instskip(NEXT) | instid1(VALU_DEP_1)
	v_div_fmas_f64 v[140:141], v[140:141], v[142:143], v[146:147]
	v_div_fixup_f64 v[148:149], v[140:141], v[78:79], 1.0
	s_delay_alu instid0(VALU_DEP_1)
	v_mul_f64 v[146:147], v[76:77], -v[148:149]
.LBB37_151:
	s_or_b32 exec_lo, exec_lo, s3
	ds_store_2addr_b64 v74, v[148:149], v[146:147] offset1:1
.LBB37_152:
	s_or_b32 exec_lo, exec_lo, s4
	s_waitcnt lgkmcnt(0)
	s_barrier
	buffer_gl0_inv
	ds_load_2addr_b64 v[140:143], v74 offset1:1
	s_mov_b32 s3, exec_lo
	v_cmpx_lt_u32_e32 16, v255
	s_cbranch_execz .LBB37_154
; %bb.153:
	s_waitcnt lgkmcnt(0)
	v_mul_f64 v[76:77], v[140:141], v[10:11]
	v_mul_f64 v[10:11], v[142:143], v[10:11]
	ds_load_2addr_b64 v[144:147], v196 offset0:34 offset1:35
	ds_load_2addr_b64 v[148:151], v196 offset0:36 offset1:37
	v_fma_f64 v[76:77], v[142:143], v[8:9], v[76:77]
	v_fma_f64 v[8:9], v[140:141], v[8:9], -v[10:11]
	s_waitcnt lgkmcnt(1)
	s_delay_alu instid0(VALU_DEP_2) | instskip(SKIP_4) | instid1(VALU_DEP_4)
	v_mul_f64 v[10:11], v[146:147], v[76:77]
	v_mul_f64 v[78:79], v[144:145], v[76:77]
	s_waitcnt lgkmcnt(0)
	v_mul_f64 v[154:155], v[150:151], v[76:77]
	v_mul_f64 v[156:157], v[148:149], v[76:77]
	v_fma_f64 v[10:11], v[144:145], v[8:9], -v[10:11]
	s_delay_alu instid0(VALU_DEP_4) | instskip(NEXT) | instid1(VALU_DEP_4)
	v_fma_f64 v[78:79], v[146:147], v[8:9], v[78:79]
	v_fma_f64 v[144:145], v[148:149], v[8:9], -v[154:155]
	s_delay_alu instid0(VALU_DEP_4) | instskip(NEXT) | instid1(VALU_DEP_4)
	v_fma_f64 v[146:147], v[150:151], v[8:9], v[156:157]
	v_add_f64 v[4:5], v[4:5], -v[10:11]
	s_delay_alu instid0(VALU_DEP_4) | instskip(NEXT) | instid1(VALU_DEP_4)
	v_add_f64 v[6:7], v[6:7], -v[78:79]
	v_add_f64 v[0:1], v[0:1], -v[144:145]
	s_delay_alu instid0(VALU_DEP_4)
	v_add_f64 v[2:3], v[2:3], -v[146:147]
	v_dual_mov_b32 v10, v76 :: v_dual_mov_b32 v11, v77
.LBB37_154:
	s_or_b32 exec_lo, exec_lo, s3
	s_delay_alu instid0(SALU_CYCLE_1)
	s_mov_b32 s4, exec_lo
	s_waitcnt lgkmcnt(0)
	s_barrier
	buffer_gl0_inv
	v_cmpx_eq_u32_e32 17, v255
	s_cbranch_execz .LBB37_161
; %bb.155:
	ds_store_2addr_b64 v74, v[4:5], v[6:7] offset1:1
	ds_store_2addr_b64 v196, v[0:1], v[2:3] offset0:36 offset1:37
	ds_load_2addr_b64 v[144:147], v74 offset1:1
	s_waitcnt lgkmcnt(0)
	v_cmp_neq_f64_e32 vcc_lo, 0, v[144:145]
	v_cmp_neq_f64_e64 s3, 0, v[146:147]
	s_delay_alu instid0(VALU_DEP_1) | instskip(NEXT) | instid1(SALU_CYCLE_1)
	s_or_b32 s3, vcc_lo, s3
	s_and_b32 exec_lo, exec_lo, s3
	s_cbranch_execz .LBB37_161
; %bb.156:
	v_cmp_gt_f64_e32 vcc_lo, 0, v[144:145]
	v_cmp_gt_f64_e64 s3, 0, v[146:147]
	v_xor_b32_e32 v76, 0x80000000, v145
	v_xor_b32_e32 v78, 0x80000000, v147
                                        ; implicit-def: $vgpr192_vgpr193
	s_delay_alu instid0(VALU_DEP_2) | instskip(NEXT) | instid1(VALU_DEP_2)
	v_cndmask_b32_e32 v77, v145, v76, vcc_lo
	v_cndmask_b32_e64 v79, v147, v78, s3
	v_cndmask_b32_e32 v76, v144, v144, vcc_lo
	v_cndmask_b32_e64 v78, v146, v146, s3
	s_mov_b32 s3, exec_lo
	s_delay_alu instid0(VALU_DEP_1)
	v_cmpx_ngt_f64_e32 v[76:77], v[78:79]
	s_xor_b32 s3, exec_lo, s3
                                        ; implicit-def: $vgpr148_vgpr149_vgpr150_vgpr151
	s_cbranch_execz .LBB37_158
; %bb.157:
	v_div_scale_f64 v[76:77], null, v[146:147], v[146:147], v[144:145]
	v_div_scale_f64 v[150:151], vcc_lo, v[144:145], v[146:147], v[144:145]
	s_delay_alu instid0(VALU_DEP_2) | instskip(SKIP_2) | instid1(VALU_DEP_1)
	v_rcp_f64_e32 v[78:79], v[76:77]
	s_waitcnt_depctr 0xfff
	v_fma_f64 v[148:149], -v[76:77], v[78:79], 1.0
	v_fma_f64 v[78:79], v[78:79], v[148:149], v[78:79]
	s_delay_alu instid0(VALU_DEP_1) | instskip(NEXT) | instid1(VALU_DEP_1)
	v_fma_f64 v[148:149], -v[76:77], v[78:79], 1.0
	v_fma_f64 v[78:79], v[78:79], v[148:149], v[78:79]
	s_delay_alu instid0(VALU_DEP_1) | instskip(NEXT) | instid1(VALU_DEP_1)
	v_mul_f64 v[148:149], v[150:151], v[78:79]
	v_fma_f64 v[76:77], -v[76:77], v[148:149], v[150:151]
	s_delay_alu instid0(VALU_DEP_1) | instskip(NEXT) | instid1(VALU_DEP_1)
	v_div_fmas_f64 v[76:77], v[76:77], v[78:79], v[148:149]
	v_div_fixup_f64 v[76:77], v[76:77], v[146:147], v[144:145]
	s_delay_alu instid0(VALU_DEP_1) | instskip(NEXT) | instid1(VALU_DEP_1)
	v_fma_f64 v[78:79], v[144:145], v[76:77], v[146:147]
	v_div_scale_f64 v[144:145], null, v[78:79], v[78:79], 1.0
	s_delay_alu instid0(VALU_DEP_1) | instskip(SKIP_2) | instid1(VALU_DEP_1)
	v_rcp_f64_e32 v[146:147], v[144:145]
	s_waitcnt_depctr 0xfff
	v_fma_f64 v[148:149], -v[144:145], v[146:147], 1.0
	v_fma_f64 v[146:147], v[146:147], v[148:149], v[146:147]
	s_delay_alu instid0(VALU_DEP_1) | instskip(NEXT) | instid1(VALU_DEP_1)
	v_fma_f64 v[148:149], -v[144:145], v[146:147], 1.0
	v_fma_f64 v[146:147], v[146:147], v[148:149], v[146:147]
	v_div_scale_f64 v[148:149], vcc_lo, 1.0, v[78:79], 1.0
	s_delay_alu instid0(VALU_DEP_1) | instskip(NEXT) | instid1(VALU_DEP_1)
	v_mul_f64 v[150:151], v[148:149], v[146:147]
	v_fma_f64 v[144:145], -v[144:145], v[150:151], v[148:149]
	s_delay_alu instid0(VALU_DEP_1) | instskip(NEXT) | instid1(VALU_DEP_1)
	v_div_fmas_f64 v[144:145], v[144:145], v[146:147], v[150:151]
	v_div_fixup_f64 v[150:151], v[144:145], v[78:79], 1.0
                                        ; implicit-def: $vgpr144_vgpr145
	s_delay_alu instid0(VALU_DEP_1)
	v_mul_f64 v[192:193], v[76:77], v[150:151]
	v_xor_b32_e32 v151, 0x80000000, v151
.LBB37_158:
	s_and_not1_saveexec_b32 s3, s3
	s_cbranch_execz .LBB37_160
; %bb.159:
	v_div_scale_f64 v[76:77], null, v[144:145], v[144:145], v[146:147]
	v_div_scale_f64 v[150:151], vcc_lo, v[146:147], v[144:145], v[146:147]
	s_delay_alu instid0(VALU_DEP_2) | instskip(SKIP_2) | instid1(VALU_DEP_1)
	v_rcp_f64_e32 v[78:79], v[76:77]
	s_waitcnt_depctr 0xfff
	v_fma_f64 v[148:149], -v[76:77], v[78:79], 1.0
	v_fma_f64 v[78:79], v[78:79], v[148:149], v[78:79]
	s_delay_alu instid0(VALU_DEP_1) | instskip(NEXT) | instid1(VALU_DEP_1)
	v_fma_f64 v[148:149], -v[76:77], v[78:79], 1.0
	v_fma_f64 v[78:79], v[78:79], v[148:149], v[78:79]
	s_delay_alu instid0(VALU_DEP_1) | instskip(NEXT) | instid1(VALU_DEP_1)
	v_mul_f64 v[148:149], v[150:151], v[78:79]
	v_fma_f64 v[76:77], -v[76:77], v[148:149], v[150:151]
	s_delay_alu instid0(VALU_DEP_1) | instskip(NEXT) | instid1(VALU_DEP_1)
	v_div_fmas_f64 v[76:77], v[76:77], v[78:79], v[148:149]
	v_div_fixup_f64 v[76:77], v[76:77], v[144:145], v[146:147]
	s_delay_alu instid0(VALU_DEP_1) | instskip(NEXT) | instid1(VALU_DEP_1)
	v_fma_f64 v[78:79], v[146:147], v[76:77], v[144:145]
	v_div_scale_f64 v[144:145], null, v[78:79], v[78:79], 1.0
	s_delay_alu instid0(VALU_DEP_1) | instskip(SKIP_2) | instid1(VALU_DEP_1)
	v_rcp_f64_e32 v[146:147], v[144:145]
	s_waitcnt_depctr 0xfff
	v_fma_f64 v[148:149], -v[144:145], v[146:147], 1.0
	v_fma_f64 v[146:147], v[146:147], v[148:149], v[146:147]
	s_delay_alu instid0(VALU_DEP_1) | instskip(NEXT) | instid1(VALU_DEP_1)
	v_fma_f64 v[148:149], -v[144:145], v[146:147], 1.0
	v_fma_f64 v[146:147], v[146:147], v[148:149], v[146:147]
	v_div_scale_f64 v[148:149], vcc_lo, 1.0, v[78:79], 1.0
	s_delay_alu instid0(VALU_DEP_1) | instskip(NEXT) | instid1(VALU_DEP_1)
	v_mul_f64 v[150:151], v[148:149], v[146:147]
	v_fma_f64 v[144:145], -v[144:145], v[150:151], v[148:149]
	s_delay_alu instid0(VALU_DEP_1) | instskip(NEXT) | instid1(VALU_DEP_1)
	v_div_fmas_f64 v[144:145], v[144:145], v[146:147], v[150:151]
	v_div_fixup_f64 v[192:193], v[144:145], v[78:79], 1.0
	s_delay_alu instid0(VALU_DEP_1)
	v_mul_f64 v[150:151], v[76:77], -v[192:193]
.LBB37_160:
	s_or_b32 exec_lo, exec_lo, s3
	ds_store_2addr_b64 v74, v[192:193], v[150:151] offset1:1
.LBB37_161:
	s_or_b32 exec_lo, exec_lo, s4
	s_waitcnt lgkmcnt(0)
	s_barrier
	buffer_gl0_inv
	ds_load_2addr_b64 v[144:147], v74 offset1:1
	s_mov_b32 s3, exec_lo
	v_cmpx_lt_u32_e32 17, v255
	s_cbranch_execz .LBB37_163
; %bb.162:
	s_waitcnt lgkmcnt(0)
	v_mul_f64 v[76:77], v[144:145], v[6:7]
	v_mul_f64 v[6:7], v[146:147], v[6:7]
	ds_load_2addr_b64 v[148:151], v196 offset0:36 offset1:37
	v_fma_f64 v[76:77], v[146:147], v[4:5], v[76:77]
	v_fma_f64 v[4:5], v[144:145], v[4:5], -v[6:7]
	s_waitcnt lgkmcnt(0)
	s_delay_alu instid0(VALU_DEP_2) | instskip(SKIP_1) | instid1(VALU_DEP_2)
	v_mul_f64 v[6:7], v[150:151], v[76:77]
	v_mul_f64 v[78:79], v[148:149], v[76:77]
	v_fma_f64 v[6:7], v[148:149], v[4:5], -v[6:7]
	s_delay_alu instid0(VALU_DEP_2) | instskip(NEXT) | instid1(VALU_DEP_2)
	v_fma_f64 v[78:79], v[150:151], v[4:5], v[78:79]
	v_add_f64 v[0:1], v[0:1], -v[6:7]
	s_delay_alu instid0(VALU_DEP_2)
	v_add_f64 v[2:3], v[2:3], -v[78:79]
	v_dual_mov_b32 v6, v76 :: v_dual_mov_b32 v7, v77
.LBB37_163:
	s_or_b32 exec_lo, exec_lo, s3
	s_delay_alu instid0(SALU_CYCLE_1)
	s_mov_b32 s4, exec_lo
	s_waitcnt lgkmcnt(0)
	s_barrier
	buffer_gl0_inv
	v_cmpx_eq_u32_e32 18, v255
	s_cbranch_execz .LBB37_170
; %bb.164:
	v_cmp_neq_f64_e32 vcc_lo, 0, v[0:1]
	v_cmp_neq_f64_e64 s3, 0, v[2:3]
	ds_store_2addr_b64 v74, v[0:1], v[2:3] offset1:1
	s_or_b32 s3, vcc_lo, s3
	s_delay_alu instid0(SALU_CYCLE_1)
	s_and_b32 exec_lo, exec_lo, s3
	s_cbranch_execz .LBB37_170
; %bb.165:
	v_cmp_gt_f64_e32 vcc_lo, 0, v[0:1]
	v_cmp_gt_f64_e64 s3, 0, v[2:3]
	v_xor_b32_e32 v76, 0x80000000, v1
	v_xor_b32_e32 v78, 0x80000000, v3
                                        ; implicit-def: $vgpr192_vgpr193
	s_delay_alu instid0(VALU_DEP_2) | instskip(NEXT) | instid1(VALU_DEP_2)
	v_cndmask_b32_e32 v77, v1, v76, vcc_lo
	v_cndmask_b32_e64 v79, v3, v78, s3
	v_cndmask_b32_e32 v76, v0, v0, vcc_lo
	v_cndmask_b32_e64 v78, v2, v2, s3
	s_mov_b32 s3, exec_lo
	s_delay_alu instid0(VALU_DEP_1)
	v_cmpx_ngt_f64_e32 v[76:77], v[78:79]
	s_xor_b32 s3, exec_lo, s3
                                        ; implicit-def: $vgpr148_vgpr149_vgpr150_vgpr151
	s_cbranch_execz .LBB37_167
; %bb.166:
	v_div_scale_f64 v[76:77], null, v[2:3], v[2:3], v[0:1]
	v_div_scale_f64 v[150:151], vcc_lo, v[0:1], v[2:3], v[0:1]
	s_delay_alu instid0(VALU_DEP_2) | instskip(SKIP_2) | instid1(VALU_DEP_1)
	v_rcp_f64_e32 v[78:79], v[76:77]
	s_waitcnt_depctr 0xfff
	v_fma_f64 v[148:149], -v[76:77], v[78:79], 1.0
	v_fma_f64 v[78:79], v[78:79], v[148:149], v[78:79]
	s_delay_alu instid0(VALU_DEP_1) | instskip(NEXT) | instid1(VALU_DEP_1)
	v_fma_f64 v[148:149], -v[76:77], v[78:79], 1.0
	v_fma_f64 v[78:79], v[78:79], v[148:149], v[78:79]
	s_delay_alu instid0(VALU_DEP_1) | instskip(NEXT) | instid1(VALU_DEP_1)
	v_mul_f64 v[148:149], v[150:151], v[78:79]
	v_fma_f64 v[76:77], -v[76:77], v[148:149], v[150:151]
	s_delay_alu instid0(VALU_DEP_1) | instskip(NEXT) | instid1(VALU_DEP_1)
	v_div_fmas_f64 v[76:77], v[76:77], v[78:79], v[148:149]
	v_div_fixup_f64 v[76:77], v[76:77], v[2:3], v[0:1]
	s_delay_alu instid0(VALU_DEP_1) | instskip(NEXT) | instid1(VALU_DEP_1)
	v_fma_f64 v[78:79], v[0:1], v[76:77], v[2:3]
	v_div_scale_f64 v[148:149], null, v[78:79], v[78:79], 1.0
	s_delay_alu instid0(VALU_DEP_1) | instskip(SKIP_2) | instid1(VALU_DEP_1)
	v_rcp_f64_e32 v[150:151], v[148:149]
	s_waitcnt_depctr 0xfff
	v_fma_f64 v[154:155], -v[148:149], v[150:151], 1.0
	v_fma_f64 v[150:151], v[150:151], v[154:155], v[150:151]
	s_delay_alu instid0(VALU_DEP_1) | instskip(NEXT) | instid1(VALU_DEP_1)
	v_fma_f64 v[154:155], -v[148:149], v[150:151], 1.0
	v_fma_f64 v[150:151], v[150:151], v[154:155], v[150:151]
	v_div_scale_f64 v[154:155], vcc_lo, 1.0, v[78:79], 1.0
	s_delay_alu instid0(VALU_DEP_1) | instskip(NEXT) | instid1(VALU_DEP_1)
	v_mul_f64 v[156:157], v[154:155], v[150:151]
	v_fma_f64 v[148:149], -v[148:149], v[156:157], v[154:155]
	s_delay_alu instid0(VALU_DEP_1) | instskip(NEXT) | instid1(VALU_DEP_1)
	v_div_fmas_f64 v[148:149], v[148:149], v[150:151], v[156:157]
	v_div_fixup_f64 v[150:151], v[148:149], v[78:79], 1.0
	s_delay_alu instid0(VALU_DEP_1)
	v_mul_f64 v[192:193], v[76:77], v[150:151]
	v_xor_b32_e32 v151, 0x80000000, v151
.LBB37_167:
	s_and_not1_saveexec_b32 s3, s3
	s_cbranch_execz .LBB37_169
; %bb.168:
	v_div_scale_f64 v[76:77], null, v[0:1], v[0:1], v[2:3]
	v_div_scale_f64 v[150:151], vcc_lo, v[2:3], v[0:1], v[2:3]
	s_delay_alu instid0(VALU_DEP_2) | instskip(SKIP_2) | instid1(VALU_DEP_1)
	v_rcp_f64_e32 v[78:79], v[76:77]
	s_waitcnt_depctr 0xfff
	v_fma_f64 v[148:149], -v[76:77], v[78:79], 1.0
	v_fma_f64 v[78:79], v[78:79], v[148:149], v[78:79]
	s_delay_alu instid0(VALU_DEP_1) | instskip(NEXT) | instid1(VALU_DEP_1)
	v_fma_f64 v[148:149], -v[76:77], v[78:79], 1.0
	v_fma_f64 v[78:79], v[78:79], v[148:149], v[78:79]
	s_delay_alu instid0(VALU_DEP_1) | instskip(NEXT) | instid1(VALU_DEP_1)
	v_mul_f64 v[148:149], v[150:151], v[78:79]
	v_fma_f64 v[76:77], -v[76:77], v[148:149], v[150:151]
	s_delay_alu instid0(VALU_DEP_1) | instskip(NEXT) | instid1(VALU_DEP_1)
	v_div_fmas_f64 v[76:77], v[76:77], v[78:79], v[148:149]
	v_div_fixup_f64 v[76:77], v[76:77], v[0:1], v[2:3]
	s_delay_alu instid0(VALU_DEP_1) | instskip(NEXT) | instid1(VALU_DEP_1)
	v_fma_f64 v[78:79], v[2:3], v[76:77], v[0:1]
	v_div_scale_f64 v[148:149], null, v[78:79], v[78:79], 1.0
	s_delay_alu instid0(VALU_DEP_1) | instskip(SKIP_2) | instid1(VALU_DEP_1)
	v_rcp_f64_e32 v[150:151], v[148:149]
	s_waitcnt_depctr 0xfff
	v_fma_f64 v[154:155], -v[148:149], v[150:151], 1.0
	v_fma_f64 v[150:151], v[150:151], v[154:155], v[150:151]
	s_delay_alu instid0(VALU_DEP_1) | instskip(NEXT) | instid1(VALU_DEP_1)
	v_fma_f64 v[154:155], -v[148:149], v[150:151], 1.0
	v_fma_f64 v[150:151], v[150:151], v[154:155], v[150:151]
	v_div_scale_f64 v[154:155], vcc_lo, 1.0, v[78:79], 1.0
	s_delay_alu instid0(VALU_DEP_1) | instskip(NEXT) | instid1(VALU_DEP_1)
	v_mul_f64 v[156:157], v[154:155], v[150:151]
	v_fma_f64 v[148:149], -v[148:149], v[156:157], v[154:155]
	s_delay_alu instid0(VALU_DEP_1) | instskip(NEXT) | instid1(VALU_DEP_1)
	v_div_fmas_f64 v[148:149], v[148:149], v[150:151], v[156:157]
	v_div_fixup_f64 v[192:193], v[148:149], v[78:79], 1.0
	s_delay_alu instid0(VALU_DEP_1)
	v_mul_f64 v[150:151], v[76:77], -v[192:193]
.LBB37_169:
	s_or_b32 exec_lo, exec_lo, s3
	ds_store_2addr_b64 v74, v[192:193], v[150:151] offset1:1
.LBB37_170:
	s_or_b32 exec_lo, exec_lo, s4
	s_waitcnt lgkmcnt(0)
	s_barrier
	buffer_gl0_inv
	ds_load_2addr_b64 v[148:151], v74 offset1:1
	s_mov_b32 s3, exec_lo
	v_cmpx_lt_u32_e32 18, v255
	s_cbranch_execz .LBB37_172
; %bb.171:
	s_waitcnt lgkmcnt(0)
	v_mul_f64 v[76:77], v[150:151], v[2:3]
	v_mul_f64 v[2:3], v[148:149], v[2:3]
	s_delay_alu instid0(VALU_DEP_2) | instskip(NEXT) | instid1(VALU_DEP_2)
	v_fma_f64 v[76:77], v[148:149], v[0:1], -v[76:77]
	v_fma_f64 v[2:3], v[150:151], v[0:1], v[2:3]
	s_delay_alu instid0(VALU_DEP_2)
	v_dual_mov_b32 v0, v76 :: v_dual_mov_b32 v1, v77
.LBB37_172:
	s_or_b32 exec_lo, exec_lo, s3
	s_waitcnt lgkmcnt(0)
	s_barrier
	buffer_gl0_inv
	s_and_saveexec_b32 s10, s2
	s_cbranch_execz .LBB37_175
; %bb.173:
	s_load_b64 s[0:1], s[0:1], 0x28
	v_lshlrev_b64 v[76:77], 2, v[152:153]
	v_cmp_neq_f64_e64 s2, 0, v[82:83]
	v_cmp_eq_f64_e64 s3, 0, v[84:85]
	v_cmp_eq_f64_e64 s4, 0, v[86:87]
	v_cmp_eq_f64_e64 s5, 0, v[88:89]
	v_cmp_eq_f64_e64 s6, 0, v[90:91]
	v_cmp_eq_f64_e64 s7, 0, v[92:93]
	v_cmp_eq_f64_e64 s8, 0, v[94:95]
	s_waitcnt lgkmcnt(0)
	v_add_co_u32 v152, vcc_lo, s0, v76
	v_add_co_ci_u32_e32 v153, vcc_lo, s1, v77, vcc_lo
	v_cmp_neq_f64_e64 s1, 0, v[80:81]
	global_load_b32 v77, v[152:153], off
	scratch_load_b128 v[64:67], off, off offset:8 ; 16-byte Folded Reload
	s_or_b32 s1, s1, s2
	s_and_b32 s2, s3, s4
	s_and_b32 s4, s5, s6
	;; [unrolled: 1-line block ×3, first 2 shown]
	s_waitcnt vmcnt(0)
	v_cmp_eq_f64_e32 vcc_lo, 0, v[64:65]
	v_cmp_eq_f64_e64 s0, 0, v[66:67]
	s_delay_alu instid0(VALU_DEP_1) | instskip(NEXT) | instid1(SALU_CYCLE_1)
	s_and_b32 s0, vcc_lo, s0
	v_cndmask_b32_e64 v76, 0, 1, s0
	s_or_b32 vcc_lo, s1, s0
	v_cmp_eq_f64_e64 s0, 0, v[98:99]
	s_delay_alu instid0(VALU_DEP_2) | instskip(SKIP_1) | instid1(VALU_DEP_2)
	v_cndmask_b32_e32 v76, 2, v76, vcc_lo
	v_cmp_eq_f64_e32 vcc_lo, 0, v[96:97]
	v_cmp_eq_u32_e64 s1, 0, v76
	s_delay_alu instid0(VALU_DEP_1) | instskip(SKIP_3) | instid1(VALU_DEP_2)
	s_and_b32 s1, s2, s1
	v_cmp_eq_f64_e64 s2, 0, v[102:103]
	v_cndmask_b32_e64 v76, v76, 3, s1
	v_cmp_eq_f64_e64 s1, 0, v[100:101]
	v_cmp_eq_u32_e64 s3, 0, v76
	s_delay_alu instid0(VALU_DEP_1) | instskip(SKIP_3) | instid1(VALU_DEP_2)
	s_and_b32 s3, s4, s3
	v_cmp_eq_f64_e64 s4, 0, v[106:107]
	v_cndmask_b32_e64 v76, v76, 4, s3
	v_cmp_eq_f64_e64 s3, 0, v[104:105]
	v_cmp_eq_u32_e64 s5, 0, v76
	s_delay_alu instid0(VALU_DEP_1)
	s_and_b32 s5, s6, s5
	v_cmp_eq_f64_e64 s6, 0, v[110:111]
	v_cndmask_b32_e64 v76, v76, 5, s5
	v_cmp_eq_f64_e64 s5, 0, v[108:109]
	s_and_b32 s0, vcc_lo, s0
	v_cmp_eq_f64_e32 vcc_lo, 0, v[112:113]
	s_delay_alu instid0(VALU_DEP_3) | instskip(NEXT) | instid1(VALU_DEP_1)
	v_cmp_eq_u32_e64 s7, 0, v76
	s_and_b32 s0, s0, s7
	s_delay_alu instid0(SALU_CYCLE_1) | instskip(SKIP_3) | instid1(VALU_DEP_3)
	v_cndmask_b32_e64 v76, v76, 6, s0
	v_cmp_eq_f64_e64 s0, 0, v[114:115]
	s_and_b32 s1, s1, s2
	v_cmp_eq_f64_e64 s2, 0, v[118:119]
	v_cmp_eq_u32_e64 s7, 0, v76
	s_delay_alu instid0(VALU_DEP_1) | instskip(NEXT) | instid1(SALU_CYCLE_1)
	s_and_b32 s1, s1, s7
	v_cndmask_b32_e64 v76, v76, 7, s1
	v_cmp_eq_f64_e64 s1, 0, v[116:117]
	s_and_b32 s3, s3, s4
	v_cmp_eq_f64_e64 s4, 0, v[122:123]
	s_delay_alu instid0(VALU_DEP_3) | instskip(NEXT) | instid1(VALU_DEP_1)
	v_cmp_eq_u32_e64 s7, 0, v76
	s_and_b32 s3, s3, s7
	s_delay_alu instid0(SALU_CYCLE_1) | instskip(SKIP_3) | instid1(VALU_DEP_3)
	v_cndmask_b32_e64 v76, v76, 8, s3
	v_cmp_eq_f64_e64 s3, 0, v[120:121]
	s_and_b32 s5, s5, s6
	v_cmp_eq_f64_e64 s6, 0, v[126:127]
	v_cmp_eq_u32_e64 s7, 0, v76
	s_delay_alu instid0(VALU_DEP_1) | instskip(NEXT) | instid1(SALU_CYCLE_1)
	s_and_b32 s5, s5, s7
	v_cndmask_b32_e64 v76, v76, 9, s5
	v_cmp_eq_f64_e64 s5, 0, v[124:125]
	s_and_b32 s0, vcc_lo, s0
	v_cmp_eq_f64_e32 vcc_lo, 0, v[128:129]
	s_delay_alu instid0(VALU_DEP_3) | instskip(NEXT) | instid1(VALU_DEP_1)
	v_cmp_eq_u32_e64 s7, 0, v76
	s_and_b32 s0, s0, s7
	s_delay_alu instid0(SALU_CYCLE_1) | instskip(SKIP_3) | instid1(VALU_DEP_3)
	v_cndmask_b32_e64 v76, v76, 10, s0
	v_cmp_eq_f64_e64 s0, 0, v[130:131]
	s_and_b32 s1, s1, s2
	v_cmp_eq_f64_e64 s2, 0, v[134:135]
	v_cmp_eq_u32_e64 s7, 0, v76
	s_delay_alu instid0(VALU_DEP_1) | instskip(NEXT) | instid1(SALU_CYCLE_1)
	s_and_b32 s1, s1, s7
	v_cndmask_b32_e64 v76, v76, 11, s1
	v_cmp_eq_f64_e64 s1, 0, v[132:133]
	s_and_b32 s3, s3, s4
	v_cmp_eq_f64_e64 s4, 0, v[138:139]
	s_delay_alu instid0(VALU_DEP_3) | instskip(NEXT) | instid1(VALU_DEP_1)
	v_cmp_eq_u32_e64 s7, 0, v76
	s_and_b32 s3, s3, s7
	s_delay_alu instid0(SALU_CYCLE_1) | instskip(SKIP_3) | instid1(VALU_DEP_3)
	v_cndmask_b32_e64 v76, v76, 12, s3
	v_cmp_eq_f64_e64 s3, 0, v[136:137]
	s_and_b32 s5, s5, s6
	v_cmp_eq_f64_e64 s6, 0, v[142:143]
	v_cmp_eq_u32_e64 s7, 0, v76
	s_delay_alu instid0(VALU_DEP_1) | instskip(NEXT) | instid1(SALU_CYCLE_1)
	s_and_b32 s5, s5, s7
	v_cndmask_b32_e64 v76, v76, 13, s5
	v_cmp_eq_f64_e64 s5, 0, v[140:141]
	s_and_b32 s0, vcc_lo, s0
	v_cmp_eq_f64_e32 vcc_lo, 0, v[144:145]
	s_delay_alu instid0(VALU_DEP_3) | instskip(NEXT) | instid1(VALU_DEP_1)
	v_cmp_eq_u32_e64 s7, 0, v76
	s_and_b32 s0, s0, s7
	s_delay_alu instid0(SALU_CYCLE_1) | instskip(SKIP_3) | instid1(VALU_DEP_3)
	v_cndmask_b32_e64 v76, v76, 14, s0
	v_cmp_eq_f64_e64 s0, 0, v[146:147]
	s_and_b32 s1, s1, s2
	v_cmp_eq_f64_e64 s2, 0, v[150:151]
	v_cmp_eq_u32_e64 s7, 0, v76
	s_delay_alu instid0(VALU_DEP_1) | instskip(NEXT) | instid1(SALU_CYCLE_1)
	s_and_b32 s1, s1, s7
	v_cndmask_b32_e64 v76, v76, 15, s1
	v_cmp_eq_f64_e64 s1, 0, v[148:149]
	s_and_b32 s3, s3, s4
	s_delay_alu instid0(VALU_DEP_2) | instskip(NEXT) | instid1(VALU_DEP_1)
	v_cmp_eq_u32_e64 s7, 0, v76
	s_and_b32 s3, s3, s7
	s_delay_alu instid0(SALU_CYCLE_1) | instskip(SKIP_1) | instid1(VALU_DEP_1)
	v_cndmask_b32_e64 v76, v76, 16, s3
	s_and_b32 s4, s5, s6
	v_cmp_eq_u32_e64 s3, 0, v76
	s_delay_alu instid0(VALU_DEP_1) | instskip(NEXT) | instid1(SALU_CYCLE_1)
	s_and_b32 s3, s4, s3
	v_cndmask_b32_e64 v76, v76, 17, s3
	s_and_b32 s0, vcc_lo, s0
	s_delay_alu instid0(VALU_DEP_1) | instskip(NEXT) | instid1(VALU_DEP_1)
	v_cmp_eq_u32_e64 s3, 0, v76
	s_and_b32 s0, s0, s3
	s_delay_alu instid0(SALU_CYCLE_1) | instskip(SKIP_1) | instid1(VALU_DEP_1)
	v_cndmask_b32_e64 v76, v76, 18, s0
	s_and_b32 s0, s1, s2
	v_cmp_eq_u32_e32 vcc_lo, 0, v76
	s_and_b32 s0, s0, vcc_lo
	v_cmp_eq_u32_e32 vcc_lo, 0, v77
	v_cndmask_b32_e64 v76, v76, 19, s0
	s_delay_alu instid0(VALU_DEP_1) | instskip(NEXT) | instid1(VALU_DEP_1)
	v_cmp_ne_u32_e64 s0, 0, v76
	s_and_b32 s0, vcc_lo, s0
	s_delay_alu instid0(SALU_CYCLE_1)
	s_and_b32 exec_lo, exec_lo, s0
	s_cbranch_execz .LBB37_175
; %bb.174:
	v_add_nc_u32_e32 v76, s9, v76
	global_store_b32 v[152:153], v76, off
.LBB37_175:
	s_or_b32 exec_lo, exec_lo, s10
	scratch_load_b64 v[68:69], off, off     ; 8-byte Folded Reload
	global_store_b128 v[72:73], v[60:63], off
	s_waitcnt vmcnt(0)
	s_clause 0x11
	global_store_b128 v[68:69], v[241:244], off
	global_store_b128 v[194:195], v[245:248], off
	;; [unrolled: 1-line block ×18, first 2 shown]
.LBB37_176:
	s_nop 0
	s_sendmsg sendmsg(MSG_DEALLOC_VGPRS)
	s_endpgm
	.section	.rodata,"a",@progbits
	.p2align	6, 0x0
	.amdhsa_kernel _ZN9rocsolver6v33100L23getf2_npvt_small_kernelILi19E19rocblas_complex_numIdEiiPKPS3_EEvT1_T3_lS7_lPT2_S7_S7_
		.amdhsa_group_segment_fixed_size 0
		.amdhsa_private_segment_fixed_size 52
		.amdhsa_kernarg_size 312
		.amdhsa_user_sgpr_count 14
		.amdhsa_user_sgpr_dispatch_ptr 0
		.amdhsa_user_sgpr_queue_ptr 0
		.amdhsa_user_sgpr_kernarg_segment_ptr 1
		.amdhsa_user_sgpr_dispatch_id 0
		.amdhsa_user_sgpr_private_segment_size 0
		.amdhsa_wavefront_size32 1
		.amdhsa_uses_dynamic_stack 0
		.amdhsa_enable_private_segment 1
		.amdhsa_system_sgpr_workgroup_id_x 1
		.amdhsa_system_sgpr_workgroup_id_y 1
		.amdhsa_system_sgpr_workgroup_id_z 0
		.amdhsa_system_sgpr_workgroup_info 0
		.amdhsa_system_vgpr_workitem_id 1
		.amdhsa_next_free_vgpr 256
		.amdhsa_next_free_sgpr 16
		.amdhsa_reserve_vcc 1
		.amdhsa_float_round_mode_32 0
		.amdhsa_float_round_mode_16_64 0
		.amdhsa_float_denorm_mode_32 3
		.amdhsa_float_denorm_mode_16_64 3
		.amdhsa_dx10_clamp 1
		.amdhsa_ieee_mode 1
		.amdhsa_fp16_overflow 0
		.amdhsa_workgroup_processor_mode 1
		.amdhsa_memory_ordered 1
		.amdhsa_forward_progress 0
		.amdhsa_shared_vgpr_count 0
		.amdhsa_exception_fp_ieee_invalid_op 0
		.amdhsa_exception_fp_denorm_src 0
		.amdhsa_exception_fp_ieee_div_zero 0
		.amdhsa_exception_fp_ieee_overflow 0
		.amdhsa_exception_fp_ieee_underflow 0
		.amdhsa_exception_fp_ieee_inexact 0
		.amdhsa_exception_int_div_zero 0
	.end_amdhsa_kernel
	.section	.text._ZN9rocsolver6v33100L23getf2_npvt_small_kernelILi19E19rocblas_complex_numIdEiiPKPS3_EEvT1_T3_lS7_lPT2_S7_S7_,"axG",@progbits,_ZN9rocsolver6v33100L23getf2_npvt_small_kernelILi19E19rocblas_complex_numIdEiiPKPS3_EEvT1_T3_lS7_lPT2_S7_S7_,comdat
.Lfunc_end37:
	.size	_ZN9rocsolver6v33100L23getf2_npvt_small_kernelILi19E19rocblas_complex_numIdEiiPKPS3_EEvT1_T3_lS7_lPT2_S7_S7_, .Lfunc_end37-_ZN9rocsolver6v33100L23getf2_npvt_small_kernelILi19E19rocblas_complex_numIdEiiPKPS3_EEvT1_T3_lS7_lPT2_S7_S7_
                                        ; -- End function
	.section	.AMDGPU.csdata,"",@progbits
; Kernel info:
; codeLenInByte = 28188
; NumSgprs: 18
; NumVgprs: 256
; ScratchSize: 52
; MemoryBound: 1
; FloatMode: 240
; IeeeMode: 1
; LDSByteSize: 0 bytes/workgroup (compile time only)
; SGPRBlocks: 2
; VGPRBlocks: 31
; NumSGPRsForWavesPerEU: 18
; NumVGPRsForWavesPerEU: 256
; Occupancy: 5
; WaveLimiterHint : 1
; COMPUTE_PGM_RSRC2:SCRATCH_EN: 1
; COMPUTE_PGM_RSRC2:USER_SGPR: 14
; COMPUTE_PGM_RSRC2:TRAP_HANDLER: 0
; COMPUTE_PGM_RSRC2:TGID_X_EN: 1
; COMPUTE_PGM_RSRC2:TGID_Y_EN: 1
; COMPUTE_PGM_RSRC2:TGID_Z_EN: 0
; COMPUTE_PGM_RSRC2:TIDIG_COMP_CNT: 1
	.section	.text._ZN9rocsolver6v33100L18getf2_small_kernelILi20E19rocblas_complex_numIdEiiPKPS3_EEvT1_T3_lS7_lPS7_llPT2_S7_S7_S9_l,"axG",@progbits,_ZN9rocsolver6v33100L18getf2_small_kernelILi20E19rocblas_complex_numIdEiiPKPS3_EEvT1_T3_lS7_lPS7_llPT2_S7_S7_S9_l,comdat
	.globl	_ZN9rocsolver6v33100L18getf2_small_kernelILi20E19rocblas_complex_numIdEiiPKPS3_EEvT1_T3_lS7_lPS7_llPT2_S7_S7_S9_l ; -- Begin function _ZN9rocsolver6v33100L18getf2_small_kernelILi20E19rocblas_complex_numIdEiiPKPS3_EEvT1_T3_lS7_lPS7_llPT2_S7_S7_S9_l
	.p2align	8
	.type	_ZN9rocsolver6v33100L18getf2_small_kernelILi20E19rocblas_complex_numIdEiiPKPS3_EEvT1_T3_lS7_lPS7_llPT2_S7_S7_S9_l,@function
_ZN9rocsolver6v33100L18getf2_small_kernelILi20E19rocblas_complex_numIdEiiPKPS3_EEvT1_T3_lS7_lPS7_llPT2_S7_S7_S9_l: ; @_ZN9rocsolver6v33100L18getf2_small_kernelILi20E19rocblas_complex_numIdEiiPKPS3_EEvT1_T3_lS7_lPS7_llPT2_S7_S7_S9_l
; %bb.0:
	s_clause 0x1
	s_load_b32 s2, s[0:1], 0x6c
	s_load_b64 s[12:13], s[0:1], 0x48
	v_bfe_u32 v80, v0, 10, 10
	s_waitcnt lgkmcnt(0)
	s_lshr_b32 s2, s2, 16
	s_delay_alu instid0(VALU_DEP_1) | instid1(SALU_CYCLE_1)
	v_mad_u64_u32 v[84:85], null, s15, s2, v[80:81]
	s_mov_b32 s2, exec_lo
	s_delay_alu instid0(VALU_DEP_1)
	v_cmpx_gt_i32_e64 s12, v84
	s_cbranch_execz .LBB38_423
; %bb.1:
	s_clause 0x1
	s_load_b128 s[4:7], s[0:1], 0x8
	s_load_b128 s[8:11], s[0:1], 0x50
	v_ashrrev_i32_e32 v85, 31, v84
	v_mov_b32_e32 v86, 0
	v_mov_b32_e32 v87, 0
	s_delay_alu instid0(VALU_DEP_3) | instskip(SKIP_1) | instid1(VALU_DEP_1)
	v_lshlrev_b64 v[1:2], 3, v[84:85]
	s_waitcnt lgkmcnt(0)
	v_add_co_u32 v1, vcc_lo, s4, v1
	s_delay_alu instid0(VALU_DEP_2)
	v_add_co_ci_u32_e32 v2, vcc_lo, s5, v2, vcc_lo
	s_cmp_eq_u64 s[8:9], 0
	s_cselect_b32 s4, -1, 0
	global_load_b64 v[1:2], v[1:2], off
	s_and_b32 vcc_lo, exec_lo, s4
	s_cbranch_vccnz .LBB38_3
; %bb.2:
	v_mul_lo_u32 v5, v85, s10
	v_mul_lo_u32 v6, v84, s11
	v_mad_u64_u32 v[3:4], null, v84, s10, 0
	s_delay_alu instid0(VALU_DEP_1) | instskip(NEXT) | instid1(VALU_DEP_1)
	v_add3_u32 v4, v4, v6, v5
	v_lshlrev_b64 v[3:4], 2, v[3:4]
	s_delay_alu instid0(VALU_DEP_1) | instskip(NEXT) | instid1(VALU_DEP_2)
	v_add_co_u32 v86, vcc_lo, s8, v3
	v_add_co_ci_u32_e32 v87, vcc_lo, s9, v4, vcc_lo
.LBB38_3:
	s_clause 0x1
	s_load_b32 s8, s[0:1], 0x18
	s_load_b32 s5, s[0:1], 0x0
	v_and_b32_e32 v93, 0x3ff, v0
	s_lshl_b64 s[2:3], s[6:7], 4
	s_waitcnt vmcnt(0)
	v_add_co_u32 v91, vcc_lo, v1, s2
	s_delay_alu instid0(VALU_DEP_2) | instskip(SKIP_1) | instid1(VALU_DEP_2)
	v_lshlrev_b32_e32 v83, 4, v93
	v_add_co_ci_u32_e32 v92, vcc_lo, s3, v2, vcc_lo
	v_add_co_u32 v2, vcc_lo, v91, v83
	s_delay_alu instid0(VALU_DEP_2)
	v_add_co_ci_u32_e32 v3, vcc_lo, 0, v92, vcc_lo
	s_waitcnt lgkmcnt(0)
	v_add3_u32 v0, s8, s8, v93
	s_ashr_i32 s9, s8, 31
	s_max_i32 s2, s5, 20
	s_lshl_b64 s[10:11], s[8:9], 4
	s_cmp_lt_i32 s5, 2
	v_add_nc_u32_e32 v4, s8, v0
	v_add_co_u32 v6, vcc_lo, v2, s10
	v_ashrrev_i32_e32 v1, 31, v0
	v_add_co_ci_u32_e32 v7, vcc_lo, s11, v3, vcc_lo
	s_delay_alu instid0(VALU_DEP_4)
	v_ashrrev_i32_e32 v5, 31, v4
	v_add_nc_u32_e32 v8, s8, v4
	s_clause 0x1
	global_load_b128 v[72:75], v[2:3], off
	global_load_b128 v[68:71], v[6:7], off
	v_lshlrev_b64 v[0:1], 4, v[0:1]
	v_lshlrev_b64 v[2:3], 4, v[4:5]
	v_add_nc_u32_e32 v4, s8, v8
	v_ashrrev_i32_e32 v9, 31, v8
	s_delay_alu instid0(VALU_DEP_4) | instskip(NEXT) | instid1(VALU_DEP_3)
	v_add_co_u32 v0, vcc_lo, v91, v0
	v_ashrrev_i32_e32 v5, 31, v4
	s_delay_alu instid0(VALU_DEP_3)
	v_lshlrev_b64 v[6:7], 4, v[8:9]
	v_add_co_ci_u32_e32 v1, vcc_lo, v92, v1, vcc_lo
	v_add_nc_u32_e32 v8, s8, v4
	v_add_co_u32 v2, vcc_lo, v91, v2
	v_lshlrev_b64 v[4:5], 4, v[4:5]
	v_add_co_ci_u32_e32 v3, vcc_lo, v92, v3, vcc_lo
	v_add_co_u32 v6, vcc_lo, v91, v6
	v_add_nc_u32_e32 v10, s8, v8
	v_add_co_ci_u32_e32 v7, vcc_lo, v92, v7, vcc_lo
	v_add_co_u32 v4, vcc_lo, v91, v4
	v_ashrrev_i32_e32 v9, 31, v8
	v_add_co_ci_u32_e32 v5, vcc_lo, v92, v5, vcc_lo
	v_ashrrev_i32_e32 v11, 31, v10
	s_clause 0x1
	global_load_b128 v[76:79], v[0:1], off
	global_load_b128 v[60:63], v[2:3], off
	v_lshlrev_b64 v[0:1], 4, v[8:9]
	s_clause 0x1
	global_load_b128 v[64:67], v[6:7], off
	global_load_b128 v[36:39], v[4:5], off
	v_add_nc_u32_e32 v4, s8, v10
	v_lshlrev_b64 v[2:3], 4, v[10:11]
	v_add_co_u32 v0, vcc_lo, v91, v0
	s_delay_alu instid0(VALU_DEP_3) | instskip(SKIP_1) | instid1(VALU_DEP_4)
	v_add_nc_u32_e32 v6, s8, v4
	v_add_co_ci_u32_e32 v1, vcc_lo, v92, v1, vcc_lo
	v_add_co_u32 v2, vcc_lo, v91, v2
	s_delay_alu instid0(VALU_DEP_3)
	v_add_nc_u32_e32 v8, s8, v6
	v_add_co_ci_u32_e32 v3, vcc_lo, v92, v3, vcc_lo
	s_clause 0x1
	global_load_b128 v[56:59], v[0:1], off
	global_load_b128 v[52:55], v[2:3], off
	v_add_nc_u32_e32 v2, s8, v8
	v_ashrrev_i32_e32 v5, 31, v4
	v_ashrrev_i32_e32 v7, 31, v6
	;; [unrolled: 1-line block ×3, first 2 shown]
	s_delay_alu instid0(VALU_DEP_4) | instskip(NEXT) | instid1(VALU_DEP_4)
	v_ashrrev_i32_e32 v3, 31, v2
	v_lshlrev_b64 v[4:5], 4, v[4:5]
	s_delay_alu instid0(VALU_DEP_4) | instskip(NEXT) | instid1(VALU_DEP_4)
	v_lshlrev_b64 v[0:1], 4, v[6:7]
	v_lshlrev_b64 v[6:7], 4, v[8:9]
	s_delay_alu instid0(VALU_DEP_4) | instskip(SKIP_4) | instid1(VALU_DEP_4)
	v_lshlrev_b64 v[8:9], 4, v[2:3]
	v_add_nc_u32_e32 v2, s8, v2
	v_add_co_u32 v4, vcc_lo, v91, v4
	v_add_co_ci_u32_e32 v5, vcc_lo, v92, v5, vcc_lo
	v_add_co_u32 v0, vcc_lo, v91, v0
	v_add_nc_u32_e32 v10, s8, v2
	v_add_co_ci_u32_e32 v1, vcc_lo, v92, v1, vcc_lo
	v_ashrrev_i32_e32 v3, 31, v2
	v_add_co_u32 v6, vcc_lo, v91, v6
	v_add_co_ci_u32_e32 v7, vcc_lo, v92, v7, vcc_lo
	v_ashrrev_i32_e32 v11, 31, v10
	v_add_co_u32 v8, vcc_lo, v91, v8
	s_clause 0x1
	global_load_b128 v[48:51], v[4:5], off
	global_load_b128 v[44:47], v[0:1], off
	v_lshlrev_b64 v[0:1], 4, v[2:3]
	v_add_nc_u32_e32 v4, s8, v10
	v_add_co_ci_u32_e32 v9, vcc_lo, v92, v9, vcc_lo
	v_lshlrev_b64 v[2:3], 4, v[10:11]
	s_clause 0x1
	global_load_b128 v[28:31], v[6:7], off
	global_load_b128 v[24:27], v[8:9], off
	v_add_nc_u32_e32 v6, s8, v4
	v_add_co_u32 v0, vcc_lo, v91, v0
	v_add_co_ci_u32_e32 v1, vcc_lo, v92, v1, vcc_lo
	v_add_co_u32 v2, vcc_lo, v91, v2
	s_delay_alu instid0(VALU_DEP_4)
	v_add_nc_u32_e32 v8, s8, v6
	v_add_co_ci_u32_e32 v3, vcc_lo, v92, v3, vcc_lo
	v_ashrrev_i32_e32 v5, 31, v4
	v_ashrrev_i32_e32 v7, 31, v6
	s_clause 0x1
	global_load_b128 v[40:43], v[0:1], off
	global_load_b128 v[20:23], v[2:3], off
	v_ashrrev_i32_e32 v9, 31, v8
	v_add_nc_u32_e32 v2, s8, v8
	v_lshlrev_b64 v[4:5], 4, v[4:5]
	v_lshlrev_b64 v[0:1], 4, v[6:7]
	s_delay_alu instid0(VALU_DEP_4) | instskip(NEXT) | instid1(VALU_DEP_4)
	v_lshlrev_b64 v[6:7], 4, v[8:9]
	v_add_nc_u32_e32 v8, s8, v2
	v_ashrrev_i32_e32 v3, 31, v2
	v_add_co_u32 v4, vcc_lo, v91, v4
	v_add_co_ci_u32_e32 v5, vcc_lo, v92, v5, vcc_lo
	s_delay_alu instid0(VALU_DEP_4) | instskip(SKIP_3) | instid1(VALU_DEP_4)
	v_add_nc_u32_e32 v10, s8, v8
	v_ashrrev_i32_e32 v9, 31, v8
	v_add_co_u32 v0, vcc_lo, v91, v0
	v_lshlrev_b64 v[2:3], 4, v[2:3]
	v_ashrrev_i32_e32 v11, 31, v10
	v_add_co_ci_u32_e32 v1, vcc_lo, v92, v1, vcc_lo
	v_add_co_u32 v6, vcc_lo, v91, v6
	v_lshlrev_b64 v[8:9], 4, v[8:9]
	v_add_co_ci_u32_e32 v7, vcc_lo, v92, v7, vcc_lo
	v_add_co_u32 v2, vcc_lo, v91, v2
	v_lshlrev_b64 v[10:11], 4, v[10:11]
	v_add_co_ci_u32_e32 v3, vcc_lo, v92, v3, vcc_lo
	v_add_co_u32 v81, vcc_lo, v91, v8
	v_add_co_ci_u32_e32 v82, vcc_lo, v92, v9, vcc_lo
	s_delay_alu instid0(VALU_DEP_4)
	v_add_co_u32 v88, vcc_lo, v91, v10
	v_add_co_ci_u32_e32 v89, vcc_lo, v92, v11, vcc_lo
	s_clause 0x5
	global_load_b128 v[32:35], v[4:5], off
	global_load_b128 v[16:19], v[0:1], off
	;; [unrolled: 1-line block ×6, first 2 shown]
	v_mov_b32_e32 v88, 0
	v_mul_lo_u32 v89, s2, v80
	s_delay_alu instid0(VALU_DEP_1) | instskip(SKIP_1) | instid1(VALU_DEP_2)
	v_lshl_add_u32 v90, v89, 4, 0
	v_lshlrev_b32_e32 v95, 4, v89
	v_add_nc_u32_e32 v80, v90, v83
	s_waitcnt vmcnt(19)
	ds_store_2addr_b64 v80, v[72:73], v[74:75] offset1:1
	s_waitcnt vmcnt(0) lgkmcnt(0)
	s_barrier
	buffer_gl0_inv
	ds_load_2addr_b64 v[80:83], v90 offset1:1
	s_cbranch_scc1 .LBB38_6
; %bb.4:
	v_add3_u32 v89, v95, 0, 16
	v_mov_b32_e32 v88, 0
	s_mov_b32 s6, 1
	s_set_inst_prefetch_distance 0x1
	.p2align	6
.LBB38_5:                               ; =>This Inner Loop Header: Depth=1
	ds_load_2addr_b64 v[96:99], v89 offset1:1
	s_waitcnt lgkmcnt(1)
	v_cmp_gt_f64_e32 vcc_lo, 0, v[80:81]
	v_xor_b32_e32 v94, 0x80000000, v81
	v_cmp_gt_f64_e64 s2, 0, v[82:83]
	v_xor_b32_e32 v100, 0x80000000, v83
	v_add_nc_u32_e32 v89, 16, v89
	s_waitcnt lgkmcnt(0)
	v_cmp_gt_f64_e64 s3, 0, v[96:97]
	v_mov_b32_e32 v104, v96
	v_dual_mov_b32 v106, v98 :: v_dual_cndmask_b32 v101, v81, v94
	v_xor_b32_e32 v94, 0x80000000, v97
	v_cndmask_b32_e64 v103, v83, v100, s2
	v_xor_b32_e32 v100, 0x80000000, v99
	v_cndmask_b32_e64 v102, v82, v82, s2
	s_delay_alu instid0(VALU_DEP_4) | instskip(SKIP_1) | instid1(VALU_DEP_1)
	v_cndmask_b32_e64 v105, v97, v94, s3
	v_cmp_gt_f64_e64 s3, 0, v[98:99]
	v_cndmask_b32_e64 v107, v99, v100, s3
	v_cndmask_b32_e32 v100, v80, v80, vcc_lo
	s_delay_alu instid0(VALU_DEP_2) | instskip(NEXT) | instid1(VALU_DEP_2)
	v_add_f64 v[104:105], v[104:105], v[106:107]
	v_add_f64 v[100:101], v[100:101], v[102:103]
	s_delay_alu instid0(VALU_DEP_1)
	v_cmp_lt_f64_e32 vcc_lo, v[100:101], v[104:105]
	v_cndmask_b32_e32 v83, v83, v99, vcc_lo
	v_dual_cndmask_b32 v81, v81, v97 :: v_dual_cndmask_b32 v80, v80, v96
	v_cndmask_b32_e32 v82, v82, v98, vcc_lo
	v_cndmask_b32_e64 v88, v88, s6, vcc_lo
	s_add_i32 s6, s6, 1
	s_delay_alu instid0(SALU_CYCLE_1)
	s_cmp_eq_u32 s5, s6
	s_cbranch_scc0 .LBB38_5
.LBB38_6:
	s_set_inst_prefetch_distance 0x2
	s_waitcnt lgkmcnt(0)
	v_cmp_neq_f64_e32 vcc_lo, 0, v[80:81]
	v_cmp_neq_f64_e64 s2, 0, v[82:83]
	v_dual_mov_b32 v94, 1 :: v_dual_mov_b32 v97, 1
	s_delay_alu instid0(VALU_DEP_2) | instskip(NEXT) | instid1(SALU_CYCLE_1)
	s_or_b32 s2, vcc_lo, s2
	s_and_saveexec_b32 s3, s2
	s_cbranch_execz .LBB38_12
; %bb.7:
	v_cmp_gt_f64_e32 vcc_lo, 0, v[80:81]
	v_cmp_gt_f64_e64 s2, 0, v[82:83]
	v_xor_b32_e32 v89, 0x80000000, v81
	v_xor_b32_e32 v94, 0x80000000, v83
                                        ; implicit-def: $sgpr6
                                        ; implicit-def: $sgpr7
	s_delay_alu instid0(VALU_DEP_2) | instskip(NEXT) | instid1(VALU_DEP_2)
	v_dual_cndmask_b32 v97, v81, v89 :: v_dual_cndmask_b32 v96, v80, v80
	v_cndmask_b32_e64 v99, v83, v94, s2
	v_cndmask_b32_e64 v98, v82, v82, s2
	s_mov_b32 s2, exec_lo
	s_delay_alu instid0(VALU_DEP_1)
	v_cmpx_ngt_f64_e32 v[96:97], v[98:99]
	s_xor_b32 s2, exec_lo, s2
	s_cbranch_execz .LBB38_9
; %bb.8:
	v_div_scale_f64 v[96:97], null, v[82:83], v[82:83], v[80:81]
	v_div_scale_f64 v[102:103], vcc_lo, v[80:81], v[82:83], v[80:81]
	s_mov_b32 s7, 2
	s_mov_b32 s6, 0
	s_delay_alu instid0(VALU_DEP_2) | instskip(SKIP_2) | instid1(VALU_DEP_1)
	v_rcp_f64_e32 v[98:99], v[96:97]
	s_waitcnt_depctr 0xfff
	v_fma_f64 v[100:101], -v[96:97], v[98:99], 1.0
	v_fma_f64 v[98:99], v[98:99], v[100:101], v[98:99]
	s_delay_alu instid0(VALU_DEP_1) | instskip(NEXT) | instid1(VALU_DEP_1)
	v_fma_f64 v[100:101], -v[96:97], v[98:99], 1.0
	v_fma_f64 v[98:99], v[98:99], v[100:101], v[98:99]
	s_delay_alu instid0(VALU_DEP_1) | instskip(NEXT) | instid1(VALU_DEP_1)
	v_mul_f64 v[100:101], v[102:103], v[98:99]
	v_fma_f64 v[96:97], -v[96:97], v[100:101], v[102:103]
	s_delay_alu instid0(VALU_DEP_1) | instskip(NEXT) | instid1(VALU_DEP_1)
	v_div_fmas_f64 v[96:97], v[96:97], v[98:99], v[100:101]
	v_div_fixup_f64 v[96:97], v[96:97], v[82:83], v[80:81]
	s_delay_alu instid0(VALU_DEP_1) | instskip(NEXT) | instid1(VALU_DEP_1)
	v_fma_f64 v[80:81], v[80:81], v[96:97], v[82:83]
	v_div_scale_f64 v[82:83], null, v[80:81], v[80:81], 1.0
	s_delay_alu instid0(VALU_DEP_1) | instskip(SKIP_2) | instid1(VALU_DEP_1)
	v_rcp_f64_e32 v[98:99], v[82:83]
	s_waitcnt_depctr 0xfff
	v_fma_f64 v[100:101], -v[82:83], v[98:99], 1.0
	v_fma_f64 v[98:99], v[98:99], v[100:101], v[98:99]
	s_delay_alu instid0(VALU_DEP_1) | instskip(NEXT) | instid1(VALU_DEP_1)
	v_fma_f64 v[100:101], -v[82:83], v[98:99], 1.0
	v_fma_f64 v[98:99], v[98:99], v[100:101], v[98:99]
	v_div_scale_f64 v[100:101], vcc_lo, 1.0, v[80:81], 1.0
	s_delay_alu instid0(VALU_DEP_1) | instskip(NEXT) | instid1(VALU_DEP_1)
	v_mul_f64 v[102:103], v[100:101], v[98:99]
	v_fma_f64 v[82:83], -v[82:83], v[102:103], v[100:101]
	s_delay_alu instid0(VALU_DEP_1) | instskip(NEXT) | instid1(VALU_DEP_1)
	v_div_fmas_f64 v[82:83], v[82:83], v[98:99], v[102:103]
	v_div_fixup_f64 v[82:83], v[82:83], v[80:81], 1.0
	s_delay_alu instid0(VALU_DEP_1)
	v_mul_f64 v[80:81], v[96:97], v[82:83]
	v_xor_b32_e32 v83, 0x80000000, v83
.LBB38_9:
	s_or_saveexec_b32 s2, s2
	v_dual_mov_b32 v97, s6 :: v_dual_mov_b32 v94, s7
	s_xor_b32 exec_lo, exec_lo, s2
	s_cbranch_execz .LBB38_11
; %bb.10:
	s_delay_alu instid0(VALU_DEP_3) | instskip(SKIP_2) | instid1(VALU_DEP_3)
	v_div_scale_f64 v[96:97], null, v[80:81], v[80:81], v[82:83]
	v_div_scale_f64 v[102:103], vcc_lo, v[82:83], v[80:81], v[82:83]
	v_mov_b32_e32 v94, 2
	v_rcp_f64_e32 v[98:99], v[96:97]
	s_waitcnt_depctr 0xfff
	v_fma_f64 v[100:101], -v[96:97], v[98:99], 1.0
	s_delay_alu instid0(VALU_DEP_1) | instskip(NEXT) | instid1(VALU_DEP_1)
	v_fma_f64 v[98:99], v[98:99], v[100:101], v[98:99]
	v_fma_f64 v[100:101], -v[96:97], v[98:99], 1.0
	s_delay_alu instid0(VALU_DEP_1) | instskip(NEXT) | instid1(VALU_DEP_1)
	v_fma_f64 v[98:99], v[98:99], v[100:101], v[98:99]
	v_mul_f64 v[100:101], v[102:103], v[98:99]
	s_delay_alu instid0(VALU_DEP_1) | instskip(NEXT) | instid1(VALU_DEP_1)
	v_fma_f64 v[96:97], -v[96:97], v[100:101], v[102:103]
	v_div_fmas_f64 v[96:97], v[96:97], v[98:99], v[100:101]
	s_delay_alu instid0(VALU_DEP_1) | instskip(NEXT) | instid1(VALU_DEP_1)
	v_div_fixup_f64 v[96:97], v[96:97], v[80:81], v[82:83]
	v_fma_f64 v[80:81], v[82:83], v[96:97], v[80:81]
	s_delay_alu instid0(VALU_DEP_1) | instskip(NEXT) | instid1(VALU_DEP_1)
	v_div_scale_f64 v[82:83], null, v[80:81], v[80:81], 1.0
	v_rcp_f64_e32 v[98:99], v[82:83]
	s_waitcnt_depctr 0xfff
	v_fma_f64 v[100:101], -v[82:83], v[98:99], 1.0
	s_delay_alu instid0(VALU_DEP_1) | instskip(NEXT) | instid1(VALU_DEP_1)
	v_fma_f64 v[98:99], v[98:99], v[100:101], v[98:99]
	v_fma_f64 v[100:101], -v[82:83], v[98:99], 1.0
	s_delay_alu instid0(VALU_DEP_1) | instskip(SKIP_1) | instid1(VALU_DEP_1)
	v_fma_f64 v[98:99], v[98:99], v[100:101], v[98:99]
	v_div_scale_f64 v[100:101], vcc_lo, 1.0, v[80:81], 1.0
	v_mul_f64 v[102:103], v[100:101], v[98:99]
	s_delay_alu instid0(VALU_DEP_1) | instskip(NEXT) | instid1(VALU_DEP_1)
	v_fma_f64 v[82:83], -v[82:83], v[102:103], v[100:101]
	v_div_fmas_f64 v[82:83], v[82:83], v[98:99], v[102:103]
	s_delay_alu instid0(VALU_DEP_1) | instskip(NEXT) | instid1(VALU_DEP_1)
	v_div_fixup_f64 v[80:81], v[82:83], v[80:81], 1.0
	v_mul_f64 v[82:83], v[96:97], -v[80:81]
	v_mov_b32_e32 v97, 0
.LBB38_11:
	s_or_b32 exec_lo, exec_lo, s2
.LBB38_12:
	s_delay_alu instid0(SALU_CYCLE_1) | instskip(NEXT) | instid1(SALU_CYCLE_1)
	s_or_b32 exec_lo, exec_lo, s3
	s_mov_b32 s2, exec_lo
	v_cmpx_ne_u32_e64 v93, v88
	s_xor_b32 s2, exec_lo, s2
	s_cbranch_execz .LBB38_18
; %bb.13:
	s_mov_b32 s3, exec_lo
	v_cmpx_eq_u32_e32 0, v93
	s_cbranch_execz .LBB38_17
; %bb.14:
	v_cmp_ne_u32_e32 vcc_lo, 0, v88
	s_xor_b32 s6, s4, -1
	s_delay_alu instid0(SALU_CYCLE_1) | instskip(NEXT) | instid1(SALU_CYCLE_1)
	s_and_b32 s7, s6, vcc_lo
	s_and_saveexec_b32 s6, s7
	s_cbranch_execz .LBB38_16
; %bb.15:
	v_ashrrev_i32_e32 v89, 31, v88
	s_delay_alu instid0(VALU_DEP_1) | instskip(NEXT) | instid1(VALU_DEP_1)
	v_lshlrev_b64 v[98:99], 2, v[88:89]
	v_add_co_u32 v98, vcc_lo, v86, v98
	s_delay_alu instid0(VALU_DEP_2)
	v_add_co_ci_u32_e32 v99, vcc_lo, v87, v99, vcc_lo
	s_clause 0x1
	flat_load_b32 v89, v[98:99]
	flat_load_b32 v93, v[86:87]
	s_waitcnt vmcnt(1) lgkmcnt(1)
	flat_store_b32 v[86:87], v89
	s_waitcnt vmcnt(0) lgkmcnt(1)
	flat_store_b32 v[98:99], v93
.LBB38_16:
	s_or_b32 exec_lo, exec_lo, s6
	v_mov_b32_e32 v93, v88
.LBB38_17:
	s_or_b32 exec_lo, exec_lo, s3
.LBB38_18:
	s_or_saveexec_b32 s2, s2
	s_delay_alu instid0(VALU_DEP_1)
	v_mov_b32_e32 v96, v93
	s_xor_b32 exec_lo, exec_lo, s2
	s_cbranch_execz .LBB38_20
; %bb.19:
	v_mov_b32_e32 v96, 0
	ds_store_2addr_b64 v90, v[68:69], v[70:71] offset0:2 offset1:3
	ds_store_2addr_b64 v90, v[76:77], v[78:79] offset0:4 offset1:5
	;; [unrolled: 1-line block ×19, first 2 shown]
.LBB38_20:
	s_or_b32 exec_lo, exec_lo, s2
	s_delay_alu instid0(SALU_CYCLE_1)
	s_mov_b32 s2, exec_lo
	s_waitcnt lgkmcnt(0)
	s_waitcnt_vscnt null, 0x0
	s_barrier
	buffer_gl0_inv
	v_cmpx_lt_i32_e32 0, v96
	s_cbranch_execz .LBB38_22
; %bb.21:
	v_mul_f64 v[88:89], v[80:81], v[74:75]
	v_mul_f64 v[174:175], v[82:83], v[74:75]
	ds_load_2addr_b64 v[98:101], v90 offset0:2 offset1:3
	ds_load_2addr_b64 v[102:105], v90 offset0:4 offset1:5
	ds_load_2addr_b64 v[106:109], v90 offset0:6 offset1:7
	ds_load_2addr_b64 v[110:113], v90 offset0:8 offset1:9
	ds_load_2addr_b64 v[114:117], v90 offset0:10 offset1:11
	ds_load_2addr_b64 v[118:121], v90 offset0:12 offset1:13
	ds_load_2addr_b64 v[122:125], v90 offset0:14 offset1:15
	ds_load_2addr_b64 v[126:129], v90 offset0:16 offset1:17
	ds_load_2addr_b64 v[130:133], v90 offset0:18 offset1:19
	ds_load_2addr_b64 v[134:137], v90 offset0:20 offset1:21
	ds_load_2addr_b64 v[138:141], v90 offset0:22 offset1:23
	ds_load_2addr_b64 v[142:145], v90 offset0:24 offset1:25
	ds_load_2addr_b64 v[146:149], v90 offset0:26 offset1:27
	ds_load_2addr_b64 v[150:153], v90 offset0:28 offset1:29
	ds_load_2addr_b64 v[154:157], v90 offset0:30 offset1:31
	ds_load_2addr_b64 v[158:161], v90 offset0:32 offset1:33
	ds_load_2addr_b64 v[162:165], v90 offset0:34 offset1:35
	ds_load_2addr_b64 v[166:169], v90 offset0:36 offset1:37
	ds_load_2addr_b64 v[170:173], v90 offset0:38 offset1:39
	v_fma_f64 v[74:75], v[82:83], v[72:73], v[88:89]
	v_fma_f64 v[72:73], v[80:81], v[72:73], -v[174:175]
	s_waitcnt lgkmcnt(18)
	s_delay_alu instid0(VALU_DEP_2)
	v_mul_f64 v[80:81], v[100:101], v[74:75]
	v_mul_f64 v[82:83], v[98:99], v[74:75]
	s_waitcnt lgkmcnt(17)
	v_mul_f64 v[88:89], v[104:105], v[74:75]
	v_mul_f64 v[174:175], v[102:103], v[74:75]
	s_waitcnt lgkmcnt(16)
	;; [unrolled: 3-line block ×18, first 2 shown]
	v_mul_f64 v[240:241], v[172:173], v[74:75]
	v_mul_f64 v[242:243], v[170:171], v[74:75]
	v_fma_f64 v[80:81], v[98:99], v[72:73], -v[80:81]
	v_fma_f64 v[82:83], v[100:101], v[72:73], v[82:83]
	v_fma_f64 v[88:89], v[102:103], v[72:73], -v[88:89]
	v_fma_f64 v[98:99], v[104:105], v[72:73], v[174:175]
	;; [unrolled: 2-line block ×19, first 2 shown]
	v_add_f64 v[68:69], v[68:69], -v[80:81]
	v_add_f64 v[70:71], v[70:71], -v[82:83]
	v_add_f64 v[76:77], v[76:77], -v[88:89]
	v_add_f64 v[78:79], v[78:79], -v[98:99]
	v_add_f64 v[60:61], v[60:61], -v[100:101]
	v_add_f64 v[62:63], v[62:63], -v[102:103]
	v_add_f64 v[64:65], v[64:65], -v[104:105]
	v_add_f64 v[66:67], v[66:67], -v[106:107]
	v_add_f64 v[36:37], v[36:37], -v[108:109]
	v_add_f64 v[38:39], v[38:39], -v[110:111]
	v_add_f64 v[56:57], v[56:57], -v[112:113]
	v_add_f64 v[58:59], v[58:59], -v[114:115]
	v_add_f64 v[52:53], v[52:53], -v[116:117]
	v_add_f64 v[54:55], v[54:55], -v[118:119]
	v_add_f64 v[48:49], v[48:49], -v[120:121]
	v_add_f64 v[50:51], v[50:51], -v[122:123]
	v_add_f64 v[44:45], v[44:45], -v[124:125]
	v_add_f64 v[46:47], v[46:47], -v[126:127]
	v_add_f64 v[28:29], v[28:29], -v[128:129]
	v_add_f64 v[30:31], v[30:31], -v[130:131]
	v_add_f64 v[24:25], v[24:25], -v[132:133]
	v_add_f64 v[26:27], v[26:27], -v[134:135]
	v_add_f64 v[40:41], v[40:41], -v[136:137]
	v_add_f64 v[42:43], v[42:43], -v[138:139]
	v_add_f64 v[20:21], v[20:21], -v[140:141]
	v_add_f64 v[22:23], v[22:23], -v[142:143]
	v_add_f64 v[32:33], v[32:33], -v[144:145]
	v_add_f64 v[34:35], v[34:35], -v[146:147]
	v_add_f64 v[16:17], v[16:17], -v[148:149]
	v_add_f64 v[18:19], v[18:19], -v[150:151]
	v_add_f64 v[12:13], v[12:13], -v[152:153]
	v_add_f64 v[14:15], v[14:15], -v[154:155]
	v_add_f64 v[8:9], v[8:9], -v[156:157]
	v_add_f64 v[10:11], v[10:11], -v[158:159]
	v_add_f64 v[4:5], v[4:5], -v[160:161]
	v_add_f64 v[6:7], v[6:7], -v[162:163]
	v_add_f64 v[0:1], v[0:1], -v[164:165]
	v_add_f64 v[2:3], v[2:3], -v[166:167]
.LBB38_22:
	s_or_b32 exec_lo, exec_lo, s2
	v_lshl_add_u32 v80, v96, 4, v90
	s_barrier
	buffer_gl0_inv
	v_mov_b32_e32 v88, 1
	ds_store_2addr_b64 v80, v[68:69], v[70:71] offset1:1
	s_waitcnt lgkmcnt(0)
	s_barrier
	buffer_gl0_inv
	ds_load_2addr_b64 v[80:83], v90 offset0:2 offset1:3
	s_cmp_lt_i32 s5, 3
	s_cbranch_scc1 .LBB38_25
; %bb.23:
	v_add3_u32 v89, v95, 0, 32
	v_mov_b32_e32 v88, 1
	s_mov_b32 s6, 2
	s_set_inst_prefetch_distance 0x1
	.p2align	6
.LBB38_24:                              ; =>This Inner Loop Header: Depth=1
	ds_load_2addr_b64 v[98:101], v89 offset1:1
	s_waitcnt lgkmcnt(1)
	v_cmp_gt_f64_e32 vcc_lo, 0, v[80:81]
	v_xor_b32_e32 v102, 0x80000000, v81
	v_cmp_gt_f64_e64 s2, 0, v[82:83]
	v_xor_b32_e32 v104, 0x80000000, v83
	v_add_nc_u32_e32 v89, 16, v89
	s_waitcnt lgkmcnt(0)
	v_cmp_gt_f64_e64 s3, 0, v[98:99]
	v_mov_b32_e32 v106, v98
	v_dual_mov_b32 v108, v100 :: v_dual_cndmask_b32 v103, v81, v102
	v_xor_b32_e32 v102, 0x80000000, v99
	v_cndmask_b32_e64 v105, v83, v104, s2
	v_xor_b32_e32 v104, 0x80000000, v101
	s_delay_alu instid0(VALU_DEP_3) | instskip(SKIP_2) | instid1(VALU_DEP_2)
	v_cndmask_b32_e64 v107, v99, v102, s3
	v_cmp_gt_f64_e64 s3, 0, v[100:101]
	v_cndmask_b32_e32 v102, v80, v80, vcc_lo
	v_cndmask_b32_e64 v109, v101, v104, s3
	v_cndmask_b32_e64 v104, v82, v82, s2
	s_delay_alu instid0(VALU_DEP_2) | instskip(NEXT) | instid1(VALU_DEP_2)
	v_add_f64 v[106:107], v[106:107], v[108:109]
	v_add_f64 v[102:103], v[102:103], v[104:105]
	s_delay_alu instid0(VALU_DEP_1)
	v_cmp_lt_f64_e32 vcc_lo, v[102:103], v[106:107]
	v_cndmask_b32_e32 v83, v83, v101, vcc_lo
	v_dual_cndmask_b32 v81, v81, v99 :: v_dual_cndmask_b32 v80, v80, v98
	v_cndmask_b32_e32 v82, v82, v100, vcc_lo
	v_cndmask_b32_e64 v88, v88, s6, vcc_lo
	s_add_i32 s6, s6, 1
	s_delay_alu instid0(SALU_CYCLE_1)
	s_cmp_lg_u32 s5, s6
	s_cbranch_scc1 .LBB38_24
.LBB38_25:
	s_set_inst_prefetch_distance 0x2
	s_waitcnt lgkmcnt(0)
	v_cmp_neq_f64_e32 vcc_lo, 0, v[80:81]
	v_cmp_neq_f64_e64 s2, 0, v[82:83]
	s_delay_alu instid0(VALU_DEP_1) | instskip(NEXT) | instid1(SALU_CYCLE_1)
	s_or_b32 s2, vcc_lo, s2
	s_and_saveexec_b32 s3, s2
	s_cbranch_execz .LBB38_31
; %bb.26:
	v_cmp_gt_f64_e32 vcc_lo, 0, v[80:81]
	v_cmp_gt_f64_e64 s2, 0, v[82:83]
	v_xor_b32_e32 v89, 0x80000000, v81
	v_xor_b32_e32 v94, 0x80000000, v83
	s_delay_alu instid0(VALU_DEP_2) | instskip(NEXT) | instid1(VALU_DEP_2)
	v_dual_cndmask_b32 v99, v81, v89 :: v_dual_cndmask_b32 v98, v80, v80
	v_cndmask_b32_e64 v101, v83, v94, s2
	v_cndmask_b32_e64 v100, v82, v82, s2
	s_mov_b32 s2, exec_lo
	s_delay_alu instid0(VALU_DEP_1)
	v_cmpx_ngt_f64_e32 v[98:99], v[100:101]
	s_xor_b32 s2, exec_lo, s2
	s_cbranch_execz .LBB38_28
; %bb.27:
	v_div_scale_f64 v[98:99], null, v[82:83], v[82:83], v[80:81]
	v_div_scale_f64 v[104:105], vcc_lo, v[80:81], v[82:83], v[80:81]
	s_delay_alu instid0(VALU_DEP_2) | instskip(SKIP_2) | instid1(VALU_DEP_1)
	v_rcp_f64_e32 v[100:101], v[98:99]
	s_waitcnt_depctr 0xfff
	v_fma_f64 v[102:103], -v[98:99], v[100:101], 1.0
	v_fma_f64 v[100:101], v[100:101], v[102:103], v[100:101]
	s_delay_alu instid0(VALU_DEP_1) | instskip(NEXT) | instid1(VALU_DEP_1)
	v_fma_f64 v[102:103], -v[98:99], v[100:101], 1.0
	v_fma_f64 v[100:101], v[100:101], v[102:103], v[100:101]
	s_delay_alu instid0(VALU_DEP_1) | instskip(NEXT) | instid1(VALU_DEP_1)
	v_mul_f64 v[102:103], v[104:105], v[100:101]
	v_fma_f64 v[98:99], -v[98:99], v[102:103], v[104:105]
	s_delay_alu instid0(VALU_DEP_1) | instskip(NEXT) | instid1(VALU_DEP_1)
	v_div_fmas_f64 v[98:99], v[98:99], v[100:101], v[102:103]
	v_div_fixup_f64 v[98:99], v[98:99], v[82:83], v[80:81]
	s_delay_alu instid0(VALU_DEP_1) | instskip(NEXT) | instid1(VALU_DEP_1)
	v_fma_f64 v[80:81], v[80:81], v[98:99], v[82:83]
	v_div_scale_f64 v[82:83], null, v[80:81], v[80:81], 1.0
	s_delay_alu instid0(VALU_DEP_1) | instskip(SKIP_2) | instid1(VALU_DEP_1)
	v_rcp_f64_e32 v[100:101], v[82:83]
	s_waitcnt_depctr 0xfff
	v_fma_f64 v[102:103], -v[82:83], v[100:101], 1.0
	v_fma_f64 v[100:101], v[100:101], v[102:103], v[100:101]
	s_delay_alu instid0(VALU_DEP_1) | instskip(NEXT) | instid1(VALU_DEP_1)
	v_fma_f64 v[102:103], -v[82:83], v[100:101], 1.0
	v_fma_f64 v[100:101], v[100:101], v[102:103], v[100:101]
	v_div_scale_f64 v[102:103], vcc_lo, 1.0, v[80:81], 1.0
	s_delay_alu instid0(VALU_DEP_1) | instskip(NEXT) | instid1(VALU_DEP_1)
	v_mul_f64 v[104:105], v[102:103], v[100:101]
	v_fma_f64 v[82:83], -v[82:83], v[104:105], v[102:103]
	s_delay_alu instid0(VALU_DEP_1) | instskip(NEXT) | instid1(VALU_DEP_1)
	v_div_fmas_f64 v[82:83], v[82:83], v[100:101], v[104:105]
	v_div_fixup_f64 v[82:83], v[82:83], v[80:81], 1.0
	s_delay_alu instid0(VALU_DEP_1)
	v_mul_f64 v[80:81], v[98:99], v[82:83]
	v_xor_b32_e32 v83, 0x80000000, v83
.LBB38_28:
	s_and_not1_saveexec_b32 s2, s2
	s_cbranch_execz .LBB38_30
; %bb.29:
	s_delay_alu instid0(VALU_DEP_1) | instskip(SKIP_1) | instid1(VALU_DEP_2)
	v_div_scale_f64 v[98:99], null, v[80:81], v[80:81], v[82:83]
	v_div_scale_f64 v[104:105], vcc_lo, v[82:83], v[80:81], v[82:83]
	v_rcp_f64_e32 v[100:101], v[98:99]
	s_waitcnt_depctr 0xfff
	v_fma_f64 v[102:103], -v[98:99], v[100:101], 1.0
	s_delay_alu instid0(VALU_DEP_1) | instskip(NEXT) | instid1(VALU_DEP_1)
	v_fma_f64 v[100:101], v[100:101], v[102:103], v[100:101]
	v_fma_f64 v[102:103], -v[98:99], v[100:101], 1.0
	s_delay_alu instid0(VALU_DEP_1) | instskip(NEXT) | instid1(VALU_DEP_1)
	v_fma_f64 v[100:101], v[100:101], v[102:103], v[100:101]
	v_mul_f64 v[102:103], v[104:105], v[100:101]
	s_delay_alu instid0(VALU_DEP_1) | instskip(NEXT) | instid1(VALU_DEP_1)
	v_fma_f64 v[98:99], -v[98:99], v[102:103], v[104:105]
	v_div_fmas_f64 v[98:99], v[98:99], v[100:101], v[102:103]
	s_delay_alu instid0(VALU_DEP_1) | instskip(NEXT) | instid1(VALU_DEP_1)
	v_div_fixup_f64 v[98:99], v[98:99], v[80:81], v[82:83]
	v_fma_f64 v[80:81], v[82:83], v[98:99], v[80:81]
	s_delay_alu instid0(VALU_DEP_1) | instskip(NEXT) | instid1(VALU_DEP_1)
	v_div_scale_f64 v[82:83], null, v[80:81], v[80:81], 1.0
	v_rcp_f64_e32 v[100:101], v[82:83]
	s_waitcnt_depctr 0xfff
	v_fma_f64 v[102:103], -v[82:83], v[100:101], 1.0
	s_delay_alu instid0(VALU_DEP_1) | instskip(NEXT) | instid1(VALU_DEP_1)
	v_fma_f64 v[100:101], v[100:101], v[102:103], v[100:101]
	v_fma_f64 v[102:103], -v[82:83], v[100:101], 1.0
	s_delay_alu instid0(VALU_DEP_1) | instskip(SKIP_1) | instid1(VALU_DEP_1)
	v_fma_f64 v[100:101], v[100:101], v[102:103], v[100:101]
	v_div_scale_f64 v[102:103], vcc_lo, 1.0, v[80:81], 1.0
	v_mul_f64 v[104:105], v[102:103], v[100:101]
	s_delay_alu instid0(VALU_DEP_1) | instskip(NEXT) | instid1(VALU_DEP_1)
	v_fma_f64 v[82:83], -v[82:83], v[104:105], v[102:103]
	v_div_fmas_f64 v[82:83], v[82:83], v[100:101], v[104:105]
	s_delay_alu instid0(VALU_DEP_1) | instskip(NEXT) | instid1(VALU_DEP_1)
	v_div_fixup_f64 v[80:81], v[82:83], v[80:81], 1.0
	v_mul_f64 v[82:83], v[98:99], -v[80:81]
.LBB38_30:
	s_or_b32 exec_lo, exec_lo, s2
	v_mov_b32_e32 v94, v97
.LBB38_31:
	s_or_b32 exec_lo, exec_lo, s3
	s_delay_alu instid0(SALU_CYCLE_1)
	s_mov_b32 s2, exec_lo
	v_cmpx_ne_u32_e64 v96, v88
	s_xor_b32 s2, exec_lo, s2
	s_cbranch_execz .LBB38_37
; %bb.32:
	s_mov_b32 s3, exec_lo
	v_cmpx_eq_u32_e32 1, v96
	s_cbranch_execz .LBB38_36
; %bb.33:
	v_cmp_ne_u32_e32 vcc_lo, 1, v88
	s_xor_b32 s6, s4, -1
	s_delay_alu instid0(SALU_CYCLE_1) | instskip(NEXT) | instid1(SALU_CYCLE_1)
	s_and_b32 s7, s6, vcc_lo
	s_and_saveexec_b32 s6, s7
	s_cbranch_execz .LBB38_35
; %bb.34:
	v_ashrrev_i32_e32 v89, 31, v88
	s_delay_alu instid0(VALU_DEP_1) | instskip(NEXT) | instid1(VALU_DEP_1)
	v_lshlrev_b64 v[96:97], 2, v[88:89]
	v_add_co_u32 v96, vcc_lo, v86, v96
	s_delay_alu instid0(VALU_DEP_2)
	v_add_co_ci_u32_e32 v97, vcc_lo, v87, v97, vcc_lo
	s_clause 0x1
	flat_load_b32 v89, v[96:97]
	flat_load_b32 v93, v[86:87] offset:4
	s_waitcnt vmcnt(1) lgkmcnt(1)
	flat_store_b32 v[86:87], v89 offset:4
	s_waitcnt vmcnt(0) lgkmcnt(1)
	flat_store_b32 v[96:97], v93
.LBB38_35:
	s_or_b32 exec_lo, exec_lo, s6
	v_mov_b32_e32 v96, v88
	v_mov_b32_e32 v93, v88
.LBB38_36:
	s_or_b32 exec_lo, exec_lo, s3
.LBB38_37:
	s_and_not1_saveexec_b32 s2, s2
	s_cbranch_execz .LBB38_39
; %bb.38:
	v_mov_b32_e32 v96, 1
	ds_store_2addr_b64 v90, v[76:77], v[78:79] offset0:4 offset1:5
	ds_store_2addr_b64 v90, v[60:61], v[62:63] offset0:6 offset1:7
	;; [unrolled: 1-line block ×18, first 2 shown]
.LBB38_39:
	s_or_b32 exec_lo, exec_lo, s2
	s_delay_alu instid0(SALU_CYCLE_1)
	s_mov_b32 s2, exec_lo
	s_waitcnt lgkmcnt(0)
	s_waitcnt_vscnt null, 0x0
	s_barrier
	buffer_gl0_inv
	v_cmpx_lt_i32_e32 1, v96
	s_cbranch_execz .LBB38_41
; %bb.40:
	v_mul_f64 v[88:89], v[80:81], v[70:71]
	v_mul_f64 v[169:170], v[82:83], v[70:71]
	ds_load_2addr_b64 v[97:100], v90 offset0:4 offset1:5
	ds_load_2addr_b64 v[101:104], v90 offset0:6 offset1:7
	;; [unrolled: 1-line block ×18, first 2 shown]
	v_fma_f64 v[70:71], v[82:83], v[68:69], v[88:89]
	v_fma_f64 v[68:69], v[80:81], v[68:69], -v[169:170]
	s_waitcnt lgkmcnt(17)
	s_delay_alu instid0(VALU_DEP_2)
	v_mul_f64 v[80:81], v[99:100], v[70:71]
	v_mul_f64 v[82:83], v[97:98], v[70:71]
	s_waitcnt lgkmcnt(16)
	v_mul_f64 v[88:89], v[103:104], v[70:71]
	v_mul_f64 v[169:170], v[101:102], v[70:71]
	s_waitcnt lgkmcnt(15)
	;; [unrolled: 3-line block ×17, first 2 shown]
	v_mul_f64 v[231:232], v[167:168], v[70:71]
	v_mul_f64 v[233:234], v[165:166], v[70:71]
	v_fma_f64 v[80:81], v[97:98], v[68:69], -v[80:81]
	v_fma_f64 v[82:83], v[99:100], v[68:69], v[82:83]
	v_fma_f64 v[88:89], v[101:102], v[68:69], -v[88:89]
	v_fma_f64 v[97:98], v[103:104], v[68:69], v[169:170]
	;; [unrolled: 2-line block ×18, first 2 shown]
	v_add_f64 v[76:77], v[76:77], -v[80:81]
	v_add_f64 v[78:79], v[78:79], -v[82:83]
	;; [unrolled: 1-line block ×36, first 2 shown]
.LBB38_41:
	s_or_b32 exec_lo, exec_lo, s2
	v_lshl_add_u32 v80, v96, 4, v90
	s_barrier
	buffer_gl0_inv
	v_mov_b32_e32 v88, 2
	ds_store_2addr_b64 v80, v[76:77], v[78:79] offset1:1
	s_waitcnt lgkmcnt(0)
	s_barrier
	buffer_gl0_inv
	ds_load_2addr_b64 v[80:83], v90 offset0:4 offset1:5
	s_cmp_lt_i32 s5, 4
	s_cbranch_scc1 .LBB38_44
; %bb.42:
	v_add3_u32 v89, v95, 0, 48
	v_mov_b32_e32 v88, 2
	s_mov_b32 s6, 3
	s_set_inst_prefetch_distance 0x1
	.p2align	6
.LBB38_43:                              ; =>This Inner Loop Header: Depth=1
	ds_load_2addr_b64 v[97:100], v89 offset1:1
	s_waitcnt lgkmcnt(1)
	v_cmp_gt_f64_e32 vcc_lo, 0, v[80:81]
	v_xor_b32_e32 v101, 0x80000000, v81
	v_cmp_gt_f64_e64 s2, 0, v[82:83]
	v_xor_b32_e32 v103, 0x80000000, v83
	v_add_nc_u32_e32 v89, 16, v89
	s_waitcnt lgkmcnt(0)
	v_cmp_gt_f64_e64 s3, 0, v[97:98]
	v_mov_b32_e32 v105, v97
	v_dual_mov_b32 v107, v99 :: v_dual_cndmask_b32 v102, v81, v101
	v_xor_b32_e32 v101, 0x80000000, v98
	v_cndmask_b32_e64 v104, v83, v103, s2
	v_xor_b32_e32 v103, 0x80000000, v100
	s_delay_alu instid0(VALU_DEP_3) | instskip(SKIP_2) | instid1(VALU_DEP_2)
	v_cndmask_b32_e64 v106, v98, v101, s3
	v_cmp_gt_f64_e64 s3, 0, v[99:100]
	v_cndmask_b32_e32 v101, v80, v80, vcc_lo
	v_cndmask_b32_e64 v108, v100, v103, s3
	v_cndmask_b32_e64 v103, v82, v82, s2
	s_delay_alu instid0(VALU_DEP_2) | instskip(NEXT) | instid1(VALU_DEP_2)
	v_add_f64 v[105:106], v[105:106], v[107:108]
	v_add_f64 v[101:102], v[101:102], v[103:104]
	s_delay_alu instid0(VALU_DEP_1) | instskip(SKIP_4) | instid1(SALU_CYCLE_1)
	v_cmp_lt_f64_e32 vcc_lo, v[101:102], v[105:106]
	v_dual_cndmask_b32 v82, v82, v99 :: v_dual_cndmask_b32 v81, v81, v98
	v_dual_cndmask_b32 v80, v80, v97 :: v_dual_cndmask_b32 v83, v83, v100
	v_cndmask_b32_e64 v88, v88, s6, vcc_lo
	s_add_i32 s6, s6, 1
	s_cmp_lg_u32 s5, s6
	s_cbranch_scc1 .LBB38_43
.LBB38_44:
	s_set_inst_prefetch_distance 0x2
	s_waitcnt lgkmcnt(0)
	v_cmp_eq_f64_e32 vcc_lo, 0, v[80:81]
	v_cmp_eq_f64_e64 s2, 0, v[82:83]
	s_delay_alu instid0(VALU_DEP_1) | instskip(NEXT) | instid1(SALU_CYCLE_1)
	s_and_b32 s2, vcc_lo, s2
	s_and_saveexec_b32 s3, s2
	s_delay_alu instid0(SALU_CYCLE_1)
	s_xor_b32 s2, exec_lo, s3
; %bb.45:
	v_cmp_ne_u32_e32 vcc_lo, 0, v94
	v_cndmask_b32_e32 v94, 3, v94, vcc_lo
; %bb.46:
	s_and_not1_saveexec_b32 s3, s2
	s_cbranch_execz .LBB38_52
; %bb.47:
	v_cmp_gt_f64_e32 vcc_lo, 0, v[80:81]
	v_cmp_gt_f64_e64 s2, 0, v[82:83]
	v_xor_b32_e32 v89, 0x80000000, v81
	v_xor_b32_e32 v97, 0x80000000, v83
	s_delay_alu instid0(VALU_DEP_2) | instskip(NEXT) | instid1(VALU_DEP_2)
	v_cndmask_b32_e32 v98, v81, v89, vcc_lo
	v_cndmask_b32_e64 v100, v83, v97, s2
	v_cndmask_b32_e32 v97, v80, v80, vcc_lo
	v_cndmask_b32_e64 v99, v82, v82, s2
	s_mov_b32 s2, exec_lo
	s_delay_alu instid0(VALU_DEP_1)
	v_cmpx_ngt_f64_e32 v[97:98], v[99:100]
	s_xor_b32 s2, exec_lo, s2
	s_cbranch_execz .LBB38_49
; %bb.48:
	v_div_scale_f64 v[97:98], null, v[82:83], v[82:83], v[80:81]
	v_div_scale_f64 v[103:104], vcc_lo, v[80:81], v[82:83], v[80:81]
	s_delay_alu instid0(VALU_DEP_2) | instskip(SKIP_2) | instid1(VALU_DEP_1)
	v_rcp_f64_e32 v[99:100], v[97:98]
	s_waitcnt_depctr 0xfff
	v_fma_f64 v[101:102], -v[97:98], v[99:100], 1.0
	v_fma_f64 v[99:100], v[99:100], v[101:102], v[99:100]
	s_delay_alu instid0(VALU_DEP_1) | instskip(NEXT) | instid1(VALU_DEP_1)
	v_fma_f64 v[101:102], -v[97:98], v[99:100], 1.0
	v_fma_f64 v[99:100], v[99:100], v[101:102], v[99:100]
	s_delay_alu instid0(VALU_DEP_1) | instskip(NEXT) | instid1(VALU_DEP_1)
	v_mul_f64 v[101:102], v[103:104], v[99:100]
	v_fma_f64 v[97:98], -v[97:98], v[101:102], v[103:104]
	s_delay_alu instid0(VALU_DEP_1) | instskip(NEXT) | instid1(VALU_DEP_1)
	v_div_fmas_f64 v[97:98], v[97:98], v[99:100], v[101:102]
	v_div_fixup_f64 v[97:98], v[97:98], v[82:83], v[80:81]
	s_delay_alu instid0(VALU_DEP_1) | instskip(NEXT) | instid1(VALU_DEP_1)
	v_fma_f64 v[80:81], v[80:81], v[97:98], v[82:83]
	v_div_scale_f64 v[82:83], null, v[80:81], v[80:81], 1.0
	s_delay_alu instid0(VALU_DEP_1) | instskip(SKIP_2) | instid1(VALU_DEP_1)
	v_rcp_f64_e32 v[99:100], v[82:83]
	s_waitcnt_depctr 0xfff
	v_fma_f64 v[101:102], -v[82:83], v[99:100], 1.0
	v_fma_f64 v[99:100], v[99:100], v[101:102], v[99:100]
	s_delay_alu instid0(VALU_DEP_1) | instskip(NEXT) | instid1(VALU_DEP_1)
	v_fma_f64 v[101:102], -v[82:83], v[99:100], 1.0
	v_fma_f64 v[99:100], v[99:100], v[101:102], v[99:100]
	v_div_scale_f64 v[101:102], vcc_lo, 1.0, v[80:81], 1.0
	s_delay_alu instid0(VALU_DEP_1) | instskip(NEXT) | instid1(VALU_DEP_1)
	v_mul_f64 v[103:104], v[101:102], v[99:100]
	v_fma_f64 v[82:83], -v[82:83], v[103:104], v[101:102]
	s_delay_alu instid0(VALU_DEP_1) | instskip(NEXT) | instid1(VALU_DEP_1)
	v_div_fmas_f64 v[82:83], v[82:83], v[99:100], v[103:104]
	v_div_fixup_f64 v[82:83], v[82:83], v[80:81], 1.0
	s_delay_alu instid0(VALU_DEP_1)
	v_mul_f64 v[80:81], v[97:98], v[82:83]
	v_xor_b32_e32 v83, 0x80000000, v83
.LBB38_49:
	s_and_not1_saveexec_b32 s2, s2
	s_cbranch_execz .LBB38_51
; %bb.50:
	s_delay_alu instid0(VALU_DEP_1) | instskip(SKIP_1) | instid1(VALU_DEP_2)
	v_div_scale_f64 v[97:98], null, v[80:81], v[80:81], v[82:83]
	v_div_scale_f64 v[103:104], vcc_lo, v[82:83], v[80:81], v[82:83]
	v_rcp_f64_e32 v[99:100], v[97:98]
	s_waitcnt_depctr 0xfff
	v_fma_f64 v[101:102], -v[97:98], v[99:100], 1.0
	s_delay_alu instid0(VALU_DEP_1) | instskip(NEXT) | instid1(VALU_DEP_1)
	v_fma_f64 v[99:100], v[99:100], v[101:102], v[99:100]
	v_fma_f64 v[101:102], -v[97:98], v[99:100], 1.0
	s_delay_alu instid0(VALU_DEP_1) | instskip(NEXT) | instid1(VALU_DEP_1)
	v_fma_f64 v[99:100], v[99:100], v[101:102], v[99:100]
	v_mul_f64 v[101:102], v[103:104], v[99:100]
	s_delay_alu instid0(VALU_DEP_1) | instskip(NEXT) | instid1(VALU_DEP_1)
	v_fma_f64 v[97:98], -v[97:98], v[101:102], v[103:104]
	v_div_fmas_f64 v[97:98], v[97:98], v[99:100], v[101:102]
	s_delay_alu instid0(VALU_DEP_1) | instskip(NEXT) | instid1(VALU_DEP_1)
	v_div_fixup_f64 v[97:98], v[97:98], v[80:81], v[82:83]
	v_fma_f64 v[80:81], v[82:83], v[97:98], v[80:81]
	s_delay_alu instid0(VALU_DEP_1) | instskip(NEXT) | instid1(VALU_DEP_1)
	v_div_scale_f64 v[82:83], null, v[80:81], v[80:81], 1.0
	v_rcp_f64_e32 v[99:100], v[82:83]
	s_waitcnt_depctr 0xfff
	v_fma_f64 v[101:102], -v[82:83], v[99:100], 1.0
	s_delay_alu instid0(VALU_DEP_1) | instskip(NEXT) | instid1(VALU_DEP_1)
	v_fma_f64 v[99:100], v[99:100], v[101:102], v[99:100]
	v_fma_f64 v[101:102], -v[82:83], v[99:100], 1.0
	s_delay_alu instid0(VALU_DEP_1) | instskip(SKIP_1) | instid1(VALU_DEP_1)
	v_fma_f64 v[99:100], v[99:100], v[101:102], v[99:100]
	v_div_scale_f64 v[101:102], vcc_lo, 1.0, v[80:81], 1.0
	v_mul_f64 v[103:104], v[101:102], v[99:100]
	s_delay_alu instid0(VALU_DEP_1) | instskip(NEXT) | instid1(VALU_DEP_1)
	v_fma_f64 v[82:83], -v[82:83], v[103:104], v[101:102]
	v_div_fmas_f64 v[82:83], v[82:83], v[99:100], v[103:104]
	s_delay_alu instid0(VALU_DEP_1) | instskip(NEXT) | instid1(VALU_DEP_1)
	v_div_fixup_f64 v[80:81], v[82:83], v[80:81], 1.0
	v_mul_f64 v[82:83], v[97:98], -v[80:81]
.LBB38_51:
	s_or_b32 exec_lo, exec_lo, s2
.LBB38_52:
	s_delay_alu instid0(SALU_CYCLE_1) | instskip(NEXT) | instid1(SALU_CYCLE_1)
	s_or_b32 exec_lo, exec_lo, s3
	s_mov_b32 s2, exec_lo
	v_cmpx_ne_u32_e64 v96, v88
	s_xor_b32 s2, exec_lo, s2
	s_cbranch_execz .LBB38_58
; %bb.53:
	s_mov_b32 s3, exec_lo
	v_cmpx_eq_u32_e32 2, v96
	s_cbranch_execz .LBB38_57
; %bb.54:
	v_cmp_ne_u32_e32 vcc_lo, 2, v88
	s_xor_b32 s6, s4, -1
	s_delay_alu instid0(SALU_CYCLE_1) | instskip(NEXT) | instid1(SALU_CYCLE_1)
	s_and_b32 s7, s6, vcc_lo
	s_and_saveexec_b32 s6, s7
	s_cbranch_execz .LBB38_56
; %bb.55:
	v_ashrrev_i32_e32 v89, 31, v88
	s_delay_alu instid0(VALU_DEP_1) | instskip(NEXT) | instid1(VALU_DEP_1)
	v_lshlrev_b64 v[96:97], 2, v[88:89]
	v_add_co_u32 v96, vcc_lo, v86, v96
	s_delay_alu instid0(VALU_DEP_2)
	v_add_co_ci_u32_e32 v97, vcc_lo, v87, v97, vcc_lo
	s_clause 0x1
	flat_load_b32 v89, v[96:97]
	flat_load_b32 v93, v[86:87] offset:8
	s_waitcnt vmcnt(1) lgkmcnt(1)
	flat_store_b32 v[86:87], v89 offset:8
	s_waitcnt vmcnt(0) lgkmcnt(1)
	flat_store_b32 v[96:97], v93
.LBB38_56:
	s_or_b32 exec_lo, exec_lo, s6
	v_mov_b32_e32 v96, v88
	v_mov_b32_e32 v93, v88
.LBB38_57:
	s_or_b32 exec_lo, exec_lo, s3
.LBB38_58:
	s_and_not1_saveexec_b32 s2, s2
	s_cbranch_execz .LBB38_60
; %bb.59:
	v_mov_b32_e32 v96, 2
	ds_store_2addr_b64 v90, v[60:61], v[62:63] offset0:6 offset1:7
	ds_store_2addr_b64 v90, v[64:65], v[66:67] offset0:8 offset1:9
	;; [unrolled: 1-line block ×17, first 2 shown]
.LBB38_60:
	s_or_b32 exec_lo, exec_lo, s2
	s_delay_alu instid0(SALU_CYCLE_1)
	s_mov_b32 s2, exec_lo
	s_waitcnt lgkmcnt(0)
	s_waitcnt_vscnt null, 0x0
	s_barrier
	buffer_gl0_inv
	v_cmpx_lt_i32_e32 2, v96
	s_cbranch_execz .LBB38_62
; %bb.61:
	v_mul_f64 v[88:89], v[80:81], v[78:79]
	v_mul_f64 v[165:166], v[82:83], v[78:79]
	ds_load_2addr_b64 v[97:100], v90 offset0:6 offset1:7
	ds_load_2addr_b64 v[101:104], v90 offset0:8 offset1:9
	;; [unrolled: 1-line block ×17, first 2 shown]
	v_fma_f64 v[78:79], v[82:83], v[76:77], v[88:89]
	v_fma_f64 v[76:77], v[80:81], v[76:77], -v[165:166]
	s_waitcnt lgkmcnt(16)
	s_delay_alu instid0(VALU_DEP_2)
	v_mul_f64 v[80:81], v[99:100], v[78:79]
	v_mul_f64 v[82:83], v[97:98], v[78:79]
	s_waitcnt lgkmcnt(15)
	v_mul_f64 v[88:89], v[103:104], v[78:79]
	v_mul_f64 v[165:166], v[101:102], v[78:79]
	s_waitcnt lgkmcnt(14)
	;; [unrolled: 3-line block ×16, first 2 shown]
	v_mul_f64 v[223:224], v[163:164], v[78:79]
	v_mul_f64 v[225:226], v[161:162], v[78:79]
	v_fma_f64 v[80:81], v[97:98], v[76:77], -v[80:81]
	v_fma_f64 v[82:83], v[99:100], v[76:77], v[82:83]
	v_fma_f64 v[88:89], v[101:102], v[76:77], -v[88:89]
	v_fma_f64 v[97:98], v[103:104], v[76:77], v[165:166]
	;; [unrolled: 2-line block ×17, first 2 shown]
	v_add_f64 v[60:61], v[60:61], -v[80:81]
	v_add_f64 v[62:63], v[62:63], -v[82:83]
	;; [unrolled: 1-line block ×34, first 2 shown]
.LBB38_62:
	s_or_b32 exec_lo, exec_lo, s2
	v_lshl_add_u32 v80, v96, 4, v90
	s_barrier
	buffer_gl0_inv
	v_mov_b32_e32 v88, 3
	ds_store_2addr_b64 v80, v[60:61], v[62:63] offset1:1
	s_waitcnt lgkmcnt(0)
	s_barrier
	buffer_gl0_inv
	ds_load_2addr_b64 v[80:83], v90 offset0:6 offset1:7
	s_cmp_lt_i32 s5, 5
	s_mov_b32 s6, 4
	s_cbranch_scc1 .LBB38_65
; %bb.63:
	v_add3_u32 v89, v95, 0, 64
	v_mov_b32_e32 v88, 3
	s_set_inst_prefetch_distance 0x1
	.p2align	6
.LBB38_64:                              ; =>This Inner Loop Header: Depth=1
	ds_load_2addr_b64 v[97:100], v89 offset1:1
	s_waitcnt lgkmcnt(1)
	v_cmp_gt_f64_e32 vcc_lo, 0, v[80:81]
	v_xor_b32_e32 v101, 0x80000000, v81
	v_cmp_gt_f64_e64 s2, 0, v[82:83]
	v_xor_b32_e32 v103, 0x80000000, v83
	v_add_nc_u32_e32 v89, 16, v89
	s_waitcnt lgkmcnt(0)
	v_cmp_gt_f64_e64 s3, 0, v[97:98]
	v_mov_b32_e32 v105, v97
	v_dual_mov_b32 v107, v99 :: v_dual_cndmask_b32 v102, v81, v101
	v_xor_b32_e32 v101, 0x80000000, v98
	v_cndmask_b32_e64 v104, v83, v103, s2
	v_xor_b32_e32 v103, 0x80000000, v100
	s_delay_alu instid0(VALU_DEP_3) | instskip(SKIP_2) | instid1(VALU_DEP_2)
	v_cndmask_b32_e64 v106, v98, v101, s3
	v_cmp_gt_f64_e64 s3, 0, v[99:100]
	v_cndmask_b32_e32 v101, v80, v80, vcc_lo
	v_cndmask_b32_e64 v108, v100, v103, s3
	v_cndmask_b32_e64 v103, v82, v82, s2
	s_delay_alu instid0(VALU_DEP_2) | instskip(NEXT) | instid1(VALU_DEP_2)
	v_add_f64 v[105:106], v[105:106], v[107:108]
	v_add_f64 v[101:102], v[101:102], v[103:104]
	s_delay_alu instid0(VALU_DEP_1) | instskip(SKIP_4) | instid1(SALU_CYCLE_1)
	v_cmp_lt_f64_e32 vcc_lo, v[101:102], v[105:106]
	v_dual_cndmask_b32 v82, v82, v99 :: v_dual_cndmask_b32 v81, v81, v98
	v_dual_cndmask_b32 v80, v80, v97 :: v_dual_cndmask_b32 v83, v83, v100
	v_cndmask_b32_e64 v88, v88, s6, vcc_lo
	s_add_i32 s6, s6, 1
	s_cmp_lg_u32 s5, s6
	s_cbranch_scc1 .LBB38_64
.LBB38_65:
	s_set_inst_prefetch_distance 0x2
	s_waitcnt lgkmcnt(0)
	v_cmp_eq_f64_e32 vcc_lo, 0, v[80:81]
	v_cmp_eq_f64_e64 s2, 0, v[82:83]
	s_delay_alu instid0(VALU_DEP_1) | instskip(NEXT) | instid1(SALU_CYCLE_1)
	s_and_b32 s2, vcc_lo, s2
	s_and_saveexec_b32 s3, s2
	s_delay_alu instid0(SALU_CYCLE_1)
	s_xor_b32 s2, exec_lo, s3
; %bb.66:
	v_cmp_ne_u32_e32 vcc_lo, 0, v94
	v_cndmask_b32_e32 v94, 4, v94, vcc_lo
; %bb.67:
	s_and_not1_saveexec_b32 s3, s2
	s_cbranch_execz .LBB38_73
; %bb.68:
	v_cmp_gt_f64_e32 vcc_lo, 0, v[80:81]
	v_cmp_gt_f64_e64 s2, 0, v[82:83]
	v_xor_b32_e32 v89, 0x80000000, v81
	v_xor_b32_e32 v97, 0x80000000, v83
	s_delay_alu instid0(VALU_DEP_2) | instskip(NEXT) | instid1(VALU_DEP_2)
	v_cndmask_b32_e32 v98, v81, v89, vcc_lo
	v_cndmask_b32_e64 v100, v83, v97, s2
	v_cndmask_b32_e32 v97, v80, v80, vcc_lo
	v_cndmask_b32_e64 v99, v82, v82, s2
	s_mov_b32 s2, exec_lo
	s_delay_alu instid0(VALU_DEP_1)
	v_cmpx_ngt_f64_e32 v[97:98], v[99:100]
	s_xor_b32 s2, exec_lo, s2
	s_cbranch_execz .LBB38_70
; %bb.69:
	v_div_scale_f64 v[97:98], null, v[82:83], v[82:83], v[80:81]
	v_div_scale_f64 v[103:104], vcc_lo, v[80:81], v[82:83], v[80:81]
	s_delay_alu instid0(VALU_DEP_2) | instskip(SKIP_2) | instid1(VALU_DEP_1)
	v_rcp_f64_e32 v[99:100], v[97:98]
	s_waitcnt_depctr 0xfff
	v_fma_f64 v[101:102], -v[97:98], v[99:100], 1.0
	v_fma_f64 v[99:100], v[99:100], v[101:102], v[99:100]
	s_delay_alu instid0(VALU_DEP_1) | instskip(NEXT) | instid1(VALU_DEP_1)
	v_fma_f64 v[101:102], -v[97:98], v[99:100], 1.0
	v_fma_f64 v[99:100], v[99:100], v[101:102], v[99:100]
	s_delay_alu instid0(VALU_DEP_1) | instskip(NEXT) | instid1(VALU_DEP_1)
	v_mul_f64 v[101:102], v[103:104], v[99:100]
	v_fma_f64 v[97:98], -v[97:98], v[101:102], v[103:104]
	s_delay_alu instid0(VALU_DEP_1) | instskip(NEXT) | instid1(VALU_DEP_1)
	v_div_fmas_f64 v[97:98], v[97:98], v[99:100], v[101:102]
	v_div_fixup_f64 v[97:98], v[97:98], v[82:83], v[80:81]
	s_delay_alu instid0(VALU_DEP_1) | instskip(NEXT) | instid1(VALU_DEP_1)
	v_fma_f64 v[80:81], v[80:81], v[97:98], v[82:83]
	v_div_scale_f64 v[82:83], null, v[80:81], v[80:81], 1.0
	s_delay_alu instid0(VALU_DEP_1) | instskip(SKIP_2) | instid1(VALU_DEP_1)
	v_rcp_f64_e32 v[99:100], v[82:83]
	s_waitcnt_depctr 0xfff
	v_fma_f64 v[101:102], -v[82:83], v[99:100], 1.0
	v_fma_f64 v[99:100], v[99:100], v[101:102], v[99:100]
	s_delay_alu instid0(VALU_DEP_1) | instskip(NEXT) | instid1(VALU_DEP_1)
	v_fma_f64 v[101:102], -v[82:83], v[99:100], 1.0
	v_fma_f64 v[99:100], v[99:100], v[101:102], v[99:100]
	v_div_scale_f64 v[101:102], vcc_lo, 1.0, v[80:81], 1.0
	s_delay_alu instid0(VALU_DEP_1) | instskip(NEXT) | instid1(VALU_DEP_1)
	v_mul_f64 v[103:104], v[101:102], v[99:100]
	v_fma_f64 v[82:83], -v[82:83], v[103:104], v[101:102]
	s_delay_alu instid0(VALU_DEP_1) | instskip(NEXT) | instid1(VALU_DEP_1)
	v_div_fmas_f64 v[82:83], v[82:83], v[99:100], v[103:104]
	v_div_fixup_f64 v[82:83], v[82:83], v[80:81], 1.0
	s_delay_alu instid0(VALU_DEP_1)
	v_mul_f64 v[80:81], v[97:98], v[82:83]
	v_xor_b32_e32 v83, 0x80000000, v83
.LBB38_70:
	s_and_not1_saveexec_b32 s2, s2
	s_cbranch_execz .LBB38_72
; %bb.71:
	s_delay_alu instid0(VALU_DEP_1) | instskip(SKIP_1) | instid1(VALU_DEP_2)
	v_div_scale_f64 v[97:98], null, v[80:81], v[80:81], v[82:83]
	v_div_scale_f64 v[103:104], vcc_lo, v[82:83], v[80:81], v[82:83]
	v_rcp_f64_e32 v[99:100], v[97:98]
	s_waitcnt_depctr 0xfff
	v_fma_f64 v[101:102], -v[97:98], v[99:100], 1.0
	s_delay_alu instid0(VALU_DEP_1) | instskip(NEXT) | instid1(VALU_DEP_1)
	v_fma_f64 v[99:100], v[99:100], v[101:102], v[99:100]
	v_fma_f64 v[101:102], -v[97:98], v[99:100], 1.0
	s_delay_alu instid0(VALU_DEP_1) | instskip(NEXT) | instid1(VALU_DEP_1)
	v_fma_f64 v[99:100], v[99:100], v[101:102], v[99:100]
	v_mul_f64 v[101:102], v[103:104], v[99:100]
	s_delay_alu instid0(VALU_DEP_1) | instskip(NEXT) | instid1(VALU_DEP_1)
	v_fma_f64 v[97:98], -v[97:98], v[101:102], v[103:104]
	v_div_fmas_f64 v[97:98], v[97:98], v[99:100], v[101:102]
	s_delay_alu instid0(VALU_DEP_1) | instskip(NEXT) | instid1(VALU_DEP_1)
	v_div_fixup_f64 v[97:98], v[97:98], v[80:81], v[82:83]
	v_fma_f64 v[80:81], v[82:83], v[97:98], v[80:81]
	s_delay_alu instid0(VALU_DEP_1) | instskip(NEXT) | instid1(VALU_DEP_1)
	v_div_scale_f64 v[82:83], null, v[80:81], v[80:81], 1.0
	v_rcp_f64_e32 v[99:100], v[82:83]
	s_waitcnt_depctr 0xfff
	v_fma_f64 v[101:102], -v[82:83], v[99:100], 1.0
	s_delay_alu instid0(VALU_DEP_1) | instskip(NEXT) | instid1(VALU_DEP_1)
	v_fma_f64 v[99:100], v[99:100], v[101:102], v[99:100]
	v_fma_f64 v[101:102], -v[82:83], v[99:100], 1.0
	s_delay_alu instid0(VALU_DEP_1) | instskip(SKIP_1) | instid1(VALU_DEP_1)
	v_fma_f64 v[99:100], v[99:100], v[101:102], v[99:100]
	v_div_scale_f64 v[101:102], vcc_lo, 1.0, v[80:81], 1.0
	v_mul_f64 v[103:104], v[101:102], v[99:100]
	s_delay_alu instid0(VALU_DEP_1) | instskip(NEXT) | instid1(VALU_DEP_1)
	v_fma_f64 v[82:83], -v[82:83], v[103:104], v[101:102]
	v_div_fmas_f64 v[82:83], v[82:83], v[99:100], v[103:104]
	s_delay_alu instid0(VALU_DEP_1) | instskip(NEXT) | instid1(VALU_DEP_1)
	v_div_fixup_f64 v[80:81], v[82:83], v[80:81], 1.0
	v_mul_f64 v[82:83], v[97:98], -v[80:81]
.LBB38_72:
	s_or_b32 exec_lo, exec_lo, s2
.LBB38_73:
	s_delay_alu instid0(SALU_CYCLE_1) | instskip(NEXT) | instid1(SALU_CYCLE_1)
	s_or_b32 exec_lo, exec_lo, s3
	s_mov_b32 s2, exec_lo
	v_cmpx_ne_u32_e64 v96, v88
	s_xor_b32 s2, exec_lo, s2
	s_cbranch_execz .LBB38_79
; %bb.74:
	s_mov_b32 s3, exec_lo
	v_cmpx_eq_u32_e32 3, v96
	s_cbranch_execz .LBB38_78
; %bb.75:
	v_cmp_ne_u32_e32 vcc_lo, 3, v88
	s_xor_b32 s6, s4, -1
	s_delay_alu instid0(SALU_CYCLE_1) | instskip(NEXT) | instid1(SALU_CYCLE_1)
	s_and_b32 s7, s6, vcc_lo
	s_and_saveexec_b32 s6, s7
	s_cbranch_execz .LBB38_77
; %bb.76:
	v_ashrrev_i32_e32 v89, 31, v88
	s_delay_alu instid0(VALU_DEP_1) | instskip(NEXT) | instid1(VALU_DEP_1)
	v_lshlrev_b64 v[96:97], 2, v[88:89]
	v_add_co_u32 v96, vcc_lo, v86, v96
	s_delay_alu instid0(VALU_DEP_2)
	v_add_co_ci_u32_e32 v97, vcc_lo, v87, v97, vcc_lo
	s_clause 0x1
	flat_load_b32 v89, v[96:97]
	flat_load_b32 v93, v[86:87] offset:12
	s_waitcnt vmcnt(1) lgkmcnt(1)
	flat_store_b32 v[86:87], v89 offset:12
	s_waitcnt vmcnt(0) lgkmcnt(1)
	flat_store_b32 v[96:97], v93
.LBB38_77:
	s_or_b32 exec_lo, exec_lo, s6
	v_mov_b32_e32 v96, v88
	v_mov_b32_e32 v93, v88
.LBB38_78:
	s_or_b32 exec_lo, exec_lo, s3
.LBB38_79:
	s_and_not1_saveexec_b32 s2, s2
	s_cbranch_execz .LBB38_81
; %bb.80:
	v_mov_b32_e32 v96, 3
	ds_store_2addr_b64 v90, v[64:65], v[66:67] offset0:8 offset1:9
	ds_store_2addr_b64 v90, v[36:37], v[38:39] offset0:10 offset1:11
	;; [unrolled: 1-line block ×16, first 2 shown]
.LBB38_81:
	s_or_b32 exec_lo, exec_lo, s2
	s_delay_alu instid0(SALU_CYCLE_1)
	s_mov_b32 s2, exec_lo
	s_waitcnt lgkmcnt(0)
	s_waitcnt_vscnt null, 0x0
	s_barrier
	buffer_gl0_inv
	v_cmpx_lt_i32_e32 3, v96
	s_cbranch_execz .LBB38_83
; %bb.82:
	v_mul_f64 v[88:89], v[80:81], v[62:63]
	v_mul_f64 v[62:63], v[82:83], v[62:63]
	ds_load_2addr_b64 v[97:100], v90 offset0:8 offset1:9
	ds_load_2addr_b64 v[101:104], v90 offset0:10 offset1:11
	;; [unrolled: 1-line block ×16, first 2 shown]
	v_fma_f64 v[82:83], v[82:83], v[60:61], v[88:89]
	v_fma_f64 v[60:61], v[80:81], v[60:61], -v[62:63]
	s_waitcnt lgkmcnt(15)
	s_delay_alu instid0(VALU_DEP_2)
	v_mul_f64 v[62:63], v[99:100], v[82:83]
	v_mul_f64 v[80:81], v[97:98], v[82:83]
	s_waitcnt lgkmcnt(14)
	v_mul_f64 v[88:89], v[103:104], v[82:83]
	v_mul_f64 v[161:162], v[101:102], v[82:83]
	s_waitcnt lgkmcnt(13)
	;; [unrolled: 3-line block ×15, first 2 shown]
	v_mul_f64 v[215:216], v[159:160], v[82:83]
	v_mul_f64 v[217:218], v[157:158], v[82:83]
	v_fma_f64 v[62:63], v[97:98], v[60:61], -v[62:63]
	v_fma_f64 v[80:81], v[99:100], v[60:61], v[80:81]
	v_fma_f64 v[88:89], v[101:102], v[60:61], -v[88:89]
	v_fma_f64 v[97:98], v[103:104], v[60:61], v[161:162]
	;; [unrolled: 2-line block ×16, first 2 shown]
	v_add_f64 v[64:65], v[64:65], -v[62:63]
	v_add_f64 v[66:67], v[66:67], -v[80:81]
	;; [unrolled: 1-line block ×32, first 2 shown]
	v_dual_mov_b32 v62, v82 :: v_dual_mov_b32 v63, v83
.LBB38_83:
	s_or_b32 exec_lo, exec_lo, s2
	v_lshl_add_u32 v80, v96, 4, v90
	s_barrier
	buffer_gl0_inv
	v_mov_b32_e32 v88, 4
	ds_store_2addr_b64 v80, v[64:65], v[66:67] offset1:1
	s_waitcnt lgkmcnt(0)
	s_barrier
	buffer_gl0_inv
	ds_load_2addr_b64 v[80:83], v90 offset0:8 offset1:9
	s_cmp_lt_i32 s5, 6
	s_cbranch_scc1 .LBB38_86
; %bb.84:
	v_add3_u32 v89, v95, 0, 0x50
	v_mov_b32_e32 v88, 4
	s_mov_b32 s6, 5
	s_set_inst_prefetch_distance 0x1
	.p2align	6
.LBB38_85:                              ; =>This Inner Loop Header: Depth=1
	ds_load_2addr_b64 v[97:100], v89 offset1:1
	s_waitcnt lgkmcnt(1)
	v_cmp_gt_f64_e32 vcc_lo, 0, v[80:81]
	v_xor_b32_e32 v101, 0x80000000, v81
	v_cmp_gt_f64_e64 s2, 0, v[82:83]
	v_xor_b32_e32 v103, 0x80000000, v83
	v_add_nc_u32_e32 v89, 16, v89
	s_waitcnt lgkmcnt(0)
	v_cmp_gt_f64_e64 s3, 0, v[97:98]
	v_mov_b32_e32 v105, v97
	v_dual_mov_b32 v107, v99 :: v_dual_cndmask_b32 v102, v81, v101
	v_xor_b32_e32 v101, 0x80000000, v98
	v_cndmask_b32_e64 v104, v83, v103, s2
	v_xor_b32_e32 v103, 0x80000000, v100
	s_delay_alu instid0(VALU_DEP_3) | instskip(SKIP_2) | instid1(VALU_DEP_2)
	v_cndmask_b32_e64 v106, v98, v101, s3
	v_cmp_gt_f64_e64 s3, 0, v[99:100]
	v_cndmask_b32_e32 v101, v80, v80, vcc_lo
	v_cndmask_b32_e64 v108, v100, v103, s3
	v_cndmask_b32_e64 v103, v82, v82, s2
	s_delay_alu instid0(VALU_DEP_2) | instskip(NEXT) | instid1(VALU_DEP_2)
	v_add_f64 v[105:106], v[105:106], v[107:108]
	v_add_f64 v[101:102], v[101:102], v[103:104]
	s_delay_alu instid0(VALU_DEP_1) | instskip(SKIP_4) | instid1(SALU_CYCLE_1)
	v_cmp_lt_f64_e32 vcc_lo, v[101:102], v[105:106]
	v_dual_cndmask_b32 v82, v82, v99 :: v_dual_cndmask_b32 v81, v81, v98
	v_dual_cndmask_b32 v80, v80, v97 :: v_dual_cndmask_b32 v83, v83, v100
	v_cndmask_b32_e64 v88, v88, s6, vcc_lo
	s_add_i32 s6, s6, 1
	s_cmp_lg_u32 s5, s6
	s_cbranch_scc1 .LBB38_85
.LBB38_86:
	s_set_inst_prefetch_distance 0x2
	s_waitcnt lgkmcnt(0)
	v_cmp_eq_f64_e32 vcc_lo, 0, v[80:81]
	v_cmp_eq_f64_e64 s2, 0, v[82:83]
	s_delay_alu instid0(VALU_DEP_1) | instskip(NEXT) | instid1(SALU_CYCLE_1)
	s_and_b32 s2, vcc_lo, s2
	s_and_saveexec_b32 s3, s2
	s_delay_alu instid0(SALU_CYCLE_1)
	s_xor_b32 s2, exec_lo, s3
; %bb.87:
	v_cmp_ne_u32_e32 vcc_lo, 0, v94
	v_cndmask_b32_e32 v94, 5, v94, vcc_lo
; %bb.88:
	s_and_not1_saveexec_b32 s3, s2
	s_cbranch_execz .LBB38_94
; %bb.89:
	v_cmp_gt_f64_e32 vcc_lo, 0, v[80:81]
	v_cmp_gt_f64_e64 s2, 0, v[82:83]
	v_xor_b32_e32 v89, 0x80000000, v81
	v_xor_b32_e32 v97, 0x80000000, v83
	s_delay_alu instid0(VALU_DEP_2) | instskip(NEXT) | instid1(VALU_DEP_2)
	v_cndmask_b32_e32 v98, v81, v89, vcc_lo
	v_cndmask_b32_e64 v100, v83, v97, s2
	v_cndmask_b32_e32 v97, v80, v80, vcc_lo
	v_cndmask_b32_e64 v99, v82, v82, s2
	s_mov_b32 s2, exec_lo
	s_delay_alu instid0(VALU_DEP_1)
	v_cmpx_ngt_f64_e32 v[97:98], v[99:100]
	s_xor_b32 s2, exec_lo, s2
	s_cbranch_execz .LBB38_91
; %bb.90:
	v_div_scale_f64 v[97:98], null, v[82:83], v[82:83], v[80:81]
	v_div_scale_f64 v[103:104], vcc_lo, v[80:81], v[82:83], v[80:81]
	s_delay_alu instid0(VALU_DEP_2) | instskip(SKIP_2) | instid1(VALU_DEP_1)
	v_rcp_f64_e32 v[99:100], v[97:98]
	s_waitcnt_depctr 0xfff
	v_fma_f64 v[101:102], -v[97:98], v[99:100], 1.0
	v_fma_f64 v[99:100], v[99:100], v[101:102], v[99:100]
	s_delay_alu instid0(VALU_DEP_1) | instskip(NEXT) | instid1(VALU_DEP_1)
	v_fma_f64 v[101:102], -v[97:98], v[99:100], 1.0
	v_fma_f64 v[99:100], v[99:100], v[101:102], v[99:100]
	s_delay_alu instid0(VALU_DEP_1) | instskip(NEXT) | instid1(VALU_DEP_1)
	v_mul_f64 v[101:102], v[103:104], v[99:100]
	v_fma_f64 v[97:98], -v[97:98], v[101:102], v[103:104]
	s_delay_alu instid0(VALU_DEP_1) | instskip(NEXT) | instid1(VALU_DEP_1)
	v_div_fmas_f64 v[97:98], v[97:98], v[99:100], v[101:102]
	v_div_fixup_f64 v[97:98], v[97:98], v[82:83], v[80:81]
	s_delay_alu instid0(VALU_DEP_1) | instskip(NEXT) | instid1(VALU_DEP_1)
	v_fma_f64 v[80:81], v[80:81], v[97:98], v[82:83]
	v_div_scale_f64 v[82:83], null, v[80:81], v[80:81], 1.0
	s_delay_alu instid0(VALU_DEP_1) | instskip(SKIP_2) | instid1(VALU_DEP_1)
	v_rcp_f64_e32 v[99:100], v[82:83]
	s_waitcnt_depctr 0xfff
	v_fma_f64 v[101:102], -v[82:83], v[99:100], 1.0
	v_fma_f64 v[99:100], v[99:100], v[101:102], v[99:100]
	s_delay_alu instid0(VALU_DEP_1) | instskip(NEXT) | instid1(VALU_DEP_1)
	v_fma_f64 v[101:102], -v[82:83], v[99:100], 1.0
	v_fma_f64 v[99:100], v[99:100], v[101:102], v[99:100]
	v_div_scale_f64 v[101:102], vcc_lo, 1.0, v[80:81], 1.0
	s_delay_alu instid0(VALU_DEP_1) | instskip(NEXT) | instid1(VALU_DEP_1)
	v_mul_f64 v[103:104], v[101:102], v[99:100]
	v_fma_f64 v[82:83], -v[82:83], v[103:104], v[101:102]
	s_delay_alu instid0(VALU_DEP_1) | instskip(NEXT) | instid1(VALU_DEP_1)
	v_div_fmas_f64 v[82:83], v[82:83], v[99:100], v[103:104]
	v_div_fixup_f64 v[82:83], v[82:83], v[80:81], 1.0
	s_delay_alu instid0(VALU_DEP_1)
	v_mul_f64 v[80:81], v[97:98], v[82:83]
	v_xor_b32_e32 v83, 0x80000000, v83
.LBB38_91:
	s_and_not1_saveexec_b32 s2, s2
	s_cbranch_execz .LBB38_93
; %bb.92:
	s_delay_alu instid0(VALU_DEP_1) | instskip(SKIP_1) | instid1(VALU_DEP_2)
	v_div_scale_f64 v[97:98], null, v[80:81], v[80:81], v[82:83]
	v_div_scale_f64 v[103:104], vcc_lo, v[82:83], v[80:81], v[82:83]
	v_rcp_f64_e32 v[99:100], v[97:98]
	s_waitcnt_depctr 0xfff
	v_fma_f64 v[101:102], -v[97:98], v[99:100], 1.0
	s_delay_alu instid0(VALU_DEP_1) | instskip(NEXT) | instid1(VALU_DEP_1)
	v_fma_f64 v[99:100], v[99:100], v[101:102], v[99:100]
	v_fma_f64 v[101:102], -v[97:98], v[99:100], 1.0
	s_delay_alu instid0(VALU_DEP_1) | instskip(NEXT) | instid1(VALU_DEP_1)
	v_fma_f64 v[99:100], v[99:100], v[101:102], v[99:100]
	v_mul_f64 v[101:102], v[103:104], v[99:100]
	s_delay_alu instid0(VALU_DEP_1) | instskip(NEXT) | instid1(VALU_DEP_1)
	v_fma_f64 v[97:98], -v[97:98], v[101:102], v[103:104]
	v_div_fmas_f64 v[97:98], v[97:98], v[99:100], v[101:102]
	s_delay_alu instid0(VALU_DEP_1) | instskip(NEXT) | instid1(VALU_DEP_1)
	v_div_fixup_f64 v[97:98], v[97:98], v[80:81], v[82:83]
	v_fma_f64 v[80:81], v[82:83], v[97:98], v[80:81]
	s_delay_alu instid0(VALU_DEP_1) | instskip(NEXT) | instid1(VALU_DEP_1)
	v_div_scale_f64 v[82:83], null, v[80:81], v[80:81], 1.0
	v_rcp_f64_e32 v[99:100], v[82:83]
	s_waitcnt_depctr 0xfff
	v_fma_f64 v[101:102], -v[82:83], v[99:100], 1.0
	s_delay_alu instid0(VALU_DEP_1) | instskip(NEXT) | instid1(VALU_DEP_1)
	v_fma_f64 v[99:100], v[99:100], v[101:102], v[99:100]
	v_fma_f64 v[101:102], -v[82:83], v[99:100], 1.0
	s_delay_alu instid0(VALU_DEP_1) | instskip(SKIP_1) | instid1(VALU_DEP_1)
	v_fma_f64 v[99:100], v[99:100], v[101:102], v[99:100]
	v_div_scale_f64 v[101:102], vcc_lo, 1.0, v[80:81], 1.0
	v_mul_f64 v[103:104], v[101:102], v[99:100]
	s_delay_alu instid0(VALU_DEP_1) | instskip(NEXT) | instid1(VALU_DEP_1)
	v_fma_f64 v[82:83], -v[82:83], v[103:104], v[101:102]
	v_div_fmas_f64 v[82:83], v[82:83], v[99:100], v[103:104]
	s_delay_alu instid0(VALU_DEP_1) | instskip(NEXT) | instid1(VALU_DEP_1)
	v_div_fixup_f64 v[80:81], v[82:83], v[80:81], 1.0
	v_mul_f64 v[82:83], v[97:98], -v[80:81]
.LBB38_93:
	s_or_b32 exec_lo, exec_lo, s2
.LBB38_94:
	s_delay_alu instid0(SALU_CYCLE_1) | instskip(NEXT) | instid1(SALU_CYCLE_1)
	s_or_b32 exec_lo, exec_lo, s3
	s_mov_b32 s2, exec_lo
	v_cmpx_ne_u32_e64 v96, v88
	s_xor_b32 s2, exec_lo, s2
	s_cbranch_execz .LBB38_100
; %bb.95:
	s_mov_b32 s3, exec_lo
	v_cmpx_eq_u32_e32 4, v96
	s_cbranch_execz .LBB38_99
; %bb.96:
	v_cmp_ne_u32_e32 vcc_lo, 4, v88
	s_xor_b32 s6, s4, -1
	s_delay_alu instid0(SALU_CYCLE_1) | instskip(NEXT) | instid1(SALU_CYCLE_1)
	s_and_b32 s7, s6, vcc_lo
	s_and_saveexec_b32 s6, s7
	s_cbranch_execz .LBB38_98
; %bb.97:
	v_ashrrev_i32_e32 v89, 31, v88
	s_delay_alu instid0(VALU_DEP_1) | instskip(NEXT) | instid1(VALU_DEP_1)
	v_lshlrev_b64 v[96:97], 2, v[88:89]
	v_add_co_u32 v96, vcc_lo, v86, v96
	s_delay_alu instid0(VALU_DEP_2)
	v_add_co_ci_u32_e32 v97, vcc_lo, v87, v97, vcc_lo
	s_clause 0x1
	flat_load_b32 v89, v[96:97]
	flat_load_b32 v93, v[86:87] offset:16
	s_waitcnt vmcnt(1) lgkmcnt(1)
	flat_store_b32 v[86:87], v89 offset:16
	s_waitcnt vmcnt(0) lgkmcnt(1)
	flat_store_b32 v[96:97], v93
.LBB38_98:
	s_or_b32 exec_lo, exec_lo, s6
	v_mov_b32_e32 v96, v88
	v_mov_b32_e32 v93, v88
.LBB38_99:
	s_or_b32 exec_lo, exec_lo, s3
.LBB38_100:
	s_and_not1_saveexec_b32 s2, s2
	s_cbranch_execz .LBB38_102
; %bb.101:
	v_mov_b32_e32 v96, 4
	ds_store_2addr_b64 v90, v[36:37], v[38:39] offset0:10 offset1:11
	ds_store_2addr_b64 v90, v[56:57], v[58:59] offset0:12 offset1:13
	;; [unrolled: 1-line block ×15, first 2 shown]
.LBB38_102:
	s_or_b32 exec_lo, exec_lo, s2
	s_delay_alu instid0(SALU_CYCLE_1)
	s_mov_b32 s2, exec_lo
	s_waitcnt lgkmcnt(0)
	s_waitcnt_vscnt null, 0x0
	s_barrier
	buffer_gl0_inv
	v_cmpx_lt_i32_e32 4, v96
	s_cbranch_execz .LBB38_104
; %bb.103:
	v_mul_f64 v[88:89], v[80:81], v[66:67]
	v_mul_f64 v[66:67], v[82:83], v[66:67]
	ds_load_2addr_b64 v[97:100], v90 offset0:10 offset1:11
	ds_load_2addr_b64 v[101:104], v90 offset0:12 offset1:13
	;; [unrolled: 1-line block ×15, first 2 shown]
	v_fma_f64 v[82:83], v[82:83], v[64:65], v[88:89]
	v_fma_f64 v[64:65], v[80:81], v[64:65], -v[66:67]
	s_waitcnt lgkmcnt(14)
	s_delay_alu instid0(VALU_DEP_2)
	v_mul_f64 v[66:67], v[99:100], v[82:83]
	v_mul_f64 v[80:81], v[97:98], v[82:83]
	s_waitcnt lgkmcnt(13)
	v_mul_f64 v[88:89], v[103:104], v[82:83]
	v_mul_f64 v[157:158], v[101:102], v[82:83]
	s_waitcnt lgkmcnt(12)
	;; [unrolled: 3-line block ×14, first 2 shown]
	v_mul_f64 v[207:208], v[155:156], v[82:83]
	v_mul_f64 v[209:210], v[153:154], v[82:83]
	v_fma_f64 v[66:67], v[97:98], v[64:65], -v[66:67]
	v_fma_f64 v[80:81], v[99:100], v[64:65], v[80:81]
	v_fma_f64 v[88:89], v[101:102], v[64:65], -v[88:89]
	v_fma_f64 v[97:98], v[103:104], v[64:65], v[157:158]
	;; [unrolled: 2-line block ×15, first 2 shown]
	v_add_f64 v[36:37], v[36:37], -v[66:67]
	v_add_f64 v[38:39], v[38:39], -v[80:81]
	;; [unrolled: 1-line block ×30, first 2 shown]
	v_dual_mov_b32 v66, v82 :: v_dual_mov_b32 v67, v83
.LBB38_104:
	s_or_b32 exec_lo, exec_lo, s2
	v_lshl_add_u32 v80, v96, 4, v90
	s_barrier
	buffer_gl0_inv
	v_mov_b32_e32 v88, 5
	ds_store_2addr_b64 v80, v[36:37], v[38:39] offset1:1
	s_waitcnt lgkmcnt(0)
	s_barrier
	buffer_gl0_inv
	ds_load_2addr_b64 v[80:83], v90 offset0:10 offset1:11
	s_cmp_lt_i32 s5, 7
	s_cbranch_scc1 .LBB38_107
; %bb.105:
	v_add3_u32 v89, v95, 0, 0x60
	v_mov_b32_e32 v88, 5
	s_mov_b32 s6, 6
	s_set_inst_prefetch_distance 0x1
	.p2align	6
.LBB38_106:                             ; =>This Inner Loop Header: Depth=1
	ds_load_2addr_b64 v[97:100], v89 offset1:1
	s_waitcnt lgkmcnt(1)
	v_cmp_gt_f64_e32 vcc_lo, 0, v[80:81]
	v_xor_b32_e32 v101, 0x80000000, v81
	v_cmp_gt_f64_e64 s2, 0, v[82:83]
	v_xor_b32_e32 v103, 0x80000000, v83
	v_add_nc_u32_e32 v89, 16, v89
	s_waitcnt lgkmcnt(0)
	v_cmp_gt_f64_e64 s3, 0, v[97:98]
	v_mov_b32_e32 v105, v97
	v_dual_mov_b32 v107, v99 :: v_dual_cndmask_b32 v102, v81, v101
	v_xor_b32_e32 v101, 0x80000000, v98
	v_cndmask_b32_e64 v104, v83, v103, s2
	v_xor_b32_e32 v103, 0x80000000, v100
	s_delay_alu instid0(VALU_DEP_3) | instskip(SKIP_2) | instid1(VALU_DEP_2)
	v_cndmask_b32_e64 v106, v98, v101, s3
	v_cmp_gt_f64_e64 s3, 0, v[99:100]
	v_cndmask_b32_e32 v101, v80, v80, vcc_lo
	v_cndmask_b32_e64 v108, v100, v103, s3
	v_cndmask_b32_e64 v103, v82, v82, s2
	s_delay_alu instid0(VALU_DEP_2) | instskip(NEXT) | instid1(VALU_DEP_2)
	v_add_f64 v[105:106], v[105:106], v[107:108]
	v_add_f64 v[101:102], v[101:102], v[103:104]
	s_delay_alu instid0(VALU_DEP_1) | instskip(SKIP_4) | instid1(SALU_CYCLE_1)
	v_cmp_lt_f64_e32 vcc_lo, v[101:102], v[105:106]
	v_dual_cndmask_b32 v82, v82, v99 :: v_dual_cndmask_b32 v81, v81, v98
	v_dual_cndmask_b32 v80, v80, v97 :: v_dual_cndmask_b32 v83, v83, v100
	v_cndmask_b32_e64 v88, v88, s6, vcc_lo
	s_add_i32 s6, s6, 1
	s_cmp_lg_u32 s5, s6
	s_cbranch_scc1 .LBB38_106
.LBB38_107:
	s_set_inst_prefetch_distance 0x2
	s_waitcnt lgkmcnt(0)
	v_cmp_eq_f64_e32 vcc_lo, 0, v[80:81]
	v_cmp_eq_f64_e64 s2, 0, v[82:83]
	s_delay_alu instid0(VALU_DEP_1) | instskip(NEXT) | instid1(SALU_CYCLE_1)
	s_and_b32 s2, vcc_lo, s2
	s_and_saveexec_b32 s3, s2
	s_delay_alu instid0(SALU_CYCLE_1)
	s_xor_b32 s2, exec_lo, s3
; %bb.108:
	v_cmp_ne_u32_e32 vcc_lo, 0, v94
	v_cndmask_b32_e32 v94, 6, v94, vcc_lo
; %bb.109:
	s_and_not1_saveexec_b32 s3, s2
	s_cbranch_execz .LBB38_115
; %bb.110:
	v_cmp_gt_f64_e32 vcc_lo, 0, v[80:81]
	v_cmp_gt_f64_e64 s2, 0, v[82:83]
	v_xor_b32_e32 v89, 0x80000000, v81
	v_xor_b32_e32 v97, 0x80000000, v83
	s_delay_alu instid0(VALU_DEP_2) | instskip(NEXT) | instid1(VALU_DEP_2)
	v_cndmask_b32_e32 v98, v81, v89, vcc_lo
	v_cndmask_b32_e64 v100, v83, v97, s2
	v_cndmask_b32_e32 v97, v80, v80, vcc_lo
	v_cndmask_b32_e64 v99, v82, v82, s2
	s_mov_b32 s2, exec_lo
	s_delay_alu instid0(VALU_DEP_1)
	v_cmpx_ngt_f64_e32 v[97:98], v[99:100]
	s_xor_b32 s2, exec_lo, s2
	s_cbranch_execz .LBB38_112
; %bb.111:
	v_div_scale_f64 v[97:98], null, v[82:83], v[82:83], v[80:81]
	v_div_scale_f64 v[103:104], vcc_lo, v[80:81], v[82:83], v[80:81]
	s_delay_alu instid0(VALU_DEP_2) | instskip(SKIP_2) | instid1(VALU_DEP_1)
	v_rcp_f64_e32 v[99:100], v[97:98]
	s_waitcnt_depctr 0xfff
	v_fma_f64 v[101:102], -v[97:98], v[99:100], 1.0
	v_fma_f64 v[99:100], v[99:100], v[101:102], v[99:100]
	s_delay_alu instid0(VALU_DEP_1) | instskip(NEXT) | instid1(VALU_DEP_1)
	v_fma_f64 v[101:102], -v[97:98], v[99:100], 1.0
	v_fma_f64 v[99:100], v[99:100], v[101:102], v[99:100]
	s_delay_alu instid0(VALU_DEP_1) | instskip(NEXT) | instid1(VALU_DEP_1)
	v_mul_f64 v[101:102], v[103:104], v[99:100]
	v_fma_f64 v[97:98], -v[97:98], v[101:102], v[103:104]
	s_delay_alu instid0(VALU_DEP_1) | instskip(NEXT) | instid1(VALU_DEP_1)
	v_div_fmas_f64 v[97:98], v[97:98], v[99:100], v[101:102]
	v_div_fixup_f64 v[97:98], v[97:98], v[82:83], v[80:81]
	s_delay_alu instid0(VALU_DEP_1) | instskip(NEXT) | instid1(VALU_DEP_1)
	v_fma_f64 v[80:81], v[80:81], v[97:98], v[82:83]
	v_div_scale_f64 v[82:83], null, v[80:81], v[80:81], 1.0
	s_delay_alu instid0(VALU_DEP_1) | instskip(SKIP_2) | instid1(VALU_DEP_1)
	v_rcp_f64_e32 v[99:100], v[82:83]
	s_waitcnt_depctr 0xfff
	v_fma_f64 v[101:102], -v[82:83], v[99:100], 1.0
	v_fma_f64 v[99:100], v[99:100], v[101:102], v[99:100]
	s_delay_alu instid0(VALU_DEP_1) | instskip(NEXT) | instid1(VALU_DEP_1)
	v_fma_f64 v[101:102], -v[82:83], v[99:100], 1.0
	v_fma_f64 v[99:100], v[99:100], v[101:102], v[99:100]
	v_div_scale_f64 v[101:102], vcc_lo, 1.0, v[80:81], 1.0
	s_delay_alu instid0(VALU_DEP_1) | instskip(NEXT) | instid1(VALU_DEP_1)
	v_mul_f64 v[103:104], v[101:102], v[99:100]
	v_fma_f64 v[82:83], -v[82:83], v[103:104], v[101:102]
	s_delay_alu instid0(VALU_DEP_1) | instskip(NEXT) | instid1(VALU_DEP_1)
	v_div_fmas_f64 v[82:83], v[82:83], v[99:100], v[103:104]
	v_div_fixup_f64 v[82:83], v[82:83], v[80:81], 1.0
	s_delay_alu instid0(VALU_DEP_1)
	v_mul_f64 v[80:81], v[97:98], v[82:83]
	v_xor_b32_e32 v83, 0x80000000, v83
.LBB38_112:
	s_and_not1_saveexec_b32 s2, s2
	s_cbranch_execz .LBB38_114
; %bb.113:
	s_delay_alu instid0(VALU_DEP_1) | instskip(SKIP_1) | instid1(VALU_DEP_2)
	v_div_scale_f64 v[97:98], null, v[80:81], v[80:81], v[82:83]
	v_div_scale_f64 v[103:104], vcc_lo, v[82:83], v[80:81], v[82:83]
	v_rcp_f64_e32 v[99:100], v[97:98]
	s_waitcnt_depctr 0xfff
	v_fma_f64 v[101:102], -v[97:98], v[99:100], 1.0
	s_delay_alu instid0(VALU_DEP_1) | instskip(NEXT) | instid1(VALU_DEP_1)
	v_fma_f64 v[99:100], v[99:100], v[101:102], v[99:100]
	v_fma_f64 v[101:102], -v[97:98], v[99:100], 1.0
	s_delay_alu instid0(VALU_DEP_1) | instskip(NEXT) | instid1(VALU_DEP_1)
	v_fma_f64 v[99:100], v[99:100], v[101:102], v[99:100]
	v_mul_f64 v[101:102], v[103:104], v[99:100]
	s_delay_alu instid0(VALU_DEP_1) | instskip(NEXT) | instid1(VALU_DEP_1)
	v_fma_f64 v[97:98], -v[97:98], v[101:102], v[103:104]
	v_div_fmas_f64 v[97:98], v[97:98], v[99:100], v[101:102]
	s_delay_alu instid0(VALU_DEP_1) | instskip(NEXT) | instid1(VALU_DEP_1)
	v_div_fixup_f64 v[97:98], v[97:98], v[80:81], v[82:83]
	v_fma_f64 v[80:81], v[82:83], v[97:98], v[80:81]
	s_delay_alu instid0(VALU_DEP_1) | instskip(NEXT) | instid1(VALU_DEP_1)
	v_div_scale_f64 v[82:83], null, v[80:81], v[80:81], 1.0
	v_rcp_f64_e32 v[99:100], v[82:83]
	s_waitcnt_depctr 0xfff
	v_fma_f64 v[101:102], -v[82:83], v[99:100], 1.0
	s_delay_alu instid0(VALU_DEP_1) | instskip(NEXT) | instid1(VALU_DEP_1)
	v_fma_f64 v[99:100], v[99:100], v[101:102], v[99:100]
	v_fma_f64 v[101:102], -v[82:83], v[99:100], 1.0
	s_delay_alu instid0(VALU_DEP_1) | instskip(SKIP_1) | instid1(VALU_DEP_1)
	v_fma_f64 v[99:100], v[99:100], v[101:102], v[99:100]
	v_div_scale_f64 v[101:102], vcc_lo, 1.0, v[80:81], 1.0
	v_mul_f64 v[103:104], v[101:102], v[99:100]
	s_delay_alu instid0(VALU_DEP_1) | instskip(NEXT) | instid1(VALU_DEP_1)
	v_fma_f64 v[82:83], -v[82:83], v[103:104], v[101:102]
	v_div_fmas_f64 v[82:83], v[82:83], v[99:100], v[103:104]
	s_delay_alu instid0(VALU_DEP_1) | instskip(NEXT) | instid1(VALU_DEP_1)
	v_div_fixup_f64 v[80:81], v[82:83], v[80:81], 1.0
	v_mul_f64 v[82:83], v[97:98], -v[80:81]
.LBB38_114:
	s_or_b32 exec_lo, exec_lo, s2
.LBB38_115:
	s_delay_alu instid0(SALU_CYCLE_1) | instskip(NEXT) | instid1(SALU_CYCLE_1)
	s_or_b32 exec_lo, exec_lo, s3
	s_mov_b32 s2, exec_lo
	v_cmpx_ne_u32_e64 v96, v88
	s_xor_b32 s2, exec_lo, s2
	s_cbranch_execz .LBB38_121
; %bb.116:
	s_mov_b32 s3, exec_lo
	v_cmpx_eq_u32_e32 5, v96
	s_cbranch_execz .LBB38_120
; %bb.117:
	v_cmp_ne_u32_e32 vcc_lo, 5, v88
	s_xor_b32 s6, s4, -1
	s_delay_alu instid0(SALU_CYCLE_1) | instskip(NEXT) | instid1(SALU_CYCLE_1)
	s_and_b32 s7, s6, vcc_lo
	s_and_saveexec_b32 s6, s7
	s_cbranch_execz .LBB38_119
; %bb.118:
	v_ashrrev_i32_e32 v89, 31, v88
	s_delay_alu instid0(VALU_DEP_1) | instskip(NEXT) | instid1(VALU_DEP_1)
	v_lshlrev_b64 v[96:97], 2, v[88:89]
	v_add_co_u32 v96, vcc_lo, v86, v96
	s_delay_alu instid0(VALU_DEP_2)
	v_add_co_ci_u32_e32 v97, vcc_lo, v87, v97, vcc_lo
	s_clause 0x1
	flat_load_b32 v89, v[96:97]
	flat_load_b32 v93, v[86:87] offset:20
	s_waitcnt vmcnt(1) lgkmcnt(1)
	flat_store_b32 v[86:87], v89 offset:20
	s_waitcnt vmcnt(0) lgkmcnt(1)
	flat_store_b32 v[96:97], v93
.LBB38_119:
	s_or_b32 exec_lo, exec_lo, s6
	v_mov_b32_e32 v96, v88
	v_mov_b32_e32 v93, v88
.LBB38_120:
	s_or_b32 exec_lo, exec_lo, s3
.LBB38_121:
	s_and_not1_saveexec_b32 s2, s2
	s_cbranch_execz .LBB38_123
; %bb.122:
	v_mov_b32_e32 v96, 5
	ds_store_2addr_b64 v90, v[56:57], v[58:59] offset0:12 offset1:13
	ds_store_2addr_b64 v90, v[52:53], v[54:55] offset0:14 offset1:15
	;; [unrolled: 1-line block ×14, first 2 shown]
.LBB38_123:
	s_or_b32 exec_lo, exec_lo, s2
	s_delay_alu instid0(SALU_CYCLE_1)
	s_mov_b32 s2, exec_lo
	s_waitcnt lgkmcnt(0)
	s_waitcnt_vscnt null, 0x0
	s_barrier
	buffer_gl0_inv
	v_cmpx_lt_i32_e32 5, v96
	s_cbranch_execz .LBB38_125
; %bb.124:
	v_mul_f64 v[88:89], v[80:81], v[38:39]
	v_mul_f64 v[38:39], v[82:83], v[38:39]
	ds_load_2addr_b64 v[97:100], v90 offset0:12 offset1:13
	ds_load_2addr_b64 v[101:104], v90 offset0:14 offset1:15
	;; [unrolled: 1-line block ×14, first 2 shown]
	v_fma_f64 v[82:83], v[82:83], v[36:37], v[88:89]
	v_fma_f64 v[36:37], v[80:81], v[36:37], -v[38:39]
	s_waitcnt lgkmcnt(13)
	s_delay_alu instid0(VALU_DEP_2)
	v_mul_f64 v[38:39], v[99:100], v[82:83]
	v_mul_f64 v[80:81], v[97:98], v[82:83]
	s_waitcnt lgkmcnt(12)
	v_mul_f64 v[88:89], v[103:104], v[82:83]
	v_mul_f64 v[153:154], v[101:102], v[82:83]
	s_waitcnt lgkmcnt(11)
	;; [unrolled: 3-line block ×13, first 2 shown]
	v_mul_f64 v[199:200], v[151:152], v[82:83]
	v_mul_f64 v[201:202], v[149:150], v[82:83]
	v_fma_f64 v[38:39], v[97:98], v[36:37], -v[38:39]
	v_fma_f64 v[80:81], v[99:100], v[36:37], v[80:81]
	v_fma_f64 v[88:89], v[101:102], v[36:37], -v[88:89]
	v_fma_f64 v[97:98], v[103:104], v[36:37], v[153:154]
	;; [unrolled: 2-line block ×14, first 2 shown]
	v_add_f64 v[56:57], v[56:57], -v[38:39]
	v_add_f64 v[58:59], v[58:59], -v[80:81]
	;; [unrolled: 1-line block ×28, first 2 shown]
	v_dual_mov_b32 v38, v82 :: v_dual_mov_b32 v39, v83
.LBB38_125:
	s_or_b32 exec_lo, exec_lo, s2
	v_lshl_add_u32 v80, v96, 4, v90
	s_barrier
	buffer_gl0_inv
	v_mov_b32_e32 v88, 6
	ds_store_2addr_b64 v80, v[56:57], v[58:59] offset1:1
	s_waitcnt lgkmcnt(0)
	s_barrier
	buffer_gl0_inv
	ds_load_2addr_b64 v[80:83], v90 offset0:12 offset1:13
	s_cmp_lt_i32 s5, 8
	s_cbranch_scc1 .LBB38_128
; %bb.126:
	v_add3_u32 v89, v95, 0, 0x70
	v_mov_b32_e32 v88, 6
	s_mov_b32 s6, 7
	s_set_inst_prefetch_distance 0x1
	.p2align	6
.LBB38_127:                             ; =>This Inner Loop Header: Depth=1
	ds_load_2addr_b64 v[97:100], v89 offset1:1
	s_waitcnt lgkmcnt(1)
	v_cmp_gt_f64_e32 vcc_lo, 0, v[80:81]
	v_xor_b32_e32 v101, 0x80000000, v81
	v_cmp_gt_f64_e64 s2, 0, v[82:83]
	v_xor_b32_e32 v103, 0x80000000, v83
	v_add_nc_u32_e32 v89, 16, v89
	s_waitcnt lgkmcnt(0)
	v_cmp_gt_f64_e64 s3, 0, v[97:98]
	v_mov_b32_e32 v105, v97
	v_dual_mov_b32 v107, v99 :: v_dual_cndmask_b32 v102, v81, v101
	v_xor_b32_e32 v101, 0x80000000, v98
	v_cndmask_b32_e64 v104, v83, v103, s2
	v_xor_b32_e32 v103, 0x80000000, v100
	s_delay_alu instid0(VALU_DEP_3) | instskip(SKIP_2) | instid1(VALU_DEP_2)
	v_cndmask_b32_e64 v106, v98, v101, s3
	v_cmp_gt_f64_e64 s3, 0, v[99:100]
	v_cndmask_b32_e32 v101, v80, v80, vcc_lo
	v_cndmask_b32_e64 v108, v100, v103, s3
	v_cndmask_b32_e64 v103, v82, v82, s2
	s_delay_alu instid0(VALU_DEP_2) | instskip(NEXT) | instid1(VALU_DEP_2)
	v_add_f64 v[105:106], v[105:106], v[107:108]
	v_add_f64 v[101:102], v[101:102], v[103:104]
	s_delay_alu instid0(VALU_DEP_1) | instskip(SKIP_4) | instid1(SALU_CYCLE_1)
	v_cmp_lt_f64_e32 vcc_lo, v[101:102], v[105:106]
	v_dual_cndmask_b32 v82, v82, v99 :: v_dual_cndmask_b32 v81, v81, v98
	v_dual_cndmask_b32 v80, v80, v97 :: v_dual_cndmask_b32 v83, v83, v100
	v_cndmask_b32_e64 v88, v88, s6, vcc_lo
	s_add_i32 s6, s6, 1
	s_cmp_lg_u32 s5, s6
	s_cbranch_scc1 .LBB38_127
.LBB38_128:
	s_set_inst_prefetch_distance 0x2
	s_waitcnt lgkmcnt(0)
	v_cmp_eq_f64_e32 vcc_lo, 0, v[80:81]
	v_cmp_eq_f64_e64 s2, 0, v[82:83]
	s_delay_alu instid0(VALU_DEP_1) | instskip(NEXT) | instid1(SALU_CYCLE_1)
	s_and_b32 s2, vcc_lo, s2
	s_and_saveexec_b32 s3, s2
	s_delay_alu instid0(SALU_CYCLE_1)
	s_xor_b32 s2, exec_lo, s3
; %bb.129:
	v_cmp_ne_u32_e32 vcc_lo, 0, v94
	v_cndmask_b32_e32 v94, 7, v94, vcc_lo
; %bb.130:
	s_and_not1_saveexec_b32 s3, s2
	s_cbranch_execz .LBB38_136
; %bb.131:
	v_cmp_gt_f64_e32 vcc_lo, 0, v[80:81]
	v_cmp_gt_f64_e64 s2, 0, v[82:83]
	v_xor_b32_e32 v89, 0x80000000, v81
	v_xor_b32_e32 v97, 0x80000000, v83
	s_delay_alu instid0(VALU_DEP_2) | instskip(NEXT) | instid1(VALU_DEP_2)
	v_cndmask_b32_e32 v98, v81, v89, vcc_lo
	v_cndmask_b32_e64 v100, v83, v97, s2
	v_cndmask_b32_e32 v97, v80, v80, vcc_lo
	v_cndmask_b32_e64 v99, v82, v82, s2
	s_mov_b32 s2, exec_lo
	s_delay_alu instid0(VALU_DEP_1)
	v_cmpx_ngt_f64_e32 v[97:98], v[99:100]
	s_xor_b32 s2, exec_lo, s2
	s_cbranch_execz .LBB38_133
; %bb.132:
	v_div_scale_f64 v[97:98], null, v[82:83], v[82:83], v[80:81]
	v_div_scale_f64 v[103:104], vcc_lo, v[80:81], v[82:83], v[80:81]
	s_delay_alu instid0(VALU_DEP_2) | instskip(SKIP_2) | instid1(VALU_DEP_1)
	v_rcp_f64_e32 v[99:100], v[97:98]
	s_waitcnt_depctr 0xfff
	v_fma_f64 v[101:102], -v[97:98], v[99:100], 1.0
	v_fma_f64 v[99:100], v[99:100], v[101:102], v[99:100]
	s_delay_alu instid0(VALU_DEP_1) | instskip(NEXT) | instid1(VALU_DEP_1)
	v_fma_f64 v[101:102], -v[97:98], v[99:100], 1.0
	v_fma_f64 v[99:100], v[99:100], v[101:102], v[99:100]
	s_delay_alu instid0(VALU_DEP_1) | instskip(NEXT) | instid1(VALU_DEP_1)
	v_mul_f64 v[101:102], v[103:104], v[99:100]
	v_fma_f64 v[97:98], -v[97:98], v[101:102], v[103:104]
	s_delay_alu instid0(VALU_DEP_1) | instskip(NEXT) | instid1(VALU_DEP_1)
	v_div_fmas_f64 v[97:98], v[97:98], v[99:100], v[101:102]
	v_div_fixup_f64 v[97:98], v[97:98], v[82:83], v[80:81]
	s_delay_alu instid0(VALU_DEP_1) | instskip(NEXT) | instid1(VALU_DEP_1)
	v_fma_f64 v[80:81], v[80:81], v[97:98], v[82:83]
	v_div_scale_f64 v[82:83], null, v[80:81], v[80:81], 1.0
	s_delay_alu instid0(VALU_DEP_1) | instskip(SKIP_2) | instid1(VALU_DEP_1)
	v_rcp_f64_e32 v[99:100], v[82:83]
	s_waitcnt_depctr 0xfff
	v_fma_f64 v[101:102], -v[82:83], v[99:100], 1.0
	v_fma_f64 v[99:100], v[99:100], v[101:102], v[99:100]
	s_delay_alu instid0(VALU_DEP_1) | instskip(NEXT) | instid1(VALU_DEP_1)
	v_fma_f64 v[101:102], -v[82:83], v[99:100], 1.0
	v_fma_f64 v[99:100], v[99:100], v[101:102], v[99:100]
	v_div_scale_f64 v[101:102], vcc_lo, 1.0, v[80:81], 1.0
	s_delay_alu instid0(VALU_DEP_1) | instskip(NEXT) | instid1(VALU_DEP_1)
	v_mul_f64 v[103:104], v[101:102], v[99:100]
	v_fma_f64 v[82:83], -v[82:83], v[103:104], v[101:102]
	s_delay_alu instid0(VALU_DEP_1) | instskip(NEXT) | instid1(VALU_DEP_1)
	v_div_fmas_f64 v[82:83], v[82:83], v[99:100], v[103:104]
	v_div_fixup_f64 v[82:83], v[82:83], v[80:81], 1.0
	s_delay_alu instid0(VALU_DEP_1)
	v_mul_f64 v[80:81], v[97:98], v[82:83]
	v_xor_b32_e32 v83, 0x80000000, v83
.LBB38_133:
	s_and_not1_saveexec_b32 s2, s2
	s_cbranch_execz .LBB38_135
; %bb.134:
	s_delay_alu instid0(VALU_DEP_1) | instskip(SKIP_1) | instid1(VALU_DEP_2)
	v_div_scale_f64 v[97:98], null, v[80:81], v[80:81], v[82:83]
	v_div_scale_f64 v[103:104], vcc_lo, v[82:83], v[80:81], v[82:83]
	v_rcp_f64_e32 v[99:100], v[97:98]
	s_waitcnt_depctr 0xfff
	v_fma_f64 v[101:102], -v[97:98], v[99:100], 1.0
	s_delay_alu instid0(VALU_DEP_1) | instskip(NEXT) | instid1(VALU_DEP_1)
	v_fma_f64 v[99:100], v[99:100], v[101:102], v[99:100]
	v_fma_f64 v[101:102], -v[97:98], v[99:100], 1.0
	s_delay_alu instid0(VALU_DEP_1) | instskip(NEXT) | instid1(VALU_DEP_1)
	v_fma_f64 v[99:100], v[99:100], v[101:102], v[99:100]
	v_mul_f64 v[101:102], v[103:104], v[99:100]
	s_delay_alu instid0(VALU_DEP_1) | instskip(NEXT) | instid1(VALU_DEP_1)
	v_fma_f64 v[97:98], -v[97:98], v[101:102], v[103:104]
	v_div_fmas_f64 v[97:98], v[97:98], v[99:100], v[101:102]
	s_delay_alu instid0(VALU_DEP_1) | instskip(NEXT) | instid1(VALU_DEP_1)
	v_div_fixup_f64 v[97:98], v[97:98], v[80:81], v[82:83]
	v_fma_f64 v[80:81], v[82:83], v[97:98], v[80:81]
	s_delay_alu instid0(VALU_DEP_1) | instskip(NEXT) | instid1(VALU_DEP_1)
	v_div_scale_f64 v[82:83], null, v[80:81], v[80:81], 1.0
	v_rcp_f64_e32 v[99:100], v[82:83]
	s_waitcnt_depctr 0xfff
	v_fma_f64 v[101:102], -v[82:83], v[99:100], 1.0
	s_delay_alu instid0(VALU_DEP_1) | instskip(NEXT) | instid1(VALU_DEP_1)
	v_fma_f64 v[99:100], v[99:100], v[101:102], v[99:100]
	v_fma_f64 v[101:102], -v[82:83], v[99:100], 1.0
	s_delay_alu instid0(VALU_DEP_1) | instskip(SKIP_1) | instid1(VALU_DEP_1)
	v_fma_f64 v[99:100], v[99:100], v[101:102], v[99:100]
	v_div_scale_f64 v[101:102], vcc_lo, 1.0, v[80:81], 1.0
	v_mul_f64 v[103:104], v[101:102], v[99:100]
	s_delay_alu instid0(VALU_DEP_1) | instskip(NEXT) | instid1(VALU_DEP_1)
	v_fma_f64 v[82:83], -v[82:83], v[103:104], v[101:102]
	v_div_fmas_f64 v[82:83], v[82:83], v[99:100], v[103:104]
	s_delay_alu instid0(VALU_DEP_1) | instskip(NEXT) | instid1(VALU_DEP_1)
	v_div_fixup_f64 v[80:81], v[82:83], v[80:81], 1.0
	v_mul_f64 v[82:83], v[97:98], -v[80:81]
.LBB38_135:
	s_or_b32 exec_lo, exec_lo, s2
.LBB38_136:
	s_delay_alu instid0(SALU_CYCLE_1) | instskip(NEXT) | instid1(SALU_CYCLE_1)
	s_or_b32 exec_lo, exec_lo, s3
	s_mov_b32 s2, exec_lo
	v_cmpx_ne_u32_e64 v96, v88
	s_xor_b32 s2, exec_lo, s2
	s_cbranch_execz .LBB38_142
; %bb.137:
	s_mov_b32 s3, exec_lo
	v_cmpx_eq_u32_e32 6, v96
	s_cbranch_execz .LBB38_141
; %bb.138:
	v_cmp_ne_u32_e32 vcc_lo, 6, v88
	s_xor_b32 s6, s4, -1
	s_delay_alu instid0(SALU_CYCLE_1) | instskip(NEXT) | instid1(SALU_CYCLE_1)
	s_and_b32 s7, s6, vcc_lo
	s_and_saveexec_b32 s6, s7
	s_cbranch_execz .LBB38_140
; %bb.139:
	v_ashrrev_i32_e32 v89, 31, v88
	s_delay_alu instid0(VALU_DEP_1) | instskip(NEXT) | instid1(VALU_DEP_1)
	v_lshlrev_b64 v[96:97], 2, v[88:89]
	v_add_co_u32 v96, vcc_lo, v86, v96
	s_delay_alu instid0(VALU_DEP_2)
	v_add_co_ci_u32_e32 v97, vcc_lo, v87, v97, vcc_lo
	s_clause 0x1
	flat_load_b32 v89, v[96:97]
	flat_load_b32 v93, v[86:87] offset:24
	s_waitcnt vmcnt(1) lgkmcnt(1)
	flat_store_b32 v[86:87], v89 offset:24
	s_waitcnt vmcnt(0) lgkmcnt(1)
	flat_store_b32 v[96:97], v93
.LBB38_140:
	s_or_b32 exec_lo, exec_lo, s6
	v_mov_b32_e32 v96, v88
	v_mov_b32_e32 v93, v88
.LBB38_141:
	s_or_b32 exec_lo, exec_lo, s3
.LBB38_142:
	s_and_not1_saveexec_b32 s2, s2
	s_cbranch_execz .LBB38_144
; %bb.143:
	v_mov_b32_e32 v96, 6
	ds_store_2addr_b64 v90, v[52:53], v[54:55] offset0:14 offset1:15
	ds_store_2addr_b64 v90, v[48:49], v[50:51] offset0:16 offset1:17
	;; [unrolled: 1-line block ×13, first 2 shown]
.LBB38_144:
	s_or_b32 exec_lo, exec_lo, s2
	s_delay_alu instid0(SALU_CYCLE_1)
	s_mov_b32 s2, exec_lo
	s_waitcnt lgkmcnt(0)
	s_waitcnt_vscnt null, 0x0
	s_barrier
	buffer_gl0_inv
	v_cmpx_lt_i32_e32 6, v96
	s_cbranch_execz .LBB38_146
; %bb.145:
	v_mul_f64 v[88:89], v[80:81], v[58:59]
	v_mul_f64 v[58:59], v[82:83], v[58:59]
	ds_load_2addr_b64 v[97:100], v90 offset0:14 offset1:15
	ds_load_2addr_b64 v[101:104], v90 offset0:16 offset1:17
	;; [unrolled: 1-line block ×13, first 2 shown]
	v_fma_f64 v[82:83], v[82:83], v[56:57], v[88:89]
	v_fma_f64 v[56:57], v[80:81], v[56:57], -v[58:59]
	s_waitcnt lgkmcnt(12)
	s_delay_alu instid0(VALU_DEP_2)
	v_mul_f64 v[58:59], v[99:100], v[82:83]
	v_mul_f64 v[80:81], v[97:98], v[82:83]
	s_waitcnt lgkmcnt(11)
	v_mul_f64 v[88:89], v[103:104], v[82:83]
	v_mul_f64 v[149:150], v[101:102], v[82:83]
	s_waitcnt lgkmcnt(10)
	;; [unrolled: 3-line block ×12, first 2 shown]
	v_mul_f64 v[191:192], v[147:148], v[82:83]
	v_mul_f64 v[193:194], v[145:146], v[82:83]
	v_fma_f64 v[58:59], v[97:98], v[56:57], -v[58:59]
	v_fma_f64 v[80:81], v[99:100], v[56:57], v[80:81]
	v_fma_f64 v[88:89], v[101:102], v[56:57], -v[88:89]
	v_fma_f64 v[97:98], v[103:104], v[56:57], v[149:150]
	;; [unrolled: 2-line block ×13, first 2 shown]
	v_add_f64 v[52:53], v[52:53], -v[58:59]
	v_add_f64 v[54:55], v[54:55], -v[80:81]
	;; [unrolled: 1-line block ×26, first 2 shown]
	v_dual_mov_b32 v58, v82 :: v_dual_mov_b32 v59, v83
.LBB38_146:
	s_or_b32 exec_lo, exec_lo, s2
	v_lshl_add_u32 v80, v96, 4, v90
	s_barrier
	buffer_gl0_inv
	v_mov_b32_e32 v88, 7
	ds_store_2addr_b64 v80, v[52:53], v[54:55] offset1:1
	s_waitcnt lgkmcnt(0)
	s_barrier
	buffer_gl0_inv
	ds_load_2addr_b64 v[80:83], v90 offset0:14 offset1:15
	s_cmp_lt_i32 s5, 9
	s_cbranch_scc1 .LBB38_149
; %bb.147:
	v_add3_u32 v89, v95, 0, 0x80
	v_mov_b32_e32 v88, 7
	s_mov_b32 s6, 8
	s_set_inst_prefetch_distance 0x1
	.p2align	6
.LBB38_148:                             ; =>This Inner Loop Header: Depth=1
	ds_load_2addr_b64 v[97:100], v89 offset1:1
	s_waitcnt lgkmcnt(1)
	v_cmp_gt_f64_e32 vcc_lo, 0, v[80:81]
	v_xor_b32_e32 v101, 0x80000000, v81
	v_cmp_gt_f64_e64 s2, 0, v[82:83]
	v_xor_b32_e32 v103, 0x80000000, v83
	v_add_nc_u32_e32 v89, 16, v89
	s_waitcnt lgkmcnt(0)
	v_cmp_gt_f64_e64 s3, 0, v[97:98]
	v_mov_b32_e32 v105, v97
	v_dual_mov_b32 v107, v99 :: v_dual_cndmask_b32 v102, v81, v101
	v_xor_b32_e32 v101, 0x80000000, v98
	v_cndmask_b32_e64 v104, v83, v103, s2
	v_xor_b32_e32 v103, 0x80000000, v100
	s_delay_alu instid0(VALU_DEP_3) | instskip(SKIP_2) | instid1(VALU_DEP_2)
	v_cndmask_b32_e64 v106, v98, v101, s3
	v_cmp_gt_f64_e64 s3, 0, v[99:100]
	v_cndmask_b32_e32 v101, v80, v80, vcc_lo
	v_cndmask_b32_e64 v108, v100, v103, s3
	v_cndmask_b32_e64 v103, v82, v82, s2
	s_delay_alu instid0(VALU_DEP_2) | instskip(NEXT) | instid1(VALU_DEP_2)
	v_add_f64 v[105:106], v[105:106], v[107:108]
	v_add_f64 v[101:102], v[101:102], v[103:104]
	s_delay_alu instid0(VALU_DEP_1) | instskip(SKIP_4) | instid1(SALU_CYCLE_1)
	v_cmp_lt_f64_e32 vcc_lo, v[101:102], v[105:106]
	v_dual_cndmask_b32 v82, v82, v99 :: v_dual_cndmask_b32 v81, v81, v98
	v_dual_cndmask_b32 v80, v80, v97 :: v_dual_cndmask_b32 v83, v83, v100
	v_cndmask_b32_e64 v88, v88, s6, vcc_lo
	s_add_i32 s6, s6, 1
	s_cmp_lg_u32 s5, s6
	s_cbranch_scc1 .LBB38_148
.LBB38_149:
	s_set_inst_prefetch_distance 0x2
	s_waitcnt lgkmcnt(0)
	v_cmp_eq_f64_e32 vcc_lo, 0, v[80:81]
	v_cmp_eq_f64_e64 s2, 0, v[82:83]
	s_delay_alu instid0(VALU_DEP_1) | instskip(NEXT) | instid1(SALU_CYCLE_1)
	s_and_b32 s2, vcc_lo, s2
	s_and_saveexec_b32 s3, s2
	s_delay_alu instid0(SALU_CYCLE_1)
	s_xor_b32 s2, exec_lo, s3
; %bb.150:
	v_cmp_ne_u32_e32 vcc_lo, 0, v94
	v_cndmask_b32_e32 v94, 8, v94, vcc_lo
; %bb.151:
	s_and_not1_saveexec_b32 s3, s2
	s_cbranch_execz .LBB38_157
; %bb.152:
	v_cmp_gt_f64_e32 vcc_lo, 0, v[80:81]
	v_cmp_gt_f64_e64 s2, 0, v[82:83]
	v_xor_b32_e32 v89, 0x80000000, v81
	v_xor_b32_e32 v97, 0x80000000, v83
	s_delay_alu instid0(VALU_DEP_2) | instskip(NEXT) | instid1(VALU_DEP_2)
	v_cndmask_b32_e32 v98, v81, v89, vcc_lo
	v_cndmask_b32_e64 v100, v83, v97, s2
	v_cndmask_b32_e32 v97, v80, v80, vcc_lo
	v_cndmask_b32_e64 v99, v82, v82, s2
	s_mov_b32 s2, exec_lo
	s_delay_alu instid0(VALU_DEP_1)
	v_cmpx_ngt_f64_e32 v[97:98], v[99:100]
	s_xor_b32 s2, exec_lo, s2
	s_cbranch_execz .LBB38_154
; %bb.153:
	v_div_scale_f64 v[97:98], null, v[82:83], v[82:83], v[80:81]
	v_div_scale_f64 v[103:104], vcc_lo, v[80:81], v[82:83], v[80:81]
	s_delay_alu instid0(VALU_DEP_2) | instskip(SKIP_2) | instid1(VALU_DEP_1)
	v_rcp_f64_e32 v[99:100], v[97:98]
	s_waitcnt_depctr 0xfff
	v_fma_f64 v[101:102], -v[97:98], v[99:100], 1.0
	v_fma_f64 v[99:100], v[99:100], v[101:102], v[99:100]
	s_delay_alu instid0(VALU_DEP_1) | instskip(NEXT) | instid1(VALU_DEP_1)
	v_fma_f64 v[101:102], -v[97:98], v[99:100], 1.0
	v_fma_f64 v[99:100], v[99:100], v[101:102], v[99:100]
	s_delay_alu instid0(VALU_DEP_1) | instskip(NEXT) | instid1(VALU_DEP_1)
	v_mul_f64 v[101:102], v[103:104], v[99:100]
	v_fma_f64 v[97:98], -v[97:98], v[101:102], v[103:104]
	s_delay_alu instid0(VALU_DEP_1) | instskip(NEXT) | instid1(VALU_DEP_1)
	v_div_fmas_f64 v[97:98], v[97:98], v[99:100], v[101:102]
	v_div_fixup_f64 v[97:98], v[97:98], v[82:83], v[80:81]
	s_delay_alu instid0(VALU_DEP_1) | instskip(NEXT) | instid1(VALU_DEP_1)
	v_fma_f64 v[80:81], v[80:81], v[97:98], v[82:83]
	v_div_scale_f64 v[82:83], null, v[80:81], v[80:81], 1.0
	s_delay_alu instid0(VALU_DEP_1) | instskip(SKIP_2) | instid1(VALU_DEP_1)
	v_rcp_f64_e32 v[99:100], v[82:83]
	s_waitcnt_depctr 0xfff
	v_fma_f64 v[101:102], -v[82:83], v[99:100], 1.0
	v_fma_f64 v[99:100], v[99:100], v[101:102], v[99:100]
	s_delay_alu instid0(VALU_DEP_1) | instskip(NEXT) | instid1(VALU_DEP_1)
	v_fma_f64 v[101:102], -v[82:83], v[99:100], 1.0
	v_fma_f64 v[99:100], v[99:100], v[101:102], v[99:100]
	v_div_scale_f64 v[101:102], vcc_lo, 1.0, v[80:81], 1.0
	s_delay_alu instid0(VALU_DEP_1) | instskip(NEXT) | instid1(VALU_DEP_1)
	v_mul_f64 v[103:104], v[101:102], v[99:100]
	v_fma_f64 v[82:83], -v[82:83], v[103:104], v[101:102]
	s_delay_alu instid0(VALU_DEP_1) | instskip(NEXT) | instid1(VALU_DEP_1)
	v_div_fmas_f64 v[82:83], v[82:83], v[99:100], v[103:104]
	v_div_fixup_f64 v[82:83], v[82:83], v[80:81], 1.0
	s_delay_alu instid0(VALU_DEP_1)
	v_mul_f64 v[80:81], v[97:98], v[82:83]
	v_xor_b32_e32 v83, 0x80000000, v83
.LBB38_154:
	s_and_not1_saveexec_b32 s2, s2
	s_cbranch_execz .LBB38_156
; %bb.155:
	s_delay_alu instid0(VALU_DEP_1) | instskip(SKIP_1) | instid1(VALU_DEP_2)
	v_div_scale_f64 v[97:98], null, v[80:81], v[80:81], v[82:83]
	v_div_scale_f64 v[103:104], vcc_lo, v[82:83], v[80:81], v[82:83]
	v_rcp_f64_e32 v[99:100], v[97:98]
	s_waitcnt_depctr 0xfff
	v_fma_f64 v[101:102], -v[97:98], v[99:100], 1.0
	s_delay_alu instid0(VALU_DEP_1) | instskip(NEXT) | instid1(VALU_DEP_1)
	v_fma_f64 v[99:100], v[99:100], v[101:102], v[99:100]
	v_fma_f64 v[101:102], -v[97:98], v[99:100], 1.0
	s_delay_alu instid0(VALU_DEP_1) | instskip(NEXT) | instid1(VALU_DEP_1)
	v_fma_f64 v[99:100], v[99:100], v[101:102], v[99:100]
	v_mul_f64 v[101:102], v[103:104], v[99:100]
	s_delay_alu instid0(VALU_DEP_1) | instskip(NEXT) | instid1(VALU_DEP_1)
	v_fma_f64 v[97:98], -v[97:98], v[101:102], v[103:104]
	v_div_fmas_f64 v[97:98], v[97:98], v[99:100], v[101:102]
	s_delay_alu instid0(VALU_DEP_1) | instskip(NEXT) | instid1(VALU_DEP_1)
	v_div_fixup_f64 v[97:98], v[97:98], v[80:81], v[82:83]
	v_fma_f64 v[80:81], v[82:83], v[97:98], v[80:81]
	s_delay_alu instid0(VALU_DEP_1) | instskip(NEXT) | instid1(VALU_DEP_1)
	v_div_scale_f64 v[82:83], null, v[80:81], v[80:81], 1.0
	v_rcp_f64_e32 v[99:100], v[82:83]
	s_waitcnt_depctr 0xfff
	v_fma_f64 v[101:102], -v[82:83], v[99:100], 1.0
	s_delay_alu instid0(VALU_DEP_1) | instskip(NEXT) | instid1(VALU_DEP_1)
	v_fma_f64 v[99:100], v[99:100], v[101:102], v[99:100]
	v_fma_f64 v[101:102], -v[82:83], v[99:100], 1.0
	s_delay_alu instid0(VALU_DEP_1) | instskip(SKIP_1) | instid1(VALU_DEP_1)
	v_fma_f64 v[99:100], v[99:100], v[101:102], v[99:100]
	v_div_scale_f64 v[101:102], vcc_lo, 1.0, v[80:81], 1.0
	v_mul_f64 v[103:104], v[101:102], v[99:100]
	s_delay_alu instid0(VALU_DEP_1) | instskip(NEXT) | instid1(VALU_DEP_1)
	v_fma_f64 v[82:83], -v[82:83], v[103:104], v[101:102]
	v_div_fmas_f64 v[82:83], v[82:83], v[99:100], v[103:104]
	s_delay_alu instid0(VALU_DEP_1) | instskip(NEXT) | instid1(VALU_DEP_1)
	v_div_fixup_f64 v[80:81], v[82:83], v[80:81], 1.0
	v_mul_f64 v[82:83], v[97:98], -v[80:81]
.LBB38_156:
	s_or_b32 exec_lo, exec_lo, s2
.LBB38_157:
	s_delay_alu instid0(SALU_CYCLE_1) | instskip(NEXT) | instid1(SALU_CYCLE_1)
	s_or_b32 exec_lo, exec_lo, s3
	s_mov_b32 s2, exec_lo
	v_cmpx_ne_u32_e64 v96, v88
	s_xor_b32 s2, exec_lo, s2
	s_cbranch_execz .LBB38_163
; %bb.158:
	s_mov_b32 s3, exec_lo
	v_cmpx_eq_u32_e32 7, v96
	s_cbranch_execz .LBB38_162
; %bb.159:
	v_cmp_ne_u32_e32 vcc_lo, 7, v88
	s_xor_b32 s6, s4, -1
	s_delay_alu instid0(SALU_CYCLE_1) | instskip(NEXT) | instid1(SALU_CYCLE_1)
	s_and_b32 s7, s6, vcc_lo
	s_and_saveexec_b32 s6, s7
	s_cbranch_execz .LBB38_161
; %bb.160:
	v_ashrrev_i32_e32 v89, 31, v88
	s_delay_alu instid0(VALU_DEP_1) | instskip(NEXT) | instid1(VALU_DEP_1)
	v_lshlrev_b64 v[96:97], 2, v[88:89]
	v_add_co_u32 v96, vcc_lo, v86, v96
	s_delay_alu instid0(VALU_DEP_2)
	v_add_co_ci_u32_e32 v97, vcc_lo, v87, v97, vcc_lo
	s_clause 0x1
	flat_load_b32 v89, v[96:97]
	flat_load_b32 v93, v[86:87] offset:28
	s_waitcnt vmcnt(1) lgkmcnt(1)
	flat_store_b32 v[86:87], v89 offset:28
	s_waitcnt vmcnt(0) lgkmcnt(1)
	flat_store_b32 v[96:97], v93
.LBB38_161:
	s_or_b32 exec_lo, exec_lo, s6
	v_mov_b32_e32 v96, v88
	v_mov_b32_e32 v93, v88
.LBB38_162:
	s_or_b32 exec_lo, exec_lo, s3
.LBB38_163:
	s_and_not1_saveexec_b32 s2, s2
	s_cbranch_execz .LBB38_165
; %bb.164:
	v_mov_b32_e32 v96, 7
	ds_store_2addr_b64 v90, v[48:49], v[50:51] offset0:16 offset1:17
	ds_store_2addr_b64 v90, v[44:45], v[46:47] offset0:18 offset1:19
	;; [unrolled: 1-line block ×12, first 2 shown]
.LBB38_165:
	s_or_b32 exec_lo, exec_lo, s2
	s_delay_alu instid0(SALU_CYCLE_1)
	s_mov_b32 s2, exec_lo
	s_waitcnt lgkmcnt(0)
	s_waitcnt_vscnt null, 0x0
	s_barrier
	buffer_gl0_inv
	v_cmpx_lt_i32_e32 7, v96
	s_cbranch_execz .LBB38_167
; %bb.166:
	v_mul_f64 v[88:89], v[80:81], v[54:55]
	v_mul_f64 v[54:55], v[82:83], v[54:55]
	ds_load_2addr_b64 v[97:100], v90 offset0:16 offset1:17
	ds_load_2addr_b64 v[101:104], v90 offset0:18 offset1:19
	;; [unrolled: 1-line block ×12, first 2 shown]
	v_fma_f64 v[82:83], v[82:83], v[52:53], v[88:89]
	v_fma_f64 v[52:53], v[80:81], v[52:53], -v[54:55]
	s_waitcnt lgkmcnt(11)
	s_delay_alu instid0(VALU_DEP_2)
	v_mul_f64 v[54:55], v[99:100], v[82:83]
	v_mul_f64 v[80:81], v[97:98], v[82:83]
	s_waitcnt lgkmcnt(10)
	v_mul_f64 v[88:89], v[103:104], v[82:83]
	v_mul_f64 v[145:146], v[101:102], v[82:83]
	s_waitcnt lgkmcnt(9)
	;; [unrolled: 3-line block ×11, first 2 shown]
	v_mul_f64 v[183:184], v[143:144], v[82:83]
	v_mul_f64 v[185:186], v[141:142], v[82:83]
	v_fma_f64 v[54:55], v[97:98], v[52:53], -v[54:55]
	v_fma_f64 v[80:81], v[99:100], v[52:53], v[80:81]
	v_fma_f64 v[88:89], v[101:102], v[52:53], -v[88:89]
	v_fma_f64 v[97:98], v[103:104], v[52:53], v[145:146]
	;; [unrolled: 2-line block ×12, first 2 shown]
	v_add_f64 v[48:49], v[48:49], -v[54:55]
	v_add_f64 v[50:51], v[50:51], -v[80:81]
	;; [unrolled: 1-line block ×24, first 2 shown]
	v_dual_mov_b32 v54, v82 :: v_dual_mov_b32 v55, v83
.LBB38_167:
	s_or_b32 exec_lo, exec_lo, s2
	v_lshl_add_u32 v80, v96, 4, v90
	s_barrier
	buffer_gl0_inv
	v_mov_b32_e32 v88, 8
	ds_store_2addr_b64 v80, v[48:49], v[50:51] offset1:1
	s_waitcnt lgkmcnt(0)
	s_barrier
	buffer_gl0_inv
	ds_load_2addr_b64 v[80:83], v90 offset0:16 offset1:17
	s_cmp_lt_i32 s5, 10
	s_cbranch_scc1 .LBB38_170
; %bb.168:
	v_add3_u32 v89, v95, 0, 0x90
	v_mov_b32_e32 v88, 8
	s_mov_b32 s6, 9
	s_set_inst_prefetch_distance 0x1
	.p2align	6
.LBB38_169:                             ; =>This Inner Loop Header: Depth=1
	ds_load_2addr_b64 v[97:100], v89 offset1:1
	s_waitcnt lgkmcnt(1)
	v_cmp_gt_f64_e32 vcc_lo, 0, v[80:81]
	v_xor_b32_e32 v101, 0x80000000, v81
	v_cmp_gt_f64_e64 s2, 0, v[82:83]
	v_xor_b32_e32 v103, 0x80000000, v83
	v_add_nc_u32_e32 v89, 16, v89
	s_waitcnt lgkmcnt(0)
	v_cmp_gt_f64_e64 s3, 0, v[97:98]
	v_mov_b32_e32 v105, v97
	v_dual_mov_b32 v107, v99 :: v_dual_cndmask_b32 v102, v81, v101
	v_xor_b32_e32 v101, 0x80000000, v98
	v_cndmask_b32_e64 v104, v83, v103, s2
	v_xor_b32_e32 v103, 0x80000000, v100
	s_delay_alu instid0(VALU_DEP_3) | instskip(SKIP_2) | instid1(VALU_DEP_2)
	v_cndmask_b32_e64 v106, v98, v101, s3
	v_cmp_gt_f64_e64 s3, 0, v[99:100]
	v_cndmask_b32_e32 v101, v80, v80, vcc_lo
	v_cndmask_b32_e64 v108, v100, v103, s3
	v_cndmask_b32_e64 v103, v82, v82, s2
	s_delay_alu instid0(VALU_DEP_2) | instskip(NEXT) | instid1(VALU_DEP_2)
	v_add_f64 v[105:106], v[105:106], v[107:108]
	v_add_f64 v[101:102], v[101:102], v[103:104]
	s_delay_alu instid0(VALU_DEP_1) | instskip(SKIP_4) | instid1(SALU_CYCLE_1)
	v_cmp_lt_f64_e32 vcc_lo, v[101:102], v[105:106]
	v_dual_cndmask_b32 v82, v82, v99 :: v_dual_cndmask_b32 v81, v81, v98
	v_dual_cndmask_b32 v80, v80, v97 :: v_dual_cndmask_b32 v83, v83, v100
	v_cndmask_b32_e64 v88, v88, s6, vcc_lo
	s_add_i32 s6, s6, 1
	s_cmp_lg_u32 s5, s6
	s_cbranch_scc1 .LBB38_169
.LBB38_170:
	s_set_inst_prefetch_distance 0x2
	s_waitcnt lgkmcnt(0)
	v_cmp_eq_f64_e32 vcc_lo, 0, v[80:81]
	v_cmp_eq_f64_e64 s2, 0, v[82:83]
	s_delay_alu instid0(VALU_DEP_1) | instskip(NEXT) | instid1(SALU_CYCLE_1)
	s_and_b32 s2, vcc_lo, s2
	s_and_saveexec_b32 s3, s2
	s_delay_alu instid0(SALU_CYCLE_1)
	s_xor_b32 s2, exec_lo, s3
; %bb.171:
	v_cmp_ne_u32_e32 vcc_lo, 0, v94
	v_cndmask_b32_e32 v94, 9, v94, vcc_lo
; %bb.172:
	s_and_not1_saveexec_b32 s3, s2
	s_cbranch_execz .LBB38_178
; %bb.173:
	v_cmp_gt_f64_e32 vcc_lo, 0, v[80:81]
	v_cmp_gt_f64_e64 s2, 0, v[82:83]
	v_xor_b32_e32 v89, 0x80000000, v81
	v_xor_b32_e32 v97, 0x80000000, v83
	s_delay_alu instid0(VALU_DEP_2) | instskip(NEXT) | instid1(VALU_DEP_2)
	v_cndmask_b32_e32 v98, v81, v89, vcc_lo
	v_cndmask_b32_e64 v100, v83, v97, s2
	v_cndmask_b32_e32 v97, v80, v80, vcc_lo
	v_cndmask_b32_e64 v99, v82, v82, s2
	s_mov_b32 s2, exec_lo
	s_delay_alu instid0(VALU_DEP_1)
	v_cmpx_ngt_f64_e32 v[97:98], v[99:100]
	s_xor_b32 s2, exec_lo, s2
	s_cbranch_execz .LBB38_175
; %bb.174:
	v_div_scale_f64 v[97:98], null, v[82:83], v[82:83], v[80:81]
	v_div_scale_f64 v[103:104], vcc_lo, v[80:81], v[82:83], v[80:81]
	s_delay_alu instid0(VALU_DEP_2) | instskip(SKIP_2) | instid1(VALU_DEP_1)
	v_rcp_f64_e32 v[99:100], v[97:98]
	s_waitcnt_depctr 0xfff
	v_fma_f64 v[101:102], -v[97:98], v[99:100], 1.0
	v_fma_f64 v[99:100], v[99:100], v[101:102], v[99:100]
	s_delay_alu instid0(VALU_DEP_1) | instskip(NEXT) | instid1(VALU_DEP_1)
	v_fma_f64 v[101:102], -v[97:98], v[99:100], 1.0
	v_fma_f64 v[99:100], v[99:100], v[101:102], v[99:100]
	s_delay_alu instid0(VALU_DEP_1) | instskip(NEXT) | instid1(VALU_DEP_1)
	v_mul_f64 v[101:102], v[103:104], v[99:100]
	v_fma_f64 v[97:98], -v[97:98], v[101:102], v[103:104]
	s_delay_alu instid0(VALU_DEP_1) | instskip(NEXT) | instid1(VALU_DEP_1)
	v_div_fmas_f64 v[97:98], v[97:98], v[99:100], v[101:102]
	v_div_fixup_f64 v[97:98], v[97:98], v[82:83], v[80:81]
	s_delay_alu instid0(VALU_DEP_1) | instskip(NEXT) | instid1(VALU_DEP_1)
	v_fma_f64 v[80:81], v[80:81], v[97:98], v[82:83]
	v_div_scale_f64 v[82:83], null, v[80:81], v[80:81], 1.0
	s_delay_alu instid0(VALU_DEP_1) | instskip(SKIP_2) | instid1(VALU_DEP_1)
	v_rcp_f64_e32 v[99:100], v[82:83]
	s_waitcnt_depctr 0xfff
	v_fma_f64 v[101:102], -v[82:83], v[99:100], 1.0
	v_fma_f64 v[99:100], v[99:100], v[101:102], v[99:100]
	s_delay_alu instid0(VALU_DEP_1) | instskip(NEXT) | instid1(VALU_DEP_1)
	v_fma_f64 v[101:102], -v[82:83], v[99:100], 1.0
	v_fma_f64 v[99:100], v[99:100], v[101:102], v[99:100]
	v_div_scale_f64 v[101:102], vcc_lo, 1.0, v[80:81], 1.0
	s_delay_alu instid0(VALU_DEP_1) | instskip(NEXT) | instid1(VALU_DEP_1)
	v_mul_f64 v[103:104], v[101:102], v[99:100]
	v_fma_f64 v[82:83], -v[82:83], v[103:104], v[101:102]
	s_delay_alu instid0(VALU_DEP_1) | instskip(NEXT) | instid1(VALU_DEP_1)
	v_div_fmas_f64 v[82:83], v[82:83], v[99:100], v[103:104]
	v_div_fixup_f64 v[82:83], v[82:83], v[80:81], 1.0
	s_delay_alu instid0(VALU_DEP_1)
	v_mul_f64 v[80:81], v[97:98], v[82:83]
	v_xor_b32_e32 v83, 0x80000000, v83
.LBB38_175:
	s_and_not1_saveexec_b32 s2, s2
	s_cbranch_execz .LBB38_177
; %bb.176:
	s_delay_alu instid0(VALU_DEP_1) | instskip(SKIP_1) | instid1(VALU_DEP_2)
	v_div_scale_f64 v[97:98], null, v[80:81], v[80:81], v[82:83]
	v_div_scale_f64 v[103:104], vcc_lo, v[82:83], v[80:81], v[82:83]
	v_rcp_f64_e32 v[99:100], v[97:98]
	s_waitcnt_depctr 0xfff
	v_fma_f64 v[101:102], -v[97:98], v[99:100], 1.0
	s_delay_alu instid0(VALU_DEP_1) | instskip(NEXT) | instid1(VALU_DEP_1)
	v_fma_f64 v[99:100], v[99:100], v[101:102], v[99:100]
	v_fma_f64 v[101:102], -v[97:98], v[99:100], 1.0
	s_delay_alu instid0(VALU_DEP_1) | instskip(NEXT) | instid1(VALU_DEP_1)
	v_fma_f64 v[99:100], v[99:100], v[101:102], v[99:100]
	v_mul_f64 v[101:102], v[103:104], v[99:100]
	s_delay_alu instid0(VALU_DEP_1) | instskip(NEXT) | instid1(VALU_DEP_1)
	v_fma_f64 v[97:98], -v[97:98], v[101:102], v[103:104]
	v_div_fmas_f64 v[97:98], v[97:98], v[99:100], v[101:102]
	s_delay_alu instid0(VALU_DEP_1) | instskip(NEXT) | instid1(VALU_DEP_1)
	v_div_fixup_f64 v[97:98], v[97:98], v[80:81], v[82:83]
	v_fma_f64 v[80:81], v[82:83], v[97:98], v[80:81]
	s_delay_alu instid0(VALU_DEP_1) | instskip(NEXT) | instid1(VALU_DEP_1)
	v_div_scale_f64 v[82:83], null, v[80:81], v[80:81], 1.0
	v_rcp_f64_e32 v[99:100], v[82:83]
	s_waitcnt_depctr 0xfff
	v_fma_f64 v[101:102], -v[82:83], v[99:100], 1.0
	s_delay_alu instid0(VALU_DEP_1) | instskip(NEXT) | instid1(VALU_DEP_1)
	v_fma_f64 v[99:100], v[99:100], v[101:102], v[99:100]
	v_fma_f64 v[101:102], -v[82:83], v[99:100], 1.0
	s_delay_alu instid0(VALU_DEP_1) | instskip(SKIP_1) | instid1(VALU_DEP_1)
	v_fma_f64 v[99:100], v[99:100], v[101:102], v[99:100]
	v_div_scale_f64 v[101:102], vcc_lo, 1.0, v[80:81], 1.0
	v_mul_f64 v[103:104], v[101:102], v[99:100]
	s_delay_alu instid0(VALU_DEP_1) | instskip(NEXT) | instid1(VALU_DEP_1)
	v_fma_f64 v[82:83], -v[82:83], v[103:104], v[101:102]
	v_div_fmas_f64 v[82:83], v[82:83], v[99:100], v[103:104]
	s_delay_alu instid0(VALU_DEP_1) | instskip(NEXT) | instid1(VALU_DEP_1)
	v_div_fixup_f64 v[80:81], v[82:83], v[80:81], 1.0
	v_mul_f64 v[82:83], v[97:98], -v[80:81]
.LBB38_177:
	s_or_b32 exec_lo, exec_lo, s2
.LBB38_178:
	s_delay_alu instid0(SALU_CYCLE_1) | instskip(NEXT) | instid1(SALU_CYCLE_1)
	s_or_b32 exec_lo, exec_lo, s3
	s_mov_b32 s2, exec_lo
	v_cmpx_ne_u32_e64 v96, v88
	s_xor_b32 s2, exec_lo, s2
	s_cbranch_execz .LBB38_184
; %bb.179:
	s_mov_b32 s3, exec_lo
	v_cmpx_eq_u32_e32 8, v96
	s_cbranch_execz .LBB38_183
; %bb.180:
	v_cmp_ne_u32_e32 vcc_lo, 8, v88
	s_xor_b32 s6, s4, -1
	s_delay_alu instid0(SALU_CYCLE_1) | instskip(NEXT) | instid1(SALU_CYCLE_1)
	s_and_b32 s7, s6, vcc_lo
	s_and_saveexec_b32 s6, s7
	s_cbranch_execz .LBB38_182
; %bb.181:
	v_ashrrev_i32_e32 v89, 31, v88
	s_delay_alu instid0(VALU_DEP_1) | instskip(NEXT) | instid1(VALU_DEP_1)
	v_lshlrev_b64 v[96:97], 2, v[88:89]
	v_add_co_u32 v96, vcc_lo, v86, v96
	s_delay_alu instid0(VALU_DEP_2)
	v_add_co_ci_u32_e32 v97, vcc_lo, v87, v97, vcc_lo
	s_clause 0x1
	flat_load_b32 v89, v[96:97]
	flat_load_b32 v93, v[86:87] offset:32
	s_waitcnt vmcnt(1) lgkmcnt(1)
	flat_store_b32 v[86:87], v89 offset:32
	s_waitcnt vmcnt(0) lgkmcnt(1)
	flat_store_b32 v[96:97], v93
.LBB38_182:
	s_or_b32 exec_lo, exec_lo, s6
	v_mov_b32_e32 v96, v88
	v_mov_b32_e32 v93, v88
.LBB38_183:
	s_or_b32 exec_lo, exec_lo, s3
.LBB38_184:
	s_and_not1_saveexec_b32 s2, s2
	s_cbranch_execz .LBB38_186
; %bb.185:
	v_mov_b32_e32 v96, 8
	ds_store_2addr_b64 v90, v[44:45], v[46:47] offset0:18 offset1:19
	ds_store_2addr_b64 v90, v[28:29], v[30:31] offset0:20 offset1:21
	;; [unrolled: 1-line block ×11, first 2 shown]
.LBB38_186:
	s_or_b32 exec_lo, exec_lo, s2
	s_delay_alu instid0(SALU_CYCLE_1)
	s_mov_b32 s2, exec_lo
	s_waitcnt lgkmcnt(0)
	s_waitcnt_vscnt null, 0x0
	s_barrier
	buffer_gl0_inv
	v_cmpx_lt_i32_e32 8, v96
	s_cbranch_execz .LBB38_188
; %bb.187:
	v_mul_f64 v[88:89], v[80:81], v[50:51]
	v_mul_f64 v[50:51], v[82:83], v[50:51]
	ds_load_2addr_b64 v[97:100], v90 offset0:18 offset1:19
	ds_load_2addr_b64 v[101:104], v90 offset0:20 offset1:21
	;; [unrolled: 1-line block ×11, first 2 shown]
	v_fma_f64 v[82:83], v[82:83], v[48:49], v[88:89]
	v_fma_f64 v[48:49], v[80:81], v[48:49], -v[50:51]
	s_waitcnt lgkmcnt(10)
	s_delay_alu instid0(VALU_DEP_2)
	v_mul_f64 v[50:51], v[99:100], v[82:83]
	v_mul_f64 v[80:81], v[97:98], v[82:83]
	s_waitcnt lgkmcnt(9)
	v_mul_f64 v[88:89], v[103:104], v[82:83]
	v_mul_f64 v[141:142], v[101:102], v[82:83]
	s_waitcnt lgkmcnt(8)
	;; [unrolled: 3-line block ×10, first 2 shown]
	v_mul_f64 v[175:176], v[139:140], v[82:83]
	v_mul_f64 v[177:178], v[137:138], v[82:83]
	v_fma_f64 v[50:51], v[97:98], v[48:49], -v[50:51]
	v_fma_f64 v[80:81], v[99:100], v[48:49], v[80:81]
	v_fma_f64 v[88:89], v[101:102], v[48:49], -v[88:89]
	v_fma_f64 v[97:98], v[103:104], v[48:49], v[141:142]
	v_fma_f64 v[99:100], v[105:106], v[48:49], -v[143:144]
	v_fma_f64 v[101:102], v[107:108], v[48:49], v[145:146]
	v_fma_f64 v[103:104], v[109:110], v[48:49], -v[147:148]
	v_fma_f64 v[105:106], v[111:112], v[48:49], v[149:150]
	v_fma_f64 v[107:108], v[113:114], v[48:49], -v[151:152]
	v_fma_f64 v[109:110], v[115:116], v[48:49], v[153:154]
	v_fma_f64 v[111:112], v[117:118], v[48:49], -v[155:156]
	v_fma_f64 v[113:114], v[119:120], v[48:49], v[157:158]
	v_fma_f64 v[115:116], v[121:122], v[48:49], -v[159:160]
	v_fma_f64 v[117:118], v[123:124], v[48:49], v[161:162]
	v_fma_f64 v[119:120], v[125:126], v[48:49], -v[163:164]
	v_fma_f64 v[121:122], v[127:128], v[48:49], v[165:166]
	v_fma_f64 v[123:124], v[129:130], v[48:49], -v[167:168]
	v_fma_f64 v[125:126], v[131:132], v[48:49], v[169:170]
	v_fma_f64 v[127:128], v[133:134], v[48:49], -v[171:172]
	v_fma_f64 v[129:130], v[135:136], v[48:49], v[173:174]
	v_fma_f64 v[131:132], v[137:138], v[48:49], -v[175:176]
	v_fma_f64 v[133:134], v[139:140], v[48:49], v[177:178]
	v_add_f64 v[44:45], v[44:45], -v[50:51]
	v_add_f64 v[46:47], v[46:47], -v[80:81]
	;; [unrolled: 1-line block ×22, first 2 shown]
	v_dual_mov_b32 v50, v82 :: v_dual_mov_b32 v51, v83
.LBB38_188:
	s_or_b32 exec_lo, exec_lo, s2
	v_lshl_add_u32 v80, v96, 4, v90
	s_barrier
	buffer_gl0_inv
	v_mov_b32_e32 v88, 9
	ds_store_2addr_b64 v80, v[44:45], v[46:47] offset1:1
	s_waitcnt lgkmcnt(0)
	s_barrier
	buffer_gl0_inv
	ds_load_2addr_b64 v[80:83], v90 offset0:18 offset1:19
	s_cmp_lt_i32 s5, 11
	s_cbranch_scc1 .LBB38_191
; %bb.189:
	v_add3_u32 v89, v95, 0, 0xa0
	v_mov_b32_e32 v88, 9
	s_mov_b32 s6, 10
	s_set_inst_prefetch_distance 0x1
	.p2align	6
.LBB38_190:                             ; =>This Inner Loop Header: Depth=1
	ds_load_2addr_b64 v[97:100], v89 offset1:1
	s_waitcnt lgkmcnt(1)
	v_cmp_gt_f64_e32 vcc_lo, 0, v[80:81]
	v_xor_b32_e32 v101, 0x80000000, v81
	v_cmp_gt_f64_e64 s2, 0, v[82:83]
	v_xor_b32_e32 v103, 0x80000000, v83
	v_add_nc_u32_e32 v89, 16, v89
	s_waitcnt lgkmcnt(0)
	v_cmp_gt_f64_e64 s3, 0, v[97:98]
	v_mov_b32_e32 v105, v97
	v_dual_mov_b32 v107, v99 :: v_dual_cndmask_b32 v102, v81, v101
	v_xor_b32_e32 v101, 0x80000000, v98
	v_cndmask_b32_e64 v104, v83, v103, s2
	v_xor_b32_e32 v103, 0x80000000, v100
	s_delay_alu instid0(VALU_DEP_3) | instskip(SKIP_2) | instid1(VALU_DEP_2)
	v_cndmask_b32_e64 v106, v98, v101, s3
	v_cmp_gt_f64_e64 s3, 0, v[99:100]
	v_cndmask_b32_e32 v101, v80, v80, vcc_lo
	v_cndmask_b32_e64 v108, v100, v103, s3
	v_cndmask_b32_e64 v103, v82, v82, s2
	s_delay_alu instid0(VALU_DEP_2) | instskip(NEXT) | instid1(VALU_DEP_2)
	v_add_f64 v[105:106], v[105:106], v[107:108]
	v_add_f64 v[101:102], v[101:102], v[103:104]
	s_delay_alu instid0(VALU_DEP_1) | instskip(SKIP_4) | instid1(SALU_CYCLE_1)
	v_cmp_lt_f64_e32 vcc_lo, v[101:102], v[105:106]
	v_dual_cndmask_b32 v82, v82, v99 :: v_dual_cndmask_b32 v81, v81, v98
	v_dual_cndmask_b32 v80, v80, v97 :: v_dual_cndmask_b32 v83, v83, v100
	v_cndmask_b32_e64 v88, v88, s6, vcc_lo
	s_add_i32 s6, s6, 1
	s_cmp_lg_u32 s5, s6
	s_cbranch_scc1 .LBB38_190
.LBB38_191:
	s_set_inst_prefetch_distance 0x2
	s_waitcnt lgkmcnt(0)
	v_cmp_eq_f64_e32 vcc_lo, 0, v[80:81]
	v_cmp_eq_f64_e64 s2, 0, v[82:83]
	s_delay_alu instid0(VALU_DEP_1) | instskip(NEXT) | instid1(SALU_CYCLE_1)
	s_and_b32 s2, vcc_lo, s2
	s_and_saveexec_b32 s3, s2
	s_delay_alu instid0(SALU_CYCLE_1)
	s_xor_b32 s2, exec_lo, s3
; %bb.192:
	v_cmp_ne_u32_e32 vcc_lo, 0, v94
	v_cndmask_b32_e32 v94, 10, v94, vcc_lo
; %bb.193:
	s_and_not1_saveexec_b32 s3, s2
	s_cbranch_execz .LBB38_199
; %bb.194:
	v_cmp_gt_f64_e32 vcc_lo, 0, v[80:81]
	v_cmp_gt_f64_e64 s2, 0, v[82:83]
	v_xor_b32_e32 v89, 0x80000000, v81
	v_xor_b32_e32 v97, 0x80000000, v83
	s_delay_alu instid0(VALU_DEP_2) | instskip(NEXT) | instid1(VALU_DEP_2)
	v_cndmask_b32_e32 v98, v81, v89, vcc_lo
	v_cndmask_b32_e64 v100, v83, v97, s2
	v_cndmask_b32_e32 v97, v80, v80, vcc_lo
	v_cndmask_b32_e64 v99, v82, v82, s2
	s_mov_b32 s2, exec_lo
	s_delay_alu instid0(VALU_DEP_1)
	v_cmpx_ngt_f64_e32 v[97:98], v[99:100]
	s_xor_b32 s2, exec_lo, s2
	s_cbranch_execz .LBB38_196
; %bb.195:
	v_div_scale_f64 v[97:98], null, v[82:83], v[82:83], v[80:81]
	v_div_scale_f64 v[103:104], vcc_lo, v[80:81], v[82:83], v[80:81]
	s_delay_alu instid0(VALU_DEP_2) | instskip(SKIP_2) | instid1(VALU_DEP_1)
	v_rcp_f64_e32 v[99:100], v[97:98]
	s_waitcnt_depctr 0xfff
	v_fma_f64 v[101:102], -v[97:98], v[99:100], 1.0
	v_fma_f64 v[99:100], v[99:100], v[101:102], v[99:100]
	s_delay_alu instid0(VALU_DEP_1) | instskip(NEXT) | instid1(VALU_DEP_1)
	v_fma_f64 v[101:102], -v[97:98], v[99:100], 1.0
	v_fma_f64 v[99:100], v[99:100], v[101:102], v[99:100]
	s_delay_alu instid0(VALU_DEP_1) | instskip(NEXT) | instid1(VALU_DEP_1)
	v_mul_f64 v[101:102], v[103:104], v[99:100]
	v_fma_f64 v[97:98], -v[97:98], v[101:102], v[103:104]
	s_delay_alu instid0(VALU_DEP_1) | instskip(NEXT) | instid1(VALU_DEP_1)
	v_div_fmas_f64 v[97:98], v[97:98], v[99:100], v[101:102]
	v_div_fixup_f64 v[97:98], v[97:98], v[82:83], v[80:81]
	s_delay_alu instid0(VALU_DEP_1) | instskip(NEXT) | instid1(VALU_DEP_1)
	v_fma_f64 v[80:81], v[80:81], v[97:98], v[82:83]
	v_div_scale_f64 v[82:83], null, v[80:81], v[80:81], 1.0
	s_delay_alu instid0(VALU_DEP_1) | instskip(SKIP_2) | instid1(VALU_DEP_1)
	v_rcp_f64_e32 v[99:100], v[82:83]
	s_waitcnt_depctr 0xfff
	v_fma_f64 v[101:102], -v[82:83], v[99:100], 1.0
	v_fma_f64 v[99:100], v[99:100], v[101:102], v[99:100]
	s_delay_alu instid0(VALU_DEP_1) | instskip(NEXT) | instid1(VALU_DEP_1)
	v_fma_f64 v[101:102], -v[82:83], v[99:100], 1.0
	v_fma_f64 v[99:100], v[99:100], v[101:102], v[99:100]
	v_div_scale_f64 v[101:102], vcc_lo, 1.0, v[80:81], 1.0
	s_delay_alu instid0(VALU_DEP_1) | instskip(NEXT) | instid1(VALU_DEP_1)
	v_mul_f64 v[103:104], v[101:102], v[99:100]
	v_fma_f64 v[82:83], -v[82:83], v[103:104], v[101:102]
	s_delay_alu instid0(VALU_DEP_1) | instskip(NEXT) | instid1(VALU_DEP_1)
	v_div_fmas_f64 v[82:83], v[82:83], v[99:100], v[103:104]
	v_div_fixup_f64 v[82:83], v[82:83], v[80:81], 1.0
	s_delay_alu instid0(VALU_DEP_1)
	v_mul_f64 v[80:81], v[97:98], v[82:83]
	v_xor_b32_e32 v83, 0x80000000, v83
.LBB38_196:
	s_and_not1_saveexec_b32 s2, s2
	s_cbranch_execz .LBB38_198
; %bb.197:
	s_delay_alu instid0(VALU_DEP_1) | instskip(SKIP_1) | instid1(VALU_DEP_2)
	v_div_scale_f64 v[97:98], null, v[80:81], v[80:81], v[82:83]
	v_div_scale_f64 v[103:104], vcc_lo, v[82:83], v[80:81], v[82:83]
	v_rcp_f64_e32 v[99:100], v[97:98]
	s_waitcnt_depctr 0xfff
	v_fma_f64 v[101:102], -v[97:98], v[99:100], 1.0
	s_delay_alu instid0(VALU_DEP_1) | instskip(NEXT) | instid1(VALU_DEP_1)
	v_fma_f64 v[99:100], v[99:100], v[101:102], v[99:100]
	v_fma_f64 v[101:102], -v[97:98], v[99:100], 1.0
	s_delay_alu instid0(VALU_DEP_1) | instskip(NEXT) | instid1(VALU_DEP_1)
	v_fma_f64 v[99:100], v[99:100], v[101:102], v[99:100]
	v_mul_f64 v[101:102], v[103:104], v[99:100]
	s_delay_alu instid0(VALU_DEP_1) | instskip(NEXT) | instid1(VALU_DEP_1)
	v_fma_f64 v[97:98], -v[97:98], v[101:102], v[103:104]
	v_div_fmas_f64 v[97:98], v[97:98], v[99:100], v[101:102]
	s_delay_alu instid0(VALU_DEP_1) | instskip(NEXT) | instid1(VALU_DEP_1)
	v_div_fixup_f64 v[97:98], v[97:98], v[80:81], v[82:83]
	v_fma_f64 v[80:81], v[82:83], v[97:98], v[80:81]
	s_delay_alu instid0(VALU_DEP_1) | instskip(NEXT) | instid1(VALU_DEP_1)
	v_div_scale_f64 v[82:83], null, v[80:81], v[80:81], 1.0
	v_rcp_f64_e32 v[99:100], v[82:83]
	s_waitcnt_depctr 0xfff
	v_fma_f64 v[101:102], -v[82:83], v[99:100], 1.0
	s_delay_alu instid0(VALU_DEP_1) | instskip(NEXT) | instid1(VALU_DEP_1)
	v_fma_f64 v[99:100], v[99:100], v[101:102], v[99:100]
	v_fma_f64 v[101:102], -v[82:83], v[99:100], 1.0
	s_delay_alu instid0(VALU_DEP_1) | instskip(SKIP_1) | instid1(VALU_DEP_1)
	v_fma_f64 v[99:100], v[99:100], v[101:102], v[99:100]
	v_div_scale_f64 v[101:102], vcc_lo, 1.0, v[80:81], 1.0
	v_mul_f64 v[103:104], v[101:102], v[99:100]
	s_delay_alu instid0(VALU_DEP_1) | instskip(NEXT) | instid1(VALU_DEP_1)
	v_fma_f64 v[82:83], -v[82:83], v[103:104], v[101:102]
	v_div_fmas_f64 v[82:83], v[82:83], v[99:100], v[103:104]
	s_delay_alu instid0(VALU_DEP_1) | instskip(NEXT) | instid1(VALU_DEP_1)
	v_div_fixup_f64 v[80:81], v[82:83], v[80:81], 1.0
	v_mul_f64 v[82:83], v[97:98], -v[80:81]
.LBB38_198:
	s_or_b32 exec_lo, exec_lo, s2
.LBB38_199:
	s_delay_alu instid0(SALU_CYCLE_1) | instskip(NEXT) | instid1(SALU_CYCLE_1)
	s_or_b32 exec_lo, exec_lo, s3
	s_mov_b32 s2, exec_lo
	v_cmpx_ne_u32_e64 v96, v88
	s_xor_b32 s2, exec_lo, s2
	s_cbranch_execz .LBB38_205
; %bb.200:
	s_mov_b32 s3, exec_lo
	v_cmpx_eq_u32_e32 9, v96
	s_cbranch_execz .LBB38_204
; %bb.201:
	v_cmp_ne_u32_e32 vcc_lo, 9, v88
	s_xor_b32 s6, s4, -1
	s_delay_alu instid0(SALU_CYCLE_1) | instskip(NEXT) | instid1(SALU_CYCLE_1)
	s_and_b32 s7, s6, vcc_lo
	s_and_saveexec_b32 s6, s7
	s_cbranch_execz .LBB38_203
; %bb.202:
	v_ashrrev_i32_e32 v89, 31, v88
	s_delay_alu instid0(VALU_DEP_1) | instskip(NEXT) | instid1(VALU_DEP_1)
	v_lshlrev_b64 v[96:97], 2, v[88:89]
	v_add_co_u32 v96, vcc_lo, v86, v96
	s_delay_alu instid0(VALU_DEP_2)
	v_add_co_ci_u32_e32 v97, vcc_lo, v87, v97, vcc_lo
	s_clause 0x1
	flat_load_b32 v89, v[96:97]
	flat_load_b32 v93, v[86:87] offset:36
	s_waitcnt vmcnt(1) lgkmcnt(1)
	flat_store_b32 v[86:87], v89 offset:36
	s_waitcnt vmcnt(0) lgkmcnt(1)
	flat_store_b32 v[96:97], v93
.LBB38_203:
	s_or_b32 exec_lo, exec_lo, s6
	v_mov_b32_e32 v96, v88
	v_mov_b32_e32 v93, v88
.LBB38_204:
	s_or_b32 exec_lo, exec_lo, s3
.LBB38_205:
	s_and_not1_saveexec_b32 s2, s2
	s_cbranch_execz .LBB38_207
; %bb.206:
	v_mov_b32_e32 v96, 9
	ds_store_2addr_b64 v90, v[28:29], v[30:31] offset0:20 offset1:21
	ds_store_2addr_b64 v90, v[24:25], v[26:27] offset0:22 offset1:23
	;; [unrolled: 1-line block ×10, first 2 shown]
.LBB38_207:
	s_or_b32 exec_lo, exec_lo, s2
	s_delay_alu instid0(SALU_CYCLE_1)
	s_mov_b32 s2, exec_lo
	s_waitcnt lgkmcnt(0)
	s_waitcnt_vscnt null, 0x0
	s_barrier
	buffer_gl0_inv
	v_cmpx_lt_i32_e32 9, v96
	s_cbranch_execz .LBB38_209
; %bb.208:
	v_mul_f64 v[88:89], v[80:81], v[46:47]
	v_mul_f64 v[46:47], v[82:83], v[46:47]
	ds_load_2addr_b64 v[97:100], v90 offset0:20 offset1:21
	ds_load_2addr_b64 v[101:104], v90 offset0:22 offset1:23
	ds_load_2addr_b64 v[105:108], v90 offset0:24 offset1:25
	ds_load_2addr_b64 v[109:112], v90 offset0:26 offset1:27
	ds_load_2addr_b64 v[113:116], v90 offset0:28 offset1:29
	ds_load_2addr_b64 v[117:120], v90 offset0:30 offset1:31
	ds_load_2addr_b64 v[121:124], v90 offset0:32 offset1:33
	ds_load_2addr_b64 v[125:128], v90 offset0:34 offset1:35
	ds_load_2addr_b64 v[129:132], v90 offset0:36 offset1:37
	ds_load_2addr_b64 v[133:136], v90 offset0:38 offset1:39
	v_fma_f64 v[82:83], v[82:83], v[44:45], v[88:89]
	v_fma_f64 v[44:45], v[80:81], v[44:45], -v[46:47]
	s_waitcnt lgkmcnt(9)
	s_delay_alu instid0(VALU_DEP_2)
	v_mul_f64 v[46:47], v[99:100], v[82:83]
	v_mul_f64 v[80:81], v[97:98], v[82:83]
	s_waitcnt lgkmcnt(8)
	v_mul_f64 v[88:89], v[103:104], v[82:83]
	v_mul_f64 v[137:138], v[101:102], v[82:83]
	s_waitcnt lgkmcnt(7)
	;; [unrolled: 3-line block ×9, first 2 shown]
	v_mul_f64 v[167:168], v[135:136], v[82:83]
	v_mul_f64 v[169:170], v[133:134], v[82:83]
	v_fma_f64 v[46:47], v[97:98], v[44:45], -v[46:47]
	v_fma_f64 v[80:81], v[99:100], v[44:45], v[80:81]
	v_fma_f64 v[88:89], v[101:102], v[44:45], -v[88:89]
	v_fma_f64 v[97:98], v[103:104], v[44:45], v[137:138]
	;; [unrolled: 2-line block ×10, first 2 shown]
	v_add_f64 v[28:29], v[28:29], -v[46:47]
	v_add_f64 v[30:31], v[30:31], -v[80:81]
	;; [unrolled: 1-line block ×20, first 2 shown]
	v_dual_mov_b32 v46, v82 :: v_dual_mov_b32 v47, v83
.LBB38_209:
	s_or_b32 exec_lo, exec_lo, s2
	v_lshl_add_u32 v80, v96, 4, v90
	s_barrier
	buffer_gl0_inv
	v_mov_b32_e32 v88, 10
	ds_store_2addr_b64 v80, v[28:29], v[30:31] offset1:1
	s_waitcnt lgkmcnt(0)
	s_barrier
	buffer_gl0_inv
	ds_load_2addr_b64 v[80:83], v90 offset0:20 offset1:21
	s_cmp_lt_i32 s5, 12
	s_cbranch_scc1 .LBB38_212
; %bb.210:
	v_add3_u32 v89, v95, 0, 0xb0
	v_mov_b32_e32 v88, 10
	s_mov_b32 s6, 11
	s_set_inst_prefetch_distance 0x1
	.p2align	6
.LBB38_211:                             ; =>This Inner Loop Header: Depth=1
	ds_load_2addr_b64 v[97:100], v89 offset1:1
	s_waitcnt lgkmcnt(1)
	v_cmp_gt_f64_e32 vcc_lo, 0, v[80:81]
	v_xor_b32_e32 v101, 0x80000000, v81
	v_cmp_gt_f64_e64 s2, 0, v[82:83]
	v_xor_b32_e32 v103, 0x80000000, v83
	v_add_nc_u32_e32 v89, 16, v89
	s_waitcnt lgkmcnt(0)
	v_cmp_gt_f64_e64 s3, 0, v[97:98]
	v_mov_b32_e32 v105, v97
	v_dual_mov_b32 v107, v99 :: v_dual_cndmask_b32 v102, v81, v101
	v_xor_b32_e32 v101, 0x80000000, v98
	v_cndmask_b32_e64 v104, v83, v103, s2
	v_xor_b32_e32 v103, 0x80000000, v100
	s_delay_alu instid0(VALU_DEP_3) | instskip(SKIP_2) | instid1(VALU_DEP_2)
	v_cndmask_b32_e64 v106, v98, v101, s3
	v_cmp_gt_f64_e64 s3, 0, v[99:100]
	v_cndmask_b32_e32 v101, v80, v80, vcc_lo
	v_cndmask_b32_e64 v108, v100, v103, s3
	v_cndmask_b32_e64 v103, v82, v82, s2
	s_delay_alu instid0(VALU_DEP_2) | instskip(NEXT) | instid1(VALU_DEP_2)
	v_add_f64 v[105:106], v[105:106], v[107:108]
	v_add_f64 v[101:102], v[101:102], v[103:104]
	s_delay_alu instid0(VALU_DEP_1) | instskip(SKIP_4) | instid1(SALU_CYCLE_1)
	v_cmp_lt_f64_e32 vcc_lo, v[101:102], v[105:106]
	v_dual_cndmask_b32 v82, v82, v99 :: v_dual_cndmask_b32 v81, v81, v98
	v_dual_cndmask_b32 v80, v80, v97 :: v_dual_cndmask_b32 v83, v83, v100
	v_cndmask_b32_e64 v88, v88, s6, vcc_lo
	s_add_i32 s6, s6, 1
	s_cmp_lg_u32 s5, s6
	s_cbranch_scc1 .LBB38_211
.LBB38_212:
	s_set_inst_prefetch_distance 0x2
	s_waitcnt lgkmcnt(0)
	v_cmp_eq_f64_e32 vcc_lo, 0, v[80:81]
	v_cmp_eq_f64_e64 s2, 0, v[82:83]
	s_delay_alu instid0(VALU_DEP_1) | instskip(NEXT) | instid1(SALU_CYCLE_1)
	s_and_b32 s2, vcc_lo, s2
	s_and_saveexec_b32 s3, s2
	s_delay_alu instid0(SALU_CYCLE_1)
	s_xor_b32 s2, exec_lo, s3
; %bb.213:
	v_cmp_ne_u32_e32 vcc_lo, 0, v94
	v_cndmask_b32_e32 v94, 11, v94, vcc_lo
; %bb.214:
	s_and_not1_saveexec_b32 s3, s2
	s_cbranch_execz .LBB38_220
; %bb.215:
	v_cmp_gt_f64_e32 vcc_lo, 0, v[80:81]
	v_cmp_gt_f64_e64 s2, 0, v[82:83]
	v_xor_b32_e32 v89, 0x80000000, v81
	v_xor_b32_e32 v97, 0x80000000, v83
	s_delay_alu instid0(VALU_DEP_2) | instskip(NEXT) | instid1(VALU_DEP_2)
	v_cndmask_b32_e32 v98, v81, v89, vcc_lo
	v_cndmask_b32_e64 v100, v83, v97, s2
	v_cndmask_b32_e32 v97, v80, v80, vcc_lo
	v_cndmask_b32_e64 v99, v82, v82, s2
	s_mov_b32 s2, exec_lo
	s_delay_alu instid0(VALU_DEP_1)
	v_cmpx_ngt_f64_e32 v[97:98], v[99:100]
	s_xor_b32 s2, exec_lo, s2
	s_cbranch_execz .LBB38_217
; %bb.216:
	v_div_scale_f64 v[97:98], null, v[82:83], v[82:83], v[80:81]
	v_div_scale_f64 v[103:104], vcc_lo, v[80:81], v[82:83], v[80:81]
	s_delay_alu instid0(VALU_DEP_2) | instskip(SKIP_2) | instid1(VALU_DEP_1)
	v_rcp_f64_e32 v[99:100], v[97:98]
	s_waitcnt_depctr 0xfff
	v_fma_f64 v[101:102], -v[97:98], v[99:100], 1.0
	v_fma_f64 v[99:100], v[99:100], v[101:102], v[99:100]
	s_delay_alu instid0(VALU_DEP_1) | instskip(NEXT) | instid1(VALU_DEP_1)
	v_fma_f64 v[101:102], -v[97:98], v[99:100], 1.0
	v_fma_f64 v[99:100], v[99:100], v[101:102], v[99:100]
	s_delay_alu instid0(VALU_DEP_1) | instskip(NEXT) | instid1(VALU_DEP_1)
	v_mul_f64 v[101:102], v[103:104], v[99:100]
	v_fma_f64 v[97:98], -v[97:98], v[101:102], v[103:104]
	s_delay_alu instid0(VALU_DEP_1) | instskip(NEXT) | instid1(VALU_DEP_1)
	v_div_fmas_f64 v[97:98], v[97:98], v[99:100], v[101:102]
	v_div_fixup_f64 v[97:98], v[97:98], v[82:83], v[80:81]
	s_delay_alu instid0(VALU_DEP_1) | instskip(NEXT) | instid1(VALU_DEP_1)
	v_fma_f64 v[80:81], v[80:81], v[97:98], v[82:83]
	v_div_scale_f64 v[82:83], null, v[80:81], v[80:81], 1.0
	s_delay_alu instid0(VALU_DEP_1) | instskip(SKIP_2) | instid1(VALU_DEP_1)
	v_rcp_f64_e32 v[99:100], v[82:83]
	s_waitcnt_depctr 0xfff
	v_fma_f64 v[101:102], -v[82:83], v[99:100], 1.0
	v_fma_f64 v[99:100], v[99:100], v[101:102], v[99:100]
	s_delay_alu instid0(VALU_DEP_1) | instskip(NEXT) | instid1(VALU_DEP_1)
	v_fma_f64 v[101:102], -v[82:83], v[99:100], 1.0
	v_fma_f64 v[99:100], v[99:100], v[101:102], v[99:100]
	v_div_scale_f64 v[101:102], vcc_lo, 1.0, v[80:81], 1.0
	s_delay_alu instid0(VALU_DEP_1) | instskip(NEXT) | instid1(VALU_DEP_1)
	v_mul_f64 v[103:104], v[101:102], v[99:100]
	v_fma_f64 v[82:83], -v[82:83], v[103:104], v[101:102]
	s_delay_alu instid0(VALU_DEP_1) | instskip(NEXT) | instid1(VALU_DEP_1)
	v_div_fmas_f64 v[82:83], v[82:83], v[99:100], v[103:104]
	v_div_fixup_f64 v[82:83], v[82:83], v[80:81], 1.0
	s_delay_alu instid0(VALU_DEP_1)
	v_mul_f64 v[80:81], v[97:98], v[82:83]
	v_xor_b32_e32 v83, 0x80000000, v83
.LBB38_217:
	s_and_not1_saveexec_b32 s2, s2
	s_cbranch_execz .LBB38_219
; %bb.218:
	s_delay_alu instid0(VALU_DEP_1) | instskip(SKIP_1) | instid1(VALU_DEP_2)
	v_div_scale_f64 v[97:98], null, v[80:81], v[80:81], v[82:83]
	v_div_scale_f64 v[103:104], vcc_lo, v[82:83], v[80:81], v[82:83]
	v_rcp_f64_e32 v[99:100], v[97:98]
	s_waitcnt_depctr 0xfff
	v_fma_f64 v[101:102], -v[97:98], v[99:100], 1.0
	s_delay_alu instid0(VALU_DEP_1) | instskip(NEXT) | instid1(VALU_DEP_1)
	v_fma_f64 v[99:100], v[99:100], v[101:102], v[99:100]
	v_fma_f64 v[101:102], -v[97:98], v[99:100], 1.0
	s_delay_alu instid0(VALU_DEP_1) | instskip(NEXT) | instid1(VALU_DEP_1)
	v_fma_f64 v[99:100], v[99:100], v[101:102], v[99:100]
	v_mul_f64 v[101:102], v[103:104], v[99:100]
	s_delay_alu instid0(VALU_DEP_1) | instskip(NEXT) | instid1(VALU_DEP_1)
	v_fma_f64 v[97:98], -v[97:98], v[101:102], v[103:104]
	v_div_fmas_f64 v[97:98], v[97:98], v[99:100], v[101:102]
	s_delay_alu instid0(VALU_DEP_1) | instskip(NEXT) | instid1(VALU_DEP_1)
	v_div_fixup_f64 v[97:98], v[97:98], v[80:81], v[82:83]
	v_fma_f64 v[80:81], v[82:83], v[97:98], v[80:81]
	s_delay_alu instid0(VALU_DEP_1) | instskip(NEXT) | instid1(VALU_DEP_1)
	v_div_scale_f64 v[82:83], null, v[80:81], v[80:81], 1.0
	v_rcp_f64_e32 v[99:100], v[82:83]
	s_waitcnt_depctr 0xfff
	v_fma_f64 v[101:102], -v[82:83], v[99:100], 1.0
	s_delay_alu instid0(VALU_DEP_1) | instskip(NEXT) | instid1(VALU_DEP_1)
	v_fma_f64 v[99:100], v[99:100], v[101:102], v[99:100]
	v_fma_f64 v[101:102], -v[82:83], v[99:100], 1.0
	s_delay_alu instid0(VALU_DEP_1) | instskip(SKIP_1) | instid1(VALU_DEP_1)
	v_fma_f64 v[99:100], v[99:100], v[101:102], v[99:100]
	v_div_scale_f64 v[101:102], vcc_lo, 1.0, v[80:81], 1.0
	v_mul_f64 v[103:104], v[101:102], v[99:100]
	s_delay_alu instid0(VALU_DEP_1) | instskip(NEXT) | instid1(VALU_DEP_1)
	v_fma_f64 v[82:83], -v[82:83], v[103:104], v[101:102]
	v_div_fmas_f64 v[82:83], v[82:83], v[99:100], v[103:104]
	s_delay_alu instid0(VALU_DEP_1) | instskip(NEXT) | instid1(VALU_DEP_1)
	v_div_fixup_f64 v[80:81], v[82:83], v[80:81], 1.0
	v_mul_f64 v[82:83], v[97:98], -v[80:81]
.LBB38_219:
	s_or_b32 exec_lo, exec_lo, s2
.LBB38_220:
	s_delay_alu instid0(SALU_CYCLE_1) | instskip(NEXT) | instid1(SALU_CYCLE_1)
	s_or_b32 exec_lo, exec_lo, s3
	s_mov_b32 s2, exec_lo
	v_cmpx_ne_u32_e64 v96, v88
	s_xor_b32 s2, exec_lo, s2
	s_cbranch_execz .LBB38_226
; %bb.221:
	s_mov_b32 s3, exec_lo
	v_cmpx_eq_u32_e32 10, v96
	s_cbranch_execz .LBB38_225
; %bb.222:
	v_cmp_ne_u32_e32 vcc_lo, 10, v88
	s_xor_b32 s6, s4, -1
	s_delay_alu instid0(SALU_CYCLE_1) | instskip(NEXT) | instid1(SALU_CYCLE_1)
	s_and_b32 s7, s6, vcc_lo
	s_and_saveexec_b32 s6, s7
	s_cbranch_execz .LBB38_224
; %bb.223:
	v_ashrrev_i32_e32 v89, 31, v88
	s_delay_alu instid0(VALU_DEP_1) | instskip(NEXT) | instid1(VALU_DEP_1)
	v_lshlrev_b64 v[96:97], 2, v[88:89]
	v_add_co_u32 v96, vcc_lo, v86, v96
	s_delay_alu instid0(VALU_DEP_2)
	v_add_co_ci_u32_e32 v97, vcc_lo, v87, v97, vcc_lo
	s_clause 0x1
	flat_load_b32 v89, v[96:97]
	flat_load_b32 v93, v[86:87] offset:40
	s_waitcnt vmcnt(1) lgkmcnt(1)
	flat_store_b32 v[86:87], v89 offset:40
	s_waitcnt vmcnt(0) lgkmcnt(1)
	flat_store_b32 v[96:97], v93
.LBB38_224:
	s_or_b32 exec_lo, exec_lo, s6
	v_mov_b32_e32 v96, v88
	v_mov_b32_e32 v93, v88
.LBB38_225:
	s_or_b32 exec_lo, exec_lo, s3
.LBB38_226:
	s_and_not1_saveexec_b32 s2, s2
	s_cbranch_execz .LBB38_228
; %bb.227:
	v_mov_b32_e32 v96, 10
	ds_store_2addr_b64 v90, v[24:25], v[26:27] offset0:22 offset1:23
	ds_store_2addr_b64 v90, v[40:41], v[42:43] offset0:24 offset1:25
	ds_store_2addr_b64 v90, v[20:21], v[22:23] offset0:26 offset1:27
	ds_store_2addr_b64 v90, v[32:33], v[34:35] offset0:28 offset1:29
	ds_store_2addr_b64 v90, v[16:17], v[18:19] offset0:30 offset1:31
	ds_store_2addr_b64 v90, v[12:13], v[14:15] offset0:32 offset1:33
	ds_store_2addr_b64 v90, v[8:9], v[10:11] offset0:34 offset1:35
	ds_store_2addr_b64 v90, v[4:5], v[6:7] offset0:36 offset1:37
	ds_store_2addr_b64 v90, v[0:1], v[2:3] offset0:38 offset1:39
.LBB38_228:
	s_or_b32 exec_lo, exec_lo, s2
	s_delay_alu instid0(SALU_CYCLE_1)
	s_mov_b32 s2, exec_lo
	s_waitcnt lgkmcnt(0)
	s_waitcnt_vscnt null, 0x0
	s_barrier
	buffer_gl0_inv
	v_cmpx_lt_i32_e32 10, v96
	s_cbranch_execz .LBB38_230
; %bb.229:
	v_mul_f64 v[88:89], v[80:81], v[30:31]
	v_mul_f64 v[30:31], v[82:83], v[30:31]
	ds_load_2addr_b64 v[97:100], v90 offset0:22 offset1:23
	ds_load_2addr_b64 v[101:104], v90 offset0:24 offset1:25
	;; [unrolled: 1-line block ×9, first 2 shown]
	v_fma_f64 v[82:83], v[82:83], v[28:29], v[88:89]
	v_fma_f64 v[28:29], v[80:81], v[28:29], -v[30:31]
	s_waitcnt lgkmcnt(8)
	s_delay_alu instid0(VALU_DEP_2)
	v_mul_f64 v[30:31], v[99:100], v[82:83]
	v_mul_f64 v[80:81], v[97:98], v[82:83]
	s_waitcnt lgkmcnt(7)
	v_mul_f64 v[88:89], v[103:104], v[82:83]
	v_mul_f64 v[133:134], v[101:102], v[82:83]
	s_waitcnt lgkmcnt(6)
	;; [unrolled: 3-line block ×8, first 2 shown]
	v_mul_f64 v[159:160], v[131:132], v[82:83]
	v_mul_f64 v[161:162], v[129:130], v[82:83]
	v_fma_f64 v[30:31], v[97:98], v[28:29], -v[30:31]
	v_fma_f64 v[80:81], v[99:100], v[28:29], v[80:81]
	v_fma_f64 v[88:89], v[101:102], v[28:29], -v[88:89]
	v_fma_f64 v[97:98], v[103:104], v[28:29], v[133:134]
	;; [unrolled: 2-line block ×9, first 2 shown]
	v_add_f64 v[24:25], v[24:25], -v[30:31]
	v_add_f64 v[26:27], v[26:27], -v[80:81]
	;; [unrolled: 1-line block ×18, first 2 shown]
	v_dual_mov_b32 v30, v82 :: v_dual_mov_b32 v31, v83
.LBB38_230:
	s_or_b32 exec_lo, exec_lo, s2
	v_lshl_add_u32 v80, v96, 4, v90
	s_barrier
	buffer_gl0_inv
	v_mov_b32_e32 v88, 11
	ds_store_2addr_b64 v80, v[24:25], v[26:27] offset1:1
	s_waitcnt lgkmcnt(0)
	s_barrier
	buffer_gl0_inv
	ds_load_2addr_b64 v[80:83], v90 offset0:22 offset1:23
	s_cmp_lt_i32 s5, 13
	s_cbranch_scc1 .LBB38_233
; %bb.231:
	v_add3_u32 v89, v95, 0, 0xc0
	v_mov_b32_e32 v88, 11
	s_mov_b32 s6, 12
	s_set_inst_prefetch_distance 0x1
	.p2align	6
.LBB38_232:                             ; =>This Inner Loop Header: Depth=1
	ds_load_2addr_b64 v[97:100], v89 offset1:1
	s_waitcnt lgkmcnt(1)
	v_cmp_gt_f64_e32 vcc_lo, 0, v[80:81]
	v_xor_b32_e32 v101, 0x80000000, v81
	v_cmp_gt_f64_e64 s2, 0, v[82:83]
	v_xor_b32_e32 v103, 0x80000000, v83
	v_add_nc_u32_e32 v89, 16, v89
	s_waitcnt lgkmcnt(0)
	v_cmp_gt_f64_e64 s3, 0, v[97:98]
	v_mov_b32_e32 v105, v97
	v_dual_mov_b32 v107, v99 :: v_dual_cndmask_b32 v102, v81, v101
	v_xor_b32_e32 v101, 0x80000000, v98
	v_cndmask_b32_e64 v104, v83, v103, s2
	v_xor_b32_e32 v103, 0x80000000, v100
	s_delay_alu instid0(VALU_DEP_3) | instskip(SKIP_2) | instid1(VALU_DEP_2)
	v_cndmask_b32_e64 v106, v98, v101, s3
	v_cmp_gt_f64_e64 s3, 0, v[99:100]
	v_cndmask_b32_e32 v101, v80, v80, vcc_lo
	v_cndmask_b32_e64 v108, v100, v103, s3
	v_cndmask_b32_e64 v103, v82, v82, s2
	s_delay_alu instid0(VALU_DEP_2) | instskip(NEXT) | instid1(VALU_DEP_2)
	v_add_f64 v[105:106], v[105:106], v[107:108]
	v_add_f64 v[101:102], v[101:102], v[103:104]
	s_delay_alu instid0(VALU_DEP_1) | instskip(SKIP_4) | instid1(SALU_CYCLE_1)
	v_cmp_lt_f64_e32 vcc_lo, v[101:102], v[105:106]
	v_dual_cndmask_b32 v82, v82, v99 :: v_dual_cndmask_b32 v81, v81, v98
	v_dual_cndmask_b32 v80, v80, v97 :: v_dual_cndmask_b32 v83, v83, v100
	v_cndmask_b32_e64 v88, v88, s6, vcc_lo
	s_add_i32 s6, s6, 1
	s_cmp_lg_u32 s5, s6
	s_cbranch_scc1 .LBB38_232
.LBB38_233:
	s_set_inst_prefetch_distance 0x2
	s_waitcnt lgkmcnt(0)
	v_cmp_eq_f64_e32 vcc_lo, 0, v[80:81]
	v_cmp_eq_f64_e64 s2, 0, v[82:83]
	s_delay_alu instid0(VALU_DEP_1) | instskip(NEXT) | instid1(SALU_CYCLE_1)
	s_and_b32 s2, vcc_lo, s2
	s_and_saveexec_b32 s3, s2
	s_delay_alu instid0(SALU_CYCLE_1)
	s_xor_b32 s2, exec_lo, s3
; %bb.234:
	v_cmp_ne_u32_e32 vcc_lo, 0, v94
	v_cndmask_b32_e32 v94, 12, v94, vcc_lo
; %bb.235:
	s_and_not1_saveexec_b32 s3, s2
	s_cbranch_execz .LBB38_241
; %bb.236:
	v_cmp_gt_f64_e32 vcc_lo, 0, v[80:81]
	v_cmp_gt_f64_e64 s2, 0, v[82:83]
	v_xor_b32_e32 v89, 0x80000000, v81
	v_xor_b32_e32 v97, 0x80000000, v83
	s_delay_alu instid0(VALU_DEP_2) | instskip(NEXT) | instid1(VALU_DEP_2)
	v_cndmask_b32_e32 v98, v81, v89, vcc_lo
	v_cndmask_b32_e64 v100, v83, v97, s2
	v_cndmask_b32_e32 v97, v80, v80, vcc_lo
	v_cndmask_b32_e64 v99, v82, v82, s2
	s_mov_b32 s2, exec_lo
	s_delay_alu instid0(VALU_DEP_1)
	v_cmpx_ngt_f64_e32 v[97:98], v[99:100]
	s_xor_b32 s2, exec_lo, s2
	s_cbranch_execz .LBB38_238
; %bb.237:
	v_div_scale_f64 v[97:98], null, v[82:83], v[82:83], v[80:81]
	v_div_scale_f64 v[103:104], vcc_lo, v[80:81], v[82:83], v[80:81]
	s_delay_alu instid0(VALU_DEP_2) | instskip(SKIP_2) | instid1(VALU_DEP_1)
	v_rcp_f64_e32 v[99:100], v[97:98]
	s_waitcnt_depctr 0xfff
	v_fma_f64 v[101:102], -v[97:98], v[99:100], 1.0
	v_fma_f64 v[99:100], v[99:100], v[101:102], v[99:100]
	s_delay_alu instid0(VALU_DEP_1) | instskip(NEXT) | instid1(VALU_DEP_1)
	v_fma_f64 v[101:102], -v[97:98], v[99:100], 1.0
	v_fma_f64 v[99:100], v[99:100], v[101:102], v[99:100]
	s_delay_alu instid0(VALU_DEP_1) | instskip(NEXT) | instid1(VALU_DEP_1)
	v_mul_f64 v[101:102], v[103:104], v[99:100]
	v_fma_f64 v[97:98], -v[97:98], v[101:102], v[103:104]
	s_delay_alu instid0(VALU_DEP_1) | instskip(NEXT) | instid1(VALU_DEP_1)
	v_div_fmas_f64 v[97:98], v[97:98], v[99:100], v[101:102]
	v_div_fixup_f64 v[97:98], v[97:98], v[82:83], v[80:81]
	s_delay_alu instid0(VALU_DEP_1) | instskip(NEXT) | instid1(VALU_DEP_1)
	v_fma_f64 v[80:81], v[80:81], v[97:98], v[82:83]
	v_div_scale_f64 v[82:83], null, v[80:81], v[80:81], 1.0
	s_delay_alu instid0(VALU_DEP_1) | instskip(SKIP_2) | instid1(VALU_DEP_1)
	v_rcp_f64_e32 v[99:100], v[82:83]
	s_waitcnt_depctr 0xfff
	v_fma_f64 v[101:102], -v[82:83], v[99:100], 1.0
	v_fma_f64 v[99:100], v[99:100], v[101:102], v[99:100]
	s_delay_alu instid0(VALU_DEP_1) | instskip(NEXT) | instid1(VALU_DEP_1)
	v_fma_f64 v[101:102], -v[82:83], v[99:100], 1.0
	v_fma_f64 v[99:100], v[99:100], v[101:102], v[99:100]
	v_div_scale_f64 v[101:102], vcc_lo, 1.0, v[80:81], 1.0
	s_delay_alu instid0(VALU_DEP_1) | instskip(NEXT) | instid1(VALU_DEP_1)
	v_mul_f64 v[103:104], v[101:102], v[99:100]
	v_fma_f64 v[82:83], -v[82:83], v[103:104], v[101:102]
	s_delay_alu instid0(VALU_DEP_1) | instskip(NEXT) | instid1(VALU_DEP_1)
	v_div_fmas_f64 v[82:83], v[82:83], v[99:100], v[103:104]
	v_div_fixup_f64 v[82:83], v[82:83], v[80:81], 1.0
	s_delay_alu instid0(VALU_DEP_1)
	v_mul_f64 v[80:81], v[97:98], v[82:83]
	v_xor_b32_e32 v83, 0x80000000, v83
.LBB38_238:
	s_and_not1_saveexec_b32 s2, s2
	s_cbranch_execz .LBB38_240
; %bb.239:
	s_delay_alu instid0(VALU_DEP_1) | instskip(SKIP_1) | instid1(VALU_DEP_2)
	v_div_scale_f64 v[97:98], null, v[80:81], v[80:81], v[82:83]
	v_div_scale_f64 v[103:104], vcc_lo, v[82:83], v[80:81], v[82:83]
	v_rcp_f64_e32 v[99:100], v[97:98]
	s_waitcnt_depctr 0xfff
	v_fma_f64 v[101:102], -v[97:98], v[99:100], 1.0
	s_delay_alu instid0(VALU_DEP_1) | instskip(NEXT) | instid1(VALU_DEP_1)
	v_fma_f64 v[99:100], v[99:100], v[101:102], v[99:100]
	v_fma_f64 v[101:102], -v[97:98], v[99:100], 1.0
	s_delay_alu instid0(VALU_DEP_1) | instskip(NEXT) | instid1(VALU_DEP_1)
	v_fma_f64 v[99:100], v[99:100], v[101:102], v[99:100]
	v_mul_f64 v[101:102], v[103:104], v[99:100]
	s_delay_alu instid0(VALU_DEP_1) | instskip(NEXT) | instid1(VALU_DEP_1)
	v_fma_f64 v[97:98], -v[97:98], v[101:102], v[103:104]
	v_div_fmas_f64 v[97:98], v[97:98], v[99:100], v[101:102]
	s_delay_alu instid0(VALU_DEP_1) | instskip(NEXT) | instid1(VALU_DEP_1)
	v_div_fixup_f64 v[97:98], v[97:98], v[80:81], v[82:83]
	v_fma_f64 v[80:81], v[82:83], v[97:98], v[80:81]
	s_delay_alu instid0(VALU_DEP_1) | instskip(NEXT) | instid1(VALU_DEP_1)
	v_div_scale_f64 v[82:83], null, v[80:81], v[80:81], 1.0
	v_rcp_f64_e32 v[99:100], v[82:83]
	s_waitcnt_depctr 0xfff
	v_fma_f64 v[101:102], -v[82:83], v[99:100], 1.0
	s_delay_alu instid0(VALU_DEP_1) | instskip(NEXT) | instid1(VALU_DEP_1)
	v_fma_f64 v[99:100], v[99:100], v[101:102], v[99:100]
	v_fma_f64 v[101:102], -v[82:83], v[99:100], 1.0
	s_delay_alu instid0(VALU_DEP_1) | instskip(SKIP_1) | instid1(VALU_DEP_1)
	v_fma_f64 v[99:100], v[99:100], v[101:102], v[99:100]
	v_div_scale_f64 v[101:102], vcc_lo, 1.0, v[80:81], 1.0
	v_mul_f64 v[103:104], v[101:102], v[99:100]
	s_delay_alu instid0(VALU_DEP_1) | instskip(NEXT) | instid1(VALU_DEP_1)
	v_fma_f64 v[82:83], -v[82:83], v[103:104], v[101:102]
	v_div_fmas_f64 v[82:83], v[82:83], v[99:100], v[103:104]
	s_delay_alu instid0(VALU_DEP_1) | instskip(NEXT) | instid1(VALU_DEP_1)
	v_div_fixup_f64 v[80:81], v[82:83], v[80:81], 1.0
	v_mul_f64 v[82:83], v[97:98], -v[80:81]
.LBB38_240:
	s_or_b32 exec_lo, exec_lo, s2
.LBB38_241:
	s_delay_alu instid0(SALU_CYCLE_1) | instskip(NEXT) | instid1(SALU_CYCLE_1)
	s_or_b32 exec_lo, exec_lo, s3
	s_mov_b32 s2, exec_lo
	v_cmpx_ne_u32_e64 v96, v88
	s_xor_b32 s2, exec_lo, s2
	s_cbranch_execz .LBB38_247
; %bb.242:
	s_mov_b32 s3, exec_lo
	v_cmpx_eq_u32_e32 11, v96
	s_cbranch_execz .LBB38_246
; %bb.243:
	v_cmp_ne_u32_e32 vcc_lo, 11, v88
	s_xor_b32 s6, s4, -1
	s_delay_alu instid0(SALU_CYCLE_1) | instskip(NEXT) | instid1(SALU_CYCLE_1)
	s_and_b32 s7, s6, vcc_lo
	s_and_saveexec_b32 s6, s7
	s_cbranch_execz .LBB38_245
; %bb.244:
	v_ashrrev_i32_e32 v89, 31, v88
	s_delay_alu instid0(VALU_DEP_1) | instskip(NEXT) | instid1(VALU_DEP_1)
	v_lshlrev_b64 v[96:97], 2, v[88:89]
	v_add_co_u32 v96, vcc_lo, v86, v96
	s_delay_alu instid0(VALU_DEP_2)
	v_add_co_ci_u32_e32 v97, vcc_lo, v87, v97, vcc_lo
	s_clause 0x1
	flat_load_b32 v89, v[96:97]
	flat_load_b32 v93, v[86:87] offset:44
	s_waitcnt vmcnt(1) lgkmcnt(1)
	flat_store_b32 v[86:87], v89 offset:44
	s_waitcnt vmcnt(0) lgkmcnt(1)
	flat_store_b32 v[96:97], v93
.LBB38_245:
	s_or_b32 exec_lo, exec_lo, s6
	v_mov_b32_e32 v96, v88
	v_mov_b32_e32 v93, v88
.LBB38_246:
	s_or_b32 exec_lo, exec_lo, s3
.LBB38_247:
	s_and_not1_saveexec_b32 s2, s2
	s_cbranch_execz .LBB38_249
; %bb.248:
	v_mov_b32_e32 v96, 11
	ds_store_2addr_b64 v90, v[40:41], v[42:43] offset0:24 offset1:25
	ds_store_2addr_b64 v90, v[20:21], v[22:23] offset0:26 offset1:27
	;; [unrolled: 1-line block ×8, first 2 shown]
.LBB38_249:
	s_or_b32 exec_lo, exec_lo, s2
	s_delay_alu instid0(SALU_CYCLE_1)
	s_mov_b32 s2, exec_lo
	s_waitcnt lgkmcnt(0)
	s_waitcnt_vscnt null, 0x0
	s_barrier
	buffer_gl0_inv
	v_cmpx_lt_i32_e32 11, v96
	s_cbranch_execz .LBB38_251
; %bb.250:
	v_mul_f64 v[88:89], v[80:81], v[26:27]
	v_mul_f64 v[26:27], v[82:83], v[26:27]
	ds_load_2addr_b64 v[97:100], v90 offset0:24 offset1:25
	ds_load_2addr_b64 v[101:104], v90 offset0:26 offset1:27
	;; [unrolled: 1-line block ×8, first 2 shown]
	v_fma_f64 v[82:83], v[82:83], v[24:25], v[88:89]
	v_fma_f64 v[24:25], v[80:81], v[24:25], -v[26:27]
	s_waitcnt lgkmcnt(7)
	s_delay_alu instid0(VALU_DEP_2)
	v_mul_f64 v[26:27], v[99:100], v[82:83]
	v_mul_f64 v[80:81], v[97:98], v[82:83]
	s_waitcnt lgkmcnt(6)
	v_mul_f64 v[88:89], v[103:104], v[82:83]
	v_mul_f64 v[129:130], v[101:102], v[82:83]
	s_waitcnt lgkmcnt(5)
	;; [unrolled: 3-line block ×7, first 2 shown]
	v_mul_f64 v[151:152], v[127:128], v[82:83]
	v_mul_f64 v[153:154], v[125:126], v[82:83]
	v_fma_f64 v[26:27], v[97:98], v[24:25], -v[26:27]
	v_fma_f64 v[80:81], v[99:100], v[24:25], v[80:81]
	v_fma_f64 v[88:89], v[101:102], v[24:25], -v[88:89]
	v_fma_f64 v[97:98], v[103:104], v[24:25], v[129:130]
	;; [unrolled: 2-line block ×8, first 2 shown]
	v_add_f64 v[40:41], v[40:41], -v[26:27]
	v_add_f64 v[42:43], v[42:43], -v[80:81]
	;; [unrolled: 1-line block ×16, first 2 shown]
	v_dual_mov_b32 v26, v82 :: v_dual_mov_b32 v27, v83
.LBB38_251:
	s_or_b32 exec_lo, exec_lo, s2
	v_lshl_add_u32 v80, v96, 4, v90
	s_barrier
	buffer_gl0_inv
	v_mov_b32_e32 v88, 12
	ds_store_2addr_b64 v80, v[40:41], v[42:43] offset1:1
	s_waitcnt lgkmcnt(0)
	s_barrier
	buffer_gl0_inv
	ds_load_2addr_b64 v[80:83], v90 offset0:24 offset1:25
	s_cmp_lt_i32 s5, 14
	s_cbranch_scc1 .LBB38_254
; %bb.252:
	v_add3_u32 v89, v95, 0, 0xd0
	v_mov_b32_e32 v88, 12
	s_mov_b32 s6, 13
	s_set_inst_prefetch_distance 0x1
	.p2align	6
.LBB38_253:                             ; =>This Inner Loop Header: Depth=1
	ds_load_2addr_b64 v[97:100], v89 offset1:1
	s_waitcnt lgkmcnt(1)
	v_cmp_gt_f64_e32 vcc_lo, 0, v[80:81]
	v_xor_b32_e32 v101, 0x80000000, v81
	v_cmp_gt_f64_e64 s2, 0, v[82:83]
	v_xor_b32_e32 v103, 0x80000000, v83
	v_add_nc_u32_e32 v89, 16, v89
	s_waitcnt lgkmcnt(0)
	v_cmp_gt_f64_e64 s3, 0, v[97:98]
	v_mov_b32_e32 v105, v97
	v_dual_mov_b32 v107, v99 :: v_dual_cndmask_b32 v102, v81, v101
	v_xor_b32_e32 v101, 0x80000000, v98
	v_cndmask_b32_e64 v104, v83, v103, s2
	v_xor_b32_e32 v103, 0x80000000, v100
	s_delay_alu instid0(VALU_DEP_3) | instskip(SKIP_2) | instid1(VALU_DEP_2)
	v_cndmask_b32_e64 v106, v98, v101, s3
	v_cmp_gt_f64_e64 s3, 0, v[99:100]
	v_cndmask_b32_e32 v101, v80, v80, vcc_lo
	v_cndmask_b32_e64 v108, v100, v103, s3
	v_cndmask_b32_e64 v103, v82, v82, s2
	s_delay_alu instid0(VALU_DEP_2) | instskip(NEXT) | instid1(VALU_DEP_2)
	v_add_f64 v[105:106], v[105:106], v[107:108]
	v_add_f64 v[101:102], v[101:102], v[103:104]
	s_delay_alu instid0(VALU_DEP_1) | instskip(SKIP_4) | instid1(SALU_CYCLE_1)
	v_cmp_lt_f64_e32 vcc_lo, v[101:102], v[105:106]
	v_dual_cndmask_b32 v82, v82, v99 :: v_dual_cndmask_b32 v81, v81, v98
	v_dual_cndmask_b32 v80, v80, v97 :: v_dual_cndmask_b32 v83, v83, v100
	v_cndmask_b32_e64 v88, v88, s6, vcc_lo
	s_add_i32 s6, s6, 1
	s_cmp_lg_u32 s5, s6
	s_cbranch_scc1 .LBB38_253
.LBB38_254:
	s_set_inst_prefetch_distance 0x2
	s_waitcnt lgkmcnt(0)
	v_cmp_eq_f64_e32 vcc_lo, 0, v[80:81]
	v_cmp_eq_f64_e64 s2, 0, v[82:83]
	s_delay_alu instid0(VALU_DEP_1) | instskip(NEXT) | instid1(SALU_CYCLE_1)
	s_and_b32 s2, vcc_lo, s2
	s_and_saveexec_b32 s3, s2
	s_delay_alu instid0(SALU_CYCLE_1)
	s_xor_b32 s2, exec_lo, s3
; %bb.255:
	v_cmp_ne_u32_e32 vcc_lo, 0, v94
	v_cndmask_b32_e32 v94, 13, v94, vcc_lo
; %bb.256:
	s_and_not1_saveexec_b32 s3, s2
	s_cbranch_execz .LBB38_262
; %bb.257:
	v_cmp_gt_f64_e32 vcc_lo, 0, v[80:81]
	v_cmp_gt_f64_e64 s2, 0, v[82:83]
	v_xor_b32_e32 v89, 0x80000000, v81
	v_xor_b32_e32 v97, 0x80000000, v83
	s_delay_alu instid0(VALU_DEP_2) | instskip(NEXT) | instid1(VALU_DEP_2)
	v_cndmask_b32_e32 v98, v81, v89, vcc_lo
	v_cndmask_b32_e64 v100, v83, v97, s2
	v_cndmask_b32_e32 v97, v80, v80, vcc_lo
	v_cndmask_b32_e64 v99, v82, v82, s2
	s_mov_b32 s2, exec_lo
	s_delay_alu instid0(VALU_DEP_1)
	v_cmpx_ngt_f64_e32 v[97:98], v[99:100]
	s_xor_b32 s2, exec_lo, s2
	s_cbranch_execz .LBB38_259
; %bb.258:
	v_div_scale_f64 v[97:98], null, v[82:83], v[82:83], v[80:81]
	v_div_scale_f64 v[103:104], vcc_lo, v[80:81], v[82:83], v[80:81]
	s_delay_alu instid0(VALU_DEP_2) | instskip(SKIP_2) | instid1(VALU_DEP_1)
	v_rcp_f64_e32 v[99:100], v[97:98]
	s_waitcnt_depctr 0xfff
	v_fma_f64 v[101:102], -v[97:98], v[99:100], 1.0
	v_fma_f64 v[99:100], v[99:100], v[101:102], v[99:100]
	s_delay_alu instid0(VALU_DEP_1) | instskip(NEXT) | instid1(VALU_DEP_1)
	v_fma_f64 v[101:102], -v[97:98], v[99:100], 1.0
	v_fma_f64 v[99:100], v[99:100], v[101:102], v[99:100]
	s_delay_alu instid0(VALU_DEP_1) | instskip(NEXT) | instid1(VALU_DEP_1)
	v_mul_f64 v[101:102], v[103:104], v[99:100]
	v_fma_f64 v[97:98], -v[97:98], v[101:102], v[103:104]
	s_delay_alu instid0(VALU_DEP_1) | instskip(NEXT) | instid1(VALU_DEP_1)
	v_div_fmas_f64 v[97:98], v[97:98], v[99:100], v[101:102]
	v_div_fixup_f64 v[97:98], v[97:98], v[82:83], v[80:81]
	s_delay_alu instid0(VALU_DEP_1) | instskip(NEXT) | instid1(VALU_DEP_1)
	v_fma_f64 v[80:81], v[80:81], v[97:98], v[82:83]
	v_div_scale_f64 v[82:83], null, v[80:81], v[80:81], 1.0
	s_delay_alu instid0(VALU_DEP_1) | instskip(SKIP_2) | instid1(VALU_DEP_1)
	v_rcp_f64_e32 v[99:100], v[82:83]
	s_waitcnt_depctr 0xfff
	v_fma_f64 v[101:102], -v[82:83], v[99:100], 1.0
	v_fma_f64 v[99:100], v[99:100], v[101:102], v[99:100]
	s_delay_alu instid0(VALU_DEP_1) | instskip(NEXT) | instid1(VALU_DEP_1)
	v_fma_f64 v[101:102], -v[82:83], v[99:100], 1.0
	v_fma_f64 v[99:100], v[99:100], v[101:102], v[99:100]
	v_div_scale_f64 v[101:102], vcc_lo, 1.0, v[80:81], 1.0
	s_delay_alu instid0(VALU_DEP_1) | instskip(NEXT) | instid1(VALU_DEP_1)
	v_mul_f64 v[103:104], v[101:102], v[99:100]
	v_fma_f64 v[82:83], -v[82:83], v[103:104], v[101:102]
	s_delay_alu instid0(VALU_DEP_1) | instskip(NEXT) | instid1(VALU_DEP_1)
	v_div_fmas_f64 v[82:83], v[82:83], v[99:100], v[103:104]
	v_div_fixup_f64 v[82:83], v[82:83], v[80:81], 1.0
	s_delay_alu instid0(VALU_DEP_1)
	v_mul_f64 v[80:81], v[97:98], v[82:83]
	v_xor_b32_e32 v83, 0x80000000, v83
.LBB38_259:
	s_and_not1_saveexec_b32 s2, s2
	s_cbranch_execz .LBB38_261
; %bb.260:
	s_delay_alu instid0(VALU_DEP_1) | instskip(SKIP_1) | instid1(VALU_DEP_2)
	v_div_scale_f64 v[97:98], null, v[80:81], v[80:81], v[82:83]
	v_div_scale_f64 v[103:104], vcc_lo, v[82:83], v[80:81], v[82:83]
	v_rcp_f64_e32 v[99:100], v[97:98]
	s_waitcnt_depctr 0xfff
	v_fma_f64 v[101:102], -v[97:98], v[99:100], 1.0
	s_delay_alu instid0(VALU_DEP_1) | instskip(NEXT) | instid1(VALU_DEP_1)
	v_fma_f64 v[99:100], v[99:100], v[101:102], v[99:100]
	v_fma_f64 v[101:102], -v[97:98], v[99:100], 1.0
	s_delay_alu instid0(VALU_DEP_1) | instskip(NEXT) | instid1(VALU_DEP_1)
	v_fma_f64 v[99:100], v[99:100], v[101:102], v[99:100]
	v_mul_f64 v[101:102], v[103:104], v[99:100]
	s_delay_alu instid0(VALU_DEP_1) | instskip(NEXT) | instid1(VALU_DEP_1)
	v_fma_f64 v[97:98], -v[97:98], v[101:102], v[103:104]
	v_div_fmas_f64 v[97:98], v[97:98], v[99:100], v[101:102]
	s_delay_alu instid0(VALU_DEP_1) | instskip(NEXT) | instid1(VALU_DEP_1)
	v_div_fixup_f64 v[97:98], v[97:98], v[80:81], v[82:83]
	v_fma_f64 v[80:81], v[82:83], v[97:98], v[80:81]
	s_delay_alu instid0(VALU_DEP_1) | instskip(NEXT) | instid1(VALU_DEP_1)
	v_div_scale_f64 v[82:83], null, v[80:81], v[80:81], 1.0
	v_rcp_f64_e32 v[99:100], v[82:83]
	s_waitcnt_depctr 0xfff
	v_fma_f64 v[101:102], -v[82:83], v[99:100], 1.0
	s_delay_alu instid0(VALU_DEP_1) | instskip(NEXT) | instid1(VALU_DEP_1)
	v_fma_f64 v[99:100], v[99:100], v[101:102], v[99:100]
	v_fma_f64 v[101:102], -v[82:83], v[99:100], 1.0
	s_delay_alu instid0(VALU_DEP_1) | instskip(SKIP_1) | instid1(VALU_DEP_1)
	v_fma_f64 v[99:100], v[99:100], v[101:102], v[99:100]
	v_div_scale_f64 v[101:102], vcc_lo, 1.0, v[80:81], 1.0
	v_mul_f64 v[103:104], v[101:102], v[99:100]
	s_delay_alu instid0(VALU_DEP_1) | instskip(NEXT) | instid1(VALU_DEP_1)
	v_fma_f64 v[82:83], -v[82:83], v[103:104], v[101:102]
	v_div_fmas_f64 v[82:83], v[82:83], v[99:100], v[103:104]
	s_delay_alu instid0(VALU_DEP_1) | instskip(NEXT) | instid1(VALU_DEP_1)
	v_div_fixup_f64 v[80:81], v[82:83], v[80:81], 1.0
	v_mul_f64 v[82:83], v[97:98], -v[80:81]
.LBB38_261:
	s_or_b32 exec_lo, exec_lo, s2
.LBB38_262:
	s_delay_alu instid0(SALU_CYCLE_1) | instskip(NEXT) | instid1(SALU_CYCLE_1)
	s_or_b32 exec_lo, exec_lo, s3
	s_mov_b32 s2, exec_lo
	v_cmpx_ne_u32_e64 v96, v88
	s_xor_b32 s2, exec_lo, s2
	s_cbranch_execz .LBB38_268
; %bb.263:
	s_mov_b32 s3, exec_lo
	v_cmpx_eq_u32_e32 12, v96
	s_cbranch_execz .LBB38_267
; %bb.264:
	v_cmp_ne_u32_e32 vcc_lo, 12, v88
	s_xor_b32 s6, s4, -1
	s_delay_alu instid0(SALU_CYCLE_1) | instskip(NEXT) | instid1(SALU_CYCLE_1)
	s_and_b32 s7, s6, vcc_lo
	s_and_saveexec_b32 s6, s7
	s_cbranch_execz .LBB38_266
; %bb.265:
	v_ashrrev_i32_e32 v89, 31, v88
	s_delay_alu instid0(VALU_DEP_1) | instskip(NEXT) | instid1(VALU_DEP_1)
	v_lshlrev_b64 v[96:97], 2, v[88:89]
	v_add_co_u32 v96, vcc_lo, v86, v96
	s_delay_alu instid0(VALU_DEP_2)
	v_add_co_ci_u32_e32 v97, vcc_lo, v87, v97, vcc_lo
	s_clause 0x1
	flat_load_b32 v89, v[96:97]
	flat_load_b32 v93, v[86:87] offset:48
	s_waitcnt vmcnt(1) lgkmcnt(1)
	flat_store_b32 v[86:87], v89 offset:48
	s_waitcnt vmcnt(0) lgkmcnt(1)
	flat_store_b32 v[96:97], v93
.LBB38_266:
	s_or_b32 exec_lo, exec_lo, s6
	v_mov_b32_e32 v96, v88
	v_mov_b32_e32 v93, v88
.LBB38_267:
	s_or_b32 exec_lo, exec_lo, s3
.LBB38_268:
	s_and_not1_saveexec_b32 s2, s2
	s_cbranch_execz .LBB38_270
; %bb.269:
	v_mov_b32_e32 v96, 12
	ds_store_2addr_b64 v90, v[20:21], v[22:23] offset0:26 offset1:27
	ds_store_2addr_b64 v90, v[32:33], v[34:35] offset0:28 offset1:29
	;; [unrolled: 1-line block ×7, first 2 shown]
.LBB38_270:
	s_or_b32 exec_lo, exec_lo, s2
	s_delay_alu instid0(SALU_CYCLE_1)
	s_mov_b32 s2, exec_lo
	s_waitcnt lgkmcnt(0)
	s_waitcnt_vscnt null, 0x0
	s_barrier
	buffer_gl0_inv
	v_cmpx_lt_i32_e32 12, v96
	s_cbranch_execz .LBB38_272
; %bb.271:
	v_mul_f64 v[88:89], v[80:81], v[42:43]
	v_mul_f64 v[42:43], v[82:83], v[42:43]
	ds_load_2addr_b64 v[97:100], v90 offset0:26 offset1:27
	ds_load_2addr_b64 v[101:104], v90 offset0:28 offset1:29
	;; [unrolled: 1-line block ×7, first 2 shown]
	v_fma_f64 v[82:83], v[82:83], v[40:41], v[88:89]
	v_fma_f64 v[40:41], v[80:81], v[40:41], -v[42:43]
	s_waitcnt lgkmcnt(6)
	s_delay_alu instid0(VALU_DEP_2)
	v_mul_f64 v[42:43], v[99:100], v[82:83]
	v_mul_f64 v[80:81], v[97:98], v[82:83]
	s_waitcnt lgkmcnt(5)
	v_mul_f64 v[88:89], v[103:104], v[82:83]
	v_mul_f64 v[125:126], v[101:102], v[82:83]
	s_waitcnt lgkmcnt(4)
	;; [unrolled: 3-line block ×6, first 2 shown]
	v_mul_f64 v[143:144], v[123:124], v[82:83]
	v_mul_f64 v[145:146], v[121:122], v[82:83]
	v_fma_f64 v[42:43], v[97:98], v[40:41], -v[42:43]
	v_fma_f64 v[80:81], v[99:100], v[40:41], v[80:81]
	v_fma_f64 v[88:89], v[101:102], v[40:41], -v[88:89]
	v_fma_f64 v[97:98], v[103:104], v[40:41], v[125:126]
	;; [unrolled: 2-line block ×7, first 2 shown]
	v_add_f64 v[20:21], v[20:21], -v[42:43]
	v_add_f64 v[22:23], v[22:23], -v[80:81]
	;; [unrolled: 1-line block ×14, first 2 shown]
	v_dual_mov_b32 v42, v82 :: v_dual_mov_b32 v43, v83
.LBB38_272:
	s_or_b32 exec_lo, exec_lo, s2
	v_lshl_add_u32 v80, v96, 4, v90
	s_barrier
	buffer_gl0_inv
	v_mov_b32_e32 v88, 13
	ds_store_2addr_b64 v80, v[20:21], v[22:23] offset1:1
	s_waitcnt lgkmcnt(0)
	s_barrier
	buffer_gl0_inv
	ds_load_2addr_b64 v[80:83], v90 offset0:26 offset1:27
	s_cmp_lt_i32 s5, 15
	s_cbranch_scc1 .LBB38_275
; %bb.273:
	v_add3_u32 v89, v95, 0, 0xe0
	v_mov_b32_e32 v88, 13
	s_mov_b32 s6, 14
	s_set_inst_prefetch_distance 0x1
	.p2align	6
.LBB38_274:                             ; =>This Inner Loop Header: Depth=1
	ds_load_2addr_b64 v[97:100], v89 offset1:1
	s_waitcnt lgkmcnt(1)
	v_cmp_gt_f64_e32 vcc_lo, 0, v[80:81]
	v_xor_b32_e32 v101, 0x80000000, v81
	v_cmp_gt_f64_e64 s2, 0, v[82:83]
	v_xor_b32_e32 v103, 0x80000000, v83
	v_add_nc_u32_e32 v89, 16, v89
	s_waitcnt lgkmcnt(0)
	v_cmp_gt_f64_e64 s3, 0, v[97:98]
	v_mov_b32_e32 v105, v97
	v_dual_mov_b32 v107, v99 :: v_dual_cndmask_b32 v102, v81, v101
	v_xor_b32_e32 v101, 0x80000000, v98
	v_cndmask_b32_e64 v104, v83, v103, s2
	v_xor_b32_e32 v103, 0x80000000, v100
	s_delay_alu instid0(VALU_DEP_3) | instskip(SKIP_2) | instid1(VALU_DEP_2)
	v_cndmask_b32_e64 v106, v98, v101, s3
	v_cmp_gt_f64_e64 s3, 0, v[99:100]
	v_cndmask_b32_e32 v101, v80, v80, vcc_lo
	v_cndmask_b32_e64 v108, v100, v103, s3
	v_cndmask_b32_e64 v103, v82, v82, s2
	s_delay_alu instid0(VALU_DEP_2) | instskip(NEXT) | instid1(VALU_DEP_2)
	v_add_f64 v[105:106], v[105:106], v[107:108]
	v_add_f64 v[101:102], v[101:102], v[103:104]
	s_delay_alu instid0(VALU_DEP_1) | instskip(SKIP_4) | instid1(SALU_CYCLE_1)
	v_cmp_lt_f64_e32 vcc_lo, v[101:102], v[105:106]
	v_dual_cndmask_b32 v82, v82, v99 :: v_dual_cndmask_b32 v81, v81, v98
	v_dual_cndmask_b32 v80, v80, v97 :: v_dual_cndmask_b32 v83, v83, v100
	v_cndmask_b32_e64 v88, v88, s6, vcc_lo
	s_add_i32 s6, s6, 1
	s_cmp_lg_u32 s5, s6
	s_cbranch_scc1 .LBB38_274
.LBB38_275:
	s_set_inst_prefetch_distance 0x2
	s_waitcnt lgkmcnt(0)
	v_cmp_eq_f64_e32 vcc_lo, 0, v[80:81]
	v_cmp_eq_f64_e64 s2, 0, v[82:83]
	s_delay_alu instid0(VALU_DEP_1) | instskip(NEXT) | instid1(SALU_CYCLE_1)
	s_and_b32 s2, vcc_lo, s2
	s_and_saveexec_b32 s3, s2
	s_delay_alu instid0(SALU_CYCLE_1)
	s_xor_b32 s2, exec_lo, s3
; %bb.276:
	v_cmp_ne_u32_e32 vcc_lo, 0, v94
	v_cndmask_b32_e32 v94, 14, v94, vcc_lo
; %bb.277:
	s_and_not1_saveexec_b32 s3, s2
	s_cbranch_execz .LBB38_283
; %bb.278:
	v_cmp_gt_f64_e32 vcc_lo, 0, v[80:81]
	v_cmp_gt_f64_e64 s2, 0, v[82:83]
	v_xor_b32_e32 v89, 0x80000000, v81
	v_xor_b32_e32 v97, 0x80000000, v83
	s_delay_alu instid0(VALU_DEP_2) | instskip(NEXT) | instid1(VALU_DEP_2)
	v_cndmask_b32_e32 v98, v81, v89, vcc_lo
	v_cndmask_b32_e64 v100, v83, v97, s2
	v_cndmask_b32_e32 v97, v80, v80, vcc_lo
	v_cndmask_b32_e64 v99, v82, v82, s2
	s_mov_b32 s2, exec_lo
	s_delay_alu instid0(VALU_DEP_1)
	v_cmpx_ngt_f64_e32 v[97:98], v[99:100]
	s_xor_b32 s2, exec_lo, s2
	s_cbranch_execz .LBB38_280
; %bb.279:
	v_div_scale_f64 v[97:98], null, v[82:83], v[82:83], v[80:81]
	v_div_scale_f64 v[103:104], vcc_lo, v[80:81], v[82:83], v[80:81]
	s_delay_alu instid0(VALU_DEP_2) | instskip(SKIP_2) | instid1(VALU_DEP_1)
	v_rcp_f64_e32 v[99:100], v[97:98]
	s_waitcnt_depctr 0xfff
	v_fma_f64 v[101:102], -v[97:98], v[99:100], 1.0
	v_fma_f64 v[99:100], v[99:100], v[101:102], v[99:100]
	s_delay_alu instid0(VALU_DEP_1) | instskip(NEXT) | instid1(VALU_DEP_1)
	v_fma_f64 v[101:102], -v[97:98], v[99:100], 1.0
	v_fma_f64 v[99:100], v[99:100], v[101:102], v[99:100]
	s_delay_alu instid0(VALU_DEP_1) | instskip(NEXT) | instid1(VALU_DEP_1)
	v_mul_f64 v[101:102], v[103:104], v[99:100]
	v_fma_f64 v[97:98], -v[97:98], v[101:102], v[103:104]
	s_delay_alu instid0(VALU_DEP_1) | instskip(NEXT) | instid1(VALU_DEP_1)
	v_div_fmas_f64 v[97:98], v[97:98], v[99:100], v[101:102]
	v_div_fixup_f64 v[97:98], v[97:98], v[82:83], v[80:81]
	s_delay_alu instid0(VALU_DEP_1) | instskip(NEXT) | instid1(VALU_DEP_1)
	v_fma_f64 v[80:81], v[80:81], v[97:98], v[82:83]
	v_div_scale_f64 v[82:83], null, v[80:81], v[80:81], 1.0
	s_delay_alu instid0(VALU_DEP_1) | instskip(SKIP_2) | instid1(VALU_DEP_1)
	v_rcp_f64_e32 v[99:100], v[82:83]
	s_waitcnt_depctr 0xfff
	v_fma_f64 v[101:102], -v[82:83], v[99:100], 1.0
	v_fma_f64 v[99:100], v[99:100], v[101:102], v[99:100]
	s_delay_alu instid0(VALU_DEP_1) | instskip(NEXT) | instid1(VALU_DEP_1)
	v_fma_f64 v[101:102], -v[82:83], v[99:100], 1.0
	v_fma_f64 v[99:100], v[99:100], v[101:102], v[99:100]
	v_div_scale_f64 v[101:102], vcc_lo, 1.0, v[80:81], 1.0
	s_delay_alu instid0(VALU_DEP_1) | instskip(NEXT) | instid1(VALU_DEP_1)
	v_mul_f64 v[103:104], v[101:102], v[99:100]
	v_fma_f64 v[82:83], -v[82:83], v[103:104], v[101:102]
	s_delay_alu instid0(VALU_DEP_1) | instskip(NEXT) | instid1(VALU_DEP_1)
	v_div_fmas_f64 v[82:83], v[82:83], v[99:100], v[103:104]
	v_div_fixup_f64 v[82:83], v[82:83], v[80:81], 1.0
	s_delay_alu instid0(VALU_DEP_1)
	v_mul_f64 v[80:81], v[97:98], v[82:83]
	v_xor_b32_e32 v83, 0x80000000, v83
.LBB38_280:
	s_and_not1_saveexec_b32 s2, s2
	s_cbranch_execz .LBB38_282
; %bb.281:
	s_delay_alu instid0(VALU_DEP_1) | instskip(SKIP_1) | instid1(VALU_DEP_2)
	v_div_scale_f64 v[97:98], null, v[80:81], v[80:81], v[82:83]
	v_div_scale_f64 v[103:104], vcc_lo, v[82:83], v[80:81], v[82:83]
	v_rcp_f64_e32 v[99:100], v[97:98]
	s_waitcnt_depctr 0xfff
	v_fma_f64 v[101:102], -v[97:98], v[99:100], 1.0
	s_delay_alu instid0(VALU_DEP_1) | instskip(NEXT) | instid1(VALU_DEP_1)
	v_fma_f64 v[99:100], v[99:100], v[101:102], v[99:100]
	v_fma_f64 v[101:102], -v[97:98], v[99:100], 1.0
	s_delay_alu instid0(VALU_DEP_1) | instskip(NEXT) | instid1(VALU_DEP_1)
	v_fma_f64 v[99:100], v[99:100], v[101:102], v[99:100]
	v_mul_f64 v[101:102], v[103:104], v[99:100]
	s_delay_alu instid0(VALU_DEP_1) | instskip(NEXT) | instid1(VALU_DEP_1)
	v_fma_f64 v[97:98], -v[97:98], v[101:102], v[103:104]
	v_div_fmas_f64 v[97:98], v[97:98], v[99:100], v[101:102]
	s_delay_alu instid0(VALU_DEP_1) | instskip(NEXT) | instid1(VALU_DEP_1)
	v_div_fixup_f64 v[97:98], v[97:98], v[80:81], v[82:83]
	v_fma_f64 v[80:81], v[82:83], v[97:98], v[80:81]
	s_delay_alu instid0(VALU_DEP_1) | instskip(NEXT) | instid1(VALU_DEP_1)
	v_div_scale_f64 v[82:83], null, v[80:81], v[80:81], 1.0
	v_rcp_f64_e32 v[99:100], v[82:83]
	s_waitcnt_depctr 0xfff
	v_fma_f64 v[101:102], -v[82:83], v[99:100], 1.0
	s_delay_alu instid0(VALU_DEP_1) | instskip(NEXT) | instid1(VALU_DEP_1)
	v_fma_f64 v[99:100], v[99:100], v[101:102], v[99:100]
	v_fma_f64 v[101:102], -v[82:83], v[99:100], 1.0
	s_delay_alu instid0(VALU_DEP_1) | instskip(SKIP_1) | instid1(VALU_DEP_1)
	v_fma_f64 v[99:100], v[99:100], v[101:102], v[99:100]
	v_div_scale_f64 v[101:102], vcc_lo, 1.0, v[80:81], 1.0
	v_mul_f64 v[103:104], v[101:102], v[99:100]
	s_delay_alu instid0(VALU_DEP_1) | instskip(NEXT) | instid1(VALU_DEP_1)
	v_fma_f64 v[82:83], -v[82:83], v[103:104], v[101:102]
	v_div_fmas_f64 v[82:83], v[82:83], v[99:100], v[103:104]
	s_delay_alu instid0(VALU_DEP_1) | instskip(NEXT) | instid1(VALU_DEP_1)
	v_div_fixup_f64 v[80:81], v[82:83], v[80:81], 1.0
	v_mul_f64 v[82:83], v[97:98], -v[80:81]
.LBB38_282:
	s_or_b32 exec_lo, exec_lo, s2
.LBB38_283:
	s_delay_alu instid0(SALU_CYCLE_1) | instskip(NEXT) | instid1(SALU_CYCLE_1)
	s_or_b32 exec_lo, exec_lo, s3
	s_mov_b32 s2, exec_lo
	v_cmpx_ne_u32_e64 v96, v88
	s_xor_b32 s2, exec_lo, s2
	s_cbranch_execz .LBB38_289
; %bb.284:
	s_mov_b32 s3, exec_lo
	v_cmpx_eq_u32_e32 13, v96
	s_cbranch_execz .LBB38_288
; %bb.285:
	v_cmp_ne_u32_e32 vcc_lo, 13, v88
	s_xor_b32 s6, s4, -1
	s_delay_alu instid0(SALU_CYCLE_1) | instskip(NEXT) | instid1(SALU_CYCLE_1)
	s_and_b32 s7, s6, vcc_lo
	s_and_saveexec_b32 s6, s7
	s_cbranch_execz .LBB38_287
; %bb.286:
	v_ashrrev_i32_e32 v89, 31, v88
	s_delay_alu instid0(VALU_DEP_1) | instskip(NEXT) | instid1(VALU_DEP_1)
	v_lshlrev_b64 v[96:97], 2, v[88:89]
	v_add_co_u32 v96, vcc_lo, v86, v96
	s_delay_alu instid0(VALU_DEP_2)
	v_add_co_ci_u32_e32 v97, vcc_lo, v87, v97, vcc_lo
	s_clause 0x1
	flat_load_b32 v89, v[96:97]
	flat_load_b32 v93, v[86:87] offset:52
	s_waitcnt vmcnt(1) lgkmcnt(1)
	flat_store_b32 v[86:87], v89 offset:52
	s_waitcnt vmcnt(0) lgkmcnt(1)
	flat_store_b32 v[96:97], v93
.LBB38_287:
	s_or_b32 exec_lo, exec_lo, s6
	v_mov_b32_e32 v96, v88
	v_mov_b32_e32 v93, v88
.LBB38_288:
	s_or_b32 exec_lo, exec_lo, s3
.LBB38_289:
	s_and_not1_saveexec_b32 s2, s2
	s_cbranch_execz .LBB38_291
; %bb.290:
	v_mov_b32_e32 v96, 13
	ds_store_2addr_b64 v90, v[32:33], v[34:35] offset0:28 offset1:29
	ds_store_2addr_b64 v90, v[16:17], v[18:19] offset0:30 offset1:31
	;; [unrolled: 1-line block ×6, first 2 shown]
.LBB38_291:
	s_or_b32 exec_lo, exec_lo, s2
	s_delay_alu instid0(SALU_CYCLE_1)
	s_mov_b32 s2, exec_lo
	s_waitcnt lgkmcnt(0)
	s_waitcnt_vscnt null, 0x0
	s_barrier
	buffer_gl0_inv
	v_cmpx_lt_i32_e32 13, v96
	s_cbranch_execz .LBB38_293
; %bb.292:
	v_mul_f64 v[88:89], v[80:81], v[22:23]
	v_mul_f64 v[22:23], v[82:83], v[22:23]
	ds_load_2addr_b64 v[97:100], v90 offset0:28 offset1:29
	ds_load_2addr_b64 v[101:104], v90 offset0:30 offset1:31
	;; [unrolled: 1-line block ×6, first 2 shown]
	v_fma_f64 v[82:83], v[82:83], v[20:21], v[88:89]
	v_fma_f64 v[20:21], v[80:81], v[20:21], -v[22:23]
	s_waitcnt lgkmcnt(5)
	s_delay_alu instid0(VALU_DEP_2)
	v_mul_f64 v[22:23], v[99:100], v[82:83]
	v_mul_f64 v[80:81], v[97:98], v[82:83]
	s_waitcnt lgkmcnt(4)
	v_mul_f64 v[88:89], v[103:104], v[82:83]
	v_mul_f64 v[121:122], v[101:102], v[82:83]
	s_waitcnt lgkmcnt(3)
	;; [unrolled: 3-line block ×5, first 2 shown]
	v_mul_f64 v[135:136], v[119:120], v[82:83]
	v_mul_f64 v[137:138], v[117:118], v[82:83]
	v_fma_f64 v[22:23], v[97:98], v[20:21], -v[22:23]
	v_fma_f64 v[80:81], v[99:100], v[20:21], v[80:81]
	v_fma_f64 v[88:89], v[101:102], v[20:21], -v[88:89]
	v_fma_f64 v[97:98], v[103:104], v[20:21], v[121:122]
	;; [unrolled: 2-line block ×6, first 2 shown]
	v_add_f64 v[32:33], v[32:33], -v[22:23]
	v_add_f64 v[34:35], v[34:35], -v[80:81]
	;; [unrolled: 1-line block ×12, first 2 shown]
	v_dual_mov_b32 v22, v82 :: v_dual_mov_b32 v23, v83
.LBB38_293:
	s_or_b32 exec_lo, exec_lo, s2
	v_lshl_add_u32 v80, v96, 4, v90
	s_barrier
	buffer_gl0_inv
	v_mov_b32_e32 v88, 14
	ds_store_2addr_b64 v80, v[32:33], v[34:35] offset1:1
	s_waitcnt lgkmcnt(0)
	s_barrier
	buffer_gl0_inv
	ds_load_2addr_b64 v[80:83], v90 offset0:28 offset1:29
	s_cmp_lt_i32 s5, 16
	s_cbranch_scc1 .LBB38_296
; %bb.294:
	v_add3_u32 v89, v95, 0, 0xf0
	v_mov_b32_e32 v88, 14
	s_mov_b32 s6, 15
	s_set_inst_prefetch_distance 0x1
	.p2align	6
.LBB38_295:                             ; =>This Inner Loop Header: Depth=1
	ds_load_2addr_b64 v[97:100], v89 offset1:1
	s_waitcnt lgkmcnt(1)
	v_cmp_gt_f64_e32 vcc_lo, 0, v[80:81]
	v_xor_b32_e32 v101, 0x80000000, v81
	v_cmp_gt_f64_e64 s2, 0, v[82:83]
	v_xor_b32_e32 v103, 0x80000000, v83
	v_add_nc_u32_e32 v89, 16, v89
	s_waitcnt lgkmcnt(0)
	v_cmp_gt_f64_e64 s3, 0, v[97:98]
	v_mov_b32_e32 v105, v97
	v_dual_mov_b32 v107, v99 :: v_dual_cndmask_b32 v102, v81, v101
	v_xor_b32_e32 v101, 0x80000000, v98
	v_cndmask_b32_e64 v104, v83, v103, s2
	v_xor_b32_e32 v103, 0x80000000, v100
	s_delay_alu instid0(VALU_DEP_3) | instskip(SKIP_2) | instid1(VALU_DEP_2)
	v_cndmask_b32_e64 v106, v98, v101, s3
	v_cmp_gt_f64_e64 s3, 0, v[99:100]
	v_cndmask_b32_e32 v101, v80, v80, vcc_lo
	v_cndmask_b32_e64 v108, v100, v103, s3
	v_cndmask_b32_e64 v103, v82, v82, s2
	s_delay_alu instid0(VALU_DEP_2) | instskip(NEXT) | instid1(VALU_DEP_2)
	v_add_f64 v[105:106], v[105:106], v[107:108]
	v_add_f64 v[101:102], v[101:102], v[103:104]
	s_delay_alu instid0(VALU_DEP_1) | instskip(SKIP_4) | instid1(SALU_CYCLE_1)
	v_cmp_lt_f64_e32 vcc_lo, v[101:102], v[105:106]
	v_dual_cndmask_b32 v82, v82, v99 :: v_dual_cndmask_b32 v81, v81, v98
	v_dual_cndmask_b32 v80, v80, v97 :: v_dual_cndmask_b32 v83, v83, v100
	v_cndmask_b32_e64 v88, v88, s6, vcc_lo
	s_add_i32 s6, s6, 1
	s_cmp_lg_u32 s5, s6
	s_cbranch_scc1 .LBB38_295
.LBB38_296:
	s_set_inst_prefetch_distance 0x2
	s_waitcnt lgkmcnt(0)
	v_cmp_eq_f64_e32 vcc_lo, 0, v[80:81]
	v_cmp_eq_f64_e64 s2, 0, v[82:83]
	s_delay_alu instid0(VALU_DEP_1) | instskip(NEXT) | instid1(SALU_CYCLE_1)
	s_and_b32 s2, vcc_lo, s2
	s_and_saveexec_b32 s3, s2
	s_delay_alu instid0(SALU_CYCLE_1)
	s_xor_b32 s2, exec_lo, s3
; %bb.297:
	v_cmp_ne_u32_e32 vcc_lo, 0, v94
	v_cndmask_b32_e32 v94, 15, v94, vcc_lo
; %bb.298:
	s_and_not1_saveexec_b32 s3, s2
	s_cbranch_execz .LBB38_304
; %bb.299:
	v_cmp_gt_f64_e32 vcc_lo, 0, v[80:81]
	v_cmp_gt_f64_e64 s2, 0, v[82:83]
	v_xor_b32_e32 v89, 0x80000000, v81
	v_xor_b32_e32 v97, 0x80000000, v83
	s_delay_alu instid0(VALU_DEP_2) | instskip(NEXT) | instid1(VALU_DEP_2)
	v_cndmask_b32_e32 v98, v81, v89, vcc_lo
	v_cndmask_b32_e64 v100, v83, v97, s2
	v_cndmask_b32_e32 v97, v80, v80, vcc_lo
	v_cndmask_b32_e64 v99, v82, v82, s2
	s_mov_b32 s2, exec_lo
	s_delay_alu instid0(VALU_DEP_1)
	v_cmpx_ngt_f64_e32 v[97:98], v[99:100]
	s_xor_b32 s2, exec_lo, s2
	s_cbranch_execz .LBB38_301
; %bb.300:
	v_div_scale_f64 v[97:98], null, v[82:83], v[82:83], v[80:81]
	v_div_scale_f64 v[103:104], vcc_lo, v[80:81], v[82:83], v[80:81]
	s_delay_alu instid0(VALU_DEP_2) | instskip(SKIP_2) | instid1(VALU_DEP_1)
	v_rcp_f64_e32 v[99:100], v[97:98]
	s_waitcnt_depctr 0xfff
	v_fma_f64 v[101:102], -v[97:98], v[99:100], 1.0
	v_fma_f64 v[99:100], v[99:100], v[101:102], v[99:100]
	s_delay_alu instid0(VALU_DEP_1) | instskip(NEXT) | instid1(VALU_DEP_1)
	v_fma_f64 v[101:102], -v[97:98], v[99:100], 1.0
	v_fma_f64 v[99:100], v[99:100], v[101:102], v[99:100]
	s_delay_alu instid0(VALU_DEP_1) | instskip(NEXT) | instid1(VALU_DEP_1)
	v_mul_f64 v[101:102], v[103:104], v[99:100]
	v_fma_f64 v[97:98], -v[97:98], v[101:102], v[103:104]
	s_delay_alu instid0(VALU_DEP_1) | instskip(NEXT) | instid1(VALU_DEP_1)
	v_div_fmas_f64 v[97:98], v[97:98], v[99:100], v[101:102]
	v_div_fixup_f64 v[97:98], v[97:98], v[82:83], v[80:81]
	s_delay_alu instid0(VALU_DEP_1) | instskip(NEXT) | instid1(VALU_DEP_1)
	v_fma_f64 v[80:81], v[80:81], v[97:98], v[82:83]
	v_div_scale_f64 v[82:83], null, v[80:81], v[80:81], 1.0
	s_delay_alu instid0(VALU_DEP_1) | instskip(SKIP_2) | instid1(VALU_DEP_1)
	v_rcp_f64_e32 v[99:100], v[82:83]
	s_waitcnt_depctr 0xfff
	v_fma_f64 v[101:102], -v[82:83], v[99:100], 1.0
	v_fma_f64 v[99:100], v[99:100], v[101:102], v[99:100]
	s_delay_alu instid0(VALU_DEP_1) | instskip(NEXT) | instid1(VALU_DEP_1)
	v_fma_f64 v[101:102], -v[82:83], v[99:100], 1.0
	v_fma_f64 v[99:100], v[99:100], v[101:102], v[99:100]
	v_div_scale_f64 v[101:102], vcc_lo, 1.0, v[80:81], 1.0
	s_delay_alu instid0(VALU_DEP_1) | instskip(NEXT) | instid1(VALU_DEP_1)
	v_mul_f64 v[103:104], v[101:102], v[99:100]
	v_fma_f64 v[82:83], -v[82:83], v[103:104], v[101:102]
	s_delay_alu instid0(VALU_DEP_1) | instskip(NEXT) | instid1(VALU_DEP_1)
	v_div_fmas_f64 v[82:83], v[82:83], v[99:100], v[103:104]
	v_div_fixup_f64 v[82:83], v[82:83], v[80:81], 1.0
	s_delay_alu instid0(VALU_DEP_1)
	v_mul_f64 v[80:81], v[97:98], v[82:83]
	v_xor_b32_e32 v83, 0x80000000, v83
.LBB38_301:
	s_and_not1_saveexec_b32 s2, s2
	s_cbranch_execz .LBB38_303
; %bb.302:
	s_delay_alu instid0(VALU_DEP_1) | instskip(SKIP_1) | instid1(VALU_DEP_2)
	v_div_scale_f64 v[97:98], null, v[80:81], v[80:81], v[82:83]
	v_div_scale_f64 v[103:104], vcc_lo, v[82:83], v[80:81], v[82:83]
	v_rcp_f64_e32 v[99:100], v[97:98]
	s_waitcnt_depctr 0xfff
	v_fma_f64 v[101:102], -v[97:98], v[99:100], 1.0
	s_delay_alu instid0(VALU_DEP_1) | instskip(NEXT) | instid1(VALU_DEP_1)
	v_fma_f64 v[99:100], v[99:100], v[101:102], v[99:100]
	v_fma_f64 v[101:102], -v[97:98], v[99:100], 1.0
	s_delay_alu instid0(VALU_DEP_1) | instskip(NEXT) | instid1(VALU_DEP_1)
	v_fma_f64 v[99:100], v[99:100], v[101:102], v[99:100]
	v_mul_f64 v[101:102], v[103:104], v[99:100]
	s_delay_alu instid0(VALU_DEP_1) | instskip(NEXT) | instid1(VALU_DEP_1)
	v_fma_f64 v[97:98], -v[97:98], v[101:102], v[103:104]
	v_div_fmas_f64 v[97:98], v[97:98], v[99:100], v[101:102]
	s_delay_alu instid0(VALU_DEP_1) | instskip(NEXT) | instid1(VALU_DEP_1)
	v_div_fixup_f64 v[97:98], v[97:98], v[80:81], v[82:83]
	v_fma_f64 v[80:81], v[82:83], v[97:98], v[80:81]
	s_delay_alu instid0(VALU_DEP_1) | instskip(NEXT) | instid1(VALU_DEP_1)
	v_div_scale_f64 v[82:83], null, v[80:81], v[80:81], 1.0
	v_rcp_f64_e32 v[99:100], v[82:83]
	s_waitcnt_depctr 0xfff
	v_fma_f64 v[101:102], -v[82:83], v[99:100], 1.0
	s_delay_alu instid0(VALU_DEP_1) | instskip(NEXT) | instid1(VALU_DEP_1)
	v_fma_f64 v[99:100], v[99:100], v[101:102], v[99:100]
	v_fma_f64 v[101:102], -v[82:83], v[99:100], 1.0
	s_delay_alu instid0(VALU_DEP_1) | instskip(SKIP_1) | instid1(VALU_DEP_1)
	v_fma_f64 v[99:100], v[99:100], v[101:102], v[99:100]
	v_div_scale_f64 v[101:102], vcc_lo, 1.0, v[80:81], 1.0
	v_mul_f64 v[103:104], v[101:102], v[99:100]
	s_delay_alu instid0(VALU_DEP_1) | instskip(NEXT) | instid1(VALU_DEP_1)
	v_fma_f64 v[82:83], -v[82:83], v[103:104], v[101:102]
	v_div_fmas_f64 v[82:83], v[82:83], v[99:100], v[103:104]
	s_delay_alu instid0(VALU_DEP_1) | instskip(NEXT) | instid1(VALU_DEP_1)
	v_div_fixup_f64 v[80:81], v[82:83], v[80:81], 1.0
	v_mul_f64 v[82:83], v[97:98], -v[80:81]
.LBB38_303:
	s_or_b32 exec_lo, exec_lo, s2
.LBB38_304:
	s_delay_alu instid0(SALU_CYCLE_1) | instskip(NEXT) | instid1(SALU_CYCLE_1)
	s_or_b32 exec_lo, exec_lo, s3
	s_mov_b32 s2, exec_lo
	v_cmpx_ne_u32_e64 v96, v88
	s_xor_b32 s2, exec_lo, s2
	s_cbranch_execz .LBB38_310
; %bb.305:
	s_mov_b32 s3, exec_lo
	v_cmpx_eq_u32_e32 14, v96
	s_cbranch_execz .LBB38_309
; %bb.306:
	v_cmp_ne_u32_e32 vcc_lo, 14, v88
	s_xor_b32 s6, s4, -1
	s_delay_alu instid0(SALU_CYCLE_1) | instskip(NEXT) | instid1(SALU_CYCLE_1)
	s_and_b32 s7, s6, vcc_lo
	s_and_saveexec_b32 s6, s7
	s_cbranch_execz .LBB38_308
; %bb.307:
	v_ashrrev_i32_e32 v89, 31, v88
	s_delay_alu instid0(VALU_DEP_1) | instskip(NEXT) | instid1(VALU_DEP_1)
	v_lshlrev_b64 v[96:97], 2, v[88:89]
	v_add_co_u32 v96, vcc_lo, v86, v96
	s_delay_alu instid0(VALU_DEP_2)
	v_add_co_ci_u32_e32 v97, vcc_lo, v87, v97, vcc_lo
	s_clause 0x1
	flat_load_b32 v89, v[96:97]
	flat_load_b32 v93, v[86:87] offset:56
	s_waitcnt vmcnt(1) lgkmcnt(1)
	flat_store_b32 v[86:87], v89 offset:56
	s_waitcnt vmcnt(0) lgkmcnt(1)
	flat_store_b32 v[96:97], v93
.LBB38_308:
	s_or_b32 exec_lo, exec_lo, s6
	v_mov_b32_e32 v96, v88
	v_mov_b32_e32 v93, v88
.LBB38_309:
	s_or_b32 exec_lo, exec_lo, s3
.LBB38_310:
	s_and_not1_saveexec_b32 s2, s2
	s_cbranch_execz .LBB38_312
; %bb.311:
	v_mov_b32_e32 v96, 14
	ds_store_2addr_b64 v90, v[16:17], v[18:19] offset0:30 offset1:31
	ds_store_2addr_b64 v90, v[12:13], v[14:15] offset0:32 offset1:33
	;; [unrolled: 1-line block ×5, first 2 shown]
.LBB38_312:
	s_or_b32 exec_lo, exec_lo, s2
	s_delay_alu instid0(SALU_CYCLE_1)
	s_mov_b32 s2, exec_lo
	s_waitcnt lgkmcnt(0)
	s_waitcnt_vscnt null, 0x0
	s_barrier
	buffer_gl0_inv
	v_cmpx_lt_i32_e32 14, v96
	s_cbranch_execz .LBB38_314
; %bb.313:
	v_mul_f64 v[88:89], v[80:81], v[34:35]
	v_mul_f64 v[34:35], v[82:83], v[34:35]
	ds_load_2addr_b64 v[97:100], v90 offset0:30 offset1:31
	ds_load_2addr_b64 v[101:104], v90 offset0:32 offset1:33
	;; [unrolled: 1-line block ×5, first 2 shown]
	v_fma_f64 v[82:83], v[82:83], v[32:33], v[88:89]
	v_fma_f64 v[32:33], v[80:81], v[32:33], -v[34:35]
	s_waitcnt lgkmcnt(4)
	s_delay_alu instid0(VALU_DEP_2)
	v_mul_f64 v[34:35], v[99:100], v[82:83]
	v_mul_f64 v[80:81], v[97:98], v[82:83]
	s_waitcnt lgkmcnt(3)
	v_mul_f64 v[88:89], v[103:104], v[82:83]
	v_mul_f64 v[117:118], v[101:102], v[82:83]
	s_waitcnt lgkmcnt(2)
	;; [unrolled: 3-line block ×4, first 2 shown]
	v_mul_f64 v[127:128], v[115:116], v[82:83]
	v_mul_f64 v[129:130], v[113:114], v[82:83]
	v_fma_f64 v[34:35], v[97:98], v[32:33], -v[34:35]
	v_fma_f64 v[80:81], v[99:100], v[32:33], v[80:81]
	v_fma_f64 v[88:89], v[101:102], v[32:33], -v[88:89]
	v_fma_f64 v[97:98], v[103:104], v[32:33], v[117:118]
	;; [unrolled: 2-line block ×5, first 2 shown]
	v_add_f64 v[16:17], v[16:17], -v[34:35]
	v_add_f64 v[18:19], v[18:19], -v[80:81]
	;; [unrolled: 1-line block ×10, first 2 shown]
	v_dual_mov_b32 v34, v82 :: v_dual_mov_b32 v35, v83
.LBB38_314:
	s_or_b32 exec_lo, exec_lo, s2
	v_lshl_add_u32 v80, v96, 4, v90
	s_barrier
	buffer_gl0_inv
	v_mov_b32_e32 v88, 15
	ds_store_2addr_b64 v80, v[16:17], v[18:19] offset1:1
	s_waitcnt lgkmcnt(0)
	s_barrier
	buffer_gl0_inv
	ds_load_2addr_b64 v[80:83], v90 offset0:30 offset1:31
	s_cmp_lt_i32 s5, 17
	s_cbranch_scc1 .LBB38_317
; %bb.315:
	v_add3_u32 v89, v95, 0, 0x100
	v_mov_b32_e32 v88, 15
	s_mov_b32 s6, 16
	s_set_inst_prefetch_distance 0x1
	.p2align	6
.LBB38_316:                             ; =>This Inner Loop Header: Depth=1
	ds_load_2addr_b64 v[97:100], v89 offset1:1
	s_waitcnt lgkmcnt(1)
	v_cmp_gt_f64_e32 vcc_lo, 0, v[80:81]
	v_xor_b32_e32 v101, 0x80000000, v81
	v_cmp_gt_f64_e64 s2, 0, v[82:83]
	v_xor_b32_e32 v103, 0x80000000, v83
	v_add_nc_u32_e32 v89, 16, v89
	s_waitcnt lgkmcnt(0)
	v_cmp_gt_f64_e64 s3, 0, v[97:98]
	v_mov_b32_e32 v105, v97
	v_dual_mov_b32 v107, v99 :: v_dual_cndmask_b32 v102, v81, v101
	v_xor_b32_e32 v101, 0x80000000, v98
	v_cndmask_b32_e64 v104, v83, v103, s2
	v_xor_b32_e32 v103, 0x80000000, v100
	s_delay_alu instid0(VALU_DEP_3) | instskip(SKIP_2) | instid1(VALU_DEP_2)
	v_cndmask_b32_e64 v106, v98, v101, s3
	v_cmp_gt_f64_e64 s3, 0, v[99:100]
	v_cndmask_b32_e32 v101, v80, v80, vcc_lo
	v_cndmask_b32_e64 v108, v100, v103, s3
	v_cndmask_b32_e64 v103, v82, v82, s2
	s_delay_alu instid0(VALU_DEP_2) | instskip(NEXT) | instid1(VALU_DEP_2)
	v_add_f64 v[105:106], v[105:106], v[107:108]
	v_add_f64 v[101:102], v[101:102], v[103:104]
	s_delay_alu instid0(VALU_DEP_1) | instskip(SKIP_4) | instid1(SALU_CYCLE_1)
	v_cmp_lt_f64_e32 vcc_lo, v[101:102], v[105:106]
	v_dual_cndmask_b32 v82, v82, v99 :: v_dual_cndmask_b32 v81, v81, v98
	v_dual_cndmask_b32 v80, v80, v97 :: v_dual_cndmask_b32 v83, v83, v100
	v_cndmask_b32_e64 v88, v88, s6, vcc_lo
	s_add_i32 s6, s6, 1
	s_cmp_lg_u32 s5, s6
	s_cbranch_scc1 .LBB38_316
.LBB38_317:
	s_set_inst_prefetch_distance 0x2
	s_waitcnt lgkmcnt(0)
	v_cmp_eq_f64_e32 vcc_lo, 0, v[80:81]
	v_cmp_eq_f64_e64 s2, 0, v[82:83]
	s_delay_alu instid0(VALU_DEP_1) | instskip(NEXT) | instid1(SALU_CYCLE_1)
	s_and_b32 s2, vcc_lo, s2
	s_and_saveexec_b32 s3, s2
	s_delay_alu instid0(SALU_CYCLE_1)
	s_xor_b32 s2, exec_lo, s3
; %bb.318:
	v_cmp_ne_u32_e32 vcc_lo, 0, v94
	v_cndmask_b32_e32 v94, 16, v94, vcc_lo
; %bb.319:
	s_and_not1_saveexec_b32 s3, s2
	s_cbranch_execz .LBB38_325
; %bb.320:
	v_cmp_gt_f64_e32 vcc_lo, 0, v[80:81]
	v_cmp_gt_f64_e64 s2, 0, v[82:83]
	v_xor_b32_e32 v89, 0x80000000, v81
	v_xor_b32_e32 v97, 0x80000000, v83
	s_delay_alu instid0(VALU_DEP_2) | instskip(NEXT) | instid1(VALU_DEP_2)
	v_cndmask_b32_e32 v98, v81, v89, vcc_lo
	v_cndmask_b32_e64 v100, v83, v97, s2
	v_cndmask_b32_e32 v97, v80, v80, vcc_lo
	v_cndmask_b32_e64 v99, v82, v82, s2
	s_mov_b32 s2, exec_lo
	s_delay_alu instid0(VALU_DEP_1)
	v_cmpx_ngt_f64_e32 v[97:98], v[99:100]
	s_xor_b32 s2, exec_lo, s2
	s_cbranch_execz .LBB38_322
; %bb.321:
	v_div_scale_f64 v[97:98], null, v[82:83], v[82:83], v[80:81]
	v_div_scale_f64 v[103:104], vcc_lo, v[80:81], v[82:83], v[80:81]
	s_delay_alu instid0(VALU_DEP_2) | instskip(SKIP_2) | instid1(VALU_DEP_1)
	v_rcp_f64_e32 v[99:100], v[97:98]
	s_waitcnt_depctr 0xfff
	v_fma_f64 v[101:102], -v[97:98], v[99:100], 1.0
	v_fma_f64 v[99:100], v[99:100], v[101:102], v[99:100]
	s_delay_alu instid0(VALU_DEP_1) | instskip(NEXT) | instid1(VALU_DEP_1)
	v_fma_f64 v[101:102], -v[97:98], v[99:100], 1.0
	v_fma_f64 v[99:100], v[99:100], v[101:102], v[99:100]
	s_delay_alu instid0(VALU_DEP_1) | instskip(NEXT) | instid1(VALU_DEP_1)
	v_mul_f64 v[101:102], v[103:104], v[99:100]
	v_fma_f64 v[97:98], -v[97:98], v[101:102], v[103:104]
	s_delay_alu instid0(VALU_DEP_1) | instskip(NEXT) | instid1(VALU_DEP_1)
	v_div_fmas_f64 v[97:98], v[97:98], v[99:100], v[101:102]
	v_div_fixup_f64 v[97:98], v[97:98], v[82:83], v[80:81]
	s_delay_alu instid0(VALU_DEP_1) | instskip(NEXT) | instid1(VALU_DEP_1)
	v_fma_f64 v[80:81], v[80:81], v[97:98], v[82:83]
	v_div_scale_f64 v[82:83], null, v[80:81], v[80:81], 1.0
	s_delay_alu instid0(VALU_DEP_1) | instskip(SKIP_2) | instid1(VALU_DEP_1)
	v_rcp_f64_e32 v[99:100], v[82:83]
	s_waitcnt_depctr 0xfff
	v_fma_f64 v[101:102], -v[82:83], v[99:100], 1.0
	v_fma_f64 v[99:100], v[99:100], v[101:102], v[99:100]
	s_delay_alu instid0(VALU_DEP_1) | instskip(NEXT) | instid1(VALU_DEP_1)
	v_fma_f64 v[101:102], -v[82:83], v[99:100], 1.0
	v_fma_f64 v[99:100], v[99:100], v[101:102], v[99:100]
	v_div_scale_f64 v[101:102], vcc_lo, 1.0, v[80:81], 1.0
	s_delay_alu instid0(VALU_DEP_1) | instskip(NEXT) | instid1(VALU_DEP_1)
	v_mul_f64 v[103:104], v[101:102], v[99:100]
	v_fma_f64 v[82:83], -v[82:83], v[103:104], v[101:102]
	s_delay_alu instid0(VALU_DEP_1) | instskip(NEXT) | instid1(VALU_DEP_1)
	v_div_fmas_f64 v[82:83], v[82:83], v[99:100], v[103:104]
	v_div_fixup_f64 v[82:83], v[82:83], v[80:81], 1.0
	s_delay_alu instid0(VALU_DEP_1)
	v_mul_f64 v[80:81], v[97:98], v[82:83]
	v_xor_b32_e32 v83, 0x80000000, v83
.LBB38_322:
	s_and_not1_saveexec_b32 s2, s2
	s_cbranch_execz .LBB38_324
; %bb.323:
	s_delay_alu instid0(VALU_DEP_1) | instskip(SKIP_1) | instid1(VALU_DEP_2)
	v_div_scale_f64 v[97:98], null, v[80:81], v[80:81], v[82:83]
	v_div_scale_f64 v[103:104], vcc_lo, v[82:83], v[80:81], v[82:83]
	v_rcp_f64_e32 v[99:100], v[97:98]
	s_waitcnt_depctr 0xfff
	v_fma_f64 v[101:102], -v[97:98], v[99:100], 1.0
	s_delay_alu instid0(VALU_DEP_1) | instskip(NEXT) | instid1(VALU_DEP_1)
	v_fma_f64 v[99:100], v[99:100], v[101:102], v[99:100]
	v_fma_f64 v[101:102], -v[97:98], v[99:100], 1.0
	s_delay_alu instid0(VALU_DEP_1) | instskip(NEXT) | instid1(VALU_DEP_1)
	v_fma_f64 v[99:100], v[99:100], v[101:102], v[99:100]
	v_mul_f64 v[101:102], v[103:104], v[99:100]
	s_delay_alu instid0(VALU_DEP_1) | instskip(NEXT) | instid1(VALU_DEP_1)
	v_fma_f64 v[97:98], -v[97:98], v[101:102], v[103:104]
	v_div_fmas_f64 v[97:98], v[97:98], v[99:100], v[101:102]
	s_delay_alu instid0(VALU_DEP_1) | instskip(NEXT) | instid1(VALU_DEP_1)
	v_div_fixup_f64 v[97:98], v[97:98], v[80:81], v[82:83]
	v_fma_f64 v[80:81], v[82:83], v[97:98], v[80:81]
	s_delay_alu instid0(VALU_DEP_1) | instskip(NEXT) | instid1(VALU_DEP_1)
	v_div_scale_f64 v[82:83], null, v[80:81], v[80:81], 1.0
	v_rcp_f64_e32 v[99:100], v[82:83]
	s_waitcnt_depctr 0xfff
	v_fma_f64 v[101:102], -v[82:83], v[99:100], 1.0
	s_delay_alu instid0(VALU_DEP_1) | instskip(NEXT) | instid1(VALU_DEP_1)
	v_fma_f64 v[99:100], v[99:100], v[101:102], v[99:100]
	v_fma_f64 v[101:102], -v[82:83], v[99:100], 1.0
	s_delay_alu instid0(VALU_DEP_1) | instskip(SKIP_1) | instid1(VALU_DEP_1)
	v_fma_f64 v[99:100], v[99:100], v[101:102], v[99:100]
	v_div_scale_f64 v[101:102], vcc_lo, 1.0, v[80:81], 1.0
	v_mul_f64 v[103:104], v[101:102], v[99:100]
	s_delay_alu instid0(VALU_DEP_1) | instskip(NEXT) | instid1(VALU_DEP_1)
	v_fma_f64 v[82:83], -v[82:83], v[103:104], v[101:102]
	v_div_fmas_f64 v[82:83], v[82:83], v[99:100], v[103:104]
	s_delay_alu instid0(VALU_DEP_1) | instskip(NEXT) | instid1(VALU_DEP_1)
	v_div_fixup_f64 v[80:81], v[82:83], v[80:81], 1.0
	v_mul_f64 v[82:83], v[97:98], -v[80:81]
.LBB38_324:
	s_or_b32 exec_lo, exec_lo, s2
.LBB38_325:
	s_delay_alu instid0(SALU_CYCLE_1) | instskip(NEXT) | instid1(SALU_CYCLE_1)
	s_or_b32 exec_lo, exec_lo, s3
	s_mov_b32 s2, exec_lo
	v_cmpx_ne_u32_e64 v96, v88
	s_xor_b32 s2, exec_lo, s2
	s_cbranch_execz .LBB38_331
; %bb.326:
	s_mov_b32 s3, exec_lo
	v_cmpx_eq_u32_e32 15, v96
	s_cbranch_execz .LBB38_330
; %bb.327:
	v_cmp_ne_u32_e32 vcc_lo, 15, v88
	s_xor_b32 s6, s4, -1
	s_delay_alu instid0(SALU_CYCLE_1) | instskip(NEXT) | instid1(SALU_CYCLE_1)
	s_and_b32 s7, s6, vcc_lo
	s_and_saveexec_b32 s6, s7
	s_cbranch_execz .LBB38_329
; %bb.328:
	v_ashrrev_i32_e32 v89, 31, v88
	s_delay_alu instid0(VALU_DEP_1) | instskip(NEXT) | instid1(VALU_DEP_1)
	v_lshlrev_b64 v[96:97], 2, v[88:89]
	v_add_co_u32 v96, vcc_lo, v86, v96
	s_delay_alu instid0(VALU_DEP_2)
	v_add_co_ci_u32_e32 v97, vcc_lo, v87, v97, vcc_lo
	s_clause 0x1
	flat_load_b32 v89, v[96:97]
	flat_load_b32 v93, v[86:87] offset:60
	s_waitcnt vmcnt(1) lgkmcnt(1)
	flat_store_b32 v[86:87], v89 offset:60
	s_waitcnt vmcnt(0) lgkmcnt(1)
	flat_store_b32 v[96:97], v93
.LBB38_329:
	s_or_b32 exec_lo, exec_lo, s6
	v_mov_b32_e32 v96, v88
	v_mov_b32_e32 v93, v88
.LBB38_330:
	s_or_b32 exec_lo, exec_lo, s3
.LBB38_331:
	s_and_not1_saveexec_b32 s2, s2
	s_cbranch_execz .LBB38_333
; %bb.332:
	v_mov_b32_e32 v96, 15
	ds_store_2addr_b64 v90, v[12:13], v[14:15] offset0:32 offset1:33
	ds_store_2addr_b64 v90, v[8:9], v[10:11] offset0:34 offset1:35
	;; [unrolled: 1-line block ×4, first 2 shown]
.LBB38_333:
	s_or_b32 exec_lo, exec_lo, s2
	s_delay_alu instid0(SALU_CYCLE_1)
	s_mov_b32 s2, exec_lo
	s_waitcnt lgkmcnt(0)
	s_waitcnt_vscnt null, 0x0
	s_barrier
	buffer_gl0_inv
	v_cmpx_lt_i32_e32 15, v96
	s_cbranch_execz .LBB38_335
; %bb.334:
	v_mul_f64 v[88:89], v[80:81], v[18:19]
	v_mul_f64 v[18:19], v[82:83], v[18:19]
	ds_load_2addr_b64 v[97:100], v90 offset0:32 offset1:33
	ds_load_2addr_b64 v[101:104], v90 offset0:34 offset1:35
	;; [unrolled: 1-line block ×4, first 2 shown]
	v_fma_f64 v[82:83], v[82:83], v[16:17], v[88:89]
	v_fma_f64 v[16:17], v[80:81], v[16:17], -v[18:19]
	s_waitcnt lgkmcnt(3)
	s_delay_alu instid0(VALU_DEP_2)
	v_mul_f64 v[18:19], v[99:100], v[82:83]
	v_mul_f64 v[80:81], v[97:98], v[82:83]
	s_waitcnt lgkmcnt(2)
	v_mul_f64 v[88:89], v[103:104], v[82:83]
	v_mul_f64 v[113:114], v[101:102], v[82:83]
	s_waitcnt lgkmcnt(1)
	;; [unrolled: 3-line block ×3, first 2 shown]
	v_mul_f64 v[119:120], v[111:112], v[82:83]
	v_mul_f64 v[121:122], v[109:110], v[82:83]
	v_fma_f64 v[18:19], v[97:98], v[16:17], -v[18:19]
	v_fma_f64 v[80:81], v[99:100], v[16:17], v[80:81]
	v_fma_f64 v[88:89], v[101:102], v[16:17], -v[88:89]
	v_fma_f64 v[97:98], v[103:104], v[16:17], v[113:114]
	;; [unrolled: 2-line block ×4, first 2 shown]
	v_add_f64 v[12:13], v[12:13], -v[18:19]
	v_add_f64 v[14:15], v[14:15], -v[80:81]
	;; [unrolled: 1-line block ×8, first 2 shown]
	v_dual_mov_b32 v18, v82 :: v_dual_mov_b32 v19, v83
.LBB38_335:
	s_or_b32 exec_lo, exec_lo, s2
	v_lshl_add_u32 v80, v96, 4, v90
	s_barrier
	buffer_gl0_inv
	v_mov_b32_e32 v88, 16
	ds_store_2addr_b64 v80, v[12:13], v[14:15] offset1:1
	s_waitcnt lgkmcnt(0)
	s_barrier
	buffer_gl0_inv
	ds_load_2addr_b64 v[80:83], v90 offset0:32 offset1:33
	s_cmp_lt_i32 s5, 18
	s_cbranch_scc1 .LBB38_338
; %bb.336:
	v_add3_u32 v89, v95, 0, 0x110
	v_mov_b32_e32 v88, 16
	s_mov_b32 s6, 17
	s_set_inst_prefetch_distance 0x1
	.p2align	6
.LBB38_337:                             ; =>This Inner Loop Header: Depth=1
	ds_load_2addr_b64 v[97:100], v89 offset1:1
	s_waitcnt lgkmcnt(1)
	v_cmp_gt_f64_e32 vcc_lo, 0, v[80:81]
	v_xor_b32_e32 v101, 0x80000000, v81
	v_cmp_gt_f64_e64 s2, 0, v[82:83]
	v_xor_b32_e32 v103, 0x80000000, v83
	v_add_nc_u32_e32 v89, 16, v89
	s_waitcnt lgkmcnt(0)
	v_cmp_gt_f64_e64 s3, 0, v[97:98]
	v_mov_b32_e32 v105, v97
	v_dual_mov_b32 v107, v99 :: v_dual_cndmask_b32 v102, v81, v101
	v_xor_b32_e32 v101, 0x80000000, v98
	v_cndmask_b32_e64 v104, v83, v103, s2
	v_xor_b32_e32 v103, 0x80000000, v100
	s_delay_alu instid0(VALU_DEP_3) | instskip(SKIP_2) | instid1(VALU_DEP_2)
	v_cndmask_b32_e64 v106, v98, v101, s3
	v_cmp_gt_f64_e64 s3, 0, v[99:100]
	v_cndmask_b32_e32 v101, v80, v80, vcc_lo
	v_cndmask_b32_e64 v108, v100, v103, s3
	v_cndmask_b32_e64 v103, v82, v82, s2
	s_delay_alu instid0(VALU_DEP_2) | instskip(NEXT) | instid1(VALU_DEP_2)
	v_add_f64 v[105:106], v[105:106], v[107:108]
	v_add_f64 v[101:102], v[101:102], v[103:104]
	s_delay_alu instid0(VALU_DEP_1) | instskip(SKIP_4) | instid1(SALU_CYCLE_1)
	v_cmp_lt_f64_e32 vcc_lo, v[101:102], v[105:106]
	v_dual_cndmask_b32 v82, v82, v99 :: v_dual_cndmask_b32 v81, v81, v98
	v_dual_cndmask_b32 v80, v80, v97 :: v_dual_cndmask_b32 v83, v83, v100
	v_cndmask_b32_e64 v88, v88, s6, vcc_lo
	s_add_i32 s6, s6, 1
	s_cmp_lg_u32 s5, s6
	s_cbranch_scc1 .LBB38_337
.LBB38_338:
	s_set_inst_prefetch_distance 0x2
	s_waitcnt lgkmcnt(0)
	v_cmp_eq_f64_e32 vcc_lo, 0, v[80:81]
	v_cmp_eq_f64_e64 s2, 0, v[82:83]
	s_delay_alu instid0(VALU_DEP_1) | instskip(NEXT) | instid1(SALU_CYCLE_1)
	s_and_b32 s2, vcc_lo, s2
	s_and_saveexec_b32 s3, s2
	s_delay_alu instid0(SALU_CYCLE_1)
	s_xor_b32 s2, exec_lo, s3
; %bb.339:
	v_cmp_ne_u32_e32 vcc_lo, 0, v94
	v_cndmask_b32_e32 v94, 17, v94, vcc_lo
; %bb.340:
	s_and_not1_saveexec_b32 s3, s2
	s_cbranch_execz .LBB38_346
; %bb.341:
	v_cmp_gt_f64_e32 vcc_lo, 0, v[80:81]
	v_cmp_gt_f64_e64 s2, 0, v[82:83]
	v_xor_b32_e32 v89, 0x80000000, v81
	v_xor_b32_e32 v97, 0x80000000, v83
	s_delay_alu instid0(VALU_DEP_2) | instskip(NEXT) | instid1(VALU_DEP_2)
	v_cndmask_b32_e32 v98, v81, v89, vcc_lo
	v_cndmask_b32_e64 v100, v83, v97, s2
	v_cndmask_b32_e32 v97, v80, v80, vcc_lo
	v_cndmask_b32_e64 v99, v82, v82, s2
	s_mov_b32 s2, exec_lo
	s_delay_alu instid0(VALU_DEP_1)
	v_cmpx_ngt_f64_e32 v[97:98], v[99:100]
	s_xor_b32 s2, exec_lo, s2
	s_cbranch_execz .LBB38_343
; %bb.342:
	v_div_scale_f64 v[97:98], null, v[82:83], v[82:83], v[80:81]
	v_div_scale_f64 v[103:104], vcc_lo, v[80:81], v[82:83], v[80:81]
	s_delay_alu instid0(VALU_DEP_2) | instskip(SKIP_2) | instid1(VALU_DEP_1)
	v_rcp_f64_e32 v[99:100], v[97:98]
	s_waitcnt_depctr 0xfff
	v_fma_f64 v[101:102], -v[97:98], v[99:100], 1.0
	v_fma_f64 v[99:100], v[99:100], v[101:102], v[99:100]
	s_delay_alu instid0(VALU_DEP_1) | instskip(NEXT) | instid1(VALU_DEP_1)
	v_fma_f64 v[101:102], -v[97:98], v[99:100], 1.0
	v_fma_f64 v[99:100], v[99:100], v[101:102], v[99:100]
	s_delay_alu instid0(VALU_DEP_1) | instskip(NEXT) | instid1(VALU_DEP_1)
	v_mul_f64 v[101:102], v[103:104], v[99:100]
	v_fma_f64 v[97:98], -v[97:98], v[101:102], v[103:104]
	s_delay_alu instid0(VALU_DEP_1) | instskip(NEXT) | instid1(VALU_DEP_1)
	v_div_fmas_f64 v[97:98], v[97:98], v[99:100], v[101:102]
	v_div_fixup_f64 v[97:98], v[97:98], v[82:83], v[80:81]
	s_delay_alu instid0(VALU_DEP_1) | instskip(NEXT) | instid1(VALU_DEP_1)
	v_fma_f64 v[80:81], v[80:81], v[97:98], v[82:83]
	v_div_scale_f64 v[82:83], null, v[80:81], v[80:81], 1.0
	s_delay_alu instid0(VALU_DEP_1) | instskip(SKIP_2) | instid1(VALU_DEP_1)
	v_rcp_f64_e32 v[99:100], v[82:83]
	s_waitcnt_depctr 0xfff
	v_fma_f64 v[101:102], -v[82:83], v[99:100], 1.0
	v_fma_f64 v[99:100], v[99:100], v[101:102], v[99:100]
	s_delay_alu instid0(VALU_DEP_1) | instskip(NEXT) | instid1(VALU_DEP_1)
	v_fma_f64 v[101:102], -v[82:83], v[99:100], 1.0
	v_fma_f64 v[99:100], v[99:100], v[101:102], v[99:100]
	v_div_scale_f64 v[101:102], vcc_lo, 1.0, v[80:81], 1.0
	s_delay_alu instid0(VALU_DEP_1) | instskip(NEXT) | instid1(VALU_DEP_1)
	v_mul_f64 v[103:104], v[101:102], v[99:100]
	v_fma_f64 v[82:83], -v[82:83], v[103:104], v[101:102]
	s_delay_alu instid0(VALU_DEP_1) | instskip(NEXT) | instid1(VALU_DEP_1)
	v_div_fmas_f64 v[82:83], v[82:83], v[99:100], v[103:104]
	v_div_fixup_f64 v[82:83], v[82:83], v[80:81], 1.0
	s_delay_alu instid0(VALU_DEP_1)
	v_mul_f64 v[80:81], v[97:98], v[82:83]
	v_xor_b32_e32 v83, 0x80000000, v83
.LBB38_343:
	s_and_not1_saveexec_b32 s2, s2
	s_cbranch_execz .LBB38_345
; %bb.344:
	s_delay_alu instid0(VALU_DEP_1) | instskip(SKIP_1) | instid1(VALU_DEP_2)
	v_div_scale_f64 v[97:98], null, v[80:81], v[80:81], v[82:83]
	v_div_scale_f64 v[103:104], vcc_lo, v[82:83], v[80:81], v[82:83]
	v_rcp_f64_e32 v[99:100], v[97:98]
	s_waitcnt_depctr 0xfff
	v_fma_f64 v[101:102], -v[97:98], v[99:100], 1.0
	s_delay_alu instid0(VALU_DEP_1) | instskip(NEXT) | instid1(VALU_DEP_1)
	v_fma_f64 v[99:100], v[99:100], v[101:102], v[99:100]
	v_fma_f64 v[101:102], -v[97:98], v[99:100], 1.0
	s_delay_alu instid0(VALU_DEP_1) | instskip(NEXT) | instid1(VALU_DEP_1)
	v_fma_f64 v[99:100], v[99:100], v[101:102], v[99:100]
	v_mul_f64 v[101:102], v[103:104], v[99:100]
	s_delay_alu instid0(VALU_DEP_1) | instskip(NEXT) | instid1(VALU_DEP_1)
	v_fma_f64 v[97:98], -v[97:98], v[101:102], v[103:104]
	v_div_fmas_f64 v[97:98], v[97:98], v[99:100], v[101:102]
	s_delay_alu instid0(VALU_DEP_1) | instskip(NEXT) | instid1(VALU_DEP_1)
	v_div_fixup_f64 v[97:98], v[97:98], v[80:81], v[82:83]
	v_fma_f64 v[80:81], v[82:83], v[97:98], v[80:81]
	s_delay_alu instid0(VALU_DEP_1) | instskip(NEXT) | instid1(VALU_DEP_1)
	v_div_scale_f64 v[82:83], null, v[80:81], v[80:81], 1.0
	v_rcp_f64_e32 v[99:100], v[82:83]
	s_waitcnt_depctr 0xfff
	v_fma_f64 v[101:102], -v[82:83], v[99:100], 1.0
	s_delay_alu instid0(VALU_DEP_1) | instskip(NEXT) | instid1(VALU_DEP_1)
	v_fma_f64 v[99:100], v[99:100], v[101:102], v[99:100]
	v_fma_f64 v[101:102], -v[82:83], v[99:100], 1.0
	s_delay_alu instid0(VALU_DEP_1) | instskip(SKIP_1) | instid1(VALU_DEP_1)
	v_fma_f64 v[99:100], v[99:100], v[101:102], v[99:100]
	v_div_scale_f64 v[101:102], vcc_lo, 1.0, v[80:81], 1.0
	v_mul_f64 v[103:104], v[101:102], v[99:100]
	s_delay_alu instid0(VALU_DEP_1) | instskip(NEXT) | instid1(VALU_DEP_1)
	v_fma_f64 v[82:83], -v[82:83], v[103:104], v[101:102]
	v_div_fmas_f64 v[82:83], v[82:83], v[99:100], v[103:104]
	s_delay_alu instid0(VALU_DEP_1) | instskip(NEXT) | instid1(VALU_DEP_1)
	v_div_fixup_f64 v[80:81], v[82:83], v[80:81], 1.0
	v_mul_f64 v[82:83], v[97:98], -v[80:81]
.LBB38_345:
	s_or_b32 exec_lo, exec_lo, s2
.LBB38_346:
	s_delay_alu instid0(SALU_CYCLE_1) | instskip(NEXT) | instid1(SALU_CYCLE_1)
	s_or_b32 exec_lo, exec_lo, s3
	s_mov_b32 s2, exec_lo
	v_cmpx_ne_u32_e64 v96, v88
	s_xor_b32 s2, exec_lo, s2
	s_cbranch_execz .LBB38_352
; %bb.347:
	s_mov_b32 s3, exec_lo
	v_cmpx_eq_u32_e32 16, v96
	s_cbranch_execz .LBB38_351
; %bb.348:
	v_cmp_ne_u32_e32 vcc_lo, 16, v88
	s_xor_b32 s6, s4, -1
	s_delay_alu instid0(SALU_CYCLE_1) | instskip(NEXT) | instid1(SALU_CYCLE_1)
	s_and_b32 s7, s6, vcc_lo
	s_and_saveexec_b32 s6, s7
	s_cbranch_execz .LBB38_350
; %bb.349:
	v_ashrrev_i32_e32 v89, 31, v88
	s_delay_alu instid0(VALU_DEP_1) | instskip(NEXT) | instid1(VALU_DEP_1)
	v_lshlrev_b64 v[96:97], 2, v[88:89]
	v_add_co_u32 v96, vcc_lo, v86, v96
	s_delay_alu instid0(VALU_DEP_2)
	v_add_co_ci_u32_e32 v97, vcc_lo, v87, v97, vcc_lo
	s_clause 0x1
	flat_load_b32 v89, v[96:97]
	flat_load_b32 v93, v[86:87] offset:64
	s_waitcnt vmcnt(1) lgkmcnt(1)
	flat_store_b32 v[86:87], v89 offset:64
	s_waitcnt vmcnt(0) lgkmcnt(1)
	flat_store_b32 v[96:97], v93
.LBB38_350:
	s_or_b32 exec_lo, exec_lo, s6
	v_mov_b32_e32 v96, v88
	v_mov_b32_e32 v93, v88
.LBB38_351:
	s_or_b32 exec_lo, exec_lo, s3
.LBB38_352:
	s_and_not1_saveexec_b32 s2, s2
	s_cbranch_execz .LBB38_354
; %bb.353:
	v_mov_b32_e32 v96, 16
	ds_store_2addr_b64 v90, v[8:9], v[10:11] offset0:34 offset1:35
	ds_store_2addr_b64 v90, v[4:5], v[6:7] offset0:36 offset1:37
	;; [unrolled: 1-line block ×3, first 2 shown]
.LBB38_354:
	s_or_b32 exec_lo, exec_lo, s2
	s_delay_alu instid0(SALU_CYCLE_1)
	s_mov_b32 s2, exec_lo
	s_waitcnt lgkmcnt(0)
	s_waitcnt_vscnt null, 0x0
	s_barrier
	buffer_gl0_inv
	v_cmpx_lt_i32_e32 16, v96
	s_cbranch_execz .LBB38_356
; %bb.355:
	v_mul_f64 v[88:89], v[80:81], v[14:15]
	v_mul_f64 v[14:15], v[82:83], v[14:15]
	ds_load_2addr_b64 v[97:100], v90 offset0:34 offset1:35
	ds_load_2addr_b64 v[101:104], v90 offset0:36 offset1:37
	;; [unrolled: 1-line block ×3, first 2 shown]
	v_fma_f64 v[82:83], v[82:83], v[12:13], v[88:89]
	v_fma_f64 v[12:13], v[80:81], v[12:13], -v[14:15]
	s_waitcnt lgkmcnt(2)
	s_delay_alu instid0(VALU_DEP_2)
	v_mul_f64 v[14:15], v[99:100], v[82:83]
	v_mul_f64 v[80:81], v[97:98], v[82:83]
	s_waitcnt lgkmcnt(1)
	v_mul_f64 v[88:89], v[103:104], v[82:83]
	v_mul_f64 v[109:110], v[101:102], v[82:83]
	s_waitcnt lgkmcnt(0)
	v_mul_f64 v[111:112], v[107:108], v[82:83]
	v_mul_f64 v[113:114], v[105:106], v[82:83]
	v_fma_f64 v[14:15], v[97:98], v[12:13], -v[14:15]
	v_fma_f64 v[80:81], v[99:100], v[12:13], v[80:81]
	v_fma_f64 v[88:89], v[101:102], v[12:13], -v[88:89]
	v_fma_f64 v[97:98], v[103:104], v[12:13], v[109:110]
	;; [unrolled: 2-line block ×3, first 2 shown]
	v_add_f64 v[8:9], v[8:9], -v[14:15]
	v_add_f64 v[10:11], v[10:11], -v[80:81]
	;; [unrolled: 1-line block ×6, first 2 shown]
	v_dual_mov_b32 v14, v82 :: v_dual_mov_b32 v15, v83
.LBB38_356:
	s_or_b32 exec_lo, exec_lo, s2
	v_lshl_add_u32 v80, v96, 4, v90
	s_barrier
	buffer_gl0_inv
	v_mov_b32_e32 v88, 17
	ds_store_2addr_b64 v80, v[8:9], v[10:11] offset1:1
	s_waitcnt lgkmcnt(0)
	s_barrier
	buffer_gl0_inv
	ds_load_2addr_b64 v[80:83], v90 offset0:34 offset1:35
	s_cmp_lt_i32 s5, 19
	s_cbranch_scc1 .LBB38_359
; %bb.357:
	v_add3_u32 v89, v95, 0, 0x120
	v_mov_b32_e32 v88, 17
	s_mov_b32 s6, 18
	s_set_inst_prefetch_distance 0x1
	.p2align	6
.LBB38_358:                             ; =>This Inner Loop Header: Depth=1
	ds_load_2addr_b64 v[97:100], v89 offset1:1
	s_waitcnt lgkmcnt(1)
	v_cmp_gt_f64_e32 vcc_lo, 0, v[80:81]
	v_xor_b32_e32 v101, 0x80000000, v81
	v_cmp_gt_f64_e64 s2, 0, v[82:83]
	v_xor_b32_e32 v103, 0x80000000, v83
	v_add_nc_u32_e32 v89, 16, v89
	s_waitcnt lgkmcnt(0)
	v_cmp_gt_f64_e64 s3, 0, v[97:98]
	v_mov_b32_e32 v105, v97
	v_dual_mov_b32 v107, v99 :: v_dual_cndmask_b32 v102, v81, v101
	v_xor_b32_e32 v101, 0x80000000, v98
	v_cndmask_b32_e64 v104, v83, v103, s2
	v_xor_b32_e32 v103, 0x80000000, v100
	s_delay_alu instid0(VALU_DEP_3) | instskip(SKIP_2) | instid1(VALU_DEP_2)
	v_cndmask_b32_e64 v106, v98, v101, s3
	v_cmp_gt_f64_e64 s3, 0, v[99:100]
	v_cndmask_b32_e32 v101, v80, v80, vcc_lo
	v_cndmask_b32_e64 v108, v100, v103, s3
	v_cndmask_b32_e64 v103, v82, v82, s2
	s_delay_alu instid0(VALU_DEP_2) | instskip(NEXT) | instid1(VALU_DEP_2)
	v_add_f64 v[105:106], v[105:106], v[107:108]
	v_add_f64 v[101:102], v[101:102], v[103:104]
	s_delay_alu instid0(VALU_DEP_1) | instskip(SKIP_4) | instid1(SALU_CYCLE_1)
	v_cmp_lt_f64_e32 vcc_lo, v[101:102], v[105:106]
	v_dual_cndmask_b32 v82, v82, v99 :: v_dual_cndmask_b32 v81, v81, v98
	v_dual_cndmask_b32 v80, v80, v97 :: v_dual_cndmask_b32 v83, v83, v100
	v_cndmask_b32_e64 v88, v88, s6, vcc_lo
	s_add_i32 s6, s6, 1
	s_cmp_lg_u32 s5, s6
	s_cbranch_scc1 .LBB38_358
.LBB38_359:
	s_set_inst_prefetch_distance 0x2
	s_waitcnt lgkmcnt(0)
	v_cmp_eq_f64_e32 vcc_lo, 0, v[80:81]
	v_cmp_eq_f64_e64 s2, 0, v[82:83]
	s_delay_alu instid0(VALU_DEP_1) | instskip(NEXT) | instid1(SALU_CYCLE_1)
	s_and_b32 s2, vcc_lo, s2
	s_and_saveexec_b32 s3, s2
	s_delay_alu instid0(SALU_CYCLE_1)
	s_xor_b32 s2, exec_lo, s3
; %bb.360:
	v_cmp_ne_u32_e32 vcc_lo, 0, v94
	v_cndmask_b32_e32 v94, 18, v94, vcc_lo
; %bb.361:
	s_and_not1_saveexec_b32 s3, s2
	s_cbranch_execz .LBB38_367
; %bb.362:
	v_cmp_gt_f64_e32 vcc_lo, 0, v[80:81]
	v_cmp_gt_f64_e64 s2, 0, v[82:83]
	v_xor_b32_e32 v89, 0x80000000, v81
	v_xor_b32_e32 v97, 0x80000000, v83
	s_delay_alu instid0(VALU_DEP_2) | instskip(NEXT) | instid1(VALU_DEP_2)
	v_cndmask_b32_e32 v98, v81, v89, vcc_lo
	v_cndmask_b32_e64 v100, v83, v97, s2
	v_cndmask_b32_e32 v97, v80, v80, vcc_lo
	v_cndmask_b32_e64 v99, v82, v82, s2
	s_mov_b32 s2, exec_lo
	s_delay_alu instid0(VALU_DEP_1)
	v_cmpx_ngt_f64_e32 v[97:98], v[99:100]
	s_xor_b32 s2, exec_lo, s2
	s_cbranch_execz .LBB38_364
; %bb.363:
	v_div_scale_f64 v[97:98], null, v[82:83], v[82:83], v[80:81]
	v_div_scale_f64 v[103:104], vcc_lo, v[80:81], v[82:83], v[80:81]
	s_delay_alu instid0(VALU_DEP_2) | instskip(SKIP_2) | instid1(VALU_DEP_1)
	v_rcp_f64_e32 v[99:100], v[97:98]
	s_waitcnt_depctr 0xfff
	v_fma_f64 v[101:102], -v[97:98], v[99:100], 1.0
	v_fma_f64 v[99:100], v[99:100], v[101:102], v[99:100]
	s_delay_alu instid0(VALU_DEP_1) | instskip(NEXT) | instid1(VALU_DEP_1)
	v_fma_f64 v[101:102], -v[97:98], v[99:100], 1.0
	v_fma_f64 v[99:100], v[99:100], v[101:102], v[99:100]
	s_delay_alu instid0(VALU_DEP_1) | instskip(NEXT) | instid1(VALU_DEP_1)
	v_mul_f64 v[101:102], v[103:104], v[99:100]
	v_fma_f64 v[97:98], -v[97:98], v[101:102], v[103:104]
	s_delay_alu instid0(VALU_DEP_1) | instskip(NEXT) | instid1(VALU_DEP_1)
	v_div_fmas_f64 v[97:98], v[97:98], v[99:100], v[101:102]
	v_div_fixup_f64 v[97:98], v[97:98], v[82:83], v[80:81]
	s_delay_alu instid0(VALU_DEP_1) | instskip(NEXT) | instid1(VALU_DEP_1)
	v_fma_f64 v[80:81], v[80:81], v[97:98], v[82:83]
	v_div_scale_f64 v[82:83], null, v[80:81], v[80:81], 1.0
	s_delay_alu instid0(VALU_DEP_1) | instskip(SKIP_2) | instid1(VALU_DEP_1)
	v_rcp_f64_e32 v[99:100], v[82:83]
	s_waitcnt_depctr 0xfff
	v_fma_f64 v[101:102], -v[82:83], v[99:100], 1.0
	v_fma_f64 v[99:100], v[99:100], v[101:102], v[99:100]
	s_delay_alu instid0(VALU_DEP_1) | instskip(NEXT) | instid1(VALU_DEP_1)
	v_fma_f64 v[101:102], -v[82:83], v[99:100], 1.0
	v_fma_f64 v[99:100], v[99:100], v[101:102], v[99:100]
	v_div_scale_f64 v[101:102], vcc_lo, 1.0, v[80:81], 1.0
	s_delay_alu instid0(VALU_DEP_1) | instskip(NEXT) | instid1(VALU_DEP_1)
	v_mul_f64 v[103:104], v[101:102], v[99:100]
	v_fma_f64 v[82:83], -v[82:83], v[103:104], v[101:102]
	s_delay_alu instid0(VALU_DEP_1) | instskip(NEXT) | instid1(VALU_DEP_1)
	v_div_fmas_f64 v[82:83], v[82:83], v[99:100], v[103:104]
	v_div_fixup_f64 v[82:83], v[82:83], v[80:81], 1.0
	s_delay_alu instid0(VALU_DEP_1)
	v_mul_f64 v[80:81], v[97:98], v[82:83]
	v_xor_b32_e32 v83, 0x80000000, v83
.LBB38_364:
	s_and_not1_saveexec_b32 s2, s2
	s_cbranch_execz .LBB38_366
; %bb.365:
	s_delay_alu instid0(VALU_DEP_1) | instskip(SKIP_1) | instid1(VALU_DEP_2)
	v_div_scale_f64 v[97:98], null, v[80:81], v[80:81], v[82:83]
	v_div_scale_f64 v[103:104], vcc_lo, v[82:83], v[80:81], v[82:83]
	v_rcp_f64_e32 v[99:100], v[97:98]
	s_waitcnt_depctr 0xfff
	v_fma_f64 v[101:102], -v[97:98], v[99:100], 1.0
	s_delay_alu instid0(VALU_DEP_1) | instskip(NEXT) | instid1(VALU_DEP_1)
	v_fma_f64 v[99:100], v[99:100], v[101:102], v[99:100]
	v_fma_f64 v[101:102], -v[97:98], v[99:100], 1.0
	s_delay_alu instid0(VALU_DEP_1) | instskip(NEXT) | instid1(VALU_DEP_1)
	v_fma_f64 v[99:100], v[99:100], v[101:102], v[99:100]
	v_mul_f64 v[101:102], v[103:104], v[99:100]
	s_delay_alu instid0(VALU_DEP_1) | instskip(NEXT) | instid1(VALU_DEP_1)
	v_fma_f64 v[97:98], -v[97:98], v[101:102], v[103:104]
	v_div_fmas_f64 v[97:98], v[97:98], v[99:100], v[101:102]
	s_delay_alu instid0(VALU_DEP_1) | instskip(NEXT) | instid1(VALU_DEP_1)
	v_div_fixup_f64 v[97:98], v[97:98], v[80:81], v[82:83]
	v_fma_f64 v[80:81], v[82:83], v[97:98], v[80:81]
	s_delay_alu instid0(VALU_DEP_1) | instskip(NEXT) | instid1(VALU_DEP_1)
	v_div_scale_f64 v[82:83], null, v[80:81], v[80:81], 1.0
	v_rcp_f64_e32 v[99:100], v[82:83]
	s_waitcnt_depctr 0xfff
	v_fma_f64 v[101:102], -v[82:83], v[99:100], 1.0
	s_delay_alu instid0(VALU_DEP_1) | instskip(NEXT) | instid1(VALU_DEP_1)
	v_fma_f64 v[99:100], v[99:100], v[101:102], v[99:100]
	v_fma_f64 v[101:102], -v[82:83], v[99:100], 1.0
	s_delay_alu instid0(VALU_DEP_1) | instskip(SKIP_1) | instid1(VALU_DEP_1)
	v_fma_f64 v[99:100], v[99:100], v[101:102], v[99:100]
	v_div_scale_f64 v[101:102], vcc_lo, 1.0, v[80:81], 1.0
	v_mul_f64 v[103:104], v[101:102], v[99:100]
	s_delay_alu instid0(VALU_DEP_1) | instskip(NEXT) | instid1(VALU_DEP_1)
	v_fma_f64 v[82:83], -v[82:83], v[103:104], v[101:102]
	v_div_fmas_f64 v[82:83], v[82:83], v[99:100], v[103:104]
	s_delay_alu instid0(VALU_DEP_1) | instskip(NEXT) | instid1(VALU_DEP_1)
	v_div_fixup_f64 v[80:81], v[82:83], v[80:81], 1.0
	v_mul_f64 v[82:83], v[97:98], -v[80:81]
.LBB38_366:
	s_or_b32 exec_lo, exec_lo, s2
.LBB38_367:
	s_delay_alu instid0(SALU_CYCLE_1) | instskip(NEXT) | instid1(SALU_CYCLE_1)
	s_or_b32 exec_lo, exec_lo, s3
	s_mov_b32 s2, exec_lo
	v_cmpx_ne_u32_e64 v96, v88
	s_xor_b32 s2, exec_lo, s2
	s_cbranch_execz .LBB38_373
; %bb.368:
	s_mov_b32 s3, exec_lo
	v_cmpx_eq_u32_e32 17, v96
	s_cbranch_execz .LBB38_372
; %bb.369:
	v_cmp_ne_u32_e32 vcc_lo, 17, v88
	s_xor_b32 s6, s4, -1
	s_delay_alu instid0(SALU_CYCLE_1) | instskip(NEXT) | instid1(SALU_CYCLE_1)
	s_and_b32 s7, s6, vcc_lo
	s_and_saveexec_b32 s6, s7
	s_cbranch_execz .LBB38_371
; %bb.370:
	v_ashrrev_i32_e32 v89, 31, v88
	s_delay_alu instid0(VALU_DEP_1) | instskip(NEXT) | instid1(VALU_DEP_1)
	v_lshlrev_b64 v[96:97], 2, v[88:89]
	v_add_co_u32 v96, vcc_lo, v86, v96
	s_delay_alu instid0(VALU_DEP_2)
	v_add_co_ci_u32_e32 v97, vcc_lo, v87, v97, vcc_lo
	s_clause 0x1
	flat_load_b32 v89, v[96:97]
	flat_load_b32 v93, v[86:87] offset:68
	s_waitcnt vmcnt(1) lgkmcnt(1)
	flat_store_b32 v[86:87], v89 offset:68
	s_waitcnt vmcnt(0) lgkmcnt(1)
	flat_store_b32 v[96:97], v93
.LBB38_371:
	s_or_b32 exec_lo, exec_lo, s6
	v_mov_b32_e32 v96, v88
	v_mov_b32_e32 v93, v88
.LBB38_372:
	s_or_b32 exec_lo, exec_lo, s3
.LBB38_373:
	s_and_not1_saveexec_b32 s2, s2
	s_cbranch_execz .LBB38_375
; %bb.374:
	v_mov_b32_e32 v96, 17
	ds_store_2addr_b64 v90, v[4:5], v[6:7] offset0:36 offset1:37
	ds_store_2addr_b64 v90, v[0:1], v[2:3] offset0:38 offset1:39
.LBB38_375:
	s_or_b32 exec_lo, exec_lo, s2
	s_delay_alu instid0(SALU_CYCLE_1)
	s_mov_b32 s2, exec_lo
	s_waitcnt lgkmcnt(0)
	s_waitcnt_vscnt null, 0x0
	s_barrier
	buffer_gl0_inv
	v_cmpx_lt_i32_e32 17, v96
	s_cbranch_execz .LBB38_377
; %bb.376:
	v_mul_f64 v[88:89], v[80:81], v[10:11]
	v_mul_f64 v[10:11], v[82:83], v[10:11]
	ds_load_2addr_b64 v[97:100], v90 offset0:36 offset1:37
	ds_load_2addr_b64 v[101:104], v90 offset0:38 offset1:39
	v_fma_f64 v[82:83], v[82:83], v[8:9], v[88:89]
	v_fma_f64 v[8:9], v[80:81], v[8:9], -v[10:11]
	s_waitcnt lgkmcnt(1)
	s_delay_alu instid0(VALU_DEP_2) | instskip(SKIP_4) | instid1(VALU_DEP_4)
	v_mul_f64 v[10:11], v[99:100], v[82:83]
	v_mul_f64 v[80:81], v[97:98], v[82:83]
	s_waitcnt lgkmcnt(0)
	v_mul_f64 v[88:89], v[103:104], v[82:83]
	v_mul_f64 v[105:106], v[101:102], v[82:83]
	v_fma_f64 v[10:11], v[97:98], v[8:9], -v[10:11]
	s_delay_alu instid0(VALU_DEP_4) | instskip(NEXT) | instid1(VALU_DEP_4)
	v_fma_f64 v[80:81], v[99:100], v[8:9], v[80:81]
	v_fma_f64 v[88:89], v[101:102], v[8:9], -v[88:89]
	s_delay_alu instid0(VALU_DEP_4) | instskip(NEXT) | instid1(VALU_DEP_4)
	v_fma_f64 v[97:98], v[103:104], v[8:9], v[105:106]
	v_add_f64 v[4:5], v[4:5], -v[10:11]
	s_delay_alu instid0(VALU_DEP_4) | instskip(NEXT) | instid1(VALU_DEP_4)
	v_add_f64 v[6:7], v[6:7], -v[80:81]
	v_add_f64 v[0:1], v[0:1], -v[88:89]
	s_delay_alu instid0(VALU_DEP_4)
	v_add_f64 v[2:3], v[2:3], -v[97:98]
	v_dual_mov_b32 v10, v82 :: v_dual_mov_b32 v11, v83
.LBB38_377:
	s_or_b32 exec_lo, exec_lo, s2
	v_lshl_add_u32 v80, v96, 4, v90
	s_barrier
	buffer_gl0_inv
	v_mov_b32_e32 v88, 18
	ds_store_2addr_b64 v80, v[4:5], v[6:7] offset1:1
	s_waitcnt lgkmcnt(0)
	s_barrier
	buffer_gl0_inv
	ds_load_2addr_b64 v[80:83], v90 offset0:36 offset1:37
	s_cmp_lt_i32 s5, 20
	s_cbranch_scc1 .LBB38_380
; %bb.378:
	v_add3_u32 v89, v95, 0, 0x130
	v_mov_b32_e32 v88, 18
	s_mov_b32 s6, 19
	s_set_inst_prefetch_distance 0x1
	.p2align	6
.LBB38_379:                             ; =>This Inner Loop Header: Depth=1
	ds_load_2addr_b64 v[97:100], v89 offset1:1
	s_waitcnt lgkmcnt(1)
	v_cmp_gt_f64_e32 vcc_lo, 0, v[80:81]
	v_xor_b32_e32 v101, 0x80000000, v81
	v_cmp_gt_f64_e64 s2, 0, v[82:83]
	v_xor_b32_e32 v103, 0x80000000, v83
	v_add_nc_u32_e32 v89, 16, v89
	s_waitcnt lgkmcnt(0)
	v_cmp_gt_f64_e64 s3, 0, v[97:98]
	v_mov_b32_e32 v105, v97
	v_dual_mov_b32 v107, v99 :: v_dual_cndmask_b32 v102, v81, v101
	v_xor_b32_e32 v101, 0x80000000, v98
	v_cndmask_b32_e64 v104, v83, v103, s2
	v_xor_b32_e32 v103, 0x80000000, v100
	s_delay_alu instid0(VALU_DEP_3) | instskip(SKIP_2) | instid1(VALU_DEP_2)
	v_cndmask_b32_e64 v106, v98, v101, s3
	v_cmp_gt_f64_e64 s3, 0, v[99:100]
	v_cndmask_b32_e32 v101, v80, v80, vcc_lo
	v_cndmask_b32_e64 v108, v100, v103, s3
	v_cndmask_b32_e64 v103, v82, v82, s2
	s_delay_alu instid0(VALU_DEP_2) | instskip(NEXT) | instid1(VALU_DEP_2)
	v_add_f64 v[105:106], v[105:106], v[107:108]
	v_add_f64 v[101:102], v[101:102], v[103:104]
	s_delay_alu instid0(VALU_DEP_1) | instskip(SKIP_4) | instid1(SALU_CYCLE_1)
	v_cmp_lt_f64_e32 vcc_lo, v[101:102], v[105:106]
	v_dual_cndmask_b32 v82, v82, v99 :: v_dual_cndmask_b32 v81, v81, v98
	v_dual_cndmask_b32 v80, v80, v97 :: v_dual_cndmask_b32 v83, v83, v100
	v_cndmask_b32_e64 v88, v88, s6, vcc_lo
	s_add_i32 s6, s6, 1
	s_cmp_lg_u32 s5, s6
	s_cbranch_scc1 .LBB38_379
.LBB38_380:
	s_set_inst_prefetch_distance 0x2
	s_waitcnt lgkmcnt(0)
	v_cmp_eq_f64_e32 vcc_lo, 0, v[80:81]
	v_cmp_eq_f64_e64 s2, 0, v[82:83]
	s_delay_alu instid0(VALU_DEP_1) | instskip(NEXT) | instid1(SALU_CYCLE_1)
	s_and_b32 s2, vcc_lo, s2
	s_and_saveexec_b32 s3, s2
	s_delay_alu instid0(SALU_CYCLE_1)
	s_xor_b32 s2, exec_lo, s3
; %bb.381:
	v_cmp_ne_u32_e32 vcc_lo, 0, v94
	v_cndmask_b32_e32 v94, 19, v94, vcc_lo
; %bb.382:
	s_and_not1_saveexec_b32 s3, s2
	s_cbranch_execz .LBB38_388
; %bb.383:
	v_cmp_gt_f64_e32 vcc_lo, 0, v[80:81]
	v_cmp_gt_f64_e64 s2, 0, v[82:83]
	v_xor_b32_e32 v89, 0x80000000, v81
	v_xor_b32_e32 v97, 0x80000000, v83
	s_delay_alu instid0(VALU_DEP_2) | instskip(NEXT) | instid1(VALU_DEP_2)
	v_cndmask_b32_e32 v98, v81, v89, vcc_lo
	v_cndmask_b32_e64 v100, v83, v97, s2
	v_cndmask_b32_e32 v97, v80, v80, vcc_lo
	v_cndmask_b32_e64 v99, v82, v82, s2
	s_mov_b32 s2, exec_lo
	s_delay_alu instid0(VALU_DEP_1)
	v_cmpx_ngt_f64_e32 v[97:98], v[99:100]
	s_xor_b32 s2, exec_lo, s2
	s_cbranch_execz .LBB38_385
; %bb.384:
	v_div_scale_f64 v[97:98], null, v[82:83], v[82:83], v[80:81]
	v_div_scale_f64 v[103:104], vcc_lo, v[80:81], v[82:83], v[80:81]
	s_delay_alu instid0(VALU_DEP_2) | instskip(SKIP_2) | instid1(VALU_DEP_1)
	v_rcp_f64_e32 v[99:100], v[97:98]
	s_waitcnt_depctr 0xfff
	v_fma_f64 v[101:102], -v[97:98], v[99:100], 1.0
	v_fma_f64 v[99:100], v[99:100], v[101:102], v[99:100]
	s_delay_alu instid0(VALU_DEP_1) | instskip(NEXT) | instid1(VALU_DEP_1)
	v_fma_f64 v[101:102], -v[97:98], v[99:100], 1.0
	v_fma_f64 v[99:100], v[99:100], v[101:102], v[99:100]
	s_delay_alu instid0(VALU_DEP_1) | instskip(NEXT) | instid1(VALU_DEP_1)
	v_mul_f64 v[101:102], v[103:104], v[99:100]
	v_fma_f64 v[97:98], -v[97:98], v[101:102], v[103:104]
	s_delay_alu instid0(VALU_DEP_1) | instskip(NEXT) | instid1(VALU_DEP_1)
	v_div_fmas_f64 v[97:98], v[97:98], v[99:100], v[101:102]
	v_div_fixup_f64 v[97:98], v[97:98], v[82:83], v[80:81]
	s_delay_alu instid0(VALU_DEP_1) | instskip(NEXT) | instid1(VALU_DEP_1)
	v_fma_f64 v[80:81], v[80:81], v[97:98], v[82:83]
	v_div_scale_f64 v[82:83], null, v[80:81], v[80:81], 1.0
	s_delay_alu instid0(VALU_DEP_1) | instskip(SKIP_2) | instid1(VALU_DEP_1)
	v_rcp_f64_e32 v[99:100], v[82:83]
	s_waitcnt_depctr 0xfff
	v_fma_f64 v[101:102], -v[82:83], v[99:100], 1.0
	v_fma_f64 v[99:100], v[99:100], v[101:102], v[99:100]
	s_delay_alu instid0(VALU_DEP_1) | instskip(NEXT) | instid1(VALU_DEP_1)
	v_fma_f64 v[101:102], -v[82:83], v[99:100], 1.0
	v_fma_f64 v[99:100], v[99:100], v[101:102], v[99:100]
	v_div_scale_f64 v[101:102], vcc_lo, 1.0, v[80:81], 1.0
	s_delay_alu instid0(VALU_DEP_1) | instskip(NEXT) | instid1(VALU_DEP_1)
	v_mul_f64 v[103:104], v[101:102], v[99:100]
	v_fma_f64 v[82:83], -v[82:83], v[103:104], v[101:102]
	s_delay_alu instid0(VALU_DEP_1) | instskip(NEXT) | instid1(VALU_DEP_1)
	v_div_fmas_f64 v[82:83], v[82:83], v[99:100], v[103:104]
	v_div_fixup_f64 v[82:83], v[82:83], v[80:81], 1.0
	s_delay_alu instid0(VALU_DEP_1)
	v_mul_f64 v[80:81], v[97:98], v[82:83]
	v_xor_b32_e32 v83, 0x80000000, v83
.LBB38_385:
	s_and_not1_saveexec_b32 s2, s2
	s_cbranch_execz .LBB38_387
; %bb.386:
	s_delay_alu instid0(VALU_DEP_1) | instskip(SKIP_1) | instid1(VALU_DEP_2)
	v_div_scale_f64 v[97:98], null, v[80:81], v[80:81], v[82:83]
	v_div_scale_f64 v[103:104], vcc_lo, v[82:83], v[80:81], v[82:83]
	v_rcp_f64_e32 v[99:100], v[97:98]
	s_waitcnt_depctr 0xfff
	v_fma_f64 v[101:102], -v[97:98], v[99:100], 1.0
	s_delay_alu instid0(VALU_DEP_1) | instskip(NEXT) | instid1(VALU_DEP_1)
	v_fma_f64 v[99:100], v[99:100], v[101:102], v[99:100]
	v_fma_f64 v[101:102], -v[97:98], v[99:100], 1.0
	s_delay_alu instid0(VALU_DEP_1) | instskip(NEXT) | instid1(VALU_DEP_1)
	v_fma_f64 v[99:100], v[99:100], v[101:102], v[99:100]
	v_mul_f64 v[101:102], v[103:104], v[99:100]
	s_delay_alu instid0(VALU_DEP_1) | instskip(NEXT) | instid1(VALU_DEP_1)
	v_fma_f64 v[97:98], -v[97:98], v[101:102], v[103:104]
	v_div_fmas_f64 v[97:98], v[97:98], v[99:100], v[101:102]
	s_delay_alu instid0(VALU_DEP_1) | instskip(NEXT) | instid1(VALU_DEP_1)
	v_div_fixup_f64 v[97:98], v[97:98], v[80:81], v[82:83]
	v_fma_f64 v[80:81], v[82:83], v[97:98], v[80:81]
	s_delay_alu instid0(VALU_DEP_1) | instskip(NEXT) | instid1(VALU_DEP_1)
	v_div_scale_f64 v[82:83], null, v[80:81], v[80:81], 1.0
	v_rcp_f64_e32 v[99:100], v[82:83]
	s_waitcnt_depctr 0xfff
	v_fma_f64 v[101:102], -v[82:83], v[99:100], 1.0
	s_delay_alu instid0(VALU_DEP_1) | instskip(NEXT) | instid1(VALU_DEP_1)
	v_fma_f64 v[99:100], v[99:100], v[101:102], v[99:100]
	v_fma_f64 v[101:102], -v[82:83], v[99:100], 1.0
	s_delay_alu instid0(VALU_DEP_1) | instskip(SKIP_1) | instid1(VALU_DEP_1)
	v_fma_f64 v[99:100], v[99:100], v[101:102], v[99:100]
	v_div_scale_f64 v[101:102], vcc_lo, 1.0, v[80:81], 1.0
	v_mul_f64 v[103:104], v[101:102], v[99:100]
	s_delay_alu instid0(VALU_DEP_1) | instskip(NEXT) | instid1(VALU_DEP_1)
	v_fma_f64 v[82:83], -v[82:83], v[103:104], v[101:102]
	v_div_fmas_f64 v[82:83], v[82:83], v[99:100], v[103:104]
	s_delay_alu instid0(VALU_DEP_1) | instskip(NEXT) | instid1(VALU_DEP_1)
	v_div_fixup_f64 v[80:81], v[82:83], v[80:81], 1.0
	v_mul_f64 v[82:83], v[97:98], -v[80:81]
.LBB38_387:
	s_or_b32 exec_lo, exec_lo, s2
.LBB38_388:
	s_delay_alu instid0(SALU_CYCLE_1) | instskip(NEXT) | instid1(SALU_CYCLE_1)
	s_or_b32 exec_lo, exec_lo, s3
	s_mov_b32 s2, exec_lo
	v_cmpx_ne_u32_e64 v96, v88
	s_xor_b32 s2, exec_lo, s2
	s_cbranch_execz .LBB38_394
; %bb.389:
	s_mov_b32 s3, exec_lo
	v_cmpx_eq_u32_e32 18, v96
	s_cbranch_execz .LBB38_393
; %bb.390:
	v_cmp_ne_u32_e32 vcc_lo, 18, v88
	s_xor_b32 s6, s4, -1
	s_delay_alu instid0(SALU_CYCLE_1) | instskip(NEXT) | instid1(SALU_CYCLE_1)
	s_and_b32 s7, s6, vcc_lo
	s_and_saveexec_b32 s6, s7
	s_cbranch_execz .LBB38_392
; %bb.391:
	v_ashrrev_i32_e32 v89, 31, v88
	s_delay_alu instid0(VALU_DEP_1) | instskip(NEXT) | instid1(VALU_DEP_1)
	v_lshlrev_b64 v[96:97], 2, v[88:89]
	v_add_co_u32 v96, vcc_lo, v86, v96
	s_delay_alu instid0(VALU_DEP_2)
	v_add_co_ci_u32_e32 v97, vcc_lo, v87, v97, vcc_lo
	s_clause 0x1
	flat_load_b32 v89, v[96:97]
	flat_load_b32 v93, v[86:87] offset:72
	s_waitcnt vmcnt(1) lgkmcnt(1)
	flat_store_b32 v[86:87], v89 offset:72
	s_waitcnt vmcnt(0) lgkmcnt(1)
	flat_store_b32 v[96:97], v93
.LBB38_392:
	s_or_b32 exec_lo, exec_lo, s6
	v_mov_b32_e32 v96, v88
	v_mov_b32_e32 v93, v88
.LBB38_393:
	s_or_b32 exec_lo, exec_lo, s3
.LBB38_394:
	s_and_not1_saveexec_b32 s2, s2
	s_cbranch_execz .LBB38_396
; %bb.395:
	v_mov_b32_e32 v96, 18
	ds_store_2addr_b64 v90, v[0:1], v[2:3] offset0:38 offset1:39
.LBB38_396:
	s_or_b32 exec_lo, exec_lo, s2
	s_delay_alu instid0(SALU_CYCLE_1)
	s_mov_b32 s2, exec_lo
	s_waitcnt lgkmcnt(0)
	s_waitcnt_vscnt null, 0x0
	s_barrier
	buffer_gl0_inv
	v_cmpx_lt_i32_e32 18, v96
	s_cbranch_execz .LBB38_398
; %bb.397:
	v_mul_f64 v[88:89], v[80:81], v[6:7]
	v_mul_f64 v[6:7], v[82:83], v[6:7]
	ds_load_2addr_b64 v[97:100], v90 offset0:38 offset1:39
	v_fma_f64 v[82:83], v[82:83], v[4:5], v[88:89]
	v_fma_f64 v[4:5], v[80:81], v[4:5], -v[6:7]
	s_waitcnt lgkmcnt(0)
	s_delay_alu instid0(VALU_DEP_2) | instskip(SKIP_1) | instid1(VALU_DEP_2)
	v_mul_f64 v[6:7], v[99:100], v[82:83]
	v_mul_f64 v[80:81], v[97:98], v[82:83]
	v_fma_f64 v[6:7], v[97:98], v[4:5], -v[6:7]
	s_delay_alu instid0(VALU_DEP_2) | instskip(NEXT) | instid1(VALU_DEP_2)
	v_fma_f64 v[80:81], v[99:100], v[4:5], v[80:81]
	v_add_f64 v[0:1], v[0:1], -v[6:7]
	s_delay_alu instid0(VALU_DEP_2)
	v_add_f64 v[2:3], v[2:3], -v[80:81]
	v_dual_mov_b32 v6, v82 :: v_dual_mov_b32 v7, v83
.LBB38_398:
	s_or_b32 exec_lo, exec_lo, s2
	v_lshl_add_u32 v80, v96, 4, v90
	s_barrier
	buffer_gl0_inv
	v_mov_b32_e32 v88, 19
	ds_store_2addr_b64 v80, v[0:1], v[2:3] offset1:1
	s_waitcnt lgkmcnt(0)
	s_barrier
	buffer_gl0_inv
	ds_load_2addr_b64 v[80:83], v90 offset0:38 offset1:39
	s_cmp_lt_i32 s5, 21
	s_cbranch_scc1 .LBB38_401
; %bb.399:
	v_add3_u32 v89, v95, 0, 0x140
	v_mov_b32_e32 v88, 19
	s_mov_b32 s6, 20
	s_set_inst_prefetch_distance 0x1
	.p2align	6
.LBB38_400:                             ; =>This Inner Loop Header: Depth=1
	ds_load_2addr_b64 v[97:100], v89 offset1:1
	s_waitcnt lgkmcnt(1)
	v_cmp_gt_f64_e32 vcc_lo, 0, v[80:81]
	v_xor_b32_e32 v90, 0x80000000, v81
	v_cmp_gt_f64_e64 s2, 0, v[82:83]
	v_xor_b32_e32 v95, 0x80000000, v83
	v_add_nc_u32_e32 v89, 16, v89
	s_waitcnt lgkmcnt(0)
	v_cmp_gt_f64_e64 s3, 0, v[97:98]
	v_mov_b32_e32 v105, v97
	v_dual_mov_b32 v107, v99 :: v_dual_cndmask_b32 v102, v81, v90
	v_xor_b32_e32 v90, 0x80000000, v98
	v_cndmask_b32_e64 v104, v83, v95, s2
	v_xor_b32_e32 v95, 0x80000000, v100
	v_cndmask_b32_e32 v101, v80, v80, vcc_lo
	v_cndmask_b32_e64 v103, v82, v82, s2
	s_delay_alu instid0(VALU_DEP_1) | instskip(SKIP_2) | instid1(VALU_DEP_1)
	v_add_f64 v[101:102], v[101:102], v[103:104]
	v_cndmask_b32_e64 v106, v98, v90, s3
	v_cmp_gt_f64_e64 s3, 0, v[99:100]
	v_cndmask_b32_e64 v108, v100, v95, s3
	s_delay_alu instid0(VALU_DEP_1) | instskip(NEXT) | instid1(VALU_DEP_1)
	v_add_f64 v[105:106], v[105:106], v[107:108]
	v_cmp_lt_f64_e32 vcc_lo, v[101:102], v[105:106]
	v_dual_cndmask_b32 v82, v82, v99 :: v_dual_cndmask_b32 v81, v81, v98
	v_dual_cndmask_b32 v80, v80, v97 :: v_dual_cndmask_b32 v83, v83, v100
	v_cndmask_b32_e64 v88, v88, s6, vcc_lo
	s_add_i32 s6, s6, 1
	s_delay_alu instid0(SALU_CYCLE_1)
	s_cmp_lg_u32 s5, s6
	s_cbranch_scc1 .LBB38_400
.LBB38_401:
	s_set_inst_prefetch_distance 0x2
	s_waitcnt lgkmcnt(0)
	v_cmp_eq_f64_e32 vcc_lo, 0, v[80:81]
	v_cmp_eq_f64_e64 s2, 0, v[82:83]
	s_delay_alu instid0(VALU_DEP_1) | instskip(NEXT) | instid1(SALU_CYCLE_1)
	s_and_b32 s2, vcc_lo, s2
	s_and_saveexec_b32 s3, s2
	s_delay_alu instid0(SALU_CYCLE_1)
	s_xor_b32 s2, exec_lo, s3
; %bb.402:
	v_cmp_ne_u32_e32 vcc_lo, 0, v94
	v_cndmask_b32_e32 v94, 20, v94, vcc_lo
; %bb.403:
	s_and_not1_saveexec_b32 s3, s2
	s_cbranch_execz .LBB38_409
; %bb.404:
	v_cmp_gt_f64_e32 vcc_lo, 0, v[80:81]
	v_cmp_gt_f64_e64 s2, 0, v[82:83]
	v_xor_b32_e32 v89, 0x80000000, v81
	v_xor_b32_e32 v95, 0x80000000, v83
	s_delay_alu instid0(VALU_DEP_2) | instskip(NEXT) | instid1(VALU_DEP_2)
	v_dual_cndmask_b32 v90, v81, v89 :: v_dual_cndmask_b32 v89, v80, v80
	v_cndmask_b32_e64 v98, v83, v95, s2
	v_cndmask_b32_e64 v97, v82, v82, s2
	s_mov_b32 s2, exec_lo
	s_delay_alu instid0(VALU_DEP_1)
	v_cmpx_ngt_f64_e32 v[89:90], v[97:98]
	s_xor_b32 s2, exec_lo, s2
	s_cbranch_execz .LBB38_406
; %bb.405:
	v_div_scale_f64 v[89:90], null, v[82:83], v[82:83], v[80:81]
	v_div_scale_f64 v[101:102], vcc_lo, v[80:81], v[82:83], v[80:81]
	s_delay_alu instid0(VALU_DEP_2) | instskip(SKIP_2) | instid1(VALU_DEP_1)
	v_rcp_f64_e32 v[97:98], v[89:90]
	s_waitcnt_depctr 0xfff
	v_fma_f64 v[99:100], -v[89:90], v[97:98], 1.0
	v_fma_f64 v[97:98], v[97:98], v[99:100], v[97:98]
	s_delay_alu instid0(VALU_DEP_1) | instskip(NEXT) | instid1(VALU_DEP_1)
	v_fma_f64 v[99:100], -v[89:90], v[97:98], 1.0
	v_fma_f64 v[97:98], v[97:98], v[99:100], v[97:98]
	s_delay_alu instid0(VALU_DEP_1) | instskip(NEXT) | instid1(VALU_DEP_1)
	v_mul_f64 v[99:100], v[101:102], v[97:98]
	v_fma_f64 v[89:90], -v[89:90], v[99:100], v[101:102]
	s_delay_alu instid0(VALU_DEP_1) | instskip(NEXT) | instid1(VALU_DEP_1)
	v_div_fmas_f64 v[89:90], v[89:90], v[97:98], v[99:100]
	v_div_fixup_f64 v[89:90], v[89:90], v[82:83], v[80:81]
	s_delay_alu instid0(VALU_DEP_1) | instskip(NEXT) | instid1(VALU_DEP_1)
	v_fma_f64 v[80:81], v[80:81], v[89:90], v[82:83]
	v_div_scale_f64 v[82:83], null, v[80:81], v[80:81], 1.0
	s_delay_alu instid0(VALU_DEP_1) | instskip(SKIP_2) | instid1(VALU_DEP_1)
	v_rcp_f64_e32 v[97:98], v[82:83]
	s_waitcnt_depctr 0xfff
	v_fma_f64 v[99:100], -v[82:83], v[97:98], 1.0
	v_fma_f64 v[97:98], v[97:98], v[99:100], v[97:98]
	s_delay_alu instid0(VALU_DEP_1) | instskip(NEXT) | instid1(VALU_DEP_1)
	v_fma_f64 v[99:100], -v[82:83], v[97:98], 1.0
	v_fma_f64 v[97:98], v[97:98], v[99:100], v[97:98]
	v_div_scale_f64 v[99:100], vcc_lo, 1.0, v[80:81], 1.0
	s_delay_alu instid0(VALU_DEP_1) | instskip(NEXT) | instid1(VALU_DEP_1)
	v_mul_f64 v[101:102], v[99:100], v[97:98]
	v_fma_f64 v[82:83], -v[82:83], v[101:102], v[99:100]
	s_delay_alu instid0(VALU_DEP_1) | instskip(NEXT) | instid1(VALU_DEP_1)
	v_div_fmas_f64 v[82:83], v[82:83], v[97:98], v[101:102]
	v_div_fixup_f64 v[82:83], v[82:83], v[80:81], 1.0
	s_delay_alu instid0(VALU_DEP_1)
	v_mul_f64 v[80:81], v[89:90], v[82:83]
	v_xor_b32_e32 v83, 0x80000000, v83
.LBB38_406:
	s_and_not1_saveexec_b32 s2, s2
	s_cbranch_execz .LBB38_408
; %bb.407:
	s_delay_alu instid0(VALU_DEP_1) | instskip(SKIP_1) | instid1(VALU_DEP_2)
	v_div_scale_f64 v[89:90], null, v[80:81], v[80:81], v[82:83]
	v_div_scale_f64 v[101:102], vcc_lo, v[82:83], v[80:81], v[82:83]
	v_rcp_f64_e32 v[97:98], v[89:90]
	s_waitcnt_depctr 0xfff
	v_fma_f64 v[99:100], -v[89:90], v[97:98], 1.0
	s_delay_alu instid0(VALU_DEP_1) | instskip(NEXT) | instid1(VALU_DEP_1)
	v_fma_f64 v[97:98], v[97:98], v[99:100], v[97:98]
	v_fma_f64 v[99:100], -v[89:90], v[97:98], 1.0
	s_delay_alu instid0(VALU_DEP_1) | instskip(NEXT) | instid1(VALU_DEP_1)
	v_fma_f64 v[97:98], v[97:98], v[99:100], v[97:98]
	v_mul_f64 v[99:100], v[101:102], v[97:98]
	s_delay_alu instid0(VALU_DEP_1) | instskip(NEXT) | instid1(VALU_DEP_1)
	v_fma_f64 v[89:90], -v[89:90], v[99:100], v[101:102]
	v_div_fmas_f64 v[89:90], v[89:90], v[97:98], v[99:100]
	s_delay_alu instid0(VALU_DEP_1) | instskip(NEXT) | instid1(VALU_DEP_1)
	v_div_fixup_f64 v[89:90], v[89:90], v[80:81], v[82:83]
	v_fma_f64 v[80:81], v[82:83], v[89:90], v[80:81]
	s_delay_alu instid0(VALU_DEP_1) | instskip(NEXT) | instid1(VALU_DEP_1)
	v_div_scale_f64 v[82:83], null, v[80:81], v[80:81], 1.0
	v_rcp_f64_e32 v[97:98], v[82:83]
	s_waitcnt_depctr 0xfff
	v_fma_f64 v[99:100], -v[82:83], v[97:98], 1.0
	s_delay_alu instid0(VALU_DEP_1) | instskip(NEXT) | instid1(VALU_DEP_1)
	v_fma_f64 v[97:98], v[97:98], v[99:100], v[97:98]
	v_fma_f64 v[99:100], -v[82:83], v[97:98], 1.0
	s_delay_alu instid0(VALU_DEP_1) | instskip(SKIP_1) | instid1(VALU_DEP_1)
	v_fma_f64 v[97:98], v[97:98], v[99:100], v[97:98]
	v_div_scale_f64 v[99:100], vcc_lo, 1.0, v[80:81], 1.0
	v_mul_f64 v[101:102], v[99:100], v[97:98]
	s_delay_alu instid0(VALU_DEP_1) | instskip(NEXT) | instid1(VALU_DEP_1)
	v_fma_f64 v[82:83], -v[82:83], v[101:102], v[99:100]
	v_div_fmas_f64 v[82:83], v[82:83], v[97:98], v[101:102]
	s_delay_alu instid0(VALU_DEP_1) | instskip(NEXT) | instid1(VALU_DEP_1)
	v_div_fixup_f64 v[80:81], v[82:83], v[80:81], 1.0
	v_mul_f64 v[82:83], v[89:90], -v[80:81]
.LBB38_408:
	s_or_b32 exec_lo, exec_lo, s2
.LBB38_409:
	s_delay_alu instid0(SALU_CYCLE_1)
	s_or_b32 exec_lo, exec_lo, s3
	v_mov_b32_e32 v89, 19
	s_mov_b32 s2, exec_lo
	v_cmpx_ne_u32_e64 v96, v88
	s_cbranch_execz .LBB38_415
; %bb.410:
	s_mov_b32 s3, exec_lo
	v_cmpx_eq_u32_e32 19, v96
	s_cbranch_execz .LBB38_414
; %bb.411:
	v_cmp_ne_u32_e32 vcc_lo, 19, v88
	s_xor_b32 s4, s4, -1
	s_delay_alu instid0(SALU_CYCLE_1) | instskip(NEXT) | instid1(SALU_CYCLE_1)
	s_and_b32 s5, s4, vcc_lo
	s_and_saveexec_b32 s4, s5
	s_cbranch_execz .LBB38_413
; %bb.412:
	v_ashrrev_i32_e32 v89, 31, v88
	s_delay_alu instid0(VALU_DEP_1) | instskip(NEXT) | instid1(VALU_DEP_1)
	v_lshlrev_b64 v[89:90], 2, v[88:89]
	v_add_co_u32 v89, vcc_lo, v86, v89
	s_delay_alu instid0(VALU_DEP_2)
	v_add_co_ci_u32_e32 v90, vcc_lo, v87, v90, vcc_lo
	s_clause 0x1
	flat_load_b32 v93, v[89:90]
	flat_load_b32 v95, v[86:87] offset:76
	s_waitcnt vmcnt(1) lgkmcnt(1)
	flat_store_b32 v[86:87], v93 offset:76
	s_waitcnt vmcnt(0) lgkmcnt(1)
	flat_store_b32 v[89:90], v95
.LBB38_413:
	s_or_b32 exec_lo, exec_lo, s4
	v_mov_b32_e32 v96, v88
	v_mov_b32_e32 v93, v88
.LBB38_414:
	s_or_b32 exec_lo, exec_lo, s3
	s_delay_alu instid0(VALU_DEP_2)
	v_mov_b32_e32 v89, v96
.LBB38_415:
	s_or_b32 exec_lo, exec_lo, s2
	s_delay_alu instid0(SALU_CYCLE_1)
	s_mov_b32 s2, exec_lo
	s_waitcnt lgkmcnt(0)
	s_waitcnt_vscnt null, 0x0
	s_barrier
	buffer_gl0_inv
	v_cmpx_lt_i32_e32 19, v89
; %bb.416:
	v_mul_f64 v[86:87], v[82:83], v[2:3]
	v_mul_f64 v[2:3], v[80:81], v[2:3]
	s_delay_alu instid0(VALU_DEP_2) | instskip(NEXT) | instid1(VALU_DEP_2)
	v_fma_f64 v[80:81], v[80:81], v[0:1], -v[86:87]
	v_fma_f64 v[2:3], v[82:83], v[0:1], v[2:3]
	s_delay_alu instid0(VALU_DEP_2)
	v_dual_mov_b32 v0, v80 :: v_dual_mov_b32 v1, v81
; %bb.417:
	s_or_b32 exec_lo, exec_lo, s2
	s_load_b256 s[0:7], s[0:1], 0x28
	v_ashrrev_i32_e32 v90, 31, v89
	s_mov_b32 s9, exec_lo
	s_waitcnt lgkmcnt(0)
	s_barrier
	buffer_gl0_inv
	v_cmpx_gt_i32_e32 20, v89
	s_cbranch_execz .LBB38_419
; %bb.418:
	v_mul_lo_u32 v82, v85, s4
	v_mul_lo_u32 v83, v84, s5
	v_mad_u64_u32 v[80:81], null, v84, s4, 0
	s_lshl_b64 s[2:3], s[2:3], 2
	s_delay_alu instid0(SALU_CYCLE_1) | instskip(SKIP_1) | instid1(VALU_DEP_1)
	s_add_u32 s0, s2, s0
	s_addc_u32 s1, s3, s1
	v_add3_u32 v81, v81, v83, v82
	v_lshlrev_b64 v[82:83], 2, v[89:90]
	s_delay_alu instid0(VALU_DEP_2) | instskip(NEXT) | instid1(VALU_DEP_1)
	v_lshlrev_b64 v[80:81], 2, v[80:81]
	v_add_co_u32 v80, vcc_lo, s0, v80
	s_delay_alu instid0(VALU_DEP_2) | instskip(NEXT) | instid1(VALU_DEP_2)
	v_add_co_ci_u32_e32 v81, vcc_lo, s1, v81, vcc_lo
	v_add_co_u32 v80, vcc_lo, v80, v82
	s_delay_alu instid0(VALU_DEP_2)
	v_add_co_ci_u32_e32 v81, vcc_lo, v81, v83, vcc_lo
	v_add3_u32 v82, v93, s13, 1
	global_store_b32 v[80:81], v82, off
.LBB38_419:
	s_or_b32 exec_lo, exec_lo, s9
	s_delay_alu instid0(SALU_CYCLE_1)
	s_mov_b32 s1, exec_lo
	v_cmpx_eq_u32_e32 0, v89
	s_cbranch_execz .LBB38_422
; %bb.420:
	v_lshlrev_b64 v[80:81], 2, v[84:85]
	v_cmp_lt_i32_e64 s0, 0, v94
	s_delay_alu instid0(VALU_DEP_2) | instskip(NEXT) | instid1(VALU_DEP_3)
	v_add_co_u32 v80, vcc_lo, s6, v80
	v_add_co_ci_u32_e32 v81, vcc_lo, s7, v81, vcc_lo
	global_load_b32 v82, v[80:81], off
	s_waitcnt vmcnt(0)
	v_cmp_eq_u32_e32 vcc_lo, 0, v82
	s_and_b32 s0, vcc_lo, s0
	s_delay_alu instid0(SALU_CYCLE_1)
	s_and_b32 exec_lo, exec_lo, s0
	s_cbranch_execz .LBB38_422
; %bb.421:
	v_add_nc_u32_e32 v82, s13, v94
	global_store_b32 v[80:81], v82, off
.LBB38_422:
	s_or_b32 exec_lo, exec_lo, s1
	v_add3_u32 v80, s8, s8, v89
	v_lshlrev_b64 v[82:83], 4, v[89:90]
	s_delay_alu instid0(VALU_DEP_2) | instskip(SKIP_1) | instid1(VALU_DEP_3)
	v_ashrrev_i32_e32 v81, 31, v80
	v_add_nc_u32_e32 v84, s8, v80
	v_add_co_u32 v82, vcc_lo, v91, v82
	s_delay_alu instid0(VALU_DEP_4) | instskip(NEXT) | instid1(VALU_DEP_4)
	v_add_co_ci_u32_e32 v83, vcc_lo, v92, v83, vcc_lo
	v_lshlrev_b64 v[80:81], 4, v[80:81]
	s_delay_alu instid0(VALU_DEP_3) | instskip(NEXT) | instid1(VALU_DEP_3)
	v_add_co_u32 v88, vcc_lo, v82, s10
	v_add_co_ci_u32_e32 v89, vcc_lo, s11, v83, vcc_lo
	v_add_nc_u32_e32 v86, s8, v84
	s_delay_alu instid0(VALU_DEP_4) | instskip(SKIP_2) | instid1(VALU_DEP_4)
	v_add_co_u32 v80, vcc_lo, v91, v80
	v_add_co_ci_u32_e32 v81, vcc_lo, v92, v81, vcc_lo
	v_ashrrev_i32_e32 v85, 31, v84
	v_ashrrev_i32_e32 v87, 31, v86
	s_clause 0x2
	global_store_b128 v[82:83], v[72:75], off
	global_store_b128 v[88:89], v[68:71], off
	;; [unrolled: 1-line block ×3, first 2 shown]
	v_add_nc_u32_e32 v70, s8, v86
	v_lshlrev_b64 v[72:73], 4, v[84:85]
	v_lshlrev_b64 v[68:69], 4, v[86:87]
	s_delay_alu instid0(VALU_DEP_3) | instskip(SKIP_1) | instid1(VALU_DEP_4)
	v_add_nc_u32_e32 v74, s8, v70
	v_ashrrev_i32_e32 v71, 31, v70
	v_add_co_u32 v72, vcc_lo, v91, v72
	v_add_co_ci_u32_e32 v73, vcc_lo, v92, v73, vcc_lo
	s_delay_alu instid0(VALU_DEP_4)
	v_add_nc_u32_e32 v76, s8, v74
	v_add_co_u32 v68, vcc_lo, v91, v68
	v_ashrrev_i32_e32 v75, 31, v74
	v_add_co_ci_u32_e32 v69, vcc_lo, v92, v69, vcc_lo
	v_lshlrev_b64 v[70:71], 4, v[70:71]
	v_ashrrev_i32_e32 v77, 31, v76
	s_clause 0x1
	global_store_b128 v[72:73], v[60:63], off
	global_store_b128 v[68:69], v[64:67], off
	v_lshlrev_b64 v[60:61], 4, v[74:75]
	v_add_nc_u32_e32 v66, s8, v76
	v_add_co_u32 v62, vcc_lo, v91, v70
	v_lshlrev_b64 v[64:65], 4, v[76:77]
	v_add_co_ci_u32_e32 v63, vcc_lo, v92, v71, vcc_lo
	v_add_co_u32 v60, vcc_lo, v91, v60
	v_add_co_ci_u32_e32 v61, vcc_lo, v92, v61, vcc_lo
	s_delay_alu instid0(VALU_DEP_4)
	v_add_co_u32 v64, vcc_lo, v91, v64
	v_add_nc_u32_e32 v68, s8, v66
	v_add_co_ci_u32_e32 v65, vcc_lo, v92, v65, vcc_lo
	v_ashrrev_i32_e32 v67, 31, v66
	global_store_b128 v[62:63], v[36:39], off
	v_ashrrev_i32_e32 v69, 31, v68
	s_clause 0x1
	global_store_b128 v[60:61], v[56:59], off
	global_store_b128 v[64:65], v[52:55], off
	v_add_nc_u32_e32 v52, s8, v68
	v_lshlrev_b64 v[36:37], 4, v[66:67]
	v_lshlrev_b64 v[38:39], 4, v[68:69]
	s_delay_alu instid0(VALU_DEP_3) | instskip(SKIP_1) | instid1(VALU_DEP_4)
	v_add_nc_u32_e32 v54, s8, v52
	v_ashrrev_i32_e32 v53, 31, v52
	v_add_co_u32 v36, vcc_lo, v91, v36
	v_add_co_ci_u32_e32 v37, vcc_lo, v92, v37, vcc_lo
	s_delay_alu instid0(VALU_DEP_4)
	v_add_nc_u32_e32 v56, s8, v54
	v_add_co_u32 v38, vcc_lo, v91, v38
	v_ashrrev_i32_e32 v55, 31, v54
	v_add_co_ci_u32_e32 v39, vcc_lo, v92, v39, vcc_lo
	v_lshlrev_b64 v[52:53], 4, v[52:53]
	v_ashrrev_i32_e32 v57, 31, v56
	s_clause 0x1
	global_store_b128 v[36:37], v[48:51], off
	global_store_b128 v[38:39], v[44:47], off
	v_lshlrev_b64 v[36:37], 4, v[54:55]
	v_add_nc_u32_e32 v46, s8, v56
	v_add_co_u32 v38, vcc_lo, v91, v52
	v_lshlrev_b64 v[44:45], 4, v[56:57]
	v_add_co_ci_u32_e32 v39, vcc_lo, v92, v53, vcc_lo
	v_add_co_u32 v36, vcc_lo, v91, v36
	v_add_nc_u32_e32 v48, s8, v46
	v_add_co_ci_u32_e32 v37, vcc_lo, v92, v37, vcc_lo
	v_ashrrev_i32_e32 v47, 31, v46
	v_add_co_u32 v44, vcc_lo, v91, v44
	v_add_co_ci_u32_e32 v45, vcc_lo, v92, v45, vcc_lo
	v_ashrrev_i32_e32 v49, 31, v48
	global_store_b128 v[38:39], v[28:31], off
	v_lshlrev_b64 v[28:29], 4, v[46:47]
	s_clause 0x1
	global_store_b128 v[36:37], v[24:27], off
	global_store_b128 v[44:45], v[40:43], off
	v_add_nc_u32_e32 v26, s8, v48
	v_lshlrev_b64 v[24:25], 4, v[48:49]
	v_add_co_u32 v28, vcc_lo, v91, v28
	s_delay_alu instid0(VALU_DEP_3) | instskip(SKIP_1) | instid1(VALU_DEP_4)
	v_add_nc_u32_e32 v30, s8, v26
	v_add_co_ci_u32_e32 v29, vcc_lo, v92, v29, vcc_lo
	v_add_co_u32 v24, vcc_lo, v91, v24
	v_add_co_ci_u32_e32 v25, vcc_lo, v92, v25, vcc_lo
	s_delay_alu instid0(VALU_DEP_4)
	v_add_nc_u32_e32 v36, s8, v30
	v_ashrrev_i32_e32 v27, 31, v26
	s_clause 0x1
	global_store_b128 v[28:29], v[20:23], off
	global_store_b128 v[24:25], v[32:35], off
	v_ashrrev_i32_e32 v31, 31, v30
	v_add_nc_u32_e32 v24, s8, v36
	v_lshlrev_b64 v[20:21], 4, v[26:27]
	v_ashrrev_i32_e32 v37, 31, v36
	s_delay_alu instid0(VALU_DEP_4) | instskip(NEXT) | instid1(VALU_DEP_4)
	v_lshlrev_b64 v[22:23], 4, v[30:31]
	v_add_nc_u32_e32 v28, s8, v24
	v_ashrrev_i32_e32 v25, 31, v24
	v_add_co_u32 v20, vcc_lo, v91, v20
	v_lshlrev_b64 v[26:27], 4, v[36:37]
	s_delay_alu instid0(VALU_DEP_4)
	v_ashrrev_i32_e32 v29, 31, v28
	v_add_co_ci_u32_e32 v21, vcc_lo, v92, v21, vcc_lo
	v_add_co_u32 v22, vcc_lo, v91, v22
	v_lshlrev_b64 v[24:25], 4, v[24:25]
	v_add_co_ci_u32_e32 v23, vcc_lo, v92, v23, vcc_lo
	v_add_co_u32 v26, vcc_lo, v91, v26
	v_lshlrev_b64 v[28:29], 4, v[28:29]
	v_add_co_ci_u32_e32 v27, vcc_lo, v92, v27, vcc_lo
	v_add_co_u32 v24, vcc_lo, v91, v24
	v_add_co_ci_u32_e32 v25, vcc_lo, v92, v25, vcc_lo
	s_delay_alu instid0(VALU_DEP_4)
	v_add_co_u32 v28, vcc_lo, v91, v28
	v_add_co_ci_u32_e32 v29, vcc_lo, v92, v29, vcc_lo
	s_clause 0x4
	global_store_b128 v[20:21], v[16:19], off
	global_store_b128 v[22:23], v[12:15], off
	;; [unrolled: 1-line block ×5, first 2 shown]
.LBB38_423:
	s_nop 0
	s_sendmsg sendmsg(MSG_DEALLOC_VGPRS)
	s_endpgm
	.section	.rodata,"a",@progbits
	.p2align	6, 0x0
	.amdhsa_kernel _ZN9rocsolver6v33100L18getf2_small_kernelILi20E19rocblas_complex_numIdEiiPKPS3_EEvT1_T3_lS7_lPS7_llPT2_S7_S7_S9_l
		.amdhsa_group_segment_fixed_size 0
		.amdhsa_private_segment_fixed_size 0
		.amdhsa_kernarg_size 352
		.amdhsa_user_sgpr_count 14
		.amdhsa_user_sgpr_dispatch_ptr 0
		.amdhsa_user_sgpr_queue_ptr 0
		.amdhsa_user_sgpr_kernarg_segment_ptr 1
		.amdhsa_user_sgpr_dispatch_id 0
		.amdhsa_user_sgpr_private_segment_size 0
		.amdhsa_wavefront_size32 1
		.amdhsa_uses_dynamic_stack 0
		.amdhsa_enable_private_segment 0
		.amdhsa_system_sgpr_workgroup_id_x 1
		.amdhsa_system_sgpr_workgroup_id_y 1
		.amdhsa_system_sgpr_workgroup_id_z 0
		.amdhsa_system_sgpr_workgroup_info 0
		.amdhsa_system_vgpr_workitem_id 1
		.amdhsa_next_free_vgpr 244
		.amdhsa_next_free_sgpr 16
		.amdhsa_reserve_vcc 1
		.amdhsa_float_round_mode_32 0
		.amdhsa_float_round_mode_16_64 0
		.amdhsa_float_denorm_mode_32 3
		.amdhsa_float_denorm_mode_16_64 3
		.amdhsa_dx10_clamp 1
		.amdhsa_ieee_mode 1
		.amdhsa_fp16_overflow 0
		.amdhsa_workgroup_processor_mode 1
		.amdhsa_memory_ordered 1
		.amdhsa_forward_progress 0
		.amdhsa_shared_vgpr_count 0
		.amdhsa_exception_fp_ieee_invalid_op 0
		.amdhsa_exception_fp_denorm_src 0
		.amdhsa_exception_fp_ieee_div_zero 0
		.amdhsa_exception_fp_ieee_overflow 0
		.amdhsa_exception_fp_ieee_underflow 0
		.amdhsa_exception_fp_ieee_inexact 0
		.amdhsa_exception_int_div_zero 0
	.end_amdhsa_kernel
	.section	.text._ZN9rocsolver6v33100L18getf2_small_kernelILi20E19rocblas_complex_numIdEiiPKPS3_EEvT1_T3_lS7_lPS7_llPT2_S7_S7_S9_l,"axG",@progbits,_ZN9rocsolver6v33100L18getf2_small_kernelILi20E19rocblas_complex_numIdEiiPKPS3_EEvT1_T3_lS7_lPS7_llPT2_S7_S7_S9_l,comdat
.Lfunc_end38:
	.size	_ZN9rocsolver6v33100L18getf2_small_kernelILi20E19rocblas_complex_numIdEiiPKPS3_EEvT1_T3_lS7_lPS7_llPT2_S7_S7_S9_l, .Lfunc_end38-_ZN9rocsolver6v33100L18getf2_small_kernelILi20E19rocblas_complex_numIdEiiPKPS3_EEvT1_T3_lS7_lPS7_llPT2_S7_S7_S9_l
                                        ; -- End function
	.section	.AMDGPU.csdata,"",@progbits
; Kernel info:
; codeLenInByte = 38164
; NumSgprs: 18
; NumVgprs: 244
; ScratchSize: 0
; MemoryBound: 0
; FloatMode: 240
; IeeeMode: 1
; LDSByteSize: 0 bytes/workgroup (compile time only)
; SGPRBlocks: 2
; VGPRBlocks: 30
; NumSGPRsForWavesPerEU: 18
; NumVGPRsForWavesPerEU: 244
; Occupancy: 5
; WaveLimiterHint : 1
; COMPUTE_PGM_RSRC2:SCRATCH_EN: 0
; COMPUTE_PGM_RSRC2:USER_SGPR: 14
; COMPUTE_PGM_RSRC2:TRAP_HANDLER: 0
; COMPUTE_PGM_RSRC2:TGID_X_EN: 1
; COMPUTE_PGM_RSRC2:TGID_Y_EN: 1
; COMPUTE_PGM_RSRC2:TGID_Z_EN: 0
; COMPUTE_PGM_RSRC2:TIDIG_COMP_CNT: 1
	.section	.text._ZN9rocsolver6v33100L23getf2_npvt_small_kernelILi20E19rocblas_complex_numIdEiiPKPS3_EEvT1_T3_lS7_lPT2_S7_S7_,"axG",@progbits,_ZN9rocsolver6v33100L23getf2_npvt_small_kernelILi20E19rocblas_complex_numIdEiiPKPS3_EEvT1_T3_lS7_lPT2_S7_S7_,comdat
	.globl	_ZN9rocsolver6v33100L23getf2_npvt_small_kernelILi20E19rocblas_complex_numIdEiiPKPS3_EEvT1_T3_lS7_lPT2_S7_S7_ ; -- Begin function _ZN9rocsolver6v33100L23getf2_npvt_small_kernelILi20E19rocblas_complex_numIdEiiPKPS3_EEvT1_T3_lS7_lPT2_S7_S7_
	.p2align	8
	.type	_ZN9rocsolver6v33100L23getf2_npvt_small_kernelILi20E19rocblas_complex_numIdEiiPKPS3_EEvT1_T3_lS7_lPT2_S7_S7_,@function
_ZN9rocsolver6v33100L23getf2_npvt_small_kernelILi20E19rocblas_complex_numIdEiiPKPS3_EEvT1_T3_lS7_lPT2_S7_S7_: ; @_ZN9rocsolver6v33100L23getf2_npvt_small_kernelILi20E19rocblas_complex_numIdEiiPKPS3_EEvT1_T3_lS7_lPT2_S7_S7_
; %bb.0:
	s_clause 0x1
	s_load_b32 s2, s[0:1], 0x44
	s_load_b64 s[8:9], s[0:1], 0x30
	v_bfe_u32 v80, v0, 10, 10
	s_waitcnt lgkmcnt(0)
	s_lshr_b32 s10, s2, 16
	s_mov_b32 s2, exec_lo
	s_delay_alu instid0(VALU_DEP_1) | instskip(NEXT) | instid1(VALU_DEP_1)
	v_mad_u64_u32 v[160:161], null, s15, s10, v[80:81]
	v_cmpx_gt_i32_e64 s8, v160
	s_cbranch_execz .LBB39_185
; %bb.1:
	s_clause 0x1
	s_load_b128 s[4:7], s[0:1], 0x8
	s_load_b32 s2, s[0:1], 0x18
	v_ashrrev_i32_e32 v161, 31, v160
	v_and_b32_e32 v255, 0x3ff, v0
	v_lshlrev_b32_e32 v81, 4, v80
	s_mulk_i32 s10, 0x140
	v_mad_u32_u24 v206, 0x140, v80, 0
	v_lshlrev_b64 v[1:2], 3, v[160:161]
	v_lshlrev_b32_e32 v39, 4, v255
	v_add3_u32 v62, 0, s10, v81
	s_waitcnt lgkmcnt(0)
	s_delay_alu instid0(VALU_DEP_3) | instskip(NEXT) | instid1(VALU_DEP_4)
	v_add_co_u32 v1, vcc_lo, s4, v1
	v_add_co_ci_u32_e32 v2, vcc_lo, s5, v2, vcc_lo
	v_add3_u32 v3, s2, s2, v255
	s_lshl_b64 s[4:5], s[6:7], 4
	s_ashr_i32 s3, s2, 31
	global_load_b64 v[1:2], v[1:2], off
	s_lshl_b64 s[6:7], s[2:3], 4
	v_add_nc_u32_e32 v5, s2, v3
	v_ashrrev_i32_e32 v4, 31, v3
	v_cmp_ne_u32_e64 s3, 0, v255
	s_delay_alu instid0(VALU_DEP_3) | instskip(SKIP_1) | instid1(VALU_DEP_4)
	v_add_nc_u32_e32 v7, s2, v5
	v_ashrrev_i32_e32 v6, 31, v5
	v_lshlrev_b64 v[3:4], 4, v[3:4]
	s_delay_alu instid0(VALU_DEP_3) | instskip(SKIP_1) | instid1(VALU_DEP_4)
	v_add_nc_u32_e32 v9, s2, v7
	v_ashrrev_i32_e32 v8, 31, v7
	v_lshlrev_b64 v[5:6], 4, v[5:6]
	;; [unrolled: 4-line block ×16, first 2 shown]
	v_cmp_eq_u32_e64 s2, 0, v255
	s_delay_alu instid0(VALU_DEP_4) | instskip(NEXT) | instid1(VALU_DEP_4)
	v_ashrrev_i32_e32 v38, 31, v37
	v_lshlrev_b64 v[35:36], 4, v[35:36]
	s_waitcnt vmcnt(0)
	v_add_co_u32 v40, vcc_lo, v1, s4
	v_add_co_ci_u32_e32 v2, vcc_lo, s5, v2, vcc_lo
	v_lshlrev_b64 v[0:1], 4, v[37:38]
	s_delay_alu instid0(VALU_DEP_3) | instskip(NEXT) | instid1(VALU_DEP_3)
	v_add_co_u32 v64, vcc_lo, v40, v39
	v_add_co_ci_u32_e32 v65, vcc_lo, 0, v2, vcc_lo
	v_add_co_u32 v233, vcc_lo, v40, v3
	v_add_co_ci_u32_e32 v234, vcc_lo, v2, v4, vcc_lo
	;; [unrolled: 2-line block ×19, first 2 shown]
	v_add_co_u32 v56, vcc_lo, v64, s6
	s_clause 0x1
	global_load_b128 v[48:51], v[233:234], off
	global_load_b128 v[235:238], v[231:232], off
	scratch_store_b64 off, v[5:6], off offset:8 ; 8-byte Folded Spill
	s_clause 0x2
	global_load_b128 v[239:242], v[5:6], off
	global_load_b128 v[243:246], v[229:230], off
	;; [unrolled: 1-line block ×3, first 2 shown]
	scratch_store_b64 off, v[3:4], off      ; 8-byte Folded Spill
	v_add_co_ci_u32_e32 v57, vcc_lo, s7, v65, vcc_lo
	s_clause 0xe
	global_load_b128 v[251:254], v[3:4], off
	global_load_b128 v[44:47], v[76:77], off
	;; [unrolled: 1-line block ×15, first 2 shown]
	s_and_saveexec_b32 s5, s2
	s_cbranch_execz .LBB39_8
; %bb.2:
	s_waitcnt vmcnt(3)
	ds_store_2addr_b64 v62, v[68:69], v[70:71] offset1:1
	s_waitcnt vmcnt(2)
	ds_store_2addr_b64 v206, v[58:59], v[60:61] offset0:2 offset1:3
	ds_store_2addr_b64 v206, v[48:49], v[50:51] offset0:4 offset1:5
	;; [unrolled: 1-line block ×17, first 2 shown]
	s_waitcnt vmcnt(1)
	ds_store_2addr_b64 v206, v[4:5], v[6:7] offset0:36 offset1:37
	s_waitcnt vmcnt(0)
	ds_store_2addr_b64 v206, v[0:1], v[2:3] offset0:38 offset1:39
	ds_load_2addr_b64 v[80:83], v62 offset1:1
	s_waitcnt lgkmcnt(0)
	v_cmp_neq_f64_e32 vcc_lo, 0, v[80:81]
	v_cmp_neq_f64_e64 s4, 0, v[82:83]
	s_delay_alu instid0(VALU_DEP_1) | instskip(NEXT) | instid1(SALU_CYCLE_1)
	s_or_b32 s4, vcc_lo, s4
	s_and_b32 exec_lo, exec_lo, s4
	s_cbranch_execz .LBB39_8
; %bb.3:
	v_cmp_gt_f64_e32 vcc_lo, 0, v[80:81]
	v_cmp_gt_f64_e64 s4, 0, v[82:83]
	v_xor_b32_e32 v84, 0x80000000, v81
	v_xor_b32_e32 v86, 0x80000000, v83
                                        ; implicit-def: $vgpr88_vgpr89
	s_delay_alu instid0(VALU_DEP_2) | instskip(NEXT) | instid1(VALU_DEP_2)
	v_cndmask_b32_e32 v85, v81, v84, vcc_lo
	v_cndmask_b32_e64 v87, v83, v86, s4
	v_cndmask_b32_e32 v84, v80, v80, vcc_lo
	v_cndmask_b32_e64 v86, v82, v82, s4
	s_mov_b32 s4, exec_lo
	s_delay_alu instid0(VALU_DEP_1)
	v_cmpx_ngt_f64_e32 v[84:85], v[86:87]
	s_xor_b32 s4, exec_lo, s4
                                        ; implicit-def: $vgpr84_vgpr85_vgpr86_vgpr87
	s_cbranch_execz .LBB39_5
; %bb.4:
	v_div_scale_f64 v[84:85], null, v[82:83], v[82:83], v[80:81]
	v_div_scale_f64 v[90:91], vcc_lo, v[80:81], v[82:83], v[80:81]
	s_delay_alu instid0(VALU_DEP_2) | instskip(SKIP_2) | instid1(VALU_DEP_1)
	v_rcp_f64_e32 v[86:87], v[84:85]
	s_waitcnt_depctr 0xfff
	v_fma_f64 v[88:89], -v[84:85], v[86:87], 1.0
	v_fma_f64 v[86:87], v[86:87], v[88:89], v[86:87]
	s_delay_alu instid0(VALU_DEP_1) | instskip(NEXT) | instid1(VALU_DEP_1)
	v_fma_f64 v[88:89], -v[84:85], v[86:87], 1.0
	v_fma_f64 v[86:87], v[86:87], v[88:89], v[86:87]
	s_delay_alu instid0(VALU_DEP_1) | instskip(NEXT) | instid1(VALU_DEP_1)
	v_mul_f64 v[88:89], v[90:91], v[86:87]
	v_fma_f64 v[84:85], -v[84:85], v[88:89], v[90:91]
	s_delay_alu instid0(VALU_DEP_1) | instskip(NEXT) | instid1(VALU_DEP_1)
	v_div_fmas_f64 v[84:85], v[84:85], v[86:87], v[88:89]
	v_div_fixup_f64 v[84:85], v[84:85], v[82:83], v[80:81]
	s_delay_alu instid0(VALU_DEP_1) | instskip(NEXT) | instid1(VALU_DEP_1)
	v_fma_f64 v[80:81], v[80:81], v[84:85], v[82:83]
	v_div_scale_f64 v[82:83], null, v[80:81], v[80:81], 1.0
	s_delay_alu instid0(VALU_DEP_1) | instskip(SKIP_2) | instid1(VALU_DEP_1)
	v_rcp_f64_e32 v[86:87], v[82:83]
	s_waitcnt_depctr 0xfff
	v_fma_f64 v[88:89], -v[82:83], v[86:87], 1.0
	v_fma_f64 v[86:87], v[86:87], v[88:89], v[86:87]
	s_delay_alu instid0(VALU_DEP_1) | instskip(NEXT) | instid1(VALU_DEP_1)
	v_fma_f64 v[88:89], -v[82:83], v[86:87], 1.0
	v_fma_f64 v[86:87], v[86:87], v[88:89], v[86:87]
	v_div_scale_f64 v[88:89], vcc_lo, 1.0, v[80:81], 1.0
	s_delay_alu instid0(VALU_DEP_1) | instskip(NEXT) | instid1(VALU_DEP_1)
	v_mul_f64 v[90:91], v[88:89], v[86:87]
	v_fma_f64 v[82:83], -v[82:83], v[90:91], v[88:89]
	s_delay_alu instid0(VALU_DEP_1) | instskip(NEXT) | instid1(VALU_DEP_1)
	v_div_fmas_f64 v[82:83], v[82:83], v[86:87], v[90:91]
	v_div_fixup_f64 v[86:87], v[82:83], v[80:81], 1.0
                                        ; implicit-def: $vgpr80_vgpr81
	s_delay_alu instid0(VALU_DEP_1)
	v_mul_f64 v[88:89], v[84:85], v[86:87]
	v_xor_b32_e32 v87, 0x80000000, v87
.LBB39_5:
	s_and_not1_saveexec_b32 s4, s4
	s_cbranch_execz .LBB39_7
; %bb.6:
	v_div_scale_f64 v[84:85], null, v[80:81], v[80:81], v[82:83]
	v_div_scale_f64 v[90:91], vcc_lo, v[82:83], v[80:81], v[82:83]
	s_delay_alu instid0(VALU_DEP_2) | instskip(SKIP_2) | instid1(VALU_DEP_1)
	v_rcp_f64_e32 v[86:87], v[84:85]
	s_waitcnt_depctr 0xfff
	v_fma_f64 v[88:89], -v[84:85], v[86:87], 1.0
	v_fma_f64 v[86:87], v[86:87], v[88:89], v[86:87]
	s_delay_alu instid0(VALU_DEP_1) | instskip(NEXT) | instid1(VALU_DEP_1)
	v_fma_f64 v[88:89], -v[84:85], v[86:87], 1.0
	v_fma_f64 v[86:87], v[86:87], v[88:89], v[86:87]
	s_delay_alu instid0(VALU_DEP_1) | instskip(NEXT) | instid1(VALU_DEP_1)
	v_mul_f64 v[88:89], v[90:91], v[86:87]
	v_fma_f64 v[84:85], -v[84:85], v[88:89], v[90:91]
	s_delay_alu instid0(VALU_DEP_1) | instskip(NEXT) | instid1(VALU_DEP_1)
	v_div_fmas_f64 v[84:85], v[84:85], v[86:87], v[88:89]
	v_div_fixup_f64 v[84:85], v[84:85], v[80:81], v[82:83]
	s_delay_alu instid0(VALU_DEP_1) | instskip(NEXT) | instid1(VALU_DEP_1)
	v_fma_f64 v[80:81], v[82:83], v[84:85], v[80:81]
	v_div_scale_f64 v[82:83], null, v[80:81], v[80:81], 1.0
	s_delay_alu instid0(VALU_DEP_1) | instskip(SKIP_2) | instid1(VALU_DEP_1)
	v_rcp_f64_e32 v[86:87], v[82:83]
	s_waitcnt_depctr 0xfff
	v_fma_f64 v[88:89], -v[82:83], v[86:87], 1.0
	v_fma_f64 v[86:87], v[86:87], v[88:89], v[86:87]
	s_delay_alu instid0(VALU_DEP_1) | instskip(NEXT) | instid1(VALU_DEP_1)
	v_fma_f64 v[88:89], -v[82:83], v[86:87], 1.0
	v_fma_f64 v[86:87], v[86:87], v[88:89], v[86:87]
	v_div_scale_f64 v[88:89], vcc_lo, 1.0, v[80:81], 1.0
	s_delay_alu instid0(VALU_DEP_1) | instskip(NEXT) | instid1(VALU_DEP_1)
	v_mul_f64 v[90:91], v[88:89], v[86:87]
	v_fma_f64 v[82:83], -v[82:83], v[90:91], v[88:89]
	s_delay_alu instid0(VALU_DEP_1) | instskip(NEXT) | instid1(VALU_DEP_1)
	v_div_fmas_f64 v[82:83], v[82:83], v[86:87], v[90:91]
	v_div_fixup_f64 v[88:89], v[82:83], v[80:81], 1.0
	s_delay_alu instid0(VALU_DEP_1)
	v_mul_f64 v[86:87], v[84:85], -v[88:89]
.LBB39_7:
	s_or_b32 exec_lo, exec_lo, s4
	ds_store_2addr_b64 v62, v[88:89], v[86:87] offset1:1
.LBB39_8:
	s_or_b32 exec_lo, exec_lo, s5
	s_waitcnt vmcnt(0) lgkmcnt(0)
	s_waitcnt_vscnt null, 0x0
	s_barrier
	buffer_gl0_inv
	ds_load_2addr_b64 v[52:55], v62 offset1:1
	s_waitcnt lgkmcnt(0)
	scratch_store_b128 off, v[52:55], off offset:16 ; 16-byte Folded Spill
	s_and_saveexec_b32 s4, s3
	s_cbranch_execz .LBB39_10
; %bb.9:
	scratch_load_b128 v[52:55], off, off offset:16 ; 16-byte Folded Reload
	v_dual_mov_b32 v67, v65 :: v_dual_mov_b32 v66, v64
	s_waitcnt vmcnt(0)
	v_mul_f64 v[84:85], v[52:53], v[70:71]
	v_mul_f64 v[202:203], v[54:55], v[70:71]
	s_delay_alu instid0(VALU_DEP_2)
	v_fma_f64 v[70:71], v[54:55], v[68:69], v[84:85]
	ds_load_2addr_b64 v[84:87], v206 offset0:2 offset1:3
	ds_load_2addr_b64 v[88:91], v206 offset0:4 offset1:5
	;; [unrolled: 1-line block ×19, first 2 shown]
	scratch_store_b64 off, v[76:77], off offset:32 ; 8-byte Folded Spill
	v_fma_f64 v[76:77], v[52:53], v[68:69], -v[202:203]
	s_waitcnt lgkmcnt(12)
	v_mul_f64 v[52:53], v[108:109], v[70:71]
	v_mul_f64 v[68:69], v[110:111], v[70:71]
	s_waitcnt lgkmcnt(11)
	v_mul_f64 v[64:65], v[114:115], v[70:71]
	s_waitcnt lgkmcnt(8)
	;; [unrolled: 2-line block ×3, first 2 shown]
	v_mul_f64 v[80:81], v[134:135], v[70:71]
	v_mul_f64 v[54:55], v[126:127], v[70:71]
	;; [unrolled: 1-line block ×14, first 2 shown]
	s_waitcnt lgkmcnt(5)
	v_mul_f64 v[82:83], v[138:139], v[70:71]
	v_mul_f64 v[162:163], v[136:137], v[70:71]
	s_waitcnt lgkmcnt(4)
	v_mul_f64 v[164:165], v[142:143], v[70:71]
	v_mul_f64 v[166:167], v[140:141], v[70:71]
	s_waitcnt lgkmcnt(3)
	v_mul_f64 v[168:169], v[146:147], v[70:71]
	v_mul_f64 v[170:171], v[144:145], v[70:71]
	s_waitcnt lgkmcnt(2)
	v_mul_f64 v[172:173], v[150:151], v[70:71]
	v_mul_f64 v[174:175], v[148:149], v[70:71]
	s_waitcnt lgkmcnt(1)
	v_mul_f64 v[176:177], v[154:155], v[70:71]
	v_mul_f64 v[178:179], v[152:153], v[70:71]
	s_waitcnt lgkmcnt(0)
	v_mul_f64 v[180:181], v[158:159], v[70:71]
	v_mul_f64 v[182:183], v[156:157], v[70:71]
	scratch_store_b64 off, v[52:53], off offset:76 ; 8-byte Folded Spill
	v_mul_f64 v[52:53], v[112:113], v[70:71]
	v_fma_f64 v[108:109], v[108:109], v[76:77], -v[68:69]
	v_fma_f64 v[112:113], v[112:113], v[76:77], -v[64:65]
	v_dual_mov_b32 v64, v66 :: v_dual_mov_b32 v65, v67
	v_fma_f64 v[84:85], v[84:85], v[76:77], -v[202:203]
	v_fma_f64 v[86:87], v[86:87], v[76:77], v[207:208]
	v_fma_f64 v[88:89], v[88:89], v[76:77], -v[209:210]
	v_fma_f64 v[90:91], v[90:91], v[76:77], v[211:212]
	;; [unrolled: 2-line block ×6, first 2 shown]
	v_fma_f64 v[124:125], v[124:125], v[76:77], -v[54:55]
	v_fma_f64 v[82:83], v[136:137], v[76:77], -v[82:83]
	;; [unrolled: 1-line block ×3, first 2 shown]
	s_clause 0x1
	scratch_store_b64 off, v[52:53], off offset:60
	scratch_store_b32 off, v255, off offset:40
	s_clause 0x1
	scratch_load_b64 v[68:69], off, off offset:76
	scratch_load_b64 v[66:67], off, off offset:60
	v_mul_f64 v[52:53], v[116:117], v[70:71]
	s_clause 0x1
	scratch_store_b64 off, v[72:73], off offset:52
	scratch_store_b64 off, v[80:81], off offset:92
	v_mul_f64 v[72:73], v[130:131], v[70:71]
	v_mov_b32_e32 v255, v62
	v_mul_f64 v[62:63], v[118:119], v[70:71]
	v_mul_f64 v[80:81], v[132:133], v[70:71]
	v_fma_f64 v[140:141], v[144:145], v[76:77], -v[168:169]
	v_fma_f64 v[144:145], v[148:149], v[76:77], -v[172:173]
	;; [unrolled: 1-line block ×4, first 2 shown]
	v_add_f64 v[58:59], v[58:59], -v[84:85]
	v_add_f64 v[60:61], v[60:61], -v[86:87]
	;; [unrolled: 1-line block ×17, first 2 shown]
	scratch_store_b64 off, v[52:53], off offset:68 ; 8-byte Folded Spill
	v_mul_f64 v[52:53], v[122:123], v[70:71]
	scratch_store_b64 off, v[72:73], off offset:44 ; 8-byte Folded Spill
	v_mul_f64 v[72:73], v[128:129], v[70:71]
	v_fma_f64 v[116:117], v[116:117], v[76:77], -v[62:63]
	v_fma_f64 v[80:81], v[134:135], v[76:77], v[80:81]
	v_fma_f64 v[134:135], v[138:139], v[76:77], v[162:163]
	;; [unrolled: 1-line block ×7, first 2 shown]
	v_add_f64 v[12:13], v[12:13], -v[140:141]
	v_add_f64 v[8:9], v[8:9], -v[144:145]
	;; [unrolled: 1-line block ×4, first 2 shown]
	scratch_store_b64 off, v[52:53], off offset:84 ; 8-byte Folded Spill
	v_mul_f64 v[52:53], v[120:121], v[70:71]
	v_fma_f64 v[130:131], v[130:131], v[76:77], v[72:73]
	v_add_f64 v[40:41], v[40:41], -v[116:117]
	v_add_f64 v[26:27], v[26:27], -v[80:81]
	;; [unrolled: 1-line block ×8, first 2 shown]
	v_fma_f64 v[122:123], v[122:123], v[76:77], v[52:53]
	v_add_f64 v[30:31], v[30:31], -v[130:131]
	s_delay_alu instid0(VALU_DEP_2)
	v_add_f64 v[38:39], v[38:39], -v[122:123]
	s_waitcnt vmcnt(1)
	v_fma_f64 v[110:111], v[110:111], v[76:77], v[68:69]
	s_waitcnt vmcnt(0)
	v_fma_f64 v[114:115], v[114:115], v[76:77], v[66:67]
	v_mov_b32_e32 v68, v76
	v_dual_mov_b32 v62, v255 :: v_dual_mov_b32 v69, v77
	s_clause 0x2
	scratch_load_b32 v255, off, off offset:40
	scratch_load_b64 v[66:67], off, off offset:68
	scratch_load_b64 v[52:53], off, off offset:52
	v_add_f64 v[253:254], v[253:254], -v[110:111]
	v_add_f64 v[46:47], v[46:47], -v[114:115]
	s_waitcnt vmcnt(1)
	v_fma_f64 v[118:119], v[118:119], v[76:77], v[66:67]
	scratch_load_b64 v[66:67], off, off offset:84 ; 8-byte Folded Reload
	s_waitcnt vmcnt(1)
	v_fma_f64 v[126:127], v[126:127], v[76:77], v[52:53]
	scratch_load_b64 v[52:53], off, off offset:44 ; 8-byte Folded Reload
	v_add_f64 v[42:43], v[42:43], -v[118:119]
	v_add_f64 v[34:35], v[34:35], -v[126:127]
	s_waitcnt vmcnt(1)
	v_fma_f64 v[120:121], v[120:121], v[76:77], -v[66:67]
	s_waitcnt vmcnt(0)
	v_fma_f64 v[128:129], v[128:129], v[76:77], -v[52:53]
	scratch_load_b64 v[52:53], off, off offset:92 ; 8-byte Folded Reload
	v_add_f64 v[36:37], v[36:37], -v[120:121]
	v_add_f64 v[28:29], v[28:29], -v[128:129]
	s_waitcnt vmcnt(0)
	v_fma_f64 v[132:133], v[132:133], v[76:77], -v[52:53]
	scratch_load_b64 v[76:77], off, off offset:32 ; 8-byte Folded Reload
	v_add_f64 v[24:25], v[24:25], -v[132:133]
.LBB39_10:
	s_or_b32 exec_lo, exec_lo, s4
	s_delay_alu instid0(SALU_CYCLE_1)
	s_mov_b32 s4, exec_lo
	s_waitcnt vmcnt(0)
	s_waitcnt_vscnt null, 0x0
	s_barrier
	buffer_gl0_inv
	v_cmpx_eq_u32_e32 1, v255
	s_cbranch_execz .LBB39_17
; %bb.11:
	ds_store_2addr_b64 v62, v[58:59], v[60:61] offset1:1
	ds_store_2addr_b64 v206, v[48:49], v[50:51] offset0:4 offset1:5
	ds_store_2addr_b64 v206, v[235:236], v[237:238] offset0:6 offset1:7
	;; [unrolled: 1-line block ×18, first 2 shown]
	ds_load_2addr_b64 v[84:87], v62 offset1:1
	s_waitcnt lgkmcnt(0)
	v_cmp_neq_f64_e32 vcc_lo, 0, v[84:85]
	v_cmp_neq_f64_e64 s3, 0, v[86:87]
	s_delay_alu instid0(VALU_DEP_1) | instskip(NEXT) | instid1(SALU_CYCLE_1)
	s_or_b32 s3, vcc_lo, s3
	s_and_b32 exec_lo, exec_lo, s3
	s_cbranch_execz .LBB39_17
; %bb.12:
	v_cmp_gt_f64_e32 vcc_lo, 0, v[84:85]
	v_cmp_gt_f64_e64 s3, 0, v[86:87]
	v_xor_b32_e32 v80, 0x80000000, v85
	v_xor_b32_e32 v82, 0x80000000, v87
                                        ; implicit-def: $vgpr92_vgpr93
	s_delay_alu instid0(VALU_DEP_2) | instskip(NEXT) | instid1(VALU_DEP_2)
	v_cndmask_b32_e32 v81, v85, v80, vcc_lo
	v_cndmask_b32_e64 v83, v87, v82, s3
	v_cndmask_b32_e32 v80, v84, v84, vcc_lo
	v_cndmask_b32_e64 v82, v86, v86, s3
	s_mov_b32 s3, exec_lo
	s_delay_alu instid0(VALU_DEP_1)
	v_cmpx_ngt_f64_e32 v[80:81], v[82:83]
	s_xor_b32 s3, exec_lo, s3
                                        ; implicit-def: $vgpr88_vgpr89_vgpr90_vgpr91
	s_cbranch_execz .LBB39_14
; %bb.13:
	v_div_scale_f64 v[80:81], null, v[86:87], v[86:87], v[84:85]
	v_div_scale_f64 v[90:91], vcc_lo, v[84:85], v[86:87], v[84:85]
	s_delay_alu instid0(VALU_DEP_2) | instskip(SKIP_2) | instid1(VALU_DEP_1)
	v_rcp_f64_e32 v[82:83], v[80:81]
	s_waitcnt_depctr 0xfff
	v_fma_f64 v[88:89], -v[80:81], v[82:83], 1.0
	v_fma_f64 v[82:83], v[82:83], v[88:89], v[82:83]
	s_delay_alu instid0(VALU_DEP_1) | instskip(NEXT) | instid1(VALU_DEP_1)
	v_fma_f64 v[88:89], -v[80:81], v[82:83], 1.0
	v_fma_f64 v[82:83], v[82:83], v[88:89], v[82:83]
	s_delay_alu instid0(VALU_DEP_1) | instskip(NEXT) | instid1(VALU_DEP_1)
	v_mul_f64 v[88:89], v[90:91], v[82:83]
	v_fma_f64 v[80:81], -v[80:81], v[88:89], v[90:91]
	s_delay_alu instid0(VALU_DEP_1) | instskip(NEXT) | instid1(VALU_DEP_1)
	v_div_fmas_f64 v[80:81], v[80:81], v[82:83], v[88:89]
	v_div_fixup_f64 v[80:81], v[80:81], v[86:87], v[84:85]
	s_delay_alu instid0(VALU_DEP_1) | instskip(NEXT) | instid1(VALU_DEP_1)
	v_fma_f64 v[82:83], v[84:85], v[80:81], v[86:87]
	v_div_scale_f64 v[84:85], null, v[82:83], v[82:83], 1.0
	s_delay_alu instid0(VALU_DEP_1) | instskip(SKIP_2) | instid1(VALU_DEP_1)
	v_rcp_f64_e32 v[86:87], v[84:85]
	s_waitcnt_depctr 0xfff
	v_fma_f64 v[88:89], -v[84:85], v[86:87], 1.0
	v_fma_f64 v[86:87], v[86:87], v[88:89], v[86:87]
	s_delay_alu instid0(VALU_DEP_1) | instskip(NEXT) | instid1(VALU_DEP_1)
	v_fma_f64 v[88:89], -v[84:85], v[86:87], 1.0
	v_fma_f64 v[86:87], v[86:87], v[88:89], v[86:87]
	v_div_scale_f64 v[88:89], vcc_lo, 1.0, v[82:83], 1.0
	s_delay_alu instid0(VALU_DEP_1) | instskip(NEXT) | instid1(VALU_DEP_1)
	v_mul_f64 v[90:91], v[88:89], v[86:87]
	v_fma_f64 v[84:85], -v[84:85], v[90:91], v[88:89]
	s_delay_alu instid0(VALU_DEP_1) | instskip(NEXT) | instid1(VALU_DEP_1)
	v_div_fmas_f64 v[84:85], v[84:85], v[86:87], v[90:91]
	v_div_fixup_f64 v[90:91], v[84:85], v[82:83], 1.0
                                        ; implicit-def: $vgpr84_vgpr85
	s_delay_alu instid0(VALU_DEP_1)
	v_mul_f64 v[92:93], v[80:81], v[90:91]
	v_xor_b32_e32 v91, 0x80000000, v91
.LBB39_14:
	s_and_not1_saveexec_b32 s3, s3
	s_cbranch_execz .LBB39_16
; %bb.15:
	v_div_scale_f64 v[80:81], null, v[84:85], v[84:85], v[86:87]
	v_div_scale_f64 v[90:91], vcc_lo, v[86:87], v[84:85], v[86:87]
	s_delay_alu instid0(VALU_DEP_2) | instskip(SKIP_2) | instid1(VALU_DEP_1)
	v_rcp_f64_e32 v[82:83], v[80:81]
	s_waitcnt_depctr 0xfff
	v_fma_f64 v[88:89], -v[80:81], v[82:83], 1.0
	v_fma_f64 v[82:83], v[82:83], v[88:89], v[82:83]
	s_delay_alu instid0(VALU_DEP_1) | instskip(NEXT) | instid1(VALU_DEP_1)
	v_fma_f64 v[88:89], -v[80:81], v[82:83], 1.0
	v_fma_f64 v[82:83], v[82:83], v[88:89], v[82:83]
	s_delay_alu instid0(VALU_DEP_1) | instskip(NEXT) | instid1(VALU_DEP_1)
	v_mul_f64 v[88:89], v[90:91], v[82:83]
	v_fma_f64 v[80:81], -v[80:81], v[88:89], v[90:91]
	s_delay_alu instid0(VALU_DEP_1) | instskip(NEXT) | instid1(VALU_DEP_1)
	v_div_fmas_f64 v[80:81], v[80:81], v[82:83], v[88:89]
	v_div_fixup_f64 v[80:81], v[80:81], v[84:85], v[86:87]
	s_delay_alu instid0(VALU_DEP_1) | instskip(NEXT) | instid1(VALU_DEP_1)
	v_fma_f64 v[82:83], v[86:87], v[80:81], v[84:85]
	v_div_scale_f64 v[84:85], null, v[82:83], v[82:83], 1.0
	s_delay_alu instid0(VALU_DEP_1) | instskip(SKIP_2) | instid1(VALU_DEP_1)
	v_rcp_f64_e32 v[86:87], v[84:85]
	s_waitcnt_depctr 0xfff
	v_fma_f64 v[88:89], -v[84:85], v[86:87], 1.0
	v_fma_f64 v[86:87], v[86:87], v[88:89], v[86:87]
	s_delay_alu instid0(VALU_DEP_1) | instskip(NEXT) | instid1(VALU_DEP_1)
	v_fma_f64 v[88:89], -v[84:85], v[86:87], 1.0
	v_fma_f64 v[86:87], v[86:87], v[88:89], v[86:87]
	v_div_scale_f64 v[88:89], vcc_lo, 1.0, v[82:83], 1.0
	s_delay_alu instid0(VALU_DEP_1) | instskip(NEXT) | instid1(VALU_DEP_1)
	v_mul_f64 v[90:91], v[88:89], v[86:87]
	v_fma_f64 v[84:85], -v[84:85], v[90:91], v[88:89]
	s_delay_alu instid0(VALU_DEP_1) | instskip(NEXT) | instid1(VALU_DEP_1)
	v_div_fmas_f64 v[84:85], v[84:85], v[86:87], v[90:91]
	v_div_fixup_f64 v[92:93], v[84:85], v[82:83], 1.0
	s_delay_alu instid0(VALU_DEP_1)
	v_mul_f64 v[90:91], v[80:81], -v[92:93]
.LBB39_16:
	s_or_b32 exec_lo, exec_lo, s3
	ds_store_2addr_b64 v62, v[92:93], v[90:91] offset1:1
.LBB39_17:
	s_or_b32 exec_lo, exec_lo, s4
	s_waitcnt lgkmcnt(0)
	s_barrier
	buffer_gl0_inv
	ds_load_2addr_b64 v[84:87], v62 offset1:1
	s_mov_b32 s3, exec_lo
	v_cmpx_lt_u32_e32 1, v255
	s_cbranch_execz .LBB39_19
; %bb.18:
	s_waitcnt lgkmcnt(0)
	v_mul_f64 v[74:75], v[84:85], v[60:61]
	v_mul_f64 v[80:81], v[86:87], v[60:61]
	ds_load_2addr_b64 v[88:91], v206 offset0:4 offset1:5
	ds_load_2addr_b64 v[92:95], v206 offset0:6 offset1:7
	v_fma_f64 v[60:61], v[86:87], v[58:59], v[74:75]
	v_fma_f64 v[80:81], v[84:85], v[58:59], -v[80:81]
	s_waitcnt lgkmcnt(1)
	s_delay_alu instid0(VALU_DEP_2) | instskip(SKIP_1) | instid1(VALU_DEP_3)
	v_mul_f64 v[72:73], v[90:91], v[60:61]
	v_mul_f64 v[82:83], v[88:89], v[60:61]
	v_dual_mov_b32 v58, v80 :: v_dual_mov_b32 v59, v81
	s_delay_alu instid0(VALU_DEP_3) | instskip(SKIP_2) | instid1(VALU_DEP_4)
	v_fma_f64 v[72:73], v[88:89], v[80:81], -v[72:73]
	s_waitcnt lgkmcnt(0)
	v_mul_f64 v[88:89], v[94:95], v[60:61]
	v_fma_f64 v[82:83], v[90:91], v[80:81], v[82:83]
	s_delay_alu instid0(VALU_DEP_3) | instskip(NEXT) | instid1(VALU_DEP_3)
	v_add_f64 v[48:49], v[48:49], -v[72:73]
	v_fma_f64 v[96:97], v[92:93], v[80:81], -v[88:89]
	v_mul_f64 v[88:89], v[92:93], v[60:61]
	s_delay_alu instid0(VALU_DEP_4) | instskip(NEXT) | instid1(VALU_DEP_3)
	v_add_f64 v[50:51], v[50:51], -v[82:83]
	v_add_f64 v[235:236], v[235:236], -v[96:97]
	s_delay_alu instid0(VALU_DEP_3)
	v_fma_f64 v[98:99], v[94:95], v[80:81], v[88:89]
	ds_load_2addr_b64 v[88:91], v206 offset0:8 offset1:9
	ds_load_2addr_b64 v[92:95], v206 offset0:10 offset1:11
	s_waitcnt lgkmcnt(1)
	v_mul_f64 v[100:101], v[90:91], v[60:61]
	v_add_f64 v[237:238], v[237:238], -v[98:99]
	s_delay_alu instid0(VALU_DEP_2) | instskip(SKIP_1) | instid1(VALU_DEP_2)
	v_fma_f64 v[100:101], v[88:89], v[80:81], -v[100:101]
	v_mul_f64 v[88:89], v[88:89], v[60:61]
	v_add_f64 v[239:240], v[239:240], -v[100:101]
	s_delay_alu instid0(VALU_DEP_2) | instskip(SKIP_2) | instid1(VALU_DEP_2)
	v_fma_f64 v[102:103], v[90:91], v[80:81], v[88:89]
	s_waitcnt lgkmcnt(0)
	v_mul_f64 v[88:89], v[94:95], v[60:61]
	v_add_f64 v[241:242], v[241:242], -v[102:103]
	s_delay_alu instid0(VALU_DEP_2) | instskip(SKIP_1) | instid1(VALU_DEP_2)
	v_fma_f64 v[104:105], v[92:93], v[80:81], -v[88:89]
	v_mul_f64 v[88:89], v[92:93], v[60:61]
	v_add_f64 v[243:244], v[243:244], -v[104:105]
	s_delay_alu instid0(VALU_DEP_2)
	v_fma_f64 v[106:107], v[94:95], v[80:81], v[88:89]
	ds_load_2addr_b64 v[88:91], v206 offset0:12 offset1:13
	ds_load_2addr_b64 v[92:95], v206 offset0:14 offset1:15
	s_waitcnt lgkmcnt(1)
	v_mul_f64 v[108:109], v[90:91], v[60:61]
	v_add_f64 v[245:246], v[245:246], -v[106:107]
	s_delay_alu instid0(VALU_DEP_2) | instskip(SKIP_1) | instid1(VALU_DEP_2)
	v_fma_f64 v[108:109], v[88:89], v[80:81], -v[108:109]
	v_mul_f64 v[88:89], v[88:89], v[60:61]
	v_add_f64 v[247:248], v[247:248], -v[108:109]
	s_delay_alu instid0(VALU_DEP_2) | instskip(SKIP_2) | instid1(VALU_DEP_2)
	v_fma_f64 v[110:111], v[90:91], v[80:81], v[88:89]
	s_waitcnt lgkmcnt(0)
	v_mul_f64 v[88:89], v[94:95], v[60:61]
	v_add_f64 v[249:250], v[249:250], -v[110:111]
	s_delay_alu instid0(VALU_DEP_2) | instskip(SKIP_1) | instid1(VALU_DEP_2)
	v_fma_f64 v[112:113], v[92:93], v[80:81], -v[88:89]
	v_mul_f64 v[88:89], v[92:93], v[60:61]
	v_add_f64 v[251:252], v[251:252], -v[112:113]
	s_delay_alu instid0(VALU_DEP_2)
	v_fma_f64 v[114:115], v[94:95], v[80:81], v[88:89]
	ds_load_2addr_b64 v[88:91], v206 offset0:16 offset1:17
	ds_load_2addr_b64 v[92:95], v206 offset0:18 offset1:19
	s_waitcnt lgkmcnt(1)
	v_mul_f64 v[116:117], v[90:91], v[60:61]
	v_add_f64 v[253:254], v[253:254], -v[114:115]
	s_delay_alu instid0(VALU_DEP_2) | instskip(SKIP_1) | instid1(VALU_DEP_2)
	v_fma_f64 v[116:117], v[88:89], v[80:81], -v[116:117]
	v_mul_f64 v[88:89], v[88:89], v[60:61]
	v_add_f64 v[44:45], v[44:45], -v[116:117]
	s_delay_alu instid0(VALU_DEP_2) | instskip(SKIP_2) | instid1(VALU_DEP_2)
	v_fma_f64 v[118:119], v[90:91], v[80:81], v[88:89]
	s_waitcnt lgkmcnt(0)
	v_mul_f64 v[88:89], v[94:95], v[60:61]
	v_add_f64 v[46:47], v[46:47], -v[118:119]
	s_delay_alu instid0(VALU_DEP_2) | instskip(SKIP_1) | instid1(VALU_DEP_2)
	v_fma_f64 v[120:121], v[92:93], v[80:81], -v[88:89]
	v_mul_f64 v[88:89], v[92:93], v[60:61]
	v_add_f64 v[40:41], v[40:41], -v[120:121]
	s_delay_alu instid0(VALU_DEP_2)
	v_fma_f64 v[122:123], v[94:95], v[80:81], v[88:89]
	ds_load_2addr_b64 v[88:91], v206 offset0:20 offset1:21
	ds_load_2addr_b64 v[92:95], v206 offset0:22 offset1:23
	s_waitcnt lgkmcnt(1)
	v_mul_f64 v[124:125], v[90:91], v[60:61]
	v_add_f64 v[42:43], v[42:43], -v[122:123]
	s_delay_alu instid0(VALU_DEP_2) | instskip(SKIP_1) | instid1(VALU_DEP_2)
	v_fma_f64 v[124:125], v[88:89], v[80:81], -v[124:125]
	v_mul_f64 v[88:89], v[88:89], v[60:61]
	v_add_f64 v[36:37], v[36:37], -v[124:125]
	s_delay_alu instid0(VALU_DEP_2) | instskip(SKIP_2) | instid1(VALU_DEP_2)
	v_fma_f64 v[126:127], v[90:91], v[80:81], v[88:89]
	s_waitcnt lgkmcnt(0)
	v_mul_f64 v[88:89], v[94:95], v[60:61]
	v_add_f64 v[38:39], v[38:39], -v[126:127]
	s_delay_alu instid0(VALU_DEP_2) | instskip(SKIP_1) | instid1(VALU_DEP_2)
	v_fma_f64 v[128:129], v[92:93], v[80:81], -v[88:89]
	v_mul_f64 v[88:89], v[92:93], v[60:61]
	v_add_f64 v[32:33], v[32:33], -v[128:129]
	s_delay_alu instid0(VALU_DEP_2)
	v_fma_f64 v[130:131], v[94:95], v[80:81], v[88:89]
	ds_load_2addr_b64 v[88:91], v206 offset0:24 offset1:25
	ds_load_2addr_b64 v[92:95], v206 offset0:26 offset1:27
	s_waitcnt lgkmcnt(1)
	v_mul_f64 v[132:133], v[90:91], v[60:61]
	v_add_f64 v[34:35], v[34:35], -v[130:131]
	s_delay_alu instid0(VALU_DEP_2) | instskip(SKIP_1) | instid1(VALU_DEP_2)
	v_fma_f64 v[132:133], v[88:89], v[80:81], -v[132:133]
	v_mul_f64 v[88:89], v[88:89], v[60:61]
	v_add_f64 v[28:29], v[28:29], -v[132:133]
	s_delay_alu instid0(VALU_DEP_2) | instskip(SKIP_2) | instid1(VALU_DEP_2)
	v_fma_f64 v[134:135], v[90:91], v[80:81], v[88:89]
	s_waitcnt lgkmcnt(0)
	v_mul_f64 v[88:89], v[94:95], v[60:61]
	v_add_f64 v[30:31], v[30:31], -v[134:135]
	s_delay_alu instid0(VALU_DEP_2) | instskip(SKIP_1) | instid1(VALU_DEP_2)
	v_fma_f64 v[136:137], v[92:93], v[80:81], -v[88:89]
	v_mul_f64 v[88:89], v[92:93], v[60:61]
	v_add_f64 v[24:25], v[24:25], -v[136:137]
	s_delay_alu instid0(VALU_DEP_2)
	v_fma_f64 v[138:139], v[94:95], v[80:81], v[88:89]
	ds_load_2addr_b64 v[88:91], v206 offset0:28 offset1:29
	ds_load_2addr_b64 v[92:95], v206 offset0:30 offset1:31
	s_waitcnt lgkmcnt(1)
	v_mul_f64 v[140:141], v[90:91], v[60:61]
	v_add_f64 v[26:27], v[26:27], -v[138:139]
	s_delay_alu instid0(VALU_DEP_2) | instskip(SKIP_1) | instid1(VALU_DEP_2)
	v_fma_f64 v[140:141], v[88:89], v[80:81], -v[140:141]
	v_mul_f64 v[88:89], v[88:89], v[60:61]
	v_add_f64 v[20:21], v[20:21], -v[140:141]
	s_delay_alu instid0(VALU_DEP_2) | instskip(SKIP_2) | instid1(VALU_DEP_2)
	v_fma_f64 v[142:143], v[90:91], v[80:81], v[88:89]
	s_waitcnt lgkmcnt(0)
	v_mul_f64 v[88:89], v[94:95], v[60:61]
	v_add_f64 v[22:23], v[22:23], -v[142:143]
	s_delay_alu instid0(VALU_DEP_2) | instskip(SKIP_1) | instid1(VALU_DEP_2)
	v_fma_f64 v[144:145], v[92:93], v[80:81], -v[88:89]
	v_mul_f64 v[88:89], v[92:93], v[60:61]
	v_add_f64 v[16:17], v[16:17], -v[144:145]
	s_delay_alu instid0(VALU_DEP_2)
	v_fma_f64 v[146:147], v[94:95], v[80:81], v[88:89]
	ds_load_2addr_b64 v[88:91], v206 offset0:32 offset1:33
	ds_load_2addr_b64 v[92:95], v206 offset0:34 offset1:35
	s_waitcnt lgkmcnt(1)
	v_mul_f64 v[148:149], v[90:91], v[60:61]
	v_add_f64 v[18:19], v[18:19], -v[146:147]
	s_delay_alu instid0(VALU_DEP_2) | instskip(SKIP_1) | instid1(VALU_DEP_2)
	v_fma_f64 v[148:149], v[88:89], v[80:81], -v[148:149]
	v_mul_f64 v[88:89], v[88:89], v[60:61]
	v_add_f64 v[12:13], v[12:13], -v[148:149]
	s_delay_alu instid0(VALU_DEP_2) | instskip(SKIP_2) | instid1(VALU_DEP_2)
	v_fma_f64 v[150:151], v[90:91], v[80:81], v[88:89]
	s_waitcnt lgkmcnt(0)
	v_mul_f64 v[88:89], v[94:95], v[60:61]
	v_add_f64 v[14:15], v[14:15], -v[150:151]
	s_delay_alu instid0(VALU_DEP_2) | instskip(SKIP_1) | instid1(VALU_DEP_2)
	v_fma_f64 v[152:153], v[92:93], v[80:81], -v[88:89]
	v_mul_f64 v[88:89], v[92:93], v[60:61]
	v_add_f64 v[8:9], v[8:9], -v[152:153]
	s_delay_alu instid0(VALU_DEP_2)
	v_fma_f64 v[154:155], v[94:95], v[80:81], v[88:89]
	ds_load_2addr_b64 v[88:91], v206 offset0:36 offset1:37
	ds_load_2addr_b64 v[92:95], v206 offset0:38 offset1:39
	s_waitcnt lgkmcnt(1)
	v_mul_f64 v[156:157], v[90:91], v[60:61]
	v_add_f64 v[10:11], v[10:11], -v[154:155]
	s_delay_alu instid0(VALU_DEP_2) | instskip(SKIP_1) | instid1(VALU_DEP_2)
	v_fma_f64 v[156:157], v[88:89], v[80:81], -v[156:157]
	v_mul_f64 v[88:89], v[88:89], v[60:61]
	v_add_f64 v[4:5], v[4:5], -v[156:157]
	s_delay_alu instid0(VALU_DEP_2) | instskip(SKIP_2) | instid1(VALU_DEP_2)
	v_fma_f64 v[88:89], v[90:91], v[80:81], v[88:89]
	s_waitcnt lgkmcnt(0)
	v_mul_f64 v[90:91], v[94:95], v[60:61]
	v_add_f64 v[6:7], v[6:7], -v[88:89]
	s_delay_alu instid0(VALU_DEP_2) | instskip(SKIP_1) | instid1(VALU_DEP_2)
	v_fma_f64 v[90:91], v[92:93], v[80:81], -v[90:91]
	v_mul_f64 v[92:93], v[92:93], v[60:61]
	v_add_f64 v[0:1], v[0:1], -v[90:91]
	s_delay_alu instid0(VALU_DEP_2) | instskip(NEXT) | instid1(VALU_DEP_1)
	v_fma_f64 v[92:93], v[94:95], v[80:81], v[92:93]
	v_add_f64 v[2:3], v[2:3], -v[92:93]
.LBB39_19:
	s_or_b32 exec_lo, exec_lo, s3
	s_delay_alu instid0(SALU_CYCLE_1)
	s_mov_b32 s4, exec_lo
	s_waitcnt lgkmcnt(0)
	s_barrier
	buffer_gl0_inv
	v_cmpx_eq_u32_e32 2, v255
	s_cbranch_execz .LBB39_26
; %bb.20:
	ds_store_2addr_b64 v62, v[48:49], v[50:51] offset1:1
	ds_store_2addr_b64 v206, v[235:236], v[237:238] offset0:6 offset1:7
	ds_store_2addr_b64 v206, v[239:240], v[241:242] offset0:8 offset1:9
	;; [unrolled: 1-line block ×17, first 2 shown]
	ds_load_2addr_b64 v[88:91], v62 offset1:1
	s_waitcnt lgkmcnt(0)
	v_cmp_neq_f64_e32 vcc_lo, 0, v[88:89]
	v_cmp_neq_f64_e64 s3, 0, v[90:91]
	s_delay_alu instid0(VALU_DEP_1) | instskip(NEXT) | instid1(SALU_CYCLE_1)
	s_or_b32 s3, vcc_lo, s3
	s_and_b32 exec_lo, exec_lo, s3
	s_cbranch_execz .LBB39_26
; %bb.21:
	v_cmp_gt_f64_e32 vcc_lo, 0, v[88:89]
	v_cmp_gt_f64_e64 s3, 0, v[90:91]
	v_xor_b32_e32 v80, 0x80000000, v89
	v_xor_b32_e32 v82, 0x80000000, v91
                                        ; implicit-def: $vgpr96_vgpr97
	s_delay_alu instid0(VALU_DEP_2) | instskip(NEXT) | instid1(VALU_DEP_2)
	v_cndmask_b32_e32 v81, v89, v80, vcc_lo
	v_cndmask_b32_e64 v83, v91, v82, s3
	v_cndmask_b32_e32 v80, v88, v88, vcc_lo
	v_cndmask_b32_e64 v82, v90, v90, s3
	s_mov_b32 s3, exec_lo
	s_delay_alu instid0(VALU_DEP_1)
	v_cmpx_ngt_f64_e32 v[80:81], v[82:83]
	s_xor_b32 s3, exec_lo, s3
                                        ; implicit-def: $vgpr92_vgpr93_vgpr94_vgpr95
	s_cbranch_execz .LBB39_23
; %bb.22:
	v_div_scale_f64 v[80:81], null, v[90:91], v[90:91], v[88:89]
	v_div_scale_f64 v[94:95], vcc_lo, v[88:89], v[90:91], v[88:89]
	s_delay_alu instid0(VALU_DEP_2) | instskip(SKIP_2) | instid1(VALU_DEP_1)
	v_rcp_f64_e32 v[82:83], v[80:81]
	s_waitcnt_depctr 0xfff
	v_fma_f64 v[92:93], -v[80:81], v[82:83], 1.0
	v_fma_f64 v[82:83], v[82:83], v[92:93], v[82:83]
	s_delay_alu instid0(VALU_DEP_1) | instskip(NEXT) | instid1(VALU_DEP_1)
	v_fma_f64 v[92:93], -v[80:81], v[82:83], 1.0
	v_fma_f64 v[82:83], v[82:83], v[92:93], v[82:83]
	s_delay_alu instid0(VALU_DEP_1) | instskip(NEXT) | instid1(VALU_DEP_1)
	v_mul_f64 v[92:93], v[94:95], v[82:83]
	v_fma_f64 v[80:81], -v[80:81], v[92:93], v[94:95]
	s_delay_alu instid0(VALU_DEP_1) | instskip(NEXT) | instid1(VALU_DEP_1)
	v_div_fmas_f64 v[80:81], v[80:81], v[82:83], v[92:93]
	v_div_fixup_f64 v[80:81], v[80:81], v[90:91], v[88:89]
	s_delay_alu instid0(VALU_DEP_1) | instskip(NEXT) | instid1(VALU_DEP_1)
	v_fma_f64 v[82:83], v[88:89], v[80:81], v[90:91]
	v_div_scale_f64 v[88:89], null, v[82:83], v[82:83], 1.0
	s_delay_alu instid0(VALU_DEP_1) | instskip(SKIP_2) | instid1(VALU_DEP_1)
	v_rcp_f64_e32 v[90:91], v[88:89]
	s_waitcnt_depctr 0xfff
	v_fma_f64 v[92:93], -v[88:89], v[90:91], 1.0
	v_fma_f64 v[90:91], v[90:91], v[92:93], v[90:91]
	s_delay_alu instid0(VALU_DEP_1) | instskip(NEXT) | instid1(VALU_DEP_1)
	v_fma_f64 v[92:93], -v[88:89], v[90:91], 1.0
	v_fma_f64 v[90:91], v[90:91], v[92:93], v[90:91]
	v_div_scale_f64 v[92:93], vcc_lo, 1.0, v[82:83], 1.0
	s_delay_alu instid0(VALU_DEP_1) | instskip(NEXT) | instid1(VALU_DEP_1)
	v_mul_f64 v[94:95], v[92:93], v[90:91]
	v_fma_f64 v[88:89], -v[88:89], v[94:95], v[92:93]
	s_delay_alu instid0(VALU_DEP_1) | instskip(NEXT) | instid1(VALU_DEP_1)
	v_div_fmas_f64 v[88:89], v[88:89], v[90:91], v[94:95]
	v_div_fixup_f64 v[94:95], v[88:89], v[82:83], 1.0
                                        ; implicit-def: $vgpr88_vgpr89
	s_delay_alu instid0(VALU_DEP_1)
	v_mul_f64 v[96:97], v[80:81], v[94:95]
	v_xor_b32_e32 v95, 0x80000000, v95
.LBB39_23:
	s_and_not1_saveexec_b32 s3, s3
	s_cbranch_execz .LBB39_25
; %bb.24:
	v_div_scale_f64 v[80:81], null, v[88:89], v[88:89], v[90:91]
	v_div_scale_f64 v[94:95], vcc_lo, v[90:91], v[88:89], v[90:91]
	s_delay_alu instid0(VALU_DEP_2) | instskip(SKIP_2) | instid1(VALU_DEP_1)
	v_rcp_f64_e32 v[82:83], v[80:81]
	s_waitcnt_depctr 0xfff
	v_fma_f64 v[92:93], -v[80:81], v[82:83], 1.0
	v_fma_f64 v[82:83], v[82:83], v[92:93], v[82:83]
	s_delay_alu instid0(VALU_DEP_1) | instskip(NEXT) | instid1(VALU_DEP_1)
	v_fma_f64 v[92:93], -v[80:81], v[82:83], 1.0
	v_fma_f64 v[82:83], v[82:83], v[92:93], v[82:83]
	s_delay_alu instid0(VALU_DEP_1) | instskip(NEXT) | instid1(VALU_DEP_1)
	v_mul_f64 v[92:93], v[94:95], v[82:83]
	v_fma_f64 v[80:81], -v[80:81], v[92:93], v[94:95]
	s_delay_alu instid0(VALU_DEP_1) | instskip(NEXT) | instid1(VALU_DEP_1)
	v_div_fmas_f64 v[80:81], v[80:81], v[82:83], v[92:93]
	v_div_fixup_f64 v[80:81], v[80:81], v[88:89], v[90:91]
	s_delay_alu instid0(VALU_DEP_1) | instskip(NEXT) | instid1(VALU_DEP_1)
	v_fma_f64 v[82:83], v[90:91], v[80:81], v[88:89]
	v_div_scale_f64 v[88:89], null, v[82:83], v[82:83], 1.0
	s_delay_alu instid0(VALU_DEP_1) | instskip(SKIP_2) | instid1(VALU_DEP_1)
	v_rcp_f64_e32 v[90:91], v[88:89]
	s_waitcnt_depctr 0xfff
	v_fma_f64 v[92:93], -v[88:89], v[90:91], 1.0
	v_fma_f64 v[90:91], v[90:91], v[92:93], v[90:91]
	s_delay_alu instid0(VALU_DEP_1) | instskip(NEXT) | instid1(VALU_DEP_1)
	v_fma_f64 v[92:93], -v[88:89], v[90:91], 1.0
	v_fma_f64 v[90:91], v[90:91], v[92:93], v[90:91]
	v_div_scale_f64 v[92:93], vcc_lo, 1.0, v[82:83], 1.0
	s_delay_alu instid0(VALU_DEP_1) | instskip(NEXT) | instid1(VALU_DEP_1)
	v_mul_f64 v[94:95], v[92:93], v[90:91]
	v_fma_f64 v[88:89], -v[88:89], v[94:95], v[92:93]
	s_delay_alu instid0(VALU_DEP_1) | instskip(NEXT) | instid1(VALU_DEP_1)
	v_div_fmas_f64 v[88:89], v[88:89], v[90:91], v[94:95]
	v_div_fixup_f64 v[96:97], v[88:89], v[82:83], 1.0
	s_delay_alu instid0(VALU_DEP_1)
	v_mul_f64 v[94:95], v[80:81], -v[96:97]
.LBB39_25:
	s_or_b32 exec_lo, exec_lo, s3
	ds_store_2addr_b64 v62, v[96:97], v[94:95] offset1:1
.LBB39_26:
	s_or_b32 exec_lo, exec_lo, s4
	s_waitcnt lgkmcnt(0)
	s_barrier
	buffer_gl0_inv
	ds_load_2addr_b64 v[88:91], v62 offset1:1
	s_mov_b32 s3, exec_lo
	v_cmpx_lt_u32_e32 2, v255
	s_cbranch_execz .LBB39_28
; %bb.27:
	v_dual_mov_b32 v52, v68 :: v_dual_mov_b32 v53, v69
	v_dual_mov_b32 v54, v70 :: v_dual_mov_b32 v55, v71
	s_waitcnt lgkmcnt(0)
	v_mul_f64 v[70:71], v[88:89], v[50:51]
	v_mul_f64 v[80:81], v[90:91], v[50:51]
	ds_load_2addr_b64 v[92:95], v206 offset0:6 offset1:7
	ds_load_2addr_b64 v[96:99], v206 offset0:8 offset1:9
	v_fma_f64 v[50:51], v[90:91], v[48:49], v[70:71]
	v_fma_f64 v[80:81], v[88:89], v[48:49], -v[80:81]
	s_waitcnt lgkmcnt(1)
	s_delay_alu instid0(VALU_DEP_2) | instskip(SKIP_1) | instid1(VALU_DEP_3)
	v_mul_f64 v[68:69], v[94:95], v[50:51]
	v_mul_f64 v[82:83], v[92:93], v[50:51]
	v_dual_mov_b32 v48, v80 :: v_dual_mov_b32 v49, v81
	s_delay_alu instid0(VALU_DEP_3) | instskip(SKIP_2) | instid1(VALU_DEP_4)
	v_fma_f64 v[68:69], v[92:93], v[80:81], -v[68:69]
	s_waitcnt lgkmcnt(0)
	v_mul_f64 v[92:93], v[98:99], v[50:51]
	v_fma_f64 v[82:83], v[94:95], v[80:81], v[82:83]
	s_delay_alu instid0(VALU_DEP_3) | instskip(NEXT) | instid1(VALU_DEP_3)
	v_add_f64 v[235:236], v[235:236], -v[68:69]
	v_fma_f64 v[100:101], v[96:97], v[80:81], -v[92:93]
	v_mul_f64 v[92:93], v[96:97], v[50:51]
	s_delay_alu instid0(VALU_DEP_4)
	v_add_f64 v[237:238], v[237:238], -v[82:83]
	v_dual_mov_b32 v71, v55 :: v_dual_mov_b32 v70, v54
	v_dual_mov_b32 v69, v53 :: v_dual_mov_b32 v68, v52
	v_add_f64 v[239:240], v[239:240], -v[100:101]
	v_fma_f64 v[102:103], v[98:99], v[80:81], v[92:93]
	ds_load_2addr_b64 v[92:95], v206 offset0:10 offset1:11
	ds_load_2addr_b64 v[96:99], v206 offset0:12 offset1:13
	s_waitcnt lgkmcnt(1)
	v_mul_f64 v[104:105], v[94:95], v[50:51]
	v_add_f64 v[241:242], v[241:242], -v[102:103]
	s_delay_alu instid0(VALU_DEP_2) | instskip(SKIP_1) | instid1(VALU_DEP_2)
	v_fma_f64 v[104:105], v[92:93], v[80:81], -v[104:105]
	v_mul_f64 v[92:93], v[92:93], v[50:51]
	v_add_f64 v[243:244], v[243:244], -v[104:105]
	s_delay_alu instid0(VALU_DEP_2) | instskip(SKIP_2) | instid1(VALU_DEP_2)
	v_fma_f64 v[106:107], v[94:95], v[80:81], v[92:93]
	s_waitcnt lgkmcnt(0)
	v_mul_f64 v[92:93], v[98:99], v[50:51]
	v_add_f64 v[245:246], v[245:246], -v[106:107]
	s_delay_alu instid0(VALU_DEP_2) | instskip(SKIP_1) | instid1(VALU_DEP_2)
	v_fma_f64 v[108:109], v[96:97], v[80:81], -v[92:93]
	v_mul_f64 v[92:93], v[96:97], v[50:51]
	v_add_f64 v[247:248], v[247:248], -v[108:109]
	s_delay_alu instid0(VALU_DEP_2)
	v_fma_f64 v[110:111], v[98:99], v[80:81], v[92:93]
	ds_load_2addr_b64 v[92:95], v206 offset0:14 offset1:15
	ds_load_2addr_b64 v[96:99], v206 offset0:16 offset1:17
	s_waitcnt lgkmcnt(1)
	v_mul_f64 v[112:113], v[94:95], v[50:51]
	v_add_f64 v[249:250], v[249:250], -v[110:111]
	s_delay_alu instid0(VALU_DEP_2) | instskip(SKIP_1) | instid1(VALU_DEP_2)
	v_fma_f64 v[112:113], v[92:93], v[80:81], -v[112:113]
	v_mul_f64 v[92:93], v[92:93], v[50:51]
	v_add_f64 v[251:252], v[251:252], -v[112:113]
	s_delay_alu instid0(VALU_DEP_2) | instskip(SKIP_2) | instid1(VALU_DEP_2)
	v_fma_f64 v[114:115], v[94:95], v[80:81], v[92:93]
	s_waitcnt lgkmcnt(0)
	v_mul_f64 v[92:93], v[98:99], v[50:51]
	v_add_f64 v[253:254], v[253:254], -v[114:115]
	s_delay_alu instid0(VALU_DEP_2) | instskip(SKIP_1) | instid1(VALU_DEP_2)
	v_fma_f64 v[116:117], v[96:97], v[80:81], -v[92:93]
	v_mul_f64 v[92:93], v[96:97], v[50:51]
	v_add_f64 v[44:45], v[44:45], -v[116:117]
	s_delay_alu instid0(VALU_DEP_2)
	;; [unrolled: 20-line block ×6, first 2 shown]
	v_fma_f64 v[150:151], v[98:99], v[80:81], v[92:93]
	ds_load_2addr_b64 v[92:95], v206 offset0:34 offset1:35
	ds_load_2addr_b64 v[96:99], v206 offset0:36 offset1:37
	s_waitcnt lgkmcnt(1)
	v_mul_f64 v[152:153], v[94:95], v[50:51]
	v_add_f64 v[14:15], v[14:15], -v[150:151]
	s_delay_alu instid0(VALU_DEP_2) | instskip(SKIP_1) | instid1(VALU_DEP_2)
	v_fma_f64 v[152:153], v[92:93], v[80:81], -v[152:153]
	v_mul_f64 v[92:93], v[92:93], v[50:51]
	v_add_f64 v[8:9], v[8:9], -v[152:153]
	s_delay_alu instid0(VALU_DEP_2) | instskip(SKIP_2) | instid1(VALU_DEP_2)
	v_fma_f64 v[154:155], v[94:95], v[80:81], v[92:93]
	s_waitcnt lgkmcnt(0)
	v_mul_f64 v[92:93], v[98:99], v[50:51]
	v_add_f64 v[10:11], v[10:11], -v[154:155]
	s_delay_alu instid0(VALU_DEP_2) | instskip(SKIP_1) | instid1(VALU_DEP_2)
	v_fma_f64 v[156:157], v[96:97], v[80:81], -v[92:93]
	v_mul_f64 v[92:93], v[96:97], v[50:51]
	v_add_f64 v[4:5], v[4:5], -v[156:157]
	s_delay_alu instid0(VALU_DEP_2) | instskip(SKIP_4) | instid1(VALU_DEP_2)
	v_fma_f64 v[96:97], v[98:99], v[80:81], v[92:93]
	ds_load_2addr_b64 v[92:95], v206 offset0:38 offset1:39
	s_waitcnt lgkmcnt(0)
	v_mul_f64 v[98:99], v[94:95], v[50:51]
	v_add_f64 v[6:7], v[6:7], -v[96:97]
	v_fma_f64 v[98:99], v[92:93], v[80:81], -v[98:99]
	v_mul_f64 v[92:93], v[92:93], v[50:51]
	s_delay_alu instid0(VALU_DEP_2) | instskip(NEXT) | instid1(VALU_DEP_2)
	v_add_f64 v[0:1], v[0:1], -v[98:99]
	v_fma_f64 v[92:93], v[94:95], v[80:81], v[92:93]
	s_delay_alu instid0(VALU_DEP_1)
	v_add_f64 v[2:3], v[2:3], -v[92:93]
.LBB39_28:
	s_or_b32 exec_lo, exec_lo, s3
	s_delay_alu instid0(SALU_CYCLE_1)
	s_mov_b32 s4, exec_lo
	s_waitcnt lgkmcnt(0)
	s_barrier
	buffer_gl0_inv
	v_cmpx_eq_u32_e32 3, v255
	s_cbranch_execz .LBB39_35
; %bb.29:
	ds_store_2addr_b64 v62, v[235:236], v[237:238] offset1:1
	ds_store_2addr_b64 v206, v[239:240], v[241:242] offset0:8 offset1:9
	ds_store_2addr_b64 v206, v[243:244], v[245:246] offset0:10 offset1:11
	;; [unrolled: 1-line block ×16, first 2 shown]
	ds_load_2addr_b64 v[92:95], v62 offset1:1
	s_waitcnt lgkmcnt(0)
	v_cmp_neq_f64_e32 vcc_lo, 0, v[92:93]
	v_cmp_neq_f64_e64 s3, 0, v[94:95]
	s_delay_alu instid0(VALU_DEP_1) | instskip(NEXT) | instid1(SALU_CYCLE_1)
	s_or_b32 s3, vcc_lo, s3
	s_and_b32 exec_lo, exec_lo, s3
	s_cbranch_execz .LBB39_35
; %bb.30:
	v_cmp_gt_f64_e32 vcc_lo, 0, v[92:93]
	v_cmp_gt_f64_e64 s3, 0, v[94:95]
	v_xor_b32_e32 v80, 0x80000000, v93
	v_xor_b32_e32 v82, 0x80000000, v95
                                        ; implicit-def: $vgpr100_vgpr101
	s_delay_alu instid0(VALU_DEP_2) | instskip(NEXT) | instid1(VALU_DEP_2)
	v_cndmask_b32_e32 v81, v93, v80, vcc_lo
	v_cndmask_b32_e64 v83, v95, v82, s3
	v_cndmask_b32_e32 v80, v92, v92, vcc_lo
	v_cndmask_b32_e64 v82, v94, v94, s3
	s_mov_b32 s3, exec_lo
	s_delay_alu instid0(VALU_DEP_1)
	v_cmpx_ngt_f64_e32 v[80:81], v[82:83]
	s_xor_b32 s3, exec_lo, s3
                                        ; implicit-def: $vgpr96_vgpr97_vgpr98_vgpr99
	s_cbranch_execz .LBB39_32
; %bb.31:
	v_div_scale_f64 v[80:81], null, v[94:95], v[94:95], v[92:93]
	v_div_scale_f64 v[98:99], vcc_lo, v[92:93], v[94:95], v[92:93]
	s_delay_alu instid0(VALU_DEP_2) | instskip(SKIP_2) | instid1(VALU_DEP_1)
	v_rcp_f64_e32 v[82:83], v[80:81]
	s_waitcnt_depctr 0xfff
	v_fma_f64 v[96:97], -v[80:81], v[82:83], 1.0
	v_fma_f64 v[82:83], v[82:83], v[96:97], v[82:83]
	s_delay_alu instid0(VALU_DEP_1) | instskip(NEXT) | instid1(VALU_DEP_1)
	v_fma_f64 v[96:97], -v[80:81], v[82:83], 1.0
	v_fma_f64 v[82:83], v[82:83], v[96:97], v[82:83]
	s_delay_alu instid0(VALU_DEP_1) | instskip(NEXT) | instid1(VALU_DEP_1)
	v_mul_f64 v[96:97], v[98:99], v[82:83]
	v_fma_f64 v[80:81], -v[80:81], v[96:97], v[98:99]
	s_delay_alu instid0(VALU_DEP_1) | instskip(NEXT) | instid1(VALU_DEP_1)
	v_div_fmas_f64 v[80:81], v[80:81], v[82:83], v[96:97]
	v_div_fixup_f64 v[80:81], v[80:81], v[94:95], v[92:93]
	s_delay_alu instid0(VALU_DEP_1) | instskip(NEXT) | instid1(VALU_DEP_1)
	v_fma_f64 v[82:83], v[92:93], v[80:81], v[94:95]
	v_div_scale_f64 v[92:93], null, v[82:83], v[82:83], 1.0
	s_delay_alu instid0(VALU_DEP_1) | instskip(SKIP_2) | instid1(VALU_DEP_1)
	v_rcp_f64_e32 v[94:95], v[92:93]
	s_waitcnt_depctr 0xfff
	v_fma_f64 v[96:97], -v[92:93], v[94:95], 1.0
	v_fma_f64 v[94:95], v[94:95], v[96:97], v[94:95]
	s_delay_alu instid0(VALU_DEP_1) | instskip(NEXT) | instid1(VALU_DEP_1)
	v_fma_f64 v[96:97], -v[92:93], v[94:95], 1.0
	v_fma_f64 v[94:95], v[94:95], v[96:97], v[94:95]
	v_div_scale_f64 v[96:97], vcc_lo, 1.0, v[82:83], 1.0
	s_delay_alu instid0(VALU_DEP_1) | instskip(NEXT) | instid1(VALU_DEP_1)
	v_mul_f64 v[98:99], v[96:97], v[94:95]
	v_fma_f64 v[92:93], -v[92:93], v[98:99], v[96:97]
	s_delay_alu instid0(VALU_DEP_1) | instskip(NEXT) | instid1(VALU_DEP_1)
	v_div_fmas_f64 v[92:93], v[92:93], v[94:95], v[98:99]
	v_div_fixup_f64 v[98:99], v[92:93], v[82:83], 1.0
                                        ; implicit-def: $vgpr92_vgpr93
	s_delay_alu instid0(VALU_DEP_1)
	v_mul_f64 v[100:101], v[80:81], v[98:99]
	v_xor_b32_e32 v99, 0x80000000, v99
.LBB39_32:
	s_and_not1_saveexec_b32 s3, s3
	s_cbranch_execz .LBB39_34
; %bb.33:
	v_div_scale_f64 v[80:81], null, v[92:93], v[92:93], v[94:95]
	v_div_scale_f64 v[98:99], vcc_lo, v[94:95], v[92:93], v[94:95]
	s_delay_alu instid0(VALU_DEP_2) | instskip(SKIP_2) | instid1(VALU_DEP_1)
	v_rcp_f64_e32 v[82:83], v[80:81]
	s_waitcnt_depctr 0xfff
	v_fma_f64 v[96:97], -v[80:81], v[82:83], 1.0
	v_fma_f64 v[82:83], v[82:83], v[96:97], v[82:83]
	s_delay_alu instid0(VALU_DEP_1) | instskip(NEXT) | instid1(VALU_DEP_1)
	v_fma_f64 v[96:97], -v[80:81], v[82:83], 1.0
	v_fma_f64 v[82:83], v[82:83], v[96:97], v[82:83]
	s_delay_alu instid0(VALU_DEP_1) | instskip(NEXT) | instid1(VALU_DEP_1)
	v_mul_f64 v[96:97], v[98:99], v[82:83]
	v_fma_f64 v[80:81], -v[80:81], v[96:97], v[98:99]
	s_delay_alu instid0(VALU_DEP_1) | instskip(NEXT) | instid1(VALU_DEP_1)
	v_div_fmas_f64 v[80:81], v[80:81], v[82:83], v[96:97]
	v_div_fixup_f64 v[80:81], v[80:81], v[92:93], v[94:95]
	s_delay_alu instid0(VALU_DEP_1) | instskip(NEXT) | instid1(VALU_DEP_1)
	v_fma_f64 v[82:83], v[94:95], v[80:81], v[92:93]
	v_div_scale_f64 v[92:93], null, v[82:83], v[82:83], 1.0
	s_delay_alu instid0(VALU_DEP_1) | instskip(SKIP_2) | instid1(VALU_DEP_1)
	v_rcp_f64_e32 v[94:95], v[92:93]
	s_waitcnt_depctr 0xfff
	v_fma_f64 v[96:97], -v[92:93], v[94:95], 1.0
	v_fma_f64 v[94:95], v[94:95], v[96:97], v[94:95]
	s_delay_alu instid0(VALU_DEP_1) | instskip(NEXT) | instid1(VALU_DEP_1)
	v_fma_f64 v[96:97], -v[92:93], v[94:95], 1.0
	v_fma_f64 v[94:95], v[94:95], v[96:97], v[94:95]
	v_div_scale_f64 v[96:97], vcc_lo, 1.0, v[82:83], 1.0
	s_delay_alu instid0(VALU_DEP_1) | instskip(NEXT) | instid1(VALU_DEP_1)
	v_mul_f64 v[98:99], v[96:97], v[94:95]
	v_fma_f64 v[92:93], -v[92:93], v[98:99], v[96:97]
	s_delay_alu instid0(VALU_DEP_1) | instskip(NEXT) | instid1(VALU_DEP_1)
	v_div_fmas_f64 v[92:93], v[92:93], v[94:95], v[98:99]
	v_div_fixup_f64 v[100:101], v[92:93], v[82:83], 1.0
	s_delay_alu instid0(VALU_DEP_1)
	v_mul_f64 v[98:99], v[80:81], -v[100:101]
.LBB39_34:
	s_or_b32 exec_lo, exec_lo, s3
	ds_store_2addr_b64 v62, v[100:101], v[98:99] offset1:1
.LBB39_35:
	s_or_b32 exec_lo, exec_lo, s4
	s_waitcnt lgkmcnt(0)
	s_barrier
	buffer_gl0_inv
	ds_load_2addr_b64 v[92:95], v62 offset1:1
	s_mov_b32 s3, exec_lo
	v_cmpx_lt_u32_e32 3, v255
	s_cbranch_execz .LBB39_37
; %bb.36:
	s_waitcnt lgkmcnt(0)
	v_mul_f64 v[80:81], v[92:93], v[237:238]
	v_mul_f64 v[66:67], v[94:95], v[237:238]
	ds_load_2addr_b64 v[96:99], v206 offset0:8 offset1:9
	ds_load_2addr_b64 v[100:103], v206 offset0:10 offset1:11
	v_fma_f64 v[80:81], v[94:95], v[235:236], v[80:81]
	v_fma_f64 v[235:236], v[92:93], v[235:236], -v[66:67]
	s_waitcnt lgkmcnt(1)
	s_delay_alu instid0(VALU_DEP_2) | instskip(SKIP_2) | instid1(VALU_DEP_3)
	v_mul_f64 v[66:67], v[98:99], v[80:81]
	v_mul_f64 v[82:83], v[96:97], v[80:81]
	v_dual_mov_b32 v238, v81 :: v_dual_mov_b32 v237, v80
	v_fma_f64 v[66:67], v[96:97], v[235:236], -v[66:67]
	s_waitcnt lgkmcnt(0)
	v_mul_f64 v[96:97], v[102:103], v[80:81]
	s_delay_alu instid0(VALU_DEP_4) | instskip(NEXT) | instid1(VALU_DEP_3)
	v_fma_f64 v[82:83], v[98:99], v[235:236], v[82:83]
	v_add_f64 v[239:240], v[239:240], -v[66:67]
	s_delay_alu instid0(VALU_DEP_3) | instskip(SKIP_1) | instid1(VALU_DEP_4)
	v_fma_f64 v[104:105], v[100:101], v[235:236], -v[96:97]
	v_mul_f64 v[96:97], v[100:101], v[80:81]
	v_add_f64 v[241:242], v[241:242], -v[82:83]
	s_delay_alu instid0(VALU_DEP_3) | instskip(NEXT) | instid1(VALU_DEP_3)
	v_add_f64 v[243:244], v[243:244], -v[104:105]
	v_fma_f64 v[106:107], v[102:103], v[235:236], v[96:97]
	ds_load_2addr_b64 v[96:99], v206 offset0:12 offset1:13
	ds_load_2addr_b64 v[100:103], v206 offset0:14 offset1:15
	s_waitcnt lgkmcnt(1)
	v_mul_f64 v[108:109], v[98:99], v[80:81]
	v_add_f64 v[245:246], v[245:246], -v[106:107]
	s_delay_alu instid0(VALU_DEP_2) | instskip(SKIP_1) | instid1(VALU_DEP_2)
	v_fma_f64 v[108:109], v[96:97], v[235:236], -v[108:109]
	v_mul_f64 v[96:97], v[96:97], v[80:81]
	v_add_f64 v[247:248], v[247:248], -v[108:109]
	s_delay_alu instid0(VALU_DEP_2) | instskip(SKIP_2) | instid1(VALU_DEP_2)
	v_fma_f64 v[110:111], v[98:99], v[235:236], v[96:97]
	s_waitcnt lgkmcnt(0)
	v_mul_f64 v[96:97], v[102:103], v[80:81]
	v_add_f64 v[249:250], v[249:250], -v[110:111]
	s_delay_alu instid0(VALU_DEP_2) | instskip(SKIP_1) | instid1(VALU_DEP_2)
	v_fma_f64 v[112:113], v[100:101], v[235:236], -v[96:97]
	v_mul_f64 v[96:97], v[100:101], v[80:81]
	v_add_f64 v[251:252], v[251:252], -v[112:113]
	s_delay_alu instid0(VALU_DEP_2)
	v_fma_f64 v[114:115], v[102:103], v[235:236], v[96:97]
	ds_load_2addr_b64 v[96:99], v206 offset0:16 offset1:17
	ds_load_2addr_b64 v[100:103], v206 offset0:18 offset1:19
	s_waitcnt lgkmcnt(1)
	v_mul_f64 v[116:117], v[98:99], v[80:81]
	v_add_f64 v[253:254], v[253:254], -v[114:115]
	s_delay_alu instid0(VALU_DEP_2) | instskip(SKIP_1) | instid1(VALU_DEP_2)
	v_fma_f64 v[116:117], v[96:97], v[235:236], -v[116:117]
	v_mul_f64 v[96:97], v[96:97], v[80:81]
	v_add_f64 v[44:45], v[44:45], -v[116:117]
	s_delay_alu instid0(VALU_DEP_2) | instskip(SKIP_2) | instid1(VALU_DEP_2)
	v_fma_f64 v[118:119], v[98:99], v[235:236], v[96:97]
	s_waitcnt lgkmcnt(0)
	v_mul_f64 v[96:97], v[102:103], v[80:81]
	v_add_f64 v[46:47], v[46:47], -v[118:119]
	s_delay_alu instid0(VALU_DEP_2) | instskip(SKIP_1) | instid1(VALU_DEP_2)
	v_fma_f64 v[120:121], v[100:101], v[235:236], -v[96:97]
	v_mul_f64 v[96:97], v[100:101], v[80:81]
	v_add_f64 v[40:41], v[40:41], -v[120:121]
	s_delay_alu instid0(VALU_DEP_2)
	;; [unrolled: 20-line block ×6, first 2 shown]
	v_fma_f64 v[154:155], v[102:103], v[235:236], v[96:97]
	ds_load_2addr_b64 v[96:99], v206 offset0:36 offset1:37
	ds_load_2addr_b64 v[100:103], v206 offset0:38 offset1:39
	s_waitcnt lgkmcnt(1)
	v_mul_f64 v[156:157], v[98:99], v[80:81]
	v_add_f64 v[10:11], v[10:11], -v[154:155]
	s_delay_alu instid0(VALU_DEP_2) | instskip(SKIP_1) | instid1(VALU_DEP_2)
	v_fma_f64 v[156:157], v[96:97], v[235:236], -v[156:157]
	v_mul_f64 v[96:97], v[96:97], v[80:81]
	v_add_f64 v[4:5], v[4:5], -v[156:157]
	s_delay_alu instid0(VALU_DEP_2) | instskip(SKIP_2) | instid1(VALU_DEP_2)
	v_fma_f64 v[96:97], v[98:99], v[235:236], v[96:97]
	s_waitcnt lgkmcnt(0)
	v_mul_f64 v[98:99], v[102:103], v[80:81]
	v_add_f64 v[6:7], v[6:7], -v[96:97]
	s_delay_alu instid0(VALU_DEP_2) | instskip(SKIP_1) | instid1(VALU_DEP_2)
	v_fma_f64 v[98:99], v[100:101], v[235:236], -v[98:99]
	v_mul_f64 v[100:101], v[100:101], v[80:81]
	v_add_f64 v[0:1], v[0:1], -v[98:99]
	s_delay_alu instid0(VALU_DEP_2) | instskip(NEXT) | instid1(VALU_DEP_1)
	v_fma_f64 v[100:101], v[102:103], v[235:236], v[100:101]
	v_add_f64 v[2:3], v[2:3], -v[100:101]
.LBB39_37:
	s_or_b32 exec_lo, exec_lo, s3
	s_delay_alu instid0(SALU_CYCLE_1)
	s_mov_b32 s4, exec_lo
	s_waitcnt lgkmcnt(0)
	s_barrier
	buffer_gl0_inv
	v_cmpx_eq_u32_e32 4, v255
	s_cbranch_execz .LBB39_44
; %bb.38:
	ds_store_2addr_b64 v62, v[239:240], v[241:242] offset1:1
	ds_store_2addr_b64 v206, v[243:244], v[245:246] offset0:10 offset1:11
	ds_store_2addr_b64 v206, v[247:248], v[249:250] offset0:12 offset1:13
	;; [unrolled: 1-line block ×15, first 2 shown]
	ds_load_2addr_b64 v[96:99], v62 offset1:1
	s_waitcnt lgkmcnt(0)
	v_cmp_neq_f64_e32 vcc_lo, 0, v[96:97]
	v_cmp_neq_f64_e64 s3, 0, v[98:99]
	s_delay_alu instid0(VALU_DEP_1) | instskip(NEXT) | instid1(SALU_CYCLE_1)
	s_or_b32 s3, vcc_lo, s3
	s_and_b32 exec_lo, exec_lo, s3
	s_cbranch_execz .LBB39_44
; %bb.39:
	v_cmp_gt_f64_e32 vcc_lo, 0, v[96:97]
	v_cmp_gt_f64_e64 s3, 0, v[98:99]
	v_xor_b32_e32 v80, 0x80000000, v97
	v_xor_b32_e32 v82, 0x80000000, v99
                                        ; implicit-def: $vgpr104_vgpr105
	s_delay_alu instid0(VALU_DEP_2) | instskip(NEXT) | instid1(VALU_DEP_2)
	v_cndmask_b32_e32 v81, v97, v80, vcc_lo
	v_cndmask_b32_e64 v83, v99, v82, s3
	v_cndmask_b32_e32 v80, v96, v96, vcc_lo
	v_cndmask_b32_e64 v82, v98, v98, s3
	s_mov_b32 s3, exec_lo
	s_delay_alu instid0(VALU_DEP_1)
	v_cmpx_ngt_f64_e32 v[80:81], v[82:83]
	s_xor_b32 s3, exec_lo, s3
                                        ; implicit-def: $vgpr100_vgpr101_vgpr102_vgpr103
	s_cbranch_execz .LBB39_41
; %bb.40:
	v_div_scale_f64 v[80:81], null, v[98:99], v[98:99], v[96:97]
	v_div_scale_f64 v[102:103], vcc_lo, v[96:97], v[98:99], v[96:97]
	s_delay_alu instid0(VALU_DEP_2) | instskip(SKIP_2) | instid1(VALU_DEP_1)
	v_rcp_f64_e32 v[82:83], v[80:81]
	s_waitcnt_depctr 0xfff
	v_fma_f64 v[100:101], -v[80:81], v[82:83], 1.0
	v_fma_f64 v[82:83], v[82:83], v[100:101], v[82:83]
	s_delay_alu instid0(VALU_DEP_1) | instskip(NEXT) | instid1(VALU_DEP_1)
	v_fma_f64 v[100:101], -v[80:81], v[82:83], 1.0
	v_fma_f64 v[82:83], v[82:83], v[100:101], v[82:83]
	s_delay_alu instid0(VALU_DEP_1) | instskip(NEXT) | instid1(VALU_DEP_1)
	v_mul_f64 v[100:101], v[102:103], v[82:83]
	v_fma_f64 v[80:81], -v[80:81], v[100:101], v[102:103]
	s_delay_alu instid0(VALU_DEP_1) | instskip(NEXT) | instid1(VALU_DEP_1)
	v_div_fmas_f64 v[80:81], v[80:81], v[82:83], v[100:101]
	v_div_fixup_f64 v[80:81], v[80:81], v[98:99], v[96:97]
	s_delay_alu instid0(VALU_DEP_1) | instskip(NEXT) | instid1(VALU_DEP_1)
	v_fma_f64 v[82:83], v[96:97], v[80:81], v[98:99]
	v_div_scale_f64 v[96:97], null, v[82:83], v[82:83], 1.0
	s_delay_alu instid0(VALU_DEP_1) | instskip(SKIP_2) | instid1(VALU_DEP_1)
	v_rcp_f64_e32 v[98:99], v[96:97]
	s_waitcnt_depctr 0xfff
	v_fma_f64 v[100:101], -v[96:97], v[98:99], 1.0
	v_fma_f64 v[98:99], v[98:99], v[100:101], v[98:99]
	s_delay_alu instid0(VALU_DEP_1) | instskip(NEXT) | instid1(VALU_DEP_1)
	v_fma_f64 v[100:101], -v[96:97], v[98:99], 1.0
	v_fma_f64 v[98:99], v[98:99], v[100:101], v[98:99]
	v_div_scale_f64 v[100:101], vcc_lo, 1.0, v[82:83], 1.0
	s_delay_alu instid0(VALU_DEP_1) | instskip(NEXT) | instid1(VALU_DEP_1)
	v_mul_f64 v[102:103], v[100:101], v[98:99]
	v_fma_f64 v[96:97], -v[96:97], v[102:103], v[100:101]
	s_delay_alu instid0(VALU_DEP_1) | instskip(NEXT) | instid1(VALU_DEP_1)
	v_div_fmas_f64 v[96:97], v[96:97], v[98:99], v[102:103]
	v_div_fixup_f64 v[102:103], v[96:97], v[82:83], 1.0
                                        ; implicit-def: $vgpr96_vgpr97
	s_delay_alu instid0(VALU_DEP_1)
	v_mul_f64 v[104:105], v[80:81], v[102:103]
	v_xor_b32_e32 v103, 0x80000000, v103
.LBB39_41:
	s_and_not1_saveexec_b32 s3, s3
	s_cbranch_execz .LBB39_43
; %bb.42:
	v_div_scale_f64 v[80:81], null, v[96:97], v[96:97], v[98:99]
	v_div_scale_f64 v[102:103], vcc_lo, v[98:99], v[96:97], v[98:99]
	s_delay_alu instid0(VALU_DEP_2) | instskip(SKIP_2) | instid1(VALU_DEP_1)
	v_rcp_f64_e32 v[82:83], v[80:81]
	s_waitcnt_depctr 0xfff
	v_fma_f64 v[100:101], -v[80:81], v[82:83], 1.0
	v_fma_f64 v[82:83], v[82:83], v[100:101], v[82:83]
	s_delay_alu instid0(VALU_DEP_1) | instskip(NEXT) | instid1(VALU_DEP_1)
	v_fma_f64 v[100:101], -v[80:81], v[82:83], 1.0
	v_fma_f64 v[82:83], v[82:83], v[100:101], v[82:83]
	s_delay_alu instid0(VALU_DEP_1) | instskip(NEXT) | instid1(VALU_DEP_1)
	v_mul_f64 v[100:101], v[102:103], v[82:83]
	v_fma_f64 v[80:81], -v[80:81], v[100:101], v[102:103]
	s_delay_alu instid0(VALU_DEP_1) | instskip(NEXT) | instid1(VALU_DEP_1)
	v_div_fmas_f64 v[80:81], v[80:81], v[82:83], v[100:101]
	v_div_fixup_f64 v[80:81], v[80:81], v[96:97], v[98:99]
	s_delay_alu instid0(VALU_DEP_1) | instskip(NEXT) | instid1(VALU_DEP_1)
	v_fma_f64 v[82:83], v[98:99], v[80:81], v[96:97]
	v_div_scale_f64 v[96:97], null, v[82:83], v[82:83], 1.0
	s_delay_alu instid0(VALU_DEP_1) | instskip(SKIP_2) | instid1(VALU_DEP_1)
	v_rcp_f64_e32 v[98:99], v[96:97]
	s_waitcnt_depctr 0xfff
	v_fma_f64 v[100:101], -v[96:97], v[98:99], 1.0
	v_fma_f64 v[98:99], v[98:99], v[100:101], v[98:99]
	s_delay_alu instid0(VALU_DEP_1) | instskip(NEXT) | instid1(VALU_DEP_1)
	v_fma_f64 v[100:101], -v[96:97], v[98:99], 1.0
	v_fma_f64 v[98:99], v[98:99], v[100:101], v[98:99]
	v_div_scale_f64 v[100:101], vcc_lo, 1.0, v[82:83], 1.0
	s_delay_alu instid0(VALU_DEP_1) | instskip(NEXT) | instid1(VALU_DEP_1)
	v_mul_f64 v[102:103], v[100:101], v[98:99]
	v_fma_f64 v[96:97], -v[96:97], v[102:103], v[100:101]
	s_delay_alu instid0(VALU_DEP_1) | instskip(NEXT) | instid1(VALU_DEP_1)
	v_div_fmas_f64 v[96:97], v[96:97], v[98:99], v[102:103]
	v_div_fixup_f64 v[104:105], v[96:97], v[82:83], 1.0
	s_delay_alu instid0(VALU_DEP_1)
	v_mul_f64 v[102:103], v[80:81], -v[104:105]
.LBB39_43:
	s_or_b32 exec_lo, exec_lo, s3
	ds_store_2addr_b64 v62, v[104:105], v[102:103] offset1:1
.LBB39_44:
	s_or_b32 exec_lo, exec_lo, s4
	s_waitcnt lgkmcnt(0)
	s_barrier
	buffer_gl0_inv
	ds_load_2addr_b64 v[96:99], v62 offset1:1
	s_mov_b32 s3, exec_lo
	v_cmpx_lt_u32_e32 4, v255
	s_cbranch_execz .LBB39_46
; %bb.45:
	s_waitcnt lgkmcnt(0)
	v_mul_f64 v[80:81], v[96:97], v[241:242]
	ds_load_2addr_b64 v[100:103], v206 offset0:10 offset1:11
	ds_load_2addr_b64 v[104:107], v206 offset0:12 offset1:13
	v_fma_f64 v[80:81], v[98:99], v[239:240], v[80:81]
	v_mov_b32_e32 v52, v62
	v_mul_f64 v[62:63], v[98:99], v[241:242]
	s_waitcnt lgkmcnt(1)
	s_delay_alu instid0(VALU_DEP_3) | instskip(SKIP_1) | instid1(VALU_DEP_3)
	v_mul_f64 v[82:83], v[100:101], v[80:81]
	v_dual_mov_b32 v242, v81 :: v_dual_mov_b32 v241, v80
	v_fma_f64 v[239:240], v[96:97], v[239:240], -v[62:63]
	v_mul_f64 v[62:63], v[102:103], v[80:81]
	s_delay_alu instid0(VALU_DEP_2) | instskip(NEXT) | instid1(VALU_DEP_2)
	v_fma_f64 v[82:83], v[102:103], v[239:240], v[82:83]
	v_fma_f64 v[62:63], v[100:101], v[239:240], -v[62:63]
	s_waitcnt lgkmcnt(0)
	v_mul_f64 v[100:101], v[106:107], v[80:81]
	s_delay_alu instid0(VALU_DEP_3) | instskip(NEXT) | instid1(VALU_DEP_3)
	v_add_f64 v[245:246], v[245:246], -v[82:83]
	v_add_f64 v[243:244], v[243:244], -v[62:63]
	s_delay_alu instid0(VALU_DEP_3) | instskip(SKIP_2) | instid1(VALU_DEP_3)
	v_fma_f64 v[108:109], v[104:105], v[239:240], -v[100:101]
	v_mul_f64 v[100:101], v[104:105], v[80:81]
	v_mov_b32_e32 v62, v52
	v_add_f64 v[247:248], v[247:248], -v[108:109]
	s_delay_alu instid0(VALU_DEP_3)
	v_fma_f64 v[110:111], v[106:107], v[239:240], v[100:101]
	ds_load_2addr_b64 v[100:103], v206 offset0:14 offset1:15
	ds_load_2addr_b64 v[104:107], v206 offset0:16 offset1:17
	s_waitcnt lgkmcnt(1)
	v_mul_f64 v[112:113], v[102:103], v[80:81]
	v_add_f64 v[249:250], v[249:250], -v[110:111]
	s_delay_alu instid0(VALU_DEP_2) | instskip(SKIP_1) | instid1(VALU_DEP_2)
	v_fma_f64 v[112:113], v[100:101], v[239:240], -v[112:113]
	v_mul_f64 v[100:101], v[100:101], v[80:81]
	v_add_f64 v[251:252], v[251:252], -v[112:113]
	s_delay_alu instid0(VALU_DEP_2) | instskip(SKIP_2) | instid1(VALU_DEP_2)
	v_fma_f64 v[114:115], v[102:103], v[239:240], v[100:101]
	s_waitcnt lgkmcnt(0)
	v_mul_f64 v[100:101], v[106:107], v[80:81]
	v_add_f64 v[253:254], v[253:254], -v[114:115]
	s_delay_alu instid0(VALU_DEP_2) | instskip(SKIP_1) | instid1(VALU_DEP_2)
	v_fma_f64 v[116:117], v[104:105], v[239:240], -v[100:101]
	v_mul_f64 v[100:101], v[104:105], v[80:81]
	v_add_f64 v[44:45], v[44:45], -v[116:117]
	s_delay_alu instid0(VALU_DEP_2)
	v_fma_f64 v[118:119], v[106:107], v[239:240], v[100:101]
	ds_load_2addr_b64 v[100:103], v206 offset0:18 offset1:19
	ds_load_2addr_b64 v[104:107], v206 offset0:20 offset1:21
	s_waitcnt lgkmcnt(1)
	v_mul_f64 v[120:121], v[102:103], v[80:81]
	v_add_f64 v[46:47], v[46:47], -v[118:119]
	s_delay_alu instid0(VALU_DEP_2) | instskip(SKIP_1) | instid1(VALU_DEP_2)
	v_fma_f64 v[120:121], v[100:101], v[239:240], -v[120:121]
	v_mul_f64 v[100:101], v[100:101], v[80:81]
	v_add_f64 v[40:41], v[40:41], -v[120:121]
	s_delay_alu instid0(VALU_DEP_2) | instskip(SKIP_2) | instid1(VALU_DEP_2)
	v_fma_f64 v[122:123], v[102:103], v[239:240], v[100:101]
	s_waitcnt lgkmcnt(0)
	v_mul_f64 v[100:101], v[106:107], v[80:81]
	v_add_f64 v[42:43], v[42:43], -v[122:123]
	s_delay_alu instid0(VALU_DEP_2) | instskip(SKIP_1) | instid1(VALU_DEP_2)
	v_fma_f64 v[124:125], v[104:105], v[239:240], -v[100:101]
	v_mul_f64 v[100:101], v[104:105], v[80:81]
	v_add_f64 v[36:37], v[36:37], -v[124:125]
	s_delay_alu instid0(VALU_DEP_2)
	;; [unrolled: 20-line block ×5, first 2 shown]
	v_fma_f64 v[150:151], v[106:107], v[239:240], v[100:101]
	ds_load_2addr_b64 v[100:103], v206 offset0:34 offset1:35
	ds_load_2addr_b64 v[104:107], v206 offset0:36 offset1:37
	s_waitcnt lgkmcnt(1)
	v_mul_f64 v[152:153], v[102:103], v[80:81]
	v_add_f64 v[14:15], v[14:15], -v[150:151]
	s_delay_alu instid0(VALU_DEP_2) | instskip(SKIP_1) | instid1(VALU_DEP_2)
	v_fma_f64 v[152:153], v[100:101], v[239:240], -v[152:153]
	v_mul_f64 v[100:101], v[100:101], v[80:81]
	v_add_f64 v[8:9], v[8:9], -v[152:153]
	s_delay_alu instid0(VALU_DEP_2) | instskip(SKIP_2) | instid1(VALU_DEP_2)
	v_fma_f64 v[154:155], v[102:103], v[239:240], v[100:101]
	s_waitcnt lgkmcnt(0)
	v_mul_f64 v[100:101], v[106:107], v[80:81]
	v_add_f64 v[10:11], v[10:11], -v[154:155]
	s_delay_alu instid0(VALU_DEP_2) | instskip(SKIP_1) | instid1(VALU_DEP_2)
	v_fma_f64 v[156:157], v[104:105], v[239:240], -v[100:101]
	v_mul_f64 v[100:101], v[104:105], v[80:81]
	v_add_f64 v[4:5], v[4:5], -v[156:157]
	s_delay_alu instid0(VALU_DEP_2) | instskip(SKIP_4) | instid1(VALU_DEP_2)
	v_fma_f64 v[104:105], v[106:107], v[239:240], v[100:101]
	ds_load_2addr_b64 v[100:103], v206 offset0:38 offset1:39
	s_waitcnt lgkmcnt(0)
	v_mul_f64 v[106:107], v[102:103], v[80:81]
	v_add_f64 v[6:7], v[6:7], -v[104:105]
	v_fma_f64 v[106:107], v[100:101], v[239:240], -v[106:107]
	v_mul_f64 v[100:101], v[100:101], v[80:81]
	s_delay_alu instid0(VALU_DEP_2) | instskip(NEXT) | instid1(VALU_DEP_2)
	v_add_f64 v[0:1], v[0:1], -v[106:107]
	v_fma_f64 v[100:101], v[102:103], v[239:240], v[100:101]
	s_delay_alu instid0(VALU_DEP_1)
	v_add_f64 v[2:3], v[2:3], -v[100:101]
.LBB39_46:
	s_or_b32 exec_lo, exec_lo, s3
	s_delay_alu instid0(SALU_CYCLE_1)
	s_mov_b32 s4, exec_lo
	s_waitcnt lgkmcnt(0)
	s_barrier
	buffer_gl0_inv
	v_cmpx_eq_u32_e32 5, v255
	s_cbranch_execz .LBB39_53
; %bb.47:
	ds_store_2addr_b64 v62, v[243:244], v[245:246] offset1:1
	ds_store_2addr_b64 v206, v[247:248], v[249:250] offset0:12 offset1:13
	ds_store_2addr_b64 v206, v[251:252], v[253:254] offset0:14 offset1:15
	;; [unrolled: 1-line block ×14, first 2 shown]
	ds_load_2addr_b64 v[100:103], v62 offset1:1
	s_waitcnt lgkmcnt(0)
	v_cmp_neq_f64_e32 vcc_lo, 0, v[100:101]
	v_cmp_neq_f64_e64 s3, 0, v[102:103]
	s_delay_alu instid0(VALU_DEP_1) | instskip(NEXT) | instid1(SALU_CYCLE_1)
	s_or_b32 s3, vcc_lo, s3
	s_and_b32 exec_lo, exec_lo, s3
	s_cbranch_execz .LBB39_53
; %bb.48:
	v_cmp_gt_f64_e32 vcc_lo, 0, v[100:101]
	v_cmp_gt_f64_e64 s3, 0, v[102:103]
	v_xor_b32_e32 v80, 0x80000000, v101
	v_xor_b32_e32 v82, 0x80000000, v103
                                        ; implicit-def: $vgpr108_vgpr109
	s_delay_alu instid0(VALU_DEP_2) | instskip(NEXT) | instid1(VALU_DEP_2)
	v_cndmask_b32_e32 v81, v101, v80, vcc_lo
	v_cndmask_b32_e64 v83, v103, v82, s3
	v_cndmask_b32_e32 v80, v100, v100, vcc_lo
	v_cndmask_b32_e64 v82, v102, v102, s3
	s_mov_b32 s3, exec_lo
	s_delay_alu instid0(VALU_DEP_1)
	v_cmpx_ngt_f64_e32 v[80:81], v[82:83]
	s_xor_b32 s3, exec_lo, s3
                                        ; implicit-def: $vgpr104_vgpr105_vgpr106_vgpr107
	s_cbranch_execz .LBB39_50
; %bb.49:
	v_div_scale_f64 v[80:81], null, v[102:103], v[102:103], v[100:101]
	v_div_scale_f64 v[106:107], vcc_lo, v[100:101], v[102:103], v[100:101]
	s_delay_alu instid0(VALU_DEP_2) | instskip(SKIP_2) | instid1(VALU_DEP_1)
	v_rcp_f64_e32 v[82:83], v[80:81]
	s_waitcnt_depctr 0xfff
	v_fma_f64 v[104:105], -v[80:81], v[82:83], 1.0
	v_fma_f64 v[82:83], v[82:83], v[104:105], v[82:83]
	s_delay_alu instid0(VALU_DEP_1) | instskip(NEXT) | instid1(VALU_DEP_1)
	v_fma_f64 v[104:105], -v[80:81], v[82:83], 1.0
	v_fma_f64 v[82:83], v[82:83], v[104:105], v[82:83]
	s_delay_alu instid0(VALU_DEP_1) | instskip(NEXT) | instid1(VALU_DEP_1)
	v_mul_f64 v[104:105], v[106:107], v[82:83]
	v_fma_f64 v[80:81], -v[80:81], v[104:105], v[106:107]
	s_delay_alu instid0(VALU_DEP_1) | instskip(NEXT) | instid1(VALU_DEP_1)
	v_div_fmas_f64 v[80:81], v[80:81], v[82:83], v[104:105]
	v_div_fixup_f64 v[80:81], v[80:81], v[102:103], v[100:101]
	s_delay_alu instid0(VALU_DEP_1) | instskip(NEXT) | instid1(VALU_DEP_1)
	v_fma_f64 v[82:83], v[100:101], v[80:81], v[102:103]
	v_div_scale_f64 v[100:101], null, v[82:83], v[82:83], 1.0
	s_delay_alu instid0(VALU_DEP_1) | instskip(SKIP_2) | instid1(VALU_DEP_1)
	v_rcp_f64_e32 v[102:103], v[100:101]
	s_waitcnt_depctr 0xfff
	v_fma_f64 v[104:105], -v[100:101], v[102:103], 1.0
	v_fma_f64 v[102:103], v[102:103], v[104:105], v[102:103]
	s_delay_alu instid0(VALU_DEP_1) | instskip(NEXT) | instid1(VALU_DEP_1)
	v_fma_f64 v[104:105], -v[100:101], v[102:103], 1.0
	v_fma_f64 v[102:103], v[102:103], v[104:105], v[102:103]
	v_div_scale_f64 v[104:105], vcc_lo, 1.0, v[82:83], 1.0
	s_delay_alu instid0(VALU_DEP_1) | instskip(NEXT) | instid1(VALU_DEP_1)
	v_mul_f64 v[106:107], v[104:105], v[102:103]
	v_fma_f64 v[100:101], -v[100:101], v[106:107], v[104:105]
	s_delay_alu instid0(VALU_DEP_1) | instskip(NEXT) | instid1(VALU_DEP_1)
	v_div_fmas_f64 v[100:101], v[100:101], v[102:103], v[106:107]
	v_div_fixup_f64 v[106:107], v[100:101], v[82:83], 1.0
                                        ; implicit-def: $vgpr100_vgpr101
	s_delay_alu instid0(VALU_DEP_1)
	v_mul_f64 v[108:109], v[80:81], v[106:107]
	v_xor_b32_e32 v107, 0x80000000, v107
.LBB39_50:
	s_and_not1_saveexec_b32 s3, s3
	s_cbranch_execz .LBB39_52
; %bb.51:
	v_div_scale_f64 v[80:81], null, v[100:101], v[100:101], v[102:103]
	v_div_scale_f64 v[106:107], vcc_lo, v[102:103], v[100:101], v[102:103]
	s_delay_alu instid0(VALU_DEP_2) | instskip(SKIP_2) | instid1(VALU_DEP_1)
	v_rcp_f64_e32 v[82:83], v[80:81]
	s_waitcnt_depctr 0xfff
	v_fma_f64 v[104:105], -v[80:81], v[82:83], 1.0
	v_fma_f64 v[82:83], v[82:83], v[104:105], v[82:83]
	s_delay_alu instid0(VALU_DEP_1) | instskip(NEXT) | instid1(VALU_DEP_1)
	v_fma_f64 v[104:105], -v[80:81], v[82:83], 1.0
	v_fma_f64 v[82:83], v[82:83], v[104:105], v[82:83]
	s_delay_alu instid0(VALU_DEP_1) | instskip(NEXT) | instid1(VALU_DEP_1)
	v_mul_f64 v[104:105], v[106:107], v[82:83]
	v_fma_f64 v[80:81], -v[80:81], v[104:105], v[106:107]
	s_delay_alu instid0(VALU_DEP_1) | instskip(NEXT) | instid1(VALU_DEP_1)
	v_div_fmas_f64 v[80:81], v[80:81], v[82:83], v[104:105]
	v_div_fixup_f64 v[80:81], v[80:81], v[100:101], v[102:103]
	s_delay_alu instid0(VALU_DEP_1) | instskip(NEXT) | instid1(VALU_DEP_1)
	v_fma_f64 v[82:83], v[102:103], v[80:81], v[100:101]
	v_div_scale_f64 v[100:101], null, v[82:83], v[82:83], 1.0
	s_delay_alu instid0(VALU_DEP_1) | instskip(SKIP_2) | instid1(VALU_DEP_1)
	v_rcp_f64_e32 v[102:103], v[100:101]
	s_waitcnt_depctr 0xfff
	v_fma_f64 v[104:105], -v[100:101], v[102:103], 1.0
	v_fma_f64 v[102:103], v[102:103], v[104:105], v[102:103]
	s_delay_alu instid0(VALU_DEP_1) | instskip(NEXT) | instid1(VALU_DEP_1)
	v_fma_f64 v[104:105], -v[100:101], v[102:103], 1.0
	v_fma_f64 v[102:103], v[102:103], v[104:105], v[102:103]
	v_div_scale_f64 v[104:105], vcc_lo, 1.0, v[82:83], 1.0
	s_delay_alu instid0(VALU_DEP_1) | instskip(NEXT) | instid1(VALU_DEP_1)
	v_mul_f64 v[106:107], v[104:105], v[102:103]
	v_fma_f64 v[100:101], -v[100:101], v[106:107], v[104:105]
	s_delay_alu instid0(VALU_DEP_1) | instskip(NEXT) | instid1(VALU_DEP_1)
	v_div_fmas_f64 v[100:101], v[100:101], v[102:103], v[106:107]
	v_div_fixup_f64 v[108:109], v[100:101], v[82:83], 1.0
	s_delay_alu instid0(VALU_DEP_1)
	v_mul_f64 v[106:107], v[80:81], -v[108:109]
.LBB39_52:
	s_or_b32 exec_lo, exec_lo, s3
	ds_store_2addr_b64 v62, v[108:109], v[106:107] offset1:1
.LBB39_53:
	s_or_b32 exec_lo, exec_lo, s4
	s_waitcnt lgkmcnt(0)
	s_barrier
	buffer_gl0_inv
	ds_load_2addr_b64 v[100:103], v62 offset1:1
	s_mov_b32 s3, exec_lo
	v_cmpx_lt_u32_e32 5, v255
	s_cbranch_execz .LBB39_55
; %bb.54:
	s_waitcnt lgkmcnt(0)
	v_mul_f64 v[80:81], v[100:101], v[245:246]
	v_dual_mov_b32 v52, v58 :: v_dual_mov_b32 v53, v59
	v_dual_mov_b32 v54, v60 :: v_dual_mov_b32 v55, v61
	v_mul_f64 v[58:59], v[102:103], v[245:246]
	ds_load_2addr_b64 v[104:107], v206 offset0:12 offset1:13
	ds_load_2addr_b64 v[108:111], v206 offset0:14 offset1:15
	v_fma_f64 v[80:81], v[102:103], v[243:244], v[80:81]
	v_fma_f64 v[243:244], v[100:101], v[243:244], -v[58:59]
	s_waitcnt lgkmcnt(1)
	s_delay_alu instid0(VALU_DEP_2) | instskip(SKIP_2) | instid1(VALU_DEP_3)
	v_mul_f64 v[58:59], v[106:107], v[80:81]
	v_mul_f64 v[82:83], v[104:105], v[80:81]
	v_dual_mov_b32 v246, v81 :: v_dual_mov_b32 v245, v80
	v_fma_f64 v[58:59], v[104:105], v[243:244], -v[58:59]
	s_waitcnt lgkmcnt(0)
	v_mul_f64 v[104:105], v[110:111], v[80:81]
	s_delay_alu instid0(VALU_DEP_4) | instskip(NEXT) | instid1(VALU_DEP_3)
	v_fma_f64 v[82:83], v[106:107], v[243:244], v[82:83]
	v_add_f64 v[247:248], v[247:248], -v[58:59]
	s_delay_alu instid0(VALU_DEP_3) | instskip(SKIP_1) | instid1(VALU_DEP_4)
	v_fma_f64 v[112:113], v[108:109], v[243:244], -v[104:105]
	v_mul_f64 v[104:105], v[108:109], v[80:81]
	v_add_f64 v[249:250], v[249:250], -v[82:83]
	v_dual_mov_b32 v61, v55 :: v_dual_mov_b32 v60, v54
	v_dual_mov_b32 v59, v53 :: v_dual_mov_b32 v58, v52
	v_add_f64 v[251:252], v[251:252], -v[112:113]
	v_fma_f64 v[114:115], v[110:111], v[243:244], v[104:105]
	ds_load_2addr_b64 v[104:107], v206 offset0:16 offset1:17
	ds_load_2addr_b64 v[108:111], v206 offset0:18 offset1:19
	s_waitcnt lgkmcnt(1)
	v_mul_f64 v[116:117], v[106:107], v[80:81]
	v_add_f64 v[253:254], v[253:254], -v[114:115]
	s_delay_alu instid0(VALU_DEP_2) | instskip(SKIP_1) | instid1(VALU_DEP_2)
	v_fma_f64 v[116:117], v[104:105], v[243:244], -v[116:117]
	v_mul_f64 v[104:105], v[104:105], v[80:81]
	v_add_f64 v[44:45], v[44:45], -v[116:117]
	s_delay_alu instid0(VALU_DEP_2) | instskip(SKIP_2) | instid1(VALU_DEP_2)
	v_fma_f64 v[118:119], v[106:107], v[243:244], v[104:105]
	s_waitcnt lgkmcnt(0)
	v_mul_f64 v[104:105], v[110:111], v[80:81]
	v_add_f64 v[46:47], v[46:47], -v[118:119]
	s_delay_alu instid0(VALU_DEP_2) | instskip(SKIP_1) | instid1(VALU_DEP_2)
	v_fma_f64 v[120:121], v[108:109], v[243:244], -v[104:105]
	v_mul_f64 v[104:105], v[108:109], v[80:81]
	v_add_f64 v[40:41], v[40:41], -v[120:121]
	s_delay_alu instid0(VALU_DEP_2)
	v_fma_f64 v[122:123], v[110:111], v[243:244], v[104:105]
	ds_load_2addr_b64 v[104:107], v206 offset0:20 offset1:21
	ds_load_2addr_b64 v[108:111], v206 offset0:22 offset1:23
	s_waitcnt lgkmcnt(1)
	v_mul_f64 v[124:125], v[106:107], v[80:81]
	v_add_f64 v[42:43], v[42:43], -v[122:123]
	s_delay_alu instid0(VALU_DEP_2) | instskip(SKIP_1) | instid1(VALU_DEP_2)
	v_fma_f64 v[124:125], v[104:105], v[243:244], -v[124:125]
	v_mul_f64 v[104:105], v[104:105], v[80:81]
	v_add_f64 v[36:37], v[36:37], -v[124:125]
	s_delay_alu instid0(VALU_DEP_2) | instskip(SKIP_2) | instid1(VALU_DEP_2)
	v_fma_f64 v[126:127], v[106:107], v[243:244], v[104:105]
	s_waitcnt lgkmcnt(0)
	v_mul_f64 v[104:105], v[110:111], v[80:81]
	v_add_f64 v[38:39], v[38:39], -v[126:127]
	s_delay_alu instid0(VALU_DEP_2) | instskip(SKIP_1) | instid1(VALU_DEP_2)
	v_fma_f64 v[128:129], v[108:109], v[243:244], -v[104:105]
	v_mul_f64 v[104:105], v[108:109], v[80:81]
	v_add_f64 v[32:33], v[32:33], -v[128:129]
	s_delay_alu instid0(VALU_DEP_2)
	;; [unrolled: 20-line block ×5, first 2 shown]
	v_fma_f64 v[154:155], v[110:111], v[243:244], v[104:105]
	ds_load_2addr_b64 v[104:107], v206 offset0:36 offset1:37
	ds_load_2addr_b64 v[108:111], v206 offset0:38 offset1:39
	s_waitcnt lgkmcnt(1)
	v_mul_f64 v[156:157], v[106:107], v[80:81]
	v_add_f64 v[10:11], v[10:11], -v[154:155]
	s_delay_alu instid0(VALU_DEP_2) | instskip(SKIP_1) | instid1(VALU_DEP_2)
	v_fma_f64 v[156:157], v[104:105], v[243:244], -v[156:157]
	v_mul_f64 v[104:105], v[104:105], v[80:81]
	v_add_f64 v[4:5], v[4:5], -v[156:157]
	s_delay_alu instid0(VALU_DEP_2) | instskip(SKIP_2) | instid1(VALU_DEP_2)
	v_fma_f64 v[104:105], v[106:107], v[243:244], v[104:105]
	s_waitcnt lgkmcnt(0)
	v_mul_f64 v[106:107], v[110:111], v[80:81]
	v_add_f64 v[6:7], v[6:7], -v[104:105]
	s_delay_alu instid0(VALU_DEP_2) | instskip(SKIP_1) | instid1(VALU_DEP_2)
	v_fma_f64 v[106:107], v[108:109], v[243:244], -v[106:107]
	v_mul_f64 v[108:109], v[108:109], v[80:81]
	v_add_f64 v[0:1], v[0:1], -v[106:107]
	s_delay_alu instid0(VALU_DEP_2) | instskip(NEXT) | instid1(VALU_DEP_1)
	v_fma_f64 v[108:109], v[110:111], v[243:244], v[108:109]
	v_add_f64 v[2:3], v[2:3], -v[108:109]
.LBB39_55:
	s_or_b32 exec_lo, exec_lo, s3
	s_delay_alu instid0(SALU_CYCLE_1)
	s_mov_b32 s4, exec_lo
	s_waitcnt lgkmcnt(0)
	s_barrier
	buffer_gl0_inv
	v_cmpx_eq_u32_e32 6, v255
	s_cbranch_execz .LBB39_62
; %bb.56:
	ds_store_2addr_b64 v62, v[247:248], v[249:250] offset1:1
	ds_store_2addr_b64 v206, v[251:252], v[253:254] offset0:14 offset1:15
	ds_store_2addr_b64 v206, v[44:45], v[46:47] offset0:16 offset1:17
	ds_store_2addr_b64 v206, v[40:41], v[42:43] offset0:18 offset1:19
	ds_store_2addr_b64 v206, v[36:37], v[38:39] offset0:20 offset1:21
	ds_store_2addr_b64 v206, v[32:33], v[34:35] offset0:22 offset1:23
	ds_store_2addr_b64 v206, v[28:29], v[30:31] offset0:24 offset1:25
	ds_store_2addr_b64 v206, v[24:25], v[26:27] offset0:26 offset1:27
	ds_store_2addr_b64 v206, v[20:21], v[22:23] offset0:28 offset1:29
	ds_store_2addr_b64 v206, v[16:17], v[18:19] offset0:30 offset1:31
	ds_store_2addr_b64 v206, v[12:13], v[14:15] offset0:32 offset1:33
	ds_store_2addr_b64 v206, v[8:9], v[10:11] offset0:34 offset1:35
	ds_store_2addr_b64 v206, v[4:5], v[6:7] offset0:36 offset1:37
	ds_store_2addr_b64 v206, v[0:1], v[2:3] offset0:38 offset1:39
	ds_load_2addr_b64 v[104:107], v62 offset1:1
	s_waitcnt lgkmcnt(0)
	v_cmp_neq_f64_e32 vcc_lo, 0, v[104:105]
	v_cmp_neq_f64_e64 s3, 0, v[106:107]
	s_delay_alu instid0(VALU_DEP_1) | instskip(NEXT) | instid1(SALU_CYCLE_1)
	s_or_b32 s3, vcc_lo, s3
	s_and_b32 exec_lo, exec_lo, s3
	s_cbranch_execz .LBB39_62
; %bb.57:
	v_cmp_gt_f64_e32 vcc_lo, 0, v[104:105]
	v_cmp_gt_f64_e64 s3, 0, v[106:107]
	v_xor_b32_e32 v80, 0x80000000, v105
	v_xor_b32_e32 v82, 0x80000000, v107
                                        ; implicit-def: $vgpr112_vgpr113
	s_delay_alu instid0(VALU_DEP_2) | instskip(NEXT) | instid1(VALU_DEP_2)
	v_cndmask_b32_e32 v81, v105, v80, vcc_lo
	v_cndmask_b32_e64 v83, v107, v82, s3
	v_cndmask_b32_e32 v80, v104, v104, vcc_lo
	v_cndmask_b32_e64 v82, v106, v106, s3
	s_mov_b32 s3, exec_lo
	s_delay_alu instid0(VALU_DEP_1)
	v_cmpx_ngt_f64_e32 v[80:81], v[82:83]
	s_xor_b32 s3, exec_lo, s3
                                        ; implicit-def: $vgpr108_vgpr109_vgpr110_vgpr111
	s_cbranch_execz .LBB39_59
; %bb.58:
	v_div_scale_f64 v[80:81], null, v[106:107], v[106:107], v[104:105]
	v_div_scale_f64 v[110:111], vcc_lo, v[104:105], v[106:107], v[104:105]
	s_delay_alu instid0(VALU_DEP_2) | instskip(SKIP_2) | instid1(VALU_DEP_1)
	v_rcp_f64_e32 v[82:83], v[80:81]
	s_waitcnt_depctr 0xfff
	v_fma_f64 v[108:109], -v[80:81], v[82:83], 1.0
	v_fma_f64 v[82:83], v[82:83], v[108:109], v[82:83]
	s_delay_alu instid0(VALU_DEP_1) | instskip(NEXT) | instid1(VALU_DEP_1)
	v_fma_f64 v[108:109], -v[80:81], v[82:83], 1.0
	v_fma_f64 v[82:83], v[82:83], v[108:109], v[82:83]
	s_delay_alu instid0(VALU_DEP_1) | instskip(NEXT) | instid1(VALU_DEP_1)
	v_mul_f64 v[108:109], v[110:111], v[82:83]
	v_fma_f64 v[80:81], -v[80:81], v[108:109], v[110:111]
	s_delay_alu instid0(VALU_DEP_1) | instskip(NEXT) | instid1(VALU_DEP_1)
	v_div_fmas_f64 v[80:81], v[80:81], v[82:83], v[108:109]
	v_div_fixup_f64 v[80:81], v[80:81], v[106:107], v[104:105]
	s_delay_alu instid0(VALU_DEP_1) | instskip(NEXT) | instid1(VALU_DEP_1)
	v_fma_f64 v[82:83], v[104:105], v[80:81], v[106:107]
	v_div_scale_f64 v[104:105], null, v[82:83], v[82:83], 1.0
	s_delay_alu instid0(VALU_DEP_1) | instskip(SKIP_2) | instid1(VALU_DEP_1)
	v_rcp_f64_e32 v[106:107], v[104:105]
	s_waitcnt_depctr 0xfff
	v_fma_f64 v[108:109], -v[104:105], v[106:107], 1.0
	v_fma_f64 v[106:107], v[106:107], v[108:109], v[106:107]
	s_delay_alu instid0(VALU_DEP_1) | instskip(NEXT) | instid1(VALU_DEP_1)
	v_fma_f64 v[108:109], -v[104:105], v[106:107], 1.0
	v_fma_f64 v[106:107], v[106:107], v[108:109], v[106:107]
	v_div_scale_f64 v[108:109], vcc_lo, 1.0, v[82:83], 1.0
	s_delay_alu instid0(VALU_DEP_1) | instskip(NEXT) | instid1(VALU_DEP_1)
	v_mul_f64 v[110:111], v[108:109], v[106:107]
	v_fma_f64 v[104:105], -v[104:105], v[110:111], v[108:109]
	s_delay_alu instid0(VALU_DEP_1) | instskip(NEXT) | instid1(VALU_DEP_1)
	v_div_fmas_f64 v[104:105], v[104:105], v[106:107], v[110:111]
	v_div_fixup_f64 v[110:111], v[104:105], v[82:83], 1.0
                                        ; implicit-def: $vgpr104_vgpr105
	s_delay_alu instid0(VALU_DEP_1)
	v_mul_f64 v[112:113], v[80:81], v[110:111]
	v_xor_b32_e32 v111, 0x80000000, v111
.LBB39_59:
	s_and_not1_saveexec_b32 s3, s3
	s_cbranch_execz .LBB39_61
; %bb.60:
	v_div_scale_f64 v[80:81], null, v[104:105], v[104:105], v[106:107]
	v_div_scale_f64 v[110:111], vcc_lo, v[106:107], v[104:105], v[106:107]
	s_delay_alu instid0(VALU_DEP_2) | instskip(SKIP_2) | instid1(VALU_DEP_1)
	v_rcp_f64_e32 v[82:83], v[80:81]
	s_waitcnt_depctr 0xfff
	v_fma_f64 v[108:109], -v[80:81], v[82:83], 1.0
	v_fma_f64 v[82:83], v[82:83], v[108:109], v[82:83]
	s_delay_alu instid0(VALU_DEP_1) | instskip(NEXT) | instid1(VALU_DEP_1)
	v_fma_f64 v[108:109], -v[80:81], v[82:83], 1.0
	v_fma_f64 v[82:83], v[82:83], v[108:109], v[82:83]
	s_delay_alu instid0(VALU_DEP_1) | instskip(NEXT) | instid1(VALU_DEP_1)
	v_mul_f64 v[108:109], v[110:111], v[82:83]
	v_fma_f64 v[80:81], -v[80:81], v[108:109], v[110:111]
	s_delay_alu instid0(VALU_DEP_1) | instskip(NEXT) | instid1(VALU_DEP_1)
	v_div_fmas_f64 v[80:81], v[80:81], v[82:83], v[108:109]
	v_div_fixup_f64 v[80:81], v[80:81], v[104:105], v[106:107]
	s_delay_alu instid0(VALU_DEP_1) | instskip(NEXT) | instid1(VALU_DEP_1)
	v_fma_f64 v[82:83], v[106:107], v[80:81], v[104:105]
	v_div_scale_f64 v[104:105], null, v[82:83], v[82:83], 1.0
	s_delay_alu instid0(VALU_DEP_1) | instskip(SKIP_2) | instid1(VALU_DEP_1)
	v_rcp_f64_e32 v[106:107], v[104:105]
	s_waitcnt_depctr 0xfff
	v_fma_f64 v[108:109], -v[104:105], v[106:107], 1.0
	v_fma_f64 v[106:107], v[106:107], v[108:109], v[106:107]
	s_delay_alu instid0(VALU_DEP_1) | instskip(NEXT) | instid1(VALU_DEP_1)
	v_fma_f64 v[108:109], -v[104:105], v[106:107], 1.0
	v_fma_f64 v[106:107], v[106:107], v[108:109], v[106:107]
	v_div_scale_f64 v[108:109], vcc_lo, 1.0, v[82:83], 1.0
	s_delay_alu instid0(VALU_DEP_1) | instskip(NEXT) | instid1(VALU_DEP_1)
	v_mul_f64 v[110:111], v[108:109], v[106:107]
	v_fma_f64 v[104:105], -v[104:105], v[110:111], v[108:109]
	s_delay_alu instid0(VALU_DEP_1) | instskip(NEXT) | instid1(VALU_DEP_1)
	v_div_fmas_f64 v[104:105], v[104:105], v[106:107], v[110:111]
	v_div_fixup_f64 v[112:113], v[104:105], v[82:83], 1.0
	s_delay_alu instid0(VALU_DEP_1)
	v_mul_f64 v[110:111], v[80:81], -v[112:113]
.LBB39_61:
	s_or_b32 exec_lo, exec_lo, s3
	ds_store_2addr_b64 v62, v[112:113], v[110:111] offset1:1
.LBB39_62:
	s_or_b32 exec_lo, exec_lo, s4
	s_waitcnt lgkmcnt(0)
	s_barrier
	buffer_gl0_inv
	ds_load_2addr_b64 v[104:107], v62 offset1:1
	s_mov_b32 s3, exec_lo
	v_cmpx_lt_u32_e32 6, v255
	s_cbranch_execz .LBB39_64
; %bb.63:
	s_waitcnt lgkmcnt(0)
	v_mul_f64 v[80:81], v[104:105], v[249:250]
	v_mul_f64 v[54:55], v[106:107], v[249:250]
	ds_load_2addr_b64 v[108:111], v206 offset0:14 offset1:15
	ds_load_2addr_b64 v[112:115], v206 offset0:16 offset1:17
	v_fma_f64 v[80:81], v[106:107], v[247:248], v[80:81]
	v_fma_f64 v[247:248], v[104:105], v[247:248], -v[54:55]
	s_waitcnt lgkmcnt(1)
	s_delay_alu instid0(VALU_DEP_2) | instskip(SKIP_2) | instid1(VALU_DEP_3)
	v_mul_f64 v[54:55], v[110:111], v[80:81]
	v_mul_f64 v[82:83], v[108:109], v[80:81]
	v_dual_mov_b32 v250, v81 :: v_dual_mov_b32 v249, v80
	v_fma_f64 v[54:55], v[108:109], v[247:248], -v[54:55]
	s_waitcnt lgkmcnt(0)
	v_mul_f64 v[108:109], v[114:115], v[80:81]
	s_delay_alu instid0(VALU_DEP_4) | instskip(NEXT) | instid1(VALU_DEP_3)
	v_fma_f64 v[82:83], v[110:111], v[247:248], v[82:83]
	v_add_f64 v[251:252], v[251:252], -v[54:55]
	s_delay_alu instid0(VALU_DEP_3) | instskip(SKIP_1) | instid1(VALU_DEP_4)
	v_fma_f64 v[116:117], v[112:113], v[247:248], -v[108:109]
	v_mul_f64 v[108:109], v[112:113], v[80:81]
	v_add_f64 v[253:254], v[253:254], -v[82:83]
	s_delay_alu instid0(VALU_DEP_3) | instskip(NEXT) | instid1(VALU_DEP_3)
	v_add_f64 v[44:45], v[44:45], -v[116:117]
	v_fma_f64 v[118:119], v[114:115], v[247:248], v[108:109]
	ds_load_2addr_b64 v[108:111], v206 offset0:18 offset1:19
	ds_load_2addr_b64 v[112:115], v206 offset0:20 offset1:21
	s_waitcnt lgkmcnt(1)
	v_mul_f64 v[120:121], v[110:111], v[80:81]
	v_add_f64 v[46:47], v[46:47], -v[118:119]
	s_delay_alu instid0(VALU_DEP_2) | instskip(SKIP_1) | instid1(VALU_DEP_2)
	v_fma_f64 v[120:121], v[108:109], v[247:248], -v[120:121]
	v_mul_f64 v[108:109], v[108:109], v[80:81]
	v_add_f64 v[40:41], v[40:41], -v[120:121]
	s_delay_alu instid0(VALU_DEP_2) | instskip(SKIP_2) | instid1(VALU_DEP_2)
	v_fma_f64 v[122:123], v[110:111], v[247:248], v[108:109]
	s_waitcnt lgkmcnt(0)
	v_mul_f64 v[108:109], v[114:115], v[80:81]
	v_add_f64 v[42:43], v[42:43], -v[122:123]
	s_delay_alu instid0(VALU_DEP_2) | instskip(SKIP_1) | instid1(VALU_DEP_2)
	v_fma_f64 v[124:125], v[112:113], v[247:248], -v[108:109]
	v_mul_f64 v[108:109], v[112:113], v[80:81]
	v_add_f64 v[36:37], v[36:37], -v[124:125]
	s_delay_alu instid0(VALU_DEP_2)
	v_fma_f64 v[126:127], v[114:115], v[247:248], v[108:109]
	ds_load_2addr_b64 v[108:111], v206 offset0:22 offset1:23
	ds_load_2addr_b64 v[112:115], v206 offset0:24 offset1:25
	s_waitcnt lgkmcnt(1)
	v_mul_f64 v[128:129], v[110:111], v[80:81]
	v_add_f64 v[38:39], v[38:39], -v[126:127]
	s_delay_alu instid0(VALU_DEP_2) | instskip(SKIP_1) | instid1(VALU_DEP_2)
	v_fma_f64 v[128:129], v[108:109], v[247:248], -v[128:129]
	v_mul_f64 v[108:109], v[108:109], v[80:81]
	v_add_f64 v[32:33], v[32:33], -v[128:129]
	s_delay_alu instid0(VALU_DEP_2) | instskip(SKIP_2) | instid1(VALU_DEP_2)
	v_fma_f64 v[130:131], v[110:111], v[247:248], v[108:109]
	s_waitcnt lgkmcnt(0)
	v_mul_f64 v[108:109], v[114:115], v[80:81]
	v_add_f64 v[34:35], v[34:35], -v[130:131]
	s_delay_alu instid0(VALU_DEP_2) | instskip(SKIP_1) | instid1(VALU_DEP_2)
	v_fma_f64 v[132:133], v[112:113], v[247:248], -v[108:109]
	v_mul_f64 v[108:109], v[112:113], v[80:81]
	v_add_f64 v[28:29], v[28:29], -v[132:133]
	s_delay_alu instid0(VALU_DEP_2)
	;; [unrolled: 20-line block ×4, first 2 shown]
	v_fma_f64 v[150:151], v[114:115], v[247:248], v[108:109]
	ds_load_2addr_b64 v[108:111], v206 offset0:34 offset1:35
	ds_load_2addr_b64 v[112:115], v206 offset0:36 offset1:37
	s_waitcnt lgkmcnt(1)
	v_mul_f64 v[152:153], v[110:111], v[80:81]
	v_add_f64 v[14:15], v[14:15], -v[150:151]
	s_delay_alu instid0(VALU_DEP_2) | instskip(SKIP_1) | instid1(VALU_DEP_2)
	v_fma_f64 v[152:153], v[108:109], v[247:248], -v[152:153]
	v_mul_f64 v[108:109], v[108:109], v[80:81]
	v_add_f64 v[8:9], v[8:9], -v[152:153]
	s_delay_alu instid0(VALU_DEP_2) | instskip(SKIP_2) | instid1(VALU_DEP_2)
	v_fma_f64 v[154:155], v[110:111], v[247:248], v[108:109]
	s_waitcnt lgkmcnt(0)
	v_mul_f64 v[108:109], v[114:115], v[80:81]
	v_add_f64 v[10:11], v[10:11], -v[154:155]
	s_delay_alu instid0(VALU_DEP_2) | instskip(SKIP_1) | instid1(VALU_DEP_2)
	v_fma_f64 v[156:157], v[112:113], v[247:248], -v[108:109]
	v_mul_f64 v[108:109], v[112:113], v[80:81]
	v_add_f64 v[4:5], v[4:5], -v[156:157]
	s_delay_alu instid0(VALU_DEP_2) | instskip(SKIP_4) | instid1(VALU_DEP_2)
	v_fma_f64 v[112:113], v[114:115], v[247:248], v[108:109]
	ds_load_2addr_b64 v[108:111], v206 offset0:38 offset1:39
	s_waitcnt lgkmcnt(0)
	v_mul_f64 v[114:115], v[110:111], v[80:81]
	v_add_f64 v[6:7], v[6:7], -v[112:113]
	v_fma_f64 v[114:115], v[108:109], v[247:248], -v[114:115]
	v_mul_f64 v[108:109], v[108:109], v[80:81]
	s_delay_alu instid0(VALU_DEP_2) | instskip(NEXT) | instid1(VALU_DEP_2)
	v_add_f64 v[0:1], v[0:1], -v[114:115]
	v_fma_f64 v[108:109], v[110:111], v[247:248], v[108:109]
	s_delay_alu instid0(VALU_DEP_1)
	v_add_f64 v[2:3], v[2:3], -v[108:109]
.LBB39_64:
	s_or_b32 exec_lo, exec_lo, s3
	s_delay_alu instid0(SALU_CYCLE_1)
	s_mov_b32 s4, exec_lo
	s_waitcnt lgkmcnt(0)
	s_barrier
	buffer_gl0_inv
	v_cmpx_eq_u32_e32 7, v255
	s_cbranch_execz .LBB39_71
; %bb.65:
	ds_store_2addr_b64 v62, v[251:252], v[253:254] offset1:1
	ds_store_2addr_b64 v206, v[44:45], v[46:47] offset0:16 offset1:17
	ds_store_2addr_b64 v206, v[40:41], v[42:43] offset0:18 offset1:19
	;; [unrolled: 1-line block ×12, first 2 shown]
	ds_load_2addr_b64 v[108:111], v62 offset1:1
	s_waitcnt lgkmcnt(0)
	v_cmp_neq_f64_e32 vcc_lo, 0, v[108:109]
	v_cmp_neq_f64_e64 s3, 0, v[110:111]
	s_delay_alu instid0(VALU_DEP_1) | instskip(NEXT) | instid1(SALU_CYCLE_1)
	s_or_b32 s3, vcc_lo, s3
	s_and_b32 exec_lo, exec_lo, s3
	s_cbranch_execz .LBB39_71
; %bb.66:
	v_cmp_gt_f64_e32 vcc_lo, 0, v[108:109]
	v_cmp_gt_f64_e64 s3, 0, v[110:111]
	v_xor_b32_e32 v80, 0x80000000, v109
	v_xor_b32_e32 v82, 0x80000000, v111
                                        ; implicit-def: $vgpr116_vgpr117
	s_delay_alu instid0(VALU_DEP_2) | instskip(NEXT) | instid1(VALU_DEP_2)
	v_cndmask_b32_e32 v81, v109, v80, vcc_lo
	v_cndmask_b32_e64 v83, v111, v82, s3
	v_cndmask_b32_e32 v80, v108, v108, vcc_lo
	v_cndmask_b32_e64 v82, v110, v110, s3
	s_mov_b32 s3, exec_lo
	s_delay_alu instid0(VALU_DEP_1)
	v_cmpx_ngt_f64_e32 v[80:81], v[82:83]
	s_xor_b32 s3, exec_lo, s3
                                        ; implicit-def: $vgpr112_vgpr113_vgpr114_vgpr115
	s_cbranch_execz .LBB39_68
; %bb.67:
	v_div_scale_f64 v[80:81], null, v[110:111], v[110:111], v[108:109]
	v_div_scale_f64 v[114:115], vcc_lo, v[108:109], v[110:111], v[108:109]
	s_delay_alu instid0(VALU_DEP_2) | instskip(SKIP_2) | instid1(VALU_DEP_1)
	v_rcp_f64_e32 v[82:83], v[80:81]
	s_waitcnt_depctr 0xfff
	v_fma_f64 v[112:113], -v[80:81], v[82:83], 1.0
	v_fma_f64 v[82:83], v[82:83], v[112:113], v[82:83]
	s_delay_alu instid0(VALU_DEP_1) | instskip(NEXT) | instid1(VALU_DEP_1)
	v_fma_f64 v[112:113], -v[80:81], v[82:83], 1.0
	v_fma_f64 v[82:83], v[82:83], v[112:113], v[82:83]
	s_delay_alu instid0(VALU_DEP_1) | instskip(NEXT) | instid1(VALU_DEP_1)
	v_mul_f64 v[112:113], v[114:115], v[82:83]
	v_fma_f64 v[80:81], -v[80:81], v[112:113], v[114:115]
	s_delay_alu instid0(VALU_DEP_1) | instskip(NEXT) | instid1(VALU_DEP_1)
	v_div_fmas_f64 v[80:81], v[80:81], v[82:83], v[112:113]
	v_div_fixup_f64 v[80:81], v[80:81], v[110:111], v[108:109]
	s_delay_alu instid0(VALU_DEP_1) | instskip(NEXT) | instid1(VALU_DEP_1)
	v_fma_f64 v[82:83], v[108:109], v[80:81], v[110:111]
	v_div_scale_f64 v[108:109], null, v[82:83], v[82:83], 1.0
	s_delay_alu instid0(VALU_DEP_1) | instskip(SKIP_2) | instid1(VALU_DEP_1)
	v_rcp_f64_e32 v[110:111], v[108:109]
	s_waitcnt_depctr 0xfff
	v_fma_f64 v[112:113], -v[108:109], v[110:111], 1.0
	v_fma_f64 v[110:111], v[110:111], v[112:113], v[110:111]
	s_delay_alu instid0(VALU_DEP_1) | instskip(NEXT) | instid1(VALU_DEP_1)
	v_fma_f64 v[112:113], -v[108:109], v[110:111], 1.0
	v_fma_f64 v[110:111], v[110:111], v[112:113], v[110:111]
	v_div_scale_f64 v[112:113], vcc_lo, 1.0, v[82:83], 1.0
	s_delay_alu instid0(VALU_DEP_1) | instskip(NEXT) | instid1(VALU_DEP_1)
	v_mul_f64 v[114:115], v[112:113], v[110:111]
	v_fma_f64 v[108:109], -v[108:109], v[114:115], v[112:113]
	s_delay_alu instid0(VALU_DEP_1) | instskip(NEXT) | instid1(VALU_DEP_1)
	v_div_fmas_f64 v[108:109], v[108:109], v[110:111], v[114:115]
	v_div_fixup_f64 v[114:115], v[108:109], v[82:83], 1.0
                                        ; implicit-def: $vgpr108_vgpr109
	s_delay_alu instid0(VALU_DEP_1)
	v_mul_f64 v[116:117], v[80:81], v[114:115]
	v_xor_b32_e32 v115, 0x80000000, v115
.LBB39_68:
	s_and_not1_saveexec_b32 s3, s3
	s_cbranch_execz .LBB39_70
; %bb.69:
	v_div_scale_f64 v[80:81], null, v[108:109], v[108:109], v[110:111]
	v_div_scale_f64 v[114:115], vcc_lo, v[110:111], v[108:109], v[110:111]
	s_delay_alu instid0(VALU_DEP_2) | instskip(SKIP_2) | instid1(VALU_DEP_1)
	v_rcp_f64_e32 v[82:83], v[80:81]
	s_waitcnt_depctr 0xfff
	v_fma_f64 v[112:113], -v[80:81], v[82:83], 1.0
	v_fma_f64 v[82:83], v[82:83], v[112:113], v[82:83]
	s_delay_alu instid0(VALU_DEP_1) | instskip(NEXT) | instid1(VALU_DEP_1)
	v_fma_f64 v[112:113], -v[80:81], v[82:83], 1.0
	v_fma_f64 v[82:83], v[82:83], v[112:113], v[82:83]
	s_delay_alu instid0(VALU_DEP_1) | instskip(NEXT) | instid1(VALU_DEP_1)
	v_mul_f64 v[112:113], v[114:115], v[82:83]
	v_fma_f64 v[80:81], -v[80:81], v[112:113], v[114:115]
	s_delay_alu instid0(VALU_DEP_1) | instskip(NEXT) | instid1(VALU_DEP_1)
	v_div_fmas_f64 v[80:81], v[80:81], v[82:83], v[112:113]
	v_div_fixup_f64 v[80:81], v[80:81], v[108:109], v[110:111]
	s_delay_alu instid0(VALU_DEP_1) | instskip(NEXT) | instid1(VALU_DEP_1)
	v_fma_f64 v[82:83], v[110:111], v[80:81], v[108:109]
	v_div_scale_f64 v[108:109], null, v[82:83], v[82:83], 1.0
	s_delay_alu instid0(VALU_DEP_1) | instskip(SKIP_2) | instid1(VALU_DEP_1)
	v_rcp_f64_e32 v[110:111], v[108:109]
	s_waitcnt_depctr 0xfff
	v_fma_f64 v[112:113], -v[108:109], v[110:111], 1.0
	v_fma_f64 v[110:111], v[110:111], v[112:113], v[110:111]
	s_delay_alu instid0(VALU_DEP_1) | instskip(NEXT) | instid1(VALU_DEP_1)
	v_fma_f64 v[112:113], -v[108:109], v[110:111], 1.0
	v_fma_f64 v[110:111], v[110:111], v[112:113], v[110:111]
	v_div_scale_f64 v[112:113], vcc_lo, 1.0, v[82:83], 1.0
	s_delay_alu instid0(VALU_DEP_1) | instskip(NEXT) | instid1(VALU_DEP_1)
	v_mul_f64 v[114:115], v[112:113], v[110:111]
	v_fma_f64 v[108:109], -v[108:109], v[114:115], v[112:113]
	s_delay_alu instid0(VALU_DEP_1) | instskip(NEXT) | instid1(VALU_DEP_1)
	v_div_fmas_f64 v[108:109], v[108:109], v[110:111], v[114:115]
	v_div_fixup_f64 v[116:117], v[108:109], v[82:83], 1.0
	s_delay_alu instid0(VALU_DEP_1)
	v_mul_f64 v[114:115], v[80:81], -v[116:117]
.LBB39_70:
	s_or_b32 exec_lo, exec_lo, s3
	ds_store_2addr_b64 v62, v[116:117], v[114:115] offset1:1
.LBB39_71:
	s_or_b32 exec_lo, exec_lo, s4
	s_waitcnt lgkmcnt(0)
	s_barrier
	buffer_gl0_inv
	ds_load_2addr_b64 v[108:111], v62 offset1:1
	s_mov_b32 s3, exec_lo
	v_cmpx_lt_u32_e32 7, v255
	s_cbranch_execz .LBB39_73
; %bb.72:
	s_waitcnt lgkmcnt(0)
	v_mul_f64 v[80:81], v[108:109], v[253:254]
	v_dual_mov_b32 v55, v51 :: v_dual_mov_b32 v54, v50
	v_dual_mov_b32 v53, v49 :: v_dual_mov_b32 v52, v48
	v_mul_f64 v[50:51], v[110:111], v[253:254]
	ds_load_2addr_b64 v[112:115], v206 offset0:16 offset1:17
	ds_load_2addr_b64 v[116:119], v206 offset0:18 offset1:19
	;; [unrolled: 1-line block ×12, first 2 shown]
	v_fma_f64 v[80:81], v[110:111], v[251:252], v[80:81]
	v_fma_f64 v[251:252], v[108:109], v[251:252], -v[50:51]
	s_waitcnt lgkmcnt(11)
	s_delay_alu instid0(VALU_DEP_2)
	v_mul_f64 v[50:51], v[114:115], v[80:81]
	v_mul_f64 v[82:83], v[112:113], v[80:81]
	s_waitcnt lgkmcnt(10)
	v_mul_f64 v[162:163], v[118:119], v[80:81]
	v_mul_f64 v[164:165], v[116:117], v[80:81]
	s_waitcnt lgkmcnt(9)
	;; [unrolled: 3-line block ×11, first 2 shown]
	v_mul_f64 v[223:224], v[158:159], v[80:81]
	v_mul_f64 v[225:226], v[156:157], v[80:81]
	v_dual_mov_b32 v254, v81 :: v_dual_mov_b32 v253, v80
	v_fma_f64 v[50:51], v[112:113], v[251:252], -v[50:51]
	v_fma_f64 v[82:83], v[114:115], v[251:252], v[82:83]
	v_fma_f64 v[112:113], v[116:117], v[251:252], -v[162:163]
	v_fma_f64 v[114:115], v[118:119], v[251:252], v[164:165]
	;; [unrolled: 2-line block ×12, first 2 shown]
	v_add_f64 v[44:45], v[44:45], -v[50:51]
	v_add_f64 v[46:47], v[46:47], -v[82:83]
	;; [unrolled: 1-line block ×24, first 2 shown]
	v_dual_mov_b32 v48, v52 :: v_dual_mov_b32 v49, v53
	v_dual_mov_b32 v50, v54 :: v_dual_mov_b32 v51, v55
.LBB39_73:
	s_or_b32 exec_lo, exec_lo, s3
	s_delay_alu instid0(SALU_CYCLE_1)
	s_mov_b32 s4, exec_lo
	s_waitcnt lgkmcnt(0)
	s_barrier
	buffer_gl0_inv
	v_cmpx_eq_u32_e32 8, v255
	s_cbranch_execz .LBB39_80
; %bb.74:
	ds_store_2addr_b64 v62, v[44:45], v[46:47] offset1:1
	ds_store_2addr_b64 v206, v[40:41], v[42:43] offset0:18 offset1:19
	ds_store_2addr_b64 v206, v[36:37], v[38:39] offset0:20 offset1:21
	;; [unrolled: 1-line block ×11, first 2 shown]
	ds_load_2addr_b64 v[112:115], v62 offset1:1
	s_waitcnt lgkmcnt(0)
	v_cmp_neq_f64_e32 vcc_lo, 0, v[112:113]
	v_cmp_neq_f64_e64 s3, 0, v[114:115]
	s_delay_alu instid0(VALU_DEP_1) | instskip(NEXT) | instid1(SALU_CYCLE_1)
	s_or_b32 s3, vcc_lo, s3
	s_and_b32 exec_lo, exec_lo, s3
	s_cbranch_execz .LBB39_80
; %bb.75:
	v_cmp_gt_f64_e32 vcc_lo, 0, v[112:113]
	v_cmp_gt_f64_e64 s3, 0, v[114:115]
	v_xor_b32_e32 v80, 0x80000000, v113
	v_xor_b32_e32 v82, 0x80000000, v115
                                        ; implicit-def: $vgpr120_vgpr121
	s_delay_alu instid0(VALU_DEP_2) | instskip(NEXT) | instid1(VALU_DEP_2)
	v_cndmask_b32_e32 v81, v113, v80, vcc_lo
	v_cndmask_b32_e64 v83, v115, v82, s3
	v_cndmask_b32_e32 v80, v112, v112, vcc_lo
	v_cndmask_b32_e64 v82, v114, v114, s3
	s_mov_b32 s3, exec_lo
	s_delay_alu instid0(VALU_DEP_1)
	v_cmpx_ngt_f64_e32 v[80:81], v[82:83]
	s_xor_b32 s3, exec_lo, s3
                                        ; implicit-def: $vgpr116_vgpr117_vgpr118_vgpr119
	s_cbranch_execz .LBB39_77
; %bb.76:
	v_div_scale_f64 v[80:81], null, v[114:115], v[114:115], v[112:113]
	v_div_scale_f64 v[118:119], vcc_lo, v[112:113], v[114:115], v[112:113]
	s_delay_alu instid0(VALU_DEP_2) | instskip(SKIP_2) | instid1(VALU_DEP_1)
	v_rcp_f64_e32 v[82:83], v[80:81]
	s_waitcnt_depctr 0xfff
	v_fma_f64 v[116:117], -v[80:81], v[82:83], 1.0
	v_fma_f64 v[82:83], v[82:83], v[116:117], v[82:83]
	s_delay_alu instid0(VALU_DEP_1) | instskip(NEXT) | instid1(VALU_DEP_1)
	v_fma_f64 v[116:117], -v[80:81], v[82:83], 1.0
	v_fma_f64 v[82:83], v[82:83], v[116:117], v[82:83]
	s_delay_alu instid0(VALU_DEP_1) | instskip(NEXT) | instid1(VALU_DEP_1)
	v_mul_f64 v[116:117], v[118:119], v[82:83]
	v_fma_f64 v[80:81], -v[80:81], v[116:117], v[118:119]
	s_delay_alu instid0(VALU_DEP_1) | instskip(NEXT) | instid1(VALU_DEP_1)
	v_div_fmas_f64 v[80:81], v[80:81], v[82:83], v[116:117]
	v_div_fixup_f64 v[80:81], v[80:81], v[114:115], v[112:113]
	s_delay_alu instid0(VALU_DEP_1) | instskip(NEXT) | instid1(VALU_DEP_1)
	v_fma_f64 v[82:83], v[112:113], v[80:81], v[114:115]
	v_div_scale_f64 v[112:113], null, v[82:83], v[82:83], 1.0
	s_delay_alu instid0(VALU_DEP_1) | instskip(SKIP_2) | instid1(VALU_DEP_1)
	v_rcp_f64_e32 v[114:115], v[112:113]
	s_waitcnt_depctr 0xfff
	v_fma_f64 v[116:117], -v[112:113], v[114:115], 1.0
	v_fma_f64 v[114:115], v[114:115], v[116:117], v[114:115]
	s_delay_alu instid0(VALU_DEP_1) | instskip(NEXT) | instid1(VALU_DEP_1)
	v_fma_f64 v[116:117], -v[112:113], v[114:115], 1.0
	v_fma_f64 v[114:115], v[114:115], v[116:117], v[114:115]
	v_div_scale_f64 v[116:117], vcc_lo, 1.0, v[82:83], 1.0
	s_delay_alu instid0(VALU_DEP_1) | instskip(NEXT) | instid1(VALU_DEP_1)
	v_mul_f64 v[118:119], v[116:117], v[114:115]
	v_fma_f64 v[112:113], -v[112:113], v[118:119], v[116:117]
	s_delay_alu instid0(VALU_DEP_1) | instskip(NEXT) | instid1(VALU_DEP_1)
	v_div_fmas_f64 v[112:113], v[112:113], v[114:115], v[118:119]
	v_div_fixup_f64 v[118:119], v[112:113], v[82:83], 1.0
                                        ; implicit-def: $vgpr112_vgpr113
	s_delay_alu instid0(VALU_DEP_1)
	v_mul_f64 v[120:121], v[80:81], v[118:119]
	v_xor_b32_e32 v119, 0x80000000, v119
.LBB39_77:
	s_and_not1_saveexec_b32 s3, s3
	s_cbranch_execz .LBB39_79
; %bb.78:
	v_div_scale_f64 v[80:81], null, v[112:113], v[112:113], v[114:115]
	v_div_scale_f64 v[118:119], vcc_lo, v[114:115], v[112:113], v[114:115]
	s_delay_alu instid0(VALU_DEP_2) | instskip(SKIP_2) | instid1(VALU_DEP_1)
	v_rcp_f64_e32 v[82:83], v[80:81]
	s_waitcnt_depctr 0xfff
	v_fma_f64 v[116:117], -v[80:81], v[82:83], 1.0
	v_fma_f64 v[82:83], v[82:83], v[116:117], v[82:83]
	s_delay_alu instid0(VALU_DEP_1) | instskip(NEXT) | instid1(VALU_DEP_1)
	v_fma_f64 v[116:117], -v[80:81], v[82:83], 1.0
	v_fma_f64 v[82:83], v[82:83], v[116:117], v[82:83]
	s_delay_alu instid0(VALU_DEP_1) | instskip(NEXT) | instid1(VALU_DEP_1)
	v_mul_f64 v[116:117], v[118:119], v[82:83]
	v_fma_f64 v[80:81], -v[80:81], v[116:117], v[118:119]
	s_delay_alu instid0(VALU_DEP_1) | instskip(NEXT) | instid1(VALU_DEP_1)
	v_div_fmas_f64 v[80:81], v[80:81], v[82:83], v[116:117]
	v_div_fixup_f64 v[80:81], v[80:81], v[112:113], v[114:115]
	s_delay_alu instid0(VALU_DEP_1) | instskip(NEXT) | instid1(VALU_DEP_1)
	v_fma_f64 v[82:83], v[114:115], v[80:81], v[112:113]
	v_div_scale_f64 v[112:113], null, v[82:83], v[82:83], 1.0
	s_delay_alu instid0(VALU_DEP_1) | instskip(SKIP_2) | instid1(VALU_DEP_1)
	v_rcp_f64_e32 v[114:115], v[112:113]
	s_waitcnt_depctr 0xfff
	v_fma_f64 v[116:117], -v[112:113], v[114:115], 1.0
	v_fma_f64 v[114:115], v[114:115], v[116:117], v[114:115]
	s_delay_alu instid0(VALU_DEP_1) | instskip(NEXT) | instid1(VALU_DEP_1)
	v_fma_f64 v[116:117], -v[112:113], v[114:115], 1.0
	v_fma_f64 v[114:115], v[114:115], v[116:117], v[114:115]
	v_div_scale_f64 v[116:117], vcc_lo, 1.0, v[82:83], 1.0
	s_delay_alu instid0(VALU_DEP_1) | instskip(NEXT) | instid1(VALU_DEP_1)
	v_mul_f64 v[118:119], v[116:117], v[114:115]
	v_fma_f64 v[112:113], -v[112:113], v[118:119], v[116:117]
	s_delay_alu instid0(VALU_DEP_1) | instskip(NEXT) | instid1(VALU_DEP_1)
	v_div_fmas_f64 v[112:113], v[112:113], v[114:115], v[118:119]
	v_div_fixup_f64 v[120:121], v[112:113], v[82:83], 1.0
	s_delay_alu instid0(VALU_DEP_1)
	v_mul_f64 v[118:119], v[80:81], -v[120:121]
.LBB39_79:
	s_or_b32 exec_lo, exec_lo, s3
	ds_store_2addr_b64 v62, v[120:121], v[118:119] offset1:1
.LBB39_80:
	s_or_b32 exec_lo, exec_lo, s4
	s_waitcnt lgkmcnt(0)
	s_barrier
	buffer_gl0_inv
	ds_load_2addr_b64 v[112:115], v62 offset1:1
	s_mov_b32 s3, exec_lo
	v_cmpx_lt_u32_e32 8, v255
	s_cbranch_execz .LBB39_82
; %bb.81:
	s_waitcnt lgkmcnt(0)
	v_mul_f64 v[80:81], v[112:113], v[46:47]
	v_mul_f64 v[46:47], v[114:115], v[46:47]
	ds_load_2addr_b64 v[116:119], v206 offset0:18 offset1:19
	ds_load_2addr_b64 v[120:123], v206 offset0:20 offset1:21
	ds_load_2addr_b64 v[124:127], v206 offset0:22 offset1:23
	ds_load_2addr_b64 v[128:131], v206 offset0:24 offset1:25
	ds_load_2addr_b64 v[132:135], v206 offset0:26 offset1:27
	ds_load_2addr_b64 v[136:139], v206 offset0:28 offset1:29
	ds_load_2addr_b64 v[140:143], v206 offset0:30 offset1:31
	ds_load_2addr_b64 v[144:147], v206 offset0:32 offset1:33
	ds_load_2addr_b64 v[148:151], v206 offset0:34 offset1:35
	ds_load_2addr_b64 v[152:155], v206 offset0:36 offset1:37
	ds_load_2addr_b64 v[156:159], v206 offset0:38 offset1:39
	v_fma_f64 v[80:81], v[114:115], v[44:45], v[80:81]
	v_fma_f64 v[44:45], v[112:113], v[44:45], -v[46:47]
	s_waitcnt lgkmcnt(10)
	s_delay_alu instid0(VALU_DEP_2)
	v_mul_f64 v[46:47], v[118:119], v[80:81]
	v_mul_f64 v[82:83], v[116:117], v[80:81]
	s_waitcnt lgkmcnt(9)
	v_mul_f64 v[162:163], v[122:123], v[80:81]
	v_mul_f64 v[164:165], v[120:121], v[80:81]
	s_waitcnt lgkmcnt(8)
	;; [unrolled: 3-line block ×10, first 2 shown]
	v_mul_f64 v[219:220], v[158:159], v[80:81]
	v_mul_f64 v[221:222], v[156:157], v[80:81]
	v_fma_f64 v[46:47], v[116:117], v[44:45], -v[46:47]
	v_fma_f64 v[82:83], v[118:119], v[44:45], v[82:83]
	v_fma_f64 v[116:117], v[120:121], v[44:45], -v[162:163]
	v_fma_f64 v[118:119], v[122:123], v[44:45], v[164:165]
	;; [unrolled: 2-line block ×11, first 2 shown]
	v_add_f64 v[40:41], v[40:41], -v[46:47]
	v_add_f64 v[42:43], v[42:43], -v[82:83]
	;; [unrolled: 1-line block ×22, first 2 shown]
	v_dual_mov_b32 v46, v80 :: v_dual_mov_b32 v47, v81
.LBB39_82:
	s_or_b32 exec_lo, exec_lo, s3
	s_delay_alu instid0(SALU_CYCLE_1)
	s_mov_b32 s4, exec_lo
	s_waitcnt lgkmcnt(0)
	s_barrier
	buffer_gl0_inv
	v_cmpx_eq_u32_e32 9, v255
	s_cbranch_execz .LBB39_89
; %bb.83:
	ds_store_2addr_b64 v62, v[40:41], v[42:43] offset1:1
	ds_store_2addr_b64 v206, v[36:37], v[38:39] offset0:20 offset1:21
	ds_store_2addr_b64 v206, v[32:33], v[34:35] offset0:22 offset1:23
	;; [unrolled: 1-line block ×10, first 2 shown]
	ds_load_2addr_b64 v[116:119], v62 offset1:1
	s_waitcnt lgkmcnt(0)
	v_cmp_neq_f64_e32 vcc_lo, 0, v[116:117]
	v_cmp_neq_f64_e64 s3, 0, v[118:119]
	s_delay_alu instid0(VALU_DEP_1) | instskip(NEXT) | instid1(SALU_CYCLE_1)
	s_or_b32 s3, vcc_lo, s3
	s_and_b32 exec_lo, exec_lo, s3
	s_cbranch_execz .LBB39_89
; %bb.84:
	v_cmp_gt_f64_e32 vcc_lo, 0, v[116:117]
	v_cmp_gt_f64_e64 s3, 0, v[118:119]
	v_xor_b32_e32 v80, 0x80000000, v117
	v_xor_b32_e32 v82, 0x80000000, v119
                                        ; implicit-def: $vgpr124_vgpr125
	s_delay_alu instid0(VALU_DEP_2) | instskip(NEXT) | instid1(VALU_DEP_2)
	v_cndmask_b32_e32 v81, v117, v80, vcc_lo
	v_cndmask_b32_e64 v83, v119, v82, s3
	v_cndmask_b32_e32 v80, v116, v116, vcc_lo
	v_cndmask_b32_e64 v82, v118, v118, s3
	s_mov_b32 s3, exec_lo
	s_delay_alu instid0(VALU_DEP_1)
	v_cmpx_ngt_f64_e32 v[80:81], v[82:83]
	s_xor_b32 s3, exec_lo, s3
                                        ; implicit-def: $vgpr120_vgpr121_vgpr122_vgpr123
	s_cbranch_execz .LBB39_86
; %bb.85:
	v_div_scale_f64 v[80:81], null, v[118:119], v[118:119], v[116:117]
	v_div_scale_f64 v[122:123], vcc_lo, v[116:117], v[118:119], v[116:117]
	s_delay_alu instid0(VALU_DEP_2) | instskip(SKIP_2) | instid1(VALU_DEP_1)
	v_rcp_f64_e32 v[82:83], v[80:81]
	s_waitcnt_depctr 0xfff
	v_fma_f64 v[120:121], -v[80:81], v[82:83], 1.0
	v_fma_f64 v[82:83], v[82:83], v[120:121], v[82:83]
	s_delay_alu instid0(VALU_DEP_1) | instskip(NEXT) | instid1(VALU_DEP_1)
	v_fma_f64 v[120:121], -v[80:81], v[82:83], 1.0
	v_fma_f64 v[82:83], v[82:83], v[120:121], v[82:83]
	s_delay_alu instid0(VALU_DEP_1) | instskip(NEXT) | instid1(VALU_DEP_1)
	v_mul_f64 v[120:121], v[122:123], v[82:83]
	v_fma_f64 v[80:81], -v[80:81], v[120:121], v[122:123]
	s_delay_alu instid0(VALU_DEP_1) | instskip(NEXT) | instid1(VALU_DEP_1)
	v_div_fmas_f64 v[80:81], v[80:81], v[82:83], v[120:121]
	v_div_fixup_f64 v[80:81], v[80:81], v[118:119], v[116:117]
	s_delay_alu instid0(VALU_DEP_1) | instskip(NEXT) | instid1(VALU_DEP_1)
	v_fma_f64 v[82:83], v[116:117], v[80:81], v[118:119]
	v_div_scale_f64 v[116:117], null, v[82:83], v[82:83], 1.0
	s_delay_alu instid0(VALU_DEP_1) | instskip(SKIP_2) | instid1(VALU_DEP_1)
	v_rcp_f64_e32 v[118:119], v[116:117]
	s_waitcnt_depctr 0xfff
	v_fma_f64 v[120:121], -v[116:117], v[118:119], 1.0
	v_fma_f64 v[118:119], v[118:119], v[120:121], v[118:119]
	s_delay_alu instid0(VALU_DEP_1) | instskip(NEXT) | instid1(VALU_DEP_1)
	v_fma_f64 v[120:121], -v[116:117], v[118:119], 1.0
	v_fma_f64 v[118:119], v[118:119], v[120:121], v[118:119]
	v_div_scale_f64 v[120:121], vcc_lo, 1.0, v[82:83], 1.0
	s_delay_alu instid0(VALU_DEP_1) | instskip(NEXT) | instid1(VALU_DEP_1)
	v_mul_f64 v[122:123], v[120:121], v[118:119]
	v_fma_f64 v[116:117], -v[116:117], v[122:123], v[120:121]
	s_delay_alu instid0(VALU_DEP_1) | instskip(NEXT) | instid1(VALU_DEP_1)
	v_div_fmas_f64 v[116:117], v[116:117], v[118:119], v[122:123]
	v_div_fixup_f64 v[122:123], v[116:117], v[82:83], 1.0
                                        ; implicit-def: $vgpr116_vgpr117
	s_delay_alu instid0(VALU_DEP_1)
	v_mul_f64 v[124:125], v[80:81], v[122:123]
	v_xor_b32_e32 v123, 0x80000000, v123
.LBB39_86:
	s_and_not1_saveexec_b32 s3, s3
	s_cbranch_execz .LBB39_88
; %bb.87:
	v_div_scale_f64 v[80:81], null, v[116:117], v[116:117], v[118:119]
	v_div_scale_f64 v[122:123], vcc_lo, v[118:119], v[116:117], v[118:119]
	s_delay_alu instid0(VALU_DEP_2) | instskip(SKIP_2) | instid1(VALU_DEP_1)
	v_rcp_f64_e32 v[82:83], v[80:81]
	s_waitcnt_depctr 0xfff
	v_fma_f64 v[120:121], -v[80:81], v[82:83], 1.0
	v_fma_f64 v[82:83], v[82:83], v[120:121], v[82:83]
	s_delay_alu instid0(VALU_DEP_1) | instskip(NEXT) | instid1(VALU_DEP_1)
	v_fma_f64 v[120:121], -v[80:81], v[82:83], 1.0
	v_fma_f64 v[82:83], v[82:83], v[120:121], v[82:83]
	s_delay_alu instid0(VALU_DEP_1) | instskip(NEXT) | instid1(VALU_DEP_1)
	v_mul_f64 v[120:121], v[122:123], v[82:83]
	v_fma_f64 v[80:81], -v[80:81], v[120:121], v[122:123]
	s_delay_alu instid0(VALU_DEP_1) | instskip(NEXT) | instid1(VALU_DEP_1)
	v_div_fmas_f64 v[80:81], v[80:81], v[82:83], v[120:121]
	v_div_fixup_f64 v[80:81], v[80:81], v[116:117], v[118:119]
	s_delay_alu instid0(VALU_DEP_1) | instskip(NEXT) | instid1(VALU_DEP_1)
	v_fma_f64 v[82:83], v[118:119], v[80:81], v[116:117]
	v_div_scale_f64 v[116:117], null, v[82:83], v[82:83], 1.0
	s_delay_alu instid0(VALU_DEP_1) | instskip(SKIP_2) | instid1(VALU_DEP_1)
	v_rcp_f64_e32 v[118:119], v[116:117]
	s_waitcnt_depctr 0xfff
	v_fma_f64 v[120:121], -v[116:117], v[118:119], 1.0
	v_fma_f64 v[118:119], v[118:119], v[120:121], v[118:119]
	s_delay_alu instid0(VALU_DEP_1) | instskip(NEXT) | instid1(VALU_DEP_1)
	v_fma_f64 v[120:121], -v[116:117], v[118:119], 1.0
	v_fma_f64 v[118:119], v[118:119], v[120:121], v[118:119]
	v_div_scale_f64 v[120:121], vcc_lo, 1.0, v[82:83], 1.0
	s_delay_alu instid0(VALU_DEP_1) | instskip(NEXT) | instid1(VALU_DEP_1)
	v_mul_f64 v[122:123], v[120:121], v[118:119]
	v_fma_f64 v[116:117], -v[116:117], v[122:123], v[120:121]
	s_delay_alu instid0(VALU_DEP_1) | instskip(NEXT) | instid1(VALU_DEP_1)
	v_div_fmas_f64 v[116:117], v[116:117], v[118:119], v[122:123]
	v_div_fixup_f64 v[124:125], v[116:117], v[82:83], 1.0
	s_delay_alu instid0(VALU_DEP_1)
	v_mul_f64 v[122:123], v[80:81], -v[124:125]
.LBB39_88:
	s_or_b32 exec_lo, exec_lo, s3
	ds_store_2addr_b64 v62, v[124:125], v[122:123] offset1:1
.LBB39_89:
	s_or_b32 exec_lo, exec_lo, s4
	s_waitcnt lgkmcnt(0)
	s_barrier
	buffer_gl0_inv
	ds_load_2addr_b64 v[116:119], v62 offset1:1
	s_mov_b32 s3, exec_lo
	v_cmpx_lt_u32_e32 9, v255
	s_cbranch_execz .LBB39_91
; %bb.90:
	s_waitcnt lgkmcnt(0)
	v_mul_f64 v[80:81], v[116:117], v[42:43]
	v_mul_f64 v[42:43], v[118:119], v[42:43]
	ds_load_2addr_b64 v[120:123], v206 offset0:20 offset1:21
	ds_load_2addr_b64 v[124:127], v206 offset0:22 offset1:23
	;; [unrolled: 1-line block ×10, first 2 shown]
	v_fma_f64 v[80:81], v[118:119], v[40:41], v[80:81]
	v_fma_f64 v[40:41], v[116:117], v[40:41], -v[42:43]
	s_waitcnt lgkmcnt(9)
	s_delay_alu instid0(VALU_DEP_2)
	v_mul_f64 v[42:43], v[122:123], v[80:81]
	v_mul_f64 v[82:83], v[120:121], v[80:81]
	s_waitcnt lgkmcnt(8)
	v_mul_f64 v[162:163], v[126:127], v[80:81]
	v_mul_f64 v[164:165], v[124:125], v[80:81]
	s_waitcnt lgkmcnt(7)
	;; [unrolled: 3-line block ×9, first 2 shown]
	v_mul_f64 v[215:216], v[158:159], v[80:81]
	v_mul_f64 v[217:218], v[156:157], v[80:81]
	v_fma_f64 v[42:43], v[120:121], v[40:41], -v[42:43]
	v_fma_f64 v[82:83], v[122:123], v[40:41], v[82:83]
	v_fma_f64 v[120:121], v[124:125], v[40:41], -v[162:163]
	v_fma_f64 v[122:123], v[126:127], v[40:41], v[164:165]
	;; [unrolled: 2-line block ×10, first 2 shown]
	v_add_f64 v[36:37], v[36:37], -v[42:43]
	v_add_f64 v[38:39], v[38:39], -v[82:83]
	v_add_f64 v[32:33], v[32:33], -v[120:121]
	v_add_f64 v[34:35], v[34:35], -v[122:123]
	v_add_f64 v[28:29], v[28:29], -v[124:125]
	v_add_f64 v[30:31], v[30:31], -v[126:127]
	v_add_f64 v[24:25], v[24:25], -v[128:129]
	v_add_f64 v[26:27], v[26:27], -v[130:131]
	v_add_f64 v[20:21], v[20:21], -v[132:133]
	v_add_f64 v[22:23], v[22:23], -v[134:135]
	v_add_f64 v[16:17], v[16:17], -v[136:137]
	v_add_f64 v[18:19], v[18:19], -v[138:139]
	v_add_f64 v[12:13], v[12:13], -v[140:141]
	v_add_f64 v[14:15], v[14:15], -v[142:143]
	v_add_f64 v[8:9], v[8:9], -v[144:145]
	v_add_f64 v[10:11], v[10:11], -v[146:147]
	v_add_f64 v[4:5], v[4:5], -v[148:149]
	v_add_f64 v[6:7], v[6:7], -v[150:151]
	v_add_f64 v[0:1], v[0:1], -v[152:153]
	v_add_f64 v[2:3], v[2:3], -v[154:155]
	v_dual_mov_b32 v42, v80 :: v_dual_mov_b32 v43, v81
.LBB39_91:
	s_or_b32 exec_lo, exec_lo, s3
	s_delay_alu instid0(SALU_CYCLE_1)
	s_mov_b32 s4, exec_lo
	s_waitcnt lgkmcnt(0)
	s_barrier
	buffer_gl0_inv
	v_cmpx_eq_u32_e32 10, v255
	s_cbranch_execz .LBB39_98
; %bb.92:
	ds_store_2addr_b64 v62, v[36:37], v[38:39] offset1:1
	ds_store_2addr_b64 v206, v[32:33], v[34:35] offset0:22 offset1:23
	ds_store_2addr_b64 v206, v[28:29], v[30:31] offset0:24 offset1:25
	;; [unrolled: 1-line block ×9, first 2 shown]
	ds_load_2addr_b64 v[120:123], v62 offset1:1
	s_waitcnt lgkmcnt(0)
	v_cmp_neq_f64_e32 vcc_lo, 0, v[120:121]
	v_cmp_neq_f64_e64 s3, 0, v[122:123]
	s_delay_alu instid0(VALU_DEP_1) | instskip(NEXT) | instid1(SALU_CYCLE_1)
	s_or_b32 s3, vcc_lo, s3
	s_and_b32 exec_lo, exec_lo, s3
	s_cbranch_execz .LBB39_98
; %bb.93:
	v_cmp_gt_f64_e32 vcc_lo, 0, v[120:121]
	v_cmp_gt_f64_e64 s3, 0, v[122:123]
	v_xor_b32_e32 v80, 0x80000000, v121
	v_xor_b32_e32 v82, 0x80000000, v123
                                        ; implicit-def: $vgpr128_vgpr129
	s_delay_alu instid0(VALU_DEP_2) | instskip(NEXT) | instid1(VALU_DEP_2)
	v_cndmask_b32_e32 v81, v121, v80, vcc_lo
	v_cndmask_b32_e64 v83, v123, v82, s3
	v_cndmask_b32_e32 v80, v120, v120, vcc_lo
	v_cndmask_b32_e64 v82, v122, v122, s3
	s_mov_b32 s3, exec_lo
	s_delay_alu instid0(VALU_DEP_1)
	v_cmpx_ngt_f64_e32 v[80:81], v[82:83]
	s_xor_b32 s3, exec_lo, s3
                                        ; implicit-def: $vgpr124_vgpr125_vgpr126_vgpr127
	s_cbranch_execz .LBB39_95
; %bb.94:
	v_div_scale_f64 v[80:81], null, v[122:123], v[122:123], v[120:121]
	v_div_scale_f64 v[126:127], vcc_lo, v[120:121], v[122:123], v[120:121]
	s_delay_alu instid0(VALU_DEP_2) | instskip(SKIP_2) | instid1(VALU_DEP_1)
	v_rcp_f64_e32 v[82:83], v[80:81]
	s_waitcnt_depctr 0xfff
	v_fma_f64 v[124:125], -v[80:81], v[82:83], 1.0
	v_fma_f64 v[82:83], v[82:83], v[124:125], v[82:83]
	s_delay_alu instid0(VALU_DEP_1) | instskip(NEXT) | instid1(VALU_DEP_1)
	v_fma_f64 v[124:125], -v[80:81], v[82:83], 1.0
	v_fma_f64 v[82:83], v[82:83], v[124:125], v[82:83]
	s_delay_alu instid0(VALU_DEP_1) | instskip(NEXT) | instid1(VALU_DEP_1)
	v_mul_f64 v[124:125], v[126:127], v[82:83]
	v_fma_f64 v[80:81], -v[80:81], v[124:125], v[126:127]
	s_delay_alu instid0(VALU_DEP_1) | instskip(NEXT) | instid1(VALU_DEP_1)
	v_div_fmas_f64 v[80:81], v[80:81], v[82:83], v[124:125]
	v_div_fixup_f64 v[80:81], v[80:81], v[122:123], v[120:121]
	s_delay_alu instid0(VALU_DEP_1) | instskip(NEXT) | instid1(VALU_DEP_1)
	v_fma_f64 v[82:83], v[120:121], v[80:81], v[122:123]
	v_div_scale_f64 v[120:121], null, v[82:83], v[82:83], 1.0
	s_delay_alu instid0(VALU_DEP_1) | instskip(SKIP_2) | instid1(VALU_DEP_1)
	v_rcp_f64_e32 v[122:123], v[120:121]
	s_waitcnt_depctr 0xfff
	v_fma_f64 v[124:125], -v[120:121], v[122:123], 1.0
	v_fma_f64 v[122:123], v[122:123], v[124:125], v[122:123]
	s_delay_alu instid0(VALU_DEP_1) | instskip(NEXT) | instid1(VALU_DEP_1)
	v_fma_f64 v[124:125], -v[120:121], v[122:123], 1.0
	v_fma_f64 v[122:123], v[122:123], v[124:125], v[122:123]
	v_div_scale_f64 v[124:125], vcc_lo, 1.0, v[82:83], 1.0
	s_delay_alu instid0(VALU_DEP_1) | instskip(NEXT) | instid1(VALU_DEP_1)
	v_mul_f64 v[126:127], v[124:125], v[122:123]
	v_fma_f64 v[120:121], -v[120:121], v[126:127], v[124:125]
	s_delay_alu instid0(VALU_DEP_1) | instskip(NEXT) | instid1(VALU_DEP_1)
	v_div_fmas_f64 v[120:121], v[120:121], v[122:123], v[126:127]
	v_div_fixup_f64 v[126:127], v[120:121], v[82:83], 1.0
                                        ; implicit-def: $vgpr120_vgpr121
	s_delay_alu instid0(VALU_DEP_1)
	v_mul_f64 v[128:129], v[80:81], v[126:127]
	v_xor_b32_e32 v127, 0x80000000, v127
.LBB39_95:
	s_and_not1_saveexec_b32 s3, s3
	s_cbranch_execz .LBB39_97
; %bb.96:
	v_div_scale_f64 v[80:81], null, v[120:121], v[120:121], v[122:123]
	v_div_scale_f64 v[126:127], vcc_lo, v[122:123], v[120:121], v[122:123]
	s_delay_alu instid0(VALU_DEP_2) | instskip(SKIP_2) | instid1(VALU_DEP_1)
	v_rcp_f64_e32 v[82:83], v[80:81]
	s_waitcnt_depctr 0xfff
	v_fma_f64 v[124:125], -v[80:81], v[82:83], 1.0
	v_fma_f64 v[82:83], v[82:83], v[124:125], v[82:83]
	s_delay_alu instid0(VALU_DEP_1) | instskip(NEXT) | instid1(VALU_DEP_1)
	v_fma_f64 v[124:125], -v[80:81], v[82:83], 1.0
	v_fma_f64 v[82:83], v[82:83], v[124:125], v[82:83]
	s_delay_alu instid0(VALU_DEP_1) | instskip(NEXT) | instid1(VALU_DEP_1)
	v_mul_f64 v[124:125], v[126:127], v[82:83]
	v_fma_f64 v[80:81], -v[80:81], v[124:125], v[126:127]
	s_delay_alu instid0(VALU_DEP_1) | instskip(NEXT) | instid1(VALU_DEP_1)
	v_div_fmas_f64 v[80:81], v[80:81], v[82:83], v[124:125]
	v_div_fixup_f64 v[80:81], v[80:81], v[120:121], v[122:123]
	s_delay_alu instid0(VALU_DEP_1) | instskip(NEXT) | instid1(VALU_DEP_1)
	v_fma_f64 v[82:83], v[122:123], v[80:81], v[120:121]
	v_div_scale_f64 v[120:121], null, v[82:83], v[82:83], 1.0
	s_delay_alu instid0(VALU_DEP_1) | instskip(SKIP_2) | instid1(VALU_DEP_1)
	v_rcp_f64_e32 v[122:123], v[120:121]
	s_waitcnt_depctr 0xfff
	v_fma_f64 v[124:125], -v[120:121], v[122:123], 1.0
	v_fma_f64 v[122:123], v[122:123], v[124:125], v[122:123]
	s_delay_alu instid0(VALU_DEP_1) | instskip(NEXT) | instid1(VALU_DEP_1)
	v_fma_f64 v[124:125], -v[120:121], v[122:123], 1.0
	v_fma_f64 v[122:123], v[122:123], v[124:125], v[122:123]
	v_div_scale_f64 v[124:125], vcc_lo, 1.0, v[82:83], 1.0
	s_delay_alu instid0(VALU_DEP_1) | instskip(NEXT) | instid1(VALU_DEP_1)
	v_mul_f64 v[126:127], v[124:125], v[122:123]
	v_fma_f64 v[120:121], -v[120:121], v[126:127], v[124:125]
	s_delay_alu instid0(VALU_DEP_1) | instskip(NEXT) | instid1(VALU_DEP_1)
	v_div_fmas_f64 v[120:121], v[120:121], v[122:123], v[126:127]
	v_div_fixup_f64 v[128:129], v[120:121], v[82:83], 1.0
	s_delay_alu instid0(VALU_DEP_1)
	v_mul_f64 v[126:127], v[80:81], -v[128:129]
.LBB39_97:
	s_or_b32 exec_lo, exec_lo, s3
	ds_store_2addr_b64 v62, v[128:129], v[126:127] offset1:1
.LBB39_98:
	s_or_b32 exec_lo, exec_lo, s4
	s_waitcnt lgkmcnt(0)
	s_barrier
	buffer_gl0_inv
	ds_load_2addr_b64 v[120:123], v62 offset1:1
	s_mov_b32 s3, exec_lo
	v_cmpx_lt_u32_e32 10, v255
	s_cbranch_execz .LBB39_100
; %bb.99:
	s_waitcnt lgkmcnt(0)
	v_mul_f64 v[80:81], v[120:121], v[38:39]
	v_mul_f64 v[38:39], v[122:123], v[38:39]
	ds_load_2addr_b64 v[124:127], v206 offset0:22 offset1:23
	ds_load_2addr_b64 v[128:131], v206 offset0:24 offset1:25
	;; [unrolled: 1-line block ×9, first 2 shown]
	v_fma_f64 v[80:81], v[122:123], v[36:37], v[80:81]
	v_fma_f64 v[36:37], v[120:121], v[36:37], -v[38:39]
	s_waitcnt lgkmcnt(8)
	s_delay_alu instid0(VALU_DEP_2)
	v_mul_f64 v[38:39], v[126:127], v[80:81]
	v_mul_f64 v[82:83], v[124:125], v[80:81]
	s_waitcnt lgkmcnt(7)
	v_mul_f64 v[162:163], v[130:131], v[80:81]
	v_mul_f64 v[164:165], v[128:129], v[80:81]
	s_waitcnt lgkmcnt(6)
	;; [unrolled: 3-line block ×8, first 2 shown]
	v_mul_f64 v[211:212], v[158:159], v[80:81]
	v_mul_f64 v[213:214], v[156:157], v[80:81]
	v_fma_f64 v[38:39], v[124:125], v[36:37], -v[38:39]
	v_fma_f64 v[82:83], v[126:127], v[36:37], v[82:83]
	v_fma_f64 v[124:125], v[128:129], v[36:37], -v[162:163]
	v_fma_f64 v[126:127], v[130:131], v[36:37], v[164:165]
	;; [unrolled: 2-line block ×9, first 2 shown]
	v_add_f64 v[32:33], v[32:33], -v[38:39]
	v_add_f64 v[34:35], v[34:35], -v[82:83]
	;; [unrolled: 1-line block ×18, first 2 shown]
	v_dual_mov_b32 v38, v80 :: v_dual_mov_b32 v39, v81
.LBB39_100:
	s_or_b32 exec_lo, exec_lo, s3
	s_delay_alu instid0(SALU_CYCLE_1)
	s_mov_b32 s4, exec_lo
	s_waitcnt lgkmcnt(0)
	s_barrier
	buffer_gl0_inv
	v_cmpx_eq_u32_e32 11, v255
	s_cbranch_execz .LBB39_107
; %bb.101:
	ds_store_2addr_b64 v62, v[32:33], v[34:35] offset1:1
	ds_store_2addr_b64 v206, v[28:29], v[30:31] offset0:24 offset1:25
	ds_store_2addr_b64 v206, v[24:25], v[26:27] offset0:26 offset1:27
	ds_store_2addr_b64 v206, v[20:21], v[22:23] offset0:28 offset1:29
	ds_store_2addr_b64 v206, v[16:17], v[18:19] offset0:30 offset1:31
	ds_store_2addr_b64 v206, v[12:13], v[14:15] offset0:32 offset1:33
	ds_store_2addr_b64 v206, v[8:9], v[10:11] offset0:34 offset1:35
	ds_store_2addr_b64 v206, v[4:5], v[6:7] offset0:36 offset1:37
	ds_store_2addr_b64 v206, v[0:1], v[2:3] offset0:38 offset1:39
	ds_load_2addr_b64 v[124:127], v62 offset1:1
	s_waitcnt lgkmcnt(0)
	v_cmp_neq_f64_e32 vcc_lo, 0, v[124:125]
	v_cmp_neq_f64_e64 s3, 0, v[126:127]
	s_delay_alu instid0(VALU_DEP_1) | instskip(NEXT) | instid1(SALU_CYCLE_1)
	s_or_b32 s3, vcc_lo, s3
	s_and_b32 exec_lo, exec_lo, s3
	s_cbranch_execz .LBB39_107
; %bb.102:
	v_cmp_gt_f64_e32 vcc_lo, 0, v[124:125]
	v_cmp_gt_f64_e64 s3, 0, v[126:127]
	v_xor_b32_e32 v80, 0x80000000, v125
	v_xor_b32_e32 v82, 0x80000000, v127
                                        ; implicit-def: $vgpr132_vgpr133
	s_delay_alu instid0(VALU_DEP_2) | instskip(NEXT) | instid1(VALU_DEP_2)
	v_cndmask_b32_e32 v81, v125, v80, vcc_lo
	v_cndmask_b32_e64 v83, v127, v82, s3
	v_cndmask_b32_e32 v80, v124, v124, vcc_lo
	v_cndmask_b32_e64 v82, v126, v126, s3
	s_mov_b32 s3, exec_lo
	s_delay_alu instid0(VALU_DEP_1)
	v_cmpx_ngt_f64_e32 v[80:81], v[82:83]
	s_xor_b32 s3, exec_lo, s3
                                        ; implicit-def: $vgpr128_vgpr129_vgpr130_vgpr131
	s_cbranch_execz .LBB39_104
; %bb.103:
	v_div_scale_f64 v[80:81], null, v[126:127], v[126:127], v[124:125]
	v_div_scale_f64 v[130:131], vcc_lo, v[124:125], v[126:127], v[124:125]
	s_delay_alu instid0(VALU_DEP_2) | instskip(SKIP_2) | instid1(VALU_DEP_1)
	v_rcp_f64_e32 v[82:83], v[80:81]
	s_waitcnt_depctr 0xfff
	v_fma_f64 v[128:129], -v[80:81], v[82:83], 1.0
	v_fma_f64 v[82:83], v[82:83], v[128:129], v[82:83]
	s_delay_alu instid0(VALU_DEP_1) | instskip(NEXT) | instid1(VALU_DEP_1)
	v_fma_f64 v[128:129], -v[80:81], v[82:83], 1.0
	v_fma_f64 v[82:83], v[82:83], v[128:129], v[82:83]
	s_delay_alu instid0(VALU_DEP_1) | instskip(NEXT) | instid1(VALU_DEP_1)
	v_mul_f64 v[128:129], v[130:131], v[82:83]
	v_fma_f64 v[80:81], -v[80:81], v[128:129], v[130:131]
	s_delay_alu instid0(VALU_DEP_1) | instskip(NEXT) | instid1(VALU_DEP_1)
	v_div_fmas_f64 v[80:81], v[80:81], v[82:83], v[128:129]
	v_div_fixup_f64 v[80:81], v[80:81], v[126:127], v[124:125]
	s_delay_alu instid0(VALU_DEP_1) | instskip(NEXT) | instid1(VALU_DEP_1)
	v_fma_f64 v[82:83], v[124:125], v[80:81], v[126:127]
	v_div_scale_f64 v[124:125], null, v[82:83], v[82:83], 1.0
	s_delay_alu instid0(VALU_DEP_1) | instskip(SKIP_2) | instid1(VALU_DEP_1)
	v_rcp_f64_e32 v[126:127], v[124:125]
	s_waitcnt_depctr 0xfff
	v_fma_f64 v[128:129], -v[124:125], v[126:127], 1.0
	v_fma_f64 v[126:127], v[126:127], v[128:129], v[126:127]
	s_delay_alu instid0(VALU_DEP_1) | instskip(NEXT) | instid1(VALU_DEP_1)
	v_fma_f64 v[128:129], -v[124:125], v[126:127], 1.0
	v_fma_f64 v[126:127], v[126:127], v[128:129], v[126:127]
	v_div_scale_f64 v[128:129], vcc_lo, 1.0, v[82:83], 1.0
	s_delay_alu instid0(VALU_DEP_1) | instskip(NEXT) | instid1(VALU_DEP_1)
	v_mul_f64 v[130:131], v[128:129], v[126:127]
	v_fma_f64 v[124:125], -v[124:125], v[130:131], v[128:129]
	s_delay_alu instid0(VALU_DEP_1) | instskip(NEXT) | instid1(VALU_DEP_1)
	v_div_fmas_f64 v[124:125], v[124:125], v[126:127], v[130:131]
	v_div_fixup_f64 v[130:131], v[124:125], v[82:83], 1.0
                                        ; implicit-def: $vgpr124_vgpr125
	s_delay_alu instid0(VALU_DEP_1)
	v_mul_f64 v[132:133], v[80:81], v[130:131]
	v_xor_b32_e32 v131, 0x80000000, v131
.LBB39_104:
	s_and_not1_saveexec_b32 s3, s3
	s_cbranch_execz .LBB39_106
; %bb.105:
	v_div_scale_f64 v[80:81], null, v[124:125], v[124:125], v[126:127]
	v_div_scale_f64 v[130:131], vcc_lo, v[126:127], v[124:125], v[126:127]
	s_delay_alu instid0(VALU_DEP_2) | instskip(SKIP_2) | instid1(VALU_DEP_1)
	v_rcp_f64_e32 v[82:83], v[80:81]
	s_waitcnt_depctr 0xfff
	v_fma_f64 v[128:129], -v[80:81], v[82:83], 1.0
	v_fma_f64 v[82:83], v[82:83], v[128:129], v[82:83]
	s_delay_alu instid0(VALU_DEP_1) | instskip(NEXT) | instid1(VALU_DEP_1)
	v_fma_f64 v[128:129], -v[80:81], v[82:83], 1.0
	v_fma_f64 v[82:83], v[82:83], v[128:129], v[82:83]
	s_delay_alu instid0(VALU_DEP_1) | instskip(NEXT) | instid1(VALU_DEP_1)
	v_mul_f64 v[128:129], v[130:131], v[82:83]
	v_fma_f64 v[80:81], -v[80:81], v[128:129], v[130:131]
	s_delay_alu instid0(VALU_DEP_1) | instskip(NEXT) | instid1(VALU_DEP_1)
	v_div_fmas_f64 v[80:81], v[80:81], v[82:83], v[128:129]
	v_div_fixup_f64 v[80:81], v[80:81], v[124:125], v[126:127]
	s_delay_alu instid0(VALU_DEP_1) | instskip(NEXT) | instid1(VALU_DEP_1)
	v_fma_f64 v[82:83], v[126:127], v[80:81], v[124:125]
	v_div_scale_f64 v[124:125], null, v[82:83], v[82:83], 1.0
	s_delay_alu instid0(VALU_DEP_1) | instskip(SKIP_2) | instid1(VALU_DEP_1)
	v_rcp_f64_e32 v[126:127], v[124:125]
	s_waitcnt_depctr 0xfff
	v_fma_f64 v[128:129], -v[124:125], v[126:127], 1.0
	v_fma_f64 v[126:127], v[126:127], v[128:129], v[126:127]
	s_delay_alu instid0(VALU_DEP_1) | instskip(NEXT) | instid1(VALU_DEP_1)
	v_fma_f64 v[128:129], -v[124:125], v[126:127], 1.0
	v_fma_f64 v[126:127], v[126:127], v[128:129], v[126:127]
	v_div_scale_f64 v[128:129], vcc_lo, 1.0, v[82:83], 1.0
	s_delay_alu instid0(VALU_DEP_1) | instskip(NEXT) | instid1(VALU_DEP_1)
	v_mul_f64 v[130:131], v[128:129], v[126:127]
	v_fma_f64 v[124:125], -v[124:125], v[130:131], v[128:129]
	s_delay_alu instid0(VALU_DEP_1) | instskip(NEXT) | instid1(VALU_DEP_1)
	v_div_fmas_f64 v[124:125], v[124:125], v[126:127], v[130:131]
	v_div_fixup_f64 v[132:133], v[124:125], v[82:83], 1.0
	s_delay_alu instid0(VALU_DEP_1)
	v_mul_f64 v[130:131], v[80:81], -v[132:133]
.LBB39_106:
	s_or_b32 exec_lo, exec_lo, s3
	ds_store_2addr_b64 v62, v[132:133], v[130:131] offset1:1
.LBB39_107:
	s_or_b32 exec_lo, exec_lo, s4
	s_waitcnt lgkmcnt(0)
	s_barrier
	buffer_gl0_inv
	ds_load_2addr_b64 v[124:127], v62 offset1:1
	s_mov_b32 s3, exec_lo
	v_cmpx_lt_u32_e32 11, v255
	s_cbranch_execz .LBB39_109
; %bb.108:
	s_waitcnt lgkmcnt(0)
	v_mul_f64 v[80:81], v[124:125], v[34:35]
	v_mul_f64 v[34:35], v[126:127], v[34:35]
	ds_load_2addr_b64 v[128:131], v206 offset0:24 offset1:25
	ds_load_2addr_b64 v[132:135], v206 offset0:26 offset1:27
	;; [unrolled: 1-line block ×8, first 2 shown]
	v_fma_f64 v[80:81], v[126:127], v[32:33], v[80:81]
	v_fma_f64 v[32:33], v[124:125], v[32:33], -v[34:35]
	s_waitcnt lgkmcnt(7)
	s_delay_alu instid0(VALU_DEP_2)
	v_mul_f64 v[34:35], v[130:131], v[80:81]
	v_mul_f64 v[82:83], v[128:129], v[80:81]
	s_waitcnt lgkmcnt(6)
	v_mul_f64 v[162:163], v[134:135], v[80:81]
	v_mul_f64 v[164:165], v[132:133], v[80:81]
	s_waitcnt lgkmcnt(5)
	;; [unrolled: 3-line block ×7, first 2 shown]
	v_mul_f64 v[207:208], v[158:159], v[80:81]
	v_mul_f64 v[209:210], v[156:157], v[80:81]
	v_fma_f64 v[34:35], v[128:129], v[32:33], -v[34:35]
	v_fma_f64 v[82:83], v[130:131], v[32:33], v[82:83]
	v_fma_f64 v[128:129], v[132:133], v[32:33], -v[162:163]
	v_fma_f64 v[130:131], v[134:135], v[32:33], v[164:165]
	;; [unrolled: 2-line block ×8, first 2 shown]
	v_add_f64 v[28:29], v[28:29], -v[34:35]
	v_add_f64 v[30:31], v[30:31], -v[82:83]
	v_add_f64 v[24:25], v[24:25], -v[128:129]
	v_add_f64 v[26:27], v[26:27], -v[130:131]
	v_add_f64 v[20:21], v[20:21], -v[132:133]
	v_add_f64 v[22:23], v[22:23], -v[134:135]
	v_add_f64 v[16:17], v[16:17], -v[136:137]
	v_add_f64 v[18:19], v[18:19], -v[138:139]
	v_add_f64 v[12:13], v[12:13], -v[140:141]
	v_add_f64 v[14:15], v[14:15], -v[142:143]
	v_add_f64 v[8:9], v[8:9], -v[144:145]
	v_add_f64 v[10:11], v[10:11], -v[146:147]
	v_add_f64 v[4:5], v[4:5], -v[148:149]
	v_add_f64 v[6:7], v[6:7], -v[150:151]
	v_add_f64 v[0:1], v[0:1], -v[152:153]
	v_add_f64 v[2:3], v[2:3], -v[154:155]
	v_dual_mov_b32 v34, v80 :: v_dual_mov_b32 v35, v81
.LBB39_109:
	s_or_b32 exec_lo, exec_lo, s3
	s_delay_alu instid0(SALU_CYCLE_1)
	s_mov_b32 s4, exec_lo
	s_waitcnt lgkmcnt(0)
	s_barrier
	buffer_gl0_inv
	v_cmpx_eq_u32_e32 12, v255
	s_cbranch_execz .LBB39_116
; %bb.110:
	ds_store_2addr_b64 v62, v[28:29], v[30:31] offset1:1
	ds_store_2addr_b64 v206, v[24:25], v[26:27] offset0:26 offset1:27
	ds_store_2addr_b64 v206, v[20:21], v[22:23] offset0:28 offset1:29
	;; [unrolled: 1-line block ×7, first 2 shown]
	ds_load_2addr_b64 v[128:131], v62 offset1:1
	s_waitcnt lgkmcnt(0)
	v_cmp_neq_f64_e32 vcc_lo, 0, v[128:129]
	v_cmp_neq_f64_e64 s3, 0, v[130:131]
	s_delay_alu instid0(VALU_DEP_1) | instskip(NEXT) | instid1(SALU_CYCLE_1)
	s_or_b32 s3, vcc_lo, s3
	s_and_b32 exec_lo, exec_lo, s3
	s_cbranch_execz .LBB39_116
; %bb.111:
	v_cmp_gt_f64_e32 vcc_lo, 0, v[128:129]
	v_cmp_gt_f64_e64 s3, 0, v[130:131]
	v_xor_b32_e32 v80, 0x80000000, v129
	v_xor_b32_e32 v82, 0x80000000, v131
                                        ; implicit-def: $vgpr136_vgpr137
	s_delay_alu instid0(VALU_DEP_2) | instskip(NEXT) | instid1(VALU_DEP_2)
	v_cndmask_b32_e32 v81, v129, v80, vcc_lo
	v_cndmask_b32_e64 v83, v131, v82, s3
	v_cndmask_b32_e32 v80, v128, v128, vcc_lo
	v_cndmask_b32_e64 v82, v130, v130, s3
	s_mov_b32 s3, exec_lo
	s_delay_alu instid0(VALU_DEP_1)
	v_cmpx_ngt_f64_e32 v[80:81], v[82:83]
	s_xor_b32 s3, exec_lo, s3
                                        ; implicit-def: $vgpr132_vgpr133_vgpr134_vgpr135
	s_cbranch_execz .LBB39_113
; %bb.112:
	v_div_scale_f64 v[80:81], null, v[130:131], v[130:131], v[128:129]
	v_div_scale_f64 v[134:135], vcc_lo, v[128:129], v[130:131], v[128:129]
	s_delay_alu instid0(VALU_DEP_2) | instskip(SKIP_2) | instid1(VALU_DEP_1)
	v_rcp_f64_e32 v[82:83], v[80:81]
	s_waitcnt_depctr 0xfff
	v_fma_f64 v[132:133], -v[80:81], v[82:83], 1.0
	v_fma_f64 v[82:83], v[82:83], v[132:133], v[82:83]
	s_delay_alu instid0(VALU_DEP_1) | instskip(NEXT) | instid1(VALU_DEP_1)
	v_fma_f64 v[132:133], -v[80:81], v[82:83], 1.0
	v_fma_f64 v[82:83], v[82:83], v[132:133], v[82:83]
	s_delay_alu instid0(VALU_DEP_1) | instskip(NEXT) | instid1(VALU_DEP_1)
	v_mul_f64 v[132:133], v[134:135], v[82:83]
	v_fma_f64 v[80:81], -v[80:81], v[132:133], v[134:135]
	s_delay_alu instid0(VALU_DEP_1) | instskip(NEXT) | instid1(VALU_DEP_1)
	v_div_fmas_f64 v[80:81], v[80:81], v[82:83], v[132:133]
	v_div_fixup_f64 v[80:81], v[80:81], v[130:131], v[128:129]
	s_delay_alu instid0(VALU_DEP_1) | instskip(NEXT) | instid1(VALU_DEP_1)
	v_fma_f64 v[82:83], v[128:129], v[80:81], v[130:131]
	v_div_scale_f64 v[128:129], null, v[82:83], v[82:83], 1.0
	s_delay_alu instid0(VALU_DEP_1) | instskip(SKIP_2) | instid1(VALU_DEP_1)
	v_rcp_f64_e32 v[130:131], v[128:129]
	s_waitcnt_depctr 0xfff
	v_fma_f64 v[132:133], -v[128:129], v[130:131], 1.0
	v_fma_f64 v[130:131], v[130:131], v[132:133], v[130:131]
	s_delay_alu instid0(VALU_DEP_1) | instskip(NEXT) | instid1(VALU_DEP_1)
	v_fma_f64 v[132:133], -v[128:129], v[130:131], 1.0
	v_fma_f64 v[130:131], v[130:131], v[132:133], v[130:131]
	v_div_scale_f64 v[132:133], vcc_lo, 1.0, v[82:83], 1.0
	s_delay_alu instid0(VALU_DEP_1) | instskip(NEXT) | instid1(VALU_DEP_1)
	v_mul_f64 v[134:135], v[132:133], v[130:131]
	v_fma_f64 v[128:129], -v[128:129], v[134:135], v[132:133]
	s_delay_alu instid0(VALU_DEP_1) | instskip(NEXT) | instid1(VALU_DEP_1)
	v_div_fmas_f64 v[128:129], v[128:129], v[130:131], v[134:135]
	v_div_fixup_f64 v[134:135], v[128:129], v[82:83], 1.0
                                        ; implicit-def: $vgpr128_vgpr129
	s_delay_alu instid0(VALU_DEP_1)
	v_mul_f64 v[136:137], v[80:81], v[134:135]
	v_xor_b32_e32 v135, 0x80000000, v135
.LBB39_113:
	s_and_not1_saveexec_b32 s3, s3
	s_cbranch_execz .LBB39_115
; %bb.114:
	v_div_scale_f64 v[80:81], null, v[128:129], v[128:129], v[130:131]
	v_div_scale_f64 v[134:135], vcc_lo, v[130:131], v[128:129], v[130:131]
	s_delay_alu instid0(VALU_DEP_2) | instskip(SKIP_2) | instid1(VALU_DEP_1)
	v_rcp_f64_e32 v[82:83], v[80:81]
	s_waitcnt_depctr 0xfff
	v_fma_f64 v[132:133], -v[80:81], v[82:83], 1.0
	v_fma_f64 v[82:83], v[82:83], v[132:133], v[82:83]
	s_delay_alu instid0(VALU_DEP_1) | instskip(NEXT) | instid1(VALU_DEP_1)
	v_fma_f64 v[132:133], -v[80:81], v[82:83], 1.0
	v_fma_f64 v[82:83], v[82:83], v[132:133], v[82:83]
	s_delay_alu instid0(VALU_DEP_1) | instskip(NEXT) | instid1(VALU_DEP_1)
	v_mul_f64 v[132:133], v[134:135], v[82:83]
	v_fma_f64 v[80:81], -v[80:81], v[132:133], v[134:135]
	s_delay_alu instid0(VALU_DEP_1) | instskip(NEXT) | instid1(VALU_DEP_1)
	v_div_fmas_f64 v[80:81], v[80:81], v[82:83], v[132:133]
	v_div_fixup_f64 v[80:81], v[80:81], v[128:129], v[130:131]
	s_delay_alu instid0(VALU_DEP_1) | instskip(NEXT) | instid1(VALU_DEP_1)
	v_fma_f64 v[82:83], v[130:131], v[80:81], v[128:129]
	v_div_scale_f64 v[128:129], null, v[82:83], v[82:83], 1.0
	s_delay_alu instid0(VALU_DEP_1) | instskip(SKIP_2) | instid1(VALU_DEP_1)
	v_rcp_f64_e32 v[130:131], v[128:129]
	s_waitcnt_depctr 0xfff
	v_fma_f64 v[132:133], -v[128:129], v[130:131], 1.0
	v_fma_f64 v[130:131], v[130:131], v[132:133], v[130:131]
	s_delay_alu instid0(VALU_DEP_1) | instskip(NEXT) | instid1(VALU_DEP_1)
	v_fma_f64 v[132:133], -v[128:129], v[130:131], 1.0
	v_fma_f64 v[130:131], v[130:131], v[132:133], v[130:131]
	v_div_scale_f64 v[132:133], vcc_lo, 1.0, v[82:83], 1.0
	s_delay_alu instid0(VALU_DEP_1) | instskip(NEXT) | instid1(VALU_DEP_1)
	v_mul_f64 v[134:135], v[132:133], v[130:131]
	v_fma_f64 v[128:129], -v[128:129], v[134:135], v[132:133]
	s_delay_alu instid0(VALU_DEP_1) | instskip(NEXT) | instid1(VALU_DEP_1)
	v_div_fmas_f64 v[128:129], v[128:129], v[130:131], v[134:135]
	v_div_fixup_f64 v[136:137], v[128:129], v[82:83], 1.0
	s_delay_alu instid0(VALU_DEP_1)
	v_mul_f64 v[134:135], v[80:81], -v[136:137]
.LBB39_115:
	s_or_b32 exec_lo, exec_lo, s3
	ds_store_2addr_b64 v62, v[136:137], v[134:135] offset1:1
.LBB39_116:
	s_or_b32 exec_lo, exec_lo, s4
	s_waitcnt lgkmcnt(0)
	s_barrier
	buffer_gl0_inv
	ds_load_2addr_b64 v[128:131], v62 offset1:1
	s_mov_b32 s3, exec_lo
	v_cmpx_lt_u32_e32 12, v255
	s_cbranch_execz .LBB39_118
; %bb.117:
	s_waitcnt lgkmcnt(0)
	v_mul_f64 v[80:81], v[128:129], v[30:31]
	v_mul_f64 v[30:31], v[130:131], v[30:31]
	ds_load_2addr_b64 v[132:135], v206 offset0:26 offset1:27
	ds_load_2addr_b64 v[136:139], v206 offset0:28 offset1:29
	;; [unrolled: 1-line block ×7, first 2 shown]
	v_fma_f64 v[80:81], v[130:131], v[28:29], v[80:81]
	v_fma_f64 v[28:29], v[128:129], v[28:29], -v[30:31]
	s_waitcnt lgkmcnt(6)
	s_delay_alu instid0(VALU_DEP_2)
	v_mul_f64 v[30:31], v[134:135], v[80:81]
	v_mul_f64 v[82:83], v[132:133], v[80:81]
	s_waitcnt lgkmcnt(5)
	v_mul_f64 v[162:163], v[138:139], v[80:81]
	v_mul_f64 v[164:165], v[136:137], v[80:81]
	s_waitcnt lgkmcnt(4)
	;; [unrolled: 3-line block ×6, first 2 shown]
	v_mul_f64 v[182:183], v[158:159], v[80:81]
	v_mul_f64 v[202:203], v[156:157], v[80:81]
	v_fma_f64 v[30:31], v[132:133], v[28:29], -v[30:31]
	v_fma_f64 v[82:83], v[134:135], v[28:29], v[82:83]
	v_fma_f64 v[132:133], v[136:137], v[28:29], -v[162:163]
	v_fma_f64 v[134:135], v[138:139], v[28:29], v[164:165]
	;; [unrolled: 2-line block ×7, first 2 shown]
	v_add_f64 v[24:25], v[24:25], -v[30:31]
	v_add_f64 v[26:27], v[26:27], -v[82:83]
	;; [unrolled: 1-line block ×14, first 2 shown]
	v_dual_mov_b32 v30, v80 :: v_dual_mov_b32 v31, v81
.LBB39_118:
	s_or_b32 exec_lo, exec_lo, s3
	s_delay_alu instid0(SALU_CYCLE_1)
	s_mov_b32 s4, exec_lo
	s_waitcnt lgkmcnt(0)
	s_barrier
	buffer_gl0_inv
	v_cmpx_eq_u32_e32 13, v255
	s_cbranch_execz .LBB39_125
; %bb.119:
	ds_store_2addr_b64 v62, v[24:25], v[26:27] offset1:1
	ds_store_2addr_b64 v206, v[20:21], v[22:23] offset0:28 offset1:29
	ds_store_2addr_b64 v206, v[16:17], v[18:19] offset0:30 offset1:31
	;; [unrolled: 1-line block ×6, first 2 shown]
	ds_load_2addr_b64 v[132:135], v62 offset1:1
	s_waitcnt lgkmcnt(0)
	v_cmp_neq_f64_e32 vcc_lo, 0, v[132:133]
	v_cmp_neq_f64_e64 s3, 0, v[134:135]
	s_delay_alu instid0(VALU_DEP_1) | instskip(NEXT) | instid1(SALU_CYCLE_1)
	s_or_b32 s3, vcc_lo, s3
	s_and_b32 exec_lo, exec_lo, s3
	s_cbranch_execz .LBB39_125
; %bb.120:
	v_cmp_gt_f64_e32 vcc_lo, 0, v[132:133]
	v_cmp_gt_f64_e64 s3, 0, v[134:135]
	v_xor_b32_e32 v80, 0x80000000, v133
	v_xor_b32_e32 v82, 0x80000000, v135
                                        ; implicit-def: $vgpr140_vgpr141
	s_delay_alu instid0(VALU_DEP_2) | instskip(NEXT) | instid1(VALU_DEP_2)
	v_cndmask_b32_e32 v81, v133, v80, vcc_lo
	v_cndmask_b32_e64 v83, v135, v82, s3
	v_cndmask_b32_e32 v80, v132, v132, vcc_lo
	v_cndmask_b32_e64 v82, v134, v134, s3
	s_mov_b32 s3, exec_lo
	s_delay_alu instid0(VALU_DEP_1)
	v_cmpx_ngt_f64_e32 v[80:81], v[82:83]
	s_xor_b32 s3, exec_lo, s3
                                        ; implicit-def: $vgpr136_vgpr137_vgpr138_vgpr139
	s_cbranch_execz .LBB39_122
; %bb.121:
	v_div_scale_f64 v[80:81], null, v[134:135], v[134:135], v[132:133]
	v_div_scale_f64 v[138:139], vcc_lo, v[132:133], v[134:135], v[132:133]
	s_delay_alu instid0(VALU_DEP_2) | instskip(SKIP_2) | instid1(VALU_DEP_1)
	v_rcp_f64_e32 v[82:83], v[80:81]
	s_waitcnt_depctr 0xfff
	v_fma_f64 v[136:137], -v[80:81], v[82:83], 1.0
	v_fma_f64 v[82:83], v[82:83], v[136:137], v[82:83]
	s_delay_alu instid0(VALU_DEP_1) | instskip(NEXT) | instid1(VALU_DEP_1)
	v_fma_f64 v[136:137], -v[80:81], v[82:83], 1.0
	v_fma_f64 v[82:83], v[82:83], v[136:137], v[82:83]
	s_delay_alu instid0(VALU_DEP_1) | instskip(NEXT) | instid1(VALU_DEP_1)
	v_mul_f64 v[136:137], v[138:139], v[82:83]
	v_fma_f64 v[80:81], -v[80:81], v[136:137], v[138:139]
	s_delay_alu instid0(VALU_DEP_1) | instskip(NEXT) | instid1(VALU_DEP_1)
	v_div_fmas_f64 v[80:81], v[80:81], v[82:83], v[136:137]
	v_div_fixup_f64 v[80:81], v[80:81], v[134:135], v[132:133]
	s_delay_alu instid0(VALU_DEP_1) | instskip(NEXT) | instid1(VALU_DEP_1)
	v_fma_f64 v[82:83], v[132:133], v[80:81], v[134:135]
	v_div_scale_f64 v[132:133], null, v[82:83], v[82:83], 1.0
	s_delay_alu instid0(VALU_DEP_1) | instskip(SKIP_2) | instid1(VALU_DEP_1)
	v_rcp_f64_e32 v[134:135], v[132:133]
	s_waitcnt_depctr 0xfff
	v_fma_f64 v[136:137], -v[132:133], v[134:135], 1.0
	v_fma_f64 v[134:135], v[134:135], v[136:137], v[134:135]
	s_delay_alu instid0(VALU_DEP_1) | instskip(NEXT) | instid1(VALU_DEP_1)
	v_fma_f64 v[136:137], -v[132:133], v[134:135], 1.0
	v_fma_f64 v[134:135], v[134:135], v[136:137], v[134:135]
	v_div_scale_f64 v[136:137], vcc_lo, 1.0, v[82:83], 1.0
	s_delay_alu instid0(VALU_DEP_1) | instskip(NEXT) | instid1(VALU_DEP_1)
	v_mul_f64 v[138:139], v[136:137], v[134:135]
	v_fma_f64 v[132:133], -v[132:133], v[138:139], v[136:137]
	s_delay_alu instid0(VALU_DEP_1) | instskip(NEXT) | instid1(VALU_DEP_1)
	v_div_fmas_f64 v[132:133], v[132:133], v[134:135], v[138:139]
	v_div_fixup_f64 v[138:139], v[132:133], v[82:83], 1.0
                                        ; implicit-def: $vgpr132_vgpr133
	s_delay_alu instid0(VALU_DEP_1)
	v_mul_f64 v[140:141], v[80:81], v[138:139]
	v_xor_b32_e32 v139, 0x80000000, v139
.LBB39_122:
	s_and_not1_saveexec_b32 s3, s3
	s_cbranch_execz .LBB39_124
; %bb.123:
	v_div_scale_f64 v[80:81], null, v[132:133], v[132:133], v[134:135]
	v_div_scale_f64 v[138:139], vcc_lo, v[134:135], v[132:133], v[134:135]
	s_delay_alu instid0(VALU_DEP_2) | instskip(SKIP_2) | instid1(VALU_DEP_1)
	v_rcp_f64_e32 v[82:83], v[80:81]
	s_waitcnt_depctr 0xfff
	v_fma_f64 v[136:137], -v[80:81], v[82:83], 1.0
	v_fma_f64 v[82:83], v[82:83], v[136:137], v[82:83]
	s_delay_alu instid0(VALU_DEP_1) | instskip(NEXT) | instid1(VALU_DEP_1)
	v_fma_f64 v[136:137], -v[80:81], v[82:83], 1.0
	v_fma_f64 v[82:83], v[82:83], v[136:137], v[82:83]
	s_delay_alu instid0(VALU_DEP_1) | instskip(NEXT) | instid1(VALU_DEP_1)
	v_mul_f64 v[136:137], v[138:139], v[82:83]
	v_fma_f64 v[80:81], -v[80:81], v[136:137], v[138:139]
	s_delay_alu instid0(VALU_DEP_1) | instskip(NEXT) | instid1(VALU_DEP_1)
	v_div_fmas_f64 v[80:81], v[80:81], v[82:83], v[136:137]
	v_div_fixup_f64 v[80:81], v[80:81], v[132:133], v[134:135]
	s_delay_alu instid0(VALU_DEP_1) | instskip(NEXT) | instid1(VALU_DEP_1)
	v_fma_f64 v[82:83], v[134:135], v[80:81], v[132:133]
	v_div_scale_f64 v[132:133], null, v[82:83], v[82:83], 1.0
	s_delay_alu instid0(VALU_DEP_1) | instskip(SKIP_2) | instid1(VALU_DEP_1)
	v_rcp_f64_e32 v[134:135], v[132:133]
	s_waitcnt_depctr 0xfff
	v_fma_f64 v[136:137], -v[132:133], v[134:135], 1.0
	v_fma_f64 v[134:135], v[134:135], v[136:137], v[134:135]
	s_delay_alu instid0(VALU_DEP_1) | instskip(NEXT) | instid1(VALU_DEP_1)
	v_fma_f64 v[136:137], -v[132:133], v[134:135], 1.0
	v_fma_f64 v[134:135], v[134:135], v[136:137], v[134:135]
	v_div_scale_f64 v[136:137], vcc_lo, 1.0, v[82:83], 1.0
	s_delay_alu instid0(VALU_DEP_1) | instskip(NEXT) | instid1(VALU_DEP_1)
	v_mul_f64 v[138:139], v[136:137], v[134:135]
	v_fma_f64 v[132:133], -v[132:133], v[138:139], v[136:137]
	s_delay_alu instid0(VALU_DEP_1) | instskip(NEXT) | instid1(VALU_DEP_1)
	v_div_fmas_f64 v[132:133], v[132:133], v[134:135], v[138:139]
	v_div_fixup_f64 v[140:141], v[132:133], v[82:83], 1.0
	s_delay_alu instid0(VALU_DEP_1)
	v_mul_f64 v[138:139], v[80:81], -v[140:141]
.LBB39_124:
	s_or_b32 exec_lo, exec_lo, s3
	ds_store_2addr_b64 v62, v[140:141], v[138:139] offset1:1
.LBB39_125:
	s_or_b32 exec_lo, exec_lo, s4
	s_waitcnt lgkmcnt(0)
	s_barrier
	buffer_gl0_inv
	ds_load_2addr_b64 v[132:135], v62 offset1:1
	s_mov_b32 s3, exec_lo
	v_cmpx_lt_u32_e32 13, v255
	s_cbranch_execz .LBB39_127
; %bb.126:
	s_waitcnt lgkmcnt(0)
	v_mul_f64 v[80:81], v[132:133], v[26:27]
	v_mul_f64 v[26:27], v[134:135], v[26:27]
	ds_load_2addr_b64 v[136:139], v206 offset0:28 offset1:29
	ds_load_2addr_b64 v[140:143], v206 offset0:30 offset1:31
	;; [unrolled: 1-line block ×6, first 2 shown]
	v_fma_f64 v[80:81], v[134:135], v[24:25], v[80:81]
	v_fma_f64 v[24:25], v[132:133], v[24:25], -v[26:27]
	s_waitcnt lgkmcnt(5)
	s_delay_alu instid0(VALU_DEP_2)
	v_mul_f64 v[26:27], v[138:139], v[80:81]
	v_mul_f64 v[82:83], v[136:137], v[80:81]
	s_waitcnt lgkmcnt(4)
	v_mul_f64 v[162:163], v[142:143], v[80:81]
	v_mul_f64 v[164:165], v[140:141], v[80:81]
	s_waitcnt lgkmcnt(3)
	;; [unrolled: 3-line block ×5, first 2 shown]
	v_mul_f64 v[178:179], v[158:159], v[80:81]
	v_mul_f64 v[180:181], v[156:157], v[80:81]
	v_fma_f64 v[26:27], v[136:137], v[24:25], -v[26:27]
	v_fma_f64 v[82:83], v[138:139], v[24:25], v[82:83]
	v_fma_f64 v[136:137], v[140:141], v[24:25], -v[162:163]
	v_fma_f64 v[138:139], v[142:143], v[24:25], v[164:165]
	;; [unrolled: 2-line block ×6, first 2 shown]
	v_add_f64 v[20:21], v[20:21], -v[26:27]
	v_add_f64 v[22:23], v[22:23], -v[82:83]
	;; [unrolled: 1-line block ×12, first 2 shown]
	v_dual_mov_b32 v26, v80 :: v_dual_mov_b32 v27, v81
.LBB39_127:
	s_or_b32 exec_lo, exec_lo, s3
	s_delay_alu instid0(SALU_CYCLE_1)
	s_mov_b32 s4, exec_lo
	s_waitcnt lgkmcnt(0)
	s_barrier
	buffer_gl0_inv
	v_cmpx_eq_u32_e32 14, v255
	s_cbranch_execz .LBB39_134
; %bb.128:
	ds_store_2addr_b64 v62, v[20:21], v[22:23] offset1:1
	ds_store_2addr_b64 v206, v[16:17], v[18:19] offset0:30 offset1:31
	ds_store_2addr_b64 v206, v[12:13], v[14:15] offset0:32 offset1:33
	;; [unrolled: 1-line block ×5, first 2 shown]
	ds_load_2addr_b64 v[136:139], v62 offset1:1
	s_waitcnt lgkmcnt(0)
	v_cmp_neq_f64_e32 vcc_lo, 0, v[136:137]
	v_cmp_neq_f64_e64 s3, 0, v[138:139]
	s_delay_alu instid0(VALU_DEP_1) | instskip(NEXT) | instid1(SALU_CYCLE_1)
	s_or_b32 s3, vcc_lo, s3
	s_and_b32 exec_lo, exec_lo, s3
	s_cbranch_execz .LBB39_134
; %bb.129:
	v_cmp_gt_f64_e32 vcc_lo, 0, v[136:137]
	v_cmp_gt_f64_e64 s3, 0, v[138:139]
	v_xor_b32_e32 v80, 0x80000000, v137
	v_xor_b32_e32 v82, 0x80000000, v139
                                        ; implicit-def: $vgpr144_vgpr145
	s_delay_alu instid0(VALU_DEP_2) | instskip(NEXT) | instid1(VALU_DEP_2)
	v_cndmask_b32_e32 v81, v137, v80, vcc_lo
	v_cndmask_b32_e64 v83, v139, v82, s3
	v_cndmask_b32_e32 v80, v136, v136, vcc_lo
	v_cndmask_b32_e64 v82, v138, v138, s3
	s_mov_b32 s3, exec_lo
	s_delay_alu instid0(VALU_DEP_1)
	v_cmpx_ngt_f64_e32 v[80:81], v[82:83]
	s_xor_b32 s3, exec_lo, s3
                                        ; implicit-def: $vgpr140_vgpr141_vgpr142_vgpr143
	s_cbranch_execz .LBB39_131
; %bb.130:
	v_div_scale_f64 v[80:81], null, v[138:139], v[138:139], v[136:137]
	v_div_scale_f64 v[142:143], vcc_lo, v[136:137], v[138:139], v[136:137]
	s_delay_alu instid0(VALU_DEP_2) | instskip(SKIP_2) | instid1(VALU_DEP_1)
	v_rcp_f64_e32 v[82:83], v[80:81]
	s_waitcnt_depctr 0xfff
	v_fma_f64 v[140:141], -v[80:81], v[82:83], 1.0
	v_fma_f64 v[82:83], v[82:83], v[140:141], v[82:83]
	s_delay_alu instid0(VALU_DEP_1) | instskip(NEXT) | instid1(VALU_DEP_1)
	v_fma_f64 v[140:141], -v[80:81], v[82:83], 1.0
	v_fma_f64 v[82:83], v[82:83], v[140:141], v[82:83]
	s_delay_alu instid0(VALU_DEP_1) | instskip(NEXT) | instid1(VALU_DEP_1)
	v_mul_f64 v[140:141], v[142:143], v[82:83]
	v_fma_f64 v[80:81], -v[80:81], v[140:141], v[142:143]
	s_delay_alu instid0(VALU_DEP_1) | instskip(NEXT) | instid1(VALU_DEP_1)
	v_div_fmas_f64 v[80:81], v[80:81], v[82:83], v[140:141]
	v_div_fixup_f64 v[80:81], v[80:81], v[138:139], v[136:137]
	s_delay_alu instid0(VALU_DEP_1) | instskip(NEXT) | instid1(VALU_DEP_1)
	v_fma_f64 v[82:83], v[136:137], v[80:81], v[138:139]
	v_div_scale_f64 v[136:137], null, v[82:83], v[82:83], 1.0
	s_delay_alu instid0(VALU_DEP_1) | instskip(SKIP_2) | instid1(VALU_DEP_1)
	v_rcp_f64_e32 v[138:139], v[136:137]
	s_waitcnt_depctr 0xfff
	v_fma_f64 v[140:141], -v[136:137], v[138:139], 1.0
	v_fma_f64 v[138:139], v[138:139], v[140:141], v[138:139]
	s_delay_alu instid0(VALU_DEP_1) | instskip(NEXT) | instid1(VALU_DEP_1)
	v_fma_f64 v[140:141], -v[136:137], v[138:139], 1.0
	v_fma_f64 v[138:139], v[138:139], v[140:141], v[138:139]
	v_div_scale_f64 v[140:141], vcc_lo, 1.0, v[82:83], 1.0
	s_delay_alu instid0(VALU_DEP_1) | instskip(NEXT) | instid1(VALU_DEP_1)
	v_mul_f64 v[142:143], v[140:141], v[138:139]
	v_fma_f64 v[136:137], -v[136:137], v[142:143], v[140:141]
	s_delay_alu instid0(VALU_DEP_1) | instskip(NEXT) | instid1(VALU_DEP_1)
	v_div_fmas_f64 v[136:137], v[136:137], v[138:139], v[142:143]
	v_div_fixup_f64 v[142:143], v[136:137], v[82:83], 1.0
                                        ; implicit-def: $vgpr136_vgpr137
	s_delay_alu instid0(VALU_DEP_1)
	v_mul_f64 v[144:145], v[80:81], v[142:143]
	v_xor_b32_e32 v143, 0x80000000, v143
.LBB39_131:
	s_and_not1_saveexec_b32 s3, s3
	s_cbranch_execz .LBB39_133
; %bb.132:
	v_div_scale_f64 v[80:81], null, v[136:137], v[136:137], v[138:139]
	v_div_scale_f64 v[142:143], vcc_lo, v[138:139], v[136:137], v[138:139]
	s_delay_alu instid0(VALU_DEP_2) | instskip(SKIP_2) | instid1(VALU_DEP_1)
	v_rcp_f64_e32 v[82:83], v[80:81]
	s_waitcnt_depctr 0xfff
	v_fma_f64 v[140:141], -v[80:81], v[82:83], 1.0
	v_fma_f64 v[82:83], v[82:83], v[140:141], v[82:83]
	s_delay_alu instid0(VALU_DEP_1) | instskip(NEXT) | instid1(VALU_DEP_1)
	v_fma_f64 v[140:141], -v[80:81], v[82:83], 1.0
	v_fma_f64 v[82:83], v[82:83], v[140:141], v[82:83]
	s_delay_alu instid0(VALU_DEP_1) | instskip(NEXT) | instid1(VALU_DEP_1)
	v_mul_f64 v[140:141], v[142:143], v[82:83]
	v_fma_f64 v[80:81], -v[80:81], v[140:141], v[142:143]
	s_delay_alu instid0(VALU_DEP_1) | instskip(NEXT) | instid1(VALU_DEP_1)
	v_div_fmas_f64 v[80:81], v[80:81], v[82:83], v[140:141]
	v_div_fixup_f64 v[80:81], v[80:81], v[136:137], v[138:139]
	s_delay_alu instid0(VALU_DEP_1) | instskip(NEXT) | instid1(VALU_DEP_1)
	v_fma_f64 v[82:83], v[138:139], v[80:81], v[136:137]
	v_div_scale_f64 v[136:137], null, v[82:83], v[82:83], 1.0
	s_delay_alu instid0(VALU_DEP_1) | instskip(SKIP_2) | instid1(VALU_DEP_1)
	v_rcp_f64_e32 v[138:139], v[136:137]
	s_waitcnt_depctr 0xfff
	v_fma_f64 v[140:141], -v[136:137], v[138:139], 1.0
	v_fma_f64 v[138:139], v[138:139], v[140:141], v[138:139]
	s_delay_alu instid0(VALU_DEP_1) | instskip(NEXT) | instid1(VALU_DEP_1)
	v_fma_f64 v[140:141], -v[136:137], v[138:139], 1.0
	v_fma_f64 v[138:139], v[138:139], v[140:141], v[138:139]
	v_div_scale_f64 v[140:141], vcc_lo, 1.0, v[82:83], 1.0
	s_delay_alu instid0(VALU_DEP_1) | instskip(NEXT) | instid1(VALU_DEP_1)
	v_mul_f64 v[142:143], v[140:141], v[138:139]
	v_fma_f64 v[136:137], -v[136:137], v[142:143], v[140:141]
	s_delay_alu instid0(VALU_DEP_1) | instskip(NEXT) | instid1(VALU_DEP_1)
	v_div_fmas_f64 v[136:137], v[136:137], v[138:139], v[142:143]
	v_div_fixup_f64 v[144:145], v[136:137], v[82:83], 1.0
	s_delay_alu instid0(VALU_DEP_1)
	v_mul_f64 v[142:143], v[80:81], -v[144:145]
.LBB39_133:
	s_or_b32 exec_lo, exec_lo, s3
	ds_store_2addr_b64 v62, v[144:145], v[142:143] offset1:1
.LBB39_134:
	s_or_b32 exec_lo, exec_lo, s4
	s_waitcnt lgkmcnt(0)
	s_barrier
	buffer_gl0_inv
	ds_load_2addr_b64 v[136:139], v62 offset1:1
	s_mov_b32 s3, exec_lo
	v_cmpx_lt_u32_e32 14, v255
	s_cbranch_execz .LBB39_136
; %bb.135:
	s_waitcnt lgkmcnt(0)
	v_mul_f64 v[80:81], v[136:137], v[22:23]
	v_mul_f64 v[22:23], v[138:139], v[22:23]
	ds_load_2addr_b64 v[140:143], v206 offset0:30 offset1:31
	ds_load_2addr_b64 v[144:147], v206 offset0:32 offset1:33
	;; [unrolled: 1-line block ×5, first 2 shown]
	v_fma_f64 v[80:81], v[138:139], v[20:21], v[80:81]
	v_fma_f64 v[20:21], v[136:137], v[20:21], -v[22:23]
	s_waitcnt lgkmcnt(4)
	s_delay_alu instid0(VALU_DEP_2)
	v_mul_f64 v[22:23], v[142:143], v[80:81]
	v_mul_f64 v[82:83], v[140:141], v[80:81]
	s_waitcnt lgkmcnt(3)
	v_mul_f64 v[162:163], v[146:147], v[80:81]
	v_mul_f64 v[164:165], v[144:145], v[80:81]
	s_waitcnt lgkmcnt(2)
	;; [unrolled: 3-line block ×4, first 2 shown]
	v_mul_f64 v[174:175], v[158:159], v[80:81]
	v_mul_f64 v[176:177], v[156:157], v[80:81]
	v_fma_f64 v[22:23], v[140:141], v[20:21], -v[22:23]
	v_fma_f64 v[82:83], v[142:143], v[20:21], v[82:83]
	v_fma_f64 v[140:141], v[144:145], v[20:21], -v[162:163]
	v_fma_f64 v[142:143], v[146:147], v[20:21], v[164:165]
	v_fma_f64 v[144:145], v[148:149], v[20:21], -v[166:167]
	v_fma_f64 v[146:147], v[150:151], v[20:21], v[168:169]
	v_fma_f64 v[148:149], v[152:153], v[20:21], -v[170:171]
	v_fma_f64 v[150:151], v[154:155], v[20:21], v[172:173]
	v_fma_f64 v[152:153], v[156:157], v[20:21], -v[174:175]
	v_fma_f64 v[154:155], v[158:159], v[20:21], v[176:177]
	v_add_f64 v[16:17], v[16:17], -v[22:23]
	v_add_f64 v[18:19], v[18:19], -v[82:83]
	;; [unrolled: 1-line block ×10, first 2 shown]
	v_dual_mov_b32 v22, v80 :: v_dual_mov_b32 v23, v81
.LBB39_136:
	s_or_b32 exec_lo, exec_lo, s3
	s_delay_alu instid0(SALU_CYCLE_1)
	s_mov_b32 s4, exec_lo
	s_waitcnt lgkmcnt(0)
	s_barrier
	buffer_gl0_inv
	v_cmpx_eq_u32_e32 15, v255
	s_cbranch_execz .LBB39_143
; %bb.137:
	ds_store_2addr_b64 v62, v[16:17], v[18:19] offset1:1
	ds_store_2addr_b64 v206, v[12:13], v[14:15] offset0:32 offset1:33
	ds_store_2addr_b64 v206, v[8:9], v[10:11] offset0:34 offset1:35
	;; [unrolled: 1-line block ×4, first 2 shown]
	ds_load_2addr_b64 v[140:143], v62 offset1:1
	s_waitcnt lgkmcnt(0)
	v_cmp_neq_f64_e32 vcc_lo, 0, v[140:141]
	v_cmp_neq_f64_e64 s3, 0, v[142:143]
	s_delay_alu instid0(VALU_DEP_1) | instskip(NEXT) | instid1(SALU_CYCLE_1)
	s_or_b32 s3, vcc_lo, s3
	s_and_b32 exec_lo, exec_lo, s3
	s_cbranch_execz .LBB39_143
; %bb.138:
	v_cmp_gt_f64_e32 vcc_lo, 0, v[140:141]
	v_cmp_gt_f64_e64 s3, 0, v[142:143]
	v_xor_b32_e32 v80, 0x80000000, v141
	v_xor_b32_e32 v82, 0x80000000, v143
                                        ; implicit-def: $vgpr148_vgpr149
	s_delay_alu instid0(VALU_DEP_2) | instskip(NEXT) | instid1(VALU_DEP_2)
	v_cndmask_b32_e32 v81, v141, v80, vcc_lo
	v_cndmask_b32_e64 v83, v143, v82, s3
	v_cndmask_b32_e32 v80, v140, v140, vcc_lo
	v_cndmask_b32_e64 v82, v142, v142, s3
	s_mov_b32 s3, exec_lo
	s_delay_alu instid0(VALU_DEP_1)
	v_cmpx_ngt_f64_e32 v[80:81], v[82:83]
	s_xor_b32 s3, exec_lo, s3
                                        ; implicit-def: $vgpr144_vgpr145_vgpr146_vgpr147
	s_cbranch_execz .LBB39_140
; %bb.139:
	v_div_scale_f64 v[80:81], null, v[142:143], v[142:143], v[140:141]
	v_div_scale_f64 v[146:147], vcc_lo, v[140:141], v[142:143], v[140:141]
	s_delay_alu instid0(VALU_DEP_2) | instskip(SKIP_2) | instid1(VALU_DEP_1)
	v_rcp_f64_e32 v[82:83], v[80:81]
	s_waitcnt_depctr 0xfff
	v_fma_f64 v[144:145], -v[80:81], v[82:83], 1.0
	v_fma_f64 v[82:83], v[82:83], v[144:145], v[82:83]
	s_delay_alu instid0(VALU_DEP_1) | instskip(NEXT) | instid1(VALU_DEP_1)
	v_fma_f64 v[144:145], -v[80:81], v[82:83], 1.0
	v_fma_f64 v[82:83], v[82:83], v[144:145], v[82:83]
	s_delay_alu instid0(VALU_DEP_1) | instskip(NEXT) | instid1(VALU_DEP_1)
	v_mul_f64 v[144:145], v[146:147], v[82:83]
	v_fma_f64 v[80:81], -v[80:81], v[144:145], v[146:147]
	s_delay_alu instid0(VALU_DEP_1) | instskip(NEXT) | instid1(VALU_DEP_1)
	v_div_fmas_f64 v[80:81], v[80:81], v[82:83], v[144:145]
	v_div_fixup_f64 v[80:81], v[80:81], v[142:143], v[140:141]
	s_delay_alu instid0(VALU_DEP_1) | instskip(NEXT) | instid1(VALU_DEP_1)
	v_fma_f64 v[82:83], v[140:141], v[80:81], v[142:143]
	v_div_scale_f64 v[140:141], null, v[82:83], v[82:83], 1.0
	s_delay_alu instid0(VALU_DEP_1) | instskip(SKIP_2) | instid1(VALU_DEP_1)
	v_rcp_f64_e32 v[142:143], v[140:141]
	s_waitcnt_depctr 0xfff
	v_fma_f64 v[144:145], -v[140:141], v[142:143], 1.0
	v_fma_f64 v[142:143], v[142:143], v[144:145], v[142:143]
	s_delay_alu instid0(VALU_DEP_1) | instskip(NEXT) | instid1(VALU_DEP_1)
	v_fma_f64 v[144:145], -v[140:141], v[142:143], 1.0
	v_fma_f64 v[142:143], v[142:143], v[144:145], v[142:143]
	v_div_scale_f64 v[144:145], vcc_lo, 1.0, v[82:83], 1.0
	s_delay_alu instid0(VALU_DEP_1) | instskip(NEXT) | instid1(VALU_DEP_1)
	v_mul_f64 v[146:147], v[144:145], v[142:143]
	v_fma_f64 v[140:141], -v[140:141], v[146:147], v[144:145]
	s_delay_alu instid0(VALU_DEP_1) | instskip(NEXT) | instid1(VALU_DEP_1)
	v_div_fmas_f64 v[140:141], v[140:141], v[142:143], v[146:147]
	v_div_fixup_f64 v[146:147], v[140:141], v[82:83], 1.0
                                        ; implicit-def: $vgpr140_vgpr141
	s_delay_alu instid0(VALU_DEP_1)
	v_mul_f64 v[148:149], v[80:81], v[146:147]
	v_xor_b32_e32 v147, 0x80000000, v147
.LBB39_140:
	s_and_not1_saveexec_b32 s3, s3
	s_cbranch_execz .LBB39_142
; %bb.141:
	v_div_scale_f64 v[80:81], null, v[140:141], v[140:141], v[142:143]
	v_div_scale_f64 v[146:147], vcc_lo, v[142:143], v[140:141], v[142:143]
	s_delay_alu instid0(VALU_DEP_2) | instskip(SKIP_2) | instid1(VALU_DEP_1)
	v_rcp_f64_e32 v[82:83], v[80:81]
	s_waitcnt_depctr 0xfff
	v_fma_f64 v[144:145], -v[80:81], v[82:83], 1.0
	v_fma_f64 v[82:83], v[82:83], v[144:145], v[82:83]
	s_delay_alu instid0(VALU_DEP_1) | instskip(NEXT) | instid1(VALU_DEP_1)
	v_fma_f64 v[144:145], -v[80:81], v[82:83], 1.0
	v_fma_f64 v[82:83], v[82:83], v[144:145], v[82:83]
	s_delay_alu instid0(VALU_DEP_1) | instskip(NEXT) | instid1(VALU_DEP_1)
	v_mul_f64 v[144:145], v[146:147], v[82:83]
	v_fma_f64 v[80:81], -v[80:81], v[144:145], v[146:147]
	s_delay_alu instid0(VALU_DEP_1) | instskip(NEXT) | instid1(VALU_DEP_1)
	v_div_fmas_f64 v[80:81], v[80:81], v[82:83], v[144:145]
	v_div_fixup_f64 v[80:81], v[80:81], v[140:141], v[142:143]
	s_delay_alu instid0(VALU_DEP_1) | instskip(NEXT) | instid1(VALU_DEP_1)
	v_fma_f64 v[82:83], v[142:143], v[80:81], v[140:141]
	v_div_scale_f64 v[140:141], null, v[82:83], v[82:83], 1.0
	s_delay_alu instid0(VALU_DEP_1) | instskip(SKIP_2) | instid1(VALU_DEP_1)
	v_rcp_f64_e32 v[142:143], v[140:141]
	s_waitcnt_depctr 0xfff
	v_fma_f64 v[144:145], -v[140:141], v[142:143], 1.0
	v_fma_f64 v[142:143], v[142:143], v[144:145], v[142:143]
	s_delay_alu instid0(VALU_DEP_1) | instskip(NEXT) | instid1(VALU_DEP_1)
	v_fma_f64 v[144:145], -v[140:141], v[142:143], 1.0
	v_fma_f64 v[142:143], v[142:143], v[144:145], v[142:143]
	v_div_scale_f64 v[144:145], vcc_lo, 1.0, v[82:83], 1.0
	s_delay_alu instid0(VALU_DEP_1) | instskip(NEXT) | instid1(VALU_DEP_1)
	v_mul_f64 v[146:147], v[144:145], v[142:143]
	v_fma_f64 v[140:141], -v[140:141], v[146:147], v[144:145]
	s_delay_alu instid0(VALU_DEP_1) | instskip(NEXT) | instid1(VALU_DEP_1)
	v_div_fmas_f64 v[140:141], v[140:141], v[142:143], v[146:147]
	v_div_fixup_f64 v[148:149], v[140:141], v[82:83], 1.0
	s_delay_alu instid0(VALU_DEP_1)
	v_mul_f64 v[146:147], v[80:81], -v[148:149]
.LBB39_142:
	s_or_b32 exec_lo, exec_lo, s3
	ds_store_2addr_b64 v62, v[148:149], v[146:147] offset1:1
.LBB39_143:
	s_or_b32 exec_lo, exec_lo, s4
	s_waitcnt lgkmcnt(0)
	s_barrier
	buffer_gl0_inv
	ds_load_2addr_b64 v[140:143], v62 offset1:1
	s_mov_b32 s3, exec_lo
	v_cmpx_lt_u32_e32 15, v255
	s_cbranch_execz .LBB39_145
; %bb.144:
	s_waitcnt lgkmcnt(0)
	v_mul_f64 v[80:81], v[140:141], v[18:19]
	v_mul_f64 v[18:19], v[142:143], v[18:19]
	ds_load_2addr_b64 v[144:147], v206 offset0:32 offset1:33
	ds_load_2addr_b64 v[148:151], v206 offset0:34 offset1:35
	;; [unrolled: 1-line block ×4, first 2 shown]
	v_fma_f64 v[80:81], v[142:143], v[16:17], v[80:81]
	v_fma_f64 v[16:17], v[140:141], v[16:17], -v[18:19]
	s_waitcnt lgkmcnt(3)
	s_delay_alu instid0(VALU_DEP_2)
	v_mul_f64 v[18:19], v[146:147], v[80:81]
	v_mul_f64 v[82:83], v[144:145], v[80:81]
	s_waitcnt lgkmcnt(2)
	v_mul_f64 v[162:163], v[150:151], v[80:81]
	v_mul_f64 v[164:165], v[148:149], v[80:81]
	s_waitcnt lgkmcnt(1)
	v_mul_f64 v[166:167], v[154:155], v[80:81]
	v_mul_f64 v[168:169], v[152:153], v[80:81]
	s_waitcnt lgkmcnt(0)
	v_mul_f64 v[170:171], v[158:159], v[80:81]
	v_mul_f64 v[172:173], v[156:157], v[80:81]
	v_fma_f64 v[18:19], v[144:145], v[16:17], -v[18:19]
	v_fma_f64 v[82:83], v[146:147], v[16:17], v[82:83]
	v_fma_f64 v[144:145], v[148:149], v[16:17], -v[162:163]
	v_fma_f64 v[146:147], v[150:151], v[16:17], v[164:165]
	;; [unrolled: 2-line block ×4, first 2 shown]
	v_add_f64 v[12:13], v[12:13], -v[18:19]
	v_add_f64 v[14:15], v[14:15], -v[82:83]
	;; [unrolled: 1-line block ×8, first 2 shown]
	v_dual_mov_b32 v18, v80 :: v_dual_mov_b32 v19, v81
.LBB39_145:
	s_or_b32 exec_lo, exec_lo, s3
	s_delay_alu instid0(SALU_CYCLE_1)
	s_mov_b32 s4, exec_lo
	s_waitcnt lgkmcnt(0)
	s_barrier
	buffer_gl0_inv
	v_cmpx_eq_u32_e32 16, v255
	s_cbranch_execz .LBB39_152
; %bb.146:
	ds_store_2addr_b64 v62, v[12:13], v[14:15] offset1:1
	ds_store_2addr_b64 v206, v[8:9], v[10:11] offset0:34 offset1:35
	ds_store_2addr_b64 v206, v[4:5], v[6:7] offset0:36 offset1:37
	;; [unrolled: 1-line block ×3, first 2 shown]
	ds_load_2addr_b64 v[144:147], v62 offset1:1
	s_waitcnt lgkmcnt(0)
	v_cmp_neq_f64_e32 vcc_lo, 0, v[144:145]
	v_cmp_neq_f64_e64 s3, 0, v[146:147]
	s_delay_alu instid0(VALU_DEP_1) | instskip(NEXT) | instid1(SALU_CYCLE_1)
	s_or_b32 s3, vcc_lo, s3
	s_and_b32 exec_lo, exec_lo, s3
	s_cbranch_execz .LBB39_152
; %bb.147:
	v_cmp_gt_f64_e32 vcc_lo, 0, v[144:145]
	v_cmp_gt_f64_e64 s3, 0, v[146:147]
	v_xor_b32_e32 v80, 0x80000000, v145
	v_xor_b32_e32 v82, 0x80000000, v147
                                        ; implicit-def: $vgpr152_vgpr153
	s_delay_alu instid0(VALU_DEP_2) | instskip(NEXT) | instid1(VALU_DEP_2)
	v_cndmask_b32_e32 v81, v145, v80, vcc_lo
	v_cndmask_b32_e64 v83, v147, v82, s3
	v_cndmask_b32_e32 v80, v144, v144, vcc_lo
	v_cndmask_b32_e64 v82, v146, v146, s3
	s_mov_b32 s3, exec_lo
	s_delay_alu instid0(VALU_DEP_1)
	v_cmpx_ngt_f64_e32 v[80:81], v[82:83]
	s_xor_b32 s3, exec_lo, s3
                                        ; implicit-def: $vgpr148_vgpr149_vgpr150_vgpr151
	s_cbranch_execz .LBB39_149
; %bb.148:
	v_div_scale_f64 v[80:81], null, v[146:147], v[146:147], v[144:145]
	v_div_scale_f64 v[150:151], vcc_lo, v[144:145], v[146:147], v[144:145]
	s_delay_alu instid0(VALU_DEP_2) | instskip(SKIP_2) | instid1(VALU_DEP_1)
	v_rcp_f64_e32 v[82:83], v[80:81]
	s_waitcnt_depctr 0xfff
	v_fma_f64 v[148:149], -v[80:81], v[82:83], 1.0
	v_fma_f64 v[82:83], v[82:83], v[148:149], v[82:83]
	s_delay_alu instid0(VALU_DEP_1) | instskip(NEXT) | instid1(VALU_DEP_1)
	v_fma_f64 v[148:149], -v[80:81], v[82:83], 1.0
	v_fma_f64 v[82:83], v[82:83], v[148:149], v[82:83]
	s_delay_alu instid0(VALU_DEP_1) | instskip(NEXT) | instid1(VALU_DEP_1)
	v_mul_f64 v[148:149], v[150:151], v[82:83]
	v_fma_f64 v[80:81], -v[80:81], v[148:149], v[150:151]
	s_delay_alu instid0(VALU_DEP_1) | instskip(NEXT) | instid1(VALU_DEP_1)
	v_div_fmas_f64 v[80:81], v[80:81], v[82:83], v[148:149]
	v_div_fixup_f64 v[80:81], v[80:81], v[146:147], v[144:145]
	s_delay_alu instid0(VALU_DEP_1) | instskip(NEXT) | instid1(VALU_DEP_1)
	v_fma_f64 v[82:83], v[144:145], v[80:81], v[146:147]
	v_div_scale_f64 v[144:145], null, v[82:83], v[82:83], 1.0
	s_delay_alu instid0(VALU_DEP_1) | instskip(SKIP_2) | instid1(VALU_DEP_1)
	v_rcp_f64_e32 v[146:147], v[144:145]
	s_waitcnt_depctr 0xfff
	v_fma_f64 v[148:149], -v[144:145], v[146:147], 1.0
	v_fma_f64 v[146:147], v[146:147], v[148:149], v[146:147]
	s_delay_alu instid0(VALU_DEP_1) | instskip(NEXT) | instid1(VALU_DEP_1)
	v_fma_f64 v[148:149], -v[144:145], v[146:147], 1.0
	v_fma_f64 v[146:147], v[146:147], v[148:149], v[146:147]
	v_div_scale_f64 v[148:149], vcc_lo, 1.0, v[82:83], 1.0
	s_delay_alu instid0(VALU_DEP_1) | instskip(NEXT) | instid1(VALU_DEP_1)
	v_mul_f64 v[150:151], v[148:149], v[146:147]
	v_fma_f64 v[144:145], -v[144:145], v[150:151], v[148:149]
	s_delay_alu instid0(VALU_DEP_1) | instskip(NEXT) | instid1(VALU_DEP_1)
	v_div_fmas_f64 v[144:145], v[144:145], v[146:147], v[150:151]
	v_div_fixup_f64 v[150:151], v[144:145], v[82:83], 1.0
                                        ; implicit-def: $vgpr144_vgpr145
	s_delay_alu instid0(VALU_DEP_1)
	v_mul_f64 v[152:153], v[80:81], v[150:151]
	v_xor_b32_e32 v151, 0x80000000, v151
.LBB39_149:
	s_and_not1_saveexec_b32 s3, s3
	s_cbranch_execz .LBB39_151
; %bb.150:
	v_div_scale_f64 v[80:81], null, v[144:145], v[144:145], v[146:147]
	v_div_scale_f64 v[150:151], vcc_lo, v[146:147], v[144:145], v[146:147]
	s_delay_alu instid0(VALU_DEP_2) | instskip(SKIP_2) | instid1(VALU_DEP_1)
	v_rcp_f64_e32 v[82:83], v[80:81]
	s_waitcnt_depctr 0xfff
	v_fma_f64 v[148:149], -v[80:81], v[82:83], 1.0
	v_fma_f64 v[82:83], v[82:83], v[148:149], v[82:83]
	s_delay_alu instid0(VALU_DEP_1) | instskip(NEXT) | instid1(VALU_DEP_1)
	v_fma_f64 v[148:149], -v[80:81], v[82:83], 1.0
	v_fma_f64 v[82:83], v[82:83], v[148:149], v[82:83]
	s_delay_alu instid0(VALU_DEP_1) | instskip(NEXT) | instid1(VALU_DEP_1)
	v_mul_f64 v[148:149], v[150:151], v[82:83]
	v_fma_f64 v[80:81], -v[80:81], v[148:149], v[150:151]
	s_delay_alu instid0(VALU_DEP_1) | instskip(NEXT) | instid1(VALU_DEP_1)
	v_div_fmas_f64 v[80:81], v[80:81], v[82:83], v[148:149]
	v_div_fixup_f64 v[80:81], v[80:81], v[144:145], v[146:147]
	s_delay_alu instid0(VALU_DEP_1) | instskip(NEXT) | instid1(VALU_DEP_1)
	v_fma_f64 v[82:83], v[146:147], v[80:81], v[144:145]
	v_div_scale_f64 v[144:145], null, v[82:83], v[82:83], 1.0
	s_delay_alu instid0(VALU_DEP_1) | instskip(SKIP_2) | instid1(VALU_DEP_1)
	v_rcp_f64_e32 v[146:147], v[144:145]
	s_waitcnt_depctr 0xfff
	v_fma_f64 v[148:149], -v[144:145], v[146:147], 1.0
	v_fma_f64 v[146:147], v[146:147], v[148:149], v[146:147]
	s_delay_alu instid0(VALU_DEP_1) | instskip(NEXT) | instid1(VALU_DEP_1)
	v_fma_f64 v[148:149], -v[144:145], v[146:147], 1.0
	v_fma_f64 v[146:147], v[146:147], v[148:149], v[146:147]
	v_div_scale_f64 v[148:149], vcc_lo, 1.0, v[82:83], 1.0
	s_delay_alu instid0(VALU_DEP_1) | instskip(NEXT) | instid1(VALU_DEP_1)
	v_mul_f64 v[150:151], v[148:149], v[146:147]
	v_fma_f64 v[144:145], -v[144:145], v[150:151], v[148:149]
	s_delay_alu instid0(VALU_DEP_1) | instskip(NEXT) | instid1(VALU_DEP_1)
	v_div_fmas_f64 v[144:145], v[144:145], v[146:147], v[150:151]
	v_div_fixup_f64 v[152:153], v[144:145], v[82:83], 1.0
	s_delay_alu instid0(VALU_DEP_1)
	v_mul_f64 v[150:151], v[80:81], -v[152:153]
.LBB39_151:
	s_or_b32 exec_lo, exec_lo, s3
	ds_store_2addr_b64 v62, v[152:153], v[150:151] offset1:1
.LBB39_152:
	s_or_b32 exec_lo, exec_lo, s4
	s_waitcnt lgkmcnt(0)
	s_barrier
	buffer_gl0_inv
	ds_load_2addr_b64 v[144:147], v62 offset1:1
	s_mov_b32 s3, exec_lo
	v_cmpx_lt_u32_e32 16, v255
	s_cbranch_execz .LBB39_154
; %bb.153:
	s_waitcnt lgkmcnt(0)
	v_mul_f64 v[80:81], v[144:145], v[14:15]
	v_mul_f64 v[14:15], v[146:147], v[14:15]
	ds_load_2addr_b64 v[148:151], v206 offset0:34 offset1:35
	ds_load_2addr_b64 v[152:155], v206 offset0:36 offset1:37
	;; [unrolled: 1-line block ×3, first 2 shown]
	v_fma_f64 v[80:81], v[146:147], v[12:13], v[80:81]
	v_fma_f64 v[12:13], v[144:145], v[12:13], -v[14:15]
	s_waitcnt lgkmcnt(2)
	s_delay_alu instid0(VALU_DEP_2)
	v_mul_f64 v[14:15], v[150:151], v[80:81]
	v_mul_f64 v[82:83], v[148:149], v[80:81]
	s_waitcnt lgkmcnt(1)
	v_mul_f64 v[162:163], v[154:155], v[80:81]
	v_mul_f64 v[164:165], v[152:153], v[80:81]
	s_waitcnt lgkmcnt(0)
	v_mul_f64 v[166:167], v[158:159], v[80:81]
	v_mul_f64 v[168:169], v[156:157], v[80:81]
	v_fma_f64 v[14:15], v[148:149], v[12:13], -v[14:15]
	v_fma_f64 v[82:83], v[150:151], v[12:13], v[82:83]
	v_fma_f64 v[148:149], v[152:153], v[12:13], -v[162:163]
	v_fma_f64 v[150:151], v[154:155], v[12:13], v[164:165]
	v_fma_f64 v[152:153], v[156:157], v[12:13], -v[166:167]
	v_fma_f64 v[154:155], v[158:159], v[12:13], v[168:169]
	v_add_f64 v[8:9], v[8:9], -v[14:15]
	v_add_f64 v[10:11], v[10:11], -v[82:83]
	;; [unrolled: 1-line block ×6, first 2 shown]
	v_dual_mov_b32 v14, v80 :: v_dual_mov_b32 v15, v81
.LBB39_154:
	s_or_b32 exec_lo, exec_lo, s3
	s_delay_alu instid0(SALU_CYCLE_1)
	s_mov_b32 s4, exec_lo
	s_waitcnt lgkmcnt(0)
	s_barrier
	buffer_gl0_inv
	v_cmpx_eq_u32_e32 17, v255
	s_cbranch_execz .LBB39_161
; %bb.155:
	ds_store_2addr_b64 v62, v[8:9], v[10:11] offset1:1
	ds_store_2addr_b64 v206, v[4:5], v[6:7] offset0:36 offset1:37
	ds_store_2addr_b64 v206, v[0:1], v[2:3] offset0:38 offset1:39
	ds_load_2addr_b64 v[148:151], v62 offset1:1
	s_waitcnt lgkmcnt(0)
	v_cmp_neq_f64_e32 vcc_lo, 0, v[148:149]
	v_cmp_neq_f64_e64 s3, 0, v[150:151]
	s_delay_alu instid0(VALU_DEP_1) | instskip(NEXT) | instid1(SALU_CYCLE_1)
	s_or_b32 s3, vcc_lo, s3
	s_and_b32 exec_lo, exec_lo, s3
	s_cbranch_execz .LBB39_161
; %bb.156:
	v_cmp_gt_f64_e32 vcc_lo, 0, v[148:149]
	v_cmp_gt_f64_e64 s3, 0, v[150:151]
	v_xor_b32_e32 v80, 0x80000000, v149
	v_xor_b32_e32 v82, 0x80000000, v151
                                        ; implicit-def: $vgpr156_vgpr157
	s_delay_alu instid0(VALU_DEP_2) | instskip(NEXT) | instid1(VALU_DEP_2)
	v_cndmask_b32_e32 v81, v149, v80, vcc_lo
	v_cndmask_b32_e64 v83, v151, v82, s3
	v_cndmask_b32_e32 v80, v148, v148, vcc_lo
	v_cndmask_b32_e64 v82, v150, v150, s3
	s_mov_b32 s3, exec_lo
	s_delay_alu instid0(VALU_DEP_1)
	v_cmpx_ngt_f64_e32 v[80:81], v[82:83]
	s_xor_b32 s3, exec_lo, s3
                                        ; implicit-def: $vgpr152_vgpr153_vgpr154_vgpr155
	s_cbranch_execz .LBB39_158
; %bb.157:
	v_div_scale_f64 v[80:81], null, v[150:151], v[150:151], v[148:149]
	v_div_scale_f64 v[154:155], vcc_lo, v[148:149], v[150:151], v[148:149]
	s_delay_alu instid0(VALU_DEP_2) | instskip(SKIP_2) | instid1(VALU_DEP_1)
	v_rcp_f64_e32 v[82:83], v[80:81]
	s_waitcnt_depctr 0xfff
	v_fma_f64 v[152:153], -v[80:81], v[82:83], 1.0
	v_fma_f64 v[82:83], v[82:83], v[152:153], v[82:83]
	s_delay_alu instid0(VALU_DEP_1) | instskip(NEXT) | instid1(VALU_DEP_1)
	v_fma_f64 v[152:153], -v[80:81], v[82:83], 1.0
	v_fma_f64 v[82:83], v[82:83], v[152:153], v[82:83]
	s_delay_alu instid0(VALU_DEP_1) | instskip(NEXT) | instid1(VALU_DEP_1)
	v_mul_f64 v[152:153], v[154:155], v[82:83]
	v_fma_f64 v[80:81], -v[80:81], v[152:153], v[154:155]
	s_delay_alu instid0(VALU_DEP_1) | instskip(NEXT) | instid1(VALU_DEP_1)
	v_div_fmas_f64 v[80:81], v[80:81], v[82:83], v[152:153]
	v_div_fixup_f64 v[80:81], v[80:81], v[150:151], v[148:149]
	s_delay_alu instid0(VALU_DEP_1) | instskip(NEXT) | instid1(VALU_DEP_1)
	v_fma_f64 v[82:83], v[148:149], v[80:81], v[150:151]
	v_div_scale_f64 v[148:149], null, v[82:83], v[82:83], 1.0
	s_delay_alu instid0(VALU_DEP_1) | instskip(SKIP_2) | instid1(VALU_DEP_1)
	v_rcp_f64_e32 v[150:151], v[148:149]
	s_waitcnt_depctr 0xfff
	v_fma_f64 v[152:153], -v[148:149], v[150:151], 1.0
	v_fma_f64 v[150:151], v[150:151], v[152:153], v[150:151]
	s_delay_alu instid0(VALU_DEP_1) | instskip(NEXT) | instid1(VALU_DEP_1)
	v_fma_f64 v[152:153], -v[148:149], v[150:151], 1.0
	v_fma_f64 v[150:151], v[150:151], v[152:153], v[150:151]
	v_div_scale_f64 v[152:153], vcc_lo, 1.0, v[82:83], 1.0
	s_delay_alu instid0(VALU_DEP_1) | instskip(NEXT) | instid1(VALU_DEP_1)
	v_mul_f64 v[154:155], v[152:153], v[150:151]
	v_fma_f64 v[148:149], -v[148:149], v[154:155], v[152:153]
	s_delay_alu instid0(VALU_DEP_1) | instskip(NEXT) | instid1(VALU_DEP_1)
	v_div_fmas_f64 v[148:149], v[148:149], v[150:151], v[154:155]
	v_div_fixup_f64 v[154:155], v[148:149], v[82:83], 1.0
                                        ; implicit-def: $vgpr148_vgpr149
	s_delay_alu instid0(VALU_DEP_1)
	v_mul_f64 v[156:157], v[80:81], v[154:155]
	v_xor_b32_e32 v155, 0x80000000, v155
.LBB39_158:
	s_and_not1_saveexec_b32 s3, s3
	s_cbranch_execz .LBB39_160
; %bb.159:
	v_div_scale_f64 v[80:81], null, v[148:149], v[148:149], v[150:151]
	v_div_scale_f64 v[154:155], vcc_lo, v[150:151], v[148:149], v[150:151]
	s_delay_alu instid0(VALU_DEP_2) | instskip(SKIP_2) | instid1(VALU_DEP_1)
	v_rcp_f64_e32 v[82:83], v[80:81]
	s_waitcnt_depctr 0xfff
	v_fma_f64 v[152:153], -v[80:81], v[82:83], 1.0
	v_fma_f64 v[82:83], v[82:83], v[152:153], v[82:83]
	s_delay_alu instid0(VALU_DEP_1) | instskip(NEXT) | instid1(VALU_DEP_1)
	v_fma_f64 v[152:153], -v[80:81], v[82:83], 1.0
	v_fma_f64 v[82:83], v[82:83], v[152:153], v[82:83]
	s_delay_alu instid0(VALU_DEP_1) | instskip(NEXT) | instid1(VALU_DEP_1)
	v_mul_f64 v[152:153], v[154:155], v[82:83]
	v_fma_f64 v[80:81], -v[80:81], v[152:153], v[154:155]
	s_delay_alu instid0(VALU_DEP_1) | instskip(NEXT) | instid1(VALU_DEP_1)
	v_div_fmas_f64 v[80:81], v[80:81], v[82:83], v[152:153]
	v_div_fixup_f64 v[80:81], v[80:81], v[148:149], v[150:151]
	s_delay_alu instid0(VALU_DEP_1) | instskip(NEXT) | instid1(VALU_DEP_1)
	v_fma_f64 v[82:83], v[150:151], v[80:81], v[148:149]
	v_div_scale_f64 v[148:149], null, v[82:83], v[82:83], 1.0
	s_delay_alu instid0(VALU_DEP_1) | instskip(SKIP_2) | instid1(VALU_DEP_1)
	v_rcp_f64_e32 v[150:151], v[148:149]
	s_waitcnt_depctr 0xfff
	v_fma_f64 v[152:153], -v[148:149], v[150:151], 1.0
	v_fma_f64 v[150:151], v[150:151], v[152:153], v[150:151]
	s_delay_alu instid0(VALU_DEP_1) | instskip(NEXT) | instid1(VALU_DEP_1)
	v_fma_f64 v[152:153], -v[148:149], v[150:151], 1.0
	v_fma_f64 v[150:151], v[150:151], v[152:153], v[150:151]
	v_div_scale_f64 v[152:153], vcc_lo, 1.0, v[82:83], 1.0
	s_delay_alu instid0(VALU_DEP_1) | instskip(NEXT) | instid1(VALU_DEP_1)
	v_mul_f64 v[154:155], v[152:153], v[150:151]
	v_fma_f64 v[148:149], -v[148:149], v[154:155], v[152:153]
	s_delay_alu instid0(VALU_DEP_1) | instskip(NEXT) | instid1(VALU_DEP_1)
	v_div_fmas_f64 v[148:149], v[148:149], v[150:151], v[154:155]
	v_div_fixup_f64 v[156:157], v[148:149], v[82:83], 1.0
	s_delay_alu instid0(VALU_DEP_1)
	v_mul_f64 v[154:155], v[80:81], -v[156:157]
.LBB39_160:
	s_or_b32 exec_lo, exec_lo, s3
	ds_store_2addr_b64 v62, v[156:157], v[154:155] offset1:1
.LBB39_161:
	s_or_b32 exec_lo, exec_lo, s4
	s_waitcnt lgkmcnt(0)
	s_barrier
	buffer_gl0_inv
	ds_load_2addr_b64 v[148:151], v62 offset1:1
	s_mov_b32 s3, exec_lo
	v_cmpx_lt_u32_e32 17, v255
	s_cbranch_execz .LBB39_163
; %bb.162:
	s_waitcnt lgkmcnt(0)
	v_mul_f64 v[80:81], v[148:149], v[10:11]
	v_mul_f64 v[10:11], v[150:151], v[10:11]
	ds_load_2addr_b64 v[152:155], v206 offset0:36 offset1:37
	ds_load_2addr_b64 v[156:159], v206 offset0:38 offset1:39
	v_fma_f64 v[80:81], v[150:151], v[8:9], v[80:81]
	v_fma_f64 v[8:9], v[148:149], v[8:9], -v[10:11]
	s_waitcnt lgkmcnt(1)
	s_delay_alu instid0(VALU_DEP_2) | instskip(SKIP_4) | instid1(VALU_DEP_4)
	v_mul_f64 v[10:11], v[154:155], v[80:81]
	v_mul_f64 v[82:83], v[152:153], v[80:81]
	s_waitcnt lgkmcnt(0)
	v_mul_f64 v[162:163], v[158:159], v[80:81]
	v_mul_f64 v[164:165], v[156:157], v[80:81]
	v_fma_f64 v[10:11], v[152:153], v[8:9], -v[10:11]
	s_delay_alu instid0(VALU_DEP_4) | instskip(NEXT) | instid1(VALU_DEP_4)
	v_fma_f64 v[82:83], v[154:155], v[8:9], v[82:83]
	v_fma_f64 v[152:153], v[156:157], v[8:9], -v[162:163]
	s_delay_alu instid0(VALU_DEP_4) | instskip(NEXT) | instid1(VALU_DEP_4)
	v_fma_f64 v[154:155], v[158:159], v[8:9], v[164:165]
	v_add_f64 v[4:5], v[4:5], -v[10:11]
	s_delay_alu instid0(VALU_DEP_4) | instskip(NEXT) | instid1(VALU_DEP_4)
	v_add_f64 v[6:7], v[6:7], -v[82:83]
	v_add_f64 v[0:1], v[0:1], -v[152:153]
	s_delay_alu instid0(VALU_DEP_4)
	v_add_f64 v[2:3], v[2:3], -v[154:155]
	v_dual_mov_b32 v10, v80 :: v_dual_mov_b32 v11, v81
.LBB39_163:
	s_or_b32 exec_lo, exec_lo, s3
	s_delay_alu instid0(SALU_CYCLE_1)
	s_mov_b32 s4, exec_lo
	s_waitcnt lgkmcnt(0)
	s_barrier
	buffer_gl0_inv
	v_cmpx_eq_u32_e32 18, v255
	s_cbranch_execz .LBB39_170
; %bb.164:
	ds_store_2addr_b64 v62, v[4:5], v[6:7] offset1:1
	ds_store_2addr_b64 v206, v[0:1], v[2:3] offset0:38 offset1:39
	ds_load_2addr_b64 v[152:155], v62 offset1:1
	s_waitcnt lgkmcnt(0)
	v_cmp_neq_f64_e32 vcc_lo, 0, v[152:153]
	v_cmp_neq_f64_e64 s3, 0, v[154:155]
	s_delay_alu instid0(VALU_DEP_1) | instskip(NEXT) | instid1(SALU_CYCLE_1)
	s_or_b32 s3, vcc_lo, s3
	s_and_b32 exec_lo, exec_lo, s3
	s_cbranch_execz .LBB39_170
; %bb.165:
	v_cmp_gt_f64_e32 vcc_lo, 0, v[152:153]
	v_cmp_gt_f64_e64 s3, 0, v[154:155]
	v_xor_b32_e32 v80, 0x80000000, v153
	v_xor_b32_e32 v82, 0x80000000, v155
                                        ; implicit-def: $vgpr202_vgpr203
	s_delay_alu instid0(VALU_DEP_2) | instskip(NEXT) | instid1(VALU_DEP_2)
	v_cndmask_b32_e32 v81, v153, v80, vcc_lo
	v_cndmask_b32_e64 v83, v155, v82, s3
	v_cndmask_b32_e32 v80, v152, v152, vcc_lo
	v_cndmask_b32_e64 v82, v154, v154, s3
	s_mov_b32 s3, exec_lo
	s_delay_alu instid0(VALU_DEP_1)
	v_cmpx_ngt_f64_e32 v[80:81], v[82:83]
	s_xor_b32 s3, exec_lo, s3
                                        ; implicit-def: $vgpr156_vgpr157_vgpr158_vgpr159
	s_cbranch_execz .LBB39_167
; %bb.166:
	v_div_scale_f64 v[80:81], null, v[154:155], v[154:155], v[152:153]
	v_div_scale_f64 v[158:159], vcc_lo, v[152:153], v[154:155], v[152:153]
	s_delay_alu instid0(VALU_DEP_2) | instskip(SKIP_2) | instid1(VALU_DEP_1)
	v_rcp_f64_e32 v[82:83], v[80:81]
	s_waitcnt_depctr 0xfff
	v_fma_f64 v[156:157], -v[80:81], v[82:83], 1.0
	v_fma_f64 v[82:83], v[82:83], v[156:157], v[82:83]
	s_delay_alu instid0(VALU_DEP_1) | instskip(NEXT) | instid1(VALU_DEP_1)
	v_fma_f64 v[156:157], -v[80:81], v[82:83], 1.0
	v_fma_f64 v[82:83], v[82:83], v[156:157], v[82:83]
	s_delay_alu instid0(VALU_DEP_1) | instskip(NEXT) | instid1(VALU_DEP_1)
	v_mul_f64 v[156:157], v[158:159], v[82:83]
	v_fma_f64 v[80:81], -v[80:81], v[156:157], v[158:159]
	s_delay_alu instid0(VALU_DEP_1) | instskip(NEXT) | instid1(VALU_DEP_1)
	v_div_fmas_f64 v[80:81], v[80:81], v[82:83], v[156:157]
	v_div_fixup_f64 v[80:81], v[80:81], v[154:155], v[152:153]
	s_delay_alu instid0(VALU_DEP_1) | instskip(NEXT) | instid1(VALU_DEP_1)
	v_fma_f64 v[82:83], v[152:153], v[80:81], v[154:155]
	v_div_scale_f64 v[152:153], null, v[82:83], v[82:83], 1.0
	s_delay_alu instid0(VALU_DEP_1) | instskip(SKIP_2) | instid1(VALU_DEP_1)
	v_rcp_f64_e32 v[154:155], v[152:153]
	s_waitcnt_depctr 0xfff
	v_fma_f64 v[156:157], -v[152:153], v[154:155], 1.0
	v_fma_f64 v[154:155], v[154:155], v[156:157], v[154:155]
	s_delay_alu instid0(VALU_DEP_1) | instskip(NEXT) | instid1(VALU_DEP_1)
	v_fma_f64 v[156:157], -v[152:153], v[154:155], 1.0
	v_fma_f64 v[154:155], v[154:155], v[156:157], v[154:155]
	v_div_scale_f64 v[156:157], vcc_lo, 1.0, v[82:83], 1.0
	s_delay_alu instid0(VALU_DEP_1) | instskip(NEXT) | instid1(VALU_DEP_1)
	v_mul_f64 v[158:159], v[156:157], v[154:155]
	v_fma_f64 v[152:153], -v[152:153], v[158:159], v[156:157]
	s_delay_alu instid0(VALU_DEP_1) | instskip(NEXT) | instid1(VALU_DEP_1)
	v_div_fmas_f64 v[152:153], v[152:153], v[154:155], v[158:159]
	v_div_fixup_f64 v[158:159], v[152:153], v[82:83], 1.0
                                        ; implicit-def: $vgpr152_vgpr153
	s_delay_alu instid0(VALU_DEP_1)
	v_mul_f64 v[202:203], v[80:81], v[158:159]
	v_xor_b32_e32 v159, 0x80000000, v159
.LBB39_167:
	s_and_not1_saveexec_b32 s3, s3
	s_cbranch_execz .LBB39_169
; %bb.168:
	v_div_scale_f64 v[80:81], null, v[152:153], v[152:153], v[154:155]
	v_div_scale_f64 v[158:159], vcc_lo, v[154:155], v[152:153], v[154:155]
	s_delay_alu instid0(VALU_DEP_2) | instskip(SKIP_2) | instid1(VALU_DEP_1)
	v_rcp_f64_e32 v[82:83], v[80:81]
	s_waitcnt_depctr 0xfff
	v_fma_f64 v[156:157], -v[80:81], v[82:83], 1.0
	v_fma_f64 v[82:83], v[82:83], v[156:157], v[82:83]
	s_delay_alu instid0(VALU_DEP_1) | instskip(NEXT) | instid1(VALU_DEP_1)
	v_fma_f64 v[156:157], -v[80:81], v[82:83], 1.0
	v_fma_f64 v[82:83], v[82:83], v[156:157], v[82:83]
	s_delay_alu instid0(VALU_DEP_1) | instskip(NEXT) | instid1(VALU_DEP_1)
	v_mul_f64 v[156:157], v[158:159], v[82:83]
	v_fma_f64 v[80:81], -v[80:81], v[156:157], v[158:159]
	s_delay_alu instid0(VALU_DEP_1) | instskip(NEXT) | instid1(VALU_DEP_1)
	v_div_fmas_f64 v[80:81], v[80:81], v[82:83], v[156:157]
	v_div_fixup_f64 v[80:81], v[80:81], v[152:153], v[154:155]
	s_delay_alu instid0(VALU_DEP_1) | instskip(NEXT) | instid1(VALU_DEP_1)
	v_fma_f64 v[82:83], v[154:155], v[80:81], v[152:153]
	v_div_scale_f64 v[152:153], null, v[82:83], v[82:83], 1.0
	s_delay_alu instid0(VALU_DEP_1) | instskip(SKIP_2) | instid1(VALU_DEP_1)
	v_rcp_f64_e32 v[154:155], v[152:153]
	s_waitcnt_depctr 0xfff
	v_fma_f64 v[156:157], -v[152:153], v[154:155], 1.0
	v_fma_f64 v[154:155], v[154:155], v[156:157], v[154:155]
	s_delay_alu instid0(VALU_DEP_1) | instskip(NEXT) | instid1(VALU_DEP_1)
	v_fma_f64 v[156:157], -v[152:153], v[154:155], 1.0
	v_fma_f64 v[154:155], v[154:155], v[156:157], v[154:155]
	v_div_scale_f64 v[156:157], vcc_lo, 1.0, v[82:83], 1.0
	s_delay_alu instid0(VALU_DEP_1) | instskip(NEXT) | instid1(VALU_DEP_1)
	v_mul_f64 v[158:159], v[156:157], v[154:155]
	v_fma_f64 v[152:153], -v[152:153], v[158:159], v[156:157]
	s_delay_alu instid0(VALU_DEP_1) | instskip(NEXT) | instid1(VALU_DEP_1)
	v_div_fmas_f64 v[152:153], v[152:153], v[154:155], v[158:159]
	v_div_fixup_f64 v[202:203], v[152:153], v[82:83], 1.0
	s_delay_alu instid0(VALU_DEP_1)
	v_mul_f64 v[158:159], v[80:81], -v[202:203]
.LBB39_169:
	s_or_b32 exec_lo, exec_lo, s3
	ds_store_2addr_b64 v62, v[202:203], v[158:159] offset1:1
.LBB39_170:
	s_or_b32 exec_lo, exec_lo, s4
	s_waitcnt lgkmcnt(0)
	s_barrier
	buffer_gl0_inv
	ds_load_2addr_b64 v[152:155], v62 offset1:1
	s_mov_b32 s3, exec_lo
	v_cmpx_lt_u32_e32 18, v255
	s_cbranch_execz .LBB39_172
; %bb.171:
	s_waitcnt lgkmcnt(0)
	v_mul_f64 v[80:81], v[152:153], v[6:7]
	v_mul_f64 v[6:7], v[154:155], v[6:7]
	ds_load_2addr_b64 v[156:159], v206 offset0:38 offset1:39
	v_fma_f64 v[80:81], v[154:155], v[4:5], v[80:81]
	v_fma_f64 v[4:5], v[152:153], v[4:5], -v[6:7]
	s_waitcnt lgkmcnt(0)
	s_delay_alu instid0(VALU_DEP_2) | instskip(SKIP_1) | instid1(VALU_DEP_2)
	v_mul_f64 v[6:7], v[158:159], v[80:81]
	v_mul_f64 v[82:83], v[156:157], v[80:81]
	v_fma_f64 v[6:7], v[156:157], v[4:5], -v[6:7]
	s_delay_alu instid0(VALU_DEP_2) | instskip(NEXT) | instid1(VALU_DEP_2)
	v_fma_f64 v[82:83], v[158:159], v[4:5], v[82:83]
	v_add_f64 v[0:1], v[0:1], -v[6:7]
	s_delay_alu instid0(VALU_DEP_2)
	v_add_f64 v[2:3], v[2:3], -v[82:83]
	v_dual_mov_b32 v6, v80 :: v_dual_mov_b32 v7, v81
.LBB39_172:
	s_or_b32 exec_lo, exec_lo, s3
	s_delay_alu instid0(SALU_CYCLE_1)
	s_mov_b32 s4, exec_lo
	s_waitcnt lgkmcnt(0)
	s_barrier
	buffer_gl0_inv
	v_cmpx_eq_u32_e32 19, v255
	s_cbranch_execz .LBB39_179
; %bb.173:
	v_cmp_neq_f64_e32 vcc_lo, 0, v[0:1]
	v_cmp_neq_f64_e64 s3, 0, v[2:3]
	ds_store_2addr_b64 v62, v[0:1], v[2:3] offset1:1
	s_or_b32 s3, vcc_lo, s3
	s_delay_alu instid0(SALU_CYCLE_1)
	s_and_b32 exec_lo, exec_lo, s3
	s_cbranch_execz .LBB39_179
; %bb.174:
	v_cmp_gt_f64_e32 vcc_lo, 0, v[0:1]
	v_cmp_gt_f64_e64 s3, 0, v[2:3]
	v_xor_b32_e32 v80, 0x80000000, v1
	v_xor_b32_e32 v82, 0x80000000, v3
                                        ; implicit-def: $vgpr202_vgpr203
	s_delay_alu instid0(VALU_DEP_2) | instskip(NEXT) | instid1(VALU_DEP_2)
	v_cndmask_b32_e32 v81, v1, v80, vcc_lo
	v_cndmask_b32_e64 v83, v3, v82, s3
	v_cndmask_b32_e32 v80, v0, v0, vcc_lo
	v_cndmask_b32_e64 v82, v2, v2, s3
	s_mov_b32 s3, exec_lo
	s_delay_alu instid0(VALU_DEP_1)
	v_cmpx_ngt_f64_e32 v[80:81], v[82:83]
	s_xor_b32 s3, exec_lo, s3
                                        ; implicit-def: $vgpr156_vgpr157_vgpr158_vgpr159
	s_cbranch_execz .LBB39_176
; %bb.175:
	v_div_scale_f64 v[80:81], null, v[2:3], v[2:3], v[0:1]
	v_div_scale_f64 v[158:159], vcc_lo, v[0:1], v[2:3], v[0:1]
	s_delay_alu instid0(VALU_DEP_2) | instskip(SKIP_2) | instid1(VALU_DEP_1)
	v_rcp_f64_e32 v[82:83], v[80:81]
	s_waitcnt_depctr 0xfff
	v_fma_f64 v[156:157], -v[80:81], v[82:83], 1.0
	v_fma_f64 v[82:83], v[82:83], v[156:157], v[82:83]
	s_delay_alu instid0(VALU_DEP_1) | instskip(NEXT) | instid1(VALU_DEP_1)
	v_fma_f64 v[156:157], -v[80:81], v[82:83], 1.0
	v_fma_f64 v[82:83], v[82:83], v[156:157], v[82:83]
	s_delay_alu instid0(VALU_DEP_1) | instskip(NEXT) | instid1(VALU_DEP_1)
	v_mul_f64 v[156:157], v[158:159], v[82:83]
	v_fma_f64 v[80:81], -v[80:81], v[156:157], v[158:159]
	s_delay_alu instid0(VALU_DEP_1) | instskip(NEXT) | instid1(VALU_DEP_1)
	v_div_fmas_f64 v[80:81], v[80:81], v[82:83], v[156:157]
	v_div_fixup_f64 v[80:81], v[80:81], v[2:3], v[0:1]
	s_delay_alu instid0(VALU_DEP_1) | instskip(NEXT) | instid1(VALU_DEP_1)
	v_fma_f64 v[82:83], v[0:1], v[80:81], v[2:3]
	v_div_scale_f64 v[156:157], null, v[82:83], v[82:83], 1.0
	s_delay_alu instid0(VALU_DEP_1) | instskip(SKIP_2) | instid1(VALU_DEP_1)
	v_rcp_f64_e32 v[158:159], v[156:157]
	s_waitcnt_depctr 0xfff
	v_fma_f64 v[162:163], -v[156:157], v[158:159], 1.0
	v_fma_f64 v[158:159], v[158:159], v[162:163], v[158:159]
	s_delay_alu instid0(VALU_DEP_1) | instskip(NEXT) | instid1(VALU_DEP_1)
	v_fma_f64 v[162:163], -v[156:157], v[158:159], 1.0
	v_fma_f64 v[158:159], v[158:159], v[162:163], v[158:159]
	v_div_scale_f64 v[162:163], vcc_lo, 1.0, v[82:83], 1.0
	s_delay_alu instid0(VALU_DEP_1) | instskip(NEXT) | instid1(VALU_DEP_1)
	v_mul_f64 v[164:165], v[162:163], v[158:159]
	v_fma_f64 v[156:157], -v[156:157], v[164:165], v[162:163]
	s_delay_alu instid0(VALU_DEP_1) | instskip(NEXT) | instid1(VALU_DEP_1)
	v_div_fmas_f64 v[156:157], v[156:157], v[158:159], v[164:165]
	v_div_fixup_f64 v[158:159], v[156:157], v[82:83], 1.0
	s_delay_alu instid0(VALU_DEP_1)
	v_mul_f64 v[202:203], v[80:81], v[158:159]
	v_xor_b32_e32 v159, 0x80000000, v159
.LBB39_176:
	s_and_not1_saveexec_b32 s3, s3
	s_cbranch_execz .LBB39_178
; %bb.177:
	v_div_scale_f64 v[80:81], null, v[0:1], v[0:1], v[2:3]
	v_div_scale_f64 v[158:159], vcc_lo, v[2:3], v[0:1], v[2:3]
	s_delay_alu instid0(VALU_DEP_2) | instskip(SKIP_2) | instid1(VALU_DEP_1)
	v_rcp_f64_e32 v[82:83], v[80:81]
	s_waitcnt_depctr 0xfff
	v_fma_f64 v[156:157], -v[80:81], v[82:83], 1.0
	v_fma_f64 v[82:83], v[82:83], v[156:157], v[82:83]
	s_delay_alu instid0(VALU_DEP_1) | instskip(NEXT) | instid1(VALU_DEP_1)
	v_fma_f64 v[156:157], -v[80:81], v[82:83], 1.0
	v_fma_f64 v[82:83], v[82:83], v[156:157], v[82:83]
	s_delay_alu instid0(VALU_DEP_1) | instskip(NEXT) | instid1(VALU_DEP_1)
	v_mul_f64 v[156:157], v[158:159], v[82:83]
	v_fma_f64 v[80:81], -v[80:81], v[156:157], v[158:159]
	s_delay_alu instid0(VALU_DEP_1) | instskip(NEXT) | instid1(VALU_DEP_1)
	v_div_fmas_f64 v[80:81], v[80:81], v[82:83], v[156:157]
	v_div_fixup_f64 v[80:81], v[80:81], v[0:1], v[2:3]
	s_delay_alu instid0(VALU_DEP_1) | instskip(NEXT) | instid1(VALU_DEP_1)
	v_fma_f64 v[82:83], v[2:3], v[80:81], v[0:1]
	v_div_scale_f64 v[156:157], null, v[82:83], v[82:83], 1.0
	s_delay_alu instid0(VALU_DEP_1) | instskip(SKIP_2) | instid1(VALU_DEP_1)
	v_rcp_f64_e32 v[158:159], v[156:157]
	s_waitcnt_depctr 0xfff
	v_fma_f64 v[162:163], -v[156:157], v[158:159], 1.0
	v_fma_f64 v[158:159], v[158:159], v[162:163], v[158:159]
	s_delay_alu instid0(VALU_DEP_1) | instskip(NEXT) | instid1(VALU_DEP_1)
	v_fma_f64 v[162:163], -v[156:157], v[158:159], 1.0
	v_fma_f64 v[158:159], v[158:159], v[162:163], v[158:159]
	v_div_scale_f64 v[162:163], vcc_lo, 1.0, v[82:83], 1.0
	s_delay_alu instid0(VALU_DEP_1) | instskip(NEXT) | instid1(VALU_DEP_1)
	v_mul_f64 v[164:165], v[162:163], v[158:159]
	v_fma_f64 v[156:157], -v[156:157], v[164:165], v[162:163]
	s_delay_alu instid0(VALU_DEP_1) | instskip(NEXT) | instid1(VALU_DEP_1)
	v_div_fmas_f64 v[156:157], v[156:157], v[158:159], v[164:165]
	v_div_fixup_f64 v[202:203], v[156:157], v[82:83], 1.0
	s_delay_alu instid0(VALU_DEP_1)
	v_mul_f64 v[158:159], v[80:81], -v[202:203]
.LBB39_178:
	s_or_b32 exec_lo, exec_lo, s3
	ds_store_2addr_b64 v62, v[202:203], v[158:159] offset1:1
.LBB39_179:
	s_or_b32 exec_lo, exec_lo, s4
	s_waitcnt lgkmcnt(0)
	s_barrier
	buffer_gl0_inv
	ds_load_2addr_b64 v[156:159], v62 offset1:1
	s_mov_b32 s3, exec_lo
	v_cmpx_lt_u32_e32 19, v255
	s_cbranch_execz .LBB39_181
; %bb.180:
	s_waitcnt lgkmcnt(0)
	v_mul_f64 v[80:81], v[158:159], v[2:3]
	v_mul_f64 v[2:3], v[156:157], v[2:3]
	s_delay_alu instid0(VALU_DEP_2) | instskip(NEXT) | instid1(VALU_DEP_2)
	v_fma_f64 v[80:81], v[156:157], v[0:1], -v[80:81]
	v_fma_f64 v[2:3], v[158:159], v[0:1], v[2:3]
	s_delay_alu instid0(VALU_DEP_2)
	v_dual_mov_b32 v0, v80 :: v_dual_mov_b32 v1, v81
.LBB39_181:
	s_or_b32 exec_lo, exec_lo, s3
	s_waitcnt lgkmcnt(0)
	s_barrier
	buffer_gl0_inv
	s_and_saveexec_b32 s10, s2
	s_cbranch_execz .LBB39_184
; %bb.182:
	s_load_b64 s[0:1], s[0:1], 0x28
	v_lshlrev_b64 v[80:81], 2, v[160:161]
	v_cmp_neq_f64_e64 s2, 0, v[86:87]
	v_cmp_eq_f64_e64 s3, 0, v[88:89]
	v_cmp_eq_f64_e64 s4, 0, v[90:91]
	;; [unrolled: 1-line block ×6, first 2 shown]
	s_waitcnt lgkmcnt(0)
	v_add_co_u32 v160, vcc_lo, s0, v80
	v_add_co_ci_u32_e32 v161, vcc_lo, s1, v81, vcc_lo
	v_cmp_neq_f64_e64 s1, 0, v[84:85]
	global_load_b32 v81, v[160:161], off
	scratch_load_b128 v[52:55], off, off offset:16 ; 16-byte Folded Reload
	s_or_b32 s1, s1, s2
	s_and_b32 s2, s3, s4
	s_and_b32 s4, s5, s6
	;; [unrolled: 1-line block ×3, first 2 shown]
	s_waitcnt vmcnt(0)
	v_cmp_eq_f64_e32 vcc_lo, 0, v[52:53]
	v_cmp_eq_f64_e64 s0, 0, v[54:55]
	s_delay_alu instid0(VALU_DEP_1) | instskip(NEXT) | instid1(SALU_CYCLE_1)
	s_and_b32 s0, vcc_lo, s0
	v_cndmask_b32_e64 v80, 0, 1, s0
	s_or_b32 vcc_lo, s1, s0
	v_cmp_eq_f64_e64 s0, 0, v[102:103]
	s_delay_alu instid0(VALU_DEP_2) | instskip(SKIP_1) | instid1(VALU_DEP_2)
	v_cndmask_b32_e32 v80, 2, v80, vcc_lo
	v_cmp_eq_f64_e32 vcc_lo, 0, v[100:101]
	v_cmp_eq_u32_e64 s1, 0, v80
	s_delay_alu instid0(VALU_DEP_1) | instskip(SKIP_3) | instid1(VALU_DEP_2)
	s_and_b32 s1, s2, s1
	v_cmp_eq_f64_e64 s2, 0, v[106:107]
	v_cndmask_b32_e64 v80, v80, 3, s1
	v_cmp_eq_f64_e64 s1, 0, v[104:105]
	v_cmp_eq_u32_e64 s3, 0, v80
	s_delay_alu instid0(VALU_DEP_1) | instskip(SKIP_3) | instid1(VALU_DEP_2)
	s_and_b32 s3, s4, s3
	v_cmp_eq_f64_e64 s4, 0, v[110:111]
	v_cndmask_b32_e64 v80, v80, 4, s3
	v_cmp_eq_f64_e64 s3, 0, v[108:109]
	v_cmp_eq_u32_e64 s5, 0, v80
	s_delay_alu instid0(VALU_DEP_1)
	s_and_b32 s5, s6, s5
	v_cmp_eq_f64_e64 s6, 0, v[114:115]
	v_cndmask_b32_e64 v80, v80, 5, s5
	v_cmp_eq_f64_e64 s5, 0, v[112:113]
	s_and_b32 s0, vcc_lo, s0
	v_cmp_eq_f64_e32 vcc_lo, 0, v[116:117]
	s_delay_alu instid0(VALU_DEP_3) | instskip(NEXT) | instid1(VALU_DEP_1)
	v_cmp_eq_u32_e64 s7, 0, v80
	s_and_b32 s0, s0, s7
	s_delay_alu instid0(SALU_CYCLE_1) | instskip(SKIP_3) | instid1(VALU_DEP_3)
	v_cndmask_b32_e64 v80, v80, 6, s0
	v_cmp_eq_f64_e64 s0, 0, v[118:119]
	s_and_b32 s1, s1, s2
	v_cmp_eq_f64_e64 s2, 0, v[122:123]
	v_cmp_eq_u32_e64 s7, 0, v80
	s_delay_alu instid0(VALU_DEP_1) | instskip(NEXT) | instid1(SALU_CYCLE_1)
	s_and_b32 s1, s1, s7
	v_cndmask_b32_e64 v80, v80, 7, s1
	v_cmp_eq_f64_e64 s1, 0, v[120:121]
	s_and_b32 s3, s3, s4
	v_cmp_eq_f64_e64 s4, 0, v[126:127]
	s_delay_alu instid0(VALU_DEP_3) | instskip(NEXT) | instid1(VALU_DEP_1)
	v_cmp_eq_u32_e64 s7, 0, v80
	s_and_b32 s3, s3, s7
	s_delay_alu instid0(SALU_CYCLE_1) | instskip(SKIP_3) | instid1(VALU_DEP_3)
	v_cndmask_b32_e64 v80, v80, 8, s3
	v_cmp_eq_f64_e64 s3, 0, v[124:125]
	s_and_b32 s5, s5, s6
	v_cmp_eq_f64_e64 s6, 0, v[130:131]
	v_cmp_eq_u32_e64 s7, 0, v80
	s_delay_alu instid0(VALU_DEP_1) | instskip(NEXT) | instid1(SALU_CYCLE_1)
	s_and_b32 s5, s5, s7
	v_cndmask_b32_e64 v80, v80, 9, s5
	v_cmp_eq_f64_e64 s5, 0, v[128:129]
	s_and_b32 s0, vcc_lo, s0
	v_cmp_eq_f64_e32 vcc_lo, 0, v[132:133]
	s_delay_alu instid0(VALU_DEP_3) | instskip(NEXT) | instid1(VALU_DEP_1)
	v_cmp_eq_u32_e64 s7, 0, v80
	s_and_b32 s0, s0, s7
	s_delay_alu instid0(SALU_CYCLE_1) | instskip(SKIP_3) | instid1(VALU_DEP_3)
	v_cndmask_b32_e64 v80, v80, 10, s0
	v_cmp_eq_f64_e64 s0, 0, v[134:135]
	s_and_b32 s1, s1, s2
	v_cmp_eq_f64_e64 s2, 0, v[138:139]
	v_cmp_eq_u32_e64 s7, 0, v80
	s_delay_alu instid0(VALU_DEP_1) | instskip(NEXT) | instid1(SALU_CYCLE_1)
	s_and_b32 s1, s1, s7
	v_cndmask_b32_e64 v80, v80, 11, s1
	v_cmp_eq_f64_e64 s1, 0, v[136:137]
	s_and_b32 s3, s3, s4
	v_cmp_eq_f64_e64 s4, 0, v[142:143]
	s_delay_alu instid0(VALU_DEP_3) | instskip(NEXT) | instid1(VALU_DEP_1)
	v_cmp_eq_u32_e64 s7, 0, v80
	s_and_b32 s3, s3, s7
	s_delay_alu instid0(SALU_CYCLE_1) | instskip(SKIP_3) | instid1(VALU_DEP_3)
	v_cndmask_b32_e64 v80, v80, 12, s3
	v_cmp_eq_f64_e64 s3, 0, v[140:141]
	s_and_b32 s5, s5, s6
	v_cmp_eq_f64_e64 s6, 0, v[146:147]
	v_cmp_eq_u32_e64 s7, 0, v80
	s_delay_alu instid0(VALU_DEP_1) | instskip(NEXT) | instid1(SALU_CYCLE_1)
	s_and_b32 s5, s5, s7
	v_cndmask_b32_e64 v80, v80, 13, s5
	v_cmp_eq_f64_e64 s5, 0, v[144:145]
	s_and_b32 s0, vcc_lo, s0
	v_cmp_eq_f64_e32 vcc_lo, 0, v[148:149]
	s_delay_alu instid0(VALU_DEP_3) | instskip(NEXT) | instid1(VALU_DEP_1)
	v_cmp_eq_u32_e64 s7, 0, v80
	s_and_b32 s0, s0, s7
	s_delay_alu instid0(SALU_CYCLE_1) | instskip(SKIP_3) | instid1(VALU_DEP_3)
	v_cndmask_b32_e64 v80, v80, 14, s0
	v_cmp_eq_f64_e64 s0, 0, v[150:151]
	s_and_b32 s1, s1, s2
	v_cmp_eq_f64_e64 s2, 0, v[154:155]
	v_cmp_eq_u32_e64 s7, 0, v80
	s_delay_alu instid0(VALU_DEP_1) | instskip(NEXT) | instid1(SALU_CYCLE_1)
	s_and_b32 s1, s1, s7
	v_cndmask_b32_e64 v80, v80, 15, s1
	v_cmp_eq_f64_e64 s1, 0, v[152:153]
	s_and_b32 s3, s3, s4
	v_cmp_eq_f64_e64 s4, 0, v[158:159]
	s_delay_alu instid0(VALU_DEP_3) | instskip(NEXT) | instid1(VALU_DEP_1)
	v_cmp_eq_u32_e64 s7, 0, v80
	s_and_b32 s3, s3, s7
	s_delay_alu instid0(SALU_CYCLE_1) | instskip(SKIP_2) | instid1(VALU_DEP_2)
	v_cndmask_b32_e64 v80, v80, 16, s3
	v_cmp_eq_f64_e64 s3, 0, v[156:157]
	s_and_b32 s5, s5, s6
	v_cmp_eq_u32_e64 s7, 0, v80
	s_delay_alu instid0(VALU_DEP_1) | instskip(NEXT) | instid1(SALU_CYCLE_1)
	s_and_b32 s5, s5, s7
	v_cndmask_b32_e64 v80, v80, 17, s5
	s_and_b32 s0, vcc_lo, s0
	s_delay_alu instid0(VALU_DEP_1) | instskip(NEXT) | instid1(VALU_DEP_1)
	v_cmp_eq_u32_e64 s5, 0, v80
	s_and_b32 s0, s0, s5
	s_delay_alu instid0(SALU_CYCLE_1) | instskip(SKIP_1) | instid1(VALU_DEP_1)
	v_cndmask_b32_e64 v80, v80, 18, s0
	s_and_b32 s0, s1, s2
	v_cmp_eq_u32_e32 vcc_lo, 0, v80
	s_and_b32 s0, s0, vcc_lo
	s_delay_alu instid0(SALU_CYCLE_1) | instskip(SKIP_1) | instid1(VALU_DEP_1)
	v_cndmask_b32_e64 v80, v80, 19, s0
	s_and_b32 s0, s3, s4
	v_cmp_eq_u32_e32 vcc_lo, 0, v80
	s_and_b32 s0, s0, vcc_lo
	v_cmp_eq_u32_e32 vcc_lo, 0, v81
	v_cndmask_b32_e64 v80, v80, 20, s0
	s_delay_alu instid0(VALU_DEP_1) | instskip(NEXT) | instid1(VALU_DEP_1)
	v_cmp_ne_u32_e64 s0, 0, v80
	s_and_b32 s0, vcc_lo, s0
	s_delay_alu instid0(SALU_CYCLE_1)
	s_and_b32 exec_lo, exec_lo, s0
	s_cbranch_execz .LBB39_184
; %bb.183:
	v_add_nc_u32_e32 v80, s9, v80
	global_store_b32 v[160:161], v80, off
.LBB39_184:
	s_or_b32 exec_lo, exec_lo, s10
	s_clause 0x3
	global_store_b128 v[64:65], v[68:71], off
	global_store_b128 v[56:57], v[58:61], off
	;; [unrolled: 1-line block ×4, first 2 shown]
	scratch_load_b64 v[64:65], off, off offset:8 ; 8-byte Folded Reload
	s_waitcnt vmcnt(0)
	s_clause 0x2
	global_store_b128 v[64:65], v[239:242], off
	global_store_b128 v[229:230], v[243:246], off
	;; [unrolled: 1-line block ×3, first 2 shown]
	scratch_load_b64 v[52:53], off, off     ; 8-byte Folded Reload
	s_waitcnt vmcnt(0)
	s_clause 0xc
	global_store_b128 v[52:53], v[251:254], off
	global_store_b128 v[76:77], v[44:47], off
	;; [unrolled: 1-line block ×13, first 2 shown]
.LBB39_185:
	s_nop 0
	s_sendmsg sendmsg(MSG_DEALLOC_VGPRS)
	s_endpgm
	.section	.rodata,"a",@progbits
	.p2align	6, 0x0
	.amdhsa_kernel _ZN9rocsolver6v33100L23getf2_npvt_small_kernelILi20E19rocblas_complex_numIdEiiPKPS3_EEvT1_T3_lS7_lPT2_S7_S7_
		.amdhsa_group_segment_fixed_size 0
		.amdhsa_private_segment_fixed_size 104
		.amdhsa_kernarg_size 312
		.amdhsa_user_sgpr_count 14
		.amdhsa_user_sgpr_dispatch_ptr 0
		.amdhsa_user_sgpr_queue_ptr 0
		.amdhsa_user_sgpr_kernarg_segment_ptr 1
		.amdhsa_user_sgpr_dispatch_id 0
		.amdhsa_user_sgpr_private_segment_size 0
		.amdhsa_wavefront_size32 1
		.amdhsa_uses_dynamic_stack 0
		.amdhsa_enable_private_segment 1
		.amdhsa_system_sgpr_workgroup_id_x 1
		.amdhsa_system_sgpr_workgroup_id_y 1
		.amdhsa_system_sgpr_workgroup_id_z 0
		.amdhsa_system_sgpr_workgroup_info 0
		.amdhsa_system_vgpr_workitem_id 1
		.amdhsa_next_free_vgpr 256
		.amdhsa_next_free_sgpr 16
		.amdhsa_reserve_vcc 1
		.amdhsa_float_round_mode_32 0
		.amdhsa_float_round_mode_16_64 0
		.amdhsa_float_denorm_mode_32 3
		.amdhsa_float_denorm_mode_16_64 3
		.amdhsa_dx10_clamp 1
		.amdhsa_ieee_mode 1
		.amdhsa_fp16_overflow 0
		.amdhsa_workgroup_processor_mode 1
		.amdhsa_memory_ordered 1
		.amdhsa_forward_progress 0
		.amdhsa_shared_vgpr_count 0
		.amdhsa_exception_fp_ieee_invalid_op 0
		.amdhsa_exception_fp_denorm_src 0
		.amdhsa_exception_fp_ieee_div_zero 0
		.amdhsa_exception_fp_ieee_overflow 0
		.amdhsa_exception_fp_ieee_underflow 0
		.amdhsa_exception_fp_ieee_inexact 0
		.amdhsa_exception_int_div_zero 0
	.end_amdhsa_kernel
	.section	.text._ZN9rocsolver6v33100L23getf2_npvt_small_kernelILi20E19rocblas_complex_numIdEiiPKPS3_EEvT1_T3_lS7_lPT2_S7_S7_,"axG",@progbits,_ZN9rocsolver6v33100L23getf2_npvt_small_kernelILi20E19rocblas_complex_numIdEiiPKPS3_EEvT1_T3_lS7_lPT2_S7_S7_,comdat
.Lfunc_end39:
	.size	_ZN9rocsolver6v33100L23getf2_npvt_small_kernelILi20E19rocblas_complex_numIdEiiPKPS3_EEvT1_T3_lS7_lPT2_S7_S7_, .Lfunc_end39-_ZN9rocsolver6v33100L23getf2_npvt_small_kernelILi20E19rocblas_complex_numIdEiiPKPS3_EEvT1_T3_lS7_lPT2_S7_S7_
                                        ; -- End function
	.section	.AMDGPU.csdata,"",@progbits
; Kernel info:
; codeLenInByte = 30944
; NumSgprs: 18
; NumVgprs: 256
; ScratchSize: 104
; MemoryBound: 1
; FloatMode: 240
; IeeeMode: 1
; LDSByteSize: 0 bytes/workgroup (compile time only)
; SGPRBlocks: 2
; VGPRBlocks: 31
; NumSGPRsForWavesPerEU: 18
; NumVGPRsForWavesPerEU: 256
; Occupancy: 5
; WaveLimiterHint : 1
; COMPUTE_PGM_RSRC2:SCRATCH_EN: 1
; COMPUTE_PGM_RSRC2:USER_SGPR: 14
; COMPUTE_PGM_RSRC2:TRAP_HANDLER: 0
; COMPUTE_PGM_RSRC2:TGID_X_EN: 1
; COMPUTE_PGM_RSRC2:TGID_Y_EN: 1
; COMPUTE_PGM_RSRC2:TGID_Z_EN: 0
; COMPUTE_PGM_RSRC2:TIDIG_COMP_CNT: 1
	.section	.text._ZN9rocsolver6v33100L18getf2_small_kernelILi21E19rocblas_complex_numIdEiiPKPS3_EEvT1_T3_lS7_lPS7_llPT2_S7_S7_S9_l,"axG",@progbits,_ZN9rocsolver6v33100L18getf2_small_kernelILi21E19rocblas_complex_numIdEiiPKPS3_EEvT1_T3_lS7_lPS7_llPT2_S7_S7_S9_l,comdat
	.globl	_ZN9rocsolver6v33100L18getf2_small_kernelILi21E19rocblas_complex_numIdEiiPKPS3_EEvT1_T3_lS7_lPS7_llPT2_S7_S7_S9_l ; -- Begin function _ZN9rocsolver6v33100L18getf2_small_kernelILi21E19rocblas_complex_numIdEiiPKPS3_EEvT1_T3_lS7_lPS7_llPT2_S7_S7_S9_l
	.p2align	8
	.type	_ZN9rocsolver6v33100L18getf2_small_kernelILi21E19rocblas_complex_numIdEiiPKPS3_EEvT1_T3_lS7_lPS7_llPT2_S7_S7_S9_l,@function
_ZN9rocsolver6v33100L18getf2_small_kernelILi21E19rocblas_complex_numIdEiiPKPS3_EEvT1_T3_lS7_lPS7_llPT2_S7_S7_S9_l: ; @_ZN9rocsolver6v33100L18getf2_small_kernelILi21E19rocblas_complex_numIdEiiPKPS3_EEvT1_T3_lS7_lPS7_llPT2_S7_S7_S9_l
; %bb.0:
	s_clause 0x1
	s_load_b32 s2, s[0:1], 0x6c
	s_load_b64 s[12:13], s[0:1], 0x48
	v_bfe_u32 v84, v0, 10, 10
	s_waitcnt lgkmcnt(0)
	s_lshr_b32 s2, s2, 16
	s_delay_alu instid0(VALU_DEP_1) | instid1(SALU_CYCLE_1)
	v_mad_u64_u32 v[88:89], null, s15, s2, v[84:85]
	s_mov_b32 s2, exec_lo
	s_delay_alu instid0(VALU_DEP_1)
	v_cmpx_gt_i32_e64 s12, v88
	s_cbranch_execz .LBB40_444
; %bb.1:
	s_clause 0x1
	s_load_b128 s[4:7], s[0:1], 0x8
	s_load_b128 s[8:11], s[0:1], 0x50
	v_ashrrev_i32_e32 v89, 31, v88
	v_mov_b32_e32 v90, 0
	v_mov_b32_e32 v91, 0
	s_delay_alu instid0(VALU_DEP_3) | instskip(SKIP_1) | instid1(VALU_DEP_1)
	v_lshlrev_b64 v[1:2], 3, v[88:89]
	s_waitcnt lgkmcnt(0)
	v_add_co_u32 v1, vcc_lo, s4, v1
	s_delay_alu instid0(VALU_DEP_2)
	v_add_co_ci_u32_e32 v2, vcc_lo, s5, v2, vcc_lo
	s_cmp_eq_u64 s[8:9], 0
	s_cselect_b32 s4, -1, 0
	global_load_b64 v[1:2], v[1:2], off
	s_and_b32 vcc_lo, exec_lo, s4
	s_cbranch_vccnz .LBB40_3
; %bb.2:
	v_mul_lo_u32 v5, v89, s10
	v_mul_lo_u32 v6, v88, s11
	v_mad_u64_u32 v[3:4], null, v88, s10, 0
	s_delay_alu instid0(VALU_DEP_1) | instskip(NEXT) | instid1(VALU_DEP_1)
	v_add3_u32 v4, v4, v6, v5
	v_lshlrev_b64 v[3:4], 2, v[3:4]
	s_delay_alu instid0(VALU_DEP_1) | instskip(NEXT) | instid1(VALU_DEP_2)
	v_add_co_u32 v90, vcc_lo, s8, v3
	v_add_co_ci_u32_e32 v91, vcc_lo, s9, v4, vcc_lo
.LBB40_3:
	s_clause 0x1
	s_load_b32 s8, s[0:1], 0x18
	s_load_b32 s5, s[0:1], 0x0
	v_dual_mov_b32 v92, 0 :: v_dual_and_b32 v97, 0x3ff, v0
	s_lshl_b64 s[2:3], s[6:7], 4
	s_waitcnt vmcnt(0)
	v_add_co_u32 v95, vcc_lo, v1, s2
	s_delay_alu instid0(VALU_DEP_2) | instskip(SKIP_1) | instid1(VALU_DEP_2)
	v_lshlrev_b32_e32 v87, 4, v97
	v_add_co_ci_u32_e32 v96, vcc_lo, s3, v2, vcc_lo
	v_add_co_u32 v2, vcc_lo, v95, v87
	s_delay_alu instid0(VALU_DEP_2)
	v_add_co_ci_u32_e32 v3, vcc_lo, 0, v96, vcc_lo
	s_waitcnt lgkmcnt(0)
	v_add3_u32 v0, s8, s8, v97
	s_ashr_i32 s9, s8, 31
	s_max_i32 s2, s5, 21
	s_lshl_b64 s[10:11], s[8:9], 4
	v_mul_lo_u32 v93, s2, v84
	v_add_nc_u32_e32 v4, s8, v0
	v_add_co_u32 v6, vcc_lo, v2, s10
	v_add_co_ci_u32_e32 v7, vcc_lo, s11, v3, vcc_lo
	s_delay_alu instid0(VALU_DEP_3)
	v_ashrrev_i32_e32 v5, 31, v4
	v_add_nc_u32_e32 v8, s8, v4
	v_ashrrev_i32_e32 v1, 31, v0
	s_clause 0x1
	global_load_b128 v[80:83], v[2:3], off
	global_load_b128 v[68:71], v[6:7], off
	v_lshl_add_u32 v94, v93, 4, 0
	v_lshlrev_b64 v[2:3], 4, v[4:5]
	v_ashrrev_i32_e32 v9, 31, v8
	v_add_nc_u32_e32 v4, s8, v8
	v_lshlrev_b64 v[0:1], 4, v[0:1]
	v_add_nc_u32_e32 v84, v94, v87
	v_lshlrev_b32_e32 v99, 4, v93
	v_lshlrev_b64 v[6:7], 4, v[8:9]
	v_add_nc_u32_e32 v8, s8, v4
	v_ashrrev_i32_e32 v5, 31, v4
	v_add_co_u32 v0, vcc_lo, v95, v0
	v_add_co_ci_u32_e32 v1, vcc_lo, v96, v1, vcc_lo
	s_delay_alu instid0(VALU_DEP_4)
	v_add_nc_u32_e32 v10, s8, v8
	v_add_co_u32 v2, vcc_lo, v95, v2
	v_ashrrev_i32_e32 v9, 31, v8
	v_add_co_ci_u32_e32 v3, vcc_lo, v96, v3, vcc_lo
	v_lshlrev_b64 v[4:5], 4, v[4:5]
	v_ashrrev_i32_e32 v11, 31, v10
	s_clause 0x1
	global_load_b128 v[76:79], v[0:1], off
	global_load_b128 v[72:75], v[2:3], off
	v_add_co_u32 v0, vcc_lo, v95, v6
	v_lshlrev_b64 v[2:3], 4, v[8:9]
	v_add_nc_u32_e32 v8, s8, v10
	v_add_co_ci_u32_e32 v1, vcc_lo, v96, v7, vcc_lo
	v_add_co_u32 v4, vcc_lo, v95, v4
	v_lshlrev_b64 v[6:7], 4, v[10:11]
	v_add_co_ci_u32_e32 v5, vcc_lo, v96, v5, vcc_lo
	v_add_nc_u32_e32 v10, s8, v8
	v_add_co_u32 v2, vcc_lo, v95, v2
	v_ashrrev_i32_e32 v9, 31, v8
	v_add_co_ci_u32_e32 v3, vcc_lo, v96, v3, vcc_lo
	v_add_co_u32 v6, vcc_lo, v95, v6
	v_ashrrev_i32_e32 v11, 31, v10
	v_add_co_ci_u32_e32 v7, vcc_lo, v96, v7, vcc_lo
	s_clause 0x1
	global_load_b128 v[64:67], v[0:1], off
	global_load_b128 v[60:63], v[4:5], off
	v_lshlrev_b64 v[0:1], 4, v[8:9]
	v_add_nc_u32_e32 v4, s8, v10
	s_clause 0x1
	global_load_b128 v[52:55], v[2:3], off
	global_load_b128 v[48:51], v[6:7], off
	v_lshlrev_b64 v[2:3], 4, v[10:11]
	s_cmp_lt_i32 s5, 2
	v_add_nc_u32_e32 v6, s8, v4
	v_add_co_u32 v0, vcc_lo, v95, v0
	v_add_co_ci_u32_e32 v1, vcc_lo, v96, v1, vcc_lo
	s_delay_alu instid0(VALU_DEP_4) | instskip(NEXT) | instid1(VALU_DEP_4)
	v_add_co_u32 v2, vcc_lo, v95, v2
	v_add_nc_u32_e32 v8, s8, v6
	v_add_co_ci_u32_e32 v3, vcc_lo, v96, v3, vcc_lo
	s_clause 0x1
	global_load_b128 v[56:59], v[0:1], off
	global_load_b128 v[40:43], v[2:3], off
	v_add_nc_u32_e32 v2, s8, v8
	v_ashrrev_i32_e32 v5, 31, v4
	v_ashrrev_i32_e32 v7, 31, v6
	;; [unrolled: 1-line block ×3, first 2 shown]
	s_delay_alu instid0(VALU_DEP_4) | instskip(NEXT) | instid1(VALU_DEP_4)
	v_ashrrev_i32_e32 v3, 31, v2
	v_lshlrev_b64 v[4:5], 4, v[4:5]
	s_delay_alu instid0(VALU_DEP_4) | instskip(NEXT) | instid1(VALU_DEP_4)
	v_lshlrev_b64 v[0:1], 4, v[6:7]
	v_lshlrev_b64 v[6:7], 4, v[8:9]
	s_delay_alu instid0(VALU_DEP_4) | instskip(SKIP_4) | instid1(VALU_DEP_4)
	v_lshlrev_b64 v[8:9], 4, v[2:3]
	v_add_nc_u32_e32 v2, s8, v2
	v_add_co_u32 v4, vcc_lo, v95, v4
	v_add_co_ci_u32_e32 v5, vcc_lo, v96, v5, vcc_lo
	v_add_co_u32 v0, vcc_lo, v95, v0
	v_add_nc_u32_e32 v10, s8, v2
	v_add_co_ci_u32_e32 v1, vcc_lo, v96, v1, vcc_lo
	v_ashrrev_i32_e32 v3, 31, v2
	v_add_co_u32 v6, vcc_lo, v95, v6
	v_add_co_ci_u32_e32 v7, vcc_lo, v96, v7, vcc_lo
	v_ashrrev_i32_e32 v11, 31, v10
	v_add_co_u32 v8, vcc_lo, v95, v8
	s_clause 0x1
	global_load_b128 v[44:47], v[4:5], off
	global_load_b128 v[36:39], v[0:1], off
	v_lshlrev_b64 v[0:1], 4, v[2:3]
	v_add_nc_u32_e32 v4, s8, v10
	v_add_co_ci_u32_e32 v9, vcc_lo, v96, v9, vcc_lo
	v_lshlrev_b64 v[2:3], 4, v[10:11]
	s_clause 0x1
	global_load_b128 v[32:35], v[6:7], off
	global_load_b128 v[28:31], v[8:9], off
	v_add_nc_u32_e32 v6, s8, v4
	v_add_co_u32 v0, vcc_lo, v95, v0
	v_add_co_ci_u32_e32 v1, vcc_lo, v96, v1, vcc_lo
	v_add_co_u32 v2, vcc_lo, v95, v2
	s_delay_alu instid0(VALU_DEP_4)
	v_add_nc_u32_e32 v8, s8, v6
	v_add_co_ci_u32_e32 v3, vcc_lo, v96, v3, vcc_lo
	v_ashrrev_i32_e32 v5, 31, v4
	v_ashrrev_i32_e32 v7, 31, v6
	s_clause 0x1
	global_load_b128 v[24:27], v[0:1], off
	global_load_b128 v[20:23], v[2:3], off
	v_ashrrev_i32_e32 v9, 31, v8
	v_add_nc_u32_e32 v2, s8, v8
	v_lshlrev_b64 v[4:5], 4, v[4:5]
	v_lshlrev_b64 v[0:1], 4, v[6:7]
	s_delay_alu instid0(VALU_DEP_4) | instskip(NEXT) | instid1(VALU_DEP_4)
	v_lshlrev_b64 v[6:7], 4, v[8:9]
	v_add_nc_u32_e32 v8, s8, v2
	v_ashrrev_i32_e32 v3, 31, v2
	v_add_co_u32 v4, vcc_lo, v95, v4
	v_add_co_ci_u32_e32 v5, vcc_lo, v96, v5, vcc_lo
	s_delay_alu instid0(VALU_DEP_4)
	v_ashrrev_i32_e32 v9, 31, v8
	v_add_co_u32 v0, vcc_lo, v95, v0
	v_lshlrev_b64 v[2:3], 4, v[2:3]
	v_add_co_ci_u32_e32 v1, vcc_lo, v96, v1, vcc_lo
	v_add_co_u32 v6, vcc_lo, v95, v6
	v_lshlrev_b64 v[8:9], 4, v[8:9]
	v_add_co_ci_u32_e32 v7, vcc_lo, v96, v7, vcc_lo
	v_add_co_u32 v2, vcc_lo, v95, v2
	v_add_co_ci_u32_e32 v3, vcc_lo, v96, v3, vcc_lo
	s_delay_alu instid0(VALU_DEP_4)
	v_add_co_u32 v85, vcc_lo, v95, v8
	v_add_co_ci_u32_e32 v86, vcc_lo, v96, v9, vcc_lo
	s_clause 0x4
	global_load_b128 v[16:19], v[4:5], off
	global_load_b128 v[12:15], v[0:1], off
	;; [unrolled: 1-line block ×5, first 2 shown]
	s_waitcnt vmcnt(20)
	ds_store_2addr_b64 v84, v[80:81], v[82:83] offset1:1
	s_waitcnt vmcnt(0) lgkmcnt(0)
	s_barrier
	buffer_gl0_inv
	ds_load_2addr_b64 v[84:87], v94 offset1:1
	s_cbranch_scc1 .LBB40_6
; %bb.4:
	v_add3_u32 v93, v99, 0, 16
	v_mov_b32_e32 v92, 0
	s_mov_b32 s6, 1
	s_set_inst_prefetch_distance 0x1
	.p2align	6
.LBB40_5:                               ; =>This Inner Loop Header: Depth=1
	ds_load_2addr_b64 v[100:103], v93 offset1:1
	s_waitcnt lgkmcnt(1)
	v_cmp_gt_f64_e32 vcc_lo, 0, v[84:85]
	v_xor_b32_e32 v98, 0x80000000, v85
	v_cmp_gt_f64_e64 s2, 0, v[86:87]
	v_xor_b32_e32 v104, 0x80000000, v87
	v_add_nc_u32_e32 v93, 16, v93
	s_waitcnt lgkmcnt(0)
	v_cmp_gt_f64_e64 s3, 0, v[100:101]
	v_mov_b32_e32 v108, v100
	v_dual_mov_b32 v110, v102 :: v_dual_cndmask_b32 v105, v85, v98
	v_xor_b32_e32 v98, 0x80000000, v101
	v_cndmask_b32_e64 v107, v87, v104, s2
	v_xor_b32_e32 v104, 0x80000000, v103
	v_cndmask_b32_e64 v106, v86, v86, s2
	s_delay_alu instid0(VALU_DEP_4) | instskip(SKIP_1) | instid1(VALU_DEP_1)
	v_cndmask_b32_e64 v109, v101, v98, s3
	v_cmp_gt_f64_e64 s3, 0, v[102:103]
	v_cndmask_b32_e64 v111, v103, v104, s3
	v_cndmask_b32_e32 v104, v84, v84, vcc_lo
	s_delay_alu instid0(VALU_DEP_2) | instskip(NEXT) | instid1(VALU_DEP_2)
	v_add_f64 v[108:109], v[108:109], v[110:111]
	v_add_f64 v[104:105], v[104:105], v[106:107]
	s_delay_alu instid0(VALU_DEP_1)
	v_cmp_lt_f64_e32 vcc_lo, v[104:105], v[108:109]
	v_cndmask_b32_e32 v87, v87, v103, vcc_lo
	v_dual_cndmask_b32 v85, v85, v101 :: v_dual_cndmask_b32 v84, v84, v100
	v_cndmask_b32_e32 v86, v86, v102, vcc_lo
	v_cndmask_b32_e64 v92, v92, s6, vcc_lo
	s_add_i32 s6, s6, 1
	s_delay_alu instid0(SALU_CYCLE_1)
	s_cmp_eq_u32 s5, s6
	s_cbranch_scc0 .LBB40_5
.LBB40_6:
	s_set_inst_prefetch_distance 0x2
	s_waitcnt lgkmcnt(0)
	v_cmp_neq_f64_e32 vcc_lo, 0, v[84:85]
	v_cmp_neq_f64_e64 s2, 0, v[86:87]
	v_dual_mov_b32 v98, 1 :: v_dual_mov_b32 v101, 1
	s_delay_alu instid0(VALU_DEP_2) | instskip(NEXT) | instid1(SALU_CYCLE_1)
	s_or_b32 s2, vcc_lo, s2
	s_and_saveexec_b32 s3, s2
	s_cbranch_execz .LBB40_12
; %bb.7:
	v_cmp_gt_f64_e32 vcc_lo, 0, v[84:85]
	v_cmp_gt_f64_e64 s2, 0, v[86:87]
	v_xor_b32_e32 v93, 0x80000000, v85
	v_xor_b32_e32 v98, 0x80000000, v87
                                        ; implicit-def: $sgpr6
                                        ; implicit-def: $sgpr7
	s_delay_alu instid0(VALU_DEP_2) | instskip(NEXT) | instid1(VALU_DEP_2)
	v_dual_cndmask_b32 v101, v85, v93 :: v_dual_cndmask_b32 v100, v84, v84
	v_cndmask_b32_e64 v103, v87, v98, s2
	v_cndmask_b32_e64 v102, v86, v86, s2
	s_mov_b32 s2, exec_lo
	s_delay_alu instid0(VALU_DEP_1)
	v_cmpx_ngt_f64_e32 v[100:101], v[102:103]
	s_xor_b32 s2, exec_lo, s2
	s_cbranch_execz .LBB40_9
; %bb.8:
	v_div_scale_f64 v[100:101], null, v[86:87], v[86:87], v[84:85]
	v_div_scale_f64 v[106:107], vcc_lo, v[84:85], v[86:87], v[84:85]
	s_mov_b32 s7, 2
	s_mov_b32 s6, 0
	s_delay_alu instid0(VALU_DEP_2) | instskip(SKIP_2) | instid1(VALU_DEP_1)
	v_rcp_f64_e32 v[102:103], v[100:101]
	s_waitcnt_depctr 0xfff
	v_fma_f64 v[104:105], -v[100:101], v[102:103], 1.0
	v_fma_f64 v[102:103], v[102:103], v[104:105], v[102:103]
	s_delay_alu instid0(VALU_DEP_1) | instskip(NEXT) | instid1(VALU_DEP_1)
	v_fma_f64 v[104:105], -v[100:101], v[102:103], 1.0
	v_fma_f64 v[102:103], v[102:103], v[104:105], v[102:103]
	s_delay_alu instid0(VALU_DEP_1) | instskip(NEXT) | instid1(VALU_DEP_1)
	v_mul_f64 v[104:105], v[106:107], v[102:103]
	v_fma_f64 v[100:101], -v[100:101], v[104:105], v[106:107]
	s_delay_alu instid0(VALU_DEP_1) | instskip(NEXT) | instid1(VALU_DEP_1)
	v_div_fmas_f64 v[100:101], v[100:101], v[102:103], v[104:105]
	v_div_fixup_f64 v[100:101], v[100:101], v[86:87], v[84:85]
	s_delay_alu instid0(VALU_DEP_1) | instskip(NEXT) | instid1(VALU_DEP_1)
	v_fma_f64 v[84:85], v[84:85], v[100:101], v[86:87]
	v_div_scale_f64 v[86:87], null, v[84:85], v[84:85], 1.0
	s_delay_alu instid0(VALU_DEP_1) | instskip(SKIP_2) | instid1(VALU_DEP_1)
	v_rcp_f64_e32 v[102:103], v[86:87]
	s_waitcnt_depctr 0xfff
	v_fma_f64 v[104:105], -v[86:87], v[102:103], 1.0
	v_fma_f64 v[102:103], v[102:103], v[104:105], v[102:103]
	s_delay_alu instid0(VALU_DEP_1) | instskip(NEXT) | instid1(VALU_DEP_1)
	v_fma_f64 v[104:105], -v[86:87], v[102:103], 1.0
	v_fma_f64 v[102:103], v[102:103], v[104:105], v[102:103]
	v_div_scale_f64 v[104:105], vcc_lo, 1.0, v[84:85], 1.0
	s_delay_alu instid0(VALU_DEP_1) | instskip(NEXT) | instid1(VALU_DEP_1)
	v_mul_f64 v[106:107], v[104:105], v[102:103]
	v_fma_f64 v[86:87], -v[86:87], v[106:107], v[104:105]
	s_delay_alu instid0(VALU_DEP_1) | instskip(NEXT) | instid1(VALU_DEP_1)
	v_div_fmas_f64 v[86:87], v[86:87], v[102:103], v[106:107]
	v_div_fixup_f64 v[86:87], v[86:87], v[84:85], 1.0
	s_delay_alu instid0(VALU_DEP_1)
	v_mul_f64 v[84:85], v[100:101], v[86:87]
	v_xor_b32_e32 v87, 0x80000000, v87
.LBB40_9:
	s_or_saveexec_b32 s2, s2
	v_dual_mov_b32 v101, s6 :: v_dual_mov_b32 v98, s7
	s_xor_b32 exec_lo, exec_lo, s2
	s_cbranch_execz .LBB40_11
; %bb.10:
	s_delay_alu instid0(VALU_DEP_3) | instskip(SKIP_2) | instid1(VALU_DEP_3)
	v_div_scale_f64 v[100:101], null, v[84:85], v[84:85], v[86:87]
	v_div_scale_f64 v[106:107], vcc_lo, v[86:87], v[84:85], v[86:87]
	v_mov_b32_e32 v98, 2
	v_rcp_f64_e32 v[102:103], v[100:101]
	s_waitcnt_depctr 0xfff
	v_fma_f64 v[104:105], -v[100:101], v[102:103], 1.0
	s_delay_alu instid0(VALU_DEP_1) | instskip(NEXT) | instid1(VALU_DEP_1)
	v_fma_f64 v[102:103], v[102:103], v[104:105], v[102:103]
	v_fma_f64 v[104:105], -v[100:101], v[102:103], 1.0
	s_delay_alu instid0(VALU_DEP_1) | instskip(NEXT) | instid1(VALU_DEP_1)
	v_fma_f64 v[102:103], v[102:103], v[104:105], v[102:103]
	v_mul_f64 v[104:105], v[106:107], v[102:103]
	s_delay_alu instid0(VALU_DEP_1) | instskip(NEXT) | instid1(VALU_DEP_1)
	v_fma_f64 v[100:101], -v[100:101], v[104:105], v[106:107]
	v_div_fmas_f64 v[100:101], v[100:101], v[102:103], v[104:105]
	s_delay_alu instid0(VALU_DEP_1) | instskip(NEXT) | instid1(VALU_DEP_1)
	v_div_fixup_f64 v[100:101], v[100:101], v[84:85], v[86:87]
	v_fma_f64 v[84:85], v[86:87], v[100:101], v[84:85]
	s_delay_alu instid0(VALU_DEP_1) | instskip(NEXT) | instid1(VALU_DEP_1)
	v_div_scale_f64 v[86:87], null, v[84:85], v[84:85], 1.0
	v_rcp_f64_e32 v[102:103], v[86:87]
	s_waitcnt_depctr 0xfff
	v_fma_f64 v[104:105], -v[86:87], v[102:103], 1.0
	s_delay_alu instid0(VALU_DEP_1) | instskip(NEXT) | instid1(VALU_DEP_1)
	v_fma_f64 v[102:103], v[102:103], v[104:105], v[102:103]
	v_fma_f64 v[104:105], -v[86:87], v[102:103], 1.0
	s_delay_alu instid0(VALU_DEP_1) | instskip(SKIP_1) | instid1(VALU_DEP_1)
	v_fma_f64 v[102:103], v[102:103], v[104:105], v[102:103]
	v_div_scale_f64 v[104:105], vcc_lo, 1.0, v[84:85], 1.0
	v_mul_f64 v[106:107], v[104:105], v[102:103]
	s_delay_alu instid0(VALU_DEP_1) | instskip(NEXT) | instid1(VALU_DEP_1)
	v_fma_f64 v[86:87], -v[86:87], v[106:107], v[104:105]
	v_div_fmas_f64 v[86:87], v[86:87], v[102:103], v[106:107]
	s_delay_alu instid0(VALU_DEP_1) | instskip(NEXT) | instid1(VALU_DEP_1)
	v_div_fixup_f64 v[84:85], v[86:87], v[84:85], 1.0
	v_mul_f64 v[86:87], v[100:101], -v[84:85]
	v_mov_b32_e32 v101, 0
.LBB40_11:
	s_or_b32 exec_lo, exec_lo, s2
.LBB40_12:
	s_delay_alu instid0(SALU_CYCLE_1) | instskip(NEXT) | instid1(SALU_CYCLE_1)
	s_or_b32 exec_lo, exec_lo, s3
	s_mov_b32 s2, exec_lo
	v_cmpx_ne_u32_e64 v97, v92
	s_xor_b32 s2, exec_lo, s2
	s_cbranch_execz .LBB40_18
; %bb.13:
	s_mov_b32 s3, exec_lo
	v_cmpx_eq_u32_e32 0, v97
	s_cbranch_execz .LBB40_17
; %bb.14:
	v_cmp_ne_u32_e32 vcc_lo, 0, v92
	s_xor_b32 s6, s4, -1
	s_delay_alu instid0(SALU_CYCLE_1) | instskip(NEXT) | instid1(SALU_CYCLE_1)
	s_and_b32 s7, s6, vcc_lo
	s_and_saveexec_b32 s6, s7
	s_cbranch_execz .LBB40_16
; %bb.15:
	v_ashrrev_i32_e32 v93, 31, v92
	s_delay_alu instid0(VALU_DEP_1) | instskip(NEXT) | instid1(VALU_DEP_1)
	v_lshlrev_b64 v[102:103], 2, v[92:93]
	v_add_co_u32 v102, vcc_lo, v90, v102
	s_delay_alu instid0(VALU_DEP_2)
	v_add_co_ci_u32_e32 v103, vcc_lo, v91, v103, vcc_lo
	s_clause 0x1
	flat_load_b32 v93, v[102:103]
	flat_load_b32 v97, v[90:91]
	s_waitcnt vmcnt(1) lgkmcnt(1)
	flat_store_b32 v[90:91], v93
	s_waitcnt vmcnt(0) lgkmcnt(1)
	flat_store_b32 v[102:103], v97
.LBB40_16:
	s_or_b32 exec_lo, exec_lo, s6
	v_mov_b32_e32 v97, v92
.LBB40_17:
	s_or_b32 exec_lo, exec_lo, s3
.LBB40_18:
	s_or_saveexec_b32 s2, s2
	s_delay_alu instid0(VALU_DEP_1)
	v_mov_b32_e32 v100, v97
	s_xor_b32 exec_lo, exec_lo, s2
	s_cbranch_execz .LBB40_20
; %bb.19:
	v_mov_b32_e32 v100, 0
	ds_store_2addr_b64 v94, v[68:69], v[70:71] offset0:2 offset1:3
	ds_store_2addr_b64 v94, v[76:77], v[78:79] offset0:4 offset1:5
	;; [unrolled: 1-line block ×20, first 2 shown]
.LBB40_20:
	s_or_b32 exec_lo, exec_lo, s2
	s_delay_alu instid0(SALU_CYCLE_1)
	s_mov_b32 s2, exec_lo
	s_waitcnt lgkmcnt(0)
	s_waitcnt_vscnt null, 0x0
	s_barrier
	buffer_gl0_inv
	v_cmpx_lt_i32_e32 0, v100
	s_cbranch_execz .LBB40_22
; %bb.21:
	v_mul_f64 v[92:93], v[84:85], v[82:83]
	v_mul_f64 v[166:167], v[86:87], v[82:83]
	ds_load_2addr_b64 v[102:105], v94 offset0:2 offset1:3
	ds_load_2addr_b64 v[106:109], v94 offset0:4 offset1:5
	;; [unrolled: 1-line block ×16, first 2 shown]
	v_fma_f64 v[82:83], v[86:87], v[80:81], v[92:93]
	v_fma_f64 v[80:81], v[84:85], v[80:81], -v[166:167]
	ds_load_2addr_b64 v[84:87], v94 offset0:34 offset1:35
	ds_load_2addr_b64 v[166:169], v94 offset0:36 offset1:37
	ds_load_2addr_b64 v[170:173], v94 offset0:38 offset1:39
	ds_load_2addr_b64 v[174:177], v94 offset0:40 offset1:41
	s_waitcnt lgkmcnt(19)
	v_mul_f64 v[92:93], v[104:105], v[82:83]
	v_mul_f64 v[178:179], v[102:103], v[82:83]
	s_waitcnt lgkmcnt(18)
	v_mul_f64 v[180:181], v[108:109], v[82:83]
	v_mul_f64 v[182:183], v[106:107], v[82:83]
	s_waitcnt lgkmcnt(17)
	v_mul_f64 v[184:185], v[112:113], v[82:83]
	v_mul_f64 v[186:187], v[110:111], v[82:83]
	s_waitcnt lgkmcnt(16)
	v_mul_f64 v[188:189], v[116:117], v[82:83]
	v_mul_f64 v[190:191], v[114:115], v[82:83]
	s_waitcnt lgkmcnt(15)
	v_mul_f64 v[192:193], v[120:121], v[82:83]
	v_mul_f64 v[194:195], v[118:119], v[82:83]
	s_waitcnt lgkmcnt(14)
	v_mul_f64 v[196:197], v[124:125], v[82:83]
	v_mul_f64 v[198:199], v[122:123], v[82:83]
	s_waitcnt lgkmcnt(13)
	v_mul_f64 v[200:201], v[128:129], v[82:83]
	v_mul_f64 v[202:203], v[126:127], v[82:83]
	s_waitcnt lgkmcnt(12)
	v_mul_f64 v[204:205], v[132:133], v[82:83]
	v_mul_f64 v[206:207], v[130:131], v[82:83]
	s_waitcnt lgkmcnt(11)
	v_mul_f64 v[208:209], v[136:137], v[82:83]
	v_mul_f64 v[210:211], v[134:135], v[82:83]
	s_waitcnt lgkmcnt(10)
	v_mul_f64 v[212:213], v[140:141], v[82:83]
	v_mul_f64 v[214:215], v[138:139], v[82:83]
	s_waitcnt lgkmcnt(9)
	v_mul_f64 v[216:217], v[144:145], v[82:83]
	v_mul_f64 v[218:219], v[142:143], v[82:83]
	s_waitcnt lgkmcnt(8)
	v_mul_f64 v[220:221], v[148:149], v[82:83]
	v_mul_f64 v[222:223], v[146:147], v[82:83]
	s_waitcnt lgkmcnt(7)
	v_mul_f64 v[224:225], v[152:153], v[82:83]
	v_mul_f64 v[226:227], v[150:151], v[82:83]
	s_waitcnt lgkmcnt(6)
	v_mul_f64 v[228:229], v[156:157], v[82:83]
	v_mul_f64 v[230:231], v[154:155], v[82:83]
	s_waitcnt lgkmcnt(5)
	v_mul_f64 v[232:233], v[160:161], v[82:83]
	v_mul_f64 v[234:235], v[158:159], v[82:83]
	s_waitcnt lgkmcnt(4)
	v_mul_f64 v[236:237], v[164:165], v[82:83]
	v_mul_f64 v[238:239], v[162:163], v[82:83]
	s_waitcnt lgkmcnt(3)
	v_mul_f64 v[240:241], v[86:87], v[82:83]
	v_mul_f64 v[242:243], v[84:85], v[82:83]
	v_fma_f64 v[92:93], v[102:103], v[80:81], -v[92:93]
	v_fma_f64 v[102:103], v[104:105], v[80:81], v[178:179]
	s_waitcnt lgkmcnt(2)
	v_mul_f64 v[104:105], v[168:169], v[82:83]
	v_mul_f64 v[178:179], v[166:167], v[82:83]
	v_fma_f64 v[106:107], v[106:107], v[80:81], -v[180:181]
	v_fma_f64 v[108:109], v[108:109], v[80:81], v[182:183]
	s_waitcnt lgkmcnt(1)
	v_mul_f64 v[180:181], v[172:173], v[82:83]
	v_mul_f64 v[182:183], v[170:171], v[82:83]
	;; [unrolled: 5-line block ×3, first 2 shown]
	v_fma_f64 v[114:115], v[114:115], v[80:81], -v[188:189]
	v_fma_f64 v[116:117], v[116:117], v[80:81], v[190:191]
	v_fma_f64 v[118:119], v[118:119], v[80:81], -v[192:193]
	v_fma_f64 v[120:121], v[120:121], v[80:81], v[194:195]
	v_fma_f64 v[122:123], v[122:123], v[80:81], -v[196:197]
	v_fma_f64 v[124:125], v[124:125], v[80:81], v[198:199]
	v_fma_f64 v[126:127], v[126:127], v[80:81], -v[200:201]
	v_fma_f64 v[128:129], v[128:129], v[80:81], v[202:203]
	v_fma_f64 v[130:131], v[130:131], v[80:81], -v[204:205]
	v_fma_f64 v[132:133], v[132:133], v[80:81], v[206:207]
	v_fma_f64 v[134:135], v[134:135], v[80:81], -v[208:209]
	v_fma_f64 v[136:137], v[136:137], v[80:81], v[210:211]
	v_fma_f64 v[138:139], v[138:139], v[80:81], -v[212:213]
	v_fma_f64 v[140:141], v[140:141], v[80:81], v[214:215]
	v_fma_f64 v[142:143], v[142:143], v[80:81], -v[216:217]
	v_fma_f64 v[144:145], v[144:145], v[80:81], v[218:219]
	v_fma_f64 v[146:147], v[146:147], v[80:81], -v[220:221]
	v_fma_f64 v[148:149], v[148:149], v[80:81], v[222:223]
	v_fma_f64 v[150:151], v[150:151], v[80:81], -v[224:225]
	v_fma_f64 v[152:153], v[152:153], v[80:81], v[226:227]
	v_fma_f64 v[154:155], v[154:155], v[80:81], -v[228:229]
	v_fma_f64 v[156:157], v[156:157], v[80:81], v[230:231]
	v_fma_f64 v[158:159], v[158:159], v[80:81], -v[232:233]
	v_fma_f64 v[160:161], v[160:161], v[80:81], v[234:235]
	v_fma_f64 v[162:163], v[162:163], v[80:81], -v[236:237]
	v_fma_f64 v[164:165], v[164:165], v[80:81], v[238:239]
	v_fma_f64 v[84:85], v[84:85], v[80:81], -v[240:241]
	v_fma_f64 v[86:87], v[86:87], v[80:81], v[242:243]
	v_fma_f64 v[104:105], v[166:167], v[80:81], -v[104:105]
	v_fma_f64 v[166:167], v[168:169], v[80:81], v[178:179]
	v_add_f64 v[68:69], v[68:69], -v[92:93]
	v_add_f64 v[70:71], v[70:71], -v[102:103]
	v_fma_f64 v[168:169], v[170:171], v[80:81], -v[180:181]
	v_fma_f64 v[170:171], v[172:173], v[80:81], v[182:183]
	v_add_f64 v[76:77], v[76:77], -v[106:107]
	v_add_f64 v[78:79], v[78:79], -v[108:109]
	v_fma_f64 v[172:173], v[174:175], v[80:81], -v[184:185]
	v_fma_f64 v[174:175], v[176:177], v[80:81], v[186:187]
	v_add_f64 v[72:73], v[72:73], -v[110:111]
	v_add_f64 v[74:75], v[74:75], -v[112:113]
	;; [unrolled: 1-line block ×36, first 2 shown]
.LBB40_22:
	s_or_b32 exec_lo, exec_lo, s2
	v_lshl_add_u32 v84, v100, 4, v94
	s_barrier
	buffer_gl0_inv
	v_mov_b32_e32 v92, 1
	ds_store_2addr_b64 v84, v[68:69], v[70:71] offset1:1
	s_waitcnt lgkmcnt(0)
	s_barrier
	buffer_gl0_inv
	ds_load_2addr_b64 v[84:87], v94 offset0:2 offset1:3
	s_cmp_lt_i32 s5, 3
	s_cbranch_scc1 .LBB40_25
; %bb.23:
	v_add3_u32 v93, v99, 0, 32
	v_mov_b32_e32 v92, 1
	s_mov_b32 s6, 2
	s_set_inst_prefetch_distance 0x1
	.p2align	6
.LBB40_24:                              ; =>This Inner Loop Header: Depth=1
	ds_load_2addr_b64 v[102:105], v93 offset1:1
	s_waitcnt lgkmcnt(1)
	v_cmp_gt_f64_e32 vcc_lo, 0, v[84:85]
	v_xor_b32_e32 v106, 0x80000000, v85
	v_cmp_gt_f64_e64 s2, 0, v[86:87]
	v_xor_b32_e32 v108, 0x80000000, v87
	v_add_nc_u32_e32 v93, 16, v93
	s_waitcnt lgkmcnt(0)
	v_cmp_gt_f64_e64 s3, 0, v[102:103]
	v_mov_b32_e32 v110, v102
	v_dual_mov_b32 v112, v104 :: v_dual_cndmask_b32 v107, v85, v106
	v_xor_b32_e32 v106, 0x80000000, v103
	v_cndmask_b32_e64 v109, v87, v108, s2
	v_xor_b32_e32 v108, 0x80000000, v105
	s_delay_alu instid0(VALU_DEP_3) | instskip(SKIP_2) | instid1(VALU_DEP_2)
	v_cndmask_b32_e64 v111, v103, v106, s3
	v_cmp_gt_f64_e64 s3, 0, v[104:105]
	v_cndmask_b32_e32 v106, v84, v84, vcc_lo
	v_cndmask_b32_e64 v113, v105, v108, s3
	v_cndmask_b32_e64 v108, v86, v86, s2
	s_delay_alu instid0(VALU_DEP_2) | instskip(NEXT) | instid1(VALU_DEP_2)
	v_add_f64 v[110:111], v[110:111], v[112:113]
	v_add_f64 v[106:107], v[106:107], v[108:109]
	s_delay_alu instid0(VALU_DEP_1)
	v_cmp_lt_f64_e32 vcc_lo, v[106:107], v[110:111]
	v_cndmask_b32_e32 v87, v87, v105, vcc_lo
	v_dual_cndmask_b32 v85, v85, v103 :: v_dual_cndmask_b32 v84, v84, v102
	v_cndmask_b32_e32 v86, v86, v104, vcc_lo
	v_cndmask_b32_e64 v92, v92, s6, vcc_lo
	s_add_i32 s6, s6, 1
	s_delay_alu instid0(SALU_CYCLE_1)
	s_cmp_lg_u32 s5, s6
	s_cbranch_scc1 .LBB40_24
.LBB40_25:
	s_set_inst_prefetch_distance 0x2
	s_waitcnt lgkmcnt(0)
	v_cmp_neq_f64_e32 vcc_lo, 0, v[84:85]
	v_cmp_neq_f64_e64 s2, 0, v[86:87]
	s_delay_alu instid0(VALU_DEP_1) | instskip(NEXT) | instid1(SALU_CYCLE_1)
	s_or_b32 s2, vcc_lo, s2
	s_and_saveexec_b32 s3, s2
	s_cbranch_execz .LBB40_31
; %bb.26:
	v_cmp_gt_f64_e32 vcc_lo, 0, v[84:85]
	v_cmp_gt_f64_e64 s2, 0, v[86:87]
	v_xor_b32_e32 v93, 0x80000000, v85
	v_xor_b32_e32 v98, 0x80000000, v87
	s_delay_alu instid0(VALU_DEP_2) | instskip(NEXT) | instid1(VALU_DEP_2)
	v_dual_cndmask_b32 v103, v85, v93 :: v_dual_cndmask_b32 v102, v84, v84
	v_cndmask_b32_e64 v105, v87, v98, s2
	v_cndmask_b32_e64 v104, v86, v86, s2
	s_mov_b32 s2, exec_lo
	s_delay_alu instid0(VALU_DEP_1)
	v_cmpx_ngt_f64_e32 v[102:103], v[104:105]
	s_xor_b32 s2, exec_lo, s2
	s_cbranch_execz .LBB40_28
; %bb.27:
	v_div_scale_f64 v[102:103], null, v[86:87], v[86:87], v[84:85]
	v_div_scale_f64 v[108:109], vcc_lo, v[84:85], v[86:87], v[84:85]
	s_delay_alu instid0(VALU_DEP_2) | instskip(SKIP_2) | instid1(VALU_DEP_1)
	v_rcp_f64_e32 v[104:105], v[102:103]
	s_waitcnt_depctr 0xfff
	v_fma_f64 v[106:107], -v[102:103], v[104:105], 1.0
	v_fma_f64 v[104:105], v[104:105], v[106:107], v[104:105]
	s_delay_alu instid0(VALU_DEP_1) | instskip(NEXT) | instid1(VALU_DEP_1)
	v_fma_f64 v[106:107], -v[102:103], v[104:105], 1.0
	v_fma_f64 v[104:105], v[104:105], v[106:107], v[104:105]
	s_delay_alu instid0(VALU_DEP_1) | instskip(NEXT) | instid1(VALU_DEP_1)
	v_mul_f64 v[106:107], v[108:109], v[104:105]
	v_fma_f64 v[102:103], -v[102:103], v[106:107], v[108:109]
	s_delay_alu instid0(VALU_DEP_1) | instskip(NEXT) | instid1(VALU_DEP_1)
	v_div_fmas_f64 v[102:103], v[102:103], v[104:105], v[106:107]
	v_div_fixup_f64 v[102:103], v[102:103], v[86:87], v[84:85]
	s_delay_alu instid0(VALU_DEP_1) | instskip(NEXT) | instid1(VALU_DEP_1)
	v_fma_f64 v[84:85], v[84:85], v[102:103], v[86:87]
	v_div_scale_f64 v[86:87], null, v[84:85], v[84:85], 1.0
	s_delay_alu instid0(VALU_DEP_1) | instskip(SKIP_2) | instid1(VALU_DEP_1)
	v_rcp_f64_e32 v[104:105], v[86:87]
	s_waitcnt_depctr 0xfff
	v_fma_f64 v[106:107], -v[86:87], v[104:105], 1.0
	v_fma_f64 v[104:105], v[104:105], v[106:107], v[104:105]
	s_delay_alu instid0(VALU_DEP_1) | instskip(NEXT) | instid1(VALU_DEP_1)
	v_fma_f64 v[106:107], -v[86:87], v[104:105], 1.0
	v_fma_f64 v[104:105], v[104:105], v[106:107], v[104:105]
	v_div_scale_f64 v[106:107], vcc_lo, 1.0, v[84:85], 1.0
	s_delay_alu instid0(VALU_DEP_1) | instskip(NEXT) | instid1(VALU_DEP_1)
	v_mul_f64 v[108:109], v[106:107], v[104:105]
	v_fma_f64 v[86:87], -v[86:87], v[108:109], v[106:107]
	s_delay_alu instid0(VALU_DEP_1) | instskip(NEXT) | instid1(VALU_DEP_1)
	v_div_fmas_f64 v[86:87], v[86:87], v[104:105], v[108:109]
	v_div_fixup_f64 v[86:87], v[86:87], v[84:85], 1.0
	s_delay_alu instid0(VALU_DEP_1)
	v_mul_f64 v[84:85], v[102:103], v[86:87]
	v_xor_b32_e32 v87, 0x80000000, v87
.LBB40_28:
	s_and_not1_saveexec_b32 s2, s2
	s_cbranch_execz .LBB40_30
; %bb.29:
	s_delay_alu instid0(VALU_DEP_1) | instskip(SKIP_1) | instid1(VALU_DEP_2)
	v_div_scale_f64 v[102:103], null, v[84:85], v[84:85], v[86:87]
	v_div_scale_f64 v[108:109], vcc_lo, v[86:87], v[84:85], v[86:87]
	v_rcp_f64_e32 v[104:105], v[102:103]
	s_waitcnt_depctr 0xfff
	v_fma_f64 v[106:107], -v[102:103], v[104:105], 1.0
	s_delay_alu instid0(VALU_DEP_1) | instskip(NEXT) | instid1(VALU_DEP_1)
	v_fma_f64 v[104:105], v[104:105], v[106:107], v[104:105]
	v_fma_f64 v[106:107], -v[102:103], v[104:105], 1.0
	s_delay_alu instid0(VALU_DEP_1) | instskip(NEXT) | instid1(VALU_DEP_1)
	v_fma_f64 v[104:105], v[104:105], v[106:107], v[104:105]
	v_mul_f64 v[106:107], v[108:109], v[104:105]
	s_delay_alu instid0(VALU_DEP_1) | instskip(NEXT) | instid1(VALU_DEP_1)
	v_fma_f64 v[102:103], -v[102:103], v[106:107], v[108:109]
	v_div_fmas_f64 v[102:103], v[102:103], v[104:105], v[106:107]
	s_delay_alu instid0(VALU_DEP_1) | instskip(NEXT) | instid1(VALU_DEP_1)
	v_div_fixup_f64 v[102:103], v[102:103], v[84:85], v[86:87]
	v_fma_f64 v[84:85], v[86:87], v[102:103], v[84:85]
	s_delay_alu instid0(VALU_DEP_1) | instskip(NEXT) | instid1(VALU_DEP_1)
	v_div_scale_f64 v[86:87], null, v[84:85], v[84:85], 1.0
	v_rcp_f64_e32 v[104:105], v[86:87]
	s_waitcnt_depctr 0xfff
	v_fma_f64 v[106:107], -v[86:87], v[104:105], 1.0
	s_delay_alu instid0(VALU_DEP_1) | instskip(NEXT) | instid1(VALU_DEP_1)
	v_fma_f64 v[104:105], v[104:105], v[106:107], v[104:105]
	v_fma_f64 v[106:107], -v[86:87], v[104:105], 1.0
	s_delay_alu instid0(VALU_DEP_1) | instskip(SKIP_1) | instid1(VALU_DEP_1)
	v_fma_f64 v[104:105], v[104:105], v[106:107], v[104:105]
	v_div_scale_f64 v[106:107], vcc_lo, 1.0, v[84:85], 1.0
	v_mul_f64 v[108:109], v[106:107], v[104:105]
	s_delay_alu instid0(VALU_DEP_1) | instskip(NEXT) | instid1(VALU_DEP_1)
	v_fma_f64 v[86:87], -v[86:87], v[108:109], v[106:107]
	v_div_fmas_f64 v[86:87], v[86:87], v[104:105], v[108:109]
	s_delay_alu instid0(VALU_DEP_1) | instskip(NEXT) | instid1(VALU_DEP_1)
	v_div_fixup_f64 v[84:85], v[86:87], v[84:85], 1.0
	v_mul_f64 v[86:87], v[102:103], -v[84:85]
.LBB40_30:
	s_or_b32 exec_lo, exec_lo, s2
	v_mov_b32_e32 v98, v101
.LBB40_31:
	s_or_b32 exec_lo, exec_lo, s3
	s_delay_alu instid0(SALU_CYCLE_1)
	s_mov_b32 s2, exec_lo
	v_cmpx_ne_u32_e64 v100, v92
	s_xor_b32 s2, exec_lo, s2
	s_cbranch_execz .LBB40_37
; %bb.32:
	s_mov_b32 s3, exec_lo
	v_cmpx_eq_u32_e32 1, v100
	s_cbranch_execz .LBB40_36
; %bb.33:
	v_cmp_ne_u32_e32 vcc_lo, 1, v92
	s_xor_b32 s6, s4, -1
	s_delay_alu instid0(SALU_CYCLE_1) | instskip(NEXT) | instid1(SALU_CYCLE_1)
	s_and_b32 s7, s6, vcc_lo
	s_and_saveexec_b32 s6, s7
	s_cbranch_execz .LBB40_35
; %bb.34:
	v_ashrrev_i32_e32 v93, 31, v92
	s_delay_alu instid0(VALU_DEP_1) | instskip(NEXT) | instid1(VALU_DEP_1)
	v_lshlrev_b64 v[100:101], 2, v[92:93]
	v_add_co_u32 v100, vcc_lo, v90, v100
	s_delay_alu instid0(VALU_DEP_2)
	v_add_co_ci_u32_e32 v101, vcc_lo, v91, v101, vcc_lo
	s_clause 0x1
	flat_load_b32 v93, v[100:101]
	flat_load_b32 v97, v[90:91] offset:4
	s_waitcnt vmcnt(1) lgkmcnt(1)
	flat_store_b32 v[90:91], v93 offset:4
	s_waitcnt vmcnt(0) lgkmcnt(1)
	flat_store_b32 v[100:101], v97
.LBB40_35:
	s_or_b32 exec_lo, exec_lo, s6
	v_mov_b32_e32 v100, v92
	v_mov_b32_e32 v97, v92
.LBB40_36:
	s_or_b32 exec_lo, exec_lo, s3
.LBB40_37:
	s_and_not1_saveexec_b32 s2, s2
	s_cbranch_execz .LBB40_39
; %bb.38:
	v_mov_b32_e32 v100, 1
	ds_store_2addr_b64 v94, v[76:77], v[78:79] offset0:4 offset1:5
	ds_store_2addr_b64 v94, v[72:73], v[74:75] offset0:6 offset1:7
	;; [unrolled: 1-line block ×19, first 2 shown]
.LBB40_39:
	s_or_b32 exec_lo, exec_lo, s2
	s_delay_alu instid0(SALU_CYCLE_1)
	s_mov_b32 s2, exec_lo
	s_waitcnt lgkmcnt(0)
	s_waitcnt_vscnt null, 0x0
	s_barrier
	buffer_gl0_inv
	v_cmpx_lt_i32_e32 1, v100
	s_cbranch_execz .LBB40_41
; %bb.40:
	v_mul_f64 v[92:93], v[84:85], v[70:71]
	v_mul_f64 v[177:178], v[86:87], v[70:71]
	ds_load_2addr_b64 v[101:104], v94 offset0:4 offset1:5
	ds_load_2addr_b64 v[105:108], v94 offset0:6 offset1:7
	;; [unrolled: 1-line block ×19, first 2 shown]
	v_fma_f64 v[70:71], v[86:87], v[68:69], v[92:93]
	v_fma_f64 v[68:69], v[84:85], v[68:69], -v[177:178]
	s_waitcnt lgkmcnt(18)
	s_delay_alu instid0(VALU_DEP_2)
	v_mul_f64 v[84:85], v[103:104], v[70:71]
	v_mul_f64 v[86:87], v[101:102], v[70:71]
	s_waitcnt lgkmcnt(17)
	v_mul_f64 v[92:93], v[107:108], v[70:71]
	v_mul_f64 v[177:178], v[105:106], v[70:71]
	s_waitcnt lgkmcnt(16)
	;; [unrolled: 3-line block ×18, first 2 shown]
	v_mul_f64 v[243:244], v[175:176], v[70:71]
	v_mul_f64 v[245:246], v[173:174], v[70:71]
	v_fma_f64 v[84:85], v[101:102], v[68:69], -v[84:85]
	v_fma_f64 v[86:87], v[103:104], v[68:69], v[86:87]
	v_fma_f64 v[92:93], v[105:106], v[68:69], -v[92:93]
	v_fma_f64 v[101:102], v[107:108], v[68:69], v[177:178]
	;; [unrolled: 2-line block ×19, first 2 shown]
	v_add_f64 v[76:77], v[76:77], -v[84:85]
	v_add_f64 v[78:79], v[78:79], -v[86:87]
	;; [unrolled: 1-line block ×38, first 2 shown]
.LBB40_41:
	s_or_b32 exec_lo, exec_lo, s2
	v_lshl_add_u32 v84, v100, 4, v94
	s_barrier
	buffer_gl0_inv
	v_mov_b32_e32 v92, 2
	ds_store_2addr_b64 v84, v[76:77], v[78:79] offset1:1
	s_waitcnt lgkmcnt(0)
	s_barrier
	buffer_gl0_inv
	ds_load_2addr_b64 v[84:87], v94 offset0:4 offset1:5
	s_cmp_lt_i32 s5, 4
	s_cbranch_scc1 .LBB40_44
; %bb.42:
	v_add3_u32 v93, v99, 0, 48
	v_mov_b32_e32 v92, 2
	s_mov_b32 s6, 3
	s_set_inst_prefetch_distance 0x1
	.p2align	6
.LBB40_43:                              ; =>This Inner Loop Header: Depth=1
	ds_load_2addr_b64 v[101:104], v93 offset1:1
	s_waitcnt lgkmcnt(1)
	v_cmp_gt_f64_e32 vcc_lo, 0, v[84:85]
	v_xor_b32_e32 v105, 0x80000000, v85
	v_cmp_gt_f64_e64 s2, 0, v[86:87]
	v_xor_b32_e32 v107, 0x80000000, v87
	v_add_nc_u32_e32 v93, 16, v93
	s_waitcnt lgkmcnt(0)
	v_cmp_gt_f64_e64 s3, 0, v[101:102]
	v_mov_b32_e32 v109, v101
	v_dual_mov_b32 v111, v103 :: v_dual_cndmask_b32 v106, v85, v105
	v_xor_b32_e32 v105, 0x80000000, v102
	v_cndmask_b32_e64 v108, v87, v107, s2
	v_xor_b32_e32 v107, 0x80000000, v104
	s_delay_alu instid0(VALU_DEP_3) | instskip(SKIP_2) | instid1(VALU_DEP_2)
	v_cndmask_b32_e64 v110, v102, v105, s3
	v_cmp_gt_f64_e64 s3, 0, v[103:104]
	v_cndmask_b32_e32 v105, v84, v84, vcc_lo
	v_cndmask_b32_e64 v112, v104, v107, s3
	v_cndmask_b32_e64 v107, v86, v86, s2
	s_delay_alu instid0(VALU_DEP_2) | instskip(NEXT) | instid1(VALU_DEP_2)
	v_add_f64 v[109:110], v[109:110], v[111:112]
	v_add_f64 v[105:106], v[105:106], v[107:108]
	s_delay_alu instid0(VALU_DEP_1) | instskip(SKIP_4) | instid1(SALU_CYCLE_1)
	v_cmp_lt_f64_e32 vcc_lo, v[105:106], v[109:110]
	v_dual_cndmask_b32 v86, v86, v103 :: v_dual_cndmask_b32 v85, v85, v102
	v_dual_cndmask_b32 v84, v84, v101 :: v_dual_cndmask_b32 v87, v87, v104
	v_cndmask_b32_e64 v92, v92, s6, vcc_lo
	s_add_i32 s6, s6, 1
	s_cmp_lg_u32 s5, s6
	s_cbranch_scc1 .LBB40_43
.LBB40_44:
	s_set_inst_prefetch_distance 0x2
	s_waitcnt lgkmcnt(0)
	v_cmp_eq_f64_e32 vcc_lo, 0, v[84:85]
	v_cmp_eq_f64_e64 s2, 0, v[86:87]
	s_delay_alu instid0(VALU_DEP_1) | instskip(NEXT) | instid1(SALU_CYCLE_1)
	s_and_b32 s2, vcc_lo, s2
	s_and_saveexec_b32 s3, s2
	s_delay_alu instid0(SALU_CYCLE_1)
	s_xor_b32 s2, exec_lo, s3
; %bb.45:
	v_cmp_ne_u32_e32 vcc_lo, 0, v98
	v_cndmask_b32_e32 v98, 3, v98, vcc_lo
; %bb.46:
	s_and_not1_saveexec_b32 s3, s2
	s_cbranch_execz .LBB40_52
; %bb.47:
	v_cmp_gt_f64_e32 vcc_lo, 0, v[84:85]
	v_cmp_gt_f64_e64 s2, 0, v[86:87]
	v_xor_b32_e32 v93, 0x80000000, v85
	v_xor_b32_e32 v101, 0x80000000, v87
	s_delay_alu instid0(VALU_DEP_2) | instskip(NEXT) | instid1(VALU_DEP_2)
	v_cndmask_b32_e32 v102, v85, v93, vcc_lo
	v_cndmask_b32_e64 v104, v87, v101, s2
	v_cndmask_b32_e32 v101, v84, v84, vcc_lo
	v_cndmask_b32_e64 v103, v86, v86, s2
	s_mov_b32 s2, exec_lo
	s_delay_alu instid0(VALU_DEP_1)
	v_cmpx_ngt_f64_e32 v[101:102], v[103:104]
	s_xor_b32 s2, exec_lo, s2
	s_cbranch_execz .LBB40_49
; %bb.48:
	v_div_scale_f64 v[101:102], null, v[86:87], v[86:87], v[84:85]
	v_div_scale_f64 v[107:108], vcc_lo, v[84:85], v[86:87], v[84:85]
	s_delay_alu instid0(VALU_DEP_2) | instskip(SKIP_2) | instid1(VALU_DEP_1)
	v_rcp_f64_e32 v[103:104], v[101:102]
	s_waitcnt_depctr 0xfff
	v_fma_f64 v[105:106], -v[101:102], v[103:104], 1.0
	v_fma_f64 v[103:104], v[103:104], v[105:106], v[103:104]
	s_delay_alu instid0(VALU_DEP_1) | instskip(NEXT) | instid1(VALU_DEP_1)
	v_fma_f64 v[105:106], -v[101:102], v[103:104], 1.0
	v_fma_f64 v[103:104], v[103:104], v[105:106], v[103:104]
	s_delay_alu instid0(VALU_DEP_1) | instskip(NEXT) | instid1(VALU_DEP_1)
	v_mul_f64 v[105:106], v[107:108], v[103:104]
	v_fma_f64 v[101:102], -v[101:102], v[105:106], v[107:108]
	s_delay_alu instid0(VALU_DEP_1) | instskip(NEXT) | instid1(VALU_DEP_1)
	v_div_fmas_f64 v[101:102], v[101:102], v[103:104], v[105:106]
	v_div_fixup_f64 v[101:102], v[101:102], v[86:87], v[84:85]
	s_delay_alu instid0(VALU_DEP_1) | instskip(NEXT) | instid1(VALU_DEP_1)
	v_fma_f64 v[84:85], v[84:85], v[101:102], v[86:87]
	v_div_scale_f64 v[86:87], null, v[84:85], v[84:85], 1.0
	s_delay_alu instid0(VALU_DEP_1) | instskip(SKIP_2) | instid1(VALU_DEP_1)
	v_rcp_f64_e32 v[103:104], v[86:87]
	s_waitcnt_depctr 0xfff
	v_fma_f64 v[105:106], -v[86:87], v[103:104], 1.0
	v_fma_f64 v[103:104], v[103:104], v[105:106], v[103:104]
	s_delay_alu instid0(VALU_DEP_1) | instskip(NEXT) | instid1(VALU_DEP_1)
	v_fma_f64 v[105:106], -v[86:87], v[103:104], 1.0
	v_fma_f64 v[103:104], v[103:104], v[105:106], v[103:104]
	v_div_scale_f64 v[105:106], vcc_lo, 1.0, v[84:85], 1.0
	s_delay_alu instid0(VALU_DEP_1) | instskip(NEXT) | instid1(VALU_DEP_1)
	v_mul_f64 v[107:108], v[105:106], v[103:104]
	v_fma_f64 v[86:87], -v[86:87], v[107:108], v[105:106]
	s_delay_alu instid0(VALU_DEP_1) | instskip(NEXT) | instid1(VALU_DEP_1)
	v_div_fmas_f64 v[86:87], v[86:87], v[103:104], v[107:108]
	v_div_fixup_f64 v[86:87], v[86:87], v[84:85], 1.0
	s_delay_alu instid0(VALU_DEP_1)
	v_mul_f64 v[84:85], v[101:102], v[86:87]
	v_xor_b32_e32 v87, 0x80000000, v87
.LBB40_49:
	s_and_not1_saveexec_b32 s2, s2
	s_cbranch_execz .LBB40_51
; %bb.50:
	s_delay_alu instid0(VALU_DEP_1) | instskip(SKIP_1) | instid1(VALU_DEP_2)
	v_div_scale_f64 v[101:102], null, v[84:85], v[84:85], v[86:87]
	v_div_scale_f64 v[107:108], vcc_lo, v[86:87], v[84:85], v[86:87]
	v_rcp_f64_e32 v[103:104], v[101:102]
	s_waitcnt_depctr 0xfff
	v_fma_f64 v[105:106], -v[101:102], v[103:104], 1.0
	s_delay_alu instid0(VALU_DEP_1) | instskip(NEXT) | instid1(VALU_DEP_1)
	v_fma_f64 v[103:104], v[103:104], v[105:106], v[103:104]
	v_fma_f64 v[105:106], -v[101:102], v[103:104], 1.0
	s_delay_alu instid0(VALU_DEP_1) | instskip(NEXT) | instid1(VALU_DEP_1)
	v_fma_f64 v[103:104], v[103:104], v[105:106], v[103:104]
	v_mul_f64 v[105:106], v[107:108], v[103:104]
	s_delay_alu instid0(VALU_DEP_1) | instskip(NEXT) | instid1(VALU_DEP_1)
	v_fma_f64 v[101:102], -v[101:102], v[105:106], v[107:108]
	v_div_fmas_f64 v[101:102], v[101:102], v[103:104], v[105:106]
	s_delay_alu instid0(VALU_DEP_1) | instskip(NEXT) | instid1(VALU_DEP_1)
	v_div_fixup_f64 v[101:102], v[101:102], v[84:85], v[86:87]
	v_fma_f64 v[84:85], v[86:87], v[101:102], v[84:85]
	s_delay_alu instid0(VALU_DEP_1) | instskip(NEXT) | instid1(VALU_DEP_1)
	v_div_scale_f64 v[86:87], null, v[84:85], v[84:85], 1.0
	v_rcp_f64_e32 v[103:104], v[86:87]
	s_waitcnt_depctr 0xfff
	v_fma_f64 v[105:106], -v[86:87], v[103:104], 1.0
	s_delay_alu instid0(VALU_DEP_1) | instskip(NEXT) | instid1(VALU_DEP_1)
	v_fma_f64 v[103:104], v[103:104], v[105:106], v[103:104]
	v_fma_f64 v[105:106], -v[86:87], v[103:104], 1.0
	s_delay_alu instid0(VALU_DEP_1) | instskip(SKIP_1) | instid1(VALU_DEP_1)
	v_fma_f64 v[103:104], v[103:104], v[105:106], v[103:104]
	v_div_scale_f64 v[105:106], vcc_lo, 1.0, v[84:85], 1.0
	v_mul_f64 v[107:108], v[105:106], v[103:104]
	s_delay_alu instid0(VALU_DEP_1) | instskip(NEXT) | instid1(VALU_DEP_1)
	v_fma_f64 v[86:87], -v[86:87], v[107:108], v[105:106]
	v_div_fmas_f64 v[86:87], v[86:87], v[103:104], v[107:108]
	s_delay_alu instid0(VALU_DEP_1) | instskip(NEXT) | instid1(VALU_DEP_1)
	v_div_fixup_f64 v[84:85], v[86:87], v[84:85], 1.0
	v_mul_f64 v[86:87], v[101:102], -v[84:85]
.LBB40_51:
	s_or_b32 exec_lo, exec_lo, s2
.LBB40_52:
	s_delay_alu instid0(SALU_CYCLE_1) | instskip(NEXT) | instid1(SALU_CYCLE_1)
	s_or_b32 exec_lo, exec_lo, s3
	s_mov_b32 s2, exec_lo
	v_cmpx_ne_u32_e64 v100, v92
	s_xor_b32 s2, exec_lo, s2
	s_cbranch_execz .LBB40_58
; %bb.53:
	s_mov_b32 s3, exec_lo
	v_cmpx_eq_u32_e32 2, v100
	s_cbranch_execz .LBB40_57
; %bb.54:
	v_cmp_ne_u32_e32 vcc_lo, 2, v92
	s_xor_b32 s6, s4, -1
	s_delay_alu instid0(SALU_CYCLE_1) | instskip(NEXT) | instid1(SALU_CYCLE_1)
	s_and_b32 s7, s6, vcc_lo
	s_and_saveexec_b32 s6, s7
	s_cbranch_execz .LBB40_56
; %bb.55:
	v_ashrrev_i32_e32 v93, 31, v92
	s_delay_alu instid0(VALU_DEP_1) | instskip(NEXT) | instid1(VALU_DEP_1)
	v_lshlrev_b64 v[100:101], 2, v[92:93]
	v_add_co_u32 v100, vcc_lo, v90, v100
	s_delay_alu instid0(VALU_DEP_2)
	v_add_co_ci_u32_e32 v101, vcc_lo, v91, v101, vcc_lo
	s_clause 0x1
	flat_load_b32 v93, v[100:101]
	flat_load_b32 v97, v[90:91] offset:8
	s_waitcnt vmcnt(1) lgkmcnt(1)
	flat_store_b32 v[90:91], v93 offset:8
	s_waitcnt vmcnt(0) lgkmcnt(1)
	flat_store_b32 v[100:101], v97
.LBB40_56:
	s_or_b32 exec_lo, exec_lo, s6
	v_mov_b32_e32 v100, v92
	v_mov_b32_e32 v97, v92
.LBB40_57:
	s_or_b32 exec_lo, exec_lo, s3
.LBB40_58:
	s_and_not1_saveexec_b32 s2, s2
	s_cbranch_execz .LBB40_60
; %bb.59:
	v_mov_b32_e32 v100, 2
	ds_store_2addr_b64 v94, v[72:73], v[74:75] offset0:6 offset1:7
	ds_store_2addr_b64 v94, v[64:65], v[66:67] offset0:8 offset1:9
	;; [unrolled: 1-line block ×18, first 2 shown]
.LBB40_60:
	s_or_b32 exec_lo, exec_lo, s2
	s_delay_alu instid0(SALU_CYCLE_1)
	s_mov_b32 s2, exec_lo
	s_waitcnt lgkmcnt(0)
	s_waitcnt_vscnt null, 0x0
	s_barrier
	buffer_gl0_inv
	v_cmpx_lt_i32_e32 2, v100
	s_cbranch_execz .LBB40_62
; %bb.61:
	v_mul_f64 v[92:93], v[84:85], v[78:79]
	v_mul_f64 v[173:174], v[86:87], v[78:79]
	ds_load_2addr_b64 v[101:104], v94 offset0:6 offset1:7
	ds_load_2addr_b64 v[105:108], v94 offset0:8 offset1:9
	;; [unrolled: 1-line block ×18, first 2 shown]
	v_fma_f64 v[78:79], v[86:87], v[76:77], v[92:93]
	v_fma_f64 v[76:77], v[84:85], v[76:77], -v[173:174]
	s_waitcnt lgkmcnt(17)
	s_delay_alu instid0(VALU_DEP_2)
	v_mul_f64 v[84:85], v[103:104], v[78:79]
	v_mul_f64 v[86:87], v[101:102], v[78:79]
	s_waitcnt lgkmcnt(16)
	v_mul_f64 v[92:93], v[107:108], v[78:79]
	v_mul_f64 v[173:174], v[105:106], v[78:79]
	s_waitcnt lgkmcnt(15)
	;; [unrolled: 3-line block ×17, first 2 shown]
	v_mul_f64 v[235:236], v[171:172], v[78:79]
	v_mul_f64 v[237:238], v[169:170], v[78:79]
	v_fma_f64 v[84:85], v[101:102], v[76:77], -v[84:85]
	v_fma_f64 v[86:87], v[103:104], v[76:77], v[86:87]
	v_fma_f64 v[92:93], v[105:106], v[76:77], -v[92:93]
	v_fma_f64 v[101:102], v[107:108], v[76:77], v[173:174]
	;; [unrolled: 2-line block ×18, first 2 shown]
	v_add_f64 v[72:73], v[72:73], -v[84:85]
	v_add_f64 v[74:75], v[74:75], -v[86:87]
	;; [unrolled: 1-line block ×36, first 2 shown]
.LBB40_62:
	s_or_b32 exec_lo, exec_lo, s2
	v_lshl_add_u32 v84, v100, 4, v94
	s_barrier
	buffer_gl0_inv
	v_mov_b32_e32 v92, 3
	ds_store_2addr_b64 v84, v[72:73], v[74:75] offset1:1
	s_waitcnt lgkmcnt(0)
	s_barrier
	buffer_gl0_inv
	ds_load_2addr_b64 v[84:87], v94 offset0:6 offset1:7
	s_cmp_lt_i32 s5, 5
	s_mov_b32 s6, 4
	s_cbranch_scc1 .LBB40_65
; %bb.63:
	v_add3_u32 v93, v99, 0, 64
	v_mov_b32_e32 v92, 3
	s_set_inst_prefetch_distance 0x1
	.p2align	6
.LBB40_64:                              ; =>This Inner Loop Header: Depth=1
	ds_load_2addr_b64 v[101:104], v93 offset1:1
	s_waitcnt lgkmcnt(1)
	v_cmp_gt_f64_e32 vcc_lo, 0, v[84:85]
	v_xor_b32_e32 v105, 0x80000000, v85
	v_cmp_gt_f64_e64 s2, 0, v[86:87]
	v_xor_b32_e32 v107, 0x80000000, v87
	v_add_nc_u32_e32 v93, 16, v93
	s_waitcnt lgkmcnt(0)
	v_cmp_gt_f64_e64 s3, 0, v[101:102]
	v_mov_b32_e32 v109, v101
	v_dual_mov_b32 v111, v103 :: v_dual_cndmask_b32 v106, v85, v105
	v_xor_b32_e32 v105, 0x80000000, v102
	v_cndmask_b32_e64 v108, v87, v107, s2
	v_xor_b32_e32 v107, 0x80000000, v104
	s_delay_alu instid0(VALU_DEP_3) | instskip(SKIP_2) | instid1(VALU_DEP_2)
	v_cndmask_b32_e64 v110, v102, v105, s3
	v_cmp_gt_f64_e64 s3, 0, v[103:104]
	v_cndmask_b32_e32 v105, v84, v84, vcc_lo
	v_cndmask_b32_e64 v112, v104, v107, s3
	v_cndmask_b32_e64 v107, v86, v86, s2
	s_delay_alu instid0(VALU_DEP_2) | instskip(NEXT) | instid1(VALU_DEP_2)
	v_add_f64 v[109:110], v[109:110], v[111:112]
	v_add_f64 v[105:106], v[105:106], v[107:108]
	s_delay_alu instid0(VALU_DEP_1) | instskip(SKIP_4) | instid1(SALU_CYCLE_1)
	v_cmp_lt_f64_e32 vcc_lo, v[105:106], v[109:110]
	v_dual_cndmask_b32 v86, v86, v103 :: v_dual_cndmask_b32 v85, v85, v102
	v_dual_cndmask_b32 v84, v84, v101 :: v_dual_cndmask_b32 v87, v87, v104
	v_cndmask_b32_e64 v92, v92, s6, vcc_lo
	s_add_i32 s6, s6, 1
	s_cmp_lg_u32 s5, s6
	s_cbranch_scc1 .LBB40_64
.LBB40_65:
	s_set_inst_prefetch_distance 0x2
	s_waitcnt lgkmcnt(0)
	v_cmp_eq_f64_e32 vcc_lo, 0, v[84:85]
	v_cmp_eq_f64_e64 s2, 0, v[86:87]
	s_delay_alu instid0(VALU_DEP_1) | instskip(NEXT) | instid1(SALU_CYCLE_1)
	s_and_b32 s2, vcc_lo, s2
	s_and_saveexec_b32 s3, s2
	s_delay_alu instid0(SALU_CYCLE_1)
	s_xor_b32 s2, exec_lo, s3
; %bb.66:
	v_cmp_ne_u32_e32 vcc_lo, 0, v98
	v_cndmask_b32_e32 v98, 4, v98, vcc_lo
; %bb.67:
	s_and_not1_saveexec_b32 s3, s2
	s_cbranch_execz .LBB40_73
; %bb.68:
	v_cmp_gt_f64_e32 vcc_lo, 0, v[84:85]
	v_cmp_gt_f64_e64 s2, 0, v[86:87]
	v_xor_b32_e32 v93, 0x80000000, v85
	v_xor_b32_e32 v101, 0x80000000, v87
	s_delay_alu instid0(VALU_DEP_2) | instskip(NEXT) | instid1(VALU_DEP_2)
	v_cndmask_b32_e32 v102, v85, v93, vcc_lo
	v_cndmask_b32_e64 v104, v87, v101, s2
	v_cndmask_b32_e32 v101, v84, v84, vcc_lo
	v_cndmask_b32_e64 v103, v86, v86, s2
	s_mov_b32 s2, exec_lo
	s_delay_alu instid0(VALU_DEP_1)
	v_cmpx_ngt_f64_e32 v[101:102], v[103:104]
	s_xor_b32 s2, exec_lo, s2
	s_cbranch_execz .LBB40_70
; %bb.69:
	v_div_scale_f64 v[101:102], null, v[86:87], v[86:87], v[84:85]
	v_div_scale_f64 v[107:108], vcc_lo, v[84:85], v[86:87], v[84:85]
	s_delay_alu instid0(VALU_DEP_2) | instskip(SKIP_2) | instid1(VALU_DEP_1)
	v_rcp_f64_e32 v[103:104], v[101:102]
	s_waitcnt_depctr 0xfff
	v_fma_f64 v[105:106], -v[101:102], v[103:104], 1.0
	v_fma_f64 v[103:104], v[103:104], v[105:106], v[103:104]
	s_delay_alu instid0(VALU_DEP_1) | instskip(NEXT) | instid1(VALU_DEP_1)
	v_fma_f64 v[105:106], -v[101:102], v[103:104], 1.0
	v_fma_f64 v[103:104], v[103:104], v[105:106], v[103:104]
	s_delay_alu instid0(VALU_DEP_1) | instskip(NEXT) | instid1(VALU_DEP_1)
	v_mul_f64 v[105:106], v[107:108], v[103:104]
	v_fma_f64 v[101:102], -v[101:102], v[105:106], v[107:108]
	s_delay_alu instid0(VALU_DEP_1) | instskip(NEXT) | instid1(VALU_DEP_1)
	v_div_fmas_f64 v[101:102], v[101:102], v[103:104], v[105:106]
	v_div_fixup_f64 v[101:102], v[101:102], v[86:87], v[84:85]
	s_delay_alu instid0(VALU_DEP_1) | instskip(NEXT) | instid1(VALU_DEP_1)
	v_fma_f64 v[84:85], v[84:85], v[101:102], v[86:87]
	v_div_scale_f64 v[86:87], null, v[84:85], v[84:85], 1.0
	s_delay_alu instid0(VALU_DEP_1) | instskip(SKIP_2) | instid1(VALU_DEP_1)
	v_rcp_f64_e32 v[103:104], v[86:87]
	s_waitcnt_depctr 0xfff
	v_fma_f64 v[105:106], -v[86:87], v[103:104], 1.0
	v_fma_f64 v[103:104], v[103:104], v[105:106], v[103:104]
	s_delay_alu instid0(VALU_DEP_1) | instskip(NEXT) | instid1(VALU_DEP_1)
	v_fma_f64 v[105:106], -v[86:87], v[103:104], 1.0
	v_fma_f64 v[103:104], v[103:104], v[105:106], v[103:104]
	v_div_scale_f64 v[105:106], vcc_lo, 1.0, v[84:85], 1.0
	s_delay_alu instid0(VALU_DEP_1) | instskip(NEXT) | instid1(VALU_DEP_1)
	v_mul_f64 v[107:108], v[105:106], v[103:104]
	v_fma_f64 v[86:87], -v[86:87], v[107:108], v[105:106]
	s_delay_alu instid0(VALU_DEP_1) | instskip(NEXT) | instid1(VALU_DEP_1)
	v_div_fmas_f64 v[86:87], v[86:87], v[103:104], v[107:108]
	v_div_fixup_f64 v[86:87], v[86:87], v[84:85], 1.0
	s_delay_alu instid0(VALU_DEP_1)
	v_mul_f64 v[84:85], v[101:102], v[86:87]
	v_xor_b32_e32 v87, 0x80000000, v87
.LBB40_70:
	s_and_not1_saveexec_b32 s2, s2
	s_cbranch_execz .LBB40_72
; %bb.71:
	s_delay_alu instid0(VALU_DEP_1) | instskip(SKIP_1) | instid1(VALU_DEP_2)
	v_div_scale_f64 v[101:102], null, v[84:85], v[84:85], v[86:87]
	v_div_scale_f64 v[107:108], vcc_lo, v[86:87], v[84:85], v[86:87]
	v_rcp_f64_e32 v[103:104], v[101:102]
	s_waitcnt_depctr 0xfff
	v_fma_f64 v[105:106], -v[101:102], v[103:104], 1.0
	s_delay_alu instid0(VALU_DEP_1) | instskip(NEXT) | instid1(VALU_DEP_1)
	v_fma_f64 v[103:104], v[103:104], v[105:106], v[103:104]
	v_fma_f64 v[105:106], -v[101:102], v[103:104], 1.0
	s_delay_alu instid0(VALU_DEP_1) | instskip(NEXT) | instid1(VALU_DEP_1)
	v_fma_f64 v[103:104], v[103:104], v[105:106], v[103:104]
	v_mul_f64 v[105:106], v[107:108], v[103:104]
	s_delay_alu instid0(VALU_DEP_1) | instskip(NEXT) | instid1(VALU_DEP_1)
	v_fma_f64 v[101:102], -v[101:102], v[105:106], v[107:108]
	v_div_fmas_f64 v[101:102], v[101:102], v[103:104], v[105:106]
	s_delay_alu instid0(VALU_DEP_1) | instskip(NEXT) | instid1(VALU_DEP_1)
	v_div_fixup_f64 v[101:102], v[101:102], v[84:85], v[86:87]
	v_fma_f64 v[84:85], v[86:87], v[101:102], v[84:85]
	s_delay_alu instid0(VALU_DEP_1) | instskip(NEXT) | instid1(VALU_DEP_1)
	v_div_scale_f64 v[86:87], null, v[84:85], v[84:85], 1.0
	v_rcp_f64_e32 v[103:104], v[86:87]
	s_waitcnt_depctr 0xfff
	v_fma_f64 v[105:106], -v[86:87], v[103:104], 1.0
	s_delay_alu instid0(VALU_DEP_1) | instskip(NEXT) | instid1(VALU_DEP_1)
	v_fma_f64 v[103:104], v[103:104], v[105:106], v[103:104]
	v_fma_f64 v[105:106], -v[86:87], v[103:104], 1.0
	s_delay_alu instid0(VALU_DEP_1) | instskip(SKIP_1) | instid1(VALU_DEP_1)
	v_fma_f64 v[103:104], v[103:104], v[105:106], v[103:104]
	v_div_scale_f64 v[105:106], vcc_lo, 1.0, v[84:85], 1.0
	v_mul_f64 v[107:108], v[105:106], v[103:104]
	s_delay_alu instid0(VALU_DEP_1) | instskip(NEXT) | instid1(VALU_DEP_1)
	v_fma_f64 v[86:87], -v[86:87], v[107:108], v[105:106]
	v_div_fmas_f64 v[86:87], v[86:87], v[103:104], v[107:108]
	s_delay_alu instid0(VALU_DEP_1) | instskip(NEXT) | instid1(VALU_DEP_1)
	v_div_fixup_f64 v[84:85], v[86:87], v[84:85], 1.0
	v_mul_f64 v[86:87], v[101:102], -v[84:85]
.LBB40_72:
	s_or_b32 exec_lo, exec_lo, s2
.LBB40_73:
	s_delay_alu instid0(SALU_CYCLE_1) | instskip(NEXT) | instid1(SALU_CYCLE_1)
	s_or_b32 exec_lo, exec_lo, s3
	s_mov_b32 s2, exec_lo
	v_cmpx_ne_u32_e64 v100, v92
	s_xor_b32 s2, exec_lo, s2
	s_cbranch_execz .LBB40_79
; %bb.74:
	s_mov_b32 s3, exec_lo
	v_cmpx_eq_u32_e32 3, v100
	s_cbranch_execz .LBB40_78
; %bb.75:
	v_cmp_ne_u32_e32 vcc_lo, 3, v92
	s_xor_b32 s6, s4, -1
	s_delay_alu instid0(SALU_CYCLE_1) | instskip(NEXT) | instid1(SALU_CYCLE_1)
	s_and_b32 s7, s6, vcc_lo
	s_and_saveexec_b32 s6, s7
	s_cbranch_execz .LBB40_77
; %bb.76:
	v_ashrrev_i32_e32 v93, 31, v92
	s_delay_alu instid0(VALU_DEP_1) | instskip(NEXT) | instid1(VALU_DEP_1)
	v_lshlrev_b64 v[100:101], 2, v[92:93]
	v_add_co_u32 v100, vcc_lo, v90, v100
	s_delay_alu instid0(VALU_DEP_2)
	v_add_co_ci_u32_e32 v101, vcc_lo, v91, v101, vcc_lo
	s_clause 0x1
	flat_load_b32 v93, v[100:101]
	flat_load_b32 v97, v[90:91] offset:12
	s_waitcnt vmcnt(1) lgkmcnt(1)
	flat_store_b32 v[90:91], v93 offset:12
	s_waitcnt vmcnt(0) lgkmcnt(1)
	flat_store_b32 v[100:101], v97
.LBB40_77:
	s_or_b32 exec_lo, exec_lo, s6
	v_mov_b32_e32 v100, v92
	v_mov_b32_e32 v97, v92
.LBB40_78:
	s_or_b32 exec_lo, exec_lo, s3
.LBB40_79:
	s_and_not1_saveexec_b32 s2, s2
	s_cbranch_execz .LBB40_81
; %bb.80:
	v_mov_b32_e32 v100, 3
	ds_store_2addr_b64 v94, v[64:65], v[66:67] offset0:8 offset1:9
	ds_store_2addr_b64 v94, v[60:61], v[62:63] offset0:10 offset1:11
	;; [unrolled: 1-line block ×17, first 2 shown]
.LBB40_81:
	s_or_b32 exec_lo, exec_lo, s2
	s_delay_alu instid0(SALU_CYCLE_1)
	s_mov_b32 s2, exec_lo
	s_waitcnt lgkmcnt(0)
	s_waitcnt_vscnt null, 0x0
	s_barrier
	buffer_gl0_inv
	v_cmpx_lt_i32_e32 3, v100
	s_cbranch_execz .LBB40_83
; %bb.82:
	v_mul_f64 v[92:93], v[84:85], v[74:75]
	v_mul_f64 v[169:170], v[86:87], v[74:75]
	ds_load_2addr_b64 v[101:104], v94 offset0:8 offset1:9
	ds_load_2addr_b64 v[105:108], v94 offset0:10 offset1:11
	ds_load_2addr_b64 v[109:112], v94 offset0:12 offset1:13
	ds_load_2addr_b64 v[113:116], v94 offset0:14 offset1:15
	ds_load_2addr_b64 v[117:120], v94 offset0:16 offset1:17
	ds_load_2addr_b64 v[121:124], v94 offset0:18 offset1:19
	ds_load_2addr_b64 v[125:128], v94 offset0:20 offset1:21
	ds_load_2addr_b64 v[129:132], v94 offset0:22 offset1:23
	ds_load_2addr_b64 v[133:136], v94 offset0:24 offset1:25
	ds_load_2addr_b64 v[137:140], v94 offset0:26 offset1:27
	ds_load_2addr_b64 v[141:144], v94 offset0:28 offset1:29
	ds_load_2addr_b64 v[145:148], v94 offset0:30 offset1:31
	ds_load_2addr_b64 v[149:152], v94 offset0:32 offset1:33
	ds_load_2addr_b64 v[153:156], v94 offset0:34 offset1:35
	ds_load_2addr_b64 v[157:160], v94 offset0:36 offset1:37
	ds_load_2addr_b64 v[161:164], v94 offset0:38 offset1:39
	ds_load_2addr_b64 v[165:168], v94 offset0:40 offset1:41
	v_fma_f64 v[74:75], v[86:87], v[72:73], v[92:93]
	v_fma_f64 v[72:73], v[84:85], v[72:73], -v[169:170]
	s_waitcnt lgkmcnt(16)
	s_delay_alu instid0(VALU_DEP_2)
	v_mul_f64 v[84:85], v[103:104], v[74:75]
	v_mul_f64 v[86:87], v[101:102], v[74:75]
	s_waitcnt lgkmcnt(15)
	v_mul_f64 v[92:93], v[107:108], v[74:75]
	v_mul_f64 v[169:170], v[105:106], v[74:75]
	s_waitcnt lgkmcnt(14)
	;; [unrolled: 3-line block ×16, first 2 shown]
	v_mul_f64 v[227:228], v[167:168], v[74:75]
	v_mul_f64 v[229:230], v[165:166], v[74:75]
	v_fma_f64 v[84:85], v[101:102], v[72:73], -v[84:85]
	v_fma_f64 v[86:87], v[103:104], v[72:73], v[86:87]
	v_fma_f64 v[92:93], v[105:106], v[72:73], -v[92:93]
	v_fma_f64 v[101:102], v[107:108], v[72:73], v[169:170]
	;; [unrolled: 2-line block ×17, first 2 shown]
	v_add_f64 v[64:65], v[64:65], -v[84:85]
	v_add_f64 v[66:67], v[66:67], -v[86:87]
	;; [unrolled: 1-line block ×34, first 2 shown]
.LBB40_83:
	s_or_b32 exec_lo, exec_lo, s2
	v_lshl_add_u32 v84, v100, 4, v94
	s_barrier
	buffer_gl0_inv
	v_mov_b32_e32 v92, 4
	ds_store_2addr_b64 v84, v[64:65], v[66:67] offset1:1
	s_waitcnt lgkmcnt(0)
	s_barrier
	buffer_gl0_inv
	ds_load_2addr_b64 v[84:87], v94 offset0:8 offset1:9
	s_cmp_lt_i32 s5, 6
	s_cbranch_scc1 .LBB40_86
; %bb.84:
	v_add3_u32 v93, v99, 0, 0x50
	v_mov_b32_e32 v92, 4
	s_mov_b32 s6, 5
	s_set_inst_prefetch_distance 0x1
	.p2align	6
.LBB40_85:                              ; =>This Inner Loop Header: Depth=1
	ds_load_2addr_b64 v[101:104], v93 offset1:1
	s_waitcnt lgkmcnt(1)
	v_cmp_gt_f64_e32 vcc_lo, 0, v[84:85]
	v_xor_b32_e32 v105, 0x80000000, v85
	v_cmp_gt_f64_e64 s2, 0, v[86:87]
	v_xor_b32_e32 v107, 0x80000000, v87
	v_add_nc_u32_e32 v93, 16, v93
	s_waitcnt lgkmcnt(0)
	v_cmp_gt_f64_e64 s3, 0, v[101:102]
	v_mov_b32_e32 v109, v101
	v_dual_mov_b32 v111, v103 :: v_dual_cndmask_b32 v106, v85, v105
	v_xor_b32_e32 v105, 0x80000000, v102
	v_cndmask_b32_e64 v108, v87, v107, s2
	v_xor_b32_e32 v107, 0x80000000, v104
	s_delay_alu instid0(VALU_DEP_3) | instskip(SKIP_2) | instid1(VALU_DEP_2)
	v_cndmask_b32_e64 v110, v102, v105, s3
	v_cmp_gt_f64_e64 s3, 0, v[103:104]
	v_cndmask_b32_e32 v105, v84, v84, vcc_lo
	v_cndmask_b32_e64 v112, v104, v107, s3
	v_cndmask_b32_e64 v107, v86, v86, s2
	s_delay_alu instid0(VALU_DEP_2) | instskip(NEXT) | instid1(VALU_DEP_2)
	v_add_f64 v[109:110], v[109:110], v[111:112]
	v_add_f64 v[105:106], v[105:106], v[107:108]
	s_delay_alu instid0(VALU_DEP_1) | instskip(SKIP_4) | instid1(SALU_CYCLE_1)
	v_cmp_lt_f64_e32 vcc_lo, v[105:106], v[109:110]
	v_dual_cndmask_b32 v86, v86, v103 :: v_dual_cndmask_b32 v85, v85, v102
	v_dual_cndmask_b32 v84, v84, v101 :: v_dual_cndmask_b32 v87, v87, v104
	v_cndmask_b32_e64 v92, v92, s6, vcc_lo
	s_add_i32 s6, s6, 1
	s_cmp_lg_u32 s5, s6
	s_cbranch_scc1 .LBB40_85
.LBB40_86:
	s_set_inst_prefetch_distance 0x2
	s_waitcnt lgkmcnt(0)
	v_cmp_eq_f64_e32 vcc_lo, 0, v[84:85]
	v_cmp_eq_f64_e64 s2, 0, v[86:87]
	s_delay_alu instid0(VALU_DEP_1) | instskip(NEXT) | instid1(SALU_CYCLE_1)
	s_and_b32 s2, vcc_lo, s2
	s_and_saveexec_b32 s3, s2
	s_delay_alu instid0(SALU_CYCLE_1)
	s_xor_b32 s2, exec_lo, s3
; %bb.87:
	v_cmp_ne_u32_e32 vcc_lo, 0, v98
	v_cndmask_b32_e32 v98, 5, v98, vcc_lo
; %bb.88:
	s_and_not1_saveexec_b32 s3, s2
	s_cbranch_execz .LBB40_94
; %bb.89:
	v_cmp_gt_f64_e32 vcc_lo, 0, v[84:85]
	v_cmp_gt_f64_e64 s2, 0, v[86:87]
	v_xor_b32_e32 v93, 0x80000000, v85
	v_xor_b32_e32 v101, 0x80000000, v87
	s_delay_alu instid0(VALU_DEP_2) | instskip(NEXT) | instid1(VALU_DEP_2)
	v_cndmask_b32_e32 v102, v85, v93, vcc_lo
	v_cndmask_b32_e64 v104, v87, v101, s2
	v_cndmask_b32_e32 v101, v84, v84, vcc_lo
	v_cndmask_b32_e64 v103, v86, v86, s2
	s_mov_b32 s2, exec_lo
	s_delay_alu instid0(VALU_DEP_1)
	v_cmpx_ngt_f64_e32 v[101:102], v[103:104]
	s_xor_b32 s2, exec_lo, s2
	s_cbranch_execz .LBB40_91
; %bb.90:
	v_div_scale_f64 v[101:102], null, v[86:87], v[86:87], v[84:85]
	v_div_scale_f64 v[107:108], vcc_lo, v[84:85], v[86:87], v[84:85]
	s_delay_alu instid0(VALU_DEP_2) | instskip(SKIP_2) | instid1(VALU_DEP_1)
	v_rcp_f64_e32 v[103:104], v[101:102]
	s_waitcnt_depctr 0xfff
	v_fma_f64 v[105:106], -v[101:102], v[103:104], 1.0
	v_fma_f64 v[103:104], v[103:104], v[105:106], v[103:104]
	s_delay_alu instid0(VALU_DEP_1) | instskip(NEXT) | instid1(VALU_DEP_1)
	v_fma_f64 v[105:106], -v[101:102], v[103:104], 1.0
	v_fma_f64 v[103:104], v[103:104], v[105:106], v[103:104]
	s_delay_alu instid0(VALU_DEP_1) | instskip(NEXT) | instid1(VALU_DEP_1)
	v_mul_f64 v[105:106], v[107:108], v[103:104]
	v_fma_f64 v[101:102], -v[101:102], v[105:106], v[107:108]
	s_delay_alu instid0(VALU_DEP_1) | instskip(NEXT) | instid1(VALU_DEP_1)
	v_div_fmas_f64 v[101:102], v[101:102], v[103:104], v[105:106]
	v_div_fixup_f64 v[101:102], v[101:102], v[86:87], v[84:85]
	s_delay_alu instid0(VALU_DEP_1) | instskip(NEXT) | instid1(VALU_DEP_1)
	v_fma_f64 v[84:85], v[84:85], v[101:102], v[86:87]
	v_div_scale_f64 v[86:87], null, v[84:85], v[84:85], 1.0
	s_delay_alu instid0(VALU_DEP_1) | instskip(SKIP_2) | instid1(VALU_DEP_1)
	v_rcp_f64_e32 v[103:104], v[86:87]
	s_waitcnt_depctr 0xfff
	v_fma_f64 v[105:106], -v[86:87], v[103:104], 1.0
	v_fma_f64 v[103:104], v[103:104], v[105:106], v[103:104]
	s_delay_alu instid0(VALU_DEP_1) | instskip(NEXT) | instid1(VALU_DEP_1)
	v_fma_f64 v[105:106], -v[86:87], v[103:104], 1.0
	v_fma_f64 v[103:104], v[103:104], v[105:106], v[103:104]
	v_div_scale_f64 v[105:106], vcc_lo, 1.0, v[84:85], 1.0
	s_delay_alu instid0(VALU_DEP_1) | instskip(NEXT) | instid1(VALU_DEP_1)
	v_mul_f64 v[107:108], v[105:106], v[103:104]
	v_fma_f64 v[86:87], -v[86:87], v[107:108], v[105:106]
	s_delay_alu instid0(VALU_DEP_1) | instskip(NEXT) | instid1(VALU_DEP_1)
	v_div_fmas_f64 v[86:87], v[86:87], v[103:104], v[107:108]
	v_div_fixup_f64 v[86:87], v[86:87], v[84:85], 1.0
	s_delay_alu instid0(VALU_DEP_1)
	v_mul_f64 v[84:85], v[101:102], v[86:87]
	v_xor_b32_e32 v87, 0x80000000, v87
.LBB40_91:
	s_and_not1_saveexec_b32 s2, s2
	s_cbranch_execz .LBB40_93
; %bb.92:
	s_delay_alu instid0(VALU_DEP_1) | instskip(SKIP_1) | instid1(VALU_DEP_2)
	v_div_scale_f64 v[101:102], null, v[84:85], v[84:85], v[86:87]
	v_div_scale_f64 v[107:108], vcc_lo, v[86:87], v[84:85], v[86:87]
	v_rcp_f64_e32 v[103:104], v[101:102]
	s_waitcnt_depctr 0xfff
	v_fma_f64 v[105:106], -v[101:102], v[103:104], 1.0
	s_delay_alu instid0(VALU_DEP_1) | instskip(NEXT) | instid1(VALU_DEP_1)
	v_fma_f64 v[103:104], v[103:104], v[105:106], v[103:104]
	v_fma_f64 v[105:106], -v[101:102], v[103:104], 1.0
	s_delay_alu instid0(VALU_DEP_1) | instskip(NEXT) | instid1(VALU_DEP_1)
	v_fma_f64 v[103:104], v[103:104], v[105:106], v[103:104]
	v_mul_f64 v[105:106], v[107:108], v[103:104]
	s_delay_alu instid0(VALU_DEP_1) | instskip(NEXT) | instid1(VALU_DEP_1)
	v_fma_f64 v[101:102], -v[101:102], v[105:106], v[107:108]
	v_div_fmas_f64 v[101:102], v[101:102], v[103:104], v[105:106]
	s_delay_alu instid0(VALU_DEP_1) | instskip(NEXT) | instid1(VALU_DEP_1)
	v_div_fixup_f64 v[101:102], v[101:102], v[84:85], v[86:87]
	v_fma_f64 v[84:85], v[86:87], v[101:102], v[84:85]
	s_delay_alu instid0(VALU_DEP_1) | instskip(NEXT) | instid1(VALU_DEP_1)
	v_div_scale_f64 v[86:87], null, v[84:85], v[84:85], 1.0
	v_rcp_f64_e32 v[103:104], v[86:87]
	s_waitcnt_depctr 0xfff
	v_fma_f64 v[105:106], -v[86:87], v[103:104], 1.0
	s_delay_alu instid0(VALU_DEP_1) | instskip(NEXT) | instid1(VALU_DEP_1)
	v_fma_f64 v[103:104], v[103:104], v[105:106], v[103:104]
	v_fma_f64 v[105:106], -v[86:87], v[103:104], 1.0
	s_delay_alu instid0(VALU_DEP_1) | instskip(SKIP_1) | instid1(VALU_DEP_1)
	v_fma_f64 v[103:104], v[103:104], v[105:106], v[103:104]
	v_div_scale_f64 v[105:106], vcc_lo, 1.0, v[84:85], 1.0
	v_mul_f64 v[107:108], v[105:106], v[103:104]
	s_delay_alu instid0(VALU_DEP_1) | instskip(NEXT) | instid1(VALU_DEP_1)
	v_fma_f64 v[86:87], -v[86:87], v[107:108], v[105:106]
	v_div_fmas_f64 v[86:87], v[86:87], v[103:104], v[107:108]
	s_delay_alu instid0(VALU_DEP_1) | instskip(NEXT) | instid1(VALU_DEP_1)
	v_div_fixup_f64 v[84:85], v[86:87], v[84:85], 1.0
	v_mul_f64 v[86:87], v[101:102], -v[84:85]
.LBB40_93:
	s_or_b32 exec_lo, exec_lo, s2
.LBB40_94:
	s_delay_alu instid0(SALU_CYCLE_1) | instskip(NEXT) | instid1(SALU_CYCLE_1)
	s_or_b32 exec_lo, exec_lo, s3
	s_mov_b32 s2, exec_lo
	v_cmpx_ne_u32_e64 v100, v92
	s_xor_b32 s2, exec_lo, s2
	s_cbranch_execz .LBB40_100
; %bb.95:
	s_mov_b32 s3, exec_lo
	v_cmpx_eq_u32_e32 4, v100
	s_cbranch_execz .LBB40_99
; %bb.96:
	v_cmp_ne_u32_e32 vcc_lo, 4, v92
	s_xor_b32 s6, s4, -1
	s_delay_alu instid0(SALU_CYCLE_1) | instskip(NEXT) | instid1(SALU_CYCLE_1)
	s_and_b32 s7, s6, vcc_lo
	s_and_saveexec_b32 s6, s7
	s_cbranch_execz .LBB40_98
; %bb.97:
	v_ashrrev_i32_e32 v93, 31, v92
	s_delay_alu instid0(VALU_DEP_1) | instskip(NEXT) | instid1(VALU_DEP_1)
	v_lshlrev_b64 v[100:101], 2, v[92:93]
	v_add_co_u32 v100, vcc_lo, v90, v100
	s_delay_alu instid0(VALU_DEP_2)
	v_add_co_ci_u32_e32 v101, vcc_lo, v91, v101, vcc_lo
	s_clause 0x1
	flat_load_b32 v93, v[100:101]
	flat_load_b32 v97, v[90:91] offset:16
	s_waitcnt vmcnt(1) lgkmcnt(1)
	flat_store_b32 v[90:91], v93 offset:16
	s_waitcnt vmcnt(0) lgkmcnt(1)
	flat_store_b32 v[100:101], v97
.LBB40_98:
	s_or_b32 exec_lo, exec_lo, s6
	v_mov_b32_e32 v100, v92
	v_mov_b32_e32 v97, v92
.LBB40_99:
	s_or_b32 exec_lo, exec_lo, s3
.LBB40_100:
	s_and_not1_saveexec_b32 s2, s2
	s_cbranch_execz .LBB40_102
; %bb.101:
	v_mov_b32_e32 v100, 4
	ds_store_2addr_b64 v94, v[60:61], v[62:63] offset0:10 offset1:11
	ds_store_2addr_b64 v94, v[52:53], v[54:55] offset0:12 offset1:13
	;; [unrolled: 1-line block ×16, first 2 shown]
.LBB40_102:
	s_or_b32 exec_lo, exec_lo, s2
	s_delay_alu instid0(SALU_CYCLE_1)
	s_mov_b32 s2, exec_lo
	s_waitcnt lgkmcnt(0)
	s_waitcnt_vscnt null, 0x0
	s_barrier
	buffer_gl0_inv
	v_cmpx_lt_i32_e32 4, v100
	s_cbranch_execz .LBB40_104
; %bb.103:
	v_mul_f64 v[92:93], v[84:85], v[66:67]
	v_mul_f64 v[66:67], v[86:87], v[66:67]
	ds_load_2addr_b64 v[101:104], v94 offset0:10 offset1:11
	ds_load_2addr_b64 v[105:108], v94 offset0:12 offset1:13
	;; [unrolled: 1-line block ×16, first 2 shown]
	v_fma_f64 v[86:87], v[86:87], v[64:65], v[92:93]
	v_fma_f64 v[64:65], v[84:85], v[64:65], -v[66:67]
	s_waitcnt lgkmcnt(15)
	s_delay_alu instid0(VALU_DEP_2)
	v_mul_f64 v[66:67], v[103:104], v[86:87]
	v_mul_f64 v[84:85], v[101:102], v[86:87]
	s_waitcnt lgkmcnt(14)
	v_mul_f64 v[92:93], v[107:108], v[86:87]
	v_mul_f64 v[165:166], v[105:106], v[86:87]
	s_waitcnt lgkmcnt(13)
	;; [unrolled: 3-line block ×15, first 2 shown]
	v_mul_f64 v[219:220], v[163:164], v[86:87]
	v_mul_f64 v[221:222], v[161:162], v[86:87]
	v_fma_f64 v[66:67], v[101:102], v[64:65], -v[66:67]
	v_fma_f64 v[84:85], v[103:104], v[64:65], v[84:85]
	v_fma_f64 v[92:93], v[105:106], v[64:65], -v[92:93]
	v_fma_f64 v[101:102], v[107:108], v[64:65], v[165:166]
	;; [unrolled: 2-line block ×16, first 2 shown]
	v_add_f64 v[60:61], v[60:61], -v[66:67]
	v_add_f64 v[62:63], v[62:63], -v[84:85]
	;; [unrolled: 1-line block ×32, first 2 shown]
	v_dual_mov_b32 v66, v86 :: v_dual_mov_b32 v67, v87
.LBB40_104:
	s_or_b32 exec_lo, exec_lo, s2
	v_lshl_add_u32 v84, v100, 4, v94
	s_barrier
	buffer_gl0_inv
	v_mov_b32_e32 v92, 5
	ds_store_2addr_b64 v84, v[60:61], v[62:63] offset1:1
	s_waitcnt lgkmcnt(0)
	s_barrier
	buffer_gl0_inv
	ds_load_2addr_b64 v[84:87], v94 offset0:10 offset1:11
	s_cmp_lt_i32 s5, 7
	s_cbranch_scc1 .LBB40_107
; %bb.105:
	v_add3_u32 v93, v99, 0, 0x60
	v_mov_b32_e32 v92, 5
	s_mov_b32 s6, 6
	s_set_inst_prefetch_distance 0x1
	.p2align	6
.LBB40_106:                             ; =>This Inner Loop Header: Depth=1
	ds_load_2addr_b64 v[101:104], v93 offset1:1
	s_waitcnt lgkmcnt(1)
	v_cmp_gt_f64_e32 vcc_lo, 0, v[84:85]
	v_xor_b32_e32 v105, 0x80000000, v85
	v_cmp_gt_f64_e64 s2, 0, v[86:87]
	v_xor_b32_e32 v107, 0x80000000, v87
	v_add_nc_u32_e32 v93, 16, v93
	s_waitcnt lgkmcnt(0)
	v_cmp_gt_f64_e64 s3, 0, v[101:102]
	v_mov_b32_e32 v109, v101
	v_dual_mov_b32 v111, v103 :: v_dual_cndmask_b32 v106, v85, v105
	v_xor_b32_e32 v105, 0x80000000, v102
	v_cndmask_b32_e64 v108, v87, v107, s2
	v_xor_b32_e32 v107, 0x80000000, v104
	s_delay_alu instid0(VALU_DEP_3) | instskip(SKIP_2) | instid1(VALU_DEP_2)
	v_cndmask_b32_e64 v110, v102, v105, s3
	v_cmp_gt_f64_e64 s3, 0, v[103:104]
	v_cndmask_b32_e32 v105, v84, v84, vcc_lo
	v_cndmask_b32_e64 v112, v104, v107, s3
	v_cndmask_b32_e64 v107, v86, v86, s2
	s_delay_alu instid0(VALU_DEP_2) | instskip(NEXT) | instid1(VALU_DEP_2)
	v_add_f64 v[109:110], v[109:110], v[111:112]
	v_add_f64 v[105:106], v[105:106], v[107:108]
	s_delay_alu instid0(VALU_DEP_1) | instskip(SKIP_4) | instid1(SALU_CYCLE_1)
	v_cmp_lt_f64_e32 vcc_lo, v[105:106], v[109:110]
	v_dual_cndmask_b32 v86, v86, v103 :: v_dual_cndmask_b32 v85, v85, v102
	v_dual_cndmask_b32 v84, v84, v101 :: v_dual_cndmask_b32 v87, v87, v104
	v_cndmask_b32_e64 v92, v92, s6, vcc_lo
	s_add_i32 s6, s6, 1
	s_cmp_lg_u32 s5, s6
	s_cbranch_scc1 .LBB40_106
.LBB40_107:
	s_set_inst_prefetch_distance 0x2
	s_waitcnt lgkmcnt(0)
	v_cmp_eq_f64_e32 vcc_lo, 0, v[84:85]
	v_cmp_eq_f64_e64 s2, 0, v[86:87]
	s_delay_alu instid0(VALU_DEP_1) | instskip(NEXT) | instid1(SALU_CYCLE_1)
	s_and_b32 s2, vcc_lo, s2
	s_and_saveexec_b32 s3, s2
	s_delay_alu instid0(SALU_CYCLE_1)
	s_xor_b32 s2, exec_lo, s3
; %bb.108:
	v_cmp_ne_u32_e32 vcc_lo, 0, v98
	v_cndmask_b32_e32 v98, 6, v98, vcc_lo
; %bb.109:
	s_and_not1_saveexec_b32 s3, s2
	s_cbranch_execz .LBB40_115
; %bb.110:
	v_cmp_gt_f64_e32 vcc_lo, 0, v[84:85]
	v_cmp_gt_f64_e64 s2, 0, v[86:87]
	v_xor_b32_e32 v93, 0x80000000, v85
	v_xor_b32_e32 v101, 0x80000000, v87
	s_delay_alu instid0(VALU_DEP_2) | instskip(NEXT) | instid1(VALU_DEP_2)
	v_cndmask_b32_e32 v102, v85, v93, vcc_lo
	v_cndmask_b32_e64 v104, v87, v101, s2
	v_cndmask_b32_e32 v101, v84, v84, vcc_lo
	v_cndmask_b32_e64 v103, v86, v86, s2
	s_mov_b32 s2, exec_lo
	s_delay_alu instid0(VALU_DEP_1)
	v_cmpx_ngt_f64_e32 v[101:102], v[103:104]
	s_xor_b32 s2, exec_lo, s2
	s_cbranch_execz .LBB40_112
; %bb.111:
	v_div_scale_f64 v[101:102], null, v[86:87], v[86:87], v[84:85]
	v_div_scale_f64 v[107:108], vcc_lo, v[84:85], v[86:87], v[84:85]
	s_delay_alu instid0(VALU_DEP_2) | instskip(SKIP_2) | instid1(VALU_DEP_1)
	v_rcp_f64_e32 v[103:104], v[101:102]
	s_waitcnt_depctr 0xfff
	v_fma_f64 v[105:106], -v[101:102], v[103:104], 1.0
	v_fma_f64 v[103:104], v[103:104], v[105:106], v[103:104]
	s_delay_alu instid0(VALU_DEP_1) | instskip(NEXT) | instid1(VALU_DEP_1)
	v_fma_f64 v[105:106], -v[101:102], v[103:104], 1.0
	v_fma_f64 v[103:104], v[103:104], v[105:106], v[103:104]
	s_delay_alu instid0(VALU_DEP_1) | instskip(NEXT) | instid1(VALU_DEP_1)
	v_mul_f64 v[105:106], v[107:108], v[103:104]
	v_fma_f64 v[101:102], -v[101:102], v[105:106], v[107:108]
	s_delay_alu instid0(VALU_DEP_1) | instskip(NEXT) | instid1(VALU_DEP_1)
	v_div_fmas_f64 v[101:102], v[101:102], v[103:104], v[105:106]
	v_div_fixup_f64 v[101:102], v[101:102], v[86:87], v[84:85]
	s_delay_alu instid0(VALU_DEP_1) | instskip(NEXT) | instid1(VALU_DEP_1)
	v_fma_f64 v[84:85], v[84:85], v[101:102], v[86:87]
	v_div_scale_f64 v[86:87], null, v[84:85], v[84:85], 1.0
	s_delay_alu instid0(VALU_DEP_1) | instskip(SKIP_2) | instid1(VALU_DEP_1)
	v_rcp_f64_e32 v[103:104], v[86:87]
	s_waitcnt_depctr 0xfff
	v_fma_f64 v[105:106], -v[86:87], v[103:104], 1.0
	v_fma_f64 v[103:104], v[103:104], v[105:106], v[103:104]
	s_delay_alu instid0(VALU_DEP_1) | instskip(NEXT) | instid1(VALU_DEP_1)
	v_fma_f64 v[105:106], -v[86:87], v[103:104], 1.0
	v_fma_f64 v[103:104], v[103:104], v[105:106], v[103:104]
	v_div_scale_f64 v[105:106], vcc_lo, 1.0, v[84:85], 1.0
	s_delay_alu instid0(VALU_DEP_1) | instskip(NEXT) | instid1(VALU_DEP_1)
	v_mul_f64 v[107:108], v[105:106], v[103:104]
	v_fma_f64 v[86:87], -v[86:87], v[107:108], v[105:106]
	s_delay_alu instid0(VALU_DEP_1) | instskip(NEXT) | instid1(VALU_DEP_1)
	v_div_fmas_f64 v[86:87], v[86:87], v[103:104], v[107:108]
	v_div_fixup_f64 v[86:87], v[86:87], v[84:85], 1.0
	s_delay_alu instid0(VALU_DEP_1)
	v_mul_f64 v[84:85], v[101:102], v[86:87]
	v_xor_b32_e32 v87, 0x80000000, v87
.LBB40_112:
	s_and_not1_saveexec_b32 s2, s2
	s_cbranch_execz .LBB40_114
; %bb.113:
	s_delay_alu instid0(VALU_DEP_1) | instskip(SKIP_1) | instid1(VALU_DEP_2)
	v_div_scale_f64 v[101:102], null, v[84:85], v[84:85], v[86:87]
	v_div_scale_f64 v[107:108], vcc_lo, v[86:87], v[84:85], v[86:87]
	v_rcp_f64_e32 v[103:104], v[101:102]
	s_waitcnt_depctr 0xfff
	v_fma_f64 v[105:106], -v[101:102], v[103:104], 1.0
	s_delay_alu instid0(VALU_DEP_1) | instskip(NEXT) | instid1(VALU_DEP_1)
	v_fma_f64 v[103:104], v[103:104], v[105:106], v[103:104]
	v_fma_f64 v[105:106], -v[101:102], v[103:104], 1.0
	s_delay_alu instid0(VALU_DEP_1) | instskip(NEXT) | instid1(VALU_DEP_1)
	v_fma_f64 v[103:104], v[103:104], v[105:106], v[103:104]
	v_mul_f64 v[105:106], v[107:108], v[103:104]
	s_delay_alu instid0(VALU_DEP_1) | instskip(NEXT) | instid1(VALU_DEP_1)
	v_fma_f64 v[101:102], -v[101:102], v[105:106], v[107:108]
	v_div_fmas_f64 v[101:102], v[101:102], v[103:104], v[105:106]
	s_delay_alu instid0(VALU_DEP_1) | instskip(NEXT) | instid1(VALU_DEP_1)
	v_div_fixup_f64 v[101:102], v[101:102], v[84:85], v[86:87]
	v_fma_f64 v[84:85], v[86:87], v[101:102], v[84:85]
	s_delay_alu instid0(VALU_DEP_1) | instskip(NEXT) | instid1(VALU_DEP_1)
	v_div_scale_f64 v[86:87], null, v[84:85], v[84:85], 1.0
	v_rcp_f64_e32 v[103:104], v[86:87]
	s_waitcnt_depctr 0xfff
	v_fma_f64 v[105:106], -v[86:87], v[103:104], 1.0
	s_delay_alu instid0(VALU_DEP_1) | instskip(NEXT) | instid1(VALU_DEP_1)
	v_fma_f64 v[103:104], v[103:104], v[105:106], v[103:104]
	v_fma_f64 v[105:106], -v[86:87], v[103:104], 1.0
	s_delay_alu instid0(VALU_DEP_1) | instskip(SKIP_1) | instid1(VALU_DEP_1)
	v_fma_f64 v[103:104], v[103:104], v[105:106], v[103:104]
	v_div_scale_f64 v[105:106], vcc_lo, 1.0, v[84:85], 1.0
	v_mul_f64 v[107:108], v[105:106], v[103:104]
	s_delay_alu instid0(VALU_DEP_1) | instskip(NEXT) | instid1(VALU_DEP_1)
	v_fma_f64 v[86:87], -v[86:87], v[107:108], v[105:106]
	v_div_fmas_f64 v[86:87], v[86:87], v[103:104], v[107:108]
	s_delay_alu instid0(VALU_DEP_1) | instskip(NEXT) | instid1(VALU_DEP_1)
	v_div_fixup_f64 v[84:85], v[86:87], v[84:85], 1.0
	v_mul_f64 v[86:87], v[101:102], -v[84:85]
.LBB40_114:
	s_or_b32 exec_lo, exec_lo, s2
.LBB40_115:
	s_delay_alu instid0(SALU_CYCLE_1) | instskip(NEXT) | instid1(SALU_CYCLE_1)
	s_or_b32 exec_lo, exec_lo, s3
	s_mov_b32 s2, exec_lo
	v_cmpx_ne_u32_e64 v100, v92
	s_xor_b32 s2, exec_lo, s2
	s_cbranch_execz .LBB40_121
; %bb.116:
	s_mov_b32 s3, exec_lo
	v_cmpx_eq_u32_e32 5, v100
	s_cbranch_execz .LBB40_120
; %bb.117:
	v_cmp_ne_u32_e32 vcc_lo, 5, v92
	s_xor_b32 s6, s4, -1
	s_delay_alu instid0(SALU_CYCLE_1) | instskip(NEXT) | instid1(SALU_CYCLE_1)
	s_and_b32 s7, s6, vcc_lo
	s_and_saveexec_b32 s6, s7
	s_cbranch_execz .LBB40_119
; %bb.118:
	v_ashrrev_i32_e32 v93, 31, v92
	s_delay_alu instid0(VALU_DEP_1) | instskip(NEXT) | instid1(VALU_DEP_1)
	v_lshlrev_b64 v[100:101], 2, v[92:93]
	v_add_co_u32 v100, vcc_lo, v90, v100
	s_delay_alu instid0(VALU_DEP_2)
	v_add_co_ci_u32_e32 v101, vcc_lo, v91, v101, vcc_lo
	s_clause 0x1
	flat_load_b32 v93, v[100:101]
	flat_load_b32 v97, v[90:91] offset:20
	s_waitcnt vmcnt(1) lgkmcnt(1)
	flat_store_b32 v[90:91], v93 offset:20
	s_waitcnt vmcnt(0) lgkmcnt(1)
	flat_store_b32 v[100:101], v97
.LBB40_119:
	s_or_b32 exec_lo, exec_lo, s6
	v_mov_b32_e32 v100, v92
	v_mov_b32_e32 v97, v92
.LBB40_120:
	s_or_b32 exec_lo, exec_lo, s3
.LBB40_121:
	s_and_not1_saveexec_b32 s2, s2
	s_cbranch_execz .LBB40_123
; %bb.122:
	v_mov_b32_e32 v100, 5
	ds_store_2addr_b64 v94, v[52:53], v[54:55] offset0:12 offset1:13
	ds_store_2addr_b64 v94, v[48:49], v[50:51] offset0:14 offset1:15
	ds_store_2addr_b64 v94, v[56:57], v[58:59] offset0:16 offset1:17
	ds_store_2addr_b64 v94, v[40:41], v[42:43] offset0:18 offset1:19
	ds_store_2addr_b64 v94, v[44:45], v[46:47] offset0:20 offset1:21
	ds_store_2addr_b64 v94, v[36:37], v[38:39] offset0:22 offset1:23
	ds_store_2addr_b64 v94, v[32:33], v[34:35] offset0:24 offset1:25
	ds_store_2addr_b64 v94, v[28:29], v[30:31] offset0:26 offset1:27
	ds_store_2addr_b64 v94, v[24:25], v[26:27] offset0:28 offset1:29
	ds_store_2addr_b64 v94, v[20:21], v[22:23] offset0:30 offset1:31
	ds_store_2addr_b64 v94, v[16:17], v[18:19] offset0:32 offset1:33
	ds_store_2addr_b64 v94, v[12:13], v[14:15] offset0:34 offset1:35
	ds_store_2addr_b64 v94, v[8:9], v[10:11] offset0:36 offset1:37
	ds_store_2addr_b64 v94, v[4:5], v[6:7] offset0:38 offset1:39
	ds_store_2addr_b64 v94, v[0:1], v[2:3] offset0:40 offset1:41
.LBB40_123:
	s_or_b32 exec_lo, exec_lo, s2
	s_delay_alu instid0(SALU_CYCLE_1)
	s_mov_b32 s2, exec_lo
	s_waitcnt lgkmcnt(0)
	s_waitcnt_vscnt null, 0x0
	s_barrier
	buffer_gl0_inv
	v_cmpx_lt_i32_e32 5, v100
	s_cbranch_execz .LBB40_125
; %bb.124:
	v_mul_f64 v[92:93], v[84:85], v[62:63]
	v_mul_f64 v[62:63], v[86:87], v[62:63]
	ds_load_2addr_b64 v[101:104], v94 offset0:12 offset1:13
	ds_load_2addr_b64 v[105:108], v94 offset0:14 offset1:15
	;; [unrolled: 1-line block ×15, first 2 shown]
	v_fma_f64 v[86:87], v[86:87], v[60:61], v[92:93]
	v_fma_f64 v[60:61], v[84:85], v[60:61], -v[62:63]
	s_waitcnt lgkmcnt(14)
	s_delay_alu instid0(VALU_DEP_2)
	v_mul_f64 v[62:63], v[103:104], v[86:87]
	v_mul_f64 v[84:85], v[101:102], v[86:87]
	s_waitcnt lgkmcnt(13)
	v_mul_f64 v[92:93], v[107:108], v[86:87]
	v_mul_f64 v[161:162], v[105:106], v[86:87]
	s_waitcnt lgkmcnt(12)
	;; [unrolled: 3-line block ×14, first 2 shown]
	v_mul_f64 v[211:212], v[159:160], v[86:87]
	v_mul_f64 v[213:214], v[157:158], v[86:87]
	v_fma_f64 v[62:63], v[101:102], v[60:61], -v[62:63]
	v_fma_f64 v[84:85], v[103:104], v[60:61], v[84:85]
	v_fma_f64 v[92:93], v[105:106], v[60:61], -v[92:93]
	v_fma_f64 v[101:102], v[107:108], v[60:61], v[161:162]
	;; [unrolled: 2-line block ×15, first 2 shown]
	v_add_f64 v[52:53], v[52:53], -v[62:63]
	v_add_f64 v[54:55], v[54:55], -v[84:85]
	;; [unrolled: 1-line block ×30, first 2 shown]
	v_dual_mov_b32 v62, v86 :: v_dual_mov_b32 v63, v87
.LBB40_125:
	s_or_b32 exec_lo, exec_lo, s2
	v_lshl_add_u32 v84, v100, 4, v94
	s_barrier
	buffer_gl0_inv
	v_mov_b32_e32 v92, 6
	ds_store_2addr_b64 v84, v[52:53], v[54:55] offset1:1
	s_waitcnt lgkmcnt(0)
	s_barrier
	buffer_gl0_inv
	ds_load_2addr_b64 v[84:87], v94 offset0:12 offset1:13
	s_cmp_lt_i32 s5, 8
	s_cbranch_scc1 .LBB40_128
; %bb.126:
	v_add3_u32 v93, v99, 0, 0x70
	v_mov_b32_e32 v92, 6
	s_mov_b32 s6, 7
	s_set_inst_prefetch_distance 0x1
	.p2align	6
.LBB40_127:                             ; =>This Inner Loop Header: Depth=1
	ds_load_2addr_b64 v[101:104], v93 offset1:1
	s_waitcnt lgkmcnt(1)
	v_cmp_gt_f64_e32 vcc_lo, 0, v[84:85]
	v_xor_b32_e32 v105, 0x80000000, v85
	v_cmp_gt_f64_e64 s2, 0, v[86:87]
	v_xor_b32_e32 v107, 0x80000000, v87
	v_add_nc_u32_e32 v93, 16, v93
	s_waitcnt lgkmcnt(0)
	v_cmp_gt_f64_e64 s3, 0, v[101:102]
	v_mov_b32_e32 v109, v101
	v_dual_mov_b32 v111, v103 :: v_dual_cndmask_b32 v106, v85, v105
	v_xor_b32_e32 v105, 0x80000000, v102
	v_cndmask_b32_e64 v108, v87, v107, s2
	v_xor_b32_e32 v107, 0x80000000, v104
	s_delay_alu instid0(VALU_DEP_3) | instskip(SKIP_2) | instid1(VALU_DEP_2)
	v_cndmask_b32_e64 v110, v102, v105, s3
	v_cmp_gt_f64_e64 s3, 0, v[103:104]
	v_cndmask_b32_e32 v105, v84, v84, vcc_lo
	v_cndmask_b32_e64 v112, v104, v107, s3
	v_cndmask_b32_e64 v107, v86, v86, s2
	s_delay_alu instid0(VALU_DEP_2) | instskip(NEXT) | instid1(VALU_DEP_2)
	v_add_f64 v[109:110], v[109:110], v[111:112]
	v_add_f64 v[105:106], v[105:106], v[107:108]
	s_delay_alu instid0(VALU_DEP_1) | instskip(SKIP_4) | instid1(SALU_CYCLE_1)
	v_cmp_lt_f64_e32 vcc_lo, v[105:106], v[109:110]
	v_dual_cndmask_b32 v86, v86, v103 :: v_dual_cndmask_b32 v85, v85, v102
	v_dual_cndmask_b32 v84, v84, v101 :: v_dual_cndmask_b32 v87, v87, v104
	v_cndmask_b32_e64 v92, v92, s6, vcc_lo
	s_add_i32 s6, s6, 1
	s_cmp_lg_u32 s5, s6
	s_cbranch_scc1 .LBB40_127
.LBB40_128:
	s_set_inst_prefetch_distance 0x2
	s_waitcnt lgkmcnt(0)
	v_cmp_eq_f64_e32 vcc_lo, 0, v[84:85]
	v_cmp_eq_f64_e64 s2, 0, v[86:87]
	s_delay_alu instid0(VALU_DEP_1) | instskip(NEXT) | instid1(SALU_CYCLE_1)
	s_and_b32 s2, vcc_lo, s2
	s_and_saveexec_b32 s3, s2
	s_delay_alu instid0(SALU_CYCLE_1)
	s_xor_b32 s2, exec_lo, s3
; %bb.129:
	v_cmp_ne_u32_e32 vcc_lo, 0, v98
	v_cndmask_b32_e32 v98, 7, v98, vcc_lo
; %bb.130:
	s_and_not1_saveexec_b32 s3, s2
	s_cbranch_execz .LBB40_136
; %bb.131:
	v_cmp_gt_f64_e32 vcc_lo, 0, v[84:85]
	v_cmp_gt_f64_e64 s2, 0, v[86:87]
	v_xor_b32_e32 v93, 0x80000000, v85
	v_xor_b32_e32 v101, 0x80000000, v87
	s_delay_alu instid0(VALU_DEP_2) | instskip(NEXT) | instid1(VALU_DEP_2)
	v_cndmask_b32_e32 v102, v85, v93, vcc_lo
	v_cndmask_b32_e64 v104, v87, v101, s2
	v_cndmask_b32_e32 v101, v84, v84, vcc_lo
	v_cndmask_b32_e64 v103, v86, v86, s2
	s_mov_b32 s2, exec_lo
	s_delay_alu instid0(VALU_DEP_1)
	v_cmpx_ngt_f64_e32 v[101:102], v[103:104]
	s_xor_b32 s2, exec_lo, s2
	s_cbranch_execz .LBB40_133
; %bb.132:
	v_div_scale_f64 v[101:102], null, v[86:87], v[86:87], v[84:85]
	v_div_scale_f64 v[107:108], vcc_lo, v[84:85], v[86:87], v[84:85]
	s_delay_alu instid0(VALU_DEP_2) | instskip(SKIP_2) | instid1(VALU_DEP_1)
	v_rcp_f64_e32 v[103:104], v[101:102]
	s_waitcnt_depctr 0xfff
	v_fma_f64 v[105:106], -v[101:102], v[103:104], 1.0
	v_fma_f64 v[103:104], v[103:104], v[105:106], v[103:104]
	s_delay_alu instid0(VALU_DEP_1) | instskip(NEXT) | instid1(VALU_DEP_1)
	v_fma_f64 v[105:106], -v[101:102], v[103:104], 1.0
	v_fma_f64 v[103:104], v[103:104], v[105:106], v[103:104]
	s_delay_alu instid0(VALU_DEP_1) | instskip(NEXT) | instid1(VALU_DEP_1)
	v_mul_f64 v[105:106], v[107:108], v[103:104]
	v_fma_f64 v[101:102], -v[101:102], v[105:106], v[107:108]
	s_delay_alu instid0(VALU_DEP_1) | instskip(NEXT) | instid1(VALU_DEP_1)
	v_div_fmas_f64 v[101:102], v[101:102], v[103:104], v[105:106]
	v_div_fixup_f64 v[101:102], v[101:102], v[86:87], v[84:85]
	s_delay_alu instid0(VALU_DEP_1) | instskip(NEXT) | instid1(VALU_DEP_1)
	v_fma_f64 v[84:85], v[84:85], v[101:102], v[86:87]
	v_div_scale_f64 v[86:87], null, v[84:85], v[84:85], 1.0
	s_delay_alu instid0(VALU_DEP_1) | instskip(SKIP_2) | instid1(VALU_DEP_1)
	v_rcp_f64_e32 v[103:104], v[86:87]
	s_waitcnt_depctr 0xfff
	v_fma_f64 v[105:106], -v[86:87], v[103:104], 1.0
	v_fma_f64 v[103:104], v[103:104], v[105:106], v[103:104]
	s_delay_alu instid0(VALU_DEP_1) | instskip(NEXT) | instid1(VALU_DEP_1)
	v_fma_f64 v[105:106], -v[86:87], v[103:104], 1.0
	v_fma_f64 v[103:104], v[103:104], v[105:106], v[103:104]
	v_div_scale_f64 v[105:106], vcc_lo, 1.0, v[84:85], 1.0
	s_delay_alu instid0(VALU_DEP_1) | instskip(NEXT) | instid1(VALU_DEP_1)
	v_mul_f64 v[107:108], v[105:106], v[103:104]
	v_fma_f64 v[86:87], -v[86:87], v[107:108], v[105:106]
	s_delay_alu instid0(VALU_DEP_1) | instskip(NEXT) | instid1(VALU_DEP_1)
	v_div_fmas_f64 v[86:87], v[86:87], v[103:104], v[107:108]
	v_div_fixup_f64 v[86:87], v[86:87], v[84:85], 1.0
	s_delay_alu instid0(VALU_DEP_1)
	v_mul_f64 v[84:85], v[101:102], v[86:87]
	v_xor_b32_e32 v87, 0x80000000, v87
.LBB40_133:
	s_and_not1_saveexec_b32 s2, s2
	s_cbranch_execz .LBB40_135
; %bb.134:
	s_delay_alu instid0(VALU_DEP_1) | instskip(SKIP_1) | instid1(VALU_DEP_2)
	v_div_scale_f64 v[101:102], null, v[84:85], v[84:85], v[86:87]
	v_div_scale_f64 v[107:108], vcc_lo, v[86:87], v[84:85], v[86:87]
	v_rcp_f64_e32 v[103:104], v[101:102]
	s_waitcnt_depctr 0xfff
	v_fma_f64 v[105:106], -v[101:102], v[103:104], 1.0
	s_delay_alu instid0(VALU_DEP_1) | instskip(NEXT) | instid1(VALU_DEP_1)
	v_fma_f64 v[103:104], v[103:104], v[105:106], v[103:104]
	v_fma_f64 v[105:106], -v[101:102], v[103:104], 1.0
	s_delay_alu instid0(VALU_DEP_1) | instskip(NEXT) | instid1(VALU_DEP_1)
	v_fma_f64 v[103:104], v[103:104], v[105:106], v[103:104]
	v_mul_f64 v[105:106], v[107:108], v[103:104]
	s_delay_alu instid0(VALU_DEP_1) | instskip(NEXT) | instid1(VALU_DEP_1)
	v_fma_f64 v[101:102], -v[101:102], v[105:106], v[107:108]
	v_div_fmas_f64 v[101:102], v[101:102], v[103:104], v[105:106]
	s_delay_alu instid0(VALU_DEP_1) | instskip(NEXT) | instid1(VALU_DEP_1)
	v_div_fixup_f64 v[101:102], v[101:102], v[84:85], v[86:87]
	v_fma_f64 v[84:85], v[86:87], v[101:102], v[84:85]
	s_delay_alu instid0(VALU_DEP_1) | instskip(NEXT) | instid1(VALU_DEP_1)
	v_div_scale_f64 v[86:87], null, v[84:85], v[84:85], 1.0
	v_rcp_f64_e32 v[103:104], v[86:87]
	s_waitcnt_depctr 0xfff
	v_fma_f64 v[105:106], -v[86:87], v[103:104], 1.0
	s_delay_alu instid0(VALU_DEP_1) | instskip(NEXT) | instid1(VALU_DEP_1)
	v_fma_f64 v[103:104], v[103:104], v[105:106], v[103:104]
	v_fma_f64 v[105:106], -v[86:87], v[103:104], 1.0
	s_delay_alu instid0(VALU_DEP_1) | instskip(SKIP_1) | instid1(VALU_DEP_1)
	v_fma_f64 v[103:104], v[103:104], v[105:106], v[103:104]
	v_div_scale_f64 v[105:106], vcc_lo, 1.0, v[84:85], 1.0
	v_mul_f64 v[107:108], v[105:106], v[103:104]
	s_delay_alu instid0(VALU_DEP_1) | instskip(NEXT) | instid1(VALU_DEP_1)
	v_fma_f64 v[86:87], -v[86:87], v[107:108], v[105:106]
	v_div_fmas_f64 v[86:87], v[86:87], v[103:104], v[107:108]
	s_delay_alu instid0(VALU_DEP_1) | instskip(NEXT) | instid1(VALU_DEP_1)
	v_div_fixup_f64 v[84:85], v[86:87], v[84:85], 1.0
	v_mul_f64 v[86:87], v[101:102], -v[84:85]
.LBB40_135:
	s_or_b32 exec_lo, exec_lo, s2
.LBB40_136:
	s_delay_alu instid0(SALU_CYCLE_1) | instskip(NEXT) | instid1(SALU_CYCLE_1)
	s_or_b32 exec_lo, exec_lo, s3
	s_mov_b32 s2, exec_lo
	v_cmpx_ne_u32_e64 v100, v92
	s_xor_b32 s2, exec_lo, s2
	s_cbranch_execz .LBB40_142
; %bb.137:
	s_mov_b32 s3, exec_lo
	v_cmpx_eq_u32_e32 6, v100
	s_cbranch_execz .LBB40_141
; %bb.138:
	v_cmp_ne_u32_e32 vcc_lo, 6, v92
	s_xor_b32 s6, s4, -1
	s_delay_alu instid0(SALU_CYCLE_1) | instskip(NEXT) | instid1(SALU_CYCLE_1)
	s_and_b32 s7, s6, vcc_lo
	s_and_saveexec_b32 s6, s7
	s_cbranch_execz .LBB40_140
; %bb.139:
	v_ashrrev_i32_e32 v93, 31, v92
	s_delay_alu instid0(VALU_DEP_1) | instskip(NEXT) | instid1(VALU_DEP_1)
	v_lshlrev_b64 v[100:101], 2, v[92:93]
	v_add_co_u32 v100, vcc_lo, v90, v100
	s_delay_alu instid0(VALU_DEP_2)
	v_add_co_ci_u32_e32 v101, vcc_lo, v91, v101, vcc_lo
	s_clause 0x1
	flat_load_b32 v93, v[100:101]
	flat_load_b32 v97, v[90:91] offset:24
	s_waitcnt vmcnt(1) lgkmcnt(1)
	flat_store_b32 v[90:91], v93 offset:24
	s_waitcnt vmcnt(0) lgkmcnt(1)
	flat_store_b32 v[100:101], v97
.LBB40_140:
	s_or_b32 exec_lo, exec_lo, s6
	v_mov_b32_e32 v100, v92
	v_mov_b32_e32 v97, v92
.LBB40_141:
	s_or_b32 exec_lo, exec_lo, s3
.LBB40_142:
	s_and_not1_saveexec_b32 s2, s2
	s_cbranch_execz .LBB40_144
; %bb.143:
	v_mov_b32_e32 v100, 6
	ds_store_2addr_b64 v94, v[48:49], v[50:51] offset0:14 offset1:15
	ds_store_2addr_b64 v94, v[56:57], v[58:59] offset0:16 offset1:17
	;; [unrolled: 1-line block ×14, first 2 shown]
.LBB40_144:
	s_or_b32 exec_lo, exec_lo, s2
	s_delay_alu instid0(SALU_CYCLE_1)
	s_mov_b32 s2, exec_lo
	s_waitcnt lgkmcnt(0)
	s_waitcnt_vscnt null, 0x0
	s_barrier
	buffer_gl0_inv
	v_cmpx_lt_i32_e32 6, v100
	s_cbranch_execz .LBB40_146
; %bb.145:
	v_mul_f64 v[92:93], v[84:85], v[54:55]
	v_mul_f64 v[54:55], v[86:87], v[54:55]
	ds_load_2addr_b64 v[101:104], v94 offset0:14 offset1:15
	ds_load_2addr_b64 v[105:108], v94 offset0:16 offset1:17
	;; [unrolled: 1-line block ×14, first 2 shown]
	v_fma_f64 v[86:87], v[86:87], v[52:53], v[92:93]
	v_fma_f64 v[52:53], v[84:85], v[52:53], -v[54:55]
	s_waitcnt lgkmcnt(13)
	s_delay_alu instid0(VALU_DEP_2)
	v_mul_f64 v[54:55], v[103:104], v[86:87]
	v_mul_f64 v[84:85], v[101:102], v[86:87]
	s_waitcnt lgkmcnt(12)
	v_mul_f64 v[92:93], v[107:108], v[86:87]
	v_mul_f64 v[157:158], v[105:106], v[86:87]
	s_waitcnt lgkmcnt(11)
	;; [unrolled: 3-line block ×13, first 2 shown]
	v_mul_f64 v[203:204], v[155:156], v[86:87]
	v_mul_f64 v[205:206], v[153:154], v[86:87]
	v_fma_f64 v[54:55], v[101:102], v[52:53], -v[54:55]
	v_fma_f64 v[84:85], v[103:104], v[52:53], v[84:85]
	v_fma_f64 v[92:93], v[105:106], v[52:53], -v[92:93]
	v_fma_f64 v[101:102], v[107:108], v[52:53], v[157:158]
	;; [unrolled: 2-line block ×14, first 2 shown]
	v_add_f64 v[48:49], v[48:49], -v[54:55]
	v_add_f64 v[50:51], v[50:51], -v[84:85]
	;; [unrolled: 1-line block ×28, first 2 shown]
	v_dual_mov_b32 v54, v86 :: v_dual_mov_b32 v55, v87
.LBB40_146:
	s_or_b32 exec_lo, exec_lo, s2
	v_lshl_add_u32 v84, v100, 4, v94
	s_barrier
	buffer_gl0_inv
	v_mov_b32_e32 v92, 7
	ds_store_2addr_b64 v84, v[48:49], v[50:51] offset1:1
	s_waitcnt lgkmcnt(0)
	s_barrier
	buffer_gl0_inv
	ds_load_2addr_b64 v[84:87], v94 offset0:14 offset1:15
	s_cmp_lt_i32 s5, 9
	s_cbranch_scc1 .LBB40_149
; %bb.147:
	v_add3_u32 v93, v99, 0, 0x80
	v_mov_b32_e32 v92, 7
	s_mov_b32 s6, 8
	s_set_inst_prefetch_distance 0x1
	.p2align	6
.LBB40_148:                             ; =>This Inner Loop Header: Depth=1
	ds_load_2addr_b64 v[101:104], v93 offset1:1
	s_waitcnt lgkmcnt(1)
	v_cmp_gt_f64_e32 vcc_lo, 0, v[84:85]
	v_xor_b32_e32 v105, 0x80000000, v85
	v_cmp_gt_f64_e64 s2, 0, v[86:87]
	v_xor_b32_e32 v107, 0x80000000, v87
	v_add_nc_u32_e32 v93, 16, v93
	s_waitcnt lgkmcnt(0)
	v_cmp_gt_f64_e64 s3, 0, v[101:102]
	v_mov_b32_e32 v109, v101
	v_dual_mov_b32 v111, v103 :: v_dual_cndmask_b32 v106, v85, v105
	v_xor_b32_e32 v105, 0x80000000, v102
	v_cndmask_b32_e64 v108, v87, v107, s2
	v_xor_b32_e32 v107, 0x80000000, v104
	s_delay_alu instid0(VALU_DEP_3) | instskip(SKIP_2) | instid1(VALU_DEP_2)
	v_cndmask_b32_e64 v110, v102, v105, s3
	v_cmp_gt_f64_e64 s3, 0, v[103:104]
	v_cndmask_b32_e32 v105, v84, v84, vcc_lo
	v_cndmask_b32_e64 v112, v104, v107, s3
	v_cndmask_b32_e64 v107, v86, v86, s2
	s_delay_alu instid0(VALU_DEP_2) | instskip(NEXT) | instid1(VALU_DEP_2)
	v_add_f64 v[109:110], v[109:110], v[111:112]
	v_add_f64 v[105:106], v[105:106], v[107:108]
	s_delay_alu instid0(VALU_DEP_1) | instskip(SKIP_4) | instid1(SALU_CYCLE_1)
	v_cmp_lt_f64_e32 vcc_lo, v[105:106], v[109:110]
	v_dual_cndmask_b32 v86, v86, v103 :: v_dual_cndmask_b32 v85, v85, v102
	v_dual_cndmask_b32 v84, v84, v101 :: v_dual_cndmask_b32 v87, v87, v104
	v_cndmask_b32_e64 v92, v92, s6, vcc_lo
	s_add_i32 s6, s6, 1
	s_cmp_lg_u32 s5, s6
	s_cbranch_scc1 .LBB40_148
.LBB40_149:
	s_set_inst_prefetch_distance 0x2
	s_waitcnt lgkmcnt(0)
	v_cmp_eq_f64_e32 vcc_lo, 0, v[84:85]
	v_cmp_eq_f64_e64 s2, 0, v[86:87]
	s_delay_alu instid0(VALU_DEP_1) | instskip(NEXT) | instid1(SALU_CYCLE_1)
	s_and_b32 s2, vcc_lo, s2
	s_and_saveexec_b32 s3, s2
	s_delay_alu instid0(SALU_CYCLE_1)
	s_xor_b32 s2, exec_lo, s3
; %bb.150:
	v_cmp_ne_u32_e32 vcc_lo, 0, v98
	v_cndmask_b32_e32 v98, 8, v98, vcc_lo
; %bb.151:
	s_and_not1_saveexec_b32 s3, s2
	s_cbranch_execz .LBB40_157
; %bb.152:
	v_cmp_gt_f64_e32 vcc_lo, 0, v[84:85]
	v_cmp_gt_f64_e64 s2, 0, v[86:87]
	v_xor_b32_e32 v93, 0x80000000, v85
	v_xor_b32_e32 v101, 0x80000000, v87
	s_delay_alu instid0(VALU_DEP_2) | instskip(NEXT) | instid1(VALU_DEP_2)
	v_cndmask_b32_e32 v102, v85, v93, vcc_lo
	v_cndmask_b32_e64 v104, v87, v101, s2
	v_cndmask_b32_e32 v101, v84, v84, vcc_lo
	v_cndmask_b32_e64 v103, v86, v86, s2
	s_mov_b32 s2, exec_lo
	s_delay_alu instid0(VALU_DEP_1)
	v_cmpx_ngt_f64_e32 v[101:102], v[103:104]
	s_xor_b32 s2, exec_lo, s2
	s_cbranch_execz .LBB40_154
; %bb.153:
	v_div_scale_f64 v[101:102], null, v[86:87], v[86:87], v[84:85]
	v_div_scale_f64 v[107:108], vcc_lo, v[84:85], v[86:87], v[84:85]
	s_delay_alu instid0(VALU_DEP_2) | instskip(SKIP_2) | instid1(VALU_DEP_1)
	v_rcp_f64_e32 v[103:104], v[101:102]
	s_waitcnt_depctr 0xfff
	v_fma_f64 v[105:106], -v[101:102], v[103:104], 1.0
	v_fma_f64 v[103:104], v[103:104], v[105:106], v[103:104]
	s_delay_alu instid0(VALU_DEP_1) | instskip(NEXT) | instid1(VALU_DEP_1)
	v_fma_f64 v[105:106], -v[101:102], v[103:104], 1.0
	v_fma_f64 v[103:104], v[103:104], v[105:106], v[103:104]
	s_delay_alu instid0(VALU_DEP_1) | instskip(NEXT) | instid1(VALU_DEP_1)
	v_mul_f64 v[105:106], v[107:108], v[103:104]
	v_fma_f64 v[101:102], -v[101:102], v[105:106], v[107:108]
	s_delay_alu instid0(VALU_DEP_1) | instskip(NEXT) | instid1(VALU_DEP_1)
	v_div_fmas_f64 v[101:102], v[101:102], v[103:104], v[105:106]
	v_div_fixup_f64 v[101:102], v[101:102], v[86:87], v[84:85]
	s_delay_alu instid0(VALU_DEP_1) | instskip(NEXT) | instid1(VALU_DEP_1)
	v_fma_f64 v[84:85], v[84:85], v[101:102], v[86:87]
	v_div_scale_f64 v[86:87], null, v[84:85], v[84:85], 1.0
	s_delay_alu instid0(VALU_DEP_1) | instskip(SKIP_2) | instid1(VALU_DEP_1)
	v_rcp_f64_e32 v[103:104], v[86:87]
	s_waitcnt_depctr 0xfff
	v_fma_f64 v[105:106], -v[86:87], v[103:104], 1.0
	v_fma_f64 v[103:104], v[103:104], v[105:106], v[103:104]
	s_delay_alu instid0(VALU_DEP_1) | instskip(NEXT) | instid1(VALU_DEP_1)
	v_fma_f64 v[105:106], -v[86:87], v[103:104], 1.0
	v_fma_f64 v[103:104], v[103:104], v[105:106], v[103:104]
	v_div_scale_f64 v[105:106], vcc_lo, 1.0, v[84:85], 1.0
	s_delay_alu instid0(VALU_DEP_1) | instskip(NEXT) | instid1(VALU_DEP_1)
	v_mul_f64 v[107:108], v[105:106], v[103:104]
	v_fma_f64 v[86:87], -v[86:87], v[107:108], v[105:106]
	s_delay_alu instid0(VALU_DEP_1) | instskip(NEXT) | instid1(VALU_DEP_1)
	v_div_fmas_f64 v[86:87], v[86:87], v[103:104], v[107:108]
	v_div_fixup_f64 v[86:87], v[86:87], v[84:85], 1.0
	s_delay_alu instid0(VALU_DEP_1)
	v_mul_f64 v[84:85], v[101:102], v[86:87]
	v_xor_b32_e32 v87, 0x80000000, v87
.LBB40_154:
	s_and_not1_saveexec_b32 s2, s2
	s_cbranch_execz .LBB40_156
; %bb.155:
	s_delay_alu instid0(VALU_DEP_1) | instskip(SKIP_1) | instid1(VALU_DEP_2)
	v_div_scale_f64 v[101:102], null, v[84:85], v[84:85], v[86:87]
	v_div_scale_f64 v[107:108], vcc_lo, v[86:87], v[84:85], v[86:87]
	v_rcp_f64_e32 v[103:104], v[101:102]
	s_waitcnt_depctr 0xfff
	v_fma_f64 v[105:106], -v[101:102], v[103:104], 1.0
	s_delay_alu instid0(VALU_DEP_1) | instskip(NEXT) | instid1(VALU_DEP_1)
	v_fma_f64 v[103:104], v[103:104], v[105:106], v[103:104]
	v_fma_f64 v[105:106], -v[101:102], v[103:104], 1.0
	s_delay_alu instid0(VALU_DEP_1) | instskip(NEXT) | instid1(VALU_DEP_1)
	v_fma_f64 v[103:104], v[103:104], v[105:106], v[103:104]
	v_mul_f64 v[105:106], v[107:108], v[103:104]
	s_delay_alu instid0(VALU_DEP_1) | instskip(NEXT) | instid1(VALU_DEP_1)
	v_fma_f64 v[101:102], -v[101:102], v[105:106], v[107:108]
	v_div_fmas_f64 v[101:102], v[101:102], v[103:104], v[105:106]
	s_delay_alu instid0(VALU_DEP_1) | instskip(NEXT) | instid1(VALU_DEP_1)
	v_div_fixup_f64 v[101:102], v[101:102], v[84:85], v[86:87]
	v_fma_f64 v[84:85], v[86:87], v[101:102], v[84:85]
	s_delay_alu instid0(VALU_DEP_1) | instskip(NEXT) | instid1(VALU_DEP_1)
	v_div_scale_f64 v[86:87], null, v[84:85], v[84:85], 1.0
	v_rcp_f64_e32 v[103:104], v[86:87]
	s_waitcnt_depctr 0xfff
	v_fma_f64 v[105:106], -v[86:87], v[103:104], 1.0
	s_delay_alu instid0(VALU_DEP_1) | instskip(NEXT) | instid1(VALU_DEP_1)
	v_fma_f64 v[103:104], v[103:104], v[105:106], v[103:104]
	v_fma_f64 v[105:106], -v[86:87], v[103:104], 1.0
	s_delay_alu instid0(VALU_DEP_1) | instskip(SKIP_1) | instid1(VALU_DEP_1)
	v_fma_f64 v[103:104], v[103:104], v[105:106], v[103:104]
	v_div_scale_f64 v[105:106], vcc_lo, 1.0, v[84:85], 1.0
	v_mul_f64 v[107:108], v[105:106], v[103:104]
	s_delay_alu instid0(VALU_DEP_1) | instskip(NEXT) | instid1(VALU_DEP_1)
	v_fma_f64 v[86:87], -v[86:87], v[107:108], v[105:106]
	v_div_fmas_f64 v[86:87], v[86:87], v[103:104], v[107:108]
	s_delay_alu instid0(VALU_DEP_1) | instskip(NEXT) | instid1(VALU_DEP_1)
	v_div_fixup_f64 v[84:85], v[86:87], v[84:85], 1.0
	v_mul_f64 v[86:87], v[101:102], -v[84:85]
.LBB40_156:
	s_or_b32 exec_lo, exec_lo, s2
.LBB40_157:
	s_delay_alu instid0(SALU_CYCLE_1) | instskip(NEXT) | instid1(SALU_CYCLE_1)
	s_or_b32 exec_lo, exec_lo, s3
	s_mov_b32 s2, exec_lo
	v_cmpx_ne_u32_e64 v100, v92
	s_xor_b32 s2, exec_lo, s2
	s_cbranch_execz .LBB40_163
; %bb.158:
	s_mov_b32 s3, exec_lo
	v_cmpx_eq_u32_e32 7, v100
	s_cbranch_execz .LBB40_162
; %bb.159:
	v_cmp_ne_u32_e32 vcc_lo, 7, v92
	s_xor_b32 s6, s4, -1
	s_delay_alu instid0(SALU_CYCLE_1) | instskip(NEXT) | instid1(SALU_CYCLE_1)
	s_and_b32 s7, s6, vcc_lo
	s_and_saveexec_b32 s6, s7
	s_cbranch_execz .LBB40_161
; %bb.160:
	v_ashrrev_i32_e32 v93, 31, v92
	s_delay_alu instid0(VALU_DEP_1) | instskip(NEXT) | instid1(VALU_DEP_1)
	v_lshlrev_b64 v[100:101], 2, v[92:93]
	v_add_co_u32 v100, vcc_lo, v90, v100
	s_delay_alu instid0(VALU_DEP_2)
	v_add_co_ci_u32_e32 v101, vcc_lo, v91, v101, vcc_lo
	s_clause 0x1
	flat_load_b32 v93, v[100:101]
	flat_load_b32 v97, v[90:91] offset:28
	s_waitcnt vmcnt(1) lgkmcnt(1)
	flat_store_b32 v[90:91], v93 offset:28
	s_waitcnt vmcnt(0) lgkmcnt(1)
	flat_store_b32 v[100:101], v97
.LBB40_161:
	s_or_b32 exec_lo, exec_lo, s6
	v_mov_b32_e32 v100, v92
	v_mov_b32_e32 v97, v92
.LBB40_162:
	s_or_b32 exec_lo, exec_lo, s3
.LBB40_163:
	s_and_not1_saveexec_b32 s2, s2
	s_cbranch_execz .LBB40_165
; %bb.164:
	v_mov_b32_e32 v100, 7
	ds_store_2addr_b64 v94, v[56:57], v[58:59] offset0:16 offset1:17
	ds_store_2addr_b64 v94, v[40:41], v[42:43] offset0:18 offset1:19
	;; [unrolled: 1-line block ×13, first 2 shown]
.LBB40_165:
	s_or_b32 exec_lo, exec_lo, s2
	s_delay_alu instid0(SALU_CYCLE_1)
	s_mov_b32 s2, exec_lo
	s_waitcnt lgkmcnt(0)
	s_waitcnt_vscnt null, 0x0
	s_barrier
	buffer_gl0_inv
	v_cmpx_lt_i32_e32 7, v100
	s_cbranch_execz .LBB40_167
; %bb.166:
	v_mul_f64 v[92:93], v[84:85], v[50:51]
	v_mul_f64 v[50:51], v[86:87], v[50:51]
	ds_load_2addr_b64 v[101:104], v94 offset0:16 offset1:17
	ds_load_2addr_b64 v[105:108], v94 offset0:18 offset1:19
	;; [unrolled: 1-line block ×13, first 2 shown]
	v_fma_f64 v[86:87], v[86:87], v[48:49], v[92:93]
	v_fma_f64 v[48:49], v[84:85], v[48:49], -v[50:51]
	s_waitcnt lgkmcnt(12)
	s_delay_alu instid0(VALU_DEP_2)
	v_mul_f64 v[50:51], v[103:104], v[86:87]
	v_mul_f64 v[84:85], v[101:102], v[86:87]
	s_waitcnt lgkmcnt(11)
	v_mul_f64 v[92:93], v[107:108], v[86:87]
	v_mul_f64 v[153:154], v[105:106], v[86:87]
	s_waitcnt lgkmcnt(10)
	;; [unrolled: 3-line block ×12, first 2 shown]
	v_mul_f64 v[195:196], v[151:152], v[86:87]
	v_mul_f64 v[197:198], v[149:150], v[86:87]
	v_fma_f64 v[50:51], v[101:102], v[48:49], -v[50:51]
	v_fma_f64 v[84:85], v[103:104], v[48:49], v[84:85]
	v_fma_f64 v[92:93], v[105:106], v[48:49], -v[92:93]
	v_fma_f64 v[101:102], v[107:108], v[48:49], v[153:154]
	v_fma_f64 v[103:104], v[109:110], v[48:49], -v[155:156]
	v_fma_f64 v[105:106], v[111:112], v[48:49], v[157:158]
	v_fma_f64 v[107:108], v[113:114], v[48:49], -v[159:160]
	v_fma_f64 v[109:110], v[115:116], v[48:49], v[161:162]
	v_fma_f64 v[111:112], v[117:118], v[48:49], -v[163:164]
	v_fma_f64 v[113:114], v[119:120], v[48:49], v[165:166]
	v_fma_f64 v[115:116], v[121:122], v[48:49], -v[167:168]
	v_fma_f64 v[117:118], v[123:124], v[48:49], v[169:170]
	v_fma_f64 v[119:120], v[125:126], v[48:49], -v[171:172]
	v_fma_f64 v[121:122], v[127:128], v[48:49], v[173:174]
	v_fma_f64 v[123:124], v[129:130], v[48:49], -v[175:176]
	v_fma_f64 v[125:126], v[131:132], v[48:49], v[177:178]
	v_fma_f64 v[127:128], v[133:134], v[48:49], -v[179:180]
	v_fma_f64 v[129:130], v[135:136], v[48:49], v[181:182]
	v_fma_f64 v[131:132], v[137:138], v[48:49], -v[183:184]
	v_fma_f64 v[133:134], v[139:140], v[48:49], v[185:186]
	v_fma_f64 v[135:136], v[141:142], v[48:49], -v[187:188]
	v_fma_f64 v[137:138], v[143:144], v[48:49], v[189:190]
	v_fma_f64 v[139:140], v[145:146], v[48:49], -v[191:192]
	v_fma_f64 v[141:142], v[147:148], v[48:49], v[193:194]
	v_fma_f64 v[143:144], v[149:150], v[48:49], -v[195:196]
	v_fma_f64 v[145:146], v[151:152], v[48:49], v[197:198]
	v_add_f64 v[56:57], v[56:57], -v[50:51]
	v_add_f64 v[58:59], v[58:59], -v[84:85]
	;; [unrolled: 1-line block ×26, first 2 shown]
	v_dual_mov_b32 v50, v86 :: v_dual_mov_b32 v51, v87
.LBB40_167:
	s_or_b32 exec_lo, exec_lo, s2
	v_lshl_add_u32 v84, v100, 4, v94
	s_barrier
	buffer_gl0_inv
	v_mov_b32_e32 v92, 8
	ds_store_2addr_b64 v84, v[56:57], v[58:59] offset1:1
	s_waitcnt lgkmcnt(0)
	s_barrier
	buffer_gl0_inv
	ds_load_2addr_b64 v[84:87], v94 offset0:16 offset1:17
	s_cmp_lt_i32 s5, 10
	s_cbranch_scc1 .LBB40_170
; %bb.168:
	v_add3_u32 v93, v99, 0, 0x90
	v_mov_b32_e32 v92, 8
	s_mov_b32 s6, 9
	s_set_inst_prefetch_distance 0x1
	.p2align	6
.LBB40_169:                             ; =>This Inner Loop Header: Depth=1
	ds_load_2addr_b64 v[101:104], v93 offset1:1
	s_waitcnt lgkmcnt(1)
	v_cmp_gt_f64_e32 vcc_lo, 0, v[84:85]
	v_xor_b32_e32 v105, 0x80000000, v85
	v_cmp_gt_f64_e64 s2, 0, v[86:87]
	v_xor_b32_e32 v107, 0x80000000, v87
	v_add_nc_u32_e32 v93, 16, v93
	s_waitcnt lgkmcnt(0)
	v_cmp_gt_f64_e64 s3, 0, v[101:102]
	v_mov_b32_e32 v109, v101
	v_dual_mov_b32 v111, v103 :: v_dual_cndmask_b32 v106, v85, v105
	v_xor_b32_e32 v105, 0x80000000, v102
	v_cndmask_b32_e64 v108, v87, v107, s2
	v_xor_b32_e32 v107, 0x80000000, v104
	s_delay_alu instid0(VALU_DEP_3) | instskip(SKIP_2) | instid1(VALU_DEP_2)
	v_cndmask_b32_e64 v110, v102, v105, s3
	v_cmp_gt_f64_e64 s3, 0, v[103:104]
	v_cndmask_b32_e32 v105, v84, v84, vcc_lo
	v_cndmask_b32_e64 v112, v104, v107, s3
	v_cndmask_b32_e64 v107, v86, v86, s2
	s_delay_alu instid0(VALU_DEP_2) | instskip(NEXT) | instid1(VALU_DEP_2)
	v_add_f64 v[109:110], v[109:110], v[111:112]
	v_add_f64 v[105:106], v[105:106], v[107:108]
	s_delay_alu instid0(VALU_DEP_1) | instskip(SKIP_4) | instid1(SALU_CYCLE_1)
	v_cmp_lt_f64_e32 vcc_lo, v[105:106], v[109:110]
	v_dual_cndmask_b32 v86, v86, v103 :: v_dual_cndmask_b32 v85, v85, v102
	v_dual_cndmask_b32 v84, v84, v101 :: v_dual_cndmask_b32 v87, v87, v104
	v_cndmask_b32_e64 v92, v92, s6, vcc_lo
	s_add_i32 s6, s6, 1
	s_cmp_lg_u32 s5, s6
	s_cbranch_scc1 .LBB40_169
.LBB40_170:
	s_set_inst_prefetch_distance 0x2
	s_waitcnt lgkmcnt(0)
	v_cmp_eq_f64_e32 vcc_lo, 0, v[84:85]
	v_cmp_eq_f64_e64 s2, 0, v[86:87]
	s_delay_alu instid0(VALU_DEP_1) | instskip(NEXT) | instid1(SALU_CYCLE_1)
	s_and_b32 s2, vcc_lo, s2
	s_and_saveexec_b32 s3, s2
	s_delay_alu instid0(SALU_CYCLE_1)
	s_xor_b32 s2, exec_lo, s3
; %bb.171:
	v_cmp_ne_u32_e32 vcc_lo, 0, v98
	v_cndmask_b32_e32 v98, 9, v98, vcc_lo
; %bb.172:
	s_and_not1_saveexec_b32 s3, s2
	s_cbranch_execz .LBB40_178
; %bb.173:
	v_cmp_gt_f64_e32 vcc_lo, 0, v[84:85]
	v_cmp_gt_f64_e64 s2, 0, v[86:87]
	v_xor_b32_e32 v93, 0x80000000, v85
	v_xor_b32_e32 v101, 0x80000000, v87
	s_delay_alu instid0(VALU_DEP_2) | instskip(NEXT) | instid1(VALU_DEP_2)
	v_cndmask_b32_e32 v102, v85, v93, vcc_lo
	v_cndmask_b32_e64 v104, v87, v101, s2
	v_cndmask_b32_e32 v101, v84, v84, vcc_lo
	v_cndmask_b32_e64 v103, v86, v86, s2
	s_mov_b32 s2, exec_lo
	s_delay_alu instid0(VALU_DEP_1)
	v_cmpx_ngt_f64_e32 v[101:102], v[103:104]
	s_xor_b32 s2, exec_lo, s2
	s_cbranch_execz .LBB40_175
; %bb.174:
	v_div_scale_f64 v[101:102], null, v[86:87], v[86:87], v[84:85]
	v_div_scale_f64 v[107:108], vcc_lo, v[84:85], v[86:87], v[84:85]
	s_delay_alu instid0(VALU_DEP_2) | instskip(SKIP_2) | instid1(VALU_DEP_1)
	v_rcp_f64_e32 v[103:104], v[101:102]
	s_waitcnt_depctr 0xfff
	v_fma_f64 v[105:106], -v[101:102], v[103:104], 1.0
	v_fma_f64 v[103:104], v[103:104], v[105:106], v[103:104]
	s_delay_alu instid0(VALU_DEP_1) | instskip(NEXT) | instid1(VALU_DEP_1)
	v_fma_f64 v[105:106], -v[101:102], v[103:104], 1.0
	v_fma_f64 v[103:104], v[103:104], v[105:106], v[103:104]
	s_delay_alu instid0(VALU_DEP_1) | instskip(NEXT) | instid1(VALU_DEP_1)
	v_mul_f64 v[105:106], v[107:108], v[103:104]
	v_fma_f64 v[101:102], -v[101:102], v[105:106], v[107:108]
	s_delay_alu instid0(VALU_DEP_1) | instskip(NEXT) | instid1(VALU_DEP_1)
	v_div_fmas_f64 v[101:102], v[101:102], v[103:104], v[105:106]
	v_div_fixup_f64 v[101:102], v[101:102], v[86:87], v[84:85]
	s_delay_alu instid0(VALU_DEP_1) | instskip(NEXT) | instid1(VALU_DEP_1)
	v_fma_f64 v[84:85], v[84:85], v[101:102], v[86:87]
	v_div_scale_f64 v[86:87], null, v[84:85], v[84:85], 1.0
	s_delay_alu instid0(VALU_DEP_1) | instskip(SKIP_2) | instid1(VALU_DEP_1)
	v_rcp_f64_e32 v[103:104], v[86:87]
	s_waitcnt_depctr 0xfff
	v_fma_f64 v[105:106], -v[86:87], v[103:104], 1.0
	v_fma_f64 v[103:104], v[103:104], v[105:106], v[103:104]
	s_delay_alu instid0(VALU_DEP_1) | instskip(NEXT) | instid1(VALU_DEP_1)
	v_fma_f64 v[105:106], -v[86:87], v[103:104], 1.0
	v_fma_f64 v[103:104], v[103:104], v[105:106], v[103:104]
	v_div_scale_f64 v[105:106], vcc_lo, 1.0, v[84:85], 1.0
	s_delay_alu instid0(VALU_DEP_1) | instskip(NEXT) | instid1(VALU_DEP_1)
	v_mul_f64 v[107:108], v[105:106], v[103:104]
	v_fma_f64 v[86:87], -v[86:87], v[107:108], v[105:106]
	s_delay_alu instid0(VALU_DEP_1) | instskip(NEXT) | instid1(VALU_DEP_1)
	v_div_fmas_f64 v[86:87], v[86:87], v[103:104], v[107:108]
	v_div_fixup_f64 v[86:87], v[86:87], v[84:85], 1.0
	s_delay_alu instid0(VALU_DEP_1)
	v_mul_f64 v[84:85], v[101:102], v[86:87]
	v_xor_b32_e32 v87, 0x80000000, v87
.LBB40_175:
	s_and_not1_saveexec_b32 s2, s2
	s_cbranch_execz .LBB40_177
; %bb.176:
	s_delay_alu instid0(VALU_DEP_1) | instskip(SKIP_1) | instid1(VALU_DEP_2)
	v_div_scale_f64 v[101:102], null, v[84:85], v[84:85], v[86:87]
	v_div_scale_f64 v[107:108], vcc_lo, v[86:87], v[84:85], v[86:87]
	v_rcp_f64_e32 v[103:104], v[101:102]
	s_waitcnt_depctr 0xfff
	v_fma_f64 v[105:106], -v[101:102], v[103:104], 1.0
	s_delay_alu instid0(VALU_DEP_1) | instskip(NEXT) | instid1(VALU_DEP_1)
	v_fma_f64 v[103:104], v[103:104], v[105:106], v[103:104]
	v_fma_f64 v[105:106], -v[101:102], v[103:104], 1.0
	s_delay_alu instid0(VALU_DEP_1) | instskip(NEXT) | instid1(VALU_DEP_1)
	v_fma_f64 v[103:104], v[103:104], v[105:106], v[103:104]
	v_mul_f64 v[105:106], v[107:108], v[103:104]
	s_delay_alu instid0(VALU_DEP_1) | instskip(NEXT) | instid1(VALU_DEP_1)
	v_fma_f64 v[101:102], -v[101:102], v[105:106], v[107:108]
	v_div_fmas_f64 v[101:102], v[101:102], v[103:104], v[105:106]
	s_delay_alu instid0(VALU_DEP_1) | instskip(NEXT) | instid1(VALU_DEP_1)
	v_div_fixup_f64 v[101:102], v[101:102], v[84:85], v[86:87]
	v_fma_f64 v[84:85], v[86:87], v[101:102], v[84:85]
	s_delay_alu instid0(VALU_DEP_1) | instskip(NEXT) | instid1(VALU_DEP_1)
	v_div_scale_f64 v[86:87], null, v[84:85], v[84:85], 1.0
	v_rcp_f64_e32 v[103:104], v[86:87]
	s_waitcnt_depctr 0xfff
	v_fma_f64 v[105:106], -v[86:87], v[103:104], 1.0
	s_delay_alu instid0(VALU_DEP_1) | instskip(NEXT) | instid1(VALU_DEP_1)
	v_fma_f64 v[103:104], v[103:104], v[105:106], v[103:104]
	v_fma_f64 v[105:106], -v[86:87], v[103:104], 1.0
	s_delay_alu instid0(VALU_DEP_1) | instskip(SKIP_1) | instid1(VALU_DEP_1)
	v_fma_f64 v[103:104], v[103:104], v[105:106], v[103:104]
	v_div_scale_f64 v[105:106], vcc_lo, 1.0, v[84:85], 1.0
	v_mul_f64 v[107:108], v[105:106], v[103:104]
	s_delay_alu instid0(VALU_DEP_1) | instskip(NEXT) | instid1(VALU_DEP_1)
	v_fma_f64 v[86:87], -v[86:87], v[107:108], v[105:106]
	v_div_fmas_f64 v[86:87], v[86:87], v[103:104], v[107:108]
	s_delay_alu instid0(VALU_DEP_1) | instskip(NEXT) | instid1(VALU_DEP_1)
	v_div_fixup_f64 v[84:85], v[86:87], v[84:85], 1.0
	v_mul_f64 v[86:87], v[101:102], -v[84:85]
.LBB40_177:
	s_or_b32 exec_lo, exec_lo, s2
.LBB40_178:
	s_delay_alu instid0(SALU_CYCLE_1) | instskip(NEXT) | instid1(SALU_CYCLE_1)
	s_or_b32 exec_lo, exec_lo, s3
	s_mov_b32 s2, exec_lo
	v_cmpx_ne_u32_e64 v100, v92
	s_xor_b32 s2, exec_lo, s2
	s_cbranch_execz .LBB40_184
; %bb.179:
	s_mov_b32 s3, exec_lo
	v_cmpx_eq_u32_e32 8, v100
	s_cbranch_execz .LBB40_183
; %bb.180:
	v_cmp_ne_u32_e32 vcc_lo, 8, v92
	s_xor_b32 s6, s4, -1
	s_delay_alu instid0(SALU_CYCLE_1) | instskip(NEXT) | instid1(SALU_CYCLE_1)
	s_and_b32 s7, s6, vcc_lo
	s_and_saveexec_b32 s6, s7
	s_cbranch_execz .LBB40_182
; %bb.181:
	v_ashrrev_i32_e32 v93, 31, v92
	s_delay_alu instid0(VALU_DEP_1) | instskip(NEXT) | instid1(VALU_DEP_1)
	v_lshlrev_b64 v[100:101], 2, v[92:93]
	v_add_co_u32 v100, vcc_lo, v90, v100
	s_delay_alu instid0(VALU_DEP_2)
	v_add_co_ci_u32_e32 v101, vcc_lo, v91, v101, vcc_lo
	s_clause 0x1
	flat_load_b32 v93, v[100:101]
	flat_load_b32 v97, v[90:91] offset:32
	s_waitcnt vmcnt(1) lgkmcnt(1)
	flat_store_b32 v[90:91], v93 offset:32
	s_waitcnt vmcnt(0) lgkmcnt(1)
	flat_store_b32 v[100:101], v97
.LBB40_182:
	s_or_b32 exec_lo, exec_lo, s6
	v_mov_b32_e32 v100, v92
	v_mov_b32_e32 v97, v92
.LBB40_183:
	s_or_b32 exec_lo, exec_lo, s3
.LBB40_184:
	s_and_not1_saveexec_b32 s2, s2
	s_cbranch_execz .LBB40_186
; %bb.185:
	v_mov_b32_e32 v100, 8
	ds_store_2addr_b64 v94, v[40:41], v[42:43] offset0:18 offset1:19
	ds_store_2addr_b64 v94, v[44:45], v[46:47] offset0:20 offset1:21
	;; [unrolled: 1-line block ×12, first 2 shown]
.LBB40_186:
	s_or_b32 exec_lo, exec_lo, s2
	s_delay_alu instid0(SALU_CYCLE_1)
	s_mov_b32 s2, exec_lo
	s_waitcnt lgkmcnt(0)
	s_waitcnt_vscnt null, 0x0
	s_barrier
	buffer_gl0_inv
	v_cmpx_lt_i32_e32 8, v100
	s_cbranch_execz .LBB40_188
; %bb.187:
	v_mul_f64 v[92:93], v[84:85], v[58:59]
	v_mul_f64 v[58:59], v[86:87], v[58:59]
	ds_load_2addr_b64 v[101:104], v94 offset0:18 offset1:19
	ds_load_2addr_b64 v[105:108], v94 offset0:20 offset1:21
	;; [unrolled: 1-line block ×12, first 2 shown]
	v_fma_f64 v[86:87], v[86:87], v[56:57], v[92:93]
	v_fma_f64 v[56:57], v[84:85], v[56:57], -v[58:59]
	s_waitcnt lgkmcnt(11)
	s_delay_alu instid0(VALU_DEP_2)
	v_mul_f64 v[58:59], v[103:104], v[86:87]
	v_mul_f64 v[84:85], v[101:102], v[86:87]
	s_waitcnt lgkmcnt(10)
	v_mul_f64 v[92:93], v[107:108], v[86:87]
	v_mul_f64 v[149:150], v[105:106], v[86:87]
	s_waitcnt lgkmcnt(9)
	;; [unrolled: 3-line block ×11, first 2 shown]
	v_mul_f64 v[187:188], v[147:148], v[86:87]
	v_mul_f64 v[189:190], v[145:146], v[86:87]
	v_fma_f64 v[58:59], v[101:102], v[56:57], -v[58:59]
	v_fma_f64 v[84:85], v[103:104], v[56:57], v[84:85]
	v_fma_f64 v[92:93], v[105:106], v[56:57], -v[92:93]
	v_fma_f64 v[101:102], v[107:108], v[56:57], v[149:150]
	;; [unrolled: 2-line block ×12, first 2 shown]
	v_add_f64 v[40:41], v[40:41], -v[58:59]
	v_add_f64 v[42:43], v[42:43], -v[84:85]
	;; [unrolled: 1-line block ×24, first 2 shown]
	v_dual_mov_b32 v58, v86 :: v_dual_mov_b32 v59, v87
.LBB40_188:
	s_or_b32 exec_lo, exec_lo, s2
	v_lshl_add_u32 v84, v100, 4, v94
	s_barrier
	buffer_gl0_inv
	v_mov_b32_e32 v92, 9
	ds_store_2addr_b64 v84, v[40:41], v[42:43] offset1:1
	s_waitcnt lgkmcnt(0)
	s_barrier
	buffer_gl0_inv
	ds_load_2addr_b64 v[84:87], v94 offset0:18 offset1:19
	s_cmp_lt_i32 s5, 11
	s_cbranch_scc1 .LBB40_191
; %bb.189:
	v_add3_u32 v93, v99, 0, 0xa0
	v_mov_b32_e32 v92, 9
	s_mov_b32 s6, 10
	s_set_inst_prefetch_distance 0x1
	.p2align	6
.LBB40_190:                             ; =>This Inner Loop Header: Depth=1
	ds_load_2addr_b64 v[101:104], v93 offset1:1
	s_waitcnt lgkmcnt(1)
	v_cmp_gt_f64_e32 vcc_lo, 0, v[84:85]
	v_xor_b32_e32 v105, 0x80000000, v85
	v_cmp_gt_f64_e64 s2, 0, v[86:87]
	v_xor_b32_e32 v107, 0x80000000, v87
	v_add_nc_u32_e32 v93, 16, v93
	s_waitcnt lgkmcnt(0)
	v_cmp_gt_f64_e64 s3, 0, v[101:102]
	v_mov_b32_e32 v109, v101
	v_dual_mov_b32 v111, v103 :: v_dual_cndmask_b32 v106, v85, v105
	v_xor_b32_e32 v105, 0x80000000, v102
	v_cndmask_b32_e64 v108, v87, v107, s2
	v_xor_b32_e32 v107, 0x80000000, v104
	s_delay_alu instid0(VALU_DEP_3) | instskip(SKIP_2) | instid1(VALU_DEP_2)
	v_cndmask_b32_e64 v110, v102, v105, s3
	v_cmp_gt_f64_e64 s3, 0, v[103:104]
	v_cndmask_b32_e32 v105, v84, v84, vcc_lo
	v_cndmask_b32_e64 v112, v104, v107, s3
	v_cndmask_b32_e64 v107, v86, v86, s2
	s_delay_alu instid0(VALU_DEP_2) | instskip(NEXT) | instid1(VALU_DEP_2)
	v_add_f64 v[109:110], v[109:110], v[111:112]
	v_add_f64 v[105:106], v[105:106], v[107:108]
	s_delay_alu instid0(VALU_DEP_1) | instskip(SKIP_4) | instid1(SALU_CYCLE_1)
	v_cmp_lt_f64_e32 vcc_lo, v[105:106], v[109:110]
	v_dual_cndmask_b32 v86, v86, v103 :: v_dual_cndmask_b32 v85, v85, v102
	v_dual_cndmask_b32 v84, v84, v101 :: v_dual_cndmask_b32 v87, v87, v104
	v_cndmask_b32_e64 v92, v92, s6, vcc_lo
	s_add_i32 s6, s6, 1
	s_cmp_lg_u32 s5, s6
	s_cbranch_scc1 .LBB40_190
.LBB40_191:
	s_set_inst_prefetch_distance 0x2
	s_waitcnt lgkmcnt(0)
	v_cmp_eq_f64_e32 vcc_lo, 0, v[84:85]
	v_cmp_eq_f64_e64 s2, 0, v[86:87]
	s_delay_alu instid0(VALU_DEP_1) | instskip(NEXT) | instid1(SALU_CYCLE_1)
	s_and_b32 s2, vcc_lo, s2
	s_and_saveexec_b32 s3, s2
	s_delay_alu instid0(SALU_CYCLE_1)
	s_xor_b32 s2, exec_lo, s3
; %bb.192:
	v_cmp_ne_u32_e32 vcc_lo, 0, v98
	v_cndmask_b32_e32 v98, 10, v98, vcc_lo
; %bb.193:
	s_and_not1_saveexec_b32 s3, s2
	s_cbranch_execz .LBB40_199
; %bb.194:
	v_cmp_gt_f64_e32 vcc_lo, 0, v[84:85]
	v_cmp_gt_f64_e64 s2, 0, v[86:87]
	v_xor_b32_e32 v93, 0x80000000, v85
	v_xor_b32_e32 v101, 0x80000000, v87
	s_delay_alu instid0(VALU_DEP_2) | instskip(NEXT) | instid1(VALU_DEP_2)
	v_cndmask_b32_e32 v102, v85, v93, vcc_lo
	v_cndmask_b32_e64 v104, v87, v101, s2
	v_cndmask_b32_e32 v101, v84, v84, vcc_lo
	v_cndmask_b32_e64 v103, v86, v86, s2
	s_mov_b32 s2, exec_lo
	s_delay_alu instid0(VALU_DEP_1)
	v_cmpx_ngt_f64_e32 v[101:102], v[103:104]
	s_xor_b32 s2, exec_lo, s2
	s_cbranch_execz .LBB40_196
; %bb.195:
	v_div_scale_f64 v[101:102], null, v[86:87], v[86:87], v[84:85]
	v_div_scale_f64 v[107:108], vcc_lo, v[84:85], v[86:87], v[84:85]
	s_delay_alu instid0(VALU_DEP_2) | instskip(SKIP_2) | instid1(VALU_DEP_1)
	v_rcp_f64_e32 v[103:104], v[101:102]
	s_waitcnt_depctr 0xfff
	v_fma_f64 v[105:106], -v[101:102], v[103:104], 1.0
	v_fma_f64 v[103:104], v[103:104], v[105:106], v[103:104]
	s_delay_alu instid0(VALU_DEP_1) | instskip(NEXT) | instid1(VALU_DEP_1)
	v_fma_f64 v[105:106], -v[101:102], v[103:104], 1.0
	v_fma_f64 v[103:104], v[103:104], v[105:106], v[103:104]
	s_delay_alu instid0(VALU_DEP_1) | instskip(NEXT) | instid1(VALU_DEP_1)
	v_mul_f64 v[105:106], v[107:108], v[103:104]
	v_fma_f64 v[101:102], -v[101:102], v[105:106], v[107:108]
	s_delay_alu instid0(VALU_DEP_1) | instskip(NEXT) | instid1(VALU_DEP_1)
	v_div_fmas_f64 v[101:102], v[101:102], v[103:104], v[105:106]
	v_div_fixup_f64 v[101:102], v[101:102], v[86:87], v[84:85]
	s_delay_alu instid0(VALU_DEP_1) | instskip(NEXT) | instid1(VALU_DEP_1)
	v_fma_f64 v[84:85], v[84:85], v[101:102], v[86:87]
	v_div_scale_f64 v[86:87], null, v[84:85], v[84:85], 1.0
	s_delay_alu instid0(VALU_DEP_1) | instskip(SKIP_2) | instid1(VALU_DEP_1)
	v_rcp_f64_e32 v[103:104], v[86:87]
	s_waitcnt_depctr 0xfff
	v_fma_f64 v[105:106], -v[86:87], v[103:104], 1.0
	v_fma_f64 v[103:104], v[103:104], v[105:106], v[103:104]
	s_delay_alu instid0(VALU_DEP_1) | instskip(NEXT) | instid1(VALU_DEP_1)
	v_fma_f64 v[105:106], -v[86:87], v[103:104], 1.0
	v_fma_f64 v[103:104], v[103:104], v[105:106], v[103:104]
	v_div_scale_f64 v[105:106], vcc_lo, 1.0, v[84:85], 1.0
	s_delay_alu instid0(VALU_DEP_1) | instskip(NEXT) | instid1(VALU_DEP_1)
	v_mul_f64 v[107:108], v[105:106], v[103:104]
	v_fma_f64 v[86:87], -v[86:87], v[107:108], v[105:106]
	s_delay_alu instid0(VALU_DEP_1) | instskip(NEXT) | instid1(VALU_DEP_1)
	v_div_fmas_f64 v[86:87], v[86:87], v[103:104], v[107:108]
	v_div_fixup_f64 v[86:87], v[86:87], v[84:85], 1.0
	s_delay_alu instid0(VALU_DEP_1)
	v_mul_f64 v[84:85], v[101:102], v[86:87]
	v_xor_b32_e32 v87, 0x80000000, v87
.LBB40_196:
	s_and_not1_saveexec_b32 s2, s2
	s_cbranch_execz .LBB40_198
; %bb.197:
	s_delay_alu instid0(VALU_DEP_1) | instskip(SKIP_1) | instid1(VALU_DEP_2)
	v_div_scale_f64 v[101:102], null, v[84:85], v[84:85], v[86:87]
	v_div_scale_f64 v[107:108], vcc_lo, v[86:87], v[84:85], v[86:87]
	v_rcp_f64_e32 v[103:104], v[101:102]
	s_waitcnt_depctr 0xfff
	v_fma_f64 v[105:106], -v[101:102], v[103:104], 1.0
	s_delay_alu instid0(VALU_DEP_1) | instskip(NEXT) | instid1(VALU_DEP_1)
	v_fma_f64 v[103:104], v[103:104], v[105:106], v[103:104]
	v_fma_f64 v[105:106], -v[101:102], v[103:104], 1.0
	s_delay_alu instid0(VALU_DEP_1) | instskip(NEXT) | instid1(VALU_DEP_1)
	v_fma_f64 v[103:104], v[103:104], v[105:106], v[103:104]
	v_mul_f64 v[105:106], v[107:108], v[103:104]
	s_delay_alu instid0(VALU_DEP_1) | instskip(NEXT) | instid1(VALU_DEP_1)
	v_fma_f64 v[101:102], -v[101:102], v[105:106], v[107:108]
	v_div_fmas_f64 v[101:102], v[101:102], v[103:104], v[105:106]
	s_delay_alu instid0(VALU_DEP_1) | instskip(NEXT) | instid1(VALU_DEP_1)
	v_div_fixup_f64 v[101:102], v[101:102], v[84:85], v[86:87]
	v_fma_f64 v[84:85], v[86:87], v[101:102], v[84:85]
	s_delay_alu instid0(VALU_DEP_1) | instskip(NEXT) | instid1(VALU_DEP_1)
	v_div_scale_f64 v[86:87], null, v[84:85], v[84:85], 1.0
	v_rcp_f64_e32 v[103:104], v[86:87]
	s_waitcnt_depctr 0xfff
	v_fma_f64 v[105:106], -v[86:87], v[103:104], 1.0
	s_delay_alu instid0(VALU_DEP_1) | instskip(NEXT) | instid1(VALU_DEP_1)
	v_fma_f64 v[103:104], v[103:104], v[105:106], v[103:104]
	v_fma_f64 v[105:106], -v[86:87], v[103:104], 1.0
	s_delay_alu instid0(VALU_DEP_1) | instskip(SKIP_1) | instid1(VALU_DEP_1)
	v_fma_f64 v[103:104], v[103:104], v[105:106], v[103:104]
	v_div_scale_f64 v[105:106], vcc_lo, 1.0, v[84:85], 1.0
	v_mul_f64 v[107:108], v[105:106], v[103:104]
	s_delay_alu instid0(VALU_DEP_1) | instskip(NEXT) | instid1(VALU_DEP_1)
	v_fma_f64 v[86:87], -v[86:87], v[107:108], v[105:106]
	v_div_fmas_f64 v[86:87], v[86:87], v[103:104], v[107:108]
	s_delay_alu instid0(VALU_DEP_1) | instskip(NEXT) | instid1(VALU_DEP_1)
	v_div_fixup_f64 v[84:85], v[86:87], v[84:85], 1.0
	v_mul_f64 v[86:87], v[101:102], -v[84:85]
.LBB40_198:
	s_or_b32 exec_lo, exec_lo, s2
.LBB40_199:
	s_delay_alu instid0(SALU_CYCLE_1) | instskip(NEXT) | instid1(SALU_CYCLE_1)
	s_or_b32 exec_lo, exec_lo, s3
	s_mov_b32 s2, exec_lo
	v_cmpx_ne_u32_e64 v100, v92
	s_xor_b32 s2, exec_lo, s2
	s_cbranch_execz .LBB40_205
; %bb.200:
	s_mov_b32 s3, exec_lo
	v_cmpx_eq_u32_e32 9, v100
	s_cbranch_execz .LBB40_204
; %bb.201:
	v_cmp_ne_u32_e32 vcc_lo, 9, v92
	s_xor_b32 s6, s4, -1
	s_delay_alu instid0(SALU_CYCLE_1) | instskip(NEXT) | instid1(SALU_CYCLE_1)
	s_and_b32 s7, s6, vcc_lo
	s_and_saveexec_b32 s6, s7
	s_cbranch_execz .LBB40_203
; %bb.202:
	v_ashrrev_i32_e32 v93, 31, v92
	s_delay_alu instid0(VALU_DEP_1) | instskip(NEXT) | instid1(VALU_DEP_1)
	v_lshlrev_b64 v[100:101], 2, v[92:93]
	v_add_co_u32 v100, vcc_lo, v90, v100
	s_delay_alu instid0(VALU_DEP_2)
	v_add_co_ci_u32_e32 v101, vcc_lo, v91, v101, vcc_lo
	s_clause 0x1
	flat_load_b32 v93, v[100:101]
	flat_load_b32 v97, v[90:91] offset:36
	s_waitcnt vmcnt(1) lgkmcnt(1)
	flat_store_b32 v[90:91], v93 offset:36
	s_waitcnt vmcnt(0) lgkmcnt(1)
	flat_store_b32 v[100:101], v97
.LBB40_203:
	s_or_b32 exec_lo, exec_lo, s6
	v_mov_b32_e32 v100, v92
	v_mov_b32_e32 v97, v92
.LBB40_204:
	s_or_b32 exec_lo, exec_lo, s3
.LBB40_205:
	s_and_not1_saveexec_b32 s2, s2
	s_cbranch_execz .LBB40_207
; %bb.206:
	v_mov_b32_e32 v100, 9
	ds_store_2addr_b64 v94, v[44:45], v[46:47] offset0:20 offset1:21
	ds_store_2addr_b64 v94, v[36:37], v[38:39] offset0:22 offset1:23
	;; [unrolled: 1-line block ×11, first 2 shown]
.LBB40_207:
	s_or_b32 exec_lo, exec_lo, s2
	s_delay_alu instid0(SALU_CYCLE_1)
	s_mov_b32 s2, exec_lo
	s_waitcnt lgkmcnt(0)
	s_waitcnt_vscnt null, 0x0
	s_barrier
	buffer_gl0_inv
	v_cmpx_lt_i32_e32 9, v100
	s_cbranch_execz .LBB40_209
; %bb.208:
	v_mul_f64 v[92:93], v[84:85], v[42:43]
	v_mul_f64 v[42:43], v[86:87], v[42:43]
	ds_load_2addr_b64 v[101:104], v94 offset0:20 offset1:21
	ds_load_2addr_b64 v[105:108], v94 offset0:22 offset1:23
	;; [unrolled: 1-line block ×11, first 2 shown]
	v_fma_f64 v[86:87], v[86:87], v[40:41], v[92:93]
	v_fma_f64 v[40:41], v[84:85], v[40:41], -v[42:43]
	s_waitcnt lgkmcnt(10)
	s_delay_alu instid0(VALU_DEP_2)
	v_mul_f64 v[42:43], v[103:104], v[86:87]
	v_mul_f64 v[84:85], v[101:102], v[86:87]
	s_waitcnt lgkmcnt(9)
	v_mul_f64 v[92:93], v[107:108], v[86:87]
	v_mul_f64 v[145:146], v[105:106], v[86:87]
	s_waitcnt lgkmcnt(8)
	;; [unrolled: 3-line block ×10, first 2 shown]
	v_mul_f64 v[179:180], v[143:144], v[86:87]
	v_mul_f64 v[181:182], v[141:142], v[86:87]
	v_fma_f64 v[42:43], v[101:102], v[40:41], -v[42:43]
	v_fma_f64 v[84:85], v[103:104], v[40:41], v[84:85]
	v_fma_f64 v[92:93], v[105:106], v[40:41], -v[92:93]
	v_fma_f64 v[101:102], v[107:108], v[40:41], v[145:146]
	v_fma_f64 v[103:104], v[109:110], v[40:41], -v[147:148]
	v_fma_f64 v[105:106], v[111:112], v[40:41], v[149:150]
	v_fma_f64 v[107:108], v[113:114], v[40:41], -v[151:152]
	v_fma_f64 v[109:110], v[115:116], v[40:41], v[153:154]
	v_fma_f64 v[111:112], v[117:118], v[40:41], -v[155:156]
	v_fma_f64 v[113:114], v[119:120], v[40:41], v[157:158]
	v_fma_f64 v[115:116], v[121:122], v[40:41], -v[159:160]
	v_fma_f64 v[117:118], v[123:124], v[40:41], v[161:162]
	v_fma_f64 v[119:120], v[125:126], v[40:41], -v[163:164]
	v_fma_f64 v[121:122], v[127:128], v[40:41], v[165:166]
	v_fma_f64 v[123:124], v[129:130], v[40:41], -v[167:168]
	v_fma_f64 v[125:126], v[131:132], v[40:41], v[169:170]
	v_fma_f64 v[127:128], v[133:134], v[40:41], -v[171:172]
	v_fma_f64 v[129:130], v[135:136], v[40:41], v[173:174]
	v_fma_f64 v[131:132], v[137:138], v[40:41], -v[175:176]
	v_fma_f64 v[133:134], v[139:140], v[40:41], v[177:178]
	v_fma_f64 v[135:136], v[141:142], v[40:41], -v[179:180]
	v_fma_f64 v[137:138], v[143:144], v[40:41], v[181:182]
	v_add_f64 v[44:45], v[44:45], -v[42:43]
	v_add_f64 v[46:47], v[46:47], -v[84:85]
	;; [unrolled: 1-line block ×22, first 2 shown]
	v_dual_mov_b32 v42, v86 :: v_dual_mov_b32 v43, v87
.LBB40_209:
	s_or_b32 exec_lo, exec_lo, s2
	v_lshl_add_u32 v84, v100, 4, v94
	s_barrier
	buffer_gl0_inv
	v_mov_b32_e32 v92, 10
	ds_store_2addr_b64 v84, v[44:45], v[46:47] offset1:1
	s_waitcnt lgkmcnt(0)
	s_barrier
	buffer_gl0_inv
	ds_load_2addr_b64 v[84:87], v94 offset0:20 offset1:21
	s_cmp_lt_i32 s5, 12
	s_cbranch_scc1 .LBB40_212
; %bb.210:
	v_add3_u32 v93, v99, 0, 0xb0
	v_mov_b32_e32 v92, 10
	s_mov_b32 s6, 11
	s_set_inst_prefetch_distance 0x1
	.p2align	6
.LBB40_211:                             ; =>This Inner Loop Header: Depth=1
	ds_load_2addr_b64 v[101:104], v93 offset1:1
	s_waitcnt lgkmcnt(1)
	v_cmp_gt_f64_e32 vcc_lo, 0, v[84:85]
	v_xor_b32_e32 v105, 0x80000000, v85
	v_cmp_gt_f64_e64 s2, 0, v[86:87]
	v_xor_b32_e32 v107, 0x80000000, v87
	v_add_nc_u32_e32 v93, 16, v93
	s_waitcnt lgkmcnt(0)
	v_cmp_gt_f64_e64 s3, 0, v[101:102]
	v_mov_b32_e32 v109, v101
	v_dual_mov_b32 v111, v103 :: v_dual_cndmask_b32 v106, v85, v105
	v_xor_b32_e32 v105, 0x80000000, v102
	v_cndmask_b32_e64 v108, v87, v107, s2
	v_xor_b32_e32 v107, 0x80000000, v104
	s_delay_alu instid0(VALU_DEP_3) | instskip(SKIP_2) | instid1(VALU_DEP_2)
	v_cndmask_b32_e64 v110, v102, v105, s3
	v_cmp_gt_f64_e64 s3, 0, v[103:104]
	v_cndmask_b32_e32 v105, v84, v84, vcc_lo
	v_cndmask_b32_e64 v112, v104, v107, s3
	v_cndmask_b32_e64 v107, v86, v86, s2
	s_delay_alu instid0(VALU_DEP_2) | instskip(NEXT) | instid1(VALU_DEP_2)
	v_add_f64 v[109:110], v[109:110], v[111:112]
	v_add_f64 v[105:106], v[105:106], v[107:108]
	s_delay_alu instid0(VALU_DEP_1) | instskip(SKIP_4) | instid1(SALU_CYCLE_1)
	v_cmp_lt_f64_e32 vcc_lo, v[105:106], v[109:110]
	v_dual_cndmask_b32 v86, v86, v103 :: v_dual_cndmask_b32 v85, v85, v102
	v_dual_cndmask_b32 v84, v84, v101 :: v_dual_cndmask_b32 v87, v87, v104
	v_cndmask_b32_e64 v92, v92, s6, vcc_lo
	s_add_i32 s6, s6, 1
	s_cmp_lg_u32 s5, s6
	s_cbranch_scc1 .LBB40_211
.LBB40_212:
	s_set_inst_prefetch_distance 0x2
	s_waitcnt lgkmcnt(0)
	v_cmp_eq_f64_e32 vcc_lo, 0, v[84:85]
	v_cmp_eq_f64_e64 s2, 0, v[86:87]
	s_delay_alu instid0(VALU_DEP_1) | instskip(NEXT) | instid1(SALU_CYCLE_1)
	s_and_b32 s2, vcc_lo, s2
	s_and_saveexec_b32 s3, s2
	s_delay_alu instid0(SALU_CYCLE_1)
	s_xor_b32 s2, exec_lo, s3
; %bb.213:
	v_cmp_ne_u32_e32 vcc_lo, 0, v98
	v_cndmask_b32_e32 v98, 11, v98, vcc_lo
; %bb.214:
	s_and_not1_saveexec_b32 s3, s2
	s_cbranch_execz .LBB40_220
; %bb.215:
	v_cmp_gt_f64_e32 vcc_lo, 0, v[84:85]
	v_cmp_gt_f64_e64 s2, 0, v[86:87]
	v_xor_b32_e32 v93, 0x80000000, v85
	v_xor_b32_e32 v101, 0x80000000, v87
	s_delay_alu instid0(VALU_DEP_2) | instskip(NEXT) | instid1(VALU_DEP_2)
	v_cndmask_b32_e32 v102, v85, v93, vcc_lo
	v_cndmask_b32_e64 v104, v87, v101, s2
	v_cndmask_b32_e32 v101, v84, v84, vcc_lo
	v_cndmask_b32_e64 v103, v86, v86, s2
	s_mov_b32 s2, exec_lo
	s_delay_alu instid0(VALU_DEP_1)
	v_cmpx_ngt_f64_e32 v[101:102], v[103:104]
	s_xor_b32 s2, exec_lo, s2
	s_cbranch_execz .LBB40_217
; %bb.216:
	v_div_scale_f64 v[101:102], null, v[86:87], v[86:87], v[84:85]
	v_div_scale_f64 v[107:108], vcc_lo, v[84:85], v[86:87], v[84:85]
	s_delay_alu instid0(VALU_DEP_2) | instskip(SKIP_2) | instid1(VALU_DEP_1)
	v_rcp_f64_e32 v[103:104], v[101:102]
	s_waitcnt_depctr 0xfff
	v_fma_f64 v[105:106], -v[101:102], v[103:104], 1.0
	v_fma_f64 v[103:104], v[103:104], v[105:106], v[103:104]
	s_delay_alu instid0(VALU_DEP_1) | instskip(NEXT) | instid1(VALU_DEP_1)
	v_fma_f64 v[105:106], -v[101:102], v[103:104], 1.0
	v_fma_f64 v[103:104], v[103:104], v[105:106], v[103:104]
	s_delay_alu instid0(VALU_DEP_1) | instskip(NEXT) | instid1(VALU_DEP_1)
	v_mul_f64 v[105:106], v[107:108], v[103:104]
	v_fma_f64 v[101:102], -v[101:102], v[105:106], v[107:108]
	s_delay_alu instid0(VALU_DEP_1) | instskip(NEXT) | instid1(VALU_DEP_1)
	v_div_fmas_f64 v[101:102], v[101:102], v[103:104], v[105:106]
	v_div_fixup_f64 v[101:102], v[101:102], v[86:87], v[84:85]
	s_delay_alu instid0(VALU_DEP_1) | instskip(NEXT) | instid1(VALU_DEP_1)
	v_fma_f64 v[84:85], v[84:85], v[101:102], v[86:87]
	v_div_scale_f64 v[86:87], null, v[84:85], v[84:85], 1.0
	s_delay_alu instid0(VALU_DEP_1) | instskip(SKIP_2) | instid1(VALU_DEP_1)
	v_rcp_f64_e32 v[103:104], v[86:87]
	s_waitcnt_depctr 0xfff
	v_fma_f64 v[105:106], -v[86:87], v[103:104], 1.0
	v_fma_f64 v[103:104], v[103:104], v[105:106], v[103:104]
	s_delay_alu instid0(VALU_DEP_1) | instskip(NEXT) | instid1(VALU_DEP_1)
	v_fma_f64 v[105:106], -v[86:87], v[103:104], 1.0
	v_fma_f64 v[103:104], v[103:104], v[105:106], v[103:104]
	v_div_scale_f64 v[105:106], vcc_lo, 1.0, v[84:85], 1.0
	s_delay_alu instid0(VALU_DEP_1) | instskip(NEXT) | instid1(VALU_DEP_1)
	v_mul_f64 v[107:108], v[105:106], v[103:104]
	v_fma_f64 v[86:87], -v[86:87], v[107:108], v[105:106]
	s_delay_alu instid0(VALU_DEP_1) | instskip(NEXT) | instid1(VALU_DEP_1)
	v_div_fmas_f64 v[86:87], v[86:87], v[103:104], v[107:108]
	v_div_fixup_f64 v[86:87], v[86:87], v[84:85], 1.0
	s_delay_alu instid0(VALU_DEP_1)
	v_mul_f64 v[84:85], v[101:102], v[86:87]
	v_xor_b32_e32 v87, 0x80000000, v87
.LBB40_217:
	s_and_not1_saveexec_b32 s2, s2
	s_cbranch_execz .LBB40_219
; %bb.218:
	s_delay_alu instid0(VALU_DEP_1) | instskip(SKIP_1) | instid1(VALU_DEP_2)
	v_div_scale_f64 v[101:102], null, v[84:85], v[84:85], v[86:87]
	v_div_scale_f64 v[107:108], vcc_lo, v[86:87], v[84:85], v[86:87]
	v_rcp_f64_e32 v[103:104], v[101:102]
	s_waitcnt_depctr 0xfff
	v_fma_f64 v[105:106], -v[101:102], v[103:104], 1.0
	s_delay_alu instid0(VALU_DEP_1) | instskip(NEXT) | instid1(VALU_DEP_1)
	v_fma_f64 v[103:104], v[103:104], v[105:106], v[103:104]
	v_fma_f64 v[105:106], -v[101:102], v[103:104], 1.0
	s_delay_alu instid0(VALU_DEP_1) | instskip(NEXT) | instid1(VALU_DEP_1)
	v_fma_f64 v[103:104], v[103:104], v[105:106], v[103:104]
	v_mul_f64 v[105:106], v[107:108], v[103:104]
	s_delay_alu instid0(VALU_DEP_1) | instskip(NEXT) | instid1(VALU_DEP_1)
	v_fma_f64 v[101:102], -v[101:102], v[105:106], v[107:108]
	v_div_fmas_f64 v[101:102], v[101:102], v[103:104], v[105:106]
	s_delay_alu instid0(VALU_DEP_1) | instskip(NEXT) | instid1(VALU_DEP_1)
	v_div_fixup_f64 v[101:102], v[101:102], v[84:85], v[86:87]
	v_fma_f64 v[84:85], v[86:87], v[101:102], v[84:85]
	s_delay_alu instid0(VALU_DEP_1) | instskip(NEXT) | instid1(VALU_DEP_1)
	v_div_scale_f64 v[86:87], null, v[84:85], v[84:85], 1.0
	v_rcp_f64_e32 v[103:104], v[86:87]
	s_waitcnt_depctr 0xfff
	v_fma_f64 v[105:106], -v[86:87], v[103:104], 1.0
	s_delay_alu instid0(VALU_DEP_1) | instskip(NEXT) | instid1(VALU_DEP_1)
	v_fma_f64 v[103:104], v[103:104], v[105:106], v[103:104]
	v_fma_f64 v[105:106], -v[86:87], v[103:104], 1.0
	s_delay_alu instid0(VALU_DEP_1) | instskip(SKIP_1) | instid1(VALU_DEP_1)
	v_fma_f64 v[103:104], v[103:104], v[105:106], v[103:104]
	v_div_scale_f64 v[105:106], vcc_lo, 1.0, v[84:85], 1.0
	v_mul_f64 v[107:108], v[105:106], v[103:104]
	s_delay_alu instid0(VALU_DEP_1) | instskip(NEXT) | instid1(VALU_DEP_1)
	v_fma_f64 v[86:87], -v[86:87], v[107:108], v[105:106]
	v_div_fmas_f64 v[86:87], v[86:87], v[103:104], v[107:108]
	s_delay_alu instid0(VALU_DEP_1) | instskip(NEXT) | instid1(VALU_DEP_1)
	v_div_fixup_f64 v[84:85], v[86:87], v[84:85], 1.0
	v_mul_f64 v[86:87], v[101:102], -v[84:85]
.LBB40_219:
	s_or_b32 exec_lo, exec_lo, s2
.LBB40_220:
	s_delay_alu instid0(SALU_CYCLE_1) | instskip(NEXT) | instid1(SALU_CYCLE_1)
	s_or_b32 exec_lo, exec_lo, s3
	s_mov_b32 s2, exec_lo
	v_cmpx_ne_u32_e64 v100, v92
	s_xor_b32 s2, exec_lo, s2
	s_cbranch_execz .LBB40_226
; %bb.221:
	s_mov_b32 s3, exec_lo
	v_cmpx_eq_u32_e32 10, v100
	s_cbranch_execz .LBB40_225
; %bb.222:
	v_cmp_ne_u32_e32 vcc_lo, 10, v92
	s_xor_b32 s6, s4, -1
	s_delay_alu instid0(SALU_CYCLE_1) | instskip(NEXT) | instid1(SALU_CYCLE_1)
	s_and_b32 s7, s6, vcc_lo
	s_and_saveexec_b32 s6, s7
	s_cbranch_execz .LBB40_224
; %bb.223:
	v_ashrrev_i32_e32 v93, 31, v92
	s_delay_alu instid0(VALU_DEP_1) | instskip(NEXT) | instid1(VALU_DEP_1)
	v_lshlrev_b64 v[100:101], 2, v[92:93]
	v_add_co_u32 v100, vcc_lo, v90, v100
	s_delay_alu instid0(VALU_DEP_2)
	v_add_co_ci_u32_e32 v101, vcc_lo, v91, v101, vcc_lo
	s_clause 0x1
	flat_load_b32 v93, v[100:101]
	flat_load_b32 v97, v[90:91] offset:40
	s_waitcnt vmcnt(1) lgkmcnt(1)
	flat_store_b32 v[90:91], v93 offset:40
	s_waitcnt vmcnt(0) lgkmcnt(1)
	flat_store_b32 v[100:101], v97
.LBB40_224:
	s_or_b32 exec_lo, exec_lo, s6
	v_mov_b32_e32 v100, v92
	v_mov_b32_e32 v97, v92
.LBB40_225:
	s_or_b32 exec_lo, exec_lo, s3
.LBB40_226:
	s_and_not1_saveexec_b32 s2, s2
	s_cbranch_execz .LBB40_228
; %bb.227:
	v_mov_b32_e32 v100, 10
	ds_store_2addr_b64 v94, v[36:37], v[38:39] offset0:22 offset1:23
	ds_store_2addr_b64 v94, v[32:33], v[34:35] offset0:24 offset1:25
	ds_store_2addr_b64 v94, v[28:29], v[30:31] offset0:26 offset1:27
	ds_store_2addr_b64 v94, v[24:25], v[26:27] offset0:28 offset1:29
	ds_store_2addr_b64 v94, v[20:21], v[22:23] offset0:30 offset1:31
	ds_store_2addr_b64 v94, v[16:17], v[18:19] offset0:32 offset1:33
	ds_store_2addr_b64 v94, v[12:13], v[14:15] offset0:34 offset1:35
	ds_store_2addr_b64 v94, v[8:9], v[10:11] offset0:36 offset1:37
	ds_store_2addr_b64 v94, v[4:5], v[6:7] offset0:38 offset1:39
	ds_store_2addr_b64 v94, v[0:1], v[2:3] offset0:40 offset1:41
.LBB40_228:
	s_or_b32 exec_lo, exec_lo, s2
	s_delay_alu instid0(SALU_CYCLE_1)
	s_mov_b32 s2, exec_lo
	s_waitcnt lgkmcnt(0)
	s_waitcnt_vscnt null, 0x0
	s_barrier
	buffer_gl0_inv
	v_cmpx_lt_i32_e32 10, v100
	s_cbranch_execz .LBB40_230
; %bb.229:
	v_mul_f64 v[92:93], v[84:85], v[46:47]
	v_mul_f64 v[46:47], v[86:87], v[46:47]
	ds_load_2addr_b64 v[101:104], v94 offset0:22 offset1:23
	ds_load_2addr_b64 v[105:108], v94 offset0:24 offset1:25
	;; [unrolled: 1-line block ×10, first 2 shown]
	v_fma_f64 v[86:87], v[86:87], v[44:45], v[92:93]
	v_fma_f64 v[44:45], v[84:85], v[44:45], -v[46:47]
	s_waitcnt lgkmcnt(9)
	s_delay_alu instid0(VALU_DEP_2)
	v_mul_f64 v[46:47], v[103:104], v[86:87]
	v_mul_f64 v[84:85], v[101:102], v[86:87]
	s_waitcnt lgkmcnt(8)
	v_mul_f64 v[92:93], v[107:108], v[86:87]
	v_mul_f64 v[141:142], v[105:106], v[86:87]
	s_waitcnt lgkmcnt(7)
	;; [unrolled: 3-line block ×9, first 2 shown]
	v_mul_f64 v[171:172], v[139:140], v[86:87]
	v_mul_f64 v[173:174], v[137:138], v[86:87]
	v_fma_f64 v[46:47], v[101:102], v[44:45], -v[46:47]
	v_fma_f64 v[84:85], v[103:104], v[44:45], v[84:85]
	v_fma_f64 v[92:93], v[105:106], v[44:45], -v[92:93]
	v_fma_f64 v[101:102], v[107:108], v[44:45], v[141:142]
	;; [unrolled: 2-line block ×10, first 2 shown]
	v_add_f64 v[36:37], v[36:37], -v[46:47]
	v_add_f64 v[38:39], v[38:39], -v[84:85]
	;; [unrolled: 1-line block ×20, first 2 shown]
	v_dual_mov_b32 v46, v86 :: v_dual_mov_b32 v47, v87
.LBB40_230:
	s_or_b32 exec_lo, exec_lo, s2
	v_lshl_add_u32 v84, v100, 4, v94
	s_barrier
	buffer_gl0_inv
	v_mov_b32_e32 v92, 11
	ds_store_2addr_b64 v84, v[36:37], v[38:39] offset1:1
	s_waitcnt lgkmcnt(0)
	s_barrier
	buffer_gl0_inv
	ds_load_2addr_b64 v[84:87], v94 offset0:22 offset1:23
	s_cmp_lt_i32 s5, 13
	s_cbranch_scc1 .LBB40_233
; %bb.231:
	v_add3_u32 v93, v99, 0, 0xc0
	v_mov_b32_e32 v92, 11
	s_mov_b32 s6, 12
	s_set_inst_prefetch_distance 0x1
	.p2align	6
.LBB40_232:                             ; =>This Inner Loop Header: Depth=1
	ds_load_2addr_b64 v[101:104], v93 offset1:1
	s_waitcnt lgkmcnt(1)
	v_cmp_gt_f64_e32 vcc_lo, 0, v[84:85]
	v_xor_b32_e32 v105, 0x80000000, v85
	v_cmp_gt_f64_e64 s2, 0, v[86:87]
	v_xor_b32_e32 v107, 0x80000000, v87
	v_add_nc_u32_e32 v93, 16, v93
	s_waitcnt lgkmcnt(0)
	v_cmp_gt_f64_e64 s3, 0, v[101:102]
	v_mov_b32_e32 v109, v101
	v_dual_mov_b32 v111, v103 :: v_dual_cndmask_b32 v106, v85, v105
	v_xor_b32_e32 v105, 0x80000000, v102
	v_cndmask_b32_e64 v108, v87, v107, s2
	v_xor_b32_e32 v107, 0x80000000, v104
	s_delay_alu instid0(VALU_DEP_3) | instskip(SKIP_2) | instid1(VALU_DEP_2)
	v_cndmask_b32_e64 v110, v102, v105, s3
	v_cmp_gt_f64_e64 s3, 0, v[103:104]
	v_cndmask_b32_e32 v105, v84, v84, vcc_lo
	v_cndmask_b32_e64 v112, v104, v107, s3
	v_cndmask_b32_e64 v107, v86, v86, s2
	s_delay_alu instid0(VALU_DEP_2) | instskip(NEXT) | instid1(VALU_DEP_2)
	v_add_f64 v[109:110], v[109:110], v[111:112]
	v_add_f64 v[105:106], v[105:106], v[107:108]
	s_delay_alu instid0(VALU_DEP_1) | instskip(SKIP_4) | instid1(SALU_CYCLE_1)
	v_cmp_lt_f64_e32 vcc_lo, v[105:106], v[109:110]
	v_dual_cndmask_b32 v86, v86, v103 :: v_dual_cndmask_b32 v85, v85, v102
	v_dual_cndmask_b32 v84, v84, v101 :: v_dual_cndmask_b32 v87, v87, v104
	v_cndmask_b32_e64 v92, v92, s6, vcc_lo
	s_add_i32 s6, s6, 1
	s_cmp_lg_u32 s5, s6
	s_cbranch_scc1 .LBB40_232
.LBB40_233:
	s_set_inst_prefetch_distance 0x2
	s_waitcnt lgkmcnt(0)
	v_cmp_eq_f64_e32 vcc_lo, 0, v[84:85]
	v_cmp_eq_f64_e64 s2, 0, v[86:87]
	s_delay_alu instid0(VALU_DEP_1) | instskip(NEXT) | instid1(SALU_CYCLE_1)
	s_and_b32 s2, vcc_lo, s2
	s_and_saveexec_b32 s3, s2
	s_delay_alu instid0(SALU_CYCLE_1)
	s_xor_b32 s2, exec_lo, s3
; %bb.234:
	v_cmp_ne_u32_e32 vcc_lo, 0, v98
	v_cndmask_b32_e32 v98, 12, v98, vcc_lo
; %bb.235:
	s_and_not1_saveexec_b32 s3, s2
	s_cbranch_execz .LBB40_241
; %bb.236:
	v_cmp_gt_f64_e32 vcc_lo, 0, v[84:85]
	v_cmp_gt_f64_e64 s2, 0, v[86:87]
	v_xor_b32_e32 v93, 0x80000000, v85
	v_xor_b32_e32 v101, 0x80000000, v87
	s_delay_alu instid0(VALU_DEP_2) | instskip(NEXT) | instid1(VALU_DEP_2)
	v_cndmask_b32_e32 v102, v85, v93, vcc_lo
	v_cndmask_b32_e64 v104, v87, v101, s2
	v_cndmask_b32_e32 v101, v84, v84, vcc_lo
	v_cndmask_b32_e64 v103, v86, v86, s2
	s_mov_b32 s2, exec_lo
	s_delay_alu instid0(VALU_DEP_1)
	v_cmpx_ngt_f64_e32 v[101:102], v[103:104]
	s_xor_b32 s2, exec_lo, s2
	s_cbranch_execz .LBB40_238
; %bb.237:
	v_div_scale_f64 v[101:102], null, v[86:87], v[86:87], v[84:85]
	v_div_scale_f64 v[107:108], vcc_lo, v[84:85], v[86:87], v[84:85]
	s_delay_alu instid0(VALU_DEP_2) | instskip(SKIP_2) | instid1(VALU_DEP_1)
	v_rcp_f64_e32 v[103:104], v[101:102]
	s_waitcnt_depctr 0xfff
	v_fma_f64 v[105:106], -v[101:102], v[103:104], 1.0
	v_fma_f64 v[103:104], v[103:104], v[105:106], v[103:104]
	s_delay_alu instid0(VALU_DEP_1) | instskip(NEXT) | instid1(VALU_DEP_1)
	v_fma_f64 v[105:106], -v[101:102], v[103:104], 1.0
	v_fma_f64 v[103:104], v[103:104], v[105:106], v[103:104]
	s_delay_alu instid0(VALU_DEP_1) | instskip(NEXT) | instid1(VALU_DEP_1)
	v_mul_f64 v[105:106], v[107:108], v[103:104]
	v_fma_f64 v[101:102], -v[101:102], v[105:106], v[107:108]
	s_delay_alu instid0(VALU_DEP_1) | instskip(NEXT) | instid1(VALU_DEP_1)
	v_div_fmas_f64 v[101:102], v[101:102], v[103:104], v[105:106]
	v_div_fixup_f64 v[101:102], v[101:102], v[86:87], v[84:85]
	s_delay_alu instid0(VALU_DEP_1) | instskip(NEXT) | instid1(VALU_DEP_1)
	v_fma_f64 v[84:85], v[84:85], v[101:102], v[86:87]
	v_div_scale_f64 v[86:87], null, v[84:85], v[84:85], 1.0
	s_delay_alu instid0(VALU_DEP_1) | instskip(SKIP_2) | instid1(VALU_DEP_1)
	v_rcp_f64_e32 v[103:104], v[86:87]
	s_waitcnt_depctr 0xfff
	v_fma_f64 v[105:106], -v[86:87], v[103:104], 1.0
	v_fma_f64 v[103:104], v[103:104], v[105:106], v[103:104]
	s_delay_alu instid0(VALU_DEP_1) | instskip(NEXT) | instid1(VALU_DEP_1)
	v_fma_f64 v[105:106], -v[86:87], v[103:104], 1.0
	v_fma_f64 v[103:104], v[103:104], v[105:106], v[103:104]
	v_div_scale_f64 v[105:106], vcc_lo, 1.0, v[84:85], 1.0
	s_delay_alu instid0(VALU_DEP_1) | instskip(NEXT) | instid1(VALU_DEP_1)
	v_mul_f64 v[107:108], v[105:106], v[103:104]
	v_fma_f64 v[86:87], -v[86:87], v[107:108], v[105:106]
	s_delay_alu instid0(VALU_DEP_1) | instskip(NEXT) | instid1(VALU_DEP_1)
	v_div_fmas_f64 v[86:87], v[86:87], v[103:104], v[107:108]
	v_div_fixup_f64 v[86:87], v[86:87], v[84:85], 1.0
	s_delay_alu instid0(VALU_DEP_1)
	v_mul_f64 v[84:85], v[101:102], v[86:87]
	v_xor_b32_e32 v87, 0x80000000, v87
.LBB40_238:
	s_and_not1_saveexec_b32 s2, s2
	s_cbranch_execz .LBB40_240
; %bb.239:
	s_delay_alu instid0(VALU_DEP_1) | instskip(SKIP_1) | instid1(VALU_DEP_2)
	v_div_scale_f64 v[101:102], null, v[84:85], v[84:85], v[86:87]
	v_div_scale_f64 v[107:108], vcc_lo, v[86:87], v[84:85], v[86:87]
	v_rcp_f64_e32 v[103:104], v[101:102]
	s_waitcnt_depctr 0xfff
	v_fma_f64 v[105:106], -v[101:102], v[103:104], 1.0
	s_delay_alu instid0(VALU_DEP_1) | instskip(NEXT) | instid1(VALU_DEP_1)
	v_fma_f64 v[103:104], v[103:104], v[105:106], v[103:104]
	v_fma_f64 v[105:106], -v[101:102], v[103:104], 1.0
	s_delay_alu instid0(VALU_DEP_1) | instskip(NEXT) | instid1(VALU_DEP_1)
	v_fma_f64 v[103:104], v[103:104], v[105:106], v[103:104]
	v_mul_f64 v[105:106], v[107:108], v[103:104]
	s_delay_alu instid0(VALU_DEP_1) | instskip(NEXT) | instid1(VALU_DEP_1)
	v_fma_f64 v[101:102], -v[101:102], v[105:106], v[107:108]
	v_div_fmas_f64 v[101:102], v[101:102], v[103:104], v[105:106]
	s_delay_alu instid0(VALU_DEP_1) | instskip(NEXT) | instid1(VALU_DEP_1)
	v_div_fixup_f64 v[101:102], v[101:102], v[84:85], v[86:87]
	v_fma_f64 v[84:85], v[86:87], v[101:102], v[84:85]
	s_delay_alu instid0(VALU_DEP_1) | instskip(NEXT) | instid1(VALU_DEP_1)
	v_div_scale_f64 v[86:87], null, v[84:85], v[84:85], 1.0
	v_rcp_f64_e32 v[103:104], v[86:87]
	s_waitcnt_depctr 0xfff
	v_fma_f64 v[105:106], -v[86:87], v[103:104], 1.0
	s_delay_alu instid0(VALU_DEP_1) | instskip(NEXT) | instid1(VALU_DEP_1)
	v_fma_f64 v[103:104], v[103:104], v[105:106], v[103:104]
	v_fma_f64 v[105:106], -v[86:87], v[103:104], 1.0
	s_delay_alu instid0(VALU_DEP_1) | instskip(SKIP_1) | instid1(VALU_DEP_1)
	v_fma_f64 v[103:104], v[103:104], v[105:106], v[103:104]
	v_div_scale_f64 v[105:106], vcc_lo, 1.0, v[84:85], 1.0
	v_mul_f64 v[107:108], v[105:106], v[103:104]
	s_delay_alu instid0(VALU_DEP_1) | instskip(NEXT) | instid1(VALU_DEP_1)
	v_fma_f64 v[86:87], -v[86:87], v[107:108], v[105:106]
	v_div_fmas_f64 v[86:87], v[86:87], v[103:104], v[107:108]
	s_delay_alu instid0(VALU_DEP_1) | instskip(NEXT) | instid1(VALU_DEP_1)
	v_div_fixup_f64 v[84:85], v[86:87], v[84:85], 1.0
	v_mul_f64 v[86:87], v[101:102], -v[84:85]
.LBB40_240:
	s_or_b32 exec_lo, exec_lo, s2
.LBB40_241:
	s_delay_alu instid0(SALU_CYCLE_1) | instskip(NEXT) | instid1(SALU_CYCLE_1)
	s_or_b32 exec_lo, exec_lo, s3
	s_mov_b32 s2, exec_lo
	v_cmpx_ne_u32_e64 v100, v92
	s_xor_b32 s2, exec_lo, s2
	s_cbranch_execz .LBB40_247
; %bb.242:
	s_mov_b32 s3, exec_lo
	v_cmpx_eq_u32_e32 11, v100
	s_cbranch_execz .LBB40_246
; %bb.243:
	v_cmp_ne_u32_e32 vcc_lo, 11, v92
	s_xor_b32 s6, s4, -1
	s_delay_alu instid0(SALU_CYCLE_1) | instskip(NEXT) | instid1(SALU_CYCLE_1)
	s_and_b32 s7, s6, vcc_lo
	s_and_saveexec_b32 s6, s7
	s_cbranch_execz .LBB40_245
; %bb.244:
	v_ashrrev_i32_e32 v93, 31, v92
	s_delay_alu instid0(VALU_DEP_1) | instskip(NEXT) | instid1(VALU_DEP_1)
	v_lshlrev_b64 v[100:101], 2, v[92:93]
	v_add_co_u32 v100, vcc_lo, v90, v100
	s_delay_alu instid0(VALU_DEP_2)
	v_add_co_ci_u32_e32 v101, vcc_lo, v91, v101, vcc_lo
	s_clause 0x1
	flat_load_b32 v93, v[100:101]
	flat_load_b32 v97, v[90:91] offset:44
	s_waitcnt vmcnt(1) lgkmcnt(1)
	flat_store_b32 v[90:91], v93 offset:44
	s_waitcnt vmcnt(0) lgkmcnt(1)
	flat_store_b32 v[100:101], v97
.LBB40_245:
	s_or_b32 exec_lo, exec_lo, s6
	v_mov_b32_e32 v100, v92
	v_mov_b32_e32 v97, v92
.LBB40_246:
	s_or_b32 exec_lo, exec_lo, s3
.LBB40_247:
	s_and_not1_saveexec_b32 s2, s2
	s_cbranch_execz .LBB40_249
; %bb.248:
	v_mov_b32_e32 v100, 11
	ds_store_2addr_b64 v94, v[32:33], v[34:35] offset0:24 offset1:25
	ds_store_2addr_b64 v94, v[28:29], v[30:31] offset0:26 offset1:27
	;; [unrolled: 1-line block ×9, first 2 shown]
.LBB40_249:
	s_or_b32 exec_lo, exec_lo, s2
	s_delay_alu instid0(SALU_CYCLE_1)
	s_mov_b32 s2, exec_lo
	s_waitcnt lgkmcnt(0)
	s_waitcnt_vscnt null, 0x0
	s_barrier
	buffer_gl0_inv
	v_cmpx_lt_i32_e32 11, v100
	s_cbranch_execz .LBB40_251
; %bb.250:
	v_mul_f64 v[92:93], v[84:85], v[38:39]
	v_mul_f64 v[38:39], v[86:87], v[38:39]
	ds_load_2addr_b64 v[101:104], v94 offset0:24 offset1:25
	ds_load_2addr_b64 v[105:108], v94 offset0:26 offset1:27
	;; [unrolled: 1-line block ×9, first 2 shown]
	v_fma_f64 v[86:87], v[86:87], v[36:37], v[92:93]
	v_fma_f64 v[36:37], v[84:85], v[36:37], -v[38:39]
	s_waitcnt lgkmcnt(8)
	s_delay_alu instid0(VALU_DEP_2)
	v_mul_f64 v[38:39], v[103:104], v[86:87]
	v_mul_f64 v[84:85], v[101:102], v[86:87]
	s_waitcnt lgkmcnt(7)
	v_mul_f64 v[92:93], v[107:108], v[86:87]
	v_mul_f64 v[137:138], v[105:106], v[86:87]
	s_waitcnt lgkmcnt(6)
	;; [unrolled: 3-line block ×8, first 2 shown]
	v_mul_f64 v[163:164], v[135:136], v[86:87]
	v_mul_f64 v[165:166], v[133:134], v[86:87]
	v_fma_f64 v[38:39], v[101:102], v[36:37], -v[38:39]
	v_fma_f64 v[84:85], v[103:104], v[36:37], v[84:85]
	v_fma_f64 v[92:93], v[105:106], v[36:37], -v[92:93]
	v_fma_f64 v[101:102], v[107:108], v[36:37], v[137:138]
	;; [unrolled: 2-line block ×9, first 2 shown]
	v_add_f64 v[32:33], v[32:33], -v[38:39]
	v_add_f64 v[34:35], v[34:35], -v[84:85]
	;; [unrolled: 1-line block ×18, first 2 shown]
	v_dual_mov_b32 v38, v86 :: v_dual_mov_b32 v39, v87
.LBB40_251:
	s_or_b32 exec_lo, exec_lo, s2
	v_lshl_add_u32 v84, v100, 4, v94
	s_barrier
	buffer_gl0_inv
	v_mov_b32_e32 v92, 12
	ds_store_2addr_b64 v84, v[32:33], v[34:35] offset1:1
	s_waitcnt lgkmcnt(0)
	s_barrier
	buffer_gl0_inv
	ds_load_2addr_b64 v[84:87], v94 offset0:24 offset1:25
	s_cmp_lt_i32 s5, 14
	s_cbranch_scc1 .LBB40_254
; %bb.252:
	v_add3_u32 v93, v99, 0, 0xd0
	v_mov_b32_e32 v92, 12
	s_mov_b32 s6, 13
	s_set_inst_prefetch_distance 0x1
	.p2align	6
.LBB40_253:                             ; =>This Inner Loop Header: Depth=1
	ds_load_2addr_b64 v[101:104], v93 offset1:1
	s_waitcnt lgkmcnt(1)
	v_cmp_gt_f64_e32 vcc_lo, 0, v[84:85]
	v_xor_b32_e32 v105, 0x80000000, v85
	v_cmp_gt_f64_e64 s2, 0, v[86:87]
	v_xor_b32_e32 v107, 0x80000000, v87
	v_add_nc_u32_e32 v93, 16, v93
	s_waitcnt lgkmcnt(0)
	v_cmp_gt_f64_e64 s3, 0, v[101:102]
	v_mov_b32_e32 v109, v101
	v_dual_mov_b32 v111, v103 :: v_dual_cndmask_b32 v106, v85, v105
	v_xor_b32_e32 v105, 0x80000000, v102
	v_cndmask_b32_e64 v108, v87, v107, s2
	v_xor_b32_e32 v107, 0x80000000, v104
	s_delay_alu instid0(VALU_DEP_3) | instskip(SKIP_2) | instid1(VALU_DEP_2)
	v_cndmask_b32_e64 v110, v102, v105, s3
	v_cmp_gt_f64_e64 s3, 0, v[103:104]
	v_cndmask_b32_e32 v105, v84, v84, vcc_lo
	v_cndmask_b32_e64 v112, v104, v107, s3
	v_cndmask_b32_e64 v107, v86, v86, s2
	s_delay_alu instid0(VALU_DEP_2) | instskip(NEXT) | instid1(VALU_DEP_2)
	v_add_f64 v[109:110], v[109:110], v[111:112]
	v_add_f64 v[105:106], v[105:106], v[107:108]
	s_delay_alu instid0(VALU_DEP_1) | instskip(SKIP_4) | instid1(SALU_CYCLE_1)
	v_cmp_lt_f64_e32 vcc_lo, v[105:106], v[109:110]
	v_dual_cndmask_b32 v86, v86, v103 :: v_dual_cndmask_b32 v85, v85, v102
	v_dual_cndmask_b32 v84, v84, v101 :: v_dual_cndmask_b32 v87, v87, v104
	v_cndmask_b32_e64 v92, v92, s6, vcc_lo
	s_add_i32 s6, s6, 1
	s_cmp_lg_u32 s5, s6
	s_cbranch_scc1 .LBB40_253
.LBB40_254:
	s_set_inst_prefetch_distance 0x2
	s_waitcnt lgkmcnt(0)
	v_cmp_eq_f64_e32 vcc_lo, 0, v[84:85]
	v_cmp_eq_f64_e64 s2, 0, v[86:87]
	s_delay_alu instid0(VALU_DEP_1) | instskip(NEXT) | instid1(SALU_CYCLE_1)
	s_and_b32 s2, vcc_lo, s2
	s_and_saveexec_b32 s3, s2
	s_delay_alu instid0(SALU_CYCLE_1)
	s_xor_b32 s2, exec_lo, s3
; %bb.255:
	v_cmp_ne_u32_e32 vcc_lo, 0, v98
	v_cndmask_b32_e32 v98, 13, v98, vcc_lo
; %bb.256:
	s_and_not1_saveexec_b32 s3, s2
	s_cbranch_execz .LBB40_262
; %bb.257:
	v_cmp_gt_f64_e32 vcc_lo, 0, v[84:85]
	v_cmp_gt_f64_e64 s2, 0, v[86:87]
	v_xor_b32_e32 v93, 0x80000000, v85
	v_xor_b32_e32 v101, 0x80000000, v87
	s_delay_alu instid0(VALU_DEP_2) | instskip(NEXT) | instid1(VALU_DEP_2)
	v_cndmask_b32_e32 v102, v85, v93, vcc_lo
	v_cndmask_b32_e64 v104, v87, v101, s2
	v_cndmask_b32_e32 v101, v84, v84, vcc_lo
	v_cndmask_b32_e64 v103, v86, v86, s2
	s_mov_b32 s2, exec_lo
	s_delay_alu instid0(VALU_DEP_1)
	v_cmpx_ngt_f64_e32 v[101:102], v[103:104]
	s_xor_b32 s2, exec_lo, s2
	s_cbranch_execz .LBB40_259
; %bb.258:
	v_div_scale_f64 v[101:102], null, v[86:87], v[86:87], v[84:85]
	v_div_scale_f64 v[107:108], vcc_lo, v[84:85], v[86:87], v[84:85]
	s_delay_alu instid0(VALU_DEP_2) | instskip(SKIP_2) | instid1(VALU_DEP_1)
	v_rcp_f64_e32 v[103:104], v[101:102]
	s_waitcnt_depctr 0xfff
	v_fma_f64 v[105:106], -v[101:102], v[103:104], 1.0
	v_fma_f64 v[103:104], v[103:104], v[105:106], v[103:104]
	s_delay_alu instid0(VALU_DEP_1) | instskip(NEXT) | instid1(VALU_DEP_1)
	v_fma_f64 v[105:106], -v[101:102], v[103:104], 1.0
	v_fma_f64 v[103:104], v[103:104], v[105:106], v[103:104]
	s_delay_alu instid0(VALU_DEP_1) | instskip(NEXT) | instid1(VALU_DEP_1)
	v_mul_f64 v[105:106], v[107:108], v[103:104]
	v_fma_f64 v[101:102], -v[101:102], v[105:106], v[107:108]
	s_delay_alu instid0(VALU_DEP_1) | instskip(NEXT) | instid1(VALU_DEP_1)
	v_div_fmas_f64 v[101:102], v[101:102], v[103:104], v[105:106]
	v_div_fixup_f64 v[101:102], v[101:102], v[86:87], v[84:85]
	s_delay_alu instid0(VALU_DEP_1) | instskip(NEXT) | instid1(VALU_DEP_1)
	v_fma_f64 v[84:85], v[84:85], v[101:102], v[86:87]
	v_div_scale_f64 v[86:87], null, v[84:85], v[84:85], 1.0
	s_delay_alu instid0(VALU_DEP_1) | instskip(SKIP_2) | instid1(VALU_DEP_1)
	v_rcp_f64_e32 v[103:104], v[86:87]
	s_waitcnt_depctr 0xfff
	v_fma_f64 v[105:106], -v[86:87], v[103:104], 1.0
	v_fma_f64 v[103:104], v[103:104], v[105:106], v[103:104]
	s_delay_alu instid0(VALU_DEP_1) | instskip(NEXT) | instid1(VALU_DEP_1)
	v_fma_f64 v[105:106], -v[86:87], v[103:104], 1.0
	v_fma_f64 v[103:104], v[103:104], v[105:106], v[103:104]
	v_div_scale_f64 v[105:106], vcc_lo, 1.0, v[84:85], 1.0
	s_delay_alu instid0(VALU_DEP_1) | instskip(NEXT) | instid1(VALU_DEP_1)
	v_mul_f64 v[107:108], v[105:106], v[103:104]
	v_fma_f64 v[86:87], -v[86:87], v[107:108], v[105:106]
	s_delay_alu instid0(VALU_DEP_1) | instskip(NEXT) | instid1(VALU_DEP_1)
	v_div_fmas_f64 v[86:87], v[86:87], v[103:104], v[107:108]
	v_div_fixup_f64 v[86:87], v[86:87], v[84:85], 1.0
	s_delay_alu instid0(VALU_DEP_1)
	v_mul_f64 v[84:85], v[101:102], v[86:87]
	v_xor_b32_e32 v87, 0x80000000, v87
.LBB40_259:
	s_and_not1_saveexec_b32 s2, s2
	s_cbranch_execz .LBB40_261
; %bb.260:
	s_delay_alu instid0(VALU_DEP_1) | instskip(SKIP_1) | instid1(VALU_DEP_2)
	v_div_scale_f64 v[101:102], null, v[84:85], v[84:85], v[86:87]
	v_div_scale_f64 v[107:108], vcc_lo, v[86:87], v[84:85], v[86:87]
	v_rcp_f64_e32 v[103:104], v[101:102]
	s_waitcnt_depctr 0xfff
	v_fma_f64 v[105:106], -v[101:102], v[103:104], 1.0
	s_delay_alu instid0(VALU_DEP_1) | instskip(NEXT) | instid1(VALU_DEP_1)
	v_fma_f64 v[103:104], v[103:104], v[105:106], v[103:104]
	v_fma_f64 v[105:106], -v[101:102], v[103:104], 1.0
	s_delay_alu instid0(VALU_DEP_1) | instskip(NEXT) | instid1(VALU_DEP_1)
	v_fma_f64 v[103:104], v[103:104], v[105:106], v[103:104]
	v_mul_f64 v[105:106], v[107:108], v[103:104]
	s_delay_alu instid0(VALU_DEP_1) | instskip(NEXT) | instid1(VALU_DEP_1)
	v_fma_f64 v[101:102], -v[101:102], v[105:106], v[107:108]
	v_div_fmas_f64 v[101:102], v[101:102], v[103:104], v[105:106]
	s_delay_alu instid0(VALU_DEP_1) | instskip(NEXT) | instid1(VALU_DEP_1)
	v_div_fixup_f64 v[101:102], v[101:102], v[84:85], v[86:87]
	v_fma_f64 v[84:85], v[86:87], v[101:102], v[84:85]
	s_delay_alu instid0(VALU_DEP_1) | instskip(NEXT) | instid1(VALU_DEP_1)
	v_div_scale_f64 v[86:87], null, v[84:85], v[84:85], 1.0
	v_rcp_f64_e32 v[103:104], v[86:87]
	s_waitcnt_depctr 0xfff
	v_fma_f64 v[105:106], -v[86:87], v[103:104], 1.0
	s_delay_alu instid0(VALU_DEP_1) | instskip(NEXT) | instid1(VALU_DEP_1)
	v_fma_f64 v[103:104], v[103:104], v[105:106], v[103:104]
	v_fma_f64 v[105:106], -v[86:87], v[103:104], 1.0
	s_delay_alu instid0(VALU_DEP_1) | instskip(SKIP_1) | instid1(VALU_DEP_1)
	v_fma_f64 v[103:104], v[103:104], v[105:106], v[103:104]
	v_div_scale_f64 v[105:106], vcc_lo, 1.0, v[84:85], 1.0
	v_mul_f64 v[107:108], v[105:106], v[103:104]
	s_delay_alu instid0(VALU_DEP_1) | instskip(NEXT) | instid1(VALU_DEP_1)
	v_fma_f64 v[86:87], -v[86:87], v[107:108], v[105:106]
	v_div_fmas_f64 v[86:87], v[86:87], v[103:104], v[107:108]
	s_delay_alu instid0(VALU_DEP_1) | instskip(NEXT) | instid1(VALU_DEP_1)
	v_div_fixup_f64 v[84:85], v[86:87], v[84:85], 1.0
	v_mul_f64 v[86:87], v[101:102], -v[84:85]
.LBB40_261:
	s_or_b32 exec_lo, exec_lo, s2
.LBB40_262:
	s_delay_alu instid0(SALU_CYCLE_1) | instskip(NEXT) | instid1(SALU_CYCLE_1)
	s_or_b32 exec_lo, exec_lo, s3
	s_mov_b32 s2, exec_lo
	v_cmpx_ne_u32_e64 v100, v92
	s_xor_b32 s2, exec_lo, s2
	s_cbranch_execz .LBB40_268
; %bb.263:
	s_mov_b32 s3, exec_lo
	v_cmpx_eq_u32_e32 12, v100
	s_cbranch_execz .LBB40_267
; %bb.264:
	v_cmp_ne_u32_e32 vcc_lo, 12, v92
	s_xor_b32 s6, s4, -1
	s_delay_alu instid0(SALU_CYCLE_1) | instskip(NEXT) | instid1(SALU_CYCLE_1)
	s_and_b32 s7, s6, vcc_lo
	s_and_saveexec_b32 s6, s7
	s_cbranch_execz .LBB40_266
; %bb.265:
	v_ashrrev_i32_e32 v93, 31, v92
	s_delay_alu instid0(VALU_DEP_1) | instskip(NEXT) | instid1(VALU_DEP_1)
	v_lshlrev_b64 v[100:101], 2, v[92:93]
	v_add_co_u32 v100, vcc_lo, v90, v100
	s_delay_alu instid0(VALU_DEP_2)
	v_add_co_ci_u32_e32 v101, vcc_lo, v91, v101, vcc_lo
	s_clause 0x1
	flat_load_b32 v93, v[100:101]
	flat_load_b32 v97, v[90:91] offset:48
	s_waitcnt vmcnt(1) lgkmcnt(1)
	flat_store_b32 v[90:91], v93 offset:48
	s_waitcnt vmcnt(0) lgkmcnt(1)
	flat_store_b32 v[100:101], v97
.LBB40_266:
	s_or_b32 exec_lo, exec_lo, s6
	v_mov_b32_e32 v100, v92
	v_mov_b32_e32 v97, v92
.LBB40_267:
	s_or_b32 exec_lo, exec_lo, s3
.LBB40_268:
	s_and_not1_saveexec_b32 s2, s2
	s_cbranch_execz .LBB40_270
; %bb.269:
	v_mov_b32_e32 v100, 12
	ds_store_2addr_b64 v94, v[28:29], v[30:31] offset0:26 offset1:27
	ds_store_2addr_b64 v94, v[24:25], v[26:27] offset0:28 offset1:29
	;; [unrolled: 1-line block ×8, first 2 shown]
.LBB40_270:
	s_or_b32 exec_lo, exec_lo, s2
	s_delay_alu instid0(SALU_CYCLE_1)
	s_mov_b32 s2, exec_lo
	s_waitcnt lgkmcnt(0)
	s_waitcnt_vscnt null, 0x0
	s_barrier
	buffer_gl0_inv
	v_cmpx_lt_i32_e32 12, v100
	s_cbranch_execz .LBB40_272
; %bb.271:
	v_mul_f64 v[92:93], v[84:85], v[34:35]
	v_mul_f64 v[34:35], v[86:87], v[34:35]
	ds_load_2addr_b64 v[101:104], v94 offset0:26 offset1:27
	ds_load_2addr_b64 v[105:108], v94 offset0:28 offset1:29
	;; [unrolled: 1-line block ×8, first 2 shown]
	v_fma_f64 v[86:87], v[86:87], v[32:33], v[92:93]
	v_fma_f64 v[32:33], v[84:85], v[32:33], -v[34:35]
	s_waitcnt lgkmcnt(7)
	s_delay_alu instid0(VALU_DEP_2)
	v_mul_f64 v[34:35], v[103:104], v[86:87]
	v_mul_f64 v[84:85], v[101:102], v[86:87]
	s_waitcnt lgkmcnt(6)
	v_mul_f64 v[92:93], v[107:108], v[86:87]
	v_mul_f64 v[133:134], v[105:106], v[86:87]
	s_waitcnt lgkmcnt(5)
	v_mul_f64 v[135:136], v[111:112], v[86:87]
	v_mul_f64 v[137:138], v[109:110], v[86:87]
	s_waitcnt lgkmcnt(4)
	v_mul_f64 v[139:140], v[115:116], v[86:87]
	v_mul_f64 v[141:142], v[113:114], v[86:87]
	s_waitcnt lgkmcnt(3)
	v_mul_f64 v[143:144], v[119:120], v[86:87]
	v_mul_f64 v[145:146], v[117:118], v[86:87]
	s_waitcnt lgkmcnt(2)
	v_mul_f64 v[147:148], v[123:124], v[86:87]
	v_mul_f64 v[149:150], v[121:122], v[86:87]
	s_waitcnt lgkmcnt(1)
	v_mul_f64 v[151:152], v[127:128], v[86:87]
	v_mul_f64 v[153:154], v[125:126], v[86:87]
	s_waitcnt lgkmcnt(0)
	v_mul_f64 v[155:156], v[131:132], v[86:87]
	v_mul_f64 v[157:158], v[129:130], v[86:87]
	v_fma_f64 v[34:35], v[101:102], v[32:33], -v[34:35]
	v_fma_f64 v[84:85], v[103:104], v[32:33], v[84:85]
	v_fma_f64 v[92:93], v[105:106], v[32:33], -v[92:93]
	v_fma_f64 v[101:102], v[107:108], v[32:33], v[133:134]
	;; [unrolled: 2-line block ×8, first 2 shown]
	v_add_f64 v[28:29], v[28:29], -v[34:35]
	v_add_f64 v[30:31], v[30:31], -v[84:85]
	v_add_f64 v[24:25], v[24:25], -v[92:93]
	v_add_f64 v[26:27], v[26:27], -v[101:102]
	v_add_f64 v[20:21], v[20:21], -v[103:104]
	v_add_f64 v[22:23], v[22:23], -v[105:106]
	v_add_f64 v[16:17], v[16:17], -v[107:108]
	v_add_f64 v[18:19], v[18:19], -v[109:110]
	v_add_f64 v[12:13], v[12:13], -v[111:112]
	v_add_f64 v[14:15], v[14:15], -v[113:114]
	v_add_f64 v[8:9], v[8:9], -v[115:116]
	v_add_f64 v[10:11], v[10:11], -v[117:118]
	v_add_f64 v[4:5], v[4:5], -v[119:120]
	v_add_f64 v[6:7], v[6:7], -v[121:122]
	v_add_f64 v[0:1], v[0:1], -v[123:124]
	v_add_f64 v[2:3], v[2:3], -v[125:126]
	v_dual_mov_b32 v34, v86 :: v_dual_mov_b32 v35, v87
.LBB40_272:
	s_or_b32 exec_lo, exec_lo, s2
	v_lshl_add_u32 v84, v100, 4, v94
	s_barrier
	buffer_gl0_inv
	v_mov_b32_e32 v92, 13
	ds_store_2addr_b64 v84, v[28:29], v[30:31] offset1:1
	s_waitcnt lgkmcnt(0)
	s_barrier
	buffer_gl0_inv
	ds_load_2addr_b64 v[84:87], v94 offset0:26 offset1:27
	s_cmp_lt_i32 s5, 15
	s_cbranch_scc1 .LBB40_275
; %bb.273:
	v_add3_u32 v93, v99, 0, 0xe0
	v_mov_b32_e32 v92, 13
	s_mov_b32 s6, 14
	s_set_inst_prefetch_distance 0x1
	.p2align	6
.LBB40_274:                             ; =>This Inner Loop Header: Depth=1
	ds_load_2addr_b64 v[101:104], v93 offset1:1
	s_waitcnt lgkmcnt(1)
	v_cmp_gt_f64_e32 vcc_lo, 0, v[84:85]
	v_xor_b32_e32 v105, 0x80000000, v85
	v_cmp_gt_f64_e64 s2, 0, v[86:87]
	v_xor_b32_e32 v107, 0x80000000, v87
	v_add_nc_u32_e32 v93, 16, v93
	s_waitcnt lgkmcnt(0)
	v_cmp_gt_f64_e64 s3, 0, v[101:102]
	v_mov_b32_e32 v109, v101
	v_dual_mov_b32 v111, v103 :: v_dual_cndmask_b32 v106, v85, v105
	v_xor_b32_e32 v105, 0x80000000, v102
	v_cndmask_b32_e64 v108, v87, v107, s2
	v_xor_b32_e32 v107, 0x80000000, v104
	s_delay_alu instid0(VALU_DEP_3) | instskip(SKIP_2) | instid1(VALU_DEP_2)
	v_cndmask_b32_e64 v110, v102, v105, s3
	v_cmp_gt_f64_e64 s3, 0, v[103:104]
	v_cndmask_b32_e32 v105, v84, v84, vcc_lo
	v_cndmask_b32_e64 v112, v104, v107, s3
	v_cndmask_b32_e64 v107, v86, v86, s2
	s_delay_alu instid0(VALU_DEP_2) | instskip(NEXT) | instid1(VALU_DEP_2)
	v_add_f64 v[109:110], v[109:110], v[111:112]
	v_add_f64 v[105:106], v[105:106], v[107:108]
	s_delay_alu instid0(VALU_DEP_1) | instskip(SKIP_4) | instid1(SALU_CYCLE_1)
	v_cmp_lt_f64_e32 vcc_lo, v[105:106], v[109:110]
	v_dual_cndmask_b32 v86, v86, v103 :: v_dual_cndmask_b32 v85, v85, v102
	v_dual_cndmask_b32 v84, v84, v101 :: v_dual_cndmask_b32 v87, v87, v104
	v_cndmask_b32_e64 v92, v92, s6, vcc_lo
	s_add_i32 s6, s6, 1
	s_cmp_lg_u32 s5, s6
	s_cbranch_scc1 .LBB40_274
.LBB40_275:
	s_set_inst_prefetch_distance 0x2
	s_waitcnt lgkmcnt(0)
	v_cmp_eq_f64_e32 vcc_lo, 0, v[84:85]
	v_cmp_eq_f64_e64 s2, 0, v[86:87]
	s_delay_alu instid0(VALU_DEP_1) | instskip(NEXT) | instid1(SALU_CYCLE_1)
	s_and_b32 s2, vcc_lo, s2
	s_and_saveexec_b32 s3, s2
	s_delay_alu instid0(SALU_CYCLE_1)
	s_xor_b32 s2, exec_lo, s3
; %bb.276:
	v_cmp_ne_u32_e32 vcc_lo, 0, v98
	v_cndmask_b32_e32 v98, 14, v98, vcc_lo
; %bb.277:
	s_and_not1_saveexec_b32 s3, s2
	s_cbranch_execz .LBB40_283
; %bb.278:
	v_cmp_gt_f64_e32 vcc_lo, 0, v[84:85]
	v_cmp_gt_f64_e64 s2, 0, v[86:87]
	v_xor_b32_e32 v93, 0x80000000, v85
	v_xor_b32_e32 v101, 0x80000000, v87
	s_delay_alu instid0(VALU_DEP_2) | instskip(NEXT) | instid1(VALU_DEP_2)
	v_cndmask_b32_e32 v102, v85, v93, vcc_lo
	v_cndmask_b32_e64 v104, v87, v101, s2
	v_cndmask_b32_e32 v101, v84, v84, vcc_lo
	v_cndmask_b32_e64 v103, v86, v86, s2
	s_mov_b32 s2, exec_lo
	s_delay_alu instid0(VALU_DEP_1)
	v_cmpx_ngt_f64_e32 v[101:102], v[103:104]
	s_xor_b32 s2, exec_lo, s2
	s_cbranch_execz .LBB40_280
; %bb.279:
	v_div_scale_f64 v[101:102], null, v[86:87], v[86:87], v[84:85]
	v_div_scale_f64 v[107:108], vcc_lo, v[84:85], v[86:87], v[84:85]
	s_delay_alu instid0(VALU_DEP_2) | instskip(SKIP_2) | instid1(VALU_DEP_1)
	v_rcp_f64_e32 v[103:104], v[101:102]
	s_waitcnt_depctr 0xfff
	v_fma_f64 v[105:106], -v[101:102], v[103:104], 1.0
	v_fma_f64 v[103:104], v[103:104], v[105:106], v[103:104]
	s_delay_alu instid0(VALU_DEP_1) | instskip(NEXT) | instid1(VALU_DEP_1)
	v_fma_f64 v[105:106], -v[101:102], v[103:104], 1.0
	v_fma_f64 v[103:104], v[103:104], v[105:106], v[103:104]
	s_delay_alu instid0(VALU_DEP_1) | instskip(NEXT) | instid1(VALU_DEP_1)
	v_mul_f64 v[105:106], v[107:108], v[103:104]
	v_fma_f64 v[101:102], -v[101:102], v[105:106], v[107:108]
	s_delay_alu instid0(VALU_DEP_1) | instskip(NEXT) | instid1(VALU_DEP_1)
	v_div_fmas_f64 v[101:102], v[101:102], v[103:104], v[105:106]
	v_div_fixup_f64 v[101:102], v[101:102], v[86:87], v[84:85]
	s_delay_alu instid0(VALU_DEP_1) | instskip(NEXT) | instid1(VALU_DEP_1)
	v_fma_f64 v[84:85], v[84:85], v[101:102], v[86:87]
	v_div_scale_f64 v[86:87], null, v[84:85], v[84:85], 1.0
	s_delay_alu instid0(VALU_DEP_1) | instskip(SKIP_2) | instid1(VALU_DEP_1)
	v_rcp_f64_e32 v[103:104], v[86:87]
	s_waitcnt_depctr 0xfff
	v_fma_f64 v[105:106], -v[86:87], v[103:104], 1.0
	v_fma_f64 v[103:104], v[103:104], v[105:106], v[103:104]
	s_delay_alu instid0(VALU_DEP_1) | instskip(NEXT) | instid1(VALU_DEP_1)
	v_fma_f64 v[105:106], -v[86:87], v[103:104], 1.0
	v_fma_f64 v[103:104], v[103:104], v[105:106], v[103:104]
	v_div_scale_f64 v[105:106], vcc_lo, 1.0, v[84:85], 1.0
	s_delay_alu instid0(VALU_DEP_1) | instskip(NEXT) | instid1(VALU_DEP_1)
	v_mul_f64 v[107:108], v[105:106], v[103:104]
	v_fma_f64 v[86:87], -v[86:87], v[107:108], v[105:106]
	s_delay_alu instid0(VALU_DEP_1) | instskip(NEXT) | instid1(VALU_DEP_1)
	v_div_fmas_f64 v[86:87], v[86:87], v[103:104], v[107:108]
	v_div_fixup_f64 v[86:87], v[86:87], v[84:85], 1.0
	s_delay_alu instid0(VALU_DEP_1)
	v_mul_f64 v[84:85], v[101:102], v[86:87]
	v_xor_b32_e32 v87, 0x80000000, v87
.LBB40_280:
	s_and_not1_saveexec_b32 s2, s2
	s_cbranch_execz .LBB40_282
; %bb.281:
	s_delay_alu instid0(VALU_DEP_1) | instskip(SKIP_1) | instid1(VALU_DEP_2)
	v_div_scale_f64 v[101:102], null, v[84:85], v[84:85], v[86:87]
	v_div_scale_f64 v[107:108], vcc_lo, v[86:87], v[84:85], v[86:87]
	v_rcp_f64_e32 v[103:104], v[101:102]
	s_waitcnt_depctr 0xfff
	v_fma_f64 v[105:106], -v[101:102], v[103:104], 1.0
	s_delay_alu instid0(VALU_DEP_1) | instskip(NEXT) | instid1(VALU_DEP_1)
	v_fma_f64 v[103:104], v[103:104], v[105:106], v[103:104]
	v_fma_f64 v[105:106], -v[101:102], v[103:104], 1.0
	s_delay_alu instid0(VALU_DEP_1) | instskip(NEXT) | instid1(VALU_DEP_1)
	v_fma_f64 v[103:104], v[103:104], v[105:106], v[103:104]
	v_mul_f64 v[105:106], v[107:108], v[103:104]
	s_delay_alu instid0(VALU_DEP_1) | instskip(NEXT) | instid1(VALU_DEP_1)
	v_fma_f64 v[101:102], -v[101:102], v[105:106], v[107:108]
	v_div_fmas_f64 v[101:102], v[101:102], v[103:104], v[105:106]
	s_delay_alu instid0(VALU_DEP_1) | instskip(NEXT) | instid1(VALU_DEP_1)
	v_div_fixup_f64 v[101:102], v[101:102], v[84:85], v[86:87]
	v_fma_f64 v[84:85], v[86:87], v[101:102], v[84:85]
	s_delay_alu instid0(VALU_DEP_1) | instskip(NEXT) | instid1(VALU_DEP_1)
	v_div_scale_f64 v[86:87], null, v[84:85], v[84:85], 1.0
	v_rcp_f64_e32 v[103:104], v[86:87]
	s_waitcnt_depctr 0xfff
	v_fma_f64 v[105:106], -v[86:87], v[103:104], 1.0
	s_delay_alu instid0(VALU_DEP_1) | instskip(NEXT) | instid1(VALU_DEP_1)
	v_fma_f64 v[103:104], v[103:104], v[105:106], v[103:104]
	v_fma_f64 v[105:106], -v[86:87], v[103:104], 1.0
	s_delay_alu instid0(VALU_DEP_1) | instskip(SKIP_1) | instid1(VALU_DEP_1)
	v_fma_f64 v[103:104], v[103:104], v[105:106], v[103:104]
	v_div_scale_f64 v[105:106], vcc_lo, 1.0, v[84:85], 1.0
	v_mul_f64 v[107:108], v[105:106], v[103:104]
	s_delay_alu instid0(VALU_DEP_1) | instskip(NEXT) | instid1(VALU_DEP_1)
	v_fma_f64 v[86:87], -v[86:87], v[107:108], v[105:106]
	v_div_fmas_f64 v[86:87], v[86:87], v[103:104], v[107:108]
	s_delay_alu instid0(VALU_DEP_1) | instskip(NEXT) | instid1(VALU_DEP_1)
	v_div_fixup_f64 v[84:85], v[86:87], v[84:85], 1.0
	v_mul_f64 v[86:87], v[101:102], -v[84:85]
.LBB40_282:
	s_or_b32 exec_lo, exec_lo, s2
.LBB40_283:
	s_delay_alu instid0(SALU_CYCLE_1) | instskip(NEXT) | instid1(SALU_CYCLE_1)
	s_or_b32 exec_lo, exec_lo, s3
	s_mov_b32 s2, exec_lo
	v_cmpx_ne_u32_e64 v100, v92
	s_xor_b32 s2, exec_lo, s2
	s_cbranch_execz .LBB40_289
; %bb.284:
	s_mov_b32 s3, exec_lo
	v_cmpx_eq_u32_e32 13, v100
	s_cbranch_execz .LBB40_288
; %bb.285:
	v_cmp_ne_u32_e32 vcc_lo, 13, v92
	s_xor_b32 s6, s4, -1
	s_delay_alu instid0(SALU_CYCLE_1) | instskip(NEXT) | instid1(SALU_CYCLE_1)
	s_and_b32 s7, s6, vcc_lo
	s_and_saveexec_b32 s6, s7
	s_cbranch_execz .LBB40_287
; %bb.286:
	v_ashrrev_i32_e32 v93, 31, v92
	s_delay_alu instid0(VALU_DEP_1) | instskip(NEXT) | instid1(VALU_DEP_1)
	v_lshlrev_b64 v[100:101], 2, v[92:93]
	v_add_co_u32 v100, vcc_lo, v90, v100
	s_delay_alu instid0(VALU_DEP_2)
	v_add_co_ci_u32_e32 v101, vcc_lo, v91, v101, vcc_lo
	s_clause 0x1
	flat_load_b32 v93, v[100:101]
	flat_load_b32 v97, v[90:91] offset:52
	s_waitcnt vmcnt(1) lgkmcnt(1)
	flat_store_b32 v[90:91], v93 offset:52
	s_waitcnt vmcnt(0) lgkmcnt(1)
	flat_store_b32 v[100:101], v97
.LBB40_287:
	s_or_b32 exec_lo, exec_lo, s6
	v_mov_b32_e32 v100, v92
	v_mov_b32_e32 v97, v92
.LBB40_288:
	s_or_b32 exec_lo, exec_lo, s3
.LBB40_289:
	s_and_not1_saveexec_b32 s2, s2
	s_cbranch_execz .LBB40_291
; %bb.290:
	v_mov_b32_e32 v100, 13
	ds_store_2addr_b64 v94, v[24:25], v[26:27] offset0:28 offset1:29
	ds_store_2addr_b64 v94, v[20:21], v[22:23] offset0:30 offset1:31
	ds_store_2addr_b64 v94, v[16:17], v[18:19] offset0:32 offset1:33
	ds_store_2addr_b64 v94, v[12:13], v[14:15] offset0:34 offset1:35
	ds_store_2addr_b64 v94, v[8:9], v[10:11] offset0:36 offset1:37
	ds_store_2addr_b64 v94, v[4:5], v[6:7] offset0:38 offset1:39
	ds_store_2addr_b64 v94, v[0:1], v[2:3] offset0:40 offset1:41
.LBB40_291:
	s_or_b32 exec_lo, exec_lo, s2
	s_delay_alu instid0(SALU_CYCLE_1)
	s_mov_b32 s2, exec_lo
	s_waitcnt lgkmcnt(0)
	s_waitcnt_vscnt null, 0x0
	s_barrier
	buffer_gl0_inv
	v_cmpx_lt_i32_e32 13, v100
	s_cbranch_execz .LBB40_293
; %bb.292:
	v_mul_f64 v[92:93], v[84:85], v[30:31]
	v_mul_f64 v[30:31], v[86:87], v[30:31]
	ds_load_2addr_b64 v[101:104], v94 offset0:28 offset1:29
	ds_load_2addr_b64 v[105:108], v94 offset0:30 offset1:31
	;; [unrolled: 1-line block ×7, first 2 shown]
	v_fma_f64 v[86:87], v[86:87], v[28:29], v[92:93]
	v_fma_f64 v[28:29], v[84:85], v[28:29], -v[30:31]
	s_waitcnt lgkmcnt(6)
	s_delay_alu instid0(VALU_DEP_2)
	v_mul_f64 v[30:31], v[103:104], v[86:87]
	v_mul_f64 v[84:85], v[101:102], v[86:87]
	s_waitcnt lgkmcnt(5)
	v_mul_f64 v[92:93], v[107:108], v[86:87]
	v_mul_f64 v[129:130], v[105:106], v[86:87]
	s_waitcnt lgkmcnt(4)
	;; [unrolled: 3-line block ×6, first 2 shown]
	v_mul_f64 v[147:148], v[127:128], v[86:87]
	v_mul_f64 v[149:150], v[125:126], v[86:87]
	v_fma_f64 v[30:31], v[101:102], v[28:29], -v[30:31]
	v_fma_f64 v[84:85], v[103:104], v[28:29], v[84:85]
	v_fma_f64 v[92:93], v[105:106], v[28:29], -v[92:93]
	v_fma_f64 v[101:102], v[107:108], v[28:29], v[129:130]
	v_fma_f64 v[103:104], v[109:110], v[28:29], -v[131:132]
	v_fma_f64 v[105:106], v[111:112], v[28:29], v[133:134]
	v_fma_f64 v[107:108], v[113:114], v[28:29], -v[135:136]
	v_fma_f64 v[109:110], v[115:116], v[28:29], v[137:138]
	v_fma_f64 v[111:112], v[117:118], v[28:29], -v[139:140]
	v_fma_f64 v[113:114], v[119:120], v[28:29], v[141:142]
	v_fma_f64 v[115:116], v[121:122], v[28:29], -v[143:144]
	v_fma_f64 v[117:118], v[123:124], v[28:29], v[145:146]
	v_fma_f64 v[119:120], v[125:126], v[28:29], -v[147:148]
	v_fma_f64 v[121:122], v[127:128], v[28:29], v[149:150]
	v_add_f64 v[24:25], v[24:25], -v[30:31]
	v_add_f64 v[26:27], v[26:27], -v[84:85]
	;; [unrolled: 1-line block ×14, first 2 shown]
	v_dual_mov_b32 v30, v86 :: v_dual_mov_b32 v31, v87
.LBB40_293:
	s_or_b32 exec_lo, exec_lo, s2
	v_lshl_add_u32 v84, v100, 4, v94
	s_barrier
	buffer_gl0_inv
	v_mov_b32_e32 v92, 14
	ds_store_2addr_b64 v84, v[24:25], v[26:27] offset1:1
	s_waitcnt lgkmcnt(0)
	s_barrier
	buffer_gl0_inv
	ds_load_2addr_b64 v[84:87], v94 offset0:28 offset1:29
	s_cmp_lt_i32 s5, 16
	s_cbranch_scc1 .LBB40_296
; %bb.294:
	v_add3_u32 v93, v99, 0, 0xf0
	v_mov_b32_e32 v92, 14
	s_mov_b32 s6, 15
	s_set_inst_prefetch_distance 0x1
	.p2align	6
.LBB40_295:                             ; =>This Inner Loop Header: Depth=1
	ds_load_2addr_b64 v[101:104], v93 offset1:1
	s_waitcnt lgkmcnt(1)
	v_cmp_gt_f64_e32 vcc_lo, 0, v[84:85]
	v_xor_b32_e32 v105, 0x80000000, v85
	v_cmp_gt_f64_e64 s2, 0, v[86:87]
	v_xor_b32_e32 v107, 0x80000000, v87
	v_add_nc_u32_e32 v93, 16, v93
	s_waitcnt lgkmcnt(0)
	v_cmp_gt_f64_e64 s3, 0, v[101:102]
	v_mov_b32_e32 v109, v101
	v_dual_mov_b32 v111, v103 :: v_dual_cndmask_b32 v106, v85, v105
	v_xor_b32_e32 v105, 0x80000000, v102
	v_cndmask_b32_e64 v108, v87, v107, s2
	v_xor_b32_e32 v107, 0x80000000, v104
	s_delay_alu instid0(VALU_DEP_3) | instskip(SKIP_2) | instid1(VALU_DEP_2)
	v_cndmask_b32_e64 v110, v102, v105, s3
	v_cmp_gt_f64_e64 s3, 0, v[103:104]
	v_cndmask_b32_e32 v105, v84, v84, vcc_lo
	v_cndmask_b32_e64 v112, v104, v107, s3
	v_cndmask_b32_e64 v107, v86, v86, s2
	s_delay_alu instid0(VALU_DEP_2) | instskip(NEXT) | instid1(VALU_DEP_2)
	v_add_f64 v[109:110], v[109:110], v[111:112]
	v_add_f64 v[105:106], v[105:106], v[107:108]
	s_delay_alu instid0(VALU_DEP_1) | instskip(SKIP_4) | instid1(SALU_CYCLE_1)
	v_cmp_lt_f64_e32 vcc_lo, v[105:106], v[109:110]
	v_dual_cndmask_b32 v86, v86, v103 :: v_dual_cndmask_b32 v85, v85, v102
	v_dual_cndmask_b32 v84, v84, v101 :: v_dual_cndmask_b32 v87, v87, v104
	v_cndmask_b32_e64 v92, v92, s6, vcc_lo
	s_add_i32 s6, s6, 1
	s_cmp_lg_u32 s5, s6
	s_cbranch_scc1 .LBB40_295
.LBB40_296:
	s_set_inst_prefetch_distance 0x2
	s_waitcnt lgkmcnt(0)
	v_cmp_eq_f64_e32 vcc_lo, 0, v[84:85]
	v_cmp_eq_f64_e64 s2, 0, v[86:87]
	s_delay_alu instid0(VALU_DEP_1) | instskip(NEXT) | instid1(SALU_CYCLE_1)
	s_and_b32 s2, vcc_lo, s2
	s_and_saveexec_b32 s3, s2
	s_delay_alu instid0(SALU_CYCLE_1)
	s_xor_b32 s2, exec_lo, s3
; %bb.297:
	v_cmp_ne_u32_e32 vcc_lo, 0, v98
	v_cndmask_b32_e32 v98, 15, v98, vcc_lo
; %bb.298:
	s_and_not1_saveexec_b32 s3, s2
	s_cbranch_execz .LBB40_304
; %bb.299:
	v_cmp_gt_f64_e32 vcc_lo, 0, v[84:85]
	v_cmp_gt_f64_e64 s2, 0, v[86:87]
	v_xor_b32_e32 v93, 0x80000000, v85
	v_xor_b32_e32 v101, 0x80000000, v87
	s_delay_alu instid0(VALU_DEP_2) | instskip(NEXT) | instid1(VALU_DEP_2)
	v_cndmask_b32_e32 v102, v85, v93, vcc_lo
	v_cndmask_b32_e64 v104, v87, v101, s2
	v_cndmask_b32_e32 v101, v84, v84, vcc_lo
	v_cndmask_b32_e64 v103, v86, v86, s2
	s_mov_b32 s2, exec_lo
	s_delay_alu instid0(VALU_DEP_1)
	v_cmpx_ngt_f64_e32 v[101:102], v[103:104]
	s_xor_b32 s2, exec_lo, s2
	s_cbranch_execz .LBB40_301
; %bb.300:
	v_div_scale_f64 v[101:102], null, v[86:87], v[86:87], v[84:85]
	v_div_scale_f64 v[107:108], vcc_lo, v[84:85], v[86:87], v[84:85]
	s_delay_alu instid0(VALU_DEP_2) | instskip(SKIP_2) | instid1(VALU_DEP_1)
	v_rcp_f64_e32 v[103:104], v[101:102]
	s_waitcnt_depctr 0xfff
	v_fma_f64 v[105:106], -v[101:102], v[103:104], 1.0
	v_fma_f64 v[103:104], v[103:104], v[105:106], v[103:104]
	s_delay_alu instid0(VALU_DEP_1) | instskip(NEXT) | instid1(VALU_DEP_1)
	v_fma_f64 v[105:106], -v[101:102], v[103:104], 1.0
	v_fma_f64 v[103:104], v[103:104], v[105:106], v[103:104]
	s_delay_alu instid0(VALU_DEP_1) | instskip(NEXT) | instid1(VALU_DEP_1)
	v_mul_f64 v[105:106], v[107:108], v[103:104]
	v_fma_f64 v[101:102], -v[101:102], v[105:106], v[107:108]
	s_delay_alu instid0(VALU_DEP_1) | instskip(NEXT) | instid1(VALU_DEP_1)
	v_div_fmas_f64 v[101:102], v[101:102], v[103:104], v[105:106]
	v_div_fixup_f64 v[101:102], v[101:102], v[86:87], v[84:85]
	s_delay_alu instid0(VALU_DEP_1) | instskip(NEXT) | instid1(VALU_DEP_1)
	v_fma_f64 v[84:85], v[84:85], v[101:102], v[86:87]
	v_div_scale_f64 v[86:87], null, v[84:85], v[84:85], 1.0
	s_delay_alu instid0(VALU_DEP_1) | instskip(SKIP_2) | instid1(VALU_DEP_1)
	v_rcp_f64_e32 v[103:104], v[86:87]
	s_waitcnt_depctr 0xfff
	v_fma_f64 v[105:106], -v[86:87], v[103:104], 1.0
	v_fma_f64 v[103:104], v[103:104], v[105:106], v[103:104]
	s_delay_alu instid0(VALU_DEP_1) | instskip(NEXT) | instid1(VALU_DEP_1)
	v_fma_f64 v[105:106], -v[86:87], v[103:104], 1.0
	v_fma_f64 v[103:104], v[103:104], v[105:106], v[103:104]
	v_div_scale_f64 v[105:106], vcc_lo, 1.0, v[84:85], 1.0
	s_delay_alu instid0(VALU_DEP_1) | instskip(NEXT) | instid1(VALU_DEP_1)
	v_mul_f64 v[107:108], v[105:106], v[103:104]
	v_fma_f64 v[86:87], -v[86:87], v[107:108], v[105:106]
	s_delay_alu instid0(VALU_DEP_1) | instskip(NEXT) | instid1(VALU_DEP_1)
	v_div_fmas_f64 v[86:87], v[86:87], v[103:104], v[107:108]
	v_div_fixup_f64 v[86:87], v[86:87], v[84:85], 1.0
	s_delay_alu instid0(VALU_DEP_1)
	v_mul_f64 v[84:85], v[101:102], v[86:87]
	v_xor_b32_e32 v87, 0x80000000, v87
.LBB40_301:
	s_and_not1_saveexec_b32 s2, s2
	s_cbranch_execz .LBB40_303
; %bb.302:
	s_delay_alu instid0(VALU_DEP_1) | instskip(SKIP_1) | instid1(VALU_DEP_2)
	v_div_scale_f64 v[101:102], null, v[84:85], v[84:85], v[86:87]
	v_div_scale_f64 v[107:108], vcc_lo, v[86:87], v[84:85], v[86:87]
	v_rcp_f64_e32 v[103:104], v[101:102]
	s_waitcnt_depctr 0xfff
	v_fma_f64 v[105:106], -v[101:102], v[103:104], 1.0
	s_delay_alu instid0(VALU_DEP_1) | instskip(NEXT) | instid1(VALU_DEP_1)
	v_fma_f64 v[103:104], v[103:104], v[105:106], v[103:104]
	v_fma_f64 v[105:106], -v[101:102], v[103:104], 1.0
	s_delay_alu instid0(VALU_DEP_1) | instskip(NEXT) | instid1(VALU_DEP_1)
	v_fma_f64 v[103:104], v[103:104], v[105:106], v[103:104]
	v_mul_f64 v[105:106], v[107:108], v[103:104]
	s_delay_alu instid0(VALU_DEP_1) | instskip(NEXT) | instid1(VALU_DEP_1)
	v_fma_f64 v[101:102], -v[101:102], v[105:106], v[107:108]
	v_div_fmas_f64 v[101:102], v[101:102], v[103:104], v[105:106]
	s_delay_alu instid0(VALU_DEP_1) | instskip(NEXT) | instid1(VALU_DEP_1)
	v_div_fixup_f64 v[101:102], v[101:102], v[84:85], v[86:87]
	v_fma_f64 v[84:85], v[86:87], v[101:102], v[84:85]
	s_delay_alu instid0(VALU_DEP_1) | instskip(NEXT) | instid1(VALU_DEP_1)
	v_div_scale_f64 v[86:87], null, v[84:85], v[84:85], 1.0
	v_rcp_f64_e32 v[103:104], v[86:87]
	s_waitcnt_depctr 0xfff
	v_fma_f64 v[105:106], -v[86:87], v[103:104], 1.0
	s_delay_alu instid0(VALU_DEP_1) | instskip(NEXT) | instid1(VALU_DEP_1)
	v_fma_f64 v[103:104], v[103:104], v[105:106], v[103:104]
	v_fma_f64 v[105:106], -v[86:87], v[103:104], 1.0
	s_delay_alu instid0(VALU_DEP_1) | instskip(SKIP_1) | instid1(VALU_DEP_1)
	v_fma_f64 v[103:104], v[103:104], v[105:106], v[103:104]
	v_div_scale_f64 v[105:106], vcc_lo, 1.0, v[84:85], 1.0
	v_mul_f64 v[107:108], v[105:106], v[103:104]
	s_delay_alu instid0(VALU_DEP_1) | instskip(NEXT) | instid1(VALU_DEP_1)
	v_fma_f64 v[86:87], -v[86:87], v[107:108], v[105:106]
	v_div_fmas_f64 v[86:87], v[86:87], v[103:104], v[107:108]
	s_delay_alu instid0(VALU_DEP_1) | instskip(NEXT) | instid1(VALU_DEP_1)
	v_div_fixup_f64 v[84:85], v[86:87], v[84:85], 1.0
	v_mul_f64 v[86:87], v[101:102], -v[84:85]
.LBB40_303:
	s_or_b32 exec_lo, exec_lo, s2
.LBB40_304:
	s_delay_alu instid0(SALU_CYCLE_1) | instskip(NEXT) | instid1(SALU_CYCLE_1)
	s_or_b32 exec_lo, exec_lo, s3
	s_mov_b32 s2, exec_lo
	v_cmpx_ne_u32_e64 v100, v92
	s_xor_b32 s2, exec_lo, s2
	s_cbranch_execz .LBB40_310
; %bb.305:
	s_mov_b32 s3, exec_lo
	v_cmpx_eq_u32_e32 14, v100
	s_cbranch_execz .LBB40_309
; %bb.306:
	v_cmp_ne_u32_e32 vcc_lo, 14, v92
	s_xor_b32 s6, s4, -1
	s_delay_alu instid0(SALU_CYCLE_1) | instskip(NEXT) | instid1(SALU_CYCLE_1)
	s_and_b32 s7, s6, vcc_lo
	s_and_saveexec_b32 s6, s7
	s_cbranch_execz .LBB40_308
; %bb.307:
	v_ashrrev_i32_e32 v93, 31, v92
	s_delay_alu instid0(VALU_DEP_1) | instskip(NEXT) | instid1(VALU_DEP_1)
	v_lshlrev_b64 v[100:101], 2, v[92:93]
	v_add_co_u32 v100, vcc_lo, v90, v100
	s_delay_alu instid0(VALU_DEP_2)
	v_add_co_ci_u32_e32 v101, vcc_lo, v91, v101, vcc_lo
	s_clause 0x1
	flat_load_b32 v93, v[100:101]
	flat_load_b32 v97, v[90:91] offset:56
	s_waitcnt vmcnt(1) lgkmcnt(1)
	flat_store_b32 v[90:91], v93 offset:56
	s_waitcnt vmcnt(0) lgkmcnt(1)
	flat_store_b32 v[100:101], v97
.LBB40_308:
	s_or_b32 exec_lo, exec_lo, s6
	v_mov_b32_e32 v100, v92
	v_mov_b32_e32 v97, v92
.LBB40_309:
	s_or_b32 exec_lo, exec_lo, s3
.LBB40_310:
	s_and_not1_saveexec_b32 s2, s2
	s_cbranch_execz .LBB40_312
; %bb.311:
	v_mov_b32_e32 v100, 14
	ds_store_2addr_b64 v94, v[20:21], v[22:23] offset0:30 offset1:31
	ds_store_2addr_b64 v94, v[16:17], v[18:19] offset0:32 offset1:33
	;; [unrolled: 1-line block ×6, first 2 shown]
.LBB40_312:
	s_or_b32 exec_lo, exec_lo, s2
	s_delay_alu instid0(SALU_CYCLE_1)
	s_mov_b32 s2, exec_lo
	s_waitcnt lgkmcnt(0)
	s_waitcnt_vscnt null, 0x0
	s_barrier
	buffer_gl0_inv
	v_cmpx_lt_i32_e32 14, v100
	s_cbranch_execz .LBB40_314
; %bb.313:
	v_mul_f64 v[92:93], v[84:85], v[26:27]
	v_mul_f64 v[26:27], v[86:87], v[26:27]
	ds_load_2addr_b64 v[101:104], v94 offset0:30 offset1:31
	ds_load_2addr_b64 v[105:108], v94 offset0:32 offset1:33
	ds_load_2addr_b64 v[109:112], v94 offset0:34 offset1:35
	ds_load_2addr_b64 v[113:116], v94 offset0:36 offset1:37
	ds_load_2addr_b64 v[117:120], v94 offset0:38 offset1:39
	ds_load_2addr_b64 v[121:124], v94 offset0:40 offset1:41
	v_fma_f64 v[86:87], v[86:87], v[24:25], v[92:93]
	v_fma_f64 v[24:25], v[84:85], v[24:25], -v[26:27]
	s_waitcnt lgkmcnt(5)
	s_delay_alu instid0(VALU_DEP_2)
	v_mul_f64 v[26:27], v[103:104], v[86:87]
	v_mul_f64 v[84:85], v[101:102], v[86:87]
	s_waitcnt lgkmcnt(4)
	v_mul_f64 v[92:93], v[107:108], v[86:87]
	v_mul_f64 v[125:126], v[105:106], v[86:87]
	s_waitcnt lgkmcnt(3)
	;; [unrolled: 3-line block ×5, first 2 shown]
	v_mul_f64 v[139:140], v[123:124], v[86:87]
	v_mul_f64 v[141:142], v[121:122], v[86:87]
	v_fma_f64 v[26:27], v[101:102], v[24:25], -v[26:27]
	v_fma_f64 v[84:85], v[103:104], v[24:25], v[84:85]
	v_fma_f64 v[92:93], v[105:106], v[24:25], -v[92:93]
	v_fma_f64 v[101:102], v[107:108], v[24:25], v[125:126]
	;; [unrolled: 2-line block ×6, first 2 shown]
	v_add_f64 v[20:21], v[20:21], -v[26:27]
	v_add_f64 v[22:23], v[22:23], -v[84:85]
	;; [unrolled: 1-line block ×12, first 2 shown]
	v_dual_mov_b32 v26, v86 :: v_dual_mov_b32 v27, v87
.LBB40_314:
	s_or_b32 exec_lo, exec_lo, s2
	v_lshl_add_u32 v84, v100, 4, v94
	s_barrier
	buffer_gl0_inv
	v_mov_b32_e32 v92, 15
	ds_store_2addr_b64 v84, v[20:21], v[22:23] offset1:1
	s_waitcnt lgkmcnt(0)
	s_barrier
	buffer_gl0_inv
	ds_load_2addr_b64 v[84:87], v94 offset0:30 offset1:31
	s_cmp_lt_i32 s5, 17
	s_cbranch_scc1 .LBB40_317
; %bb.315:
	v_add3_u32 v93, v99, 0, 0x100
	v_mov_b32_e32 v92, 15
	s_mov_b32 s6, 16
	s_set_inst_prefetch_distance 0x1
	.p2align	6
.LBB40_316:                             ; =>This Inner Loop Header: Depth=1
	ds_load_2addr_b64 v[101:104], v93 offset1:1
	s_waitcnt lgkmcnt(1)
	v_cmp_gt_f64_e32 vcc_lo, 0, v[84:85]
	v_xor_b32_e32 v105, 0x80000000, v85
	v_cmp_gt_f64_e64 s2, 0, v[86:87]
	v_xor_b32_e32 v107, 0x80000000, v87
	v_add_nc_u32_e32 v93, 16, v93
	s_waitcnt lgkmcnt(0)
	v_cmp_gt_f64_e64 s3, 0, v[101:102]
	v_mov_b32_e32 v109, v101
	v_dual_mov_b32 v111, v103 :: v_dual_cndmask_b32 v106, v85, v105
	v_xor_b32_e32 v105, 0x80000000, v102
	v_cndmask_b32_e64 v108, v87, v107, s2
	v_xor_b32_e32 v107, 0x80000000, v104
	s_delay_alu instid0(VALU_DEP_3) | instskip(SKIP_2) | instid1(VALU_DEP_2)
	v_cndmask_b32_e64 v110, v102, v105, s3
	v_cmp_gt_f64_e64 s3, 0, v[103:104]
	v_cndmask_b32_e32 v105, v84, v84, vcc_lo
	v_cndmask_b32_e64 v112, v104, v107, s3
	v_cndmask_b32_e64 v107, v86, v86, s2
	s_delay_alu instid0(VALU_DEP_2) | instskip(NEXT) | instid1(VALU_DEP_2)
	v_add_f64 v[109:110], v[109:110], v[111:112]
	v_add_f64 v[105:106], v[105:106], v[107:108]
	s_delay_alu instid0(VALU_DEP_1) | instskip(SKIP_4) | instid1(SALU_CYCLE_1)
	v_cmp_lt_f64_e32 vcc_lo, v[105:106], v[109:110]
	v_dual_cndmask_b32 v86, v86, v103 :: v_dual_cndmask_b32 v85, v85, v102
	v_dual_cndmask_b32 v84, v84, v101 :: v_dual_cndmask_b32 v87, v87, v104
	v_cndmask_b32_e64 v92, v92, s6, vcc_lo
	s_add_i32 s6, s6, 1
	s_cmp_lg_u32 s5, s6
	s_cbranch_scc1 .LBB40_316
.LBB40_317:
	s_set_inst_prefetch_distance 0x2
	s_waitcnt lgkmcnt(0)
	v_cmp_eq_f64_e32 vcc_lo, 0, v[84:85]
	v_cmp_eq_f64_e64 s2, 0, v[86:87]
	s_delay_alu instid0(VALU_DEP_1) | instskip(NEXT) | instid1(SALU_CYCLE_1)
	s_and_b32 s2, vcc_lo, s2
	s_and_saveexec_b32 s3, s2
	s_delay_alu instid0(SALU_CYCLE_1)
	s_xor_b32 s2, exec_lo, s3
; %bb.318:
	v_cmp_ne_u32_e32 vcc_lo, 0, v98
	v_cndmask_b32_e32 v98, 16, v98, vcc_lo
; %bb.319:
	s_and_not1_saveexec_b32 s3, s2
	s_cbranch_execz .LBB40_325
; %bb.320:
	v_cmp_gt_f64_e32 vcc_lo, 0, v[84:85]
	v_cmp_gt_f64_e64 s2, 0, v[86:87]
	v_xor_b32_e32 v93, 0x80000000, v85
	v_xor_b32_e32 v101, 0x80000000, v87
	s_delay_alu instid0(VALU_DEP_2) | instskip(NEXT) | instid1(VALU_DEP_2)
	v_cndmask_b32_e32 v102, v85, v93, vcc_lo
	v_cndmask_b32_e64 v104, v87, v101, s2
	v_cndmask_b32_e32 v101, v84, v84, vcc_lo
	v_cndmask_b32_e64 v103, v86, v86, s2
	s_mov_b32 s2, exec_lo
	s_delay_alu instid0(VALU_DEP_1)
	v_cmpx_ngt_f64_e32 v[101:102], v[103:104]
	s_xor_b32 s2, exec_lo, s2
	s_cbranch_execz .LBB40_322
; %bb.321:
	v_div_scale_f64 v[101:102], null, v[86:87], v[86:87], v[84:85]
	v_div_scale_f64 v[107:108], vcc_lo, v[84:85], v[86:87], v[84:85]
	s_delay_alu instid0(VALU_DEP_2) | instskip(SKIP_2) | instid1(VALU_DEP_1)
	v_rcp_f64_e32 v[103:104], v[101:102]
	s_waitcnt_depctr 0xfff
	v_fma_f64 v[105:106], -v[101:102], v[103:104], 1.0
	v_fma_f64 v[103:104], v[103:104], v[105:106], v[103:104]
	s_delay_alu instid0(VALU_DEP_1) | instskip(NEXT) | instid1(VALU_DEP_1)
	v_fma_f64 v[105:106], -v[101:102], v[103:104], 1.0
	v_fma_f64 v[103:104], v[103:104], v[105:106], v[103:104]
	s_delay_alu instid0(VALU_DEP_1) | instskip(NEXT) | instid1(VALU_DEP_1)
	v_mul_f64 v[105:106], v[107:108], v[103:104]
	v_fma_f64 v[101:102], -v[101:102], v[105:106], v[107:108]
	s_delay_alu instid0(VALU_DEP_1) | instskip(NEXT) | instid1(VALU_DEP_1)
	v_div_fmas_f64 v[101:102], v[101:102], v[103:104], v[105:106]
	v_div_fixup_f64 v[101:102], v[101:102], v[86:87], v[84:85]
	s_delay_alu instid0(VALU_DEP_1) | instskip(NEXT) | instid1(VALU_DEP_1)
	v_fma_f64 v[84:85], v[84:85], v[101:102], v[86:87]
	v_div_scale_f64 v[86:87], null, v[84:85], v[84:85], 1.0
	s_delay_alu instid0(VALU_DEP_1) | instskip(SKIP_2) | instid1(VALU_DEP_1)
	v_rcp_f64_e32 v[103:104], v[86:87]
	s_waitcnt_depctr 0xfff
	v_fma_f64 v[105:106], -v[86:87], v[103:104], 1.0
	v_fma_f64 v[103:104], v[103:104], v[105:106], v[103:104]
	s_delay_alu instid0(VALU_DEP_1) | instskip(NEXT) | instid1(VALU_DEP_1)
	v_fma_f64 v[105:106], -v[86:87], v[103:104], 1.0
	v_fma_f64 v[103:104], v[103:104], v[105:106], v[103:104]
	v_div_scale_f64 v[105:106], vcc_lo, 1.0, v[84:85], 1.0
	s_delay_alu instid0(VALU_DEP_1) | instskip(NEXT) | instid1(VALU_DEP_1)
	v_mul_f64 v[107:108], v[105:106], v[103:104]
	v_fma_f64 v[86:87], -v[86:87], v[107:108], v[105:106]
	s_delay_alu instid0(VALU_DEP_1) | instskip(NEXT) | instid1(VALU_DEP_1)
	v_div_fmas_f64 v[86:87], v[86:87], v[103:104], v[107:108]
	v_div_fixup_f64 v[86:87], v[86:87], v[84:85], 1.0
	s_delay_alu instid0(VALU_DEP_1)
	v_mul_f64 v[84:85], v[101:102], v[86:87]
	v_xor_b32_e32 v87, 0x80000000, v87
.LBB40_322:
	s_and_not1_saveexec_b32 s2, s2
	s_cbranch_execz .LBB40_324
; %bb.323:
	s_delay_alu instid0(VALU_DEP_1) | instskip(SKIP_1) | instid1(VALU_DEP_2)
	v_div_scale_f64 v[101:102], null, v[84:85], v[84:85], v[86:87]
	v_div_scale_f64 v[107:108], vcc_lo, v[86:87], v[84:85], v[86:87]
	v_rcp_f64_e32 v[103:104], v[101:102]
	s_waitcnt_depctr 0xfff
	v_fma_f64 v[105:106], -v[101:102], v[103:104], 1.0
	s_delay_alu instid0(VALU_DEP_1) | instskip(NEXT) | instid1(VALU_DEP_1)
	v_fma_f64 v[103:104], v[103:104], v[105:106], v[103:104]
	v_fma_f64 v[105:106], -v[101:102], v[103:104], 1.0
	s_delay_alu instid0(VALU_DEP_1) | instskip(NEXT) | instid1(VALU_DEP_1)
	v_fma_f64 v[103:104], v[103:104], v[105:106], v[103:104]
	v_mul_f64 v[105:106], v[107:108], v[103:104]
	s_delay_alu instid0(VALU_DEP_1) | instskip(NEXT) | instid1(VALU_DEP_1)
	v_fma_f64 v[101:102], -v[101:102], v[105:106], v[107:108]
	v_div_fmas_f64 v[101:102], v[101:102], v[103:104], v[105:106]
	s_delay_alu instid0(VALU_DEP_1) | instskip(NEXT) | instid1(VALU_DEP_1)
	v_div_fixup_f64 v[101:102], v[101:102], v[84:85], v[86:87]
	v_fma_f64 v[84:85], v[86:87], v[101:102], v[84:85]
	s_delay_alu instid0(VALU_DEP_1) | instskip(NEXT) | instid1(VALU_DEP_1)
	v_div_scale_f64 v[86:87], null, v[84:85], v[84:85], 1.0
	v_rcp_f64_e32 v[103:104], v[86:87]
	s_waitcnt_depctr 0xfff
	v_fma_f64 v[105:106], -v[86:87], v[103:104], 1.0
	s_delay_alu instid0(VALU_DEP_1) | instskip(NEXT) | instid1(VALU_DEP_1)
	v_fma_f64 v[103:104], v[103:104], v[105:106], v[103:104]
	v_fma_f64 v[105:106], -v[86:87], v[103:104], 1.0
	s_delay_alu instid0(VALU_DEP_1) | instskip(SKIP_1) | instid1(VALU_DEP_1)
	v_fma_f64 v[103:104], v[103:104], v[105:106], v[103:104]
	v_div_scale_f64 v[105:106], vcc_lo, 1.0, v[84:85], 1.0
	v_mul_f64 v[107:108], v[105:106], v[103:104]
	s_delay_alu instid0(VALU_DEP_1) | instskip(NEXT) | instid1(VALU_DEP_1)
	v_fma_f64 v[86:87], -v[86:87], v[107:108], v[105:106]
	v_div_fmas_f64 v[86:87], v[86:87], v[103:104], v[107:108]
	s_delay_alu instid0(VALU_DEP_1) | instskip(NEXT) | instid1(VALU_DEP_1)
	v_div_fixup_f64 v[84:85], v[86:87], v[84:85], 1.0
	v_mul_f64 v[86:87], v[101:102], -v[84:85]
.LBB40_324:
	s_or_b32 exec_lo, exec_lo, s2
.LBB40_325:
	s_delay_alu instid0(SALU_CYCLE_1) | instskip(NEXT) | instid1(SALU_CYCLE_1)
	s_or_b32 exec_lo, exec_lo, s3
	s_mov_b32 s2, exec_lo
	v_cmpx_ne_u32_e64 v100, v92
	s_xor_b32 s2, exec_lo, s2
	s_cbranch_execz .LBB40_331
; %bb.326:
	s_mov_b32 s3, exec_lo
	v_cmpx_eq_u32_e32 15, v100
	s_cbranch_execz .LBB40_330
; %bb.327:
	v_cmp_ne_u32_e32 vcc_lo, 15, v92
	s_xor_b32 s6, s4, -1
	s_delay_alu instid0(SALU_CYCLE_1) | instskip(NEXT) | instid1(SALU_CYCLE_1)
	s_and_b32 s7, s6, vcc_lo
	s_and_saveexec_b32 s6, s7
	s_cbranch_execz .LBB40_329
; %bb.328:
	v_ashrrev_i32_e32 v93, 31, v92
	s_delay_alu instid0(VALU_DEP_1) | instskip(NEXT) | instid1(VALU_DEP_1)
	v_lshlrev_b64 v[100:101], 2, v[92:93]
	v_add_co_u32 v100, vcc_lo, v90, v100
	s_delay_alu instid0(VALU_DEP_2)
	v_add_co_ci_u32_e32 v101, vcc_lo, v91, v101, vcc_lo
	s_clause 0x1
	flat_load_b32 v93, v[100:101]
	flat_load_b32 v97, v[90:91] offset:60
	s_waitcnt vmcnt(1) lgkmcnt(1)
	flat_store_b32 v[90:91], v93 offset:60
	s_waitcnt vmcnt(0) lgkmcnt(1)
	flat_store_b32 v[100:101], v97
.LBB40_329:
	s_or_b32 exec_lo, exec_lo, s6
	v_mov_b32_e32 v100, v92
	v_mov_b32_e32 v97, v92
.LBB40_330:
	s_or_b32 exec_lo, exec_lo, s3
.LBB40_331:
	s_and_not1_saveexec_b32 s2, s2
	s_cbranch_execz .LBB40_333
; %bb.332:
	v_mov_b32_e32 v100, 15
	ds_store_2addr_b64 v94, v[16:17], v[18:19] offset0:32 offset1:33
	ds_store_2addr_b64 v94, v[12:13], v[14:15] offset0:34 offset1:35
	;; [unrolled: 1-line block ×5, first 2 shown]
.LBB40_333:
	s_or_b32 exec_lo, exec_lo, s2
	s_delay_alu instid0(SALU_CYCLE_1)
	s_mov_b32 s2, exec_lo
	s_waitcnt lgkmcnt(0)
	s_waitcnt_vscnt null, 0x0
	s_barrier
	buffer_gl0_inv
	v_cmpx_lt_i32_e32 15, v100
	s_cbranch_execz .LBB40_335
; %bb.334:
	v_mul_f64 v[92:93], v[84:85], v[22:23]
	v_mul_f64 v[22:23], v[86:87], v[22:23]
	ds_load_2addr_b64 v[101:104], v94 offset0:32 offset1:33
	ds_load_2addr_b64 v[105:108], v94 offset0:34 offset1:35
	;; [unrolled: 1-line block ×5, first 2 shown]
	v_fma_f64 v[86:87], v[86:87], v[20:21], v[92:93]
	v_fma_f64 v[20:21], v[84:85], v[20:21], -v[22:23]
	s_waitcnt lgkmcnt(4)
	s_delay_alu instid0(VALU_DEP_2)
	v_mul_f64 v[22:23], v[103:104], v[86:87]
	v_mul_f64 v[84:85], v[101:102], v[86:87]
	s_waitcnt lgkmcnt(3)
	v_mul_f64 v[92:93], v[107:108], v[86:87]
	v_mul_f64 v[121:122], v[105:106], v[86:87]
	s_waitcnt lgkmcnt(2)
	;; [unrolled: 3-line block ×4, first 2 shown]
	v_mul_f64 v[131:132], v[119:120], v[86:87]
	v_mul_f64 v[133:134], v[117:118], v[86:87]
	v_fma_f64 v[22:23], v[101:102], v[20:21], -v[22:23]
	v_fma_f64 v[84:85], v[103:104], v[20:21], v[84:85]
	v_fma_f64 v[92:93], v[105:106], v[20:21], -v[92:93]
	v_fma_f64 v[101:102], v[107:108], v[20:21], v[121:122]
	;; [unrolled: 2-line block ×5, first 2 shown]
	v_add_f64 v[16:17], v[16:17], -v[22:23]
	v_add_f64 v[18:19], v[18:19], -v[84:85]
	;; [unrolled: 1-line block ×10, first 2 shown]
	v_dual_mov_b32 v22, v86 :: v_dual_mov_b32 v23, v87
.LBB40_335:
	s_or_b32 exec_lo, exec_lo, s2
	v_lshl_add_u32 v84, v100, 4, v94
	s_barrier
	buffer_gl0_inv
	v_mov_b32_e32 v92, 16
	ds_store_2addr_b64 v84, v[16:17], v[18:19] offset1:1
	s_waitcnt lgkmcnt(0)
	s_barrier
	buffer_gl0_inv
	ds_load_2addr_b64 v[84:87], v94 offset0:32 offset1:33
	s_cmp_lt_i32 s5, 18
	s_cbranch_scc1 .LBB40_338
; %bb.336:
	v_add3_u32 v93, v99, 0, 0x110
	v_mov_b32_e32 v92, 16
	s_mov_b32 s6, 17
	s_set_inst_prefetch_distance 0x1
	.p2align	6
.LBB40_337:                             ; =>This Inner Loop Header: Depth=1
	ds_load_2addr_b64 v[101:104], v93 offset1:1
	s_waitcnt lgkmcnt(1)
	v_cmp_gt_f64_e32 vcc_lo, 0, v[84:85]
	v_xor_b32_e32 v105, 0x80000000, v85
	v_cmp_gt_f64_e64 s2, 0, v[86:87]
	v_xor_b32_e32 v107, 0x80000000, v87
	v_add_nc_u32_e32 v93, 16, v93
	s_waitcnt lgkmcnt(0)
	v_cmp_gt_f64_e64 s3, 0, v[101:102]
	v_mov_b32_e32 v109, v101
	v_dual_mov_b32 v111, v103 :: v_dual_cndmask_b32 v106, v85, v105
	v_xor_b32_e32 v105, 0x80000000, v102
	v_cndmask_b32_e64 v108, v87, v107, s2
	v_xor_b32_e32 v107, 0x80000000, v104
	s_delay_alu instid0(VALU_DEP_3) | instskip(SKIP_2) | instid1(VALU_DEP_2)
	v_cndmask_b32_e64 v110, v102, v105, s3
	v_cmp_gt_f64_e64 s3, 0, v[103:104]
	v_cndmask_b32_e32 v105, v84, v84, vcc_lo
	v_cndmask_b32_e64 v112, v104, v107, s3
	v_cndmask_b32_e64 v107, v86, v86, s2
	s_delay_alu instid0(VALU_DEP_2) | instskip(NEXT) | instid1(VALU_DEP_2)
	v_add_f64 v[109:110], v[109:110], v[111:112]
	v_add_f64 v[105:106], v[105:106], v[107:108]
	s_delay_alu instid0(VALU_DEP_1) | instskip(SKIP_4) | instid1(SALU_CYCLE_1)
	v_cmp_lt_f64_e32 vcc_lo, v[105:106], v[109:110]
	v_dual_cndmask_b32 v86, v86, v103 :: v_dual_cndmask_b32 v85, v85, v102
	v_dual_cndmask_b32 v84, v84, v101 :: v_dual_cndmask_b32 v87, v87, v104
	v_cndmask_b32_e64 v92, v92, s6, vcc_lo
	s_add_i32 s6, s6, 1
	s_cmp_lg_u32 s5, s6
	s_cbranch_scc1 .LBB40_337
.LBB40_338:
	s_set_inst_prefetch_distance 0x2
	s_waitcnt lgkmcnt(0)
	v_cmp_eq_f64_e32 vcc_lo, 0, v[84:85]
	v_cmp_eq_f64_e64 s2, 0, v[86:87]
	s_delay_alu instid0(VALU_DEP_1) | instskip(NEXT) | instid1(SALU_CYCLE_1)
	s_and_b32 s2, vcc_lo, s2
	s_and_saveexec_b32 s3, s2
	s_delay_alu instid0(SALU_CYCLE_1)
	s_xor_b32 s2, exec_lo, s3
; %bb.339:
	v_cmp_ne_u32_e32 vcc_lo, 0, v98
	v_cndmask_b32_e32 v98, 17, v98, vcc_lo
; %bb.340:
	s_and_not1_saveexec_b32 s3, s2
	s_cbranch_execz .LBB40_346
; %bb.341:
	v_cmp_gt_f64_e32 vcc_lo, 0, v[84:85]
	v_cmp_gt_f64_e64 s2, 0, v[86:87]
	v_xor_b32_e32 v93, 0x80000000, v85
	v_xor_b32_e32 v101, 0x80000000, v87
	s_delay_alu instid0(VALU_DEP_2) | instskip(NEXT) | instid1(VALU_DEP_2)
	v_cndmask_b32_e32 v102, v85, v93, vcc_lo
	v_cndmask_b32_e64 v104, v87, v101, s2
	v_cndmask_b32_e32 v101, v84, v84, vcc_lo
	v_cndmask_b32_e64 v103, v86, v86, s2
	s_mov_b32 s2, exec_lo
	s_delay_alu instid0(VALU_DEP_1)
	v_cmpx_ngt_f64_e32 v[101:102], v[103:104]
	s_xor_b32 s2, exec_lo, s2
	s_cbranch_execz .LBB40_343
; %bb.342:
	v_div_scale_f64 v[101:102], null, v[86:87], v[86:87], v[84:85]
	v_div_scale_f64 v[107:108], vcc_lo, v[84:85], v[86:87], v[84:85]
	s_delay_alu instid0(VALU_DEP_2) | instskip(SKIP_2) | instid1(VALU_DEP_1)
	v_rcp_f64_e32 v[103:104], v[101:102]
	s_waitcnt_depctr 0xfff
	v_fma_f64 v[105:106], -v[101:102], v[103:104], 1.0
	v_fma_f64 v[103:104], v[103:104], v[105:106], v[103:104]
	s_delay_alu instid0(VALU_DEP_1) | instskip(NEXT) | instid1(VALU_DEP_1)
	v_fma_f64 v[105:106], -v[101:102], v[103:104], 1.0
	v_fma_f64 v[103:104], v[103:104], v[105:106], v[103:104]
	s_delay_alu instid0(VALU_DEP_1) | instskip(NEXT) | instid1(VALU_DEP_1)
	v_mul_f64 v[105:106], v[107:108], v[103:104]
	v_fma_f64 v[101:102], -v[101:102], v[105:106], v[107:108]
	s_delay_alu instid0(VALU_DEP_1) | instskip(NEXT) | instid1(VALU_DEP_1)
	v_div_fmas_f64 v[101:102], v[101:102], v[103:104], v[105:106]
	v_div_fixup_f64 v[101:102], v[101:102], v[86:87], v[84:85]
	s_delay_alu instid0(VALU_DEP_1) | instskip(NEXT) | instid1(VALU_DEP_1)
	v_fma_f64 v[84:85], v[84:85], v[101:102], v[86:87]
	v_div_scale_f64 v[86:87], null, v[84:85], v[84:85], 1.0
	s_delay_alu instid0(VALU_DEP_1) | instskip(SKIP_2) | instid1(VALU_DEP_1)
	v_rcp_f64_e32 v[103:104], v[86:87]
	s_waitcnt_depctr 0xfff
	v_fma_f64 v[105:106], -v[86:87], v[103:104], 1.0
	v_fma_f64 v[103:104], v[103:104], v[105:106], v[103:104]
	s_delay_alu instid0(VALU_DEP_1) | instskip(NEXT) | instid1(VALU_DEP_1)
	v_fma_f64 v[105:106], -v[86:87], v[103:104], 1.0
	v_fma_f64 v[103:104], v[103:104], v[105:106], v[103:104]
	v_div_scale_f64 v[105:106], vcc_lo, 1.0, v[84:85], 1.0
	s_delay_alu instid0(VALU_DEP_1) | instskip(NEXT) | instid1(VALU_DEP_1)
	v_mul_f64 v[107:108], v[105:106], v[103:104]
	v_fma_f64 v[86:87], -v[86:87], v[107:108], v[105:106]
	s_delay_alu instid0(VALU_DEP_1) | instskip(NEXT) | instid1(VALU_DEP_1)
	v_div_fmas_f64 v[86:87], v[86:87], v[103:104], v[107:108]
	v_div_fixup_f64 v[86:87], v[86:87], v[84:85], 1.0
	s_delay_alu instid0(VALU_DEP_1)
	v_mul_f64 v[84:85], v[101:102], v[86:87]
	v_xor_b32_e32 v87, 0x80000000, v87
.LBB40_343:
	s_and_not1_saveexec_b32 s2, s2
	s_cbranch_execz .LBB40_345
; %bb.344:
	s_delay_alu instid0(VALU_DEP_1) | instskip(SKIP_1) | instid1(VALU_DEP_2)
	v_div_scale_f64 v[101:102], null, v[84:85], v[84:85], v[86:87]
	v_div_scale_f64 v[107:108], vcc_lo, v[86:87], v[84:85], v[86:87]
	v_rcp_f64_e32 v[103:104], v[101:102]
	s_waitcnt_depctr 0xfff
	v_fma_f64 v[105:106], -v[101:102], v[103:104], 1.0
	s_delay_alu instid0(VALU_DEP_1) | instskip(NEXT) | instid1(VALU_DEP_1)
	v_fma_f64 v[103:104], v[103:104], v[105:106], v[103:104]
	v_fma_f64 v[105:106], -v[101:102], v[103:104], 1.0
	s_delay_alu instid0(VALU_DEP_1) | instskip(NEXT) | instid1(VALU_DEP_1)
	v_fma_f64 v[103:104], v[103:104], v[105:106], v[103:104]
	v_mul_f64 v[105:106], v[107:108], v[103:104]
	s_delay_alu instid0(VALU_DEP_1) | instskip(NEXT) | instid1(VALU_DEP_1)
	v_fma_f64 v[101:102], -v[101:102], v[105:106], v[107:108]
	v_div_fmas_f64 v[101:102], v[101:102], v[103:104], v[105:106]
	s_delay_alu instid0(VALU_DEP_1) | instskip(NEXT) | instid1(VALU_DEP_1)
	v_div_fixup_f64 v[101:102], v[101:102], v[84:85], v[86:87]
	v_fma_f64 v[84:85], v[86:87], v[101:102], v[84:85]
	s_delay_alu instid0(VALU_DEP_1) | instskip(NEXT) | instid1(VALU_DEP_1)
	v_div_scale_f64 v[86:87], null, v[84:85], v[84:85], 1.0
	v_rcp_f64_e32 v[103:104], v[86:87]
	s_waitcnt_depctr 0xfff
	v_fma_f64 v[105:106], -v[86:87], v[103:104], 1.0
	s_delay_alu instid0(VALU_DEP_1) | instskip(NEXT) | instid1(VALU_DEP_1)
	v_fma_f64 v[103:104], v[103:104], v[105:106], v[103:104]
	v_fma_f64 v[105:106], -v[86:87], v[103:104], 1.0
	s_delay_alu instid0(VALU_DEP_1) | instskip(SKIP_1) | instid1(VALU_DEP_1)
	v_fma_f64 v[103:104], v[103:104], v[105:106], v[103:104]
	v_div_scale_f64 v[105:106], vcc_lo, 1.0, v[84:85], 1.0
	v_mul_f64 v[107:108], v[105:106], v[103:104]
	s_delay_alu instid0(VALU_DEP_1) | instskip(NEXT) | instid1(VALU_DEP_1)
	v_fma_f64 v[86:87], -v[86:87], v[107:108], v[105:106]
	v_div_fmas_f64 v[86:87], v[86:87], v[103:104], v[107:108]
	s_delay_alu instid0(VALU_DEP_1) | instskip(NEXT) | instid1(VALU_DEP_1)
	v_div_fixup_f64 v[84:85], v[86:87], v[84:85], 1.0
	v_mul_f64 v[86:87], v[101:102], -v[84:85]
.LBB40_345:
	s_or_b32 exec_lo, exec_lo, s2
.LBB40_346:
	s_delay_alu instid0(SALU_CYCLE_1) | instskip(NEXT) | instid1(SALU_CYCLE_1)
	s_or_b32 exec_lo, exec_lo, s3
	s_mov_b32 s2, exec_lo
	v_cmpx_ne_u32_e64 v100, v92
	s_xor_b32 s2, exec_lo, s2
	s_cbranch_execz .LBB40_352
; %bb.347:
	s_mov_b32 s3, exec_lo
	v_cmpx_eq_u32_e32 16, v100
	s_cbranch_execz .LBB40_351
; %bb.348:
	v_cmp_ne_u32_e32 vcc_lo, 16, v92
	s_xor_b32 s6, s4, -1
	s_delay_alu instid0(SALU_CYCLE_1) | instskip(NEXT) | instid1(SALU_CYCLE_1)
	s_and_b32 s7, s6, vcc_lo
	s_and_saveexec_b32 s6, s7
	s_cbranch_execz .LBB40_350
; %bb.349:
	v_ashrrev_i32_e32 v93, 31, v92
	s_delay_alu instid0(VALU_DEP_1) | instskip(NEXT) | instid1(VALU_DEP_1)
	v_lshlrev_b64 v[100:101], 2, v[92:93]
	v_add_co_u32 v100, vcc_lo, v90, v100
	s_delay_alu instid0(VALU_DEP_2)
	v_add_co_ci_u32_e32 v101, vcc_lo, v91, v101, vcc_lo
	s_clause 0x1
	flat_load_b32 v93, v[100:101]
	flat_load_b32 v97, v[90:91] offset:64
	s_waitcnt vmcnt(1) lgkmcnt(1)
	flat_store_b32 v[90:91], v93 offset:64
	s_waitcnt vmcnt(0) lgkmcnt(1)
	flat_store_b32 v[100:101], v97
.LBB40_350:
	s_or_b32 exec_lo, exec_lo, s6
	v_mov_b32_e32 v100, v92
	v_mov_b32_e32 v97, v92
.LBB40_351:
	s_or_b32 exec_lo, exec_lo, s3
.LBB40_352:
	s_and_not1_saveexec_b32 s2, s2
	s_cbranch_execz .LBB40_354
; %bb.353:
	v_mov_b32_e32 v100, 16
	ds_store_2addr_b64 v94, v[12:13], v[14:15] offset0:34 offset1:35
	ds_store_2addr_b64 v94, v[8:9], v[10:11] offset0:36 offset1:37
	;; [unrolled: 1-line block ×4, first 2 shown]
.LBB40_354:
	s_or_b32 exec_lo, exec_lo, s2
	s_delay_alu instid0(SALU_CYCLE_1)
	s_mov_b32 s2, exec_lo
	s_waitcnt lgkmcnt(0)
	s_waitcnt_vscnt null, 0x0
	s_barrier
	buffer_gl0_inv
	v_cmpx_lt_i32_e32 16, v100
	s_cbranch_execz .LBB40_356
; %bb.355:
	v_mul_f64 v[92:93], v[84:85], v[18:19]
	v_mul_f64 v[18:19], v[86:87], v[18:19]
	ds_load_2addr_b64 v[101:104], v94 offset0:34 offset1:35
	ds_load_2addr_b64 v[105:108], v94 offset0:36 offset1:37
	;; [unrolled: 1-line block ×4, first 2 shown]
	v_fma_f64 v[86:87], v[86:87], v[16:17], v[92:93]
	v_fma_f64 v[16:17], v[84:85], v[16:17], -v[18:19]
	s_waitcnt lgkmcnt(3)
	s_delay_alu instid0(VALU_DEP_2)
	v_mul_f64 v[18:19], v[103:104], v[86:87]
	v_mul_f64 v[84:85], v[101:102], v[86:87]
	s_waitcnt lgkmcnt(2)
	v_mul_f64 v[92:93], v[107:108], v[86:87]
	v_mul_f64 v[117:118], v[105:106], v[86:87]
	s_waitcnt lgkmcnt(1)
	;; [unrolled: 3-line block ×3, first 2 shown]
	v_mul_f64 v[123:124], v[115:116], v[86:87]
	v_mul_f64 v[125:126], v[113:114], v[86:87]
	v_fma_f64 v[18:19], v[101:102], v[16:17], -v[18:19]
	v_fma_f64 v[84:85], v[103:104], v[16:17], v[84:85]
	v_fma_f64 v[92:93], v[105:106], v[16:17], -v[92:93]
	v_fma_f64 v[101:102], v[107:108], v[16:17], v[117:118]
	;; [unrolled: 2-line block ×4, first 2 shown]
	v_add_f64 v[12:13], v[12:13], -v[18:19]
	v_add_f64 v[14:15], v[14:15], -v[84:85]
	v_add_f64 v[8:9], v[8:9], -v[92:93]
	v_add_f64 v[10:11], v[10:11], -v[101:102]
	v_add_f64 v[4:5], v[4:5], -v[103:104]
	v_add_f64 v[6:7], v[6:7], -v[105:106]
	v_add_f64 v[0:1], v[0:1], -v[107:108]
	v_add_f64 v[2:3], v[2:3], -v[109:110]
	v_dual_mov_b32 v18, v86 :: v_dual_mov_b32 v19, v87
.LBB40_356:
	s_or_b32 exec_lo, exec_lo, s2
	v_lshl_add_u32 v84, v100, 4, v94
	s_barrier
	buffer_gl0_inv
	v_mov_b32_e32 v92, 17
	ds_store_2addr_b64 v84, v[12:13], v[14:15] offset1:1
	s_waitcnt lgkmcnt(0)
	s_barrier
	buffer_gl0_inv
	ds_load_2addr_b64 v[84:87], v94 offset0:34 offset1:35
	s_cmp_lt_i32 s5, 19
	s_cbranch_scc1 .LBB40_359
; %bb.357:
	v_add3_u32 v93, v99, 0, 0x120
	v_mov_b32_e32 v92, 17
	s_mov_b32 s6, 18
	s_set_inst_prefetch_distance 0x1
	.p2align	6
.LBB40_358:                             ; =>This Inner Loop Header: Depth=1
	ds_load_2addr_b64 v[101:104], v93 offset1:1
	s_waitcnt lgkmcnt(1)
	v_cmp_gt_f64_e32 vcc_lo, 0, v[84:85]
	v_xor_b32_e32 v105, 0x80000000, v85
	v_cmp_gt_f64_e64 s2, 0, v[86:87]
	v_xor_b32_e32 v107, 0x80000000, v87
	v_add_nc_u32_e32 v93, 16, v93
	s_waitcnt lgkmcnt(0)
	v_cmp_gt_f64_e64 s3, 0, v[101:102]
	v_mov_b32_e32 v109, v101
	v_dual_mov_b32 v111, v103 :: v_dual_cndmask_b32 v106, v85, v105
	v_xor_b32_e32 v105, 0x80000000, v102
	v_cndmask_b32_e64 v108, v87, v107, s2
	v_xor_b32_e32 v107, 0x80000000, v104
	s_delay_alu instid0(VALU_DEP_3) | instskip(SKIP_2) | instid1(VALU_DEP_2)
	v_cndmask_b32_e64 v110, v102, v105, s3
	v_cmp_gt_f64_e64 s3, 0, v[103:104]
	v_cndmask_b32_e32 v105, v84, v84, vcc_lo
	v_cndmask_b32_e64 v112, v104, v107, s3
	v_cndmask_b32_e64 v107, v86, v86, s2
	s_delay_alu instid0(VALU_DEP_2) | instskip(NEXT) | instid1(VALU_DEP_2)
	v_add_f64 v[109:110], v[109:110], v[111:112]
	v_add_f64 v[105:106], v[105:106], v[107:108]
	s_delay_alu instid0(VALU_DEP_1) | instskip(SKIP_4) | instid1(SALU_CYCLE_1)
	v_cmp_lt_f64_e32 vcc_lo, v[105:106], v[109:110]
	v_dual_cndmask_b32 v86, v86, v103 :: v_dual_cndmask_b32 v85, v85, v102
	v_dual_cndmask_b32 v84, v84, v101 :: v_dual_cndmask_b32 v87, v87, v104
	v_cndmask_b32_e64 v92, v92, s6, vcc_lo
	s_add_i32 s6, s6, 1
	s_cmp_lg_u32 s5, s6
	s_cbranch_scc1 .LBB40_358
.LBB40_359:
	s_set_inst_prefetch_distance 0x2
	s_waitcnt lgkmcnt(0)
	v_cmp_eq_f64_e32 vcc_lo, 0, v[84:85]
	v_cmp_eq_f64_e64 s2, 0, v[86:87]
	s_delay_alu instid0(VALU_DEP_1) | instskip(NEXT) | instid1(SALU_CYCLE_1)
	s_and_b32 s2, vcc_lo, s2
	s_and_saveexec_b32 s3, s2
	s_delay_alu instid0(SALU_CYCLE_1)
	s_xor_b32 s2, exec_lo, s3
; %bb.360:
	v_cmp_ne_u32_e32 vcc_lo, 0, v98
	v_cndmask_b32_e32 v98, 18, v98, vcc_lo
; %bb.361:
	s_and_not1_saveexec_b32 s3, s2
	s_cbranch_execz .LBB40_367
; %bb.362:
	v_cmp_gt_f64_e32 vcc_lo, 0, v[84:85]
	v_cmp_gt_f64_e64 s2, 0, v[86:87]
	v_xor_b32_e32 v93, 0x80000000, v85
	v_xor_b32_e32 v101, 0x80000000, v87
	s_delay_alu instid0(VALU_DEP_2) | instskip(NEXT) | instid1(VALU_DEP_2)
	v_cndmask_b32_e32 v102, v85, v93, vcc_lo
	v_cndmask_b32_e64 v104, v87, v101, s2
	v_cndmask_b32_e32 v101, v84, v84, vcc_lo
	v_cndmask_b32_e64 v103, v86, v86, s2
	s_mov_b32 s2, exec_lo
	s_delay_alu instid0(VALU_DEP_1)
	v_cmpx_ngt_f64_e32 v[101:102], v[103:104]
	s_xor_b32 s2, exec_lo, s2
	s_cbranch_execz .LBB40_364
; %bb.363:
	v_div_scale_f64 v[101:102], null, v[86:87], v[86:87], v[84:85]
	v_div_scale_f64 v[107:108], vcc_lo, v[84:85], v[86:87], v[84:85]
	s_delay_alu instid0(VALU_DEP_2) | instskip(SKIP_2) | instid1(VALU_DEP_1)
	v_rcp_f64_e32 v[103:104], v[101:102]
	s_waitcnt_depctr 0xfff
	v_fma_f64 v[105:106], -v[101:102], v[103:104], 1.0
	v_fma_f64 v[103:104], v[103:104], v[105:106], v[103:104]
	s_delay_alu instid0(VALU_DEP_1) | instskip(NEXT) | instid1(VALU_DEP_1)
	v_fma_f64 v[105:106], -v[101:102], v[103:104], 1.0
	v_fma_f64 v[103:104], v[103:104], v[105:106], v[103:104]
	s_delay_alu instid0(VALU_DEP_1) | instskip(NEXT) | instid1(VALU_DEP_1)
	v_mul_f64 v[105:106], v[107:108], v[103:104]
	v_fma_f64 v[101:102], -v[101:102], v[105:106], v[107:108]
	s_delay_alu instid0(VALU_DEP_1) | instskip(NEXT) | instid1(VALU_DEP_1)
	v_div_fmas_f64 v[101:102], v[101:102], v[103:104], v[105:106]
	v_div_fixup_f64 v[101:102], v[101:102], v[86:87], v[84:85]
	s_delay_alu instid0(VALU_DEP_1) | instskip(NEXT) | instid1(VALU_DEP_1)
	v_fma_f64 v[84:85], v[84:85], v[101:102], v[86:87]
	v_div_scale_f64 v[86:87], null, v[84:85], v[84:85], 1.0
	s_delay_alu instid0(VALU_DEP_1) | instskip(SKIP_2) | instid1(VALU_DEP_1)
	v_rcp_f64_e32 v[103:104], v[86:87]
	s_waitcnt_depctr 0xfff
	v_fma_f64 v[105:106], -v[86:87], v[103:104], 1.0
	v_fma_f64 v[103:104], v[103:104], v[105:106], v[103:104]
	s_delay_alu instid0(VALU_DEP_1) | instskip(NEXT) | instid1(VALU_DEP_1)
	v_fma_f64 v[105:106], -v[86:87], v[103:104], 1.0
	v_fma_f64 v[103:104], v[103:104], v[105:106], v[103:104]
	v_div_scale_f64 v[105:106], vcc_lo, 1.0, v[84:85], 1.0
	s_delay_alu instid0(VALU_DEP_1) | instskip(NEXT) | instid1(VALU_DEP_1)
	v_mul_f64 v[107:108], v[105:106], v[103:104]
	v_fma_f64 v[86:87], -v[86:87], v[107:108], v[105:106]
	s_delay_alu instid0(VALU_DEP_1) | instskip(NEXT) | instid1(VALU_DEP_1)
	v_div_fmas_f64 v[86:87], v[86:87], v[103:104], v[107:108]
	v_div_fixup_f64 v[86:87], v[86:87], v[84:85], 1.0
	s_delay_alu instid0(VALU_DEP_1)
	v_mul_f64 v[84:85], v[101:102], v[86:87]
	v_xor_b32_e32 v87, 0x80000000, v87
.LBB40_364:
	s_and_not1_saveexec_b32 s2, s2
	s_cbranch_execz .LBB40_366
; %bb.365:
	s_delay_alu instid0(VALU_DEP_1) | instskip(SKIP_1) | instid1(VALU_DEP_2)
	v_div_scale_f64 v[101:102], null, v[84:85], v[84:85], v[86:87]
	v_div_scale_f64 v[107:108], vcc_lo, v[86:87], v[84:85], v[86:87]
	v_rcp_f64_e32 v[103:104], v[101:102]
	s_waitcnt_depctr 0xfff
	v_fma_f64 v[105:106], -v[101:102], v[103:104], 1.0
	s_delay_alu instid0(VALU_DEP_1) | instskip(NEXT) | instid1(VALU_DEP_1)
	v_fma_f64 v[103:104], v[103:104], v[105:106], v[103:104]
	v_fma_f64 v[105:106], -v[101:102], v[103:104], 1.0
	s_delay_alu instid0(VALU_DEP_1) | instskip(NEXT) | instid1(VALU_DEP_1)
	v_fma_f64 v[103:104], v[103:104], v[105:106], v[103:104]
	v_mul_f64 v[105:106], v[107:108], v[103:104]
	s_delay_alu instid0(VALU_DEP_1) | instskip(NEXT) | instid1(VALU_DEP_1)
	v_fma_f64 v[101:102], -v[101:102], v[105:106], v[107:108]
	v_div_fmas_f64 v[101:102], v[101:102], v[103:104], v[105:106]
	s_delay_alu instid0(VALU_DEP_1) | instskip(NEXT) | instid1(VALU_DEP_1)
	v_div_fixup_f64 v[101:102], v[101:102], v[84:85], v[86:87]
	v_fma_f64 v[84:85], v[86:87], v[101:102], v[84:85]
	s_delay_alu instid0(VALU_DEP_1) | instskip(NEXT) | instid1(VALU_DEP_1)
	v_div_scale_f64 v[86:87], null, v[84:85], v[84:85], 1.0
	v_rcp_f64_e32 v[103:104], v[86:87]
	s_waitcnt_depctr 0xfff
	v_fma_f64 v[105:106], -v[86:87], v[103:104], 1.0
	s_delay_alu instid0(VALU_DEP_1) | instskip(NEXT) | instid1(VALU_DEP_1)
	v_fma_f64 v[103:104], v[103:104], v[105:106], v[103:104]
	v_fma_f64 v[105:106], -v[86:87], v[103:104], 1.0
	s_delay_alu instid0(VALU_DEP_1) | instskip(SKIP_1) | instid1(VALU_DEP_1)
	v_fma_f64 v[103:104], v[103:104], v[105:106], v[103:104]
	v_div_scale_f64 v[105:106], vcc_lo, 1.0, v[84:85], 1.0
	v_mul_f64 v[107:108], v[105:106], v[103:104]
	s_delay_alu instid0(VALU_DEP_1) | instskip(NEXT) | instid1(VALU_DEP_1)
	v_fma_f64 v[86:87], -v[86:87], v[107:108], v[105:106]
	v_div_fmas_f64 v[86:87], v[86:87], v[103:104], v[107:108]
	s_delay_alu instid0(VALU_DEP_1) | instskip(NEXT) | instid1(VALU_DEP_1)
	v_div_fixup_f64 v[84:85], v[86:87], v[84:85], 1.0
	v_mul_f64 v[86:87], v[101:102], -v[84:85]
.LBB40_366:
	s_or_b32 exec_lo, exec_lo, s2
.LBB40_367:
	s_delay_alu instid0(SALU_CYCLE_1) | instskip(NEXT) | instid1(SALU_CYCLE_1)
	s_or_b32 exec_lo, exec_lo, s3
	s_mov_b32 s2, exec_lo
	v_cmpx_ne_u32_e64 v100, v92
	s_xor_b32 s2, exec_lo, s2
	s_cbranch_execz .LBB40_373
; %bb.368:
	s_mov_b32 s3, exec_lo
	v_cmpx_eq_u32_e32 17, v100
	s_cbranch_execz .LBB40_372
; %bb.369:
	v_cmp_ne_u32_e32 vcc_lo, 17, v92
	s_xor_b32 s6, s4, -1
	s_delay_alu instid0(SALU_CYCLE_1) | instskip(NEXT) | instid1(SALU_CYCLE_1)
	s_and_b32 s7, s6, vcc_lo
	s_and_saveexec_b32 s6, s7
	s_cbranch_execz .LBB40_371
; %bb.370:
	v_ashrrev_i32_e32 v93, 31, v92
	s_delay_alu instid0(VALU_DEP_1) | instskip(NEXT) | instid1(VALU_DEP_1)
	v_lshlrev_b64 v[100:101], 2, v[92:93]
	v_add_co_u32 v100, vcc_lo, v90, v100
	s_delay_alu instid0(VALU_DEP_2)
	v_add_co_ci_u32_e32 v101, vcc_lo, v91, v101, vcc_lo
	s_clause 0x1
	flat_load_b32 v93, v[100:101]
	flat_load_b32 v97, v[90:91] offset:68
	s_waitcnt vmcnt(1) lgkmcnt(1)
	flat_store_b32 v[90:91], v93 offset:68
	s_waitcnt vmcnt(0) lgkmcnt(1)
	flat_store_b32 v[100:101], v97
.LBB40_371:
	s_or_b32 exec_lo, exec_lo, s6
	v_mov_b32_e32 v100, v92
	v_mov_b32_e32 v97, v92
.LBB40_372:
	s_or_b32 exec_lo, exec_lo, s3
.LBB40_373:
	s_and_not1_saveexec_b32 s2, s2
	s_cbranch_execz .LBB40_375
; %bb.374:
	v_mov_b32_e32 v100, 17
	ds_store_2addr_b64 v94, v[8:9], v[10:11] offset0:36 offset1:37
	ds_store_2addr_b64 v94, v[4:5], v[6:7] offset0:38 offset1:39
	;; [unrolled: 1-line block ×3, first 2 shown]
.LBB40_375:
	s_or_b32 exec_lo, exec_lo, s2
	s_delay_alu instid0(SALU_CYCLE_1)
	s_mov_b32 s2, exec_lo
	s_waitcnt lgkmcnt(0)
	s_waitcnt_vscnt null, 0x0
	s_barrier
	buffer_gl0_inv
	v_cmpx_lt_i32_e32 17, v100
	s_cbranch_execz .LBB40_377
; %bb.376:
	v_mul_f64 v[92:93], v[84:85], v[14:15]
	v_mul_f64 v[14:15], v[86:87], v[14:15]
	ds_load_2addr_b64 v[101:104], v94 offset0:36 offset1:37
	ds_load_2addr_b64 v[105:108], v94 offset0:38 offset1:39
	;; [unrolled: 1-line block ×3, first 2 shown]
	v_fma_f64 v[86:87], v[86:87], v[12:13], v[92:93]
	v_fma_f64 v[12:13], v[84:85], v[12:13], -v[14:15]
	s_waitcnt lgkmcnt(2)
	s_delay_alu instid0(VALU_DEP_2)
	v_mul_f64 v[14:15], v[103:104], v[86:87]
	v_mul_f64 v[84:85], v[101:102], v[86:87]
	s_waitcnt lgkmcnt(1)
	v_mul_f64 v[92:93], v[107:108], v[86:87]
	v_mul_f64 v[113:114], v[105:106], v[86:87]
	s_waitcnt lgkmcnt(0)
	v_mul_f64 v[115:116], v[111:112], v[86:87]
	v_mul_f64 v[117:118], v[109:110], v[86:87]
	v_fma_f64 v[14:15], v[101:102], v[12:13], -v[14:15]
	v_fma_f64 v[84:85], v[103:104], v[12:13], v[84:85]
	v_fma_f64 v[92:93], v[105:106], v[12:13], -v[92:93]
	v_fma_f64 v[101:102], v[107:108], v[12:13], v[113:114]
	;; [unrolled: 2-line block ×3, first 2 shown]
	v_add_f64 v[8:9], v[8:9], -v[14:15]
	v_add_f64 v[10:11], v[10:11], -v[84:85]
	v_add_f64 v[4:5], v[4:5], -v[92:93]
	v_add_f64 v[6:7], v[6:7], -v[101:102]
	v_add_f64 v[0:1], v[0:1], -v[103:104]
	v_add_f64 v[2:3], v[2:3], -v[105:106]
	v_dual_mov_b32 v14, v86 :: v_dual_mov_b32 v15, v87
.LBB40_377:
	s_or_b32 exec_lo, exec_lo, s2
	v_lshl_add_u32 v84, v100, 4, v94
	s_barrier
	buffer_gl0_inv
	v_mov_b32_e32 v92, 18
	ds_store_2addr_b64 v84, v[8:9], v[10:11] offset1:1
	s_waitcnt lgkmcnt(0)
	s_barrier
	buffer_gl0_inv
	ds_load_2addr_b64 v[84:87], v94 offset0:36 offset1:37
	s_cmp_lt_i32 s5, 20
	s_cbranch_scc1 .LBB40_380
; %bb.378:
	v_add3_u32 v93, v99, 0, 0x130
	v_mov_b32_e32 v92, 18
	s_mov_b32 s6, 19
	s_set_inst_prefetch_distance 0x1
	.p2align	6
.LBB40_379:                             ; =>This Inner Loop Header: Depth=1
	ds_load_2addr_b64 v[101:104], v93 offset1:1
	s_waitcnt lgkmcnt(1)
	v_cmp_gt_f64_e32 vcc_lo, 0, v[84:85]
	v_xor_b32_e32 v105, 0x80000000, v85
	v_cmp_gt_f64_e64 s2, 0, v[86:87]
	v_xor_b32_e32 v107, 0x80000000, v87
	v_add_nc_u32_e32 v93, 16, v93
	s_waitcnt lgkmcnt(0)
	v_cmp_gt_f64_e64 s3, 0, v[101:102]
	v_mov_b32_e32 v109, v101
	v_dual_mov_b32 v111, v103 :: v_dual_cndmask_b32 v106, v85, v105
	v_xor_b32_e32 v105, 0x80000000, v102
	v_cndmask_b32_e64 v108, v87, v107, s2
	v_xor_b32_e32 v107, 0x80000000, v104
	s_delay_alu instid0(VALU_DEP_3) | instskip(SKIP_2) | instid1(VALU_DEP_2)
	v_cndmask_b32_e64 v110, v102, v105, s3
	v_cmp_gt_f64_e64 s3, 0, v[103:104]
	v_cndmask_b32_e32 v105, v84, v84, vcc_lo
	v_cndmask_b32_e64 v112, v104, v107, s3
	v_cndmask_b32_e64 v107, v86, v86, s2
	s_delay_alu instid0(VALU_DEP_2) | instskip(NEXT) | instid1(VALU_DEP_2)
	v_add_f64 v[109:110], v[109:110], v[111:112]
	v_add_f64 v[105:106], v[105:106], v[107:108]
	s_delay_alu instid0(VALU_DEP_1) | instskip(SKIP_4) | instid1(SALU_CYCLE_1)
	v_cmp_lt_f64_e32 vcc_lo, v[105:106], v[109:110]
	v_dual_cndmask_b32 v86, v86, v103 :: v_dual_cndmask_b32 v85, v85, v102
	v_dual_cndmask_b32 v84, v84, v101 :: v_dual_cndmask_b32 v87, v87, v104
	v_cndmask_b32_e64 v92, v92, s6, vcc_lo
	s_add_i32 s6, s6, 1
	s_cmp_lg_u32 s5, s6
	s_cbranch_scc1 .LBB40_379
.LBB40_380:
	s_set_inst_prefetch_distance 0x2
	s_waitcnt lgkmcnt(0)
	v_cmp_eq_f64_e32 vcc_lo, 0, v[84:85]
	v_cmp_eq_f64_e64 s2, 0, v[86:87]
	s_delay_alu instid0(VALU_DEP_1) | instskip(NEXT) | instid1(SALU_CYCLE_1)
	s_and_b32 s2, vcc_lo, s2
	s_and_saveexec_b32 s3, s2
	s_delay_alu instid0(SALU_CYCLE_1)
	s_xor_b32 s2, exec_lo, s3
; %bb.381:
	v_cmp_ne_u32_e32 vcc_lo, 0, v98
	v_cndmask_b32_e32 v98, 19, v98, vcc_lo
; %bb.382:
	s_and_not1_saveexec_b32 s3, s2
	s_cbranch_execz .LBB40_388
; %bb.383:
	v_cmp_gt_f64_e32 vcc_lo, 0, v[84:85]
	v_cmp_gt_f64_e64 s2, 0, v[86:87]
	v_xor_b32_e32 v93, 0x80000000, v85
	v_xor_b32_e32 v101, 0x80000000, v87
	s_delay_alu instid0(VALU_DEP_2) | instskip(NEXT) | instid1(VALU_DEP_2)
	v_cndmask_b32_e32 v102, v85, v93, vcc_lo
	v_cndmask_b32_e64 v104, v87, v101, s2
	v_cndmask_b32_e32 v101, v84, v84, vcc_lo
	v_cndmask_b32_e64 v103, v86, v86, s2
	s_mov_b32 s2, exec_lo
	s_delay_alu instid0(VALU_DEP_1)
	v_cmpx_ngt_f64_e32 v[101:102], v[103:104]
	s_xor_b32 s2, exec_lo, s2
	s_cbranch_execz .LBB40_385
; %bb.384:
	v_div_scale_f64 v[101:102], null, v[86:87], v[86:87], v[84:85]
	v_div_scale_f64 v[107:108], vcc_lo, v[84:85], v[86:87], v[84:85]
	s_delay_alu instid0(VALU_DEP_2) | instskip(SKIP_2) | instid1(VALU_DEP_1)
	v_rcp_f64_e32 v[103:104], v[101:102]
	s_waitcnt_depctr 0xfff
	v_fma_f64 v[105:106], -v[101:102], v[103:104], 1.0
	v_fma_f64 v[103:104], v[103:104], v[105:106], v[103:104]
	s_delay_alu instid0(VALU_DEP_1) | instskip(NEXT) | instid1(VALU_DEP_1)
	v_fma_f64 v[105:106], -v[101:102], v[103:104], 1.0
	v_fma_f64 v[103:104], v[103:104], v[105:106], v[103:104]
	s_delay_alu instid0(VALU_DEP_1) | instskip(NEXT) | instid1(VALU_DEP_1)
	v_mul_f64 v[105:106], v[107:108], v[103:104]
	v_fma_f64 v[101:102], -v[101:102], v[105:106], v[107:108]
	s_delay_alu instid0(VALU_DEP_1) | instskip(NEXT) | instid1(VALU_DEP_1)
	v_div_fmas_f64 v[101:102], v[101:102], v[103:104], v[105:106]
	v_div_fixup_f64 v[101:102], v[101:102], v[86:87], v[84:85]
	s_delay_alu instid0(VALU_DEP_1) | instskip(NEXT) | instid1(VALU_DEP_1)
	v_fma_f64 v[84:85], v[84:85], v[101:102], v[86:87]
	v_div_scale_f64 v[86:87], null, v[84:85], v[84:85], 1.0
	s_delay_alu instid0(VALU_DEP_1) | instskip(SKIP_2) | instid1(VALU_DEP_1)
	v_rcp_f64_e32 v[103:104], v[86:87]
	s_waitcnt_depctr 0xfff
	v_fma_f64 v[105:106], -v[86:87], v[103:104], 1.0
	v_fma_f64 v[103:104], v[103:104], v[105:106], v[103:104]
	s_delay_alu instid0(VALU_DEP_1) | instskip(NEXT) | instid1(VALU_DEP_1)
	v_fma_f64 v[105:106], -v[86:87], v[103:104], 1.0
	v_fma_f64 v[103:104], v[103:104], v[105:106], v[103:104]
	v_div_scale_f64 v[105:106], vcc_lo, 1.0, v[84:85], 1.0
	s_delay_alu instid0(VALU_DEP_1) | instskip(NEXT) | instid1(VALU_DEP_1)
	v_mul_f64 v[107:108], v[105:106], v[103:104]
	v_fma_f64 v[86:87], -v[86:87], v[107:108], v[105:106]
	s_delay_alu instid0(VALU_DEP_1) | instskip(NEXT) | instid1(VALU_DEP_1)
	v_div_fmas_f64 v[86:87], v[86:87], v[103:104], v[107:108]
	v_div_fixup_f64 v[86:87], v[86:87], v[84:85], 1.0
	s_delay_alu instid0(VALU_DEP_1)
	v_mul_f64 v[84:85], v[101:102], v[86:87]
	v_xor_b32_e32 v87, 0x80000000, v87
.LBB40_385:
	s_and_not1_saveexec_b32 s2, s2
	s_cbranch_execz .LBB40_387
; %bb.386:
	s_delay_alu instid0(VALU_DEP_1) | instskip(SKIP_1) | instid1(VALU_DEP_2)
	v_div_scale_f64 v[101:102], null, v[84:85], v[84:85], v[86:87]
	v_div_scale_f64 v[107:108], vcc_lo, v[86:87], v[84:85], v[86:87]
	v_rcp_f64_e32 v[103:104], v[101:102]
	s_waitcnt_depctr 0xfff
	v_fma_f64 v[105:106], -v[101:102], v[103:104], 1.0
	s_delay_alu instid0(VALU_DEP_1) | instskip(NEXT) | instid1(VALU_DEP_1)
	v_fma_f64 v[103:104], v[103:104], v[105:106], v[103:104]
	v_fma_f64 v[105:106], -v[101:102], v[103:104], 1.0
	s_delay_alu instid0(VALU_DEP_1) | instskip(NEXT) | instid1(VALU_DEP_1)
	v_fma_f64 v[103:104], v[103:104], v[105:106], v[103:104]
	v_mul_f64 v[105:106], v[107:108], v[103:104]
	s_delay_alu instid0(VALU_DEP_1) | instskip(NEXT) | instid1(VALU_DEP_1)
	v_fma_f64 v[101:102], -v[101:102], v[105:106], v[107:108]
	v_div_fmas_f64 v[101:102], v[101:102], v[103:104], v[105:106]
	s_delay_alu instid0(VALU_DEP_1) | instskip(NEXT) | instid1(VALU_DEP_1)
	v_div_fixup_f64 v[101:102], v[101:102], v[84:85], v[86:87]
	v_fma_f64 v[84:85], v[86:87], v[101:102], v[84:85]
	s_delay_alu instid0(VALU_DEP_1) | instskip(NEXT) | instid1(VALU_DEP_1)
	v_div_scale_f64 v[86:87], null, v[84:85], v[84:85], 1.0
	v_rcp_f64_e32 v[103:104], v[86:87]
	s_waitcnt_depctr 0xfff
	v_fma_f64 v[105:106], -v[86:87], v[103:104], 1.0
	s_delay_alu instid0(VALU_DEP_1) | instskip(NEXT) | instid1(VALU_DEP_1)
	v_fma_f64 v[103:104], v[103:104], v[105:106], v[103:104]
	v_fma_f64 v[105:106], -v[86:87], v[103:104], 1.0
	s_delay_alu instid0(VALU_DEP_1) | instskip(SKIP_1) | instid1(VALU_DEP_1)
	v_fma_f64 v[103:104], v[103:104], v[105:106], v[103:104]
	v_div_scale_f64 v[105:106], vcc_lo, 1.0, v[84:85], 1.0
	v_mul_f64 v[107:108], v[105:106], v[103:104]
	s_delay_alu instid0(VALU_DEP_1) | instskip(NEXT) | instid1(VALU_DEP_1)
	v_fma_f64 v[86:87], -v[86:87], v[107:108], v[105:106]
	v_div_fmas_f64 v[86:87], v[86:87], v[103:104], v[107:108]
	s_delay_alu instid0(VALU_DEP_1) | instskip(NEXT) | instid1(VALU_DEP_1)
	v_div_fixup_f64 v[84:85], v[86:87], v[84:85], 1.0
	v_mul_f64 v[86:87], v[101:102], -v[84:85]
.LBB40_387:
	s_or_b32 exec_lo, exec_lo, s2
.LBB40_388:
	s_delay_alu instid0(SALU_CYCLE_1) | instskip(NEXT) | instid1(SALU_CYCLE_1)
	s_or_b32 exec_lo, exec_lo, s3
	s_mov_b32 s2, exec_lo
	v_cmpx_ne_u32_e64 v100, v92
	s_xor_b32 s2, exec_lo, s2
	s_cbranch_execz .LBB40_394
; %bb.389:
	s_mov_b32 s3, exec_lo
	v_cmpx_eq_u32_e32 18, v100
	s_cbranch_execz .LBB40_393
; %bb.390:
	v_cmp_ne_u32_e32 vcc_lo, 18, v92
	s_xor_b32 s6, s4, -1
	s_delay_alu instid0(SALU_CYCLE_1) | instskip(NEXT) | instid1(SALU_CYCLE_1)
	s_and_b32 s7, s6, vcc_lo
	s_and_saveexec_b32 s6, s7
	s_cbranch_execz .LBB40_392
; %bb.391:
	v_ashrrev_i32_e32 v93, 31, v92
	s_delay_alu instid0(VALU_DEP_1) | instskip(NEXT) | instid1(VALU_DEP_1)
	v_lshlrev_b64 v[100:101], 2, v[92:93]
	v_add_co_u32 v100, vcc_lo, v90, v100
	s_delay_alu instid0(VALU_DEP_2)
	v_add_co_ci_u32_e32 v101, vcc_lo, v91, v101, vcc_lo
	s_clause 0x1
	flat_load_b32 v93, v[100:101]
	flat_load_b32 v97, v[90:91] offset:72
	s_waitcnt vmcnt(1) lgkmcnt(1)
	flat_store_b32 v[90:91], v93 offset:72
	s_waitcnt vmcnt(0) lgkmcnt(1)
	flat_store_b32 v[100:101], v97
.LBB40_392:
	s_or_b32 exec_lo, exec_lo, s6
	v_mov_b32_e32 v100, v92
	v_mov_b32_e32 v97, v92
.LBB40_393:
	s_or_b32 exec_lo, exec_lo, s3
.LBB40_394:
	s_and_not1_saveexec_b32 s2, s2
	s_cbranch_execz .LBB40_396
; %bb.395:
	v_mov_b32_e32 v100, 18
	ds_store_2addr_b64 v94, v[4:5], v[6:7] offset0:38 offset1:39
	ds_store_2addr_b64 v94, v[0:1], v[2:3] offset0:40 offset1:41
.LBB40_396:
	s_or_b32 exec_lo, exec_lo, s2
	s_delay_alu instid0(SALU_CYCLE_1)
	s_mov_b32 s2, exec_lo
	s_waitcnt lgkmcnt(0)
	s_waitcnt_vscnt null, 0x0
	s_barrier
	buffer_gl0_inv
	v_cmpx_lt_i32_e32 18, v100
	s_cbranch_execz .LBB40_398
; %bb.397:
	v_mul_f64 v[92:93], v[84:85], v[10:11]
	v_mul_f64 v[10:11], v[86:87], v[10:11]
	ds_load_2addr_b64 v[101:104], v94 offset0:38 offset1:39
	ds_load_2addr_b64 v[105:108], v94 offset0:40 offset1:41
	v_fma_f64 v[86:87], v[86:87], v[8:9], v[92:93]
	v_fma_f64 v[8:9], v[84:85], v[8:9], -v[10:11]
	s_waitcnt lgkmcnt(1)
	s_delay_alu instid0(VALU_DEP_2) | instskip(SKIP_4) | instid1(VALU_DEP_4)
	v_mul_f64 v[10:11], v[103:104], v[86:87]
	v_mul_f64 v[84:85], v[101:102], v[86:87]
	s_waitcnt lgkmcnt(0)
	v_mul_f64 v[92:93], v[107:108], v[86:87]
	v_mul_f64 v[109:110], v[105:106], v[86:87]
	v_fma_f64 v[10:11], v[101:102], v[8:9], -v[10:11]
	s_delay_alu instid0(VALU_DEP_4) | instskip(NEXT) | instid1(VALU_DEP_4)
	v_fma_f64 v[84:85], v[103:104], v[8:9], v[84:85]
	v_fma_f64 v[92:93], v[105:106], v[8:9], -v[92:93]
	s_delay_alu instid0(VALU_DEP_4) | instskip(NEXT) | instid1(VALU_DEP_4)
	v_fma_f64 v[101:102], v[107:108], v[8:9], v[109:110]
	v_add_f64 v[4:5], v[4:5], -v[10:11]
	s_delay_alu instid0(VALU_DEP_4) | instskip(NEXT) | instid1(VALU_DEP_4)
	v_add_f64 v[6:7], v[6:7], -v[84:85]
	v_add_f64 v[0:1], v[0:1], -v[92:93]
	s_delay_alu instid0(VALU_DEP_4)
	v_add_f64 v[2:3], v[2:3], -v[101:102]
	v_dual_mov_b32 v10, v86 :: v_dual_mov_b32 v11, v87
.LBB40_398:
	s_or_b32 exec_lo, exec_lo, s2
	v_lshl_add_u32 v84, v100, 4, v94
	s_barrier
	buffer_gl0_inv
	v_mov_b32_e32 v92, 19
	ds_store_2addr_b64 v84, v[4:5], v[6:7] offset1:1
	s_waitcnt lgkmcnt(0)
	s_barrier
	buffer_gl0_inv
	ds_load_2addr_b64 v[84:87], v94 offset0:38 offset1:39
	s_cmp_lt_i32 s5, 21
	s_cbranch_scc1 .LBB40_401
; %bb.399:
	v_add3_u32 v93, v99, 0, 0x140
	v_mov_b32_e32 v92, 19
	s_mov_b32 s6, 20
	s_set_inst_prefetch_distance 0x1
	.p2align	6
.LBB40_400:                             ; =>This Inner Loop Header: Depth=1
	ds_load_2addr_b64 v[101:104], v93 offset1:1
	s_waitcnt lgkmcnt(1)
	v_cmp_gt_f64_e32 vcc_lo, 0, v[84:85]
	v_xor_b32_e32 v105, 0x80000000, v85
	v_cmp_gt_f64_e64 s2, 0, v[86:87]
	v_xor_b32_e32 v107, 0x80000000, v87
	v_add_nc_u32_e32 v93, 16, v93
	s_waitcnt lgkmcnt(0)
	v_cmp_gt_f64_e64 s3, 0, v[101:102]
	v_mov_b32_e32 v109, v101
	v_dual_mov_b32 v111, v103 :: v_dual_cndmask_b32 v106, v85, v105
	v_xor_b32_e32 v105, 0x80000000, v102
	v_cndmask_b32_e64 v108, v87, v107, s2
	v_xor_b32_e32 v107, 0x80000000, v104
	s_delay_alu instid0(VALU_DEP_3) | instskip(SKIP_2) | instid1(VALU_DEP_2)
	v_cndmask_b32_e64 v110, v102, v105, s3
	v_cmp_gt_f64_e64 s3, 0, v[103:104]
	v_cndmask_b32_e32 v105, v84, v84, vcc_lo
	v_cndmask_b32_e64 v112, v104, v107, s3
	v_cndmask_b32_e64 v107, v86, v86, s2
	s_delay_alu instid0(VALU_DEP_2) | instskip(NEXT) | instid1(VALU_DEP_2)
	v_add_f64 v[109:110], v[109:110], v[111:112]
	v_add_f64 v[105:106], v[105:106], v[107:108]
	s_delay_alu instid0(VALU_DEP_1) | instskip(SKIP_4) | instid1(SALU_CYCLE_1)
	v_cmp_lt_f64_e32 vcc_lo, v[105:106], v[109:110]
	v_dual_cndmask_b32 v86, v86, v103 :: v_dual_cndmask_b32 v85, v85, v102
	v_dual_cndmask_b32 v84, v84, v101 :: v_dual_cndmask_b32 v87, v87, v104
	v_cndmask_b32_e64 v92, v92, s6, vcc_lo
	s_add_i32 s6, s6, 1
	s_cmp_lg_u32 s5, s6
	s_cbranch_scc1 .LBB40_400
.LBB40_401:
	s_set_inst_prefetch_distance 0x2
	s_waitcnt lgkmcnt(0)
	v_cmp_eq_f64_e32 vcc_lo, 0, v[84:85]
	v_cmp_eq_f64_e64 s2, 0, v[86:87]
	s_delay_alu instid0(VALU_DEP_1) | instskip(NEXT) | instid1(SALU_CYCLE_1)
	s_and_b32 s2, vcc_lo, s2
	s_and_saveexec_b32 s3, s2
	s_delay_alu instid0(SALU_CYCLE_1)
	s_xor_b32 s2, exec_lo, s3
; %bb.402:
	v_cmp_ne_u32_e32 vcc_lo, 0, v98
	v_cndmask_b32_e32 v98, 20, v98, vcc_lo
; %bb.403:
	s_and_not1_saveexec_b32 s3, s2
	s_cbranch_execz .LBB40_409
; %bb.404:
	v_cmp_gt_f64_e32 vcc_lo, 0, v[84:85]
	v_cmp_gt_f64_e64 s2, 0, v[86:87]
	v_xor_b32_e32 v93, 0x80000000, v85
	v_xor_b32_e32 v101, 0x80000000, v87
	s_delay_alu instid0(VALU_DEP_2) | instskip(NEXT) | instid1(VALU_DEP_2)
	v_cndmask_b32_e32 v102, v85, v93, vcc_lo
	v_cndmask_b32_e64 v104, v87, v101, s2
	v_cndmask_b32_e32 v101, v84, v84, vcc_lo
	v_cndmask_b32_e64 v103, v86, v86, s2
	s_mov_b32 s2, exec_lo
	s_delay_alu instid0(VALU_DEP_1)
	v_cmpx_ngt_f64_e32 v[101:102], v[103:104]
	s_xor_b32 s2, exec_lo, s2
	s_cbranch_execz .LBB40_406
; %bb.405:
	v_div_scale_f64 v[101:102], null, v[86:87], v[86:87], v[84:85]
	v_div_scale_f64 v[107:108], vcc_lo, v[84:85], v[86:87], v[84:85]
	s_delay_alu instid0(VALU_DEP_2) | instskip(SKIP_2) | instid1(VALU_DEP_1)
	v_rcp_f64_e32 v[103:104], v[101:102]
	s_waitcnt_depctr 0xfff
	v_fma_f64 v[105:106], -v[101:102], v[103:104], 1.0
	v_fma_f64 v[103:104], v[103:104], v[105:106], v[103:104]
	s_delay_alu instid0(VALU_DEP_1) | instskip(NEXT) | instid1(VALU_DEP_1)
	v_fma_f64 v[105:106], -v[101:102], v[103:104], 1.0
	v_fma_f64 v[103:104], v[103:104], v[105:106], v[103:104]
	s_delay_alu instid0(VALU_DEP_1) | instskip(NEXT) | instid1(VALU_DEP_1)
	v_mul_f64 v[105:106], v[107:108], v[103:104]
	v_fma_f64 v[101:102], -v[101:102], v[105:106], v[107:108]
	s_delay_alu instid0(VALU_DEP_1) | instskip(NEXT) | instid1(VALU_DEP_1)
	v_div_fmas_f64 v[101:102], v[101:102], v[103:104], v[105:106]
	v_div_fixup_f64 v[101:102], v[101:102], v[86:87], v[84:85]
	s_delay_alu instid0(VALU_DEP_1) | instskip(NEXT) | instid1(VALU_DEP_1)
	v_fma_f64 v[84:85], v[84:85], v[101:102], v[86:87]
	v_div_scale_f64 v[86:87], null, v[84:85], v[84:85], 1.0
	s_delay_alu instid0(VALU_DEP_1) | instskip(SKIP_2) | instid1(VALU_DEP_1)
	v_rcp_f64_e32 v[103:104], v[86:87]
	s_waitcnt_depctr 0xfff
	v_fma_f64 v[105:106], -v[86:87], v[103:104], 1.0
	v_fma_f64 v[103:104], v[103:104], v[105:106], v[103:104]
	s_delay_alu instid0(VALU_DEP_1) | instskip(NEXT) | instid1(VALU_DEP_1)
	v_fma_f64 v[105:106], -v[86:87], v[103:104], 1.0
	v_fma_f64 v[103:104], v[103:104], v[105:106], v[103:104]
	v_div_scale_f64 v[105:106], vcc_lo, 1.0, v[84:85], 1.0
	s_delay_alu instid0(VALU_DEP_1) | instskip(NEXT) | instid1(VALU_DEP_1)
	v_mul_f64 v[107:108], v[105:106], v[103:104]
	v_fma_f64 v[86:87], -v[86:87], v[107:108], v[105:106]
	s_delay_alu instid0(VALU_DEP_1) | instskip(NEXT) | instid1(VALU_DEP_1)
	v_div_fmas_f64 v[86:87], v[86:87], v[103:104], v[107:108]
	v_div_fixup_f64 v[86:87], v[86:87], v[84:85], 1.0
	s_delay_alu instid0(VALU_DEP_1)
	v_mul_f64 v[84:85], v[101:102], v[86:87]
	v_xor_b32_e32 v87, 0x80000000, v87
.LBB40_406:
	s_and_not1_saveexec_b32 s2, s2
	s_cbranch_execz .LBB40_408
; %bb.407:
	s_delay_alu instid0(VALU_DEP_1) | instskip(SKIP_1) | instid1(VALU_DEP_2)
	v_div_scale_f64 v[101:102], null, v[84:85], v[84:85], v[86:87]
	v_div_scale_f64 v[107:108], vcc_lo, v[86:87], v[84:85], v[86:87]
	v_rcp_f64_e32 v[103:104], v[101:102]
	s_waitcnt_depctr 0xfff
	v_fma_f64 v[105:106], -v[101:102], v[103:104], 1.0
	s_delay_alu instid0(VALU_DEP_1) | instskip(NEXT) | instid1(VALU_DEP_1)
	v_fma_f64 v[103:104], v[103:104], v[105:106], v[103:104]
	v_fma_f64 v[105:106], -v[101:102], v[103:104], 1.0
	s_delay_alu instid0(VALU_DEP_1) | instskip(NEXT) | instid1(VALU_DEP_1)
	v_fma_f64 v[103:104], v[103:104], v[105:106], v[103:104]
	v_mul_f64 v[105:106], v[107:108], v[103:104]
	s_delay_alu instid0(VALU_DEP_1) | instskip(NEXT) | instid1(VALU_DEP_1)
	v_fma_f64 v[101:102], -v[101:102], v[105:106], v[107:108]
	v_div_fmas_f64 v[101:102], v[101:102], v[103:104], v[105:106]
	s_delay_alu instid0(VALU_DEP_1) | instskip(NEXT) | instid1(VALU_DEP_1)
	v_div_fixup_f64 v[101:102], v[101:102], v[84:85], v[86:87]
	v_fma_f64 v[84:85], v[86:87], v[101:102], v[84:85]
	s_delay_alu instid0(VALU_DEP_1) | instskip(NEXT) | instid1(VALU_DEP_1)
	v_div_scale_f64 v[86:87], null, v[84:85], v[84:85], 1.0
	v_rcp_f64_e32 v[103:104], v[86:87]
	s_waitcnt_depctr 0xfff
	v_fma_f64 v[105:106], -v[86:87], v[103:104], 1.0
	s_delay_alu instid0(VALU_DEP_1) | instskip(NEXT) | instid1(VALU_DEP_1)
	v_fma_f64 v[103:104], v[103:104], v[105:106], v[103:104]
	v_fma_f64 v[105:106], -v[86:87], v[103:104], 1.0
	s_delay_alu instid0(VALU_DEP_1) | instskip(SKIP_1) | instid1(VALU_DEP_1)
	v_fma_f64 v[103:104], v[103:104], v[105:106], v[103:104]
	v_div_scale_f64 v[105:106], vcc_lo, 1.0, v[84:85], 1.0
	v_mul_f64 v[107:108], v[105:106], v[103:104]
	s_delay_alu instid0(VALU_DEP_1) | instskip(NEXT) | instid1(VALU_DEP_1)
	v_fma_f64 v[86:87], -v[86:87], v[107:108], v[105:106]
	v_div_fmas_f64 v[86:87], v[86:87], v[103:104], v[107:108]
	s_delay_alu instid0(VALU_DEP_1) | instskip(NEXT) | instid1(VALU_DEP_1)
	v_div_fixup_f64 v[84:85], v[86:87], v[84:85], 1.0
	v_mul_f64 v[86:87], v[101:102], -v[84:85]
.LBB40_408:
	s_or_b32 exec_lo, exec_lo, s2
.LBB40_409:
	s_delay_alu instid0(SALU_CYCLE_1) | instskip(NEXT) | instid1(SALU_CYCLE_1)
	s_or_b32 exec_lo, exec_lo, s3
	s_mov_b32 s2, exec_lo
	v_cmpx_ne_u32_e64 v100, v92
	s_xor_b32 s2, exec_lo, s2
	s_cbranch_execz .LBB40_415
; %bb.410:
	s_mov_b32 s3, exec_lo
	v_cmpx_eq_u32_e32 19, v100
	s_cbranch_execz .LBB40_414
; %bb.411:
	v_cmp_ne_u32_e32 vcc_lo, 19, v92
	s_xor_b32 s6, s4, -1
	s_delay_alu instid0(SALU_CYCLE_1) | instskip(NEXT) | instid1(SALU_CYCLE_1)
	s_and_b32 s7, s6, vcc_lo
	s_and_saveexec_b32 s6, s7
	s_cbranch_execz .LBB40_413
; %bb.412:
	v_ashrrev_i32_e32 v93, 31, v92
	s_delay_alu instid0(VALU_DEP_1) | instskip(NEXT) | instid1(VALU_DEP_1)
	v_lshlrev_b64 v[100:101], 2, v[92:93]
	v_add_co_u32 v100, vcc_lo, v90, v100
	s_delay_alu instid0(VALU_DEP_2)
	v_add_co_ci_u32_e32 v101, vcc_lo, v91, v101, vcc_lo
	s_clause 0x1
	flat_load_b32 v93, v[100:101]
	flat_load_b32 v97, v[90:91] offset:76
	s_waitcnt vmcnt(1) lgkmcnt(1)
	flat_store_b32 v[90:91], v93 offset:76
	s_waitcnt vmcnt(0) lgkmcnt(1)
	flat_store_b32 v[100:101], v97
.LBB40_413:
	s_or_b32 exec_lo, exec_lo, s6
	v_mov_b32_e32 v100, v92
	v_mov_b32_e32 v97, v92
.LBB40_414:
	s_or_b32 exec_lo, exec_lo, s3
.LBB40_415:
	s_and_not1_saveexec_b32 s2, s2
	s_cbranch_execz .LBB40_417
; %bb.416:
	v_mov_b32_e32 v100, 19
	ds_store_2addr_b64 v94, v[0:1], v[2:3] offset0:40 offset1:41
.LBB40_417:
	s_or_b32 exec_lo, exec_lo, s2
	s_delay_alu instid0(SALU_CYCLE_1)
	s_mov_b32 s2, exec_lo
	s_waitcnt lgkmcnt(0)
	s_waitcnt_vscnt null, 0x0
	s_barrier
	buffer_gl0_inv
	v_cmpx_lt_i32_e32 19, v100
	s_cbranch_execz .LBB40_419
; %bb.418:
	v_mul_f64 v[92:93], v[84:85], v[6:7]
	v_mul_f64 v[6:7], v[86:87], v[6:7]
	ds_load_2addr_b64 v[101:104], v94 offset0:40 offset1:41
	v_fma_f64 v[86:87], v[86:87], v[4:5], v[92:93]
	v_fma_f64 v[4:5], v[84:85], v[4:5], -v[6:7]
	s_waitcnt lgkmcnt(0)
	s_delay_alu instid0(VALU_DEP_2) | instskip(SKIP_1) | instid1(VALU_DEP_2)
	v_mul_f64 v[6:7], v[103:104], v[86:87]
	v_mul_f64 v[84:85], v[101:102], v[86:87]
	v_fma_f64 v[6:7], v[101:102], v[4:5], -v[6:7]
	s_delay_alu instid0(VALU_DEP_2) | instskip(NEXT) | instid1(VALU_DEP_2)
	v_fma_f64 v[84:85], v[103:104], v[4:5], v[84:85]
	v_add_f64 v[0:1], v[0:1], -v[6:7]
	s_delay_alu instid0(VALU_DEP_2)
	v_add_f64 v[2:3], v[2:3], -v[84:85]
	v_dual_mov_b32 v6, v86 :: v_dual_mov_b32 v7, v87
.LBB40_419:
	s_or_b32 exec_lo, exec_lo, s2
	v_lshl_add_u32 v84, v100, 4, v94
	s_barrier
	buffer_gl0_inv
	v_mov_b32_e32 v92, 20
	ds_store_2addr_b64 v84, v[0:1], v[2:3] offset1:1
	s_waitcnt lgkmcnt(0)
	s_barrier
	buffer_gl0_inv
	ds_load_2addr_b64 v[84:87], v94 offset0:40 offset1:41
	s_cmp_lt_i32 s5, 22
	s_cbranch_scc1 .LBB40_422
; %bb.420:
	v_add3_u32 v93, v99, 0, 0x150
	v_mov_b32_e32 v92, 20
	s_mov_b32 s6, 21
	s_set_inst_prefetch_distance 0x1
	.p2align	6
.LBB40_421:                             ; =>This Inner Loop Header: Depth=1
	ds_load_2addr_b64 v[101:104], v93 offset1:1
	s_waitcnt lgkmcnt(1)
	v_cmp_gt_f64_e32 vcc_lo, 0, v[84:85]
	v_xor_b32_e32 v94, 0x80000000, v85
	v_cmp_gt_f64_e64 s2, 0, v[86:87]
	v_xor_b32_e32 v99, 0x80000000, v87
	v_add_nc_u32_e32 v93, 16, v93
	s_waitcnt lgkmcnt(0)
	v_cmp_gt_f64_e64 s3, 0, v[101:102]
	v_mov_b32_e32 v109, v101
	v_dual_mov_b32 v111, v103 :: v_dual_cndmask_b32 v106, v85, v94
	v_xor_b32_e32 v94, 0x80000000, v102
	v_cndmask_b32_e64 v108, v87, v99, s2
	v_xor_b32_e32 v99, 0x80000000, v104
	v_cndmask_b32_e32 v105, v84, v84, vcc_lo
	v_cndmask_b32_e64 v107, v86, v86, s2
	s_delay_alu instid0(VALU_DEP_1) | instskip(SKIP_2) | instid1(VALU_DEP_1)
	v_add_f64 v[105:106], v[105:106], v[107:108]
	v_cndmask_b32_e64 v110, v102, v94, s3
	v_cmp_gt_f64_e64 s3, 0, v[103:104]
	v_cndmask_b32_e64 v112, v104, v99, s3
	s_delay_alu instid0(VALU_DEP_1) | instskip(NEXT) | instid1(VALU_DEP_1)
	v_add_f64 v[109:110], v[109:110], v[111:112]
	v_cmp_lt_f64_e32 vcc_lo, v[105:106], v[109:110]
	v_dual_cndmask_b32 v86, v86, v103 :: v_dual_cndmask_b32 v85, v85, v102
	v_dual_cndmask_b32 v84, v84, v101 :: v_dual_cndmask_b32 v87, v87, v104
	v_cndmask_b32_e64 v92, v92, s6, vcc_lo
	s_add_i32 s6, s6, 1
	s_delay_alu instid0(SALU_CYCLE_1)
	s_cmp_lg_u32 s5, s6
	s_cbranch_scc1 .LBB40_421
.LBB40_422:
	s_set_inst_prefetch_distance 0x2
	s_waitcnt lgkmcnt(0)
	v_cmp_eq_f64_e32 vcc_lo, 0, v[84:85]
	v_cmp_eq_f64_e64 s2, 0, v[86:87]
	s_delay_alu instid0(VALU_DEP_1) | instskip(NEXT) | instid1(SALU_CYCLE_1)
	s_and_b32 s2, vcc_lo, s2
	s_and_saveexec_b32 s3, s2
	s_delay_alu instid0(SALU_CYCLE_1)
	s_xor_b32 s2, exec_lo, s3
; %bb.423:
	v_cmp_ne_u32_e32 vcc_lo, 0, v98
	v_cndmask_b32_e32 v98, 21, v98, vcc_lo
; %bb.424:
	s_and_not1_saveexec_b32 s3, s2
	s_cbranch_execz .LBB40_430
; %bb.425:
	v_cmp_gt_f64_e32 vcc_lo, 0, v[84:85]
	v_cmp_gt_f64_e64 s2, 0, v[86:87]
	v_xor_b32_e32 v93, 0x80000000, v85
	v_xor_b32_e32 v99, 0x80000000, v87
	s_delay_alu instid0(VALU_DEP_2) | instskip(NEXT) | instid1(VALU_DEP_2)
	v_dual_cndmask_b32 v94, v85, v93 :: v_dual_cndmask_b32 v93, v84, v84
	v_cndmask_b32_e64 v102, v87, v99, s2
	v_cndmask_b32_e64 v101, v86, v86, s2
	s_mov_b32 s2, exec_lo
	s_delay_alu instid0(VALU_DEP_1)
	v_cmpx_ngt_f64_e32 v[93:94], v[101:102]
	s_xor_b32 s2, exec_lo, s2
	s_cbranch_execz .LBB40_427
; %bb.426:
	v_div_scale_f64 v[93:94], null, v[86:87], v[86:87], v[84:85]
	v_div_scale_f64 v[105:106], vcc_lo, v[84:85], v[86:87], v[84:85]
	s_delay_alu instid0(VALU_DEP_2) | instskip(SKIP_2) | instid1(VALU_DEP_1)
	v_rcp_f64_e32 v[101:102], v[93:94]
	s_waitcnt_depctr 0xfff
	v_fma_f64 v[103:104], -v[93:94], v[101:102], 1.0
	v_fma_f64 v[101:102], v[101:102], v[103:104], v[101:102]
	s_delay_alu instid0(VALU_DEP_1) | instskip(NEXT) | instid1(VALU_DEP_1)
	v_fma_f64 v[103:104], -v[93:94], v[101:102], 1.0
	v_fma_f64 v[101:102], v[101:102], v[103:104], v[101:102]
	s_delay_alu instid0(VALU_DEP_1) | instskip(NEXT) | instid1(VALU_DEP_1)
	v_mul_f64 v[103:104], v[105:106], v[101:102]
	v_fma_f64 v[93:94], -v[93:94], v[103:104], v[105:106]
	s_delay_alu instid0(VALU_DEP_1) | instskip(NEXT) | instid1(VALU_DEP_1)
	v_div_fmas_f64 v[93:94], v[93:94], v[101:102], v[103:104]
	v_div_fixup_f64 v[93:94], v[93:94], v[86:87], v[84:85]
	s_delay_alu instid0(VALU_DEP_1) | instskip(NEXT) | instid1(VALU_DEP_1)
	v_fma_f64 v[84:85], v[84:85], v[93:94], v[86:87]
	v_div_scale_f64 v[86:87], null, v[84:85], v[84:85], 1.0
	s_delay_alu instid0(VALU_DEP_1) | instskip(SKIP_2) | instid1(VALU_DEP_1)
	v_rcp_f64_e32 v[101:102], v[86:87]
	s_waitcnt_depctr 0xfff
	v_fma_f64 v[103:104], -v[86:87], v[101:102], 1.0
	v_fma_f64 v[101:102], v[101:102], v[103:104], v[101:102]
	s_delay_alu instid0(VALU_DEP_1) | instskip(NEXT) | instid1(VALU_DEP_1)
	v_fma_f64 v[103:104], -v[86:87], v[101:102], 1.0
	v_fma_f64 v[101:102], v[101:102], v[103:104], v[101:102]
	v_div_scale_f64 v[103:104], vcc_lo, 1.0, v[84:85], 1.0
	s_delay_alu instid0(VALU_DEP_1) | instskip(NEXT) | instid1(VALU_DEP_1)
	v_mul_f64 v[105:106], v[103:104], v[101:102]
	v_fma_f64 v[86:87], -v[86:87], v[105:106], v[103:104]
	s_delay_alu instid0(VALU_DEP_1) | instskip(NEXT) | instid1(VALU_DEP_1)
	v_div_fmas_f64 v[86:87], v[86:87], v[101:102], v[105:106]
	v_div_fixup_f64 v[86:87], v[86:87], v[84:85], 1.0
	s_delay_alu instid0(VALU_DEP_1)
	v_mul_f64 v[84:85], v[93:94], v[86:87]
	v_xor_b32_e32 v87, 0x80000000, v87
.LBB40_427:
	s_and_not1_saveexec_b32 s2, s2
	s_cbranch_execz .LBB40_429
; %bb.428:
	s_delay_alu instid0(VALU_DEP_1) | instskip(SKIP_1) | instid1(VALU_DEP_2)
	v_div_scale_f64 v[93:94], null, v[84:85], v[84:85], v[86:87]
	v_div_scale_f64 v[105:106], vcc_lo, v[86:87], v[84:85], v[86:87]
	v_rcp_f64_e32 v[101:102], v[93:94]
	s_waitcnt_depctr 0xfff
	v_fma_f64 v[103:104], -v[93:94], v[101:102], 1.0
	s_delay_alu instid0(VALU_DEP_1) | instskip(NEXT) | instid1(VALU_DEP_1)
	v_fma_f64 v[101:102], v[101:102], v[103:104], v[101:102]
	v_fma_f64 v[103:104], -v[93:94], v[101:102], 1.0
	s_delay_alu instid0(VALU_DEP_1) | instskip(NEXT) | instid1(VALU_DEP_1)
	v_fma_f64 v[101:102], v[101:102], v[103:104], v[101:102]
	v_mul_f64 v[103:104], v[105:106], v[101:102]
	s_delay_alu instid0(VALU_DEP_1) | instskip(NEXT) | instid1(VALU_DEP_1)
	v_fma_f64 v[93:94], -v[93:94], v[103:104], v[105:106]
	v_div_fmas_f64 v[93:94], v[93:94], v[101:102], v[103:104]
	s_delay_alu instid0(VALU_DEP_1) | instskip(NEXT) | instid1(VALU_DEP_1)
	v_div_fixup_f64 v[93:94], v[93:94], v[84:85], v[86:87]
	v_fma_f64 v[84:85], v[86:87], v[93:94], v[84:85]
	s_delay_alu instid0(VALU_DEP_1) | instskip(NEXT) | instid1(VALU_DEP_1)
	v_div_scale_f64 v[86:87], null, v[84:85], v[84:85], 1.0
	v_rcp_f64_e32 v[101:102], v[86:87]
	s_waitcnt_depctr 0xfff
	v_fma_f64 v[103:104], -v[86:87], v[101:102], 1.0
	s_delay_alu instid0(VALU_DEP_1) | instskip(NEXT) | instid1(VALU_DEP_1)
	v_fma_f64 v[101:102], v[101:102], v[103:104], v[101:102]
	v_fma_f64 v[103:104], -v[86:87], v[101:102], 1.0
	s_delay_alu instid0(VALU_DEP_1) | instskip(SKIP_1) | instid1(VALU_DEP_1)
	v_fma_f64 v[101:102], v[101:102], v[103:104], v[101:102]
	v_div_scale_f64 v[103:104], vcc_lo, 1.0, v[84:85], 1.0
	v_mul_f64 v[105:106], v[103:104], v[101:102]
	s_delay_alu instid0(VALU_DEP_1) | instskip(NEXT) | instid1(VALU_DEP_1)
	v_fma_f64 v[86:87], -v[86:87], v[105:106], v[103:104]
	v_div_fmas_f64 v[86:87], v[86:87], v[101:102], v[105:106]
	s_delay_alu instid0(VALU_DEP_1) | instskip(NEXT) | instid1(VALU_DEP_1)
	v_div_fixup_f64 v[84:85], v[86:87], v[84:85], 1.0
	v_mul_f64 v[86:87], v[93:94], -v[84:85]
.LBB40_429:
	s_or_b32 exec_lo, exec_lo, s2
.LBB40_430:
	s_delay_alu instid0(SALU_CYCLE_1)
	s_or_b32 exec_lo, exec_lo, s3
	v_mov_b32_e32 v93, 20
	s_mov_b32 s2, exec_lo
	v_cmpx_ne_u32_e64 v100, v92
	s_cbranch_execz .LBB40_436
; %bb.431:
	s_mov_b32 s3, exec_lo
	v_cmpx_eq_u32_e32 20, v100
	s_cbranch_execz .LBB40_435
; %bb.432:
	v_cmp_ne_u32_e32 vcc_lo, 20, v92
	s_xor_b32 s4, s4, -1
	s_delay_alu instid0(SALU_CYCLE_1) | instskip(NEXT) | instid1(SALU_CYCLE_1)
	s_and_b32 s5, s4, vcc_lo
	s_and_saveexec_b32 s4, s5
	s_cbranch_execz .LBB40_434
; %bb.433:
	v_ashrrev_i32_e32 v93, 31, v92
	s_delay_alu instid0(VALU_DEP_1) | instskip(NEXT) | instid1(VALU_DEP_1)
	v_lshlrev_b64 v[93:94], 2, v[92:93]
	v_add_co_u32 v93, vcc_lo, v90, v93
	s_delay_alu instid0(VALU_DEP_2)
	v_add_co_ci_u32_e32 v94, vcc_lo, v91, v94, vcc_lo
	s_clause 0x1
	flat_load_b32 v97, v[93:94]
	flat_load_b32 v99, v[90:91] offset:80
	s_waitcnt vmcnt(1) lgkmcnt(1)
	flat_store_b32 v[90:91], v97 offset:80
	s_waitcnt vmcnt(0) lgkmcnt(1)
	flat_store_b32 v[93:94], v99
.LBB40_434:
	s_or_b32 exec_lo, exec_lo, s4
	v_mov_b32_e32 v100, v92
	v_mov_b32_e32 v97, v92
.LBB40_435:
	s_or_b32 exec_lo, exec_lo, s3
	s_delay_alu instid0(VALU_DEP_2)
	v_mov_b32_e32 v93, v100
.LBB40_436:
	s_or_b32 exec_lo, exec_lo, s2
	s_delay_alu instid0(SALU_CYCLE_1)
	s_mov_b32 s2, exec_lo
	s_waitcnt lgkmcnt(0)
	s_waitcnt_vscnt null, 0x0
	s_barrier
	buffer_gl0_inv
	v_cmpx_lt_i32_e32 20, v93
; %bb.437:
	v_mul_f64 v[90:91], v[86:87], v[2:3]
	v_mul_f64 v[2:3], v[84:85], v[2:3]
	s_delay_alu instid0(VALU_DEP_2) | instskip(NEXT) | instid1(VALU_DEP_2)
	v_fma_f64 v[84:85], v[84:85], v[0:1], -v[90:91]
	v_fma_f64 v[2:3], v[86:87], v[0:1], v[2:3]
	s_delay_alu instid0(VALU_DEP_2)
	v_dual_mov_b32 v0, v84 :: v_dual_mov_b32 v1, v85
; %bb.438:
	s_or_b32 exec_lo, exec_lo, s2
	s_load_b256 s[0:7], s[0:1], 0x28
	v_ashrrev_i32_e32 v94, 31, v93
	s_mov_b32 s9, exec_lo
	s_waitcnt lgkmcnt(0)
	s_barrier
	buffer_gl0_inv
	v_cmpx_gt_i32_e32 21, v93
	s_cbranch_execz .LBB40_440
; %bb.439:
	v_mul_lo_u32 v86, v89, s4
	v_mul_lo_u32 v87, v88, s5
	v_mad_u64_u32 v[84:85], null, v88, s4, 0
	s_lshl_b64 s[2:3], s[2:3], 2
	s_delay_alu instid0(SALU_CYCLE_1) | instskip(SKIP_1) | instid1(VALU_DEP_1)
	s_add_u32 s0, s2, s0
	s_addc_u32 s1, s3, s1
	v_add3_u32 v85, v85, v87, v86
	v_lshlrev_b64 v[86:87], 2, v[93:94]
	s_delay_alu instid0(VALU_DEP_2) | instskip(NEXT) | instid1(VALU_DEP_1)
	v_lshlrev_b64 v[84:85], 2, v[84:85]
	v_add_co_u32 v84, vcc_lo, s0, v84
	s_delay_alu instid0(VALU_DEP_2) | instskip(NEXT) | instid1(VALU_DEP_2)
	v_add_co_ci_u32_e32 v85, vcc_lo, s1, v85, vcc_lo
	v_add_co_u32 v84, vcc_lo, v84, v86
	s_delay_alu instid0(VALU_DEP_2)
	v_add_co_ci_u32_e32 v85, vcc_lo, v85, v87, vcc_lo
	v_add3_u32 v86, v97, s13, 1
	global_store_b32 v[84:85], v86, off
.LBB40_440:
	s_or_b32 exec_lo, exec_lo, s9
	s_delay_alu instid0(SALU_CYCLE_1)
	s_mov_b32 s1, exec_lo
	v_cmpx_eq_u32_e32 0, v93
	s_cbranch_execz .LBB40_443
; %bb.441:
	v_lshlrev_b64 v[84:85], 2, v[88:89]
	v_cmp_lt_i32_e64 s0, 0, v98
	s_delay_alu instid0(VALU_DEP_2) | instskip(NEXT) | instid1(VALU_DEP_3)
	v_add_co_u32 v84, vcc_lo, s6, v84
	v_add_co_ci_u32_e32 v85, vcc_lo, s7, v85, vcc_lo
	global_load_b32 v86, v[84:85], off
	s_waitcnt vmcnt(0)
	v_cmp_eq_u32_e32 vcc_lo, 0, v86
	s_and_b32 s0, vcc_lo, s0
	s_delay_alu instid0(SALU_CYCLE_1)
	s_and_b32 exec_lo, exec_lo, s0
	s_cbranch_execz .LBB40_443
; %bb.442:
	v_add_nc_u32_e32 v86, s13, v98
	global_store_b32 v[84:85], v86, off
.LBB40_443:
	s_or_b32 exec_lo, exec_lo, s1
	v_add3_u32 v84, s8, s8, v93
	v_lshlrev_b64 v[86:87], 4, v[93:94]
	s_delay_alu instid0(VALU_DEP_2) | instskip(SKIP_1) | instid1(VALU_DEP_3)
	v_add_nc_u32_e32 v88, s8, v84
	v_ashrrev_i32_e32 v85, 31, v84
	v_add_co_u32 v86, vcc_lo, v95, v86
	s_delay_alu instid0(VALU_DEP_4) | instskip(NEXT) | instid1(VALU_DEP_4)
	v_add_co_ci_u32_e32 v87, vcc_lo, v96, v87, vcc_lo
	v_ashrrev_i32_e32 v89, 31, v88
	s_delay_alu instid0(VALU_DEP_4)
	v_lshlrev_b64 v[84:85], 4, v[84:85]
	global_store_b128 v[86:87], v[80:83], off
	v_add_co_u32 v80, vcc_lo, v86, s10
	v_lshlrev_b64 v[82:83], 4, v[88:89]
	v_add_co_ci_u32_e32 v81, vcc_lo, s11, v87, vcc_lo
	v_add_nc_u32_e32 v86, s8, v88
	v_add_co_u32 v84, vcc_lo, v95, v84
	v_add_co_ci_u32_e32 v85, vcc_lo, v96, v85, vcc_lo
	v_add_co_u32 v82, vcc_lo, v95, v82
	s_delay_alu instid0(VALU_DEP_4)
	v_add_nc_u32_e32 v88, s8, v86
	v_add_co_ci_u32_e32 v83, vcc_lo, v96, v83, vcc_lo
	v_ashrrev_i32_e32 v87, 31, v86
	global_store_b128 v[80:81], v[68:71], off
	v_ashrrev_i32_e32 v89, 31, v88
	s_clause 0x1
	global_store_b128 v[84:85], v[76:79], off
	global_store_b128 v[82:83], v[72:75], off
	v_add_nc_u32_e32 v72, s8, v88
	v_lshlrev_b64 v[68:69], 4, v[86:87]
	v_lshlrev_b64 v[70:71], 4, v[88:89]
	s_delay_alu instid0(VALU_DEP_3) | instskip(SKIP_1) | instid1(VALU_DEP_4)
	v_add_nc_u32_e32 v74, s8, v72
	v_ashrrev_i32_e32 v73, 31, v72
	v_add_co_u32 v68, vcc_lo, v95, v68
	v_add_co_ci_u32_e32 v69, vcc_lo, v96, v69, vcc_lo
	s_delay_alu instid0(VALU_DEP_4)
	v_add_nc_u32_e32 v76, s8, v74
	v_add_co_u32 v70, vcc_lo, v95, v70
	v_ashrrev_i32_e32 v75, 31, v74
	v_add_co_ci_u32_e32 v71, vcc_lo, v96, v71, vcc_lo
	v_lshlrev_b64 v[72:73], 4, v[72:73]
	v_ashrrev_i32_e32 v77, 31, v76
	s_clause 0x1
	global_store_b128 v[68:69], v[64:67], off
	global_store_b128 v[70:71], v[60:63], off
	v_lshlrev_b64 v[60:61], 4, v[74:75]
	v_add_nc_u32_e32 v66, s8, v76
	v_add_co_u32 v62, vcc_lo, v95, v72
	v_lshlrev_b64 v[64:65], 4, v[76:77]
	v_add_co_ci_u32_e32 v63, vcc_lo, v96, v73, vcc_lo
	v_add_co_u32 v60, vcc_lo, v95, v60
	v_add_co_ci_u32_e32 v61, vcc_lo, v96, v61, vcc_lo
	s_delay_alu instid0(VALU_DEP_4)
	v_add_co_u32 v64, vcc_lo, v95, v64
	v_add_nc_u32_e32 v68, s8, v66
	v_add_co_ci_u32_e32 v65, vcc_lo, v96, v65, vcc_lo
	v_ashrrev_i32_e32 v67, 31, v66
	global_store_b128 v[62:63], v[52:55], off
	v_ashrrev_i32_e32 v69, 31, v68
	s_clause 0x1
	global_store_b128 v[60:61], v[48:51], off
	global_store_b128 v[64:65], v[56:59], off
	v_add_nc_u32_e32 v50, s8, v68
	v_lshlrev_b64 v[52:53], 4, v[66:67]
	v_lshlrev_b64 v[48:49], 4, v[68:69]
	s_delay_alu instid0(VALU_DEP_3) | instskip(SKIP_1) | instid1(VALU_DEP_4)
	v_add_nc_u32_e32 v54, s8, v50
	v_ashrrev_i32_e32 v51, 31, v50
	v_add_co_u32 v52, vcc_lo, v95, v52
	v_add_co_ci_u32_e32 v53, vcc_lo, v96, v53, vcc_lo
	s_delay_alu instid0(VALU_DEP_4)
	v_add_nc_u32_e32 v56, s8, v54
	v_add_co_u32 v48, vcc_lo, v95, v48
	v_ashrrev_i32_e32 v55, 31, v54
	v_add_co_ci_u32_e32 v49, vcc_lo, v96, v49, vcc_lo
	v_lshlrev_b64 v[50:51], 4, v[50:51]
	v_ashrrev_i32_e32 v57, 31, v56
	s_clause 0x1
	global_store_b128 v[52:53], v[40:43], off
	global_store_b128 v[48:49], v[44:47], off
	v_lshlrev_b64 v[40:41], 4, v[54:55]
	v_add_nc_u32_e32 v46, s8, v56
	v_add_co_u32 v42, vcc_lo, v95, v50
	v_lshlrev_b64 v[44:45], 4, v[56:57]
	v_add_co_ci_u32_e32 v43, vcc_lo, v96, v51, vcc_lo
	v_add_co_u32 v40, vcc_lo, v95, v40
	v_add_nc_u32_e32 v48, s8, v46
	v_add_co_ci_u32_e32 v41, vcc_lo, v96, v41, vcc_lo
	v_ashrrev_i32_e32 v47, 31, v46
	v_add_co_u32 v44, vcc_lo, v95, v44
	v_add_co_ci_u32_e32 v45, vcc_lo, v96, v45, vcc_lo
	v_ashrrev_i32_e32 v49, 31, v48
	global_store_b128 v[42:43], v[36:39], off
	v_lshlrev_b64 v[36:37], 4, v[46:47]
	s_clause 0x1
	global_store_b128 v[40:41], v[32:35], off
	global_store_b128 v[44:45], v[28:31], off
	v_add_nc_u32_e32 v30, s8, v48
	v_lshlrev_b64 v[28:29], 4, v[48:49]
	v_add_co_u32 v32, vcc_lo, v95, v36
	s_delay_alu instid0(VALU_DEP_3) | instskip(SKIP_1) | instid1(VALU_DEP_4)
	v_add_nc_u32_e32 v34, s8, v30
	v_add_co_ci_u32_e32 v33, vcc_lo, v96, v37, vcc_lo
	v_add_co_u32 v28, vcc_lo, v95, v28
	v_add_co_ci_u32_e32 v29, vcc_lo, v96, v29, vcc_lo
	s_delay_alu instid0(VALU_DEP_4)
	v_add_nc_u32_e32 v36, s8, v34
	v_ashrrev_i32_e32 v31, 31, v30
	s_clause 0x1
	global_store_b128 v[32:33], v[24:27], off
	global_store_b128 v[28:29], v[20:23], off
	v_ashrrev_i32_e32 v35, 31, v34
	v_add_nc_u32_e32 v22, s8, v36
	v_lshlrev_b64 v[24:25], 4, v[30:31]
	v_ashrrev_i32_e32 v37, 31, v36
	s_delay_alu instid0(VALU_DEP_4) | instskip(NEXT) | instid1(VALU_DEP_4)
	v_lshlrev_b64 v[20:21], 4, v[34:35]
	v_add_nc_u32_e32 v28, s8, v22
	v_ashrrev_i32_e32 v23, 31, v22
	v_add_co_u32 v24, vcc_lo, v95, v24
	v_lshlrev_b64 v[26:27], 4, v[36:37]
	s_delay_alu instid0(VALU_DEP_4)
	v_ashrrev_i32_e32 v29, 31, v28
	v_add_co_ci_u32_e32 v25, vcc_lo, v96, v25, vcc_lo
	v_add_co_u32 v20, vcc_lo, v95, v20
	v_lshlrev_b64 v[22:23], 4, v[22:23]
	v_add_co_ci_u32_e32 v21, vcc_lo, v96, v21, vcc_lo
	v_add_co_u32 v26, vcc_lo, v95, v26
	v_lshlrev_b64 v[28:29], 4, v[28:29]
	v_add_co_ci_u32_e32 v27, vcc_lo, v96, v27, vcc_lo
	v_add_co_u32 v22, vcc_lo, v95, v22
	v_add_co_ci_u32_e32 v23, vcc_lo, v96, v23, vcc_lo
	s_delay_alu instid0(VALU_DEP_4)
	v_add_co_u32 v28, vcc_lo, v95, v28
	v_add_co_ci_u32_e32 v29, vcc_lo, v96, v29, vcc_lo
	s_clause 0x4
	global_store_b128 v[24:25], v[16:19], off
	global_store_b128 v[20:21], v[12:15], off
	;; [unrolled: 1-line block ×5, first 2 shown]
.LBB40_444:
	s_nop 0
	s_sendmsg sendmsg(MSG_DEALLOC_VGPRS)
	s_endpgm
	.section	.rodata,"a",@progbits
	.p2align	6, 0x0
	.amdhsa_kernel _ZN9rocsolver6v33100L18getf2_small_kernelILi21E19rocblas_complex_numIdEiiPKPS3_EEvT1_T3_lS7_lPS7_llPT2_S7_S7_S9_l
		.amdhsa_group_segment_fixed_size 0
		.amdhsa_private_segment_fixed_size 0
		.amdhsa_kernarg_size 352
		.amdhsa_user_sgpr_count 14
		.amdhsa_user_sgpr_dispatch_ptr 0
		.amdhsa_user_sgpr_queue_ptr 0
		.amdhsa_user_sgpr_kernarg_segment_ptr 1
		.amdhsa_user_sgpr_dispatch_id 0
		.amdhsa_user_sgpr_private_segment_size 0
		.amdhsa_wavefront_size32 1
		.amdhsa_uses_dynamic_stack 0
		.amdhsa_enable_private_segment 0
		.amdhsa_system_sgpr_workgroup_id_x 1
		.amdhsa_system_sgpr_workgroup_id_y 1
		.amdhsa_system_sgpr_workgroup_id_z 0
		.amdhsa_system_sgpr_workgroup_info 0
		.amdhsa_system_vgpr_workitem_id 1
		.amdhsa_next_free_vgpr 247
		.amdhsa_next_free_sgpr 16
		.amdhsa_reserve_vcc 1
		.amdhsa_float_round_mode_32 0
		.amdhsa_float_round_mode_16_64 0
		.amdhsa_float_denorm_mode_32 3
		.amdhsa_float_denorm_mode_16_64 3
		.amdhsa_dx10_clamp 1
		.amdhsa_ieee_mode 1
		.amdhsa_fp16_overflow 0
		.amdhsa_workgroup_processor_mode 1
		.amdhsa_memory_ordered 1
		.amdhsa_forward_progress 0
		.amdhsa_shared_vgpr_count 0
		.amdhsa_exception_fp_ieee_invalid_op 0
		.amdhsa_exception_fp_denorm_src 0
		.amdhsa_exception_fp_ieee_div_zero 0
		.amdhsa_exception_fp_ieee_overflow 0
		.amdhsa_exception_fp_ieee_underflow 0
		.amdhsa_exception_fp_ieee_inexact 0
		.amdhsa_exception_int_div_zero 0
	.end_amdhsa_kernel
	.section	.text._ZN9rocsolver6v33100L18getf2_small_kernelILi21E19rocblas_complex_numIdEiiPKPS3_EEvT1_T3_lS7_lPS7_llPT2_S7_S7_S9_l,"axG",@progbits,_ZN9rocsolver6v33100L18getf2_small_kernelILi21E19rocblas_complex_numIdEiiPKPS3_EEvT1_T3_lS7_lPS7_llPT2_S7_S7_S9_l,comdat
.Lfunc_end40:
	.size	_ZN9rocsolver6v33100L18getf2_small_kernelILi21E19rocblas_complex_numIdEiiPKPS3_EEvT1_T3_lS7_lPS7_llPT2_S7_S7_S9_l, .Lfunc_end40-_ZN9rocsolver6v33100L18getf2_small_kernelILi21E19rocblas_complex_numIdEiiPKPS3_EEvT1_T3_lS7_lPS7_llPT2_S7_S7_S9_l
                                        ; -- End function
	.section	.AMDGPU.csdata,"",@progbits
; Kernel info:
; codeLenInByte = 40732
; NumSgprs: 18
; NumVgprs: 247
; ScratchSize: 0
; MemoryBound: 0
; FloatMode: 240
; IeeeMode: 1
; LDSByteSize: 0 bytes/workgroup (compile time only)
; SGPRBlocks: 2
; VGPRBlocks: 30
; NumSGPRsForWavesPerEU: 18
; NumVGPRsForWavesPerEU: 247
; Occupancy: 5
; WaveLimiterHint : 1
; COMPUTE_PGM_RSRC2:SCRATCH_EN: 0
; COMPUTE_PGM_RSRC2:USER_SGPR: 14
; COMPUTE_PGM_RSRC2:TRAP_HANDLER: 0
; COMPUTE_PGM_RSRC2:TGID_X_EN: 1
; COMPUTE_PGM_RSRC2:TGID_Y_EN: 1
; COMPUTE_PGM_RSRC2:TGID_Z_EN: 0
; COMPUTE_PGM_RSRC2:TIDIG_COMP_CNT: 1
	.section	.text._ZN9rocsolver6v33100L23getf2_npvt_small_kernelILi21E19rocblas_complex_numIdEiiPKPS3_EEvT1_T3_lS7_lPT2_S7_S7_,"axG",@progbits,_ZN9rocsolver6v33100L23getf2_npvt_small_kernelILi21E19rocblas_complex_numIdEiiPKPS3_EEvT1_T3_lS7_lPT2_S7_S7_,comdat
	.globl	_ZN9rocsolver6v33100L23getf2_npvt_small_kernelILi21E19rocblas_complex_numIdEiiPKPS3_EEvT1_T3_lS7_lPT2_S7_S7_ ; -- Begin function _ZN9rocsolver6v33100L23getf2_npvt_small_kernelILi21E19rocblas_complex_numIdEiiPKPS3_EEvT1_T3_lS7_lPT2_S7_S7_
	.p2align	8
	.type	_ZN9rocsolver6v33100L23getf2_npvt_small_kernelILi21E19rocblas_complex_numIdEiiPKPS3_EEvT1_T3_lS7_lPT2_S7_S7_,@function
_ZN9rocsolver6v33100L23getf2_npvt_small_kernelILi21E19rocblas_complex_numIdEiiPKPS3_EEvT1_T3_lS7_lPT2_S7_S7_: ; @_ZN9rocsolver6v33100L23getf2_npvt_small_kernelILi21E19rocblas_complex_numIdEiiPKPS3_EEvT1_T3_lS7_lPT2_S7_S7_
; %bb.0:
	s_clause 0x1
	s_load_b32 s2, s[0:1], 0x44
	s_load_b64 s[8:9], s[0:1], 0x30
	v_bfe_u32 v84, v0, 10, 10
	s_waitcnt lgkmcnt(0)
	s_lshr_b32 s10, s2, 16
	s_mov_b32 s2, exec_lo
	s_delay_alu instid0(VALU_DEP_1) | instskip(NEXT) | instid1(VALU_DEP_1)
	v_mad_u64_u32 v[168:169], null, s15, s10, v[84:85]
	v_cmpx_gt_i32_e64 s8, v168
	s_cbranch_execz .LBB41_194
; %bb.1:
	s_clause 0x1
	s_load_b128 s[4:7], s[0:1], 0x8
	s_load_b32 s2, s[0:1], 0x18
	v_ashrrev_i32_e32 v169, 31, v168
	v_and_b32_e32 v214, 0x3ff, v0
	v_lshlrev_b32_e32 v85, 4, v84
	s_mulk_i32 s10, 0x150
	v_mad_u32_u24 v216, 0x150, v84, 0
	v_lshlrev_b64 v[1:2], 3, v[168:169]
	v_lshlrev_b32_e32 v41, 4, v214
	v_add3_u32 v215, 0, s10, v85
	s_waitcnt lgkmcnt(0)
	s_delay_alu instid0(VALU_DEP_3) | instskip(NEXT) | instid1(VALU_DEP_4)
	v_add_co_u32 v1, vcc_lo, s4, v1
	v_add_co_ci_u32_e32 v2, vcc_lo, s5, v2, vcc_lo
	v_add3_u32 v3, s2, s2, v214
	s_lshl_b64 s[4:5], s[6:7], 4
	s_ashr_i32 s3, s2, 31
	global_load_b64 v[1:2], v[1:2], off
	s_lshl_b64 s[6:7], s[2:3], 4
	v_add_nc_u32_e32 v5, s2, v3
	v_ashrrev_i32_e32 v4, 31, v3
	v_cmp_ne_u32_e64 s3, 0, v214
	s_delay_alu instid0(VALU_DEP_3) | instskip(SKIP_1) | instid1(VALU_DEP_4)
	v_add_nc_u32_e32 v7, s2, v5
	v_ashrrev_i32_e32 v6, 31, v5
	v_lshlrev_b64 v[3:4], 4, v[3:4]
	s_delay_alu instid0(VALU_DEP_3) | instskip(SKIP_1) | instid1(VALU_DEP_4)
	v_add_nc_u32_e32 v9, s2, v7
	v_ashrrev_i32_e32 v8, 31, v7
	v_lshlrev_b64 v[5:6], 4, v[5:6]
	;; [unrolled: 4-line block ×17, first 2 shown]
	v_cmp_eq_u32_e64 s2, 0, v214
	s_delay_alu instid0(VALU_DEP_4) | instskip(NEXT) | instid1(VALU_DEP_4)
	v_ashrrev_i32_e32 v40, 31, v39
	v_lshlrev_b64 v[37:38], 4, v[37:38]
	s_waitcnt vmcnt(0)
	v_add_co_u32 v42, vcc_lo, v1, s4
	v_add_co_ci_u32_e32 v2, vcc_lo, s5, v2, vcc_lo
	v_lshlrev_b64 v[0:1], 4, v[39:40]
	s_delay_alu instid0(VALU_DEP_3) | instskip(NEXT) | instid1(VALU_DEP_3)
	v_add_co_u32 v208, vcc_lo, v42, v41
	v_add_co_ci_u32_e32 v209, vcc_lo, 0, v2, vcc_lo
	v_add_co_u32 v206, vcc_lo, v42, v3
	v_add_co_ci_u32_e32 v207, vcc_lo, v2, v4, vcc_lo
	;; [unrolled: 2-line block ×21, first 2 shown]
	s_clause 0x14
	global_load_b128 v[72:75], v[206:207], off
	global_load_b128 v[68:71], v[204:205], off
	;; [unrolled: 1-line block ×21, first 2 shown]
	s_and_saveexec_b32 s5, s2
	s_cbranch_execz .LBB41_8
; %bb.2:
	s_waitcnt vmcnt(2)
	ds_store_2addr_b64 v215, v[80:81], v[82:83] offset1:1
	s_waitcnt vmcnt(1)
	ds_store_2addr_b64 v216, v[76:77], v[78:79] offset0:2 offset1:3
	ds_store_2addr_b64 v216, v[72:73], v[74:75] offset0:4 offset1:5
	ds_store_2addr_b64 v216, v[68:69], v[70:71] offset0:6 offset1:7
	ds_store_2addr_b64 v216, v[64:65], v[66:67] offset0:8 offset1:9
	ds_store_2addr_b64 v216, v[60:61], v[62:63] offset0:10 offset1:11
	ds_store_2addr_b64 v216, v[56:57], v[58:59] offset0:12 offset1:13
	ds_store_2addr_b64 v216, v[52:53], v[54:55] offset0:14 offset1:15
	ds_store_2addr_b64 v216, v[48:49], v[50:51] offset0:16 offset1:17
	ds_store_2addr_b64 v216, v[44:45], v[46:47] offset0:18 offset1:19
	ds_store_2addr_b64 v216, v[40:41], v[42:43] offset0:20 offset1:21
	ds_store_2addr_b64 v216, v[36:37], v[38:39] offset0:22 offset1:23
	ds_store_2addr_b64 v216, v[32:33], v[34:35] offset0:24 offset1:25
	ds_store_2addr_b64 v216, v[28:29], v[30:31] offset0:26 offset1:27
	ds_store_2addr_b64 v216, v[24:25], v[26:27] offset0:28 offset1:29
	ds_store_2addr_b64 v216, v[20:21], v[22:23] offset0:30 offset1:31
	ds_store_2addr_b64 v216, v[16:17], v[18:19] offset0:32 offset1:33
	ds_store_2addr_b64 v216, v[12:13], v[14:15] offset0:34 offset1:35
	ds_store_2addr_b64 v216, v[8:9], v[10:11] offset0:36 offset1:37
	ds_store_2addr_b64 v216, v[4:5], v[6:7] offset0:38 offset1:39
	s_waitcnt vmcnt(0)
	ds_store_2addr_b64 v216, v[0:1], v[2:3] offset0:40 offset1:41
	ds_load_2addr_b64 v[84:87], v215 offset1:1
	s_waitcnt lgkmcnt(0)
	v_cmp_neq_f64_e32 vcc_lo, 0, v[84:85]
	v_cmp_neq_f64_e64 s4, 0, v[86:87]
	s_delay_alu instid0(VALU_DEP_1) | instskip(NEXT) | instid1(SALU_CYCLE_1)
	s_or_b32 s4, vcc_lo, s4
	s_and_b32 exec_lo, exec_lo, s4
	s_cbranch_execz .LBB41_8
; %bb.3:
	v_cmp_gt_f64_e32 vcc_lo, 0, v[84:85]
	v_cmp_gt_f64_e64 s4, 0, v[86:87]
	v_xor_b32_e32 v88, 0x80000000, v85
	v_xor_b32_e32 v90, 0x80000000, v87
                                        ; implicit-def: $vgpr92_vgpr93
	s_delay_alu instid0(VALU_DEP_2) | instskip(NEXT) | instid1(VALU_DEP_2)
	v_cndmask_b32_e32 v89, v85, v88, vcc_lo
	v_cndmask_b32_e64 v91, v87, v90, s4
	v_cndmask_b32_e32 v88, v84, v84, vcc_lo
	v_cndmask_b32_e64 v90, v86, v86, s4
	s_mov_b32 s4, exec_lo
	s_delay_alu instid0(VALU_DEP_1)
	v_cmpx_ngt_f64_e32 v[88:89], v[90:91]
	s_xor_b32 s4, exec_lo, s4
                                        ; implicit-def: $vgpr88_vgpr89_vgpr90_vgpr91
	s_cbranch_execz .LBB41_5
; %bb.4:
	v_div_scale_f64 v[88:89], null, v[86:87], v[86:87], v[84:85]
	v_div_scale_f64 v[94:95], vcc_lo, v[84:85], v[86:87], v[84:85]
	s_delay_alu instid0(VALU_DEP_2) | instskip(SKIP_2) | instid1(VALU_DEP_1)
	v_rcp_f64_e32 v[90:91], v[88:89]
	s_waitcnt_depctr 0xfff
	v_fma_f64 v[92:93], -v[88:89], v[90:91], 1.0
	v_fma_f64 v[90:91], v[90:91], v[92:93], v[90:91]
	s_delay_alu instid0(VALU_DEP_1) | instskip(NEXT) | instid1(VALU_DEP_1)
	v_fma_f64 v[92:93], -v[88:89], v[90:91], 1.0
	v_fma_f64 v[90:91], v[90:91], v[92:93], v[90:91]
	s_delay_alu instid0(VALU_DEP_1) | instskip(NEXT) | instid1(VALU_DEP_1)
	v_mul_f64 v[92:93], v[94:95], v[90:91]
	v_fma_f64 v[88:89], -v[88:89], v[92:93], v[94:95]
	s_delay_alu instid0(VALU_DEP_1) | instskip(NEXT) | instid1(VALU_DEP_1)
	v_div_fmas_f64 v[88:89], v[88:89], v[90:91], v[92:93]
	v_div_fixup_f64 v[88:89], v[88:89], v[86:87], v[84:85]
	s_delay_alu instid0(VALU_DEP_1) | instskip(NEXT) | instid1(VALU_DEP_1)
	v_fma_f64 v[84:85], v[84:85], v[88:89], v[86:87]
	v_div_scale_f64 v[86:87], null, v[84:85], v[84:85], 1.0
	s_delay_alu instid0(VALU_DEP_1) | instskip(SKIP_2) | instid1(VALU_DEP_1)
	v_rcp_f64_e32 v[90:91], v[86:87]
	s_waitcnt_depctr 0xfff
	v_fma_f64 v[92:93], -v[86:87], v[90:91], 1.0
	v_fma_f64 v[90:91], v[90:91], v[92:93], v[90:91]
	s_delay_alu instid0(VALU_DEP_1) | instskip(NEXT) | instid1(VALU_DEP_1)
	v_fma_f64 v[92:93], -v[86:87], v[90:91], 1.0
	v_fma_f64 v[90:91], v[90:91], v[92:93], v[90:91]
	v_div_scale_f64 v[92:93], vcc_lo, 1.0, v[84:85], 1.0
	s_delay_alu instid0(VALU_DEP_1) | instskip(NEXT) | instid1(VALU_DEP_1)
	v_mul_f64 v[94:95], v[92:93], v[90:91]
	v_fma_f64 v[86:87], -v[86:87], v[94:95], v[92:93]
	s_delay_alu instid0(VALU_DEP_1) | instskip(NEXT) | instid1(VALU_DEP_1)
	v_div_fmas_f64 v[86:87], v[86:87], v[90:91], v[94:95]
	v_div_fixup_f64 v[90:91], v[86:87], v[84:85], 1.0
                                        ; implicit-def: $vgpr84_vgpr85
	s_delay_alu instid0(VALU_DEP_1)
	v_mul_f64 v[92:93], v[88:89], v[90:91]
	v_xor_b32_e32 v91, 0x80000000, v91
.LBB41_5:
	s_and_not1_saveexec_b32 s4, s4
	s_cbranch_execz .LBB41_7
; %bb.6:
	v_div_scale_f64 v[88:89], null, v[84:85], v[84:85], v[86:87]
	v_div_scale_f64 v[94:95], vcc_lo, v[86:87], v[84:85], v[86:87]
	s_delay_alu instid0(VALU_DEP_2) | instskip(SKIP_2) | instid1(VALU_DEP_1)
	v_rcp_f64_e32 v[90:91], v[88:89]
	s_waitcnt_depctr 0xfff
	v_fma_f64 v[92:93], -v[88:89], v[90:91], 1.0
	v_fma_f64 v[90:91], v[90:91], v[92:93], v[90:91]
	s_delay_alu instid0(VALU_DEP_1) | instskip(NEXT) | instid1(VALU_DEP_1)
	v_fma_f64 v[92:93], -v[88:89], v[90:91], 1.0
	v_fma_f64 v[90:91], v[90:91], v[92:93], v[90:91]
	s_delay_alu instid0(VALU_DEP_1) | instskip(NEXT) | instid1(VALU_DEP_1)
	v_mul_f64 v[92:93], v[94:95], v[90:91]
	v_fma_f64 v[88:89], -v[88:89], v[92:93], v[94:95]
	s_delay_alu instid0(VALU_DEP_1) | instskip(NEXT) | instid1(VALU_DEP_1)
	v_div_fmas_f64 v[88:89], v[88:89], v[90:91], v[92:93]
	v_div_fixup_f64 v[88:89], v[88:89], v[84:85], v[86:87]
	s_delay_alu instid0(VALU_DEP_1) | instskip(NEXT) | instid1(VALU_DEP_1)
	v_fma_f64 v[84:85], v[86:87], v[88:89], v[84:85]
	v_div_scale_f64 v[86:87], null, v[84:85], v[84:85], 1.0
	s_delay_alu instid0(VALU_DEP_1) | instskip(SKIP_2) | instid1(VALU_DEP_1)
	v_rcp_f64_e32 v[90:91], v[86:87]
	s_waitcnt_depctr 0xfff
	v_fma_f64 v[92:93], -v[86:87], v[90:91], 1.0
	v_fma_f64 v[90:91], v[90:91], v[92:93], v[90:91]
	s_delay_alu instid0(VALU_DEP_1) | instskip(NEXT) | instid1(VALU_DEP_1)
	v_fma_f64 v[92:93], -v[86:87], v[90:91], 1.0
	v_fma_f64 v[90:91], v[90:91], v[92:93], v[90:91]
	v_div_scale_f64 v[92:93], vcc_lo, 1.0, v[84:85], 1.0
	s_delay_alu instid0(VALU_DEP_1) | instskip(NEXT) | instid1(VALU_DEP_1)
	v_mul_f64 v[94:95], v[92:93], v[90:91]
	v_fma_f64 v[86:87], -v[86:87], v[94:95], v[92:93]
	s_delay_alu instid0(VALU_DEP_1) | instskip(NEXT) | instid1(VALU_DEP_1)
	v_div_fmas_f64 v[86:87], v[86:87], v[90:91], v[94:95]
	v_div_fixup_f64 v[92:93], v[86:87], v[84:85], 1.0
	s_delay_alu instid0(VALU_DEP_1)
	v_mul_f64 v[90:91], v[88:89], -v[92:93]
.LBB41_7:
	s_or_b32 exec_lo, exec_lo, s4
	ds_store_2addr_b64 v215, v[92:93], v[90:91] offset1:1
.LBB41_8:
	s_or_b32 exec_lo, exec_lo, s5
	s_waitcnt vmcnt(0) lgkmcnt(0)
	s_barrier
	buffer_gl0_inv
	ds_load_2addr_b64 v[84:87], v215 offset1:1
	s_and_saveexec_b32 s4, s3
	s_cbranch_execz .LBB41_10
; %bb.9:
	s_waitcnt lgkmcnt(0)
	v_mul_f64 v[88:89], v[84:85], v[82:83]
	v_mul_f64 v[104:105], v[86:87], v[82:83]
	s_delay_alu instid0(VALU_DEP_2)
	v_fma_f64 v[82:83], v[86:87], v[80:81], v[88:89]
	ds_load_2addr_b64 v[88:91], v216 offset0:2 offset1:3
	ds_load_2addr_b64 v[92:95], v216 offset0:4 offset1:5
	;; [unrolled: 1-line block ×4, first 2 shown]
	v_fma_f64 v[80:81], v[84:85], v[80:81], -v[104:105]
	ds_load_2addr_b64 v[104:107], v216 offset0:10 offset1:11
	ds_load_2addr_b64 v[108:111], v216 offset0:12 offset1:13
	;; [unrolled: 1-line block ×6, first 2 shown]
	s_waitcnt lgkmcnt(9)
	v_mul_f64 v[128:129], v[90:91], v[82:83]
	v_mul_f64 v[130:131], v[88:89], v[82:83]
	s_waitcnt lgkmcnt(8)
	v_mul_f64 v[132:133], v[94:95], v[82:83]
	v_mul_f64 v[134:135], v[92:93], v[82:83]
	;; [unrolled: 3-line block ×4, first 2 shown]
	v_mul_f64 v[140:141], v[102:103], v[82:83]
	v_mul_f64 v[142:143], v[100:101], v[82:83]
	s_waitcnt lgkmcnt(4)
	v_mul_f64 v[148:149], v[110:111], v[82:83]
	v_mul_f64 v[150:151], v[108:109], v[82:83]
	s_waitcnt lgkmcnt(3)
	v_mul_f64 v[152:153], v[114:115], v[82:83]
	v_mul_f64 v[154:155], v[112:113], v[82:83]
	s_waitcnt lgkmcnt(2)
	v_mul_f64 v[156:157], v[118:119], v[82:83]
	v_mul_f64 v[158:159], v[116:117], v[82:83]
	s_waitcnt lgkmcnt(1)
	v_mul_f64 v[160:161], v[122:123], v[82:83]
	v_mul_f64 v[162:163], v[120:121], v[82:83]
	s_waitcnt lgkmcnt(0)
	v_mul_f64 v[164:165], v[126:127], v[82:83]
	v_mul_f64 v[166:167], v[124:125], v[82:83]
	v_fma_f64 v[128:129], v[88:89], v[80:81], -v[128:129]
	v_fma_f64 v[130:131], v[90:91], v[80:81], v[130:131]
	ds_load_2addr_b64 v[88:91], v216 offset0:22 offset1:23
	v_fma_f64 v[132:133], v[92:93], v[80:81], -v[132:133]
	v_fma_f64 v[134:135], v[94:95], v[80:81], v[134:135]
	ds_load_2addr_b64 v[92:95], v216 offset0:24 offset1:25
	v_fma_f64 v[136:137], v[96:97], v[80:81], -v[136:137]
	v_fma_f64 v[138:139], v[98:99], v[80:81], v[138:139]
	v_fma_f64 v[104:105], v[104:105], v[80:81], -v[144:145]
	v_fma_f64 v[106:107], v[106:107], v[80:81], v[146:147]
	ds_load_2addr_b64 v[96:99], v216 offset0:26 offset1:27
	v_fma_f64 v[140:141], v[100:101], v[80:81], -v[140:141]
	v_fma_f64 v[142:143], v[102:103], v[80:81], v[142:143]
	ds_load_2addr_b64 v[100:103], v216 offset0:28 offset1:29
	v_fma_f64 v[108:109], v[108:109], v[80:81], -v[148:149]
	v_fma_f64 v[110:111], v[110:111], v[80:81], v[150:151]
	v_fma_f64 v[112:113], v[112:113], v[80:81], -v[152:153]
	v_fma_f64 v[114:115], v[114:115], v[80:81], v[154:155]
	;; [unrolled: 2-line block ×4, first 2 shown]
	s_waitcnt lgkmcnt(3)
	v_mul_f64 v[144:145], v[90:91], v[82:83]
	v_mul_f64 v[146:147], v[88:89], v[82:83]
	v_fma_f64 v[124:125], v[124:125], v[80:81], -v[164:165]
	s_waitcnt lgkmcnt(2)
	v_mul_f64 v[148:149], v[94:95], v[82:83]
	v_mul_f64 v[150:151], v[92:93], v[82:83]
	v_fma_f64 v[126:127], v[126:127], v[80:81], v[166:167]
	s_waitcnt lgkmcnt(1)
	v_mul_f64 v[152:153], v[98:99], v[82:83]
	v_mul_f64 v[154:155], v[96:97], v[82:83]
	s_waitcnt lgkmcnt(0)
	v_mul_f64 v[156:157], v[102:103], v[82:83]
	v_mul_f64 v[158:159], v[100:101], v[82:83]
	v_add_f64 v[76:77], v[76:77], -v[128:129]
	v_add_f64 v[78:79], v[78:79], -v[130:131]
	;; [unrolled: 1-line block ×18, first 2 shown]
	v_fma_f64 v[144:145], v[88:89], v[80:81], -v[144:145]
	v_fma_f64 v[146:147], v[90:91], v[80:81], v[146:147]
	ds_load_2addr_b64 v[88:91], v216 offset0:30 offset1:31
	v_fma_f64 v[148:149], v[92:93], v[80:81], -v[148:149]
	v_fma_f64 v[150:151], v[94:95], v[80:81], v[150:151]
	ds_load_2addr_b64 v[92:95], v216 offset0:32 offset1:33
	v_add_f64 v[40:41], v[40:41], -v[124:125]
	v_add_f64 v[42:43], v[42:43], -v[126:127]
	v_fma_f64 v[96:97], v[96:97], v[80:81], -v[152:153]
	v_fma_f64 v[98:99], v[98:99], v[80:81], v[154:155]
	v_fma_f64 v[100:101], v[100:101], v[80:81], -v[156:157]
	v_fma_f64 v[102:103], v[102:103], v[80:81], v[158:159]
	s_waitcnt lgkmcnt(1)
	v_mul_f64 v[152:153], v[90:91], v[82:83]
	v_mul_f64 v[154:155], v[88:89], v[82:83]
	s_waitcnt lgkmcnt(0)
	v_mul_f64 v[156:157], v[94:95], v[82:83]
	v_mul_f64 v[158:159], v[92:93], v[82:83]
	v_add_f64 v[36:37], v[36:37], -v[144:145]
	v_add_f64 v[38:39], v[38:39], -v[146:147]
	v_add_f64 v[32:33], v[32:33], -v[148:149]
	v_add_f64 v[34:35], v[34:35], -v[150:151]
	v_add_f64 v[28:29], v[28:29], -v[96:97]
	v_add_f64 v[30:31], v[30:31], -v[98:99]
	v_add_f64 v[24:25], v[24:25], -v[100:101]
	v_add_f64 v[26:27], v[26:27], -v[102:103]
	v_fma_f64 v[152:153], v[88:89], v[80:81], -v[152:153]
	v_fma_f64 v[154:155], v[90:91], v[80:81], v[154:155]
	ds_load_2addr_b64 v[88:91], v216 offset0:34 offset1:35
	v_fma_f64 v[156:157], v[92:93], v[80:81], -v[156:157]
	v_fma_f64 v[158:159], v[94:95], v[80:81], v[158:159]
	ds_load_2addr_b64 v[92:95], v216 offset0:36 offset1:37
	s_waitcnt lgkmcnt(1)
	v_mul_f64 v[160:161], v[90:91], v[82:83]
	v_add_f64 v[20:21], v[20:21], -v[152:153]
	v_add_f64 v[22:23], v[22:23], -v[154:155]
	;; [unrolled: 1-line block ×4, first 2 shown]
	v_fma_f64 v[160:161], v[88:89], v[80:81], -v[160:161]
	v_mul_f64 v[88:89], v[88:89], v[82:83]
	s_delay_alu instid0(VALU_DEP_2) | instskip(NEXT) | instid1(VALU_DEP_2)
	v_add_f64 v[12:13], v[12:13], -v[160:161]
	v_fma_f64 v[162:163], v[90:91], v[80:81], v[88:89]
	s_waitcnt lgkmcnt(0)
	v_mul_f64 v[88:89], v[94:95], v[82:83]
	s_delay_alu instid0(VALU_DEP_2) | instskip(NEXT) | instid1(VALU_DEP_2)
	v_add_f64 v[14:15], v[14:15], -v[162:163]
	v_fma_f64 v[164:165], v[92:93], v[80:81], -v[88:89]
	v_mul_f64 v[88:89], v[92:93], v[82:83]
	s_delay_alu instid0(VALU_DEP_2) | instskip(NEXT) | instid1(VALU_DEP_2)
	v_add_f64 v[8:9], v[8:9], -v[164:165]
	v_fma_f64 v[166:167], v[94:95], v[80:81], v[88:89]
	ds_load_2addr_b64 v[88:91], v216 offset0:38 offset1:39
	ds_load_2addr_b64 v[92:95], v216 offset0:40 offset1:41
	s_waitcnt lgkmcnt(1)
	v_mul_f64 v[212:213], v[90:91], v[82:83]
	v_add_f64 v[10:11], v[10:11], -v[166:167]
	s_delay_alu instid0(VALU_DEP_2) | instskip(SKIP_1) | instid1(VALU_DEP_2)
	v_fma_f64 v[212:213], v[88:89], v[80:81], -v[212:213]
	v_mul_f64 v[88:89], v[88:89], v[82:83]
	v_add_f64 v[4:5], v[4:5], -v[212:213]
	s_delay_alu instid0(VALU_DEP_2) | instskip(SKIP_2) | instid1(VALU_DEP_2)
	v_fma_f64 v[88:89], v[90:91], v[80:81], v[88:89]
	s_waitcnt lgkmcnt(0)
	v_mul_f64 v[90:91], v[94:95], v[82:83]
	v_add_f64 v[6:7], v[6:7], -v[88:89]
	s_delay_alu instid0(VALU_DEP_2) | instskip(SKIP_1) | instid1(VALU_DEP_2)
	v_fma_f64 v[90:91], v[92:93], v[80:81], -v[90:91]
	v_mul_f64 v[92:93], v[92:93], v[82:83]
	v_add_f64 v[0:1], v[0:1], -v[90:91]
	s_delay_alu instid0(VALU_DEP_2) | instskip(NEXT) | instid1(VALU_DEP_1)
	v_fma_f64 v[92:93], v[94:95], v[80:81], v[92:93]
	v_add_f64 v[2:3], v[2:3], -v[92:93]
.LBB41_10:
	s_or_b32 exec_lo, exec_lo, s4
	s_delay_alu instid0(SALU_CYCLE_1)
	s_mov_b32 s4, exec_lo
	s_waitcnt lgkmcnt(0)
	s_barrier
	buffer_gl0_inv
	v_cmpx_eq_u32_e32 1, v214
	s_cbranch_execz .LBB41_17
; %bb.11:
	ds_store_2addr_b64 v215, v[76:77], v[78:79] offset1:1
	ds_store_2addr_b64 v216, v[72:73], v[74:75] offset0:4 offset1:5
	ds_store_2addr_b64 v216, v[68:69], v[70:71] offset0:6 offset1:7
	;; [unrolled: 1-line block ×19, first 2 shown]
	ds_load_2addr_b64 v[88:91], v215 offset1:1
	s_waitcnt lgkmcnt(0)
	v_cmp_neq_f64_e32 vcc_lo, 0, v[88:89]
	v_cmp_neq_f64_e64 s3, 0, v[90:91]
	s_delay_alu instid0(VALU_DEP_1) | instskip(NEXT) | instid1(SALU_CYCLE_1)
	s_or_b32 s3, vcc_lo, s3
	s_and_b32 exec_lo, exec_lo, s3
	s_cbranch_execz .LBB41_17
; %bb.12:
	v_cmp_gt_f64_e32 vcc_lo, 0, v[88:89]
	v_cmp_gt_f64_e64 s3, 0, v[90:91]
	v_xor_b32_e32 v92, 0x80000000, v89
	v_xor_b32_e32 v94, 0x80000000, v91
                                        ; implicit-def: $vgpr96_vgpr97
	s_delay_alu instid0(VALU_DEP_2) | instskip(NEXT) | instid1(VALU_DEP_2)
	v_cndmask_b32_e32 v93, v89, v92, vcc_lo
	v_cndmask_b32_e64 v95, v91, v94, s3
	v_cndmask_b32_e32 v92, v88, v88, vcc_lo
	v_cndmask_b32_e64 v94, v90, v90, s3
	s_mov_b32 s3, exec_lo
	s_delay_alu instid0(VALU_DEP_1)
	v_cmpx_ngt_f64_e32 v[92:93], v[94:95]
	s_xor_b32 s3, exec_lo, s3
                                        ; implicit-def: $vgpr92_vgpr93_vgpr94_vgpr95
	s_cbranch_execz .LBB41_14
; %bb.13:
	v_div_scale_f64 v[92:93], null, v[90:91], v[90:91], v[88:89]
	v_div_scale_f64 v[98:99], vcc_lo, v[88:89], v[90:91], v[88:89]
	s_delay_alu instid0(VALU_DEP_2) | instskip(SKIP_2) | instid1(VALU_DEP_1)
	v_rcp_f64_e32 v[94:95], v[92:93]
	s_waitcnt_depctr 0xfff
	v_fma_f64 v[96:97], -v[92:93], v[94:95], 1.0
	v_fma_f64 v[94:95], v[94:95], v[96:97], v[94:95]
	s_delay_alu instid0(VALU_DEP_1) | instskip(NEXT) | instid1(VALU_DEP_1)
	v_fma_f64 v[96:97], -v[92:93], v[94:95], 1.0
	v_fma_f64 v[94:95], v[94:95], v[96:97], v[94:95]
	s_delay_alu instid0(VALU_DEP_1) | instskip(NEXT) | instid1(VALU_DEP_1)
	v_mul_f64 v[96:97], v[98:99], v[94:95]
	v_fma_f64 v[92:93], -v[92:93], v[96:97], v[98:99]
	s_delay_alu instid0(VALU_DEP_1) | instskip(NEXT) | instid1(VALU_DEP_1)
	v_div_fmas_f64 v[92:93], v[92:93], v[94:95], v[96:97]
	v_div_fixup_f64 v[92:93], v[92:93], v[90:91], v[88:89]
	s_delay_alu instid0(VALU_DEP_1) | instskip(NEXT) | instid1(VALU_DEP_1)
	v_fma_f64 v[88:89], v[88:89], v[92:93], v[90:91]
	v_div_scale_f64 v[90:91], null, v[88:89], v[88:89], 1.0
	s_delay_alu instid0(VALU_DEP_1) | instskip(SKIP_2) | instid1(VALU_DEP_1)
	v_rcp_f64_e32 v[94:95], v[90:91]
	s_waitcnt_depctr 0xfff
	v_fma_f64 v[96:97], -v[90:91], v[94:95], 1.0
	v_fma_f64 v[94:95], v[94:95], v[96:97], v[94:95]
	s_delay_alu instid0(VALU_DEP_1) | instskip(NEXT) | instid1(VALU_DEP_1)
	v_fma_f64 v[96:97], -v[90:91], v[94:95], 1.0
	v_fma_f64 v[94:95], v[94:95], v[96:97], v[94:95]
	v_div_scale_f64 v[96:97], vcc_lo, 1.0, v[88:89], 1.0
	s_delay_alu instid0(VALU_DEP_1) | instskip(NEXT) | instid1(VALU_DEP_1)
	v_mul_f64 v[98:99], v[96:97], v[94:95]
	v_fma_f64 v[90:91], -v[90:91], v[98:99], v[96:97]
	s_delay_alu instid0(VALU_DEP_1) | instskip(NEXT) | instid1(VALU_DEP_1)
	v_div_fmas_f64 v[90:91], v[90:91], v[94:95], v[98:99]
	v_div_fixup_f64 v[94:95], v[90:91], v[88:89], 1.0
                                        ; implicit-def: $vgpr88_vgpr89
	s_delay_alu instid0(VALU_DEP_1)
	v_mul_f64 v[96:97], v[92:93], v[94:95]
	v_xor_b32_e32 v95, 0x80000000, v95
.LBB41_14:
	s_and_not1_saveexec_b32 s3, s3
	s_cbranch_execz .LBB41_16
; %bb.15:
	v_div_scale_f64 v[92:93], null, v[88:89], v[88:89], v[90:91]
	v_div_scale_f64 v[98:99], vcc_lo, v[90:91], v[88:89], v[90:91]
	s_delay_alu instid0(VALU_DEP_2) | instskip(SKIP_2) | instid1(VALU_DEP_1)
	v_rcp_f64_e32 v[94:95], v[92:93]
	s_waitcnt_depctr 0xfff
	v_fma_f64 v[96:97], -v[92:93], v[94:95], 1.0
	v_fma_f64 v[94:95], v[94:95], v[96:97], v[94:95]
	s_delay_alu instid0(VALU_DEP_1) | instskip(NEXT) | instid1(VALU_DEP_1)
	v_fma_f64 v[96:97], -v[92:93], v[94:95], 1.0
	v_fma_f64 v[94:95], v[94:95], v[96:97], v[94:95]
	s_delay_alu instid0(VALU_DEP_1) | instskip(NEXT) | instid1(VALU_DEP_1)
	v_mul_f64 v[96:97], v[98:99], v[94:95]
	v_fma_f64 v[92:93], -v[92:93], v[96:97], v[98:99]
	s_delay_alu instid0(VALU_DEP_1) | instskip(NEXT) | instid1(VALU_DEP_1)
	v_div_fmas_f64 v[92:93], v[92:93], v[94:95], v[96:97]
	v_div_fixup_f64 v[92:93], v[92:93], v[88:89], v[90:91]
	s_delay_alu instid0(VALU_DEP_1) | instskip(NEXT) | instid1(VALU_DEP_1)
	v_fma_f64 v[88:89], v[90:91], v[92:93], v[88:89]
	v_div_scale_f64 v[90:91], null, v[88:89], v[88:89], 1.0
	s_delay_alu instid0(VALU_DEP_1) | instskip(SKIP_2) | instid1(VALU_DEP_1)
	v_rcp_f64_e32 v[94:95], v[90:91]
	s_waitcnt_depctr 0xfff
	v_fma_f64 v[96:97], -v[90:91], v[94:95], 1.0
	v_fma_f64 v[94:95], v[94:95], v[96:97], v[94:95]
	s_delay_alu instid0(VALU_DEP_1) | instskip(NEXT) | instid1(VALU_DEP_1)
	v_fma_f64 v[96:97], -v[90:91], v[94:95], 1.0
	v_fma_f64 v[94:95], v[94:95], v[96:97], v[94:95]
	v_div_scale_f64 v[96:97], vcc_lo, 1.0, v[88:89], 1.0
	s_delay_alu instid0(VALU_DEP_1) | instskip(NEXT) | instid1(VALU_DEP_1)
	v_mul_f64 v[98:99], v[96:97], v[94:95]
	v_fma_f64 v[90:91], -v[90:91], v[98:99], v[96:97]
	s_delay_alu instid0(VALU_DEP_1) | instskip(NEXT) | instid1(VALU_DEP_1)
	v_div_fmas_f64 v[90:91], v[90:91], v[94:95], v[98:99]
	v_div_fixup_f64 v[96:97], v[90:91], v[88:89], 1.0
	s_delay_alu instid0(VALU_DEP_1)
	v_mul_f64 v[94:95], v[92:93], -v[96:97]
.LBB41_16:
	s_or_b32 exec_lo, exec_lo, s3
	ds_store_2addr_b64 v215, v[96:97], v[94:95] offset1:1
.LBB41_17:
	s_or_b32 exec_lo, exec_lo, s4
	s_waitcnt lgkmcnt(0)
	s_barrier
	buffer_gl0_inv
	ds_load_2addr_b64 v[88:91], v215 offset1:1
	s_mov_b32 s3, exec_lo
	v_cmpx_lt_u32_e32 1, v214
	s_cbranch_execz .LBB41_19
; %bb.18:
	s_waitcnt lgkmcnt(0)
	v_mul_f64 v[92:93], v[90:91], v[78:79]
	v_mul_f64 v[78:79], v[88:89], v[78:79]
	ds_load_2addr_b64 v[94:97], v216 offset0:4 offset1:5
	ds_load_2addr_b64 v[98:101], v216 offset0:6 offset1:7
	v_fma_f64 v[92:93], v[88:89], v[76:77], -v[92:93]
	v_fma_f64 v[78:79], v[90:91], v[76:77], v[78:79]
	s_waitcnt lgkmcnt(1)
	s_delay_alu instid0(VALU_DEP_1) | instskip(NEXT) | instid1(VALU_DEP_1)
	v_mul_f64 v[76:77], v[96:97], v[78:79]
	v_fma_f64 v[76:77], v[94:95], v[92:93], -v[76:77]
	v_mul_f64 v[94:95], v[94:95], v[78:79]
	s_delay_alu instid0(VALU_DEP_2) | instskip(NEXT) | instid1(VALU_DEP_2)
	v_add_f64 v[72:73], v[72:73], -v[76:77]
	v_fma_f64 v[102:103], v[96:97], v[92:93], v[94:95]
	s_waitcnt lgkmcnt(0)
	v_mul_f64 v[94:95], v[100:101], v[78:79]
	v_dual_mov_b32 v76, v92 :: v_dual_mov_b32 v77, v93
	s_delay_alu instid0(VALU_DEP_3) | instskip(NEXT) | instid1(VALU_DEP_3)
	v_add_f64 v[74:75], v[74:75], -v[102:103]
	v_fma_f64 v[104:105], v[98:99], v[92:93], -v[94:95]
	v_mul_f64 v[94:95], v[98:99], v[78:79]
	s_delay_alu instid0(VALU_DEP_2) | instskip(NEXT) | instid1(VALU_DEP_2)
	v_add_f64 v[68:69], v[68:69], -v[104:105]
	v_fma_f64 v[106:107], v[100:101], v[92:93], v[94:95]
	ds_load_2addr_b64 v[94:97], v216 offset0:8 offset1:9
	ds_load_2addr_b64 v[98:101], v216 offset0:10 offset1:11
	s_waitcnt lgkmcnt(1)
	v_mul_f64 v[108:109], v[96:97], v[78:79]
	v_add_f64 v[70:71], v[70:71], -v[106:107]
	s_delay_alu instid0(VALU_DEP_2) | instskip(SKIP_1) | instid1(VALU_DEP_2)
	v_fma_f64 v[108:109], v[94:95], v[92:93], -v[108:109]
	v_mul_f64 v[94:95], v[94:95], v[78:79]
	v_add_f64 v[64:65], v[64:65], -v[108:109]
	s_delay_alu instid0(VALU_DEP_2) | instskip(SKIP_2) | instid1(VALU_DEP_2)
	v_fma_f64 v[110:111], v[96:97], v[92:93], v[94:95]
	s_waitcnt lgkmcnt(0)
	v_mul_f64 v[94:95], v[100:101], v[78:79]
	v_add_f64 v[66:67], v[66:67], -v[110:111]
	s_delay_alu instid0(VALU_DEP_2) | instskip(SKIP_1) | instid1(VALU_DEP_2)
	v_fma_f64 v[112:113], v[98:99], v[92:93], -v[94:95]
	v_mul_f64 v[94:95], v[98:99], v[78:79]
	v_add_f64 v[60:61], v[60:61], -v[112:113]
	s_delay_alu instid0(VALU_DEP_2)
	v_fma_f64 v[114:115], v[100:101], v[92:93], v[94:95]
	ds_load_2addr_b64 v[94:97], v216 offset0:12 offset1:13
	ds_load_2addr_b64 v[98:101], v216 offset0:14 offset1:15
	s_waitcnt lgkmcnt(1)
	v_mul_f64 v[116:117], v[96:97], v[78:79]
	v_add_f64 v[62:63], v[62:63], -v[114:115]
	s_delay_alu instid0(VALU_DEP_2) | instskip(SKIP_1) | instid1(VALU_DEP_2)
	v_fma_f64 v[116:117], v[94:95], v[92:93], -v[116:117]
	v_mul_f64 v[94:95], v[94:95], v[78:79]
	v_add_f64 v[56:57], v[56:57], -v[116:117]
	s_delay_alu instid0(VALU_DEP_2) | instskip(SKIP_2) | instid1(VALU_DEP_2)
	v_fma_f64 v[118:119], v[96:97], v[92:93], v[94:95]
	s_waitcnt lgkmcnt(0)
	v_mul_f64 v[94:95], v[100:101], v[78:79]
	v_add_f64 v[58:59], v[58:59], -v[118:119]
	s_delay_alu instid0(VALU_DEP_2) | instskip(SKIP_1) | instid1(VALU_DEP_2)
	v_fma_f64 v[120:121], v[98:99], v[92:93], -v[94:95]
	v_mul_f64 v[94:95], v[98:99], v[78:79]
	v_add_f64 v[52:53], v[52:53], -v[120:121]
	s_delay_alu instid0(VALU_DEP_2)
	;; [unrolled: 20-line block ×7, first 2 shown]
	v_fma_f64 v[162:163], v[100:101], v[92:93], v[94:95]
	ds_load_2addr_b64 v[94:97], v216 offset0:36 offset1:37
	ds_load_2addr_b64 v[98:101], v216 offset0:38 offset1:39
	s_waitcnt lgkmcnt(1)
	v_mul_f64 v[164:165], v[96:97], v[78:79]
	v_add_f64 v[14:15], v[14:15], -v[162:163]
	s_delay_alu instid0(VALU_DEP_2) | instskip(SKIP_1) | instid1(VALU_DEP_2)
	v_fma_f64 v[164:165], v[94:95], v[92:93], -v[164:165]
	v_mul_f64 v[94:95], v[94:95], v[78:79]
	v_add_f64 v[8:9], v[8:9], -v[164:165]
	s_delay_alu instid0(VALU_DEP_2) | instskip(SKIP_2) | instid1(VALU_DEP_2)
	v_fma_f64 v[166:167], v[96:97], v[92:93], v[94:95]
	s_waitcnt lgkmcnt(0)
	v_mul_f64 v[94:95], v[100:101], v[78:79]
	v_add_f64 v[10:11], v[10:11], -v[166:167]
	s_delay_alu instid0(VALU_DEP_2) | instskip(SKIP_1) | instid1(VALU_DEP_2)
	v_fma_f64 v[212:213], v[98:99], v[92:93], -v[94:95]
	v_mul_f64 v[94:95], v[98:99], v[78:79]
	v_add_f64 v[4:5], v[4:5], -v[212:213]
	s_delay_alu instid0(VALU_DEP_2) | instskip(SKIP_4) | instid1(VALU_DEP_2)
	v_fma_f64 v[98:99], v[100:101], v[92:93], v[94:95]
	ds_load_2addr_b64 v[94:97], v216 offset0:40 offset1:41
	s_waitcnt lgkmcnt(0)
	v_mul_f64 v[100:101], v[96:97], v[78:79]
	v_add_f64 v[6:7], v[6:7], -v[98:99]
	v_fma_f64 v[100:101], v[94:95], v[92:93], -v[100:101]
	v_mul_f64 v[94:95], v[94:95], v[78:79]
	s_delay_alu instid0(VALU_DEP_2) | instskip(NEXT) | instid1(VALU_DEP_2)
	v_add_f64 v[0:1], v[0:1], -v[100:101]
	v_fma_f64 v[94:95], v[96:97], v[92:93], v[94:95]
	s_delay_alu instid0(VALU_DEP_1)
	v_add_f64 v[2:3], v[2:3], -v[94:95]
.LBB41_19:
	s_or_b32 exec_lo, exec_lo, s3
	s_delay_alu instid0(SALU_CYCLE_1)
	s_mov_b32 s4, exec_lo
	s_waitcnt lgkmcnt(0)
	s_barrier
	buffer_gl0_inv
	v_cmpx_eq_u32_e32 2, v214
	s_cbranch_execz .LBB41_26
; %bb.20:
	ds_store_2addr_b64 v215, v[72:73], v[74:75] offset1:1
	ds_store_2addr_b64 v216, v[68:69], v[70:71] offset0:6 offset1:7
	ds_store_2addr_b64 v216, v[64:65], v[66:67] offset0:8 offset1:9
	;; [unrolled: 1-line block ×18, first 2 shown]
	ds_load_2addr_b64 v[92:95], v215 offset1:1
	s_waitcnt lgkmcnt(0)
	v_cmp_neq_f64_e32 vcc_lo, 0, v[92:93]
	v_cmp_neq_f64_e64 s3, 0, v[94:95]
	s_delay_alu instid0(VALU_DEP_1) | instskip(NEXT) | instid1(SALU_CYCLE_1)
	s_or_b32 s3, vcc_lo, s3
	s_and_b32 exec_lo, exec_lo, s3
	s_cbranch_execz .LBB41_26
; %bb.21:
	v_cmp_gt_f64_e32 vcc_lo, 0, v[92:93]
	v_cmp_gt_f64_e64 s3, 0, v[94:95]
	v_xor_b32_e32 v96, 0x80000000, v93
	v_xor_b32_e32 v98, 0x80000000, v95
                                        ; implicit-def: $vgpr100_vgpr101
	s_delay_alu instid0(VALU_DEP_2) | instskip(NEXT) | instid1(VALU_DEP_2)
	v_cndmask_b32_e32 v97, v93, v96, vcc_lo
	v_cndmask_b32_e64 v99, v95, v98, s3
	v_cndmask_b32_e32 v96, v92, v92, vcc_lo
	v_cndmask_b32_e64 v98, v94, v94, s3
	s_mov_b32 s3, exec_lo
	s_delay_alu instid0(VALU_DEP_1)
	v_cmpx_ngt_f64_e32 v[96:97], v[98:99]
	s_xor_b32 s3, exec_lo, s3
                                        ; implicit-def: $vgpr96_vgpr97_vgpr98_vgpr99
	s_cbranch_execz .LBB41_23
; %bb.22:
	v_div_scale_f64 v[96:97], null, v[94:95], v[94:95], v[92:93]
	v_div_scale_f64 v[102:103], vcc_lo, v[92:93], v[94:95], v[92:93]
	s_delay_alu instid0(VALU_DEP_2) | instskip(SKIP_2) | instid1(VALU_DEP_1)
	v_rcp_f64_e32 v[98:99], v[96:97]
	s_waitcnt_depctr 0xfff
	v_fma_f64 v[100:101], -v[96:97], v[98:99], 1.0
	v_fma_f64 v[98:99], v[98:99], v[100:101], v[98:99]
	s_delay_alu instid0(VALU_DEP_1) | instskip(NEXT) | instid1(VALU_DEP_1)
	v_fma_f64 v[100:101], -v[96:97], v[98:99], 1.0
	v_fma_f64 v[98:99], v[98:99], v[100:101], v[98:99]
	s_delay_alu instid0(VALU_DEP_1) | instskip(NEXT) | instid1(VALU_DEP_1)
	v_mul_f64 v[100:101], v[102:103], v[98:99]
	v_fma_f64 v[96:97], -v[96:97], v[100:101], v[102:103]
	s_delay_alu instid0(VALU_DEP_1) | instskip(NEXT) | instid1(VALU_DEP_1)
	v_div_fmas_f64 v[96:97], v[96:97], v[98:99], v[100:101]
	v_div_fixup_f64 v[96:97], v[96:97], v[94:95], v[92:93]
	s_delay_alu instid0(VALU_DEP_1) | instskip(NEXT) | instid1(VALU_DEP_1)
	v_fma_f64 v[92:93], v[92:93], v[96:97], v[94:95]
	v_div_scale_f64 v[94:95], null, v[92:93], v[92:93], 1.0
	s_delay_alu instid0(VALU_DEP_1) | instskip(SKIP_2) | instid1(VALU_DEP_1)
	v_rcp_f64_e32 v[98:99], v[94:95]
	s_waitcnt_depctr 0xfff
	v_fma_f64 v[100:101], -v[94:95], v[98:99], 1.0
	v_fma_f64 v[98:99], v[98:99], v[100:101], v[98:99]
	s_delay_alu instid0(VALU_DEP_1) | instskip(NEXT) | instid1(VALU_DEP_1)
	v_fma_f64 v[100:101], -v[94:95], v[98:99], 1.0
	v_fma_f64 v[98:99], v[98:99], v[100:101], v[98:99]
	v_div_scale_f64 v[100:101], vcc_lo, 1.0, v[92:93], 1.0
	s_delay_alu instid0(VALU_DEP_1) | instskip(NEXT) | instid1(VALU_DEP_1)
	v_mul_f64 v[102:103], v[100:101], v[98:99]
	v_fma_f64 v[94:95], -v[94:95], v[102:103], v[100:101]
	s_delay_alu instid0(VALU_DEP_1) | instskip(NEXT) | instid1(VALU_DEP_1)
	v_div_fmas_f64 v[94:95], v[94:95], v[98:99], v[102:103]
	v_div_fixup_f64 v[98:99], v[94:95], v[92:93], 1.0
                                        ; implicit-def: $vgpr92_vgpr93
	s_delay_alu instid0(VALU_DEP_1)
	v_mul_f64 v[100:101], v[96:97], v[98:99]
	v_xor_b32_e32 v99, 0x80000000, v99
.LBB41_23:
	s_and_not1_saveexec_b32 s3, s3
	s_cbranch_execz .LBB41_25
; %bb.24:
	v_div_scale_f64 v[96:97], null, v[92:93], v[92:93], v[94:95]
	v_div_scale_f64 v[102:103], vcc_lo, v[94:95], v[92:93], v[94:95]
	s_delay_alu instid0(VALU_DEP_2) | instskip(SKIP_2) | instid1(VALU_DEP_1)
	v_rcp_f64_e32 v[98:99], v[96:97]
	s_waitcnt_depctr 0xfff
	v_fma_f64 v[100:101], -v[96:97], v[98:99], 1.0
	v_fma_f64 v[98:99], v[98:99], v[100:101], v[98:99]
	s_delay_alu instid0(VALU_DEP_1) | instskip(NEXT) | instid1(VALU_DEP_1)
	v_fma_f64 v[100:101], -v[96:97], v[98:99], 1.0
	v_fma_f64 v[98:99], v[98:99], v[100:101], v[98:99]
	s_delay_alu instid0(VALU_DEP_1) | instskip(NEXT) | instid1(VALU_DEP_1)
	v_mul_f64 v[100:101], v[102:103], v[98:99]
	v_fma_f64 v[96:97], -v[96:97], v[100:101], v[102:103]
	s_delay_alu instid0(VALU_DEP_1) | instskip(NEXT) | instid1(VALU_DEP_1)
	v_div_fmas_f64 v[96:97], v[96:97], v[98:99], v[100:101]
	v_div_fixup_f64 v[96:97], v[96:97], v[92:93], v[94:95]
	s_delay_alu instid0(VALU_DEP_1) | instskip(NEXT) | instid1(VALU_DEP_1)
	v_fma_f64 v[92:93], v[94:95], v[96:97], v[92:93]
	v_div_scale_f64 v[94:95], null, v[92:93], v[92:93], 1.0
	s_delay_alu instid0(VALU_DEP_1) | instskip(SKIP_2) | instid1(VALU_DEP_1)
	v_rcp_f64_e32 v[98:99], v[94:95]
	s_waitcnt_depctr 0xfff
	v_fma_f64 v[100:101], -v[94:95], v[98:99], 1.0
	v_fma_f64 v[98:99], v[98:99], v[100:101], v[98:99]
	s_delay_alu instid0(VALU_DEP_1) | instskip(NEXT) | instid1(VALU_DEP_1)
	v_fma_f64 v[100:101], -v[94:95], v[98:99], 1.0
	v_fma_f64 v[98:99], v[98:99], v[100:101], v[98:99]
	v_div_scale_f64 v[100:101], vcc_lo, 1.0, v[92:93], 1.0
	s_delay_alu instid0(VALU_DEP_1) | instskip(NEXT) | instid1(VALU_DEP_1)
	v_mul_f64 v[102:103], v[100:101], v[98:99]
	v_fma_f64 v[94:95], -v[94:95], v[102:103], v[100:101]
	s_delay_alu instid0(VALU_DEP_1) | instskip(NEXT) | instid1(VALU_DEP_1)
	v_div_fmas_f64 v[94:95], v[94:95], v[98:99], v[102:103]
	v_div_fixup_f64 v[100:101], v[94:95], v[92:93], 1.0
	s_delay_alu instid0(VALU_DEP_1)
	v_mul_f64 v[98:99], v[96:97], -v[100:101]
.LBB41_25:
	s_or_b32 exec_lo, exec_lo, s3
	ds_store_2addr_b64 v215, v[100:101], v[98:99] offset1:1
.LBB41_26:
	s_or_b32 exec_lo, exec_lo, s4
	s_waitcnt lgkmcnt(0)
	s_barrier
	buffer_gl0_inv
	ds_load_2addr_b64 v[92:95], v215 offset1:1
	s_mov_b32 s3, exec_lo
	v_cmpx_lt_u32_e32 2, v214
	s_cbranch_execz .LBB41_28
; %bb.27:
	s_waitcnt lgkmcnt(0)
	v_mul_f64 v[96:97], v[94:95], v[74:75]
	v_mul_f64 v[74:75], v[92:93], v[74:75]
	ds_load_2addr_b64 v[98:101], v216 offset0:6 offset1:7
	ds_load_2addr_b64 v[102:105], v216 offset0:8 offset1:9
	v_fma_f64 v[96:97], v[92:93], v[72:73], -v[96:97]
	v_fma_f64 v[74:75], v[94:95], v[72:73], v[74:75]
	s_waitcnt lgkmcnt(1)
	s_delay_alu instid0(VALU_DEP_1) | instskip(NEXT) | instid1(VALU_DEP_1)
	v_mul_f64 v[72:73], v[100:101], v[74:75]
	v_fma_f64 v[72:73], v[98:99], v[96:97], -v[72:73]
	v_mul_f64 v[98:99], v[98:99], v[74:75]
	s_delay_alu instid0(VALU_DEP_2) | instskip(NEXT) | instid1(VALU_DEP_2)
	v_add_f64 v[68:69], v[68:69], -v[72:73]
	v_fma_f64 v[106:107], v[100:101], v[96:97], v[98:99]
	s_waitcnt lgkmcnt(0)
	v_mul_f64 v[98:99], v[104:105], v[74:75]
	v_dual_mov_b32 v72, v96 :: v_dual_mov_b32 v73, v97
	s_delay_alu instid0(VALU_DEP_3) | instskip(NEXT) | instid1(VALU_DEP_3)
	v_add_f64 v[70:71], v[70:71], -v[106:107]
	v_fma_f64 v[108:109], v[102:103], v[96:97], -v[98:99]
	v_mul_f64 v[98:99], v[102:103], v[74:75]
	s_delay_alu instid0(VALU_DEP_2) | instskip(NEXT) | instid1(VALU_DEP_2)
	v_add_f64 v[64:65], v[64:65], -v[108:109]
	v_fma_f64 v[110:111], v[104:105], v[96:97], v[98:99]
	ds_load_2addr_b64 v[98:101], v216 offset0:10 offset1:11
	ds_load_2addr_b64 v[102:105], v216 offset0:12 offset1:13
	s_waitcnt lgkmcnt(1)
	v_mul_f64 v[112:113], v[100:101], v[74:75]
	v_add_f64 v[66:67], v[66:67], -v[110:111]
	s_delay_alu instid0(VALU_DEP_2) | instskip(SKIP_1) | instid1(VALU_DEP_2)
	v_fma_f64 v[112:113], v[98:99], v[96:97], -v[112:113]
	v_mul_f64 v[98:99], v[98:99], v[74:75]
	v_add_f64 v[60:61], v[60:61], -v[112:113]
	s_delay_alu instid0(VALU_DEP_2) | instskip(SKIP_2) | instid1(VALU_DEP_2)
	v_fma_f64 v[114:115], v[100:101], v[96:97], v[98:99]
	s_waitcnt lgkmcnt(0)
	v_mul_f64 v[98:99], v[104:105], v[74:75]
	v_add_f64 v[62:63], v[62:63], -v[114:115]
	s_delay_alu instid0(VALU_DEP_2) | instskip(SKIP_1) | instid1(VALU_DEP_2)
	v_fma_f64 v[116:117], v[102:103], v[96:97], -v[98:99]
	v_mul_f64 v[98:99], v[102:103], v[74:75]
	v_add_f64 v[56:57], v[56:57], -v[116:117]
	s_delay_alu instid0(VALU_DEP_2)
	v_fma_f64 v[118:119], v[104:105], v[96:97], v[98:99]
	ds_load_2addr_b64 v[98:101], v216 offset0:14 offset1:15
	ds_load_2addr_b64 v[102:105], v216 offset0:16 offset1:17
	s_waitcnt lgkmcnt(1)
	v_mul_f64 v[120:121], v[100:101], v[74:75]
	v_add_f64 v[58:59], v[58:59], -v[118:119]
	s_delay_alu instid0(VALU_DEP_2) | instskip(SKIP_1) | instid1(VALU_DEP_2)
	v_fma_f64 v[120:121], v[98:99], v[96:97], -v[120:121]
	v_mul_f64 v[98:99], v[98:99], v[74:75]
	v_add_f64 v[52:53], v[52:53], -v[120:121]
	s_delay_alu instid0(VALU_DEP_2) | instskip(SKIP_2) | instid1(VALU_DEP_2)
	v_fma_f64 v[122:123], v[100:101], v[96:97], v[98:99]
	s_waitcnt lgkmcnt(0)
	v_mul_f64 v[98:99], v[104:105], v[74:75]
	v_add_f64 v[54:55], v[54:55], -v[122:123]
	s_delay_alu instid0(VALU_DEP_2) | instskip(SKIP_1) | instid1(VALU_DEP_2)
	v_fma_f64 v[124:125], v[102:103], v[96:97], -v[98:99]
	v_mul_f64 v[98:99], v[102:103], v[74:75]
	v_add_f64 v[48:49], v[48:49], -v[124:125]
	s_delay_alu instid0(VALU_DEP_2)
	;; [unrolled: 20-line block ×7, first 2 shown]
	v_fma_f64 v[166:167], v[104:105], v[96:97], v[98:99]
	ds_load_2addr_b64 v[98:101], v216 offset0:38 offset1:39
	ds_load_2addr_b64 v[102:105], v216 offset0:40 offset1:41
	s_waitcnt lgkmcnt(1)
	v_mul_f64 v[212:213], v[100:101], v[74:75]
	v_add_f64 v[10:11], v[10:11], -v[166:167]
	s_delay_alu instid0(VALU_DEP_2) | instskip(SKIP_1) | instid1(VALU_DEP_2)
	v_fma_f64 v[212:213], v[98:99], v[96:97], -v[212:213]
	v_mul_f64 v[98:99], v[98:99], v[74:75]
	v_add_f64 v[4:5], v[4:5], -v[212:213]
	s_delay_alu instid0(VALU_DEP_2) | instskip(SKIP_2) | instid1(VALU_DEP_2)
	v_fma_f64 v[98:99], v[100:101], v[96:97], v[98:99]
	s_waitcnt lgkmcnt(0)
	v_mul_f64 v[100:101], v[104:105], v[74:75]
	v_add_f64 v[6:7], v[6:7], -v[98:99]
	s_delay_alu instid0(VALU_DEP_2) | instskip(SKIP_1) | instid1(VALU_DEP_2)
	v_fma_f64 v[100:101], v[102:103], v[96:97], -v[100:101]
	v_mul_f64 v[102:103], v[102:103], v[74:75]
	v_add_f64 v[0:1], v[0:1], -v[100:101]
	s_delay_alu instid0(VALU_DEP_2) | instskip(NEXT) | instid1(VALU_DEP_1)
	v_fma_f64 v[102:103], v[104:105], v[96:97], v[102:103]
	v_add_f64 v[2:3], v[2:3], -v[102:103]
.LBB41_28:
	s_or_b32 exec_lo, exec_lo, s3
	s_delay_alu instid0(SALU_CYCLE_1)
	s_mov_b32 s4, exec_lo
	s_waitcnt lgkmcnt(0)
	s_barrier
	buffer_gl0_inv
	v_cmpx_eq_u32_e32 3, v214
	s_cbranch_execz .LBB41_35
; %bb.29:
	ds_store_2addr_b64 v215, v[68:69], v[70:71] offset1:1
	ds_store_2addr_b64 v216, v[64:65], v[66:67] offset0:8 offset1:9
	ds_store_2addr_b64 v216, v[60:61], v[62:63] offset0:10 offset1:11
	;; [unrolled: 1-line block ×17, first 2 shown]
	ds_load_2addr_b64 v[96:99], v215 offset1:1
	s_waitcnt lgkmcnt(0)
	v_cmp_neq_f64_e32 vcc_lo, 0, v[96:97]
	v_cmp_neq_f64_e64 s3, 0, v[98:99]
	s_delay_alu instid0(VALU_DEP_1) | instskip(NEXT) | instid1(SALU_CYCLE_1)
	s_or_b32 s3, vcc_lo, s3
	s_and_b32 exec_lo, exec_lo, s3
	s_cbranch_execz .LBB41_35
; %bb.30:
	v_cmp_gt_f64_e32 vcc_lo, 0, v[96:97]
	v_cmp_gt_f64_e64 s3, 0, v[98:99]
	v_xor_b32_e32 v100, 0x80000000, v97
	v_xor_b32_e32 v102, 0x80000000, v99
                                        ; implicit-def: $vgpr104_vgpr105
	s_delay_alu instid0(VALU_DEP_2) | instskip(NEXT) | instid1(VALU_DEP_2)
	v_cndmask_b32_e32 v101, v97, v100, vcc_lo
	v_cndmask_b32_e64 v103, v99, v102, s3
	v_cndmask_b32_e32 v100, v96, v96, vcc_lo
	v_cndmask_b32_e64 v102, v98, v98, s3
	s_mov_b32 s3, exec_lo
	s_delay_alu instid0(VALU_DEP_1)
	v_cmpx_ngt_f64_e32 v[100:101], v[102:103]
	s_xor_b32 s3, exec_lo, s3
                                        ; implicit-def: $vgpr100_vgpr101_vgpr102_vgpr103
	s_cbranch_execz .LBB41_32
; %bb.31:
	v_div_scale_f64 v[100:101], null, v[98:99], v[98:99], v[96:97]
	v_div_scale_f64 v[106:107], vcc_lo, v[96:97], v[98:99], v[96:97]
	s_delay_alu instid0(VALU_DEP_2) | instskip(SKIP_2) | instid1(VALU_DEP_1)
	v_rcp_f64_e32 v[102:103], v[100:101]
	s_waitcnt_depctr 0xfff
	v_fma_f64 v[104:105], -v[100:101], v[102:103], 1.0
	v_fma_f64 v[102:103], v[102:103], v[104:105], v[102:103]
	s_delay_alu instid0(VALU_DEP_1) | instskip(NEXT) | instid1(VALU_DEP_1)
	v_fma_f64 v[104:105], -v[100:101], v[102:103], 1.0
	v_fma_f64 v[102:103], v[102:103], v[104:105], v[102:103]
	s_delay_alu instid0(VALU_DEP_1) | instskip(NEXT) | instid1(VALU_DEP_1)
	v_mul_f64 v[104:105], v[106:107], v[102:103]
	v_fma_f64 v[100:101], -v[100:101], v[104:105], v[106:107]
	s_delay_alu instid0(VALU_DEP_1) | instskip(NEXT) | instid1(VALU_DEP_1)
	v_div_fmas_f64 v[100:101], v[100:101], v[102:103], v[104:105]
	v_div_fixup_f64 v[100:101], v[100:101], v[98:99], v[96:97]
	s_delay_alu instid0(VALU_DEP_1) | instskip(NEXT) | instid1(VALU_DEP_1)
	v_fma_f64 v[96:97], v[96:97], v[100:101], v[98:99]
	v_div_scale_f64 v[98:99], null, v[96:97], v[96:97], 1.0
	s_delay_alu instid0(VALU_DEP_1) | instskip(SKIP_2) | instid1(VALU_DEP_1)
	v_rcp_f64_e32 v[102:103], v[98:99]
	s_waitcnt_depctr 0xfff
	v_fma_f64 v[104:105], -v[98:99], v[102:103], 1.0
	v_fma_f64 v[102:103], v[102:103], v[104:105], v[102:103]
	s_delay_alu instid0(VALU_DEP_1) | instskip(NEXT) | instid1(VALU_DEP_1)
	v_fma_f64 v[104:105], -v[98:99], v[102:103], 1.0
	v_fma_f64 v[102:103], v[102:103], v[104:105], v[102:103]
	v_div_scale_f64 v[104:105], vcc_lo, 1.0, v[96:97], 1.0
	s_delay_alu instid0(VALU_DEP_1) | instskip(NEXT) | instid1(VALU_DEP_1)
	v_mul_f64 v[106:107], v[104:105], v[102:103]
	v_fma_f64 v[98:99], -v[98:99], v[106:107], v[104:105]
	s_delay_alu instid0(VALU_DEP_1) | instskip(NEXT) | instid1(VALU_DEP_1)
	v_div_fmas_f64 v[98:99], v[98:99], v[102:103], v[106:107]
	v_div_fixup_f64 v[102:103], v[98:99], v[96:97], 1.0
                                        ; implicit-def: $vgpr96_vgpr97
	s_delay_alu instid0(VALU_DEP_1)
	v_mul_f64 v[104:105], v[100:101], v[102:103]
	v_xor_b32_e32 v103, 0x80000000, v103
.LBB41_32:
	s_and_not1_saveexec_b32 s3, s3
	s_cbranch_execz .LBB41_34
; %bb.33:
	v_div_scale_f64 v[100:101], null, v[96:97], v[96:97], v[98:99]
	v_div_scale_f64 v[106:107], vcc_lo, v[98:99], v[96:97], v[98:99]
	s_delay_alu instid0(VALU_DEP_2) | instskip(SKIP_2) | instid1(VALU_DEP_1)
	v_rcp_f64_e32 v[102:103], v[100:101]
	s_waitcnt_depctr 0xfff
	v_fma_f64 v[104:105], -v[100:101], v[102:103], 1.0
	v_fma_f64 v[102:103], v[102:103], v[104:105], v[102:103]
	s_delay_alu instid0(VALU_DEP_1) | instskip(NEXT) | instid1(VALU_DEP_1)
	v_fma_f64 v[104:105], -v[100:101], v[102:103], 1.0
	v_fma_f64 v[102:103], v[102:103], v[104:105], v[102:103]
	s_delay_alu instid0(VALU_DEP_1) | instskip(NEXT) | instid1(VALU_DEP_1)
	v_mul_f64 v[104:105], v[106:107], v[102:103]
	v_fma_f64 v[100:101], -v[100:101], v[104:105], v[106:107]
	s_delay_alu instid0(VALU_DEP_1) | instskip(NEXT) | instid1(VALU_DEP_1)
	v_div_fmas_f64 v[100:101], v[100:101], v[102:103], v[104:105]
	v_div_fixup_f64 v[100:101], v[100:101], v[96:97], v[98:99]
	s_delay_alu instid0(VALU_DEP_1) | instskip(NEXT) | instid1(VALU_DEP_1)
	v_fma_f64 v[96:97], v[98:99], v[100:101], v[96:97]
	v_div_scale_f64 v[98:99], null, v[96:97], v[96:97], 1.0
	s_delay_alu instid0(VALU_DEP_1) | instskip(SKIP_2) | instid1(VALU_DEP_1)
	v_rcp_f64_e32 v[102:103], v[98:99]
	s_waitcnt_depctr 0xfff
	v_fma_f64 v[104:105], -v[98:99], v[102:103], 1.0
	v_fma_f64 v[102:103], v[102:103], v[104:105], v[102:103]
	s_delay_alu instid0(VALU_DEP_1) | instskip(NEXT) | instid1(VALU_DEP_1)
	v_fma_f64 v[104:105], -v[98:99], v[102:103], 1.0
	v_fma_f64 v[102:103], v[102:103], v[104:105], v[102:103]
	v_div_scale_f64 v[104:105], vcc_lo, 1.0, v[96:97], 1.0
	s_delay_alu instid0(VALU_DEP_1) | instskip(NEXT) | instid1(VALU_DEP_1)
	v_mul_f64 v[106:107], v[104:105], v[102:103]
	v_fma_f64 v[98:99], -v[98:99], v[106:107], v[104:105]
	s_delay_alu instid0(VALU_DEP_1) | instskip(NEXT) | instid1(VALU_DEP_1)
	v_div_fmas_f64 v[98:99], v[98:99], v[102:103], v[106:107]
	v_div_fixup_f64 v[104:105], v[98:99], v[96:97], 1.0
	s_delay_alu instid0(VALU_DEP_1)
	v_mul_f64 v[102:103], v[100:101], -v[104:105]
.LBB41_34:
	s_or_b32 exec_lo, exec_lo, s3
	ds_store_2addr_b64 v215, v[104:105], v[102:103] offset1:1
.LBB41_35:
	s_or_b32 exec_lo, exec_lo, s4
	s_waitcnt lgkmcnt(0)
	s_barrier
	buffer_gl0_inv
	ds_load_2addr_b64 v[96:99], v215 offset1:1
	s_mov_b32 s3, exec_lo
	v_cmpx_lt_u32_e32 3, v214
	s_cbranch_execz .LBB41_37
; %bb.36:
	s_waitcnt lgkmcnt(0)
	v_mul_f64 v[100:101], v[98:99], v[70:71]
	v_mul_f64 v[70:71], v[96:97], v[70:71]
	ds_load_2addr_b64 v[102:105], v216 offset0:8 offset1:9
	ds_load_2addr_b64 v[106:109], v216 offset0:10 offset1:11
	v_fma_f64 v[100:101], v[96:97], v[68:69], -v[100:101]
	v_fma_f64 v[70:71], v[98:99], v[68:69], v[70:71]
	s_waitcnt lgkmcnt(1)
	s_delay_alu instid0(VALU_DEP_1) | instskip(NEXT) | instid1(VALU_DEP_1)
	v_mul_f64 v[68:69], v[104:105], v[70:71]
	v_fma_f64 v[68:69], v[102:103], v[100:101], -v[68:69]
	v_mul_f64 v[102:103], v[102:103], v[70:71]
	s_delay_alu instid0(VALU_DEP_2) | instskip(NEXT) | instid1(VALU_DEP_2)
	v_add_f64 v[64:65], v[64:65], -v[68:69]
	v_fma_f64 v[110:111], v[104:105], v[100:101], v[102:103]
	s_waitcnt lgkmcnt(0)
	v_mul_f64 v[102:103], v[108:109], v[70:71]
	v_dual_mov_b32 v68, v100 :: v_dual_mov_b32 v69, v101
	s_delay_alu instid0(VALU_DEP_3) | instskip(NEXT) | instid1(VALU_DEP_3)
	v_add_f64 v[66:67], v[66:67], -v[110:111]
	v_fma_f64 v[112:113], v[106:107], v[100:101], -v[102:103]
	v_mul_f64 v[102:103], v[106:107], v[70:71]
	s_delay_alu instid0(VALU_DEP_2) | instskip(NEXT) | instid1(VALU_DEP_2)
	v_add_f64 v[60:61], v[60:61], -v[112:113]
	v_fma_f64 v[114:115], v[108:109], v[100:101], v[102:103]
	ds_load_2addr_b64 v[102:105], v216 offset0:12 offset1:13
	ds_load_2addr_b64 v[106:109], v216 offset0:14 offset1:15
	s_waitcnt lgkmcnt(1)
	v_mul_f64 v[116:117], v[104:105], v[70:71]
	v_add_f64 v[62:63], v[62:63], -v[114:115]
	s_delay_alu instid0(VALU_DEP_2) | instskip(SKIP_1) | instid1(VALU_DEP_2)
	v_fma_f64 v[116:117], v[102:103], v[100:101], -v[116:117]
	v_mul_f64 v[102:103], v[102:103], v[70:71]
	v_add_f64 v[56:57], v[56:57], -v[116:117]
	s_delay_alu instid0(VALU_DEP_2) | instskip(SKIP_2) | instid1(VALU_DEP_2)
	v_fma_f64 v[118:119], v[104:105], v[100:101], v[102:103]
	s_waitcnt lgkmcnt(0)
	v_mul_f64 v[102:103], v[108:109], v[70:71]
	v_add_f64 v[58:59], v[58:59], -v[118:119]
	s_delay_alu instid0(VALU_DEP_2) | instskip(SKIP_1) | instid1(VALU_DEP_2)
	v_fma_f64 v[120:121], v[106:107], v[100:101], -v[102:103]
	v_mul_f64 v[102:103], v[106:107], v[70:71]
	v_add_f64 v[52:53], v[52:53], -v[120:121]
	s_delay_alu instid0(VALU_DEP_2)
	v_fma_f64 v[122:123], v[108:109], v[100:101], v[102:103]
	ds_load_2addr_b64 v[102:105], v216 offset0:16 offset1:17
	ds_load_2addr_b64 v[106:109], v216 offset0:18 offset1:19
	s_waitcnt lgkmcnt(1)
	v_mul_f64 v[124:125], v[104:105], v[70:71]
	v_add_f64 v[54:55], v[54:55], -v[122:123]
	s_delay_alu instid0(VALU_DEP_2) | instskip(SKIP_1) | instid1(VALU_DEP_2)
	v_fma_f64 v[124:125], v[102:103], v[100:101], -v[124:125]
	v_mul_f64 v[102:103], v[102:103], v[70:71]
	v_add_f64 v[48:49], v[48:49], -v[124:125]
	s_delay_alu instid0(VALU_DEP_2) | instskip(SKIP_2) | instid1(VALU_DEP_2)
	v_fma_f64 v[126:127], v[104:105], v[100:101], v[102:103]
	s_waitcnt lgkmcnt(0)
	v_mul_f64 v[102:103], v[108:109], v[70:71]
	v_add_f64 v[50:51], v[50:51], -v[126:127]
	s_delay_alu instid0(VALU_DEP_2) | instskip(SKIP_1) | instid1(VALU_DEP_2)
	v_fma_f64 v[128:129], v[106:107], v[100:101], -v[102:103]
	v_mul_f64 v[102:103], v[106:107], v[70:71]
	v_add_f64 v[44:45], v[44:45], -v[128:129]
	s_delay_alu instid0(VALU_DEP_2)
	;; [unrolled: 20-line block ×6, first 2 shown]
	v_fma_f64 v[162:163], v[108:109], v[100:101], v[102:103]
	ds_load_2addr_b64 v[102:105], v216 offset0:36 offset1:37
	ds_load_2addr_b64 v[106:109], v216 offset0:38 offset1:39
	s_waitcnt lgkmcnt(1)
	v_mul_f64 v[164:165], v[104:105], v[70:71]
	v_add_f64 v[14:15], v[14:15], -v[162:163]
	s_delay_alu instid0(VALU_DEP_2) | instskip(SKIP_1) | instid1(VALU_DEP_2)
	v_fma_f64 v[164:165], v[102:103], v[100:101], -v[164:165]
	v_mul_f64 v[102:103], v[102:103], v[70:71]
	v_add_f64 v[8:9], v[8:9], -v[164:165]
	s_delay_alu instid0(VALU_DEP_2) | instskip(SKIP_2) | instid1(VALU_DEP_2)
	v_fma_f64 v[166:167], v[104:105], v[100:101], v[102:103]
	s_waitcnt lgkmcnt(0)
	v_mul_f64 v[102:103], v[108:109], v[70:71]
	v_add_f64 v[10:11], v[10:11], -v[166:167]
	s_delay_alu instid0(VALU_DEP_2) | instskip(SKIP_1) | instid1(VALU_DEP_2)
	v_fma_f64 v[212:213], v[106:107], v[100:101], -v[102:103]
	v_mul_f64 v[102:103], v[106:107], v[70:71]
	v_add_f64 v[4:5], v[4:5], -v[212:213]
	s_delay_alu instid0(VALU_DEP_2) | instskip(SKIP_4) | instid1(VALU_DEP_2)
	v_fma_f64 v[106:107], v[108:109], v[100:101], v[102:103]
	ds_load_2addr_b64 v[102:105], v216 offset0:40 offset1:41
	s_waitcnt lgkmcnt(0)
	v_mul_f64 v[108:109], v[104:105], v[70:71]
	v_add_f64 v[6:7], v[6:7], -v[106:107]
	v_fma_f64 v[108:109], v[102:103], v[100:101], -v[108:109]
	v_mul_f64 v[102:103], v[102:103], v[70:71]
	s_delay_alu instid0(VALU_DEP_2) | instskip(NEXT) | instid1(VALU_DEP_2)
	v_add_f64 v[0:1], v[0:1], -v[108:109]
	v_fma_f64 v[102:103], v[104:105], v[100:101], v[102:103]
	s_delay_alu instid0(VALU_DEP_1)
	v_add_f64 v[2:3], v[2:3], -v[102:103]
.LBB41_37:
	s_or_b32 exec_lo, exec_lo, s3
	s_delay_alu instid0(SALU_CYCLE_1)
	s_mov_b32 s4, exec_lo
	s_waitcnt lgkmcnt(0)
	s_barrier
	buffer_gl0_inv
	v_cmpx_eq_u32_e32 4, v214
	s_cbranch_execz .LBB41_44
; %bb.38:
	ds_store_2addr_b64 v215, v[64:65], v[66:67] offset1:1
	ds_store_2addr_b64 v216, v[60:61], v[62:63] offset0:10 offset1:11
	ds_store_2addr_b64 v216, v[56:57], v[58:59] offset0:12 offset1:13
	;; [unrolled: 1-line block ×16, first 2 shown]
	ds_load_2addr_b64 v[100:103], v215 offset1:1
	s_waitcnt lgkmcnt(0)
	v_cmp_neq_f64_e32 vcc_lo, 0, v[100:101]
	v_cmp_neq_f64_e64 s3, 0, v[102:103]
	s_delay_alu instid0(VALU_DEP_1) | instskip(NEXT) | instid1(SALU_CYCLE_1)
	s_or_b32 s3, vcc_lo, s3
	s_and_b32 exec_lo, exec_lo, s3
	s_cbranch_execz .LBB41_44
; %bb.39:
	v_cmp_gt_f64_e32 vcc_lo, 0, v[100:101]
	v_cmp_gt_f64_e64 s3, 0, v[102:103]
	v_xor_b32_e32 v104, 0x80000000, v101
	v_xor_b32_e32 v106, 0x80000000, v103
                                        ; implicit-def: $vgpr108_vgpr109
	s_delay_alu instid0(VALU_DEP_2) | instskip(NEXT) | instid1(VALU_DEP_2)
	v_cndmask_b32_e32 v105, v101, v104, vcc_lo
	v_cndmask_b32_e64 v107, v103, v106, s3
	v_cndmask_b32_e32 v104, v100, v100, vcc_lo
	v_cndmask_b32_e64 v106, v102, v102, s3
	s_mov_b32 s3, exec_lo
	s_delay_alu instid0(VALU_DEP_1)
	v_cmpx_ngt_f64_e32 v[104:105], v[106:107]
	s_xor_b32 s3, exec_lo, s3
                                        ; implicit-def: $vgpr104_vgpr105_vgpr106_vgpr107
	s_cbranch_execz .LBB41_41
; %bb.40:
	v_div_scale_f64 v[104:105], null, v[102:103], v[102:103], v[100:101]
	v_div_scale_f64 v[110:111], vcc_lo, v[100:101], v[102:103], v[100:101]
	s_delay_alu instid0(VALU_DEP_2) | instskip(SKIP_2) | instid1(VALU_DEP_1)
	v_rcp_f64_e32 v[106:107], v[104:105]
	s_waitcnt_depctr 0xfff
	v_fma_f64 v[108:109], -v[104:105], v[106:107], 1.0
	v_fma_f64 v[106:107], v[106:107], v[108:109], v[106:107]
	s_delay_alu instid0(VALU_DEP_1) | instskip(NEXT) | instid1(VALU_DEP_1)
	v_fma_f64 v[108:109], -v[104:105], v[106:107], 1.0
	v_fma_f64 v[106:107], v[106:107], v[108:109], v[106:107]
	s_delay_alu instid0(VALU_DEP_1) | instskip(NEXT) | instid1(VALU_DEP_1)
	v_mul_f64 v[108:109], v[110:111], v[106:107]
	v_fma_f64 v[104:105], -v[104:105], v[108:109], v[110:111]
	s_delay_alu instid0(VALU_DEP_1) | instskip(NEXT) | instid1(VALU_DEP_1)
	v_div_fmas_f64 v[104:105], v[104:105], v[106:107], v[108:109]
	v_div_fixup_f64 v[104:105], v[104:105], v[102:103], v[100:101]
	s_delay_alu instid0(VALU_DEP_1) | instskip(NEXT) | instid1(VALU_DEP_1)
	v_fma_f64 v[100:101], v[100:101], v[104:105], v[102:103]
	v_div_scale_f64 v[102:103], null, v[100:101], v[100:101], 1.0
	s_delay_alu instid0(VALU_DEP_1) | instskip(SKIP_2) | instid1(VALU_DEP_1)
	v_rcp_f64_e32 v[106:107], v[102:103]
	s_waitcnt_depctr 0xfff
	v_fma_f64 v[108:109], -v[102:103], v[106:107], 1.0
	v_fma_f64 v[106:107], v[106:107], v[108:109], v[106:107]
	s_delay_alu instid0(VALU_DEP_1) | instskip(NEXT) | instid1(VALU_DEP_1)
	v_fma_f64 v[108:109], -v[102:103], v[106:107], 1.0
	v_fma_f64 v[106:107], v[106:107], v[108:109], v[106:107]
	v_div_scale_f64 v[108:109], vcc_lo, 1.0, v[100:101], 1.0
	s_delay_alu instid0(VALU_DEP_1) | instskip(NEXT) | instid1(VALU_DEP_1)
	v_mul_f64 v[110:111], v[108:109], v[106:107]
	v_fma_f64 v[102:103], -v[102:103], v[110:111], v[108:109]
	s_delay_alu instid0(VALU_DEP_1) | instskip(NEXT) | instid1(VALU_DEP_1)
	v_div_fmas_f64 v[102:103], v[102:103], v[106:107], v[110:111]
	v_div_fixup_f64 v[106:107], v[102:103], v[100:101], 1.0
                                        ; implicit-def: $vgpr100_vgpr101
	s_delay_alu instid0(VALU_DEP_1)
	v_mul_f64 v[108:109], v[104:105], v[106:107]
	v_xor_b32_e32 v107, 0x80000000, v107
.LBB41_41:
	s_and_not1_saveexec_b32 s3, s3
	s_cbranch_execz .LBB41_43
; %bb.42:
	v_div_scale_f64 v[104:105], null, v[100:101], v[100:101], v[102:103]
	v_div_scale_f64 v[110:111], vcc_lo, v[102:103], v[100:101], v[102:103]
	s_delay_alu instid0(VALU_DEP_2) | instskip(SKIP_2) | instid1(VALU_DEP_1)
	v_rcp_f64_e32 v[106:107], v[104:105]
	s_waitcnt_depctr 0xfff
	v_fma_f64 v[108:109], -v[104:105], v[106:107], 1.0
	v_fma_f64 v[106:107], v[106:107], v[108:109], v[106:107]
	s_delay_alu instid0(VALU_DEP_1) | instskip(NEXT) | instid1(VALU_DEP_1)
	v_fma_f64 v[108:109], -v[104:105], v[106:107], 1.0
	v_fma_f64 v[106:107], v[106:107], v[108:109], v[106:107]
	s_delay_alu instid0(VALU_DEP_1) | instskip(NEXT) | instid1(VALU_DEP_1)
	v_mul_f64 v[108:109], v[110:111], v[106:107]
	v_fma_f64 v[104:105], -v[104:105], v[108:109], v[110:111]
	s_delay_alu instid0(VALU_DEP_1) | instskip(NEXT) | instid1(VALU_DEP_1)
	v_div_fmas_f64 v[104:105], v[104:105], v[106:107], v[108:109]
	v_div_fixup_f64 v[104:105], v[104:105], v[100:101], v[102:103]
	s_delay_alu instid0(VALU_DEP_1) | instskip(NEXT) | instid1(VALU_DEP_1)
	v_fma_f64 v[100:101], v[102:103], v[104:105], v[100:101]
	v_div_scale_f64 v[102:103], null, v[100:101], v[100:101], 1.0
	s_delay_alu instid0(VALU_DEP_1) | instskip(SKIP_2) | instid1(VALU_DEP_1)
	v_rcp_f64_e32 v[106:107], v[102:103]
	s_waitcnt_depctr 0xfff
	v_fma_f64 v[108:109], -v[102:103], v[106:107], 1.0
	v_fma_f64 v[106:107], v[106:107], v[108:109], v[106:107]
	s_delay_alu instid0(VALU_DEP_1) | instskip(NEXT) | instid1(VALU_DEP_1)
	v_fma_f64 v[108:109], -v[102:103], v[106:107], 1.0
	v_fma_f64 v[106:107], v[106:107], v[108:109], v[106:107]
	v_div_scale_f64 v[108:109], vcc_lo, 1.0, v[100:101], 1.0
	s_delay_alu instid0(VALU_DEP_1) | instskip(NEXT) | instid1(VALU_DEP_1)
	v_mul_f64 v[110:111], v[108:109], v[106:107]
	v_fma_f64 v[102:103], -v[102:103], v[110:111], v[108:109]
	s_delay_alu instid0(VALU_DEP_1) | instskip(NEXT) | instid1(VALU_DEP_1)
	v_div_fmas_f64 v[102:103], v[102:103], v[106:107], v[110:111]
	v_div_fixup_f64 v[108:109], v[102:103], v[100:101], 1.0
	s_delay_alu instid0(VALU_DEP_1)
	v_mul_f64 v[106:107], v[104:105], -v[108:109]
.LBB41_43:
	s_or_b32 exec_lo, exec_lo, s3
	ds_store_2addr_b64 v215, v[108:109], v[106:107] offset1:1
.LBB41_44:
	s_or_b32 exec_lo, exec_lo, s4
	s_waitcnt lgkmcnt(0)
	s_barrier
	buffer_gl0_inv
	ds_load_2addr_b64 v[100:103], v215 offset1:1
	s_mov_b32 s3, exec_lo
	v_cmpx_lt_u32_e32 4, v214
	s_cbranch_execz .LBB41_46
; %bb.45:
	s_waitcnt lgkmcnt(0)
	v_mul_f64 v[104:105], v[100:101], v[66:67]
	v_mul_f64 v[66:67], v[102:103], v[66:67]
	ds_load_2addr_b64 v[106:109], v216 offset0:10 offset1:11
	ds_load_2addr_b64 v[110:113], v216 offset0:12 offset1:13
	v_fma_f64 v[104:105], v[102:103], v[64:65], v[104:105]
	v_fma_f64 v[64:65], v[100:101], v[64:65], -v[66:67]
	s_waitcnt lgkmcnt(1)
	s_delay_alu instid0(VALU_DEP_2) | instskip(NEXT) | instid1(VALU_DEP_1)
	v_mul_f64 v[66:67], v[108:109], v[104:105]
	v_fma_f64 v[66:67], v[106:107], v[64:65], -v[66:67]
	v_mul_f64 v[106:107], v[106:107], v[104:105]
	s_delay_alu instid0(VALU_DEP_2) | instskip(NEXT) | instid1(VALU_DEP_2)
	v_add_f64 v[60:61], v[60:61], -v[66:67]
	v_fma_f64 v[114:115], v[108:109], v[64:65], v[106:107]
	s_waitcnt lgkmcnt(0)
	v_mul_f64 v[106:107], v[112:113], v[104:105]
	v_dual_mov_b32 v66, v104 :: v_dual_mov_b32 v67, v105
	s_delay_alu instid0(VALU_DEP_3) | instskip(NEXT) | instid1(VALU_DEP_3)
	v_add_f64 v[62:63], v[62:63], -v[114:115]
	v_fma_f64 v[116:117], v[110:111], v[64:65], -v[106:107]
	v_mul_f64 v[106:107], v[110:111], v[104:105]
	s_delay_alu instid0(VALU_DEP_2) | instskip(NEXT) | instid1(VALU_DEP_2)
	v_add_f64 v[56:57], v[56:57], -v[116:117]
	v_fma_f64 v[118:119], v[112:113], v[64:65], v[106:107]
	ds_load_2addr_b64 v[106:109], v216 offset0:14 offset1:15
	ds_load_2addr_b64 v[110:113], v216 offset0:16 offset1:17
	s_waitcnt lgkmcnt(1)
	v_mul_f64 v[120:121], v[108:109], v[104:105]
	v_add_f64 v[58:59], v[58:59], -v[118:119]
	s_delay_alu instid0(VALU_DEP_2) | instskip(SKIP_1) | instid1(VALU_DEP_2)
	v_fma_f64 v[120:121], v[106:107], v[64:65], -v[120:121]
	v_mul_f64 v[106:107], v[106:107], v[104:105]
	v_add_f64 v[52:53], v[52:53], -v[120:121]
	s_delay_alu instid0(VALU_DEP_2) | instskip(SKIP_2) | instid1(VALU_DEP_2)
	v_fma_f64 v[122:123], v[108:109], v[64:65], v[106:107]
	s_waitcnt lgkmcnt(0)
	v_mul_f64 v[106:107], v[112:113], v[104:105]
	v_add_f64 v[54:55], v[54:55], -v[122:123]
	s_delay_alu instid0(VALU_DEP_2) | instskip(SKIP_1) | instid1(VALU_DEP_2)
	v_fma_f64 v[124:125], v[110:111], v[64:65], -v[106:107]
	v_mul_f64 v[106:107], v[110:111], v[104:105]
	v_add_f64 v[48:49], v[48:49], -v[124:125]
	s_delay_alu instid0(VALU_DEP_2)
	v_fma_f64 v[126:127], v[112:113], v[64:65], v[106:107]
	ds_load_2addr_b64 v[106:109], v216 offset0:18 offset1:19
	ds_load_2addr_b64 v[110:113], v216 offset0:20 offset1:21
	s_waitcnt lgkmcnt(1)
	v_mul_f64 v[128:129], v[108:109], v[104:105]
	v_add_f64 v[50:51], v[50:51], -v[126:127]
	s_delay_alu instid0(VALU_DEP_2) | instskip(SKIP_1) | instid1(VALU_DEP_2)
	v_fma_f64 v[128:129], v[106:107], v[64:65], -v[128:129]
	v_mul_f64 v[106:107], v[106:107], v[104:105]
	v_add_f64 v[44:45], v[44:45], -v[128:129]
	s_delay_alu instid0(VALU_DEP_2) | instskip(SKIP_2) | instid1(VALU_DEP_2)
	v_fma_f64 v[130:131], v[108:109], v[64:65], v[106:107]
	s_waitcnt lgkmcnt(0)
	v_mul_f64 v[106:107], v[112:113], v[104:105]
	v_add_f64 v[46:47], v[46:47], -v[130:131]
	s_delay_alu instid0(VALU_DEP_2) | instskip(SKIP_1) | instid1(VALU_DEP_2)
	v_fma_f64 v[132:133], v[110:111], v[64:65], -v[106:107]
	v_mul_f64 v[106:107], v[110:111], v[104:105]
	v_add_f64 v[40:41], v[40:41], -v[132:133]
	s_delay_alu instid0(VALU_DEP_2)
	;; [unrolled: 20-line block ×6, first 2 shown]
	v_fma_f64 v[166:167], v[112:113], v[64:65], v[106:107]
	ds_load_2addr_b64 v[106:109], v216 offset0:38 offset1:39
	ds_load_2addr_b64 v[110:113], v216 offset0:40 offset1:41
	s_waitcnt lgkmcnt(1)
	v_mul_f64 v[212:213], v[108:109], v[104:105]
	v_add_f64 v[10:11], v[10:11], -v[166:167]
	s_delay_alu instid0(VALU_DEP_2) | instskip(SKIP_1) | instid1(VALU_DEP_2)
	v_fma_f64 v[212:213], v[106:107], v[64:65], -v[212:213]
	v_mul_f64 v[106:107], v[106:107], v[104:105]
	v_add_f64 v[4:5], v[4:5], -v[212:213]
	s_delay_alu instid0(VALU_DEP_2) | instskip(SKIP_2) | instid1(VALU_DEP_2)
	v_fma_f64 v[106:107], v[108:109], v[64:65], v[106:107]
	s_waitcnt lgkmcnt(0)
	v_mul_f64 v[108:109], v[112:113], v[104:105]
	v_add_f64 v[6:7], v[6:7], -v[106:107]
	s_delay_alu instid0(VALU_DEP_2) | instskip(SKIP_1) | instid1(VALU_DEP_2)
	v_fma_f64 v[108:109], v[110:111], v[64:65], -v[108:109]
	v_mul_f64 v[110:111], v[110:111], v[104:105]
	v_add_f64 v[0:1], v[0:1], -v[108:109]
	s_delay_alu instid0(VALU_DEP_2) | instskip(NEXT) | instid1(VALU_DEP_1)
	v_fma_f64 v[110:111], v[112:113], v[64:65], v[110:111]
	v_add_f64 v[2:3], v[2:3], -v[110:111]
.LBB41_46:
	s_or_b32 exec_lo, exec_lo, s3
	s_delay_alu instid0(SALU_CYCLE_1)
	s_mov_b32 s4, exec_lo
	s_waitcnt lgkmcnt(0)
	s_barrier
	buffer_gl0_inv
	v_cmpx_eq_u32_e32 5, v214
	s_cbranch_execz .LBB41_53
; %bb.47:
	ds_store_2addr_b64 v215, v[60:61], v[62:63] offset1:1
	ds_store_2addr_b64 v216, v[56:57], v[58:59] offset0:12 offset1:13
	ds_store_2addr_b64 v216, v[52:53], v[54:55] offset0:14 offset1:15
	;; [unrolled: 1-line block ×15, first 2 shown]
	ds_load_2addr_b64 v[104:107], v215 offset1:1
	s_waitcnt lgkmcnt(0)
	v_cmp_neq_f64_e32 vcc_lo, 0, v[104:105]
	v_cmp_neq_f64_e64 s3, 0, v[106:107]
	s_delay_alu instid0(VALU_DEP_1) | instskip(NEXT) | instid1(SALU_CYCLE_1)
	s_or_b32 s3, vcc_lo, s3
	s_and_b32 exec_lo, exec_lo, s3
	s_cbranch_execz .LBB41_53
; %bb.48:
	v_cmp_gt_f64_e32 vcc_lo, 0, v[104:105]
	v_cmp_gt_f64_e64 s3, 0, v[106:107]
	v_xor_b32_e32 v108, 0x80000000, v105
	v_xor_b32_e32 v110, 0x80000000, v107
                                        ; implicit-def: $vgpr112_vgpr113
	s_delay_alu instid0(VALU_DEP_2) | instskip(NEXT) | instid1(VALU_DEP_2)
	v_cndmask_b32_e32 v109, v105, v108, vcc_lo
	v_cndmask_b32_e64 v111, v107, v110, s3
	v_cndmask_b32_e32 v108, v104, v104, vcc_lo
	v_cndmask_b32_e64 v110, v106, v106, s3
	s_mov_b32 s3, exec_lo
	s_delay_alu instid0(VALU_DEP_1)
	v_cmpx_ngt_f64_e32 v[108:109], v[110:111]
	s_xor_b32 s3, exec_lo, s3
                                        ; implicit-def: $vgpr108_vgpr109_vgpr110_vgpr111
	s_cbranch_execz .LBB41_50
; %bb.49:
	v_div_scale_f64 v[108:109], null, v[106:107], v[106:107], v[104:105]
	v_div_scale_f64 v[114:115], vcc_lo, v[104:105], v[106:107], v[104:105]
	s_delay_alu instid0(VALU_DEP_2) | instskip(SKIP_2) | instid1(VALU_DEP_1)
	v_rcp_f64_e32 v[110:111], v[108:109]
	s_waitcnt_depctr 0xfff
	v_fma_f64 v[112:113], -v[108:109], v[110:111], 1.0
	v_fma_f64 v[110:111], v[110:111], v[112:113], v[110:111]
	s_delay_alu instid0(VALU_DEP_1) | instskip(NEXT) | instid1(VALU_DEP_1)
	v_fma_f64 v[112:113], -v[108:109], v[110:111], 1.0
	v_fma_f64 v[110:111], v[110:111], v[112:113], v[110:111]
	s_delay_alu instid0(VALU_DEP_1) | instskip(NEXT) | instid1(VALU_DEP_1)
	v_mul_f64 v[112:113], v[114:115], v[110:111]
	v_fma_f64 v[108:109], -v[108:109], v[112:113], v[114:115]
	s_delay_alu instid0(VALU_DEP_1) | instskip(NEXT) | instid1(VALU_DEP_1)
	v_div_fmas_f64 v[108:109], v[108:109], v[110:111], v[112:113]
	v_div_fixup_f64 v[108:109], v[108:109], v[106:107], v[104:105]
	s_delay_alu instid0(VALU_DEP_1) | instskip(NEXT) | instid1(VALU_DEP_1)
	v_fma_f64 v[104:105], v[104:105], v[108:109], v[106:107]
	v_div_scale_f64 v[106:107], null, v[104:105], v[104:105], 1.0
	s_delay_alu instid0(VALU_DEP_1) | instskip(SKIP_2) | instid1(VALU_DEP_1)
	v_rcp_f64_e32 v[110:111], v[106:107]
	s_waitcnt_depctr 0xfff
	v_fma_f64 v[112:113], -v[106:107], v[110:111], 1.0
	v_fma_f64 v[110:111], v[110:111], v[112:113], v[110:111]
	s_delay_alu instid0(VALU_DEP_1) | instskip(NEXT) | instid1(VALU_DEP_1)
	v_fma_f64 v[112:113], -v[106:107], v[110:111], 1.0
	v_fma_f64 v[110:111], v[110:111], v[112:113], v[110:111]
	v_div_scale_f64 v[112:113], vcc_lo, 1.0, v[104:105], 1.0
	s_delay_alu instid0(VALU_DEP_1) | instskip(NEXT) | instid1(VALU_DEP_1)
	v_mul_f64 v[114:115], v[112:113], v[110:111]
	v_fma_f64 v[106:107], -v[106:107], v[114:115], v[112:113]
	s_delay_alu instid0(VALU_DEP_1) | instskip(NEXT) | instid1(VALU_DEP_1)
	v_div_fmas_f64 v[106:107], v[106:107], v[110:111], v[114:115]
	v_div_fixup_f64 v[110:111], v[106:107], v[104:105], 1.0
                                        ; implicit-def: $vgpr104_vgpr105
	s_delay_alu instid0(VALU_DEP_1)
	v_mul_f64 v[112:113], v[108:109], v[110:111]
	v_xor_b32_e32 v111, 0x80000000, v111
.LBB41_50:
	s_and_not1_saveexec_b32 s3, s3
	s_cbranch_execz .LBB41_52
; %bb.51:
	v_div_scale_f64 v[108:109], null, v[104:105], v[104:105], v[106:107]
	v_div_scale_f64 v[114:115], vcc_lo, v[106:107], v[104:105], v[106:107]
	s_delay_alu instid0(VALU_DEP_2) | instskip(SKIP_2) | instid1(VALU_DEP_1)
	v_rcp_f64_e32 v[110:111], v[108:109]
	s_waitcnt_depctr 0xfff
	v_fma_f64 v[112:113], -v[108:109], v[110:111], 1.0
	v_fma_f64 v[110:111], v[110:111], v[112:113], v[110:111]
	s_delay_alu instid0(VALU_DEP_1) | instskip(NEXT) | instid1(VALU_DEP_1)
	v_fma_f64 v[112:113], -v[108:109], v[110:111], 1.0
	v_fma_f64 v[110:111], v[110:111], v[112:113], v[110:111]
	s_delay_alu instid0(VALU_DEP_1) | instskip(NEXT) | instid1(VALU_DEP_1)
	v_mul_f64 v[112:113], v[114:115], v[110:111]
	v_fma_f64 v[108:109], -v[108:109], v[112:113], v[114:115]
	s_delay_alu instid0(VALU_DEP_1) | instskip(NEXT) | instid1(VALU_DEP_1)
	v_div_fmas_f64 v[108:109], v[108:109], v[110:111], v[112:113]
	v_div_fixup_f64 v[108:109], v[108:109], v[104:105], v[106:107]
	s_delay_alu instid0(VALU_DEP_1) | instskip(NEXT) | instid1(VALU_DEP_1)
	v_fma_f64 v[104:105], v[106:107], v[108:109], v[104:105]
	v_div_scale_f64 v[106:107], null, v[104:105], v[104:105], 1.0
	s_delay_alu instid0(VALU_DEP_1) | instskip(SKIP_2) | instid1(VALU_DEP_1)
	v_rcp_f64_e32 v[110:111], v[106:107]
	s_waitcnt_depctr 0xfff
	v_fma_f64 v[112:113], -v[106:107], v[110:111], 1.0
	v_fma_f64 v[110:111], v[110:111], v[112:113], v[110:111]
	s_delay_alu instid0(VALU_DEP_1) | instskip(NEXT) | instid1(VALU_DEP_1)
	v_fma_f64 v[112:113], -v[106:107], v[110:111], 1.0
	v_fma_f64 v[110:111], v[110:111], v[112:113], v[110:111]
	v_div_scale_f64 v[112:113], vcc_lo, 1.0, v[104:105], 1.0
	s_delay_alu instid0(VALU_DEP_1) | instskip(NEXT) | instid1(VALU_DEP_1)
	v_mul_f64 v[114:115], v[112:113], v[110:111]
	v_fma_f64 v[106:107], -v[106:107], v[114:115], v[112:113]
	s_delay_alu instid0(VALU_DEP_1) | instskip(NEXT) | instid1(VALU_DEP_1)
	v_div_fmas_f64 v[106:107], v[106:107], v[110:111], v[114:115]
	v_div_fixup_f64 v[112:113], v[106:107], v[104:105], 1.0
	s_delay_alu instid0(VALU_DEP_1)
	v_mul_f64 v[110:111], v[108:109], -v[112:113]
.LBB41_52:
	s_or_b32 exec_lo, exec_lo, s3
	ds_store_2addr_b64 v215, v[112:113], v[110:111] offset1:1
.LBB41_53:
	s_or_b32 exec_lo, exec_lo, s4
	s_waitcnt lgkmcnt(0)
	s_barrier
	buffer_gl0_inv
	ds_load_2addr_b64 v[104:107], v215 offset1:1
	s_mov_b32 s3, exec_lo
	v_cmpx_lt_u32_e32 5, v214
	s_cbranch_execz .LBB41_55
; %bb.54:
	s_waitcnt lgkmcnt(0)
	v_mul_f64 v[108:109], v[104:105], v[62:63]
	v_mul_f64 v[62:63], v[106:107], v[62:63]
	s_delay_alu instid0(VALU_DEP_2)
	v_fma_f64 v[116:117], v[106:107], v[60:61], v[108:109]
	ds_load_2addr_b64 v[108:111], v216 offset0:12 offset1:13
	ds_load_2addr_b64 v[112:115], v216 offset0:14 offset1:15
	v_fma_f64 v[60:61], v[104:105], v[60:61], -v[62:63]
	s_waitcnt lgkmcnt(1)
	v_mul_f64 v[62:63], v[110:111], v[116:117]
	s_delay_alu instid0(VALU_DEP_1) | instskip(SKIP_1) | instid1(VALU_DEP_2)
	v_fma_f64 v[62:63], v[108:109], v[60:61], -v[62:63]
	v_mul_f64 v[108:109], v[108:109], v[116:117]
	v_add_f64 v[56:57], v[56:57], -v[62:63]
	s_delay_alu instid0(VALU_DEP_2) | instskip(SKIP_3) | instid1(VALU_DEP_3)
	v_fma_f64 v[118:119], v[110:111], v[60:61], v[108:109]
	s_waitcnt lgkmcnt(0)
	v_mul_f64 v[108:109], v[114:115], v[116:117]
	v_dual_mov_b32 v62, v116 :: v_dual_mov_b32 v63, v117
	v_add_f64 v[58:59], v[58:59], -v[118:119]
	s_delay_alu instid0(VALU_DEP_3) | instskip(SKIP_1) | instid1(VALU_DEP_2)
	v_fma_f64 v[120:121], v[112:113], v[60:61], -v[108:109]
	v_mul_f64 v[108:109], v[112:113], v[116:117]
	v_add_f64 v[52:53], v[52:53], -v[120:121]
	s_delay_alu instid0(VALU_DEP_2)
	v_fma_f64 v[122:123], v[114:115], v[60:61], v[108:109]
	ds_load_2addr_b64 v[108:111], v216 offset0:16 offset1:17
	ds_load_2addr_b64 v[112:115], v216 offset0:18 offset1:19
	s_waitcnt lgkmcnt(1)
	v_mul_f64 v[124:125], v[110:111], v[116:117]
	v_add_f64 v[54:55], v[54:55], -v[122:123]
	s_delay_alu instid0(VALU_DEP_2) | instskip(SKIP_1) | instid1(VALU_DEP_2)
	v_fma_f64 v[124:125], v[108:109], v[60:61], -v[124:125]
	v_mul_f64 v[108:109], v[108:109], v[116:117]
	v_add_f64 v[48:49], v[48:49], -v[124:125]
	s_delay_alu instid0(VALU_DEP_2) | instskip(SKIP_2) | instid1(VALU_DEP_2)
	v_fma_f64 v[126:127], v[110:111], v[60:61], v[108:109]
	s_waitcnt lgkmcnt(0)
	v_mul_f64 v[108:109], v[114:115], v[116:117]
	v_add_f64 v[50:51], v[50:51], -v[126:127]
	s_delay_alu instid0(VALU_DEP_2) | instskip(SKIP_1) | instid1(VALU_DEP_2)
	v_fma_f64 v[128:129], v[112:113], v[60:61], -v[108:109]
	v_mul_f64 v[108:109], v[112:113], v[116:117]
	v_add_f64 v[44:45], v[44:45], -v[128:129]
	s_delay_alu instid0(VALU_DEP_2)
	v_fma_f64 v[130:131], v[114:115], v[60:61], v[108:109]
	ds_load_2addr_b64 v[108:111], v216 offset0:20 offset1:21
	ds_load_2addr_b64 v[112:115], v216 offset0:22 offset1:23
	s_waitcnt lgkmcnt(1)
	v_mul_f64 v[132:133], v[110:111], v[116:117]
	v_add_f64 v[46:47], v[46:47], -v[130:131]
	s_delay_alu instid0(VALU_DEP_2) | instskip(SKIP_1) | instid1(VALU_DEP_2)
	v_fma_f64 v[132:133], v[108:109], v[60:61], -v[132:133]
	v_mul_f64 v[108:109], v[108:109], v[116:117]
	v_add_f64 v[40:41], v[40:41], -v[132:133]
	s_delay_alu instid0(VALU_DEP_2) | instskip(SKIP_2) | instid1(VALU_DEP_2)
	v_fma_f64 v[134:135], v[110:111], v[60:61], v[108:109]
	s_waitcnt lgkmcnt(0)
	v_mul_f64 v[108:109], v[114:115], v[116:117]
	v_add_f64 v[42:43], v[42:43], -v[134:135]
	s_delay_alu instid0(VALU_DEP_2) | instskip(SKIP_1) | instid1(VALU_DEP_2)
	;; [unrolled: 20-line block ×6, first 2 shown]
	v_fma_f64 v[212:213], v[112:113], v[60:61], -v[108:109]
	v_mul_f64 v[108:109], v[112:113], v[116:117]
	v_add_f64 v[4:5], v[4:5], -v[212:213]
	s_delay_alu instid0(VALU_DEP_2) | instskip(SKIP_4) | instid1(VALU_DEP_2)
	v_fma_f64 v[112:113], v[114:115], v[60:61], v[108:109]
	ds_load_2addr_b64 v[108:111], v216 offset0:40 offset1:41
	s_waitcnt lgkmcnt(0)
	v_mul_f64 v[114:115], v[110:111], v[116:117]
	v_add_f64 v[6:7], v[6:7], -v[112:113]
	v_fma_f64 v[114:115], v[108:109], v[60:61], -v[114:115]
	v_mul_f64 v[108:109], v[108:109], v[116:117]
	s_delay_alu instid0(VALU_DEP_2) | instskip(NEXT) | instid1(VALU_DEP_2)
	v_add_f64 v[0:1], v[0:1], -v[114:115]
	v_fma_f64 v[108:109], v[110:111], v[60:61], v[108:109]
	s_delay_alu instid0(VALU_DEP_1)
	v_add_f64 v[2:3], v[2:3], -v[108:109]
.LBB41_55:
	s_or_b32 exec_lo, exec_lo, s3
	s_delay_alu instid0(SALU_CYCLE_1)
	s_mov_b32 s4, exec_lo
	s_waitcnt lgkmcnt(0)
	s_barrier
	buffer_gl0_inv
	v_cmpx_eq_u32_e32 6, v214
	s_cbranch_execz .LBB41_62
; %bb.56:
	ds_store_2addr_b64 v215, v[56:57], v[58:59] offset1:1
	ds_store_2addr_b64 v216, v[52:53], v[54:55] offset0:14 offset1:15
	ds_store_2addr_b64 v216, v[48:49], v[50:51] offset0:16 offset1:17
	;; [unrolled: 1-line block ×14, first 2 shown]
	ds_load_2addr_b64 v[108:111], v215 offset1:1
	s_waitcnt lgkmcnt(0)
	v_cmp_neq_f64_e32 vcc_lo, 0, v[108:109]
	v_cmp_neq_f64_e64 s3, 0, v[110:111]
	s_delay_alu instid0(VALU_DEP_1) | instskip(NEXT) | instid1(SALU_CYCLE_1)
	s_or_b32 s3, vcc_lo, s3
	s_and_b32 exec_lo, exec_lo, s3
	s_cbranch_execz .LBB41_62
; %bb.57:
	v_cmp_gt_f64_e32 vcc_lo, 0, v[108:109]
	v_cmp_gt_f64_e64 s3, 0, v[110:111]
	v_xor_b32_e32 v112, 0x80000000, v109
	v_xor_b32_e32 v114, 0x80000000, v111
                                        ; implicit-def: $vgpr116_vgpr117
	s_delay_alu instid0(VALU_DEP_2) | instskip(NEXT) | instid1(VALU_DEP_2)
	v_cndmask_b32_e32 v113, v109, v112, vcc_lo
	v_cndmask_b32_e64 v115, v111, v114, s3
	v_cndmask_b32_e32 v112, v108, v108, vcc_lo
	v_cndmask_b32_e64 v114, v110, v110, s3
	s_mov_b32 s3, exec_lo
	s_delay_alu instid0(VALU_DEP_1)
	v_cmpx_ngt_f64_e32 v[112:113], v[114:115]
	s_xor_b32 s3, exec_lo, s3
                                        ; implicit-def: $vgpr112_vgpr113_vgpr114_vgpr115
	s_cbranch_execz .LBB41_59
; %bb.58:
	v_div_scale_f64 v[112:113], null, v[110:111], v[110:111], v[108:109]
	v_div_scale_f64 v[118:119], vcc_lo, v[108:109], v[110:111], v[108:109]
	s_delay_alu instid0(VALU_DEP_2) | instskip(SKIP_2) | instid1(VALU_DEP_1)
	v_rcp_f64_e32 v[114:115], v[112:113]
	s_waitcnt_depctr 0xfff
	v_fma_f64 v[116:117], -v[112:113], v[114:115], 1.0
	v_fma_f64 v[114:115], v[114:115], v[116:117], v[114:115]
	s_delay_alu instid0(VALU_DEP_1) | instskip(NEXT) | instid1(VALU_DEP_1)
	v_fma_f64 v[116:117], -v[112:113], v[114:115], 1.0
	v_fma_f64 v[114:115], v[114:115], v[116:117], v[114:115]
	s_delay_alu instid0(VALU_DEP_1) | instskip(NEXT) | instid1(VALU_DEP_1)
	v_mul_f64 v[116:117], v[118:119], v[114:115]
	v_fma_f64 v[112:113], -v[112:113], v[116:117], v[118:119]
	s_delay_alu instid0(VALU_DEP_1) | instskip(NEXT) | instid1(VALU_DEP_1)
	v_div_fmas_f64 v[112:113], v[112:113], v[114:115], v[116:117]
	v_div_fixup_f64 v[112:113], v[112:113], v[110:111], v[108:109]
	s_delay_alu instid0(VALU_DEP_1) | instskip(NEXT) | instid1(VALU_DEP_1)
	v_fma_f64 v[108:109], v[108:109], v[112:113], v[110:111]
	v_div_scale_f64 v[110:111], null, v[108:109], v[108:109], 1.0
	s_delay_alu instid0(VALU_DEP_1) | instskip(SKIP_2) | instid1(VALU_DEP_1)
	v_rcp_f64_e32 v[114:115], v[110:111]
	s_waitcnt_depctr 0xfff
	v_fma_f64 v[116:117], -v[110:111], v[114:115], 1.0
	v_fma_f64 v[114:115], v[114:115], v[116:117], v[114:115]
	s_delay_alu instid0(VALU_DEP_1) | instskip(NEXT) | instid1(VALU_DEP_1)
	v_fma_f64 v[116:117], -v[110:111], v[114:115], 1.0
	v_fma_f64 v[114:115], v[114:115], v[116:117], v[114:115]
	v_div_scale_f64 v[116:117], vcc_lo, 1.0, v[108:109], 1.0
	s_delay_alu instid0(VALU_DEP_1) | instskip(NEXT) | instid1(VALU_DEP_1)
	v_mul_f64 v[118:119], v[116:117], v[114:115]
	v_fma_f64 v[110:111], -v[110:111], v[118:119], v[116:117]
	s_delay_alu instid0(VALU_DEP_1) | instskip(NEXT) | instid1(VALU_DEP_1)
	v_div_fmas_f64 v[110:111], v[110:111], v[114:115], v[118:119]
	v_div_fixup_f64 v[114:115], v[110:111], v[108:109], 1.0
                                        ; implicit-def: $vgpr108_vgpr109
	s_delay_alu instid0(VALU_DEP_1)
	v_mul_f64 v[116:117], v[112:113], v[114:115]
	v_xor_b32_e32 v115, 0x80000000, v115
.LBB41_59:
	s_and_not1_saveexec_b32 s3, s3
	s_cbranch_execz .LBB41_61
; %bb.60:
	v_div_scale_f64 v[112:113], null, v[108:109], v[108:109], v[110:111]
	v_div_scale_f64 v[118:119], vcc_lo, v[110:111], v[108:109], v[110:111]
	s_delay_alu instid0(VALU_DEP_2) | instskip(SKIP_2) | instid1(VALU_DEP_1)
	v_rcp_f64_e32 v[114:115], v[112:113]
	s_waitcnt_depctr 0xfff
	v_fma_f64 v[116:117], -v[112:113], v[114:115], 1.0
	v_fma_f64 v[114:115], v[114:115], v[116:117], v[114:115]
	s_delay_alu instid0(VALU_DEP_1) | instskip(NEXT) | instid1(VALU_DEP_1)
	v_fma_f64 v[116:117], -v[112:113], v[114:115], 1.0
	v_fma_f64 v[114:115], v[114:115], v[116:117], v[114:115]
	s_delay_alu instid0(VALU_DEP_1) | instskip(NEXT) | instid1(VALU_DEP_1)
	v_mul_f64 v[116:117], v[118:119], v[114:115]
	v_fma_f64 v[112:113], -v[112:113], v[116:117], v[118:119]
	s_delay_alu instid0(VALU_DEP_1) | instskip(NEXT) | instid1(VALU_DEP_1)
	v_div_fmas_f64 v[112:113], v[112:113], v[114:115], v[116:117]
	v_div_fixup_f64 v[112:113], v[112:113], v[108:109], v[110:111]
	s_delay_alu instid0(VALU_DEP_1) | instskip(NEXT) | instid1(VALU_DEP_1)
	v_fma_f64 v[108:109], v[110:111], v[112:113], v[108:109]
	v_div_scale_f64 v[110:111], null, v[108:109], v[108:109], 1.0
	s_delay_alu instid0(VALU_DEP_1) | instskip(SKIP_2) | instid1(VALU_DEP_1)
	v_rcp_f64_e32 v[114:115], v[110:111]
	s_waitcnt_depctr 0xfff
	v_fma_f64 v[116:117], -v[110:111], v[114:115], 1.0
	v_fma_f64 v[114:115], v[114:115], v[116:117], v[114:115]
	s_delay_alu instid0(VALU_DEP_1) | instskip(NEXT) | instid1(VALU_DEP_1)
	v_fma_f64 v[116:117], -v[110:111], v[114:115], 1.0
	v_fma_f64 v[114:115], v[114:115], v[116:117], v[114:115]
	v_div_scale_f64 v[116:117], vcc_lo, 1.0, v[108:109], 1.0
	s_delay_alu instid0(VALU_DEP_1) | instskip(NEXT) | instid1(VALU_DEP_1)
	v_mul_f64 v[118:119], v[116:117], v[114:115]
	v_fma_f64 v[110:111], -v[110:111], v[118:119], v[116:117]
	s_delay_alu instid0(VALU_DEP_1) | instskip(NEXT) | instid1(VALU_DEP_1)
	v_div_fmas_f64 v[110:111], v[110:111], v[114:115], v[118:119]
	v_div_fixup_f64 v[116:117], v[110:111], v[108:109], 1.0
	s_delay_alu instid0(VALU_DEP_1)
	v_mul_f64 v[114:115], v[112:113], -v[116:117]
.LBB41_61:
	s_or_b32 exec_lo, exec_lo, s3
	ds_store_2addr_b64 v215, v[116:117], v[114:115] offset1:1
.LBB41_62:
	s_or_b32 exec_lo, exec_lo, s4
	s_waitcnt lgkmcnt(0)
	s_barrier
	buffer_gl0_inv
	ds_load_2addr_b64 v[108:111], v215 offset1:1
	s_mov_b32 s3, exec_lo
	v_cmpx_lt_u32_e32 6, v214
	s_cbranch_execz .LBB41_64
; %bb.63:
	s_waitcnt lgkmcnt(0)
	v_mul_f64 v[112:113], v[108:109], v[58:59]
	v_mul_f64 v[58:59], v[110:111], v[58:59]
	s_delay_alu instid0(VALU_DEP_2)
	v_fma_f64 v[120:121], v[110:111], v[56:57], v[112:113]
	ds_load_2addr_b64 v[112:115], v216 offset0:14 offset1:15
	ds_load_2addr_b64 v[116:119], v216 offset0:16 offset1:17
	v_fma_f64 v[56:57], v[108:109], v[56:57], -v[58:59]
	s_waitcnt lgkmcnt(1)
	v_mul_f64 v[58:59], v[114:115], v[120:121]
	s_delay_alu instid0(VALU_DEP_1) | instskip(SKIP_1) | instid1(VALU_DEP_2)
	v_fma_f64 v[58:59], v[112:113], v[56:57], -v[58:59]
	v_mul_f64 v[112:113], v[112:113], v[120:121]
	v_add_f64 v[52:53], v[52:53], -v[58:59]
	s_delay_alu instid0(VALU_DEP_2) | instskip(SKIP_3) | instid1(VALU_DEP_3)
	v_fma_f64 v[122:123], v[114:115], v[56:57], v[112:113]
	s_waitcnt lgkmcnt(0)
	v_mul_f64 v[112:113], v[118:119], v[120:121]
	v_dual_mov_b32 v58, v120 :: v_dual_mov_b32 v59, v121
	v_add_f64 v[54:55], v[54:55], -v[122:123]
	s_delay_alu instid0(VALU_DEP_3) | instskip(SKIP_1) | instid1(VALU_DEP_2)
	v_fma_f64 v[124:125], v[116:117], v[56:57], -v[112:113]
	v_mul_f64 v[112:113], v[116:117], v[120:121]
	v_add_f64 v[48:49], v[48:49], -v[124:125]
	s_delay_alu instid0(VALU_DEP_2)
	v_fma_f64 v[126:127], v[118:119], v[56:57], v[112:113]
	ds_load_2addr_b64 v[112:115], v216 offset0:18 offset1:19
	ds_load_2addr_b64 v[116:119], v216 offset0:20 offset1:21
	s_waitcnt lgkmcnt(1)
	v_mul_f64 v[128:129], v[114:115], v[120:121]
	v_add_f64 v[50:51], v[50:51], -v[126:127]
	s_delay_alu instid0(VALU_DEP_2) | instskip(SKIP_1) | instid1(VALU_DEP_2)
	v_fma_f64 v[128:129], v[112:113], v[56:57], -v[128:129]
	v_mul_f64 v[112:113], v[112:113], v[120:121]
	v_add_f64 v[44:45], v[44:45], -v[128:129]
	s_delay_alu instid0(VALU_DEP_2) | instskip(SKIP_2) | instid1(VALU_DEP_2)
	v_fma_f64 v[130:131], v[114:115], v[56:57], v[112:113]
	s_waitcnt lgkmcnt(0)
	v_mul_f64 v[112:113], v[118:119], v[120:121]
	v_add_f64 v[46:47], v[46:47], -v[130:131]
	s_delay_alu instid0(VALU_DEP_2) | instskip(SKIP_1) | instid1(VALU_DEP_2)
	v_fma_f64 v[132:133], v[116:117], v[56:57], -v[112:113]
	v_mul_f64 v[112:113], v[116:117], v[120:121]
	v_add_f64 v[40:41], v[40:41], -v[132:133]
	s_delay_alu instid0(VALU_DEP_2)
	v_fma_f64 v[134:135], v[118:119], v[56:57], v[112:113]
	ds_load_2addr_b64 v[112:115], v216 offset0:22 offset1:23
	ds_load_2addr_b64 v[116:119], v216 offset0:24 offset1:25
	s_waitcnt lgkmcnt(1)
	v_mul_f64 v[136:137], v[114:115], v[120:121]
	v_add_f64 v[42:43], v[42:43], -v[134:135]
	s_delay_alu instid0(VALU_DEP_2) | instskip(SKIP_1) | instid1(VALU_DEP_2)
	v_fma_f64 v[136:137], v[112:113], v[56:57], -v[136:137]
	v_mul_f64 v[112:113], v[112:113], v[120:121]
	v_add_f64 v[36:37], v[36:37], -v[136:137]
	s_delay_alu instid0(VALU_DEP_2) | instskip(SKIP_2) | instid1(VALU_DEP_2)
	v_fma_f64 v[138:139], v[114:115], v[56:57], v[112:113]
	s_waitcnt lgkmcnt(0)
	v_mul_f64 v[112:113], v[118:119], v[120:121]
	v_add_f64 v[38:39], v[38:39], -v[138:139]
	s_delay_alu instid0(VALU_DEP_2) | instskip(SKIP_1) | instid1(VALU_DEP_2)
	;; [unrolled: 20-line block ×6, first 2 shown]
	v_fma_f64 v[114:115], v[116:117], v[56:57], -v[114:115]
	v_mul_f64 v[116:117], v[116:117], v[120:121]
	v_add_f64 v[0:1], v[0:1], -v[114:115]
	s_delay_alu instid0(VALU_DEP_2) | instskip(NEXT) | instid1(VALU_DEP_1)
	v_fma_f64 v[116:117], v[118:119], v[56:57], v[116:117]
	v_add_f64 v[2:3], v[2:3], -v[116:117]
.LBB41_64:
	s_or_b32 exec_lo, exec_lo, s3
	s_delay_alu instid0(SALU_CYCLE_1)
	s_mov_b32 s4, exec_lo
	s_waitcnt lgkmcnt(0)
	s_barrier
	buffer_gl0_inv
	v_cmpx_eq_u32_e32 7, v214
	s_cbranch_execz .LBB41_71
; %bb.65:
	ds_store_2addr_b64 v215, v[52:53], v[54:55] offset1:1
	ds_store_2addr_b64 v216, v[48:49], v[50:51] offset0:16 offset1:17
	ds_store_2addr_b64 v216, v[44:45], v[46:47] offset0:18 offset1:19
	;; [unrolled: 1-line block ×13, first 2 shown]
	ds_load_2addr_b64 v[112:115], v215 offset1:1
	s_waitcnt lgkmcnt(0)
	v_cmp_neq_f64_e32 vcc_lo, 0, v[112:113]
	v_cmp_neq_f64_e64 s3, 0, v[114:115]
	s_delay_alu instid0(VALU_DEP_1) | instskip(NEXT) | instid1(SALU_CYCLE_1)
	s_or_b32 s3, vcc_lo, s3
	s_and_b32 exec_lo, exec_lo, s3
	s_cbranch_execz .LBB41_71
; %bb.66:
	v_cmp_gt_f64_e32 vcc_lo, 0, v[112:113]
	v_cmp_gt_f64_e64 s3, 0, v[114:115]
	v_xor_b32_e32 v116, 0x80000000, v113
	v_xor_b32_e32 v118, 0x80000000, v115
                                        ; implicit-def: $vgpr120_vgpr121
	s_delay_alu instid0(VALU_DEP_2) | instskip(NEXT) | instid1(VALU_DEP_2)
	v_cndmask_b32_e32 v117, v113, v116, vcc_lo
	v_cndmask_b32_e64 v119, v115, v118, s3
	v_cndmask_b32_e32 v116, v112, v112, vcc_lo
	v_cndmask_b32_e64 v118, v114, v114, s3
	s_mov_b32 s3, exec_lo
	s_delay_alu instid0(VALU_DEP_1)
	v_cmpx_ngt_f64_e32 v[116:117], v[118:119]
	s_xor_b32 s3, exec_lo, s3
                                        ; implicit-def: $vgpr116_vgpr117_vgpr118_vgpr119
	s_cbranch_execz .LBB41_68
; %bb.67:
	v_div_scale_f64 v[116:117], null, v[114:115], v[114:115], v[112:113]
	v_div_scale_f64 v[122:123], vcc_lo, v[112:113], v[114:115], v[112:113]
	s_delay_alu instid0(VALU_DEP_2) | instskip(SKIP_2) | instid1(VALU_DEP_1)
	v_rcp_f64_e32 v[118:119], v[116:117]
	s_waitcnt_depctr 0xfff
	v_fma_f64 v[120:121], -v[116:117], v[118:119], 1.0
	v_fma_f64 v[118:119], v[118:119], v[120:121], v[118:119]
	s_delay_alu instid0(VALU_DEP_1) | instskip(NEXT) | instid1(VALU_DEP_1)
	v_fma_f64 v[120:121], -v[116:117], v[118:119], 1.0
	v_fma_f64 v[118:119], v[118:119], v[120:121], v[118:119]
	s_delay_alu instid0(VALU_DEP_1) | instskip(NEXT) | instid1(VALU_DEP_1)
	v_mul_f64 v[120:121], v[122:123], v[118:119]
	v_fma_f64 v[116:117], -v[116:117], v[120:121], v[122:123]
	s_delay_alu instid0(VALU_DEP_1) | instskip(NEXT) | instid1(VALU_DEP_1)
	v_div_fmas_f64 v[116:117], v[116:117], v[118:119], v[120:121]
	v_div_fixup_f64 v[116:117], v[116:117], v[114:115], v[112:113]
	s_delay_alu instid0(VALU_DEP_1) | instskip(NEXT) | instid1(VALU_DEP_1)
	v_fma_f64 v[112:113], v[112:113], v[116:117], v[114:115]
	v_div_scale_f64 v[114:115], null, v[112:113], v[112:113], 1.0
	s_delay_alu instid0(VALU_DEP_1) | instskip(SKIP_2) | instid1(VALU_DEP_1)
	v_rcp_f64_e32 v[118:119], v[114:115]
	s_waitcnt_depctr 0xfff
	v_fma_f64 v[120:121], -v[114:115], v[118:119], 1.0
	v_fma_f64 v[118:119], v[118:119], v[120:121], v[118:119]
	s_delay_alu instid0(VALU_DEP_1) | instskip(NEXT) | instid1(VALU_DEP_1)
	v_fma_f64 v[120:121], -v[114:115], v[118:119], 1.0
	v_fma_f64 v[118:119], v[118:119], v[120:121], v[118:119]
	v_div_scale_f64 v[120:121], vcc_lo, 1.0, v[112:113], 1.0
	s_delay_alu instid0(VALU_DEP_1) | instskip(NEXT) | instid1(VALU_DEP_1)
	v_mul_f64 v[122:123], v[120:121], v[118:119]
	v_fma_f64 v[114:115], -v[114:115], v[122:123], v[120:121]
	s_delay_alu instid0(VALU_DEP_1) | instskip(NEXT) | instid1(VALU_DEP_1)
	v_div_fmas_f64 v[114:115], v[114:115], v[118:119], v[122:123]
	v_div_fixup_f64 v[118:119], v[114:115], v[112:113], 1.0
                                        ; implicit-def: $vgpr112_vgpr113
	s_delay_alu instid0(VALU_DEP_1)
	v_mul_f64 v[120:121], v[116:117], v[118:119]
	v_xor_b32_e32 v119, 0x80000000, v119
.LBB41_68:
	s_and_not1_saveexec_b32 s3, s3
	s_cbranch_execz .LBB41_70
; %bb.69:
	v_div_scale_f64 v[116:117], null, v[112:113], v[112:113], v[114:115]
	v_div_scale_f64 v[122:123], vcc_lo, v[114:115], v[112:113], v[114:115]
	s_delay_alu instid0(VALU_DEP_2) | instskip(SKIP_2) | instid1(VALU_DEP_1)
	v_rcp_f64_e32 v[118:119], v[116:117]
	s_waitcnt_depctr 0xfff
	v_fma_f64 v[120:121], -v[116:117], v[118:119], 1.0
	v_fma_f64 v[118:119], v[118:119], v[120:121], v[118:119]
	s_delay_alu instid0(VALU_DEP_1) | instskip(NEXT) | instid1(VALU_DEP_1)
	v_fma_f64 v[120:121], -v[116:117], v[118:119], 1.0
	v_fma_f64 v[118:119], v[118:119], v[120:121], v[118:119]
	s_delay_alu instid0(VALU_DEP_1) | instskip(NEXT) | instid1(VALU_DEP_1)
	v_mul_f64 v[120:121], v[122:123], v[118:119]
	v_fma_f64 v[116:117], -v[116:117], v[120:121], v[122:123]
	s_delay_alu instid0(VALU_DEP_1) | instskip(NEXT) | instid1(VALU_DEP_1)
	v_div_fmas_f64 v[116:117], v[116:117], v[118:119], v[120:121]
	v_div_fixup_f64 v[116:117], v[116:117], v[112:113], v[114:115]
	s_delay_alu instid0(VALU_DEP_1) | instskip(NEXT) | instid1(VALU_DEP_1)
	v_fma_f64 v[112:113], v[114:115], v[116:117], v[112:113]
	v_div_scale_f64 v[114:115], null, v[112:113], v[112:113], 1.0
	s_delay_alu instid0(VALU_DEP_1) | instskip(SKIP_2) | instid1(VALU_DEP_1)
	v_rcp_f64_e32 v[118:119], v[114:115]
	s_waitcnt_depctr 0xfff
	v_fma_f64 v[120:121], -v[114:115], v[118:119], 1.0
	v_fma_f64 v[118:119], v[118:119], v[120:121], v[118:119]
	s_delay_alu instid0(VALU_DEP_1) | instskip(NEXT) | instid1(VALU_DEP_1)
	v_fma_f64 v[120:121], -v[114:115], v[118:119], 1.0
	v_fma_f64 v[118:119], v[118:119], v[120:121], v[118:119]
	v_div_scale_f64 v[120:121], vcc_lo, 1.0, v[112:113], 1.0
	s_delay_alu instid0(VALU_DEP_1) | instskip(NEXT) | instid1(VALU_DEP_1)
	v_mul_f64 v[122:123], v[120:121], v[118:119]
	v_fma_f64 v[114:115], -v[114:115], v[122:123], v[120:121]
	s_delay_alu instid0(VALU_DEP_1) | instskip(NEXT) | instid1(VALU_DEP_1)
	v_div_fmas_f64 v[114:115], v[114:115], v[118:119], v[122:123]
	v_div_fixup_f64 v[120:121], v[114:115], v[112:113], 1.0
	s_delay_alu instid0(VALU_DEP_1)
	v_mul_f64 v[118:119], v[116:117], -v[120:121]
.LBB41_70:
	s_or_b32 exec_lo, exec_lo, s3
	ds_store_2addr_b64 v215, v[120:121], v[118:119] offset1:1
.LBB41_71:
	s_or_b32 exec_lo, exec_lo, s4
	s_waitcnt lgkmcnt(0)
	s_barrier
	buffer_gl0_inv
	ds_load_2addr_b64 v[112:115], v215 offset1:1
	s_mov_b32 s3, exec_lo
	v_cmpx_lt_u32_e32 7, v214
	s_cbranch_execz .LBB41_73
; %bb.72:
	s_waitcnt lgkmcnt(0)
	v_mul_f64 v[116:117], v[112:113], v[54:55]
	v_mul_f64 v[54:55], v[114:115], v[54:55]
	s_delay_alu instid0(VALU_DEP_2)
	v_fma_f64 v[124:125], v[114:115], v[52:53], v[116:117]
	ds_load_2addr_b64 v[116:119], v216 offset0:16 offset1:17
	ds_load_2addr_b64 v[120:123], v216 offset0:18 offset1:19
	v_fma_f64 v[52:53], v[112:113], v[52:53], -v[54:55]
	s_waitcnt lgkmcnt(1)
	v_mul_f64 v[54:55], v[118:119], v[124:125]
	s_delay_alu instid0(VALU_DEP_1) | instskip(SKIP_1) | instid1(VALU_DEP_2)
	v_fma_f64 v[54:55], v[116:117], v[52:53], -v[54:55]
	v_mul_f64 v[116:117], v[116:117], v[124:125]
	v_add_f64 v[48:49], v[48:49], -v[54:55]
	s_delay_alu instid0(VALU_DEP_2) | instskip(SKIP_3) | instid1(VALU_DEP_3)
	v_fma_f64 v[126:127], v[118:119], v[52:53], v[116:117]
	s_waitcnt lgkmcnt(0)
	v_mul_f64 v[116:117], v[122:123], v[124:125]
	v_dual_mov_b32 v54, v124 :: v_dual_mov_b32 v55, v125
	v_add_f64 v[50:51], v[50:51], -v[126:127]
	s_delay_alu instid0(VALU_DEP_3) | instskip(SKIP_1) | instid1(VALU_DEP_2)
	v_fma_f64 v[128:129], v[120:121], v[52:53], -v[116:117]
	v_mul_f64 v[116:117], v[120:121], v[124:125]
	v_add_f64 v[44:45], v[44:45], -v[128:129]
	s_delay_alu instid0(VALU_DEP_2)
	v_fma_f64 v[130:131], v[122:123], v[52:53], v[116:117]
	ds_load_2addr_b64 v[116:119], v216 offset0:20 offset1:21
	ds_load_2addr_b64 v[120:123], v216 offset0:22 offset1:23
	s_waitcnt lgkmcnt(1)
	v_mul_f64 v[132:133], v[118:119], v[124:125]
	v_add_f64 v[46:47], v[46:47], -v[130:131]
	s_delay_alu instid0(VALU_DEP_2) | instskip(SKIP_1) | instid1(VALU_DEP_2)
	v_fma_f64 v[132:133], v[116:117], v[52:53], -v[132:133]
	v_mul_f64 v[116:117], v[116:117], v[124:125]
	v_add_f64 v[40:41], v[40:41], -v[132:133]
	s_delay_alu instid0(VALU_DEP_2) | instskip(SKIP_2) | instid1(VALU_DEP_2)
	v_fma_f64 v[134:135], v[118:119], v[52:53], v[116:117]
	s_waitcnt lgkmcnt(0)
	v_mul_f64 v[116:117], v[122:123], v[124:125]
	v_add_f64 v[42:43], v[42:43], -v[134:135]
	s_delay_alu instid0(VALU_DEP_2) | instskip(SKIP_1) | instid1(VALU_DEP_2)
	v_fma_f64 v[136:137], v[120:121], v[52:53], -v[116:117]
	v_mul_f64 v[116:117], v[120:121], v[124:125]
	v_add_f64 v[36:37], v[36:37], -v[136:137]
	s_delay_alu instid0(VALU_DEP_2)
	v_fma_f64 v[138:139], v[122:123], v[52:53], v[116:117]
	ds_load_2addr_b64 v[116:119], v216 offset0:24 offset1:25
	ds_load_2addr_b64 v[120:123], v216 offset0:26 offset1:27
	s_waitcnt lgkmcnt(1)
	v_mul_f64 v[140:141], v[118:119], v[124:125]
	v_add_f64 v[38:39], v[38:39], -v[138:139]
	s_delay_alu instid0(VALU_DEP_2) | instskip(SKIP_1) | instid1(VALU_DEP_2)
	v_fma_f64 v[140:141], v[116:117], v[52:53], -v[140:141]
	v_mul_f64 v[116:117], v[116:117], v[124:125]
	v_add_f64 v[32:33], v[32:33], -v[140:141]
	s_delay_alu instid0(VALU_DEP_2) | instskip(SKIP_2) | instid1(VALU_DEP_2)
	v_fma_f64 v[142:143], v[118:119], v[52:53], v[116:117]
	s_waitcnt lgkmcnt(0)
	v_mul_f64 v[116:117], v[122:123], v[124:125]
	v_add_f64 v[34:35], v[34:35], -v[142:143]
	s_delay_alu instid0(VALU_DEP_2) | instskip(SKIP_1) | instid1(VALU_DEP_2)
	v_fma_f64 v[144:145], v[120:121], v[52:53], -v[116:117]
	v_mul_f64 v[116:117], v[120:121], v[124:125]
	v_add_f64 v[28:29], v[28:29], -v[144:145]
	s_delay_alu instid0(VALU_DEP_2)
	v_fma_f64 v[146:147], v[122:123], v[52:53], v[116:117]
	ds_load_2addr_b64 v[116:119], v216 offset0:28 offset1:29
	ds_load_2addr_b64 v[120:123], v216 offset0:30 offset1:31
	s_waitcnt lgkmcnt(1)
	v_mul_f64 v[148:149], v[118:119], v[124:125]
	v_add_f64 v[30:31], v[30:31], -v[146:147]
	s_delay_alu instid0(VALU_DEP_2) | instskip(SKIP_1) | instid1(VALU_DEP_2)
	v_fma_f64 v[148:149], v[116:117], v[52:53], -v[148:149]
	v_mul_f64 v[116:117], v[116:117], v[124:125]
	v_add_f64 v[24:25], v[24:25], -v[148:149]
	s_delay_alu instid0(VALU_DEP_2) | instskip(SKIP_2) | instid1(VALU_DEP_2)
	v_fma_f64 v[150:151], v[118:119], v[52:53], v[116:117]
	s_waitcnt lgkmcnt(0)
	v_mul_f64 v[116:117], v[122:123], v[124:125]
	v_add_f64 v[26:27], v[26:27], -v[150:151]
	s_delay_alu instid0(VALU_DEP_2) | instskip(SKIP_1) | instid1(VALU_DEP_2)
	v_fma_f64 v[152:153], v[120:121], v[52:53], -v[116:117]
	v_mul_f64 v[116:117], v[120:121], v[124:125]
	v_add_f64 v[20:21], v[20:21], -v[152:153]
	s_delay_alu instid0(VALU_DEP_2)
	v_fma_f64 v[154:155], v[122:123], v[52:53], v[116:117]
	ds_load_2addr_b64 v[116:119], v216 offset0:32 offset1:33
	ds_load_2addr_b64 v[120:123], v216 offset0:34 offset1:35
	s_waitcnt lgkmcnt(1)
	v_mul_f64 v[156:157], v[118:119], v[124:125]
	v_add_f64 v[22:23], v[22:23], -v[154:155]
	s_delay_alu instid0(VALU_DEP_2) | instskip(SKIP_1) | instid1(VALU_DEP_2)
	v_fma_f64 v[156:157], v[116:117], v[52:53], -v[156:157]
	v_mul_f64 v[116:117], v[116:117], v[124:125]
	v_add_f64 v[16:17], v[16:17], -v[156:157]
	s_delay_alu instid0(VALU_DEP_2) | instskip(SKIP_2) | instid1(VALU_DEP_2)
	v_fma_f64 v[158:159], v[118:119], v[52:53], v[116:117]
	s_waitcnt lgkmcnt(0)
	v_mul_f64 v[116:117], v[122:123], v[124:125]
	v_add_f64 v[18:19], v[18:19], -v[158:159]
	s_delay_alu instid0(VALU_DEP_2) | instskip(SKIP_1) | instid1(VALU_DEP_2)
	v_fma_f64 v[160:161], v[120:121], v[52:53], -v[116:117]
	v_mul_f64 v[116:117], v[120:121], v[124:125]
	v_add_f64 v[12:13], v[12:13], -v[160:161]
	s_delay_alu instid0(VALU_DEP_2)
	v_fma_f64 v[162:163], v[122:123], v[52:53], v[116:117]
	ds_load_2addr_b64 v[116:119], v216 offset0:36 offset1:37
	ds_load_2addr_b64 v[120:123], v216 offset0:38 offset1:39
	s_waitcnt lgkmcnt(1)
	v_mul_f64 v[164:165], v[118:119], v[124:125]
	v_add_f64 v[14:15], v[14:15], -v[162:163]
	s_delay_alu instid0(VALU_DEP_2) | instskip(SKIP_1) | instid1(VALU_DEP_2)
	v_fma_f64 v[164:165], v[116:117], v[52:53], -v[164:165]
	v_mul_f64 v[116:117], v[116:117], v[124:125]
	v_add_f64 v[8:9], v[8:9], -v[164:165]
	s_delay_alu instid0(VALU_DEP_2) | instskip(SKIP_2) | instid1(VALU_DEP_2)
	v_fma_f64 v[166:167], v[118:119], v[52:53], v[116:117]
	s_waitcnt lgkmcnt(0)
	v_mul_f64 v[116:117], v[122:123], v[124:125]
	v_add_f64 v[10:11], v[10:11], -v[166:167]
	s_delay_alu instid0(VALU_DEP_2) | instskip(SKIP_1) | instid1(VALU_DEP_2)
	v_fma_f64 v[212:213], v[120:121], v[52:53], -v[116:117]
	v_mul_f64 v[116:117], v[120:121], v[124:125]
	v_add_f64 v[4:5], v[4:5], -v[212:213]
	s_delay_alu instid0(VALU_DEP_2) | instskip(SKIP_4) | instid1(VALU_DEP_2)
	v_fma_f64 v[120:121], v[122:123], v[52:53], v[116:117]
	ds_load_2addr_b64 v[116:119], v216 offset0:40 offset1:41
	s_waitcnt lgkmcnt(0)
	v_mul_f64 v[122:123], v[118:119], v[124:125]
	v_add_f64 v[6:7], v[6:7], -v[120:121]
	v_fma_f64 v[122:123], v[116:117], v[52:53], -v[122:123]
	v_mul_f64 v[116:117], v[116:117], v[124:125]
	s_delay_alu instid0(VALU_DEP_2) | instskip(NEXT) | instid1(VALU_DEP_2)
	v_add_f64 v[0:1], v[0:1], -v[122:123]
	v_fma_f64 v[116:117], v[118:119], v[52:53], v[116:117]
	s_delay_alu instid0(VALU_DEP_1)
	v_add_f64 v[2:3], v[2:3], -v[116:117]
.LBB41_73:
	s_or_b32 exec_lo, exec_lo, s3
	s_delay_alu instid0(SALU_CYCLE_1)
	s_mov_b32 s4, exec_lo
	s_waitcnt lgkmcnt(0)
	s_barrier
	buffer_gl0_inv
	v_cmpx_eq_u32_e32 8, v214
	s_cbranch_execz .LBB41_80
; %bb.74:
	ds_store_2addr_b64 v215, v[48:49], v[50:51] offset1:1
	ds_store_2addr_b64 v216, v[44:45], v[46:47] offset0:18 offset1:19
	ds_store_2addr_b64 v216, v[40:41], v[42:43] offset0:20 offset1:21
	;; [unrolled: 1-line block ×12, first 2 shown]
	ds_load_2addr_b64 v[116:119], v215 offset1:1
	s_waitcnt lgkmcnt(0)
	v_cmp_neq_f64_e32 vcc_lo, 0, v[116:117]
	v_cmp_neq_f64_e64 s3, 0, v[118:119]
	s_delay_alu instid0(VALU_DEP_1) | instskip(NEXT) | instid1(SALU_CYCLE_1)
	s_or_b32 s3, vcc_lo, s3
	s_and_b32 exec_lo, exec_lo, s3
	s_cbranch_execz .LBB41_80
; %bb.75:
	v_cmp_gt_f64_e32 vcc_lo, 0, v[116:117]
	v_cmp_gt_f64_e64 s3, 0, v[118:119]
	v_xor_b32_e32 v120, 0x80000000, v117
	v_xor_b32_e32 v122, 0x80000000, v119
                                        ; implicit-def: $vgpr124_vgpr125
	s_delay_alu instid0(VALU_DEP_2) | instskip(NEXT) | instid1(VALU_DEP_2)
	v_cndmask_b32_e32 v121, v117, v120, vcc_lo
	v_cndmask_b32_e64 v123, v119, v122, s3
	v_cndmask_b32_e32 v120, v116, v116, vcc_lo
	v_cndmask_b32_e64 v122, v118, v118, s3
	s_mov_b32 s3, exec_lo
	s_delay_alu instid0(VALU_DEP_1)
	v_cmpx_ngt_f64_e32 v[120:121], v[122:123]
	s_xor_b32 s3, exec_lo, s3
                                        ; implicit-def: $vgpr120_vgpr121_vgpr122_vgpr123
	s_cbranch_execz .LBB41_77
; %bb.76:
	v_div_scale_f64 v[120:121], null, v[118:119], v[118:119], v[116:117]
	v_div_scale_f64 v[126:127], vcc_lo, v[116:117], v[118:119], v[116:117]
	s_delay_alu instid0(VALU_DEP_2) | instskip(SKIP_2) | instid1(VALU_DEP_1)
	v_rcp_f64_e32 v[122:123], v[120:121]
	s_waitcnt_depctr 0xfff
	v_fma_f64 v[124:125], -v[120:121], v[122:123], 1.0
	v_fma_f64 v[122:123], v[122:123], v[124:125], v[122:123]
	s_delay_alu instid0(VALU_DEP_1) | instskip(NEXT) | instid1(VALU_DEP_1)
	v_fma_f64 v[124:125], -v[120:121], v[122:123], 1.0
	v_fma_f64 v[122:123], v[122:123], v[124:125], v[122:123]
	s_delay_alu instid0(VALU_DEP_1) | instskip(NEXT) | instid1(VALU_DEP_1)
	v_mul_f64 v[124:125], v[126:127], v[122:123]
	v_fma_f64 v[120:121], -v[120:121], v[124:125], v[126:127]
	s_delay_alu instid0(VALU_DEP_1) | instskip(NEXT) | instid1(VALU_DEP_1)
	v_div_fmas_f64 v[120:121], v[120:121], v[122:123], v[124:125]
	v_div_fixup_f64 v[120:121], v[120:121], v[118:119], v[116:117]
	s_delay_alu instid0(VALU_DEP_1) | instskip(NEXT) | instid1(VALU_DEP_1)
	v_fma_f64 v[116:117], v[116:117], v[120:121], v[118:119]
	v_div_scale_f64 v[118:119], null, v[116:117], v[116:117], 1.0
	s_delay_alu instid0(VALU_DEP_1) | instskip(SKIP_2) | instid1(VALU_DEP_1)
	v_rcp_f64_e32 v[122:123], v[118:119]
	s_waitcnt_depctr 0xfff
	v_fma_f64 v[124:125], -v[118:119], v[122:123], 1.0
	v_fma_f64 v[122:123], v[122:123], v[124:125], v[122:123]
	s_delay_alu instid0(VALU_DEP_1) | instskip(NEXT) | instid1(VALU_DEP_1)
	v_fma_f64 v[124:125], -v[118:119], v[122:123], 1.0
	v_fma_f64 v[122:123], v[122:123], v[124:125], v[122:123]
	v_div_scale_f64 v[124:125], vcc_lo, 1.0, v[116:117], 1.0
	s_delay_alu instid0(VALU_DEP_1) | instskip(NEXT) | instid1(VALU_DEP_1)
	v_mul_f64 v[126:127], v[124:125], v[122:123]
	v_fma_f64 v[118:119], -v[118:119], v[126:127], v[124:125]
	s_delay_alu instid0(VALU_DEP_1) | instskip(NEXT) | instid1(VALU_DEP_1)
	v_div_fmas_f64 v[118:119], v[118:119], v[122:123], v[126:127]
	v_div_fixup_f64 v[122:123], v[118:119], v[116:117], 1.0
                                        ; implicit-def: $vgpr116_vgpr117
	s_delay_alu instid0(VALU_DEP_1)
	v_mul_f64 v[124:125], v[120:121], v[122:123]
	v_xor_b32_e32 v123, 0x80000000, v123
.LBB41_77:
	s_and_not1_saveexec_b32 s3, s3
	s_cbranch_execz .LBB41_79
; %bb.78:
	v_div_scale_f64 v[120:121], null, v[116:117], v[116:117], v[118:119]
	v_div_scale_f64 v[126:127], vcc_lo, v[118:119], v[116:117], v[118:119]
	s_delay_alu instid0(VALU_DEP_2) | instskip(SKIP_2) | instid1(VALU_DEP_1)
	v_rcp_f64_e32 v[122:123], v[120:121]
	s_waitcnt_depctr 0xfff
	v_fma_f64 v[124:125], -v[120:121], v[122:123], 1.0
	v_fma_f64 v[122:123], v[122:123], v[124:125], v[122:123]
	s_delay_alu instid0(VALU_DEP_1) | instskip(NEXT) | instid1(VALU_DEP_1)
	v_fma_f64 v[124:125], -v[120:121], v[122:123], 1.0
	v_fma_f64 v[122:123], v[122:123], v[124:125], v[122:123]
	s_delay_alu instid0(VALU_DEP_1) | instskip(NEXT) | instid1(VALU_DEP_1)
	v_mul_f64 v[124:125], v[126:127], v[122:123]
	v_fma_f64 v[120:121], -v[120:121], v[124:125], v[126:127]
	s_delay_alu instid0(VALU_DEP_1) | instskip(NEXT) | instid1(VALU_DEP_1)
	v_div_fmas_f64 v[120:121], v[120:121], v[122:123], v[124:125]
	v_div_fixup_f64 v[120:121], v[120:121], v[116:117], v[118:119]
	s_delay_alu instid0(VALU_DEP_1) | instskip(NEXT) | instid1(VALU_DEP_1)
	v_fma_f64 v[116:117], v[118:119], v[120:121], v[116:117]
	v_div_scale_f64 v[118:119], null, v[116:117], v[116:117], 1.0
	s_delay_alu instid0(VALU_DEP_1) | instskip(SKIP_2) | instid1(VALU_DEP_1)
	v_rcp_f64_e32 v[122:123], v[118:119]
	s_waitcnt_depctr 0xfff
	v_fma_f64 v[124:125], -v[118:119], v[122:123], 1.0
	v_fma_f64 v[122:123], v[122:123], v[124:125], v[122:123]
	s_delay_alu instid0(VALU_DEP_1) | instskip(NEXT) | instid1(VALU_DEP_1)
	v_fma_f64 v[124:125], -v[118:119], v[122:123], 1.0
	v_fma_f64 v[122:123], v[122:123], v[124:125], v[122:123]
	v_div_scale_f64 v[124:125], vcc_lo, 1.0, v[116:117], 1.0
	s_delay_alu instid0(VALU_DEP_1) | instskip(NEXT) | instid1(VALU_DEP_1)
	v_mul_f64 v[126:127], v[124:125], v[122:123]
	v_fma_f64 v[118:119], -v[118:119], v[126:127], v[124:125]
	s_delay_alu instid0(VALU_DEP_1) | instskip(NEXT) | instid1(VALU_DEP_1)
	v_div_fmas_f64 v[118:119], v[118:119], v[122:123], v[126:127]
	v_div_fixup_f64 v[124:125], v[118:119], v[116:117], 1.0
	s_delay_alu instid0(VALU_DEP_1)
	v_mul_f64 v[122:123], v[120:121], -v[124:125]
.LBB41_79:
	s_or_b32 exec_lo, exec_lo, s3
	ds_store_2addr_b64 v215, v[124:125], v[122:123] offset1:1
.LBB41_80:
	s_or_b32 exec_lo, exec_lo, s4
	s_waitcnt lgkmcnt(0)
	s_barrier
	buffer_gl0_inv
	ds_load_2addr_b64 v[116:119], v215 offset1:1
	s_mov_b32 s3, exec_lo
	v_cmpx_lt_u32_e32 8, v214
	s_cbranch_execz .LBB41_82
; %bb.81:
	s_waitcnt lgkmcnt(0)
	v_mul_f64 v[120:121], v[116:117], v[50:51]
	v_mul_f64 v[50:51], v[118:119], v[50:51]
	s_delay_alu instid0(VALU_DEP_2)
	v_fma_f64 v[128:129], v[118:119], v[48:49], v[120:121]
	ds_load_2addr_b64 v[120:123], v216 offset0:18 offset1:19
	ds_load_2addr_b64 v[124:127], v216 offset0:20 offset1:21
	v_fma_f64 v[48:49], v[116:117], v[48:49], -v[50:51]
	s_waitcnt lgkmcnt(1)
	v_mul_f64 v[50:51], v[122:123], v[128:129]
	s_delay_alu instid0(VALU_DEP_1) | instskip(SKIP_1) | instid1(VALU_DEP_2)
	v_fma_f64 v[50:51], v[120:121], v[48:49], -v[50:51]
	v_mul_f64 v[120:121], v[120:121], v[128:129]
	v_add_f64 v[44:45], v[44:45], -v[50:51]
	s_delay_alu instid0(VALU_DEP_2) | instskip(SKIP_3) | instid1(VALU_DEP_3)
	v_fma_f64 v[130:131], v[122:123], v[48:49], v[120:121]
	s_waitcnt lgkmcnt(0)
	v_mul_f64 v[120:121], v[126:127], v[128:129]
	v_dual_mov_b32 v50, v128 :: v_dual_mov_b32 v51, v129
	v_add_f64 v[46:47], v[46:47], -v[130:131]
	s_delay_alu instid0(VALU_DEP_3) | instskip(SKIP_1) | instid1(VALU_DEP_2)
	v_fma_f64 v[132:133], v[124:125], v[48:49], -v[120:121]
	v_mul_f64 v[120:121], v[124:125], v[128:129]
	v_add_f64 v[40:41], v[40:41], -v[132:133]
	s_delay_alu instid0(VALU_DEP_2)
	v_fma_f64 v[134:135], v[126:127], v[48:49], v[120:121]
	ds_load_2addr_b64 v[120:123], v216 offset0:22 offset1:23
	ds_load_2addr_b64 v[124:127], v216 offset0:24 offset1:25
	s_waitcnt lgkmcnt(1)
	v_mul_f64 v[136:137], v[122:123], v[128:129]
	v_add_f64 v[42:43], v[42:43], -v[134:135]
	s_delay_alu instid0(VALU_DEP_2) | instskip(SKIP_1) | instid1(VALU_DEP_2)
	v_fma_f64 v[136:137], v[120:121], v[48:49], -v[136:137]
	v_mul_f64 v[120:121], v[120:121], v[128:129]
	v_add_f64 v[36:37], v[36:37], -v[136:137]
	s_delay_alu instid0(VALU_DEP_2) | instskip(SKIP_2) | instid1(VALU_DEP_2)
	v_fma_f64 v[138:139], v[122:123], v[48:49], v[120:121]
	s_waitcnt lgkmcnt(0)
	v_mul_f64 v[120:121], v[126:127], v[128:129]
	v_add_f64 v[38:39], v[38:39], -v[138:139]
	s_delay_alu instid0(VALU_DEP_2) | instskip(SKIP_1) | instid1(VALU_DEP_2)
	v_fma_f64 v[140:141], v[124:125], v[48:49], -v[120:121]
	v_mul_f64 v[120:121], v[124:125], v[128:129]
	v_add_f64 v[32:33], v[32:33], -v[140:141]
	s_delay_alu instid0(VALU_DEP_2)
	v_fma_f64 v[142:143], v[126:127], v[48:49], v[120:121]
	ds_load_2addr_b64 v[120:123], v216 offset0:26 offset1:27
	ds_load_2addr_b64 v[124:127], v216 offset0:28 offset1:29
	s_waitcnt lgkmcnt(1)
	v_mul_f64 v[144:145], v[122:123], v[128:129]
	v_add_f64 v[34:35], v[34:35], -v[142:143]
	s_delay_alu instid0(VALU_DEP_2) | instskip(SKIP_1) | instid1(VALU_DEP_2)
	v_fma_f64 v[144:145], v[120:121], v[48:49], -v[144:145]
	v_mul_f64 v[120:121], v[120:121], v[128:129]
	v_add_f64 v[28:29], v[28:29], -v[144:145]
	s_delay_alu instid0(VALU_DEP_2) | instskip(SKIP_2) | instid1(VALU_DEP_2)
	v_fma_f64 v[146:147], v[122:123], v[48:49], v[120:121]
	s_waitcnt lgkmcnt(0)
	v_mul_f64 v[120:121], v[126:127], v[128:129]
	v_add_f64 v[30:31], v[30:31], -v[146:147]
	s_delay_alu instid0(VALU_DEP_2) | instskip(SKIP_1) | instid1(VALU_DEP_2)
	;; [unrolled: 20-line block ×5, first 2 shown]
	v_fma_f64 v[122:123], v[124:125], v[48:49], -v[122:123]
	v_mul_f64 v[124:125], v[124:125], v[128:129]
	v_add_f64 v[0:1], v[0:1], -v[122:123]
	s_delay_alu instid0(VALU_DEP_2) | instskip(NEXT) | instid1(VALU_DEP_1)
	v_fma_f64 v[124:125], v[126:127], v[48:49], v[124:125]
	v_add_f64 v[2:3], v[2:3], -v[124:125]
.LBB41_82:
	s_or_b32 exec_lo, exec_lo, s3
	s_delay_alu instid0(SALU_CYCLE_1)
	s_mov_b32 s4, exec_lo
	s_waitcnt lgkmcnt(0)
	s_barrier
	buffer_gl0_inv
	v_cmpx_eq_u32_e32 9, v214
	s_cbranch_execz .LBB41_89
; %bb.83:
	ds_store_2addr_b64 v215, v[44:45], v[46:47] offset1:1
	ds_store_2addr_b64 v216, v[40:41], v[42:43] offset0:20 offset1:21
	ds_store_2addr_b64 v216, v[36:37], v[38:39] offset0:22 offset1:23
	;; [unrolled: 1-line block ×11, first 2 shown]
	ds_load_2addr_b64 v[120:123], v215 offset1:1
	s_waitcnt lgkmcnt(0)
	v_cmp_neq_f64_e32 vcc_lo, 0, v[120:121]
	v_cmp_neq_f64_e64 s3, 0, v[122:123]
	s_delay_alu instid0(VALU_DEP_1) | instskip(NEXT) | instid1(SALU_CYCLE_1)
	s_or_b32 s3, vcc_lo, s3
	s_and_b32 exec_lo, exec_lo, s3
	s_cbranch_execz .LBB41_89
; %bb.84:
	v_cmp_gt_f64_e32 vcc_lo, 0, v[120:121]
	v_cmp_gt_f64_e64 s3, 0, v[122:123]
	v_xor_b32_e32 v124, 0x80000000, v121
	v_xor_b32_e32 v126, 0x80000000, v123
                                        ; implicit-def: $vgpr128_vgpr129
	s_delay_alu instid0(VALU_DEP_2) | instskip(NEXT) | instid1(VALU_DEP_2)
	v_cndmask_b32_e32 v125, v121, v124, vcc_lo
	v_cndmask_b32_e64 v127, v123, v126, s3
	v_cndmask_b32_e32 v124, v120, v120, vcc_lo
	v_cndmask_b32_e64 v126, v122, v122, s3
	s_mov_b32 s3, exec_lo
	s_delay_alu instid0(VALU_DEP_1)
	v_cmpx_ngt_f64_e32 v[124:125], v[126:127]
	s_xor_b32 s3, exec_lo, s3
                                        ; implicit-def: $vgpr124_vgpr125_vgpr126_vgpr127
	s_cbranch_execz .LBB41_86
; %bb.85:
	v_div_scale_f64 v[124:125], null, v[122:123], v[122:123], v[120:121]
	v_div_scale_f64 v[130:131], vcc_lo, v[120:121], v[122:123], v[120:121]
	s_delay_alu instid0(VALU_DEP_2) | instskip(SKIP_2) | instid1(VALU_DEP_1)
	v_rcp_f64_e32 v[126:127], v[124:125]
	s_waitcnt_depctr 0xfff
	v_fma_f64 v[128:129], -v[124:125], v[126:127], 1.0
	v_fma_f64 v[126:127], v[126:127], v[128:129], v[126:127]
	s_delay_alu instid0(VALU_DEP_1) | instskip(NEXT) | instid1(VALU_DEP_1)
	v_fma_f64 v[128:129], -v[124:125], v[126:127], 1.0
	v_fma_f64 v[126:127], v[126:127], v[128:129], v[126:127]
	s_delay_alu instid0(VALU_DEP_1) | instskip(NEXT) | instid1(VALU_DEP_1)
	v_mul_f64 v[128:129], v[130:131], v[126:127]
	v_fma_f64 v[124:125], -v[124:125], v[128:129], v[130:131]
	s_delay_alu instid0(VALU_DEP_1) | instskip(NEXT) | instid1(VALU_DEP_1)
	v_div_fmas_f64 v[124:125], v[124:125], v[126:127], v[128:129]
	v_div_fixup_f64 v[124:125], v[124:125], v[122:123], v[120:121]
	s_delay_alu instid0(VALU_DEP_1) | instskip(NEXT) | instid1(VALU_DEP_1)
	v_fma_f64 v[120:121], v[120:121], v[124:125], v[122:123]
	v_div_scale_f64 v[122:123], null, v[120:121], v[120:121], 1.0
	s_delay_alu instid0(VALU_DEP_1) | instskip(SKIP_2) | instid1(VALU_DEP_1)
	v_rcp_f64_e32 v[126:127], v[122:123]
	s_waitcnt_depctr 0xfff
	v_fma_f64 v[128:129], -v[122:123], v[126:127], 1.0
	v_fma_f64 v[126:127], v[126:127], v[128:129], v[126:127]
	s_delay_alu instid0(VALU_DEP_1) | instskip(NEXT) | instid1(VALU_DEP_1)
	v_fma_f64 v[128:129], -v[122:123], v[126:127], 1.0
	v_fma_f64 v[126:127], v[126:127], v[128:129], v[126:127]
	v_div_scale_f64 v[128:129], vcc_lo, 1.0, v[120:121], 1.0
	s_delay_alu instid0(VALU_DEP_1) | instskip(NEXT) | instid1(VALU_DEP_1)
	v_mul_f64 v[130:131], v[128:129], v[126:127]
	v_fma_f64 v[122:123], -v[122:123], v[130:131], v[128:129]
	s_delay_alu instid0(VALU_DEP_1) | instskip(NEXT) | instid1(VALU_DEP_1)
	v_div_fmas_f64 v[122:123], v[122:123], v[126:127], v[130:131]
	v_div_fixup_f64 v[126:127], v[122:123], v[120:121], 1.0
                                        ; implicit-def: $vgpr120_vgpr121
	s_delay_alu instid0(VALU_DEP_1)
	v_mul_f64 v[128:129], v[124:125], v[126:127]
	v_xor_b32_e32 v127, 0x80000000, v127
.LBB41_86:
	s_and_not1_saveexec_b32 s3, s3
	s_cbranch_execz .LBB41_88
; %bb.87:
	v_div_scale_f64 v[124:125], null, v[120:121], v[120:121], v[122:123]
	v_div_scale_f64 v[130:131], vcc_lo, v[122:123], v[120:121], v[122:123]
	s_delay_alu instid0(VALU_DEP_2) | instskip(SKIP_2) | instid1(VALU_DEP_1)
	v_rcp_f64_e32 v[126:127], v[124:125]
	s_waitcnt_depctr 0xfff
	v_fma_f64 v[128:129], -v[124:125], v[126:127], 1.0
	v_fma_f64 v[126:127], v[126:127], v[128:129], v[126:127]
	s_delay_alu instid0(VALU_DEP_1) | instskip(NEXT) | instid1(VALU_DEP_1)
	v_fma_f64 v[128:129], -v[124:125], v[126:127], 1.0
	v_fma_f64 v[126:127], v[126:127], v[128:129], v[126:127]
	s_delay_alu instid0(VALU_DEP_1) | instskip(NEXT) | instid1(VALU_DEP_1)
	v_mul_f64 v[128:129], v[130:131], v[126:127]
	v_fma_f64 v[124:125], -v[124:125], v[128:129], v[130:131]
	s_delay_alu instid0(VALU_DEP_1) | instskip(NEXT) | instid1(VALU_DEP_1)
	v_div_fmas_f64 v[124:125], v[124:125], v[126:127], v[128:129]
	v_div_fixup_f64 v[124:125], v[124:125], v[120:121], v[122:123]
	s_delay_alu instid0(VALU_DEP_1) | instskip(NEXT) | instid1(VALU_DEP_1)
	v_fma_f64 v[120:121], v[122:123], v[124:125], v[120:121]
	v_div_scale_f64 v[122:123], null, v[120:121], v[120:121], 1.0
	s_delay_alu instid0(VALU_DEP_1) | instskip(SKIP_2) | instid1(VALU_DEP_1)
	v_rcp_f64_e32 v[126:127], v[122:123]
	s_waitcnt_depctr 0xfff
	v_fma_f64 v[128:129], -v[122:123], v[126:127], 1.0
	v_fma_f64 v[126:127], v[126:127], v[128:129], v[126:127]
	s_delay_alu instid0(VALU_DEP_1) | instskip(NEXT) | instid1(VALU_DEP_1)
	v_fma_f64 v[128:129], -v[122:123], v[126:127], 1.0
	v_fma_f64 v[126:127], v[126:127], v[128:129], v[126:127]
	v_div_scale_f64 v[128:129], vcc_lo, 1.0, v[120:121], 1.0
	s_delay_alu instid0(VALU_DEP_1) | instskip(NEXT) | instid1(VALU_DEP_1)
	v_mul_f64 v[130:131], v[128:129], v[126:127]
	v_fma_f64 v[122:123], -v[122:123], v[130:131], v[128:129]
	s_delay_alu instid0(VALU_DEP_1) | instskip(NEXT) | instid1(VALU_DEP_1)
	v_div_fmas_f64 v[122:123], v[122:123], v[126:127], v[130:131]
	v_div_fixup_f64 v[128:129], v[122:123], v[120:121], 1.0
	s_delay_alu instid0(VALU_DEP_1)
	v_mul_f64 v[126:127], v[124:125], -v[128:129]
.LBB41_88:
	s_or_b32 exec_lo, exec_lo, s3
	ds_store_2addr_b64 v215, v[128:129], v[126:127] offset1:1
.LBB41_89:
	s_or_b32 exec_lo, exec_lo, s4
	s_waitcnt lgkmcnt(0)
	s_barrier
	buffer_gl0_inv
	ds_load_2addr_b64 v[120:123], v215 offset1:1
	s_mov_b32 s3, exec_lo
	v_cmpx_lt_u32_e32 9, v214
	s_cbranch_execz .LBB41_91
; %bb.90:
	s_waitcnt lgkmcnt(0)
	v_mul_f64 v[124:125], v[120:121], v[46:47]
	v_mul_f64 v[46:47], v[122:123], v[46:47]
	s_delay_alu instid0(VALU_DEP_2)
	v_fma_f64 v[132:133], v[122:123], v[44:45], v[124:125]
	ds_load_2addr_b64 v[124:127], v216 offset0:20 offset1:21
	ds_load_2addr_b64 v[128:131], v216 offset0:22 offset1:23
	v_fma_f64 v[44:45], v[120:121], v[44:45], -v[46:47]
	s_waitcnt lgkmcnt(1)
	v_mul_f64 v[46:47], v[126:127], v[132:133]
	s_delay_alu instid0(VALU_DEP_1) | instskip(SKIP_1) | instid1(VALU_DEP_2)
	v_fma_f64 v[46:47], v[124:125], v[44:45], -v[46:47]
	v_mul_f64 v[124:125], v[124:125], v[132:133]
	v_add_f64 v[40:41], v[40:41], -v[46:47]
	s_delay_alu instid0(VALU_DEP_2) | instskip(SKIP_3) | instid1(VALU_DEP_3)
	v_fma_f64 v[134:135], v[126:127], v[44:45], v[124:125]
	s_waitcnt lgkmcnt(0)
	v_mul_f64 v[124:125], v[130:131], v[132:133]
	v_dual_mov_b32 v46, v132 :: v_dual_mov_b32 v47, v133
	v_add_f64 v[42:43], v[42:43], -v[134:135]
	s_delay_alu instid0(VALU_DEP_3) | instskip(SKIP_1) | instid1(VALU_DEP_2)
	v_fma_f64 v[136:137], v[128:129], v[44:45], -v[124:125]
	v_mul_f64 v[124:125], v[128:129], v[132:133]
	v_add_f64 v[36:37], v[36:37], -v[136:137]
	s_delay_alu instid0(VALU_DEP_2)
	v_fma_f64 v[138:139], v[130:131], v[44:45], v[124:125]
	ds_load_2addr_b64 v[124:127], v216 offset0:24 offset1:25
	ds_load_2addr_b64 v[128:131], v216 offset0:26 offset1:27
	s_waitcnt lgkmcnt(1)
	v_mul_f64 v[140:141], v[126:127], v[132:133]
	v_add_f64 v[38:39], v[38:39], -v[138:139]
	s_delay_alu instid0(VALU_DEP_2) | instskip(SKIP_1) | instid1(VALU_DEP_2)
	v_fma_f64 v[140:141], v[124:125], v[44:45], -v[140:141]
	v_mul_f64 v[124:125], v[124:125], v[132:133]
	v_add_f64 v[32:33], v[32:33], -v[140:141]
	s_delay_alu instid0(VALU_DEP_2) | instskip(SKIP_2) | instid1(VALU_DEP_2)
	v_fma_f64 v[142:143], v[126:127], v[44:45], v[124:125]
	s_waitcnt lgkmcnt(0)
	v_mul_f64 v[124:125], v[130:131], v[132:133]
	v_add_f64 v[34:35], v[34:35], -v[142:143]
	s_delay_alu instid0(VALU_DEP_2) | instskip(SKIP_1) | instid1(VALU_DEP_2)
	v_fma_f64 v[144:145], v[128:129], v[44:45], -v[124:125]
	v_mul_f64 v[124:125], v[128:129], v[132:133]
	v_add_f64 v[28:29], v[28:29], -v[144:145]
	s_delay_alu instid0(VALU_DEP_2)
	v_fma_f64 v[146:147], v[130:131], v[44:45], v[124:125]
	ds_load_2addr_b64 v[124:127], v216 offset0:28 offset1:29
	ds_load_2addr_b64 v[128:131], v216 offset0:30 offset1:31
	s_waitcnt lgkmcnt(1)
	v_mul_f64 v[148:149], v[126:127], v[132:133]
	v_add_f64 v[30:31], v[30:31], -v[146:147]
	s_delay_alu instid0(VALU_DEP_2) | instskip(SKIP_1) | instid1(VALU_DEP_2)
	v_fma_f64 v[148:149], v[124:125], v[44:45], -v[148:149]
	v_mul_f64 v[124:125], v[124:125], v[132:133]
	v_add_f64 v[24:25], v[24:25], -v[148:149]
	s_delay_alu instid0(VALU_DEP_2) | instskip(SKIP_2) | instid1(VALU_DEP_2)
	v_fma_f64 v[150:151], v[126:127], v[44:45], v[124:125]
	s_waitcnt lgkmcnt(0)
	v_mul_f64 v[124:125], v[130:131], v[132:133]
	v_add_f64 v[26:27], v[26:27], -v[150:151]
	s_delay_alu instid0(VALU_DEP_2) | instskip(SKIP_1) | instid1(VALU_DEP_2)
	;; [unrolled: 20-line block ×4, first 2 shown]
	v_fma_f64 v[212:213], v[128:129], v[44:45], -v[124:125]
	v_mul_f64 v[124:125], v[128:129], v[132:133]
	v_add_f64 v[4:5], v[4:5], -v[212:213]
	s_delay_alu instid0(VALU_DEP_2) | instskip(SKIP_4) | instid1(VALU_DEP_2)
	v_fma_f64 v[128:129], v[130:131], v[44:45], v[124:125]
	ds_load_2addr_b64 v[124:127], v216 offset0:40 offset1:41
	s_waitcnt lgkmcnt(0)
	v_mul_f64 v[130:131], v[126:127], v[132:133]
	v_add_f64 v[6:7], v[6:7], -v[128:129]
	v_fma_f64 v[130:131], v[124:125], v[44:45], -v[130:131]
	v_mul_f64 v[124:125], v[124:125], v[132:133]
	s_delay_alu instid0(VALU_DEP_2) | instskip(NEXT) | instid1(VALU_DEP_2)
	v_add_f64 v[0:1], v[0:1], -v[130:131]
	v_fma_f64 v[124:125], v[126:127], v[44:45], v[124:125]
	s_delay_alu instid0(VALU_DEP_1)
	v_add_f64 v[2:3], v[2:3], -v[124:125]
.LBB41_91:
	s_or_b32 exec_lo, exec_lo, s3
	s_delay_alu instid0(SALU_CYCLE_1)
	s_mov_b32 s4, exec_lo
	s_waitcnt lgkmcnt(0)
	s_barrier
	buffer_gl0_inv
	v_cmpx_eq_u32_e32 10, v214
	s_cbranch_execz .LBB41_98
; %bb.92:
	ds_store_2addr_b64 v215, v[40:41], v[42:43] offset1:1
	ds_store_2addr_b64 v216, v[36:37], v[38:39] offset0:22 offset1:23
	ds_store_2addr_b64 v216, v[32:33], v[34:35] offset0:24 offset1:25
	;; [unrolled: 1-line block ×10, first 2 shown]
	ds_load_2addr_b64 v[124:127], v215 offset1:1
	s_waitcnt lgkmcnt(0)
	v_cmp_neq_f64_e32 vcc_lo, 0, v[124:125]
	v_cmp_neq_f64_e64 s3, 0, v[126:127]
	s_delay_alu instid0(VALU_DEP_1) | instskip(NEXT) | instid1(SALU_CYCLE_1)
	s_or_b32 s3, vcc_lo, s3
	s_and_b32 exec_lo, exec_lo, s3
	s_cbranch_execz .LBB41_98
; %bb.93:
	v_cmp_gt_f64_e32 vcc_lo, 0, v[124:125]
	v_cmp_gt_f64_e64 s3, 0, v[126:127]
	v_xor_b32_e32 v128, 0x80000000, v125
	v_xor_b32_e32 v130, 0x80000000, v127
                                        ; implicit-def: $vgpr132_vgpr133
	s_delay_alu instid0(VALU_DEP_2) | instskip(NEXT) | instid1(VALU_DEP_2)
	v_cndmask_b32_e32 v129, v125, v128, vcc_lo
	v_cndmask_b32_e64 v131, v127, v130, s3
	v_cndmask_b32_e32 v128, v124, v124, vcc_lo
	v_cndmask_b32_e64 v130, v126, v126, s3
	s_mov_b32 s3, exec_lo
	s_delay_alu instid0(VALU_DEP_1)
	v_cmpx_ngt_f64_e32 v[128:129], v[130:131]
	s_xor_b32 s3, exec_lo, s3
                                        ; implicit-def: $vgpr128_vgpr129_vgpr130_vgpr131
	s_cbranch_execz .LBB41_95
; %bb.94:
	v_div_scale_f64 v[128:129], null, v[126:127], v[126:127], v[124:125]
	v_div_scale_f64 v[134:135], vcc_lo, v[124:125], v[126:127], v[124:125]
	s_delay_alu instid0(VALU_DEP_2) | instskip(SKIP_2) | instid1(VALU_DEP_1)
	v_rcp_f64_e32 v[130:131], v[128:129]
	s_waitcnt_depctr 0xfff
	v_fma_f64 v[132:133], -v[128:129], v[130:131], 1.0
	v_fma_f64 v[130:131], v[130:131], v[132:133], v[130:131]
	s_delay_alu instid0(VALU_DEP_1) | instskip(NEXT) | instid1(VALU_DEP_1)
	v_fma_f64 v[132:133], -v[128:129], v[130:131], 1.0
	v_fma_f64 v[130:131], v[130:131], v[132:133], v[130:131]
	s_delay_alu instid0(VALU_DEP_1) | instskip(NEXT) | instid1(VALU_DEP_1)
	v_mul_f64 v[132:133], v[134:135], v[130:131]
	v_fma_f64 v[128:129], -v[128:129], v[132:133], v[134:135]
	s_delay_alu instid0(VALU_DEP_1) | instskip(NEXT) | instid1(VALU_DEP_1)
	v_div_fmas_f64 v[128:129], v[128:129], v[130:131], v[132:133]
	v_div_fixup_f64 v[128:129], v[128:129], v[126:127], v[124:125]
	s_delay_alu instid0(VALU_DEP_1) | instskip(NEXT) | instid1(VALU_DEP_1)
	v_fma_f64 v[124:125], v[124:125], v[128:129], v[126:127]
	v_div_scale_f64 v[126:127], null, v[124:125], v[124:125], 1.0
	s_delay_alu instid0(VALU_DEP_1) | instskip(SKIP_2) | instid1(VALU_DEP_1)
	v_rcp_f64_e32 v[130:131], v[126:127]
	s_waitcnt_depctr 0xfff
	v_fma_f64 v[132:133], -v[126:127], v[130:131], 1.0
	v_fma_f64 v[130:131], v[130:131], v[132:133], v[130:131]
	s_delay_alu instid0(VALU_DEP_1) | instskip(NEXT) | instid1(VALU_DEP_1)
	v_fma_f64 v[132:133], -v[126:127], v[130:131], 1.0
	v_fma_f64 v[130:131], v[130:131], v[132:133], v[130:131]
	v_div_scale_f64 v[132:133], vcc_lo, 1.0, v[124:125], 1.0
	s_delay_alu instid0(VALU_DEP_1) | instskip(NEXT) | instid1(VALU_DEP_1)
	v_mul_f64 v[134:135], v[132:133], v[130:131]
	v_fma_f64 v[126:127], -v[126:127], v[134:135], v[132:133]
	s_delay_alu instid0(VALU_DEP_1) | instskip(NEXT) | instid1(VALU_DEP_1)
	v_div_fmas_f64 v[126:127], v[126:127], v[130:131], v[134:135]
	v_div_fixup_f64 v[130:131], v[126:127], v[124:125], 1.0
                                        ; implicit-def: $vgpr124_vgpr125
	s_delay_alu instid0(VALU_DEP_1)
	v_mul_f64 v[132:133], v[128:129], v[130:131]
	v_xor_b32_e32 v131, 0x80000000, v131
.LBB41_95:
	s_and_not1_saveexec_b32 s3, s3
	s_cbranch_execz .LBB41_97
; %bb.96:
	v_div_scale_f64 v[128:129], null, v[124:125], v[124:125], v[126:127]
	v_div_scale_f64 v[134:135], vcc_lo, v[126:127], v[124:125], v[126:127]
	s_delay_alu instid0(VALU_DEP_2) | instskip(SKIP_2) | instid1(VALU_DEP_1)
	v_rcp_f64_e32 v[130:131], v[128:129]
	s_waitcnt_depctr 0xfff
	v_fma_f64 v[132:133], -v[128:129], v[130:131], 1.0
	v_fma_f64 v[130:131], v[130:131], v[132:133], v[130:131]
	s_delay_alu instid0(VALU_DEP_1) | instskip(NEXT) | instid1(VALU_DEP_1)
	v_fma_f64 v[132:133], -v[128:129], v[130:131], 1.0
	v_fma_f64 v[130:131], v[130:131], v[132:133], v[130:131]
	s_delay_alu instid0(VALU_DEP_1) | instskip(NEXT) | instid1(VALU_DEP_1)
	v_mul_f64 v[132:133], v[134:135], v[130:131]
	v_fma_f64 v[128:129], -v[128:129], v[132:133], v[134:135]
	s_delay_alu instid0(VALU_DEP_1) | instskip(NEXT) | instid1(VALU_DEP_1)
	v_div_fmas_f64 v[128:129], v[128:129], v[130:131], v[132:133]
	v_div_fixup_f64 v[128:129], v[128:129], v[124:125], v[126:127]
	s_delay_alu instid0(VALU_DEP_1) | instskip(NEXT) | instid1(VALU_DEP_1)
	v_fma_f64 v[124:125], v[126:127], v[128:129], v[124:125]
	v_div_scale_f64 v[126:127], null, v[124:125], v[124:125], 1.0
	s_delay_alu instid0(VALU_DEP_1) | instskip(SKIP_2) | instid1(VALU_DEP_1)
	v_rcp_f64_e32 v[130:131], v[126:127]
	s_waitcnt_depctr 0xfff
	v_fma_f64 v[132:133], -v[126:127], v[130:131], 1.0
	v_fma_f64 v[130:131], v[130:131], v[132:133], v[130:131]
	s_delay_alu instid0(VALU_DEP_1) | instskip(NEXT) | instid1(VALU_DEP_1)
	v_fma_f64 v[132:133], -v[126:127], v[130:131], 1.0
	v_fma_f64 v[130:131], v[130:131], v[132:133], v[130:131]
	v_div_scale_f64 v[132:133], vcc_lo, 1.0, v[124:125], 1.0
	s_delay_alu instid0(VALU_DEP_1) | instskip(NEXT) | instid1(VALU_DEP_1)
	v_mul_f64 v[134:135], v[132:133], v[130:131]
	v_fma_f64 v[126:127], -v[126:127], v[134:135], v[132:133]
	s_delay_alu instid0(VALU_DEP_1) | instskip(NEXT) | instid1(VALU_DEP_1)
	v_div_fmas_f64 v[126:127], v[126:127], v[130:131], v[134:135]
	v_div_fixup_f64 v[132:133], v[126:127], v[124:125], 1.0
	s_delay_alu instid0(VALU_DEP_1)
	v_mul_f64 v[130:131], v[128:129], -v[132:133]
.LBB41_97:
	s_or_b32 exec_lo, exec_lo, s3
	ds_store_2addr_b64 v215, v[132:133], v[130:131] offset1:1
.LBB41_98:
	s_or_b32 exec_lo, exec_lo, s4
	s_waitcnt lgkmcnt(0)
	s_barrier
	buffer_gl0_inv
	ds_load_2addr_b64 v[124:127], v215 offset1:1
	s_mov_b32 s3, exec_lo
	v_cmpx_lt_u32_e32 10, v214
	s_cbranch_execz .LBB41_100
; %bb.99:
	s_waitcnt lgkmcnt(0)
	v_mul_f64 v[128:129], v[124:125], v[42:43]
	v_mul_f64 v[42:43], v[126:127], v[42:43]
	s_delay_alu instid0(VALU_DEP_2)
	v_fma_f64 v[136:137], v[126:127], v[40:41], v[128:129]
	ds_load_2addr_b64 v[128:131], v216 offset0:22 offset1:23
	ds_load_2addr_b64 v[132:135], v216 offset0:24 offset1:25
	v_fma_f64 v[40:41], v[124:125], v[40:41], -v[42:43]
	s_waitcnt lgkmcnt(1)
	v_mul_f64 v[42:43], v[130:131], v[136:137]
	s_delay_alu instid0(VALU_DEP_1) | instskip(SKIP_1) | instid1(VALU_DEP_2)
	v_fma_f64 v[42:43], v[128:129], v[40:41], -v[42:43]
	v_mul_f64 v[128:129], v[128:129], v[136:137]
	v_add_f64 v[36:37], v[36:37], -v[42:43]
	s_delay_alu instid0(VALU_DEP_2) | instskip(SKIP_3) | instid1(VALU_DEP_3)
	v_fma_f64 v[138:139], v[130:131], v[40:41], v[128:129]
	s_waitcnt lgkmcnt(0)
	v_mul_f64 v[128:129], v[134:135], v[136:137]
	v_dual_mov_b32 v42, v136 :: v_dual_mov_b32 v43, v137
	v_add_f64 v[38:39], v[38:39], -v[138:139]
	s_delay_alu instid0(VALU_DEP_3) | instskip(SKIP_1) | instid1(VALU_DEP_2)
	v_fma_f64 v[140:141], v[132:133], v[40:41], -v[128:129]
	v_mul_f64 v[128:129], v[132:133], v[136:137]
	v_add_f64 v[32:33], v[32:33], -v[140:141]
	s_delay_alu instid0(VALU_DEP_2)
	v_fma_f64 v[142:143], v[134:135], v[40:41], v[128:129]
	ds_load_2addr_b64 v[128:131], v216 offset0:26 offset1:27
	ds_load_2addr_b64 v[132:135], v216 offset0:28 offset1:29
	s_waitcnt lgkmcnt(1)
	v_mul_f64 v[144:145], v[130:131], v[136:137]
	v_add_f64 v[34:35], v[34:35], -v[142:143]
	s_delay_alu instid0(VALU_DEP_2) | instskip(SKIP_1) | instid1(VALU_DEP_2)
	v_fma_f64 v[144:145], v[128:129], v[40:41], -v[144:145]
	v_mul_f64 v[128:129], v[128:129], v[136:137]
	v_add_f64 v[28:29], v[28:29], -v[144:145]
	s_delay_alu instid0(VALU_DEP_2) | instskip(SKIP_2) | instid1(VALU_DEP_2)
	v_fma_f64 v[146:147], v[130:131], v[40:41], v[128:129]
	s_waitcnt lgkmcnt(0)
	v_mul_f64 v[128:129], v[134:135], v[136:137]
	v_add_f64 v[30:31], v[30:31], -v[146:147]
	s_delay_alu instid0(VALU_DEP_2) | instskip(SKIP_1) | instid1(VALU_DEP_2)
	v_fma_f64 v[148:149], v[132:133], v[40:41], -v[128:129]
	v_mul_f64 v[128:129], v[132:133], v[136:137]
	v_add_f64 v[24:25], v[24:25], -v[148:149]
	s_delay_alu instid0(VALU_DEP_2)
	v_fma_f64 v[150:151], v[134:135], v[40:41], v[128:129]
	ds_load_2addr_b64 v[128:131], v216 offset0:30 offset1:31
	ds_load_2addr_b64 v[132:135], v216 offset0:32 offset1:33
	s_waitcnt lgkmcnt(1)
	v_mul_f64 v[152:153], v[130:131], v[136:137]
	v_add_f64 v[26:27], v[26:27], -v[150:151]
	s_delay_alu instid0(VALU_DEP_2) | instskip(SKIP_1) | instid1(VALU_DEP_2)
	v_fma_f64 v[152:153], v[128:129], v[40:41], -v[152:153]
	v_mul_f64 v[128:129], v[128:129], v[136:137]
	v_add_f64 v[20:21], v[20:21], -v[152:153]
	s_delay_alu instid0(VALU_DEP_2) | instskip(SKIP_2) | instid1(VALU_DEP_2)
	v_fma_f64 v[154:155], v[130:131], v[40:41], v[128:129]
	s_waitcnt lgkmcnt(0)
	v_mul_f64 v[128:129], v[134:135], v[136:137]
	v_add_f64 v[22:23], v[22:23], -v[154:155]
	s_delay_alu instid0(VALU_DEP_2) | instskip(SKIP_1) | instid1(VALU_DEP_2)
	;; [unrolled: 20-line block ×4, first 2 shown]
	v_fma_f64 v[130:131], v[132:133], v[40:41], -v[130:131]
	v_mul_f64 v[132:133], v[132:133], v[136:137]
	v_add_f64 v[0:1], v[0:1], -v[130:131]
	s_delay_alu instid0(VALU_DEP_2) | instskip(NEXT) | instid1(VALU_DEP_1)
	v_fma_f64 v[132:133], v[134:135], v[40:41], v[132:133]
	v_add_f64 v[2:3], v[2:3], -v[132:133]
.LBB41_100:
	s_or_b32 exec_lo, exec_lo, s3
	s_delay_alu instid0(SALU_CYCLE_1)
	s_mov_b32 s4, exec_lo
	s_waitcnt lgkmcnt(0)
	s_barrier
	buffer_gl0_inv
	v_cmpx_eq_u32_e32 11, v214
	s_cbranch_execz .LBB41_107
; %bb.101:
	ds_store_2addr_b64 v215, v[36:37], v[38:39] offset1:1
	ds_store_2addr_b64 v216, v[32:33], v[34:35] offset0:24 offset1:25
	ds_store_2addr_b64 v216, v[28:29], v[30:31] offset0:26 offset1:27
	ds_store_2addr_b64 v216, v[24:25], v[26:27] offset0:28 offset1:29
	ds_store_2addr_b64 v216, v[20:21], v[22:23] offset0:30 offset1:31
	ds_store_2addr_b64 v216, v[16:17], v[18:19] offset0:32 offset1:33
	ds_store_2addr_b64 v216, v[12:13], v[14:15] offset0:34 offset1:35
	ds_store_2addr_b64 v216, v[8:9], v[10:11] offset0:36 offset1:37
	ds_store_2addr_b64 v216, v[4:5], v[6:7] offset0:38 offset1:39
	ds_store_2addr_b64 v216, v[0:1], v[2:3] offset0:40 offset1:41
	ds_load_2addr_b64 v[128:131], v215 offset1:1
	s_waitcnt lgkmcnt(0)
	v_cmp_neq_f64_e32 vcc_lo, 0, v[128:129]
	v_cmp_neq_f64_e64 s3, 0, v[130:131]
	s_delay_alu instid0(VALU_DEP_1) | instskip(NEXT) | instid1(SALU_CYCLE_1)
	s_or_b32 s3, vcc_lo, s3
	s_and_b32 exec_lo, exec_lo, s3
	s_cbranch_execz .LBB41_107
; %bb.102:
	v_cmp_gt_f64_e32 vcc_lo, 0, v[128:129]
	v_cmp_gt_f64_e64 s3, 0, v[130:131]
	v_xor_b32_e32 v132, 0x80000000, v129
	v_xor_b32_e32 v134, 0x80000000, v131
                                        ; implicit-def: $vgpr136_vgpr137
	s_delay_alu instid0(VALU_DEP_2) | instskip(NEXT) | instid1(VALU_DEP_2)
	v_cndmask_b32_e32 v133, v129, v132, vcc_lo
	v_cndmask_b32_e64 v135, v131, v134, s3
	v_cndmask_b32_e32 v132, v128, v128, vcc_lo
	v_cndmask_b32_e64 v134, v130, v130, s3
	s_mov_b32 s3, exec_lo
	s_delay_alu instid0(VALU_DEP_1)
	v_cmpx_ngt_f64_e32 v[132:133], v[134:135]
	s_xor_b32 s3, exec_lo, s3
                                        ; implicit-def: $vgpr132_vgpr133_vgpr134_vgpr135
	s_cbranch_execz .LBB41_104
; %bb.103:
	v_div_scale_f64 v[132:133], null, v[130:131], v[130:131], v[128:129]
	v_div_scale_f64 v[138:139], vcc_lo, v[128:129], v[130:131], v[128:129]
	s_delay_alu instid0(VALU_DEP_2) | instskip(SKIP_2) | instid1(VALU_DEP_1)
	v_rcp_f64_e32 v[134:135], v[132:133]
	s_waitcnt_depctr 0xfff
	v_fma_f64 v[136:137], -v[132:133], v[134:135], 1.0
	v_fma_f64 v[134:135], v[134:135], v[136:137], v[134:135]
	s_delay_alu instid0(VALU_DEP_1) | instskip(NEXT) | instid1(VALU_DEP_1)
	v_fma_f64 v[136:137], -v[132:133], v[134:135], 1.0
	v_fma_f64 v[134:135], v[134:135], v[136:137], v[134:135]
	s_delay_alu instid0(VALU_DEP_1) | instskip(NEXT) | instid1(VALU_DEP_1)
	v_mul_f64 v[136:137], v[138:139], v[134:135]
	v_fma_f64 v[132:133], -v[132:133], v[136:137], v[138:139]
	s_delay_alu instid0(VALU_DEP_1) | instskip(NEXT) | instid1(VALU_DEP_1)
	v_div_fmas_f64 v[132:133], v[132:133], v[134:135], v[136:137]
	v_div_fixup_f64 v[132:133], v[132:133], v[130:131], v[128:129]
	s_delay_alu instid0(VALU_DEP_1) | instskip(NEXT) | instid1(VALU_DEP_1)
	v_fma_f64 v[128:129], v[128:129], v[132:133], v[130:131]
	v_div_scale_f64 v[130:131], null, v[128:129], v[128:129], 1.0
	s_delay_alu instid0(VALU_DEP_1) | instskip(SKIP_2) | instid1(VALU_DEP_1)
	v_rcp_f64_e32 v[134:135], v[130:131]
	s_waitcnt_depctr 0xfff
	v_fma_f64 v[136:137], -v[130:131], v[134:135], 1.0
	v_fma_f64 v[134:135], v[134:135], v[136:137], v[134:135]
	s_delay_alu instid0(VALU_DEP_1) | instskip(NEXT) | instid1(VALU_DEP_1)
	v_fma_f64 v[136:137], -v[130:131], v[134:135], 1.0
	v_fma_f64 v[134:135], v[134:135], v[136:137], v[134:135]
	v_div_scale_f64 v[136:137], vcc_lo, 1.0, v[128:129], 1.0
	s_delay_alu instid0(VALU_DEP_1) | instskip(NEXT) | instid1(VALU_DEP_1)
	v_mul_f64 v[138:139], v[136:137], v[134:135]
	v_fma_f64 v[130:131], -v[130:131], v[138:139], v[136:137]
	s_delay_alu instid0(VALU_DEP_1) | instskip(NEXT) | instid1(VALU_DEP_1)
	v_div_fmas_f64 v[130:131], v[130:131], v[134:135], v[138:139]
	v_div_fixup_f64 v[134:135], v[130:131], v[128:129], 1.0
                                        ; implicit-def: $vgpr128_vgpr129
	s_delay_alu instid0(VALU_DEP_1)
	v_mul_f64 v[136:137], v[132:133], v[134:135]
	v_xor_b32_e32 v135, 0x80000000, v135
.LBB41_104:
	s_and_not1_saveexec_b32 s3, s3
	s_cbranch_execz .LBB41_106
; %bb.105:
	v_div_scale_f64 v[132:133], null, v[128:129], v[128:129], v[130:131]
	v_div_scale_f64 v[138:139], vcc_lo, v[130:131], v[128:129], v[130:131]
	s_delay_alu instid0(VALU_DEP_2) | instskip(SKIP_2) | instid1(VALU_DEP_1)
	v_rcp_f64_e32 v[134:135], v[132:133]
	s_waitcnt_depctr 0xfff
	v_fma_f64 v[136:137], -v[132:133], v[134:135], 1.0
	v_fma_f64 v[134:135], v[134:135], v[136:137], v[134:135]
	s_delay_alu instid0(VALU_DEP_1) | instskip(NEXT) | instid1(VALU_DEP_1)
	v_fma_f64 v[136:137], -v[132:133], v[134:135], 1.0
	v_fma_f64 v[134:135], v[134:135], v[136:137], v[134:135]
	s_delay_alu instid0(VALU_DEP_1) | instskip(NEXT) | instid1(VALU_DEP_1)
	v_mul_f64 v[136:137], v[138:139], v[134:135]
	v_fma_f64 v[132:133], -v[132:133], v[136:137], v[138:139]
	s_delay_alu instid0(VALU_DEP_1) | instskip(NEXT) | instid1(VALU_DEP_1)
	v_div_fmas_f64 v[132:133], v[132:133], v[134:135], v[136:137]
	v_div_fixup_f64 v[132:133], v[132:133], v[128:129], v[130:131]
	s_delay_alu instid0(VALU_DEP_1) | instskip(NEXT) | instid1(VALU_DEP_1)
	v_fma_f64 v[128:129], v[130:131], v[132:133], v[128:129]
	v_div_scale_f64 v[130:131], null, v[128:129], v[128:129], 1.0
	s_delay_alu instid0(VALU_DEP_1) | instskip(SKIP_2) | instid1(VALU_DEP_1)
	v_rcp_f64_e32 v[134:135], v[130:131]
	s_waitcnt_depctr 0xfff
	v_fma_f64 v[136:137], -v[130:131], v[134:135], 1.0
	v_fma_f64 v[134:135], v[134:135], v[136:137], v[134:135]
	s_delay_alu instid0(VALU_DEP_1) | instskip(NEXT) | instid1(VALU_DEP_1)
	v_fma_f64 v[136:137], -v[130:131], v[134:135], 1.0
	v_fma_f64 v[134:135], v[134:135], v[136:137], v[134:135]
	v_div_scale_f64 v[136:137], vcc_lo, 1.0, v[128:129], 1.0
	s_delay_alu instid0(VALU_DEP_1) | instskip(NEXT) | instid1(VALU_DEP_1)
	v_mul_f64 v[138:139], v[136:137], v[134:135]
	v_fma_f64 v[130:131], -v[130:131], v[138:139], v[136:137]
	s_delay_alu instid0(VALU_DEP_1) | instskip(NEXT) | instid1(VALU_DEP_1)
	v_div_fmas_f64 v[130:131], v[130:131], v[134:135], v[138:139]
	v_div_fixup_f64 v[136:137], v[130:131], v[128:129], 1.0
	s_delay_alu instid0(VALU_DEP_1)
	v_mul_f64 v[134:135], v[132:133], -v[136:137]
.LBB41_106:
	s_or_b32 exec_lo, exec_lo, s3
	ds_store_2addr_b64 v215, v[136:137], v[134:135] offset1:1
.LBB41_107:
	s_or_b32 exec_lo, exec_lo, s4
	s_waitcnt lgkmcnt(0)
	s_barrier
	buffer_gl0_inv
	ds_load_2addr_b64 v[128:131], v215 offset1:1
	s_mov_b32 s3, exec_lo
	v_cmpx_lt_u32_e32 11, v214
	s_cbranch_execz .LBB41_109
; %bb.108:
	s_waitcnt lgkmcnt(0)
	v_mul_f64 v[132:133], v[128:129], v[38:39]
	v_mul_f64 v[38:39], v[130:131], v[38:39]
	s_delay_alu instid0(VALU_DEP_2)
	v_fma_f64 v[212:213], v[130:131], v[36:37], v[132:133]
	ds_load_2addr_b64 v[132:135], v216 offset0:24 offset1:25
	ds_load_2addr_b64 v[136:139], v216 offset0:26 offset1:27
	;; [unrolled: 1-line block ×9, first 2 shown]
	v_fma_f64 v[36:37], v[128:129], v[36:37], -v[38:39]
	s_waitcnt lgkmcnt(8)
	v_mul_f64 v[38:39], v[134:135], v[212:213]
	v_mul_f64 v[217:218], v[132:133], v[212:213]
	s_waitcnt lgkmcnt(7)
	v_mul_f64 v[219:220], v[138:139], v[212:213]
	v_mul_f64 v[221:222], v[136:137], v[212:213]
	;; [unrolled: 3-line block ×9, first 2 shown]
	v_fma_f64 v[38:39], v[132:133], v[36:37], -v[38:39]
	v_fma_f64 v[132:133], v[134:135], v[36:37], v[217:218]
	v_fma_f64 v[134:135], v[136:137], v[36:37], -v[219:220]
	v_fma_f64 v[136:137], v[138:139], v[36:37], v[221:222]
	v_fma_f64 v[138:139], v[140:141], v[36:37], -v[223:224]
	v_fma_f64 v[140:141], v[142:143], v[36:37], v[225:226]
	v_fma_f64 v[142:143], v[144:145], v[36:37], -v[227:228]
	v_fma_f64 v[144:145], v[146:147], v[36:37], v[229:230]
	v_fma_f64 v[146:147], v[148:149], v[36:37], -v[231:232]
	v_fma_f64 v[148:149], v[150:151], v[36:37], v[233:234]
	v_fma_f64 v[150:151], v[152:153], v[36:37], -v[235:236]
	v_fma_f64 v[152:153], v[154:155], v[36:37], v[237:238]
	v_fma_f64 v[154:155], v[156:157], v[36:37], -v[239:240]
	v_fma_f64 v[156:157], v[158:159], v[36:37], v[241:242]
	v_fma_f64 v[158:159], v[160:161], v[36:37], -v[243:244]
	v_fma_f64 v[160:161], v[162:163], v[36:37], v[245:246]
	v_fma_f64 v[162:163], v[164:165], v[36:37], -v[247:248]
	v_fma_f64 v[164:165], v[166:167], v[36:37], v[249:250]
	v_add_f64 v[32:33], v[32:33], -v[38:39]
	v_add_f64 v[34:35], v[34:35], -v[132:133]
	;; [unrolled: 1-line block ×18, first 2 shown]
	v_dual_mov_b32 v38, v212 :: v_dual_mov_b32 v39, v213
.LBB41_109:
	s_or_b32 exec_lo, exec_lo, s3
	s_delay_alu instid0(SALU_CYCLE_1)
	s_mov_b32 s4, exec_lo
	s_waitcnt lgkmcnt(0)
	s_barrier
	buffer_gl0_inv
	v_cmpx_eq_u32_e32 12, v214
	s_cbranch_execz .LBB41_116
; %bb.110:
	ds_store_2addr_b64 v215, v[32:33], v[34:35] offset1:1
	ds_store_2addr_b64 v216, v[28:29], v[30:31] offset0:26 offset1:27
	ds_store_2addr_b64 v216, v[24:25], v[26:27] offset0:28 offset1:29
	;; [unrolled: 1-line block ×8, first 2 shown]
	ds_load_2addr_b64 v[132:135], v215 offset1:1
	s_waitcnt lgkmcnt(0)
	v_cmp_neq_f64_e32 vcc_lo, 0, v[132:133]
	v_cmp_neq_f64_e64 s3, 0, v[134:135]
	s_delay_alu instid0(VALU_DEP_1) | instskip(NEXT) | instid1(SALU_CYCLE_1)
	s_or_b32 s3, vcc_lo, s3
	s_and_b32 exec_lo, exec_lo, s3
	s_cbranch_execz .LBB41_116
; %bb.111:
	v_cmp_gt_f64_e32 vcc_lo, 0, v[132:133]
	v_cmp_gt_f64_e64 s3, 0, v[134:135]
	v_xor_b32_e32 v136, 0x80000000, v133
	v_xor_b32_e32 v138, 0x80000000, v135
                                        ; implicit-def: $vgpr140_vgpr141
	s_delay_alu instid0(VALU_DEP_2) | instskip(NEXT) | instid1(VALU_DEP_2)
	v_cndmask_b32_e32 v137, v133, v136, vcc_lo
	v_cndmask_b32_e64 v139, v135, v138, s3
	v_cndmask_b32_e32 v136, v132, v132, vcc_lo
	v_cndmask_b32_e64 v138, v134, v134, s3
	s_mov_b32 s3, exec_lo
	s_delay_alu instid0(VALU_DEP_1)
	v_cmpx_ngt_f64_e32 v[136:137], v[138:139]
	s_xor_b32 s3, exec_lo, s3
                                        ; implicit-def: $vgpr136_vgpr137_vgpr138_vgpr139
	s_cbranch_execz .LBB41_113
; %bb.112:
	v_div_scale_f64 v[136:137], null, v[134:135], v[134:135], v[132:133]
	v_div_scale_f64 v[142:143], vcc_lo, v[132:133], v[134:135], v[132:133]
	s_delay_alu instid0(VALU_DEP_2) | instskip(SKIP_2) | instid1(VALU_DEP_1)
	v_rcp_f64_e32 v[138:139], v[136:137]
	s_waitcnt_depctr 0xfff
	v_fma_f64 v[140:141], -v[136:137], v[138:139], 1.0
	v_fma_f64 v[138:139], v[138:139], v[140:141], v[138:139]
	s_delay_alu instid0(VALU_DEP_1) | instskip(NEXT) | instid1(VALU_DEP_1)
	v_fma_f64 v[140:141], -v[136:137], v[138:139], 1.0
	v_fma_f64 v[138:139], v[138:139], v[140:141], v[138:139]
	s_delay_alu instid0(VALU_DEP_1) | instskip(NEXT) | instid1(VALU_DEP_1)
	v_mul_f64 v[140:141], v[142:143], v[138:139]
	v_fma_f64 v[136:137], -v[136:137], v[140:141], v[142:143]
	s_delay_alu instid0(VALU_DEP_1) | instskip(NEXT) | instid1(VALU_DEP_1)
	v_div_fmas_f64 v[136:137], v[136:137], v[138:139], v[140:141]
	v_div_fixup_f64 v[136:137], v[136:137], v[134:135], v[132:133]
	s_delay_alu instid0(VALU_DEP_1) | instskip(NEXT) | instid1(VALU_DEP_1)
	v_fma_f64 v[132:133], v[132:133], v[136:137], v[134:135]
	v_div_scale_f64 v[134:135], null, v[132:133], v[132:133], 1.0
	s_delay_alu instid0(VALU_DEP_1) | instskip(SKIP_2) | instid1(VALU_DEP_1)
	v_rcp_f64_e32 v[138:139], v[134:135]
	s_waitcnt_depctr 0xfff
	v_fma_f64 v[140:141], -v[134:135], v[138:139], 1.0
	v_fma_f64 v[138:139], v[138:139], v[140:141], v[138:139]
	s_delay_alu instid0(VALU_DEP_1) | instskip(NEXT) | instid1(VALU_DEP_1)
	v_fma_f64 v[140:141], -v[134:135], v[138:139], 1.0
	v_fma_f64 v[138:139], v[138:139], v[140:141], v[138:139]
	v_div_scale_f64 v[140:141], vcc_lo, 1.0, v[132:133], 1.0
	s_delay_alu instid0(VALU_DEP_1) | instskip(NEXT) | instid1(VALU_DEP_1)
	v_mul_f64 v[142:143], v[140:141], v[138:139]
	v_fma_f64 v[134:135], -v[134:135], v[142:143], v[140:141]
	s_delay_alu instid0(VALU_DEP_1) | instskip(NEXT) | instid1(VALU_DEP_1)
	v_div_fmas_f64 v[134:135], v[134:135], v[138:139], v[142:143]
	v_div_fixup_f64 v[138:139], v[134:135], v[132:133], 1.0
                                        ; implicit-def: $vgpr132_vgpr133
	s_delay_alu instid0(VALU_DEP_1)
	v_mul_f64 v[140:141], v[136:137], v[138:139]
	v_xor_b32_e32 v139, 0x80000000, v139
.LBB41_113:
	s_and_not1_saveexec_b32 s3, s3
	s_cbranch_execz .LBB41_115
; %bb.114:
	v_div_scale_f64 v[136:137], null, v[132:133], v[132:133], v[134:135]
	v_div_scale_f64 v[142:143], vcc_lo, v[134:135], v[132:133], v[134:135]
	s_delay_alu instid0(VALU_DEP_2) | instskip(SKIP_2) | instid1(VALU_DEP_1)
	v_rcp_f64_e32 v[138:139], v[136:137]
	s_waitcnt_depctr 0xfff
	v_fma_f64 v[140:141], -v[136:137], v[138:139], 1.0
	v_fma_f64 v[138:139], v[138:139], v[140:141], v[138:139]
	s_delay_alu instid0(VALU_DEP_1) | instskip(NEXT) | instid1(VALU_DEP_1)
	v_fma_f64 v[140:141], -v[136:137], v[138:139], 1.0
	v_fma_f64 v[138:139], v[138:139], v[140:141], v[138:139]
	s_delay_alu instid0(VALU_DEP_1) | instskip(NEXT) | instid1(VALU_DEP_1)
	v_mul_f64 v[140:141], v[142:143], v[138:139]
	v_fma_f64 v[136:137], -v[136:137], v[140:141], v[142:143]
	s_delay_alu instid0(VALU_DEP_1) | instskip(NEXT) | instid1(VALU_DEP_1)
	v_div_fmas_f64 v[136:137], v[136:137], v[138:139], v[140:141]
	v_div_fixup_f64 v[136:137], v[136:137], v[132:133], v[134:135]
	s_delay_alu instid0(VALU_DEP_1) | instskip(NEXT) | instid1(VALU_DEP_1)
	v_fma_f64 v[132:133], v[134:135], v[136:137], v[132:133]
	v_div_scale_f64 v[134:135], null, v[132:133], v[132:133], 1.0
	s_delay_alu instid0(VALU_DEP_1) | instskip(SKIP_2) | instid1(VALU_DEP_1)
	v_rcp_f64_e32 v[138:139], v[134:135]
	s_waitcnt_depctr 0xfff
	v_fma_f64 v[140:141], -v[134:135], v[138:139], 1.0
	v_fma_f64 v[138:139], v[138:139], v[140:141], v[138:139]
	s_delay_alu instid0(VALU_DEP_1) | instskip(NEXT) | instid1(VALU_DEP_1)
	v_fma_f64 v[140:141], -v[134:135], v[138:139], 1.0
	v_fma_f64 v[138:139], v[138:139], v[140:141], v[138:139]
	v_div_scale_f64 v[140:141], vcc_lo, 1.0, v[132:133], 1.0
	s_delay_alu instid0(VALU_DEP_1) | instskip(NEXT) | instid1(VALU_DEP_1)
	v_mul_f64 v[142:143], v[140:141], v[138:139]
	v_fma_f64 v[134:135], -v[134:135], v[142:143], v[140:141]
	s_delay_alu instid0(VALU_DEP_1) | instskip(NEXT) | instid1(VALU_DEP_1)
	v_div_fmas_f64 v[134:135], v[134:135], v[138:139], v[142:143]
	v_div_fixup_f64 v[140:141], v[134:135], v[132:133], 1.0
	s_delay_alu instid0(VALU_DEP_1)
	v_mul_f64 v[138:139], v[136:137], -v[140:141]
.LBB41_115:
	s_or_b32 exec_lo, exec_lo, s3
	ds_store_2addr_b64 v215, v[140:141], v[138:139] offset1:1
.LBB41_116:
	s_or_b32 exec_lo, exec_lo, s4
	s_waitcnt lgkmcnt(0)
	s_barrier
	buffer_gl0_inv
	ds_load_2addr_b64 v[132:135], v215 offset1:1
	s_mov_b32 s3, exec_lo
	v_cmpx_lt_u32_e32 12, v214
	s_cbranch_execz .LBB41_118
; %bb.117:
	s_waitcnt lgkmcnt(0)
	v_mul_f64 v[136:137], v[132:133], v[34:35]
	v_mul_f64 v[34:35], v[134:135], v[34:35]
	s_delay_alu instid0(VALU_DEP_2)
	v_fma_f64 v[212:213], v[134:135], v[32:33], v[136:137]
	ds_load_2addr_b64 v[136:139], v216 offset0:26 offset1:27
	ds_load_2addr_b64 v[140:143], v216 offset0:28 offset1:29
	;; [unrolled: 1-line block ×8, first 2 shown]
	v_fma_f64 v[32:33], v[132:133], v[32:33], -v[34:35]
	s_waitcnt lgkmcnt(7)
	v_mul_f64 v[34:35], v[138:139], v[212:213]
	v_mul_f64 v[217:218], v[136:137], v[212:213]
	s_waitcnt lgkmcnt(6)
	v_mul_f64 v[219:220], v[142:143], v[212:213]
	v_mul_f64 v[221:222], v[140:141], v[212:213]
	;; [unrolled: 3-line block ×8, first 2 shown]
	v_fma_f64 v[34:35], v[136:137], v[32:33], -v[34:35]
	v_fma_f64 v[136:137], v[138:139], v[32:33], v[217:218]
	v_fma_f64 v[138:139], v[140:141], v[32:33], -v[219:220]
	v_fma_f64 v[140:141], v[142:143], v[32:33], v[221:222]
	v_fma_f64 v[142:143], v[144:145], v[32:33], -v[223:224]
	v_fma_f64 v[144:145], v[146:147], v[32:33], v[225:226]
	v_fma_f64 v[146:147], v[148:149], v[32:33], -v[227:228]
	v_fma_f64 v[148:149], v[150:151], v[32:33], v[229:230]
	v_fma_f64 v[150:151], v[152:153], v[32:33], -v[231:232]
	v_fma_f64 v[152:153], v[154:155], v[32:33], v[233:234]
	v_fma_f64 v[154:155], v[156:157], v[32:33], -v[235:236]
	v_fma_f64 v[156:157], v[158:159], v[32:33], v[237:238]
	v_fma_f64 v[158:159], v[160:161], v[32:33], -v[239:240]
	v_fma_f64 v[160:161], v[162:163], v[32:33], v[241:242]
	v_fma_f64 v[162:163], v[164:165], v[32:33], -v[243:244]
	v_fma_f64 v[164:165], v[166:167], v[32:33], v[245:246]
	v_add_f64 v[28:29], v[28:29], -v[34:35]
	v_add_f64 v[30:31], v[30:31], -v[136:137]
	;; [unrolled: 1-line block ×16, first 2 shown]
	v_dual_mov_b32 v34, v212 :: v_dual_mov_b32 v35, v213
.LBB41_118:
	s_or_b32 exec_lo, exec_lo, s3
	s_delay_alu instid0(SALU_CYCLE_1)
	s_mov_b32 s4, exec_lo
	s_waitcnt lgkmcnt(0)
	s_barrier
	buffer_gl0_inv
	v_cmpx_eq_u32_e32 13, v214
	s_cbranch_execz .LBB41_125
; %bb.119:
	ds_store_2addr_b64 v215, v[28:29], v[30:31] offset1:1
	ds_store_2addr_b64 v216, v[24:25], v[26:27] offset0:28 offset1:29
	ds_store_2addr_b64 v216, v[20:21], v[22:23] offset0:30 offset1:31
	;; [unrolled: 1-line block ×7, first 2 shown]
	ds_load_2addr_b64 v[136:139], v215 offset1:1
	s_waitcnt lgkmcnt(0)
	v_cmp_neq_f64_e32 vcc_lo, 0, v[136:137]
	v_cmp_neq_f64_e64 s3, 0, v[138:139]
	s_delay_alu instid0(VALU_DEP_1) | instskip(NEXT) | instid1(SALU_CYCLE_1)
	s_or_b32 s3, vcc_lo, s3
	s_and_b32 exec_lo, exec_lo, s3
	s_cbranch_execz .LBB41_125
; %bb.120:
	v_cmp_gt_f64_e32 vcc_lo, 0, v[136:137]
	v_cmp_gt_f64_e64 s3, 0, v[138:139]
	v_xor_b32_e32 v140, 0x80000000, v137
	v_xor_b32_e32 v142, 0x80000000, v139
                                        ; implicit-def: $vgpr144_vgpr145
	s_delay_alu instid0(VALU_DEP_2) | instskip(NEXT) | instid1(VALU_DEP_2)
	v_cndmask_b32_e32 v141, v137, v140, vcc_lo
	v_cndmask_b32_e64 v143, v139, v142, s3
	v_cndmask_b32_e32 v140, v136, v136, vcc_lo
	v_cndmask_b32_e64 v142, v138, v138, s3
	s_mov_b32 s3, exec_lo
	s_delay_alu instid0(VALU_DEP_1)
	v_cmpx_ngt_f64_e32 v[140:141], v[142:143]
	s_xor_b32 s3, exec_lo, s3
                                        ; implicit-def: $vgpr140_vgpr141_vgpr142_vgpr143
	s_cbranch_execz .LBB41_122
; %bb.121:
	v_div_scale_f64 v[140:141], null, v[138:139], v[138:139], v[136:137]
	v_div_scale_f64 v[146:147], vcc_lo, v[136:137], v[138:139], v[136:137]
	s_delay_alu instid0(VALU_DEP_2) | instskip(SKIP_2) | instid1(VALU_DEP_1)
	v_rcp_f64_e32 v[142:143], v[140:141]
	s_waitcnt_depctr 0xfff
	v_fma_f64 v[144:145], -v[140:141], v[142:143], 1.0
	v_fma_f64 v[142:143], v[142:143], v[144:145], v[142:143]
	s_delay_alu instid0(VALU_DEP_1) | instskip(NEXT) | instid1(VALU_DEP_1)
	v_fma_f64 v[144:145], -v[140:141], v[142:143], 1.0
	v_fma_f64 v[142:143], v[142:143], v[144:145], v[142:143]
	s_delay_alu instid0(VALU_DEP_1) | instskip(NEXT) | instid1(VALU_DEP_1)
	v_mul_f64 v[144:145], v[146:147], v[142:143]
	v_fma_f64 v[140:141], -v[140:141], v[144:145], v[146:147]
	s_delay_alu instid0(VALU_DEP_1) | instskip(NEXT) | instid1(VALU_DEP_1)
	v_div_fmas_f64 v[140:141], v[140:141], v[142:143], v[144:145]
	v_div_fixup_f64 v[140:141], v[140:141], v[138:139], v[136:137]
	s_delay_alu instid0(VALU_DEP_1) | instskip(NEXT) | instid1(VALU_DEP_1)
	v_fma_f64 v[136:137], v[136:137], v[140:141], v[138:139]
	v_div_scale_f64 v[138:139], null, v[136:137], v[136:137], 1.0
	s_delay_alu instid0(VALU_DEP_1) | instskip(SKIP_2) | instid1(VALU_DEP_1)
	v_rcp_f64_e32 v[142:143], v[138:139]
	s_waitcnt_depctr 0xfff
	v_fma_f64 v[144:145], -v[138:139], v[142:143], 1.0
	v_fma_f64 v[142:143], v[142:143], v[144:145], v[142:143]
	s_delay_alu instid0(VALU_DEP_1) | instskip(NEXT) | instid1(VALU_DEP_1)
	v_fma_f64 v[144:145], -v[138:139], v[142:143], 1.0
	v_fma_f64 v[142:143], v[142:143], v[144:145], v[142:143]
	v_div_scale_f64 v[144:145], vcc_lo, 1.0, v[136:137], 1.0
	s_delay_alu instid0(VALU_DEP_1) | instskip(NEXT) | instid1(VALU_DEP_1)
	v_mul_f64 v[146:147], v[144:145], v[142:143]
	v_fma_f64 v[138:139], -v[138:139], v[146:147], v[144:145]
	s_delay_alu instid0(VALU_DEP_1) | instskip(NEXT) | instid1(VALU_DEP_1)
	v_div_fmas_f64 v[138:139], v[138:139], v[142:143], v[146:147]
	v_div_fixup_f64 v[142:143], v[138:139], v[136:137], 1.0
                                        ; implicit-def: $vgpr136_vgpr137
	s_delay_alu instid0(VALU_DEP_1)
	v_mul_f64 v[144:145], v[140:141], v[142:143]
	v_xor_b32_e32 v143, 0x80000000, v143
.LBB41_122:
	s_and_not1_saveexec_b32 s3, s3
	s_cbranch_execz .LBB41_124
; %bb.123:
	v_div_scale_f64 v[140:141], null, v[136:137], v[136:137], v[138:139]
	v_div_scale_f64 v[146:147], vcc_lo, v[138:139], v[136:137], v[138:139]
	s_delay_alu instid0(VALU_DEP_2) | instskip(SKIP_2) | instid1(VALU_DEP_1)
	v_rcp_f64_e32 v[142:143], v[140:141]
	s_waitcnt_depctr 0xfff
	v_fma_f64 v[144:145], -v[140:141], v[142:143], 1.0
	v_fma_f64 v[142:143], v[142:143], v[144:145], v[142:143]
	s_delay_alu instid0(VALU_DEP_1) | instskip(NEXT) | instid1(VALU_DEP_1)
	v_fma_f64 v[144:145], -v[140:141], v[142:143], 1.0
	v_fma_f64 v[142:143], v[142:143], v[144:145], v[142:143]
	s_delay_alu instid0(VALU_DEP_1) | instskip(NEXT) | instid1(VALU_DEP_1)
	v_mul_f64 v[144:145], v[146:147], v[142:143]
	v_fma_f64 v[140:141], -v[140:141], v[144:145], v[146:147]
	s_delay_alu instid0(VALU_DEP_1) | instskip(NEXT) | instid1(VALU_DEP_1)
	v_div_fmas_f64 v[140:141], v[140:141], v[142:143], v[144:145]
	v_div_fixup_f64 v[140:141], v[140:141], v[136:137], v[138:139]
	s_delay_alu instid0(VALU_DEP_1) | instskip(NEXT) | instid1(VALU_DEP_1)
	v_fma_f64 v[136:137], v[138:139], v[140:141], v[136:137]
	v_div_scale_f64 v[138:139], null, v[136:137], v[136:137], 1.0
	s_delay_alu instid0(VALU_DEP_1) | instskip(SKIP_2) | instid1(VALU_DEP_1)
	v_rcp_f64_e32 v[142:143], v[138:139]
	s_waitcnt_depctr 0xfff
	v_fma_f64 v[144:145], -v[138:139], v[142:143], 1.0
	v_fma_f64 v[142:143], v[142:143], v[144:145], v[142:143]
	s_delay_alu instid0(VALU_DEP_1) | instskip(NEXT) | instid1(VALU_DEP_1)
	v_fma_f64 v[144:145], -v[138:139], v[142:143], 1.0
	v_fma_f64 v[142:143], v[142:143], v[144:145], v[142:143]
	v_div_scale_f64 v[144:145], vcc_lo, 1.0, v[136:137], 1.0
	s_delay_alu instid0(VALU_DEP_1) | instskip(NEXT) | instid1(VALU_DEP_1)
	v_mul_f64 v[146:147], v[144:145], v[142:143]
	v_fma_f64 v[138:139], -v[138:139], v[146:147], v[144:145]
	s_delay_alu instid0(VALU_DEP_1) | instskip(NEXT) | instid1(VALU_DEP_1)
	v_div_fmas_f64 v[138:139], v[138:139], v[142:143], v[146:147]
	v_div_fixup_f64 v[144:145], v[138:139], v[136:137], 1.0
	s_delay_alu instid0(VALU_DEP_1)
	v_mul_f64 v[142:143], v[140:141], -v[144:145]
.LBB41_124:
	s_or_b32 exec_lo, exec_lo, s3
	ds_store_2addr_b64 v215, v[144:145], v[142:143] offset1:1
.LBB41_125:
	s_or_b32 exec_lo, exec_lo, s4
	s_waitcnt lgkmcnt(0)
	s_barrier
	buffer_gl0_inv
	ds_load_2addr_b64 v[136:139], v215 offset1:1
	s_mov_b32 s3, exec_lo
	v_cmpx_lt_u32_e32 13, v214
	s_cbranch_execz .LBB41_127
; %bb.126:
	s_waitcnt lgkmcnt(0)
	v_mul_f64 v[140:141], v[136:137], v[30:31]
	v_mul_f64 v[30:31], v[138:139], v[30:31]
	s_delay_alu instid0(VALU_DEP_2)
	v_fma_f64 v[212:213], v[138:139], v[28:29], v[140:141]
	ds_load_2addr_b64 v[140:143], v216 offset0:28 offset1:29
	ds_load_2addr_b64 v[144:147], v216 offset0:30 offset1:31
	;; [unrolled: 1-line block ×7, first 2 shown]
	v_fma_f64 v[28:29], v[136:137], v[28:29], -v[30:31]
	s_waitcnt lgkmcnt(6)
	v_mul_f64 v[30:31], v[142:143], v[212:213]
	v_mul_f64 v[217:218], v[140:141], v[212:213]
	s_waitcnt lgkmcnt(5)
	v_mul_f64 v[219:220], v[146:147], v[212:213]
	v_mul_f64 v[221:222], v[144:145], v[212:213]
	;; [unrolled: 3-line block ×7, first 2 shown]
	v_fma_f64 v[30:31], v[140:141], v[28:29], -v[30:31]
	v_fma_f64 v[140:141], v[142:143], v[28:29], v[217:218]
	v_fma_f64 v[142:143], v[144:145], v[28:29], -v[219:220]
	v_fma_f64 v[144:145], v[146:147], v[28:29], v[221:222]
	;; [unrolled: 2-line block ×7, first 2 shown]
	v_add_f64 v[24:25], v[24:25], -v[30:31]
	v_add_f64 v[26:27], v[26:27], -v[140:141]
	;; [unrolled: 1-line block ×14, first 2 shown]
	v_dual_mov_b32 v30, v212 :: v_dual_mov_b32 v31, v213
.LBB41_127:
	s_or_b32 exec_lo, exec_lo, s3
	s_delay_alu instid0(SALU_CYCLE_1)
	s_mov_b32 s4, exec_lo
	s_waitcnt lgkmcnt(0)
	s_barrier
	buffer_gl0_inv
	v_cmpx_eq_u32_e32 14, v214
	s_cbranch_execz .LBB41_134
; %bb.128:
	ds_store_2addr_b64 v215, v[24:25], v[26:27] offset1:1
	ds_store_2addr_b64 v216, v[20:21], v[22:23] offset0:30 offset1:31
	ds_store_2addr_b64 v216, v[16:17], v[18:19] offset0:32 offset1:33
	;; [unrolled: 1-line block ×6, first 2 shown]
	ds_load_2addr_b64 v[140:143], v215 offset1:1
	s_waitcnt lgkmcnt(0)
	v_cmp_neq_f64_e32 vcc_lo, 0, v[140:141]
	v_cmp_neq_f64_e64 s3, 0, v[142:143]
	s_delay_alu instid0(VALU_DEP_1) | instskip(NEXT) | instid1(SALU_CYCLE_1)
	s_or_b32 s3, vcc_lo, s3
	s_and_b32 exec_lo, exec_lo, s3
	s_cbranch_execz .LBB41_134
; %bb.129:
	v_cmp_gt_f64_e32 vcc_lo, 0, v[140:141]
	v_cmp_gt_f64_e64 s3, 0, v[142:143]
	v_xor_b32_e32 v144, 0x80000000, v141
	v_xor_b32_e32 v146, 0x80000000, v143
                                        ; implicit-def: $vgpr148_vgpr149
	s_delay_alu instid0(VALU_DEP_2) | instskip(NEXT) | instid1(VALU_DEP_2)
	v_cndmask_b32_e32 v145, v141, v144, vcc_lo
	v_cndmask_b32_e64 v147, v143, v146, s3
	v_cndmask_b32_e32 v144, v140, v140, vcc_lo
	v_cndmask_b32_e64 v146, v142, v142, s3
	s_mov_b32 s3, exec_lo
	s_delay_alu instid0(VALU_DEP_1)
	v_cmpx_ngt_f64_e32 v[144:145], v[146:147]
	s_xor_b32 s3, exec_lo, s3
                                        ; implicit-def: $vgpr144_vgpr145_vgpr146_vgpr147
	s_cbranch_execz .LBB41_131
; %bb.130:
	v_div_scale_f64 v[144:145], null, v[142:143], v[142:143], v[140:141]
	v_div_scale_f64 v[150:151], vcc_lo, v[140:141], v[142:143], v[140:141]
	s_delay_alu instid0(VALU_DEP_2) | instskip(SKIP_2) | instid1(VALU_DEP_1)
	v_rcp_f64_e32 v[146:147], v[144:145]
	s_waitcnt_depctr 0xfff
	v_fma_f64 v[148:149], -v[144:145], v[146:147], 1.0
	v_fma_f64 v[146:147], v[146:147], v[148:149], v[146:147]
	s_delay_alu instid0(VALU_DEP_1) | instskip(NEXT) | instid1(VALU_DEP_1)
	v_fma_f64 v[148:149], -v[144:145], v[146:147], 1.0
	v_fma_f64 v[146:147], v[146:147], v[148:149], v[146:147]
	s_delay_alu instid0(VALU_DEP_1) | instskip(NEXT) | instid1(VALU_DEP_1)
	v_mul_f64 v[148:149], v[150:151], v[146:147]
	v_fma_f64 v[144:145], -v[144:145], v[148:149], v[150:151]
	s_delay_alu instid0(VALU_DEP_1) | instskip(NEXT) | instid1(VALU_DEP_1)
	v_div_fmas_f64 v[144:145], v[144:145], v[146:147], v[148:149]
	v_div_fixup_f64 v[144:145], v[144:145], v[142:143], v[140:141]
	s_delay_alu instid0(VALU_DEP_1) | instskip(NEXT) | instid1(VALU_DEP_1)
	v_fma_f64 v[140:141], v[140:141], v[144:145], v[142:143]
	v_div_scale_f64 v[142:143], null, v[140:141], v[140:141], 1.0
	s_delay_alu instid0(VALU_DEP_1) | instskip(SKIP_2) | instid1(VALU_DEP_1)
	v_rcp_f64_e32 v[146:147], v[142:143]
	s_waitcnt_depctr 0xfff
	v_fma_f64 v[148:149], -v[142:143], v[146:147], 1.0
	v_fma_f64 v[146:147], v[146:147], v[148:149], v[146:147]
	s_delay_alu instid0(VALU_DEP_1) | instskip(NEXT) | instid1(VALU_DEP_1)
	v_fma_f64 v[148:149], -v[142:143], v[146:147], 1.0
	v_fma_f64 v[146:147], v[146:147], v[148:149], v[146:147]
	v_div_scale_f64 v[148:149], vcc_lo, 1.0, v[140:141], 1.0
	s_delay_alu instid0(VALU_DEP_1) | instskip(NEXT) | instid1(VALU_DEP_1)
	v_mul_f64 v[150:151], v[148:149], v[146:147]
	v_fma_f64 v[142:143], -v[142:143], v[150:151], v[148:149]
	s_delay_alu instid0(VALU_DEP_1) | instskip(NEXT) | instid1(VALU_DEP_1)
	v_div_fmas_f64 v[142:143], v[142:143], v[146:147], v[150:151]
	v_div_fixup_f64 v[146:147], v[142:143], v[140:141], 1.0
                                        ; implicit-def: $vgpr140_vgpr141
	s_delay_alu instid0(VALU_DEP_1)
	v_mul_f64 v[148:149], v[144:145], v[146:147]
	v_xor_b32_e32 v147, 0x80000000, v147
.LBB41_131:
	s_and_not1_saveexec_b32 s3, s3
	s_cbranch_execz .LBB41_133
; %bb.132:
	v_div_scale_f64 v[144:145], null, v[140:141], v[140:141], v[142:143]
	v_div_scale_f64 v[150:151], vcc_lo, v[142:143], v[140:141], v[142:143]
	s_delay_alu instid0(VALU_DEP_2) | instskip(SKIP_2) | instid1(VALU_DEP_1)
	v_rcp_f64_e32 v[146:147], v[144:145]
	s_waitcnt_depctr 0xfff
	v_fma_f64 v[148:149], -v[144:145], v[146:147], 1.0
	v_fma_f64 v[146:147], v[146:147], v[148:149], v[146:147]
	s_delay_alu instid0(VALU_DEP_1) | instskip(NEXT) | instid1(VALU_DEP_1)
	v_fma_f64 v[148:149], -v[144:145], v[146:147], 1.0
	v_fma_f64 v[146:147], v[146:147], v[148:149], v[146:147]
	s_delay_alu instid0(VALU_DEP_1) | instskip(NEXT) | instid1(VALU_DEP_1)
	v_mul_f64 v[148:149], v[150:151], v[146:147]
	v_fma_f64 v[144:145], -v[144:145], v[148:149], v[150:151]
	s_delay_alu instid0(VALU_DEP_1) | instskip(NEXT) | instid1(VALU_DEP_1)
	v_div_fmas_f64 v[144:145], v[144:145], v[146:147], v[148:149]
	v_div_fixup_f64 v[144:145], v[144:145], v[140:141], v[142:143]
	s_delay_alu instid0(VALU_DEP_1) | instskip(NEXT) | instid1(VALU_DEP_1)
	v_fma_f64 v[140:141], v[142:143], v[144:145], v[140:141]
	v_div_scale_f64 v[142:143], null, v[140:141], v[140:141], 1.0
	s_delay_alu instid0(VALU_DEP_1) | instskip(SKIP_2) | instid1(VALU_DEP_1)
	v_rcp_f64_e32 v[146:147], v[142:143]
	s_waitcnt_depctr 0xfff
	v_fma_f64 v[148:149], -v[142:143], v[146:147], 1.0
	v_fma_f64 v[146:147], v[146:147], v[148:149], v[146:147]
	s_delay_alu instid0(VALU_DEP_1) | instskip(NEXT) | instid1(VALU_DEP_1)
	v_fma_f64 v[148:149], -v[142:143], v[146:147], 1.0
	v_fma_f64 v[146:147], v[146:147], v[148:149], v[146:147]
	v_div_scale_f64 v[148:149], vcc_lo, 1.0, v[140:141], 1.0
	s_delay_alu instid0(VALU_DEP_1) | instskip(NEXT) | instid1(VALU_DEP_1)
	v_mul_f64 v[150:151], v[148:149], v[146:147]
	v_fma_f64 v[142:143], -v[142:143], v[150:151], v[148:149]
	s_delay_alu instid0(VALU_DEP_1) | instskip(NEXT) | instid1(VALU_DEP_1)
	v_div_fmas_f64 v[142:143], v[142:143], v[146:147], v[150:151]
	v_div_fixup_f64 v[148:149], v[142:143], v[140:141], 1.0
	s_delay_alu instid0(VALU_DEP_1)
	v_mul_f64 v[146:147], v[144:145], -v[148:149]
.LBB41_133:
	s_or_b32 exec_lo, exec_lo, s3
	ds_store_2addr_b64 v215, v[148:149], v[146:147] offset1:1
.LBB41_134:
	s_or_b32 exec_lo, exec_lo, s4
	s_waitcnt lgkmcnt(0)
	s_barrier
	buffer_gl0_inv
	ds_load_2addr_b64 v[140:143], v215 offset1:1
	s_mov_b32 s3, exec_lo
	v_cmpx_lt_u32_e32 14, v214
	s_cbranch_execz .LBB41_136
; %bb.135:
	s_waitcnt lgkmcnt(0)
	v_mul_f64 v[144:145], v[140:141], v[26:27]
	v_mul_f64 v[26:27], v[142:143], v[26:27]
	s_delay_alu instid0(VALU_DEP_2)
	v_fma_f64 v[212:213], v[142:143], v[24:25], v[144:145]
	ds_load_2addr_b64 v[144:147], v216 offset0:30 offset1:31
	ds_load_2addr_b64 v[148:151], v216 offset0:32 offset1:33
	;; [unrolled: 1-line block ×6, first 2 shown]
	v_fma_f64 v[24:25], v[140:141], v[24:25], -v[26:27]
	s_waitcnt lgkmcnt(5)
	v_mul_f64 v[26:27], v[146:147], v[212:213]
	v_mul_f64 v[217:218], v[144:145], v[212:213]
	s_waitcnt lgkmcnt(4)
	v_mul_f64 v[219:220], v[150:151], v[212:213]
	v_mul_f64 v[221:222], v[148:149], v[212:213]
	;; [unrolled: 3-line block ×6, first 2 shown]
	v_fma_f64 v[26:27], v[144:145], v[24:25], -v[26:27]
	v_fma_f64 v[144:145], v[146:147], v[24:25], v[217:218]
	v_fma_f64 v[146:147], v[148:149], v[24:25], -v[219:220]
	v_fma_f64 v[148:149], v[150:151], v[24:25], v[221:222]
	;; [unrolled: 2-line block ×6, first 2 shown]
	v_add_f64 v[20:21], v[20:21], -v[26:27]
	v_add_f64 v[22:23], v[22:23], -v[144:145]
	;; [unrolled: 1-line block ×12, first 2 shown]
	v_dual_mov_b32 v26, v212 :: v_dual_mov_b32 v27, v213
.LBB41_136:
	s_or_b32 exec_lo, exec_lo, s3
	s_delay_alu instid0(SALU_CYCLE_1)
	s_mov_b32 s4, exec_lo
	s_waitcnt lgkmcnt(0)
	s_barrier
	buffer_gl0_inv
	v_cmpx_eq_u32_e32 15, v214
	s_cbranch_execz .LBB41_143
; %bb.137:
	ds_store_2addr_b64 v215, v[20:21], v[22:23] offset1:1
	ds_store_2addr_b64 v216, v[16:17], v[18:19] offset0:32 offset1:33
	ds_store_2addr_b64 v216, v[12:13], v[14:15] offset0:34 offset1:35
	;; [unrolled: 1-line block ×5, first 2 shown]
	ds_load_2addr_b64 v[144:147], v215 offset1:1
	s_waitcnt lgkmcnt(0)
	v_cmp_neq_f64_e32 vcc_lo, 0, v[144:145]
	v_cmp_neq_f64_e64 s3, 0, v[146:147]
	s_delay_alu instid0(VALU_DEP_1) | instskip(NEXT) | instid1(SALU_CYCLE_1)
	s_or_b32 s3, vcc_lo, s3
	s_and_b32 exec_lo, exec_lo, s3
	s_cbranch_execz .LBB41_143
; %bb.138:
	v_cmp_gt_f64_e32 vcc_lo, 0, v[144:145]
	v_cmp_gt_f64_e64 s3, 0, v[146:147]
	v_xor_b32_e32 v148, 0x80000000, v145
	v_xor_b32_e32 v150, 0x80000000, v147
                                        ; implicit-def: $vgpr152_vgpr153
	s_delay_alu instid0(VALU_DEP_2) | instskip(NEXT) | instid1(VALU_DEP_2)
	v_cndmask_b32_e32 v149, v145, v148, vcc_lo
	v_cndmask_b32_e64 v151, v147, v150, s3
	v_cndmask_b32_e32 v148, v144, v144, vcc_lo
	v_cndmask_b32_e64 v150, v146, v146, s3
	s_mov_b32 s3, exec_lo
	s_delay_alu instid0(VALU_DEP_1)
	v_cmpx_ngt_f64_e32 v[148:149], v[150:151]
	s_xor_b32 s3, exec_lo, s3
                                        ; implicit-def: $vgpr148_vgpr149_vgpr150_vgpr151
	s_cbranch_execz .LBB41_140
; %bb.139:
	v_div_scale_f64 v[148:149], null, v[146:147], v[146:147], v[144:145]
	v_div_scale_f64 v[154:155], vcc_lo, v[144:145], v[146:147], v[144:145]
	s_delay_alu instid0(VALU_DEP_2) | instskip(SKIP_2) | instid1(VALU_DEP_1)
	v_rcp_f64_e32 v[150:151], v[148:149]
	s_waitcnt_depctr 0xfff
	v_fma_f64 v[152:153], -v[148:149], v[150:151], 1.0
	v_fma_f64 v[150:151], v[150:151], v[152:153], v[150:151]
	s_delay_alu instid0(VALU_DEP_1) | instskip(NEXT) | instid1(VALU_DEP_1)
	v_fma_f64 v[152:153], -v[148:149], v[150:151], 1.0
	v_fma_f64 v[150:151], v[150:151], v[152:153], v[150:151]
	s_delay_alu instid0(VALU_DEP_1) | instskip(NEXT) | instid1(VALU_DEP_1)
	v_mul_f64 v[152:153], v[154:155], v[150:151]
	v_fma_f64 v[148:149], -v[148:149], v[152:153], v[154:155]
	s_delay_alu instid0(VALU_DEP_1) | instskip(NEXT) | instid1(VALU_DEP_1)
	v_div_fmas_f64 v[148:149], v[148:149], v[150:151], v[152:153]
	v_div_fixup_f64 v[148:149], v[148:149], v[146:147], v[144:145]
	s_delay_alu instid0(VALU_DEP_1) | instskip(NEXT) | instid1(VALU_DEP_1)
	v_fma_f64 v[144:145], v[144:145], v[148:149], v[146:147]
	v_div_scale_f64 v[146:147], null, v[144:145], v[144:145], 1.0
	s_delay_alu instid0(VALU_DEP_1) | instskip(SKIP_2) | instid1(VALU_DEP_1)
	v_rcp_f64_e32 v[150:151], v[146:147]
	s_waitcnt_depctr 0xfff
	v_fma_f64 v[152:153], -v[146:147], v[150:151], 1.0
	v_fma_f64 v[150:151], v[150:151], v[152:153], v[150:151]
	s_delay_alu instid0(VALU_DEP_1) | instskip(NEXT) | instid1(VALU_DEP_1)
	v_fma_f64 v[152:153], -v[146:147], v[150:151], 1.0
	v_fma_f64 v[150:151], v[150:151], v[152:153], v[150:151]
	v_div_scale_f64 v[152:153], vcc_lo, 1.0, v[144:145], 1.0
	s_delay_alu instid0(VALU_DEP_1) | instskip(NEXT) | instid1(VALU_DEP_1)
	v_mul_f64 v[154:155], v[152:153], v[150:151]
	v_fma_f64 v[146:147], -v[146:147], v[154:155], v[152:153]
	s_delay_alu instid0(VALU_DEP_1) | instskip(NEXT) | instid1(VALU_DEP_1)
	v_div_fmas_f64 v[146:147], v[146:147], v[150:151], v[154:155]
	v_div_fixup_f64 v[150:151], v[146:147], v[144:145], 1.0
                                        ; implicit-def: $vgpr144_vgpr145
	s_delay_alu instid0(VALU_DEP_1)
	v_mul_f64 v[152:153], v[148:149], v[150:151]
	v_xor_b32_e32 v151, 0x80000000, v151
.LBB41_140:
	s_and_not1_saveexec_b32 s3, s3
	s_cbranch_execz .LBB41_142
; %bb.141:
	v_div_scale_f64 v[148:149], null, v[144:145], v[144:145], v[146:147]
	v_div_scale_f64 v[154:155], vcc_lo, v[146:147], v[144:145], v[146:147]
	s_delay_alu instid0(VALU_DEP_2) | instskip(SKIP_2) | instid1(VALU_DEP_1)
	v_rcp_f64_e32 v[150:151], v[148:149]
	s_waitcnt_depctr 0xfff
	v_fma_f64 v[152:153], -v[148:149], v[150:151], 1.0
	v_fma_f64 v[150:151], v[150:151], v[152:153], v[150:151]
	s_delay_alu instid0(VALU_DEP_1) | instskip(NEXT) | instid1(VALU_DEP_1)
	v_fma_f64 v[152:153], -v[148:149], v[150:151], 1.0
	v_fma_f64 v[150:151], v[150:151], v[152:153], v[150:151]
	s_delay_alu instid0(VALU_DEP_1) | instskip(NEXT) | instid1(VALU_DEP_1)
	v_mul_f64 v[152:153], v[154:155], v[150:151]
	v_fma_f64 v[148:149], -v[148:149], v[152:153], v[154:155]
	s_delay_alu instid0(VALU_DEP_1) | instskip(NEXT) | instid1(VALU_DEP_1)
	v_div_fmas_f64 v[148:149], v[148:149], v[150:151], v[152:153]
	v_div_fixup_f64 v[148:149], v[148:149], v[144:145], v[146:147]
	s_delay_alu instid0(VALU_DEP_1) | instskip(NEXT) | instid1(VALU_DEP_1)
	v_fma_f64 v[144:145], v[146:147], v[148:149], v[144:145]
	v_div_scale_f64 v[146:147], null, v[144:145], v[144:145], 1.0
	s_delay_alu instid0(VALU_DEP_1) | instskip(SKIP_2) | instid1(VALU_DEP_1)
	v_rcp_f64_e32 v[150:151], v[146:147]
	s_waitcnt_depctr 0xfff
	v_fma_f64 v[152:153], -v[146:147], v[150:151], 1.0
	v_fma_f64 v[150:151], v[150:151], v[152:153], v[150:151]
	s_delay_alu instid0(VALU_DEP_1) | instskip(NEXT) | instid1(VALU_DEP_1)
	v_fma_f64 v[152:153], -v[146:147], v[150:151], 1.0
	v_fma_f64 v[150:151], v[150:151], v[152:153], v[150:151]
	v_div_scale_f64 v[152:153], vcc_lo, 1.0, v[144:145], 1.0
	s_delay_alu instid0(VALU_DEP_1) | instskip(NEXT) | instid1(VALU_DEP_1)
	v_mul_f64 v[154:155], v[152:153], v[150:151]
	v_fma_f64 v[146:147], -v[146:147], v[154:155], v[152:153]
	s_delay_alu instid0(VALU_DEP_1) | instskip(NEXT) | instid1(VALU_DEP_1)
	v_div_fmas_f64 v[146:147], v[146:147], v[150:151], v[154:155]
	v_div_fixup_f64 v[152:153], v[146:147], v[144:145], 1.0
	s_delay_alu instid0(VALU_DEP_1)
	v_mul_f64 v[150:151], v[148:149], -v[152:153]
.LBB41_142:
	s_or_b32 exec_lo, exec_lo, s3
	ds_store_2addr_b64 v215, v[152:153], v[150:151] offset1:1
.LBB41_143:
	s_or_b32 exec_lo, exec_lo, s4
	s_waitcnt lgkmcnt(0)
	s_barrier
	buffer_gl0_inv
	ds_load_2addr_b64 v[144:147], v215 offset1:1
	s_mov_b32 s3, exec_lo
	v_cmpx_lt_u32_e32 15, v214
	s_cbranch_execz .LBB41_145
; %bb.144:
	s_waitcnt lgkmcnt(0)
	v_mul_f64 v[148:149], v[144:145], v[22:23]
	v_mul_f64 v[22:23], v[146:147], v[22:23]
	s_delay_alu instid0(VALU_DEP_2)
	v_fma_f64 v[212:213], v[146:147], v[20:21], v[148:149]
	ds_load_2addr_b64 v[148:151], v216 offset0:32 offset1:33
	ds_load_2addr_b64 v[152:155], v216 offset0:34 offset1:35
	;; [unrolled: 1-line block ×5, first 2 shown]
	v_fma_f64 v[20:21], v[144:145], v[20:21], -v[22:23]
	s_waitcnt lgkmcnt(4)
	v_mul_f64 v[22:23], v[150:151], v[212:213]
	v_mul_f64 v[217:218], v[148:149], v[212:213]
	s_waitcnt lgkmcnt(3)
	v_mul_f64 v[219:220], v[154:155], v[212:213]
	v_mul_f64 v[221:222], v[152:153], v[212:213]
	;; [unrolled: 3-line block ×5, first 2 shown]
	v_fma_f64 v[22:23], v[148:149], v[20:21], -v[22:23]
	v_fma_f64 v[148:149], v[150:151], v[20:21], v[217:218]
	v_fma_f64 v[150:151], v[152:153], v[20:21], -v[219:220]
	v_fma_f64 v[152:153], v[154:155], v[20:21], v[221:222]
	;; [unrolled: 2-line block ×5, first 2 shown]
	v_add_f64 v[16:17], v[16:17], -v[22:23]
	v_add_f64 v[18:19], v[18:19], -v[148:149]
	;; [unrolled: 1-line block ×10, first 2 shown]
	v_dual_mov_b32 v22, v212 :: v_dual_mov_b32 v23, v213
.LBB41_145:
	s_or_b32 exec_lo, exec_lo, s3
	s_delay_alu instid0(SALU_CYCLE_1)
	s_mov_b32 s4, exec_lo
	s_waitcnt lgkmcnt(0)
	s_barrier
	buffer_gl0_inv
	v_cmpx_eq_u32_e32 16, v214
	s_cbranch_execz .LBB41_152
; %bb.146:
	ds_store_2addr_b64 v215, v[16:17], v[18:19] offset1:1
	ds_store_2addr_b64 v216, v[12:13], v[14:15] offset0:34 offset1:35
	ds_store_2addr_b64 v216, v[8:9], v[10:11] offset0:36 offset1:37
	;; [unrolled: 1-line block ×4, first 2 shown]
	ds_load_2addr_b64 v[148:151], v215 offset1:1
	s_waitcnt lgkmcnt(0)
	v_cmp_neq_f64_e32 vcc_lo, 0, v[148:149]
	v_cmp_neq_f64_e64 s3, 0, v[150:151]
	s_delay_alu instid0(VALU_DEP_1) | instskip(NEXT) | instid1(SALU_CYCLE_1)
	s_or_b32 s3, vcc_lo, s3
	s_and_b32 exec_lo, exec_lo, s3
	s_cbranch_execz .LBB41_152
; %bb.147:
	v_cmp_gt_f64_e32 vcc_lo, 0, v[148:149]
	v_cmp_gt_f64_e64 s3, 0, v[150:151]
	v_xor_b32_e32 v152, 0x80000000, v149
	v_xor_b32_e32 v154, 0x80000000, v151
                                        ; implicit-def: $vgpr156_vgpr157
	s_delay_alu instid0(VALU_DEP_2) | instskip(NEXT) | instid1(VALU_DEP_2)
	v_cndmask_b32_e32 v153, v149, v152, vcc_lo
	v_cndmask_b32_e64 v155, v151, v154, s3
	v_cndmask_b32_e32 v152, v148, v148, vcc_lo
	v_cndmask_b32_e64 v154, v150, v150, s3
	s_mov_b32 s3, exec_lo
	s_delay_alu instid0(VALU_DEP_1)
	v_cmpx_ngt_f64_e32 v[152:153], v[154:155]
	s_xor_b32 s3, exec_lo, s3
                                        ; implicit-def: $vgpr152_vgpr153_vgpr154_vgpr155
	s_cbranch_execz .LBB41_149
; %bb.148:
	v_div_scale_f64 v[152:153], null, v[150:151], v[150:151], v[148:149]
	v_div_scale_f64 v[158:159], vcc_lo, v[148:149], v[150:151], v[148:149]
	s_delay_alu instid0(VALU_DEP_2) | instskip(SKIP_2) | instid1(VALU_DEP_1)
	v_rcp_f64_e32 v[154:155], v[152:153]
	s_waitcnt_depctr 0xfff
	v_fma_f64 v[156:157], -v[152:153], v[154:155], 1.0
	v_fma_f64 v[154:155], v[154:155], v[156:157], v[154:155]
	s_delay_alu instid0(VALU_DEP_1) | instskip(NEXT) | instid1(VALU_DEP_1)
	v_fma_f64 v[156:157], -v[152:153], v[154:155], 1.0
	v_fma_f64 v[154:155], v[154:155], v[156:157], v[154:155]
	s_delay_alu instid0(VALU_DEP_1) | instskip(NEXT) | instid1(VALU_DEP_1)
	v_mul_f64 v[156:157], v[158:159], v[154:155]
	v_fma_f64 v[152:153], -v[152:153], v[156:157], v[158:159]
	s_delay_alu instid0(VALU_DEP_1) | instskip(NEXT) | instid1(VALU_DEP_1)
	v_div_fmas_f64 v[152:153], v[152:153], v[154:155], v[156:157]
	v_div_fixup_f64 v[152:153], v[152:153], v[150:151], v[148:149]
	s_delay_alu instid0(VALU_DEP_1) | instskip(NEXT) | instid1(VALU_DEP_1)
	v_fma_f64 v[148:149], v[148:149], v[152:153], v[150:151]
	v_div_scale_f64 v[150:151], null, v[148:149], v[148:149], 1.0
	s_delay_alu instid0(VALU_DEP_1) | instskip(SKIP_2) | instid1(VALU_DEP_1)
	v_rcp_f64_e32 v[154:155], v[150:151]
	s_waitcnt_depctr 0xfff
	v_fma_f64 v[156:157], -v[150:151], v[154:155], 1.0
	v_fma_f64 v[154:155], v[154:155], v[156:157], v[154:155]
	s_delay_alu instid0(VALU_DEP_1) | instskip(NEXT) | instid1(VALU_DEP_1)
	v_fma_f64 v[156:157], -v[150:151], v[154:155], 1.0
	v_fma_f64 v[154:155], v[154:155], v[156:157], v[154:155]
	v_div_scale_f64 v[156:157], vcc_lo, 1.0, v[148:149], 1.0
	s_delay_alu instid0(VALU_DEP_1) | instskip(NEXT) | instid1(VALU_DEP_1)
	v_mul_f64 v[158:159], v[156:157], v[154:155]
	v_fma_f64 v[150:151], -v[150:151], v[158:159], v[156:157]
	s_delay_alu instid0(VALU_DEP_1) | instskip(NEXT) | instid1(VALU_DEP_1)
	v_div_fmas_f64 v[150:151], v[150:151], v[154:155], v[158:159]
	v_div_fixup_f64 v[154:155], v[150:151], v[148:149], 1.0
                                        ; implicit-def: $vgpr148_vgpr149
	s_delay_alu instid0(VALU_DEP_1)
	v_mul_f64 v[156:157], v[152:153], v[154:155]
	v_xor_b32_e32 v155, 0x80000000, v155
.LBB41_149:
	s_and_not1_saveexec_b32 s3, s3
	s_cbranch_execz .LBB41_151
; %bb.150:
	v_div_scale_f64 v[152:153], null, v[148:149], v[148:149], v[150:151]
	v_div_scale_f64 v[158:159], vcc_lo, v[150:151], v[148:149], v[150:151]
	s_delay_alu instid0(VALU_DEP_2) | instskip(SKIP_2) | instid1(VALU_DEP_1)
	v_rcp_f64_e32 v[154:155], v[152:153]
	s_waitcnt_depctr 0xfff
	v_fma_f64 v[156:157], -v[152:153], v[154:155], 1.0
	v_fma_f64 v[154:155], v[154:155], v[156:157], v[154:155]
	s_delay_alu instid0(VALU_DEP_1) | instskip(NEXT) | instid1(VALU_DEP_1)
	v_fma_f64 v[156:157], -v[152:153], v[154:155], 1.0
	v_fma_f64 v[154:155], v[154:155], v[156:157], v[154:155]
	s_delay_alu instid0(VALU_DEP_1) | instskip(NEXT) | instid1(VALU_DEP_1)
	v_mul_f64 v[156:157], v[158:159], v[154:155]
	v_fma_f64 v[152:153], -v[152:153], v[156:157], v[158:159]
	s_delay_alu instid0(VALU_DEP_1) | instskip(NEXT) | instid1(VALU_DEP_1)
	v_div_fmas_f64 v[152:153], v[152:153], v[154:155], v[156:157]
	v_div_fixup_f64 v[152:153], v[152:153], v[148:149], v[150:151]
	s_delay_alu instid0(VALU_DEP_1) | instskip(NEXT) | instid1(VALU_DEP_1)
	v_fma_f64 v[148:149], v[150:151], v[152:153], v[148:149]
	v_div_scale_f64 v[150:151], null, v[148:149], v[148:149], 1.0
	s_delay_alu instid0(VALU_DEP_1) | instskip(SKIP_2) | instid1(VALU_DEP_1)
	v_rcp_f64_e32 v[154:155], v[150:151]
	s_waitcnt_depctr 0xfff
	v_fma_f64 v[156:157], -v[150:151], v[154:155], 1.0
	v_fma_f64 v[154:155], v[154:155], v[156:157], v[154:155]
	s_delay_alu instid0(VALU_DEP_1) | instskip(NEXT) | instid1(VALU_DEP_1)
	v_fma_f64 v[156:157], -v[150:151], v[154:155], 1.0
	v_fma_f64 v[154:155], v[154:155], v[156:157], v[154:155]
	v_div_scale_f64 v[156:157], vcc_lo, 1.0, v[148:149], 1.0
	s_delay_alu instid0(VALU_DEP_1) | instskip(NEXT) | instid1(VALU_DEP_1)
	v_mul_f64 v[158:159], v[156:157], v[154:155]
	v_fma_f64 v[150:151], -v[150:151], v[158:159], v[156:157]
	s_delay_alu instid0(VALU_DEP_1) | instskip(NEXT) | instid1(VALU_DEP_1)
	v_div_fmas_f64 v[150:151], v[150:151], v[154:155], v[158:159]
	v_div_fixup_f64 v[156:157], v[150:151], v[148:149], 1.0
	s_delay_alu instid0(VALU_DEP_1)
	v_mul_f64 v[154:155], v[152:153], -v[156:157]
.LBB41_151:
	s_or_b32 exec_lo, exec_lo, s3
	ds_store_2addr_b64 v215, v[156:157], v[154:155] offset1:1
.LBB41_152:
	s_or_b32 exec_lo, exec_lo, s4
	s_waitcnt lgkmcnt(0)
	s_barrier
	buffer_gl0_inv
	ds_load_2addr_b64 v[148:151], v215 offset1:1
	s_mov_b32 s3, exec_lo
	v_cmpx_lt_u32_e32 16, v214
	s_cbranch_execz .LBB41_154
; %bb.153:
	s_waitcnt lgkmcnt(0)
	v_mul_f64 v[152:153], v[148:149], v[18:19]
	v_mul_f64 v[18:19], v[150:151], v[18:19]
	s_delay_alu instid0(VALU_DEP_2)
	v_fma_f64 v[212:213], v[150:151], v[16:17], v[152:153]
	ds_load_2addr_b64 v[152:155], v216 offset0:34 offset1:35
	ds_load_2addr_b64 v[156:159], v216 offset0:36 offset1:37
	;; [unrolled: 1-line block ×4, first 2 shown]
	v_fma_f64 v[16:17], v[148:149], v[16:17], -v[18:19]
	s_waitcnt lgkmcnt(3)
	v_mul_f64 v[18:19], v[154:155], v[212:213]
	v_mul_f64 v[217:218], v[152:153], v[212:213]
	s_waitcnt lgkmcnt(2)
	v_mul_f64 v[219:220], v[158:159], v[212:213]
	v_mul_f64 v[221:222], v[156:157], v[212:213]
	;; [unrolled: 3-line block ×4, first 2 shown]
	v_fma_f64 v[18:19], v[152:153], v[16:17], -v[18:19]
	v_fma_f64 v[152:153], v[154:155], v[16:17], v[217:218]
	v_fma_f64 v[154:155], v[156:157], v[16:17], -v[219:220]
	v_fma_f64 v[156:157], v[158:159], v[16:17], v[221:222]
	;; [unrolled: 2-line block ×4, first 2 shown]
	v_add_f64 v[12:13], v[12:13], -v[18:19]
	v_add_f64 v[14:15], v[14:15], -v[152:153]
	v_add_f64 v[8:9], v[8:9], -v[154:155]
	v_add_f64 v[10:11], v[10:11], -v[156:157]
	v_add_f64 v[4:5], v[4:5], -v[158:159]
	v_add_f64 v[6:7], v[6:7], -v[160:161]
	v_add_f64 v[0:1], v[0:1], -v[162:163]
	v_add_f64 v[2:3], v[2:3], -v[164:165]
	v_dual_mov_b32 v18, v212 :: v_dual_mov_b32 v19, v213
.LBB41_154:
	s_or_b32 exec_lo, exec_lo, s3
	s_delay_alu instid0(SALU_CYCLE_1)
	s_mov_b32 s4, exec_lo
	s_waitcnt lgkmcnt(0)
	s_barrier
	buffer_gl0_inv
	v_cmpx_eq_u32_e32 17, v214
	s_cbranch_execz .LBB41_161
; %bb.155:
	ds_store_2addr_b64 v215, v[12:13], v[14:15] offset1:1
	ds_store_2addr_b64 v216, v[8:9], v[10:11] offset0:36 offset1:37
	ds_store_2addr_b64 v216, v[4:5], v[6:7] offset0:38 offset1:39
	;; [unrolled: 1-line block ×3, first 2 shown]
	ds_load_2addr_b64 v[152:155], v215 offset1:1
	s_waitcnt lgkmcnt(0)
	v_cmp_neq_f64_e32 vcc_lo, 0, v[152:153]
	v_cmp_neq_f64_e64 s3, 0, v[154:155]
	s_delay_alu instid0(VALU_DEP_1) | instskip(NEXT) | instid1(SALU_CYCLE_1)
	s_or_b32 s3, vcc_lo, s3
	s_and_b32 exec_lo, exec_lo, s3
	s_cbranch_execz .LBB41_161
; %bb.156:
	v_cmp_gt_f64_e32 vcc_lo, 0, v[152:153]
	v_cmp_gt_f64_e64 s3, 0, v[154:155]
	v_xor_b32_e32 v156, 0x80000000, v153
	v_xor_b32_e32 v158, 0x80000000, v155
                                        ; implicit-def: $vgpr160_vgpr161
	s_delay_alu instid0(VALU_DEP_2) | instskip(NEXT) | instid1(VALU_DEP_2)
	v_cndmask_b32_e32 v157, v153, v156, vcc_lo
	v_cndmask_b32_e64 v159, v155, v158, s3
	v_cndmask_b32_e32 v156, v152, v152, vcc_lo
	v_cndmask_b32_e64 v158, v154, v154, s3
	s_mov_b32 s3, exec_lo
	s_delay_alu instid0(VALU_DEP_1)
	v_cmpx_ngt_f64_e32 v[156:157], v[158:159]
	s_xor_b32 s3, exec_lo, s3
                                        ; implicit-def: $vgpr156_vgpr157_vgpr158_vgpr159
	s_cbranch_execz .LBB41_158
; %bb.157:
	v_div_scale_f64 v[156:157], null, v[154:155], v[154:155], v[152:153]
	v_div_scale_f64 v[162:163], vcc_lo, v[152:153], v[154:155], v[152:153]
	s_delay_alu instid0(VALU_DEP_2) | instskip(SKIP_2) | instid1(VALU_DEP_1)
	v_rcp_f64_e32 v[158:159], v[156:157]
	s_waitcnt_depctr 0xfff
	v_fma_f64 v[160:161], -v[156:157], v[158:159], 1.0
	v_fma_f64 v[158:159], v[158:159], v[160:161], v[158:159]
	s_delay_alu instid0(VALU_DEP_1) | instskip(NEXT) | instid1(VALU_DEP_1)
	v_fma_f64 v[160:161], -v[156:157], v[158:159], 1.0
	v_fma_f64 v[158:159], v[158:159], v[160:161], v[158:159]
	s_delay_alu instid0(VALU_DEP_1) | instskip(NEXT) | instid1(VALU_DEP_1)
	v_mul_f64 v[160:161], v[162:163], v[158:159]
	v_fma_f64 v[156:157], -v[156:157], v[160:161], v[162:163]
	s_delay_alu instid0(VALU_DEP_1) | instskip(NEXT) | instid1(VALU_DEP_1)
	v_div_fmas_f64 v[156:157], v[156:157], v[158:159], v[160:161]
	v_div_fixup_f64 v[156:157], v[156:157], v[154:155], v[152:153]
	s_delay_alu instid0(VALU_DEP_1) | instskip(NEXT) | instid1(VALU_DEP_1)
	v_fma_f64 v[152:153], v[152:153], v[156:157], v[154:155]
	v_div_scale_f64 v[154:155], null, v[152:153], v[152:153], 1.0
	s_delay_alu instid0(VALU_DEP_1) | instskip(SKIP_2) | instid1(VALU_DEP_1)
	v_rcp_f64_e32 v[158:159], v[154:155]
	s_waitcnt_depctr 0xfff
	v_fma_f64 v[160:161], -v[154:155], v[158:159], 1.0
	v_fma_f64 v[158:159], v[158:159], v[160:161], v[158:159]
	s_delay_alu instid0(VALU_DEP_1) | instskip(NEXT) | instid1(VALU_DEP_1)
	v_fma_f64 v[160:161], -v[154:155], v[158:159], 1.0
	v_fma_f64 v[158:159], v[158:159], v[160:161], v[158:159]
	v_div_scale_f64 v[160:161], vcc_lo, 1.0, v[152:153], 1.0
	s_delay_alu instid0(VALU_DEP_1) | instskip(NEXT) | instid1(VALU_DEP_1)
	v_mul_f64 v[162:163], v[160:161], v[158:159]
	v_fma_f64 v[154:155], -v[154:155], v[162:163], v[160:161]
	s_delay_alu instid0(VALU_DEP_1) | instskip(NEXT) | instid1(VALU_DEP_1)
	v_div_fmas_f64 v[154:155], v[154:155], v[158:159], v[162:163]
	v_div_fixup_f64 v[158:159], v[154:155], v[152:153], 1.0
                                        ; implicit-def: $vgpr152_vgpr153
	s_delay_alu instid0(VALU_DEP_1)
	v_mul_f64 v[160:161], v[156:157], v[158:159]
	v_xor_b32_e32 v159, 0x80000000, v159
.LBB41_158:
	s_and_not1_saveexec_b32 s3, s3
	s_cbranch_execz .LBB41_160
; %bb.159:
	v_div_scale_f64 v[156:157], null, v[152:153], v[152:153], v[154:155]
	v_div_scale_f64 v[162:163], vcc_lo, v[154:155], v[152:153], v[154:155]
	s_delay_alu instid0(VALU_DEP_2) | instskip(SKIP_2) | instid1(VALU_DEP_1)
	v_rcp_f64_e32 v[158:159], v[156:157]
	s_waitcnt_depctr 0xfff
	v_fma_f64 v[160:161], -v[156:157], v[158:159], 1.0
	v_fma_f64 v[158:159], v[158:159], v[160:161], v[158:159]
	s_delay_alu instid0(VALU_DEP_1) | instskip(NEXT) | instid1(VALU_DEP_1)
	v_fma_f64 v[160:161], -v[156:157], v[158:159], 1.0
	v_fma_f64 v[158:159], v[158:159], v[160:161], v[158:159]
	s_delay_alu instid0(VALU_DEP_1) | instskip(NEXT) | instid1(VALU_DEP_1)
	v_mul_f64 v[160:161], v[162:163], v[158:159]
	v_fma_f64 v[156:157], -v[156:157], v[160:161], v[162:163]
	s_delay_alu instid0(VALU_DEP_1) | instskip(NEXT) | instid1(VALU_DEP_1)
	v_div_fmas_f64 v[156:157], v[156:157], v[158:159], v[160:161]
	v_div_fixup_f64 v[156:157], v[156:157], v[152:153], v[154:155]
	s_delay_alu instid0(VALU_DEP_1) | instskip(NEXT) | instid1(VALU_DEP_1)
	v_fma_f64 v[152:153], v[154:155], v[156:157], v[152:153]
	v_div_scale_f64 v[154:155], null, v[152:153], v[152:153], 1.0
	s_delay_alu instid0(VALU_DEP_1) | instskip(SKIP_2) | instid1(VALU_DEP_1)
	v_rcp_f64_e32 v[158:159], v[154:155]
	s_waitcnt_depctr 0xfff
	v_fma_f64 v[160:161], -v[154:155], v[158:159], 1.0
	v_fma_f64 v[158:159], v[158:159], v[160:161], v[158:159]
	s_delay_alu instid0(VALU_DEP_1) | instskip(NEXT) | instid1(VALU_DEP_1)
	v_fma_f64 v[160:161], -v[154:155], v[158:159], 1.0
	v_fma_f64 v[158:159], v[158:159], v[160:161], v[158:159]
	v_div_scale_f64 v[160:161], vcc_lo, 1.0, v[152:153], 1.0
	s_delay_alu instid0(VALU_DEP_1) | instskip(NEXT) | instid1(VALU_DEP_1)
	v_mul_f64 v[162:163], v[160:161], v[158:159]
	v_fma_f64 v[154:155], -v[154:155], v[162:163], v[160:161]
	s_delay_alu instid0(VALU_DEP_1) | instskip(NEXT) | instid1(VALU_DEP_1)
	v_div_fmas_f64 v[154:155], v[154:155], v[158:159], v[162:163]
	v_div_fixup_f64 v[160:161], v[154:155], v[152:153], 1.0
	s_delay_alu instid0(VALU_DEP_1)
	v_mul_f64 v[158:159], v[156:157], -v[160:161]
.LBB41_160:
	s_or_b32 exec_lo, exec_lo, s3
	ds_store_2addr_b64 v215, v[160:161], v[158:159] offset1:1
.LBB41_161:
	s_or_b32 exec_lo, exec_lo, s4
	s_waitcnt lgkmcnt(0)
	s_barrier
	buffer_gl0_inv
	ds_load_2addr_b64 v[152:155], v215 offset1:1
	s_mov_b32 s3, exec_lo
	v_cmpx_lt_u32_e32 17, v214
	s_cbranch_execz .LBB41_163
; %bb.162:
	s_waitcnt lgkmcnt(0)
	v_mul_f64 v[156:157], v[152:153], v[14:15]
	v_mul_f64 v[14:15], v[154:155], v[14:15]
	s_delay_alu instid0(VALU_DEP_2)
	v_fma_f64 v[212:213], v[154:155], v[12:13], v[156:157]
	ds_load_2addr_b64 v[156:159], v216 offset0:36 offset1:37
	ds_load_2addr_b64 v[160:163], v216 offset0:38 offset1:39
	;; [unrolled: 1-line block ×3, first 2 shown]
	v_fma_f64 v[12:13], v[152:153], v[12:13], -v[14:15]
	s_waitcnt lgkmcnt(2)
	v_mul_f64 v[14:15], v[158:159], v[212:213]
	v_mul_f64 v[217:218], v[156:157], v[212:213]
	s_waitcnt lgkmcnt(1)
	v_mul_f64 v[219:220], v[162:163], v[212:213]
	v_mul_f64 v[221:222], v[160:161], v[212:213]
	s_waitcnt lgkmcnt(0)
	v_mul_f64 v[223:224], v[166:167], v[212:213]
	v_mul_f64 v[225:226], v[164:165], v[212:213]
	v_fma_f64 v[14:15], v[156:157], v[12:13], -v[14:15]
	v_fma_f64 v[156:157], v[158:159], v[12:13], v[217:218]
	v_fma_f64 v[158:159], v[160:161], v[12:13], -v[219:220]
	v_fma_f64 v[160:161], v[162:163], v[12:13], v[221:222]
	;; [unrolled: 2-line block ×3, first 2 shown]
	v_add_f64 v[8:9], v[8:9], -v[14:15]
	v_add_f64 v[10:11], v[10:11], -v[156:157]
	;; [unrolled: 1-line block ×6, first 2 shown]
	v_dual_mov_b32 v14, v212 :: v_dual_mov_b32 v15, v213
.LBB41_163:
	s_or_b32 exec_lo, exec_lo, s3
	s_delay_alu instid0(SALU_CYCLE_1)
	s_mov_b32 s4, exec_lo
	s_waitcnt lgkmcnt(0)
	s_barrier
	buffer_gl0_inv
	v_cmpx_eq_u32_e32 18, v214
	s_cbranch_execz .LBB41_170
; %bb.164:
	ds_store_2addr_b64 v215, v[8:9], v[10:11] offset1:1
	ds_store_2addr_b64 v216, v[4:5], v[6:7] offset0:38 offset1:39
	ds_store_2addr_b64 v216, v[0:1], v[2:3] offset0:40 offset1:41
	ds_load_2addr_b64 v[156:159], v215 offset1:1
	s_waitcnt lgkmcnt(0)
	v_cmp_neq_f64_e32 vcc_lo, 0, v[156:157]
	v_cmp_neq_f64_e64 s3, 0, v[158:159]
	s_delay_alu instid0(VALU_DEP_1) | instskip(NEXT) | instid1(SALU_CYCLE_1)
	s_or_b32 s3, vcc_lo, s3
	s_and_b32 exec_lo, exec_lo, s3
	s_cbranch_execz .LBB41_170
; %bb.165:
	v_cmp_gt_f64_e32 vcc_lo, 0, v[156:157]
	v_cmp_gt_f64_e64 s3, 0, v[158:159]
	v_xor_b32_e32 v160, 0x80000000, v157
	v_xor_b32_e32 v162, 0x80000000, v159
                                        ; implicit-def: $vgpr164_vgpr165
	s_delay_alu instid0(VALU_DEP_2) | instskip(NEXT) | instid1(VALU_DEP_2)
	v_cndmask_b32_e32 v161, v157, v160, vcc_lo
	v_cndmask_b32_e64 v163, v159, v162, s3
	v_cndmask_b32_e32 v160, v156, v156, vcc_lo
	v_cndmask_b32_e64 v162, v158, v158, s3
	s_mov_b32 s3, exec_lo
	s_delay_alu instid0(VALU_DEP_1)
	v_cmpx_ngt_f64_e32 v[160:161], v[162:163]
	s_xor_b32 s3, exec_lo, s3
                                        ; implicit-def: $vgpr160_vgpr161_vgpr162_vgpr163
	s_cbranch_execz .LBB41_167
; %bb.166:
	v_div_scale_f64 v[160:161], null, v[158:159], v[158:159], v[156:157]
	v_div_scale_f64 v[166:167], vcc_lo, v[156:157], v[158:159], v[156:157]
	s_delay_alu instid0(VALU_DEP_2) | instskip(SKIP_2) | instid1(VALU_DEP_1)
	v_rcp_f64_e32 v[162:163], v[160:161]
	s_waitcnt_depctr 0xfff
	v_fma_f64 v[164:165], -v[160:161], v[162:163], 1.0
	v_fma_f64 v[162:163], v[162:163], v[164:165], v[162:163]
	s_delay_alu instid0(VALU_DEP_1) | instskip(NEXT) | instid1(VALU_DEP_1)
	v_fma_f64 v[164:165], -v[160:161], v[162:163], 1.0
	v_fma_f64 v[162:163], v[162:163], v[164:165], v[162:163]
	s_delay_alu instid0(VALU_DEP_1) | instskip(NEXT) | instid1(VALU_DEP_1)
	v_mul_f64 v[164:165], v[166:167], v[162:163]
	v_fma_f64 v[160:161], -v[160:161], v[164:165], v[166:167]
	s_delay_alu instid0(VALU_DEP_1) | instskip(NEXT) | instid1(VALU_DEP_1)
	v_div_fmas_f64 v[160:161], v[160:161], v[162:163], v[164:165]
	v_div_fixup_f64 v[160:161], v[160:161], v[158:159], v[156:157]
	s_delay_alu instid0(VALU_DEP_1) | instskip(NEXT) | instid1(VALU_DEP_1)
	v_fma_f64 v[156:157], v[156:157], v[160:161], v[158:159]
	v_div_scale_f64 v[158:159], null, v[156:157], v[156:157], 1.0
	s_delay_alu instid0(VALU_DEP_1) | instskip(SKIP_2) | instid1(VALU_DEP_1)
	v_rcp_f64_e32 v[162:163], v[158:159]
	s_waitcnt_depctr 0xfff
	v_fma_f64 v[164:165], -v[158:159], v[162:163], 1.0
	v_fma_f64 v[162:163], v[162:163], v[164:165], v[162:163]
	s_delay_alu instid0(VALU_DEP_1) | instskip(NEXT) | instid1(VALU_DEP_1)
	v_fma_f64 v[164:165], -v[158:159], v[162:163], 1.0
	v_fma_f64 v[162:163], v[162:163], v[164:165], v[162:163]
	v_div_scale_f64 v[164:165], vcc_lo, 1.0, v[156:157], 1.0
	s_delay_alu instid0(VALU_DEP_1) | instskip(NEXT) | instid1(VALU_DEP_1)
	v_mul_f64 v[166:167], v[164:165], v[162:163]
	v_fma_f64 v[158:159], -v[158:159], v[166:167], v[164:165]
	s_delay_alu instid0(VALU_DEP_1) | instskip(NEXT) | instid1(VALU_DEP_1)
	v_div_fmas_f64 v[158:159], v[158:159], v[162:163], v[166:167]
	v_div_fixup_f64 v[162:163], v[158:159], v[156:157], 1.0
                                        ; implicit-def: $vgpr156_vgpr157
	s_delay_alu instid0(VALU_DEP_1)
	v_mul_f64 v[164:165], v[160:161], v[162:163]
	v_xor_b32_e32 v163, 0x80000000, v163
.LBB41_167:
	s_and_not1_saveexec_b32 s3, s3
	s_cbranch_execz .LBB41_169
; %bb.168:
	v_div_scale_f64 v[160:161], null, v[156:157], v[156:157], v[158:159]
	v_div_scale_f64 v[166:167], vcc_lo, v[158:159], v[156:157], v[158:159]
	s_delay_alu instid0(VALU_DEP_2) | instskip(SKIP_2) | instid1(VALU_DEP_1)
	v_rcp_f64_e32 v[162:163], v[160:161]
	s_waitcnt_depctr 0xfff
	v_fma_f64 v[164:165], -v[160:161], v[162:163], 1.0
	v_fma_f64 v[162:163], v[162:163], v[164:165], v[162:163]
	s_delay_alu instid0(VALU_DEP_1) | instskip(NEXT) | instid1(VALU_DEP_1)
	v_fma_f64 v[164:165], -v[160:161], v[162:163], 1.0
	v_fma_f64 v[162:163], v[162:163], v[164:165], v[162:163]
	s_delay_alu instid0(VALU_DEP_1) | instskip(NEXT) | instid1(VALU_DEP_1)
	v_mul_f64 v[164:165], v[166:167], v[162:163]
	v_fma_f64 v[160:161], -v[160:161], v[164:165], v[166:167]
	s_delay_alu instid0(VALU_DEP_1) | instskip(NEXT) | instid1(VALU_DEP_1)
	v_div_fmas_f64 v[160:161], v[160:161], v[162:163], v[164:165]
	v_div_fixup_f64 v[160:161], v[160:161], v[156:157], v[158:159]
	s_delay_alu instid0(VALU_DEP_1) | instskip(NEXT) | instid1(VALU_DEP_1)
	v_fma_f64 v[156:157], v[158:159], v[160:161], v[156:157]
	v_div_scale_f64 v[158:159], null, v[156:157], v[156:157], 1.0
	s_delay_alu instid0(VALU_DEP_1) | instskip(SKIP_2) | instid1(VALU_DEP_1)
	v_rcp_f64_e32 v[162:163], v[158:159]
	s_waitcnt_depctr 0xfff
	v_fma_f64 v[164:165], -v[158:159], v[162:163], 1.0
	v_fma_f64 v[162:163], v[162:163], v[164:165], v[162:163]
	s_delay_alu instid0(VALU_DEP_1) | instskip(NEXT) | instid1(VALU_DEP_1)
	v_fma_f64 v[164:165], -v[158:159], v[162:163], 1.0
	v_fma_f64 v[162:163], v[162:163], v[164:165], v[162:163]
	v_div_scale_f64 v[164:165], vcc_lo, 1.0, v[156:157], 1.0
	s_delay_alu instid0(VALU_DEP_1) | instskip(NEXT) | instid1(VALU_DEP_1)
	v_mul_f64 v[166:167], v[164:165], v[162:163]
	v_fma_f64 v[158:159], -v[158:159], v[166:167], v[164:165]
	s_delay_alu instid0(VALU_DEP_1) | instskip(NEXT) | instid1(VALU_DEP_1)
	v_div_fmas_f64 v[158:159], v[158:159], v[162:163], v[166:167]
	v_div_fixup_f64 v[164:165], v[158:159], v[156:157], 1.0
	s_delay_alu instid0(VALU_DEP_1)
	v_mul_f64 v[162:163], v[160:161], -v[164:165]
.LBB41_169:
	s_or_b32 exec_lo, exec_lo, s3
	ds_store_2addr_b64 v215, v[164:165], v[162:163] offset1:1
.LBB41_170:
	s_or_b32 exec_lo, exec_lo, s4
	s_waitcnt lgkmcnt(0)
	s_barrier
	buffer_gl0_inv
	ds_load_2addr_b64 v[156:159], v215 offset1:1
	s_mov_b32 s3, exec_lo
	v_cmpx_lt_u32_e32 18, v214
	s_cbranch_execz .LBB41_172
; %bb.171:
	s_waitcnt lgkmcnt(0)
	v_mul_f64 v[160:161], v[156:157], v[10:11]
	v_mul_f64 v[10:11], v[158:159], v[10:11]
	s_delay_alu instid0(VALU_DEP_2)
	v_fma_f64 v[212:213], v[158:159], v[8:9], v[160:161]
	ds_load_2addr_b64 v[160:163], v216 offset0:38 offset1:39
	ds_load_2addr_b64 v[164:167], v216 offset0:40 offset1:41
	v_fma_f64 v[8:9], v[156:157], v[8:9], -v[10:11]
	s_waitcnt lgkmcnt(1)
	v_mul_f64 v[10:11], v[162:163], v[212:213]
	v_mul_f64 v[217:218], v[160:161], v[212:213]
	s_waitcnt lgkmcnt(0)
	v_mul_f64 v[219:220], v[166:167], v[212:213]
	v_mul_f64 v[221:222], v[164:165], v[212:213]
	s_delay_alu instid0(VALU_DEP_4) | instskip(NEXT) | instid1(VALU_DEP_4)
	v_fma_f64 v[10:11], v[160:161], v[8:9], -v[10:11]
	v_fma_f64 v[160:161], v[162:163], v[8:9], v[217:218]
	s_delay_alu instid0(VALU_DEP_4) | instskip(NEXT) | instid1(VALU_DEP_4)
	v_fma_f64 v[162:163], v[164:165], v[8:9], -v[219:220]
	v_fma_f64 v[164:165], v[166:167], v[8:9], v[221:222]
	s_delay_alu instid0(VALU_DEP_4) | instskip(NEXT) | instid1(VALU_DEP_4)
	v_add_f64 v[4:5], v[4:5], -v[10:11]
	v_add_f64 v[6:7], v[6:7], -v[160:161]
	s_delay_alu instid0(VALU_DEP_4) | instskip(NEXT) | instid1(VALU_DEP_4)
	v_add_f64 v[0:1], v[0:1], -v[162:163]
	v_add_f64 v[2:3], v[2:3], -v[164:165]
	v_dual_mov_b32 v10, v212 :: v_dual_mov_b32 v11, v213
.LBB41_172:
	s_or_b32 exec_lo, exec_lo, s3
	s_delay_alu instid0(SALU_CYCLE_1)
	s_mov_b32 s4, exec_lo
	s_waitcnt lgkmcnt(0)
	s_barrier
	buffer_gl0_inv
	v_cmpx_eq_u32_e32 19, v214
	s_cbranch_execz .LBB41_179
; %bb.173:
	ds_store_2addr_b64 v215, v[4:5], v[6:7] offset1:1
	ds_store_2addr_b64 v216, v[0:1], v[2:3] offset0:40 offset1:41
	ds_load_2addr_b64 v[160:163], v215 offset1:1
	s_waitcnt lgkmcnt(0)
	v_cmp_neq_f64_e32 vcc_lo, 0, v[160:161]
	v_cmp_neq_f64_e64 s3, 0, v[162:163]
	s_delay_alu instid0(VALU_DEP_1) | instskip(NEXT) | instid1(SALU_CYCLE_1)
	s_or_b32 s3, vcc_lo, s3
	s_and_b32 exec_lo, exec_lo, s3
	s_cbranch_execz .LBB41_179
; %bb.174:
	v_cmp_gt_f64_e32 vcc_lo, 0, v[160:161]
	v_cmp_gt_f64_e64 s3, 0, v[162:163]
	v_xor_b32_e32 v164, 0x80000000, v161
	v_xor_b32_e32 v166, 0x80000000, v163
                                        ; implicit-def: $vgpr212_vgpr213
	s_delay_alu instid0(VALU_DEP_2) | instskip(NEXT) | instid1(VALU_DEP_2)
	v_cndmask_b32_e32 v165, v161, v164, vcc_lo
	v_cndmask_b32_e64 v167, v163, v166, s3
	v_cndmask_b32_e32 v164, v160, v160, vcc_lo
	v_cndmask_b32_e64 v166, v162, v162, s3
	s_mov_b32 s3, exec_lo
	s_delay_alu instid0(VALU_DEP_1)
	v_cmpx_ngt_f64_e32 v[164:165], v[166:167]
	s_xor_b32 s3, exec_lo, s3
                                        ; implicit-def: $vgpr164_vgpr165_vgpr166_vgpr167
	s_cbranch_execz .LBB41_176
; %bb.175:
	v_div_scale_f64 v[164:165], null, v[162:163], v[162:163], v[160:161]
	v_div_scale_f64 v[217:218], vcc_lo, v[160:161], v[162:163], v[160:161]
	s_delay_alu instid0(VALU_DEP_2) | instskip(SKIP_2) | instid1(VALU_DEP_1)
	v_rcp_f64_e32 v[166:167], v[164:165]
	s_waitcnt_depctr 0xfff
	v_fma_f64 v[212:213], -v[164:165], v[166:167], 1.0
	v_fma_f64 v[166:167], v[166:167], v[212:213], v[166:167]
	s_delay_alu instid0(VALU_DEP_1) | instskip(NEXT) | instid1(VALU_DEP_1)
	v_fma_f64 v[212:213], -v[164:165], v[166:167], 1.0
	v_fma_f64 v[166:167], v[166:167], v[212:213], v[166:167]
	s_delay_alu instid0(VALU_DEP_1) | instskip(NEXT) | instid1(VALU_DEP_1)
	v_mul_f64 v[212:213], v[217:218], v[166:167]
	v_fma_f64 v[164:165], -v[164:165], v[212:213], v[217:218]
	s_delay_alu instid0(VALU_DEP_1) | instskip(NEXT) | instid1(VALU_DEP_1)
	v_div_fmas_f64 v[164:165], v[164:165], v[166:167], v[212:213]
	v_div_fixup_f64 v[164:165], v[164:165], v[162:163], v[160:161]
	s_delay_alu instid0(VALU_DEP_1) | instskip(NEXT) | instid1(VALU_DEP_1)
	v_fma_f64 v[160:161], v[160:161], v[164:165], v[162:163]
	v_div_scale_f64 v[162:163], null, v[160:161], v[160:161], 1.0
	s_delay_alu instid0(VALU_DEP_1) | instskip(SKIP_2) | instid1(VALU_DEP_1)
	v_rcp_f64_e32 v[166:167], v[162:163]
	s_waitcnt_depctr 0xfff
	v_fma_f64 v[212:213], -v[162:163], v[166:167], 1.0
	v_fma_f64 v[166:167], v[166:167], v[212:213], v[166:167]
	s_delay_alu instid0(VALU_DEP_1) | instskip(NEXT) | instid1(VALU_DEP_1)
	v_fma_f64 v[212:213], -v[162:163], v[166:167], 1.0
	v_fma_f64 v[166:167], v[166:167], v[212:213], v[166:167]
	v_div_scale_f64 v[212:213], vcc_lo, 1.0, v[160:161], 1.0
	s_delay_alu instid0(VALU_DEP_1) | instskip(NEXT) | instid1(VALU_DEP_1)
	v_mul_f64 v[217:218], v[212:213], v[166:167]
	v_fma_f64 v[162:163], -v[162:163], v[217:218], v[212:213]
	s_delay_alu instid0(VALU_DEP_1) | instskip(NEXT) | instid1(VALU_DEP_1)
	v_div_fmas_f64 v[162:163], v[162:163], v[166:167], v[217:218]
	v_div_fixup_f64 v[166:167], v[162:163], v[160:161], 1.0
                                        ; implicit-def: $vgpr160_vgpr161
	s_delay_alu instid0(VALU_DEP_1)
	v_mul_f64 v[212:213], v[164:165], v[166:167]
	v_xor_b32_e32 v167, 0x80000000, v167
.LBB41_176:
	s_and_not1_saveexec_b32 s3, s3
	s_cbranch_execz .LBB41_178
; %bb.177:
	v_div_scale_f64 v[164:165], null, v[160:161], v[160:161], v[162:163]
	v_div_scale_f64 v[217:218], vcc_lo, v[162:163], v[160:161], v[162:163]
	s_delay_alu instid0(VALU_DEP_2) | instskip(SKIP_2) | instid1(VALU_DEP_1)
	v_rcp_f64_e32 v[166:167], v[164:165]
	s_waitcnt_depctr 0xfff
	v_fma_f64 v[212:213], -v[164:165], v[166:167], 1.0
	v_fma_f64 v[166:167], v[166:167], v[212:213], v[166:167]
	s_delay_alu instid0(VALU_DEP_1) | instskip(NEXT) | instid1(VALU_DEP_1)
	v_fma_f64 v[212:213], -v[164:165], v[166:167], 1.0
	v_fma_f64 v[166:167], v[166:167], v[212:213], v[166:167]
	s_delay_alu instid0(VALU_DEP_1) | instskip(NEXT) | instid1(VALU_DEP_1)
	v_mul_f64 v[212:213], v[217:218], v[166:167]
	v_fma_f64 v[164:165], -v[164:165], v[212:213], v[217:218]
	s_delay_alu instid0(VALU_DEP_1) | instskip(NEXT) | instid1(VALU_DEP_1)
	v_div_fmas_f64 v[164:165], v[164:165], v[166:167], v[212:213]
	v_div_fixup_f64 v[164:165], v[164:165], v[160:161], v[162:163]
	s_delay_alu instid0(VALU_DEP_1) | instskip(NEXT) | instid1(VALU_DEP_1)
	v_fma_f64 v[160:161], v[162:163], v[164:165], v[160:161]
	v_div_scale_f64 v[162:163], null, v[160:161], v[160:161], 1.0
	s_delay_alu instid0(VALU_DEP_1) | instskip(SKIP_2) | instid1(VALU_DEP_1)
	v_rcp_f64_e32 v[166:167], v[162:163]
	s_waitcnt_depctr 0xfff
	v_fma_f64 v[212:213], -v[162:163], v[166:167], 1.0
	v_fma_f64 v[166:167], v[166:167], v[212:213], v[166:167]
	s_delay_alu instid0(VALU_DEP_1) | instskip(NEXT) | instid1(VALU_DEP_1)
	v_fma_f64 v[212:213], -v[162:163], v[166:167], 1.0
	v_fma_f64 v[166:167], v[166:167], v[212:213], v[166:167]
	v_div_scale_f64 v[212:213], vcc_lo, 1.0, v[160:161], 1.0
	s_delay_alu instid0(VALU_DEP_1) | instskip(NEXT) | instid1(VALU_DEP_1)
	v_mul_f64 v[217:218], v[212:213], v[166:167]
	v_fma_f64 v[162:163], -v[162:163], v[217:218], v[212:213]
	s_delay_alu instid0(VALU_DEP_1) | instskip(NEXT) | instid1(VALU_DEP_1)
	v_div_fmas_f64 v[162:163], v[162:163], v[166:167], v[217:218]
	v_div_fixup_f64 v[212:213], v[162:163], v[160:161], 1.0
	s_delay_alu instid0(VALU_DEP_1)
	v_mul_f64 v[166:167], v[164:165], -v[212:213]
.LBB41_178:
	s_or_b32 exec_lo, exec_lo, s3
	ds_store_2addr_b64 v215, v[212:213], v[166:167] offset1:1
.LBB41_179:
	s_or_b32 exec_lo, exec_lo, s4
	s_waitcnt lgkmcnt(0)
	s_barrier
	buffer_gl0_inv
	ds_load_2addr_b64 v[160:163], v215 offset1:1
	s_mov_b32 s3, exec_lo
	v_cmpx_lt_u32_e32 19, v214
	s_cbranch_execz .LBB41_181
; %bb.180:
	s_waitcnt lgkmcnt(0)
	v_mul_f64 v[164:165], v[160:161], v[6:7]
	v_mul_f64 v[6:7], v[162:163], v[6:7]
	s_delay_alu instid0(VALU_DEP_2)
	v_fma_f64 v[212:213], v[162:163], v[4:5], v[164:165]
	ds_load_2addr_b64 v[164:167], v216 offset0:40 offset1:41
	v_fma_f64 v[4:5], v[160:161], v[4:5], -v[6:7]
	s_waitcnt lgkmcnt(0)
	v_mul_f64 v[6:7], v[166:167], v[212:213]
	v_mul_f64 v[216:217], v[164:165], v[212:213]
	s_delay_alu instid0(VALU_DEP_2) | instskip(NEXT) | instid1(VALU_DEP_2)
	v_fma_f64 v[6:7], v[164:165], v[4:5], -v[6:7]
	v_fma_f64 v[164:165], v[166:167], v[4:5], v[216:217]
	s_delay_alu instid0(VALU_DEP_2) | instskip(NEXT) | instid1(VALU_DEP_2)
	v_add_f64 v[0:1], v[0:1], -v[6:7]
	v_add_f64 v[2:3], v[2:3], -v[164:165]
	v_dual_mov_b32 v6, v212 :: v_dual_mov_b32 v7, v213
.LBB41_181:
	s_or_b32 exec_lo, exec_lo, s3
	s_delay_alu instid0(SALU_CYCLE_1)
	s_mov_b32 s4, exec_lo
	s_waitcnt lgkmcnt(0)
	s_barrier
	buffer_gl0_inv
	v_cmpx_eq_u32_e32 20, v214
	s_cbranch_execz .LBB41_188
; %bb.182:
	v_cmp_neq_f64_e32 vcc_lo, 0, v[0:1]
	v_cmp_neq_f64_e64 s3, 0, v[2:3]
	ds_store_2addr_b64 v215, v[0:1], v[2:3] offset1:1
	s_or_b32 s3, vcc_lo, s3
	s_delay_alu instid0(SALU_CYCLE_1)
	s_and_b32 exec_lo, exec_lo, s3
	s_cbranch_execz .LBB41_188
; %bb.183:
	v_cmp_gt_f64_e32 vcc_lo, 0, v[0:1]
	v_cmp_gt_f64_e64 s3, 0, v[2:3]
	v_xor_b32_e32 v164, 0x80000000, v1
	v_xor_b32_e32 v166, 0x80000000, v3
                                        ; implicit-def: $vgpr212_vgpr213
	s_delay_alu instid0(VALU_DEP_2) | instskip(NEXT) | instid1(VALU_DEP_2)
	v_cndmask_b32_e32 v165, v1, v164, vcc_lo
	v_cndmask_b32_e64 v167, v3, v166, s3
	v_cndmask_b32_e32 v164, v0, v0, vcc_lo
	v_cndmask_b32_e64 v166, v2, v2, s3
	s_mov_b32 s3, exec_lo
	s_delay_alu instid0(VALU_DEP_1)
	v_cmpx_ngt_f64_e32 v[164:165], v[166:167]
	s_xor_b32 s3, exec_lo, s3
                                        ; implicit-def: $vgpr164_vgpr165_vgpr166_vgpr167
	s_cbranch_execz .LBB41_185
; %bb.184:
	v_div_scale_f64 v[164:165], null, v[2:3], v[2:3], v[0:1]
	v_div_scale_f64 v[216:217], vcc_lo, v[0:1], v[2:3], v[0:1]
	s_delay_alu instid0(VALU_DEP_2) | instskip(SKIP_2) | instid1(VALU_DEP_1)
	v_rcp_f64_e32 v[166:167], v[164:165]
	s_waitcnt_depctr 0xfff
	v_fma_f64 v[212:213], -v[164:165], v[166:167], 1.0
	v_fma_f64 v[166:167], v[166:167], v[212:213], v[166:167]
	s_delay_alu instid0(VALU_DEP_1) | instskip(NEXT) | instid1(VALU_DEP_1)
	v_fma_f64 v[212:213], -v[164:165], v[166:167], 1.0
	v_fma_f64 v[166:167], v[166:167], v[212:213], v[166:167]
	s_delay_alu instid0(VALU_DEP_1) | instskip(NEXT) | instid1(VALU_DEP_1)
	v_mul_f64 v[212:213], v[216:217], v[166:167]
	v_fma_f64 v[164:165], -v[164:165], v[212:213], v[216:217]
	s_delay_alu instid0(VALU_DEP_1) | instskip(NEXT) | instid1(VALU_DEP_1)
	v_div_fmas_f64 v[164:165], v[164:165], v[166:167], v[212:213]
	v_div_fixup_f64 v[164:165], v[164:165], v[2:3], v[0:1]
	s_delay_alu instid0(VALU_DEP_1) | instskip(NEXT) | instid1(VALU_DEP_1)
	v_fma_f64 v[166:167], v[0:1], v[164:165], v[2:3]
	v_div_scale_f64 v[212:213], null, v[166:167], v[166:167], 1.0
	s_delay_alu instid0(VALU_DEP_1) | instskip(SKIP_2) | instid1(VALU_DEP_1)
	v_rcp_f64_e32 v[216:217], v[212:213]
	s_waitcnt_depctr 0xfff
	v_fma_f64 v[218:219], -v[212:213], v[216:217], 1.0
	v_fma_f64 v[216:217], v[216:217], v[218:219], v[216:217]
	s_delay_alu instid0(VALU_DEP_1) | instskip(NEXT) | instid1(VALU_DEP_1)
	v_fma_f64 v[218:219], -v[212:213], v[216:217], 1.0
	v_fma_f64 v[216:217], v[216:217], v[218:219], v[216:217]
	v_div_scale_f64 v[218:219], vcc_lo, 1.0, v[166:167], 1.0
	s_delay_alu instid0(VALU_DEP_1) | instskip(NEXT) | instid1(VALU_DEP_1)
	v_mul_f64 v[220:221], v[218:219], v[216:217]
	v_fma_f64 v[212:213], -v[212:213], v[220:221], v[218:219]
	s_delay_alu instid0(VALU_DEP_1) | instskip(NEXT) | instid1(VALU_DEP_1)
	v_div_fmas_f64 v[212:213], v[212:213], v[216:217], v[220:221]
	v_div_fixup_f64 v[166:167], v[212:213], v[166:167], 1.0
	s_delay_alu instid0(VALU_DEP_1)
	v_mul_f64 v[212:213], v[164:165], v[166:167]
	v_xor_b32_e32 v167, 0x80000000, v167
.LBB41_185:
	s_and_not1_saveexec_b32 s3, s3
	s_cbranch_execz .LBB41_187
; %bb.186:
	v_div_scale_f64 v[164:165], null, v[0:1], v[0:1], v[2:3]
	v_div_scale_f64 v[216:217], vcc_lo, v[2:3], v[0:1], v[2:3]
	s_delay_alu instid0(VALU_DEP_2) | instskip(SKIP_2) | instid1(VALU_DEP_1)
	v_rcp_f64_e32 v[166:167], v[164:165]
	s_waitcnt_depctr 0xfff
	v_fma_f64 v[212:213], -v[164:165], v[166:167], 1.0
	v_fma_f64 v[166:167], v[166:167], v[212:213], v[166:167]
	s_delay_alu instid0(VALU_DEP_1) | instskip(NEXT) | instid1(VALU_DEP_1)
	v_fma_f64 v[212:213], -v[164:165], v[166:167], 1.0
	v_fma_f64 v[166:167], v[166:167], v[212:213], v[166:167]
	s_delay_alu instid0(VALU_DEP_1) | instskip(NEXT) | instid1(VALU_DEP_1)
	v_mul_f64 v[212:213], v[216:217], v[166:167]
	v_fma_f64 v[164:165], -v[164:165], v[212:213], v[216:217]
	s_delay_alu instid0(VALU_DEP_1) | instskip(NEXT) | instid1(VALU_DEP_1)
	v_div_fmas_f64 v[164:165], v[164:165], v[166:167], v[212:213]
	v_div_fixup_f64 v[164:165], v[164:165], v[0:1], v[2:3]
	s_delay_alu instid0(VALU_DEP_1) | instskip(NEXT) | instid1(VALU_DEP_1)
	v_fma_f64 v[166:167], v[2:3], v[164:165], v[0:1]
	v_div_scale_f64 v[212:213], null, v[166:167], v[166:167], 1.0
	s_delay_alu instid0(VALU_DEP_1) | instskip(SKIP_2) | instid1(VALU_DEP_1)
	v_rcp_f64_e32 v[216:217], v[212:213]
	s_waitcnt_depctr 0xfff
	v_fma_f64 v[218:219], -v[212:213], v[216:217], 1.0
	v_fma_f64 v[216:217], v[216:217], v[218:219], v[216:217]
	s_delay_alu instid0(VALU_DEP_1) | instskip(NEXT) | instid1(VALU_DEP_1)
	v_fma_f64 v[218:219], -v[212:213], v[216:217], 1.0
	v_fma_f64 v[216:217], v[216:217], v[218:219], v[216:217]
	v_div_scale_f64 v[218:219], vcc_lo, 1.0, v[166:167], 1.0
	s_delay_alu instid0(VALU_DEP_1) | instskip(NEXT) | instid1(VALU_DEP_1)
	v_mul_f64 v[220:221], v[218:219], v[216:217]
	v_fma_f64 v[212:213], -v[212:213], v[220:221], v[218:219]
	s_delay_alu instid0(VALU_DEP_1) | instskip(NEXT) | instid1(VALU_DEP_1)
	v_div_fmas_f64 v[212:213], v[212:213], v[216:217], v[220:221]
	v_div_fixup_f64 v[212:213], v[212:213], v[166:167], 1.0
	s_delay_alu instid0(VALU_DEP_1)
	v_mul_f64 v[166:167], v[164:165], -v[212:213]
.LBB41_187:
	s_or_b32 exec_lo, exec_lo, s3
	ds_store_2addr_b64 v215, v[212:213], v[166:167] offset1:1
.LBB41_188:
	s_or_b32 exec_lo, exec_lo, s4
	s_waitcnt lgkmcnt(0)
	s_barrier
	buffer_gl0_inv
	ds_load_2addr_b64 v[164:167], v215 offset1:1
	s_mov_b32 s3, exec_lo
	v_cmpx_lt_u32_e32 20, v214
	s_cbranch_execz .LBB41_190
; %bb.189:
	s_waitcnt lgkmcnt(0)
	v_mul_f64 v[212:213], v[166:167], v[2:3]
	v_mul_f64 v[2:3], v[164:165], v[2:3]
	s_delay_alu instid0(VALU_DEP_2) | instskip(NEXT) | instid1(VALU_DEP_2)
	v_fma_f64 v[212:213], v[164:165], v[0:1], -v[212:213]
	v_fma_f64 v[2:3], v[166:167], v[0:1], v[2:3]
	s_delay_alu instid0(VALU_DEP_2)
	v_dual_mov_b32 v0, v212 :: v_dual_mov_b32 v1, v213
.LBB41_190:
	s_or_b32 exec_lo, exec_lo, s3
	s_waitcnt lgkmcnt(0)
	s_barrier
	buffer_gl0_inv
	s_and_saveexec_b32 s10, s2
	s_cbranch_execz .LBB41_193
; %bb.191:
	s_load_b64 s[0:1], s[0:1], 0x28
	v_lshlrev_b64 v[168:169], 2, v[168:169]
	v_cmp_neq_f64_e64 s2, 0, v[90:91]
	v_cmp_eq_f64_e64 s3, 0, v[92:93]
	v_cmp_eq_f64_e64 s4, 0, v[94:95]
	v_cmp_eq_f64_e64 s5, 0, v[96:97]
	v_cmp_eq_f64_e64 s6, 0, v[98:99]
	v_cmp_eq_f64_e64 s7, 0, v[100:101]
	v_cmp_eq_f64_e64 s8, 0, v[102:103]
	s_waitcnt lgkmcnt(0)
	v_add_co_u32 v168, vcc_lo, s0, v168
	v_add_co_ci_u32_e32 v169, vcc_lo, s1, v169, vcc_lo
	v_cmp_eq_f64_e32 vcc_lo, 0, v[84:85]
	v_cmp_eq_f64_e64 s0, 0, v[86:87]
	v_cmp_neq_f64_e64 s1, 0, v[88:89]
	global_load_b32 v212, v[168:169], off
	s_and_b32 s0, vcc_lo, s0
	s_or_b32 s1, s1, s2
	v_cndmask_b32_e64 v84, 0, 1, s0
	s_or_b32 vcc_lo, s1, s0
	v_cmp_eq_f64_e64 s0, 0, v[106:107]
	s_and_b32 s2, s3, s4
	s_and_b32 s4, s5, s6
	v_cndmask_b32_e32 v84, 2, v84, vcc_lo
	v_cmp_eq_f64_e32 vcc_lo, 0, v[104:105]
	s_and_b32 s6, s7, s8
	s_delay_alu instid0(VALU_DEP_2) | instskip(NEXT) | instid1(VALU_DEP_1)
	v_cmp_eq_u32_e64 s1, 0, v84
	s_and_b32 s1, s2, s1
	v_cmp_eq_f64_e64 s2, 0, v[110:111]
	v_cndmask_b32_e64 v84, v84, 3, s1
	v_cmp_eq_f64_e64 s1, 0, v[108:109]
	s_delay_alu instid0(VALU_DEP_2) | instskip(NEXT) | instid1(VALU_DEP_1)
	v_cmp_eq_u32_e64 s3, 0, v84
	s_and_b32 s3, s4, s3
	v_cmp_eq_f64_e64 s4, 0, v[114:115]
	v_cndmask_b32_e64 v84, v84, 4, s3
	v_cmp_eq_f64_e64 s3, 0, v[112:113]
	s_delay_alu instid0(VALU_DEP_2) | instskip(NEXT) | instid1(VALU_DEP_1)
	v_cmp_eq_u32_e64 s5, 0, v84
	s_and_b32 s5, s6, s5
	v_cmp_eq_f64_e64 s6, 0, v[118:119]
	v_cndmask_b32_e64 v84, v84, 5, s5
	v_cmp_eq_f64_e64 s5, 0, v[116:117]
	s_and_b32 s0, vcc_lo, s0
	v_cmp_eq_f64_e32 vcc_lo, 0, v[120:121]
	s_delay_alu instid0(VALU_DEP_3) | instskip(NEXT) | instid1(VALU_DEP_1)
	v_cmp_eq_u32_e64 s7, 0, v84
	s_and_b32 s0, s0, s7
	s_delay_alu instid0(SALU_CYCLE_1) | instskip(SKIP_3) | instid1(VALU_DEP_3)
	v_cndmask_b32_e64 v84, v84, 6, s0
	v_cmp_eq_f64_e64 s0, 0, v[122:123]
	s_and_b32 s1, s1, s2
	v_cmp_eq_f64_e64 s2, 0, v[126:127]
	v_cmp_eq_u32_e64 s7, 0, v84
	s_delay_alu instid0(VALU_DEP_1) | instskip(NEXT) | instid1(SALU_CYCLE_1)
	s_and_b32 s1, s1, s7
	v_cndmask_b32_e64 v84, v84, 7, s1
	v_cmp_eq_f64_e64 s1, 0, v[124:125]
	s_and_b32 s3, s3, s4
	v_cmp_eq_f64_e64 s4, 0, v[130:131]
	s_delay_alu instid0(VALU_DEP_3) | instskip(NEXT) | instid1(VALU_DEP_1)
	v_cmp_eq_u32_e64 s7, 0, v84
	s_and_b32 s3, s3, s7
	s_delay_alu instid0(SALU_CYCLE_1) | instskip(SKIP_3) | instid1(VALU_DEP_3)
	v_cndmask_b32_e64 v84, v84, 8, s3
	v_cmp_eq_f64_e64 s3, 0, v[128:129]
	s_and_b32 s5, s5, s6
	v_cmp_eq_f64_e64 s6, 0, v[134:135]
	v_cmp_eq_u32_e64 s7, 0, v84
	s_delay_alu instid0(VALU_DEP_1) | instskip(NEXT) | instid1(SALU_CYCLE_1)
	s_and_b32 s5, s5, s7
	v_cndmask_b32_e64 v84, v84, 9, s5
	v_cmp_eq_f64_e64 s5, 0, v[132:133]
	s_and_b32 s0, vcc_lo, s0
	v_cmp_eq_f64_e32 vcc_lo, 0, v[136:137]
	s_delay_alu instid0(VALU_DEP_3) | instskip(NEXT) | instid1(VALU_DEP_1)
	v_cmp_eq_u32_e64 s7, 0, v84
	s_and_b32 s0, s0, s7
	s_delay_alu instid0(SALU_CYCLE_1) | instskip(SKIP_3) | instid1(VALU_DEP_3)
	v_cndmask_b32_e64 v84, v84, 10, s0
	v_cmp_eq_f64_e64 s0, 0, v[138:139]
	s_and_b32 s1, s1, s2
	v_cmp_eq_f64_e64 s2, 0, v[142:143]
	v_cmp_eq_u32_e64 s7, 0, v84
	s_delay_alu instid0(VALU_DEP_1) | instskip(NEXT) | instid1(SALU_CYCLE_1)
	s_and_b32 s1, s1, s7
	v_cndmask_b32_e64 v84, v84, 11, s1
	v_cmp_eq_f64_e64 s1, 0, v[140:141]
	s_and_b32 s3, s3, s4
	v_cmp_eq_f64_e64 s4, 0, v[146:147]
	s_delay_alu instid0(VALU_DEP_3) | instskip(NEXT) | instid1(VALU_DEP_1)
	v_cmp_eq_u32_e64 s7, 0, v84
	s_and_b32 s3, s3, s7
	s_delay_alu instid0(SALU_CYCLE_1) | instskip(SKIP_3) | instid1(VALU_DEP_3)
	v_cndmask_b32_e64 v84, v84, 12, s3
	v_cmp_eq_f64_e64 s3, 0, v[144:145]
	s_and_b32 s5, s5, s6
	v_cmp_eq_f64_e64 s6, 0, v[150:151]
	v_cmp_eq_u32_e64 s7, 0, v84
	s_delay_alu instid0(VALU_DEP_1) | instskip(NEXT) | instid1(SALU_CYCLE_1)
	s_and_b32 s5, s5, s7
	v_cndmask_b32_e64 v84, v84, 13, s5
	v_cmp_eq_f64_e64 s5, 0, v[148:149]
	;; [unrolled: 30-line block ×3, first 2 shown]
	s_and_b32 s0, vcc_lo, s0
	s_delay_alu instid0(VALU_DEP_2) | instskip(NEXT) | instid1(VALU_DEP_1)
	v_cmp_eq_u32_e64 s7, 0, v84
	s_and_b32 s0, s0, s7
	s_delay_alu instid0(SALU_CYCLE_1) | instskip(SKIP_1) | instid1(VALU_DEP_1)
	v_cndmask_b32_e64 v84, v84, 18, s0
	s_and_b32 s0, s1, s2
	v_cmp_eq_u32_e32 vcc_lo, 0, v84
	s_and_b32 s0, s0, vcc_lo
	s_delay_alu instid0(SALU_CYCLE_1) | instskip(SKIP_1) | instid1(VALU_DEP_1)
	v_cndmask_b32_e64 v84, v84, 19, s0
	s_and_b32 s0, s3, s4
	v_cmp_eq_u32_e32 vcc_lo, 0, v84
	s_and_b32 s0, s0, vcc_lo
	;; [unrolled: 5-line block ×3, first 2 shown]
	s_delay_alu instid0(SALU_CYCLE_1) | instskip(NEXT) | instid1(VALU_DEP_1)
	v_cndmask_b32_e64 v84, v84, 21, s0
	v_cmp_ne_u32_e64 s0, 0, v84
	s_waitcnt vmcnt(0)
	v_cmp_eq_u32_e32 vcc_lo, 0, v212
	s_delay_alu instid0(VALU_DEP_2) | instskip(NEXT) | instid1(SALU_CYCLE_1)
	s_and_b32 s0, vcc_lo, s0
	s_and_b32 exec_lo, exec_lo, s0
	s_cbranch_execz .LBB41_193
; %bb.192:
	v_add_nc_u32_e32 v84, s9, v84
	global_store_b32 v[168:169], v84, off
.LBB41_193:
	s_or_b32 exec_lo, exec_lo, s10
	s_clause 0x14
	global_store_b128 v[208:209], v[80:83], off
	global_store_b128 v[210:211], v[76:79], off
	global_store_b128 v[206:207], v[72:75], off
	global_store_b128 v[204:205], v[68:71], off
	global_store_b128 v[202:203], v[64:67], off
	global_store_b128 v[200:201], v[60:63], off
	global_store_b128 v[198:199], v[56:59], off
	global_store_b128 v[196:197], v[52:55], off
	global_store_b128 v[194:195], v[48:51], off
	global_store_b128 v[192:193], v[44:47], off
	global_store_b128 v[190:191], v[40:43], off
	global_store_b128 v[188:189], v[36:39], off
	global_store_b128 v[186:187], v[32:35], off
	global_store_b128 v[184:185], v[28:31], off
	global_store_b128 v[182:183], v[24:27], off
	global_store_b128 v[180:181], v[20:23], off
	global_store_b128 v[178:179], v[16:19], off
	global_store_b128 v[176:177], v[12:15], off
	global_store_b128 v[174:175], v[8:11], off
	global_store_b128 v[172:173], v[4:7], off
	global_store_b128 v[170:171], v[0:3], off
.LBB41_194:
	s_nop 0
	s_sendmsg sendmsg(MSG_DEALLOC_VGPRS)
	s_endpgm
	.section	.rodata,"a",@progbits
	.p2align	6, 0x0
	.amdhsa_kernel _ZN9rocsolver6v33100L23getf2_npvt_small_kernelILi21E19rocblas_complex_numIdEiiPKPS3_EEvT1_T3_lS7_lPT2_S7_S7_
		.amdhsa_group_segment_fixed_size 0
		.amdhsa_private_segment_fixed_size 0
		.amdhsa_kernarg_size 312
		.amdhsa_user_sgpr_count 14
		.amdhsa_user_sgpr_dispatch_ptr 0
		.amdhsa_user_sgpr_queue_ptr 0
		.amdhsa_user_sgpr_kernarg_segment_ptr 1
		.amdhsa_user_sgpr_dispatch_id 0
		.amdhsa_user_sgpr_private_segment_size 0
		.amdhsa_wavefront_size32 1
		.amdhsa_uses_dynamic_stack 0
		.amdhsa_enable_private_segment 0
		.amdhsa_system_sgpr_workgroup_id_x 1
		.amdhsa_system_sgpr_workgroup_id_y 1
		.amdhsa_system_sgpr_workgroup_id_z 0
		.amdhsa_system_sgpr_workgroup_info 0
		.amdhsa_system_vgpr_workitem_id 1
		.amdhsa_next_free_vgpr 251
		.amdhsa_next_free_sgpr 16
		.amdhsa_reserve_vcc 1
		.amdhsa_float_round_mode_32 0
		.amdhsa_float_round_mode_16_64 0
		.amdhsa_float_denorm_mode_32 3
		.amdhsa_float_denorm_mode_16_64 3
		.amdhsa_dx10_clamp 1
		.amdhsa_ieee_mode 1
		.amdhsa_fp16_overflow 0
		.amdhsa_workgroup_processor_mode 1
		.amdhsa_memory_ordered 1
		.amdhsa_forward_progress 0
		.amdhsa_shared_vgpr_count 0
		.amdhsa_exception_fp_ieee_invalid_op 0
		.amdhsa_exception_fp_denorm_src 0
		.amdhsa_exception_fp_ieee_div_zero 0
		.amdhsa_exception_fp_ieee_overflow 0
		.amdhsa_exception_fp_ieee_underflow 0
		.amdhsa_exception_fp_ieee_inexact 0
		.amdhsa_exception_int_div_zero 0
	.end_amdhsa_kernel
	.section	.text._ZN9rocsolver6v33100L23getf2_npvt_small_kernelILi21E19rocblas_complex_numIdEiiPKPS3_EEvT1_T3_lS7_lPT2_S7_S7_,"axG",@progbits,_ZN9rocsolver6v33100L23getf2_npvt_small_kernelILi21E19rocblas_complex_numIdEiiPKPS3_EEvT1_T3_lS7_lPT2_S7_S7_,comdat
.Lfunc_end41:
	.size	_ZN9rocsolver6v33100L23getf2_npvt_small_kernelILi21E19rocblas_complex_numIdEiiPKPS3_EEvT1_T3_lS7_lPT2_S7_S7_, .Lfunc_end41-_ZN9rocsolver6v33100L23getf2_npvt_small_kernelILi21E19rocblas_complex_numIdEiiPKPS3_EEvT1_T3_lS7_lPT2_S7_S7_
                                        ; -- End function
	.section	.AMDGPU.csdata,"",@progbits
; Kernel info:
; codeLenInByte = 33180
; NumSgprs: 18
; NumVgprs: 251
; ScratchSize: 0
; MemoryBound: 1
; FloatMode: 240
; IeeeMode: 1
; LDSByteSize: 0 bytes/workgroup (compile time only)
; SGPRBlocks: 2
; VGPRBlocks: 31
; NumSGPRsForWavesPerEU: 18
; NumVGPRsForWavesPerEU: 251
; Occupancy: 5
; WaveLimiterHint : 1
; COMPUTE_PGM_RSRC2:SCRATCH_EN: 0
; COMPUTE_PGM_RSRC2:USER_SGPR: 14
; COMPUTE_PGM_RSRC2:TRAP_HANDLER: 0
; COMPUTE_PGM_RSRC2:TGID_X_EN: 1
; COMPUTE_PGM_RSRC2:TGID_Y_EN: 1
; COMPUTE_PGM_RSRC2:TGID_Z_EN: 0
; COMPUTE_PGM_RSRC2:TIDIG_COMP_CNT: 1
	.section	.text._ZN9rocsolver6v33100L18getf2_small_kernelILi22E19rocblas_complex_numIdEiiPKPS3_EEvT1_T3_lS7_lPS7_llPT2_S7_S7_S9_l,"axG",@progbits,_ZN9rocsolver6v33100L18getf2_small_kernelILi22E19rocblas_complex_numIdEiiPKPS3_EEvT1_T3_lS7_lPS7_llPT2_S7_S7_S9_l,comdat
	.globl	_ZN9rocsolver6v33100L18getf2_small_kernelILi22E19rocblas_complex_numIdEiiPKPS3_EEvT1_T3_lS7_lPS7_llPT2_S7_S7_S9_l ; -- Begin function _ZN9rocsolver6v33100L18getf2_small_kernelILi22E19rocblas_complex_numIdEiiPKPS3_EEvT1_T3_lS7_lPS7_llPT2_S7_S7_S9_l
	.p2align	8
	.type	_ZN9rocsolver6v33100L18getf2_small_kernelILi22E19rocblas_complex_numIdEiiPKPS3_EEvT1_T3_lS7_lPS7_llPT2_S7_S7_S9_l,@function
_ZN9rocsolver6v33100L18getf2_small_kernelILi22E19rocblas_complex_numIdEiiPKPS3_EEvT1_T3_lS7_lPS7_llPT2_S7_S7_S9_l: ; @_ZN9rocsolver6v33100L18getf2_small_kernelILi22E19rocblas_complex_numIdEiiPKPS3_EEvT1_T3_lS7_lPS7_llPT2_S7_S7_S9_l
; %bb.0:
	s_clause 0x1
	s_load_b32 s2, s[0:1], 0x6c
	s_load_b64 s[12:13], s[0:1], 0x48
	v_bfe_u32 v88, v0, 10, 10
	s_waitcnt lgkmcnt(0)
	s_lshr_b32 s2, s2, 16
	s_delay_alu instid0(VALU_DEP_1) | instid1(SALU_CYCLE_1)
	v_mad_u64_u32 v[247:248], null, s15, s2, v[88:89]
	s_mov_b32 s2, exec_lo
	s_delay_alu instid0(VALU_DEP_1)
	v_cmpx_gt_i32_e64 s12, v247
	s_cbranch_execz .LBB42_465
; %bb.1:
	s_clause 0x1
	s_load_b128 s[4:7], s[0:1], 0x8
	s_load_b128 s[8:11], s[0:1], 0x50
	v_ashrrev_i32_e32 v248, 31, v247
	v_mov_b32_e32 v44, 0
	v_mov_b32_e32 v45, 0
	s_delay_alu instid0(VALU_DEP_3) | instskip(SKIP_1) | instid1(VALU_DEP_1)
	v_lshlrev_b64 v[1:2], 3, v[247:248]
	s_waitcnt lgkmcnt(0)
	v_add_co_u32 v1, vcc_lo, s4, v1
	s_delay_alu instid0(VALU_DEP_2)
	v_add_co_ci_u32_e32 v2, vcc_lo, s5, v2, vcc_lo
	s_cmp_eq_u64 s[8:9], 0
	s_cselect_b32 s4, -1, 0
	global_load_b64 v[1:2], v[1:2], off
	s_and_b32 vcc_lo, exec_lo, s4
	s_cbranch_vccnz .LBB42_3
; %bb.2:
	v_mul_lo_u32 v5, v248, s10
	v_mul_lo_u32 v6, v247, s11
	v_mad_u64_u32 v[3:4], null, v247, s10, 0
	s_delay_alu instid0(VALU_DEP_1) | instskip(NEXT) | instid1(VALU_DEP_1)
	v_add3_u32 v4, v4, v6, v5
	v_lshlrev_b64 v[3:4], 2, v[3:4]
	s_delay_alu instid0(VALU_DEP_1) | instskip(NEXT) | instid1(VALU_DEP_2)
	v_add_co_u32 v44, vcc_lo, s8, v3
	v_add_co_ci_u32_e32 v45, vcc_lo, s9, v4, vcc_lo
.LBB42_3:
	s_clause 0x1
	s_load_b32 s8, s[0:1], 0x18
	s_load_b32 s5, s[0:1], 0x0
	v_dual_mov_b32 v96, 0 :: v_dual_and_b32 v255, 0x3ff, v0
	s_lshl_b64 s[2:3], s[6:7], 4
	s_waitcnt vmcnt(0)
	v_add_co_u32 v253, vcc_lo, v1, s2
	s_delay_alu instid0(VALU_DEP_2) | instskip(SKIP_1) | instid1(VALU_DEP_2)
	v_lshlrev_b32_e32 v91, 4, v255
	v_add_co_ci_u32_e32 v12, vcc_lo, s3, v2, vcc_lo
	v_add_co_u32 v2, vcc_lo, v253, v91
	s_delay_alu instid0(VALU_DEP_2)
	v_add_co_ci_u32_e32 v3, vcc_lo, 0, v12, vcc_lo
	s_waitcnt lgkmcnt(0)
	v_add3_u32 v0, s8, s8, v255
	s_ashr_i32 s9, s8, 31
	s_max_i32 s2, s5, 22
	s_lshl_b64 s[10:11], s[8:9], 4
	v_mul_lo_u32 v92, s2, v88
	v_add_nc_u32_e32 v4, s8, v0
	v_add_co_u32 v6, vcc_lo, v2, s10
	v_ashrrev_i32_e32 v1, 31, v0
	v_add_co_ci_u32_e32 v7, vcc_lo, s11, v3, vcc_lo
	s_delay_alu instid0(VALU_DEP_4) | instskip(SKIP_1) | instid1(VALU_DEP_4)
	v_ashrrev_i32_e32 v5, 31, v4
	v_add_nc_u32_e32 v8, s8, v4
	v_lshlrev_b64 v[0:1], 4, v[0:1]
	s_clause 0x1
	global_load_b128 v[36:39], v[2:3], off
	global_load_b128 v[249:252], v[6:7], off
	v_lshl_add_u32 v98, v92, 4, 0
	v_lshlrev_b64 v[2:3], 4, v[4:5]
	v_ashrrev_i32_e32 v9, 31, v8
	v_add_nc_u32_e32 v4, s8, v8
	v_add_co_u32 v0, vcc_lo, v253, v0
	v_add_co_ci_u32_e32 v1, vcc_lo, v12, v1, vcc_lo
	s_delay_alu instid0(VALU_DEP_4) | instskip(NEXT) | instid1(VALU_DEP_4)
	v_lshlrev_b64 v[6:7], 4, v[8:9]
	v_add_nc_u32_e32 v8, s8, v4
	v_ashrrev_i32_e32 v5, 31, v4
	v_add_co_u32 v2, vcc_lo, v253, v2
	v_add_co_ci_u32_e32 v3, vcc_lo, v12, v3, vcc_lo
	s_delay_alu instid0(VALU_DEP_4) | instskip(NEXT) | instid1(VALU_DEP_4)
	v_add_nc_u32_e32 v10, s8, v8
	v_lshlrev_b64 v[4:5], 4, v[4:5]
	v_ashrrev_i32_e32 v9, 31, v8
	s_clause 0x1
	global_load_b128 v[78:81], v[0:1], off
	global_load_b128 v[239:242], v[2:3], off
	v_add_co_u32 v0, vcc_lo, v253, v6
	v_ashrrev_i32_e32 v11, 31, v10
	v_add_nc_u32_e32 v6, s8, v10
	v_add_co_ci_u32_e32 v1, vcc_lo, v12, v7, vcc_lo
	v_lshlrev_b64 v[2:3], 4, v[8:9]
	v_add_co_u32 v4, vcc_lo, v253, v4
	v_add_co_ci_u32_e32 v5, vcc_lo, v12, v5, vcc_lo
	v_lshlrev_b64 v[8:9], 4, v[10:11]
	v_add_nc_u32_e32 v10, s8, v6
	v_ashrrev_i32_e32 v7, 31, v6
	s_clause 0x1
	global_load_b128 v[84:87], v[0:1], off
	global_load_b128 v[68:71], v[4:5], off
	v_add_co_u32 v0, vcc_lo, v253, v2
	v_ashrrev_i32_e32 v11, 31, v10
	v_add_nc_u32_e32 v4, s8, v10
	v_add_co_ci_u32_e32 v1, vcc_lo, v12, v3, vcc_lo
	v_lshlrev_b64 v[2:3], 4, v[6:7]
	v_add_co_u32 v6, vcc_lo, v253, v8
	v_add_co_ci_u32_e32 v7, vcc_lo, v12, v9, vcc_lo
	v_lshlrev_b64 v[8:9], 4, v[10:11]
	v_ashrrev_i32_e32 v5, 31, v4
	v_add_nc_u32_e32 v10, s8, v4
	s_clause 0x1
	global_load_b128 v[72:75], v[0:1], off
	global_load_b128 v[56:59], v[6:7], off
	v_add_co_u32 v0, vcc_lo, v253, v2
	v_add_co_ci_u32_e32 v1, vcc_lo, v12, v3, vcc_lo
	v_lshlrev_b64 v[2:3], 4, v[4:5]
	v_ashrrev_i32_e32 v11, 31, v10
	v_add_nc_u32_e32 v4, s8, v10
	v_add_co_u32 v6, vcc_lo, v253, v8
	v_add_co_ci_u32_e32 v7, vcc_lo, v12, v9, vcc_lo
	s_delay_alu instid0(VALU_DEP_4) | instskip(NEXT) | instid1(VALU_DEP_4)
	v_lshlrev_b64 v[8:9], 4, v[10:11]
	v_ashrrev_i32_e32 v5, 31, v4
	v_add_nc_u32_e32 v10, s8, v4
	s_clause 0x1
	global_load_b128 v[64:67], v[0:1], off
	global_load_b128 v[60:63], v[6:7], off
	v_add_co_u32 v0, vcc_lo, v253, v2
	v_add_co_ci_u32_e32 v1, vcc_lo, v12, v3, vcc_lo
	v_lshlrev_b64 v[2:3], 4, v[4:5]
	v_ashrrev_i32_e32 v11, 31, v10
	v_add_nc_u32_e32 v4, s8, v10
	v_add_co_u32 v6, vcc_lo, v253, v8
	v_add_co_ci_u32_e32 v7, vcc_lo, v12, v9, vcc_lo
	s_delay_alu instid0(VALU_DEP_4) | instskip(NEXT) | instid1(VALU_DEP_4)
	;; [unrolled: 14-line block ×5, first 2 shown]
	v_lshlrev_b64 v[8:9], 4, v[10:11]
	v_add_nc_u32_e32 v10, s8, v4
	v_ashrrev_i32_e32 v5, 31, v4
	v_add_co_u32 v2, vcc_lo, v253, v2
	v_add_co_ci_u32_e32 v3, vcc_lo, v12, v3, vcc_lo
	s_delay_alu instid0(VALU_DEP_4) | instskip(NEXT) | instid1(VALU_DEP_4)
	v_ashrrev_i32_e32 v11, 31, v10
	v_lshlrev_b64 v[4:5], 4, v[4:5]
	v_add_co_u32 v16, vcc_lo, v253, v8
	v_add_co_ci_u32_e32 v17, vcc_lo, v12, v9, vcc_lo
	s_delay_alu instid0(VALU_DEP_4) | instskip(NEXT) | instid1(VALU_DEP_4)
	v_lshlrev_b64 v[8:9], 4, v[10:11]
	v_add_co_u32 v18, vcc_lo, v253, v4
	v_add_co_ci_u32_e32 v19, vcc_lo, v12, v5, vcc_lo
	scratch_store_b32 off, v12, off offset:8 ; 4-byte Folded Spill
	v_add_co_u32 v89, vcc_lo, v253, v8
	v_add_co_ci_u32_e32 v90, vcc_lo, v12, v9, vcc_lo
	s_clause 0x5
	global_load_b128 v[24:27], v[0:1], off
	global_load_b128 v[12:15], v[6:7], off
	global_load_b128 v[8:11], v[2:3], off
	global_load_b128 v[4:7], v[16:17], off
	global_load_b128 v[16:19], v[18:19], off
	global_load_b128 v[0:3], v[89:90], off
	v_add_nc_u32_e32 v88, v98, v91
	v_lshlrev_b32_e32 v47, 4, v92
	s_cmp_lt_i32 s5, 2
	s_waitcnt vmcnt(21)
	ds_store_2addr_b64 v88, v[36:37], v[38:39] offset1:1
	s_waitcnt vmcnt(0) lgkmcnt(0)
	s_waitcnt_vscnt null, 0x0
	s_barrier
	buffer_gl0_inv
	ds_load_2addr_b64 v[88:91], v98 offset1:1
	s_cbranch_scc1 .LBB42_6
; %bb.4:
	v_add3_u32 v97, v47, 0, 16
	v_mov_b32_e32 v96, 0
	s_mov_b32 s6, 1
	s_set_inst_prefetch_distance 0x1
	.p2align	6
.LBB42_5:                               ; =>This Inner Loop Header: Depth=1
	ds_load_2addr_b64 v[104:107], v97 offset1:1
	s_waitcnt lgkmcnt(1)
	v_cmp_gt_f64_e32 vcc_lo, 0, v[88:89]
	v_xor_b32_e32 v92, 0x80000000, v89
	v_cmp_gt_f64_e64 s2, 0, v[90:91]
	v_xor_b32_e32 v93, 0x80000000, v91
	v_add_nc_u32_e32 v97, 16, v97
	s_waitcnt lgkmcnt(0)
	v_cmp_gt_f64_e64 s3, 0, v[104:105]
	v_mov_b32_e32 v112, v104
	v_dual_mov_b32 v114, v106 :: v_dual_cndmask_b32 v109, v89, v92
	v_xor_b32_e32 v92, 0x80000000, v105
	v_cndmask_b32_e64 v111, v91, v93, s2
	v_xor_b32_e32 v93, 0x80000000, v107
	v_cndmask_b32_e32 v108, v88, v88, vcc_lo
	v_cndmask_b32_e64 v110, v90, v90, s2
	s_delay_alu instid0(VALU_DEP_1) | instskip(SKIP_2) | instid1(VALU_DEP_1)
	v_add_f64 v[108:109], v[108:109], v[110:111]
	v_cndmask_b32_e64 v113, v105, v92, s3
	v_cmp_gt_f64_e64 s3, 0, v[106:107]
	v_cndmask_b32_e64 v115, v107, v93, s3
	s_delay_alu instid0(VALU_DEP_1) | instskip(NEXT) | instid1(VALU_DEP_1)
	v_add_f64 v[112:113], v[112:113], v[114:115]
	v_cmp_lt_f64_e32 vcc_lo, v[108:109], v[112:113]
	v_cndmask_b32_e32 v91, v91, v107, vcc_lo
	v_dual_cndmask_b32 v89, v89, v105 :: v_dual_cndmask_b32 v88, v88, v104
	v_cndmask_b32_e32 v90, v90, v106, vcc_lo
	v_cndmask_b32_e64 v96, v96, s6, vcc_lo
	s_add_i32 s6, s6, 1
	s_delay_alu instid0(SALU_CYCLE_1)
	s_cmp_eq_u32 s5, s6
	s_cbranch_scc0 .LBB42_5
.LBB42_6:
	s_set_inst_prefetch_distance 0x2
	s_waitcnt lgkmcnt(0)
	v_cmp_neq_f64_e32 vcc_lo, 0, v[88:89]
	v_cmp_neq_f64_e64 s2, 0, v[90:91]
	v_mov_b32_e32 v46, 1
	v_mov_b32_e32 v100, 1
	s_delay_alu instid0(VALU_DEP_3) | instskip(NEXT) | instid1(SALU_CYCLE_1)
	s_or_b32 s2, vcc_lo, s2
	s_and_saveexec_b32 s3, s2
	s_cbranch_execz .LBB42_12
; %bb.7:
	v_cmp_gt_f64_e32 vcc_lo, 0, v[88:89]
	v_cmp_gt_f64_e64 s2, 0, v[90:91]
	v_xor_b32_e32 v92, 0x80000000, v89
	v_xor_b32_e32 v93, 0x80000000, v91
                                        ; implicit-def: $sgpr6
                                        ; implicit-def: $sgpr7
	s_delay_alu instid0(VALU_DEP_2) | instskip(NEXT) | instid1(VALU_DEP_2)
	v_cndmask_b32_e32 v105, v89, v92, vcc_lo
	v_cndmask_b32_e64 v107, v91, v93, s2
	v_cndmask_b32_e32 v104, v88, v88, vcc_lo
	v_cndmask_b32_e64 v106, v90, v90, s2
	s_mov_b32 s2, exec_lo
	s_delay_alu instid0(VALU_DEP_1)
	v_cmpx_ngt_f64_e32 v[104:105], v[106:107]
	s_xor_b32 s2, exec_lo, s2
	s_cbranch_execz .LBB42_9
; %bb.8:
	v_div_scale_f64 v[104:105], null, v[90:91], v[90:91], v[88:89]
	v_div_scale_f64 v[110:111], vcc_lo, v[88:89], v[90:91], v[88:89]
	s_mov_b32 s7, 2
	s_mov_b32 s6, 0
	s_delay_alu instid0(VALU_DEP_2) | instskip(SKIP_2) | instid1(VALU_DEP_1)
	v_rcp_f64_e32 v[106:107], v[104:105]
	s_waitcnt_depctr 0xfff
	v_fma_f64 v[108:109], -v[104:105], v[106:107], 1.0
	v_fma_f64 v[106:107], v[106:107], v[108:109], v[106:107]
	s_delay_alu instid0(VALU_DEP_1) | instskip(NEXT) | instid1(VALU_DEP_1)
	v_fma_f64 v[108:109], -v[104:105], v[106:107], 1.0
	v_fma_f64 v[106:107], v[106:107], v[108:109], v[106:107]
	s_delay_alu instid0(VALU_DEP_1) | instskip(NEXT) | instid1(VALU_DEP_1)
	v_mul_f64 v[108:109], v[110:111], v[106:107]
	v_fma_f64 v[104:105], -v[104:105], v[108:109], v[110:111]
	s_delay_alu instid0(VALU_DEP_1) | instskip(NEXT) | instid1(VALU_DEP_1)
	v_div_fmas_f64 v[104:105], v[104:105], v[106:107], v[108:109]
	v_div_fixup_f64 v[104:105], v[104:105], v[90:91], v[88:89]
	s_delay_alu instid0(VALU_DEP_1) | instskip(NEXT) | instid1(VALU_DEP_1)
	v_fma_f64 v[88:89], v[88:89], v[104:105], v[90:91]
	v_div_scale_f64 v[90:91], null, v[88:89], v[88:89], 1.0
	s_delay_alu instid0(VALU_DEP_1) | instskip(SKIP_2) | instid1(VALU_DEP_1)
	v_rcp_f64_e32 v[106:107], v[90:91]
	s_waitcnt_depctr 0xfff
	v_fma_f64 v[108:109], -v[90:91], v[106:107], 1.0
	v_fma_f64 v[106:107], v[106:107], v[108:109], v[106:107]
	s_delay_alu instid0(VALU_DEP_1) | instskip(NEXT) | instid1(VALU_DEP_1)
	v_fma_f64 v[108:109], -v[90:91], v[106:107], 1.0
	v_fma_f64 v[106:107], v[106:107], v[108:109], v[106:107]
	v_div_scale_f64 v[108:109], vcc_lo, 1.0, v[88:89], 1.0
	s_delay_alu instid0(VALU_DEP_1) | instskip(NEXT) | instid1(VALU_DEP_1)
	v_mul_f64 v[110:111], v[108:109], v[106:107]
	v_fma_f64 v[90:91], -v[90:91], v[110:111], v[108:109]
	s_delay_alu instid0(VALU_DEP_1) | instskip(NEXT) | instid1(VALU_DEP_1)
	v_div_fmas_f64 v[90:91], v[90:91], v[106:107], v[110:111]
	v_div_fixup_f64 v[90:91], v[90:91], v[88:89], 1.0
	s_delay_alu instid0(VALU_DEP_1)
	v_mul_f64 v[88:89], v[104:105], v[90:91]
	v_xor_b32_e32 v91, 0x80000000, v91
.LBB42_9:
	s_or_saveexec_b32 s2, s2
	v_mov_b32_e32 v100, s6
	v_mov_b32_e32 v46, s7
	s_xor_b32 exec_lo, exec_lo, s2
	s_cbranch_execz .LBB42_11
; %bb.10:
	s_delay_alu instid0(VALU_DEP_4) | instskip(SKIP_3) | instid1(VALU_DEP_4)
	v_div_scale_f64 v[104:105], null, v[88:89], v[88:89], v[90:91]
	v_div_scale_f64 v[110:111], vcc_lo, v[90:91], v[88:89], v[90:91]
	v_mov_b32_e32 v100, 0
	v_mov_b32_e32 v46, 2
	v_rcp_f64_e32 v[106:107], v[104:105]
	s_waitcnt_depctr 0xfff
	v_fma_f64 v[108:109], -v[104:105], v[106:107], 1.0
	s_delay_alu instid0(VALU_DEP_1) | instskip(NEXT) | instid1(VALU_DEP_1)
	v_fma_f64 v[106:107], v[106:107], v[108:109], v[106:107]
	v_fma_f64 v[108:109], -v[104:105], v[106:107], 1.0
	s_delay_alu instid0(VALU_DEP_1) | instskip(NEXT) | instid1(VALU_DEP_1)
	v_fma_f64 v[106:107], v[106:107], v[108:109], v[106:107]
	v_mul_f64 v[108:109], v[110:111], v[106:107]
	s_delay_alu instid0(VALU_DEP_1) | instskip(NEXT) | instid1(VALU_DEP_1)
	v_fma_f64 v[104:105], -v[104:105], v[108:109], v[110:111]
	v_div_fmas_f64 v[104:105], v[104:105], v[106:107], v[108:109]
	s_delay_alu instid0(VALU_DEP_1) | instskip(NEXT) | instid1(VALU_DEP_1)
	v_div_fixup_f64 v[104:105], v[104:105], v[88:89], v[90:91]
	v_fma_f64 v[88:89], v[90:91], v[104:105], v[88:89]
	s_delay_alu instid0(VALU_DEP_1) | instskip(NEXT) | instid1(VALU_DEP_1)
	v_div_scale_f64 v[90:91], null, v[88:89], v[88:89], 1.0
	v_rcp_f64_e32 v[106:107], v[90:91]
	s_waitcnt_depctr 0xfff
	v_fma_f64 v[108:109], -v[90:91], v[106:107], 1.0
	s_delay_alu instid0(VALU_DEP_1) | instskip(NEXT) | instid1(VALU_DEP_1)
	v_fma_f64 v[106:107], v[106:107], v[108:109], v[106:107]
	v_fma_f64 v[108:109], -v[90:91], v[106:107], 1.0
	s_delay_alu instid0(VALU_DEP_1) | instskip(SKIP_1) | instid1(VALU_DEP_1)
	v_fma_f64 v[106:107], v[106:107], v[108:109], v[106:107]
	v_div_scale_f64 v[108:109], vcc_lo, 1.0, v[88:89], 1.0
	v_mul_f64 v[110:111], v[108:109], v[106:107]
	s_delay_alu instid0(VALU_DEP_1) | instskip(NEXT) | instid1(VALU_DEP_1)
	v_fma_f64 v[90:91], -v[90:91], v[110:111], v[108:109]
	v_div_fmas_f64 v[90:91], v[90:91], v[106:107], v[110:111]
	s_delay_alu instid0(VALU_DEP_1) | instskip(NEXT) | instid1(VALU_DEP_1)
	v_div_fixup_f64 v[88:89], v[90:91], v[88:89], 1.0
	v_mul_f64 v[90:91], v[104:105], -v[88:89]
.LBB42_11:
	s_or_b32 exec_lo, exec_lo, s2
.LBB42_12:
	s_delay_alu instid0(SALU_CYCLE_1) | instskip(NEXT) | instid1(SALU_CYCLE_1)
	s_or_b32 exec_lo, exec_lo, s3
	s_mov_b32 s2, exec_lo
	v_cmpx_ne_u32_e64 v255, v96
	s_xor_b32 s2, exec_lo, s2
	s_cbranch_execz .LBB42_18
; %bb.13:
	s_mov_b32 s3, exec_lo
	v_cmpx_eq_u32_e32 0, v255
	s_cbranch_execz .LBB42_17
; %bb.14:
	v_cmp_ne_u32_e32 vcc_lo, 0, v96
	s_xor_b32 s6, s4, -1
	s_delay_alu instid0(SALU_CYCLE_1) | instskip(NEXT) | instid1(SALU_CYCLE_1)
	s_and_b32 s7, s6, vcc_lo
	s_and_saveexec_b32 s6, s7
	s_cbranch_execz .LBB42_16
; %bb.15:
	v_ashrrev_i32_e32 v97, 31, v96
	s_delay_alu instid0(VALU_DEP_1) | instskip(NEXT) | instid1(VALU_DEP_1)
	v_lshlrev_b64 v[106:107], 2, v[96:97]
	v_add_co_u32 v106, vcc_lo, v44, v106
	s_delay_alu instid0(VALU_DEP_2)
	v_add_co_ci_u32_e32 v107, vcc_lo, v45, v107, vcc_lo
	s_clause 0x1
	flat_load_b32 v92, v[106:107]
	flat_load_b32 v93, v[44:45]
	s_waitcnt vmcnt(1) lgkmcnt(1)
	flat_store_b32 v[44:45], v92
	s_waitcnt vmcnt(0) lgkmcnt(1)
	flat_store_b32 v[106:107], v93
.LBB42_16:
	s_or_b32 exec_lo, exec_lo, s6
	v_mov_b32_e32 v255, v96
.LBB42_17:
	s_or_b32 exec_lo, exec_lo, s3
.LBB42_18:
	s_or_saveexec_b32 s2, s2
	s_delay_alu instid0(VALU_DEP_1)
	v_mov_b32_e32 v99, v255
	s_xor_b32 exec_lo, exec_lo, s2
	s_cbranch_execz .LBB42_20
; %bb.19:
	v_mov_b32_e32 v99, 0
	ds_store_2addr_b64 v98, v[249:250], v[251:252] offset0:2 offset1:3
	ds_store_2addr_b64 v98, v[78:79], v[80:81] offset0:4 offset1:5
	;; [unrolled: 1-line block ×21, first 2 shown]
.LBB42_20:
	s_or_b32 exec_lo, exec_lo, s2
	s_delay_alu instid0(VALU_DEP_1)
	v_cmp_lt_i32_e32 vcc_lo, 0, v99
	s_waitcnt lgkmcnt(0)
	s_waitcnt_vscnt null, 0x0
	s_barrier
	buffer_gl0_inv
	s_mov_b32 s2, exec_lo
	s_delay_alu instid0(SALU_CYCLE_1)
	s_and_b32 s3, s2, vcc_lo
	scratch_store_b64 off, v[44:45], off    ; 8-byte Folded Spill
	s_mov_b32 exec_lo, s3
	s_cbranch_execz .LBB42_22
; %bb.21:
	v_mul_f64 v[96:97], v[88:89], v[38:39]
	v_mul_f64 v[190:191], v[90:91], v[38:39]
	ds_load_2addr_b64 v[106:109], v98 offset0:2 offset1:3
	ds_load_2addr_b64 v[92:95], v98 offset0:4 offset1:5
	;; [unrolled: 1-line block ×21, first 2 shown]
	v_mov_b32_e32 v105, v47
	v_fma_f64 v[38:39], v[90:91], v[36:37], v[96:97]
	v_fma_f64 v[44:45], v[88:89], v[36:37], -v[190:191]
	s_waitcnt lgkmcnt(20)
	s_delay_alu instid0(VALU_DEP_2)
	v_mul_f64 v[88:89], v[108:109], v[38:39]
	s_waitcnt lgkmcnt(2)
	v_mul_f64 v[112:113], v[178:179], v[38:39]
	v_mul_f64 v[36:37], v[164:165], v[38:39]
	v_mul_f64 v[103:104], v[162:163], v[38:39]
	v_mul_f64 v[190:191], v[92:93], v[38:39]
	v_mul_f64 v[96:97], v[94:95], v[38:39]
	v_mul_f64 v[244:245], v[168:169], v[38:39]
	v_mul_f64 v[76:77], v[170:171], v[38:39]
	v_mul_f64 v[90:91], v[106:107], v[38:39]
	v_mul_f64 v[192:193], v[116:117], v[38:39]
	v_mul_f64 v[194:195], v[114:115], v[38:39]
	v_mul_f64 v[196:197], v[120:121], v[38:39]
	v_mul_f64 v[198:199], v[118:119], v[38:39]
	v_mul_f64 v[200:201], v[124:125], v[38:39]
	v_mul_f64 v[202:203], v[122:123], v[38:39]
	v_mul_f64 v[204:205], v[128:129], v[38:39]
	v_mul_f64 v[206:207], v[126:127], v[38:39]
	v_mul_f64 v[208:209], v[132:133], v[38:39]
	v_mul_f64 v[210:211], v[130:131], v[38:39]
	v_mul_f64 v[212:213], v[136:137], v[38:39]
	v_mul_f64 v[214:215], v[134:135], v[38:39]
	v_mul_f64 v[216:217], v[140:141], v[38:39]
	v_mul_f64 v[218:219], v[138:139], v[38:39]
	v_mul_f64 v[220:221], v[144:145], v[38:39]
	v_mul_f64 v[222:223], v[142:143], v[38:39]
	v_mul_f64 v[224:225], v[148:149], v[38:39]
	v_mul_f64 v[226:227], v[146:147], v[38:39]
	v_mul_f64 v[228:229], v[152:153], v[38:39]
	v_mul_f64 v[230:231], v[150:151], v[38:39]
	v_mul_f64 v[232:233], v[156:157], v[38:39]
	v_mul_f64 v[234:235], v[154:155], v[38:39]
	v_mul_f64 v[236:237], v[160:161], v[38:39]
	v_mul_f64 v[101:102], v[158:159], v[38:39]
	v_mul_f64 v[82:83], v[176:177], v[38:39]
	v_mul_f64 v[110:111], v[180:181], v[38:39]
	v_fma_f64 v[88:89], v[106:107], v[44:45], -v[88:89]
	s_clause 0x1
	scratch_store_b64 off, v[247:248], off offset:12
	scratch_store_b64 off, v[112:113], off offset:28
	v_fma_f64 v[162:163], v[162:163], v[44:45], -v[36:37]
	scratch_load_b64 v[36:37], off, off offset:28 ; 8-byte Folded Reload
	v_mul_f64 v[246:247], v[166:167], v[38:39]
	v_mov_b32_e32 v248, v46
	v_mul_f64 v[46:47], v[172:173], v[38:39]
	v_mov_b32_e32 v243, v255
	v_mul_f64 v[254:255], v[174:175], v[38:39]
	v_fma_f64 v[90:91], v[108:109], v[44:45], v[90:91]
	s_waitcnt lgkmcnt(1)
	v_mul_f64 v[106:107], v[184:185], v[38:39]
	v_mul_f64 v[108:109], v[182:183], v[38:39]
	s_waitcnt lgkmcnt(0)
	v_mul_f64 v[112:113], v[188:189], v[38:39]
	v_fma_f64 v[96:97], v[92:93], v[44:45], -v[96:97]
	v_fma_f64 v[114:115], v[114:115], v[44:45], -v[192:193]
	v_fma_f64 v[116:117], v[116:117], v[44:45], v[194:195]
	v_fma_f64 v[118:119], v[118:119], v[44:45], -v[196:197]
	v_fma_f64 v[120:121], v[120:121], v[44:45], v[198:199]
	v_fma_f64 v[122:123], v[122:123], v[44:45], -v[200:201]
	v_fma_f64 v[124:125], v[124:125], v[44:45], v[202:203]
	v_fma_f64 v[126:127], v[126:127], v[44:45], -v[204:205]
	v_fma_f64 v[128:129], v[128:129], v[44:45], v[206:207]
	v_fma_f64 v[130:131], v[130:131], v[44:45], -v[208:209]
	v_fma_f64 v[132:133], v[132:133], v[44:45], v[210:211]
	v_fma_f64 v[134:135], v[134:135], v[44:45], -v[212:213]
	v_fma_f64 v[136:137], v[136:137], v[44:45], v[214:215]
	v_fma_f64 v[138:139], v[138:139], v[44:45], -v[216:217]
	v_fma_f64 v[140:141], v[140:141], v[44:45], v[218:219]
	v_fma_f64 v[142:143], v[142:143], v[44:45], -v[220:221]
	v_fma_f64 v[144:145], v[144:145], v[44:45], v[222:223]
	v_fma_f64 v[146:147], v[146:147], v[44:45], -v[224:225]
	v_fma_f64 v[148:149], v[148:149], v[44:45], v[226:227]
	v_fma_f64 v[150:151], v[150:151], v[44:45], -v[228:229]
	v_fma_f64 v[152:153], v[152:153], v[44:45], v[230:231]
	v_fma_f64 v[154:155], v[154:155], v[44:45], -v[232:233]
	v_fma_f64 v[156:157], v[156:157], v[44:45], v[234:235]
	v_fma_f64 v[158:159], v[158:159], v[44:45], -v[236:237]
	scratch_store_b64 off, v[88:89], off offset:20 ; 8-byte Folded Spill
	v_fma_f64 v[88:89], v[94:95], v[44:45], v[190:191]
	v_mul_f64 v[190:191], v[186:187], v[38:39]
	v_fma_f64 v[160:161], v[160:161], v[44:45], v[101:102]
	v_fma_f64 v[164:165], v[164:165], v[44:45], v[103:104]
	;; [unrolled: 1-line block ×3, first 2 shown]
	v_fma_f64 v[166:167], v[166:167], v[44:45], -v[244:245]
	v_fma_f64 v[170:171], v[170:171], v[44:45], -v[46:47]
	v_mov_b32_e32 v46, v248
	scratch_load_b64 v[247:248], off, off offset:12 ; 8-byte Folded Reload
	v_mov_b32_e32 v47, v105
	v_fma_f64 v[172:173], v[172:173], v[44:45], v[76:77]
	v_fma_f64 v[174:175], v[174:175], v[44:45], -v[82:83]
	v_fma_f64 v[176:177], v[176:177], v[44:45], v[254:255]
	v_fma_f64 v[92:93], v[178:179], v[44:45], -v[110:111]
	v_fma_f64 v[106:107], v[182:183], v[44:45], -v[106:107]
	v_fma_f64 v[108:109], v[184:185], v[44:45], v[108:109]
	v_fma_f64 v[112:113], v[186:187], v[44:45], -v[112:113]
	v_add_f64 v[251:252], v[251:252], -v[90:91]
	v_add_f64 v[78:79], v[78:79], -v[96:97]
	;; [unrolled: 1-line block ×22, first 2 shown]
	v_fma_f64 v[178:179], v[188:189], v[44:45], v[190:191]
	v_add_f64 v[34:35], v[34:35], -v[152:153]
	v_add_f64 v[28:29], v[28:29], -v[154:155]
	;; [unrolled: 1-line block ×17, first 2 shown]
	v_mov_b32_e32 v255, v243
	v_add_f64 v[2:3], v[2:3], -v[178:179]
	s_waitcnt vmcnt(1)
	v_fma_f64 v[94:95], v[180:181], v[44:45], v[36:37]
	scratch_load_b64 v[36:37], off, off offset:20 ; 8-byte Folded Reload
	v_add_f64 v[6:7], v[6:7], -v[94:95]
	s_waitcnt vmcnt(0)
	v_add_f64 v[249:250], v[249:250], -v[36:37]
	v_dual_mov_b32 v36, v44 :: v_dual_mov_b32 v37, v45
	scratch_load_b64 v[44:45], off, off     ; 8-byte Folded Reload
.LBB42_22:
	s_or_b32 exec_lo, exec_lo, s2
	v_lshl_add_u32 v88, v99, 4, v98
	s_waitcnt vmcnt(0)
	s_waitcnt_vscnt null, 0x0
	s_barrier
	buffer_gl0_inv
	v_mov_b32_e32 v96, 1
	ds_store_2addr_b64 v88, v[249:250], v[251:252] offset1:1
	s_waitcnt lgkmcnt(0)
	s_barrier
	buffer_gl0_inv
	ds_load_2addr_b64 v[88:91], v98 offset0:2 offset1:3
	s_cmp_lt_i32 s5, 3
	s_cbranch_scc1 .LBB42_25
; %bb.23:
	v_add3_u32 v97, v47, 0, 32
	v_mov_b32_e32 v96, 1
	s_mov_b32 s6, 2
	s_set_inst_prefetch_distance 0x1
	.p2align	6
.LBB42_24:                              ; =>This Inner Loop Header: Depth=1
	ds_load_2addr_b64 v[106:109], v97 offset1:1
	s_waitcnt lgkmcnt(1)
	v_cmp_gt_f64_e32 vcc_lo, 0, v[88:89]
	v_xor_b32_e32 v92, 0x80000000, v89
	v_cmp_gt_f64_e64 s2, 0, v[90:91]
	v_xor_b32_e32 v94, 0x80000000, v91
	v_add_nc_u32_e32 v97, 16, v97
	s_waitcnt lgkmcnt(0)
	v_cmp_gt_f64_e64 s3, 0, v[106:107]
	v_mov_b32_e32 v110, v106
	v_dual_mov_b32 v112, v108 :: v_dual_cndmask_b32 v93, v89, v92
	v_xor_b32_e32 v92, 0x80000000, v107
	v_cndmask_b32_e64 v95, v91, v94, s2
	v_xor_b32_e32 v94, 0x80000000, v109
	s_delay_alu instid0(VALU_DEP_3) | instskip(SKIP_2) | instid1(VALU_DEP_2)
	v_cndmask_b32_e64 v111, v107, v92, s3
	v_cmp_gt_f64_e64 s3, 0, v[108:109]
	v_cndmask_b32_e32 v92, v88, v88, vcc_lo
	v_cndmask_b32_e64 v113, v109, v94, s3
	v_cndmask_b32_e64 v94, v90, v90, s2
	s_delay_alu instid0(VALU_DEP_2) | instskip(NEXT) | instid1(VALU_DEP_2)
	v_add_f64 v[110:111], v[110:111], v[112:113]
	v_add_f64 v[92:93], v[92:93], v[94:95]
	s_delay_alu instid0(VALU_DEP_1)
	v_cmp_lt_f64_e32 vcc_lo, v[92:93], v[110:111]
	v_cndmask_b32_e32 v91, v91, v109, vcc_lo
	v_dual_cndmask_b32 v89, v89, v107 :: v_dual_cndmask_b32 v88, v88, v106
	v_cndmask_b32_e32 v90, v90, v108, vcc_lo
	v_cndmask_b32_e64 v96, v96, s6, vcc_lo
	s_add_i32 s6, s6, 1
	s_delay_alu instid0(SALU_CYCLE_1)
	s_cmp_lg_u32 s5, s6
	s_cbranch_scc1 .LBB42_24
.LBB42_25:
	s_set_inst_prefetch_distance 0x2
	s_waitcnt lgkmcnt(0)
	v_cmp_neq_f64_e32 vcc_lo, 0, v[88:89]
	v_cmp_neq_f64_e64 s2, 0, v[90:91]
	s_delay_alu instid0(VALU_DEP_1) | instskip(NEXT) | instid1(SALU_CYCLE_1)
	s_or_b32 s2, vcc_lo, s2
	s_and_saveexec_b32 s3, s2
	s_cbranch_execz .LBB42_31
; %bb.26:
	v_cmp_gt_f64_e32 vcc_lo, 0, v[88:89]
	v_cmp_gt_f64_e64 s2, 0, v[90:91]
	v_xor_b32_e32 v92, 0x80000000, v89
	v_xor_b32_e32 v94, 0x80000000, v91
	s_delay_alu instid0(VALU_DEP_2) | instskip(NEXT) | instid1(VALU_DEP_2)
	v_cndmask_b32_e32 v93, v89, v92, vcc_lo
	v_cndmask_b32_e64 v95, v91, v94, s2
	v_cndmask_b32_e32 v92, v88, v88, vcc_lo
	v_cndmask_b32_e64 v94, v90, v90, s2
	s_mov_b32 s2, exec_lo
	s_delay_alu instid0(VALU_DEP_1)
	v_cmpx_ngt_f64_e32 v[92:93], v[94:95]
	s_xor_b32 s2, exec_lo, s2
	s_cbranch_execz .LBB42_28
; %bb.27:
	v_div_scale_f64 v[92:93], null, v[90:91], v[90:91], v[88:89]
	v_div_scale_f64 v[108:109], vcc_lo, v[88:89], v[90:91], v[88:89]
	s_delay_alu instid0(VALU_DEP_2) | instskip(SKIP_2) | instid1(VALU_DEP_1)
	v_rcp_f64_e32 v[94:95], v[92:93]
	s_waitcnt_depctr 0xfff
	v_fma_f64 v[106:107], -v[92:93], v[94:95], 1.0
	v_fma_f64 v[94:95], v[94:95], v[106:107], v[94:95]
	s_delay_alu instid0(VALU_DEP_1) | instskip(NEXT) | instid1(VALU_DEP_1)
	v_fma_f64 v[106:107], -v[92:93], v[94:95], 1.0
	v_fma_f64 v[94:95], v[94:95], v[106:107], v[94:95]
	s_delay_alu instid0(VALU_DEP_1) | instskip(NEXT) | instid1(VALU_DEP_1)
	v_mul_f64 v[106:107], v[108:109], v[94:95]
	v_fma_f64 v[92:93], -v[92:93], v[106:107], v[108:109]
	s_delay_alu instid0(VALU_DEP_1) | instskip(NEXT) | instid1(VALU_DEP_1)
	v_div_fmas_f64 v[92:93], v[92:93], v[94:95], v[106:107]
	v_div_fixup_f64 v[92:93], v[92:93], v[90:91], v[88:89]
	s_delay_alu instid0(VALU_DEP_1) | instskip(NEXT) | instid1(VALU_DEP_1)
	v_fma_f64 v[88:89], v[88:89], v[92:93], v[90:91]
	v_div_scale_f64 v[90:91], null, v[88:89], v[88:89], 1.0
	s_delay_alu instid0(VALU_DEP_1) | instskip(SKIP_2) | instid1(VALU_DEP_1)
	v_rcp_f64_e32 v[94:95], v[90:91]
	s_waitcnt_depctr 0xfff
	v_fma_f64 v[106:107], -v[90:91], v[94:95], 1.0
	v_fma_f64 v[94:95], v[94:95], v[106:107], v[94:95]
	s_delay_alu instid0(VALU_DEP_1) | instskip(NEXT) | instid1(VALU_DEP_1)
	v_fma_f64 v[106:107], -v[90:91], v[94:95], 1.0
	v_fma_f64 v[94:95], v[94:95], v[106:107], v[94:95]
	v_div_scale_f64 v[106:107], vcc_lo, 1.0, v[88:89], 1.0
	s_delay_alu instid0(VALU_DEP_1) | instskip(NEXT) | instid1(VALU_DEP_1)
	v_mul_f64 v[108:109], v[106:107], v[94:95]
	v_fma_f64 v[90:91], -v[90:91], v[108:109], v[106:107]
	s_delay_alu instid0(VALU_DEP_1) | instskip(NEXT) | instid1(VALU_DEP_1)
	v_div_fmas_f64 v[90:91], v[90:91], v[94:95], v[108:109]
	v_div_fixup_f64 v[90:91], v[90:91], v[88:89], 1.0
	s_delay_alu instid0(VALU_DEP_1)
	v_mul_f64 v[88:89], v[92:93], v[90:91]
	v_xor_b32_e32 v91, 0x80000000, v91
.LBB42_28:
	s_and_not1_saveexec_b32 s2, s2
	s_cbranch_execz .LBB42_30
; %bb.29:
	s_delay_alu instid0(VALU_DEP_1) | instskip(SKIP_1) | instid1(VALU_DEP_2)
	v_div_scale_f64 v[92:93], null, v[88:89], v[88:89], v[90:91]
	v_div_scale_f64 v[108:109], vcc_lo, v[90:91], v[88:89], v[90:91]
	v_rcp_f64_e32 v[94:95], v[92:93]
	s_waitcnt_depctr 0xfff
	v_fma_f64 v[106:107], -v[92:93], v[94:95], 1.0
	s_delay_alu instid0(VALU_DEP_1) | instskip(NEXT) | instid1(VALU_DEP_1)
	v_fma_f64 v[94:95], v[94:95], v[106:107], v[94:95]
	v_fma_f64 v[106:107], -v[92:93], v[94:95], 1.0
	s_delay_alu instid0(VALU_DEP_1) | instskip(NEXT) | instid1(VALU_DEP_1)
	v_fma_f64 v[94:95], v[94:95], v[106:107], v[94:95]
	v_mul_f64 v[106:107], v[108:109], v[94:95]
	s_delay_alu instid0(VALU_DEP_1) | instskip(NEXT) | instid1(VALU_DEP_1)
	v_fma_f64 v[92:93], -v[92:93], v[106:107], v[108:109]
	v_div_fmas_f64 v[92:93], v[92:93], v[94:95], v[106:107]
	s_delay_alu instid0(VALU_DEP_1) | instskip(NEXT) | instid1(VALU_DEP_1)
	v_div_fixup_f64 v[92:93], v[92:93], v[88:89], v[90:91]
	v_fma_f64 v[88:89], v[90:91], v[92:93], v[88:89]
	s_delay_alu instid0(VALU_DEP_1) | instskip(NEXT) | instid1(VALU_DEP_1)
	v_div_scale_f64 v[90:91], null, v[88:89], v[88:89], 1.0
	v_rcp_f64_e32 v[94:95], v[90:91]
	s_waitcnt_depctr 0xfff
	v_fma_f64 v[106:107], -v[90:91], v[94:95], 1.0
	s_delay_alu instid0(VALU_DEP_1) | instskip(NEXT) | instid1(VALU_DEP_1)
	v_fma_f64 v[94:95], v[94:95], v[106:107], v[94:95]
	v_fma_f64 v[106:107], -v[90:91], v[94:95], 1.0
	s_delay_alu instid0(VALU_DEP_1) | instskip(SKIP_1) | instid1(VALU_DEP_1)
	v_fma_f64 v[94:95], v[94:95], v[106:107], v[94:95]
	v_div_scale_f64 v[106:107], vcc_lo, 1.0, v[88:89], 1.0
	v_mul_f64 v[108:109], v[106:107], v[94:95]
	s_delay_alu instid0(VALU_DEP_1) | instskip(NEXT) | instid1(VALU_DEP_1)
	v_fma_f64 v[90:91], -v[90:91], v[108:109], v[106:107]
	v_div_fmas_f64 v[90:91], v[90:91], v[94:95], v[108:109]
	s_delay_alu instid0(VALU_DEP_1) | instskip(NEXT) | instid1(VALU_DEP_1)
	v_div_fixup_f64 v[88:89], v[90:91], v[88:89], 1.0
	v_mul_f64 v[90:91], v[92:93], -v[88:89]
.LBB42_30:
	s_or_b32 exec_lo, exec_lo, s2
	v_mov_b32_e32 v46, v100
.LBB42_31:
	s_or_b32 exec_lo, exec_lo, s3
	s_delay_alu instid0(SALU_CYCLE_1)
	s_mov_b32 s2, exec_lo
	v_cmpx_ne_u32_e64 v99, v96
	s_xor_b32 s2, exec_lo, s2
	s_cbranch_execz .LBB42_37
; %bb.32:
	s_mov_b32 s3, exec_lo
	v_cmpx_eq_u32_e32 1, v99
	s_cbranch_execz .LBB42_36
; %bb.33:
	v_cmp_ne_u32_e32 vcc_lo, 1, v96
	s_xor_b32 s6, s4, -1
	s_delay_alu instid0(SALU_CYCLE_1) | instskip(NEXT) | instid1(SALU_CYCLE_1)
	s_and_b32 s7, s6, vcc_lo
	s_and_saveexec_b32 s6, s7
	s_cbranch_execz .LBB42_35
; %bb.34:
	v_ashrrev_i32_e32 v97, 31, v96
	s_delay_alu instid0(VALU_DEP_1) | instskip(NEXT) | instid1(VALU_DEP_1)
	v_lshlrev_b64 v[92:93], 2, v[96:97]
	v_add_co_u32 v92, vcc_lo, v44, v92
	s_delay_alu instid0(VALU_DEP_2)
	v_add_co_ci_u32_e32 v93, vcc_lo, v45, v93, vcc_lo
	s_clause 0x1
	flat_load_b32 v94, v[92:93]
	flat_load_b32 v95, v[44:45] offset:4
	s_waitcnt vmcnt(1) lgkmcnt(1)
	flat_store_b32 v[44:45], v94 offset:4
	s_waitcnt vmcnt(0) lgkmcnt(1)
	flat_store_b32 v[92:93], v95
.LBB42_35:
	s_or_b32 exec_lo, exec_lo, s6
	v_mov_b32_e32 v99, v96
	v_mov_b32_e32 v255, v96
.LBB42_36:
	s_or_b32 exec_lo, exec_lo, s3
.LBB42_37:
	s_and_not1_saveexec_b32 s2, s2
	s_cbranch_execz .LBB42_39
; %bb.38:
	v_mov_b32_e32 v99, 1
	ds_store_2addr_b64 v98, v[78:79], v[80:81] offset0:4 offset1:5
	ds_store_2addr_b64 v98, v[239:240], v[241:242] offset0:6 offset1:7
	;; [unrolled: 1-line block ×20, first 2 shown]
.LBB42_39:
	s_or_b32 exec_lo, exec_lo, s2
	s_delay_alu instid0(SALU_CYCLE_1)
	s_mov_b32 s2, exec_lo
	s_waitcnt lgkmcnt(0)
	s_waitcnt_vscnt null, 0x0
	s_barrier
	buffer_gl0_inv
	v_cmpx_lt_i32_e32 1, v99
	s_cbranch_execz .LBB42_41
; %bb.40:
	v_mul_f64 v[92:93], v[88:89], v[251:252]
	v_mul_f64 v[94:95], v[90:91], v[251:252]
	ds_load_2addr_b64 v[105:108], v98 offset0:4 offset1:5
	ds_load_2addr_b64 v[109:112], v98 offset0:6 offset1:7
	;; [unrolled: 1-line block ×20, first 2 shown]
	v_fma_f64 v[251:252], v[90:91], v[249:250], v[92:93]
	v_fma_f64 v[44:45], v[88:89], v[249:250], -v[94:95]
	v_mov_b32_e32 v104, v253
	s_waitcnt lgkmcnt(18)
	s_delay_alu instid0(VALU_DEP_3)
	v_mul_f64 v[94:95], v[109:110], v[251:252]
	s_waitcnt lgkmcnt(15)
	v_mul_f64 v[191:192], v[123:124], v[251:252]
	s_waitcnt lgkmcnt(13)
	;; [unrolled: 2-line block ×6, first 2 shown]
	v_mul_f64 v[249:250], v[169:170], v[251:252]
	v_mul_f64 v[88:89], v[107:108], v[251:252]
	;; [unrolled: 1-line block ×28, first 2 shown]
	s_waitcnt lgkmcnt(2)
	v_mul_f64 v[243:244], v[175:176], v[251:252]
	v_mul_f64 v[245:246], v[173:174], v[251:252]
	s_waitcnt lgkmcnt(1)
	v_mul_f64 v[76:77], v[179:180], v[251:252]
	v_mul_f64 v[100:101], v[177:178], v[251:252]
	;; [unrolled: 3-line block ×3, first 2 shown]
	v_fma_f64 v[94:95], v[111:112], v[44:45], v[94:95]
	v_fma_f64 v[111:112], v[121:122], v[44:45], -v[191:192]
	v_fma_f64 v[121:122], v[131:132], v[44:45], v[201:202]
	v_fma_f64 v[131:132], v[141:142], v[44:45], -v[211:212]
	;; [unrolled: 2-line block ×3, first 2 shown]
	v_fma_f64 v[161:162], v[171:172], v[44:45], v[249:250]
	v_dual_mov_b32 v250, v45 :: v_dual_mov_b32 v249, v44
	v_fma_f64 v[88:89], v[105:106], v[44:45], -v[88:89]
	v_fma_f64 v[90:91], v[107:108], v[44:45], v[90:91]
	v_fma_f64 v[92:93], v[109:110], v[44:45], -v[92:93]
	v_fma_f64 v[96:97], v[113:114], v[44:45], -v[96:97]
	v_fma_f64 v[105:106], v[115:116], v[44:45], v[185:186]
	v_fma_f64 v[107:108], v[117:118], v[44:45], -v[187:188]
	v_fma_f64 v[109:110], v[119:120], v[44:45], v[189:190]
	v_fma_f64 v[113:114], v[123:124], v[44:45], v[193:194]
	v_fma_f64 v[115:116], v[125:126], v[44:45], -v[195:196]
	v_fma_f64 v[117:118], v[127:128], v[44:45], v[197:198]
	v_fma_f64 v[119:120], v[129:130], v[44:45], -v[199:200]
	v_fma_f64 v[123:124], v[133:134], v[44:45], -v[203:204]
	v_fma_f64 v[125:126], v[135:136], v[44:45], v[205:206]
	v_fma_f64 v[127:128], v[137:138], v[44:45], -v[207:208]
	v_fma_f64 v[129:130], v[139:140], v[44:45], v[209:210]
	v_fma_f64 v[133:134], v[143:144], v[44:45], v[213:214]
	;; [unrolled: 8-line block ×3, first 2 shown]
	v_fma_f64 v[155:156], v[165:166], v[44:45], -v[235:236]
	v_fma_f64 v[157:158], v[167:168], v[44:45], v[237:238]
	v_fma_f64 v[159:160], v[169:170], v[44:45], -v[102:103]
	v_fma_f64 v[163:164], v[173:174], v[44:45], -v[243:244]
	v_fma_f64 v[165:166], v[175:176], v[44:45], v[245:246]
	v_fma_f64 v[167:168], v[177:178], v[44:45], -v[76:77]
	v_fma_f64 v[169:170], v[179:180], v[44:45], v[100:101]
	;; [unrolled: 2-line block ×3, first 2 shown]
	scratch_load_b64 v[44:45], off, off     ; 8-byte Folded Reload
	v_add_f64 v[241:242], v[241:242], -v[94:95]
	v_add_f64 v[72:73], v[72:73], -v[111:112]
	;; [unrolled: 1-line block ×40, first 2 shown]
	v_mov_b32_e32 v253, v104
.LBB42_41:
	s_or_b32 exec_lo, exec_lo, s2
	v_lshl_add_u32 v88, v99, 4, v98
	s_waitcnt vmcnt(0)
	s_barrier
	buffer_gl0_inv
	v_mov_b32_e32 v96, 2
	ds_store_2addr_b64 v88, v[78:79], v[80:81] offset1:1
	s_waitcnt lgkmcnt(0)
	s_barrier
	buffer_gl0_inv
	ds_load_2addr_b64 v[88:91], v98 offset0:4 offset1:5
	s_cmp_lt_i32 s5, 4
	s_cbranch_scc1 .LBB42_44
; %bb.42:
	v_add3_u32 v97, v47, 0, 48
	v_mov_b32_e32 v96, 2
	s_mov_b32 s6, 3
	s_set_inst_prefetch_distance 0x1
	.p2align	6
.LBB42_43:                              ; =>This Inner Loop Header: Depth=1
	ds_load_2addr_b64 v[105:108], v97 offset1:1
	s_waitcnt lgkmcnt(1)
	v_cmp_gt_f64_e32 vcc_lo, 0, v[88:89]
	v_xor_b32_e32 v92, 0x80000000, v89
	v_cmp_gt_f64_e64 s2, 0, v[90:91]
	v_xor_b32_e32 v94, 0x80000000, v91
	v_add_nc_u32_e32 v97, 16, v97
	s_waitcnt lgkmcnt(0)
	v_cmp_gt_f64_e64 s3, 0, v[105:106]
	v_mov_b32_e32 v109, v105
	v_mov_b32_e32 v111, v107
	v_cndmask_b32_e32 v93, v89, v92, vcc_lo
	v_xor_b32_e32 v92, 0x80000000, v106
	v_cndmask_b32_e64 v95, v91, v94, s2
	v_xor_b32_e32 v94, 0x80000000, v108
	s_delay_alu instid0(VALU_DEP_3) | instskip(SKIP_2) | instid1(VALU_DEP_2)
	v_cndmask_b32_e64 v110, v106, v92, s3
	v_cmp_gt_f64_e64 s3, 0, v[107:108]
	v_cndmask_b32_e32 v92, v88, v88, vcc_lo
	v_cndmask_b32_e64 v112, v108, v94, s3
	v_cndmask_b32_e64 v94, v90, v90, s2
	s_delay_alu instid0(VALU_DEP_2) | instskip(NEXT) | instid1(VALU_DEP_2)
	v_add_f64 v[109:110], v[109:110], v[111:112]
	v_add_f64 v[92:93], v[92:93], v[94:95]
	s_delay_alu instid0(VALU_DEP_1) | instskip(SKIP_4) | instid1(SALU_CYCLE_1)
	v_cmp_lt_f64_e32 vcc_lo, v[92:93], v[109:110]
	v_dual_cndmask_b32 v88, v88, v105 :: v_dual_cndmask_b32 v89, v89, v106
	v_dual_cndmask_b32 v91, v91, v108 :: v_dual_cndmask_b32 v90, v90, v107
	v_cndmask_b32_e64 v96, v96, s6, vcc_lo
	s_add_i32 s6, s6, 1
	s_cmp_lg_u32 s5, s6
	s_cbranch_scc1 .LBB42_43
.LBB42_44:
	s_set_inst_prefetch_distance 0x2
	s_waitcnt lgkmcnt(0)
	v_cmp_eq_f64_e32 vcc_lo, 0, v[88:89]
	v_cmp_eq_f64_e64 s2, 0, v[90:91]
	s_delay_alu instid0(VALU_DEP_1) | instskip(NEXT) | instid1(SALU_CYCLE_1)
	s_and_b32 s2, vcc_lo, s2
	s_and_saveexec_b32 s3, s2
	s_delay_alu instid0(SALU_CYCLE_1)
	s_xor_b32 s2, exec_lo, s3
; %bb.45:
	v_cmp_ne_u32_e32 vcc_lo, 0, v46
	v_cndmask_b32_e32 v46, 3, v46, vcc_lo
; %bb.46:
	s_and_not1_saveexec_b32 s3, s2
	s_cbranch_execz .LBB42_52
; %bb.47:
	v_cmp_gt_f64_e32 vcc_lo, 0, v[88:89]
	v_cmp_gt_f64_e64 s2, 0, v[90:91]
	v_xor_b32_e32 v92, 0x80000000, v89
	v_xor_b32_e32 v94, 0x80000000, v91
	s_delay_alu instid0(VALU_DEP_2) | instskip(NEXT) | instid1(VALU_DEP_2)
	v_cndmask_b32_e32 v93, v89, v92, vcc_lo
	v_cndmask_b32_e64 v95, v91, v94, s2
	v_cndmask_b32_e32 v92, v88, v88, vcc_lo
	v_cndmask_b32_e64 v94, v90, v90, s2
	s_mov_b32 s2, exec_lo
	s_delay_alu instid0(VALU_DEP_1)
	v_cmpx_ngt_f64_e32 v[92:93], v[94:95]
	s_xor_b32 s2, exec_lo, s2
	s_cbranch_execz .LBB42_49
; %bb.48:
	v_div_scale_f64 v[92:93], null, v[90:91], v[90:91], v[88:89]
	v_div_scale_f64 v[107:108], vcc_lo, v[88:89], v[90:91], v[88:89]
	s_delay_alu instid0(VALU_DEP_2) | instskip(SKIP_2) | instid1(VALU_DEP_1)
	v_rcp_f64_e32 v[94:95], v[92:93]
	s_waitcnt_depctr 0xfff
	v_fma_f64 v[105:106], -v[92:93], v[94:95], 1.0
	v_fma_f64 v[94:95], v[94:95], v[105:106], v[94:95]
	s_delay_alu instid0(VALU_DEP_1) | instskip(NEXT) | instid1(VALU_DEP_1)
	v_fma_f64 v[105:106], -v[92:93], v[94:95], 1.0
	v_fma_f64 v[94:95], v[94:95], v[105:106], v[94:95]
	s_delay_alu instid0(VALU_DEP_1) | instskip(NEXT) | instid1(VALU_DEP_1)
	v_mul_f64 v[105:106], v[107:108], v[94:95]
	v_fma_f64 v[92:93], -v[92:93], v[105:106], v[107:108]
	s_delay_alu instid0(VALU_DEP_1) | instskip(NEXT) | instid1(VALU_DEP_1)
	v_div_fmas_f64 v[92:93], v[92:93], v[94:95], v[105:106]
	v_div_fixup_f64 v[92:93], v[92:93], v[90:91], v[88:89]
	s_delay_alu instid0(VALU_DEP_1) | instskip(NEXT) | instid1(VALU_DEP_1)
	v_fma_f64 v[88:89], v[88:89], v[92:93], v[90:91]
	v_div_scale_f64 v[90:91], null, v[88:89], v[88:89], 1.0
	s_delay_alu instid0(VALU_DEP_1) | instskip(SKIP_2) | instid1(VALU_DEP_1)
	v_rcp_f64_e32 v[94:95], v[90:91]
	s_waitcnt_depctr 0xfff
	v_fma_f64 v[105:106], -v[90:91], v[94:95], 1.0
	v_fma_f64 v[94:95], v[94:95], v[105:106], v[94:95]
	s_delay_alu instid0(VALU_DEP_1) | instskip(NEXT) | instid1(VALU_DEP_1)
	v_fma_f64 v[105:106], -v[90:91], v[94:95], 1.0
	v_fma_f64 v[94:95], v[94:95], v[105:106], v[94:95]
	v_div_scale_f64 v[105:106], vcc_lo, 1.0, v[88:89], 1.0
	s_delay_alu instid0(VALU_DEP_1) | instskip(NEXT) | instid1(VALU_DEP_1)
	v_mul_f64 v[107:108], v[105:106], v[94:95]
	v_fma_f64 v[90:91], -v[90:91], v[107:108], v[105:106]
	s_delay_alu instid0(VALU_DEP_1) | instskip(NEXT) | instid1(VALU_DEP_1)
	v_div_fmas_f64 v[90:91], v[90:91], v[94:95], v[107:108]
	v_div_fixup_f64 v[90:91], v[90:91], v[88:89], 1.0
	s_delay_alu instid0(VALU_DEP_1)
	v_mul_f64 v[88:89], v[92:93], v[90:91]
	v_xor_b32_e32 v91, 0x80000000, v91
.LBB42_49:
	s_and_not1_saveexec_b32 s2, s2
	s_cbranch_execz .LBB42_51
; %bb.50:
	s_delay_alu instid0(VALU_DEP_1) | instskip(SKIP_1) | instid1(VALU_DEP_2)
	v_div_scale_f64 v[92:93], null, v[88:89], v[88:89], v[90:91]
	v_div_scale_f64 v[107:108], vcc_lo, v[90:91], v[88:89], v[90:91]
	v_rcp_f64_e32 v[94:95], v[92:93]
	s_waitcnt_depctr 0xfff
	v_fma_f64 v[105:106], -v[92:93], v[94:95], 1.0
	s_delay_alu instid0(VALU_DEP_1) | instskip(NEXT) | instid1(VALU_DEP_1)
	v_fma_f64 v[94:95], v[94:95], v[105:106], v[94:95]
	v_fma_f64 v[105:106], -v[92:93], v[94:95], 1.0
	s_delay_alu instid0(VALU_DEP_1) | instskip(NEXT) | instid1(VALU_DEP_1)
	v_fma_f64 v[94:95], v[94:95], v[105:106], v[94:95]
	v_mul_f64 v[105:106], v[107:108], v[94:95]
	s_delay_alu instid0(VALU_DEP_1) | instskip(NEXT) | instid1(VALU_DEP_1)
	v_fma_f64 v[92:93], -v[92:93], v[105:106], v[107:108]
	v_div_fmas_f64 v[92:93], v[92:93], v[94:95], v[105:106]
	s_delay_alu instid0(VALU_DEP_1) | instskip(NEXT) | instid1(VALU_DEP_1)
	v_div_fixup_f64 v[92:93], v[92:93], v[88:89], v[90:91]
	v_fma_f64 v[88:89], v[90:91], v[92:93], v[88:89]
	s_delay_alu instid0(VALU_DEP_1) | instskip(NEXT) | instid1(VALU_DEP_1)
	v_div_scale_f64 v[90:91], null, v[88:89], v[88:89], 1.0
	v_rcp_f64_e32 v[94:95], v[90:91]
	s_waitcnt_depctr 0xfff
	v_fma_f64 v[105:106], -v[90:91], v[94:95], 1.0
	s_delay_alu instid0(VALU_DEP_1) | instskip(NEXT) | instid1(VALU_DEP_1)
	v_fma_f64 v[94:95], v[94:95], v[105:106], v[94:95]
	v_fma_f64 v[105:106], -v[90:91], v[94:95], 1.0
	s_delay_alu instid0(VALU_DEP_1) | instskip(SKIP_1) | instid1(VALU_DEP_1)
	v_fma_f64 v[94:95], v[94:95], v[105:106], v[94:95]
	v_div_scale_f64 v[105:106], vcc_lo, 1.0, v[88:89], 1.0
	v_mul_f64 v[107:108], v[105:106], v[94:95]
	s_delay_alu instid0(VALU_DEP_1) | instskip(NEXT) | instid1(VALU_DEP_1)
	v_fma_f64 v[90:91], -v[90:91], v[107:108], v[105:106]
	v_div_fmas_f64 v[90:91], v[90:91], v[94:95], v[107:108]
	s_delay_alu instid0(VALU_DEP_1) | instskip(NEXT) | instid1(VALU_DEP_1)
	v_div_fixup_f64 v[88:89], v[90:91], v[88:89], 1.0
	v_mul_f64 v[90:91], v[92:93], -v[88:89]
.LBB42_51:
	s_or_b32 exec_lo, exec_lo, s2
.LBB42_52:
	s_delay_alu instid0(SALU_CYCLE_1) | instskip(NEXT) | instid1(SALU_CYCLE_1)
	s_or_b32 exec_lo, exec_lo, s3
	s_mov_b32 s2, exec_lo
	v_cmpx_ne_u32_e64 v99, v96
	s_xor_b32 s2, exec_lo, s2
	s_cbranch_execz .LBB42_58
; %bb.53:
	s_mov_b32 s3, exec_lo
	v_cmpx_eq_u32_e32 2, v99
	s_cbranch_execz .LBB42_57
; %bb.54:
	v_cmp_ne_u32_e32 vcc_lo, 2, v96
	s_xor_b32 s6, s4, -1
	s_delay_alu instid0(SALU_CYCLE_1) | instskip(NEXT) | instid1(SALU_CYCLE_1)
	s_and_b32 s7, s6, vcc_lo
	s_and_saveexec_b32 s6, s7
	s_cbranch_execz .LBB42_56
; %bb.55:
	v_ashrrev_i32_e32 v97, 31, v96
	s_delay_alu instid0(VALU_DEP_1) | instskip(NEXT) | instid1(VALU_DEP_1)
	v_lshlrev_b64 v[92:93], 2, v[96:97]
	v_add_co_u32 v92, vcc_lo, v44, v92
	s_delay_alu instid0(VALU_DEP_2)
	v_add_co_ci_u32_e32 v93, vcc_lo, v45, v93, vcc_lo
	s_clause 0x1
	flat_load_b32 v94, v[92:93]
	flat_load_b32 v95, v[44:45] offset:8
	s_waitcnt vmcnt(1) lgkmcnt(1)
	flat_store_b32 v[44:45], v94 offset:8
	s_waitcnt vmcnt(0) lgkmcnt(1)
	flat_store_b32 v[92:93], v95
.LBB42_56:
	s_or_b32 exec_lo, exec_lo, s6
	v_mov_b32_e32 v99, v96
	v_mov_b32_e32 v255, v96
.LBB42_57:
	s_or_b32 exec_lo, exec_lo, s3
.LBB42_58:
	s_and_not1_saveexec_b32 s2, s2
	s_cbranch_execz .LBB42_60
; %bb.59:
	v_mov_b32_e32 v99, 2
	ds_store_2addr_b64 v98, v[239:240], v[241:242] offset0:6 offset1:7
	ds_store_2addr_b64 v98, v[84:85], v[86:87] offset0:8 offset1:9
	;; [unrolled: 1-line block ×19, first 2 shown]
.LBB42_60:
	s_or_b32 exec_lo, exec_lo, s2
	s_delay_alu instid0(SALU_CYCLE_1)
	s_mov_b32 s2, exec_lo
	s_waitcnt lgkmcnt(0)
	s_waitcnt_vscnt null, 0x0
	s_barrier
	buffer_gl0_inv
	v_cmpx_lt_i32_e32 2, v99
	s_cbranch_execz .LBB42_62
; %bb.61:
	v_mul_f64 v[92:93], v[88:89], v[80:81]
	v_mul_f64 v[94:95], v[90:91], v[80:81]
	ds_load_2addr_b64 v[105:108], v98 offset0:6 offset1:7
	ds_load_2addr_b64 v[109:112], v98 offset0:8 offset1:9
	;; [unrolled: 1-line block ×19, first 2 shown]
	v_fma_f64 v[80:81], v[90:91], v[78:79], v[92:93]
	s_delay_alu instid0(VALU_DEP_1) | instskip(NEXT) | instid1(VALU_DEP_2)
	v_mov_b32_e32 v83, v81
	v_dual_mov_b32 v82, v80 :: v_dual_mov_b32 v81, v79
	v_mov_b32_e32 v80, v78
	v_dual_mov_b32 v76, v239 :: v_dual_mov_b32 v77, v240
	s_waitcnt lgkmcnt(18)
	s_delay_alu instid0(VALU_DEP_3)
	v_mul_f64 v[90:91], v[105:106], v[82:83]
	s_waitcnt lgkmcnt(17)
	v_mul_f64 v[92:93], v[111:112], v[82:83]
	v_fma_f64 v[80:81], v[88:89], v[80:81], -v[94:95]
	v_mul_f64 v[88:89], v[107:108], v[82:83]
	v_mul_f64 v[94:95], v[109:110], v[82:83]
	s_waitcnt lgkmcnt(16)
	v_mul_f64 v[96:97], v[115:116], v[82:83]
	v_mul_f64 v[181:182], v[113:114], v[82:83]
	s_waitcnt lgkmcnt(15)
	;; [unrolled: 3-line block ×15, first 2 shown]
	v_mul_f64 v[235:236], v[171:172], v[82:83]
	v_mul_f64 v[237:238], v[169:170], v[82:83]
	v_dual_mov_b32 v78, v241 :: v_dual_mov_b32 v79, v242
	s_waitcnt lgkmcnt(1)
	v_mul_f64 v[239:240], v[175:176], v[82:83]
	v_mul_f64 v[241:242], v[173:174], v[82:83]
	s_waitcnt lgkmcnt(0)
	v_mul_f64 v[243:244], v[179:180], v[82:83]
	v_mul_f64 v[245:246], v[177:178], v[82:83]
	v_fma_f64 v[88:89], v[105:106], v[80:81], -v[88:89]
	v_fma_f64 v[90:91], v[107:108], v[80:81], v[90:91]
	v_fma_f64 v[92:93], v[109:110], v[80:81], -v[92:93]
	v_fma_f64 v[94:95], v[111:112], v[80:81], v[94:95]
	;; [unrolled: 2-line block ×19, first 2 shown]
	v_dual_mov_b32 v242, v79 :: v_dual_mov_b32 v241, v78
	v_dual_mov_b32 v240, v77 :: v_dual_mov_b32 v239, v76
	v_add_f64 v[84:85], v[84:85], -v[92:93]
	v_add_f64 v[86:87], v[86:87], -v[94:95]
	s_delay_alu instid0(VALU_DEP_4)
	v_add_f64 v[241:242], v[241:242], -v[90:91]
	v_add_f64 v[68:69], v[68:69], -v[96:97]
	;; [unrolled: 1-line block ×36, first 2 shown]
	v_mov_b32_e32 v78, v80
	v_dual_mov_b32 v79, v81 :: v_dual_mov_b32 v80, v82
	v_mov_b32_e32 v81, v83
.LBB42_62:
	s_or_b32 exec_lo, exec_lo, s2
	v_lshl_add_u32 v88, v99, 4, v98
	s_barrier
	buffer_gl0_inv
	v_mov_b32_e32 v96, 3
	ds_store_2addr_b64 v88, v[239:240], v[241:242] offset1:1
	s_waitcnt lgkmcnt(0)
	s_barrier
	buffer_gl0_inv
	ds_load_2addr_b64 v[88:91], v98 offset0:6 offset1:7
	s_cmp_lt_i32 s5, 5
	s_mov_b32 s6, 4
	s_cbranch_scc1 .LBB42_65
; %bb.63:
	v_add3_u32 v97, v47, 0, 64
	v_mov_b32_e32 v96, 3
	s_set_inst_prefetch_distance 0x1
	.p2align	6
.LBB42_64:                              ; =>This Inner Loop Header: Depth=1
	ds_load_2addr_b64 v[105:108], v97 offset1:1
	s_waitcnt lgkmcnt(1)
	v_cmp_gt_f64_e32 vcc_lo, 0, v[88:89]
	v_xor_b32_e32 v92, 0x80000000, v89
	v_cmp_gt_f64_e64 s2, 0, v[90:91]
	v_xor_b32_e32 v94, 0x80000000, v91
	v_add_nc_u32_e32 v97, 16, v97
	s_waitcnt lgkmcnt(0)
	v_cmp_gt_f64_e64 s3, 0, v[105:106]
	v_mov_b32_e32 v109, v105
	v_mov_b32_e32 v111, v107
	v_cndmask_b32_e32 v93, v89, v92, vcc_lo
	v_xor_b32_e32 v92, 0x80000000, v106
	v_cndmask_b32_e64 v95, v91, v94, s2
	v_xor_b32_e32 v94, 0x80000000, v108
	s_delay_alu instid0(VALU_DEP_3) | instskip(SKIP_2) | instid1(VALU_DEP_2)
	v_cndmask_b32_e64 v110, v106, v92, s3
	v_cmp_gt_f64_e64 s3, 0, v[107:108]
	v_cndmask_b32_e32 v92, v88, v88, vcc_lo
	v_cndmask_b32_e64 v112, v108, v94, s3
	v_cndmask_b32_e64 v94, v90, v90, s2
	s_delay_alu instid0(VALU_DEP_2) | instskip(NEXT) | instid1(VALU_DEP_2)
	v_add_f64 v[109:110], v[109:110], v[111:112]
	v_add_f64 v[92:93], v[92:93], v[94:95]
	s_delay_alu instid0(VALU_DEP_1) | instskip(SKIP_4) | instid1(SALU_CYCLE_1)
	v_cmp_lt_f64_e32 vcc_lo, v[92:93], v[109:110]
	v_dual_cndmask_b32 v88, v88, v105 :: v_dual_cndmask_b32 v89, v89, v106
	v_dual_cndmask_b32 v91, v91, v108 :: v_dual_cndmask_b32 v90, v90, v107
	v_cndmask_b32_e64 v96, v96, s6, vcc_lo
	s_add_i32 s6, s6, 1
	s_cmp_lg_u32 s5, s6
	s_cbranch_scc1 .LBB42_64
.LBB42_65:
	s_set_inst_prefetch_distance 0x2
	s_waitcnt lgkmcnt(0)
	v_cmp_eq_f64_e32 vcc_lo, 0, v[88:89]
	v_cmp_eq_f64_e64 s2, 0, v[90:91]
	s_delay_alu instid0(VALU_DEP_1) | instskip(NEXT) | instid1(SALU_CYCLE_1)
	s_and_b32 s2, vcc_lo, s2
	s_and_saveexec_b32 s3, s2
	s_delay_alu instid0(SALU_CYCLE_1)
	s_xor_b32 s2, exec_lo, s3
; %bb.66:
	v_cmp_ne_u32_e32 vcc_lo, 0, v46
	v_cndmask_b32_e32 v46, 4, v46, vcc_lo
; %bb.67:
	s_and_not1_saveexec_b32 s3, s2
	s_cbranch_execz .LBB42_73
; %bb.68:
	v_cmp_gt_f64_e32 vcc_lo, 0, v[88:89]
	v_cmp_gt_f64_e64 s2, 0, v[90:91]
	v_xor_b32_e32 v92, 0x80000000, v89
	v_xor_b32_e32 v94, 0x80000000, v91
	s_delay_alu instid0(VALU_DEP_2) | instskip(NEXT) | instid1(VALU_DEP_2)
	v_cndmask_b32_e32 v93, v89, v92, vcc_lo
	v_cndmask_b32_e64 v95, v91, v94, s2
	v_cndmask_b32_e32 v92, v88, v88, vcc_lo
	v_cndmask_b32_e64 v94, v90, v90, s2
	s_mov_b32 s2, exec_lo
	s_delay_alu instid0(VALU_DEP_1)
	v_cmpx_ngt_f64_e32 v[92:93], v[94:95]
	s_xor_b32 s2, exec_lo, s2
	s_cbranch_execz .LBB42_70
; %bb.69:
	v_div_scale_f64 v[92:93], null, v[90:91], v[90:91], v[88:89]
	v_div_scale_f64 v[107:108], vcc_lo, v[88:89], v[90:91], v[88:89]
	s_delay_alu instid0(VALU_DEP_2) | instskip(SKIP_2) | instid1(VALU_DEP_1)
	v_rcp_f64_e32 v[94:95], v[92:93]
	s_waitcnt_depctr 0xfff
	v_fma_f64 v[105:106], -v[92:93], v[94:95], 1.0
	v_fma_f64 v[94:95], v[94:95], v[105:106], v[94:95]
	s_delay_alu instid0(VALU_DEP_1) | instskip(NEXT) | instid1(VALU_DEP_1)
	v_fma_f64 v[105:106], -v[92:93], v[94:95], 1.0
	v_fma_f64 v[94:95], v[94:95], v[105:106], v[94:95]
	s_delay_alu instid0(VALU_DEP_1) | instskip(NEXT) | instid1(VALU_DEP_1)
	v_mul_f64 v[105:106], v[107:108], v[94:95]
	v_fma_f64 v[92:93], -v[92:93], v[105:106], v[107:108]
	s_delay_alu instid0(VALU_DEP_1) | instskip(NEXT) | instid1(VALU_DEP_1)
	v_div_fmas_f64 v[92:93], v[92:93], v[94:95], v[105:106]
	v_div_fixup_f64 v[92:93], v[92:93], v[90:91], v[88:89]
	s_delay_alu instid0(VALU_DEP_1) | instskip(NEXT) | instid1(VALU_DEP_1)
	v_fma_f64 v[88:89], v[88:89], v[92:93], v[90:91]
	v_div_scale_f64 v[90:91], null, v[88:89], v[88:89], 1.0
	s_delay_alu instid0(VALU_DEP_1) | instskip(SKIP_2) | instid1(VALU_DEP_1)
	v_rcp_f64_e32 v[94:95], v[90:91]
	s_waitcnt_depctr 0xfff
	v_fma_f64 v[105:106], -v[90:91], v[94:95], 1.0
	v_fma_f64 v[94:95], v[94:95], v[105:106], v[94:95]
	s_delay_alu instid0(VALU_DEP_1) | instskip(NEXT) | instid1(VALU_DEP_1)
	v_fma_f64 v[105:106], -v[90:91], v[94:95], 1.0
	v_fma_f64 v[94:95], v[94:95], v[105:106], v[94:95]
	v_div_scale_f64 v[105:106], vcc_lo, 1.0, v[88:89], 1.0
	s_delay_alu instid0(VALU_DEP_1) | instskip(NEXT) | instid1(VALU_DEP_1)
	v_mul_f64 v[107:108], v[105:106], v[94:95]
	v_fma_f64 v[90:91], -v[90:91], v[107:108], v[105:106]
	s_delay_alu instid0(VALU_DEP_1) | instskip(NEXT) | instid1(VALU_DEP_1)
	v_div_fmas_f64 v[90:91], v[90:91], v[94:95], v[107:108]
	v_div_fixup_f64 v[90:91], v[90:91], v[88:89], 1.0
	s_delay_alu instid0(VALU_DEP_1)
	v_mul_f64 v[88:89], v[92:93], v[90:91]
	v_xor_b32_e32 v91, 0x80000000, v91
.LBB42_70:
	s_and_not1_saveexec_b32 s2, s2
	s_cbranch_execz .LBB42_72
; %bb.71:
	s_delay_alu instid0(VALU_DEP_1) | instskip(SKIP_1) | instid1(VALU_DEP_2)
	v_div_scale_f64 v[92:93], null, v[88:89], v[88:89], v[90:91]
	v_div_scale_f64 v[107:108], vcc_lo, v[90:91], v[88:89], v[90:91]
	v_rcp_f64_e32 v[94:95], v[92:93]
	s_waitcnt_depctr 0xfff
	v_fma_f64 v[105:106], -v[92:93], v[94:95], 1.0
	s_delay_alu instid0(VALU_DEP_1) | instskip(NEXT) | instid1(VALU_DEP_1)
	v_fma_f64 v[94:95], v[94:95], v[105:106], v[94:95]
	v_fma_f64 v[105:106], -v[92:93], v[94:95], 1.0
	s_delay_alu instid0(VALU_DEP_1) | instskip(NEXT) | instid1(VALU_DEP_1)
	v_fma_f64 v[94:95], v[94:95], v[105:106], v[94:95]
	v_mul_f64 v[105:106], v[107:108], v[94:95]
	s_delay_alu instid0(VALU_DEP_1) | instskip(NEXT) | instid1(VALU_DEP_1)
	v_fma_f64 v[92:93], -v[92:93], v[105:106], v[107:108]
	v_div_fmas_f64 v[92:93], v[92:93], v[94:95], v[105:106]
	s_delay_alu instid0(VALU_DEP_1) | instskip(NEXT) | instid1(VALU_DEP_1)
	v_div_fixup_f64 v[92:93], v[92:93], v[88:89], v[90:91]
	v_fma_f64 v[88:89], v[90:91], v[92:93], v[88:89]
	s_delay_alu instid0(VALU_DEP_1) | instskip(NEXT) | instid1(VALU_DEP_1)
	v_div_scale_f64 v[90:91], null, v[88:89], v[88:89], 1.0
	v_rcp_f64_e32 v[94:95], v[90:91]
	s_waitcnt_depctr 0xfff
	v_fma_f64 v[105:106], -v[90:91], v[94:95], 1.0
	s_delay_alu instid0(VALU_DEP_1) | instskip(NEXT) | instid1(VALU_DEP_1)
	v_fma_f64 v[94:95], v[94:95], v[105:106], v[94:95]
	v_fma_f64 v[105:106], -v[90:91], v[94:95], 1.0
	s_delay_alu instid0(VALU_DEP_1) | instskip(SKIP_1) | instid1(VALU_DEP_1)
	v_fma_f64 v[94:95], v[94:95], v[105:106], v[94:95]
	v_div_scale_f64 v[105:106], vcc_lo, 1.0, v[88:89], 1.0
	v_mul_f64 v[107:108], v[105:106], v[94:95]
	s_delay_alu instid0(VALU_DEP_1) | instskip(NEXT) | instid1(VALU_DEP_1)
	v_fma_f64 v[90:91], -v[90:91], v[107:108], v[105:106]
	v_div_fmas_f64 v[90:91], v[90:91], v[94:95], v[107:108]
	s_delay_alu instid0(VALU_DEP_1) | instskip(NEXT) | instid1(VALU_DEP_1)
	v_div_fixup_f64 v[88:89], v[90:91], v[88:89], 1.0
	v_mul_f64 v[90:91], v[92:93], -v[88:89]
.LBB42_72:
	s_or_b32 exec_lo, exec_lo, s2
.LBB42_73:
	s_delay_alu instid0(SALU_CYCLE_1) | instskip(NEXT) | instid1(SALU_CYCLE_1)
	s_or_b32 exec_lo, exec_lo, s3
	s_mov_b32 s2, exec_lo
	v_cmpx_ne_u32_e64 v99, v96
	s_xor_b32 s2, exec_lo, s2
	s_cbranch_execz .LBB42_79
; %bb.74:
	s_mov_b32 s3, exec_lo
	v_cmpx_eq_u32_e32 3, v99
	s_cbranch_execz .LBB42_78
; %bb.75:
	v_cmp_ne_u32_e32 vcc_lo, 3, v96
	s_xor_b32 s6, s4, -1
	s_delay_alu instid0(SALU_CYCLE_1) | instskip(NEXT) | instid1(SALU_CYCLE_1)
	s_and_b32 s7, s6, vcc_lo
	s_and_saveexec_b32 s6, s7
	s_cbranch_execz .LBB42_77
; %bb.76:
	v_ashrrev_i32_e32 v97, 31, v96
	s_delay_alu instid0(VALU_DEP_1) | instskip(NEXT) | instid1(VALU_DEP_1)
	v_lshlrev_b64 v[92:93], 2, v[96:97]
	v_add_co_u32 v92, vcc_lo, v44, v92
	s_delay_alu instid0(VALU_DEP_2)
	v_add_co_ci_u32_e32 v93, vcc_lo, v45, v93, vcc_lo
	s_clause 0x1
	flat_load_b32 v94, v[92:93]
	flat_load_b32 v95, v[44:45] offset:12
	s_waitcnt vmcnt(1) lgkmcnt(1)
	flat_store_b32 v[44:45], v94 offset:12
	s_waitcnt vmcnt(0) lgkmcnt(1)
	flat_store_b32 v[92:93], v95
.LBB42_77:
	s_or_b32 exec_lo, exec_lo, s6
	v_mov_b32_e32 v99, v96
	v_mov_b32_e32 v255, v96
.LBB42_78:
	s_or_b32 exec_lo, exec_lo, s3
.LBB42_79:
	s_and_not1_saveexec_b32 s2, s2
	s_cbranch_execz .LBB42_81
; %bb.80:
	v_mov_b32_e32 v99, 3
	ds_store_2addr_b64 v98, v[84:85], v[86:87] offset0:8 offset1:9
	ds_store_2addr_b64 v98, v[68:69], v[70:71] offset0:10 offset1:11
	;; [unrolled: 1-line block ×18, first 2 shown]
.LBB42_81:
	s_or_b32 exec_lo, exec_lo, s2
	s_delay_alu instid0(SALU_CYCLE_1)
	s_mov_b32 s2, exec_lo
	s_waitcnt lgkmcnt(0)
	s_waitcnt_vscnt null, 0x0
	s_barrier
	buffer_gl0_inv
	v_cmpx_lt_i32_e32 3, v99
	s_cbranch_execz .LBB42_83
; %bb.82:
	v_mul_f64 v[92:93], v[88:89], v[241:242]
	v_mul_f64 v[94:95], v[90:91], v[241:242]
	ds_load_2addr_b64 v[105:108], v98 offset0:8 offset1:9
	ds_load_2addr_b64 v[109:112], v98 offset0:10 offset1:11
	ds_load_2addr_b64 v[113:116], v98 offset0:12 offset1:13
	ds_load_2addr_b64 v[117:120], v98 offset0:14 offset1:15
	ds_load_2addr_b64 v[121:124], v98 offset0:16 offset1:17
	ds_load_2addr_b64 v[125:128], v98 offset0:18 offset1:19
	ds_load_2addr_b64 v[129:132], v98 offset0:20 offset1:21
	ds_load_2addr_b64 v[133:136], v98 offset0:22 offset1:23
	ds_load_2addr_b64 v[137:140], v98 offset0:24 offset1:25
	ds_load_2addr_b64 v[141:144], v98 offset0:26 offset1:27
	ds_load_2addr_b64 v[145:148], v98 offset0:28 offset1:29
	ds_load_2addr_b64 v[149:152], v98 offset0:30 offset1:31
	ds_load_2addr_b64 v[153:156], v98 offset0:32 offset1:33
	ds_load_2addr_b64 v[157:160], v98 offset0:34 offset1:35
	ds_load_2addr_b64 v[161:164], v98 offset0:36 offset1:37
	ds_load_2addr_b64 v[165:168], v98 offset0:38 offset1:39
	ds_load_2addr_b64 v[169:172], v98 offset0:40 offset1:41
	ds_load_2addr_b64 v[173:176], v98 offset0:42 offset1:43
	v_fma_f64 v[241:242], v[90:91], v[239:240], v[92:93]
	v_fma_f64 v[76:77], v[88:89], v[239:240], -v[94:95]
	s_waitcnt lgkmcnt(17)
	s_delay_alu instid0(VALU_DEP_2)
	v_mul_f64 v[88:89], v[107:108], v[241:242]
	v_mul_f64 v[90:91], v[105:106], v[241:242]
	s_waitcnt lgkmcnt(16)
	v_mul_f64 v[92:93], v[111:112], v[241:242]
	v_mul_f64 v[94:95], v[109:110], v[241:242]
	s_waitcnt lgkmcnt(15)
	;; [unrolled: 3-line block ×17, first 2 shown]
	v_mul_f64 v[235:236], v[175:176], v[241:242]
	v_mul_f64 v[237:238], v[173:174], v[241:242]
	v_dual_mov_b32 v240, v77 :: v_dual_mov_b32 v239, v76
	v_fma_f64 v[88:89], v[105:106], v[76:77], -v[88:89]
	v_fma_f64 v[90:91], v[107:108], v[76:77], v[90:91]
	v_fma_f64 v[92:93], v[109:110], v[76:77], -v[92:93]
	v_fma_f64 v[94:95], v[111:112], v[76:77], v[94:95]
	;; [unrolled: 2-line block ×18, first 2 shown]
	v_add_f64 v[84:85], v[84:85], -v[88:89]
	v_add_f64 v[86:87], v[86:87], -v[90:91]
	;; [unrolled: 1-line block ×36, first 2 shown]
.LBB42_83:
	s_or_b32 exec_lo, exec_lo, s2
	v_lshl_add_u32 v88, v99, 4, v98
	s_barrier
	buffer_gl0_inv
	v_mov_b32_e32 v96, 4
	ds_store_2addr_b64 v88, v[84:85], v[86:87] offset1:1
	s_waitcnt lgkmcnt(0)
	s_barrier
	buffer_gl0_inv
	ds_load_2addr_b64 v[88:91], v98 offset0:8 offset1:9
	s_cmp_lt_i32 s5, 6
	s_cbranch_scc1 .LBB42_86
; %bb.84:
	v_add3_u32 v97, v47, 0, 0x50
	v_mov_b32_e32 v96, 4
	s_mov_b32 s6, 5
	s_set_inst_prefetch_distance 0x1
	.p2align	6
.LBB42_85:                              ; =>This Inner Loop Header: Depth=1
	ds_load_2addr_b64 v[105:108], v97 offset1:1
	s_waitcnt lgkmcnt(1)
	v_cmp_gt_f64_e32 vcc_lo, 0, v[88:89]
	v_xor_b32_e32 v92, 0x80000000, v89
	v_cmp_gt_f64_e64 s2, 0, v[90:91]
	v_xor_b32_e32 v94, 0x80000000, v91
	v_add_nc_u32_e32 v97, 16, v97
	s_waitcnt lgkmcnt(0)
	v_cmp_gt_f64_e64 s3, 0, v[105:106]
	v_mov_b32_e32 v109, v105
	v_mov_b32_e32 v111, v107
	v_cndmask_b32_e32 v93, v89, v92, vcc_lo
	v_xor_b32_e32 v92, 0x80000000, v106
	v_cndmask_b32_e64 v95, v91, v94, s2
	v_xor_b32_e32 v94, 0x80000000, v108
	s_delay_alu instid0(VALU_DEP_3) | instskip(SKIP_2) | instid1(VALU_DEP_2)
	v_cndmask_b32_e64 v110, v106, v92, s3
	v_cmp_gt_f64_e64 s3, 0, v[107:108]
	v_cndmask_b32_e32 v92, v88, v88, vcc_lo
	v_cndmask_b32_e64 v112, v108, v94, s3
	v_cndmask_b32_e64 v94, v90, v90, s2
	s_delay_alu instid0(VALU_DEP_2) | instskip(NEXT) | instid1(VALU_DEP_2)
	v_add_f64 v[109:110], v[109:110], v[111:112]
	v_add_f64 v[92:93], v[92:93], v[94:95]
	s_delay_alu instid0(VALU_DEP_1) | instskip(SKIP_4) | instid1(SALU_CYCLE_1)
	v_cmp_lt_f64_e32 vcc_lo, v[92:93], v[109:110]
	v_dual_cndmask_b32 v88, v88, v105 :: v_dual_cndmask_b32 v89, v89, v106
	v_dual_cndmask_b32 v91, v91, v108 :: v_dual_cndmask_b32 v90, v90, v107
	v_cndmask_b32_e64 v96, v96, s6, vcc_lo
	s_add_i32 s6, s6, 1
	s_cmp_lg_u32 s5, s6
	s_cbranch_scc1 .LBB42_85
.LBB42_86:
	s_set_inst_prefetch_distance 0x2
	s_waitcnt lgkmcnt(0)
	v_cmp_eq_f64_e32 vcc_lo, 0, v[88:89]
	v_cmp_eq_f64_e64 s2, 0, v[90:91]
	s_delay_alu instid0(VALU_DEP_1) | instskip(NEXT) | instid1(SALU_CYCLE_1)
	s_and_b32 s2, vcc_lo, s2
	s_and_saveexec_b32 s3, s2
	s_delay_alu instid0(SALU_CYCLE_1)
	s_xor_b32 s2, exec_lo, s3
; %bb.87:
	v_cmp_ne_u32_e32 vcc_lo, 0, v46
	v_cndmask_b32_e32 v46, 5, v46, vcc_lo
; %bb.88:
	s_and_not1_saveexec_b32 s3, s2
	s_cbranch_execz .LBB42_94
; %bb.89:
	v_cmp_gt_f64_e32 vcc_lo, 0, v[88:89]
	v_cmp_gt_f64_e64 s2, 0, v[90:91]
	v_xor_b32_e32 v92, 0x80000000, v89
	v_xor_b32_e32 v94, 0x80000000, v91
	s_delay_alu instid0(VALU_DEP_2) | instskip(NEXT) | instid1(VALU_DEP_2)
	v_cndmask_b32_e32 v93, v89, v92, vcc_lo
	v_cndmask_b32_e64 v95, v91, v94, s2
	v_cndmask_b32_e32 v92, v88, v88, vcc_lo
	v_cndmask_b32_e64 v94, v90, v90, s2
	s_mov_b32 s2, exec_lo
	s_delay_alu instid0(VALU_DEP_1)
	v_cmpx_ngt_f64_e32 v[92:93], v[94:95]
	s_xor_b32 s2, exec_lo, s2
	s_cbranch_execz .LBB42_91
; %bb.90:
	v_div_scale_f64 v[92:93], null, v[90:91], v[90:91], v[88:89]
	v_div_scale_f64 v[107:108], vcc_lo, v[88:89], v[90:91], v[88:89]
	s_delay_alu instid0(VALU_DEP_2) | instskip(SKIP_2) | instid1(VALU_DEP_1)
	v_rcp_f64_e32 v[94:95], v[92:93]
	s_waitcnt_depctr 0xfff
	v_fma_f64 v[105:106], -v[92:93], v[94:95], 1.0
	v_fma_f64 v[94:95], v[94:95], v[105:106], v[94:95]
	s_delay_alu instid0(VALU_DEP_1) | instskip(NEXT) | instid1(VALU_DEP_1)
	v_fma_f64 v[105:106], -v[92:93], v[94:95], 1.0
	v_fma_f64 v[94:95], v[94:95], v[105:106], v[94:95]
	s_delay_alu instid0(VALU_DEP_1) | instskip(NEXT) | instid1(VALU_DEP_1)
	v_mul_f64 v[105:106], v[107:108], v[94:95]
	v_fma_f64 v[92:93], -v[92:93], v[105:106], v[107:108]
	s_delay_alu instid0(VALU_DEP_1) | instskip(NEXT) | instid1(VALU_DEP_1)
	v_div_fmas_f64 v[92:93], v[92:93], v[94:95], v[105:106]
	v_div_fixup_f64 v[92:93], v[92:93], v[90:91], v[88:89]
	s_delay_alu instid0(VALU_DEP_1) | instskip(NEXT) | instid1(VALU_DEP_1)
	v_fma_f64 v[88:89], v[88:89], v[92:93], v[90:91]
	v_div_scale_f64 v[90:91], null, v[88:89], v[88:89], 1.0
	s_delay_alu instid0(VALU_DEP_1) | instskip(SKIP_2) | instid1(VALU_DEP_1)
	v_rcp_f64_e32 v[94:95], v[90:91]
	s_waitcnt_depctr 0xfff
	v_fma_f64 v[105:106], -v[90:91], v[94:95], 1.0
	v_fma_f64 v[94:95], v[94:95], v[105:106], v[94:95]
	s_delay_alu instid0(VALU_DEP_1) | instskip(NEXT) | instid1(VALU_DEP_1)
	v_fma_f64 v[105:106], -v[90:91], v[94:95], 1.0
	v_fma_f64 v[94:95], v[94:95], v[105:106], v[94:95]
	v_div_scale_f64 v[105:106], vcc_lo, 1.0, v[88:89], 1.0
	s_delay_alu instid0(VALU_DEP_1) | instskip(NEXT) | instid1(VALU_DEP_1)
	v_mul_f64 v[107:108], v[105:106], v[94:95]
	v_fma_f64 v[90:91], -v[90:91], v[107:108], v[105:106]
	s_delay_alu instid0(VALU_DEP_1) | instskip(NEXT) | instid1(VALU_DEP_1)
	v_div_fmas_f64 v[90:91], v[90:91], v[94:95], v[107:108]
	v_div_fixup_f64 v[90:91], v[90:91], v[88:89], 1.0
	s_delay_alu instid0(VALU_DEP_1)
	v_mul_f64 v[88:89], v[92:93], v[90:91]
	v_xor_b32_e32 v91, 0x80000000, v91
.LBB42_91:
	s_and_not1_saveexec_b32 s2, s2
	s_cbranch_execz .LBB42_93
; %bb.92:
	s_delay_alu instid0(VALU_DEP_1) | instskip(SKIP_1) | instid1(VALU_DEP_2)
	v_div_scale_f64 v[92:93], null, v[88:89], v[88:89], v[90:91]
	v_div_scale_f64 v[107:108], vcc_lo, v[90:91], v[88:89], v[90:91]
	v_rcp_f64_e32 v[94:95], v[92:93]
	s_waitcnt_depctr 0xfff
	v_fma_f64 v[105:106], -v[92:93], v[94:95], 1.0
	s_delay_alu instid0(VALU_DEP_1) | instskip(NEXT) | instid1(VALU_DEP_1)
	v_fma_f64 v[94:95], v[94:95], v[105:106], v[94:95]
	v_fma_f64 v[105:106], -v[92:93], v[94:95], 1.0
	s_delay_alu instid0(VALU_DEP_1) | instskip(NEXT) | instid1(VALU_DEP_1)
	v_fma_f64 v[94:95], v[94:95], v[105:106], v[94:95]
	v_mul_f64 v[105:106], v[107:108], v[94:95]
	s_delay_alu instid0(VALU_DEP_1) | instskip(NEXT) | instid1(VALU_DEP_1)
	v_fma_f64 v[92:93], -v[92:93], v[105:106], v[107:108]
	v_div_fmas_f64 v[92:93], v[92:93], v[94:95], v[105:106]
	s_delay_alu instid0(VALU_DEP_1) | instskip(NEXT) | instid1(VALU_DEP_1)
	v_div_fixup_f64 v[92:93], v[92:93], v[88:89], v[90:91]
	v_fma_f64 v[88:89], v[90:91], v[92:93], v[88:89]
	s_delay_alu instid0(VALU_DEP_1) | instskip(NEXT) | instid1(VALU_DEP_1)
	v_div_scale_f64 v[90:91], null, v[88:89], v[88:89], 1.0
	v_rcp_f64_e32 v[94:95], v[90:91]
	s_waitcnt_depctr 0xfff
	v_fma_f64 v[105:106], -v[90:91], v[94:95], 1.0
	s_delay_alu instid0(VALU_DEP_1) | instskip(NEXT) | instid1(VALU_DEP_1)
	v_fma_f64 v[94:95], v[94:95], v[105:106], v[94:95]
	v_fma_f64 v[105:106], -v[90:91], v[94:95], 1.0
	s_delay_alu instid0(VALU_DEP_1) | instskip(SKIP_1) | instid1(VALU_DEP_1)
	v_fma_f64 v[94:95], v[94:95], v[105:106], v[94:95]
	v_div_scale_f64 v[105:106], vcc_lo, 1.0, v[88:89], 1.0
	v_mul_f64 v[107:108], v[105:106], v[94:95]
	s_delay_alu instid0(VALU_DEP_1) | instskip(NEXT) | instid1(VALU_DEP_1)
	v_fma_f64 v[90:91], -v[90:91], v[107:108], v[105:106]
	v_div_fmas_f64 v[90:91], v[90:91], v[94:95], v[107:108]
	s_delay_alu instid0(VALU_DEP_1) | instskip(NEXT) | instid1(VALU_DEP_1)
	v_div_fixup_f64 v[88:89], v[90:91], v[88:89], 1.0
	v_mul_f64 v[90:91], v[92:93], -v[88:89]
.LBB42_93:
	s_or_b32 exec_lo, exec_lo, s2
.LBB42_94:
	s_delay_alu instid0(SALU_CYCLE_1) | instskip(NEXT) | instid1(SALU_CYCLE_1)
	s_or_b32 exec_lo, exec_lo, s3
	s_mov_b32 s2, exec_lo
	v_cmpx_ne_u32_e64 v99, v96
	s_xor_b32 s2, exec_lo, s2
	s_cbranch_execz .LBB42_100
; %bb.95:
	s_mov_b32 s3, exec_lo
	v_cmpx_eq_u32_e32 4, v99
	s_cbranch_execz .LBB42_99
; %bb.96:
	v_cmp_ne_u32_e32 vcc_lo, 4, v96
	s_xor_b32 s6, s4, -1
	s_delay_alu instid0(SALU_CYCLE_1) | instskip(NEXT) | instid1(SALU_CYCLE_1)
	s_and_b32 s7, s6, vcc_lo
	s_and_saveexec_b32 s6, s7
	s_cbranch_execz .LBB42_98
; %bb.97:
	v_ashrrev_i32_e32 v97, 31, v96
	s_delay_alu instid0(VALU_DEP_1) | instskip(NEXT) | instid1(VALU_DEP_1)
	v_lshlrev_b64 v[92:93], 2, v[96:97]
	v_add_co_u32 v92, vcc_lo, v44, v92
	s_delay_alu instid0(VALU_DEP_2)
	v_add_co_ci_u32_e32 v93, vcc_lo, v45, v93, vcc_lo
	s_clause 0x1
	flat_load_b32 v94, v[92:93]
	flat_load_b32 v95, v[44:45] offset:16
	s_waitcnt vmcnt(1) lgkmcnt(1)
	flat_store_b32 v[44:45], v94 offset:16
	s_waitcnt vmcnt(0) lgkmcnt(1)
	flat_store_b32 v[92:93], v95
.LBB42_98:
	s_or_b32 exec_lo, exec_lo, s6
	v_mov_b32_e32 v99, v96
	v_mov_b32_e32 v255, v96
.LBB42_99:
	s_or_b32 exec_lo, exec_lo, s3
.LBB42_100:
	s_and_not1_saveexec_b32 s2, s2
	s_cbranch_execz .LBB42_102
; %bb.101:
	v_mov_b32_e32 v99, 4
	ds_store_2addr_b64 v98, v[68:69], v[70:71] offset0:10 offset1:11
	ds_store_2addr_b64 v98, v[72:73], v[74:75] offset0:12 offset1:13
	;; [unrolled: 1-line block ×17, first 2 shown]
.LBB42_102:
	s_or_b32 exec_lo, exec_lo, s2
	s_delay_alu instid0(SALU_CYCLE_1)
	s_mov_b32 s2, exec_lo
	s_waitcnt lgkmcnt(0)
	s_waitcnt_vscnt null, 0x0
	s_barrier
	buffer_gl0_inv
	v_cmpx_lt_i32_e32 4, v99
	s_cbranch_execz .LBB42_104
; %bb.103:
	v_mul_f64 v[92:93], v[88:89], v[86:87]
	v_mul_f64 v[94:95], v[90:91], v[86:87]
	ds_load_2addr_b64 v[105:108], v98 offset0:10 offset1:11
	ds_load_2addr_b64 v[109:112], v98 offset0:12 offset1:13
	;; [unrolled: 1-line block ×17, first 2 shown]
	v_fma_f64 v[86:87], v[90:91], v[84:85], v[92:93]
	v_fma_f64 v[84:85], v[88:89], v[84:85], -v[94:95]
	s_waitcnt lgkmcnt(16)
	s_delay_alu instid0(VALU_DEP_2)
	v_mul_f64 v[88:89], v[107:108], v[86:87]
	v_mul_f64 v[90:91], v[105:106], v[86:87]
	s_waitcnt lgkmcnt(15)
	v_mul_f64 v[92:93], v[111:112], v[86:87]
	v_mul_f64 v[94:95], v[109:110], v[86:87]
	s_waitcnt lgkmcnt(14)
	;; [unrolled: 3-line block ×16, first 2 shown]
	v_mul_f64 v[227:228], v[171:172], v[86:87]
	v_mul_f64 v[229:230], v[169:170], v[86:87]
	v_fma_f64 v[88:89], v[105:106], v[84:85], -v[88:89]
	v_fma_f64 v[90:91], v[107:108], v[84:85], v[90:91]
	v_fma_f64 v[92:93], v[109:110], v[84:85], -v[92:93]
	v_fma_f64 v[94:95], v[111:112], v[84:85], v[94:95]
	v_fma_f64 v[96:97], v[113:114], v[84:85], -v[96:97]
	v_fma_f64 v[105:106], v[115:116], v[84:85], v[173:174]
	v_fma_f64 v[107:108], v[117:118], v[84:85], -v[175:176]
	v_fma_f64 v[109:110], v[119:120], v[84:85], v[177:178]
	v_fma_f64 v[111:112], v[121:122], v[84:85], -v[179:180]
	v_fma_f64 v[113:114], v[123:124], v[84:85], v[181:182]
	v_fma_f64 v[115:116], v[125:126], v[84:85], -v[183:184]
	v_fma_f64 v[117:118], v[127:128], v[84:85], v[185:186]
	v_fma_f64 v[119:120], v[129:130], v[84:85], -v[187:188]
	v_fma_f64 v[121:122], v[131:132], v[84:85], v[189:190]
	v_fma_f64 v[123:124], v[133:134], v[84:85], -v[191:192]
	v_fma_f64 v[125:126], v[135:136], v[84:85], v[193:194]
	v_fma_f64 v[127:128], v[137:138], v[84:85], -v[195:196]
	v_fma_f64 v[129:130], v[139:140], v[84:85], v[197:198]
	v_fma_f64 v[131:132], v[141:142], v[84:85], -v[199:200]
	v_fma_f64 v[133:134], v[143:144], v[84:85], v[201:202]
	v_fma_f64 v[135:136], v[145:146], v[84:85], -v[203:204]
	v_fma_f64 v[137:138], v[147:148], v[84:85], v[205:206]
	v_fma_f64 v[139:140], v[149:150], v[84:85], -v[207:208]
	v_fma_f64 v[141:142], v[151:152], v[84:85], v[209:210]
	v_fma_f64 v[143:144], v[153:154], v[84:85], -v[211:212]
	v_fma_f64 v[145:146], v[155:156], v[84:85], v[213:214]
	v_fma_f64 v[147:148], v[157:158], v[84:85], -v[215:216]
	v_fma_f64 v[149:150], v[159:160], v[84:85], v[217:218]
	v_fma_f64 v[151:152], v[161:162], v[84:85], -v[219:220]
	v_fma_f64 v[153:154], v[163:164], v[84:85], v[221:222]
	v_fma_f64 v[155:156], v[165:166], v[84:85], -v[223:224]
	v_fma_f64 v[157:158], v[167:168], v[84:85], v[225:226]
	v_fma_f64 v[159:160], v[169:170], v[84:85], -v[227:228]
	v_fma_f64 v[161:162], v[171:172], v[84:85], v[229:230]
	v_add_f64 v[68:69], v[68:69], -v[88:89]
	v_add_f64 v[70:71], v[70:71], -v[90:91]
	;; [unrolled: 1-line block ×34, first 2 shown]
.LBB42_104:
	s_or_b32 exec_lo, exec_lo, s2
	v_lshl_add_u32 v88, v99, 4, v98
	s_barrier
	buffer_gl0_inv
	v_mov_b32_e32 v96, 5
	ds_store_2addr_b64 v88, v[68:69], v[70:71] offset1:1
	s_waitcnt lgkmcnt(0)
	s_barrier
	buffer_gl0_inv
	ds_load_2addr_b64 v[88:91], v98 offset0:10 offset1:11
	s_cmp_lt_i32 s5, 7
	s_cbranch_scc1 .LBB42_107
; %bb.105:
	v_add3_u32 v97, v47, 0, 0x60
	v_mov_b32_e32 v96, 5
	s_mov_b32 s6, 6
	s_set_inst_prefetch_distance 0x1
	.p2align	6
.LBB42_106:                             ; =>This Inner Loop Header: Depth=1
	ds_load_2addr_b64 v[105:108], v97 offset1:1
	s_waitcnt lgkmcnt(1)
	v_cmp_gt_f64_e32 vcc_lo, 0, v[88:89]
	v_xor_b32_e32 v92, 0x80000000, v89
	v_cmp_gt_f64_e64 s2, 0, v[90:91]
	v_xor_b32_e32 v94, 0x80000000, v91
	v_add_nc_u32_e32 v97, 16, v97
	s_waitcnt lgkmcnt(0)
	v_cmp_gt_f64_e64 s3, 0, v[105:106]
	v_mov_b32_e32 v109, v105
	v_mov_b32_e32 v111, v107
	v_cndmask_b32_e32 v93, v89, v92, vcc_lo
	v_xor_b32_e32 v92, 0x80000000, v106
	v_cndmask_b32_e64 v95, v91, v94, s2
	v_xor_b32_e32 v94, 0x80000000, v108
	s_delay_alu instid0(VALU_DEP_3) | instskip(SKIP_2) | instid1(VALU_DEP_2)
	v_cndmask_b32_e64 v110, v106, v92, s3
	v_cmp_gt_f64_e64 s3, 0, v[107:108]
	v_cndmask_b32_e32 v92, v88, v88, vcc_lo
	v_cndmask_b32_e64 v112, v108, v94, s3
	v_cndmask_b32_e64 v94, v90, v90, s2
	s_delay_alu instid0(VALU_DEP_2) | instskip(NEXT) | instid1(VALU_DEP_2)
	v_add_f64 v[109:110], v[109:110], v[111:112]
	v_add_f64 v[92:93], v[92:93], v[94:95]
	s_delay_alu instid0(VALU_DEP_1) | instskip(SKIP_4) | instid1(SALU_CYCLE_1)
	v_cmp_lt_f64_e32 vcc_lo, v[92:93], v[109:110]
	v_dual_cndmask_b32 v88, v88, v105 :: v_dual_cndmask_b32 v89, v89, v106
	v_dual_cndmask_b32 v91, v91, v108 :: v_dual_cndmask_b32 v90, v90, v107
	v_cndmask_b32_e64 v96, v96, s6, vcc_lo
	s_add_i32 s6, s6, 1
	s_cmp_lg_u32 s5, s6
	s_cbranch_scc1 .LBB42_106
.LBB42_107:
	s_set_inst_prefetch_distance 0x2
	s_waitcnt lgkmcnt(0)
	v_cmp_eq_f64_e32 vcc_lo, 0, v[88:89]
	v_cmp_eq_f64_e64 s2, 0, v[90:91]
	s_delay_alu instid0(VALU_DEP_1) | instskip(NEXT) | instid1(SALU_CYCLE_1)
	s_and_b32 s2, vcc_lo, s2
	s_and_saveexec_b32 s3, s2
	s_delay_alu instid0(SALU_CYCLE_1)
	s_xor_b32 s2, exec_lo, s3
; %bb.108:
	v_cmp_ne_u32_e32 vcc_lo, 0, v46
	v_cndmask_b32_e32 v46, 6, v46, vcc_lo
; %bb.109:
	s_and_not1_saveexec_b32 s3, s2
	s_cbranch_execz .LBB42_115
; %bb.110:
	v_cmp_gt_f64_e32 vcc_lo, 0, v[88:89]
	v_cmp_gt_f64_e64 s2, 0, v[90:91]
	v_xor_b32_e32 v92, 0x80000000, v89
	v_xor_b32_e32 v94, 0x80000000, v91
	s_delay_alu instid0(VALU_DEP_2) | instskip(NEXT) | instid1(VALU_DEP_2)
	v_cndmask_b32_e32 v93, v89, v92, vcc_lo
	v_cndmask_b32_e64 v95, v91, v94, s2
	v_cndmask_b32_e32 v92, v88, v88, vcc_lo
	v_cndmask_b32_e64 v94, v90, v90, s2
	s_mov_b32 s2, exec_lo
	s_delay_alu instid0(VALU_DEP_1)
	v_cmpx_ngt_f64_e32 v[92:93], v[94:95]
	s_xor_b32 s2, exec_lo, s2
	s_cbranch_execz .LBB42_112
; %bb.111:
	v_div_scale_f64 v[92:93], null, v[90:91], v[90:91], v[88:89]
	v_div_scale_f64 v[107:108], vcc_lo, v[88:89], v[90:91], v[88:89]
	s_delay_alu instid0(VALU_DEP_2) | instskip(SKIP_2) | instid1(VALU_DEP_1)
	v_rcp_f64_e32 v[94:95], v[92:93]
	s_waitcnt_depctr 0xfff
	v_fma_f64 v[105:106], -v[92:93], v[94:95], 1.0
	v_fma_f64 v[94:95], v[94:95], v[105:106], v[94:95]
	s_delay_alu instid0(VALU_DEP_1) | instskip(NEXT) | instid1(VALU_DEP_1)
	v_fma_f64 v[105:106], -v[92:93], v[94:95], 1.0
	v_fma_f64 v[94:95], v[94:95], v[105:106], v[94:95]
	s_delay_alu instid0(VALU_DEP_1) | instskip(NEXT) | instid1(VALU_DEP_1)
	v_mul_f64 v[105:106], v[107:108], v[94:95]
	v_fma_f64 v[92:93], -v[92:93], v[105:106], v[107:108]
	s_delay_alu instid0(VALU_DEP_1) | instskip(NEXT) | instid1(VALU_DEP_1)
	v_div_fmas_f64 v[92:93], v[92:93], v[94:95], v[105:106]
	v_div_fixup_f64 v[92:93], v[92:93], v[90:91], v[88:89]
	s_delay_alu instid0(VALU_DEP_1) | instskip(NEXT) | instid1(VALU_DEP_1)
	v_fma_f64 v[88:89], v[88:89], v[92:93], v[90:91]
	v_div_scale_f64 v[90:91], null, v[88:89], v[88:89], 1.0
	s_delay_alu instid0(VALU_DEP_1) | instskip(SKIP_2) | instid1(VALU_DEP_1)
	v_rcp_f64_e32 v[94:95], v[90:91]
	s_waitcnt_depctr 0xfff
	v_fma_f64 v[105:106], -v[90:91], v[94:95], 1.0
	v_fma_f64 v[94:95], v[94:95], v[105:106], v[94:95]
	s_delay_alu instid0(VALU_DEP_1) | instskip(NEXT) | instid1(VALU_DEP_1)
	v_fma_f64 v[105:106], -v[90:91], v[94:95], 1.0
	v_fma_f64 v[94:95], v[94:95], v[105:106], v[94:95]
	v_div_scale_f64 v[105:106], vcc_lo, 1.0, v[88:89], 1.0
	s_delay_alu instid0(VALU_DEP_1) | instskip(NEXT) | instid1(VALU_DEP_1)
	v_mul_f64 v[107:108], v[105:106], v[94:95]
	v_fma_f64 v[90:91], -v[90:91], v[107:108], v[105:106]
	s_delay_alu instid0(VALU_DEP_1) | instskip(NEXT) | instid1(VALU_DEP_1)
	v_div_fmas_f64 v[90:91], v[90:91], v[94:95], v[107:108]
	v_div_fixup_f64 v[90:91], v[90:91], v[88:89], 1.0
	s_delay_alu instid0(VALU_DEP_1)
	v_mul_f64 v[88:89], v[92:93], v[90:91]
	v_xor_b32_e32 v91, 0x80000000, v91
.LBB42_112:
	s_and_not1_saveexec_b32 s2, s2
	s_cbranch_execz .LBB42_114
; %bb.113:
	s_delay_alu instid0(VALU_DEP_1) | instskip(SKIP_1) | instid1(VALU_DEP_2)
	v_div_scale_f64 v[92:93], null, v[88:89], v[88:89], v[90:91]
	v_div_scale_f64 v[107:108], vcc_lo, v[90:91], v[88:89], v[90:91]
	v_rcp_f64_e32 v[94:95], v[92:93]
	s_waitcnt_depctr 0xfff
	v_fma_f64 v[105:106], -v[92:93], v[94:95], 1.0
	s_delay_alu instid0(VALU_DEP_1) | instskip(NEXT) | instid1(VALU_DEP_1)
	v_fma_f64 v[94:95], v[94:95], v[105:106], v[94:95]
	v_fma_f64 v[105:106], -v[92:93], v[94:95], 1.0
	s_delay_alu instid0(VALU_DEP_1) | instskip(NEXT) | instid1(VALU_DEP_1)
	v_fma_f64 v[94:95], v[94:95], v[105:106], v[94:95]
	v_mul_f64 v[105:106], v[107:108], v[94:95]
	s_delay_alu instid0(VALU_DEP_1) | instskip(NEXT) | instid1(VALU_DEP_1)
	v_fma_f64 v[92:93], -v[92:93], v[105:106], v[107:108]
	v_div_fmas_f64 v[92:93], v[92:93], v[94:95], v[105:106]
	s_delay_alu instid0(VALU_DEP_1) | instskip(NEXT) | instid1(VALU_DEP_1)
	v_div_fixup_f64 v[92:93], v[92:93], v[88:89], v[90:91]
	v_fma_f64 v[88:89], v[90:91], v[92:93], v[88:89]
	s_delay_alu instid0(VALU_DEP_1) | instskip(NEXT) | instid1(VALU_DEP_1)
	v_div_scale_f64 v[90:91], null, v[88:89], v[88:89], 1.0
	v_rcp_f64_e32 v[94:95], v[90:91]
	s_waitcnt_depctr 0xfff
	v_fma_f64 v[105:106], -v[90:91], v[94:95], 1.0
	s_delay_alu instid0(VALU_DEP_1) | instskip(NEXT) | instid1(VALU_DEP_1)
	v_fma_f64 v[94:95], v[94:95], v[105:106], v[94:95]
	v_fma_f64 v[105:106], -v[90:91], v[94:95], 1.0
	s_delay_alu instid0(VALU_DEP_1) | instskip(SKIP_1) | instid1(VALU_DEP_1)
	v_fma_f64 v[94:95], v[94:95], v[105:106], v[94:95]
	v_div_scale_f64 v[105:106], vcc_lo, 1.0, v[88:89], 1.0
	v_mul_f64 v[107:108], v[105:106], v[94:95]
	s_delay_alu instid0(VALU_DEP_1) | instskip(NEXT) | instid1(VALU_DEP_1)
	v_fma_f64 v[90:91], -v[90:91], v[107:108], v[105:106]
	v_div_fmas_f64 v[90:91], v[90:91], v[94:95], v[107:108]
	s_delay_alu instid0(VALU_DEP_1) | instskip(NEXT) | instid1(VALU_DEP_1)
	v_div_fixup_f64 v[88:89], v[90:91], v[88:89], 1.0
	v_mul_f64 v[90:91], v[92:93], -v[88:89]
.LBB42_114:
	s_or_b32 exec_lo, exec_lo, s2
.LBB42_115:
	s_delay_alu instid0(SALU_CYCLE_1) | instskip(NEXT) | instid1(SALU_CYCLE_1)
	s_or_b32 exec_lo, exec_lo, s3
	s_mov_b32 s2, exec_lo
	v_cmpx_ne_u32_e64 v99, v96
	s_xor_b32 s2, exec_lo, s2
	s_cbranch_execz .LBB42_121
; %bb.116:
	s_mov_b32 s3, exec_lo
	v_cmpx_eq_u32_e32 5, v99
	s_cbranch_execz .LBB42_120
; %bb.117:
	v_cmp_ne_u32_e32 vcc_lo, 5, v96
	s_xor_b32 s6, s4, -1
	s_delay_alu instid0(SALU_CYCLE_1) | instskip(NEXT) | instid1(SALU_CYCLE_1)
	s_and_b32 s7, s6, vcc_lo
	s_and_saveexec_b32 s6, s7
	s_cbranch_execz .LBB42_119
; %bb.118:
	v_ashrrev_i32_e32 v97, 31, v96
	s_delay_alu instid0(VALU_DEP_1) | instskip(NEXT) | instid1(VALU_DEP_1)
	v_lshlrev_b64 v[92:93], 2, v[96:97]
	v_add_co_u32 v92, vcc_lo, v44, v92
	s_delay_alu instid0(VALU_DEP_2)
	v_add_co_ci_u32_e32 v93, vcc_lo, v45, v93, vcc_lo
	s_clause 0x1
	flat_load_b32 v94, v[92:93]
	flat_load_b32 v95, v[44:45] offset:20
	s_waitcnt vmcnt(1) lgkmcnt(1)
	flat_store_b32 v[44:45], v94 offset:20
	s_waitcnt vmcnt(0) lgkmcnt(1)
	flat_store_b32 v[92:93], v95
.LBB42_119:
	s_or_b32 exec_lo, exec_lo, s6
	v_mov_b32_e32 v99, v96
	v_mov_b32_e32 v255, v96
.LBB42_120:
	s_or_b32 exec_lo, exec_lo, s3
.LBB42_121:
	s_and_not1_saveexec_b32 s2, s2
	s_cbranch_execz .LBB42_123
; %bb.122:
	v_mov_b32_e32 v99, 5
	ds_store_2addr_b64 v98, v[72:73], v[74:75] offset0:12 offset1:13
	ds_store_2addr_b64 v98, v[56:57], v[58:59] offset0:14 offset1:15
	;; [unrolled: 1-line block ×16, first 2 shown]
.LBB42_123:
	s_or_b32 exec_lo, exec_lo, s2
	s_delay_alu instid0(SALU_CYCLE_1)
	s_mov_b32 s2, exec_lo
	s_waitcnt lgkmcnt(0)
	s_waitcnt_vscnt null, 0x0
	s_barrier
	buffer_gl0_inv
	v_cmpx_lt_i32_e32 5, v99
	s_cbranch_execz .LBB42_125
; %bb.124:
	v_mul_f64 v[92:93], v[88:89], v[70:71]
	v_mul_f64 v[70:71], v[90:91], v[70:71]
	ds_load_2addr_b64 v[105:108], v98 offset0:12 offset1:13
	ds_load_2addr_b64 v[109:112], v98 offset0:14 offset1:15
	;; [unrolled: 1-line block ×16, first 2 shown]
	v_fma_f64 v[90:91], v[90:91], v[68:69], v[92:93]
	v_fma_f64 v[68:69], v[88:89], v[68:69], -v[70:71]
	s_waitcnt lgkmcnt(15)
	s_delay_alu instid0(VALU_DEP_2)
	v_mul_f64 v[70:71], v[107:108], v[90:91]
	v_mul_f64 v[88:89], v[105:106], v[90:91]
	s_waitcnt lgkmcnt(14)
	v_mul_f64 v[92:93], v[111:112], v[90:91]
	v_mul_f64 v[94:95], v[109:110], v[90:91]
	s_waitcnt lgkmcnt(13)
	;; [unrolled: 3-line block ×15, first 2 shown]
	v_mul_f64 v[219:220], v[167:168], v[90:91]
	v_mul_f64 v[221:222], v[165:166], v[90:91]
	v_fma_f64 v[70:71], v[105:106], v[68:69], -v[70:71]
	v_fma_f64 v[88:89], v[107:108], v[68:69], v[88:89]
	v_fma_f64 v[92:93], v[109:110], v[68:69], -v[92:93]
	v_fma_f64 v[94:95], v[111:112], v[68:69], v[94:95]
	v_fma_f64 v[96:97], v[113:114], v[68:69], -v[96:97]
	v_fma_f64 v[105:106], v[115:116], v[68:69], v[169:170]
	v_fma_f64 v[107:108], v[117:118], v[68:69], -v[171:172]
	v_fma_f64 v[109:110], v[119:120], v[68:69], v[173:174]
	v_fma_f64 v[111:112], v[121:122], v[68:69], -v[175:176]
	v_fma_f64 v[113:114], v[123:124], v[68:69], v[177:178]
	v_fma_f64 v[115:116], v[125:126], v[68:69], -v[179:180]
	v_fma_f64 v[117:118], v[127:128], v[68:69], v[181:182]
	v_fma_f64 v[119:120], v[129:130], v[68:69], -v[183:184]
	v_fma_f64 v[121:122], v[131:132], v[68:69], v[185:186]
	v_fma_f64 v[123:124], v[133:134], v[68:69], -v[187:188]
	v_fma_f64 v[125:126], v[135:136], v[68:69], v[189:190]
	v_fma_f64 v[127:128], v[137:138], v[68:69], -v[191:192]
	v_fma_f64 v[129:130], v[139:140], v[68:69], v[193:194]
	v_fma_f64 v[131:132], v[141:142], v[68:69], -v[195:196]
	v_fma_f64 v[133:134], v[143:144], v[68:69], v[197:198]
	v_fma_f64 v[135:136], v[145:146], v[68:69], -v[199:200]
	v_fma_f64 v[137:138], v[147:148], v[68:69], v[201:202]
	v_fma_f64 v[139:140], v[149:150], v[68:69], -v[203:204]
	v_fma_f64 v[141:142], v[151:152], v[68:69], v[205:206]
	v_fma_f64 v[143:144], v[153:154], v[68:69], -v[207:208]
	v_fma_f64 v[145:146], v[155:156], v[68:69], v[209:210]
	v_fma_f64 v[147:148], v[157:158], v[68:69], -v[211:212]
	v_fma_f64 v[149:150], v[159:160], v[68:69], v[213:214]
	v_fma_f64 v[151:152], v[161:162], v[68:69], -v[215:216]
	v_fma_f64 v[153:154], v[163:164], v[68:69], v[217:218]
	v_fma_f64 v[155:156], v[165:166], v[68:69], -v[219:220]
	v_fma_f64 v[157:158], v[167:168], v[68:69], v[221:222]
	v_add_f64 v[72:73], v[72:73], -v[70:71]
	v_add_f64 v[74:75], v[74:75], -v[88:89]
	;; [unrolled: 1-line block ×32, first 2 shown]
	v_dual_mov_b32 v70, v90 :: v_dual_mov_b32 v71, v91
.LBB42_125:
	s_or_b32 exec_lo, exec_lo, s2
	v_lshl_add_u32 v88, v99, 4, v98
	s_barrier
	buffer_gl0_inv
	v_mov_b32_e32 v96, 6
	ds_store_2addr_b64 v88, v[72:73], v[74:75] offset1:1
	s_waitcnt lgkmcnt(0)
	s_barrier
	buffer_gl0_inv
	ds_load_2addr_b64 v[88:91], v98 offset0:12 offset1:13
	s_cmp_lt_i32 s5, 8
	s_cbranch_scc1 .LBB42_128
; %bb.126:
	v_add3_u32 v97, v47, 0, 0x70
	v_mov_b32_e32 v96, 6
	s_mov_b32 s6, 7
	s_set_inst_prefetch_distance 0x1
	.p2align	6
.LBB42_127:                             ; =>This Inner Loop Header: Depth=1
	ds_load_2addr_b64 v[105:108], v97 offset1:1
	s_waitcnt lgkmcnt(1)
	v_cmp_gt_f64_e32 vcc_lo, 0, v[88:89]
	v_xor_b32_e32 v92, 0x80000000, v89
	v_cmp_gt_f64_e64 s2, 0, v[90:91]
	v_xor_b32_e32 v94, 0x80000000, v91
	v_add_nc_u32_e32 v97, 16, v97
	s_waitcnt lgkmcnt(0)
	v_cmp_gt_f64_e64 s3, 0, v[105:106]
	v_mov_b32_e32 v109, v105
	v_mov_b32_e32 v111, v107
	v_cndmask_b32_e32 v93, v89, v92, vcc_lo
	v_xor_b32_e32 v92, 0x80000000, v106
	v_cndmask_b32_e64 v95, v91, v94, s2
	v_xor_b32_e32 v94, 0x80000000, v108
	s_delay_alu instid0(VALU_DEP_3) | instskip(SKIP_2) | instid1(VALU_DEP_2)
	v_cndmask_b32_e64 v110, v106, v92, s3
	v_cmp_gt_f64_e64 s3, 0, v[107:108]
	v_cndmask_b32_e32 v92, v88, v88, vcc_lo
	v_cndmask_b32_e64 v112, v108, v94, s3
	v_cndmask_b32_e64 v94, v90, v90, s2
	s_delay_alu instid0(VALU_DEP_2) | instskip(NEXT) | instid1(VALU_DEP_2)
	v_add_f64 v[109:110], v[109:110], v[111:112]
	v_add_f64 v[92:93], v[92:93], v[94:95]
	s_delay_alu instid0(VALU_DEP_1) | instskip(SKIP_4) | instid1(SALU_CYCLE_1)
	v_cmp_lt_f64_e32 vcc_lo, v[92:93], v[109:110]
	v_dual_cndmask_b32 v88, v88, v105 :: v_dual_cndmask_b32 v89, v89, v106
	v_dual_cndmask_b32 v91, v91, v108 :: v_dual_cndmask_b32 v90, v90, v107
	v_cndmask_b32_e64 v96, v96, s6, vcc_lo
	s_add_i32 s6, s6, 1
	s_cmp_lg_u32 s5, s6
	s_cbranch_scc1 .LBB42_127
.LBB42_128:
	s_set_inst_prefetch_distance 0x2
	s_waitcnt lgkmcnt(0)
	v_cmp_eq_f64_e32 vcc_lo, 0, v[88:89]
	v_cmp_eq_f64_e64 s2, 0, v[90:91]
	s_delay_alu instid0(VALU_DEP_1) | instskip(NEXT) | instid1(SALU_CYCLE_1)
	s_and_b32 s2, vcc_lo, s2
	s_and_saveexec_b32 s3, s2
	s_delay_alu instid0(SALU_CYCLE_1)
	s_xor_b32 s2, exec_lo, s3
; %bb.129:
	v_cmp_ne_u32_e32 vcc_lo, 0, v46
	v_cndmask_b32_e32 v46, 7, v46, vcc_lo
; %bb.130:
	s_and_not1_saveexec_b32 s3, s2
	s_cbranch_execz .LBB42_136
; %bb.131:
	v_cmp_gt_f64_e32 vcc_lo, 0, v[88:89]
	v_cmp_gt_f64_e64 s2, 0, v[90:91]
	v_xor_b32_e32 v92, 0x80000000, v89
	v_xor_b32_e32 v94, 0x80000000, v91
	s_delay_alu instid0(VALU_DEP_2) | instskip(NEXT) | instid1(VALU_DEP_2)
	v_cndmask_b32_e32 v93, v89, v92, vcc_lo
	v_cndmask_b32_e64 v95, v91, v94, s2
	v_cndmask_b32_e32 v92, v88, v88, vcc_lo
	v_cndmask_b32_e64 v94, v90, v90, s2
	s_mov_b32 s2, exec_lo
	s_delay_alu instid0(VALU_DEP_1)
	v_cmpx_ngt_f64_e32 v[92:93], v[94:95]
	s_xor_b32 s2, exec_lo, s2
	s_cbranch_execz .LBB42_133
; %bb.132:
	v_div_scale_f64 v[92:93], null, v[90:91], v[90:91], v[88:89]
	v_div_scale_f64 v[107:108], vcc_lo, v[88:89], v[90:91], v[88:89]
	s_delay_alu instid0(VALU_DEP_2) | instskip(SKIP_2) | instid1(VALU_DEP_1)
	v_rcp_f64_e32 v[94:95], v[92:93]
	s_waitcnt_depctr 0xfff
	v_fma_f64 v[105:106], -v[92:93], v[94:95], 1.0
	v_fma_f64 v[94:95], v[94:95], v[105:106], v[94:95]
	s_delay_alu instid0(VALU_DEP_1) | instskip(NEXT) | instid1(VALU_DEP_1)
	v_fma_f64 v[105:106], -v[92:93], v[94:95], 1.0
	v_fma_f64 v[94:95], v[94:95], v[105:106], v[94:95]
	s_delay_alu instid0(VALU_DEP_1) | instskip(NEXT) | instid1(VALU_DEP_1)
	v_mul_f64 v[105:106], v[107:108], v[94:95]
	v_fma_f64 v[92:93], -v[92:93], v[105:106], v[107:108]
	s_delay_alu instid0(VALU_DEP_1) | instskip(NEXT) | instid1(VALU_DEP_1)
	v_div_fmas_f64 v[92:93], v[92:93], v[94:95], v[105:106]
	v_div_fixup_f64 v[92:93], v[92:93], v[90:91], v[88:89]
	s_delay_alu instid0(VALU_DEP_1) | instskip(NEXT) | instid1(VALU_DEP_1)
	v_fma_f64 v[88:89], v[88:89], v[92:93], v[90:91]
	v_div_scale_f64 v[90:91], null, v[88:89], v[88:89], 1.0
	s_delay_alu instid0(VALU_DEP_1) | instskip(SKIP_2) | instid1(VALU_DEP_1)
	v_rcp_f64_e32 v[94:95], v[90:91]
	s_waitcnt_depctr 0xfff
	v_fma_f64 v[105:106], -v[90:91], v[94:95], 1.0
	v_fma_f64 v[94:95], v[94:95], v[105:106], v[94:95]
	s_delay_alu instid0(VALU_DEP_1) | instskip(NEXT) | instid1(VALU_DEP_1)
	v_fma_f64 v[105:106], -v[90:91], v[94:95], 1.0
	v_fma_f64 v[94:95], v[94:95], v[105:106], v[94:95]
	v_div_scale_f64 v[105:106], vcc_lo, 1.0, v[88:89], 1.0
	s_delay_alu instid0(VALU_DEP_1) | instskip(NEXT) | instid1(VALU_DEP_1)
	v_mul_f64 v[107:108], v[105:106], v[94:95]
	v_fma_f64 v[90:91], -v[90:91], v[107:108], v[105:106]
	s_delay_alu instid0(VALU_DEP_1) | instskip(NEXT) | instid1(VALU_DEP_1)
	v_div_fmas_f64 v[90:91], v[90:91], v[94:95], v[107:108]
	v_div_fixup_f64 v[90:91], v[90:91], v[88:89], 1.0
	s_delay_alu instid0(VALU_DEP_1)
	v_mul_f64 v[88:89], v[92:93], v[90:91]
	v_xor_b32_e32 v91, 0x80000000, v91
.LBB42_133:
	s_and_not1_saveexec_b32 s2, s2
	s_cbranch_execz .LBB42_135
; %bb.134:
	s_delay_alu instid0(VALU_DEP_1) | instskip(SKIP_1) | instid1(VALU_DEP_2)
	v_div_scale_f64 v[92:93], null, v[88:89], v[88:89], v[90:91]
	v_div_scale_f64 v[107:108], vcc_lo, v[90:91], v[88:89], v[90:91]
	v_rcp_f64_e32 v[94:95], v[92:93]
	s_waitcnt_depctr 0xfff
	v_fma_f64 v[105:106], -v[92:93], v[94:95], 1.0
	s_delay_alu instid0(VALU_DEP_1) | instskip(NEXT) | instid1(VALU_DEP_1)
	v_fma_f64 v[94:95], v[94:95], v[105:106], v[94:95]
	v_fma_f64 v[105:106], -v[92:93], v[94:95], 1.0
	s_delay_alu instid0(VALU_DEP_1) | instskip(NEXT) | instid1(VALU_DEP_1)
	v_fma_f64 v[94:95], v[94:95], v[105:106], v[94:95]
	v_mul_f64 v[105:106], v[107:108], v[94:95]
	s_delay_alu instid0(VALU_DEP_1) | instskip(NEXT) | instid1(VALU_DEP_1)
	v_fma_f64 v[92:93], -v[92:93], v[105:106], v[107:108]
	v_div_fmas_f64 v[92:93], v[92:93], v[94:95], v[105:106]
	s_delay_alu instid0(VALU_DEP_1) | instskip(NEXT) | instid1(VALU_DEP_1)
	v_div_fixup_f64 v[92:93], v[92:93], v[88:89], v[90:91]
	v_fma_f64 v[88:89], v[90:91], v[92:93], v[88:89]
	s_delay_alu instid0(VALU_DEP_1) | instskip(NEXT) | instid1(VALU_DEP_1)
	v_div_scale_f64 v[90:91], null, v[88:89], v[88:89], 1.0
	v_rcp_f64_e32 v[94:95], v[90:91]
	s_waitcnt_depctr 0xfff
	v_fma_f64 v[105:106], -v[90:91], v[94:95], 1.0
	s_delay_alu instid0(VALU_DEP_1) | instskip(NEXT) | instid1(VALU_DEP_1)
	v_fma_f64 v[94:95], v[94:95], v[105:106], v[94:95]
	v_fma_f64 v[105:106], -v[90:91], v[94:95], 1.0
	s_delay_alu instid0(VALU_DEP_1) | instskip(SKIP_1) | instid1(VALU_DEP_1)
	v_fma_f64 v[94:95], v[94:95], v[105:106], v[94:95]
	v_div_scale_f64 v[105:106], vcc_lo, 1.0, v[88:89], 1.0
	v_mul_f64 v[107:108], v[105:106], v[94:95]
	s_delay_alu instid0(VALU_DEP_1) | instskip(NEXT) | instid1(VALU_DEP_1)
	v_fma_f64 v[90:91], -v[90:91], v[107:108], v[105:106]
	v_div_fmas_f64 v[90:91], v[90:91], v[94:95], v[107:108]
	s_delay_alu instid0(VALU_DEP_1) | instskip(NEXT) | instid1(VALU_DEP_1)
	v_div_fixup_f64 v[88:89], v[90:91], v[88:89], 1.0
	v_mul_f64 v[90:91], v[92:93], -v[88:89]
.LBB42_135:
	s_or_b32 exec_lo, exec_lo, s2
.LBB42_136:
	s_delay_alu instid0(SALU_CYCLE_1) | instskip(NEXT) | instid1(SALU_CYCLE_1)
	s_or_b32 exec_lo, exec_lo, s3
	s_mov_b32 s2, exec_lo
	v_cmpx_ne_u32_e64 v99, v96
	s_xor_b32 s2, exec_lo, s2
	s_cbranch_execz .LBB42_142
; %bb.137:
	s_mov_b32 s3, exec_lo
	v_cmpx_eq_u32_e32 6, v99
	s_cbranch_execz .LBB42_141
; %bb.138:
	v_cmp_ne_u32_e32 vcc_lo, 6, v96
	s_xor_b32 s6, s4, -1
	s_delay_alu instid0(SALU_CYCLE_1) | instskip(NEXT) | instid1(SALU_CYCLE_1)
	s_and_b32 s7, s6, vcc_lo
	s_and_saveexec_b32 s6, s7
	s_cbranch_execz .LBB42_140
; %bb.139:
	v_ashrrev_i32_e32 v97, 31, v96
	s_delay_alu instid0(VALU_DEP_1) | instskip(NEXT) | instid1(VALU_DEP_1)
	v_lshlrev_b64 v[92:93], 2, v[96:97]
	v_add_co_u32 v92, vcc_lo, v44, v92
	s_delay_alu instid0(VALU_DEP_2)
	v_add_co_ci_u32_e32 v93, vcc_lo, v45, v93, vcc_lo
	s_clause 0x1
	flat_load_b32 v94, v[92:93]
	flat_load_b32 v95, v[44:45] offset:24
	s_waitcnt vmcnt(1) lgkmcnt(1)
	flat_store_b32 v[44:45], v94 offset:24
	s_waitcnt vmcnt(0) lgkmcnt(1)
	flat_store_b32 v[92:93], v95
.LBB42_140:
	s_or_b32 exec_lo, exec_lo, s6
	v_mov_b32_e32 v99, v96
	v_mov_b32_e32 v255, v96
.LBB42_141:
	s_or_b32 exec_lo, exec_lo, s3
.LBB42_142:
	s_and_not1_saveexec_b32 s2, s2
	s_cbranch_execz .LBB42_144
; %bb.143:
	v_mov_b32_e32 v99, 6
	ds_store_2addr_b64 v98, v[56:57], v[58:59] offset0:14 offset1:15
	ds_store_2addr_b64 v98, v[64:65], v[66:67] offset0:16 offset1:17
	ds_store_2addr_b64 v98, v[60:61], v[62:63] offset0:18 offset1:19
	ds_store_2addr_b64 v98, v[52:53], v[54:55] offset0:20 offset1:21
	ds_store_2addr_b64 v98, v[48:49], v[50:51] offset0:22 offset1:23
	ds_store_2addr_b64 v98, v[32:33], v[34:35] offset0:24 offset1:25
	ds_store_2addr_b64 v98, v[28:29], v[30:31] offset0:26 offset1:27
	ds_store_2addr_b64 v98, v[40:41], v[42:43] offset0:28 offset1:29
	ds_store_2addr_b64 v98, v[20:21], v[22:23] offset0:30 offset1:31
	ds_store_2addr_b64 v98, v[24:25], v[26:27] offset0:32 offset1:33
	ds_store_2addr_b64 v98, v[12:13], v[14:15] offset0:34 offset1:35
	ds_store_2addr_b64 v98, v[8:9], v[10:11] offset0:36 offset1:37
	ds_store_2addr_b64 v98, v[4:5], v[6:7] offset0:38 offset1:39
	ds_store_2addr_b64 v98, v[16:17], v[18:19] offset0:40 offset1:41
	ds_store_2addr_b64 v98, v[0:1], v[2:3] offset0:42 offset1:43
.LBB42_144:
	s_or_b32 exec_lo, exec_lo, s2
	s_delay_alu instid0(SALU_CYCLE_1)
	s_mov_b32 s2, exec_lo
	s_waitcnt lgkmcnt(0)
	s_waitcnt_vscnt null, 0x0
	s_barrier
	buffer_gl0_inv
	v_cmpx_lt_i32_e32 6, v99
	s_cbranch_execz .LBB42_146
; %bb.145:
	v_mul_f64 v[92:93], v[88:89], v[74:75]
	v_mul_f64 v[74:75], v[90:91], v[74:75]
	ds_load_2addr_b64 v[105:108], v98 offset0:14 offset1:15
	ds_load_2addr_b64 v[109:112], v98 offset0:16 offset1:17
	;; [unrolled: 1-line block ×15, first 2 shown]
	v_fma_f64 v[90:91], v[90:91], v[72:73], v[92:93]
	v_fma_f64 v[72:73], v[88:89], v[72:73], -v[74:75]
	s_waitcnt lgkmcnt(14)
	s_delay_alu instid0(VALU_DEP_2)
	v_mul_f64 v[74:75], v[107:108], v[90:91]
	v_mul_f64 v[88:89], v[105:106], v[90:91]
	s_waitcnt lgkmcnt(13)
	v_mul_f64 v[92:93], v[111:112], v[90:91]
	v_mul_f64 v[94:95], v[109:110], v[90:91]
	s_waitcnt lgkmcnt(12)
	v_mul_f64 v[96:97], v[115:116], v[90:91]
	v_mul_f64 v[165:166], v[113:114], v[90:91]
	s_waitcnt lgkmcnt(11)
	v_mul_f64 v[167:168], v[119:120], v[90:91]
	v_mul_f64 v[169:170], v[117:118], v[90:91]
	s_waitcnt lgkmcnt(10)
	v_mul_f64 v[171:172], v[123:124], v[90:91]
	v_mul_f64 v[173:174], v[121:122], v[90:91]
	s_waitcnt lgkmcnt(9)
	v_mul_f64 v[175:176], v[127:128], v[90:91]
	v_mul_f64 v[177:178], v[125:126], v[90:91]
	s_waitcnt lgkmcnt(8)
	v_mul_f64 v[179:180], v[131:132], v[90:91]
	v_mul_f64 v[181:182], v[129:130], v[90:91]
	s_waitcnt lgkmcnt(7)
	v_mul_f64 v[183:184], v[135:136], v[90:91]
	v_mul_f64 v[185:186], v[133:134], v[90:91]
	s_waitcnt lgkmcnt(6)
	v_mul_f64 v[187:188], v[139:140], v[90:91]
	v_mul_f64 v[189:190], v[137:138], v[90:91]
	s_waitcnt lgkmcnt(5)
	v_mul_f64 v[191:192], v[143:144], v[90:91]
	v_mul_f64 v[193:194], v[141:142], v[90:91]
	s_waitcnt lgkmcnt(4)
	v_mul_f64 v[195:196], v[147:148], v[90:91]
	v_mul_f64 v[197:198], v[145:146], v[90:91]
	s_waitcnt lgkmcnt(3)
	v_mul_f64 v[199:200], v[151:152], v[90:91]
	v_mul_f64 v[201:202], v[149:150], v[90:91]
	s_waitcnt lgkmcnt(2)
	v_mul_f64 v[203:204], v[155:156], v[90:91]
	v_mul_f64 v[205:206], v[153:154], v[90:91]
	s_waitcnt lgkmcnt(1)
	v_mul_f64 v[207:208], v[159:160], v[90:91]
	v_mul_f64 v[209:210], v[157:158], v[90:91]
	s_waitcnt lgkmcnt(0)
	v_mul_f64 v[211:212], v[163:164], v[90:91]
	v_mul_f64 v[213:214], v[161:162], v[90:91]
	v_fma_f64 v[74:75], v[105:106], v[72:73], -v[74:75]
	v_fma_f64 v[88:89], v[107:108], v[72:73], v[88:89]
	v_fma_f64 v[92:93], v[109:110], v[72:73], -v[92:93]
	v_fma_f64 v[94:95], v[111:112], v[72:73], v[94:95]
	;; [unrolled: 2-line block ×15, first 2 shown]
	v_add_f64 v[56:57], v[56:57], -v[74:75]
	v_add_f64 v[58:59], v[58:59], -v[88:89]
	;; [unrolled: 1-line block ×30, first 2 shown]
	v_dual_mov_b32 v74, v90 :: v_dual_mov_b32 v75, v91
.LBB42_146:
	s_or_b32 exec_lo, exec_lo, s2
	v_lshl_add_u32 v88, v99, 4, v98
	s_barrier
	buffer_gl0_inv
	v_mov_b32_e32 v96, 7
	ds_store_2addr_b64 v88, v[56:57], v[58:59] offset1:1
	s_waitcnt lgkmcnt(0)
	s_barrier
	buffer_gl0_inv
	ds_load_2addr_b64 v[88:91], v98 offset0:14 offset1:15
	s_cmp_lt_i32 s5, 9
	s_cbranch_scc1 .LBB42_149
; %bb.147:
	v_add3_u32 v97, v47, 0, 0x80
	v_mov_b32_e32 v96, 7
	s_mov_b32 s6, 8
	s_set_inst_prefetch_distance 0x1
	.p2align	6
.LBB42_148:                             ; =>This Inner Loop Header: Depth=1
	ds_load_2addr_b64 v[105:108], v97 offset1:1
	s_waitcnt lgkmcnt(1)
	v_cmp_gt_f64_e32 vcc_lo, 0, v[88:89]
	v_xor_b32_e32 v92, 0x80000000, v89
	v_cmp_gt_f64_e64 s2, 0, v[90:91]
	v_xor_b32_e32 v94, 0x80000000, v91
	v_add_nc_u32_e32 v97, 16, v97
	s_waitcnt lgkmcnt(0)
	v_cmp_gt_f64_e64 s3, 0, v[105:106]
	v_mov_b32_e32 v109, v105
	v_mov_b32_e32 v111, v107
	v_cndmask_b32_e32 v93, v89, v92, vcc_lo
	v_xor_b32_e32 v92, 0x80000000, v106
	v_cndmask_b32_e64 v95, v91, v94, s2
	v_xor_b32_e32 v94, 0x80000000, v108
	s_delay_alu instid0(VALU_DEP_3) | instskip(SKIP_2) | instid1(VALU_DEP_2)
	v_cndmask_b32_e64 v110, v106, v92, s3
	v_cmp_gt_f64_e64 s3, 0, v[107:108]
	v_cndmask_b32_e32 v92, v88, v88, vcc_lo
	v_cndmask_b32_e64 v112, v108, v94, s3
	v_cndmask_b32_e64 v94, v90, v90, s2
	s_delay_alu instid0(VALU_DEP_2) | instskip(NEXT) | instid1(VALU_DEP_2)
	v_add_f64 v[109:110], v[109:110], v[111:112]
	v_add_f64 v[92:93], v[92:93], v[94:95]
	s_delay_alu instid0(VALU_DEP_1) | instskip(SKIP_4) | instid1(SALU_CYCLE_1)
	v_cmp_lt_f64_e32 vcc_lo, v[92:93], v[109:110]
	v_dual_cndmask_b32 v88, v88, v105 :: v_dual_cndmask_b32 v89, v89, v106
	v_dual_cndmask_b32 v91, v91, v108 :: v_dual_cndmask_b32 v90, v90, v107
	v_cndmask_b32_e64 v96, v96, s6, vcc_lo
	s_add_i32 s6, s6, 1
	s_cmp_lg_u32 s5, s6
	s_cbranch_scc1 .LBB42_148
.LBB42_149:
	s_set_inst_prefetch_distance 0x2
	s_waitcnt lgkmcnt(0)
	v_cmp_eq_f64_e32 vcc_lo, 0, v[88:89]
	v_cmp_eq_f64_e64 s2, 0, v[90:91]
	s_delay_alu instid0(VALU_DEP_1) | instskip(NEXT) | instid1(SALU_CYCLE_1)
	s_and_b32 s2, vcc_lo, s2
	s_and_saveexec_b32 s3, s2
	s_delay_alu instid0(SALU_CYCLE_1)
	s_xor_b32 s2, exec_lo, s3
; %bb.150:
	v_cmp_ne_u32_e32 vcc_lo, 0, v46
	v_cndmask_b32_e32 v46, 8, v46, vcc_lo
; %bb.151:
	s_and_not1_saveexec_b32 s3, s2
	s_cbranch_execz .LBB42_157
; %bb.152:
	v_cmp_gt_f64_e32 vcc_lo, 0, v[88:89]
	v_cmp_gt_f64_e64 s2, 0, v[90:91]
	v_xor_b32_e32 v92, 0x80000000, v89
	v_xor_b32_e32 v94, 0x80000000, v91
	s_delay_alu instid0(VALU_DEP_2) | instskip(NEXT) | instid1(VALU_DEP_2)
	v_cndmask_b32_e32 v93, v89, v92, vcc_lo
	v_cndmask_b32_e64 v95, v91, v94, s2
	v_cndmask_b32_e32 v92, v88, v88, vcc_lo
	v_cndmask_b32_e64 v94, v90, v90, s2
	s_mov_b32 s2, exec_lo
	s_delay_alu instid0(VALU_DEP_1)
	v_cmpx_ngt_f64_e32 v[92:93], v[94:95]
	s_xor_b32 s2, exec_lo, s2
	s_cbranch_execz .LBB42_154
; %bb.153:
	v_div_scale_f64 v[92:93], null, v[90:91], v[90:91], v[88:89]
	v_div_scale_f64 v[107:108], vcc_lo, v[88:89], v[90:91], v[88:89]
	s_delay_alu instid0(VALU_DEP_2) | instskip(SKIP_2) | instid1(VALU_DEP_1)
	v_rcp_f64_e32 v[94:95], v[92:93]
	s_waitcnt_depctr 0xfff
	v_fma_f64 v[105:106], -v[92:93], v[94:95], 1.0
	v_fma_f64 v[94:95], v[94:95], v[105:106], v[94:95]
	s_delay_alu instid0(VALU_DEP_1) | instskip(NEXT) | instid1(VALU_DEP_1)
	v_fma_f64 v[105:106], -v[92:93], v[94:95], 1.0
	v_fma_f64 v[94:95], v[94:95], v[105:106], v[94:95]
	s_delay_alu instid0(VALU_DEP_1) | instskip(NEXT) | instid1(VALU_DEP_1)
	v_mul_f64 v[105:106], v[107:108], v[94:95]
	v_fma_f64 v[92:93], -v[92:93], v[105:106], v[107:108]
	s_delay_alu instid0(VALU_DEP_1) | instskip(NEXT) | instid1(VALU_DEP_1)
	v_div_fmas_f64 v[92:93], v[92:93], v[94:95], v[105:106]
	v_div_fixup_f64 v[92:93], v[92:93], v[90:91], v[88:89]
	s_delay_alu instid0(VALU_DEP_1) | instskip(NEXT) | instid1(VALU_DEP_1)
	v_fma_f64 v[88:89], v[88:89], v[92:93], v[90:91]
	v_div_scale_f64 v[90:91], null, v[88:89], v[88:89], 1.0
	s_delay_alu instid0(VALU_DEP_1) | instskip(SKIP_2) | instid1(VALU_DEP_1)
	v_rcp_f64_e32 v[94:95], v[90:91]
	s_waitcnt_depctr 0xfff
	v_fma_f64 v[105:106], -v[90:91], v[94:95], 1.0
	v_fma_f64 v[94:95], v[94:95], v[105:106], v[94:95]
	s_delay_alu instid0(VALU_DEP_1) | instskip(NEXT) | instid1(VALU_DEP_1)
	v_fma_f64 v[105:106], -v[90:91], v[94:95], 1.0
	v_fma_f64 v[94:95], v[94:95], v[105:106], v[94:95]
	v_div_scale_f64 v[105:106], vcc_lo, 1.0, v[88:89], 1.0
	s_delay_alu instid0(VALU_DEP_1) | instskip(NEXT) | instid1(VALU_DEP_1)
	v_mul_f64 v[107:108], v[105:106], v[94:95]
	v_fma_f64 v[90:91], -v[90:91], v[107:108], v[105:106]
	s_delay_alu instid0(VALU_DEP_1) | instskip(NEXT) | instid1(VALU_DEP_1)
	v_div_fmas_f64 v[90:91], v[90:91], v[94:95], v[107:108]
	v_div_fixup_f64 v[90:91], v[90:91], v[88:89], 1.0
	s_delay_alu instid0(VALU_DEP_1)
	v_mul_f64 v[88:89], v[92:93], v[90:91]
	v_xor_b32_e32 v91, 0x80000000, v91
.LBB42_154:
	s_and_not1_saveexec_b32 s2, s2
	s_cbranch_execz .LBB42_156
; %bb.155:
	s_delay_alu instid0(VALU_DEP_1) | instskip(SKIP_1) | instid1(VALU_DEP_2)
	v_div_scale_f64 v[92:93], null, v[88:89], v[88:89], v[90:91]
	v_div_scale_f64 v[107:108], vcc_lo, v[90:91], v[88:89], v[90:91]
	v_rcp_f64_e32 v[94:95], v[92:93]
	s_waitcnt_depctr 0xfff
	v_fma_f64 v[105:106], -v[92:93], v[94:95], 1.0
	s_delay_alu instid0(VALU_DEP_1) | instskip(NEXT) | instid1(VALU_DEP_1)
	v_fma_f64 v[94:95], v[94:95], v[105:106], v[94:95]
	v_fma_f64 v[105:106], -v[92:93], v[94:95], 1.0
	s_delay_alu instid0(VALU_DEP_1) | instskip(NEXT) | instid1(VALU_DEP_1)
	v_fma_f64 v[94:95], v[94:95], v[105:106], v[94:95]
	v_mul_f64 v[105:106], v[107:108], v[94:95]
	s_delay_alu instid0(VALU_DEP_1) | instskip(NEXT) | instid1(VALU_DEP_1)
	v_fma_f64 v[92:93], -v[92:93], v[105:106], v[107:108]
	v_div_fmas_f64 v[92:93], v[92:93], v[94:95], v[105:106]
	s_delay_alu instid0(VALU_DEP_1) | instskip(NEXT) | instid1(VALU_DEP_1)
	v_div_fixup_f64 v[92:93], v[92:93], v[88:89], v[90:91]
	v_fma_f64 v[88:89], v[90:91], v[92:93], v[88:89]
	s_delay_alu instid0(VALU_DEP_1) | instskip(NEXT) | instid1(VALU_DEP_1)
	v_div_scale_f64 v[90:91], null, v[88:89], v[88:89], 1.0
	v_rcp_f64_e32 v[94:95], v[90:91]
	s_waitcnt_depctr 0xfff
	v_fma_f64 v[105:106], -v[90:91], v[94:95], 1.0
	s_delay_alu instid0(VALU_DEP_1) | instskip(NEXT) | instid1(VALU_DEP_1)
	v_fma_f64 v[94:95], v[94:95], v[105:106], v[94:95]
	v_fma_f64 v[105:106], -v[90:91], v[94:95], 1.0
	s_delay_alu instid0(VALU_DEP_1) | instskip(SKIP_1) | instid1(VALU_DEP_1)
	v_fma_f64 v[94:95], v[94:95], v[105:106], v[94:95]
	v_div_scale_f64 v[105:106], vcc_lo, 1.0, v[88:89], 1.0
	v_mul_f64 v[107:108], v[105:106], v[94:95]
	s_delay_alu instid0(VALU_DEP_1) | instskip(NEXT) | instid1(VALU_DEP_1)
	v_fma_f64 v[90:91], -v[90:91], v[107:108], v[105:106]
	v_div_fmas_f64 v[90:91], v[90:91], v[94:95], v[107:108]
	s_delay_alu instid0(VALU_DEP_1) | instskip(NEXT) | instid1(VALU_DEP_1)
	v_div_fixup_f64 v[88:89], v[90:91], v[88:89], 1.0
	v_mul_f64 v[90:91], v[92:93], -v[88:89]
.LBB42_156:
	s_or_b32 exec_lo, exec_lo, s2
.LBB42_157:
	s_delay_alu instid0(SALU_CYCLE_1) | instskip(NEXT) | instid1(SALU_CYCLE_1)
	s_or_b32 exec_lo, exec_lo, s3
	s_mov_b32 s2, exec_lo
	v_cmpx_ne_u32_e64 v99, v96
	s_xor_b32 s2, exec_lo, s2
	s_cbranch_execz .LBB42_163
; %bb.158:
	s_mov_b32 s3, exec_lo
	v_cmpx_eq_u32_e32 7, v99
	s_cbranch_execz .LBB42_162
; %bb.159:
	v_cmp_ne_u32_e32 vcc_lo, 7, v96
	s_xor_b32 s6, s4, -1
	s_delay_alu instid0(SALU_CYCLE_1) | instskip(NEXT) | instid1(SALU_CYCLE_1)
	s_and_b32 s7, s6, vcc_lo
	s_and_saveexec_b32 s6, s7
	s_cbranch_execz .LBB42_161
; %bb.160:
	v_ashrrev_i32_e32 v97, 31, v96
	s_delay_alu instid0(VALU_DEP_1) | instskip(NEXT) | instid1(VALU_DEP_1)
	v_lshlrev_b64 v[92:93], 2, v[96:97]
	v_add_co_u32 v92, vcc_lo, v44, v92
	s_delay_alu instid0(VALU_DEP_2)
	v_add_co_ci_u32_e32 v93, vcc_lo, v45, v93, vcc_lo
	s_clause 0x1
	flat_load_b32 v94, v[92:93]
	flat_load_b32 v95, v[44:45] offset:28
	s_waitcnt vmcnt(1) lgkmcnt(1)
	flat_store_b32 v[44:45], v94 offset:28
	s_waitcnt vmcnt(0) lgkmcnt(1)
	flat_store_b32 v[92:93], v95
.LBB42_161:
	s_or_b32 exec_lo, exec_lo, s6
	v_mov_b32_e32 v99, v96
	v_mov_b32_e32 v255, v96
.LBB42_162:
	s_or_b32 exec_lo, exec_lo, s3
.LBB42_163:
	s_and_not1_saveexec_b32 s2, s2
	s_cbranch_execz .LBB42_165
; %bb.164:
	v_mov_b32_e32 v99, 7
	ds_store_2addr_b64 v98, v[64:65], v[66:67] offset0:16 offset1:17
	ds_store_2addr_b64 v98, v[60:61], v[62:63] offset0:18 offset1:19
	;; [unrolled: 1-line block ×14, first 2 shown]
.LBB42_165:
	s_or_b32 exec_lo, exec_lo, s2
	s_delay_alu instid0(SALU_CYCLE_1)
	s_mov_b32 s2, exec_lo
	s_waitcnt lgkmcnt(0)
	s_waitcnt_vscnt null, 0x0
	s_barrier
	buffer_gl0_inv
	v_cmpx_lt_i32_e32 7, v99
	s_cbranch_execz .LBB42_167
; %bb.166:
	v_mul_f64 v[92:93], v[88:89], v[58:59]
	v_mul_f64 v[58:59], v[90:91], v[58:59]
	ds_load_2addr_b64 v[105:108], v98 offset0:16 offset1:17
	ds_load_2addr_b64 v[109:112], v98 offset0:18 offset1:19
	;; [unrolled: 1-line block ×14, first 2 shown]
	v_fma_f64 v[90:91], v[90:91], v[56:57], v[92:93]
	v_fma_f64 v[56:57], v[88:89], v[56:57], -v[58:59]
	s_waitcnt lgkmcnt(13)
	s_delay_alu instid0(VALU_DEP_2)
	v_mul_f64 v[58:59], v[107:108], v[90:91]
	v_mul_f64 v[88:89], v[105:106], v[90:91]
	s_waitcnt lgkmcnt(12)
	v_mul_f64 v[92:93], v[111:112], v[90:91]
	v_mul_f64 v[94:95], v[109:110], v[90:91]
	s_waitcnt lgkmcnt(11)
	;; [unrolled: 3-line block ×13, first 2 shown]
	v_mul_f64 v[203:204], v[159:160], v[90:91]
	v_mul_f64 v[205:206], v[157:158], v[90:91]
	v_fma_f64 v[58:59], v[105:106], v[56:57], -v[58:59]
	v_fma_f64 v[88:89], v[107:108], v[56:57], v[88:89]
	v_fma_f64 v[92:93], v[109:110], v[56:57], -v[92:93]
	v_fma_f64 v[94:95], v[111:112], v[56:57], v[94:95]
	;; [unrolled: 2-line block ×14, first 2 shown]
	v_add_f64 v[64:65], v[64:65], -v[58:59]
	v_add_f64 v[66:67], v[66:67], -v[88:89]
	;; [unrolled: 1-line block ×28, first 2 shown]
	v_dual_mov_b32 v58, v90 :: v_dual_mov_b32 v59, v91
.LBB42_167:
	s_or_b32 exec_lo, exec_lo, s2
	v_lshl_add_u32 v88, v99, 4, v98
	s_barrier
	buffer_gl0_inv
	v_mov_b32_e32 v96, 8
	ds_store_2addr_b64 v88, v[64:65], v[66:67] offset1:1
	s_waitcnt lgkmcnt(0)
	s_barrier
	buffer_gl0_inv
	ds_load_2addr_b64 v[88:91], v98 offset0:16 offset1:17
	s_cmp_lt_i32 s5, 10
	s_cbranch_scc1 .LBB42_170
; %bb.168:
	v_add3_u32 v97, v47, 0, 0x90
	v_mov_b32_e32 v96, 8
	s_mov_b32 s6, 9
	s_set_inst_prefetch_distance 0x1
	.p2align	6
.LBB42_169:                             ; =>This Inner Loop Header: Depth=1
	ds_load_2addr_b64 v[105:108], v97 offset1:1
	s_waitcnt lgkmcnt(1)
	v_cmp_gt_f64_e32 vcc_lo, 0, v[88:89]
	v_xor_b32_e32 v92, 0x80000000, v89
	v_cmp_gt_f64_e64 s2, 0, v[90:91]
	v_xor_b32_e32 v94, 0x80000000, v91
	v_add_nc_u32_e32 v97, 16, v97
	s_waitcnt lgkmcnt(0)
	v_cmp_gt_f64_e64 s3, 0, v[105:106]
	v_mov_b32_e32 v109, v105
	v_mov_b32_e32 v111, v107
	v_cndmask_b32_e32 v93, v89, v92, vcc_lo
	v_xor_b32_e32 v92, 0x80000000, v106
	v_cndmask_b32_e64 v95, v91, v94, s2
	v_xor_b32_e32 v94, 0x80000000, v108
	s_delay_alu instid0(VALU_DEP_3) | instskip(SKIP_2) | instid1(VALU_DEP_2)
	v_cndmask_b32_e64 v110, v106, v92, s3
	v_cmp_gt_f64_e64 s3, 0, v[107:108]
	v_cndmask_b32_e32 v92, v88, v88, vcc_lo
	v_cndmask_b32_e64 v112, v108, v94, s3
	v_cndmask_b32_e64 v94, v90, v90, s2
	s_delay_alu instid0(VALU_DEP_2) | instskip(NEXT) | instid1(VALU_DEP_2)
	v_add_f64 v[109:110], v[109:110], v[111:112]
	v_add_f64 v[92:93], v[92:93], v[94:95]
	s_delay_alu instid0(VALU_DEP_1) | instskip(SKIP_4) | instid1(SALU_CYCLE_1)
	v_cmp_lt_f64_e32 vcc_lo, v[92:93], v[109:110]
	v_dual_cndmask_b32 v88, v88, v105 :: v_dual_cndmask_b32 v89, v89, v106
	v_dual_cndmask_b32 v91, v91, v108 :: v_dual_cndmask_b32 v90, v90, v107
	v_cndmask_b32_e64 v96, v96, s6, vcc_lo
	s_add_i32 s6, s6, 1
	s_cmp_lg_u32 s5, s6
	s_cbranch_scc1 .LBB42_169
.LBB42_170:
	s_set_inst_prefetch_distance 0x2
	s_waitcnt lgkmcnt(0)
	v_cmp_eq_f64_e32 vcc_lo, 0, v[88:89]
	v_cmp_eq_f64_e64 s2, 0, v[90:91]
	s_delay_alu instid0(VALU_DEP_1) | instskip(NEXT) | instid1(SALU_CYCLE_1)
	s_and_b32 s2, vcc_lo, s2
	s_and_saveexec_b32 s3, s2
	s_delay_alu instid0(SALU_CYCLE_1)
	s_xor_b32 s2, exec_lo, s3
; %bb.171:
	v_cmp_ne_u32_e32 vcc_lo, 0, v46
	v_cndmask_b32_e32 v46, 9, v46, vcc_lo
; %bb.172:
	s_and_not1_saveexec_b32 s3, s2
	s_cbranch_execz .LBB42_178
; %bb.173:
	v_cmp_gt_f64_e32 vcc_lo, 0, v[88:89]
	v_cmp_gt_f64_e64 s2, 0, v[90:91]
	v_xor_b32_e32 v92, 0x80000000, v89
	v_xor_b32_e32 v94, 0x80000000, v91
	s_delay_alu instid0(VALU_DEP_2) | instskip(NEXT) | instid1(VALU_DEP_2)
	v_cndmask_b32_e32 v93, v89, v92, vcc_lo
	v_cndmask_b32_e64 v95, v91, v94, s2
	v_cndmask_b32_e32 v92, v88, v88, vcc_lo
	v_cndmask_b32_e64 v94, v90, v90, s2
	s_mov_b32 s2, exec_lo
	s_delay_alu instid0(VALU_DEP_1)
	v_cmpx_ngt_f64_e32 v[92:93], v[94:95]
	s_xor_b32 s2, exec_lo, s2
	s_cbranch_execz .LBB42_175
; %bb.174:
	v_div_scale_f64 v[92:93], null, v[90:91], v[90:91], v[88:89]
	v_div_scale_f64 v[107:108], vcc_lo, v[88:89], v[90:91], v[88:89]
	s_delay_alu instid0(VALU_DEP_2) | instskip(SKIP_2) | instid1(VALU_DEP_1)
	v_rcp_f64_e32 v[94:95], v[92:93]
	s_waitcnt_depctr 0xfff
	v_fma_f64 v[105:106], -v[92:93], v[94:95], 1.0
	v_fma_f64 v[94:95], v[94:95], v[105:106], v[94:95]
	s_delay_alu instid0(VALU_DEP_1) | instskip(NEXT) | instid1(VALU_DEP_1)
	v_fma_f64 v[105:106], -v[92:93], v[94:95], 1.0
	v_fma_f64 v[94:95], v[94:95], v[105:106], v[94:95]
	s_delay_alu instid0(VALU_DEP_1) | instskip(NEXT) | instid1(VALU_DEP_1)
	v_mul_f64 v[105:106], v[107:108], v[94:95]
	v_fma_f64 v[92:93], -v[92:93], v[105:106], v[107:108]
	s_delay_alu instid0(VALU_DEP_1) | instskip(NEXT) | instid1(VALU_DEP_1)
	v_div_fmas_f64 v[92:93], v[92:93], v[94:95], v[105:106]
	v_div_fixup_f64 v[92:93], v[92:93], v[90:91], v[88:89]
	s_delay_alu instid0(VALU_DEP_1) | instskip(NEXT) | instid1(VALU_DEP_1)
	v_fma_f64 v[88:89], v[88:89], v[92:93], v[90:91]
	v_div_scale_f64 v[90:91], null, v[88:89], v[88:89], 1.0
	s_delay_alu instid0(VALU_DEP_1) | instskip(SKIP_2) | instid1(VALU_DEP_1)
	v_rcp_f64_e32 v[94:95], v[90:91]
	s_waitcnt_depctr 0xfff
	v_fma_f64 v[105:106], -v[90:91], v[94:95], 1.0
	v_fma_f64 v[94:95], v[94:95], v[105:106], v[94:95]
	s_delay_alu instid0(VALU_DEP_1) | instskip(NEXT) | instid1(VALU_DEP_1)
	v_fma_f64 v[105:106], -v[90:91], v[94:95], 1.0
	v_fma_f64 v[94:95], v[94:95], v[105:106], v[94:95]
	v_div_scale_f64 v[105:106], vcc_lo, 1.0, v[88:89], 1.0
	s_delay_alu instid0(VALU_DEP_1) | instskip(NEXT) | instid1(VALU_DEP_1)
	v_mul_f64 v[107:108], v[105:106], v[94:95]
	v_fma_f64 v[90:91], -v[90:91], v[107:108], v[105:106]
	s_delay_alu instid0(VALU_DEP_1) | instskip(NEXT) | instid1(VALU_DEP_1)
	v_div_fmas_f64 v[90:91], v[90:91], v[94:95], v[107:108]
	v_div_fixup_f64 v[90:91], v[90:91], v[88:89], 1.0
	s_delay_alu instid0(VALU_DEP_1)
	v_mul_f64 v[88:89], v[92:93], v[90:91]
	v_xor_b32_e32 v91, 0x80000000, v91
.LBB42_175:
	s_and_not1_saveexec_b32 s2, s2
	s_cbranch_execz .LBB42_177
; %bb.176:
	s_delay_alu instid0(VALU_DEP_1) | instskip(SKIP_1) | instid1(VALU_DEP_2)
	v_div_scale_f64 v[92:93], null, v[88:89], v[88:89], v[90:91]
	v_div_scale_f64 v[107:108], vcc_lo, v[90:91], v[88:89], v[90:91]
	v_rcp_f64_e32 v[94:95], v[92:93]
	s_waitcnt_depctr 0xfff
	v_fma_f64 v[105:106], -v[92:93], v[94:95], 1.0
	s_delay_alu instid0(VALU_DEP_1) | instskip(NEXT) | instid1(VALU_DEP_1)
	v_fma_f64 v[94:95], v[94:95], v[105:106], v[94:95]
	v_fma_f64 v[105:106], -v[92:93], v[94:95], 1.0
	s_delay_alu instid0(VALU_DEP_1) | instskip(NEXT) | instid1(VALU_DEP_1)
	v_fma_f64 v[94:95], v[94:95], v[105:106], v[94:95]
	v_mul_f64 v[105:106], v[107:108], v[94:95]
	s_delay_alu instid0(VALU_DEP_1) | instskip(NEXT) | instid1(VALU_DEP_1)
	v_fma_f64 v[92:93], -v[92:93], v[105:106], v[107:108]
	v_div_fmas_f64 v[92:93], v[92:93], v[94:95], v[105:106]
	s_delay_alu instid0(VALU_DEP_1) | instskip(NEXT) | instid1(VALU_DEP_1)
	v_div_fixup_f64 v[92:93], v[92:93], v[88:89], v[90:91]
	v_fma_f64 v[88:89], v[90:91], v[92:93], v[88:89]
	s_delay_alu instid0(VALU_DEP_1) | instskip(NEXT) | instid1(VALU_DEP_1)
	v_div_scale_f64 v[90:91], null, v[88:89], v[88:89], 1.0
	v_rcp_f64_e32 v[94:95], v[90:91]
	s_waitcnt_depctr 0xfff
	v_fma_f64 v[105:106], -v[90:91], v[94:95], 1.0
	s_delay_alu instid0(VALU_DEP_1) | instskip(NEXT) | instid1(VALU_DEP_1)
	v_fma_f64 v[94:95], v[94:95], v[105:106], v[94:95]
	v_fma_f64 v[105:106], -v[90:91], v[94:95], 1.0
	s_delay_alu instid0(VALU_DEP_1) | instskip(SKIP_1) | instid1(VALU_DEP_1)
	v_fma_f64 v[94:95], v[94:95], v[105:106], v[94:95]
	v_div_scale_f64 v[105:106], vcc_lo, 1.0, v[88:89], 1.0
	v_mul_f64 v[107:108], v[105:106], v[94:95]
	s_delay_alu instid0(VALU_DEP_1) | instskip(NEXT) | instid1(VALU_DEP_1)
	v_fma_f64 v[90:91], -v[90:91], v[107:108], v[105:106]
	v_div_fmas_f64 v[90:91], v[90:91], v[94:95], v[107:108]
	s_delay_alu instid0(VALU_DEP_1) | instskip(NEXT) | instid1(VALU_DEP_1)
	v_div_fixup_f64 v[88:89], v[90:91], v[88:89], 1.0
	v_mul_f64 v[90:91], v[92:93], -v[88:89]
.LBB42_177:
	s_or_b32 exec_lo, exec_lo, s2
.LBB42_178:
	s_delay_alu instid0(SALU_CYCLE_1) | instskip(NEXT) | instid1(SALU_CYCLE_1)
	s_or_b32 exec_lo, exec_lo, s3
	s_mov_b32 s2, exec_lo
	v_cmpx_ne_u32_e64 v99, v96
	s_xor_b32 s2, exec_lo, s2
	s_cbranch_execz .LBB42_184
; %bb.179:
	s_mov_b32 s3, exec_lo
	v_cmpx_eq_u32_e32 8, v99
	s_cbranch_execz .LBB42_183
; %bb.180:
	v_cmp_ne_u32_e32 vcc_lo, 8, v96
	s_xor_b32 s6, s4, -1
	s_delay_alu instid0(SALU_CYCLE_1) | instskip(NEXT) | instid1(SALU_CYCLE_1)
	s_and_b32 s7, s6, vcc_lo
	s_and_saveexec_b32 s6, s7
	s_cbranch_execz .LBB42_182
; %bb.181:
	v_ashrrev_i32_e32 v97, 31, v96
	s_delay_alu instid0(VALU_DEP_1) | instskip(NEXT) | instid1(VALU_DEP_1)
	v_lshlrev_b64 v[92:93], 2, v[96:97]
	v_add_co_u32 v92, vcc_lo, v44, v92
	s_delay_alu instid0(VALU_DEP_2)
	v_add_co_ci_u32_e32 v93, vcc_lo, v45, v93, vcc_lo
	s_clause 0x1
	flat_load_b32 v94, v[92:93]
	flat_load_b32 v95, v[44:45] offset:32
	s_waitcnt vmcnt(1) lgkmcnt(1)
	flat_store_b32 v[44:45], v94 offset:32
	s_waitcnt vmcnt(0) lgkmcnt(1)
	flat_store_b32 v[92:93], v95
.LBB42_182:
	s_or_b32 exec_lo, exec_lo, s6
	v_mov_b32_e32 v99, v96
	v_mov_b32_e32 v255, v96
.LBB42_183:
	s_or_b32 exec_lo, exec_lo, s3
.LBB42_184:
	s_and_not1_saveexec_b32 s2, s2
	s_cbranch_execz .LBB42_186
; %bb.185:
	v_mov_b32_e32 v99, 8
	ds_store_2addr_b64 v98, v[60:61], v[62:63] offset0:18 offset1:19
	ds_store_2addr_b64 v98, v[52:53], v[54:55] offset0:20 offset1:21
	ds_store_2addr_b64 v98, v[48:49], v[50:51] offset0:22 offset1:23
	ds_store_2addr_b64 v98, v[32:33], v[34:35] offset0:24 offset1:25
	ds_store_2addr_b64 v98, v[28:29], v[30:31] offset0:26 offset1:27
	ds_store_2addr_b64 v98, v[40:41], v[42:43] offset0:28 offset1:29
	ds_store_2addr_b64 v98, v[20:21], v[22:23] offset0:30 offset1:31
	ds_store_2addr_b64 v98, v[24:25], v[26:27] offset0:32 offset1:33
	ds_store_2addr_b64 v98, v[12:13], v[14:15] offset0:34 offset1:35
	ds_store_2addr_b64 v98, v[8:9], v[10:11] offset0:36 offset1:37
	ds_store_2addr_b64 v98, v[4:5], v[6:7] offset0:38 offset1:39
	ds_store_2addr_b64 v98, v[16:17], v[18:19] offset0:40 offset1:41
	ds_store_2addr_b64 v98, v[0:1], v[2:3] offset0:42 offset1:43
.LBB42_186:
	s_or_b32 exec_lo, exec_lo, s2
	s_delay_alu instid0(SALU_CYCLE_1)
	s_mov_b32 s2, exec_lo
	s_waitcnt lgkmcnt(0)
	s_waitcnt_vscnt null, 0x0
	s_barrier
	buffer_gl0_inv
	v_cmpx_lt_i32_e32 8, v99
	s_cbranch_execz .LBB42_188
; %bb.187:
	v_mul_f64 v[92:93], v[88:89], v[66:67]
	v_mul_f64 v[66:67], v[90:91], v[66:67]
	ds_load_2addr_b64 v[105:108], v98 offset0:18 offset1:19
	ds_load_2addr_b64 v[109:112], v98 offset0:20 offset1:21
	ds_load_2addr_b64 v[113:116], v98 offset0:22 offset1:23
	ds_load_2addr_b64 v[117:120], v98 offset0:24 offset1:25
	ds_load_2addr_b64 v[121:124], v98 offset0:26 offset1:27
	ds_load_2addr_b64 v[125:128], v98 offset0:28 offset1:29
	ds_load_2addr_b64 v[129:132], v98 offset0:30 offset1:31
	ds_load_2addr_b64 v[133:136], v98 offset0:32 offset1:33
	ds_load_2addr_b64 v[137:140], v98 offset0:34 offset1:35
	ds_load_2addr_b64 v[141:144], v98 offset0:36 offset1:37
	ds_load_2addr_b64 v[145:148], v98 offset0:38 offset1:39
	ds_load_2addr_b64 v[149:152], v98 offset0:40 offset1:41
	ds_load_2addr_b64 v[153:156], v98 offset0:42 offset1:43
	v_fma_f64 v[90:91], v[90:91], v[64:65], v[92:93]
	v_fma_f64 v[64:65], v[88:89], v[64:65], -v[66:67]
	s_waitcnt lgkmcnt(12)
	s_delay_alu instid0(VALU_DEP_2)
	v_mul_f64 v[66:67], v[107:108], v[90:91]
	v_mul_f64 v[88:89], v[105:106], v[90:91]
	s_waitcnt lgkmcnt(11)
	v_mul_f64 v[92:93], v[111:112], v[90:91]
	v_mul_f64 v[94:95], v[109:110], v[90:91]
	s_waitcnt lgkmcnt(10)
	;; [unrolled: 3-line block ×12, first 2 shown]
	v_mul_f64 v[195:196], v[155:156], v[90:91]
	v_mul_f64 v[197:198], v[153:154], v[90:91]
	v_fma_f64 v[66:67], v[105:106], v[64:65], -v[66:67]
	v_fma_f64 v[88:89], v[107:108], v[64:65], v[88:89]
	v_fma_f64 v[92:93], v[109:110], v[64:65], -v[92:93]
	v_fma_f64 v[94:95], v[111:112], v[64:65], v[94:95]
	;; [unrolled: 2-line block ×13, first 2 shown]
	v_add_f64 v[60:61], v[60:61], -v[66:67]
	v_add_f64 v[62:63], v[62:63], -v[88:89]
	;; [unrolled: 1-line block ×26, first 2 shown]
	v_dual_mov_b32 v66, v90 :: v_dual_mov_b32 v67, v91
.LBB42_188:
	s_or_b32 exec_lo, exec_lo, s2
	v_lshl_add_u32 v88, v99, 4, v98
	s_barrier
	buffer_gl0_inv
	v_mov_b32_e32 v96, 9
	ds_store_2addr_b64 v88, v[60:61], v[62:63] offset1:1
	s_waitcnt lgkmcnt(0)
	s_barrier
	buffer_gl0_inv
	ds_load_2addr_b64 v[88:91], v98 offset0:18 offset1:19
	s_cmp_lt_i32 s5, 11
	s_cbranch_scc1 .LBB42_191
; %bb.189:
	v_add3_u32 v97, v47, 0, 0xa0
	v_mov_b32_e32 v96, 9
	s_mov_b32 s6, 10
	s_set_inst_prefetch_distance 0x1
	.p2align	6
.LBB42_190:                             ; =>This Inner Loop Header: Depth=1
	ds_load_2addr_b64 v[105:108], v97 offset1:1
	s_waitcnt lgkmcnt(1)
	v_cmp_gt_f64_e32 vcc_lo, 0, v[88:89]
	v_xor_b32_e32 v92, 0x80000000, v89
	v_cmp_gt_f64_e64 s2, 0, v[90:91]
	v_xor_b32_e32 v94, 0x80000000, v91
	v_add_nc_u32_e32 v97, 16, v97
	s_waitcnt lgkmcnt(0)
	v_cmp_gt_f64_e64 s3, 0, v[105:106]
	v_mov_b32_e32 v109, v105
	v_mov_b32_e32 v111, v107
	v_cndmask_b32_e32 v93, v89, v92, vcc_lo
	v_xor_b32_e32 v92, 0x80000000, v106
	v_cndmask_b32_e64 v95, v91, v94, s2
	v_xor_b32_e32 v94, 0x80000000, v108
	s_delay_alu instid0(VALU_DEP_3) | instskip(SKIP_2) | instid1(VALU_DEP_2)
	v_cndmask_b32_e64 v110, v106, v92, s3
	v_cmp_gt_f64_e64 s3, 0, v[107:108]
	v_cndmask_b32_e32 v92, v88, v88, vcc_lo
	v_cndmask_b32_e64 v112, v108, v94, s3
	v_cndmask_b32_e64 v94, v90, v90, s2
	s_delay_alu instid0(VALU_DEP_2) | instskip(NEXT) | instid1(VALU_DEP_2)
	v_add_f64 v[109:110], v[109:110], v[111:112]
	v_add_f64 v[92:93], v[92:93], v[94:95]
	s_delay_alu instid0(VALU_DEP_1) | instskip(SKIP_4) | instid1(SALU_CYCLE_1)
	v_cmp_lt_f64_e32 vcc_lo, v[92:93], v[109:110]
	v_dual_cndmask_b32 v88, v88, v105 :: v_dual_cndmask_b32 v89, v89, v106
	v_dual_cndmask_b32 v91, v91, v108 :: v_dual_cndmask_b32 v90, v90, v107
	v_cndmask_b32_e64 v96, v96, s6, vcc_lo
	s_add_i32 s6, s6, 1
	s_cmp_lg_u32 s5, s6
	s_cbranch_scc1 .LBB42_190
.LBB42_191:
	s_set_inst_prefetch_distance 0x2
	s_waitcnt lgkmcnt(0)
	v_cmp_eq_f64_e32 vcc_lo, 0, v[88:89]
	v_cmp_eq_f64_e64 s2, 0, v[90:91]
	s_delay_alu instid0(VALU_DEP_1) | instskip(NEXT) | instid1(SALU_CYCLE_1)
	s_and_b32 s2, vcc_lo, s2
	s_and_saveexec_b32 s3, s2
	s_delay_alu instid0(SALU_CYCLE_1)
	s_xor_b32 s2, exec_lo, s3
; %bb.192:
	v_cmp_ne_u32_e32 vcc_lo, 0, v46
	v_cndmask_b32_e32 v46, 10, v46, vcc_lo
; %bb.193:
	s_and_not1_saveexec_b32 s3, s2
	s_cbranch_execz .LBB42_199
; %bb.194:
	v_cmp_gt_f64_e32 vcc_lo, 0, v[88:89]
	v_cmp_gt_f64_e64 s2, 0, v[90:91]
	v_xor_b32_e32 v92, 0x80000000, v89
	v_xor_b32_e32 v94, 0x80000000, v91
	s_delay_alu instid0(VALU_DEP_2) | instskip(NEXT) | instid1(VALU_DEP_2)
	v_cndmask_b32_e32 v93, v89, v92, vcc_lo
	v_cndmask_b32_e64 v95, v91, v94, s2
	v_cndmask_b32_e32 v92, v88, v88, vcc_lo
	v_cndmask_b32_e64 v94, v90, v90, s2
	s_mov_b32 s2, exec_lo
	s_delay_alu instid0(VALU_DEP_1)
	v_cmpx_ngt_f64_e32 v[92:93], v[94:95]
	s_xor_b32 s2, exec_lo, s2
	s_cbranch_execz .LBB42_196
; %bb.195:
	v_div_scale_f64 v[92:93], null, v[90:91], v[90:91], v[88:89]
	v_div_scale_f64 v[107:108], vcc_lo, v[88:89], v[90:91], v[88:89]
	s_delay_alu instid0(VALU_DEP_2) | instskip(SKIP_2) | instid1(VALU_DEP_1)
	v_rcp_f64_e32 v[94:95], v[92:93]
	s_waitcnt_depctr 0xfff
	v_fma_f64 v[105:106], -v[92:93], v[94:95], 1.0
	v_fma_f64 v[94:95], v[94:95], v[105:106], v[94:95]
	s_delay_alu instid0(VALU_DEP_1) | instskip(NEXT) | instid1(VALU_DEP_1)
	v_fma_f64 v[105:106], -v[92:93], v[94:95], 1.0
	v_fma_f64 v[94:95], v[94:95], v[105:106], v[94:95]
	s_delay_alu instid0(VALU_DEP_1) | instskip(NEXT) | instid1(VALU_DEP_1)
	v_mul_f64 v[105:106], v[107:108], v[94:95]
	v_fma_f64 v[92:93], -v[92:93], v[105:106], v[107:108]
	s_delay_alu instid0(VALU_DEP_1) | instskip(NEXT) | instid1(VALU_DEP_1)
	v_div_fmas_f64 v[92:93], v[92:93], v[94:95], v[105:106]
	v_div_fixup_f64 v[92:93], v[92:93], v[90:91], v[88:89]
	s_delay_alu instid0(VALU_DEP_1) | instskip(NEXT) | instid1(VALU_DEP_1)
	v_fma_f64 v[88:89], v[88:89], v[92:93], v[90:91]
	v_div_scale_f64 v[90:91], null, v[88:89], v[88:89], 1.0
	s_delay_alu instid0(VALU_DEP_1) | instskip(SKIP_2) | instid1(VALU_DEP_1)
	v_rcp_f64_e32 v[94:95], v[90:91]
	s_waitcnt_depctr 0xfff
	v_fma_f64 v[105:106], -v[90:91], v[94:95], 1.0
	v_fma_f64 v[94:95], v[94:95], v[105:106], v[94:95]
	s_delay_alu instid0(VALU_DEP_1) | instskip(NEXT) | instid1(VALU_DEP_1)
	v_fma_f64 v[105:106], -v[90:91], v[94:95], 1.0
	v_fma_f64 v[94:95], v[94:95], v[105:106], v[94:95]
	v_div_scale_f64 v[105:106], vcc_lo, 1.0, v[88:89], 1.0
	s_delay_alu instid0(VALU_DEP_1) | instskip(NEXT) | instid1(VALU_DEP_1)
	v_mul_f64 v[107:108], v[105:106], v[94:95]
	v_fma_f64 v[90:91], -v[90:91], v[107:108], v[105:106]
	s_delay_alu instid0(VALU_DEP_1) | instskip(NEXT) | instid1(VALU_DEP_1)
	v_div_fmas_f64 v[90:91], v[90:91], v[94:95], v[107:108]
	v_div_fixup_f64 v[90:91], v[90:91], v[88:89], 1.0
	s_delay_alu instid0(VALU_DEP_1)
	v_mul_f64 v[88:89], v[92:93], v[90:91]
	v_xor_b32_e32 v91, 0x80000000, v91
.LBB42_196:
	s_and_not1_saveexec_b32 s2, s2
	s_cbranch_execz .LBB42_198
; %bb.197:
	s_delay_alu instid0(VALU_DEP_1) | instskip(SKIP_1) | instid1(VALU_DEP_2)
	v_div_scale_f64 v[92:93], null, v[88:89], v[88:89], v[90:91]
	v_div_scale_f64 v[107:108], vcc_lo, v[90:91], v[88:89], v[90:91]
	v_rcp_f64_e32 v[94:95], v[92:93]
	s_waitcnt_depctr 0xfff
	v_fma_f64 v[105:106], -v[92:93], v[94:95], 1.0
	s_delay_alu instid0(VALU_DEP_1) | instskip(NEXT) | instid1(VALU_DEP_1)
	v_fma_f64 v[94:95], v[94:95], v[105:106], v[94:95]
	v_fma_f64 v[105:106], -v[92:93], v[94:95], 1.0
	s_delay_alu instid0(VALU_DEP_1) | instskip(NEXT) | instid1(VALU_DEP_1)
	v_fma_f64 v[94:95], v[94:95], v[105:106], v[94:95]
	v_mul_f64 v[105:106], v[107:108], v[94:95]
	s_delay_alu instid0(VALU_DEP_1) | instskip(NEXT) | instid1(VALU_DEP_1)
	v_fma_f64 v[92:93], -v[92:93], v[105:106], v[107:108]
	v_div_fmas_f64 v[92:93], v[92:93], v[94:95], v[105:106]
	s_delay_alu instid0(VALU_DEP_1) | instskip(NEXT) | instid1(VALU_DEP_1)
	v_div_fixup_f64 v[92:93], v[92:93], v[88:89], v[90:91]
	v_fma_f64 v[88:89], v[90:91], v[92:93], v[88:89]
	s_delay_alu instid0(VALU_DEP_1) | instskip(NEXT) | instid1(VALU_DEP_1)
	v_div_scale_f64 v[90:91], null, v[88:89], v[88:89], 1.0
	v_rcp_f64_e32 v[94:95], v[90:91]
	s_waitcnt_depctr 0xfff
	v_fma_f64 v[105:106], -v[90:91], v[94:95], 1.0
	s_delay_alu instid0(VALU_DEP_1) | instskip(NEXT) | instid1(VALU_DEP_1)
	v_fma_f64 v[94:95], v[94:95], v[105:106], v[94:95]
	v_fma_f64 v[105:106], -v[90:91], v[94:95], 1.0
	s_delay_alu instid0(VALU_DEP_1) | instskip(SKIP_1) | instid1(VALU_DEP_1)
	v_fma_f64 v[94:95], v[94:95], v[105:106], v[94:95]
	v_div_scale_f64 v[105:106], vcc_lo, 1.0, v[88:89], 1.0
	v_mul_f64 v[107:108], v[105:106], v[94:95]
	s_delay_alu instid0(VALU_DEP_1) | instskip(NEXT) | instid1(VALU_DEP_1)
	v_fma_f64 v[90:91], -v[90:91], v[107:108], v[105:106]
	v_div_fmas_f64 v[90:91], v[90:91], v[94:95], v[107:108]
	s_delay_alu instid0(VALU_DEP_1) | instskip(NEXT) | instid1(VALU_DEP_1)
	v_div_fixup_f64 v[88:89], v[90:91], v[88:89], 1.0
	v_mul_f64 v[90:91], v[92:93], -v[88:89]
.LBB42_198:
	s_or_b32 exec_lo, exec_lo, s2
.LBB42_199:
	s_delay_alu instid0(SALU_CYCLE_1) | instskip(NEXT) | instid1(SALU_CYCLE_1)
	s_or_b32 exec_lo, exec_lo, s3
	s_mov_b32 s2, exec_lo
	v_cmpx_ne_u32_e64 v99, v96
	s_xor_b32 s2, exec_lo, s2
	s_cbranch_execz .LBB42_205
; %bb.200:
	s_mov_b32 s3, exec_lo
	v_cmpx_eq_u32_e32 9, v99
	s_cbranch_execz .LBB42_204
; %bb.201:
	v_cmp_ne_u32_e32 vcc_lo, 9, v96
	s_xor_b32 s6, s4, -1
	s_delay_alu instid0(SALU_CYCLE_1) | instskip(NEXT) | instid1(SALU_CYCLE_1)
	s_and_b32 s7, s6, vcc_lo
	s_and_saveexec_b32 s6, s7
	s_cbranch_execz .LBB42_203
; %bb.202:
	v_ashrrev_i32_e32 v97, 31, v96
	s_delay_alu instid0(VALU_DEP_1) | instskip(NEXT) | instid1(VALU_DEP_1)
	v_lshlrev_b64 v[92:93], 2, v[96:97]
	v_add_co_u32 v92, vcc_lo, v44, v92
	s_delay_alu instid0(VALU_DEP_2)
	v_add_co_ci_u32_e32 v93, vcc_lo, v45, v93, vcc_lo
	s_clause 0x1
	flat_load_b32 v94, v[92:93]
	flat_load_b32 v95, v[44:45] offset:36
	s_waitcnt vmcnt(1) lgkmcnt(1)
	flat_store_b32 v[44:45], v94 offset:36
	s_waitcnt vmcnt(0) lgkmcnt(1)
	flat_store_b32 v[92:93], v95
.LBB42_203:
	s_or_b32 exec_lo, exec_lo, s6
	v_mov_b32_e32 v99, v96
	v_mov_b32_e32 v255, v96
.LBB42_204:
	s_or_b32 exec_lo, exec_lo, s3
.LBB42_205:
	s_and_not1_saveexec_b32 s2, s2
	s_cbranch_execz .LBB42_207
; %bb.206:
	v_mov_b32_e32 v99, 9
	ds_store_2addr_b64 v98, v[52:53], v[54:55] offset0:20 offset1:21
	ds_store_2addr_b64 v98, v[48:49], v[50:51] offset0:22 offset1:23
	;; [unrolled: 1-line block ×12, first 2 shown]
.LBB42_207:
	s_or_b32 exec_lo, exec_lo, s2
	s_delay_alu instid0(SALU_CYCLE_1)
	s_mov_b32 s2, exec_lo
	s_waitcnt lgkmcnt(0)
	s_waitcnt_vscnt null, 0x0
	s_barrier
	buffer_gl0_inv
	v_cmpx_lt_i32_e32 9, v99
	s_cbranch_execz .LBB42_209
; %bb.208:
	v_mul_f64 v[92:93], v[88:89], v[62:63]
	v_mul_f64 v[62:63], v[90:91], v[62:63]
	ds_load_2addr_b64 v[105:108], v98 offset0:20 offset1:21
	ds_load_2addr_b64 v[109:112], v98 offset0:22 offset1:23
	;; [unrolled: 1-line block ×12, first 2 shown]
	v_fma_f64 v[90:91], v[90:91], v[60:61], v[92:93]
	v_fma_f64 v[60:61], v[88:89], v[60:61], -v[62:63]
	s_waitcnt lgkmcnt(11)
	s_delay_alu instid0(VALU_DEP_2)
	v_mul_f64 v[62:63], v[107:108], v[90:91]
	v_mul_f64 v[88:89], v[105:106], v[90:91]
	s_waitcnt lgkmcnt(10)
	v_mul_f64 v[92:93], v[111:112], v[90:91]
	v_mul_f64 v[94:95], v[109:110], v[90:91]
	s_waitcnt lgkmcnt(9)
	;; [unrolled: 3-line block ×11, first 2 shown]
	v_mul_f64 v[187:188], v[151:152], v[90:91]
	v_mul_f64 v[189:190], v[149:150], v[90:91]
	v_fma_f64 v[62:63], v[105:106], v[60:61], -v[62:63]
	v_fma_f64 v[88:89], v[107:108], v[60:61], v[88:89]
	v_fma_f64 v[92:93], v[109:110], v[60:61], -v[92:93]
	v_fma_f64 v[94:95], v[111:112], v[60:61], v[94:95]
	;; [unrolled: 2-line block ×12, first 2 shown]
	v_add_f64 v[52:53], v[52:53], -v[62:63]
	v_add_f64 v[54:55], v[54:55], -v[88:89]
	;; [unrolled: 1-line block ×24, first 2 shown]
	v_dual_mov_b32 v62, v90 :: v_dual_mov_b32 v63, v91
.LBB42_209:
	s_or_b32 exec_lo, exec_lo, s2
	v_lshl_add_u32 v88, v99, 4, v98
	s_barrier
	buffer_gl0_inv
	v_mov_b32_e32 v96, 10
	ds_store_2addr_b64 v88, v[52:53], v[54:55] offset1:1
	s_waitcnt lgkmcnt(0)
	s_barrier
	buffer_gl0_inv
	ds_load_2addr_b64 v[88:91], v98 offset0:20 offset1:21
	s_cmp_lt_i32 s5, 12
	s_cbranch_scc1 .LBB42_212
; %bb.210:
	v_add3_u32 v97, v47, 0, 0xb0
	v_mov_b32_e32 v96, 10
	s_mov_b32 s6, 11
	s_set_inst_prefetch_distance 0x1
	.p2align	6
.LBB42_211:                             ; =>This Inner Loop Header: Depth=1
	ds_load_2addr_b64 v[105:108], v97 offset1:1
	s_waitcnt lgkmcnt(1)
	v_cmp_gt_f64_e32 vcc_lo, 0, v[88:89]
	v_xor_b32_e32 v92, 0x80000000, v89
	v_cmp_gt_f64_e64 s2, 0, v[90:91]
	v_xor_b32_e32 v94, 0x80000000, v91
	v_add_nc_u32_e32 v97, 16, v97
	s_waitcnt lgkmcnt(0)
	v_cmp_gt_f64_e64 s3, 0, v[105:106]
	v_mov_b32_e32 v109, v105
	v_mov_b32_e32 v111, v107
	v_cndmask_b32_e32 v93, v89, v92, vcc_lo
	v_xor_b32_e32 v92, 0x80000000, v106
	v_cndmask_b32_e64 v95, v91, v94, s2
	v_xor_b32_e32 v94, 0x80000000, v108
	s_delay_alu instid0(VALU_DEP_3) | instskip(SKIP_2) | instid1(VALU_DEP_2)
	v_cndmask_b32_e64 v110, v106, v92, s3
	v_cmp_gt_f64_e64 s3, 0, v[107:108]
	v_cndmask_b32_e32 v92, v88, v88, vcc_lo
	v_cndmask_b32_e64 v112, v108, v94, s3
	v_cndmask_b32_e64 v94, v90, v90, s2
	s_delay_alu instid0(VALU_DEP_2) | instskip(NEXT) | instid1(VALU_DEP_2)
	v_add_f64 v[109:110], v[109:110], v[111:112]
	v_add_f64 v[92:93], v[92:93], v[94:95]
	s_delay_alu instid0(VALU_DEP_1) | instskip(SKIP_4) | instid1(SALU_CYCLE_1)
	v_cmp_lt_f64_e32 vcc_lo, v[92:93], v[109:110]
	v_dual_cndmask_b32 v88, v88, v105 :: v_dual_cndmask_b32 v89, v89, v106
	v_dual_cndmask_b32 v91, v91, v108 :: v_dual_cndmask_b32 v90, v90, v107
	v_cndmask_b32_e64 v96, v96, s6, vcc_lo
	s_add_i32 s6, s6, 1
	s_cmp_lg_u32 s5, s6
	s_cbranch_scc1 .LBB42_211
.LBB42_212:
	s_set_inst_prefetch_distance 0x2
	s_waitcnt lgkmcnt(0)
	v_cmp_eq_f64_e32 vcc_lo, 0, v[88:89]
	v_cmp_eq_f64_e64 s2, 0, v[90:91]
	s_delay_alu instid0(VALU_DEP_1) | instskip(NEXT) | instid1(SALU_CYCLE_1)
	s_and_b32 s2, vcc_lo, s2
	s_and_saveexec_b32 s3, s2
	s_delay_alu instid0(SALU_CYCLE_1)
	s_xor_b32 s2, exec_lo, s3
; %bb.213:
	v_cmp_ne_u32_e32 vcc_lo, 0, v46
	v_cndmask_b32_e32 v46, 11, v46, vcc_lo
; %bb.214:
	s_and_not1_saveexec_b32 s3, s2
	s_cbranch_execz .LBB42_220
; %bb.215:
	v_cmp_gt_f64_e32 vcc_lo, 0, v[88:89]
	v_cmp_gt_f64_e64 s2, 0, v[90:91]
	v_xor_b32_e32 v92, 0x80000000, v89
	v_xor_b32_e32 v94, 0x80000000, v91
	s_delay_alu instid0(VALU_DEP_2) | instskip(NEXT) | instid1(VALU_DEP_2)
	v_cndmask_b32_e32 v93, v89, v92, vcc_lo
	v_cndmask_b32_e64 v95, v91, v94, s2
	v_cndmask_b32_e32 v92, v88, v88, vcc_lo
	v_cndmask_b32_e64 v94, v90, v90, s2
	s_mov_b32 s2, exec_lo
	s_delay_alu instid0(VALU_DEP_1)
	v_cmpx_ngt_f64_e32 v[92:93], v[94:95]
	s_xor_b32 s2, exec_lo, s2
	s_cbranch_execz .LBB42_217
; %bb.216:
	v_div_scale_f64 v[92:93], null, v[90:91], v[90:91], v[88:89]
	v_div_scale_f64 v[107:108], vcc_lo, v[88:89], v[90:91], v[88:89]
	s_delay_alu instid0(VALU_DEP_2) | instskip(SKIP_2) | instid1(VALU_DEP_1)
	v_rcp_f64_e32 v[94:95], v[92:93]
	s_waitcnt_depctr 0xfff
	v_fma_f64 v[105:106], -v[92:93], v[94:95], 1.0
	v_fma_f64 v[94:95], v[94:95], v[105:106], v[94:95]
	s_delay_alu instid0(VALU_DEP_1) | instskip(NEXT) | instid1(VALU_DEP_1)
	v_fma_f64 v[105:106], -v[92:93], v[94:95], 1.0
	v_fma_f64 v[94:95], v[94:95], v[105:106], v[94:95]
	s_delay_alu instid0(VALU_DEP_1) | instskip(NEXT) | instid1(VALU_DEP_1)
	v_mul_f64 v[105:106], v[107:108], v[94:95]
	v_fma_f64 v[92:93], -v[92:93], v[105:106], v[107:108]
	s_delay_alu instid0(VALU_DEP_1) | instskip(NEXT) | instid1(VALU_DEP_1)
	v_div_fmas_f64 v[92:93], v[92:93], v[94:95], v[105:106]
	v_div_fixup_f64 v[92:93], v[92:93], v[90:91], v[88:89]
	s_delay_alu instid0(VALU_DEP_1) | instskip(NEXT) | instid1(VALU_DEP_1)
	v_fma_f64 v[88:89], v[88:89], v[92:93], v[90:91]
	v_div_scale_f64 v[90:91], null, v[88:89], v[88:89], 1.0
	s_delay_alu instid0(VALU_DEP_1) | instskip(SKIP_2) | instid1(VALU_DEP_1)
	v_rcp_f64_e32 v[94:95], v[90:91]
	s_waitcnt_depctr 0xfff
	v_fma_f64 v[105:106], -v[90:91], v[94:95], 1.0
	v_fma_f64 v[94:95], v[94:95], v[105:106], v[94:95]
	s_delay_alu instid0(VALU_DEP_1) | instskip(NEXT) | instid1(VALU_DEP_1)
	v_fma_f64 v[105:106], -v[90:91], v[94:95], 1.0
	v_fma_f64 v[94:95], v[94:95], v[105:106], v[94:95]
	v_div_scale_f64 v[105:106], vcc_lo, 1.0, v[88:89], 1.0
	s_delay_alu instid0(VALU_DEP_1) | instskip(NEXT) | instid1(VALU_DEP_1)
	v_mul_f64 v[107:108], v[105:106], v[94:95]
	v_fma_f64 v[90:91], -v[90:91], v[107:108], v[105:106]
	s_delay_alu instid0(VALU_DEP_1) | instskip(NEXT) | instid1(VALU_DEP_1)
	v_div_fmas_f64 v[90:91], v[90:91], v[94:95], v[107:108]
	v_div_fixup_f64 v[90:91], v[90:91], v[88:89], 1.0
	s_delay_alu instid0(VALU_DEP_1)
	v_mul_f64 v[88:89], v[92:93], v[90:91]
	v_xor_b32_e32 v91, 0x80000000, v91
.LBB42_217:
	s_and_not1_saveexec_b32 s2, s2
	s_cbranch_execz .LBB42_219
; %bb.218:
	s_delay_alu instid0(VALU_DEP_1) | instskip(SKIP_1) | instid1(VALU_DEP_2)
	v_div_scale_f64 v[92:93], null, v[88:89], v[88:89], v[90:91]
	v_div_scale_f64 v[107:108], vcc_lo, v[90:91], v[88:89], v[90:91]
	v_rcp_f64_e32 v[94:95], v[92:93]
	s_waitcnt_depctr 0xfff
	v_fma_f64 v[105:106], -v[92:93], v[94:95], 1.0
	s_delay_alu instid0(VALU_DEP_1) | instskip(NEXT) | instid1(VALU_DEP_1)
	v_fma_f64 v[94:95], v[94:95], v[105:106], v[94:95]
	v_fma_f64 v[105:106], -v[92:93], v[94:95], 1.0
	s_delay_alu instid0(VALU_DEP_1) | instskip(NEXT) | instid1(VALU_DEP_1)
	v_fma_f64 v[94:95], v[94:95], v[105:106], v[94:95]
	v_mul_f64 v[105:106], v[107:108], v[94:95]
	s_delay_alu instid0(VALU_DEP_1) | instskip(NEXT) | instid1(VALU_DEP_1)
	v_fma_f64 v[92:93], -v[92:93], v[105:106], v[107:108]
	v_div_fmas_f64 v[92:93], v[92:93], v[94:95], v[105:106]
	s_delay_alu instid0(VALU_DEP_1) | instskip(NEXT) | instid1(VALU_DEP_1)
	v_div_fixup_f64 v[92:93], v[92:93], v[88:89], v[90:91]
	v_fma_f64 v[88:89], v[90:91], v[92:93], v[88:89]
	s_delay_alu instid0(VALU_DEP_1) | instskip(NEXT) | instid1(VALU_DEP_1)
	v_div_scale_f64 v[90:91], null, v[88:89], v[88:89], 1.0
	v_rcp_f64_e32 v[94:95], v[90:91]
	s_waitcnt_depctr 0xfff
	v_fma_f64 v[105:106], -v[90:91], v[94:95], 1.0
	s_delay_alu instid0(VALU_DEP_1) | instskip(NEXT) | instid1(VALU_DEP_1)
	v_fma_f64 v[94:95], v[94:95], v[105:106], v[94:95]
	v_fma_f64 v[105:106], -v[90:91], v[94:95], 1.0
	s_delay_alu instid0(VALU_DEP_1) | instskip(SKIP_1) | instid1(VALU_DEP_1)
	v_fma_f64 v[94:95], v[94:95], v[105:106], v[94:95]
	v_div_scale_f64 v[105:106], vcc_lo, 1.0, v[88:89], 1.0
	v_mul_f64 v[107:108], v[105:106], v[94:95]
	s_delay_alu instid0(VALU_DEP_1) | instskip(NEXT) | instid1(VALU_DEP_1)
	v_fma_f64 v[90:91], -v[90:91], v[107:108], v[105:106]
	v_div_fmas_f64 v[90:91], v[90:91], v[94:95], v[107:108]
	s_delay_alu instid0(VALU_DEP_1) | instskip(NEXT) | instid1(VALU_DEP_1)
	v_div_fixup_f64 v[88:89], v[90:91], v[88:89], 1.0
	v_mul_f64 v[90:91], v[92:93], -v[88:89]
.LBB42_219:
	s_or_b32 exec_lo, exec_lo, s2
.LBB42_220:
	s_delay_alu instid0(SALU_CYCLE_1) | instskip(NEXT) | instid1(SALU_CYCLE_1)
	s_or_b32 exec_lo, exec_lo, s3
	s_mov_b32 s2, exec_lo
	v_cmpx_ne_u32_e64 v99, v96
	s_xor_b32 s2, exec_lo, s2
	s_cbranch_execz .LBB42_226
; %bb.221:
	s_mov_b32 s3, exec_lo
	v_cmpx_eq_u32_e32 10, v99
	s_cbranch_execz .LBB42_225
; %bb.222:
	v_cmp_ne_u32_e32 vcc_lo, 10, v96
	s_xor_b32 s6, s4, -1
	s_delay_alu instid0(SALU_CYCLE_1) | instskip(NEXT) | instid1(SALU_CYCLE_1)
	s_and_b32 s7, s6, vcc_lo
	s_and_saveexec_b32 s6, s7
	s_cbranch_execz .LBB42_224
; %bb.223:
	v_ashrrev_i32_e32 v97, 31, v96
	s_delay_alu instid0(VALU_DEP_1) | instskip(NEXT) | instid1(VALU_DEP_1)
	v_lshlrev_b64 v[92:93], 2, v[96:97]
	v_add_co_u32 v92, vcc_lo, v44, v92
	s_delay_alu instid0(VALU_DEP_2)
	v_add_co_ci_u32_e32 v93, vcc_lo, v45, v93, vcc_lo
	s_clause 0x1
	flat_load_b32 v94, v[92:93]
	flat_load_b32 v95, v[44:45] offset:40
	s_waitcnt vmcnt(1) lgkmcnt(1)
	flat_store_b32 v[44:45], v94 offset:40
	s_waitcnt vmcnt(0) lgkmcnt(1)
	flat_store_b32 v[92:93], v95
.LBB42_224:
	s_or_b32 exec_lo, exec_lo, s6
	v_mov_b32_e32 v99, v96
	v_mov_b32_e32 v255, v96
.LBB42_225:
	s_or_b32 exec_lo, exec_lo, s3
.LBB42_226:
	s_and_not1_saveexec_b32 s2, s2
	s_cbranch_execz .LBB42_228
; %bb.227:
	v_mov_b32_e32 v99, 10
	ds_store_2addr_b64 v98, v[48:49], v[50:51] offset0:22 offset1:23
	ds_store_2addr_b64 v98, v[32:33], v[34:35] offset0:24 offset1:25
	;; [unrolled: 1-line block ×11, first 2 shown]
.LBB42_228:
	s_or_b32 exec_lo, exec_lo, s2
	s_delay_alu instid0(SALU_CYCLE_1)
	s_mov_b32 s2, exec_lo
	s_waitcnt lgkmcnt(0)
	s_waitcnt_vscnt null, 0x0
	s_barrier
	buffer_gl0_inv
	v_cmpx_lt_i32_e32 10, v99
	s_cbranch_execz .LBB42_230
; %bb.229:
	v_mul_f64 v[92:93], v[88:89], v[54:55]
	v_mul_f64 v[54:55], v[90:91], v[54:55]
	ds_load_2addr_b64 v[105:108], v98 offset0:22 offset1:23
	ds_load_2addr_b64 v[109:112], v98 offset0:24 offset1:25
	ds_load_2addr_b64 v[113:116], v98 offset0:26 offset1:27
	ds_load_2addr_b64 v[117:120], v98 offset0:28 offset1:29
	ds_load_2addr_b64 v[121:124], v98 offset0:30 offset1:31
	ds_load_2addr_b64 v[125:128], v98 offset0:32 offset1:33
	ds_load_2addr_b64 v[129:132], v98 offset0:34 offset1:35
	ds_load_2addr_b64 v[133:136], v98 offset0:36 offset1:37
	ds_load_2addr_b64 v[137:140], v98 offset0:38 offset1:39
	ds_load_2addr_b64 v[141:144], v98 offset0:40 offset1:41
	ds_load_2addr_b64 v[145:148], v98 offset0:42 offset1:43
	v_fma_f64 v[90:91], v[90:91], v[52:53], v[92:93]
	v_fma_f64 v[52:53], v[88:89], v[52:53], -v[54:55]
	s_waitcnt lgkmcnt(10)
	s_delay_alu instid0(VALU_DEP_2)
	v_mul_f64 v[54:55], v[107:108], v[90:91]
	v_mul_f64 v[88:89], v[105:106], v[90:91]
	s_waitcnt lgkmcnt(9)
	v_mul_f64 v[92:93], v[111:112], v[90:91]
	v_mul_f64 v[94:95], v[109:110], v[90:91]
	s_waitcnt lgkmcnt(8)
	;; [unrolled: 3-line block ×10, first 2 shown]
	v_mul_f64 v[179:180], v[147:148], v[90:91]
	v_mul_f64 v[181:182], v[145:146], v[90:91]
	v_fma_f64 v[54:55], v[105:106], v[52:53], -v[54:55]
	v_fma_f64 v[88:89], v[107:108], v[52:53], v[88:89]
	v_fma_f64 v[92:93], v[109:110], v[52:53], -v[92:93]
	v_fma_f64 v[94:95], v[111:112], v[52:53], v[94:95]
	;; [unrolled: 2-line block ×11, first 2 shown]
	v_add_f64 v[48:49], v[48:49], -v[54:55]
	v_add_f64 v[50:51], v[50:51], -v[88:89]
	;; [unrolled: 1-line block ×22, first 2 shown]
	v_dual_mov_b32 v54, v90 :: v_dual_mov_b32 v55, v91
.LBB42_230:
	s_or_b32 exec_lo, exec_lo, s2
	v_lshl_add_u32 v88, v99, 4, v98
	s_barrier
	buffer_gl0_inv
	v_mov_b32_e32 v96, 11
	ds_store_2addr_b64 v88, v[48:49], v[50:51] offset1:1
	s_waitcnt lgkmcnt(0)
	s_barrier
	buffer_gl0_inv
	ds_load_2addr_b64 v[88:91], v98 offset0:22 offset1:23
	s_cmp_lt_i32 s5, 13
	s_cbranch_scc1 .LBB42_233
; %bb.231:
	v_add3_u32 v97, v47, 0, 0xc0
	v_mov_b32_e32 v96, 11
	s_mov_b32 s6, 12
	s_set_inst_prefetch_distance 0x1
	.p2align	6
.LBB42_232:                             ; =>This Inner Loop Header: Depth=1
	ds_load_2addr_b64 v[105:108], v97 offset1:1
	s_waitcnt lgkmcnt(1)
	v_cmp_gt_f64_e32 vcc_lo, 0, v[88:89]
	v_xor_b32_e32 v92, 0x80000000, v89
	v_cmp_gt_f64_e64 s2, 0, v[90:91]
	v_xor_b32_e32 v94, 0x80000000, v91
	v_add_nc_u32_e32 v97, 16, v97
	s_waitcnt lgkmcnt(0)
	v_cmp_gt_f64_e64 s3, 0, v[105:106]
	v_mov_b32_e32 v109, v105
	v_mov_b32_e32 v111, v107
	v_cndmask_b32_e32 v93, v89, v92, vcc_lo
	v_xor_b32_e32 v92, 0x80000000, v106
	v_cndmask_b32_e64 v95, v91, v94, s2
	v_xor_b32_e32 v94, 0x80000000, v108
	s_delay_alu instid0(VALU_DEP_3) | instskip(SKIP_2) | instid1(VALU_DEP_2)
	v_cndmask_b32_e64 v110, v106, v92, s3
	v_cmp_gt_f64_e64 s3, 0, v[107:108]
	v_cndmask_b32_e32 v92, v88, v88, vcc_lo
	v_cndmask_b32_e64 v112, v108, v94, s3
	v_cndmask_b32_e64 v94, v90, v90, s2
	s_delay_alu instid0(VALU_DEP_2) | instskip(NEXT) | instid1(VALU_DEP_2)
	v_add_f64 v[109:110], v[109:110], v[111:112]
	v_add_f64 v[92:93], v[92:93], v[94:95]
	s_delay_alu instid0(VALU_DEP_1) | instskip(SKIP_4) | instid1(SALU_CYCLE_1)
	v_cmp_lt_f64_e32 vcc_lo, v[92:93], v[109:110]
	v_dual_cndmask_b32 v88, v88, v105 :: v_dual_cndmask_b32 v89, v89, v106
	v_dual_cndmask_b32 v91, v91, v108 :: v_dual_cndmask_b32 v90, v90, v107
	v_cndmask_b32_e64 v96, v96, s6, vcc_lo
	s_add_i32 s6, s6, 1
	s_cmp_lg_u32 s5, s6
	s_cbranch_scc1 .LBB42_232
.LBB42_233:
	s_set_inst_prefetch_distance 0x2
	s_waitcnt lgkmcnt(0)
	v_cmp_eq_f64_e32 vcc_lo, 0, v[88:89]
	v_cmp_eq_f64_e64 s2, 0, v[90:91]
	s_delay_alu instid0(VALU_DEP_1) | instskip(NEXT) | instid1(SALU_CYCLE_1)
	s_and_b32 s2, vcc_lo, s2
	s_and_saveexec_b32 s3, s2
	s_delay_alu instid0(SALU_CYCLE_1)
	s_xor_b32 s2, exec_lo, s3
; %bb.234:
	v_cmp_ne_u32_e32 vcc_lo, 0, v46
	v_cndmask_b32_e32 v46, 12, v46, vcc_lo
; %bb.235:
	s_and_not1_saveexec_b32 s3, s2
	s_cbranch_execz .LBB42_241
; %bb.236:
	v_cmp_gt_f64_e32 vcc_lo, 0, v[88:89]
	v_cmp_gt_f64_e64 s2, 0, v[90:91]
	v_xor_b32_e32 v92, 0x80000000, v89
	v_xor_b32_e32 v94, 0x80000000, v91
	s_delay_alu instid0(VALU_DEP_2) | instskip(NEXT) | instid1(VALU_DEP_2)
	v_cndmask_b32_e32 v93, v89, v92, vcc_lo
	v_cndmask_b32_e64 v95, v91, v94, s2
	v_cndmask_b32_e32 v92, v88, v88, vcc_lo
	v_cndmask_b32_e64 v94, v90, v90, s2
	s_mov_b32 s2, exec_lo
	s_delay_alu instid0(VALU_DEP_1)
	v_cmpx_ngt_f64_e32 v[92:93], v[94:95]
	s_xor_b32 s2, exec_lo, s2
	s_cbranch_execz .LBB42_238
; %bb.237:
	v_div_scale_f64 v[92:93], null, v[90:91], v[90:91], v[88:89]
	v_div_scale_f64 v[107:108], vcc_lo, v[88:89], v[90:91], v[88:89]
	s_delay_alu instid0(VALU_DEP_2) | instskip(SKIP_2) | instid1(VALU_DEP_1)
	v_rcp_f64_e32 v[94:95], v[92:93]
	s_waitcnt_depctr 0xfff
	v_fma_f64 v[105:106], -v[92:93], v[94:95], 1.0
	v_fma_f64 v[94:95], v[94:95], v[105:106], v[94:95]
	s_delay_alu instid0(VALU_DEP_1) | instskip(NEXT) | instid1(VALU_DEP_1)
	v_fma_f64 v[105:106], -v[92:93], v[94:95], 1.0
	v_fma_f64 v[94:95], v[94:95], v[105:106], v[94:95]
	s_delay_alu instid0(VALU_DEP_1) | instskip(NEXT) | instid1(VALU_DEP_1)
	v_mul_f64 v[105:106], v[107:108], v[94:95]
	v_fma_f64 v[92:93], -v[92:93], v[105:106], v[107:108]
	s_delay_alu instid0(VALU_DEP_1) | instskip(NEXT) | instid1(VALU_DEP_1)
	v_div_fmas_f64 v[92:93], v[92:93], v[94:95], v[105:106]
	v_div_fixup_f64 v[92:93], v[92:93], v[90:91], v[88:89]
	s_delay_alu instid0(VALU_DEP_1) | instskip(NEXT) | instid1(VALU_DEP_1)
	v_fma_f64 v[88:89], v[88:89], v[92:93], v[90:91]
	v_div_scale_f64 v[90:91], null, v[88:89], v[88:89], 1.0
	s_delay_alu instid0(VALU_DEP_1) | instskip(SKIP_2) | instid1(VALU_DEP_1)
	v_rcp_f64_e32 v[94:95], v[90:91]
	s_waitcnt_depctr 0xfff
	v_fma_f64 v[105:106], -v[90:91], v[94:95], 1.0
	v_fma_f64 v[94:95], v[94:95], v[105:106], v[94:95]
	s_delay_alu instid0(VALU_DEP_1) | instskip(NEXT) | instid1(VALU_DEP_1)
	v_fma_f64 v[105:106], -v[90:91], v[94:95], 1.0
	v_fma_f64 v[94:95], v[94:95], v[105:106], v[94:95]
	v_div_scale_f64 v[105:106], vcc_lo, 1.0, v[88:89], 1.0
	s_delay_alu instid0(VALU_DEP_1) | instskip(NEXT) | instid1(VALU_DEP_1)
	v_mul_f64 v[107:108], v[105:106], v[94:95]
	v_fma_f64 v[90:91], -v[90:91], v[107:108], v[105:106]
	s_delay_alu instid0(VALU_DEP_1) | instskip(NEXT) | instid1(VALU_DEP_1)
	v_div_fmas_f64 v[90:91], v[90:91], v[94:95], v[107:108]
	v_div_fixup_f64 v[90:91], v[90:91], v[88:89], 1.0
	s_delay_alu instid0(VALU_DEP_1)
	v_mul_f64 v[88:89], v[92:93], v[90:91]
	v_xor_b32_e32 v91, 0x80000000, v91
.LBB42_238:
	s_and_not1_saveexec_b32 s2, s2
	s_cbranch_execz .LBB42_240
; %bb.239:
	s_delay_alu instid0(VALU_DEP_1) | instskip(SKIP_1) | instid1(VALU_DEP_2)
	v_div_scale_f64 v[92:93], null, v[88:89], v[88:89], v[90:91]
	v_div_scale_f64 v[107:108], vcc_lo, v[90:91], v[88:89], v[90:91]
	v_rcp_f64_e32 v[94:95], v[92:93]
	s_waitcnt_depctr 0xfff
	v_fma_f64 v[105:106], -v[92:93], v[94:95], 1.0
	s_delay_alu instid0(VALU_DEP_1) | instskip(NEXT) | instid1(VALU_DEP_1)
	v_fma_f64 v[94:95], v[94:95], v[105:106], v[94:95]
	v_fma_f64 v[105:106], -v[92:93], v[94:95], 1.0
	s_delay_alu instid0(VALU_DEP_1) | instskip(NEXT) | instid1(VALU_DEP_1)
	v_fma_f64 v[94:95], v[94:95], v[105:106], v[94:95]
	v_mul_f64 v[105:106], v[107:108], v[94:95]
	s_delay_alu instid0(VALU_DEP_1) | instskip(NEXT) | instid1(VALU_DEP_1)
	v_fma_f64 v[92:93], -v[92:93], v[105:106], v[107:108]
	v_div_fmas_f64 v[92:93], v[92:93], v[94:95], v[105:106]
	s_delay_alu instid0(VALU_DEP_1) | instskip(NEXT) | instid1(VALU_DEP_1)
	v_div_fixup_f64 v[92:93], v[92:93], v[88:89], v[90:91]
	v_fma_f64 v[88:89], v[90:91], v[92:93], v[88:89]
	s_delay_alu instid0(VALU_DEP_1) | instskip(NEXT) | instid1(VALU_DEP_1)
	v_div_scale_f64 v[90:91], null, v[88:89], v[88:89], 1.0
	v_rcp_f64_e32 v[94:95], v[90:91]
	s_waitcnt_depctr 0xfff
	v_fma_f64 v[105:106], -v[90:91], v[94:95], 1.0
	s_delay_alu instid0(VALU_DEP_1) | instskip(NEXT) | instid1(VALU_DEP_1)
	v_fma_f64 v[94:95], v[94:95], v[105:106], v[94:95]
	v_fma_f64 v[105:106], -v[90:91], v[94:95], 1.0
	s_delay_alu instid0(VALU_DEP_1) | instskip(SKIP_1) | instid1(VALU_DEP_1)
	v_fma_f64 v[94:95], v[94:95], v[105:106], v[94:95]
	v_div_scale_f64 v[105:106], vcc_lo, 1.0, v[88:89], 1.0
	v_mul_f64 v[107:108], v[105:106], v[94:95]
	s_delay_alu instid0(VALU_DEP_1) | instskip(NEXT) | instid1(VALU_DEP_1)
	v_fma_f64 v[90:91], -v[90:91], v[107:108], v[105:106]
	v_div_fmas_f64 v[90:91], v[90:91], v[94:95], v[107:108]
	s_delay_alu instid0(VALU_DEP_1) | instskip(NEXT) | instid1(VALU_DEP_1)
	v_div_fixup_f64 v[88:89], v[90:91], v[88:89], 1.0
	v_mul_f64 v[90:91], v[92:93], -v[88:89]
.LBB42_240:
	s_or_b32 exec_lo, exec_lo, s2
.LBB42_241:
	s_delay_alu instid0(SALU_CYCLE_1) | instskip(NEXT) | instid1(SALU_CYCLE_1)
	s_or_b32 exec_lo, exec_lo, s3
	s_mov_b32 s2, exec_lo
	v_cmpx_ne_u32_e64 v99, v96
	s_xor_b32 s2, exec_lo, s2
	s_cbranch_execz .LBB42_247
; %bb.242:
	s_mov_b32 s3, exec_lo
	v_cmpx_eq_u32_e32 11, v99
	s_cbranch_execz .LBB42_246
; %bb.243:
	v_cmp_ne_u32_e32 vcc_lo, 11, v96
	s_xor_b32 s6, s4, -1
	s_delay_alu instid0(SALU_CYCLE_1) | instskip(NEXT) | instid1(SALU_CYCLE_1)
	s_and_b32 s7, s6, vcc_lo
	s_and_saveexec_b32 s6, s7
	s_cbranch_execz .LBB42_245
; %bb.244:
	v_ashrrev_i32_e32 v97, 31, v96
	s_delay_alu instid0(VALU_DEP_1) | instskip(NEXT) | instid1(VALU_DEP_1)
	v_lshlrev_b64 v[92:93], 2, v[96:97]
	v_add_co_u32 v92, vcc_lo, v44, v92
	s_delay_alu instid0(VALU_DEP_2)
	v_add_co_ci_u32_e32 v93, vcc_lo, v45, v93, vcc_lo
	s_clause 0x1
	flat_load_b32 v94, v[92:93]
	flat_load_b32 v95, v[44:45] offset:44
	s_waitcnt vmcnt(1) lgkmcnt(1)
	flat_store_b32 v[44:45], v94 offset:44
	s_waitcnt vmcnt(0) lgkmcnt(1)
	flat_store_b32 v[92:93], v95
.LBB42_245:
	s_or_b32 exec_lo, exec_lo, s6
	v_mov_b32_e32 v99, v96
	v_mov_b32_e32 v255, v96
.LBB42_246:
	s_or_b32 exec_lo, exec_lo, s3
.LBB42_247:
	s_and_not1_saveexec_b32 s2, s2
	s_cbranch_execz .LBB42_249
; %bb.248:
	v_mov_b32_e32 v99, 11
	ds_store_2addr_b64 v98, v[32:33], v[34:35] offset0:24 offset1:25
	ds_store_2addr_b64 v98, v[28:29], v[30:31] offset0:26 offset1:27
	;; [unrolled: 1-line block ×10, first 2 shown]
.LBB42_249:
	s_or_b32 exec_lo, exec_lo, s2
	s_delay_alu instid0(SALU_CYCLE_1)
	s_mov_b32 s2, exec_lo
	s_waitcnt lgkmcnt(0)
	s_waitcnt_vscnt null, 0x0
	s_barrier
	buffer_gl0_inv
	v_cmpx_lt_i32_e32 11, v99
	s_cbranch_execz .LBB42_251
; %bb.250:
	v_mul_f64 v[92:93], v[88:89], v[50:51]
	v_mul_f64 v[50:51], v[90:91], v[50:51]
	ds_load_2addr_b64 v[105:108], v98 offset0:24 offset1:25
	ds_load_2addr_b64 v[109:112], v98 offset0:26 offset1:27
	;; [unrolled: 1-line block ×10, first 2 shown]
	v_fma_f64 v[90:91], v[90:91], v[48:49], v[92:93]
	v_fma_f64 v[48:49], v[88:89], v[48:49], -v[50:51]
	s_waitcnt lgkmcnt(9)
	s_delay_alu instid0(VALU_DEP_2)
	v_mul_f64 v[50:51], v[107:108], v[90:91]
	v_mul_f64 v[88:89], v[105:106], v[90:91]
	s_waitcnt lgkmcnt(8)
	v_mul_f64 v[92:93], v[111:112], v[90:91]
	v_mul_f64 v[94:95], v[109:110], v[90:91]
	s_waitcnt lgkmcnt(7)
	;; [unrolled: 3-line block ×9, first 2 shown]
	v_mul_f64 v[171:172], v[143:144], v[90:91]
	v_mul_f64 v[173:174], v[141:142], v[90:91]
	v_fma_f64 v[50:51], v[105:106], v[48:49], -v[50:51]
	v_fma_f64 v[88:89], v[107:108], v[48:49], v[88:89]
	v_fma_f64 v[92:93], v[109:110], v[48:49], -v[92:93]
	v_fma_f64 v[94:95], v[111:112], v[48:49], v[94:95]
	;; [unrolled: 2-line block ×10, first 2 shown]
	v_add_f64 v[32:33], v[32:33], -v[50:51]
	v_add_f64 v[34:35], v[34:35], -v[88:89]
	;; [unrolled: 1-line block ×20, first 2 shown]
	v_dual_mov_b32 v50, v90 :: v_dual_mov_b32 v51, v91
.LBB42_251:
	s_or_b32 exec_lo, exec_lo, s2
	v_lshl_add_u32 v88, v99, 4, v98
	s_barrier
	buffer_gl0_inv
	v_mov_b32_e32 v96, 12
	ds_store_2addr_b64 v88, v[32:33], v[34:35] offset1:1
	s_waitcnt lgkmcnt(0)
	s_barrier
	buffer_gl0_inv
	ds_load_2addr_b64 v[88:91], v98 offset0:24 offset1:25
	s_cmp_lt_i32 s5, 14
	s_cbranch_scc1 .LBB42_254
; %bb.252:
	v_add3_u32 v97, v47, 0, 0xd0
	v_mov_b32_e32 v96, 12
	s_mov_b32 s6, 13
	s_set_inst_prefetch_distance 0x1
	.p2align	6
.LBB42_253:                             ; =>This Inner Loop Header: Depth=1
	ds_load_2addr_b64 v[105:108], v97 offset1:1
	s_waitcnt lgkmcnt(1)
	v_cmp_gt_f64_e32 vcc_lo, 0, v[88:89]
	v_xor_b32_e32 v92, 0x80000000, v89
	v_cmp_gt_f64_e64 s2, 0, v[90:91]
	v_xor_b32_e32 v94, 0x80000000, v91
	v_add_nc_u32_e32 v97, 16, v97
	s_waitcnt lgkmcnt(0)
	v_cmp_gt_f64_e64 s3, 0, v[105:106]
	v_mov_b32_e32 v109, v105
	v_mov_b32_e32 v111, v107
	v_cndmask_b32_e32 v93, v89, v92, vcc_lo
	v_xor_b32_e32 v92, 0x80000000, v106
	v_cndmask_b32_e64 v95, v91, v94, s2
	v_xor_b32_e32 v94, 0x80000000, v108
	s_delay_alu instid0(VALU_DEP_3) | instskip(SKIP_2) | instid1(VALU_DEP_2)
	v_cndmask_b32_e64 v110, v106, v92, s3
	v_cmp_gt_f64_e64 s3, 0, v[107:108]
	v_cndmask_b32_e32 v92, v88, v88, vcc_lo
	v_cndmask_b32_e64 v112, v108, v94, s3
	v_cndmask_b32_e64 v94, v90, v90, s2
	s_delay_alu instid0(VALU_DEP_2) | instskip(NEXT) | instid1(VALU_DEP_2)
	v_add_f64 v[109:110], v[109:110], v[111:112]
	v_add_f64 v[92:93], v[92:93], v[94:95]
	s_delay_alu instid0(VALU_DEP_1) | instskip(SKIP_4) | instid1(SALU_CYCLE_1)
	v_cmp_lt_f64_e32 vcc_lo, v[92:93], v[109:110]
	v_dual_cndmask_b32 v88, v88, v105 :: v_dual_cndmask_b32 v89, v89, v106
	v_dual_cndmask_b32 v91, v91, v108 :: v_dual_cndmask_b32 v90, v90, v107
	v_cndmask_b32_e64 v96, v96, s6, vcc_lo
	s_add_i32 s6, s6, 1
	s_cmp_lg_u32 s5, s6
	s_cbranch_scc1 .LBB42_253
.LBB42_254:
	s_set_inst_prefetch_distance 0x2
	s_waitcnt lgkmcnt(0)
	v_cmp_eq_f64_e32 vcc_lo, 0, v[88:89]
	v_cmp_eq_f64_e64 s2, 0, v[90:91]
	s_delay_alu instid0(VALU_DEP_1) | instskip(NEXT) | instid1(SALU_CYCLE_1)
	s_and_b32 s2, vcc_lo, s2
	s_and_saveexec_b32 s3, s2
	s_delay_alu instid0(SALU_CYCLE_1)
	s_xor_b32 s2, exec_lo, s3
; %bb.255:
	v_cmp_ne_u32_e32 vcc_lo, 0, v46
	v_cndmask_b32_e32 v46, 13, v46, vcc_lo
; %bb.256:
	s_and_not1_saveexec_b32 s3, s2
	s_cbranch_execz .LBB42_262
; %bb.257:
	v_cmp_gt_f64_e32 vcc_lo, 0, v[88:89]
	v_cmp_gt_f64_e64 s2, 0, v[90:91]
	v_xor_b32_e32 v92, 0x80000000, v89
	v_xor_b32_e32 v94, 0x80000000, v91
	s_delay_alu instid0(VALU_DEP_2) | instskip(NEXT) | instid1(VALU_DEP_2)
	v_cndmask_b32_e32 v93, v89, v92, vcc_lo
	v_cndmask_b32_e64 v95, v91, v94, s2
	v_cndmask_b32_e32 v92, v88, v88, vcc_lo
	v_cndmask_b32_e64 v94, v90, v90, s2
	s_mov_b32 s2, exec_lo
	s_delay_alu instid0(VALU_DEP_1)
	v_cmpx_ngt_f64_e32 v[92:93], v[94:95]
	s_xor_b32 s2, exec_lo, s2
	s_cbranch_execz .LBB42_259
; %bb.258:
	v_div_scale_f64 v[92:93], null, v[90:91], v[90:91], v[88:89]
	v_div_scale_f64 v[107:108], vcc_lo, v[88:89], v[90:91], v[88:89]
	s_delay_alu instid0(VALU_DEP_2) | instskip(SKIP_2) | instid1(VALU_DEP_1)
	v_rcp_f64_e32 v[94:95], v[92:93]
	s_waitcnt_depctr 0xfff
	v_fma_f64 v[105:106], -v[92:93], v[94:95], 1.0
	v_fma_f64 v[94:95], v[94:95], v[105:106], v[94:95]
	s_delay_alu instid0(VALU_DEP_1) | instskip(NEXT) | instid1(VALU_DEP_1)
	v_fma_f64 v[105:106], -v[92:93], v[94:95], 1.0
	v_fma_f64 v[94:95], v[94:95], v[105:106], v[94:95]
	s_delay_alu instid0(VALU_DEP_1) | instskip(NEXT) | instid1(VALU_DEP_1)
	v_mul_f64 v[105:106], v[107:108], v[94:95]
	v_fma_f64 v[92:93], -v[92:93], v[105:106], v[107:108]
	s_delay_alu instid0(VALU_DEP_1) | instskip(NEXT) | instid1(VALU_DEP_1)
	v_div_fmas_f64 v[92:93], v[92:93], v[94:95], v[105:106]
	v_div_fixup_f64 v[92:93], v[92:93], v[90:91], v[88:89]
	s_delay_alu instid0(VALU_DEP_1) | instskip(NEXT) | instid1(VALU_DEP_1)
	v_fma_f64 v[88:89], v[88:89], v[92:93], v[90:91]
	v_div_scale_f64 v[90:91], null, v[88:89], v[88:89], 1.0
	s_delay_alu instid0(VALU_DEP_1) | instskip(SKIP_2) | instid1(VALU_DEP_1)
	v_rcp_f64_e32 v[94:95], v[90:91]
	s_waitcnt_depctr 0xfff
	v_fma_f64 v[105:106], -v[90:91], v[94:95], 1.0
	v_fma_f64 v[94:95], v[94:95], v[105:106], v[94:95]
	s_delay_alu instid0(VALU_DEP_1) | instskip(NEXT) | instid1(VALU_DEP_1)
	v_fma_f64 v[105:106], -v[90:91], v[94:95], 1.0
	v_fma_f64 v[94:95], v[94:95], v[105:106], v[94:95]
	v_div_scale_f64 v[105:106], vcc_lo, 1.0, v[88:89], 1.0
	s_delay_alu instid0(VALU_DEP_1) | instskip(NEXT) | instid1(VALU_DEP_1)
	v_mul_f64 v[107:108], v[105:106], v[94:95]
	v_fma_f64 v[90:91], -v[90:91], v[107:108], v[105:106]
	s_delay_alu instid0(VALU_DEP_1) | instskip(NEXT) | instid1(VALU_DEP_1)
	v_div_fmas_f64 v[90:91], v[90:91], v[94:95], v[107:108]
	v_div_fixup_f64 v[90:91], v[90:91], v[88:89], 1.0
	s_delay_alu instid0(VALU_DEP_1)
	v_mul_f64 v[88:89], v[92:93], v[90:91]
	v_xor_b32_e32 v91, 0x80000000, v91
.LBB42_259:
	s_and_not1_saveexec_b32 s2, s2
	s_cbranch_execz .LBB42_261
; %bb.260:
	s_delay_alu instid0(VALU_DEP_1) | instskip(SKIP_1) | instid1(VALU_DEP_2)
	v_div_scale_f64 v[92:93], null, v[88:89], v[88:89], v[90:91]
	v_div_scale_f64 v[107:108], vcc_lo, v[90:91], v[88:89], v[90:91]
	v_rcp_f64_e32 v[94:95], v[92:93]
	s_waitcnt_depctr 0xfff
	v_fma_f64 v[105:106], -v[92:93], v[94:95], 1.0
	s_delay_alu instid0(VALU_DEP_1) | instskip(NEXT) | instid1(VALU_DEP_1)
	v_fma_f64 v[94:95], v[94:95], v[105:106], v[94:95]
	v_fma_f64 v[105:106], -v[92:93], v[94:95], 1.0
	s_delay_alu instid0(VALU_DEP_1) | instskip(NEXT) | instid1(VALU_DEP_1)
	v_fma_f64 v[94:95], v[94:95], v[105:106], v[94:95]
	v_mul_f64 v[105:106], v[107:108], v[94:95]
	s_delay_alu instid0(VALU_DEP_1) | instskip(NEXT) | instid1(VALU_DEP_1)
	v_fma_f64 v[92:93], -v[92:93], v[105:106], v[107:108]
	v_div_fmas_f64 v[92:93], v[92:93], v[94:95], v[105:106]
	s_delay_alu instid0(VALU_DEP_1) | instskip(NEXT) | instid1(VALU_DEP_1)
	v_div_fixup_f64 v[92:93], v[92:93], v[88:89], v[90:91]
	v_fma_f64 v[88:89], v[90:91], v[92:93], v[88:89]
	s_delay_alu instid0(VALU_DEP_1) | instskip(NEXT) | instid1(VALU_DEP_1)
	v_div_scale_f64 v[90:91], null, v[88:89], v[88:89], 1.0
	v_rcp_f64_e32 v[94:95], v[90:91]
	s_waitcnt_depctr 0xfff
	v_fma_f64 v[105:106], -v[90:91], v[94:95], 1.0
	s_delay_alu instid0(VALU_DEP_1) | instskip(NEXT) | instid1(VALU_DEP_1)
	v_fma_f64 v[94:95], v[94:95], v[105:106], v[94:95]
	v_fma_f64 v[105:106], -v[90:91], v[94:95], 1.0
	s_delay_alu instid0(VALU_DEP_1) | instskip(SKIP_1) | instid1(VALU_DEP_1)
	v_fma_f64 v[94:95], v[94:95], v[105:106], v[94:95]
	v_div_scale_f64 v[105:106], vcc_lo, 1.0, v[88:89], 1.0
	v_mul_f64 v[107:108], v[105:106], v[94:95]
	s_delay_alu instid0(VALU_DEP_1) | instskip(NEXT) | instid1(VALU_DEP_1)
	v_fma_f64 v[90:91], -v[90:91], v[107:108], v[105:106]
	v_div_fmas_f64 v[90:91], v[90:91], v[94:95], v[107:108]
	s_delay_alu instid0(VALU_DEP_1) | instskip(NEXT) | instid1(VALU_DEP_1)
	v_div_fixup_f64 v[88:89], v[90:91], v[88:89], 1.0
	v_mul_f64 v[90:91], v[92:93], -v[88:89]
.LBB42_261:
	s_or_b32 exec_lo, exec_lo, s2
.LBB42_262:
	s_delay_alu instid0(SALU_CYCLE_1) | instskip(NEXT) | instid1(SALU_CYCLE_1)
	s_or_b32 exec_lo, exec_lo, s3
	s_mov_b32 s2, exec_lo
	v_cmpx_ne_u32_e64 v99, v96
	s_xor_b32 s2, exec_lo, s2
	s_cbranch_execz .LBB42_268
; %bb.263:
	s_mov_b32 s3, exec_lo
	v_cmpx_eq_u32_e32 12, v99
	s_cbranch_execz .LBB42_267
; %bb.264:
	v_cmp_ne_u32_e32 vcc_lo, 12, v96
	s_xor_b32 s6, s4, -1
	s_delay_alu instid0(SALU_CYCLE_1) | instskip(NEXT) | instid1(SALU_CYCLE_1)
	s_and_b32 s7, s6, vcc_lo
	s_and_saveexec_b32 s6, s7
	s_cbranch_execz .LBB42_266
; %bb.265:
	v_ashrrev_i32_e32 v97, 31, v96
	s_delay_alu instid0(VALU_DEP_1) | instskip(NEXT) | instid1(VALU_DEP_1)
	v_lshlrev_b64 v[92:93], 2, v[96:97]
	v_add_co_u32 v92, vcc_lo, v44, v92
	s_delay_alu instid0(VALU_DEP_2)
	v_add_co_ci_u32_e32 v93, vcc_lo, v45, v93, vcc_lo
	s_clause 0x1
	flat_load_b32 v94, v[92:93]
	flat_load_b32 v95, v[44:45] offset:48
	s_waitcnt vmcnt(1) lgkmcnt(1)
	flat_store_b32 v[44:45], v94 offset:48
	s_waitcnt vmcnt(0) lgkmcnt(1)
	flat_store_b32 v[92:93], v95
.LBB42_266:
	s_or_b32 exec_lo, exec_lo, s6
	v_mov_b32_e32 v99, v96
	v_mov_b32_e32 v255, v96
.LBB42_267:
	s_or_b32 exec_lo, exec_lo, s3
.LBB42_268:
	s_and_not1_saveexec_b32 s2, s2
	s_cbranch_execz .LBB42_270
; %bb.269:
	v_mov_b32_e32 v99, 12
	ds_store_2addr_b64 v98, v[28:29], v[30:31] offset0:26 offset1:27
	ds_store_2addr_b64 v98, v[40:41], v[42:43] offset0:28 offset1:29
	;; [unrolled: 1-line block ×9, first 2 shown]
.LBB42_270:
	s_or_b32 exec_lo, exec_lo, s2
	s_delay_alu instid0(SALU_CYCLE_1)
	s_mov_b32 s2, exec_lo
	s_waitcnt lgkmcnt(0)
	s_waitcnt_vscnt null, 0x0
	s_barrier
	buffer_gl0_inv
	v_cmpx_lt_i32_e32 12, v99
	s_cbranch_execz .LBB42_272
; %bb.271:
	v_mul_f64 v[92:93], v[88:89], v[34:35]
	v_mul_f64 v[34:35], v[90:91], v[34:35]
	ds_load_2addr_b64 v[105:108], v98 offset0:26 offset1:27
	ds_load_2addr_b64 v[109:112], v98 offset0:28 offset1:29
	;; [unrolled: 1-line block ×9, first 2 shown]
	v_fma_f64 v[90:91], v[90:91], v[32:33], v[92:93]
	v_fma_f64 v[32:33], v[88:89], v[32:33], -v[34:35]
	s_waitcnt lgkmcnt(8)
	s_delay_alu instid0(VALU_DEP_2)
	v_mul_f64 v[34:35], v[107:108], v[90:91]
	v_mul_f64 v[88:89], v[105:106], v[90:91]
	s_waitcnt lgkmcnt(7)
	v_mul_f64 v[92:93], v[111:112], v[90:91]
	v_mul_f64 v[94:95], v[109:110], v[90:91]
	s_waitcnt lgkmcnt(6)
	;; [unrolled: 3-line block ×8, first 2 shown]
	v_mul_f64 v[163:164], v[139:140], v[90:91]
	v_mul_f64 v[165:166], v[137:138], v[90:91]
	v_fma_f64 v[34:35], v[105:106], v[32:33], -v[34:35]
	v_fma_f64 v[88:89], v[107:108], v[32:33], v[88:89]
	v_fma_f64 v[92:93], v[109:110], v[32:33], -v[92:93]
	v_fma_f64 v[94:95], v[111:112], v[32:33], v[94:95]
	;; [unrolled: 2-line block ×9, first 2 shown]
	v_add_f64 v[28:29], v[28:29], -v[34:35]
	v_add_f64 v[30:31], v[30:31], -v[88:89]
	v_add_f64 v[40:41], v[40:41], -v[92:93]
	v_add_f64 v[42:43], v[42:43], -v[94:95]
	v_add_f64 v[20:21], v[20:21], -v[96:97]
	v_add_f64 v[22:23], v[22:23], -v[105:106]
	v_add_f64 v[24:25], v[24:25], -v[107:108]
	v_add_f64 v[26:27], v[26:27], -v[109:110]
	v_add_f64 v[12:13], v[12:13], -v[111:112]
	v_add_f64 v[14:15], v[14:15], -v[113:114]
	v_add_f64 v[8:9], v[8:9], -v[115:116]
	v_add_f64 v[10:11], v[10:11], -v[117:118]
	v_add_f64 v[4:5], v[4:5], -v[119:120]
	v_add_f64 v[6:7], v[6:7], -v[121:122]
	v_add_f64 v[16:17], v[16:17], -v[123:124]
	v_add_f64 v[18:19], v[18:19], -v[125:126]
	v_add_f64 v[0:1], v[0:1], -v[127:128]
	v_add_f64 v[2:3], v[2:3], -v[129:130]
	v_dual_mov_b32 v34, v90 :: v_dual_mov_b32 v35, v91
.LBB42_272:
	s_or_b32 exec_lo, exec_lo, s2
	v_lshl_add_u32 v88, v99, 4, v98
	s_barrier
	buffer_gl0_inv
	v_mov_b32_e32 v96, 13
	ds_store_2addr_b64 v88, v[28:29], v[30:31] offset1:1
	s_waitcnt lgkmcnt(0)
	s_barrier
	buffer_gl0_inv
	ds_load_2addr_b64 v[88:91], v98 offset0:26 offset1:27
	s_cmp_lt_i32 s5, 15
	s_cbranch_scc1 .LBB42_275
; %bb.273:
	v_add3_u32 v97, v47, 0, 0xe0
	v_mov_b32_e32 v96, 13
	s_mov_b32 s6, 14
	s_set_inst_prefetch_distance 0x1
	.p2align	6
.LBB42_274:                             ; =>This Inner Loop Header: Depth=1
	ds_load_2addr_b64 v[105:108], v97 offset1:1
	s_waitcnt lgkmcnt(1)
	v_cmp_gt_f64_e32 vcc_lo, 0, v[88:89]
	v_xor_b32_e32 v92, 0x80000000, v89
	v_cmp_gt_f64_e64 s2, 0, v[90:91]
	v_xor_b32_e32 v94, 0x80000000, v91
	v_add_nc_u32_e32 v97, 16, v97
	s_waitcnt lgkmcnt(0)
	v_cmp_gt_f64_e64 s3, 0, v[105:106]
	v_mov_b32_e32 v109, v105
	v_mov_b32_e32 v111, v107
	v_cndmask_b32_e32 v93, v89, v92, vcc_lo
	v_xor_b32_e32 v92, 0x80000000, v106
	v_cndmask_b32_e64 v95, v91, v94, s2
	v_xor_b32_e32 v94, 0x80000000, v108
	s_delay_alu instid0(VALU_DEP_3) | instskip(SKIP_2) | instid1(VALU_DEP_2)
	v_cndmask_b32_e64 v110, v106, v92, s3
	v_cmp_gt_f64_e64 s3, 0, v[107:108]
	v_cndmask_b32_e32 v92, v88, v88, vcc_lo
	v_cndmask_b32_e64 v112, v108, v94, s3
	v_cndmask_b32_e64 v94, v90, v90, s2
	s_delay_alu instid0(VALU_DEP_2) | instskip(NEXT) | instid1(VALU_DEP_2)
	v_add_f64 v[109:110], v[109:110], v[111:112]
	v_add_f64 v[92:93], v[92:93], v[94:95]
	s_delay_alu instid0(VALU_DEP_1) | instskip(SKIP_4) | instid1(SALU_CYCLE_1)
	v_cmp_lt_f64_e32 vcc_lo, v[92:93], v[109:110]
	v_dual_cndmask_b32 v88, v88, v105 :: v_dual_cndmask_b32 v89, v89, v106
	v_dual_cndmask_b32 v91, v91, v108 :: v_dual_cndmask_b32 v90, v90, v107
	v_cndmask_b32_e64 v96, v96, s6, vcc_lo
	s_add_i32 s6, s6, 1
	s_cmp_lg_u32 s5, s6
	s_cbranch_scc1 .LBB42_274
.LBB42_275:
	s_set_inst_prefetch_distance 0x2
	s_waitcnt lgkmcnt(0)
	v_cmp_eq_f64_e32 vcc_lo, 0, v[88:89]
	v_cmp_eq_f64_e64 s2, 0, v[90:91]
	s_delay_alu instid0(VALU_DEP_1) | instskip(NEXT) | instid1(SALU_CYCLE_1)
	s_and_b32 s2, vcc_lo, s2
	s_and_saveexec_b32 s3, s2
	s_delay_alu instid0(SALU_CYCLE_1)
	s_xor_b32 s2, exec_lo, s3
; %bb.276:
	v_cmp_ne_u32_e32 vcc_lo, 0, v46
	v_cndmask_b32_e32 v46, 14, v46, vcc_lo
; %bb.277:
	s_and_not1_saveexec_b32 s3, s2
	s_cbranch_execz .LBB42_283
; %bb.278:
	v_cmp_gt_f64_e32 vcc_lo, 0, v[88:89]
	v_cmp_gt_f64_e64 s2, 0, v[90:91]
	v_xor_b32_e32 v92, 0x80000000, v89
	v_xor_b32_e32 v94, 0x80000000, v91
	s_delay_alu instid0(VALU_DEP_2) | instskip(NEXT) | instid1(VALU_DEP_2)
	v_cndmask_b32_e32 v93, v89, v92, vcc_lo
	v_cndmask_b32_e64 v95, v91, v94, s2
	v_cndmask_b32_e32 v92, v88, v88, vcc_lo
	v_cndmask_b32_e64 v94, v90, v90, s2
	s_mov_b32 s2, exec_lo
	s_delay_alu instid0(VALU_DEP_1)
	v_cmpx_ngt_f64_e32 v[92:93], v[94:95]
	s_xor_b32 s2, exec_lo, s2
	s_cbranch_execz .LBB42_280
; %bb.279:
	v_div_scale_f64 v[92:93], null, v[90:91], v[90:91], v[88:89]
	v_div_scale_f64 v[107:108], vcc_lo, v[88:89], v[90:91], v[88:89]
	s_delay_alu instid0(VALU_DEP_2) | instskip(SKIP_2) | instid1(VALU_DEP_1)
	v_rcp_f64_e32 v[94:95], v[92:93]
	s_waitcnt_depctr 0xfff
	v_fma_f64 v[105:106], -v[92:93], v[94:95], 1.0
	v_fma_f64 v[94:95], v[94:95], v[105:106], v[94:95]
	s_delay_alu instid0(VALU_DEP_1) | instskip(NEXT) | instid1(VALU_DEP_1)
	v_fma_f64 v[105:106], -v[92:93], v[94:95], 1.0
	v_fma_f64 v[94:95], v[94:95], v[105:106], v[94:95]
	s_delay_alu instid0(VALU_DEP_1) | instskip(NEXT) | instid1(VALU_DEP_1)
	v_mul_f64 v[105:106], v[107:108], v[94:95]
	v_fma_f64 v[92:93], -v[92:93], v[105:106], v[107:108]
	s_delay_alu instid0(VALU_DEP_1) | instskip(NEXT) | instid1(VALU_DEP_1)
	v_div_fmas_f64 v[92:93], v[92:93], v[94:95], v[105:106]
	v_div_fixup_f64 v[92:93], v[92:93], v[90:91], v[88:89]
	s_delay_alu instid0(VALU_DEP_1) | instskip(NEXT) | instid1(VALU_DEP_1)
	v_fma_f64 v[88:89], v[88:89], v[92:93], v[90:91]
	v_div_scale_f64 v[90:91], null, v[88:89], v[88:89], 1.0
	s_delay_alu instid0(VALU_DEP_1) | instskip(SKIP_2) | instid1(VALU_DEP_1)
	v_rcp_f64_e32 v[94:95], v[90:91]
	s_waitcnt_depctr 0xfff
	v_fma_f64 v[105:106], -v[90:91], v[94:95], 1.0
	v_fma_f64 v[94:95], v[94:95], v[105:106], v[94:95]
	s_delay_alu instid0(VALU_DEP_1) | instskip(NEXT) | instid1(VALU_DEP_1)
	v_fma_f64 v[105:106], -v[90:91], v[94:95], 1.0
	v_fma_f64 v[94:95], v[94:95], v[105:106], v[94:95]
	v_div_scale_f64 v[105:106], vcc_lo, 1.0, v[88:89], 1.0
	s_delay_alu instid0(VALU_DEP_1) | instskip(NEXT) | instid1(VALU_DEP_1)
	v_mul_f64 v[107:108], v[105:106], v[94:95]
	v_fma_f64 v[90:91], -v[90:91], v[107:108], v[105:106]
	s_delay_alu instid0(VALU_DEP_1) | instskip(NEXT) | instid1(VALU_DEP_1)
	v_div_fmas_f64 v[90:91], v[90:91], v[94:95], v[107:108]
	v_div_fixup_f64 v[90:91], v[90:91], v[88:89], 1.0
	s_delay_alu instid0(VALU_DEP_1)
	v_mul_f64 v[88:89], v[92:93], v[90:91]
	v_xor_b32_e32 v91, 0x80000000, v91
.LBB42_280:
	s_and_not1_saveexec_b32 s2, s2
	s_cbranch_execz .LBB42_282
; %bb.281:
	s_delay_alu instid0(VALU_DEP_1) | instskip(SKIP_1) | instid1(VALU_DEP_2)
	v_div_scale_f64 v[92:93], null, v[88:89], v[88:89], v[90:91]
	v_div_scale_f64 v[107:108], vcc_lo, v[90:91], v[88:89], v[90:91]
	v_rcp_f64_e32 v[94:95], v[92:93]
	s_waitcnt_depctr 0xfff
	v_fma_f64 v[105:106], -v[92:93], v[94:95], 1.0
	s_delay_alu instid0(VALU_DEP_1) | instskip(NEXT) | instid1(VALU_DEP_1)
	v_fma_f64 v[94:95], v[94:95], v[105:106], v[94:95]
	v_fma_f64 v[105:106], -v[92:93], v[94:95], 1.0
	s_delay_alu instid0(VALU_DEP_1) | instskip(NEXT) | instid1(VALU_DEP_1)
	v_fma_f64 v[94:95], v[94:95], v[105:106], v[94:95]
	v_mul_f64 v[105:106], v[107:108], v[94:95]
	s_delay_alu instid0(VALU_DEP_1) | instskip(NEXT) | instid1(VALU_DEP_1)
	v_fma_f64 v[92:93], -v[92:93], v[105:106], v[107:108]
	v_div_fmas_f64 v[92:93], v[92:93], v[94:95], v[105:106]
	s_delay_alu instid0(VALU_DEP_1) | instskip(NEXT) | instid1(VALU_DEP_1)
	v_div_fixup_f64 v[92:93], v[92:93], v[88:89], v[90:91]
	v_fma_f64 v[88:89], v[90:91], v[92:93], v[88:89]
	s_delay_alu instid0(VALU_DEP_1) | instskip(NEXT) | instid1(VALU_DEP_1)
	v_div_scale_f64 v[90:91], null, v[88:89], v[88:89], 1.0
	v_rcp_f64_e32 v[94:95], v[90:91]
	s_waitcnt_depctr 0xfff
	v_fma_f64 v[105:106], -v[90:91], v[94:95], 1.0
	s_delay_alu instid0(VALU_DEP_1) | instskip(NEXT) | instid1(VALU_DEP_1)
	v_fma_f64 v[94:95], v[94:95], v[105:106], v[94:95]
	v_fma_f64 v[105:106], -v[90:91], v[94:95], 1.0
	s_delay_alu instid0(VALU_DEP_1) | instskip(SKIP_1) | instid1(VALU_DEP_1)
	v_fma_f64 v[94:95], v[94:95], v[105:106], v[94:95]
	v_div_scale_f64 v[105:106], vcc_lo, 1.0, v[88:89], 1.0
	v_mul_f64 v[107:108], v[105:106], v[94:95]
	s_delay_alu instid0(VALU_DEP_1) | instskip(NEXT) | instid1(VALU_DEP_1)
	v_fma_f64 v[90:91], -v[90:91], v[107:108], v[105:106]
	v_div_fmas_f64 v[90:91], v[90:91], v[94:95], v[107:108]
	s_delay_alu instid0(VALU_DEP_1) | instskip(NEXT) | instid1(VALU_DEP_1)
	v_div_fixup_f64 v[88:89], v[90:91], v[88:89], 1.0
	v_mul_f64 v[90:91], v[92:93], -v[88:89]
.LBB42_282:
	s_or_b32 exec_lo, exec_lo, s2
.LBB42_283:
	s_delay_alu instid0(SALU_CYCLE_1) | instskip(NEXT) | instid1(SALU_CYCLE_1)
	s_or_b32 exec_lo, exec_lo, s3
	s_mov_b32 s2, exec_lo
	v_cmpx_ne_u32_e64 v99, v96
	s_xor_b32 s2, exec_lo, s2
	s_cbranch_execz .LBB42_289
; %bb.284:
	s_mov_b32 s3, exec_lo
	v_cmpx_eq_u32_e32 13, v99
	s_cbranch_execz .LBB42_288
; %bb.285:
	v_cmp_ne_u32_e32 vcc_lo, 13, v96
	s_xor_b32 s6, s4, -1
	s_delay_alu instid0(SALU_CYCLE_1) | instskip(NEXT) | instid1(SALU_CYCLE_1)
	s_and_b32 s7, s6, vcc_lo
	s_and_saveexec_b32 s6, s7
	s_cbranch_execz .LBB42_287
; %bb.286:
	v_ashrrev_i32_e32 v97, 31, v96
	s_delay_alu instid0(VALU_DEP_1) | instskip(NEXT) | instid1(VALU_DEP_1)
	v_lshlrev_b64 v[92:93], 2, v[96:97]
	v_add_co_u32 v92, vcc_lo, v44, v92
	s_delay_alu instid0(VALU_DEP_2)
	v_add_co_ci_u32_e32 v93, vcc_lo, v45, v93, vcc_lo
	s_clause 0x1
	flat_load_b32 v94, v[92:93]
	flat_load_b32 v95, v[44:45] offset:52
	s_waitcnt vmcnt(1) lgkmcnt(1)
	flat_store_b32 v[44:45], v94 offset:52
	s_waitcnt vmcnt(0) lgkmcnt(1)
	flat_store_b32 v[92:93], v95
.LBB42_287:
	s_or_b32 exec_lo, exec_lo, s6
	v_mov_b32_e32 v99, v96
	v_mov_b32_e32 v255, v96
.LBB42_288:
	s_or_b32 exec_lo, exec_lo, s3
.LBB42_289:
	s_and_not1_saveexec_b32 s2, s2
	s_cbranch_execz .LBB42_291
; %bb.290:
	v_mov_b32_e32 v99, 13
	ds_store_2addr_b64 v98, v[40:41], v[42:43] offset0:28 offset1:29
	ds_store_2addr_b64 v98, v[20:21], v[22:23] offset0:30 offset1:31
	;; [unrolled: 1-line block ×8, first 2 shown]
.LBB42_291:
	s_or_b32 exec_lo, exec_lo, s2
	s_delay_alu instid0(SALU_CYCLE_1)
	s_mov_b32 s2, exec_lo
	s_waitcnt lgkmcnt(0)
	s_waitcnt_vscnt null, 0x0
	s_barrier
	buffer_gl0_inv
	v_cmpx_lt_i32_e32 13, v99
	s_cbranch_execz .LBB42_293
; %bb.292:
	v_mul_f64 v[92:93], v[88:89], v[30:31]
	v_mul_f64 v[30:31], v[90:91], v[30:31]
	ds_load_2addr_b64 v[105:108], v98 offset0:28 offset1:29
	ds_load_2addr_b64 v[109:112], v98 offset0:30 offset1:31
	;; [unrolled: 1-line block ×8, first 2 shown]
	v_fma_f64 v[90:91], v[90:91], v[28:29], v[92:93]
	v_fma_f64 v[28:29], v[88:89], v[28:29], -v[30:31]
	s_waitcnt lgkmcnt(7)
	s_delay_alu instid0(VALU_DEP_2)
	v_mul_f64 v[30:31], v[107:108], v[90:91]
	v_mul_f64 v[88:89], v[105:106], v[90:91]
	s_waitcnt lgkmcnt(6)
	v_mul_f64 v[92:93], v[111:112], v[90:91]
	v_mul_f64 v[94:95], v[109:110], v[90:91]
	s_waitcnt lgkmcnt(5)
	;; [unrolled: 3-line block ×7, first 2 shown]
	v_mul_f64 v[155:156], v[135:136], v[90:91]
	v_mul_f64 v[157:158], v[133:134], v[90:91]
	v_fma_f64 v[30:31], v[105:106], v[28:29], -v[30:31]
	v_fma_f64 v[88:89], v[107:108], v[28:29], v[88:89]
	v_fma_f64 v[92:93], v[109:110], v[28:29], -v[92:93]
	v_fma_f64 v[94:95], v[111:112], v[28:29], v[94:95]
	;; [unrolled: 2-line block ×8, first 2 shown]
	v_add_f64 v[40:41], v[40:41], -v[30:31]
	v_add_f64 v[42:43], v[42:43], -v[88:89]
	;; [unrolled: 1-line block ×16, first 2 shown]
	v_dual_mov_b32 v30, v90 :: v_dual_mov_b32 v31, v91
.LBB42_293:
	s_or_b32 exec_lo, exec_lo, s2
	v_lshl_add_u32 v88, v99, 4, v98
	s_barrier
	buffer_gl0_inv
	v_mov_b32_e32 v96, 14
	ds_store_2addr_b64 v88, v[40:41], v[42:43] offset1:1
	s_waitcnt lgkmcnt(0)
	s_barrier
	buffer_gl0_inv
	ds_load_2addr_b64 v[88:91], v98 offset0:28 offset1:29
	s_cmp_lt_i32 s5, 16
	s_cbranch_scc1 .LBB42_296
; %bb.294:
	v_add3_u32 v97, v47, 0, 0xf0
	v_mov_b32_e32 v96, 14
	s_mov_b32 s6, 15
	s_set_inst_prefetch_distance 0x1
	.p2align	6
.LBB42_295:                             ; =>This Inner Loop Header: Depth=1
	ds_load_2addr_b64 v[105:108], v97 offset1:1
	s_waitcnt lgkmcnt(1)
	v_cmp_gt_f64_e32 vcc_lo, 0, v[88:89]
	v_xor_b32_e32 v92, 0x80000000, v89
	v_cmp_gt_f64_e64 s2, 0, v[90:91]
	v_xor_b32_e32 v94, 0x80000000, v91
	v_add_nc_u32_e32 v97, 16, v97
	s_waitcnt lgkmcnt(0)
	v_cmp_gt_f64_e64 s3, 0, v[105:106]
	v_mov_b32_e32 v109, v105
	v_mov_b32_e32 v111, v107
	v_cndmask_b32_e32 v93, v89, v92, vcc_lo
	v_xor_b32_e32 v92, 0x80000000, v106
	v_cndmask_b32_e64 v95, v91, v94, s2
	v_xor_b32_e32 v94, 0x80000000, v108
	s_delay_alu instid0(VALU_DEP_3) | instskip(SKIP_2) | instid1(VALU_DEP_2)
	v_cndmask_b32_e64 v110, v106, v92, s3
	v_cmp_gt_f64_e64 s3, 0, v[107:108]
	v_cndmask_b32_e32 v92, v88, v88, vcc_lo
	v_cndmask_b32_e64 v112, v108, v94, s3
	v_cndmask_b32_e64 v94, v90, v90, s2
	s_delay_alu instid0(VALU_DEP_2) | instskip(NEXT) | instid1(VALU_DEP_2)
	v_add_f64 v[109:110], v[109:110], v[111:112]
	v_add_f64 v[92:93], v[92:93], v[94:95]
	s_delay_alu instid0(VALU_DEP_1) | instskip(SKIP_4) | instid1(SALU_CYCLE_1)
	v_cmp_lt_f64_e32 vcc_lo, v[92:93], v[109:110]
	v_dual_cndmask_b32 v88, v88, v105 :: v_dual_cndmask_b32 v89, v89, v106
	v_dual_cndmask_b32 v91, v91, v108 :: v_dual_cndmask_b32 v90, v90, v107
	v_cndmask_b32_e64 v96, v96, s6, vcc_lo
	s_add_i32 s6, s6, 1
	s_cmp_lg_u32 s5, s6
	s_cbranch_scc1 .LBB42_295
.LBB42_296:
	s_set_inst_prefetch_distance 0x2
	s_waitcnt lgkmcnt(0)
	v_cmp_eq_f64_e32 vcc_lo, 0, v[88:89]
	v_cmp_eq_f64_e64 s2, 0, v[90:91]
	s_delay_alu instid0(VALU_DEP_1) | instskip(NEXT) | instid1(SALU_CYCLE_1)
	s_and_b32 s2, vcc_lo, s2
	s_and_saveexec_b32 s3, s2
	s_delay_alu instid0(SALU_CYCLE_1)
	s_xor_b32 s2, exec_lo, s3
; %bb.297:
	v_cmp_ne_u32_e32 vcc_lo, 0, v46
	v_cndmask_b32_e32 v46, 15, v46, vcc_lo
; %bb.298:
	s_and_not1_saveexec_b32 s3, s2
	s_cbranch_execz .LBB42_304
; %bb.299:
	v_cmp_gt_f64_e32 vcc_lo, 0, v[88:89]
	v_cmp_gt_f64_e64 s2, 0, v[90:91]
	v_xor_b32_e32 v92, 0x80000000, v89
	v_xor_b32_e32 v94, 0x80000000, v91
	s_delay_alu instid0(VALU_DEP_2) | instskip(NEXT) | instid1(VALU_DEP_2)
	v_cndmask_b32_e32 v93, v89, v92, vcc_lo
	v_cndmask_b32_e64 v95, v91, v94, s2
	v_cndmask_b32_e32 v92, v88, v88, vcc_lo
	v_cndmask_b32_e64 v94, v90, v90, s2
	s_mov_b32 s2, exec_lo
	s_delay_alu instid0(VALU_DEP_1)
	v_cmpx_ngt_f64_e32 v[92:93], v[94:95]
	s_xor_b32 s2, exec_lo, s2
	s_cbranch_execz .LBB42_301
; %bb.300:
	v_div_scale_f64 v[92:93], null, v[90:91], v[90:91], v[88:89]
	v_div_scale_f64 v[107:108], vcc_lo, v[88:89], v[90:91], v[88:89]
	s_delay_alu instid0(VALU_DEP_2) | instskip(SKIP_2) | instid1(VALU_DEP_1)
	v_rcp_f64_e32 v[94:95], v[92:93]
	s_waitcnt_depctr 0xfff
	v_fma_f64 v[105:106], -v[92:93], v[94:95], 1.0
	v_fma_f64 v[94:95], v[94:95], v[105:106], v[94:95]
	s_delay_alu instid0(VALU_DEP_1) | instskip(NEXT) | instid1(VALU_DEP_1)
	v_fma_f64 v[105:106], -v[92:93], v[94:95], 1.0
	v_fma_f64 v[94:95], v[94:95], v[105:106], v[94:95]
	s_delay_alu instid0(VALU_DEP_1) | instskip(NEXT) | instid1(VALU_DEP_1)
	v_mul_f64 v[105:106], v[107:108], v[94:95]
	v_fma_f64 v[92:93], -v[92:93], v[105:106], v[107:108]
	s_delay_alu instid0(VALU_DEP_1) | instskip(NEXT) | instid1(VALU_DEP_1)
	v_div_fmas_f64 v[92:93], v[92:93], v[94:95], v[105:106]
	v_div_fixup_f64 v[92:93], v[92:93], v[90:91], v[88:89]
	s_delay_alu instid0(VALU_DEP_1) | instskip(NEXT) | instid1(VALU_DEP_1)
	v_fma_f64 v[88:89], v[88:89], v[92:93], v[90:91]
	v_div_scale_f64 v[90:91], null, v[88:89], v[88:89], 1.0
	s_delay_alu instid0(VALU_DEP_1) | instskip(SKIP_2) | instid1(VALU_DEP_1)
	v_rcp_f64_e32 v[94:95], v[90:91]
	s_waitcnt_depctr 0xfff
	v_fma_f64 v[105:106], -v[90:91], v[94:95], 1.0
	v_fma_f64 v[94:95], v[94:95], v[105:106], v[94:95]
	s_delay_alu instid0(VALU_DEP_1) | instskip(NEXT) | instid1(VALU_DEP_1)
	v_fma_f64 v[105:106], -v[90:91], v[94:95], 1.0
	v_fma_f64 v[94:95], v[94:95], v[105:106], v[94:95]
	v_div_scale_f64 v[105:106], vcc_lo, 1.0, v[88:89], 1.0
	s_delay_alu instid0(VALU_DEP_1) | instskip(NEXT) | instid1(VALU_DEP_1)
	v_mul_f64 v[107:108], v[105:106], v[94:95]
	v_fma_f64 v[90:91], -v[90:91], v[107:108], v[105:106]
	s_delay_alu instid0(VALU_DEP_1) | instskip(NEXT) | instid1(VALU_DEP_1)
	v_div_fmas_f64 v[90:91], v[90:91], v[94:95], v[107:108]
	v_div_fixup_f64 v[90:91], v[90:91], v[88:89], 1.0
	s_delay_alu instid0(VALU_DEP_1)
	v_mul_f64 v[88:89], v[92:93], v[90:91]
	v_xor_b32_e32 v91, 0x80000000, v91
.LBB42_301:
	s_and_not1_saveexec_b32 s2, s2
	s_cbranch_execz .LBB42_303
; %bb.302:
	s_delay_alu instid0(VALU_DEP_1) | instskip(SKIP_1) | instid1(VALU_DEP_2)
	v_div_scale_f64 v[92:93], null, v[88:89], v[88:89], v[90:91]
	v_div_scale_f64 v[107:108], vcc_lo, v[90:91], v[88:89], v[90:91]
	v_rcp_f64_e32 v[94:95], v[92:93]
	s_waitcnt_depctr 0xfff
	v_fma_f64 v[105:106], -v[92:93], v[94:95], 1.0
	s_delay_alu instid0(VALU_DEP_1) | instskip(NEXT) | instid1(VALU_DEP_1)
	v_fma_f64 v[94:95], v[94:95], v[105:106], v[94:95]
	v_fma_f64 v[105:106], -v[92:93], v[94:95], 1.0
	s_delay_alu instid0(VALU_DEP_1) | instskip(NEXT) | instid1(VALU_DEP_1)
	v_fma_f64 v[94:95], v[94:95], v[105:106], v[94:95]
	v_mul_f64 v[105:106], v[107:108], v[94:95]
	s_delay_alu instid0(VALU_DEP_1) | instskip(NEXT) | instid1(VALU_DEP_1)
	v_fma_f64 v[92:93], -v[92:93], v[105:106], v[107:108]
	v_div_fmas_f64 v[92:93], v[92:93], v[94:95], v[105:106]
	s_delay_alu instid0(VALU_DEP_1) | instskip(NEXT) | instid1(VALU_DEP_1)
	v_div_fixup_f64 v[92:93], v[92:93], v[88:89], v[90:91]
	v_fma_f64 v[88:89], v[90:91], v[92:93], v[88:89]
	s_delay_alu instid0(VALU_DEP_1) | instskip(NEXT) | instid1(VALU_DEP_1)
	v_div_scale_f64 v[90:91], null, v[88:89], v[88:89], 1.0
	v_rcp_f64_e32 v[94:95], v[90:91]
	s_waitcnt_depctr 0xfff
	v_fma_f64 v[105:106], -v[90:91], v[94:95], 1.0
	s_delay_alu instid0(VALU_DEP_1) | instskip(NEXT) | instid1(VALU_DEP_1)
	v_fma_f64 v[94:95], v[94:95], v[105:106], v[94:95]
	v_fma_f64 v[105:106], -v[90:91], v[94:95], 1.0
	s_delay_alu instid0(VALU_DEP_1) | instskip(SKIP_1) | instid1(VALU_DEP_1)
	v_fma_f64 v[94:95], v[94:95], v[105:106], v[94:95]
	v_div_scale_f64 v[105:106], vcc_lo, 1.0, v[88:89], 1.0
	v_mul_f64 v[107:108], v[105:106], v[94:95]
	s_delay_alu instid0(VALU_DEP_1) | instskip(NEXT) | instid1(VALU_DEP_1)
	v_fma_f64 v[90:91], -v[90:91], v[107:108], v[105:106]
	v_div_fmas_f64 v[90:91], v[90:91], v[94:95], v[107:108]
	s_delay_alu instid0(VALU_DEP_1) | instskip(NEXT) | instid1(VALU_DEP_1)
	v_div_fixup_f64 v[88:89], v[90:91], v[88:89], 1.0
	v_mul_f64 v[90:91], v[92:93], -v[88:89]
.LBB42_303:
	s_or_b32 exec_lo, exec_lo, s2
.LBB42_304:
	s_delay_alu instid0(SALU_CYCLE_1) | instskip(NEXT) | instid1(SALU_CYCLE_1)
	s_or_b32 exec_lo, exec_lo, s3
	s_mov_b32 s2, exec_lo
	v_cmpx_ne_u32_e64 v99, v96
	s_xor_b32 s2, exec_lo, s2
	s_cbranch_execz .LBB42_310
; %bb.305:
	s_mov_b32 s3, exec_lo
	v_cmpx_eq_u32_e32 14, v99
	s_cbranch_execz .LBB42_309
; %bb.306:
	v_cmp_ne_u32_e32 vcc_lo, 14, v96
	s_xor_b32 s6, s4, -1
	s_delay_alu instid0(SALU_CYCLE_1) | instskip(NEXT) | instid1(SALU_CYCLE_1)
	s_and_b32 s7, s6, vcc_lo
	s_and_saveexec_b32 s6, s7
	s_cbranch_execz .LBB42_308
; %bb.307:
	v_ashrrev_i32_e32 v97, 31, v96
	s_delay_alu instid0(VALU_DEP_1) | instskip(NEXT) | instid1(VALU_DEP_1)
	v_lshlrev_b64 v[92:93], 2, v[96:97]
	v_add_co_u32 v92, vcc_lo, v44, v92
	s_delay_alu instid0(VALU_DEP_2)
	v_add_co_ci_u32_e32 v93, vcc_lo, v45, v93, vcc_lo
	s_clause 0x1
	flat_load_b32 v94, v[92:93]
	flat_load_b32 v95, v[44:45] offset:56
	s_waitcnt vmcnt(1) lgkmcnt(1)
	flat_store_b32 v[44:45], v94 offset:56
	s_waitcnt vmcnt(0) lgkmcnt(1)
	flat_store_b32 v[92:93], v95
.LBB42_308:
	s_or_b32 exec_lo, exec_lo, s6
	v_mov_b32_e32 v99, v96
	v_mov_b32_e32 v255, v96
.LBB42_309:
	s_or_b32 exec_lo, exec_lo, s3
.LBB42_310:
	s_and_not1_saveexec_b32 s2, s2
	s_cbranch_execz .LBB42_312
; %bb.311:
	v_mov_b32_e32 v99, 14
	ds_store_2addr_b64 v98, v[20:21], v[22:23] offset0:30 offset1:31
	ds_store_2addr_b64 v98, v[24:25], v[26:27] offset0:32 offset1:33
	;; [unrolled: 1-line block ×7, first 2 shown]
.LBB42_312:
	s_or_b32 exec_lo, exec_lo, s2
	s_delay_alu instid0(SALU_CYCLE_1)
	s_mov_b32 s2, exec_lo
	s_waitcnt lgkmcnt(0)
	s_waitcnt_vscnt null, 0x0
	s_barrier
	buffer_gl0_inv
	v_cmpx_lt_i32_e32 14, v99
	s_cbranch_execz .LBB42_314
; %bb.313:
	v_mul_f64 v[92:93], v[88:89], v[42:43]
	v_mul_f64 v[42:43], v[90:91], v[42:43]
	ds_load_2addr_b64 v[105:108], v98 offset0:30 offset1:31
	ds_load_2addr_b64 v[109:112], v98 offset0:32 offset1:33
	;; [unrolled: 1-line block ×7, first 2 shown]
	v_fma_f64 v[90:91], v[90:91], v[40:41], v[92:93]
	v_fma_f64 v[40:41], v[88:89], v[40:41], -v[42:43]
	s_waitcnt lgkmcnt(6)
	s_delay_alu instid0(VALU_DEP_2)
	v_mul_f64 v[42:43], v[107:108], v[90:91]
	v_mul_f64 v[88:89], v[105:106], v[90:91]
	s_waitcnt lgkmcnt(5)
	v_mul_f64 v[92:93], v[111:112], v[90:91]
	v_mul_f64 v[94:95], v[109:110], v[90:91]
	s_waitcnt lgkmcnt(4)
	;; [unrolled: 3-line block ×6, first 2 shown]
	v_mul_f64 v[147:148], v[131:132], v[90:91]
	v_mul_f64 v[149:150], v[129:130], v[90:91]
	v_fma_f64 v[42:43], v[105:106], v[40:41], -v[42:43]
	v_fma_f64 v[88:89], v[107:108], v[40:41], v[88:89]
	v_fma_f64 v[92:93], v[109:110], v[40:41], -v[92:93]
	v_fma_f64 v[94:95], v[111:112], v[40:41], v[94:95]
	;; [unrolled: 2-line block ×7, first 2 shown]
	v_add_f64 v[20:21], v[20:21], -v[42:43]
	v_add_f64 v[22:23], v[22:23], -v[88:89]
	;; [unrolled: 1-line block ×14, first 2 shown]
	v_dual_mov_b32 v42, v90 :: v_dual_mov_b32 v43, v91
.LBB42_314:
	s_or_b32 exec_lo, exec_lo, s2
	v_lshl_add_u32 v88, v99, 4, v98
	s_barrier
	buffer_gl0_inv
	v_mov_b32_e32 v96, 15
	ds_store_2addr_b64 v88, v[20:21], v[22:23] offset1:1
	s_waitcnt lgkmcnt(0)
	s_barrier
	buffer_gl0_inv
	ds_load_2addr_b64 v[88:91], v98 offset0:30 offset1:31
	s_cmp_lt_i32 s5, 17
	s_cbranch_scc1 .LBB42_317
; %bb.315:
	v_add3_u32 v97, v47, 0, 0x100
	v_mov_b32_e32 v96, 15
	s_mov_b32 s6, 16
	s_set_inst_prefetch_distance 0x1
	.p2align	6
.LBB42_316:                             ; =>This Inner Loop Header: Depth=1
	ds_load_2addr_b64 v[105:108], v97 offset1:1
	s_waitcnt lgkmcnt(1)
	v_cmp_gt_f64_e32 vcc_lo, 0, v[88:89]
	v_xor_b32_e32 v92, 0x80000000, v89
	v_cmp_gt_f64_e64 s2, 0, v[90:91]
	v_xor_b32_e32 v94, 0x80000000, v91
	v_add_nc_u32_e32 v97, 16, v97
	s_waitcnt lgkmcnt(0)
	v_cmp_gt_f64_e64 s3, 0, v[105:106]
	v_mov_b32_e32 v109, v105
	v_mov_b32_e32 v111, v107
	v_cndmask_b32_e32 v93, v89, v92, vcc_lo
	v_xor_b32_e32 v92, 0x80000000, v106
	v_cndmask_b32_e64 v95, v91, v94, s2
	v_xor_b32_e32 v94, 0x80000000, v108
	s_delay_alu instid0(VALU_DEP_3) | instskip(SKIP_2) | instid1(VALU_DEP_2)
	v_cndmask_b32_e64 v110, v106, v92, s3
	v_cmp_gt_f64_e64 s3, 0, v[107:108]
	v_cndmask_b32_e32 v92, v88, v88, vcc_lo
	v_cndmask_b32_e64 v112, v108, v94, s3
	v_cndmask_b32_e64 v94, v90, v90, s2
	s_delay_alu instid0(VALU_DEP_2) | instskip(NEXT) | instid1(VALU_DEP_2)
	v_add_f64 v[109:110], v[109:110], v[111:112]
	v_add_f64 v[92:93], v[92:93], v[94:95]
	s_delay_alu instid0(VALU_DEP_1) | instskip(SKIP_4) | instid1(SALU_CYCLE_1)
	v_cmp_lt_f64_e32 vcc_lo, v[92:93], v[109:110]
	v_dual_cndmask_b32 v88, v88, v105 :: v_dual_cndmask_b32 v89, v89, v106
	v_dual_cndmask_b32 v91, v91, v108 :: v_dual_cndmask_b32 v90, v90, v107
	v_cndmask_b32_e64 v96, v96, s6, vcc_lo
	s_add_i32 s6, s6, 1
	s_cmp_lg_u32 s5, s6
	s_cbranch_scc1 .LBB42_316
.LBB42_317:
	s_set_inst_prefetch_distance 0x2
	s_waitcnt lgkmcnt(0)
	v_cmp_eq_f64_e32 vcc_lo, 0, v[88:89]
	v_cmp_eq_f64_e64 s2, 0, v[90:91]
	s_delay_alu instid0(VALU_DEP_1) | instskip(NEXT) | instid1(SALU_CYCLE_1)
	s_and_b32 s2, vcc_lo, s2
	s_and_saveexec_b32 s3, s2
	s_delay_alu instid0(SALU_CYCLE_1)
	s_xor_b32 s2, exec_lo, s3
; %bb.318:
	v_cmp_ne_u32_e32 vcc_lo, 0, v46
	v_cndmask_b32_e32 v46, 16, v46, vcc_lo
; %bb.319:
	s_and_not1_saveexec_b32 s3, s2
	s_cbranch_execz .LBB42_325
; %bb.320:
	v_cmp_gt_f64_e32 vcc_lo, 0, v[88:89]
	v_cmp_gt_f64_e64 s2, 0, v[90:91]
	v_xor_b32_e32 v92, 0x80000000, v89
	v_xor_b32_e32 v94, 0x80000000, v91
	s_delay_alu instid0(VALU_DEP_2) | instskip(NEXT) | instid1(VALU_DEP_2)
	v_cndmask_b32_e32 v93, v89, v92, vcc_lo
	v_cndmask_b32_e64 v95, v91, v94, s2
	v_cndmask_b32_e32 v92, v88, v88, vcc_lo
	v_cndmask_b32_e64 v94, v90, v90, s2
	s_mov_b32 s2, exec_lo
	s_delay_alu instid0(VALU_DEP_1)
	v_cmpx_ngt_f64_e32 v[92:93], v[94:95]
	s_xor_b32 s2, exec_lo, s2
	s_cbranch_execz .LBB42_322
; %bb.321:
	v_div_scale_f64 v[92:93], null, v[90:91], v[90:91], v[88:89]
	v_div_scale_f64 v[107:108], vcc_lo, v[88:89], v[90:91], v[88:89]
	s_delay_alu instid0(VALU_DEP_2) | instskip(SKIP_2) | instid1(VALU_DEP_1)
	v_rcp_f64_e32 v[94:95], v[92:93]
	s_waitcnt_depctr 0xfff
	v_fma_f64 v[105:106], -v[92:93], v[94:95], 1.0
	v_fma_f64 v[94:95], v[94:95], v[105:106], v[94:95]
	s_delay_alu instid0(VALU_DEP_1) | instskip(NEXT) | instid1(VALU_DEP_1)
	v_fma_f64 v[105:106], -v[92:93], v[94:95], 1.0
	v_fma_f64 v[94:95], v[94:95], v[105:106], v[94:95]
	s_delay_alu instid0(VALU_DEP_1) | instskip(NEXT) | instid1(VALU_DEP_1)
	v_mul_f64 v[105:106], v[107:108], v[94:95]
	v_fma_f64 v[92:93], -v[92:93], v[105:106], v[107:108]
	s_delay_alu instid0(VALU_DEP_1) | instskip(NEXT) | instid1(VALU_DEP_1)
	v_div_fmas_f64 v[92:93], v[92:93], v[94:95], v[105:106]
	v_div_fixup_f64 v[92:93], v[92:93], v[90:91], v[88:89]
	s_delay_alu instid0(VALU_DEP_1) | instskip(NEXT) | instid1(VALU_DEP_1)
	v_fma_f64 v[88:89], v[88:89], v[92:93], v[90:91]
	v_div_scale_f64 v[90:91], null, v[88:89], v[88:89], 1.0
	s_delay_alu instid0(VALU_DEP_1) | instskip(SKIP_2) | instid1(VALU_DEP_1)
	v_rcp_f64_e32 v[94:95], v[90:91]
	s_waitcnt_depctr 0xfff
	v_fma_f64 v[105:106], -v[90:91], v[94:95], 1.0
	v_fma_f64 v[94:95], v[94:95], v[105:106], v[94:95]
	s_delay_alu instid0(VALU_DEP_1) | instskip(NEXT) | instid1(VALU_DEP_1)
	v_fma_f64 v[105:106], -v[90:91], v[94:95], 1.0
	v_fma_f64 v[94:95], v[94:95], v[105:106], v[94:95]
	v_div_scale_f64 v[105:106], vcc_lo, 1.0, v[88:89], 1.0
	s_delay_alu instid0(VALU_DEP_1) | instskip(NEXT) | instid1(VALU_DEP_1)
	v_mul_f64 v[107:108], v[105:106], v[94:95]
	v_fma_f64 v[90:91], -v[90:91], v[107:108], v[105:106]
	s_delay_alu instid0(VALU_DEP_1) | instskip(NEXT) | instid1(VALU_DEP_1)
	v_div_fmas_f64 v[90:91], v[90:91], v[94:95], v[107:108]
	v_div_fixup_f64 v[90:91], v[90:91], v[88:89], 1.0
	s_delay_alu instid0(VALU_DEP_1)
	v_mul_f64 v[88:89], v[92:93], v[90:91]
	v_xor_b32_e32 v91, 0x80000000, v91
.LBB42_322:
	s_and_not1_saveexec_b32 s2, s2
	s_cbranch_execz .LBB42_324
; %bb.323:
	s_delay_alu instid0(VALU_DEP_1) | instskip(SKIP_1) | instid1(VALU_DEP_2)
	v_div_scale_f64 v[92:93], null, v[88:89], v[88:89], v[90:91]
	v_div_scale_f64 v[107:108], vcc_lo, v[90:91], v[88:89], v[90:91]
	v_rcp_f64_e32 v[94:95], v[92:93]
	s_waitcnt_depctr 0xfff
	v_fma_f64 v[105:106], -v[92:93], v[94:95], 1.0
	s_delay_alu instid0(VALU_DEP_1) | instskip(NEXT) | instid1(VALU_DEP_1)
	v_fma_f64 v[94:95], v[94:95], v[105:106], v[94:95]
	v_fma_f64 v[105:106], -v[92:93], v[94:95], 1.0
	s_delay_alu instid0(VALU_DEP_1) | instskip(NEXT) | instid1(VALU_DEP_1)
	v_fma_f64 v[94:95], v[94:95], v[105:106], v[94:95]
	v_mul_f64 v[105:106], v[107:108], v[94:95]
	s_delay_alu instid0(VALU_DEP_1) | instskip(NEXT) | instid1(VALU_DEP_1)
	v_fma_f64 v[92:93], -v[92:93], v[105:106], v[107:108]
	v_div_fmas_f64 v[92:93], v[92:93], v[94:95], v[105:106]
	s_delay_alu instid0(VALU_DEP_1) | instskip(NEXT) | instid1(VALU_DEP_1)
	v_div_fixup_f64 v[92:93], v[92:93], v[88:89], v[90:91]
	v_fma_f64 v[88:89], v[90:91], v[92:93], v[88:89]
	s_delay_alu instid0(VALU_DEP_1) | instskip(NEXT) | instid1(VALU_DEP_1)
	v_div_scale_f64 v[90:91], null, v[88:89], v[88:89], 1.0
	v_rcp_f64_e32 v[94:95], v[90:91]
	s_waitcnt_depctr 0xfff
	v_fma_f64 v[105:106], -v[90:91], v[94:95], 1.0
	s_delay_alu instid0(VALU_DEP_1) | instskip(NEXT) | instid1(VALU_DEP_1)
	v_fma_f64 v[94:95], v[94:95], v[105:106], v[94:95]
	v_fma_f64 v[105:106], -v[90:91], v[94:95], 1.0
	s_delay_alu instid0(VALU_DEP_1) | instskip(SKIP_1) | instid1(VALU_DEP_1)
	v_fma_f64 v[94:95], v[94:95], v[105:106], v[94:95]
	v_div_scale_f64 v[105:106], vcc_lo, 1.0, v[88:89], 1.0
	v_mul_f64 v[107:108], v[105:106], v[94:95]
	s_delay_alu instid0(VALU_DEP_1) | instskip(NEXT) | instid1(VALU_DEP_1)
	v_fma_f64 v[90:91], -v[90:91], v[107:108], v[105:106]
	v_div_fmas_f64 v[90:91], v[90:91], v[94:95], v[107:108]
	s_delay_alu instid0(VALU_DEP_1) | instskip(NEXT) | instid1(VALU_DEP_1)
	v_div_fixup_f64 v[88:89], v[90:91], v[88:89], 1.0
	v_mul_f64 v[90:91], v[92:93], -v[88:89]
.LBB42_324:
	s_or_b32 exec_lo, exec_lo, s2
.LBB42_325:
	s_delay_alu instid0(SALU_CYCLE_1) | instskip(NEXT) | instid1(SALU_CYCLE_1)
	s_or_b32 exec_lo, exec_lo, s3
	s_mov_b32 s2, exec_lo
	v_cmpx_ne_u32_e64 v99, v96
	s_xor_b32 s2, exec_lo, s2
	s_cbranch_execz .LBB42_331
; %bb.326:
	s_mov_b32 s3, exec_lo
	v_cmpx_eq_u32_e32 15, v99
	s_cbranch_execz .LBB42_330
; %bb.327:
	v_cmp_ne_u32_e32 vcc_lo, 15, v96
	s_xor_b32 s6, s4, -1
	s_delay_alu instid0(SALU_CYCLE_1) | instskip(NEXT) | instid1(SALU_CYCLE_1)
	s_and_b32 s7, s6, vcc_lo
	s_and_saveexec_b32 s6, s7
	s_cbranch_execz .LBB42_329
; %bb.328:
	v_ashrrev_i32_e32 v97, 31, v96
	s_delay_alu instid0(VALU_DEP_1) | instskip(NEXT) | instid1(VALU_DEP_1)
	v_lshlrev_b64 v[92:93], 2, v[96:97]
	v_add_co_u32 v92, vcc_lo, v44, v92
	s_delay_alu instid0(VALU_DEP_2)
	v_add_co_ci_u32_e32 v93, vcc_lo, v45, v93, vcc_lo
	s_clause 0x1
	flat_load_b32 v94, v[92:93]
	flat_load_b32 v95, v[44:45] offset:60
	s_waitcnt vmcnt(1) lgkmcnt(1)
	flat_store_b32 v[44:45], v94 offset:60
	s_waitcnt vmcnt(0) lgkmcnt(1)
	flat_store_b32 v[92:93], v95
.LBB42_329:
	s_or_b32 exec_lo, exec_lo, s6
	v_mov_b32_e32 v99, v96
	v_mov_b32_e32 v255, v96
.LBB42_330:
	s_or_b32 exec_lo, exec_lo, s3
.LBB42_331:
	s_and_not1_saveexec_b32 s2, s2
	s_cbranch_execz .LBB42_333
; %bb.332:
	v_mov_b32_e32 v99, 15
	ds_store_2addr_b64 v98, v[24:25], v[26:27] offset0:32 offset1:33
	ds_store_2addr_b64 v98, v[12:13], v[14:15] offset0:34 offset1:35
	;; [unrolled: 1-line block ×6, first 2 shown]
.LBB42_333:
	s_or_b32 exec_lo, exec_lo, s2
	s_delay_alu instid0(SALU_CYCLE_1)
	s_mov_b32 s2, exec_lo
	s_waitcnt lgkmcnt(0)
	s_waitcnt_vscnt null, 0x0
	s_barrier
	buffer_gl0_inv
	v_cmpx_lt_i32_e32 15, v99
	s_cbranch_execz .LBB42_335
; %bb.334:
	v_mul_f64 v[92:93], v[88:89], v[22:23]
	v_mul_f64 v[22:23], v[90:91], v[22:23]
	ds_load_2addr_b64 v[105:108], v98 offset0:32 offset1:33
	ds_load_2addr_b64 v[109:112], v98 offset0:34 offset1:35
	ds_load_2addr_b64 v[113:116], v98 offset0:36 offset1:37
	ds_load_2addr_b64 v[117:120], v98 offset0:38 offset1:39
	ds_load_2addr_b64 v[121:124], v98 offset0:40 offset1:41
	ds_load_2addr_b64 v[125:128], v98 offset0:42 offset1:43
	v_fma_f64 v[90:91], v[90:91], v[20:21], v[92:93]
	v_fma_f64 v[20:21], v[88:89], v[20:21], -v[22:23]
	s_waitcnt lgkmcnt(5)
	s_delay_alu instid0(VALU_DEP_2)
	v_mul_f64 v[22:23], v[107:108], v[90:91]
	v_mul_f64 v[88:89], v[105:106], v[90:91]
	s_waitcnt lgkmcnt(4)
	v_mul_f64 v[92:93], v[111:112], v[90:91]
	v_mul_f64 v[94:95], v[109:110], v[90:91]
	s_waitcnt lgkmcnt(3)
	;; [unrolled: 3-line block ×5, first 2 shown]
	v_mul_f64 v[139:140], v[127:128], v[90:91]
	v_mul_f64 v[141:142], v[125:126], v[90:91]
	v_fma_f64 v[22:23], v[105:106], v[20:21], -v[22:23]
	v_fma_f64 v[88:89], v[107:108], v[20:21], v[88:89]
	v_fma_f64 v[92:93], v[109:110], v[20:21], -v[92:93]
	v_fma_f64 v[94:95], v[111:112], v[20:21], v[94:95]
	;; [unrolled: 2-line block ×6, first 2 shown]
	v_add_f64 v[24:25], v[24:25], -v[22:23]
	v_add_f64 v[26:27], v[26:27], -v[88:89]
	;; [unrolled: 1-line block ×12, first 2 shown]
	v_dual_mov_b32 v22, v90 :: v_dual_mov_b32 v23, v91
.LBB42_335:
	s_or_b32 exec_lo, exec_lo, s2
	v_lshl_add_u32 v88, v99, 4, v98
	s_barrier
	buffer_gl0_inv
	v_mov_b32_e32 v96, 16
	ds_store_2addr_b64 v88, v[24:25], v[26:27] offset1:1
	s_waitcnt lgkmcnt(0)
	s_barrier
	buffer_gl0_inv
	ds_load_2addr_b64 v[88:91], v98 offset0:32 offset1:33
	s_cmp_lt_i32 s5, 18
	s_cbranch_scc1 .LBB42_338
; %bb.336:
	v_add3_u32 v97, v47, 0, 0x110
	v_mov_b32_e32 v96, 16
	s_mov_b32 s6, 17
	s_set_inst_prefetch_distance 0x1
	.p2align	6
.LBB42_337:                             ; =>This Inner Loop Header: Depth=1
	ds_load_2addr_b64 v[105:108], v97 offset1:1
	s_waitcnt lgkmcnt(1)
	v_cmp_gt_f64_e32 vcc_lo, 0, v[88:89]
	v_xor_b32_e32 v92, 0x80000000, v89
	v_cmp_gt_f64_e64 s2, 0, v[90:91]
	v_xor_b32_e32 v94, 0x80000000, v91
	v_add_nc_u32_e32 v97, 16, v97
	s_waitcnt lgkmcnt(0)
	v_cmp_gt_f64_e64 s3, 0, v[105:106]
	v_mov_b32_e32 v109, v105
	v_mov_b32_e32 v111, v107
	v_cndmask_b32_e32 v93, v89, v92, vcc_lo
	v_xor_b32_e32 v92, 0x80000000, v106
	v_cndmask_b32_e64 v95, v91, v94, s2
	v_xor_b32_e32 v94, 0x80000000, v108
	s_delay_alu instid0(VALU_DEP_3) | instskip(SKIP_2) | instid1(VALU_DEP_2)
	v_cndmask_b32_e64 v110, v106, v92, s3
	v_cmp_gt_f64_e64 s3, 0, v[107:108]
	v_cndmask_b32_e32 v92, v88, v88, vcc_lo
	v_cndmask_b32_e64 v112, v108, v94, s3
	v_cndmask_b32_e64 v94, v90, v90, s2
	s_delay_alu instid0(VALU_DEP_2) | instskip(NEXT) | instid1(VALU_DEP_2)
	v_add_f64 v[109:110], v[109:110], v[111:112]
	v_add_f64 v[92:93], v[92:93], v[94:95]
	s_delay_alu instid0(VALU_DEP_1) | instskip(SKIP_4) | instid1(SALU_CYCLE_1)
	v_cmp_lt_f64_e32 vcc_lo, v[92:93], v[109:110]
	v_dual_cndmask_b32 v88, v88, v105 :: v_dual_cndmask_b32 v89, v89, v106
	v_dual_cndmask_b32 v91, v91, v108 :: v_dual_cndmask_b32 v90, v90, v107
	v_cndmask_b32_e64 v96, v96, s6, vcc_lo
	s_add_i32 s6, s6, 1
	s_cmp_lg_u32 s5, s6
	s_cbranch_scc1 .LBB42_337
.LBB42_338:
	s_set_inst_prefetch_distance 0x2
	s_waitcnt lgkmcnt(0)
	v_cmp_eq_f64_e32 vcc_lo, 0, v[88:89]
	v_cmp_eq_f64_e64 s2, 0, v[90:91]
	s_delay_alu instid0(VALU_DEP_1) | instskip(NEXT) | instid1(SALU_CYCLE_1)
	s_and_b32 s2, vcc_lo, s2
	s_and_saveexec_b32 s3, s2
	s_delay_alu instid0(SALU_CYCLE_1)
	s_xor_b32 s2, exec_lo, s3
; %bb.339:
	v_cmp_ne_u32_e32 vcc_lo, 0, v46
	v_cndmask_b32_e32 v46, 17, v46, vcc_lo
; %bb.340:
	s_and_not1_saveexec_b32 s3, s2
	s_cbranch_execz .LBB42_346
; %bb.341:
	v_cmp_gt_f64_e32 vcc_lo, 0, v[88:89]
	v_cmp_gt_f64_e64 s2, 0, v[90:91]
	v_xor_b32_e32 v92, 0x80000000, v89
	v_xor_b32_e32 v94, 0x80000000, v91
	s_delay_alu instid0(VALU_DEP_2) | instskip(NEXT) | instid1(VALU_DEP_2)
	v_cndmask_b32_e32 v93, v89, v92, vcc_lo
	v_cndmask_b32_e64 v95, v91, v94, s2
	v_cndmask_b32_e32 v92, v88, v88, vcc_lo
	v_cndmask_b32_e64 v94, v90, v90, s2
	s_mov_b32 s2, exec_lo
	s_delay_alu instid0(VALU_DEP_1)
	v_cmpx_ngt_f64_e32 v[92:93], v[94:95]
	s_xor_b32 s2, exec_lo, s2
	s_cbranch_execz .LBB42_343
; %bb.342:
	v_div_scale_f64 v[92:93], null, v[90:91], v[90:91], v[88:89]
	v_div_scale_f64 v[107:108], vcc_lo, v[88:89], v[90:91], v[88:89]
	s_delay_alu instid0(VALU_DEP_2) | instskip(SKIP_2) | instid1(VALU_DEP_1)
	v_rcp_f64_e32 v[94:95], v[92:93]
	s_waitcnt_depctr 0xfff
	v_fma_f64 v[105:106], -v[92:93], v[94:95], 1.0
	v_fma_f64 v[94:95], v[94:95], v[105:106], v[94:95]
	s_delay_alu instid0(VALU_DEP_1) | instskip(NEXT) | instid1(VALU_DEP_1)
	v_fma_f64 v[105:106], -v[92:93], v[94:95], 1.0
	v_fma_f64 v[94:95], v[94:95], v[105:106], v[94:95]
	s_delay_alu instid0(VALU_DEP_1) | instskip(NEXT) | instid1(VALU_DEP_1)
	v_mul_f64 v[105:106], v[107:108], v[94:95]
	v_fma_f64 v[92:93], -v[92:93], v[105:106], v[107:108]
	s_delay_alu instid0(VALU_DEP_1) | instskip(NEXT) | instid1(VALU_DEP_1)
	v_div_fmas_f64 v[92:93], v[92:93], v[94:95], v[105:106]
	v_div_fixup_f64 v[92:93], v[92:93], v[90:91], v[88:89]
	s_delay_alu instid0(VALU_DEP_1) | instskip(NEXT) | instid1(VALU_DEP_1)
	v_fma_f64 v[88:89], v[88:89], v[92:93], v[90:91]
	v_div_scale_f64 v[90:91], null, v[88:89], v[88:89], 1.0
	s_delay_alu instid0(VALU_DEP_1) | instskip(SKIP_2) | instid1(VALU_DEP_1)
	v_rcp_f64_e32 v[94:95], v[90:91]
	s_waitcnt_depctr 0xfff
	v_fma_f64 v[105:106], -v[90:91], v[94:95], 1.0
	v_fma_f64 v[94:95], v[94:95], v[105:106], v[94:95]
	s_delay_alu instid0(VALU_DEP_1) | instskip(NEXT) | instid1(VALU_DEP_1)
	v_fma_f64 v[105:106], -v[90:91], v[94:95], 1.0
	v_fma_f64 v[94:95], v[94:95], v[105:106], v[94:95]
	v_div_scale_f64 v[105:106], vcc_lo, 1.0, v[88:89], 1.0
	s_delay_alu instid0(VALU_DEP_1) | instskip(NEXT) | instid1(VALU_DEP_1)
	v_mul_f64 v[107:108], v[105:106], v[94:95]
	v_fma_f64 v[90:91], -v[90:91], v[107:108], v[105:106]
	s_delay_alu instid0(VALU_DEP_1) | instskip(NEXT) | instid1(VALU_DEP_1)
	v_div_fmas_f64 v[90:91], v[90:91], v[94:95], v[107:108]
	v_div_fixup_f64 v[90:91], v[90:91], v[88:89], 1.0
	s_delay_alu instid0(VALU_DEP_1)
	v_mul_f64 v[88:89], v[92:93], v[90:91]
	v_xor_b32_e32 v91, 0x80000000, v91
.LBB42_343:
	s_and_not1_saveexec_b32 s2, s2
	s_cbranch_execz .LBB42_345
; %bb.344:
	s_delay_alu instid0(VALU_DEP_1) | instskip(SKIP_1) | instid1(VALU_DEP_2)
	v_div_scale_f64 v[92:93], null, v[88:89], v[88:89], v[90:91]
	v_div_scale_f64 v[107:108], vcc_lo, v[90:91], v[88:89], v[90:91]
	v_rcp_f64_e32 v[94:95], v[92:93]
	s_waitcnt_depctr 0xfff
	v_fma_f64 v[105:106], -v[92:93], v[94:95], 1.0
	s_delay_alu instid0(VALU_DEP_1) | instskip(NEXT) | instid1(VALU_DEP_1)
	v_fma_f64 v[94:95], v[94:95], v[105:106], v[94:95]
	v_fma_f64 v[105:106], -v[92:93], v[94:95], 1.0
	s_delay_alu instid0(VALU_DEP_1) | instskip(NEXT) | instid1(VALU_DEP_1)
	v_fma_f64 v[94:95], v[94:95], v[105:106], v[94:95]
	v_mul_f64 v[105:106], v[107:108], v[94:95]
	s_delay_alu instid0(VALU_DEP_1) | instskip(NEXT) | instid1(VALU_DEP_1)
	v_fma_f64 v[92:93], -v[92:93], v[105:106], v[107:108]
	v_div_fmas_f64 v[92:93], v[92:93], v[94:95], v[105:106]
	s_delay_alu instid0(VALU_DEP_1) | instskip(NEXT) | instid1(VALU_DEP_1)
	v_div_fixup_f64 v[92:93], v[92:93], v[88:89], v[90:91]
	v_fma_f64 v[88:89], v[90:91], v[92:93], v[88:89]
	s_delay_alu instid0(VALU_DEP_1) | instskip(NEXT) | instid1(VALU_DEP_1)
	v_div_scale_f64 v[90:91], null, v[88:89], v[88:89], 1.0
	v_rcp_f64_e32 v[94:95], v[90:91]
	s_waitcnt_depctr 0xfff
	v_fma_f64 v[105:106], -v[90:91], v[94:95], 1.0
	s_delay_alu instid0(VALU_DEP_1) | instskip(NEXT) | instid1(VALU_DEP_1)
	v_fma_f64 v[94:95], v[94:95], v[105:106], v[94:95]
	v_fma_f64 v[105:106], -v[90:91], v[94:95], 1.0
	s_delay_alu instid0(VALU_DEP_1) | instskip(SKIP_1) | instid1(VALU_DEP_1)
	v_fma_f64 v[94:95], v[94:95], v[105:106], v[94:95]
	v_div_scale_f64 v[105:106], vcc_lo, 1.0, v[88:89], 1.0
	v_mul_f64 v[107:108], v[105:106], v[94:95]
	s_delay_alu instid0(VALU_DEP_1) | instskip(NEXT) | instid1(VALU_DEP_1)
	v_fma_f64 v[90:91], -v[90:91], v[107:108], v[105:106]
	v_div_fmas_f64 v[90:91], v[90:91], v[94:95], v[107:108]
	s_delay_alu instid0(VALU_DEP_1) | instskip(NEXT) | instid1(VALU_DEP_1)
	v_div_fixup_f64 v[88:89], v[90:91], v[88:89], 1.0
	v_mul_f64 v[90:91], v[92:93], -v[88:89]
.LBB42_345:
	s_or_b32 exec_lo, exec_lo, s2
.LBB42_346:
	s_delay_alu instid0(SALU_CYCLE_1) | instskip(NEXT) | instid1(SALU_CYCLE_1)
	s_or_b32 exec_lo, exec_lo, s3
	s_mov_b32 s2, exec_lo
	v_cmpx_ne_u32_e64 v99, v96
	s_xor_b32 s2, exec_lo, s2
	s_cbranch_execz .LBB42_352
; %bb.347:
	s_mov_b32 s3, exec_lo
	v_cmpx_eq_u32_e32 16, v99
	s_cbranch_execz .LBB42_351
; %bb.348:
	v_cmp_ne_u32_e32 vcc_lo, 16, v96
	s_xor_b32 s6, s4, -1
	s_delay_alu instid0(SALU_CYCLE_1) | instskip(NEXT) | instid1(SALU_CYCLE_1)
	s_and_b32 s7, s6, vcc_lo
	s_and_saveexec_b32 s6, s7
	s_cbranch_execz .LBB42_350
; %bb.349:
	v_ashrrev_i32_e32 v97, 31, v96
	s_delay_alu instid0(VALU_DEP_1) | instskip(NEXT) | instid1(VALU_DEP_1)
	v_lshlrev_b64 v[92:93], 2, v[96:97]
	v_add_co_u32 v92, vcc_lo, v44, v92
	s_delay_alu instid0(VALU_DEP_2)
	v_add_co_ci_u32_e32 v93, vcc_lo, v45, v93, vcc_lo
	s_clause 0x1
	flat_load_b32 v94, v[92:93]
	flat_load_b32 v95, v[44:45] offset:64
	s_waitcnt vmcnt(1) lgkmcnt(1)
	flat_store_b32 v[44:45], v94 offset:64
	s_waitcnt vmcnt(0) lgkmcnt(1)
	flat_store_b32 v[92:93], v95
.LBB42_350:
	s_or_b32 exec_lo, exec_lo, s6
	v_mov_b32_e32 v99, v96
	v_mov_b32_e32 v255, v96
.LBB42_351:
	s_or_b32 exec_lo, exec_lo, s3
.LBB42_352:
	s_and_not1_saveexec_b32 s2, s2
	s_cbranch_execz .LBB42_354
; %bb.353:
	v_mov_b32_e32 v99, 16
	ds_store_2addr_b64 v98, v[12:13], v[14:15] offset0:34 offset1:35
	ds_store_2addr_b64 v98, v[8:9], v[10:11] offset0:36 offset1:37
	;; [unrolled: 1-line block ×5, first 2 shown]
.LBB42_354:
	s_or_b32 exec_lo, exec_lo, s2
	s_delay_alu instid0(SALU_CYCLE_1)
	s_mov_b32 s2, exec_lo
	s_waitcnt lgkmcnt(0)
	s_waitcnt_vscnt null, 0x0
	s_barrier
	buffer_gl0_inv
	v_cmpx_lt_i32_e32 16, v99
	s_cbranch_execz .LBB42_356
; %bb.355:
	v_mul_f64 v[92:93], v[88:89], v[26:27]
	v_mul_f64 v[26:27], v[90:91], v[26:27]
	ds_load_2addr_b64 v[105:108], v98 offset0:34 offset1:35
	ds_load_2addr_b64 v[109:112], v98 offset0:36 offset1:37
	;; [unrolled: 1-line block ×5, first 2 shown]
	v_fma_f64 v[90:91], v[90:91], v[24:25], v[92:93]
	v_fma_f64 v[24:25], v[88:89], v[24:25], -v[26:27]
	s_waitcnt lgkmcnt(4)
	s_delay_alu instid0(VALU_DEP_2)
	v_mul_f64 v[26:27], v[107:108], v[90:91]
	v_mul_f64 v[88:89], v[105:106], v[90:91]
	s_waitcnt lgkmcnt(3)
	v_mul_f64 v[92:93], v[111:112], v[90:91]
	v_mul_f64 v[94:95], v[109:110], v[90:91]
	s_waitcnt lgkmcnt(2)
	;; [unrolled: 3-line block ×4, first 2 shown]
	v_mul_f64 v[131:132], v[123:124], v[90:91]
	v_mul_f64 v[133:134], v[121:122], v[90:91]
	v_fma_f64 v[26:27], v[105:106], v[24:25], -v[26:27]
	v_fma_f64 v[88:89], v[107:108], v[24:25], v[88:89]
	v_fma_f64 v[92:93], v[109:110], v[24:25], -v[92:93]
	v_fma_f64 v[94:95], v[111:112], v[24:25], v[94:95]
	;; [unrolled: 2-line block ×5, first 2 shown]
	v_add_f64 v[12:13], v[12:13], -v[26:27]
	v_add_f64 v[14:15], v[14:15], -v[88:89]
	;; [unrolled: 1-line block ×10, first 2 shown]
	v_dual_mov_b32 v26, v90 :: v_dual_mov_b32 v27, v91
.LBB42_356:
	s_or_b32 exec_lo, exec_lo, s2
	v_lshl_add_u32 v88, v99, 4, v98
	s_barrier
	buffer_gl0_inv
	v_mov_b32_e32 v96, 17
	ds_store_2addr_b64 v88, v[12:13], v[14:15] offset1:1
	s_waitcnt lgkmcnt(0)
	s_barrier
	buffer_gl0_inv
	ds_load_2addr_b64 v[88:91], v98 offset0:34 offset1:35
	s_cmp_lt_i32 s5, 19
	s_cbranch_scc1 .LBB42_359
; %bb.357:
	v_add3_u32 v97, v47, 0, 0x120
	v_mov_b32_e32 v96, 17
	s_mov_b32 s6, 18
	s_set_inst_prefetch_distance 0x1
	.p2align	6
.LBB42_358:                             ; =>This Inner Loop Header: Depth=1
	ds_load_2addr_b64 v[105:108], v97 offset1:1
	s_waitcnt lgkmcnt(1)
	v_cmp_gt_f64_e32 vcc_lo, 0, v[88:89]
	v_xor_b32_e32 v92, 0x80000000, v89
	v_cmp_gt_f64_e64 s2, 0, v[90:91]
	v_xor_b32_e32 v94, 0x80000000, v91
	v_add_nc_u32_e32 v97, 16, v97
	s_waitcnt lgkmcnt(0)
	v_cmp_gt_f64_e64 s3, 0, v[105:106]
	v_mov_b32_e32 v109, v105
	v_mov_b32_e32 v111, v107
	v_cndmask_b32_e32 v93, v89, v92, vcc_lo
	v_xor_b32_e32 v92, 0x80000000, v106
	v_cndmask_b32_e64 v95, v91, v94, s2
	v_xor_b32_e32 v94, 0x80000000, v108
	s_delay_alu instid0(VALU_DEP_3) | instskip(SKIP_2) | instid1(VALU_DEP_2)
	v_cndmask_b32_e64 v110, v106, v92, s3
	v_cmp_gt_f64_e64 s3, 0, v[107:108]
	v_cndmask_b32_e32 v92, v88, v88, vcc_lo
	v_cndmask_b32_e64 v112, v108, v94, s3
	v_cndmask_b32_e64 v94, v90, v90, s2
	s_delay_alu instid0(VALU_DEP_2) | instskip(NEXT) | instid1(VALU_DEP_2)
	v_add_f64 v[109:110], v[109:110], v[111:112]
	v_add_f64 v[92:93], v[92:93], v[94:95]
	s_delay_alu instid0(VALU_DEP_1) | instskip(SKIP_4) | instid1(SALU_CYCLE_1)
	v_cmp_lt_f64_e32 vcc_lo, v[92:93], v[109:110]
	v_dual_cndmask_b32 v88, v88, v105 :: v_dual_cndmask_b32 v89, v89, v106
	v_dual_cndmask_b32 v91, v91, v108 :: v_dual_cndmask_b32 v90, v90, v107
	v_cndmask_b32_e64 v96, v96, s6, vcc_lo
	s_add_i32 s6, s6, 1
	s_cmp_lg_u32 s5, s6
	s_cbranch_scc1 .LBB42_358
.LBB42_359:
	s_set_inst_prefetch_distance 0x2
	s_waitcnt lgkmcnt(0)
	v_cmp_eq_f64_e32 vcc_lo, 0, v[88:89]
	v_cmp_eq_f64_e64 s2, 0, v[90:91]
	s_delay_alu instid0(VALU_DEP_1) | instskip(NEXT) | instid1(SALU_CYCLE_1)
	s_and_b32 s2, vcc_lo, s2
	s_and_saveexec_b32 s3, s2
	s_delay_alu instid0(SALU_CYCLE_1)
	s_xor_b32 s2, exec_lo, s3
; %bb.360:
	v_cmp_ne_u32_e32 vcc_lo, 0, v46
	v_cndmask_b32_e32 v46, 18, v46, vcc_lo
; %bb.361:
	s_and_not1_saveexec_b32 s3, s2
	s_cbranch_execz .LBB42_367
; %bb.362:
	v_cmp_gt_f64_e32 vcc_lo, 0, v[88:89]
	v_cmp_gt_f64_e64 s2, 0, v[90:91]
	v_xor_b32_e32 v92, 0x80000000, v89
	v_xor_b32_e32 v94, 0x80000000, v91
	s_delay_alu instid0(VALU_DEP_2) | instskip(NEXT) | instid1(VALU_DEP_2)
	v_cndmask_b32_e32 v93, v89, v92, vcc_lo
	v_cndmask_b32_e64 v95, v91, v94, s2
	v_cndmask_b32_e32 v92, v88, v88, vcc_lo
	v_cndmask_b32_e64 v94, v90, v90, s2
	s_mov_b32 s2, exec_lo
	s_delay_alu instid0(VALU_DEP_1)
	v_cmpx_ngt_f64_e32 v[92:93], v[94:95]
	s_xor_b32 s2, exec_lo, s2
	s_cbranch_execz .LBB42_364
; %bb.363:
	v_div_scale_f64 v[92:93], null, v[90:91], v[90:91], v[88:89]
	v_div_scale_f64 v[107:108], vcc_lo, v[88:89], v[90:91], v[88:89]
	s_delay_alu instid0(VALU_DEP_2) | instskip(SKIP_2) | instid1(VALU_DEP_1)
	v_rcp_f64_e32 v[94:95], v[92:93]
	s_waitcnt_depctr 0xfff
	v_fma_f64 v[105:106], -v[92:93], v[94:95], 1.0
	v_fma_f64 v[94:95], v[94:95], v[105:106], v[94:95]
	s_delay_alu instid0(VALU_DEP_1) | instskip(NEXT) | instid1(VALU_DEP_1)
	v_fma_f64 v[105:106], -v[92:93], v[94:95], 1.0
	v_fma_f64 v[94:95], v[94:95], v[105:106], v[94:95]
	s_delay_alu instid0(VALU_DEP_1) | instskip(NEXT) | instid1(VALU_DEP_1)
	v_mul_f64 v[105:106], v[107:108], v[94:95]
	v_fma_f64 v[92:93], -v[92:93], v[105:106], v[107:108]
	s_delay_alu instid0(VALU_DEP_1) | instskip(NEXT) | instid1(VALU_DEP_1)
	v_div_fmas_f64 v[92:93], v[92:93], v[94:95], v[105:106]
	v_div_fixup_f64 v[92:93], v[92:93], v[90:91], v[88:89]
	s_delay_alu instid0(VALU_DEP_1) | instskip(NEXT) | instid1(VALU_DEP_1)
	v_fma_f64 v[88:89], v[88:89], v[92:93], v[90:91]
	v_div_scale_f64 v[90:91], null, v[88:89], v[88:89], 1.0
	s_delay_alu instid0(VALU_DEP_1) | instskip(SKIP_2) | instid1(VALU_DEP_1)
	v_rcp_f64_e32 v[94:95], v[90:91]
	s_waitcnt_depctr 0xfff
	v_fma_f64 v[105:106], -v[90:91], v[94:95], 1.0
	v_fma_f64 v[94:95], v[94:95], v[105:106], v[94:95]
	s_delay_alu instid0(VALU_DEP_1) | instskip(NEXT) | instid1(VALU_DEP_1)
	v_fma_f64 v[105:106], -v[90:91], v[94:95], 1.0
	v_fma_f64 v[94:95], v[94:95], v[105:106], v[94:95]
	v_div_scale_f64 v[105:106], vcc_lo, 1.0, v[88:89], 1.0
	s_delay_alu instid0(VALU_DEP_1) | instskip(NEXT) | instid1(VALU_DEP_1)
	v_mul_f64 v[107:108], v[105:106], v[94:95]
	v_fma_f64 v[90:91], -v[90:91], v[107:108], v[105:106]
	s_delay_alu instid0(VALU_DEP_1) | instskip(NEXT) | instid1(VALU_DEP_1)
	v_div_fmas_f64 v[90:91], v[90:91], v[94:95], v[107:108]
	v_div_fixup_f64 v[90:91], v[90:91], v[88:89], 1.0
	s_delay_alu instid0(VALU_DEP_1)
	v_mul_f64 v[88:89], v[92:93], v[90:91]
	v_xor_b32_e32 v91, 0x80000000, v91
.LBB42_364:
	s_and_not1_saveexec_b32 s2, s2
	s_cbranch_execz .LBB42_366
; %bb.365:
	s_delay_alu instid0(VALU_DEP_1) | instskip(SKIP_1) | instid1(VALU_DEP_2)
	v_div_scale_f64 v[92:93], null, v[88:89], v[88:89], v[90:91]
	v_div_scale_f64 v[107:108], vcc_lo, v[90:91], v[88:89], v[90:91]
	v_rcp_f64_e32 v[94:95], v[92:93]
	s_waitcnt_depctr 0xfff
	v_fma_f64 v[105:106], -v[92:93], v[94:95], 1.0
	s_delay_alu instid0(VALU_DEP_1) | instskip(NEXT) | instid1(VALU_DEP_1)
	v_fma_f64 v[94:95], v[94:95], v[105:106], v[94:95]
	v_fma_f64 v[105:106], -v[92:93], v[94:95], 1.0
	s_delay_alu instid0(VALU_DEP_1) | instskip(NEXT) | instid1(VALU_DEP_1)
	v_fma_f64 v[94:95], v[94:95], v[105:106], v[94:95]
	v_mul_f64 v[105:106], v[107:108], v[94:95]
	s_delay_alu instid0(VALU_DEP_1) | instskip(NEXT) | instid1(VALU_DEP_1)
	v_fma_f64 v[92:93], -v[92:93], v[105:106], v[107:108]
	v_div_fmas_f64 v[92:93], v[92:93], v[94:95], v[105:106]
	s_delay_alu instid0(VALU_DEP_1) | instskip(NEXT) | instid1(VALU_DEP_1)
	v_div_fixup_f64 v[92:93], v[92:93], v[88:89], v[90:91]
	v_fma_f64 v[88:89], v[90:91], v[92:93], v[88:89]
	s_delay_alu instid0(VALU_DEP_1) | instskip(NEXT) | instid1(VALU_DEP_1)
	v_div_scale_f64 v[90:91], null, v[88:89], v[88:89], 1.0
	v_rcp_f64_e32 v[94:95], v[90:91]
	s_waitcnt_depctr 0xfff
	v_fma_f64 v[105:106], -v[90:91], v[94:95], 1.0
	s_delay_alu instid0(VALU_DEP_1) | instskip(NEXT) | instid1(VALU_DEP_1)
	v_fma_f64 v[94:95], v[94:95], v[105:106], v[94:95]
	v_fma_f64 v[105:106], -v[90:91], v[94:95], 1.0
	s_delay_alu instid0(VALU_DEP_1) | instskip(SKIP_1) | instid1(VALU_DEP_1)
	v_fma_f64 v[94:95], v[94:95], v[105:106], v[94:95]
	v_div_scale_f64 v[105:106], vcc_lo, 1.0, v[88:89], 1.0
	v_mul_f64 v[107:108], v[105:106], v[94:95]
	s_delay_alu instid0(VALU_DEP_1) | instskip(NEXT) | instid1(VALU_DEP_1)
	v_fma_f64 v[90:91], -v[90:91], v[107:108], v[105:106]
	v_div_fmas_f64 v[90:91], v[90:91], v[94:95], v[107:108]
	s_delay_alu instid0(VALU_DEP_1) | instskip(NEXT) | instid1(VALU_DEP_1)
	v_div_fixup_f64 v[88:89], v[90:91], v[88:89], 1.0
	v_mul_f64 v[90:91], v[92:93], -v[88:89]
.LBB42_366:
	s_or_b32 exec_lo, exec_lo, s2
.LBB42_367:
	s_delay_alu instid0(SALU_CYCLE_1) | instskip(NEXT) | instid1(SALU_CYCLE_1)
	s_or_b32 exec_lo, exec_lo, s3
	s_mov_b32 s2, exec_lo
	v_cmpx_ne_u32_e64 v99, v96
	s_xor_b32 s2, exec_lo, s2
	s_cbranch_execz .LBB42_373
; %bb.368:
	s_mov_b32 s3, exec_lo
	v_cmpx_eq_u32_e32 17, v99
	s_cbranch_execz .LBB42_372
; %bb.369:
	v_cmp_ne_u32_e32 vcc_lo, 17, v96
	s_xor_b32 s6, s4, -1
	s_delay_alu instid0(SALU_CYCLE_1) | instskip(NEXT) | instid1(SALU_CYCLE_1)
	s_and_b32 s7, s6, vcc_lo
	s_and_saveexec_b32 s6, s7
	s_cbranch_execz .LBB42_371
; %bb.370:
	v_ashrrev_i32_e32 v97, 31, v96
	s_delay_alu instid0(VALU_DEP_1) | instskip(NEXT) | instid1(VALU_DEP_1)
	v_lshlrev_b64 v[92:93], 2, v[96:97]
	v_add_co_u32 v92, vcc_lo, v44, v92
	s_delay_alu instid0(VALU_DEP_2)
	v_add_co_ci_u32_e32 v93, vcc_lo, v45, v93, vcc_lo
	s_clause 0x1
	flat_load_b32 v94, v[92:93]
	flat_load_b32 v95, v[44:45] offset:68
	s_waitcnt vmcnt(1) lgkmcnt(1)
	flat_store_b32 v[44:45], v94 offset:68
	s_waitcnt vmcnt(0) lgkmcnt(1)
	flat_store_b32 v[92:93], v95
.LBB42_371:
	s_or_b32 exec_lo, exec_lo, s6
	v_mov_b32_e32 v99, v96
	v_mov_b32_e32 v255, v96
.LBB42_372:
	s_or_b32 exec_lo, exec_lo, s3
.LBB42_373:
	s_and_not1_saveexec_b32 s2, s2
	s_cbranch_execz .LBB42_375
; %bb.374:
	v_mov_b32_e32 v99, 17
	ds_store_2addr_b64 v98, v[8:9], v[10:11] offset0:36 offset1:37
	ds_store_2addr_b64 v98, v[4:5], v[6:7] offset0:38 offset1:39
	;; [unrolled: 1-line block ×4, first 2 shown]
.LBB42_375:
	s_or_b32 exec_lo, exec_lo, s2
	s_delay_alu instid0(SALU_CYCLE_1)
	s_mov_b32 s2, exec_lo
	s_waitcnt lgkmcnt(0)
	s_waitcnt_vscnt null, 0x0
	s_barrier
	buffer_gl0_inv
	v_cmpx_lt_i32_e32 17, v99
	s_cbranch_execz .LBB42_377
; %bb.376:
	v_mul_f64 v[92:93], v[88:89], v[14:15]
	v_mul_f64 v[14:15], v[90:91], v[14:15]
	ds_load_2addr_b64 v[105:108], v98 offset0:36 offset1:37
	ds_load_2addr_b64 v[109:112], v98 offset0:38 offset1:39
	;; [unrolled: 1-line block ×4, first 2 shown]
	v_fma_f64 v[90:91], v[90:91], v[12:13], v[92:93]
	v_fma_f64 v[12:13], v[88:89], v[12:13], -v[14:15]
	s_waitcnt lgkmcnt(3)
	s_delay_alu instid0(VALU_DEP_2)
	v_mul_f64 v[14:15], v[107:108], v[90:91]
	v_mul_f64 v[88:89], v[105:106], v[90:91]
	s_waitcnt lgkmcnt(2)
	v_mul_f64 v[92:93], v[111:112], v[90:91]
	v_mul_f64 v[94:95], v[109:110], v[90:91]
	s_waitcnt lgkmcnt(1)
	;; [unrolled: 3-line block ×3, first 2 shown]
	v_mul_f64 v[123:124], v[119:120], v[90:91]
	v_mul_f64 v[125:126], v[117:118], v[90:91]
	v_fma_f64 v[14:15], v[105:106], v[12:13], -v[14:15]
	v_fma_f64 v[88:89], v[107:108], v[12:13], v[88:89]
	v_fma_f64 v[92:93], v[109:110], v[12:13], -v[92:93]
	v_fma_f64 v[94:95], v[111:112], v[12:13], v[94:95]
	;; [unrolled: 2-line block ×4, first 2 shown]
	v_add_f64 v[8:9], v[8:9], -v[14:15]
	v_add_f64 v[10:11], v[10:11], -v[88:89]
	;; [unrolled: 1-line block ×8, first 2 shown]
	v_dual_mov_b32 v14, v90 :: v_dual_mov_b32 v15, v91
.LBB42_377:
	s_or_b32 exec_lo, exec_lo, s2
	v_lshl_add_u32 v88, v99, 4, v98
	s_barrier
	buffer_gl0_inv
	v_mov_b32_e32 v96, 18
	ds_store_2addr_b64 v88, v[8:9], v[10:11] offset1:1
	s_waitcnt lgkmcnt(0)
	s_barrier
	buffer_gl0_inv
	ds_load_2addr_b64 v[88:91], v98 offset0:36 offset1:37
	s_cmp_lt_i32 s5, 20
	s_cbranch_scc1 .LBB42_380
; %bb.378:
	v_add3_u32 v97, v47, 0, 0x130
	v_mov_b32_e32 v96, 18
	s_mov_b32 s6, 19
	s_set_inst_prefetch_distance 0x1
	.p2align	6
.LBB42_379:                             ; =>This Inner Loop Header: Depth=1
	ds_load_2addr_b64 v[105:108], v97 offset1:1
	s_waitcnt lgkmcnt(1)
	v_cmp_gt_f64_e32 vcc_lo, 0, v[88:89]
	v_xor_b32_e32 v92, 0x80000000, v89
	v_cmp_gt_f64_e64 s2, 0, v[90:91]
	v_xor_b32_e32 v94, 0x80000000, v91
	v_add_nc_u32_e32 v97, 16, v97
	s_waitcnt lgkmcnt(0)
	v_cmp_gt_f64_e64 s3, 0, v[105:106]
	v_mov_b32_e32 v109, v105
	v_mov_b32_e32 v111, v107
	v_cndmask_b32_e32 v93, v89, v92, vcc_lo
	v_xor_b32_e32 v92, 0x80000000, v106
	v_cndmask_b32_e64 v95, v91, v94, s2
	v_xor_b32_e32 v94, 0x80000000, v108
	s_delay_alu instid0(VALU_DEP_3) | instskip(SKIP_2) | instid1(VALU_DEP_2)
	v_cndmask_b32_e64 v110, v106, v92, s3
	v_cmp_gt_f64_e64 s3, 0, v[107:108]
	v_cndmask_b32_e32 v92, v88, v88, vcc_lo
	v_cndmask_b32_e64 v112, v108, v94, s3
	v_cndmask_b32_e64 v94, v90, v90, s2
	s_delay_alu instid0(VALU_DEP_2) | instskip(NEXT) | instid1(VALU_DEP_2)
	v_add_f64 v[109:110], v[109:110], v[111:112]
	v_add_f64 v[92:93], v[92:93], v[94:95]
	s_delay_alu instid0(VALU_DEP_1) | instskip(SKIP_4) | instid1(SALU_CYCLE_1)
	v_cmp_lt_f64_e32 vcc_lo, v[92:93], v[109:110]
	v_dual_cndmask_b32 v88, v88, v105 :: v_dual_cndmask_b32 v89, v89, v106
	v_dual_cndmask_b32 v91, v91, v108 :: v_dual_cndmask_b32 v90, v90, v107
	v_cndmask_b32_e64 v96, v96, s6, vcc_lo
	s_add_i32 s6, s6, 1
	s_cmp_lg_u32 s5, s6
	s_cbranch_scc1 .LBB42_379
.LBB42_380:
	s_set_inst_prefetch_distance 0x2
	s_waitcnt lgkmcnt(0)
	v_cmp_eq_f64_e32 vcc_lo, 0, v[88:89]
	v_cmp_eq_f64_e64 s2, 0, v[90:91]
	s_delay_alu instid0(VALU_DEP_1) | instskip(NEXT) | instid1(SALU_CYCLE_1)
	s_and_b32 s2, vcc_lo, s2
	s_and_saveexec_b32 s3, s2
	s_delay_alu instid0(SALU_CYCLE_1)
	s_xor_b32 s2, exec_lo, s3
; %bb.381:
	v_cmp_ne_u32_e32 vcc_lo, 0, v46
	v_cndmask_b32_e32 v46, 19, v46, vcc_lo
; %bb.382:
	s_and_not1_saveexec_b32 s3, s2
	s_cbranch_execz .LBB42_388
; %bb.383:
	v_cmp_gt_f64_e32 vcc_lo, 0, v[88:89]
	v_cmp_gt_f64_e64 s2, 0, v[90:91]
	v_xor_b32_e32 v92, 0x80000000, v89
	v_xor_b32_e32 v94, 0x80000000, v91
	s_delay_alu instid0(VALU_DEP_2) | instskip(NEXT) | instid1(VALU_DEP_2)
	v_cndmask_b32_e32 v93, v89, v92, vcc_lo
	v_cndmask_b32_e64 v95, v91, v94, s2
	v_cndmask_b32_e32 v92, v88, v88, vcc_lo
	v_cndmask_b32_e64 v94, v90, v90, s2
	s_mov_b32 s2, exec_lo
	s_delay_alu instid0(VALU_DEP_1)
	v_cmpx_ngt_f64_e32 v[92:93], v[94:95]
	s_xor_b32 s2, exec_lo, s2
	s_cbranch_execz .LBB42_385
; %bb.384:
	v_div_scale_f64 v[92:93], null, v[90:91], v[90:91], v[88:89]
	v_div_scale_f64 v[107:108], vcc_lo, v[88:89], v[90:91], v[88:89]
	s_delay_alu instid0(VALU_DEP_2) | instskip(SKIP_2) | instid1(VALU_DEP_1)
	v_rcp_f64_e32 v[94:95], v[92:93]
	s_waitcnt_depctr 0xfff
	v_fma_f64 v[105:106], -v[92:93], v[94:95], 1.0
	v_fma_f64 v[94:95], v[94:95], v[105:106], v[94:95]
	s_delay_alu instid0(VALU_DEP_1) | instskip(NEXT) | instid1(VALU_DEP_1)
	v_fma_f64 v[105:106], -v[92:93], v[94:95], 1.0
	v_fma_f64 v[94:95], v[94:95], v[105:106], v[94:95]
	s_delay_alu instid0(VALU_DEP_1) | instskip(NEXT) | instid1(VALU_DEP_1)
	v_mul_f64 v[105:106], v[107:108], v[94:95]
	v_fma_f64 v[92:93], -v[92:93], v[105:106], v[107:108]
	s_delay_alu instid0(VALU_DEP_1) | instskip(NEXT) | instid1(VALU_DEP_1)
	v_div_fmas_f64 v[92:93], v[92:93], v[94:95], v[105:106]
	v_div_fixup_f64 v[92:93], v[92:93], v[90:91], v[88:89]
	s_delay_alu instid0(VALU_DEP_1) | instskip(NEXT) | instid1(VALU_DEP_1)
	v_fma_f64 v[88:89], v[88:89], v[92:93], v[90:91]
	v_div_scale_f64 v[90:91], null, v[88:89], v[88:89], 1.0
	s_delay_alu instid0(VALU_DEP_1) | instskip(SKIP_2) | instid1(VALU_DEP_1)
	v_rcp_f64_e32 v[94:95], v[90:91]
	s_waitcnt_depctr 0xfff
	v_fma_f64 v[105:106], -v[90:91], v[94:95], 1.0
	v_fma_f64 v[94:95], v[94:95], v[105:106], v[94:95]
	s_delay_alu instid0(VALU_DEP_1) | instskip(NEXT) | instid1(VALU_DEP_1)
	v_fma_f64 v[105:106], -v[90:91], v[94:95], 1.0
	v_fma_f64 v[94:95], v[94:95], v[105:106], v[94:95]
	v_div_scale_f64 v[105:106], vcc_lo, 1.0, v[88:89], 1.0
	s_delay_alu instid0(VALU_DEP_1) | instskip(NEXT) | instid1(VALU_DEP_1)
	v_mul_f64 v[107:108], v[105:106], v[94:95]
	v_fma_f64 v[90:91], -v[90:91], v[107:108], v[105:106]
	s_delay_alu instid0(VALU_DEP_1) | instskip(NEXT) | instid1(VALU_DEP_1)
	v_div_fmas_f64 v[90:91], v[90:91], v[94:95], v[107:108]
	v_div_fixup_f64 v[90:91], v[90:91], v[88:89], 1.0
	s_delay_alu instid0(VALU_DEP_1)
	v_mul_f64 v[88:89], v[92:93], v[90:91]
	v_xor_b32_e32 v91, 0x80000000, v91
.LBB42_385:
	s_and_not1_saveexec_b32 s2, s2
	s_cbranch_execz .LBB42_387
; %bb.386:
	s_delay_alu instid0(VALU_DEP_1) | instskip(SKIP_1) | instid1(VALU_DEP_2)
	v_div_scale_f64 v[92:93], null, v[88:89], v[88:89], v[90:91]
	v_div_scale_f64 v[107:108], vcc_lo, v[90:91], v[88:89], v[90:91]
	v_rcp_f64_e32 v[94:95], v[92:93]
	s_waitcnt_depctr 0xfff
	v_fma_f64 v[105:106], -v[92:93], v[94:95], 1.0
	s_delay_alu instid0(VALU_DEP_1) | instskip(NEXT) | instid1(VALU_DEP_1)
	v_fma_f64 v[94:95], v[94:95], v[105:106], v[94:95]
	v_fma_f64 v[105:106], -v[92:93], v[94:95], 1.0
	s_delay_alu instid0(VALU_DEP_1) | instskip(NEXT) | instid1(VALU_DEP_1)
	v_fma_f64 v[94:95], v[94:95], v[105:106], v[94:95]
	v_mul_f64 v[105:106], v[107:108], v[94:95]
	s_delay_alu instid0(VALU_DEP_1) | instskip(NEXT) | instid1(VALU_DEP_1)
	v_fma_f64 v[92:93], -v[92:93], v[105:106], v[107:108]
	v_div_fmas_f64 v[92:93], v[92:93], v[94:95], v[105:106]
	s_delay_alu instid0(VALU_DEP_1) | instskip(NEXT) | instid1(VALU_DEP_1)
	v_div_fixup_f64 v[92:93], v[92:93], v[88:89], v[90:91]
	v_fma_f64 v[88:89], v[90:91], v[92:93], v[88:89]
	s_delay_alu instid0(VALU_DEP_1) | instskip(NEXT) | instid1(VALU_DEP_1)
	v_div_scale_f64 v[90:91], null, v[88:89], v[88:89], 1.0
	v_rcp_f64_e32 v[94:95], v[90:91]
	s_waitcnt_depctr 0xfff
	v_fma_f64 v[105:106], -v[90:91], v[94:95], 1.0
	s_delay_alu instid0(VALU_DEP_1) | instskip(NEXT) | instid1(VALU_DEP_1)
	v_fma_f64 v[94:95], v[94:95], v[105:106], v[94:95]
	v_fma_f64 v[105:106], -v[90:91], v[94:95], 1.0
	s_delay_alu instid0(VALU_DEP_1) | instskip(SKIP_1) | instid1(VALU_DEP_1)
	v_fma_f64 v[94:95], v[94:95], v[105:106], v[94:95]
	v_div_scale_f64 v[105:106], vcc_lo, 1.0, v[88:89], 1.0
	v_mul_f64 v[107:108], v[105:106], v[94:95]
	s_delay_alu instid0(VALU_DEP_1) | instskip(NEXT) | instid1(VALU_DEP_1)
	v_fma_f64 v[90:91], -v[90:91], v[107:108], v[105:106]
	v_div_fmas_f64 v[90:91], v[90:91], v[94:95], v[107:108]
	s_delay_alu instid0(VALU_DEP_1) | instskip(NEXT) | instid1(VALU_DEP_1)
	v_div_fixup_f64 v[88:89], v[90:91], v[88:89], 1.0
	v_mul_f64 v[90:91], v[92:93], -v[88:89]
.LBB42_387:
	s_or_b32 exec_lo, exec_lo, s2
.LBB42_388:
	s_delay_alu instid0(SALU_CYCLE_1) | instskip(NEXT) | instid1(SALU_CYCLE_1)
	s_or_b32 exec_lo, exec_lo, s3
	s_mov_b32 s2, exec_lo
	v_cmpx_ne_u32_e64 v99, v96
	s_xor_b32 s2, exec_lo, s2
	s_cbranch_execz .LBB42_394
; %bb.389:
	s_mov_b32 s3, exec_lo
	v_cmpx_eq_u32_e32 18, v99
	s_cbranch_execz .LBB42_393
; %bb.390:
	v_cmp_ne_u32_e32 vcc_lo, 18, v96
	s_xor_b32 s6, s4, -1
	s_delay_alu instid0(SALU_CYCLE_1) | instskip(NEXT) | instid1(SALU_CYCLE_1)
	s_and_b32 s7, s6, vcc_lo
	s_and_saveexec_b32 s6, s7
	s_cbranch_execz .LBB42_392
; %bb.391:
	v_ashrrev_i32_e32 v97, 31, v96
	s_delay_alu instid0(VALU_DEP_1) | instskip(NEXT) | instid1(VALU_DEP_1)
	v_lshlrev_b64 v[92:93], 2, v[96:97]
	v_add_co_u32 v92, vcc_lo, v44, v92
	s_delay_alu instid0(VALU_DEP_2)
	v_add_co_ci_u32_e32 v93, vcc_lo, v45, v93, vcc_lo
	s_clause 0x1
	flat_load_b32 v94, v[92:93]
	flat_load_b32 v95, v[44:45] offset:72
	s_waitcnt vmcnt(1) lgkmcnt(1)
	flat_store_b32 v[44:45], v94 offset:72
	s_waitcnt vmcnt(0) lgkmcnt(1)
	flat_store_b32 v[92:93], v95
.LBB42_392:
	s_or_b32 exec_lo, exec_lo, s6
	v_mov_b32_e32 v99, v96
	v_mov_b32_e32 v255, v96
.LBB42_393:
	s_or_b32 exec_lo, exec_lo, s3
.LBB42_394:
	s_and_not1_saveexec_b32 s2, s2
	s_cbranch_execz .LBB42_396
; %bb.395:
	v_mov_b32_e32 v99, 18
	ds_store_2addr_b64 v98, v[4:5], v[6:7] offset0:38 offset1:39
	ds_store_2addr_b64 v98, v[16:17], v[18:19] offset0:40 offset1:41
	;; [unrolled: 1-line block ×3, first 2 shown]
.LBB42_396:
	s_or_b32 exec_lo, exec_lo, s2
	s_delay_alu instid0(SALU_CYCLE_1)
	s_mov_b32 s2, exec_lo
	s_waitcnt lgkmcnt(0)
	s_waitcnt_vscnt null, 0x0
	s_barrier
	buffer_gl0_inv
	v_cmpx_lt_i32_e32 18, v99
	s_cbranch_execz .LBB42_398
; %bb.397:
	v_mul_f64 v[92:93], v[88:89], v[10:11]
	v_mul_f64 v[10:11], v[90:91], v[10:11]
	ds_load_2addr_b64 v[105:108], v98 offset0:38 offset1:39
	ds_load_2addr_b64 v[109:112], v98 offset0:40 offset1:41
	;; [unrolled: 1-line block ×3, first 2 shown]
	v_fma_f64 v[90:91], v[90:91], v[8:9], v[92:93]
	v_fma_f64 v[8:9], v[88:89], v[8:9], -v[10:11]
	s_waitcnt lgkmcnt(2)
	s_delay_alu instid0(VALU_DEP_2)
	v_mul_f64 v[10:11], v[107:108], v[90:91]
	v_mul_f64 v[88:89], v[105:106], v[90:91]
	s_waitcnt lgkmcnt(1)
	v_mul_f64 v[92:93], v[111:112], v[90:91]
	v_mul_f64 v[94:95], v[109:110], v[90:91]
	s_waitcnt lgkmcnt(0)
	v_mul_f64 v[96:97], v[115:116], v[90:91]
	v_mul_f64 v[117:118], v[113:114], v[90:91]
	v_fma_f64 v[10:11], v[105:106], v[8:9], -v[10:11]
	v_fma_f64 v[88:89], v[107:108], v[8:9], v[88:89]
	v_fma_f64 v[92:93], v[109:110], v[8:9], -v[92:93]
	v_fma_f64 v[94:95], v[111:112], v[8:9], v[94:95]
	;; [unrolled: 2-line block ×3, first 2 shown]
	v_add_f64 v[4:5], v[4:5], -v[10:11]
	v_add_f64 v[6:7], v[6:7], -v[88:89]
	;; [unrolled: 1-line block ×6, first 2 shown]
	v_dual_mov_b32 v10, v90 :: v_dual_mov_b32 v11, v91
.LBB42_398:
	s_or_b32 exec_lo, exec_lo, s2
	v_lshl_add_u32 v88, v99, 4, v98
	s_barrier
	buffer_gl0_inv
	v_mov_b32_e32 v96, 19
	ds_store_2addr_b64 v88, v[4:5], v[6:7] offset1:1
	s_waitcnt lgkmcnt(0)
	s_barrier
	buffer_gl0_inv
	ds_load_2addr_b64 v[88:91], v98 offset0:38 offset1:39
	s_cmp_lt_i32 s5, 21
	s_cbranch_scc1 .LBB42_401
; %bb.399:
	v_add3_u32 v97, v47, 0, 0x140
	v_mov_b32_e32 v96, 19
	s_mov_b32 s6, 20
	s_set_inst_prefetch_distance 0x1
	.p2align	6
.LBB42_400:                             ; =>This Inner Loop Header: Depth=1
	ds_load_2addr_b64 v[105:108], v97 offset1:1
	s_waitcnt lgkmcnt(1)
	v_cmp_gt_f64_e32 vcc_lo, 0, v[88:89]
	v_xor_b32_e32 v92, 0x80000000, v89
	v_cmp_gt_f64_e64 s2, 0, v[90:91]
	v_xor_b32_e32 v94, 0x80000000, v91
	v_add_nc_u32_e32 v97, 16, v97
	s_waitcnt lgkmcnt(0)
	v_cmp_gt_f64_e64 s3, 0, v[105:106]
	v_mov_b32_e32 v109, v105
	v_mov_b32_e32 v111, v107
	v_cndmask_b32_e32 v93, v89, v92, vcc_lo
	v_xor_b32_e32 v92, 0x80000000, v106
	v_cndmask_b32_e64 v95, v91, v94, s2
	v_xor_b32_e32 v94, 0x80000000, v108
	s_delay_alu instid0(VALU_DEP_3) | instskip(SKIP_2) | instid1(VALU_DEP_2)
	v_cndmask_b32_e64 v110, v106, v92, s3
	v_cmp_gt_f64_e64 s3, 0, v[107:108]
	v_cndmask_b32_e32 v92, v88, v88, vcc_lo
	v_cndmask_b32_e64 v112, v108, v94, s3
	v_cndmask_b32_e64 v94, v90, v90, s2
	s_delay_alu instid0(VALU_DEP_2) | instskip(NEXT) | instid1(VALU_DEP_2)
	v_add_f64 v[109:110], v[109:110], v[111:112]
	v_add_f64 v[92:93], v[92:93], v[94:95]
	s_delay_alu instid0(VALU_DEP_1) | instskip(SKIP_4) | instid1(SALU_CYCLE_1)
	v_cmp_lt_f64_e32 vcc_lo, v[92:93], v[109:110]
	v_dual_cndmask_b32 v88, v88, v105 :: v_dual_cndmask_b32 v89, v89, v106
	v_dual_cndmask_b32 v91, v91, v108 :: v_dual_cndmask_b32 v90, v90, v107
	v_cndmask_b32_e64 v96, v96, s6, vcc_lo
	s_add_i32 s6, s6, 1
	s_cmp_lg_u32 s5, s6
	s_cbranch_scc1 .LBB42_400
.LBB42_401:
	s_set_inst_prefetch_distance 0x2
	s_waitcnt lgkmcnt(0)
	v_cmp_eq_f64_e32 vcc_lo, 0, v[88:89]
	v_cmp_eq_f64_e64 s2, 0, v[90:91]
	s_delay_alu instid0(VALU_DEP_1) | instskip(NEXT) | instid1(SALU_CYCLE_1)
	s_and_b32 s2, vcc_lo, s2
	s_and_saveexec_b32 s3, s2
	s_delay_alu instid0(SALU_CYCLE_1)
	s_xor_b32 s2, exec_lo, s3
; %bb.402:
	v_cmp_ne_u32_e32 vcc_lo, 0, v46
	v_cndmask_b32_e32 v46, 20, v46, vcc_lo
; %bb.403:
	s_and_not1_saveexec_b32 s3, s2
	s_cbranch_execz .LBB42_409
; %bb.404:
	v_cmp_gt_f64_e32 vcc_lo, 0, v[88:89]
	v_cmp_gt_f64_e64 s2, 0, v[90:91]
	v_xor_b32_e32 v92, 0x80000000, v89
	v_xor_b32_e32 v94, 0x80000000, v91
	s_delay_alu instid0(VALU_DEP_2) | instskip(NEXT) | instid1(VALU_DEP_2)
	v_cndmask_b32_e32 v93, v89, v92, vcc_lo
	v_cndmask_b32_e64 v95, v91, v94, s2
	v_cndmask_b32_e32 v92, v88, v88, vcc_lo
	v_cndmask_b32_e64 v94, v90, v90, s2
	s_mov_b32 s2, exec_lo
	s_delay_alu instid0(VALU_DEP_1)
	v_cmpx_ngt_f64_e32 v[92:93], v[94:95]
	s_xor_b32 s2, exec_lo, s2
	s_cbranch_execz .LBB42_406
; %bb.405:
	v_div_scale_f64 v[92:93], null, v[90:91], v[90:91], v[88:89]
	v_div_scale_f64 v[107:108], vcc_lo, v[88:89], v[90:91], v[88:89]
	s_delay_alu instid0(VALU_DEP_2) | instskip(SKIP_2) | instid1(VALU_DEP_1)
	v_rcp_f64_e32 v[94:95], v[92:93]
	s_waitcnt_depctr 0xfff
	v_fma_f64 v[105:106], -v[92:93], v[94:95], 1.0
	v_fma_f64 v[94:95], v[94:95], v[105:106], v[94:95]
	s_delay_alu instid0(VALU_DEP_1) | instskip(NEXT) | instid1(VALU_DEP_1)
	v_fma_f64 v[105:106], -v[92:93], v[94:95], 1.0
	v_fma_f64 v[94:95], v[94:95], v[105:106], v[94:95]
	s_delay_alu instid0(VALU_DEP_1) | instskip(NEXT) | instid1(VALU_DEP_1)
	v_mul_f64 v[105:106], v[107:108], v[94:95]
	v_fma_f64 v[92:93], -v[92:93], v[105:106], v[107:108]
	s_delay_alu instid0(VALU_DEP_1) | instskip(NEXT) | instid1(VALU_DEP_1)
	v_div_fmas_f64 v[92:93], v[92:93], v[94:95], v[105:106]
	v_div_fixup_f64 v[92:93], v[92:93], v[90:91], v[88:89]
	s_delay_alu instid0(VALU_DEP_1) | instskip(NEXT) | instid1(VALU_DEP_1)
	v_fma_f64 v[88:89], v[88:89], v[92:93], v[90:91]
	v_div_scale_f64 v[90:91], null, v[88:89], v[88:89], 1.0
	s_delay_alu instid0(VALU_DEP_1) | instskip(SKIP_2) | instid1(VALU_DEP_1)
	v_rcp_f64_e32 v[94:95], v[90:91]
	s_waitcnt_depctr 0xfff
	v_fma_f64 v[105:106], -v[90:91], v[94:95], 1.0
	v_fma_f64 v[94:95], v[94:95], v[105:106], v[94:95]
	s_delay_alu instid0(VALU_DEP_1) | instskip(NEXT) | instid1(VALU_DEP_1)
	v_fma_f64 v[105:106], -v[90:91], v[94:95], 1.0
	v_fma_f64 v[94:95], v[94:95], v[105:106], v[94:95]
	v_div_scale_f64 v[105:106], vcc_lo, 1.0, v[88:89], 1.0
	s_delay_alu instid0(VALU_DEP_1) | instskip(NEXT) | instid1(VALU_DEP_1)
	v_mul_f64 v[107:108], v[105:106], v[94:95]
	v_fma_f64 v[90:91], -v[90:91], v[107:108], v[105:106]
	s_delay_alu instid0(VALU_DEP_1) | instskip(NEXT) | instid1(VALU_DEP_1)
	v_div_fmas_f64 v[90:91], v[90:91], v[94:95], v[107:108]
	v_div_fixup_f64 v[90:91], v[90:91], v[88:89], 1.0
	s_delay_alu instid0(VALU_DEP_1)
	v_mul_f64 v[88:89], v[92:93], v[90:91]
	v_xor_b32_e32 v91, 0x80000000, v91
.LBB42_406:
	s_and_not1_saveexec_b32 s2, s2
	s_cbranch_execz .LBB42_408
; %bb.407:
	s_delay_alu instid0(VALU_DEP_1) | instskip(SKIP_1) | instid1(VALU_DEP_2)
	v_div_scale_f64 v[92:93], null, v[88:89], v[88:89], v[90:91]
	v_div_scale_f64 v[107:108], vcc_lo, v[90:91], v[88:89], v[90:91]
	v_rcp_f64_e32 v[94:95], v[92:93]
	s_waitcnt_depctr 0xfff
	v_fma_f64 v[105:106], -v[92:93], v[94:95], 1.0
	s_delay_alu instid0(VALU_DEP_1) | instskip(NEXT) | instid1(VALU_DEP_1)
	v_fma_f64 v[94:95], v[94:95], v[105:106], v[94:95]
	v_fma_f64 v[105:106], -v[92:93], v[94:95], 1.0
	s_delay_alu instid0(VALU_DEP_1) | instskip(NEXT) | instid1(VALU_DEP_1)
	v_fma_f64 v[94:95], v[94:95], v[105:106], v[94:95]
	v_mul_f64 v[105:106], v[107:108], v[94:95]
	s_delay_alu instid0(VALU_DEP_1) | instskip(NEXT) | instid1(VALU_DEP_1)
	v_fma_f64 v[92:93], -v[92:93], v[105:106], v[107:108]
	v_div_fmas_f64 v[92:93], v[92:93], v[94:95], v[105:106]
	s_delay_alu instid0(VALU_DEP_1) | instskip(NEXT) | instid1(VALU_DEP_1)
	v_div_fixup_f64 v[92:93], v[92:93], v[88:89], v[90:91]
	v_fma_f64 v[88:89], v[90:91], v[92:93], v[88:89]
	s_delay_alu instid0(VALU_DEP_1) | instskip(NEXT) | instid1(VALU_DEP_1)
	v_div_scale_f64 v[90:91], null, v[88:89], v[88:89], 1.0
	v_rcp_f64_e32 v[94:95], v[90:91]
	s_waitcnt_depctr 0xfff
	v_fma_f64 v[105:106], -v[90:91], v[94:95], 1.0
	s_delay_alu instid0(VALU_DEP_1) | instskip(NEXT) | instid1(VALU_DEP_1)
	v_fma_f64 v[94:95], v[94:95], v[105:106], v[94:95]
	v_fma_f64 v[105:106], -v[90:91], v[94:95], 1.0
	s_delay_alu instid0(VALU_DEP_1) | instskip(SKIP_1) | instid1(VALU_DEP_1)
	v_fma_f64 v[94:95], v[94:95], v[105:106], v[94:95]
	v_div_scale_f64 v[105:106], vcc_lo, 1.0, v[88:89], 1.0
	v_mul_f64 v[107:108], v[105:106], v[94:95]
	s_delay_alu instid0(VALU_DEP_1) | instskip(NEXT) | instid1(VALU_DEP_1)
	v_fma_f64 v[90:91], -v[90:91], v[107:108], v[105:106]
	v_div_fmas_f64 v[90:91], v[90:91], v[94:95], v[107:108]
	s_delay_alu instid0(VALU_DEP_1) | instskip(NEXT) | instid1(VALU_DEP_1)
	v_div_fixup_f64 v[88:89], v[90:91], v[88:89], 1.0
	v_mul_f64 v[90:91], v[92:93], -v[88:89]
.LBB42_408:
	s_or_b32 exec_lo, exec_lo, s2
.LBB42_409:
	s_delay_alu instid0(SALU_CYCLE_1) | instskip(NEXT) | instid1(SALU_CYCLE_1)
	s_or_b32 exec_lo, exec_lo, s3
	s_mov_b32 s2, exec_lo
	v_cmpx_ne_u32_e64 v99, v96
	s_xor_b32 s2, exec_lo, s2
	s_cbranch_execz .LBB42_415
; %bb.410:
	s_mov_b32 s3, exec_lo
	v_cmpx_eq_u32_e32 19, v99
	s_cbranch_execz .LBB42_414
; %bb.411:
	v_cmp_ne_u32_e32 vcc_lo, 19, v96
	s_xor_b32 s6, s4, -1
	s_delay_alu instid0(SALU_CYCLE_1) | instskip(NEXT) | instid1(SALU_CYCLE_1)
	s_and_b32 s7, s6, vcc_lo
	s_and_saveexec_b32 s6, s7
	s_cbranch_execz .LBB42_413
; %bb.412:
	v_ashrrev_i32_e32 v97, 31, v96
	s_delay_alu instid0(VALU_DEP_1) | instskip(NEXT) | instid1(VALU_DEP_1)
	v_lshlrev_b64 v[92:93], 2, v[96:97]
	v_add_co_u32 v92, vcc_lo, v44, v92
	s_delay_alu instid0(VALU_DEP_2)
	v_add_co_ci_u32_e32 v93, vcc_lo, v45, v93, vcc_lo
	s_clause 0x1
	flat_load_b32 v94, v[92:93]
	flat_load_b32 v95, v[44:45] offset:76
	s_waitcnt vmcnt(1) lgkmcnt(1)
	flat_store_b32 v[44:45], v94 offset:76
	s_waitcnt vmcnt(0) lgkmcnt(1)
	flat_store_b32 v[92:93], v95
.LBB42_413:
	s_or_b32 exec_lo, exec_lo, s6
	v_mov_b32_e32 v99, v96
	v_mov_b32_e32 v255, v96
.LBB42_414:
	s_or_b32 exec_lo, exec_lo, s3
.LBB42_415:
	s_and_not1_saveexec_b32 s2, s2
	s_cbranch_execz .LBB42_417
; %bb.416:
	v_mov_b32_e32 v99, 19
	ds_store_2addr_b64 v98, v[16:17], v[18:19] offset0:40 offset1:41
	ds_store_2addr_b64 v98, v[0:1], v[2:3] offset0:42 offset1:43
.LBB42_417:
	s_or_b32 exec_lo, exec_lo, s2
	s_delay_alu instid0(SALU_CYCLE_1)
	s_mov_b32 s2, exec_lo
	s_waitcnt lgkmcnt(0)
	s_waitcnt_vscnt null, 0x0
	s_barrier
	buffer_gl0_inv
	v_cmpx_lt_i32_e32 19, v99
	s_cbranch_execz .LBB42_419
; %bb.418:
	v_mul_f64 v[92:93], v[88:89], v[6:7]
	v_mul_f64 v[6:7], v[90:91], v[6:7]
	ds_load_2addr_b64 v[105:108], v98 offset0:40 offset1:41
	ds_load_2addr_b64 v[109:112], v98 offset0:42 offset1:43
	v_fma_f64 v[90:91], v[90:91], v[4:5], v[92:93]
	v_fma_f64 v[4:5], v[88:89], v[4:5], -v[6:7]
	s_waitcnt lgkmcnt(1)
	s_delay_alu instid0(VALU_DEP_2) | instskip(SKIP_4) | instid1(VALU_DEP_4)
	v_mul_f64 v[6:7], v[107:108], v[90:91]
	v_mul_f64 v[88:89], v[105:106], v[90:91]
	s_waitcnt lgkmcnt(0)
	v_mul_f64 v[92:93], v[111:112], v[90:91]
	v_mul_f64 v[94:95], v[109:110], v[90:91]
	v_fma_f64 v[6:7], v[105:106], v[4:5], -v[6:7]
	s_delay_alu instid0(VALU_DEP_4) | instskip(NEXT) | instid1(VALU_DEP_4)
	v_fma_f64 v[88:89], v[107:108], v[4:5], v[88:89]
	v_fma_f64 v[92:93], v[109:110], v[4:5], -v[92:93]
	s_delay_alu instid0(VALU_DEP_4) | instskip(NEXT) | instid1(VALU_DEP_4)
	v_fma_f64 v[94:95], v[111:112], v[4:5], v[94:95]
	v_add_f64 v[16:17], v[16:17], -v[6:7]
	s_delay_alu instid0(VALU_DEP_4) | instskip(NEXT) | instid1(VALU_DEP_4)
	v_add_f64 v[18:19], v[18:19], -v[88:89]
	v_add_f64 v[0:1], v[0:1], -v[92:93]
	s_delay_alu instid0(VALU_DEP_4)
	v_add_f64 v[2:3], v[2:3], -v[94:95]
	v_dual_mov_b32 v6, v90 :: v_dual_mov_b32 v7, v91
.LBB42_419:
	s_or_b32 exec_lo, exec_lo, s2
	v_lshl_add_u32 v88, v99, 4, v98
	s_barrier
	buffer_gl0_inv
	v_mov_b32_e32 v96, 20
	ds_store_2addr_b64 v88, v[16:17], v[18:19] offset1:1
	s_waitcnt lgkmcnt(0)
	s_barrier
	buffer_gl0_inv
	ds_load_2addr_b64 v[88:91], v98 offset0:40 offset1:41
	s_cmp_lt_i32 s5, 22
	s_cbranch_scc1 .LBB42_422
; %bb.420:
	v_add3_u32 v97, v47, 0, 0x150
	v_mov_b32_e32 v96, 20
	s_mov_b32 s6, 21
	s_set_inst_prefetch_distance 0x1
	.p2align	6
.LBB42_421:                             ; =>This Inner Loop Header: Depth=1
	ds_load_2addr_b64 v[105:108], v97 offset1:1
	s_waitcnt lgkmcnt(1)
	v_cmp_gt_f64_e32 vcc_lo, 0, v[88:89]
	v_xor_b32_e32 v92, 0x80000000, v89
	v_cmp_gt_f64_e64 s2, 0, v[90:91]
	v_xor_b32_e32 v94, 0x80000000, v91
	v_add_nc_u32_e32 v97, 16, v97
	s_waitcnt lgkmcnt(0)
	v_cmp_gt_f64_e64 s3, 0, v[105:106]
	v_mov_b32_e32 v109, v105
	v_mov_b32_e32 v111, v107
	v_cndmask_b32_e32 v93, v89, v92, vcc_lo
	v_xor_b32_e32 v92, 0x80000000, v106
	v_cndmask_b32_e64 v95, v91, v94, s2
	v_xor_b32_e32 v94, 0x80000000, v108
	s_delay_alu instid0(VALU_DEP_3) | instskip(SKIP_2) | instid1(VALU_DEP_2)
	v_cndmask_b32_e64 v110, v106, v92, s3
	v_cmp_gt_f64_e64 s3, 0, v[107:108]
	v_cndmask_b32_e32 v92, v88, v88, vcc_lo
	v_cndmask_b32_e64 v112, v108, v94, s3
	v_cndmask_b32_e64 v94, v90, v90, s2
	s_delay_alu instid0(VALU_DEP_2) | instskip(NEXT) | instid1(VALU_DEP_2)
	v_add_f64 v[109:110], v[109:110], v[111:112]
	v_add_f64 v[92:93], v[92:93], v[94:95]
	s_delay_alu instid0(VALU_DEP_1) | instskip(SKIP_4) | instid1(SALU_CYCLE_1)
	v_cmp_lt_f64_e32 vcc_lo, v[92:93], v[109:110]
	v_dual_cndmask_b32 v88, v88, v105 :: v_dual_cndmask_b32 v89, v89, v106
	v_dual_cndmask_b32 v91, v91, v108 :: v_dual_cndmask_b32 v90, v90, v107
	v_cndmask_b32_e64 v96, v96, s6, vcc_lo
	s_add_i32 s6, s6, 1
	s_cmp_lg_u32 s5, s6
	s_cbranch_scc1 .LBB42_421
.LBB42_422:
	s_set_inst_prefetch_distance 0x2
	s_waitcnt lgkmcnt(0)
	v_cmp_eq_f64_e32 vcc_lo, 0, v[88:89]
	v_cmp_eq_f64_e64 s2, 0, v[90:91]
	s_delay_alu instid0(VALU_DEP_1) | instskip(NEXT) | instid1(SALU_CYCLE_1)
	s_and_b32 s2, vcc_lo, s2
	s_and_saveexec_b32 s3, s2
	s_delay_alu instid0(SALU_CYCLE_1)
	s_xor_b32 s2, exec_lo, s3
; %bb.423:
	v_cmp_ne_u32_e32 vcc_lo, 0, v46
	v_cndmask_b32_e32 v46, 21, v46, vcc_lo
; %bb.424:
	s_and_not1_saveexec_b32 s3, s2
	s_cbranch_execz .LBB42_430
; %bb.425:
	v_cmp_gt_f64_e32 vcc_lo, 0, v[88:89]
	v_cmp_gt_f64_e64 s2, 0, v[90:91]
	v_xor_b32_e32 v92, 0x80000000, v89
	v_xor_b32_e32 v94, 0x80000000, v91
	s_delay_alu instid0(VALU_DEP_2) | instskip(NEXT) | instid1(VALU_DEP_2)
	v_cndmask_b32_e32 v93, v89, v92, vcc_lo
	v_cndmask_b32_e64 v95, v91, v94, s2
	v_cndmask_b32_e32 v92, v88, v88, vcc_lo
	v_cndmask_b32_e64 v94, v90, v90, s2
	s_mov_b32 s2, exec_lo
	s_delay_alu instid0(VALU_DEP_1)
	v_cmpx_ngt_f64_e32 v[92:93], v[94:95]
	s_xor_b32 s2, exec_lo, s2
	s_cbranch_execz .LBB42_427
; %bb.426:
	v_div_scale_f64 v[92:93], null, v[90:91], v[90:91], v[88:89]
	v_div_scale_f64 v[107:108], vcc_lo, v[88:89], v[90:91], v[88:89]
	s_delay_alu instid0(VALU_DEP_2) | instskip(SKIP_2) | instid1(VALU_DEP_1)
	v_rcp_f64_e32 v[94:95], v[92:93]
	s_waitcnt_depctr 0xfff
	v_fma_f64 v[105:106], -v[92:93], v[94:95], 1.0
	v_fma_f64 v[94:95], v[94:95], v[105:106], v[94:95]
	s_delay_alu instid0(VALU_DEP_1) | instskip(NEXT) | instid1(VALU_DEP_1)
	v_fma_f64 v[105:106], -v[92:93], v[94:95], 1.0
	v_fma_f64 v[94:95], v[94:95], v[105:106], v[94:95]
	s_delay_alu instid0(VALU_DEP_1) | instskip(NEXT) | instid1(VALU_DEP_1)
	v_mul_f64 v[105:106], v[107:108], v[94:95]
	v_fma_f64 v[92:93], -v[92:93], v[105:106], v[107:108]
	s_delay_alu instid0(VALU_DEP_1) | instskip(NEXT) | instid1(VALU_DEP_1)
	v_div_fmas_f64 v[92:93], v[92:93], v[94:95], v[105:106]
	v_div_fixup_f64 v[92:93], v[92:93], v[90:91], v[88:89]
	s_delay_alu instid0(VALU_DEP_1) | instskip(NEXT) | instid1(VALU_DEP_1)
	v_fma_f64 v[88:89], v[88:89], v[92:93], v[90:91]
	v_div_scale_f64 v[90:91], null, v[88:89], v[88:89], 1.0
	s_delay_alu instid0(VALU_DEP_1) | instskip(SKIP_2) | instid1(VALU_DEP_1)
	v_rcp_f64_e32 v[94:95], v[90:91]
	s_waitcnt_depctr 0xfff
	v_fma_f64 v[105:106], -v[90:91], v[94:95], 1.0
	v_fma_f64 v[94:95], v[94:95], v[105:106], v[94:95]
	s_delay_alu instid0(VALU_DEP_1) | instskip(NEXT) | instid1(VALU_DEP_1)
	v_fma_f64 v[105:106], -v[90:91], v[94:95], 1.0
	v_fma_f64 v[94:95], v[94:95], v[105:106], v[94:95]
	v_div_scale_f64 v[105:106], vcc_lo, 1.0, v[88:89], 1.0
	s_delay_alu instid0(VALU_DEP_1) | instskip(NEXT) | instid1(VALU_DEP_1)
	v_mul_f64 v[107:108], v[105:106], v[94:95]
	v_fma_f64 v[90:91], -v[90:91], v[107:108], v[105:106]
	s_delay_alu instid0(VALU_DEP_1) | instskip(NEXT) | instid1(VALU_DEP_1)
	v_div_fmas_f64 v[90:91], v[90:91], v[94:95], v[107:108]
	v_div_fixup_f64 v[90:91], v[90:91], v[88:89], 1.0
	s_delay_alu instid0(VALU_DEP_1)
	v_mul_f64 v[88:89], v[92:93], v[90:91]
	v_xor_b32_e32 v91, 0x80000000, v91
.LBB42_427:
	s_and_not1_saveexec_b32 s2, s2
	s_cbranch_execz .LBB42_429
; %bb.428:
	s_delay_alu instid0(VALU_DEP_1) | instskip(SKIP_1) | instid1(VALU_DEP_2)
	v_div_scale_f64 v[92:93], null, v[88:89], v[88:89], v[90:91]
	v_div_scale_f64 v[107:108], vcc_lo, v[90:91], v[88:89], v[90:91]
	v_rcp_f64_e32 v[94:95], v[92:93]
	s_waitcnt_depctr 0xfff
	v_fma_f64 v[105:106], -v[92:93], v[94:95], 1.0
	s_delay_alu instid0(VALU_DEP_1) | instskip(NEXT) | instid1(VALU_DEP_1)
	v_fma_f64 v[94:95], v[94:95], v[105:106], v[94:95]
	v_fma_f64 v[105:106], -v[92:93], v[94:95], 1.0
	s_delay_alu instid0(VALU_DEP_1) | instskip(NEXT) | instid1(VALU_DEP_1)
	v_fma_f64 v[94:95], v[94:95], v[105:106], v[94:95]
	v_mul_f64 v[105:106], v[107:108], v[94:95]
	s_delay_alu instid0(VALU_DEP_1) | instskip(NEXT) | instid1(VALU_DEP_1)
	v_fma_f64 v[92:93], -v[92:93], v[105:106], v[107:108]
	v_div_fmas_f64 v[92:93], v[92:93], v[94:95], v[105:106]
	s_delay_alu instid0(VALU_DEP_1) | instskip(NEXT) | instid1(VALU_DEP_1)
	v_div_fixup_f64 v[92:93], v[92:93], v[88:89], v[90:91]
	v_fma_f64 v[88:89], v[90:91], v[92:93], v[88:89]
	s_delay_alu instid0(VALU_DEP_1) | instskip(NEXT) | instid1(VALU_DEP_1)
	v_div_scale_f64 v[90:91], null, v[88:89], v[88:89], 1.0
	v_rcp_f64_e32 v[94:95], v[90:91]
	s_waitcnt_depctr 0xfff
	v_fma_f64 v[105:106], -v[90:91], v[94:95], 1.0
	s_delay_alu instid0(VALU_DEP_1) | instskip(NEXT) | instid1(VALU_DEP_1)
	v_fma_f64 v[94:95], v[94:95], v[105:106], v[94:95]
	v_fma_f64 v[105:106], -v[90:91], v[94:95], 1.0
	s_delay_alu instid0(VALU_DEP_1) | instskip(SKIP_1) | instid1(VALU_DEP_1)
	v_fma_f64 v[94:95], v[94:95], v[105:106], v[94:95]
	v_div_scale_f64 v[105:106], vcc_lo, 1.0, v[88:89], 1.0
	v_mul_f64 v[107:108], v[105:106], v[94:95]
	s_delay_alu instid0(VALU_DEP_1) | instskip(NEXT) | instid1(VALU_DEP_1)
	v_fma_f64 v[90:91], -v[90:91], v[107:108], v[105:106]
	v_div_fmas_f64 v[90:91], v[90:91], v[94:95], v[107:108]
	s_delay_alu instid0(VALU_DEP_1) | instskip(NEXT) | instid1(VALU_DEP_1)
	v_div_fixup_f64 v[88:89], v[90:91], v[88:89], 1.0
	v_mul_f64 v[90:91], v[92:93], -v[88:89]
.LBB42_429:
	s_or_b32 exec_lo, exec_lo, s2
.LBB42_430:
	s_delay_alu instid0(SALU_CYCLE_1) | instskip(NEXT) | instid1(SALU_CYCLE_1)
	s_or_b32 exec_lo, exec_lo, s3
	s_mov_b32 s2, exec_lo
	v_cmpx_ne_u32_e64 v99, v96
	s_xor_b32 s2, exec_lo, s2
	s_cbranch_execz .LBB42_436
; %bb.431:
	s_mov_b32 s3, exec_lo
	v_cmpx_eq_u32_e32 20, v99
	s_cbranch_execz .LBB42_435
; %bb.432:
	v_cmp_ne_u32_e32 vcc_lo, 20, v96
	s_xor_b32 s6, s4, -1
	s_delay_alu instid0(SALU_CYCLE_1) | instskip(NEXT) | instid1(SALU_CYCLE_1)
	s_and_b32 s7, s6, vcc_lo
	s_and_saveexec_b32 s6, s7
	s_cbranch_execz .LBB42_434
; %bb.433:
	v_ashrrev_i32_e32 v97, 31, v96
	s_delay_alu instid0(VALU_DEP_1) | instskip(NEXT) | instid1(VALU_DEP_1)
	v_lshlrev_b64 v[92:93], 2, v[96:97]
	v_add_co_u32 v92, vcc_lo, v44, v92
	s_delay_alu instid0(VALU_DEP_2)
	v_add_co_ci_u32_e32 v93, vcc_lo, v45, v93, vcc_lo
	s_clause 0x1
	flat_load_b32 v94, v[92:93]
	flat_load_b32 v95, v[44:45] offset:80
	s_waitcnt vmcnt(1) lgkmcnt(1)
	flat_store_b32 v[44:45], v94 offset:80
	s_waitcnt vmcnt(0) lgkmcnt(1)
	flat_store_b32 v[92:93], v95
.LBB42_434:
	s_or_b32 exec_lo, exec_lo, s6
	v_mov_b32_e32 v99, v96
	v_mov_b32_e32 v255, v96
.LBB42_435:
	s_or_b32 exec_lo, exec_lo, s3
.LBB42_436:
	s_and_not1_saveexec_b32 s2, s2
	s_cbranch_execz .LBB42_438
; %bb.437:
	v_mov_b32_e32 v99, 20
	ds_store_2addr_b64 v98, v[0:1], v[2:3] offset0:42 offset1:43
.LBB42_438:
	s_or_b32 exec_lo, exec_lo, s2
	s_delay_alu instid0(SALU_CYCLE_1)
	s_mov_b32 s2, exec_lo
	s_waitcnt lgkmcnt(0)
	s_waitcnt_vscnt null, 0x0
	s_barrier
	buffer_gl0_inv
	v_cmpx_lt_i32_e32 20, v99
	s_cbranch_execz .LBB42_440
; %bb.439:
	v_mul_f64 v[92:93], v[88:89], v[18:19]
	v_mul_f64 v[18:19], v[90:91], v[18:19]
	ds_load_2addr_b64 v[105:108], v98 offset0:42 offset1:43
	v_fma_f64 v[90:91], v[90:91], v[16:17], v[92:93]
	v_fma_f64 v[16:17], v[88:89], v[16:17], -v[18:19]
	s_waitcnt lgkmcnt(0)
	s_delay_alu instid0(VALU_DEP_2) | instskip(SKIP_1) | instid1(VALU_DEP_2)
	v_mul_f64 v[18:19], v[107:108], v[90:91]
	v_mul_f64 v[88:89], v[105:106], v[90:91]
	v_fma_f64 v[18:19], v[105:106], v[16:17], -v[18:19]
	s_delay_alu instid0(VALU_DEP_2) | instskip(NEXT) | instid1(VALU_DEP_2)
	v_fma_f64 v[88:89], v[107:108], v[16:17], v[88:89]
	v_add_f64 v[0:1], v[0:1], -v[18:19]
	s_delay_alu instid0(VALU_DEP_2)
	v_add_f64 v[2:3], v[2:3], -v[88:89]
	v_dual_mov_b32 v18, v90 :: v_dual_mov_b32 v19, v91
.LBB42_440:
	s_or_b32 exec_lo, exec_lo, s2
	v_lshl_add_u32 v88, v99, 4, v98
	s_barrier
	buffer_gl0_inv
	v_mov_b32_e32 v96, 21
	ds_store_2addr_b64 v88, v[0:1], v[2:3] offset1:1
	s_waitcnt lgkmcnt(0)
	s_barrier
	buffer_gl0_inv
	ds_load_2addr_b64 v[88:91], v98 offset0:42 offset1:43
	s_cmp_lt_i32 s5, 23
	s_cbranch_scc1 .LBB42_443
; %bb.441:
	v_add3_u32 v97, v47, 0, 0x160
	v_mov_b32_e32 v96, 21
	s_mov_b32 s6, 22
	s_set_inst_prefetch_distance 0x1
	.p2align	6
.LBB42_442:                             ; =>This Inner Loop Header: Depth=1
	ds_load_2addr_b64 v[105:108], v97 offset1:1
	s_waitcnt lgkmcnt(1)
	v_cmp_gt_f64_e32 vcc_lo, 0, v[88:89]
	v_xor_b32_e32 v92, 0x80000000, v89
	v_cmp_gt_f64_e64 s2, 0, v[90:91]
	v_xor_b32_e32 v94, 0x80000000, v91
	v_add_nc_u32_e32 v97, 16, v97
	s_waitcnt lgkmcnt(0)
	v_cmp_gt_f64_e64 s3, 0, v[105:106]
	v_mov_b32_e32 v109, v105
	v_mov_b32_e32 v111, v107
	v_cndmask_b32_e32 v93, v89, v92, vcc_lo
	v_xor_b32_e32 v92, 0x80000000, v106
	v_cndmask_b32_e64 v95, v91, v94, s2
	v_xor_b32_e32 v94, 0x80000000, v108
	s_delay_alu instid0(VALU_DEP_3) | instskip(SKIP_2) | instid1(VALU_DEP_2)
	v_cndmask_b32_e64 v110, v106, v92, s3
	v_cmp_gt_f64_e64 s3, 0, v[107:108]
	v_cndmask_b32_e32 v92, v88, v88, vcc_lo
	v_cndmask_b32_e64 v112, v108, v94, s3
	v_cndmask_b32_e64 v94, v90, v90, s2
	s_delay_alu instid0(VALU_DEP_2) | instskip(NEXT) | instid1(VALU_DEP_2)
	v_add_f64 v[109:110], v[109:110], v[111:112]
	v_add_f64 v[92:93], v[92:93], v[94:95]
	s_delay_alu instid0(VALU_DEP_1) | instskip(SKIP_4) | instid1(SALU_CYCLE_1)
	v_cmp_lt_f64_e32 vcc_lo, v[92:93], v[109:110]
	v_dual_cndmask_b32 v88, v88, v105 :: v_dual_cndmask_b32 v89, v89, v106
	v_dual_cndmask_b32 v91, v91, v108 :: v_dual_cndmask_b32 v90, v90, v107
	v_cndmask_b32_e64 v96, v96, s6, vcc_lo
	s_add_i32 s6, s6, 1
	s_cmp_lg_u32 s5, s6
	s_cbranch_scc1 .LBB42_442
.LBB42_443:
	s_set_inst_prefetch_distance 0x2
	s_waitcnt lgkmcnt(0)
	v_cmp_eq_f64_e32 vcc_lo, 0, v[88:89]
	v_cmp_eq_f64_e64 s2, 0, v[90:91]
	s_delay_alu instid0(VALU_DEP_1) | instskip(NEXT) | instid1(SALU_CYCLE_1)
	s_and_b32 s2, vcc_lo, s2
	s_and_saveexec_b32 s3, s2
	s_delay_alu instid0(SALU_CYCLE_1)
	s_xor_b32 s2, exec_lo, s3
; %bb.444:
	v_cmp_ne_u32_e32 vcc_lo, 0, v46
	v_cndmask_b32_e32 v46, 22, v46, vcc_lo
; %bb.445:
	s_and_not1_saveexec_b32 s3, s2
	s_cbranch_execz .LBB42_451
; %bb.446:
	v_cmp_gt_f64_e32 vcc_lo, 0, v[88:89]
	v_cmp_gt_f64_e64 s2, 0, v[90:91]
	v_xor_b32_e32 v92, 0x80000000, v89
	v_xor_b32_e32 v94, 0x80000000, v91
	s_delay_alu instid0(VALU_DEP_2) | instskip(NEXT) | instid1(VALU_DEP_2)
	v_cndmask_b32_e32 v93, v89, v92, vcc_lo
	v_cndmask_b32_e64 v95, v91, v94, s2
	v_cndmask_b32_e32 v92, v88, v88, vcc_lo
	v_cndmask_b32_e64 v94, v90, v90, s2
	s_mov_b32 s2, exec_lo
	s_delay_alu instid0(VALU_DEP_1)
	v_cmpx_ngt_f64_e32 v[92:93], v[94:95]
	s_xor_b32 s2, exec_lo, s2
	s_cbranch_execz .LBB42_448
; %bb.447:
	v_div_scale_f64 v[92:93], null, v[90:91], v[90:91], v[88:89]
	v_div_scale_f64 v[105:106], vcc_lo, v[88:89], v[90:91], v[88:89]
	s_delay_alu instid0(VALU_DEP_2) | instskip(SKIP_2) | instid1(VALU_DEP_1)
	v_rcp_f64_e32 v[94:95], v[92:93]
	s_waitcnt_depctr 0xfff
	v_fma_f64 v[97:98], -v[92:93], v[94:95], 1.0
	v_fma_f64 v[94:95], v[94:95], v[97:98], v[94:95]
	s_delay_alu instid0(VALU_DEP_1) | instskip(NEXT) | instid1(VALU_DEP_1)
	v_fma_f64 v[97:98], -v[92:93], v[94:95], 1.0
	v_fma_f64 v[94:95], v[94:95], v[97:98], v[94:95]
	s_delay_alu instid0(VALU_DEP_1) | instskip(NEXT) | instid1(VALU_DEP_1)
	v_mul_f64 v[97:98], v[105:106], v[94:95]
	v_fma_f64 v[92:93], -v[92:93], v[97:98], v[105:106]
	s_delay_alu instid0(VALU_DEP_1) | instskip(NEXT) | instid1(VALU_DEP_1)
	v_div_fmas_f64 v[92:93], v[92:93], v[94:95], v[97:98]
	v_div_fixup_f64 v[92:93], v[92:93], v[90:91], v[88:89]
	s_delay_alu instid0(VALU_DEP_1) | instskip(NEXT) | instid1(VALU_DEP_1)
	v_fma_f64 v[88:89], v[88:89], v[92:93], v[90:91]
	v_div_scale_f64 v[90:91], null, v[88:89], v[88:89], 1.0
	s_delay_alu instid0(VALU_DEP_1) | instskip(SKIP_2) | instid1(VALU_DEP_1)
	v_rcp_f64_e32 v[94:95], v[90:91]
	s_waitcnt_depctr 0xfff
	v_fma_f64 v[97:98], -v[90:91], v[94:95], 1.0
	v_fma_f64 v[94:95], v[94:95], v[97:98], v[94:95]
	s_delay_alu instid0(VALU_DEP_1) | instskip(NEXT) | instid1(VALU_DEP_1)
	v_fma_f64 v[97:98], -v[90:91], v[94:95], 1.0
	v_fma_f64 v[94:95], v[94:95], v[97:98], v[94:95]
	v_div_scale_f64 v[97:98], vcc_lo, 1.0, v[88:89], 1.0
	s_delay_alu instid0(VALU_DEP_1) | instskip(NEXT) | instid1(VALU_DEP_1)
	v_mul_f64 v[105:106], v[97:98], v[94:95]
	v_fma_f64 v[90:91], -v[90:91], v[105:106], v[97:98]
	s_delay_alu instid0(VALU_DEP_1) | instskip(NEXT) | instid1(VALU_DEP_1)
	v_div_fmas_f64 v[90:91], v[90:91], v[94:95], v[105:106]
	v_div_fixup_f64 v[90:91], v[90:91], v[88:89], 1.0
	s_delay_alu instid0(VALU_DEP_1)
	v_mul_f64 v[88:89], v[92:93], v[90:91]
	v_xor_b32_e32 v91, 0x80000000, v91
.LBB42_448:
	s_and_not1_saveexec_b32 s2, s2
	s_cbranch_execz .LBB42_450
; %bb.449:
	s_delay_alu instid0(VALU_DEP_1) | instskip(SKIP_1) | instid1(VALU_DEP_2)
	v_div_scale_f64 v[92:93], null, v[88:89], v[88:89], v[90:91]
	v_div_scale_f64 v[105:106], vcc_lo, v[90:91], v[88:89], v[90:91]
	v_rcp_f64_e32 v[94:95], v[92:93]
	s_waitcnt_depctr 0xfff
	v_fma_f64 v[97:98], -v[92:93], v[94:95], 1.0
	s_delay_alu instid0(VALU_DEP_1) | instskip(NEXT) | instid1(VALU_DEP_1)
	v_fma_f64 v[94:95], v[94:95], v[97:98], v[94:95]
	v_fma_f64 v[97:98], -v[92:93], v[94:95], 1.0
	s_delay_alu instid0(VALU_DEP_1) | instskip(NEXT) | instid1(VALU_DEP_1)
	v_fma_f64 v[94:95], v[94:95], v[97:98], v[94:95]
	v_mul_f64 v[97:98], v[105:106], v[94:95]
	s_delay_alu instid0(VALU_DEP_1) | instskip(NEXT) | instid1(VALU_DEP_1)
	v_fma_f64 v[92:93], -v[92:93], v[97:98], v[105:106]
	v_div_fmas_f64 v[92:93], v[92:93], v[94:95], v[97:98]
	s_delay_alu instid0(VALU_DEP_1) | instskip(NEXT) | instid1(VALU_DEP_1)
	v_div_fixup_f64 v[92:93], v[92:93], v[88:89], v[90:91]
	v_fma_f64 v[88:89], v[90:91], v[92:93], v[88:89]
	s_delay_alu instid0(VALU_DEP_1) | instskip(NEXT) | instid1(VALU_DEP_1)
	v_div_scale_f64 v[90:91], null, v[88:89], v[88:89], 1.0
	v_rcp_f64_e32 v[94:95], v[90:91]
	s_waitcnt_depctr 0xfff
	v_fma_f64 v[97:98], -v[90:91], v[94:95], 1.0
	s_delay_alu instid0(VALU_DEP_1) | instskip(NEXT) | instid1(VALU_DEP_1)
	v_fma_f64 v[94:95], v[94:95], v[97:98], v[94:95]
	v_fma_f64 v[97:98], -v[90:91], v[94:95], 1.0
	s_delay_alu instid0(VALU_DEP_1) | instskip(SKIP_1) | instid1(VALU_DEP_1)
	v_fma_f64 v[94:95], v[94:95], v[97:98], v[94:95]
	v_div_scale_f64 v[97:98], vcc_lo, 1.0, v[88:89], 1.0
	v_mul_f64 v[105:106], v[97:98], v[94:95]
	s_delay_alu instid0(VALU_DEP_1) | instskip(NEXT) | instid1(VALU_DEP_1)
	v_fma_f64 v[90:91], -v[90:91], v[105:106], v[97:98]
	v_div_fmas_f64 v[90:91], v[90:91], v[94:95], v[105:106]
	s_delay_alu instid0(VALU_DEP_1) | instskip(NEXT) | instid1(VALU_DEP_1)
	v_div_fixup_f64 v[88:89], v[90:91], v[88:89], 1.0
	v_mul_f64 v[90:91], v[92:93], -v[88:89]
.LBB42_450:
	s_or_b32 exec_lo, exec_lo, s2
.LBB42_451:
	s_delay_alu instid0(SALU_CYCLE_1)
	s_or_b32 exec_lo, exec_lo, s3
	v_mov_b32_e32 v97, 21
	s_mov_b32 s2, exec_lo
	v_cmpx_ne_u32_e64 v99, v96
	s_cbranch_execz .LBB42_457
; %bb.452:
	s_mov_b32 s3, exec_lo
	v_cmpx_eq_u32_e32 21, v99
	s_cbranch_execz .LBB42_456
; %bb.453:
	v_cmp_ne_u32_e32 vcc_lo, 21, v96
	s_xor_b32 s4, s4, -1
	s_delay_alu instid0(SALU_CYCLE_1) | instskip(NEXT) | instid1(SALU_CYCLE_1)
	s_and_b32 s5, s4, vcc_lo
	s_and_saveexec_b32 s4, s5
	s_cbranch_execz .LBB42_455
; %bb.454:
	v_ashrrev_i32_e32 v97, 31, v96
	s_delay_alu instid0(VALU_DEP_1) | instskip(NEXT) | instid1(VALU_DEP_1)
	v_lshlrev_b64 v[92:93], 2, v[96:97]
	v_add_co_u32 v92, vcc_lo, v44, v92
	s_delay_alu instid0(VALU_DEP_2)
	v_add_co_ci_u32_e32 v93, vcc_lo, v45, v93, vcc_lo
	s_clause 0x1
	flat_load_b32 v94, v[92:93]
	flat_load_b32 v95, v[44:45] offset:84
	s_waitcnt vmcnt(1) lgkmcnt(1)
	flat_store_b32 v[44:45], v94 offset:84
	s_waitcnt vmcnt(0) lgkmcnt(1)
	flat_store_b32 v[92:93], v95
.LBB42_455:
	s_or_b32 exec_lo, exec_lo, s4
	v_mov_b32_e32 v99, v96
	v_mov_b32_e32 v255, v96
.LBB42_456:
	s_or_b32 exec_lo, exec_lo, s3
	s_delay_alu instid0(VALU_DEP_2)
	v_mov_b32_e32 v97, v99
.LBB42_457:
	s_or_b32 exec_lo, exec_lo, s2
	s_delay_alu instid0(SALU_CYCLE_1)
	s_mov_b32 s2, exec_lo
	s_waitcnt lgkmcnt(0)
	s_waitcnt_vscnt null, 0x0
	s_barrier
	buffer_gl0_inv
	v_cmpx_lt_i32_e32 21, v97
; %bb.458:
	v_mul_f64 v[92:93], v[90:91], v[2:3]
	v_mul_f64 v[2:3], v[88:89], v[2:3]
	s_delay_alu instid0(VALU_DEP_2) | instskip(NEXT) | instid1(VALU_DEP_2)
	v_fma_f64 v[88:89], v[88:89], v[0:1], -v[92:93]
	v_fma_f64 v[2:3], v[90:91], v[0:1], v[2:3]
	s_delay_alu instid0(VALU_DEP_2)
	v_dual_mov_b32 v0, v88 :: v_dual_mov_b32 v1, v89
; %bb.459:
	s_or_b32 exec_lo, exec_lo, s2
	s_load_b256 s[0:7], s[0:1], 0x28
	v_ashrrev_i32_e32 v98, 31, v97
	s_mov_b32 s9, exec_lo
	s_waitcnt lgkmcnt(0)
	s_barrier
	buffer_gl0_inv
	v_cmpx_gt_i32_e32 22, v97
	s_cbranch_execz .LBB42_461
; %bb.460:
	v_mul_lo_u32 v90, v248, s4
	v_mul_lo_u32 v91, v247, s5
	v_mad_u64_u32 v[88:89], null, v247, s4, 0
	s_lshl_b64 s[2:3], s[2:3], 2
	s_delay_alu instid0(SALU_CYCLE_1) | instskip(SKIP_1) | instid1(VALU_DEP_1)
	s_add_u32 s0, s2, s0
	s_addc_u32 s1, s3, s1
	v_add3_u32 v89, v89, v91, v90
	v_lshlrev_b64 v[90:91], 2, v[97:98]
	s_delay_alu instid0(VALU_DEP_2) | instskip(NEXT) | instid1(VALU_DEP_1)
	v_lshlrev_b64 v[88:89], 2, v[88:89]
	v_add_co_u32 v88, vcc_lo, s0, v88
	s_delay_alu instid0(VALU_DEP_2) | instskip(NEXT) | instid1(VALU_DEP_2)
	v_add_co_ci_u32_e32 v89, vcc_lo, s1, v89, vcc_lo
	v_add_co_u32 v88, vcc_lo, v88, v90
	s_delay_alu instid0(VALU_DEP_2)
	v_add_co_ci_u32_e32 v89, vcc_lo, v89, v91, vcc_lo
	v_add3_u32 v90, v255, s13, 1
	global_store_b32 v[88:89], v90, off
.LBB42_461:
	s_or_b32 exec_lo, exec_lo, s9
	s_delay_alu instid0(SALU_CYCLE_1)
	s_mov_b32 s1, exec_lo
	v_cmpx_eq_u32_e32 0, v97
	s_cbranch_execz .LBB42_464
; %bb.462:
	v_lshlrev_b64 v[88:89], 2, v[247:248]
	v_cmp_lt_i32_e64 s0, 0, v46
	s_delay_alu instid0(VALU_DEP_2) | instskip(NEXT) | instid1(VALU_DEP_3)
	v_add_co_u32 v88, vcc_lo, s6, v88
	v_add_co_ci_u32_e32 v89, vcc_lo, s7, v89, vcc_lo
	global_load_b32 v90, v[88:89], off
	s_waitcnt vmcnt(0)
	v_cmp_eq_u32_e32 vcc_lo, 0, v90
	s_and_b32 s0, vcc_lo, s0
	s_delay_alu instid0(SALU_CYCLE_1)
	s_and_b32 exec_lo, exec_lo, s0
	s_cbranch_execz .LBB42_464
; %bb.463:
	v_add_nc_u32_e32 v90, s13, v46
	global_store_b32 v[88:89], v90, off
.LBB42_464:
	s_or_b32 exec_lo, exec_lo, s1
	scratch_load_b32 v82, off, off offset:8 ; 4-byte Folded Reload
	v_add3_u32 v88, s8, s8, v97
	v_lshlrev_b64 v[90:91], 4, v[97:98]
	s_delay_alu instid0(VALU_DEP_2) | instskip(SKIP_1) | instid1(VALU_DEP_3)
	v_add_nc_u32_e32 v92, s8, v88
	v_ashrrev_i32_e32 v89, 31, v88
	v_add_co_u32 v90, vcc_lo, v253, v90
	s_delay_alu instid0(VALU_DEP_3) | instskip(SKIP_1) | instid1(VALU_DEP_4)
	v_add_nc_u32_e32 v96, s8, v92
	v_ashrrev_i32_e32 v93, 31, v92
	v_lshlrev_b64 v[88:89], 4, v[88:89]
	s_delay_alu instid0(VALU_DEP_3) | instskip(SKIP_1) | instid1(VALU_DEP_2)
	v_ashrrev_i32_e32 v97, 31, v96
	v_add_nc_u32_e32 v46, s8, v96
	v_lshlrev_b64 v[44:45], 4, v[96:97]
	s_delay_alu instid0(VALU_DEP_2) | instskip(SKIP_3) | instid1(VALU_DEP_2)
	v_ashrrev_i32_e32 v47, 31, v46
	s_waitcnt vmcnt(0)
	v_add_co_ci_u32_e32 v91, vcc_lo, v82, v91, vcc_lo
	v_add_co_u32 v94, vcc_lo, v90, s10
	v_add_co_ci_u32_e32 v95, vcc_lo, s11, v91, vcc_lo
	s_clause 0x1
	global_store_b128 v[90:91], v[36:39], off
	global_store_b128 v[94:95], v[249:252], off
	v_lshlrev_b64 v[36:37], 4, v[92:93]
	v_add_co_u32 v38, vcc_lo, v253, v88
	v_add_co_ci_u32_e32 v39, vcc_lo, v82, v89, vcc_lo
	v_add_nc_u32_e32 v88, s8, v46
	s_delay_alu instid0(VALU_DEP_4)
	v_add_co_u32 v36, vcc_lo, v253, v36
	v_add_co_ci_u32_e32 v37, vcc_lo, v82, v37, vcc_lo
	v_add_co_u32 v44, vcc_lo, v253, v44
	v_add_co_ci_u32_e32 v45, vcc_lo, v82, v45, vcc_lo
	v_ashrrev_i32_e32 v89, 31, v88
	s_clause 0x2
	global_store_b128 v[38:39], v[78:81], off
	global_store_b128 v[36:37], v[239:242], off
	;; [unrolled: 1-line block ×3, first 2 shown]
	v_add_nc_u32_e32 v44, s8, v88
	v_lshlrev_b64 v[38:39], 4, v[46:47]
	v_lshlrev_b64 v[36:37], 4, v[88:89]
	s_delay_alu instid0(VALU_DEP_3) | instskip(SKIP_1) | instid1(VALU_DEP_4)
	v_add_nc_u32_e32 v46, s8, v44
	v_ashrrev_i32_e32 v45, 31, v44
	v_add_co_u32 v38, vcc_lo, v253, v38
	v_add_co_ci_u32_e32 v39, vcc_lo, v82, v39, vcc_lo
	s_delay_alu instid0(VALU_DEP_4)
	v_add_nc_u32_e32 v76, s8, v46
	v_add_co_u32 v36, vcc_lo, v253, v36
	v_ashrrev_i32_e32 v47, 31, v46
	v_lshlrev_b64 v[44:45], 4, v[44:45]
	v_add_co_ci_u32_e32 v37, vcc_lo, v82, v37, vcc_lo
	v_ashrrev_i32_e32 v77, 31, v76
	s_clause 0x1
	global_store_b128 v[38:39], v[68:71], off
	global_store_b128 v[36:37], v[72:75], off
	v_lshlrev_b64 v[36:37], 4, v[46:47]
	v_add_co_u32 v38, vcc_lo, v253, v44
	v_add_co_ci_u32_e32 v39, vcc_lo, v82, v45, vcc_lo
	v_lshlrev_b64 v[44:45], 4, v[76:77]
	v_add_nc_u32_e32 v46, s8, v76
	v_add_co_u32 v36, vcc_lo, v253, v36
	v_add_co_ci_u32_e32 v37, vcc_lo, v82, v37, vcc_lo
	s_delay_alu instid0(VALU_DEP_4) | instskip(NEXT) | instid1(VALU_DEP_4)
	v_add_co_u32 v44, vcc_lo, v253, v44
	v_add_nc_u32_e32 v68, s8, v46
	v_add_co_ci_u32_e32 v45, vcc_lo, v82, v45, vcc_lo
	v_ashrrev_i32_e32 v47, 31, v46
	global_store_b128 v[38:39], v[56:59], off
	v_ashrrev_i32_e32 v69, 31, v68
	s_clause 0x1
	global_store_b128 v[36:37], v[64:67], off
	global_store_b128 v[44:45], v[60:63], off
	v_add_nc_u32_e32 v44, s8, v68
	v_lshlrev_b64 v[38:39], 4, v[46:47]
	v_lshlrev_b64 v[36:37], 4, v[68:69]
	s_delay_alu instid0(VALU_DEP_3) | instskip(SKIP_1) | instid1(VALU_DEP_4)
	v_add_nc_u32_e32 v46, s8, v44
	v_ashrrev_i32_e32 v45, 31, v44
	v_add_co_u32 v38, vcc_lo, v253, v38
	v_add_co_ci_u32_e32 v39, vcc_lo, v82, v39, vcc_lo
	s_delay_alu instid0(VALU_DEP_4)
	v_add_nc_u32_e32 v56, s8, v46
	v_add_co_u32 v36, vcc_lo, v253, v36
	v_ashrrev_i32_e32 v47, 31, v46
	v_lshlrev_b64 v[44:45], 4, v[44:45]
	v_add_co_ci_u32_e32 v37, vcc_lo, v82, v37, vcc_lo
	v_ashrrev_i32_e32 v57, 31, v56
	s_clause 0x1
	global_store_b128 v[38:39], v[52:55], off
	global_store_b128 v[36:37], v[48:51], off
	v_lshlrev_b64 v[36:37], 4, v[46:47]
	v_add_co_u32 v38, vcc_lo, v253, v44
	v_add_nc_u32_e32 v46, s8, v56
	v_add_co_ci_u32_e32 v39, vcc_lo, v82, v45, vcc_lo
	v_lshlrev_b64 v[44:45], 4, v[56:57]
	v_add_co_u32 v36, vcc_lo, v253, v36
	s_delay_alu instid0(VALU_DEP_4)
	v_add_nc_u32_e32 v48, s8, v46
	v_add_co_ci_u32_e32 v37, vcc_lo, v82, v37, vcc_lo
	v_ashrrev_i32_e32 v47, 31, v46
	v_add_co_u32 v44, vcc_lo, v253, v44
	v_add_co_ci_u32_e32 v45, vcc_lo, v82, v45, vcc_lo
	v_ashrrev_i32_e32 v49, 31, v48
	global_store_b128 v[38:39], v[32:35], off
	v_lshlrev_b64 v[32:33], 4, v[46:47]
	s_clause 0x1
	global_store_b128 v[36:37], v[28:31], off
	global_store_b128 v[44:45], v[40:43], off
	v_add_nc_u32_e32 v30, s8, v48
	v_lshlrev_b64 v[28:29], 4, v[48:49]
	v_add_co_u32 v32, vcc_lo, v253, v32
	s_delay_alu instid0(VALU_DEP_3) | instskip(SKIP_1) | instid1(VALU_DEP_4)
	v_add_nc_u32_e32 v34, s8, v30
	v_add_co_ci_u32_e32 v33, vcc_lo, v82, v33, vcc_lo
	v_add_co_u32 v28, vcc_lo, v253, v28
	v_add_co_ci_u32_e32 v29, vcc_lo, v82, v29, vcc_lo
	s_delay_alu instid0(VALU_DEP_4)
	v_add_nc_u32_e32 v36, s8, v34
	v_ashrrev_i32_e32 v31, 31, v30
	s_clause 0x1
	global_store_b128 v[32:33], v[20:23], off
	global_store_b128 v[28:29], v[24:27], off
	v_ashrrev_i32_e32 v35, 31, v34
	v_add_nc_u32_e32 v24, s8, v36
	v_lshlrev_b64 v[20:21], 4, v[30:31]
	v_ashrrev_i32_e32 v37, 31, v36
	s_delay_alu instid0(VALU_DEP_4) | instskip(NEXT) | instid1(VALU_DEP_4)
	v_lshlrev_b64 v[22:23], 4, v[34:35]
	v_add_nc_u32_e32 v28, s8, v24
	v_ashrrev_i32_e32 v25, 31, v24
	v_add_co_u32 v20, vcc_lo, v253, v20
	v_lshlrev_b64 v[26:27], 4, v[36:37]
	s_delay_alu instid0(VALU_DEP_4)
	v_ashrrev_i32_e32 v29, 31, v28
	v_add_co_ci_u32_e32 v21, vcc_lo, v82, v21, vcc_lo
	v_add_co_u32 v22, vcc_lo, v253, v22
	v_lshlrev_b64 v[24:25], 4, v[24:25]
	v_add_co_ci_u32_e32 v23, vcc_lo, v82, v23, vcc_lo
	v_add_co_u32 v26, vcc_lo, v253, v26
	v_lshlrev_b64 v[28:29], 4, v[28:29]
	v_add_co_ci_u32_e32 v27, vcc_lo, v82, v27, vcc_lo
	v_add_co_u32 v24, vcc_lo, v253, v24
	v_add_co_ci_u32_e32 v25, vcc_lo, v82, v25, vcc_lo
	s_delay_alu instid0(VALU_DEP_4)
	v_add_co_u32 v28, vcc_lo, v253, v28
	v_add_co_ci_u32_e32 v29, vcc_lo, v82, v29, vcc_lo
	s_clause 0x4
	global_store_b128 v[20:21], v[12:15], off
	global_store_b128 v[22:23], v[8:11], off
	;; [unrolled: 1-line block ×5, first 2 shown]
.LBB42_465:
	s_nop 0
	s_sendmsg sendmsg(MSG_DEALLOC_VGPRS)
	s_endpgm
	.section	.rodata,"a",@progbits
	.p2align	6, 0x0
	.amdhsa_kernel _ZN9rocsolver6v33100L18getf2_small_kernelILi22E19rocblas_complex_numIdEiiPKPS3_EEvT1_T3_lS7_lPS7_llPT2_S7_S7_S9_l
		.amdhsa_group_segment_fixed_size 0
		.amdhsa_private_segment_fixed_size 40
		.amdhsa_kernarg_size 352
		.amdhsa_user_sgpr_count 14
		.amdhsa_user_sgpr_dispatch_ptr 0
		.amdhsa_user_sgpr_queue_ptr 0
		.amdhsa_user_sgpr_kernarg_segment_ptr 1
		.amdhsa_user_sgpr_dispatch_id 0
		.amdhsa_user_sgpr_private_segment_size 0
		.amdhsa_wavefront_size32 1
		.amdhsa_uses_dynamic_stack 0
		.amdhsa_enable_private_segment 1
		.amdhsa_system_sgpr_workgroup_id_x 1
		.amdhsa_system_sgpr_workgroup_id_y 1
		.amdhsa_system_sgpr_workgroup_id_z 0
		.amdhsa_system_sgpr_workgroup_info 0
		.amdhsa_system_vgpr_workitem_id 1
		.amdhsa_next_free_vgpr 256
		.amdhsa_next_free_sgpr 16
		.amdhsa_reserve_vcc 1
		.amdhsa_float_round_mode_32 0
		.amdhsa_float_round_mode_16_64 0
		.amdhsa_float_denorm_mode_32 3
		.amdhsa_float_denorm_mode_16_64 3
		.amdhsa_dx10_clamp 1
		.amdhsa_ieee_mode 1
		.amdhsa_fp16_overflow 0
		.amdhsa_workgroup_processor_mode 1
		.amdhsa_memory_ordered 1
		.amdhsa_forward_progress 0
		.amdhsa_shared_vgpr_count 0
		.amdhsa_exception_fp_ieee_invalid_op 0
		.amdhsa_exception_fp_denorm_src 0
		.amdhsa_exception_fp_ieee_div_zero 0
		.amdhsa_exception_fp_ieee_overflow 0
		.amdhsa_exception_fp_ieee_underflow 0
		.amdhsa_exception_fp_ieee_inexact 0
		.amdhsa_exception_int_div_zero 0
	.end_amdhsa_kernel
	.section	.text._ZN9rocsolver6v33100L18getf2_small_kernelILi22E19rocblas_complex_numIdEiiPKPS3_EEvT1_T3_lS7_lPS7_llPT2_S7_S7_S9_l,"axG",@progbits,_ZN9rocsolver6v33100L18getf2_small_kernelILi22E19rocblas_complex_numIdEiiPKPS3_EEvT1_T3_lS7_lPS7_llPT2_S7_S7_S9_l,comdat
.Lfunc_end42:
	.size	_ZN9rocsolver6v33100L18getf2_small_kernelILi22E19rocblas_complex_numIdEiiPKPS3_EEvT1_T3_lS7_lPS7_llPT2_S7_S7_S9_l, .Lfunc_end42-_ZN9rocsolver6v33100L18getf2_small_kernelILi22E19rocblas_complex_numIdEiiPKPS3_EEvT1_T3_lS7_lPS7_llPT2_S7_S7_S9_l
                                        ; -- End function
	.section	.AMDGPU.csdata,"",@progbits
; Kernel info:
; codeLenInByte = 43544
; NumSgprs: 18
; NumVgprs: 256
; ScratchSize: 40
; MemoryBound: 0
; FloatMode: 240
; IeeeMode: 1
; LDSByteSize: 0 bytes/workgroup (compile time only)
; SGPRBlocks: 2
; VGPRBlocks: 31
; NumSGPRsForWavesPerEU: 18
; NumVGPRsForWavesPerEU: 256
; Occupancy: 5
; WaveLimiterHint : 1
; COMPUTE_PGM_RSRC2:SCRATCH_EN: 1
; COMPUTE_PGM_RSRC2:USER_SGPR: 14
; COMPUTE_PGM_RSRC2:TRAP_HANDLER: 0
; COMPUTE_PGM_RSRC2:TGID_X_EN: 1
; COMPUTE_PGM_RSRC2:TGID_Y_EN: 1
; COMPUTE_PGM_RSRC2:TGID_Z_EN: 0
; COMPUTE_PGM_RSRC2:TIDIG_COMP_CNT: 1
	.section	.text._ZN9rocsolver6v33100L23getf2_npvt_small_kernelILi22E19rocblas_complex_numIdEiiPKPS3_EEvT1_T3_lS7_lPT2_S7_S7_,"axG",@progbits,_ZN9rocsolver6v33100L23getf2_npvt_small_kernelILi22E19rocblas_complex_numIdEiiPKPS3_EEvT1_T3_lS7_lPT2_S7_S7_,comdat
	.globl	_ZN9rocsolver6v33100L23getf2_npvt_small_kernelILi22E19rocblas_complex_numIdEiiPKPS3_EEvT1_T3_lS7_lPT2_S7_S7_ ; -- Begin function _ZN9rocsolver6v33100L23getf2_npvt_small_kernelILi22E19rocblas_complex_numIdEiiPKPS3_EEvT1_T3_lS7_lPT2_S7_S7_
	.p2align	8
	.type	_ZN9rocsolver6v33100L23getf2_npvt_small_kernelILi22E19rocblas_complex_numIdEiiPKPS3_EEvT1_T3_lS7_lPT2_S7_S7_,@function
_ZN9rocsolver6v33100L23getf2_npvt_small_kernelILi22E19rocblas_complex_numIdEiiPKPS3_EEvT1_T3_lS7_lPT2_S7_S7_: ; @_ZN9rocsolver6v33100L23getf2_npvt_small_kernelILi22E19rocblas_complex_numIdEiiPKPS3_EEvT1_T3_lS7_lPT2_S7_S7_
; %bb.0:
	s_clause 0x1
	s_load_b32 s2, s[0:1], 0x44
	s_load_b64 s[8:9], s[0:1], 0x30
	v_bfe_u32 v88, v0, 10, 10
	s_waitcnt lgkmcnt(0)
	s_lshr_b32 s10, s2, 16
	s_mov_b32 s2, exec_lo
	s_delay_alu instid0(VALU_DEP_1) | instskip(NEXT) | instid1(VALU_DEP_1)
	v_mad_u64_u32 v[176:177], null, s15, s10, v[88:89]
	v_cmpx_gt_i32_e64 s8, v176
	s_cbranch_execz .LBB43_203
; %bb.1:
	s_clause 0x1
	s_load_b128 s[4:7], s[0:1], 0x8
	s_load_b32 s2, s[0:1], 0x18
	v_ashrrev_i32_e32 v177, 31, v176
	v_and_b32_e32 v224, 0x3ff, v0
	v_lshlrev_b32_e32 v89, 4, v88
	s_mulk_i32 s10, 0x160
	v_mad_u32_u24 v226, 0x160, v88, 0
	v_lshlrev_b64 v[1:2], 3, v[176:177]
	v_lshlrev_b32_e32 v43, 4, v224
	v_add3_u32 v225, 0, s10, v89
	s_waitcnt lgkmcnt(0)
	s_delay_alu instid0(VALU_DEP_3) | instskip(NEXT) | instid1(VALU_DEP_4)
	v_add_co_u32 v1, vcc_lo, s4, v1
	v_add_co_ci_u32_e32 v2, vcc_lo, s5, v2, vcc_lo
	v_add3_u32 v3, s2, s2, v224
	s_lshl_b64 s[4:5], s[6:7], 4
	s_ashr_i32 s3, s2, 31
	global_load_b64 v[1:2], v[1:2], off
	s_lshl_b64 s[6:7], s[2:3], 4
	v_add_nc_u32_e32 v5, s2, v3
	v_ashrrev_i32_e32 v4, 31, v3
	v_cmp_ne_u32_e64 s3, 0, v224
	s_delay_alu instid0(VALU_DEP_3) | instskip(SKIP_1) | instid1(VALU_DEP_4)
	v_add_nc_u32_e32 v7, s2, v5
	v_ashrrev_i32_e32 v6, 31, v5
	v_lshlrev_b64 v[3:4], 4, v[3:4]
	s_delay_alu instid0(VALU_DEP_3) | instskip(SKIP_1) | instid1(VALU_DEP_4)
	v_add_nc_u32_e32 v9, s2, v7
	v_ashrrev_i32_e32 v8, 31, v7
	v_lshlrev_b64 v[5:6], 4, v[5:6]
	;; [unrolled: 4-line block ×18, first 2 shown]
	v_cmp_eq_u32_e64 s2, 0, v224
	s_delay_alu instid0(VALU_DEP_4) | instskip(NEXT) | instid1(VALU_DEP_4)
	v_ashrrev_i32_e32 v42, 31, v41
	v_lshlrev_b64 v[39:40], 4, v[39:40]
	s_waitcnt vmcnt(0)
	v_add_co_u32 v44, vcc_lo, v1, s4
	v_add_co_ci_u32_e32 v2, vcc_lo, s5, v2, vcc_lo
	v_lshlrev_b64 v[0:1], 4, v[41:42]
	s_delay_alu instid0(VALU_DEP_3) | instskip(NEXT) | instid1(VALU_DEP_3)
	v_add_co_u32 v218, vcc_lo, v44, v43
	v_add_co_ci_u32_e32 v219, vcc_lo, 0, v2, vcc_lo
	v_add_co_u32 v216, vcc_lo, v44, v3
	v_add_co_ci_u32_e32 v217, vcc_lo, v2, v4, vcc_lo
	v_add_co_u32 v214, vcc_lo, v44, v5
	v_add_co_ci_u32_e32 v215, vcc_lo, v2, v6, vcc_lo
	v_add_co_u32 v212, vcc_lo, v44, v7
	v_add_co_ci_u32_e32 v213, vcc_lo, v2, v8, vcc_lo
	v_add_co_u32 v210, vcc_lo, v44, v9
	v_add_co_ci_u32_e32 v211, vcc_lo, v2, v10, vcc_lo
	v_add_co_u32 v208, vcc_lo, v44, v11
	v_add_co_ci_u32_e32 v209, vcc_lo, v2, v12, vcc_lo
	v_add_co_u32 v206, vcc_lo, v44, v13
	v_add_co_ci_u32_e32 v207, vcc_lo, v2, v14, vcc_lo
	v_add_co_u32 v204, vcc_lo, v44, v15
	v_add_co_ci_u32_e32 v205, vcc_lo, v2, v16, vcc_lo
	v_add_co_u32 v202, vcc_lo, v44, v17
	v_add_co_ci_u32_e32 v203, vcc_lo, v2, v18, vcc_lo
	v_add_co_u32 v200, vcc_lo, v44, v19
	v_add_co_ci_u32_e32 v201, vcc_lo, v2, v20, vcc_lo
	v_add_co_u32 v198, vcc_lo, v44, v21
	v_add_co_ci_u32_e32 v199, vcc_lo, v2, v22, vcc_lo
	v_add_co_u32 v196, vcc_lo, v44, v23
	v_add_co_ci_u32_e32 v197, vcc_lo, v2, v24, vcc_lo
	v_add_co_u32 v194, vcc_lo, v44, v25
	v_add_co_ci_u32_e32 v195, vcc_lo, v2, v26, vcc_lo
	v_add_co_u32 v192, vcc_lo, v44, v27
	v_add_co_ci_u32_e32 v193, vcc_lo, v2, v28, vcc_lo
	v_add_co_u32 v190, vcc_lo, v44, v29
	v_add_co_ci_u32_e32 v191, vcc_lo, v2, v30, vcc_lo
	v_add_co_u32 v188, vcc_lo, v44, v31
	v_add_co_ci_u32_e32 v189, vcc_lo, v2, v32, vcc_lo
	v_add_co_u32 v186, vcc_lo, v44, v33
	v_add_co_ci_u32_e32 v187, vcc_lo, v2, v34, vcc_lo
	v_add_co_u32 v184, vcc_lo, v44, v35
	v_add_co_ci_u32_e32 v185, vcc_lo, v2, v36, vcc_lo
	v_add_co_u32 v182, vcc_lo, v44, v37
	v_add_co_ci_u32_e32 v183, vcc_lo, v2, v38, vcc_lo
	v_add_co_u32 v180, vcc_lo, v44, v39
	v_add_co_ci_u32_e32 v181, vcc_lo, v2, v40, vcc_lo
	v_add_co_u32 v178, vcc_lo, v44, v0
	v_add_co_ci_u32_e32 v179, vcc_lo, v2, v1, vcc_lo
	v_add_co_u32 v220, vcc_lo, v218, s6
	v_add_co_ci_u32_e32 v221, vcc_lo, s7, v219, vcc_lo
	s_clause 0x15
	global_load_b128 v[76:79], v[216:217], off
	global_load_b128 v[72:75], v[214:215], off
	;; [unrolled: 1-line block ×22, first 2 shown]
	s_and_saveexec_b32 s5, s2
	s_cbranch_execz .LBB43_8
; %bb.2:
	s_waitcnt vmcnt(3)
	ds_store_2addr_b64 v225, v[84:85], v[86:87] offset1:1
	s_waitcnt vmcnt(2)
	ds_store_2addr_b64 v226, v[80:81], v[82:83] offset0:2 offset1:3
	ds_store_2addr_b64 v226, v[76:77], v[78:79] offset0:4 offset1:5
	ds_store_2addr_b64 v226, v[72:73], v[74:75] offset0:6 offset1:7
	ds_store_2addr_b64 v226, v[68:69], v[70:71] offset0:8 offset1:9
	ds_store_2addr_b64 v226, v[64:65], v[66:67] offset0:10 offset1:11
	ds_store_2addr_b64 v226, v[60:61], v[62:63] offset0:12 offset1:13
	ds_store_2addr_b64 v226, v[56:57], v[58:59] offset0:14 offset1:15
	ds_store_2addr_b64 v226, v[52:53], v[54:55] offset0:16 offset1:17
	ds_store_2addr_b64 v226, v[48:49], v[50:51] offset0:18 offset1:19
	ds_store_2addr_b64 v226, v[44:45], v[46:47] offset0:20 offset1:21
	ds_store_2addr_b64 v226, v[40:41], v[42:43] offset0:22 offset1:23
	ds_store_2addr_b64 v226, v[36:37], v[38:39] offset0:24 offset1:25
	ds_store_2addr_b64 v226, v[32:33], v[34:35] offset0:26 offset1:27
	ds_store_2addr_b64 v226, v[28:29], v[30:31] offset0:28 offset1:29
	ds_store_2addr_b64 v226, v[24:25], v[26:27] offset0:30 offset1:31
	ds_store_2addr_b64 v226, v[20:21], v[22:23] offset0:32 offset1:33
	ds_store_2addr_b64 v226, v[16:17], v[18:19] offset0:34 offset1:35
	ds_store_2addr_b64 v226, v[12:13], v[14:15] offset0:36 offset1:37
	ds_store_2addr_b64 v226, v[8:9], v[10:11] offset0:38 offset1:39
	s_waitcnt vmcnt(1)
	ds_store_2addr_b64 v226, v[4:5], v[6:7] offset0:40 offset1:41
	s_waitcnt vmcnt(0)
	ds_store_2addr_b64 v226, v[0:1], v[2:3] offset0:42 offset1:43
	ds_load_2addr_b64 v[88:91], v225 offset1:1
	s_waitcnt lgkmcnt(0)
	v_cmp_neq_f64_e32 vcc_lo, 0, v[88:89]
	v_cmp_neq_f64_e64 s4, 0, v[90:91]
	s_delay_alu instid0(VALU_DEP_1) | instskip(NEXT) | instid1(SALU_CYCLE_1)
	s_or_b32 s4, vcc_lo, s4
	s_and_b32 exec_lo, exec_lo, s4
	s_cbranch_execz .LBB43_8
; %bb.3:
	v_cmp_gt_f64_e32 vcc_lo, 0, v[88:89]
	v_cmp_gt_f64_e64 s4, 0, v[90:91]
	v_xor_b32_e32 v92, 0x80000000, v89
	v_xor_b32_e32 v94, 0x80000000, v91
                                        ; implicit-def: $vgpr96_vgpr97
	s_delay_alu instid0(VALU_DEP_2) | instskip(NEXT) | instid1(VALU_DEP_2)
	v_cndmask_b32_e32 v93, v89, v92, vcc_lo
	v_cndmask_b32_e64 v95, v91, v94, s4
	v_cndmask_b32_e32 v92, v88, v88, vcc_lo
	v_cndmask_b32_e64 v94, v90, v90, s4
	s_mov_b32 s4, exec_lo
	s_delay_alu instid0(VALU_DEP_1)
	v_cmpx_ngt_f64_e32 v[92:93], v[94:95]
	s_xor_b32 s4, exec_lo, s4
                                        ; implicit-def: $vgpr92_vgpr93_vgpr94_vgpr95
	s_cbranch_execz .LBB43_5
; %bb.4:
	v_div_scale_f64 v[92:93], null, v[90:91], v[90:91], v[88:89]
	v_div_scale_f64 v[98:99], vcc_lo, v[88:89], v[90:91], v[88:89]
	s_delay_alu instid0(VALU_DEP_2) | instskip(SKIP_2) | instid1(VALU_DEP_1)
	v_rcp_f64_e32 v[94:95], v[92:93]
	s_waitcnt_depctr 0xfff
	v_fma_f64 v[96:97], -v[92:93], v[94:95], 1.0
	v_fma_f64 v[94:95], v[94:95], v[96:97], v[94:95]
	s_delay_alu instid0(VALU_DEP_1) | instskip(NEXT) | instid1(VALU_DEP_1)
	v_fma_f64 v[96:97], -v[92:93], v[94:95], 1.0
	v_fma_f64 v[94:95], v[94:95], v[96:97], v[94:95]
	s_delay_alu instid0(VALU_DEP_1) | instskip(NEXT) | instid1(VALU_DEP_1)
	v_mul_f64 v[96:97], v[98:99], v[94:95]
	v_fma_f64 v[92:93], -v[92:93], v[96:97], v[98:99]
	s_delay_alu instid0(VALU_DEP_1) | instskip(NEXT) | instid1(VALU_DEP_1)
	v_div_fmas_f64 v[92:93], v[92:93], v[94:95], v[96:97]
	v_div_fixup_f64 v[92:93], v[92:93], v[90:91], v[88:89]
	s_delay_alu instid0(VALU_DEP_1) | instskip(NEXT) | instid1(VALU_DEP_1)
	v_fma_f64 v[88:89], v[88:89], v[92:93], v[90:91]
	v_div_scale_f64 v[90:91], null, v[88:89], v[88:89], 1.0
	s_delay_alu instid0(VALU_DEP_1) | instskip(SKIP_2) | instid1(VALU_DEP_1)
	v_rcp_f64_e32 v[94:95], v[90:91]
	s_waitcnt_depctr 0xfff
	v_fma_f64 v[96:97], -v[90:91], v[94:95], 1.0
	v_fma_f64 v[94:95], v[94:95], v[96:97], v[94:95]
	s_delay_alu instid0(VALU_DEP_1) | instskip(NEXT) | instid1(VALU_DEP_1)
	v_fma_f64 v[96:97], -v[90:91], v[94:95], 1.0
	v_fma_f64 v[94:95], v[94:95], v[96:97], v[94:95]
	v_div_scale_f64 v[96:97], vcc_lo, 1.0, v[88:89], 1.0
	s_delay_alu instid0(VALU_DEP_1) | instskip(NEXT) | instid1(VALU_DEP_1)
	v_mul_f64 v[98:99], v[96:97], v[94:95]
	v_fma_f64 v[90:91], -v[90:91], v[98:99], v[96:97]
	s_delay_alu instid0(VALU_DEP_1) | instskip(NEXT) | instid1(VALU_DEP_1)
	v_div_fmas_f64 v[90:91], v[90:91], v[94:95], v[98:99]
	v_div_fixup_f64 v[94:95], v[90:91], v[88:89], 1.0
                                        ; implicit-def: $vgpr88_vgpr89
	s_delay_alu instid0(VALU_DEP_1)
	v_mul_f64 v[96:97], v[92:93], v[94:95]
	v_xor_b32_e32 v95, 0x80000000, v95
.LBB43_5:
	s_and_not1_saveexec_b32 s4, s4
	s_cbranch_execz .LBB43_7
; %bb.6:
	v_div_scale_f64 v[92:93], null, v[88:89], v[88:89], v[90:91]
	v_div_scale_f64 v[98:99], vcc_lo, v[90:91], v[88:89], v[90:91]
	s_delay_alu instid0(VALU_DEP_2) | instskip(SKIP_2) | instid1(VALU_DEP_1)
	v_rcp_f64_e32 v[94:95], v[92:93]
	s_waitcnt_depctr 0xfff
	v_fma_f64 v[96:97], -v[92:93], v[94:95], 1.0
	v_fma_f64 v[94:95], v[94:95], v[96:97], v[94:95]
	s_delay_alu instid0(VALU_DEP_1) | instskip(NEXT) | instid1(VALU_DEP_1)
	v_fma_f64 v[96:97], -v[92:93], v[94:95], 1.0
	v_fma_f64 v[94:95], v[94:95], v[96:97], v[94:95]
	s_delay_alu instid0(VALU_DEP_1) | instskip(NEXT) | instid1(VALU_DEP_1)
	v_mul_f64 v[96:97], v[98:99], v[94:95]
	v_fma_f64 v[92:93], -v[92:93], v[96:97], v[98:99]
	s_delay_alu instid0(VALU_DEP_1) | instskip(NEXT) | instid1(VALU_DEP_1)
	v_div_fmas_f64 v[92:93], v[92:93], v[94:95], v[96:97]
	v_div_fixup_f64 v[92:93], v[92:93], v[88:89], v[90:91]
	s_delay_alu instid0(VALU_DEP_1) | instskip(NEXT) | instid1(VALU_DEP_1)
	v_fma_f64 v[88:89], v[90:91], v[92:93], v[88:89]
	v_div_scale_f64 v[90:91], null, v[88:89], v[88:89], 1.0
	s_delay_alu instid0(VALU_DEP_1) | instskip(SKIP_2) | instid1(VALU_DEP_1)
	v_rcp_f64_e32 v[94:95], v[90:91]
	s_waitcnt_depctr 0xfff
	v_fma_f64 v[96:97], -v[90:91], v[94:95], 1.0
	v_fma_f64 v[94:95], v[94:95], v[96:97], v[94:95]
	s_delay_alu instid0(VALU_DEP_1) | instskip(NEXT) | instid1(VALU_DEP_1)
	v_fma_f64 v[96:97], -v[90:91], v[94:95], 1.0
	v_fma_f64 v[94:95], v[94:95], v[96:97], v[94:95]
	v_div_scale_f64 v[96:97], vcc_lo, 1.0, v[88:89], 1.0
	s_delay_alu instid0(VALU_DEP_1) | instskip(NEXT) | instid1(VALU_DEP_1)
	v_mul_f64 v[98:99], v[96:97], v[94:95]
	v_fma_f64 v[90:91], -v[90:91], v[98:99], v[96:97]
	s_delay_alu instid0(VALU_DEP_1) | instskip(NEXT) | instid1(VALU_DEP_1)
	v_div_fmas_f64 v[90:91], v[90:91], v[94:95], v[98:99]
	v_div_fixup_f64 v[96:97], v[90:91], v[88:89], 1.0
	s_delay_alu instid0(VALU_DEP_1)
	v_mul_f64 v[94:95], v[92:93], -v[96:97]
.LBB43_7:
	s_or_b32 exec_lo, exec_lo, s4
	ds_store_2addr_b64 v225, v[96:97], v[94:95] offset1:1
.LBB43_8:
	s_or_b32 exec_lo, exec_lo, s5
	s_waitcnt vmcnt(0) lgkmcnt(0)
	s_barrier
	buffer_gl0_inv
	ds_load_2addr_b64 v[88:91], v225 offset1:1
	s_and_saveexec_b32 s4, s3
	s_cbranch_execz .LBB43_10
; %bb.9:
	s_waitcnt lgkmcnt(0)
	v_mul_f64 v[92:93], v[88:89], v[86:87]
	v_mul_f64 v[108:109], v[90:91], v[86:87]
	s_delay_alu instid0(VALU_DEP_2)
	v_fma_f64 v[86:87], v[90:91], v[84:85], v[92:93]
	ds_load_2addr_b64 v[92:95], v226 offset0:2 offset1:3
	ds_load_2addr_b64 v[96:99], v226 offset0:4 offset1:5
	;; [unrolled: 1-line block ×4, first 2 shown]
	v_fma_f64 v[84:85], v[88:89], v[84:85], -v[108:109]
	ds_load_2addr_b64 v[108:111], v226 offset0:10 offset1:11
	ds_load_2addr_b64 v[112:115], v226 offset0:12 offset1:13
	;; [unrolled: 1-line block ×6, first 2 shown]
	s_waitcnt lgkmcnt(9)
	v_mul_f64 v[132:133], v[94:95], v[86:87]
	v_mul_f64 v[134:135], v[92:93], v[86:87]
	s_waitcnt lgkmcnt(5)
	v_mul_f64 v[148:149], v[110:111], v[86:87]
	v_mul_f64 v[150:151], v[108:109], v[86:87]
	;; [unrolled: 1-line block ×4, first 2 shown]
	s_waitcnt lgkmcnt(4)
	v_mul_f64 v[152:153], v[114:115], v[86:87]
	v_mul_f64 v[154:155], v[112:113], v[86:87]
	;; [unrolled: 1-line block ×6, first 2 shown]
	s_waitcnt lgkmcnt(3)
	v_mul_f64 v[156:157], v[118:119], v[86:87]
	v_mul_f64 v[158:159], v[116:117], v[86:87]
	s_waitcnt lgkmcnt(2)
	v_mul_f64 v[160:161], v[122:123], v[86:87]
	v_mul_f64 v[162:163], v[120:121], v[86:87]
	;; [unrolled: 3-line block ×3, first 2 shown]
	v_fma_f64 v[132:133], v[92:93], v[84:85], -v[132:133]
	v_fma_f64 v[134:135], v[94:95], v[84:85], v[134:135]
	ds_load_2addr_b64 v[92:95], v226 offset0:22 offset1:23
	v_fma_f64 v[108:109], v[108:109], v[84:85], -v[148:149]
	v_fma_f64 v[110:111], v[110:111], v[84:85], v[150:151]
	s_waitcnt lgkmcnt(1)
	v_mul_f64 v[148:149], v[130:131], v[86:87]
	v_mul_f64 v[150:151], v[128:129], v[86:87]
	v_fma_f64 v[136:137], v[96:97], v[84:85], -v[136:137]
	v_fma_f64 v[138:139], v[98:99], v[84:85], v[138:139]
	ds_load_2addr_b64 v[96:99], v226 offset0:24 offset1:25
	v_fma_f64 v[112:113], v[112:113], v[84:85], -v[152:153]
	v_fma_f64 v[114:115], v[114:115], v[84:85], v[154:155]
	v_fma_f64 v[140:141], v[100:101], v[84:85], -v[140:141]
	v_fma_f64 v[142:143], v[102:103], v[84:85], v[142:143]
	;; [unrolled: 2-line block ×3, first 2 shown]
	ds_load_2addr_b64 v[100:103], v226 offset0:26 offset1:27
	ds_load_2addr_b64 v[104:107], v226 offset0:28 offset1:29
	v_fma_f64 v[116:117], v[116:117], v[84:85], -v[156:157]
	v_fma_f64 v[118:119], v[118:119], v[84:85], v[158:159]
	v_fma_f64 v[120:121], v[120:121], v[84:85], -v[160:161]
	v_fma_f64 v[122:123], v[122:123], v[84:85], v[162:163]
	v_fma_f64 v[124:125], v[124:125], v[84:85], -v[164:165]
	s_waitcnt lgkmcnt(3)
	v_mul_f64 v[152:153], v[94:95], v[86:87]
	v_mul_f64 v[154:155], v[92:93], v[86:87]
	v_fma_f64 v[126:127], v[126:127], v[84:85], v[166:167]
	s_waitcnt lgkmcnt(2)
	v_mul_f64 v[156:157], v[98:99], v[86:87]
	v_mul_f64 v[158:159], v[96:97], v[86:87]
	s_waitcnt lgkmcnt(0)
	v_mul_f64 v[160:161], v[106:107], v[86:87]
	v_mul_f64 v[162:163], v[104:105], v[86:87]
	v_add_f64 v[80:81], v[80:81], -v[132:133]
	v_add_f64 v[82:83], v[82:83], -v[134:135]
	;; [unrolled: 1-line block ×4, first 2 shown]
	v_fma_f64 v[128:129], v[128:129], v[84:85], -v[148:149]
	v_fma_f64 v[130:131], v[130:131], v[84:85], v[150:151]
	v_mul_f64 v[148:149], v[102:103], v[86:87]
	v_mul_f64 v[150:151], v[100:101], v[86:87]
	v_add_f64 v[76:77], v[76:77], -v[136:137]
	v_add_f64 v[78:79], v[78:79], -v[138:139]
	;; [unrolled: 1-line block ×13, first 2 shown]
	v_fma_f64 v[152:153], v[92:93], v[84:85], -v[152:153]
	v_fma_f64 v[154:155], v[94:95], v[84:85], v[154:155]
	ds_load_2addr_b64 v[92:95], v226 offset0:30 offset1:31
	v_add_f64 v[50:51], v[50:51], -v[126:127]
	v_fma_f64 v[156:157], v[96:97], v[84:85], -v[156:157]
	v_fma_f64 v[158:159], v[98:99], v[84:85], v[158:159]
	ds_load_2addr_b64 v[96:99], v226 offset0:32 offset1:33
	v_fma_f64 v[104:105], v[104:105], v[84:85], -v[160:161]
	v_fma_f64 v[106:107], v[106:107], v[84:85], v[162:163]
	v_add_f64 v[44:45], v[44:45], -v[128:129]
	v_add_f64 v[46:47], v[46:47], -v[130:131]
	v_fma_f64 v[100:101], v[100:101], v[84:85], -v[148:149]
	v_fma_f64 v[102:103], v[102:103], v[84:85], v[150:151]
	s_waitcnt lgkmcnt(1)
	v_mul_f64 v[148:149], v[94:95], v[86:87]
	v_mul_f64 v[150:151], v[92:93], v[86:87]
	v_add_f64 v[40:41], v[40:41], -v[152:153]
	v_add_f64 v[42:43], v[42:43], -v[154:155]
	;; [unrolled: 1-line block ×8, first 2 shown]
	v_fma_f64 v[148:149], v[92:93], v[84:85], -v[148:149]
	v_fma_f64 v[150:151], v[94:95], v[84:85], v[150:151]
	s_waitcnt lgkmcnt(0)
	v_mul_f64 v[92:93], v[98:99], v[86:87]
	v_mul_f64 v[94:95], v[96:97], v[86:87]
	s_delay_alu instid0(VALU_DEP_4) | instskip(NEXT) | instid1(VALU_DEP_4)
	v_add_f64 v[24:25], v[24:25], -v[148:149]
	v_add_f64 v[26:27], v[26:27], -v[150:151]
	s_delay_alu instid0(VALU_DEP_4) | instskip(NEXT) | instid1(VALU_DEP_4)
	v_fma_f64 v[160:161], v[96:97], v[84:85], -v[92:93]
	v_fma_f64 v[162:163], v[98:99], v[84:85], v[94:95]
	ds_load_2addr_b64 v[92:95], v226 offset0:34 offset1:35
	ds_load_2addr_b64 v[96:99], v226 offset0:36 offset1:37
	s_waitcnt lgkmcnt(1)
	v_mul_f64 v[164:165], v[94:95], v[86:87]
	v_add_f64 v[20:21], v[20:21], -v[160:161]
	v_add_f64 v[22:23], v[22:23], -v[162:163]
	s_delay_alu instid0(VALU_DEP_3) | instskip(SKIP_1) | instid1(VALU_DEP_2)
	v_fma_f64 v[164:165], v[92:93], v[84:85], -v[164:165]
	v_mul_f64 v[92:93], v[92:93], v[86:87]
	v_add_f64 v[16:17], v[16:17], -v[164:165]
	s_delay_alu instid0(VALU_DEP_2) | instskip(SKIP_2) | instid1(VALU_DEP_2)
	v_fma_f64 v[166:167], v[94:95], v[84:85], v[92:93]
	s_waitcnt lgkmcnt(0)
	v_mul_f64 v[92:93], v[98:99], v[86:87]
	v_add_f64 v[18:19], v[18:19], -v[166:167]
	s_delay_alu instid0(VALU_DEP_2) | instskip(SKIP_1) | instid1(VALU_DEP_2)
	v_fma_f64 v[168:169], v[96:97], v[84:85], -v[92:93]
	v_mul_f64 v[92:93], v[96:97], v[86:87]
	v_add_f64 v[12:13], v[12:13], -v[168:169]
	s_delay_alu instid0(VALU_DEP_2)
	v_fma_f64 v[170:171], v[98:99], v[84:85], v[92:93]
	ds_load_2addr_b64 v[92:95], v226 offset0:38 offset1:39
	ds_load_2addr_b64 v[96:99], v226 offset0:40 offset1:41
	s_waitcnt lgkmcnt(1)
	v_mul_f64 v[172:173], v[94:95], v[86:87]
	v_add_f64 v[14:15], v[14:15], -v[170:171]
	s_delay_alu instid0(VALU_DEP_2) | instskip(SKIP_1) | instid1(VALU_DEP_2)
	v_fma_f64 v[172:173], v[92:93], v[84:85], -v[172:173]
	v_mul_f64 v[92:93], v[92:93], v[86:87]
	v_add_f64 v[8:9], v[8:9], -v[172:173]
	s_delay_alu instid0(VALU_DEP_2) | instskip(SKIP_2) | instid1(VALU_DEP_2)
	v_fma_f64 v[174:175], v[94:95], v[84:85], v[92:93]
	s_waitcnt lgkmcnt(0)
	v_mul_f64 v[92:93], v[98:99], v[86:87]
	v_add_f64 v[10:11], v[10:11], -v[174:175]
	s_delay_alu instid0(VALU_DEP_2) | instskip(SKIP_1) | instid1(VALU_DEP_2)
	v_fma_f64 v[222:223], v[96:97], v[84:85], -v[92:93]
	v_mul_f64 v[92:93], v[96:97], v[86:87]
	v_add_f64 v[4:5], v[4:5], -v[222:223]
	s_delay_alu instid0(VALU_DEP_2) | instskip(SKIP_4) | instid1(VALU_DEP_2)
	v_fma_f64 v[96:97], v[98:99], v[84:85], v[92:93]
	ds_load_2addr_b64 v[92:95], v226 offset0:42 offset1:43
	s_waitcnt lgkmcnt(0)
	v_mul_f64 v[98:99], v[94:95], v[86:87]
	v_add_f64 v[6:7], v[6:7], -v[96:97]
	v_fma_f64 v[98:99], v[92:93], v[84:85], -v[98:99]
	v_mul_f64 v[92:93], v[92:93], v[86:87]
	s_delay_alu instid0(VALU_DEP_2) | instskip(NEXT) | instid1(VALU_DEP_2)
	v_add_f64 v[0:1], v[0:1], -v[98:99]
	v_fma_f64 v[92:93], v[94:95], v[84:85], v[92:93]
	s_delay_alu instid0(VALU_DEP_1)
	v_add_f64 v[2:3], v[2:3], -v[92:93]
.LBB43_10:
	s_or_b32 exec_lo, exec_lo, s4
	s_delay_alu instid0(SALU_CYCLE_1)
	s_mov_b32 s4, exec_lo
	s_waitcnt lgkmcnt(0)
	s_barrier
	buffer_gl0_inv
	v_cmpx_eq_u32_e32 1, v224
	s_cbranch_execz .LBB43_17
; %bb.11:
	ds_store_2addr_b64 v225, v[80:81], v[82:83] offset1:1
	ds_store_2addr_b64 v226, v[76:77], v[78:79] offset0:4 offset1:5
	ds_store_2addr_b64 v226, v[72:73], v[74:75] offset0:6 offset1:7
	;; [unrolled: 1-line block ×20, first 2 shown]
	ds_load_2addr_b64 v[92:95], v225 offset1:1
	s_waitcnt lgkmcnt(0)
	v_cmp_neq_f64_e32 vcc_lo, 0, v[92:93]
	v_cmp_neq_f64_e64 s3, 0, v[94:95]
	s_delay_alu instid0(VALU_DEP_1) | instskip(NEXT) | instid1(SALU_CYCLE_1)
	s_or_b32 s3, vcc_lo, s3
	s_and_b32 exec_lo, exec_lo, s3
	s_cbranch_execz .LBB43_17
; %bb.12:
	v_cmp_gt_f64_e32 vcc_lo, 0, v[92:93]
	v_cmp_gt_f64_e64 s3, 0, v[94:95]
	v_xor_b32_e32 v96, 0x80000000, v93
	v_xor_b32_e32 v98, 0x80000000, v95
                                        ; implicit-def: $vgpr100_vgpr101
	s_delay_alu instid0(VALU_DEP_2) | instskip(NEXT) | instid1(VALU_DEP_2)
	v_cndmask_b32_e32 v97, v93, v96, vcc_lo
	v_cndmask_b32_e64 v99, v95, v98, s3
	v_cndmask_b32_e32 v96, v92, v92, vcc_lo
	v_cndmask_b32_e64 v98, v94, v94, s3
	s_mov_b32 s3, exec_lo
	s_delay_alu instid0(VALU_DEP_1)
	v_cmpx_ngt_f64_e32 v[96:97], v[98:99]
	s_xor_b32 s3, exec_lo, s3
                                        ; implicit-def: $vgpr96_vgpr97_vgpr98_vgpr99
	s_cbranch_execz .LBB43_14
; %bb.13:
	v_div_scale_f64 v[96:97], null, v[94:95], v[94:95], v[92:93]
	v_div_scale_f64 v[102:103], vcc_lo, v[92:93], v[94:95], v[92:93]
	s_delay_alu instid0(VALU_DEP_2) | instskip(SKIP_2) | instid1(VALU_DEP_1)
	v_rcp_f64_e32 v[98:99], v[96:97]
	s_waitcnt_depctr 0xfff
	v_fma_f64 v[100:101], -v[96:97], v[98:99], 1.0
	v_fma_f64 v[98:99], v[98:99], v[100:101], v[98:99]
	s_delay_alu instid0(VALU_DEP_1) | instskip(NEXT) | instid1(VALU_DEP_1)
	v_fma_f64 v[100:101], -v[96:97], v[98:99], 1.0
	v_fma_f64 v[98:99], v[98:99], v[100:101], v[98:99]
	s_delay_alu instid0(VALU_DEP_1) | instskip(NEXT) | instid1(VALU_DEP_1)
	v_mul_f64 v[100:101], v[102:103], v[98:99]
	v_fma_f64 v[96:97], -v[96:97], v[100:101], v[102:103]
	s_delay_alu instid0(VALU_DEP_1) | instskip(NEXT) | instid1(VALU_DEP_1)
	v_div_fmas_f64 v[96:97], v[96:97], v[98:99], v[100:101]
	v_div_fixup_f64 v[96:97], v[96:97], v[94:95], v[92:93]
	s_delay_alu instid0(VALU_DEP_1) | instskip(NEXT) | instid1(VALU_DEP_1)
	v_fma_f64 v[92:93], v[92:93], v[96:97], v[94:95]
	v_div_scale_f64 v[94:95], null, v[92:93], v[92:93], 1.0
	s_delay_alu instid0(VALU_DEP_1) | instskip(SKIP_2) | instid1(VALU_DEP_1)
	v_rcp_f64_e32 v[98:99], v[94:95]
	s_waitcnt_depctr 0xfff
	v_fma_f64 v[100:101], -v[94:95], v[98:99], 1.0
	v_fma_f64 v[98:99], v[98:99], v[100:101], v[98:99]
	s_delay_alu instid0(VALU_DEP_1) | instskip(NEXT) | instid1(VALU_DEP_1)
	v_fma_f64 v[100:101], -v[94:95], v[98:99], 1.0
	v_fma_f64 v[98:99], v[98:99], v[100:101], v[98:99]
	v_div_scale_f64 v[100:101], vcc_lo, 1.0, v[92:93], 1.0
	s_delay_alu instid0(VALU_DEP_1) | instskip(NEXT) | instid1(VALU_DEP_1)
	v_mul_f64 v[102:103], v[100:101], v[98:99]
	v_fma_f64 v[94:95], -v[94:95], v[102:103], v[100:101]
	s_delay_alu instid0(VALU_DEP_1) | instskip(NEXT) | instid1(VALU_DEP_1)
	v_div_fmas_f64 v[94:95], v[94:95], v[98:99], v[102:103]
	v_div_fixup_f64 v[98:99], v[94:95], v[92:93], 1.0
                                        ; implicit-def: $vgpr92_vgpr93
	s_delay_alu instid0(VALU_DEP_1)
	v_mul_f64 v[100:101], v[96:97], v[98:99]
	v_xor_b32_e32 v99, 0x80000000, v99
.LBB43_14:
	s_and_not1_saveexec_b32 s3, s3
	s_cbranch_execz .LBB43_16
; %bb.15:
	v_div_scale_f64 v[96:97], null, v[92:93], v[92:93], v[94:95]
	v_div_scale_f64 v[102:103], vcc_lo, v[94:95], v[92:93], v[94:95]
	s_delay_alu instid0(VALU_DEP_2) | instskip(SKIP_2) | instid1(VALU_DEP_1)
	v_rcp_f64_e32 v[98:99], v[96:97]
	s_waitcnt_depctr 0xfff
	v_fma_f64 v[100:101], -v[96:97], v[98:99], 1.0
	v_fma_f64 v[98:99], v[98:99], v[100:101], v[98:99]
	s_delay_alu instid0(VALU_DEP_1) | instskip(NEXT) | instid1(VALU_DEP_1)
	v_fma_f64 v[100:101], -v[96:97], v[98:99], 1.0
	v_fma_f64 v[98:99], v[98:99], v[100:101], v[98:99]
	s_delay_alu instid0(VALU_DEP_1) | instskip(NEXT) | instid1(VALU_DEP_1)
	v_mul_f64 v[100:101], v[102:103], v[98:99]
	v_fma_f64 v[96:97], -v[96:97], v[100:101], v[102:103]
	s_delay_alu instid0(VALU_DEP_1) | instskip(NEXT) | instid1(VALU_DEP_1)
	v_div_fmas_f64 v[96:97], v[96:97], v[98:99], v[100:101]
	v_div_fixup_f64 v[96:97], v[96:97], v[92:93], v[94:95]
	s_delay_alu instid0(VALU_DEP_1) | instskip(NEXT) | instid1(VALU_DEP_1)
	v_fma_f64 v[92:93], v[94:95], v[96:97], v[92:93]
	v_div_scale_f64 v[94:95], null, v[92:93], v[92:93], 1.0
	s_delay_alu instid0(VALU_DEP_1) | instskip(SKIP_2) | instid1(VALU_DEP_1)
	v_rcp_f64_e32 v[98:99], v[94:95]
	s_waitcnt_depctr 0xfff
	v_fma_f64 v[100:101], -v[94:95], v[98:99], 1.0
	v_fma_f64 v[98:99], v[98:99], v[100:101], v[98:99]
	s_delay_alu instid0(VALU_DEP_1) | instskip(NEXT) | instid1(VALU_DEP_1)
	v_fma_f64 v[100:101], -v[94:95], v[98:99], 1.0
	v_fma_f64 v[98:99], v[98:99], v[100:101], v[98:99]
	v_div_scale_f64 v[100:101], vcc_lo, 1.0, v[92:93], 1.0
	s_delay_alu instid0(VALU_DEP_1) | instskip(NEXT) | instid1(VALU_DEP_1)
	v_mul_f64 v[102:103], v[100:101], v[98:99]
	v_fma_f64 v[94:95], -v[94:95], v[102:103], v[100:101]
	s_delay_alu instid0(VALU_DEP_1) | instskip(NEXT) | instid1(VALU_DEP_1)
	v_div_fmas_f64 v[94:95], v[94:95], v[98:99], v[102:103]
	v_div_fixup_f64 v[100:101], v[94:95], v[92:93], 1.0
	s_delay_alu instid0(VALU_DEP_1)
	v_mul_f64 v[98:99], v[96:97], -v[100:101]
.LBB43_16:
	s_or_b32 exec_lo, exec_lo, s3
	ds_store_2addr_b64 v225, v[100:101], v[98:99] offset1:1
.LBB43_17:
	s_or_b32 exec_lo, exec_lo, s4
	s_waitcnt lgkmcnt(0)
	s_barrier
	buffer_gl0_inv
	ds_load_2addr_b64 v[92:95], v225 offset1:1
	s_mov_b32 s3, exec_lo
	v_cmpx_lt_u32_e32 1, v224
	s_cbranch_execz .LBB43_19
; %bb.18:
	s_waitcnt lgkmcnt(0)
	v_mul_f64 v[96:97], v[94:95], v[82:83]
	v_mul_f64 v[82:83], v[92:93], v[82:83]
	ds_load_2addr_b64 v[98:101], v226 offset0:4 offset1:5
	ds_load_2addr_b64 v[102:105], v226 offset0:6 offset1:7
	v_fma_f64 v[96:97], v[92:93], v[80:81], -v[96:97]
	v_fma_f64 v[82:83], v[94:95], v[80:81], v[82:83]
	s_waitcnt lgkmcnt(1)
	s_delay_alu instid0(VALU_DEP_1) | instskip(NEXT) | instid1(VALU_DEP_1)
	v_mul_f64 v[80:81], v[100:101], v[82:83]
	v_fma_f64 v[80:81], v[98:99], v[96:97], -v[80:81]
	v_mul_f64 v[98:99], v[98:99], v[82:83]
	s_delay_alu instid0(VALU_DEP_2) | instskip(NEXT) | instid1(VALU_DEP_2)
	v_add_f64 v[76:77], v[76:77], -v[80:81]
	v_fma_f64 v[106:107], v[100:101], v[96:97], v[98:99]
	s_waitcnt lgkmcnt(0)
	v_mul_f64 v[98:99], v[104:105], v[82:83]
	v_dual_mov_b32 v80, v96 :: v_dual_mov_b32 v81, v97
	s_delay_alu instid0(VALU_DEP_3) | instskip(NEXT) | instid1(VALU_DEP_3)
	v_add_f64 v[78:79], v[78:79], -v[106:107]
	v_fma_f64 v[108:109], v[102:103], v[96:97], -v[98:99]
	v_mul_f64 v[98:99], v[102:103], v[82:83]
	s_delay_alu instid0(VALU_DEP_2) | instskip(NEXT) | instid1(VALU_DEP_2)
	v_add_f64 v[72:73], v[72:73], -v[108:109]
	v_fma_f64 v[110:111], v[104:105], v[96:97], v[98:99]
	ds_load_2addr_b64 v[98:101], v226 offset0:8 offset1:9
	ds_load_2addr_b64 v[102:105], v226 offset0:10 offset1:11
	s_waitcnt lgkmcnt(1)
	v_mul_f64 v[112:113], v[100:101], v[82:83]
	v_add_f64 v[74:75], v[74:75], -v[110:111]
	s_delay_alu instid0(VALU_DEP_2) | instskip(SKIP_1) | instid1(VALU_DEP_2)
	v_fma_f64 v[112:113], v[98:99], v[96:97], -v[112:113]
	v_mul_f64 v[98:99], v[98:99], v[82:83]
	v_add_f64 v[68:69], v[68:69], -v[112:113]
	s_delay_alu instid0(VALU_DEP_2) | instskip(SKIP_2) | instid1(VALU_DEP_2)
	v_fma_f64 v[114:115], v[100:101], v[96:97], v[98:99]
	s_waitcnt lgkmcnt(0)
	v_mul_f64 v[98:99], v[104:105], v[82:83]
	v_add_f64 v[70:71], v[70:71], -v[114:115]
	s_delay_alu instid0(VALU_DEP_2) | instskip(SKIP_1) | instid1(VALU_DEP_2)
	v_fma_f64 v[116:117], v[102:103], v[96:97], -v[98:99]
	v_mul_f64 v[98:99], v[102:103], v[82:83]
	v_add_f64 v[64:65], v[64:65], -v[116:117]
	s_delay_alu instid0(VALU_DEP_2)
	v_fma_f64 v[118:119], v[104:105], v[96:97], v[98:99]
	ds_load_2addr_b64 v[98:101], v226 offset0:12 offset1:13
	ds_load_2addr_b64 v[102:105], v226 offset0:14 offset1:15
	s_waitcnt lgkmcnt(1)
	v_mul_f64 v[120:121], v[100:101], v[82:83]
	v_add_f64 v[66:67], v[66:67], -v[118:119]
	s_delay_alu instid0(VALU_DEP_2) | instskip(SKIP_1) | instid1(VALU_DEP_2)
	v_fma_f64 v[120:121], v[98:99], v[96:97], -v[120:121]
	v_mul_f64 v[98:99], v[98:99], v[82:83]
	v_add_f64 v[60:61], v[60:61], -v[120:121]
	s_delay_alu instid0(VALU_DEP_2) | instskip(SKIP_2) | instid1(VALU_DEP_2)
	v_fma_f64 v[122:123], v[100:101], v[96:97], v[98:99]
	s_waitcnt lgkmcnt(0)
	v_mul_f64 v[98:99], v[104:105], v[82:83]
	v_add_f64 v[62:63], v[62:63], -v[122:123]
	s_delay_alu instid0(VALU_DEP_2) | instskip(SKIP_1) | instid1(VALU_DEP_2)
	v_fma_f64 v[124:125], v[102:103], v[96:97], -v[98:99]
	v_mul_f64 v[98:99], v[102:103], v[82:83]
	v_add_f64 v[56:57], v[56:57], -v[124:125]
	s_delay_alu instid0(VALU_DEP_2)
	;; [unrolled: 20-line block ×8, first 2 shown]
	v_fma_f64 v[174:175], v[104:105], v[96:97], v[98:99]
	ds_load_2addr_b64 v[98:101], v226 offset0:40 offset1:41
	ds_load_2addr_b64 v[102:105], v226 offset0:42 offset1:43
	s_waitcnt lgkmcnt(1)
	v_mul_f64 v[222:223], v[100:101], v[82:83]
	v_add_f64 v[10:11], v[10:11], -v[174:175]
	s_delay_alu instid0(VALU_DEP_2) | instskip(SKIP_1) | instid1(VALU_DEP_2)
	v_fma_f64 v[222:223], v[98:99], v[96:97], -v[222:223]
	v_mul_f64 v[98:99], v[98:99], v[82:83]
	v_add_f64 v[4:5], v[4:5], -v[222:223]
	s_delay_alu instid0(VALU_DEP_2) | instskip(SKIP_2) | instid1(VALU_DEP_2)
	v_fma_f64 v[98:99], v[100:101], v[96:97], v[98:99]
	s_waitcnt lgkmcnt(0)
	v_mul_f64 v[100:101], v[104:105], v[82:83]
	v_add_f64 v[6:7], v[6:7], -v[98:99]
	s_delay_alu instid0(VALU_DEP_2) | instskip(SKIP_1) | instid1(VALU_DEP_2)
	v_fma_f64 v[100:101], v[102:103], v[96:97], -v[100:101]
	v_mul_f64 v[102:103], v[102:103], v[82:83]
	v_add_f64 v[0:1], v[0:1], -v[100:101]
	s_delay_alu instid0(VALU_DEP_2) | instskip(NEXT) | instid1(VALU_DEP_1)
	v_fma_f64 v[102:103], v[104:105], v[96:97], v[102:103]
	v_add_f64 v[2:3], v[2:3], -v[102:103]
.LBB43_19:
	s_or_b32 exec_lo, exec_lo, s3
	s_delay_alu instid0(SALU_CYCLE_1)
	s_mov_b32 s4, exec_lo
	s_waitcnt lgkmcnt(0)
	s_barrier
	buffer_gl0_inv
	v_cmpx_eq_u32_e32 2, v224
	s_cbranch_execz .LBB43_26
; %bb.20:
	ds_store_2addr_b64 v225, v[76:77], v[78:79] offset1:1
	ds_store_2addr_b64 v226, v[72:73], v[74:75] offset0:6 offset1:7
	ds_store_2addr_b64 v226, v[68:69], v[70:71] offset0:8 offset1:9
	;; [unrolled: 1-line block ×19, first 2 shown]
	ds_load_2addr_b64 v[96:99], v225 offset1:1
	s_waitcnt lgkmcnt(0)
	v_cmp_neq_f64_e32 vcc_lo, 0, v[96:97]
	v_cmp_neq_f64_e64 s3, 0, v[98:99]
	s_delay_alu instid0(VALU_DEP_1) | instskip(NEXT) | instid1(SALU_CYCLE_1)
	s_or_b32 s3, vcc_lo, s3
	s_and_b32 exec_lo, exec_lo, s3
	s_cbranch_execz .LBB43_26
; %bb.21:
	v_cmp_gt_f64_e32 vcc_lo, 0, v[96:97]
	v_cmp_gt_f64_e64 s3, 0, v[98:99]
	v_xor_b32_e32 v100, 0x80000000, v97
	v_xor_b32_e32 v102, 0x80000000, v99
                                        ; implicit-def: $vgpr104_vgpr105
	s_delay_alu instid0(VALU_DEP_2) | instskip(NEXT) | instid1(VALU_DEP_2)
	v_cndmask_b32_e32 v101, v97, v100, vcc_lo
	v_cndmask_b32_e64 v103, v99, v102, s3
	v_cndmask_b32_e32 v100, v96, v96, vcc_lo
	v_cndmask_b32_e64 v102, v98, v98, s3
	s_mov_b32 s3, exec_lo
	s_delay_alu instid0(VALU_DEP_1)
	v_cmpx_ngt_f64_e32 v[100:101], v[102:103]
	s_xor_b32 s3, exec_lo, s3
                                        ; implicit-def: $vgpr100_vgpr101_vgpr102_vgpr103
	s_cbranch_execz .LBB43_23
; %bb.22:
	v_div_scale_f64 v[100:101], null, v[98:99], v[98:99], v[96:97]
	v_div_scale_f64 v[106:107], vcc_lo, v[96:97], v[98:99], v[96:97]
	s_delay_alu instid0(VALU_DEP_2) | instskip(SKIP_2) | instid1(VALU_DEP_1)
	v_rcp_f64_e32 v[102:103], v[100:101]
	s_waitcnt_depctr 0xfff
	v_fma_f64 v[104:105], -v[100:101], v[102:103], 1.0
	v_fma_f64 v[102:103], v[102:103], v[104:105], v[102:103]
	s_delay_alu instid0(VALU_DEP_1) | instskip(NEXT) | instid1(VALU_DEP_1)
	v_fma_f64 v[104:105], -v[100:101], v[102:103], 1.0
	v_fma_f64 v[102:103], v[102:103], v[104:105], v[102:103]
	s_delay_alu instid0(VALU_DEP_1) | instskip(NEXT) | instid1(VALU_DEP_1)
	v_mul_f64 v[104:105], v[106:107], v[102:103]
	v_fma_f64 v[100:101], -v[100:101], v[104:105], v[106:107]
	s_delay_alu instid0(VALU_DEP_1) | instskip(NEXT) | instid1(VALU_DEP_1)
	v_div_fmas_f64 v[100:101], v[100:101], v[102:103], v[104:105]
	v_div_fixup_f64 v[100:101], v[100:101], v[98:99], v[96:97]
	s_delay_alu instid0(VALU_DEP_1) | instskip(NEXT) | instid1(VALU_DEP_1)
	v_fma_f64 v[96:97], v[96:97], v[100:101], v[98:99]
	v_div_scale_f64 v[98:99], null, v[96:97], v[96:97], 1.0
	s_delay_alu instid0(VALU_DEP_1) | instskip(SKIP_2) | instid1(VALU_DEP_1)
	v_rcp_f64_e32 v[102:103], v[98:99]
	s_waitcnt_depctr 0xfff
	v_fma_f64 v[104:105], -v[98:99], v[102:103], 1.0
	v_fma_f64 v[102:103], v[102:103], v[104:105], v[102:103]
	s_delay_alu instid0(VALU_DEP_1) | instskip(NEXT) | instid1(VALU_DEP_1)
	v_fma_f64 v[104:105], -v[98:99], v[102:103], 1.0
	v_fma_f64 v[102:103], v[102:103], v[104:105], v[102:103]
	v_div_scale_f64 v[104:105], vcc_lo, 1.0, v[96:97], 1.0
	s_delay_alu instid0(VALU_DEP_1) | instskip(NEXT) | instid1(VALU_DEP_1)
	v_mul_f64 v[106:107], v[104:105], v[102:103]
	v_fma_f64 v[98:99], -v[98:99], v[106:107], v[104:105]
	s_delay_alu instid0(VALU_DEP_1) | instskip(NEXT) | instid1(VALU_DEP_1)
	v_div_fmas_f64 v[98:99], v[98:99], v[102:103], v[106:107]
	v_div_fixup_f64 v[102:103], v[98:99], v[96:97], 1.0
                                        ; implicit-def: $vgpr96_vgpr97
	s_delay_alu instid0(VALU_DEP_1)
	v_mul_f64 v[104:105], v[100:101], v[102:103]
	v_xor_b32_e32 v103, 0x80000000, v103
.LBB43_23:
	s_and_not1_saveexec_b32 s3, s3
	s_cbranch_execz .LBB43_25
; %bb.24:
	v_div_scale_f64 v[100:101], null, v[96:97], v[96:97], v[98:99]
	v_div_scale_f64 v[106:107], vcc_lo, v[98:99], v[96:97], v[98:99]
	s_delay_alu instid0(VALU_DEP_2) | instskip(SKIP_2) | instid1(VALU_DEP_1)
	v_rcp_f64_e32 v[102:103], v[100:101]
	s_waitcnt_depctr 0xfff
	v_fma_f64 v[104:105], -v[100:101], v[102:103], 1.0
	v_fma_f64 v[102:103], v[102:103], v[104:105], v[102:103]
	s_delay_alu instid0(VALU_DEP_1) | instskip(NEXT) | instid1(VALU_DEP_1)
	v_fma_f64 v[104:105], -v[100:101], v[102:103], 1.0
	v_fma_f64 v[102:103], v[102:103], v[104:105], v[102:103]
	s_delay_alu instid0(VALU_DEP_1) | instskip(NEXT) | instid1(VALU_DEP_1)
	v_mul_f64 v[104:105], v[106:107], v[102:103]
	v_fma_f64 v[100:101], -v[100:101], v[104:105], v[106:107]
	s_delay_alu instid0(VALU_DEP_1) | instskip(NEXT) | instid1(VALU_DEP_1)
	v_div_fmas_f64 v[100:101], v[100:101], v[102:103], v[104:105]
	v_div_fixup_f64 v[100:101], v[100:101], v[96:97], v[98:99]
	s_delay_alu instid0(VALU_DEP_1) | instskip(NEXT) | instid1(VALU_DEP_1)
	v_fma_f64 v[96:97], v[98:99], v[100:101], v[96:97]
	v_div_scale_f64 v[98:99], null, v[96:97], v[96:97], 1.0
	s_delay_alu instid0(VALU_DEP_1) | instskip(SKIP_2) | instid1(VALU_DEP_1)
	v_rcp_f64_e32 v[102:103], v[98:99]
	s_waitcnt_depctr 0xfff
	v_fma_f64 v[104:105], -v[98:99], v[102:103], 1.0
	v_fma_f64 v[102:103], v[102:103], v[104:105], v[102:103]
	s_delay_alu instid0(VALU_DEP_1) | instskip(NEXT) | instid1(VALU_DEP_1)
	v_fma_f64 v[104:105], -v[98:99], v[102:103], 1.0
	v_fma_f64 v[102:103], v[102:103], v[104:105], v[102:103]
	v_div_scale_f64 v[104:105], vcc_lo, 1.0, v[96:97], 1.0
	s_delay_alu instid0(VALU_DEP_1) | instskip(NEXT) | instid1(VALU_DEP_1)
	v_mul_f64 v[106:107], v[104:105], v[102:103]
	v_fma_f64 v[98:99], -v[98:99], v[106:107], v[104:105]
	s_delay_alu instid0(VALU_DEP_1) | instskip(NEXT) | instid1(VALU_DEP_1)
	v_div_fmas_f64 v[98:99], v[98:99], v[102:103], v[106:107]
	v_div_fixup_f64 v[104:105], v[98:99], v[96:97], 1.0
	s_delay_alu instid0(VALU_DEP_1)
	v_mul_f64 v[102:103], v[100:101], -v[104:105]
.LBB43_25:
	s_or_b32 exec_lo, exec_lo, s3
	ds_store_2addr_b64 v225, v[104:105], v[102:103] offset1:1
.LBB43_26:
	s_or_b32 exec_lo, exec_lo, s4
	s_waitcnt lgkmcnt(0)
	s_barrier
	buffer_gl0_inv
	ds_load_2addr_b64 v[96:99], v225 offset1:1
	s_mov_b32 s3, exec_lo
	v_cmpx_lt_u32_e32 2, v224
	s_cbranch_execz .LBB43_28
; %bb.27:
	s_waitcnt lgkmcnt(0)
	v_mul_f64 v[100:101], v[98:99], v[78:79]
	v_mul_f64 v[78:79], v[96:97], v[78:79]
	ds_load_2addr_b64 v[102:105], v226 offset0:6 offset1:7
	ds_load_2addr_b64 v[106:109], v226 offset0:8 offset1:9
	v_fma_f64 v[100:101], v[96:97], v[76:77], -v[100:101]
	v_fma_f64 v[78:79], v[98:99], v[76:77], v[78:79]
	s_waitcnt lgkmcnt(1)
	s_delay_alu instid0(VALU_DEP_1) | instskip(NEXT) | instid1(VALU_DEP_1)
	v_mul_f64 v[76:77], v[104:105], v[78:79]
	v_fma_f64 v[76:77], v[102:103], v[100:101], -v[76:77]
	v_mul_f64 v[102:103], v[102:103], v[78:79]
	s_delay_alu instid0(VALU_DEP_2) | instskip(NEXT) | instid1(VALU_DEP_2)
	v_add_f64 v[72:73], v[72:73], -v[76:77]
	v_fma_f64 v[110:111], v[104:105], v[100:101], v[102:103]
	s_waitcnt lgkmcnt(0)
	v_mul_f64 v[102:103], v[108:109], v[78:79]
	v_dual_mov_b32 v76, v100 :: v_dual_mov_b32 v77, v101
	s_delay_alu instid0(VALU_DEP_3) | instskip(NEXT) | instid1(VALU_DEP_3)
	v_add_f64 v[74:75], v[74:75], -v[110:111]
	v_fma_f64 v[112:113], v[106:107], v[100:101], -v[102:103]
	v_mul_f64 v[102:103], v[106:107], v[78:79]
	s_delay_alu instid0(VALU_DEP_2) | instskip(NEXT) | instid1(VALU_DEP_2)
	v_add_f64 v[68:69], v[68:69], -v[112:113]
	v_fma_f64 v[114:115], v[108:109], v[100:101], v[102:103]
	ds_load_2addr_b64 v[102:105], v226 offset0:10 offset1:11
	ds_load_2addr_b64 v[106:109], v226 offset0:12 offset1:13
	s_waitcnt lgkmcnt(1)
	v_mul_f64 v[116:117], v[104:105], v[78:79]
	v_add_f64 v[70:71], v[70:71], -v[114:115]
	s_delay_alu instid0(VALU_DEP_2) | instskip(SKIP_1) | instid1(VALU_DEP_2)
	v_fma_f64 v[116:117], v[102:103], v[100:101], -v[116:117]
	v_mul_f64 v[102:103], v[102:103], v[78:79]
	v_add_f64 v[64:65], v[64:65], -v[116:117]
	s_delay_alu instid0(VALU_DEP_2) | instskip(SKIP_2) | instid1(VALU_DEP_2)
	v_fma_f64 v[118:119], v[104:105], v[100:101], v[102:103]
	s_waitcnt lgkmcnt(0)
	v_mul_f64 v[102:103], v[108:109], v[78:79]
	v_add_f64 v[66:67], v[66:67], -v[118:119]
	s_delay_alu instid0(VALU_DEP_2) | instskip(SKIP_1) | instid1(VALU_DEP_2)
	v_fma_f64 v[120:121], v[106:107], v[100:101], -v[102:103]
	v_mul_f64 v[102:103], v[106:107], v[78:79]
	v_add_f64 v[60:61], v[60:61], -v[120:121]
	s_delay_alu instid0(VALU_DEP_2)
	v_fma_f64 v[122:123], v[108:109], v[100:101], v[102:103]
	ds_load_2addr_b64 v[102:105], v226 offset0:14 offset1:15
	ds_load_2addr_b64 v[106:109], v226 offset0:16 offset1:17
	s_waitcnt lgkmcnt(1)
	v_mul_f64 v[124:125], v[104:105], v[78:79]
	v_add_f64 v[62:63], v[62:63], -v[122:123]
	s_delay_alu instid0(VALU_DEP_2) | instskip(SKIP_1) | instid1(VALU_DEP_2)
	v_fma_f64 v[124:125], v[102:103], v[100:101], -v[124:125]
	v_mul_f64 v[102:103], v[102:103], v[78:79]
	v_add_f64 v[56:57], v[56:57], -v[124:125]
	s_delay_alu instid0(VALU_DEP_2) | instskip(SKIP_2) | instid1(VALU_DEP_2)
	v_fma_f64 v[126:127], v[104:105], v[100:101], v[102:103]
	s_waitcnt lgkmcnt(0)
	v_mul_f64 v[102:103], v[108:109], v[78:79]
	v_add_f64 v[58:59], v[58:59], -v[126:127]
	s_delay_alu instid0(VALU_DEP_2) | instskip(SKIP_1) | instid1(VALU_DEP_2)
	v_fma_f64 v[128:129], v[106:107], v[100:101], -v[102:103]
	v_mul_f64 v[102:103], v[106:107], v[78:79]
	v_add_f64 v[52:53], v[52:53], -v[128:129]
	s_delay_alu instid0(VALU_DEP_2)
	v_fma_f64 v[130:131], v[108:109], v[100:101], v[102:103]
	ds_load_2addr_b64 v[102:105], v226 offset0:18 offset1:19
	ds_load_2addr_b64 v[106:109], v226 offset0:20 offset1:21
	s_waitcnt lgkmcnt(1)
	v_mul_f64 v[132:133], v[104:105], v[78:79]
	v_add_f64 v[54:55], v[54:55], -v[130:131]
	s_delay_alu instid0(VALU_DEP_2) | instskip(SKIP_1) | instid1(VALU_DEP_2)
	v_fma_f64 v[132:133], v[102:103], v[100:101], -v[132:133]
	v_mul_f64 v[102:103], v[102:103], v[78:79]
	v_add_f64 v[48:49], v[48:49], -v[132:133]
	s_delay_alu instid0(VALU_DEP_2) | instskip(SKIP_2) | instid1(VALU_DEP_2)
	v_fma_f64 v[134:135], v[104:105], v[100:101], v[102:103]
	s_waitcnt lgkmcnt(0)
	v_mul_f64 v[102:103], v[108:109], v[78:79]
	v_add_f64 v[50:51], v[50:51], -v[134:135]
	s_delay_alu instid0(VALU_DEP_2) | instskip(SKIP_1) | instid1(VALU_DEP_2)
	v_fma_f64 v[136:137], v[106:107], v[100:101], -v[102:103]
	v_mul_f64 v[102:103], v[106:107], v[78:79]
	v_add_f64 v[44:45], v[44:45], -v[136:137]
	s_delay_alu instid0(VALU_DEP_2)
	v_fma_f64 v[138:139], v[108:109], v[100:101], v[102:103]
	ds_load_2addr_b64 v[102:105], v226 offset0:22 offset1:23
	ds_load_2addr_b64 v[106:109], v226 offset0:24 offset1:25
	s_waitcnt lgkmcnt(1)
	v_mul_f64 v[140:141], v[104:105], v[78:79]
	v_add_f64 v[46:47], v[46:47], -v[138:139]
	s_delay_alu instid0(VALU_DEP_2) | instskip(SKIP_1) | instid1(VALU_DEP_2)
	v_fma_f64 v[140:141], v[102:103], v[100:101], -v[140:141]
	v_mul_f64 v[102:103], v[102:103], v[78:79]
	v_add_f64 v[40:41], v[40:41], -v[140:141]
	s_delay_alu instid0(VALU_DEP_2) | instskip(SKIP_2) | instid1(VALU_DEP_2)
	v_fma_f64 v[142:143], v[104:105], v[100:101], v[102:103]
	s_waitcnt lgkmcnt(0)
	v_mul_f64 v[102:103], v[108:109], v[78:79]
	v_add_f64 v[42:43], v[42:43], -v[142:143]
	s_delay_alu instid0(VALU_DEP_2) | instskip(SKIP_1) | instid1(VALU_DEP_2)
	v_fma_f64 v[144:145], v[106:107], v[100:101], -v[102:103]
	v_mul_f64 v[102:103], v[106:107], v[78:79]
	v_add_f64 v[36:37], v[36:37], -v[144:145]
	s_delay_alu instid0(VALU_DEP_2)
	v_fma_f64 v[146:147], v[108:109], v[100:101], v[102:103]
	ds_load_2addr_b64 v[102:105], v226 offset0:26 offset1:27
	ds_load_2addr_b64 v[106:109], v226 offset0:28 offset1:29
	s_waitcnt lgkmcnt(1)
	v_mul_f64 v[148:149], v[104:105], v[78:79]
	v_add_f64 v[38:39], v[38:39], -v[146:147]
	s_delay_alu instid0(VALU_DEP_2) | instskip(SKIP_1) | instid1(VALU_DEP_2)
	v_fma_f64 v[148:149], v[102:103], v[100:101], -v[148:149]
	v_mul_f64 v[102:103], v[102:103], v[78:79]
	v_add_f64 v[32:33], v[32:33], -v[148:149]
	s_delay_alu instid0(VALU_DEP_2) | instskip(SKIP_2) | instid1(VALU_DEP_2)
	v_fma_f64 v[150:151], v[104:105], v[100:101], v[102:103]
	s_waitcnt lgkmcnt(0)
	v_mul_f64 v[102:103], v[108:109], v[78:79]
	v_add_f64 v[34:35], v[34:35], -v[150:151]
	s_delay_alu instid0(VALU_DEP_2) | instskip(SKIP_1) | instid1(VALU_DEP_2)
	v_fma_f64 v[152:153], v[106:107], v[100:101], -v[102:103]
	v_mul_f64 v[102:103], v[106:107], v[78:79]
	v_add_f64 v[28:29], v[28:29], -v[152:153]
	s_delay_alu instid0(VALU_DEP_2)
	v_fma_f64 v[154:155], v[108:109], v[100:101], v[102:103]
	ds_load_2addr_b64 v[102:105], v226 offset0:30 offset1:31
	ds_load_2addr_b64 v[106:109], v226 offset0:32 offset1:33
	s_waitcnt lgkmcnt(1)
	v_mul_f64 v[156:157], v[104:105], v[78:79]
	v_add_f64 v[30:31], v[30:31], -v[154:155]
	s_delay_alu instid0(VALU_DEP_2) | instskip(SKIP_1) | instid1(VALU_DEP_2)
	v_fma_f64 v[156:157], v[102:103], v[100:101], -v[156:157]
	v_mul_f64 v[102:103], v[102:103], v[78:79]
	v_add_f64 v[24:25], v[24:25], -v[156:157]
	s_delay_alu instid0(VALU_DEP_2) | instskip(SKIP_2) | instid1(VALU_DEP_2)
	v_fma_f64 v[158:159], v[104:105], v[100:101], v[102:103]
	s_waitcnt lgkmcnt(0)
	v_mul_f64 v[102:103], v[108:109], v[78:79]
	v_add_f64 v[26:27], v[26:27], -v[158:159]
	s_delay_alu instid0(VALU_DEP_2) | instskip(SKIP_1) | instid1(VALU_DEP_2)
	v_fma_f64 v[160:161], v[106:107], v[100:101], -v[102:103]
	v_mul_f64 v[102:103], v[106:107], v[78:79]
	v_add_f64 v[20:21], v[20:21], -v[160:161]
	s_delay_alu instid0(VALU_DEP_2)
	v_fma_f64 v[162:163], v[108:109], v[100:101], v[102:103]
	ds_load_2addr_b64 v[102:105], v226 offset0:34 offset1:35
	ds_load_2addr_b64 v[106:109], v226 offset0:36 offset1:37
	s_waitcnt lgkmcnt(1)
	v_mul_f64 v[164:165], v[104:105], v[78:79]
	v_add_f64 v[22:23], v[22:23], -v[162:163]
	s_delay_alu instid0(VALU_DEP_2) | instskip(SKIP_1) | instid1(VALU_DEP_2)
	v_fma_f64 v[164:165], v[102:103], v[100:101], -v[164:165]
	v_mul_f64 v[102:103], v[102:103], v[78:79]
	v_add_f64 v[16:17], v[16:17], -v[164:165]
	s_delay_alu instid0(VALU_DEP_2) | instskip(SKIP_2) | instid1(VALU_DEP_2)
	v_fma_f64 v[166:167], v[104:105], v[100:101], v[102:103]
	s_waitcnt lgkmcnt(0)
	v_mul_f64 v[102:103], v[108:109], v[78:79]
	v_add_f64 v[18:19], v[18:19], -v[166:167]
	s_delay_alu instid0(VALU_DEP_2) | instskip(SKIP_1) | instid1(VALU_DEP_2)
	v_fma_f64 v[168:169], v[106:107], v[100:101], -v[102:103]
	v_mul_f64 v[102:103], v[106:107], v[78:79]
	v_add_f64 v[12:13], v[12:13], -v[168:169]
	s_delay_alu instid0(VALU_DEP_2)
	v_fma_f64 v[170:171], v[108:109], v[100:101], v[102:103]
	ds_load_2addr_b64 v[102:105], v226 offset0:38 offset1:39
	ds_load_2addr_b64 v[106:109], v226 offset0:40 offset1:41
	s_waitcnt lgkmcnt(1)
	v_mul_f64 v[172:173], v[104:105], v[78:79]
	v_add_f64 v[14:15], v[14:15], -v[170:171]
	s_delay_alu instid0(VALU_DEP_2) | instskip(SKIP_1) | instid1(VALU_DEP_2)
	v_fma_f64 v[172:173], v[102:103], v[100:101], -v[172:173]
	v_mul_f64 v[102:103], v[102:103], v[78:79]
	v_add_f64 v[8:9], v[8:9], -v[172:173]
	s_delay_alu instid0(VALU_DEP_2) | instskip(SKIP_2) | instid1(VALU_DEP_2)
	v_fma_f64 v[174:175], v[104:105], v[100:101], v[102:103]
	s_waitcnt lgkmcnt(0)
	v_mul_f64 v[102:103], v[108:109], v[78:79]
	v_add_f64 v[10:11], v[10:11], -v[174:175]
	s_delay_alu instid0(VALU_DEP_2) | instskip(SKIP_1) | instid1(VALU_DEP_2)
	v_fma_f64 v[222:223], v[106:107], v[100:101], -v[102:103]
	v_mul_f64 v[102:103], v[106:107], v[78:79]
	v_add_f64 v[4:5], v[4:5], -v[222:223]
	s_delay_alu instid0(VALU_DEP_2) | instskip(SKIP_4) | instid1(VALU_DEP_2)
	v_fma_f64 v[106:107], v[108:109], v[100:101], v[102:103]
	ds_load_2addr_b64 v[102:105], v226 offset0:42 offset1:43
	s_waitcnt lgkmcnt(0)
	v_mul_f64 v[108:109], v[104:105], v[78:79]
	v_add_f64 v[6:7], v[6:7], -v[106:107]
	v_fma_f64 v[108:109], v[102:103], v[100:101], -v[108:109]
	v_mul_f64 v[102:103], v[102:103], v[78:79]
	s_delay_alu instid0(VALU_DEP_2) | instskip(NEXT) | instid1(VALU_DEP_2)
	v_add_f64 v[0:1], v[0:1], -v[108:109]
	v_fma_f64 v[102:103], v[104:105], v[100:101], v[102:103]
	s_delay_alu instid0(VALU_DEP_1)
	v_add_f64 v[2:3], v[2:3], -v[102:103]
.LBB43_28:
	s_or_b32 exec_lo, exec_lo, s3
	s_delay_alu instid0(SALU_CYCLE_1)
	s_mov_b32 s4, exec_lo
	s_waitcnt lgkmcnt(0)
	s_barrier
	buffer_gl0_inv
	v_cmpx_eq_u32_e32 3, v224
	s_cbranch_execz .LBB43_35
; %bb.29:
	ds_store_2addr_b64 v225, v[72:73], v[74:75] offset1:1
	ds_store_2addr_b64 v226, v[68:69], v[70:71] offset0:8 offset1:9
	ds_store_2addr_b64 v226, v[64:65], v[66:67] offset0:10 offset1:11
	;; [unrolled: 1-line block ×18, first 2 shown]
	ds_load_2addr_b64 v[100:103], v225 offset1:1
	s_waitcnt lgkmcnt(0)
	v_cmp_neq_f64_e32 vcc_lo, 0, v[100:101]
	v_cmp_neq_f64_e64 s3, 0, v[102:103]
	s_delay_alu instid0(VALU_DEP_1) | instskip(NEXT) | instid1(SALU_CYCLE_1)
	s_or_b32 s3, vcc_lo, s3
	s_and_b32 exec_lo, exec_lo, s3
	s_cbranch_execz .LBB43_35
; %bb.30:
	v_cmp_gt_f64_e32 vcc_lo, 0, v[100:101]
	v_cmp_gt_f64_e64 s3, 0, v[102:103]
	v_xor_b32_e32 v104, 0x80000000, v101
	v_xor_b32_e32 v106, 0x80000000, v103
                                        ; implicit-def: $vgpr108_vgpr109
	s_delay_alu instid0(VALU_DEP_2) | instskip(NEXT) | instid1(VALU_DEP_2)
	v_cndmask_b32_e32 v105, v101, v104, vcc_lo
	v_cndmask_b32_e64 v107, v103, v106, s3
	v_cndmask_b32_e32 v104, v100, v100, vcc_lo
	v_cndmask_b32_e64 v106, v102, v102, s3
	s_mov_b32 s3, exec_lo
	s_delay_alu instid0(VALU_DEP_1)
	v_cmpx_ngt_f64_e32 v[104:105], v[106:107]
	s_xor_b32 s3, exec_lo, s3
                                        ; implicit-def: $vgpr104_vgpr105_vgpr106_vgpr107
	s_cbranch_execz .LBB43_32
; %bb.31:
	v_div_scale_f64 v[104:105], null, v[102:103], v[102:103], v[100:101]
	v_div_scale_f64 v[110:111], vcc_lo, v[100:101], v[102:103], v[100:101]
	s_delay_alu instid0(VALU_DEP_2) | instskip(SKIP_2) | instid1(VALU_DEP_1)
	v_rcp_f64_e32 v[106:107], v[104:105]
	s_waitcnt_depctr 0xfff
	v_fma_f64 v[108:109], -v[104:105], v[106:107], 1.0
	v_fma_f64 v[106:107], v[106:107], v[108:109], v[106:107]
	s_delay_alu instid0(VALU_DEP_1) | instskip(NEXT) | instid1(VALU_DEP_1)
	v_fma_f64 v[108:109], -v[104:105], v[106:107], 1.0
	v_fma_f64 v[106:107], v[106:107], v[108:109], v[106:107]
	s_delay_alu instid0(VALU_DEP_1) | instskip(NEXT) | instid1(VALU_DEP_1)
	v_mul_f64 v[108:109], v[110:111], v[106:107]
	v_fma_f64 v[104:105], -v[104:105], v[108:109], v[110:111]
	s_delay_alu instid0(VALU_DEP_1) | instskip(NEXT) | instid1(VALU_DEP_1)
	v_div_fmas_f64 v[104:105], v[104:105], v[106:107], v[108:109]
	v_div_fixup_f64 v[104:105], v[104:105], v[102:103], v[100:101]
	s_delay_alu instid0(VALU_DEP_1) | instskip(NEXT) | instid1(VALU_DEP_1)
	v_fma_f64 v[100:101], v[100:101], v[104:105], v[102:103]
	v_div_scale_f64 v[102:103], null, v[100:101], v[100:101], 1.0
	s_delay_alu instid0(VALU_DEP_1) | instskip(SKIP_2) | instid1(VALU_DEP_1)
	v_rcp_f64_e32 v[106:107], v[102:103]
	s_waitcnt_depctr 0xfff
	v_fma_f64 v[108:109], -v[102:103], v[106:107], 1.0
	v_fma_f64 v[106:107], v[106:107], v[108:109], v[106:107]
	s_delay_alu instid0(VALU_DEP_1) | instskip(NEXT) | instid1(VALU_DEP_1)
	v_fma_f64 v[108:109], -v[102:103], v[106:107], 1.0
	v_fma_f64 v[106:107], v[106:107], v[108:109], v[106:107]
	v_div_scale_f64 v[108:109], vcc_lo, 1.0, v[100:101], 1.0
	s_delay_alu instid0(VALU_DEP_1) | instskip(NEXT) | instid1(VALU_DEP_1)
	v_mul_f64 v[110:111], v[108:109], v[106:107]
	v_fma_f64 v[102:103], -v[102:103], v[110:111], v[108:109]
	s_delay_alu instid0(VALU_DEP_1) | instskip(NEXT) | instid1(VALU_DEP_1)
	v_div_fmas_f64 v[102:103], v[102:103], v[106:107], v[110:111]
	v_div_fixup_f64 v[106:107], v[102:103], v[100:101], 1.0
                                        ; implicit-def: $vgpr100_vgpr101
	s_delay_alu instid0(VALU_DEP_1)
	v_mul_f64 v[108:109], v[104:105], v[106:107]
	v_xor_b32_e32 v107, 0x80000000, v107
.LBB43_32:
	s_and_not1_saveexec_b32 s3, s3
	s_cbranch_execz .LBB43_34
; %bb.33:
	v_div_scale_f64 v[104:105], null, v[100:101], v[100:101], v[102:103]
	v_div_scale_f64 v[110:111], vcc_lo, v[102:103], v[100:101], v[102:103]
	s_delay_alu instid0(VALU_DEP_2) | instskip(SKIP_2) | instid1(VALU_DEP_1)
	v_rcp_f64_e32 v[106:107], v[104:105]
	s_waitcnt_depctr 0xfff
	v_fma_f64 v[108:109], -v[104:105], v[106:107], 1.0
	v_fma_f64 v[106:107], v[106:107], v[108:109], v[106:107]
	s_delay_alu instid0(VALU_DEP_1) | instskip(NEXT) | instid1(VALU_DEP_1)
	v_fma_f64 v[108:109], -v[104:105], v[106:107], 1.0
	v_fma_f64 v[106:107], v[106:107], v[108:109], v[106:107]
	s_delay_alu instid0(VALU_DEP_1) | instskip(NEXT) | instid1(VALU_DEP_1)
	v_mul_f64 v[108:109], v[110:111], v[106:107]
	v_fma_f64 v[104:105], -v[104:105], v[108:109], v[110:111]
	s_delay_alu instid0(VALU_DEP_1) | instskip(NEXT) | instid1(VALU_DEP_1)
	v_div_fmas_f64 v[104:105], v[104:105], v[106:107], v[108:109]
	v_div_fixup_f64 v[104:105], v[104:105], v[100:101], v[102:103]
	s_delay_alu instid0(VALU_DEP_1) | instskip(NEXT) | instid1(VALU_DEP_1)
	v_fma_f64 v[100:101], v[102:103], v[104:105], v[100:101]
	v_div_scale_f64 v[102:103], null, v[100:101], v[100:101], 1.0
	s_delay_alu instid0(VALU_DEP_1) | instskip(SKIP_2) | instid1(VALU_DEP_1)
	v_rcp_f64_e32 v[106:107], v[102:103]
	s_waitcnt_depctr 0xfff
	v_fma_f64 v[108:109], -v[102:103], v[106:107], 1.0
	v_fma_f64 v[106:107], v[106:107], v[108:109], v[106:107]
	s_delay_alu instid0(VALU_DEP_1) | instskip(NEXT) | instid1(VALU_DEP_1)
	v_fma_f64 v[108:109], -v[102:103], v[106:107], 1.0
	v_fma_f64 v[106:107], v[106:107], v[108:109], v[106:107]
	v_div_scale_f64 v[108:109], vcc_lo, 1.0, v[100:101], 1.0
	s_delay_alu instid0(VALU_DEP_1) | instskip(NEXT) | instid1(VALU_DEP_1)
	v_mul_f64 v[110:111], v[108:109], v[106:107]
	v_fma_f64 v[102:103], -v[102:103], v[110:111], v[108:109]
	s_delay_alu instid0(VALU_DEP_1) | instskip(NEXT) | instid1(VALU_DEP_1)
	v_div_fmas_f64 v[102:103], v[102:103], v[106:107], v[110:111]
	v_div_fixup_f64 v[108:109], v[102:103], v[100:101], 1.0
	s_delay_alu instid0(VALU_DEP_1)
	v_mul_f64 v[106:107], v[104:105], -v[108:109]
.LBB43_34:
	s_or_b32 exec_lo, exec_lo, s3
	ds_store_2addr_b64 v225, v[108:109], v[106:107] offset1:1
.LBB43_35:
	s_or_b32 exec_lo, exec_lo, s4
	s_waitcnt lgkmcnt(0)
	s_barrier
	buffer_gl0_inv
	ds_load_2addr_b64 v[100:103], v225 offset1:1
	s_mov_b32 s3, exec_lo
	v_cmpx_lt_u32_e32 3, v224
	s_cbranch_execz .LBB43_37
; %bb.36:
	s_waitcnt lgkmcnt(0)
	v_mul_f64 v[104:105], v[102:103], v[74:75]
	v_mul_f64 v[74:75], v[100:101], v[74:75]
	ds_load_2addr_b64 v[106:109], v226 offset0:8 offset1:9
	ds_load_2addr_b64 v[110:113], v226 offset0:10 offset1:11
	v_fma_f64 v[104:105], v[100:101], v[72:73], -v[104:105]
	v_fma_f64 v[74:75], v[102:103], v[72:73], v[74:75]
	s_waitcnt lgkmcnt(1)
	s_delay_alu instid0(VALU_DEP_1) | instskip(NEXT) | instid1(VALU_DEP_1)
	v_mul_f64 v[72:73], v[108:109], v[74:75]
	v_fma_f64 v[72:73], v[106:107], v[104:105], -v[72:73]
	v_mul_f64 v[106:107], v[106:107], v[74:75]
	s_delay_alu instid0(VALU_DEP_2) | instskip(NEXT) | instid1(VALU_DEP_2)
	v_add_f64 v[68:69], v[68:69], -v[72:73]
	v_fma_f64 v[114:115], v[108:109], v[104:105], v[106:107]
	s_waitcnt lgkmcnt(0)
	v_mul_f64 v[106:107], v[112:113], v[74:75]
	v_dual_mov_b32 v72, v104 :: v_dual_mov_b32 v73, v105
	s_delay_alu instid0(VALU_DEP_3) | instskip(NEXT) | instid1(VALU_DEP_3)
	v_add_f64 v[70:71], v[70:71], -v[114:115]
	v_fma_f64 v[116:117], v[110:111], v[104:105], -v[106:107]
	v_mul_f64 v[106:107], v[110:111], v[74:75]
	s_delay_alu instid0(VALU_DEP_2) | instskip(NEXT) | instid1(VALU_DEP_2)
	v_add_f64 v[64:65], v[64:65], -v[116:117]
	v_fma_f64 v[118:119], v[112:113], v[104:105], v[106:107]
	ds_load_2addr_b64 v[106:109], v226 offset0:12 offset1:13
	ds_load_2addr_b64 v[110:113], v226 offset0:14 offset1:15
	s_waitcnt lgkmcnt(1)
	v_mul_f64 v[120:121], v[108:109], v[74:75]
	v_add_f64 v[66:67], v[66:67], -v[118:119]
	s_delay_alu instid0(VALU_DEP_2) | instskip(SKIP_1) | instid1(VALU_DEP_2)
	v_fma_f64 v[120:121], v[106:107], v[104:105], -v[120:121]
	v_mul_f64 v[106:107], v[106:107], v[74:75]
	v_add_f64 v[60:61], v[60:61], -v[120:121]
	s_delay_alu instid0(VALU_DEP_2) | instskip(SKIP_2) | instid1(VALU_DEP_2)
	v_fma_f64 v[122:123], v[108:109], v[104:105], v[106:107]
	s_waitcnt lgkmcnt(0)
	v_mul_f64 v[106:107], v[112:113], v[74:75]
	v_add_f64 v[62:63], v[62:63], -v[122:123]
	s_delay_alu instid0(VALU_DEP_2) | instskip(SKIP_1) | instid1(VALU_DEP_2)
	v_fma_f64 v[124:125], v[110:111], v[104:105], -v[106:107]
	v_mul_f64 v[106:107], v[110:111], v[74:75]
	v_add_f64 v[56:57], v[56:57], -v[124:125]
	s_delay_alu instid0(VALU_DEP_2)
	v_fma_f64 v[126:127], v[112:113], v[104:105], v[106:107]
	ds_load_2addr_b64 v[106:109], v226 offset0:16 offset1:17
	ds_load_2addr_b64 v[110:113], v226 offset0:18 offset1:19
	s_waitcnt lgkmcnt(1)
	v_mul_f64 v[128:129], v[108:109], v[74:75]
	v_add_f64 v[58:59], v[58:59], -v[126:127]
	s_delay_alu instid0(VALU_DEP_2) | instskip(SKIP_1) | instid1(VALU_DEP_2)
	v_fma_f64 v[128:129], v[106:107], v[104:105], -v[128:129]
	v_mul_f64 v[106:107], v[106:107], v[74:75]
	v_add_f64 v[52:53], v[52:53], -v[128:129]
	s_delay_alu instid0(VALU_DEP_2) | instskip(SKIP_2) | instid1(VALU_DEP_2)
	v_fma_f64 v[130:131], v[108:109], v[104:105], v[106:107]
	s_waitcnt lgkmcnt(0)
	v_mul_f64 v[106:107], v[112:113], v[74:75]
	v_add_f64 v[54:55], v[54:55], -v[130:131]
	s_delay_alu instid0(VALU_DEP_2) | instskip(SKIP_1) | instid1(VALU_DEP_2)
	v_fma_f64 v[132:133], v[110:111], v[104:105], -v[106:107]
	v_mul_f64 v[106:107], v[110:111], v[74:75]
	v_add_f64 v[48:49], v[48:49], -v[132:133]
	s_delay_alu instid0(VALU_DEP_2)
	;; [unrolled: 20-line block ×7, first 2 shown]
	v_fma_f64 v[174:175], v[112:113], v[104:105], v[106:107]
	ds_load_2addr_b64 v[106:109], v226 offset0:40 offset1:41
	ds_load_2addr_b64 v[110:113], v226 offset0:42 offset1:43
	s_waitcnt lgkmcnt(1)
	v_mul_f64 v[222:223], v[108:109], v[74:75]
	v_add_f64 v[10:11], v[10:11], -v[174:175]
	s_delay_alu instid0(VALU_DEP_2) | instskip(SKIP_1) | instid1(VALU_DEP_2)
	v_fma_f64 v[222:223], v[106:107], v[104:105], -v[222:223]
	v_mul_f64 v[106:107], v[106:107], v[74:75]
	v_add_f64 v[4:5], v[4:5], -v[222:223]
	s_delay_alu instid0(VALU_DEP_2) | instskip(SKIP_2) | instid1(VALU_DEP_2)
	v_fma_f64 v[106:107], v[108:109], v[104:105], v[106:107]
	s_waitcnt lgkmcnt(0)
	v_mul_f64 v[108:109], v[112:113], v[74:75]
	v_add_f64 v[6:7], v[6:7], -v[106:107]
	s_delay_alu instid0(VALU_DEP_2) | instskip(SKIP_1) | instid1(VALU_DEP_2)
	v_fma_f64 v[108:109], v[110:111], v[104:105], -v[108:109]
	v_mul_f64 v[110:111], v[110:111], v[74:75]
	v_add_f64 v[0:1], v[0:1], -v[108:109]
	s_delay_alu instid0(VALU_DEP_2) | instskip(NEXT) | instid1(VALU_DEP_1)
	v_fma_f64 v[110:111], v[112:113], v[104:105], v[110:111]
	v_add_f64 v[2:3], v[2:3], -v[110:111]
.LBB43_37:
	s_or_b32 exec_lo, exec_lo, s3
	s_delay_alu instid0(SALU_CYCLE_1)
	s_mov_b32 s4, exec_lo
	s_waitcnt lgkmcnt(0)
	s_barrier
	buffer_gl0_inv
	v_cmpx_eq_u32_e32 4, v224
	s_cbranch_execz .LBB43_44
; %bb.38:
	ds_store_2addr_b64 v225, v[68:69], v[70:71] offset1:1
	ds_store_2addr_b64 v226, v[64:65], v[66:67] offset0:10 offset1:11
	ds_store_2addr_b64 v226, v[60:61], v[62:63] offset0:12 offset1:13
	ds_store_2addr_b64 v226, v[56:57], v[58:59] offset0:14 offset1:15
	ds_store_2addr_b64 v226, v[52:53], v[54:55] offset0:16 offset1:17
	ds_store_2addr_b64 v226, v[48:49], v[50:51] offset0:18 offset1:19
	ds_store_2addr_b64 v226, v[44:45], v[46:47] offset0:20 offset1:21
	ds_store_2addr_b64 v226, v[40:41], v[42:43] offset0:22 offset1:23
	ds_store_2addr_b64 v226, v[36:37], v[38:39] offset0:24 offset1:25
	ds_store_2addr_b64 v226, v[32:33], v[34:35] offset0:26 offset1:27
	ds_store_2addr_b64 v226, v[28:29], v[30:31] offset0:28 offset1:29
	ds_store_2addr_b64 v226, v[24:25], v[26:27] offset0:30 offset1:31
	ds_store_2addr_b64 v226, v[20:21], v[22:23] offset0:32 offset1:33
	ds_store_2addr_b64 v226, v[16:17], v[18:19] offset0:34 offset1:35
	ds_store_2addr_b64 v226, v[12:13], v[14:15] offset0:36 offset1:37
	ds_store_2addr_b64 v226, v[8:9], v[10:11] offset0:38 offset1:39
	ds_store_2addr_b64 v226, v[4:5], v[6:7] offset0:40 offset1:41
	ds_store_2addr_b64 v226, v[0:1], v[2:3] offset0:42 offset1:43
	ds_load_2addr_b64 v[104:107], v225 offset1:1
	s_waitcnt lgkmcnt(0)
	v_cmp_neq_f64_e32 vcc_lo, 0, v[104:105]
	v_cmp_neq_f64_e64 s3, 0, v[106:107]
	s_delay_alu instid0(VALU_DEP_1) | instskip(NEXT) | instid1(SALU_CYCLE_1)
	s_or_b32 s3, vcc_lo, s3
	s_and_b32 exec_lo, exec_lo, s3
	s_cbranch_execz .LBB43_44
; %bb.39:
	v_cmp_gt_f64_e32 vcc_lo, 0, v[104:105]
	v_cmp_gt_f64_e64 s3, 0, v[106:107]
	v_xor_b32_e32 v108, 0x80000000, v105
	v_xor_b32_e32 v110, 0x80000000, v107
                                        ; implicit-def: $vgpr112_vgpr113
	s_delay_alu instid0(VALU_DEP_2) | instskip(NEXT) | instid1(VALU_DEP_2)
	v_cndmask_b32_e32 v109, v105, v108, vcc_lo
	v_cndmask_b32_e64 v111, v107, v110, s3
	v_cndmask_b32_e32 v108, v104, v104, vcc_lo
	v_cndmask_b32_e64 v110, v106, v106, s3
	s_mov_b32 s3, exec_lo
	s_delay_alu instid0(VALU_DEP_1)
	v_cmpx_ngt_f64_e32 v[108:109], v[110:111]
	s_xor_b32 s3, exec_lo, s3
                                        ; implicit-def: $vgpr108_vgpr109_vgpr110_vgpr111
	s_cbranch_execz .LBB43_41
; %bb.40:
	v_div_scale_f64 v[108:109], null, v[106:107], v[106:107], v[104:105]
	v_div_scale_f64 v[114:115], vcc_lo, v[104:105], v[106:107], v[104:105]
	s_delay_alu instid0(VALU_DEP_2) | instskip(SKIP_2) | instid1(VALU_DEP_1)
	v_rcp_f64_e32 v[110:111], v[108:109]
	s_waitcnt_depctr 0xfff
	v_fma_f64 v[112:113], -v[108:109], v[110:111], 1.0
	v_fma_f64 v[110:111], v[110:111], v[112:113], v[110:111]
	s_delay_alu instid0(VALU_DEP_1) | instskip(NEXT) | instid1(VALU_DEP_1)
	v_fma_f64 v[112:113], -v[108:109], v[110:111], 1.0
	v_fma_f64 v[110:111], v[110:111], v[112:113], v[110:111]
	s_delay_alu instid0(VALU_DEP_1) | instskip(NEXT) | instid1(VALU_DEP_1)
	v_mul_f64 v[112:113], v[114:115], v[110:111]
	v_fma_f64 v[108:109], -v[108:109], v[112:113], v[114:115]
	s_delay_alu instid0(VALU_DEP_1) | instskip(NEXT) | instid1(VALU_DEP_1)
	v_div_fmas_f64 v[108:109], v[108:109], v[110:111], v[112:113]
	v_div_fixup_f64 v[108:109], v[108:109], v[106:107], v[104:105]
	s_delay_alu instid0(VALU_DEP_1) | instskip(NEXT) | instid1(VALU_DEP_1)
	v_fma_f64 v[104:105], v[104:105], v[108:109], v[106:107]
	v_div_scale_f64 v[106:107], null, v[104:105], v[104:105], 1.0
	s_delay_alu instid0(VALU_DEP_1) | instskip(SKIP_2) | instid1(VALU_DEP_1)
	v_rcp_f64_e32 v[110:111], v[106:107]
	s_waitcnt_depctr 0xfff
	v_fma_f64 v[112:113], -v[106:107], v[110:111], 1.0
	v_fma_f64 v[110:111], v[110:111], v[112:113], v[110:111]
	s_delay_alu instid0(VALU_DEP_1) | instskip(NEXT) | instid1(VALU_DEP_1)
	v_fma_f64 v[112:113], -v[106:107], v[110:111], 1.0
	v_fma_f64 v[110:111], v[110:111], v[112:113], v[110:111]
	v_div_scale_f64 v[112:113], vcc_lo, 1.0, v[104:105], 1.0
	s_delay_alu instid0(VALU_DEP_1) | instskip(NEXT) | instid1(VALU_DEP_1)
	v_mul_f64 v[114:115], v[112:113], v[110:111]
	v_fma_f64 v[106:107], -v[106:107], v[114:115], v[112:113]
	s_delay_alu instid0(VALU_DEP_1) | instskip(NEXT) | instid1(VALU_DEP_1)
	v_div_fmas_f64 v[106:107], v[106:107], v[110:111], v[114:115]
	v_div_fixup_f64 v[110:111], v[106:107], v[104:105], 1.0
                                        ; implicit-def: $vgpr104_vgpr105
	s_delay_alu instid0(VALU_DEP_1)
	v_mul_f64 v[112:113], v[108:109], v[110:111]
	v_xor_b32_e32 v111, 0x80000000, v111
.LBB43_41:
	s_and_not1_saveexec_b32 s3, s3
	s_cbranch_execz .LBB43_43
; %bb.42:
	v_div_scale_f64 v[108:109], null, v[104:105], v[104:105], v[106:107]
	v_div_scale_f64 v[114:115], vcc_lo, v[106:107], v[104:105], v[106:107]
	s_delay_alu instid0(VALU_DEP_2) | instskip(SKIP_2) | instid1(VALU_DEP_1)
	v_rcp_f64_e32 v[110:111], v[108:109]
	s_waitcnt_depctr 0xfff
	v_fma_f64 v[112:113], -v[108:109], v[110:111], 1.0
	v_fma_f64 v[110:111], v[110:111], v[112:113], v[110:111]
	s_delay_alu instid0(VALU_DEP_1) | instskip(NEXT) | instid1(VALU_DEP_1)
	v_fma_f64 v[112:113], -v[108:109], v[110:111], 1.0
	v_fma_f64 v[110:111], v[110:111], v[112:113], v[110:111]
	s_delay_alu instid0(VALU_DEP_1) | instskip(NEXT) | instid1(VALU_DEP_1)
	v_mul_f64 v[112:113], v[114:115], v[110:111]
	v_fma_f64 v[108:109], -v[108:109], v[112:113], v[114:115]
	s_delay_alu instid0(VALU_DEP_1) | instskip(NEXT) | instid1(VALU_DEP_1)
	v_div_fmas_f64 v[108:109], v[108:109], v[110:111], v[112:113]
	v_div_fixup_f64 v[108:109], v[108:109], v[104:105], v[106:107]
	s_delay_alu instid0(VALU_DEP_1) | instskip(NEXT) | instid1(VALU_DEP_1)
	v_fma_f64 v[104:105], v[106:107], v[108:109], v[104:105]
	v_div_scale_f64 v[106:107], null, v[104:105], v[104:105], 1.0
	s_delay_alu instid0(VALU_DEP_1) | instskip(SKIP_2) | instid1(VALU_DEP_1)
	v_rcp_f64_e32 v[110:111], v[106:107]
	s_waitcnt_depctr 0xfff
	v_fma_f64 v[112:113], -v[106:107], v[110:111], 1.0
	v_fma_f64 v[110:111], v[110:111], v[112:113], v[110:111]
	s_delay_alu instid0(VALU_DEP_1) | instskip(NEXT) | instid1(VALU_DEP_1)
	v_fma_f64 v[112:113], -v[106:107], v[110:111], 1.0
	v_fma_f64 v[110:111], v[110:111], v[112:113], v[110:111]
	v_div_scale_f64 v[112:113], vcc_lo, 1.0, v[104:105], 1.0
	s_delay_alu instid0(VALU_DEP_1) | instskip(NEXT) | instid1(VALU_DEP_1)
	v_mul_f64 v[114:115], v[112:113], v[110:111]
	v_fma_f64 v[106:107], -v[106:107], v[114:115], v[112:113]
	s_delay_alu instid0(VALU_DEP_1) | instskip(NEXT) | instid1(VALU_DEP_1)
	v_div_fmas_f64 v[106:107], v[106:107], v[110:111], v[114:115]
	v_div_fixup_f64 v[112:113], v[106:107], v[104:105], 1.0
	s_delay_alu instid0(VALU_DEP_1)
	v_mul_f64 v[110:111], v[108:109], -v[112:113]
.LBB43_43:
	s_or_b32 exec_lo, exec_lo, s3
	ds_store_2addr_b64 v225, v[112:113], v[110:111] offset1:1
.LBB43_44:
	s_or_b32 exec_lo, exec_lo, s4
	s_waitcnt lgkmcnt(0)
	s_barrier
	buffer_gl0_inv
	ds_load_2addr_b64 v[104:107], v225 offset1:1
	s_mov_b32 s3, exec_lo
	v_cmpx_lt_u32_e32 4, v224
	s_cbranch_execz .LBB43_46
; %bb.45:
	s_waitcnt lgkmcnt(0)
	v_mul_f64 v[108:109], v[106:107], v[70:71]
	v_mul_f64 v[70:71], v[104:105], v[70:71]
	ds_load_2addr_b64 v[110:113], v226 offset0:10 offset1:11
	ds_load_2addr_b64 v[114:117], v226 offset0:12 offset1:13
	v_fma_f64 v[108:109], v[104:105], v[68:69], -v[108:109]
	v_fma_f64 v[70:71], v[106:107], v[68:69], v[70:71]
	s_waitcnt lgkmcnt(1)
	s_delay_alu instid0(VALU_DEP_1) | instskip(NEXT) | instid1(VALU_DEP_1)
	v_mul_f64 v[68:69], v[112:113], v[70:71]
	v_fma_f64 v[68:69], v[110:111], v[108:109], -v[68:69]
	v_mul_f64 v[110:111], v[110:111], v[70:71]
	s_delay_alu instid0(VALU_DEP_2) | instskip(NEXT) | instid1(VALU_DEP_2)
	v_add_f64 v[64:65], v[64:65], -v[68:69]
	v_fma_f64 v[118:119], v[112:113], v[108:109], v[110:111]
	s_waitcnt lgkmcnt(0)
	v_mul_f64 v[110:111], v[116:117], v[70:71]
	v_dual_mov_b32 v68, v108 :: v_dual_mov_b32 v69, v109
	s_delay_alu instid0(VALU_DEP_3) | instskip(NEXT) | instid1(VALU_DEP_3)
	v_add_f64 v[66:67], v[66:67], -v[118:119]
	v_fma_f64 v[120:121], v[114:115], v[108:109], -v[110:111]
	v_mul_f64 v[110:111], v[114:115], v[70:71]
	s_delay_alu instid0(VALU_DEP_2) | instskip(NEXT) | instid1(VALU_DEP_2)
	v_add_f64 v[60:61], v[60:61], -v[120:121]
	v_fma_f64 v[122:123], v[116:117], v[108:109], v[110:111]
	ds_load_2addr_b64 v[110:113], v226 offset0:14 offset1:15
	ds_load_2addr_b64 v[114:117], v226 offset0:16 offset1:17
	s_waitcnt lgkmcnt(1)
	v_mul_f64 v[124:125], v[112:113], v[70:71]
	v_add_f64 v[62:63], v[62:63], -v[122:123]
	s_delay_alu instid0(VALU_DEP_2) | instskip(SKIP_1) | instid1(VALU_DEP_2)
	v_fma_f64 v[124:125], v[110:111], v[108:109], -v[124:125]
	v_mul_f64 v[110:111], v[110:111], v[70:71]
	v_add_f64 v[56:57], v[56:57], -v[124:125]
	s_delay_alu instid0(VALU_DEP_2) | instskip(SKIP_2) | instid1(VALU_DEP_2)
	v_fma_f64 v[126:127], v[112:113], v[108:109], v[110:111]
	s_waitcnt lgkmcnt(0)
	v_mul_f64 v[110:111], v[116:117], v[70:71]
	v_add_f64 v[58:59], v[58:59], -v[126:127]
	s_delay_alu instid0(VALU_DEP_2) | instskip(SKIP_1) | instid1(VALU_DEP_2)
	v_fma_f64 v[128:129], v[114:115], v[108:109], -v[110:111]
	v_mul_f64 v[110:111], v[114:115], v[70:71]
	v_add_f64 v[52:53], v[52:53], -v[128:129]
	s_delay_alu instid0(VALU_DEP_2)
	v_fma_f64 v[130:131], v[116:117], v[108:109], v[110:111]
	ds_load_2addr_b64 v[110:113], v226 offset0:18 offset1:19
	ds_load_2addr_b64 v[114:117], v226 offset0:20 offset1:21
	s_waitcnt lgkmcnt(1)
	v_mul_f64 v[132:133], v[112:113], v[70:71]
	v_add_f64 v[54:55], v[54:55], -v[130:131]
	s_delay_alu instid0(VALU_DEP_2) | instskip(SKIP_1) | instid1(VALU_DEP_2)
	v_fma_f64 v[132:133], v[110:111], v[108:109], -v[132:133]
	v_mul_f64 v[110:111], v[110:111], v[70:71]
	v_add_f64 v[48:49], v[48:49], -v[132:133]
	s_delay_alu instid0(VALU_DEP_2) | instskip(SKIP_2) | instid1(VALU_DEP_2)
	v_fma_f64 v[134:135], v[112:113], v[108:109], v[110:111]
	s_waitcnt lgkmcnt(0)
	v_mul_f64 v[110:111], v[116:117], v[70:71]
	v_add_f64 v[50:51], v[50:51], -v[134:135]
	s_delay_alu instid0(VALU_DEP_2) | instskip(SKIP_1) | instid1(VALU_DEP_2)
	v_fma_f64 v[136:137], v[114:115], v[108:109], -v[110:111]
	v_mul_f64 v[110:111], v[114:115], v[70:71]
	v_add_f64 v[44:45], v[44:45], -v[136:137]
	s_delay_alu instid0(VALU_DEP_2)
	;; [unrolled: 20-line block ×6, first 2 shown]
	v_fma_f64 v[170:171], v[116:117], v[108:109], v[110:111]
	ds_load_2addr_b64 v[110:113], v226 offset0:38 offset1:39
	ds_load_2addr_b64 v[114:117], v226 offset0:40 offset1:41
	s_waitcnt lgkmcnt(1)
	v_mul_f64 v[172:173], v[112:113], v[70:71]
	v_add_f64 v[14:15], v[14:15], -v[170:171]
	s_delay_alu instid0(VALU_DEP_2) | instskip(SKIP_1) | instid1(VALU_DEP_2)
	v_fma_f64 v[172:173], v[110:111], v[108:109], -v[172:173]
	v_mul_f64 v[110:111], v[110:111], v[70:71]
	v_add_f64 v[8:9], v[8:9], -v[172:173]
	s_delay_alu instid0(VALU_DEP_2) | instskip(SKIP_2) | instid1(VALU_DEP_2)
	v_fma_f64 v[174:175], v[112:113], v[108:109], v[110:111]
	s_waitcnt lgkmcnt(0)
	v_mul_f64 v[110:111], v[116:117], v[70:71]
	v_add_f64 v[10:11], v[10:11], -v[174:175]
	s_delay_alu instid0(VALU_DEP_2) | instskip(SKIP_1) | instid1(VALU_DEP_2)
	v_fma_f64 v[222:223], v[114:115], v[108:109], -v[110:111]
	v_mul_f64 v[110:111], v[114:115], v[70:71]
	v_add_f64 v[4:5], v[4:5], -v[222:223]
	s_delay_alu instid0(VALU_DEP_2) | instskip(SKIP_4) | instid1(VALU_DEP_2)
	v_fma_f64 v[114:115], v[116:117], v[108:109], v[110:111]
	ds_load_2addr_b64 v[110:113], v226 offset0:42 offset1:43
	s_waitcnt lgkmcnt(0)
	v_mul_f64 v[116:117], v[112:113], v[70:71]
	v_add_f64 v[6:7], v[6:7], -v[114:115]
	v_fma_f64 v[116:117], v[110:111], v[108:109], -v[116:117]
	v_mul_f64 v[110:111], v[110:111], v[70:71]
	s_delay_alu instid0(VALU_DEP_2) | instskip(NEXT) | instid1(VALU_DEP_2)
	v_add_f64 v[0:1], v[0:1], -v[116:117]
	v_fma_f64 v[110:111], v[112:113], v[108:109], v[110:111]
	s_delay_alu instid0(VALU_DEP_1)
	v_add_f64 v[2:3], v[2:3], -v[110:111]
.LBB43_46:
	s_or_b32 exec_lo, exec_lo, s3
	s_delay_alu instid0(SALU_CYCLE_1)
	s_mov_b32 s4, exec_lo
	s_waitcnt lgkmcnt(0)
	s_barrier
	buffer_gl0_inv
	v_cmpx_eq_u32_e32 5, v224
	s_cbranch_execz .LBB43_53
; %bb.47:
	ds_store_2addr_b64 v225, v[64:65], v[66:67] offset1:1
	ds_store_2addr_b64 v226, v[60:61], v[62:63] offset0:12 offset1:13
	ds_store_2addr_b64 v226, v[56:57], v[58:59] offset0:14 offset1:15
	;; [unrolled: 1-line block ×16, first 2 shown]
	ds_load_2addr_b64 v[108:111], v225 offset1:1
	s_waitcnt lgkmcnt(0)
	v_cmp_neq_f64_e32 vcc_lo, 0, v[108:109]
	v_cmp_neq_f64_e64 s3, 0, v[110:111]
	s_delay_alu instid0(VALU_DEP_1) | instskip(NEXT) | instid1(SALU_CYCLE_1)
	s_or_b32 s3, vcc_lo, s3
	s_and_b32 exec_lo, exec_lo, s3
	s_cbranch_execz .LBB43_53
; %bb.48:
	v_cmp_gt_f64_e32 vcc_lo, 0, v[108:109]
	v_cmp_gt_f64_e64 s3, 0, v[110:111]
	v_xor_b32_e32 v112, 0x80000000, v109
	v_xor_b32_e32 v114, 0x80000000, v111
                                        ; implicit-def: $vgpr116_vgpr117
	s_delay_alu instid0(VALU_DEP_2) | instskip(NEXT) | instid1(VALU_DEP_2)
	v_cndmask_b32_e32 v113, v109, v112, vcc_lo
	v_cndmask_b32_e64 v115, v111, v114, s3
	v_cndmask_b32_e32 v112, v108, v108, vcc_lo
	v_cndmask_b32_e64 v114, v110, v110, s3
	s_mov_b32 s3, exec_lo
	s_delay_alu instid0(VALU_DEP_1)
	v_cmpx_ngt_f64_e32 v[112:113], v[114:115]
	s_xor_b32 s3, exec_lo, s3
                                        ; implicit-def: $vgpr112_vgpr113_vgpr114_vgpr115
	s_cbranch_execz .LBB43_50
; %bb.49:
	v_div_scale_f64 v[112:113], null, v[110:111], v[110:111], v[108:109]
	v_div_scale_f64 v[118:119], vcc_lo, v[108:109], v[110:111], v[108:109]
	s_delay_alu instid0(VALU_DEP_2) | instskip(SKIP_2) | instid1(VALU_DEP_1)
	v_rcp_f64_e32 v[114:115], v[112:113]
	s_waitcnt_depctr 0xfff
	v_fma_f64 v[116:117], -v[112:113], v[114:115], 1.0
	v_fma_f64 v[114:115], v[114:115], v[116:117], v[114:115]
	s_delay_alu instid0(VALU_DEP_1) | instskip(NEXT) | instid1(VALU_DEP_1)
	v_fma_f64 v[116:117], -v[112:113], v[114:115], 1.0
	v_fma_f64 v[114:115], v[114:115], v[116:117], v[114:115]
	s_delay_alu instid0(VALU_DEP_1) | instskip(NEXT) | instid1(VALU_DEP_1)
	v_mul_f64 v[116:117], v[118:119], v[114:115]
	v_fma_f64 v[112:113], -v[112:113], v[116:117], v[118:119]
	s_delay_alu instid0(VALU_DEP_1) | instskip(NEXT) | instid1(VALU_DEP_1)
	v_div_fmas_f64 v[112:113], v[112:113], v[114:115], v[116:117]
	v_div_fixup_f64 v[112:113], v[112:113], v[110:111], v[108:109]
	s_delay_alu instid0(VALU_DEP_1) | instskip(NEXT) | instid1(VALU_DEP_1)
	v_fma_f64 v[108:109], v[108:109], v[112:113], v[110:111]
	v_div_scale_f64 v[110:111], null, v[108:109], v[108:109], 1.0
	s_delay_alu instid0(VALU_DEP_1) | instskip(SKIP_2) | instid1(VALU_DEP_1)
	v_rcp_f64_e32 v[114:115], v[110:111]
	s_waitcnt_depctr 0xfff
	v_fma_f64 v[116:117], -v[110:111], v[114:115], 1.0
	v_fma_f64 v[114:115], v[114:115], v[116:117], v[114:115]
	s_delay_alu instid0(VALU_DEP_1) | instskip(NEXT) | instid1(VALU_DEP_1)
	v_fma_f64 v[116:117], -v[110:111], v[114:115], 1.0
	v_fma_f64 v[114:115], v[114:115], v[116:117], v[114:115]
	v_div_scale_f64 v[116:117], vcc_lo, 1.0, v[108:109], 1.0
	s_delay_alu instid0(VALU_DEP_1) | instskip(NEXT) | instid1(VALU_DEP_1)
	v_mul_f64 v[118:119], v[116:117], v[114:115]
	v_fma_f64 v[110:111], -v[110:111], v[118:119], v[116:117]
	s_delay_alu instid0(VALU_DEP_1) | instskip(NEXT) | instid1(VALU_DEP_1)
	v_div_fmas_f64 v[110:111], v[110:111], v[114:115], v[118:119]
	v_div_fixup_f64 v[114:115], v[110:111], v[108:109], 1.0
                                        ; implicit-def: $vgpr108_vgpr109
	s_delay_alu instid0(VALU_DEP_1)
	v_mul_f64 v[116:117], v[112:113], v[114:115]
	v_xor_b32_e32 v115, 0x80000000, v115
.LBB43_50:
	s_and_not1_saveexec_b32 s3, s3
	s_cbranch_execz .LBB43_52
; %bb.51:
	v_div_scale_f64 v[112:113], null, v[108:109], v[108:109], v[110:111]
	v_div_scale_f64 v[118:119], vcc_lo, v[110:111], v[108:109], v[110:111]
	s_delay_alu instid0(VALU_DEP_2) | instskip(SKIP_2) | instid1(VALU_DEP_1)
	v_rcp_f64_e32 v[114:115], v[112:113]
	s_waitcnt_depctr 0xfff
	v_fma_f64 v[116:117], -v[112:113], v[114:115], 1.0
	v_fma_f64 v[114:115], v[114:115], v[116:117], v[114:115]
	s_delay_alu instid0(VALU_DEP_1) | instskip(NEXT) | instid1(VALU_DEP_1)
	v_fma_f64 v[116:117], -v[112:113], v[114:115], 1.0
	v_fma_f64 v[114:115], v[114:115], v[116:117], v[114:115]
	s_delay_alu instid0(VALU_DEP_1) | instskip(NEXT) | instid1(VALU_DEP_1)
	v_mul_f64 v[116:117], v[118:119], v[114:115]
	v_fma_f64 v[112:113], -v[112:113], v[116:117], v[118:119]
	s_delay_alu instid0(VALU_DEP_1) | instskip(NEXT) | instid1(VALU_DEP_1)
	v_div_fmas_f64 v[112:113], v[112:113], v[114:115], v[116:117]
	v_div_fixup_f64 v[112:113], v[112:113], v[108:109], v[110:111]
	s_delay_alu instid0(VALU_DEP_1) | instskip(NEXT) | instid1(VALU_DEP_1)
	v_fma_f64 v[108:109], v[110:111], v[112:113], v[108:109]
	v_div_scale_f64 v[110:111], null, v[108:109], v[108:109], 1.0
	s_delay_alu instid0(VALU_DEP_1) | instskip(SKIP_2) | instid1(VALU_DEP_1)
	v_rcp_f64_e32 v[114:115], v[110:111]
	s_waitcnt_depctr 0xfff
	v_fma_f64 v[116:117], -v[110:111], v[114:115], 1.0
	v_fma_f64 v[114:115], v[114:115], v[116:117], v[114:115]
	s_delay_alu instid0(VALU_DEP_1) | instskip(NEXT) | instid1(VALU_DEP_1)
	v_fma_f64 v[116:117], -v[110:111], v[114:115], 1.0
	v_fma_f64 v[114:115], v[114:115], v[116:117], v[114:115]
	v_div_scale_f64 v[116:117], vcc_lo, 1.0, v[108:109], 1.0
	s_delay_alu instid0(VALU_DEP_1) | instskip(NEXT) | instid1(VALU_DEP_1)
	v_mul_f64 v[118:119], v[116:117], v[114:115]
	v_fma_f64 v[110:111], -v[110:111], v[118:119], v[116:117]
	s_delay_alu instid0(VALU_DEP_1) | instskip(NEXT) | instid1(VALU_DEP_1)
	v_div_fmas_f64 v[110:111], v[110:111], v[114:115], v[118:119]
	v_div_fixup_f64 v[116:117], v[110:111], v[108:109], 1.0
	s_delay_alu instid0(VALU_DEP_1)
	v_mul_f64 v[114:115], v[112:113], -v[116:117]
.LBB43_52:
	s_or_b32 exec_lo, exec_lo, s3
	ds_store_2addr_b64 v225, v[116:117], v[114:115] offset1:1
.LBB43_53:
	s_or_b32 exec_lo, exec_lo, s4
	s_waitcnt lgkmcnt(0)
	s_barrier
	buffer_gl0_inv
	ds_load_2addr_b64 v[108:111], v225 offset1:1
	s_mov_b32 s3, exec_lo
	v_cmpx_lt_u32_e32 5, v224
	s_cbranch_execz .LBB43_55
; %bb.54:
	s_waitcnt lgkmcnt(0)
	v_mul_f64 v[112:113], v[108:109], v[66:67]
	v_mul_f64 v[66:67], v[110:111], v[66:67]
	ds_load_2addr_b64 v[114:117], v226 offset0:12 offset1:13
	ds_load_2addr_b64 v[118:121], v226 offset0:14 offset1:15
	v_fma_f64 v[112:113], v[110:111], v[64:65], v[112:113]
	v_fma_f64 v[64:65], v[108:109], v[64:65], -v[66:67]
	s_waitcnt lgkmcnt(1)
	s_delay_alu instid0(VALU_DEP_2) | instskip(NEXT) | instid1(VALU_DEP_1)
	v_mul_f64 v[66:67], v[116:117], v[112:113]
	v_fma_f64 v[66:67], v[114:115], v[64:65], -v[66:67]
	v_mul_f64 v[114:115], v[114:115], v[112:113]
	s_delay_alu instid0(VALU_DEP_2) | instskip(NEXT) | instid1(VALU_DEP_2)
	v_add_f64 v[60:61], v[60:61], -v[66:67]
	v_fma_f64 v[122:123], v[116:117], v[64:65], v[114:115]
	s_waitcnt lgkmcnt(0)
	v_mul_f64 v[114:115], v[120:121], v[112:113]
	v_dual_mov_b32 v66, v112 :: v_dual_mov_b32 v67, v113
	s_delay_alu instid0(VALU_DEP_3) | instskip(NEXT) | instid1(VALU_DEP_3)
	v_add_f64 v[62:63], v[62:63], -v[122:123]
	v_fma_f64 v[124:125], v[118:119], v[64:65], -v[114:115]
	v_mul_f64 v[114:115], v[118:119], v[112:113]
	s_delay_alu instid0(VALU_DEP_2) | instskip(NEXT) | instid1(VALU_DEP_2)
	v_add_f64 v[56:57], v[56:57], -v[124:125]
	v_fma_f64 v[126:127], v[120:121], v[64:65], v[114:115]
	ds_load_2addr_b64 v[114:117], v226 offset0:16 offset1:17
	ds_load_2addr_b64 v[118:121], v226 offset0:18 offset1:19
	s_waitcnt lgkmcnt(1)
	v_mul_f64 v[128:129], v[116:117], v[112:113]
	v_add_f64 v[58:59], v[58:59], -v[126:127]
	s_delay_alu instid0(VALU_DEP_2) | instskip(SKIP_1) | instid1(VALU_DEP_2)
	v_fma_f64 v[128:129], v[114:115], v[64:65], -v[128:129]
	v_mul_f64 v[114:115], v[114:115], v[112:113]
	v_add_f64 v[52:53], v[52:53], -v[128:129]
	s_delay_alu instid0(VALU_DEP_2) | instskip(SKIP_2) | instid1(VALU_DEP_2)
	v_fma_f64 v[130:131], v[116:117], v[64:65], v[114:115]
	s_waitcnt lgkmcnt(0)
	v_mul_f64 v[114:115], v[120:121], v[112:113]
	v_add_f64 v[54:55], v[54:55], -v[130:131]
	s_delay_alu instid0(VALU_DEP_2) | instskip(SKIP_1) | instid1(VALU_DEP_2)
	v_fma_f64 v[132:133], v[118:119], v[64:65], -v[114:115]
	v_mul_f64 v[114:115], v[118:119], v[112:113]
	v_add_f64 v[48:49], v[48:49], -v[132:133]
	s_delay_alu instid0(VALU_DEP_2)
	v_fma_f64 v[134:135], v[120:121], v[64:65], v[114:115]
	ds_load_2addr_b64 v[114:117], v226 offset0:20 offset1:21
	ds_load_2addr_b64 v[118:121], v226 offset0:22 offset1:23
	s_waitcnt lgkmcnt(1)
	v_mul_f64 v[136:137], v[116:117], v[112:113]
	v_add_f64 v[50:51], v[50:51], -v[134:135]
	s_delay_alu instid0(VALU_DEP_2) | instskip(SKIP_1) | instid1(VALU_DEP_2)
	v_fma_f64 v[136:137], v[114:115], v[64:65], -v[136:137]
	v_mul_f64 v[114:115], v[114:115], v[112:113]
	v_add_f64 v[44:45], v[44:45], -v[136:137]
	s_delay_alu instid0(VALU_DEP_2) | instskip(SKIP_2) | instid1(VALU_DEP_2)
	v_fma_f64 v[138:139], v[116:117], v[64:65], v[114:115]
	s_waitcnt lgkmcnt(0)
	v_mul_f64 v[114:115], v[120:121], v[112:113]
	v_add_f64 v[46:47], v[46:47], -v[138:139]
	s_delay_alu instid0(VALU_DEP_2) | instskip(SKIP_1) | instid1(VALU_DEP_2)
	v_fma_f64 v[140:141], v[118:119], v[64:65], -v[114:115]
	v_mul_f64 v[114:115], v[118:119], v[112:113]
	v_add_f64 v[40:41], v[40:41], -v[140:141]
	s_delay_alu instid0(VALU_DEP_2)
	;; [unrolled: 20-line block ×6, first 2 shown]
	v_fma_f64 v[174:175], v[120:121], v[64:65], v[114:115]
	ds_load_2addr_b64 v[114:117], v226 offset0:40 offset1:41
	ds_load_2addr_b64 v[118:121], v226 offset0:42 offset1:43
	s_waitcnt lgkmcnt(1)
	v_mul_f64 v[222:223], v[116:117], v[112:113]
	v_add_f64 v[10:11], v[10:11], -v[174:175]
	s_delay_alu instid0(VALU_DEP_2) | instskip(SKIP_1) | instid1(VALU_DEP_2)
	v_fma_f64 v[222:223], v[114:115], v[64:65], -v[222:223]
	v_mul_f64 v[114:115], v[114:115], v[112:113]
	v_add_f64 v[4:5], v[4:5], -v[222:223]
	s_delay_alu instid0(VALU_DEP_2) | instskip(SKIP_2) | instid1(VALU_DEP_2)
	v_fma_f64 v[114:115], v[116:117], v[64:65], v[114:115]
	s_waitcnt lgkmcnt(0)
	v_mul_f64 v[116:117], v[120:121], v[112:113]
	v_add_f64 v[6:7], v[6:7], -v[114:115]
	s_delay_alu instid0(VALU_DEP_2) | instskip(SKIP_1) | instid1(VALU_DEP_2)
	v_fma_f64 v[116:117], v[118:119], v[64:65], -v[116:117]
	v_mul_f64 v[118:119], v[118:119], v[112:113]
	v_add_f64 v[0:1], v[0:1], -v[116:117]
	s_delay_alu instid0(VALU_DEP_2) | instskip(NEXT) | instid1(VALU_DEP_1)
	v_fma_f64 v[118:119], v[120:121], v[64:65], v[118:119]
	v_add_f64 v[2:3], v[2:3], -v[118:119]
.LBB43_55:
	s_or_b32 exec_lo, exec_lo, s3
	s_delay_alu instid0(SALU_CYCLE_1)
	s_mov_b32 s4, exec_lo
	s_waitcnt lgkmcnt(0)
	s_barrier
	buffer_gl0_inv
	v_cmpx_eq_u32_e32 6, v224
	s_cbranch_execz .LBB43_62
; %bb.56:
	ds_store_2addr_b64 v225, v[60:61], v[62:63] offset1:1
	ds_store_2addr_b64 v226, v[56:57], v[58:59] offset0:14 offset1:15
	ds_store_2addr_b64 v226, v[52:53], v[54:55] offset0:16 offset1:17
	;; [unrolled: 1-line block ×15, first 2 shown]
	ds_load_2addr_b64 v[112:115], v225 offset1:1
	s_waitcnt lgkmcnt(0)
	v_cmp_neq_f64_e32 vcc_lo, 0, v[112:113]
	v_cmp_neq_f64_e64 s3, 0, v[114:115]
	s_delay_alu instid0(VALU_DEP_1) | instskip(NEXT) | instid1(SALU_CYCLE_1)
	s_or_b32 s3, vcc_lo, s3
	s_and_b32 exec_lo, exec_lo, s3
	s_cbranch_execz .LBB43_62
; %bb.57:
	v_cmp_gt_f64_e32 vcc_lo, 0, v[112:113]
	v_cmp_gt_f64_e64 s3, 0, v[114:115]
	v_xor_b32_e32 v116, 0x80000000, v113
	v_xor_b32_e32 v118, 0x80000000, v115
                                        ; implicit-def: $vgpr120_vgpr121
	s_delay_alu instid0(VALU_DEP_2) | instskip(NEXT) | instid1(VALU_DEP_2)
	v_cndmask_b32_e32 v117, v113, v116, vcc_lo
	v_cndmask_b32_e64 v119, v115, v118, s3
	v_cndmask_b32_e32 v116, v112, v112, vcc_lo
	v_cndmask_b32_e64 v118, v114, v114, s3
	s_mov_b32 s3, exec_lo
	s_delay_alu instid0(VALU_DEP_1)
	v_cmpx_ngt_f64_e32 v[116:117], v[118:119]
	s_xor_b32 s3, exec_lo, s3
                                        ; implicit-def: $vgpr116_vgpr117_vgpr118_vgpr119
	s_cbranch_execz .LBB43_59
; %bb.58:
	v_div_scale_f64 v[116:117], null, v[114:115], v[114:115], v[112:113]
	v_div_scale_f64 v[122:123], vcc_lo, v[112:113], v[114:115], v[112:113]
	s_delay_alu instid0(VALU_DEP_2) | instskip(SKIP_2) | instid1(VALU_DEP_1)
	v_rcp_f64_e32 v[118:119], v[116:117]
	s_waitcnt_depctr 0xfff
	v_fma_f64 v[120:121], -v[116:117], v[118:119], 1.0
	v_fma_f64 v[118:119], v[118:119], v[120:121], v[118:119]
	s_delay_alu instid0(VALU_DEP_1) | instskip(NEXT) | instid1(VALU_DEP_1)
	v_fma_f64 v[120:121], -v[116:117], v[118:119], 1.0
	v_fma_f64 v[118:119], v[118:119], v[120:121], v[118:119]
	s_delay_alu instid0(VALU_DEP_1) | instskip(NEXT) | instid1(VALU_DEP_1)
	v_mul_f64 v[120:121], v[122:123], v[118:119]
	v_fma_f64 v[116:117], -v[116:117], v[120:121], v[122:123]
	s_delay_alu instid0(VALU_DEP_1) | instskip(NEXT) | instid1(VALU_DEP_1)
	v_div_fmas_f64 v[116:117], v[116:117], v[118:119], v[120:121]
	v_div_fixup_f64 v[116:117], v[116:117], v[114:115], v[112:113]
	s_delay_alu instid0(VALU_DEP_1) | instskip(NEXT) | instid1(VALU_DEP_1)
	v_fma_f64 v[112:113], v[112:113], v[116:117], v[114:115]
	v_div_scale_f64 v[114:115], null, v[112:113], v[112:113], 1.0
	s_delay_alu instid0(VALU_DEP_1) | instskip(SKIP_2) | instid1(VALU_DEP_1)
	v_rcp_f64_e32 v[118:119], v[114:115]
	s_waitcnt_depctr 0xfff
	v_fma_f64 v[120:121], -v[114:115], v[118:119], 1.0
	v_fma_f64 v[118:119], v[118:119], v[120:121], v[118:119]
	s_delay_alu instid0(VALU_DEP_1) | instskip(NEXT) | instid1(VALU_DEP_1)
	v_fma_f64 v[120:121], -v[114:115], v[118:119], 1.0
	v_fma_f64 v[118:119], v[118:119], v[120:121], v[118:119]
	v_div_scale_f64 v[120:121], vcc_lo, 1.0, v[112:113], 1.0
	s_delay_alu instid0(VALU_DEP_1) | instskip(NEXT) | instid1(VALU_DEP_1)
	v_mul_f64 v[122:123], v[120:121], v[118:119]
	v_fma_f64 v[114:115], -v[114:115], v[122:123], v[120:121]
	s_delay_alu instid0(VALU_DEP_1) | instskip(NEXT) | instid1(VALU_DEP_1)
	v_div_fmas_f64 v[114:115], v[114:115], v[118:119], v[122:123]
	v_div_fixup_f64 v[118:119], v[114:115], v[112:113], 1.0
                                        ; implicit-def: $vgpr112_vgpr113
	s_delay_alu instid0(VALU_DEP_1)
	v_mul_f64 v[120:121], v[116:117], v[118:119]
	v_xor_b32_e32 v119, 0x80000000, v119
.LBB43_59:
	s_and_not1_saveexec_b32 s3, s3
	s_cbranch_execz .LBB43_61
; %bb.60:
	v_div_scale_f64 v[116:117], null, v[112:113], v[112:113], v[114:115]
	v_div_scale_f64 v[122:123], vcc_lo, v[114:115], v[112:113], v[114:115]
	s_delay_alu instid0(VALU_DEP_2) | instskip(SKIP_2) | instid1(VALU_DEP_1)
	v_rcp_f64_e32 v[118:119], v[116:117]
	s_waitcnt_depctr 0xfff
	v_fma_f64 v[120:121], -v[116:117], v[118:119], 1.0
	v_fma_f64 v[118:119], v[118:119], v[120:121], v[118:119]
	s_delay_alu instid0(VALU_DEP_1) | instskip(NEXT) | instid1(VALU_DEP_1)
	v_fma_f64 v[120:121], -v[116:117], v[118:119], 1.0
	v_fma_f64 v[118:119], v[118:119], v[120:121], v[118:119]
	s_delay_alu instid0(VALU_DEP_1) | instskip(NEXT) | instid1(VALU_DEP_1)
	v_mul_f64 v[120:121], v[122:123], v[118:119]
	v_fma_f64 v[116:117], -v[116:117], v[120:121], v[122:123]
	s_delay_alu instid0(VALU_DEP_1) | instskip(NEXT) | instid1(VALU_DEP_1)
	v_div_fmas_f64 v[116:117], v[116:117], v[118:119], v[120:121]
	v_div_fixup_f64 v[116:117], v[116:117], v[112:113], v[114:115]
	s_delay_alu instid0(VALU_DEP_1) | instskip(NEXT) | instid1(VALU_DEP_1)
	v_fma_f64 v[112:113], v[114:115], v[116:117], v[112:113]
	v_div_scale_f64 v[114:115], null, v[112:113], v[112:113], 1.0
	s_delay_alu instid0(VALU_DEP_1) | instskip(SKIP_2) | instid1(VALU_DEP_1)
	v_rcp_f64_e32 v[118:119], v[114:115]
	s_waitcnt_depctr 0xfff
	v_fma_f64 v[120:121], -v[114:115], v[118:119], 1.0
	v_fma_f64 v[118:119], v[118:119], v[120:121], v[118:119]
	s_delay_alu instid0(VALU_DEP_1) | instskip(NEXT) | instid1(VALU_DEP_1)
	v_fma_f64 v[120:121], -v[114:115], v[118:119], 1.0
	v_fma_f64 v[118:119], v[118:119], v[120:121], v[118:119]
	v_div_scale_f64 v[120:121], vcc_lo, 1.0, v[112:113], 1.0
	s_delay_alu instid0(VALU_DEP_1) | instskip(NEXT) | instid1(VALU_DEP_1)
	v_mul_f64 v[122:123], v[120:121], v[118:119]
	v_fma_f64 v[114:115], -v[114:115], v[122:123], v[120:121]
	s_delay_alu instid0(VALU_DEP_1) | instskip(NEXT) | instid1(VALU_DEP_1)
	v_div_fmas_f64 v[114:115], v[114:115], v[118:119], v[122:123]
	v_div_fixup_f64 v[120:121], v[114:115], v[112:113], 1.0
	s_delay_alu instid0(VALU_DEP_1)
	v_mul_f64 v[118:119], v[116:117], -v[120:121]
.LBB43_61:
	s_or_b32 exec_lo, exec_lo, s3
	ds_store_2addr_b64 v225, v[120:121], v[118:119] offset1:1
.LBB43_62:
	s_or_b32 exec_lo, exec_lo, s4
	s_waitcnt lgkmcnt(0)
	s_barrier
	buffer_gl0_inv
	ds_load_2addr_b64 v[112:115], v225 offset1:1
	s_mov_b32 s3, exec_lo
	v_cmpx_lt_u32_e32 6, v224
	s_cbranch_execz .LBB43_64
; %bb.63:
	s_waitcnt lgkmcnt(0)
	v_mul_f64 v[116:117], v[112:113], v[62:63]
	v_mul_f64 v[62:63], v[114:115], v[62:63]
	s_delay_alu instid0(VALU_DEP_2)
	v_fma_f64 v[124:125], v[114:115], v[60:61], v[116:117]
	ds_load_2addr_b64 v[116:119], v226 offset0:14 offset1:15
	ds_load_2addr_b64 v[120:123], v226 offset0:16 offset1:17
	v_fma_f64 v[60:61], v[112:113], v[60:61], -v[62:63]
	s_waitcnt lgkmcnt(1)
	v_mul_f64 v[62:63], v[118:119], v[124:125]
	s_delay_alu instid0(VALU_DEP_1) | instskip(SKIP_1) | instid1(VALU_DEP_2)
	v_fma_f64 v[62:63], v[116:117], v[60:61], -v[62:63]
	v_mul_f64 v[116:117], v[116:117], v[124:125]
	v_add_f64 v[56:57], v[56:57], -v[62:63]
	s_delay_alu instid0(VALU_DEP_2) | instskip(SKIP_3) | instid1(VALU_DEP_3)
	v_fma_f64 v[126:127], v[118:119], v[60:61], v[116:117]
	s_waitcnt lgkmcnt(0)
	v_mul_f64 v[116:117], v[122:123], v[124:125]
	v_dual_mov_b32 v62, v124 :: v_dual_mov_b32 v63, v125
	v_add_f64 v[58:59], v[58:59], -v[126:127]
	s_delay_alu instid0(VALU_DEP_3) | instskip(SKIP_1) | instid1(VALU_DEP_2)
	v_fma_f64 v[128:129], v[120:121], v[60:61], -v[116:117]
	v_mul_f64 v[116:117], v[120:121], v[124:125]
	v_add_f64 v[52:53], v[52:53], -v[128:129]
	s_delay_alu instid0(VALU_DEP_2)
	v_fma_f64 v[130:131], v[122:123], v[60:61], v[116:117]
	ds_load_2addr_b64 v[116:119], v226 offset0:18 offset1:19
	ds_load_2addr_b64 v[120:123], v226 offset0:20 offset1:21
	s_waitcnt lgkmcnt(1)
	v_mul_f64 v[132:133], v[118:119], v[124:125]
	v_add_f64 v[54:55], v[54:55], -v[130:131]
	s_delay_alu instid0(VALU_DEP_2) | instskip(SKIP_1) | instid1(VALU_DEP_2)
	v_fma_f64 v[132:133], v[116:117], v[60:61], -v[132:133]
	v_mul_f64 v[116:117], v[116:117], v[124:125]
	v_add_f64 v[48:49], v[48:49], -v[132:133]
	s_delay_alu instid0(VALU_DEP_2) | instskip(SKIP_2) | instid1(VALU_DEP_2)
	v_fma_f64 v[134:135], v[118:119], v[60:61], v[116:117]
	s_waitcnt lgkmcnt(0)
	v_mul_f64 v[116:117], v[122:123], v[124:125]
	v_add_f64 v[50:51], v[50:51], -v[134:135]
	s_delay_alu instid0(VALU_DEP_2) | instskip(SKIP_1) | instid1(VALU_DEP_2)
	v_fma_f64 v[136:137], v[120:121], v[60:61], -v[116:117]
	v_mul_f64 v[116:117], v[120:121], v[124:125]
	v_add_f64 v[44:45], v[44:45], -v[136:137]
	s_delay_alu instid0(VALU_DEP_2)
	v_fma_f64 v[138:139], v[122:123], v[60:61], v[116:117]
	ds_load_2addr_b64 v[116:119], v226 offset0:22 offset1:23
	ds_load_2addr_b64 v[120:123], v226 offset0:24 offset1:25
	s_waitcnt lgkmcnt(1)
	v_mul_f64 v[140:141], v[118:119], v[124:125]
	v_add_f64 v[46:47], v[46:47], -v[138:139]
	s_delay_alu instid0(VALU_DEP_2) | instskip(SKIP_1) | instid1(VALU_DEP_2)
	v_fma_f64 v[140:141], v[116:117], v[60:61], -v[140:141]
	v_mul_f64 v[116:117], v[116:117], v[124:125]
	v_add_f64 v[40:41], v[40:41], -v[140:141]
	s_delay_alu instid0(VALU_DEP_2) | instskip(SKIP_2) | instid1(VALU_DEP_2)
	v_fma_f64 v[142:143], v[118:119], v[60:61], v[116:117]
	s_waitcnt lgkmcnt(0)
	v_mul_f64 v[116:117], v[122:123], v[124:125]
	v_add_f64 v[42:43], v[42:43], -v[142:143]
	s_delay_alu instid0(VALU_DEP_2) | instskip(SKIP_1) | instid1(VALU_DEP_2)
	;; [unrolled: 20-line block ×6, first 2 shown]
	v_fma_f64 v[222:223], v[120:121], v[60:61], -v[116:117]
	v_mul_f64 v[116:117], v[120:121], v[124:125]
	v_add_f64 v[4:5], v[4:5], -v[222:223]
	s_delay_alu instid0(VALU_DEP_2) | instskip(SKIP_4) | instid1(VALU_DEP_2)
	v_fma_f64 v[120:121], v[122:123], v[60:61], v[116:117]
	ds_load_2addr_b64 v[116:119], v226 offset0:42 offset1:43
	s_waitcnt lgkmcnt(0)
	v_mul_f64 v[122:123], v[118:119], v[124:125]
	v_add_f64 v[6:7], v[6:7], -v[120:121]
	v_fma_f64 v[122:123], v[116:117], v[60:61], -v[122:123]
	v_mul_f64 v[116:117], v[116:117], v[124:125]
	s_delay_alu instid0(VALU_DEP_2) | instskip(NEXT) | instid1(VALU_DEP_2)
	v_add_f64 v[0:1], v[0:1], -v[122:123]
	v_fma_f64 v[116:117], v[118:119], v[60:61], v[116:117]
	s_delay_alu instid0(VALU_DEP_1)
	v_add_f64 v[2:3], v[2:3], -v[116:117]
.LBB43_64:
	s_or_b32 exec_lo, exec_lo, s3
	s_delay_alu instid0(SALU_CYCLE_1)
	s_mov_b32 s4, exec_lo
	s_waitcnt lgkmcnt(0)
	s_barrier
	buffer_gl0_inv
	v_cmpx_eq_u32_e32 7, v224
	s_cbranch_execz .LBB43_71
; %bb.65:
	ds_store_2addr_b64 v225, v[56:57], v[58:59] offset1:1
	ds_store_2addr_b64 v226, v[52:53], v[54:55] offset0:16 offset1:17
	ds_store_2addr_b64 v226, v[48:49], v[50:51] offset0:18 offset1:19
	;; [unrolled: 1-line block ×14, first 2 shown]
	ds_load_2addr_b64 v[116:119], v225 offset1:1
	s_waitcnt lgkmcnt(0)
	v_cmp_neq_f64_e32 vcc_lo, 0, v[116:117]
	v_cmp_neq_f64_e64 s3, 0, v[118:119]
	s_delay_alu instid0(VALU_DEP_1) | instskip(NEXT) | instid1(SALU_CYCLE_1)
	s_or_b32 s3, vcc_lo, s3
	s_and_b32 exec_lo, exec_lo, s3
	s_cbranch_execz .LBB43_71
; %bb.66:
	v_cmp_gt_f64_e32 vcc_lo, 0, v[116:117]
	v_cmp_gt_f64_e64 s3, 0, v[118:119]
	v_xor_b32_e32 v120, 0x80000000, v117
	v_xor_b32_e32 v122, 0x80000000, v119
                                        ; implicit-def: $vgpr124_vgpr125
	s_delay_alu instid0(VALU_DEP_2) | instskip(NEXT) | instid1(VALU_DEP_2)
	v_cndmask_b32_e32 v121, v117, v120, vcc_lo
	v_cndmask_b32_e64 v123, v119, v122, s3
	v_cndmask_b32_e32 v120, v116, v116, vcc_lo
	v_cndmask_b32_e64 v122, v118, v118, s3
	s_mov_b32 s3, exec_lo
	s_delay_alu instid0(VALU_DEP_1)
	v_cmpx_ngt_f64_e32 v[120:121], v[122:123]
	s_xor_b32 s3, exec_lo, s3
                                        ; implicit-def: $vgpr120_vgpr121_vgpr122_vgpr123
	s_cbranch_execz .LBB43_68
; %bb.67:
	v_div_scale_f64 v[120:121], null, v[118:119], v[118:119], v[116:117]
	v_div_scale_f64 v[126:127], vcc_lo, v[116:117], v[118:119], v[116:117]
	s_delay_alu instid0(VALU_DEP_2) | instskip(SKIP_2) | instid1(VALU_DEP_1)
	v_rcp_f64_e32 v[122:123], v[120:121]
	s_waitcnt_depctr 0xfff
	v_fma_f64 v[124:125], -v[120:121], v[122:123], 1.0
	v_fma_f64 v[122:123], v[122:123], v[124:125], v[122:123]
	s_delay_alu instid0(VALU_DEP_1) | instskip(NEXT) | instid1(VALU_DEP_1)
	v_fma_f64 v[124:125], -v[120:121], v[122:123], 1.0
	v_fma_f64 v[122:123], v[122:123], v[124:125], v[122:123]
	s_delay_alu instid0(VALU_DEP_1) | instskip(NEXT) | instid1(VALU_DEP_1)
	v_mul_f64 v[124:125], v[126:127], v[122:123]
	v_fma_f64 v[120:121], -v[120:121], v[124:125], v[126:127]
	s_delay_alu instid0(VALU_DEP_1) | instskip(NEXT) | instid1(VALU_DEP_1)
	v_div_fmas_f64 v[120:121], v[120:121], v[122:123], v[124:125]
	v_div_fixup_f64 v[120:121], v[120:121], v[118:119], v[116:117]
	s_delay_alu instid0(VALU_DEP_1) | instskip(NEXT) | instid1(VALU_DEP_1)
	v_fma_f64 v[116:117], v[116:117], v[120:121], v[118:119]
	v_div_scale_f64 v[118:119], null, v[116:117], v[116:117], 1.0
	s_delay_alu instid0(VALU_DEP_1) | instskip(SKIP_2) | instid1(VALU_DEP_1)
	v_rcp_f64_e32 v[122:123], v[118:119]
	s_waitcnt_depctr 0xfff
	v_fma_f64 v[124:125], -v[118:119], v[122:123], 1.0
	v_fma_f64 v[122:123], v[122:123], v[124:125], v[122:123]
	s_delay_alu instid0(VALU_DEP_1) | instskip(NEXT) | instid1(VALU_DEP_1)
	v_fma_f64 v[124:125], -v[118:119], v[122:123], 1.0
	v_fma_f64 v[122:123], v[122:123], v[124:125], v[122:123]
	v_div_scale_f64 v[124:125], vcc_lo, 1.0, v[116:117], 1.0
	s_delay_alu instid0(VALU_DEP_1) | instskip(NEXT) | instid1(VALU_DEP_1)
	v_mul_f64 v[126:127], v[124:125], v[122:123]
	v_fma_f64 v[118:119], -v[118:119], v[126:127], v[124:125]
	s_delay_alu instid0(VALU_DEP_1) | instskip(NEXT) | instid1(VALU_DEP_1)
	v_div_fmas_f64 v[118:119], v[118:119], v[122:123], v[126:127]
	v_div_fixup_f64 v[122:123], v[118:119], v[116:117], 1.0
                                        ; implicit-def: $vgpr116_vgpr117
	s_delay_alu instid0(VALU_DEP_1)
	v_mul_f64 v[124:125], v[120:121], v[122:123]
	v_xor_b32_e32 v123, 0x80000000, v123
.LBB43_68:
	s_and_not1_saveexec_b32 s3, s3
	s_cbranch_execz .LBB43_70
; %bb.69:
	v_div_scale_f64 v[120:121], null, v[116:117], v[116:117], v[118:119]
	v_div_scale_f64 v[126:127], vcc_lo, v[118:119], v[116:117], v[118:119]
	s_delay_alu instid0(VALU_DEP_2) | instskip(SKIP_2) | instid1(VALU_DEP_1)
	v_rcp_f64_e32 v[122:123], v[120:121]
	s_waitcnt_depctr 0xfff
	v_fma_f64 v[124:125], -v[120:121], v[122:123], 1.0
	v_fma_f64 v[122:123], v[122:123], v[124:125], v[122:123]
	s_delay_alu instid0(VALU_DEP_1) | instskip(NEXT) | instid1(VALU_DEP_1)
	v_fma_f64 v[124:125], -v[120:121], v[122:123], 1.0
	v_fma_f64 v[122:123], v[122:123], v[124:125], v[122:123]
	s_delay_alu instid0(VALU_DEP_1) | instskip(NEXT) | instid1(VALU_DEP_1)
	v_mul_f64 v[124:125], v[126:127], v[122:123]
	v_fma_f64 v[120:121], -v[120:121], v[124:125], v[126:127]
	s_delay_alu instid0(VALU_DEP_1) | instskip(NEXT) | instid1(VALU_DEP_1)
	v_div_fmas_f64 v[120:121], v[120:121], v[122:123], v[124:125]
	v_div_fixup_f64 v[120:121], v[120:121], v[116:117], v[118:119]
	s_delay_alu instid0(VALU_DEP_1) | instskip(NEXT) | instid1(VALU_DEP_1)
	v_fma_f64 v[116:117], v[118:119], v[120:121], v[116:117]
	v_div_scale_f64 v[118:119], null, v[116:117], v[116:117], 1.0
	s_delay_alu instid0(VALU_DEP_1) | instskip(SKIP_2) | instid1(VALU_DEP_1)
	v_rcp_f64_e32 v[122:123], v[118:119]
	s_waitcnt_depctr 0xfff
	v_fma_f64 v[124:125], -v[118:119], v[122:123], 1.0
	v_fma_f64 v[122:123], v[122:123], v[124:125], v[122:123]
	s_delay_alu instid0(VALU_DEP_1) | instskip(NEXT) | instid1(VALU_DEP_1)
	v_fma_f64 v[124:125], -v[118:119], v[122:123], 1.0
	v_fma_f64 v[122:123], v[122:123], v[124:125], v[122:123]
	v_div_scale_f64 v[124:125], vcc_lo, 1.0, v[116:117], 1.0
	s_delay_alu instid0(VALU_DEP_1) | instskip(NEXT) | instid1(VALU_DEP_1)
	v_mul_f64 v[126:127], v[124:125], v[122:123]
	v_fma_f64 v[118:119], -v[118:119], v[126:127], v[124:125]
	s_delay_alu instid0(VALU_DEP_1) | instskip(NEXT) | instid1(VALU_DEP_1)
	v_div_fmas_f64 v[118:119], v[118:119], v[122:123], v[126:127]
	v_div_fixup_f64 v[124:125], v[118:119], v[116:117], 1.0
	s_delay_alu instid0(VALU_DEP_1)
	v_mul_f64 v[122:123], v[120:121], -v[124:125]
.LBB43_70:
	s_or_b32 exec_lo, exec_lo, s3
	ds_store_2addr_b64 v225, v[124:125], v[122:123] offset1:1
.LBB43_71:
	s_or_b32 exec_lo, exec_lo, s4
	s_waitcnt lgkmcnt(0)
	s_barrier
	buffer_gl0_inv
	ds_load_2addr_b64 v[116:119], v225 offset1:1
	s_mov_b32 s3, exec_lo
	v_cmpx_lt_u32_e32 7, v224
	s_cbranch_execz .LBB43_73
; %bb.72:
	s_waitcnt lgkmcnt(0)
	v_mul_f64 v[120:121], v[116:117], v[58:59]
	v_mul_f64 v[58:59], v[118:119], v[58:59]
	s_delay_alu instid0(VALU_DEP_2)
	v_fma_f64 v[128:129], v[118:119], v[56:57], v[120:121]
	ds_load_2addr_b64 v[120:123], v226 offset0:16 offset1:17
	ds_load_2addr_b64 v[124:127], v226 offset0:18 offset1:19
	v_fma_f64 v[56:57], v[116:117], v[56:57], -v[58:59]
	s_waitcnt lgkmcnt(1)
	v_mul_f64 v[58:59], v[122:123], v[128:129]
	s_delay_alu instid0(VALU_DEP_1) | instskip(SKIP_1) | instid1(VALU_DEP_2)
	v_fma_f64 v[58:59], v[120:121], v[56:57], -v[58:59]
	v_mul_f64 v[120:121], v[120:121], v[128:129]
	v_add_f64 v[52:53], v[52:53], -v[58:59]
	s_delay_alu instid0(VALU_DEP_2) | instskip(SKIP_3) | instid1(VALU_DEP_3)
	v_fma_f64 v[130:131], v[122:123], v[56:57], v[120:121]
	s_waitcnt lgkmcnt(0)
	v_mul_f64 v[120:121], v[126:127], v[128:129]
	v_dual_mov_b32 v58, v128 :: v_dual_mov_b32 v59, v129
	v_add_f64 v[54:55], v[54:55], -v[130:131]
	s_delay_alu instid0(VALU_DEP_3) | instskip(SKIP_1) | instid1(VALU_DEP_2)
	v_fma_f64 v[132:133], v[124:125], v[56:57], -v[120:121]
	v_mul_f64 v[120:121], v[124:125], v[128:129]
	v_add_f64 v[48:49], v[48:49], -v[132:133]
	s_delay_alu instid0(VALU_DEP_2)
	v_fma_f64 v[134:135], v[126:127], v[56:57], v[120:121]
	ds_load_2addr_b64 v[120:123], v226 offset0:20 offset1:21
	ds_load_2addr_b64 v[124:127], v226 offset0:22 offset1:23
	s_waitcnt lgkmcnt(1)
	v_mul_f64 v[136:137], v[122:123], v[128:129]
	v_add_f64 v[50:51], v[50:51], -v[134:135]
	s_delay_alu instid0(VALU_DEP_2) | instskip(SKIP_1) | instid1(VALU_DEP_2)
	v_fma_f64 v[136:137], v[120:121], v[56:57], -v[136:137]
	v_mul_f64 v[120:121], v[120:121], v[128:129]
	v_add_f64 v[44:45], v[44:45], -v[136:137]
	s_delay_alu instid0(VALU_DEP_2) | instskip(SKIP_2) | instid1(VALU_DEP_2)
	v_fma_f64 v[138:139], v[122:123], v[56:57], v[120:121]
	s_waitcnt lgkmcnt(0)
	v_mul_f64 v[120:121], v[126:127], v[128:129]
	v_add_f64 v[46:47], v[46:47], -v[138:139]
	s_delay_alu instid0(VALU_DEP_2) | instskip(SKIP_1) | instid1(VALU_DEP_2)
	v_fma_f64 v[140:141], v[124:125], v[56:57], -v[120:121]
	v_mul_f64 v[120:121], v[124:125], v[128:129]
	v_add_f64 v[40:41], v[40:41], -v[140:141]
	s_delay_alu instid0(VALU_DEP_2)
	v_fma_f64 v[142:143], v[126:127], v[56:57], v[120:121]
	ds_load_2addr_b64 v[120:123], v226 offset0:24 offset1:25
	ds_load_2addr_b64 v[124:127], v226 offset0:26 offset1:27
	s_waitcnt lgkmcnt(1)
	v_mul_f64 v[144:145], v[122:123], v[128:129]
	v_add_f64 v[42:43], v[42:43], -v[142:143]
	s_delay_alu instid0(VALU_DEP_2) | instskip(SKIP_1) | instid1(VALU_DEP_2)
	v_fma_f64 v[144:145], v[120:121], v[56:57], -v[144:145]
	v_mul_f64 v[120:121], v[120:121], v[128:129]
	v_add_f64 v[36:37], v[36:37], -v[144:145]
	s_delay_alu instid0(VALU_DEP_2) | instskip(SKIP_2) | instid1(VALU_DEP_2)
	v_fma_f64 v[146:147], v[122:123], v[56:57], v[120:121]
	s_waitcnt lgkmcnt(0)
	v_mul_f64 v[120:121], v[126:127], v[128:129]
	v_add_f64 v[38:39], v[38:39], -v[146:147]
	s_delay_alu instid0(VALU_DEP_2) | instskip(SKIP_1) | instid1(VALU_DEP_2)
	;; [unrolled: 20-line block ×6, first 2 shown]
	v_fma_f64 v[122:123], v[124:125], v[56:57], -v[122:123]
	v_mul_f64 v[124:125], v[124:125], v[128:129]
	v_add_f64 v[0:1], v[0:1], -v[122:123]
	s_delay_alu instid0(VALU_DEP_2) | instskip(NEXT) | instid1(VALU_DEP_1)
	v_fma_f64 v[124:125], v[126:127], v[56:57], v[124:125]
	v_add_f64 v[2:3], v[2:3], -v[124:125]
.LBB43_73:
	s_or_b32 exec_lo, exec_lo, s3
	s_delay_alu instid0(SALU_CYCLE_1)
	s_mov_b32 s4, exec_lo
	s_waitcnt lgkmcnt(0)
	s_barrier
	buffer_gl0_inv
	v_cmpx_eq_u32_e32 8, v224
	s_cbranch_execz .LBB43_80
; %bb.74:
	ds_store_2addr_b64 v225, v[52:53], v[54:55] offset1:1
	ds_store_2addr_b64 v226, v[48:49], v[50:51] offset0:18 offset1:19
	ds_store_2addr_b64 v226, v[44:45], v[46:47] offset0:20 offset1:21
	;; [unrolled: 1-line block ×13, first 2 shown]
	ds_load_2addr_b64 v[120:123], v225 offset1:1
	s_waitcnt lgkmcnt(0)
	v_cmp_neq_f64_e32 vcc_lo, 0, v[120:121]
	v_cmp_neq_f64_e64 s3, 0, v[122:123]
	s_delay_alu instid0(VALU_DEP_1) | instskip(NEXT) | instid1(SALU_CYCLE_1)
	s_or_b32 s3, vcc_lo, s3
	s_and_b32 exec_lo, exec_lo, s3
	s_cbranch_execz .LBB43_80
; %bb.75:
	v_cmp_gt_f64_e32 vcc_lo, 0, v[120:121]
	v_cmp_gt_f64_e64 s3, 0, v[122:123]
	v_xor_b32_e32 v124, 0x80000000, v121
	v_xor_b32_e32 v126, 0x80000000, v123
                                        ; implicit-def: $vgpr128_vgpr129
	s_delay_alu instid0(VALU_DEP_2) | instskip(NEXT) | instid1(VALU_DEP_2)
	v_cndmask_b32_e32 v125, v121, v124, vcc_lo
	v_cndmask_b32_e64 v127, v123, v126, s3
	v_cndmask_b32_e32 v124, v120, v120, vcc_lo
	v_cndmask_b32_e64 v126, v122, v122, s3
	s_mov_b32 s3, exec_lo
	s_delay_alu instid0(VALU_DEP_1)
	v_cmpx_ngt_f64_e32 v[124:125], v[126:127]
	s_xor_b32 s3, exec_lo, s3
                                        ; implicit-def: $vgpr124_vgpr125_vgpr126_vgpr127
	s_cbranch_execz .LBB43_77
; %bb.76:
	v_div_scale_f64 v[124:125], null, v[122:123], v[122:123], v[120:121]
	v_div_scale_f64 v[130:131], vcc_lo, v[120:121], v[122:123], v[120:121]
	s_delay_alu instid0(VALU_DEP_2) | instskip(SKIP_2) | instid1(VALU_DEP_1)
	v_rcp_f64_e32 v[126:127], v[124:125]
	s_waitcnt_depctr 0xfff
	v_fma_f64 v[128:129], -v[124:125], v[126:127], 1.0
	v_fma_f64 v[126:127], v[126:127], v[128:129], v[126:127]
	s_delay_alu instid0(VALU_DEP_1) | instskip(NEXT) | instid1(VALU_DEP_1)
	v_fma_f64 v[128:129], -v[124:125], v[126:127], 1.0
	v_fma_f64 v[126:127], v[126:127], v[128:129], v[126:127]
	s_delay_alu instid0(VALU_DEP_1) | instskip(NEXT) | instid1(VALU_DEP_1)
	v_mul_f64 v[128:129], v[130:131], v[126:127]
	v_fma_f64 v[124:125], -v[124:125], v[128:129], v[130:131]
	s_delay_alu instid0(VALU_DEP_1) | instskip(NEXT) | instid1(VALU_DEP_1)
	v_div_fmas_f64 v[124:125], v[124:125], v[126:127], v[128:129]
	v_div_fixup_f64 v[124:125], v[124:125], v[122:123], v[120:121]
	s_delay_alu instid0(VALU_DEP_1) | instskip(NEXT) | instid1(VALU_DEP_1)
	v_fma_f64 v[120:121], v[120:121], v[124:125], v[122:123]
	v_div_scale_f64 v[122:123], null, v[120:121], v[120:121], 1.0
	s_delay_alu instid0(VALU_DEP_1) | instskip(SKIP_2) | instid1(VALU_DEP_1)
	v_rcp_f64_e32 v[126:127], v[122:123]
	s_waitcnt_depctr 0xfff
	v_fma_f64 v[128:129], -v[122:123], v[126:127], 1.0
	v_fma_f64 v[126:127], v[126:127], v[128:129], v[126:127]
	s_delay_alu instid0(VALU_DEP_1) | instskip(NEXT) | instid1(VALU_DEP_1)
	v_fma_f64 v[128:129], -v[122:123], v[126:127], 1.0
	v_fma_f64 v[126:127], v[126:127], v[128:129], v[126:127]
	v_div_scale_f64 v[128:129], vcc_lo, 1.0, v[120:121], 1.0
	s_delay_alu instid0(VALU_DEP_1) | instskip(NEXT) | instid1(VALU_DEP_1)
	v_mul_f64 v[130:131], v[128:129], v[126:127]
	v_fma_f64 v[122:123], -v[122:123], v[130:131], v[128:129]
	s_delay_alu instid0(VALU_DEP_1) | instskip(NEXT) | instid1(VALU_DEP_1)
	v_div_fmas_f64 v[122:123], v[122:123], v[126:127], v[130:131]
	v_div_fixup_f64 v[126:127], v[122:123], v[120:121], 1.0
                                        ; implicit-def: $vgpr120_vgpr121
	s_delay_alu instid0(VALU_DEP_1)
	v_mul_f64 v[128:129], v[124:125], v[126:127]
	v_xor_b32_e32 v127, 0x80000000, v127
.LBB43_77:
	s_and_not1_saveexec_b32 s3, s3
	s_cbranch_execz .LBB43_79
; %bb.78:
	v_div_scale_f64 v[124:125], null, v[120:121], v[120:121], v[122:123]
	v_div_scale_f64 v[130:131], vcc_lo, v[122:123], v[120:121], v[122:123]
	s_delay_alu instid0(VALU_DEP_2) | instskip(SKIP_2) | instid1(VALU_DEP_1)
	v_rcp_f64_e32 v[126:127], v[124:125]
	s_waitcnt_depctr 0xfff
	v_fma_f64 v[128:129], -v[124:125], v[126:127], 1.0
	v_fma_f64 v[126:127], v[126:127], v[128:129], v[126:127]
	s_delay_alu instid0(VALU_DEP_1) | instskip(NEXT) | instid1(VALU_DEP_1)
	v_fma_f64 v[128:129], -v[124:125], v[126:127], 1.0
	v_fma_f64 v[126:127], v[126:127], v[128:129], v[126:127]
	s_delay_alu instid0(VALU_DEP_1) | instskip(NEXT) | instid1(VALU_DEP_1)
	v_mul_f64 v[128:129], v[130:131], v[126:127]
	v_fma_f64 v[124:125], -v[124:125], v[128:129], v[130:131]
	s_delay_alu instid0(VALU_DEP_1) | instskip(NEXT) | instid1(VALU_DEP_1)
	v_div_fmas_f64 v[124:125], v[124:125], v[126:127], v[128:129]
	v_div_fixup_f64 v[124:125], v[124:125], v[120:121], v[122:123]
	s_delay_alu instid0(VALU_DEP_1) | instskip(NEXT) | instid1(VALU_DEP_1)
	v_fma_f64 v[120:121], v[122:123], v[124:125], v[120:121]
	v_div_scale_f64 v[122:123], null, v[120:121], v[120:121], 1.0
	s_delay_alu instid0(VALU_DEP_1) | instskip(SKIP_2) | instid1(VALU_DEP_1)
	v_rcp_f64_e32 v[126:127], v[122:123]
	s_waitcnt_depctr 0xfff
	v_fma_f64 v[128:129], -v[122:123], v[126:127], 1.0
	v_fma_f64 v[126:127], v[126:127], v[128:129], v[126:127]
	s_delay_alu instid0(VALU_DEP_1) | instskip(NEXT) | instid1(VALU_DEP_1)
	v_fma_f64 v[128:129], -v[122:123], v[126:127], 1.0
	v_fma_f64 v[126:127], v[126:127], v[128:129], v[126:127]
	v_div_scale_f64 v[128:129], vcc_lo, 1.0, v[120:121], 1.0
	s_delay_alu instid0(VALU_DEP_1) | instskip(NEXT) | instid1(VALU_DEP_1)
	v_mul_f64 v[130:131], v[128:129], v[126:127]
	v_fma_f64 v[122:123], -v[122:123], v[130:131], v[128:129]
	s_delay_alu instid0(VALU_DEP_1) | instskip(NEXT) | instid1(VALU_DEP_1)
	v_div_fmas_f64 v[122:123], v[122:123], v[126:127], v[130:131]
	v_div_fixup_f64 v[128:129], v[122:123], v[120:121], 1.0
	s_delay_alu instid0(VALU_DEP_1)
	v_mul_f64 v[126:127], v[124:125], -v[128:129]
.LBB43_79:
	s_or_b32 exec_lo, exec_lo, s3
	ds_store_2addr_b64 v225, v[128:129], v[126:127] offset1:1
.LBB43_80:
	s_or_b32 exec_lo, exec_lo, s4
	s_waitcnt lgkmcnt(0)
	s_barrier
	buffer_gl0_inv
	ds_load_2addr_b64 v[120:123], v225 offset1:1
	s_mov_b32 s3, exec_lo
	v_cmpx_lt_u32_e32 8, v224
	s_cbranch_execz .LBB43_82
; %bb.81:
	s_waitcnt lgkmcnt(0)
	v_mul_f64 v[124:125], v[120:121], v[54:55]
	v_mul_f64 v[54:55], v[122:123], v[54:55]
	s_delay_alu instid0(VALU_DEP_2)
	v_fma_f64 v[132:133], v[122:123], v[52:53], v[124:125]
	ds_load_2addr_b64 v[124:127], v226 offset0:18 offset1:19
	ds_load_2addr_b64 v[128:131], v226 offset0:20 offset1:21
	v_fma_f64 v[52:53], v[120:121], v[52:53], -v[54:55]
	s_waitcnt lgkmcnt(1)
	v_mul_f64 v[54:55], v[126:127], v[132:133]
	s_delay_alu instid0(VALU_DEP_1) | instskip(SKIP_1) | instid1(VALU_DEP_2)
	v_fma_f64 v[54:55], v[124:125], v[52:53], -v[54:55]
	v_mul_f64 v[124:125], v[124:125], v[132:133]
	v_add_f64 v[48:49], v[48:49], -v[54:55]
	s_delay_alu instid0(VALU_DEP_2) | instskip(SKIP_3) | instid1(VALU_DEP_3)
	v_fma_f64 v[134:135], v[126:127], v[52:53], v[124:125]
	s_waitcnt lgkmcnt(0)
	v_mul_f64 v[124:125], v[130:131], v[132:133]
	v_dual_mov_b32 v54, v132 :: v_dual_mov_b32 v55, v133
	v_add_f64 v[50:51], v[50:51], -v[134:135]
	s_delay_alu instid0(VALU_DEP_3) | instskip(SKIP_1) | instid1(VALU_DEP_2)
	v_fma_f64 v[136:137], v[128:129], v[52:53], -v[124:125]
	v_mul_f64 v[124:125], v[128:129], v[132:133]
	v_add_f64 v[44:45], v[44:45], -v[136:137]
	s_delay_alu instid0(VALU_DEP_2)
	v_fma_f64 v[138:139], v[130:131], v[52:53], v[124:125]
	ds_load_2addr_b64 v[124:127], v226 offset0:22 offset1:23
	ds_load_2addr_b64 v[128:131], v226 offset0:24 offset1:25
	s_waitcnt lgkmcnt(1)
	v_mul_f64 v[140:141], v[126:127], v[132:133]
	v_add_f64 v[46:47], v[46:47], -v[138:139]
	s_delay_alu instid0(VALU_DEP_2) | instskip(SKIP_1) | instid1(VALU_DEP_2)
	v_fma_f64 v[140:141], v[124:125], v[52:53], -v[140:141]
	v_mul_f64 v[124:125], v[124:125], v[132:133]
	v_add_f64 v[40:41], v[40:41], -v[140:141]
	s_delay_alu instid0(VALU_DEP_2) | instskip(SKIP_2) | instid1(VALU_DEP_2)
	v_fma_f64 v[142:143], v[126:127], v[52:53], v[124:125]
	s_waitcnt lgkmcnt(0)
	v_mul_f64 v[124:125], v[130:131], v[132:133]
	v_add_f64 v[42:43], v[42:43], -v[142:143]
	s_delay_alu instid0(VALU_DEP_2) | instskip(SKIP_1) | instid1(VALU_DEP_2)
	v_fma_f64 v[144:145], v[128:129], v[52:53], -v[124:125]
	v_mul_f64 v[124:125], v[128:129], v[132:133]
	v_add_f64 v[36:37], v[36:37], -v[144:145]
	s_delay_alu instid0(VALU_DEP_2)
	v_fma_f64 v[146:147], v[130:131], v[52:53], v[124:125]
	ds_load_2addr_b64 v[124:127], v226 offset0:26 offset1:27
	ds_load_2addr_b64 v[128:131], v226 offset0:28 offset1:29
	s_waitcnt lgkmcnt(1)
	v_mul_f64 v[148:149], v[126:127], v[132:133]
	v_add_f64 v[38:39], v[38:39], -v[146:147]
	s_delay_alu instid0(VALU_DEP_2) | instskip(SKIP_1) | instid1(VALU_DEP_2)
	v_fma_f64 v[148:149], v[124:125], v[52:53], -v[148:149]
	v_mul_f64 v[124:125], v[124:125], v[132:133]
	v_add_f64 v[32:33], v[32:33], -v[148:149]
	s_delay_alu instid0(VALU_DEP_2) | instskip(SKIP_2) | instid1(VALU_DEP_2)
	v_fma_f64 v[150:151], v[126:127], v[52:53], v[124:125]
	s_waitcnt lgkmcnt(0)
	v_mul_f64 v[124:125], v[130:131], v[132:133]
	v_add_f64 v[34:35], v[34:35], -v[150:151]
	s_delay_alu instid0(VALU_DEP_2) | instskip(SKIP_1) | instid1(VALU_DEP_2)
	;; [unrolled: 20-line block ×5, first 2 shown]
	v_fma_f64 v[222:223], v[128:129], v[52:53], -v[124:125]
	v_mul_f64 v[124:125], v[128:129], v[132:133]
	v_add_f64 v[4:5], v[4:5], -v[222:223]
	s_delay_alu instid0(VALU_DEP_2) | instskip(SKIP_4) | instid1(VALU_DEP_2)
	v_fma_f64 v[128:129], v[130:131], v[52:53], v[124:125]
	ds_load_2addr_b64 v[124:127], v226 offset0:42 offset1:43
	s_waitcnt lgkmcnt(0)
	v_mul_f64 v[130:131], v[126:127], v[132:133]
	v_add_f64 v[6:7], v[6:7], -v[128:129]
	v_fma_f64 v[130:131], v[124:125], v[52:53], -v[130:131]
	v_mul_f64 v[124:125], v[124:125], v[132:133]
	s_delay_alu instid0(VALU_DEP_2) | instskip(NEXT) | instid1(VALU_DEP_2)
	v_add_f64 v[0:1], v[0:1], -v[130:131]
	v_fma_f64 v[124:125], v[126:127], v[52:53], v[124:125]
	s_delay_alu instid0(VALU_DEP_1)
	v_add_f64 v[2:3], v[2:3], -v[124:125]
.LBB43_82:
	s_or_b32 exec_lo, exec_lo, s3
	s_delay_alu instid0(SALU_CYCLE_1)
	s_mov_b32 s4, exec_lo
	s_waitcnt lgkmcnt(0)
	s_barrier
	buffer_gl0_inv
	v_cmpx_eq_u32_e32 9, v224
	s_cbranch_execz .LBB43_89
; %bb.83:
	ds_store_2addr_b64 v225, v[48:49], v[50:51] offset1:1
	ds_store_2addr_b64 v226, v[44:45], v[46:47] offset0:20 offset1:21
	ds_store_2addr_b64 v226, v[40:41], v[42:43] offset0:22 offset1:23
	;; [unrolled: 1-line block ×12, first 2 shown]
	ds_load_2addr_b64 v[124:127], v225 offset1:1
	s_waitcnt lgkmcnt(0)
	v_cmp_neq_f64_e32 vcc_lo, 0, v[124:125]
	v_cmp_neq_f64_e64 s3, 0, v[126:127]
	s_delay_alu instid0(VALU_DEP_1) | instskip(NEXT) | instid1(SALU_CYCLE_1)
	s_or_b32 s3, vcc_lo, s3
	s_and_b32 exec_lo, exec_lo, s3
	s_cbranch_execz .LBB43_89
; %bb.84:
	v_cmp_gt_f64_e32 vcc_lo, 0, v[124:125]
	v_cmp_gt_f64_e64 s3, 0, v[126:127]
	v_xor_b32_e32 v128, 0x80000000, v125
	v_xor_b32_e32 v130, 0x80000000, v127
                                        ; implicit-def: $vgpr132_vgpr133
	s_delay_alu instid0(VALU_DEP_2) | instskip(NEXT) | instid1(VALU_DEP_2)
	v_cndmask_b32_e32 v129, v125, v128, vcc_lo
	v_cndmask_b32_e64 v131, v127, v130, s3
	v_cndmask_b32_e32 v128, v124, v124, vcc_lo
	v_cndmask_b32_e64 v130, v126, v126, s3
	s_mov_b32 s3, exec_lo
	s_delay_alu instid0(VALU_DEP_1)
	v_cmpx_ngt_f64_e32 v[128:129], v[130:131]
	s_xor_b32 s3, exec_lo, s3
                                        ; implicit-def: $vgpr128_vgpr129_vgpr130_vgpr131
	s_cbranch_execz .LBB43_86
; %bb.85:
	v_div_scale_f64 v[128:129], null, v[126:127], v[126:127], v[124:125]
	v_div_scale_f64 v[134:135], vcc_lo, v[124:125], v[126:127], v[124:125]
	s_delay_alu instid0(VALU_DEP_2) | instskip(SKIP_2) | instid1(VALU_DEP_1)
	v_rcp_f64_e32 v[130:131], v[128:129]
	s_waitcnt_depctr 0xfff
	v_fma_f64 v[132:133], -v[128:129], v[130:131], 1.0
	v_fma_f64 v[130:131], v[130:131], v[132:133], v[130:131]
	s_delay_alu instid0(VALU_DEP_1) | instskip(NEXT) | instid1(VALU_DEP_1)
	v_fma_f64 v[132:133], -v[128:129], v[130:131], 1.0
	v_fma_f64 v[130:131], v[130:131], v[132:133], v[130:131]
	s_delay_alu instid0(VALU_DEP_1) | instskip(NEXT) | instid1(VALU_DEP_1)
	v_mul_f64 v[132:133], v[134:135], v[130:131]
	v_fma_f64 v[128:129], -v[128:129], v[132:133], v[134:135]
	s_delay_alu instid0(VALU_DEP_1) | instskip(NEXT) | instid1(VALU_DEP_1)
	v_div_fmas_f64 v[128:129], v[128:129], v[130:131], v[132:133]
	v_div_fixup_f64 v[128:129], v[128:129], v[126:127], v[124:125]
	s_delay_alu instid0(VALU_DEP_1) | instskip(NEXT) | instid1(VALU_DEP_1)
	v_fma_f64 v[124:125], v[124:125], v[128:129], v[126:127]
	v_div_scale_f64 v[126:127], null, v[124:125], v[124:125], 1.0
	s_delay_alu instid0(VALU_DEP_1) | instskip(SKIP_2) | instid1(VALU_DEP_1)
	v_rcp_f64_e32 v[130:131], v[126:127]
	s_waitcnt_depctr 0xfff
	v_fma_f64 v[132:133], -v[126:127], v[130:131], 1.0
	v_fma_f64 v[130:131], v[130:131], v[132:133], v[130:131]
	s_delay_alu instid0(VALU_DEP_1) | instskip(NEXT) | instid1(VALU_DEP_1)
	v_fma_f64 v[132:133], -v[126:127], v[130:131], 1.0
	v_fma_f64 v[130:131], v[130:131], v[132:133], v[130:131]
	v_div_scale_f64 v[132:133], vcc_lo, 1.0, v[124:125], 1.0
	s_delay_alu instid0(VALU_DEP_1) | instskip(NEXT) | instid1(VALU_DEP_1)
	v_mul_f64 v[134:135], v[132:133], v[130:131]
	v_fma_f64 v[126:127], -v[126:127], v[134:135], v[132:133]
	s_delay_alu instid0(VALU_DEP_1) | instskip(NEXT) | instid1(VALU_DEP_1)
	v_div_fmas_f64 v[126:127], v[126:127], v[130:131], v[134:135]
	v_div_fixup_f64 v[130:131], v[126:127], v[124:125], 1.0
                                        ; implicit-def: $vgpr124_vgpr125
	s_delay_alu instid0(VALU_DEP_1)
	v_mul_f64 v[132:133], v[128:129], v[130:131]
	v_xor_b32_e32 v131, 0x80000000, v131
.LBB43_86:
	s_and_not1_saveexec_b32 s3, s3
	s_cbranch_execz .LBB43_88
; %bb.87:
	v_div_scale_f64 v[128:129], null, v[124:125], v[124:125], v[126:127]
	v_div_scale_f64 v[134:135], vcc_lo, v[126:127], v[124:125], v[126:127]
	s_delay_alu instid0(VALU_DEP_2) | instskip(SKIP_2) | instid1(VALU_DEP_1)
	v_rcp_f64_e32 v[130:131], v[128:129]
	s_waitcnt_depctr 0xfff
	v_fma_f64 v[132:133], -v[128:129], v[130:131], 1.0
	v_fma_f64 v[130:131], v[130:131], v[132:133], v[130:131]
	s_delay_alu instid0(VALU_DEP_1) | instskip(NEXT) | instid1(VALU_DEP_1)
	v_fma_f64 v[132:133], -v[128:129], v[130:131], 1.0
	v_fma_f64 v[130:131], v[130:131], v[132:133], v[130:131]
	s_delay_alu instid0(VALU_DEP_1) | instskip(NEXT) | instid1(VALU_DEP_1)
	v_mul_f64 v[132:133], v[134:135], v[130:131]
	v_fma_f64 v[128:129], -v[128:129], v[132:133], v[134:135]
	s_delay_alu instid0(VALU_DEP_1) | instskip(NEXT) | instid1(VALU_DEP_1)
	v_div_fmas_f64 v[128:129], v[128:129], v[130:131], v[132:133]
	v_div_fixup_f64 v[128:129], v[128:129], v[124:125], v[126:127]
	s_delay_alu instid0(VALU_DEP_1) | instskip(NEXT) | instid1(VALU_DEP_1)
	v_fma_f64 v[124:125], v[126:127], v[128:129], v[124:125]
	v_div_scale_f64 v[126:127], null, v[124:125], v[124:125], 1.0
	s_delay_alu instid0(VALU_DEP_1) | instskip(SKIP_2) | instid1(VALU_DEP_1)
	v_rcp_f64_e32 v[130:131], v[126:127]
	s_waitcnt_depctr 0xfff
	v_fma_f64 v[132:133], -v[126:127], v[130:131], 1.0
	v_fma_f64 v[130:131], v[130:131], v[132:133], v[130:131]
	s_delay_alu instid0(VALU_DEP_1) | instskip(NEXT) | instid1(VALU_DEP_1)
	v_fma_f64 v[132:133], -v[126:127], v[130:131], 1.0
	v_fma_f64 v[130:131], v[130:131], v[132:133], v[130:131]
	v_div_scale_f64 v[132:133], vcc_lo, 1.0, v[124:125], 1.0
	s_delay_alu instid0(VALU_DEP_1) | instskip(NEXT) | instid1(VALU_DEP_1)
	v_mul_f64 v[134:135], v[132:133], v[130:131]
	v_fma_f64 v[126:127], -v[126:127], v[134:135], v[132:133]
	s_delay_alu instid0(VALU_DEP_1) | instskip(NEXT) | instid1(VALU_DEP_1)
	v_div_fmas_f64 v[126:127], v[126:127], v[130:131], v[134:135]
	v_div_fixup_f64 v[132:133], v[126:127], v[124:125], 1.0
	s_delay_alu instid0(VALU_DEP_1)
	v_mul_f64 v[130:131], v[128:129], -v[132:133]
.LBB43_88:
	s_or_b32 exec_lo, exec_lo, s3
	ds_store_2addr_b64 v225, v[132:133], v[130:131] offset1:1
.LBB43_89:
	s_or_b32 exec_lo, exec_lo, s4
	s_waitcnt lgkmcnt(0)
	s_barrier
	buffer_gl0_inv
	ds_load_2addr_b64 v[124:127], v225 offset1:1
	s_mov_b32 s3, exec_lo
	v_cmpx_lt_u32_e32 9, v224
	s_cbranch_execz .LBB43_91
; %bb.90:
	s_waitcnt lgkmcnt(0)
	v_mul_f64 v[128:129], v[124:125], v[50:51]
	v_mul_f64 v[50:51], v[126:127], v[50:51]
	s_delay_alu instid0(VALU_DEP_2)
	v_fma_f64 v[136:137], v[126:127], v[48:49], v[128:129]
	ds_load_2addr_b64 v[128:131], v226 offset0:20 offset1:21
	ds_load_2addr_b64 v[132:135], v226 offset0:22 offset1:23
	v_fma_f64 v[48:49], v[124:125], v[48:49], -v[50:51]
	s_waitcnt lgkmcnt(1)
	v_mul_f64 v[50:51], v[130:131], v[136:137]
	s_delay_alu instid0(VALU_DEP_1) | instskip(SKIP_1) | instid1(VALU_DEP_2)
	v_fma_f64 v[50:51], v[128:129], v[48:49], -v[50:51]
	v_mul_f64 v[128:129], v[128:129], v[136:137]
	v_add_f64 v[44:45], v[44:45], -v[50:51]
	s_delay_alu instid0(VALU_DEP_2) | instskip(SKIP_3) | instid1(VALU_DEP_3)
	v_fma_f64 v[138:139], v[130:131], v[48:49], v[128:129]
	s_waitcnt lgkmcnt(0)
	v_mul_f64 v[128:129], v[134:135], v[136:137]
	v_dual_mov_b32 v50, v136 :: v_dual_mov_b32 v51, v137
	v_add_f64 v[46:47], v[46:47], -v[138:139]
	s_delay_alu instid0(VALU_DEP_3) | instskip(SKIP_1) | instid1(VALU_DEP_2)
	v_fma_f64 v[140:141], v[132:133], v[48:49], -v[128:129]
	v_mul_f64 v[128:129], v[132:133], v[136:137]
	v_add_f64 v[40:41], v[40:41], -v[140:141]
	s_delay_alu instid0(VALU_DEP_2)
	v_fma_f64 v[142:143], v[134:135], v[48:49], v[128:129]
	ds_load_2addr_b64 v[128:131], v226 offset0:24 offset1:25
	ds_load_2addr_b64 v[132:135], v226 offset0:26 offset1:27
	s_waitcnt lgkmcnt(1)
	v_mul_f64 v[144:145], v[130:131], v[136:137]
	v_add_f64 v[42:43], v[42:43], -v[142:143]
	s_delay_alu instid0(VALU_DEP_2) | instskip(SKIP_1) | instid1(VALU_DEP_2)
	v_fma_f64 v[144:145], v[128:129], v[48:49], -v[144:145]
	v_mul_f64 v[128:129], v[128:129], v[136:137]
	v_add_f64 v[36:37], v[36:37], -v[144:145]
	s_delay_alu instid0(VALU_DEP_2) | instskip(SKIP_2) | instid1(VALU_DEP_2)
	v_fma_f64 v[146:147], v[130:131], v[48:49], v[128:129]
	s_waitcnt lgkmcnt(0)
	v_mul_f64 v[128:129], v[134:135], v[136:137]
	v_add_f64 v[38:39], v[38:39], -v[146:147]
	s_delay_alu instid0(VALU_DEP_2) | instskip(SKIP_1) | instid1(VALU_DEP_2)
	v_fma_f64 v[148:149], v[132:133], v[48:49], -v[128:129]
	v_mul_f64 v[128:129], v[132:133], v[136:137]
	v_add_f64 v[32:33], v[32:33], -v[148:149]
	s_delay_alu instid0(VALU_DEP_2)
	v_fma_f64 v[150:151], v[134:135], v[48:49], v[128:129]
	ds_load_2addr_b64 v[128:131], v226 offset0:28 offset1:29
	ds_load_2addr_b64 v[132:135], v226 offset0:30 offset1:31
	s_waitcnt lgkmcnt(1)
	v_mul_f64 v[152:153], v[130:131], v[136:137]
	v_add_f64 v[34:35], v[34:35], -v[150:151]
	s_delay_alu instid0(VALU_DEP_2) | instskip(SKIP_1) | instid1(VALU_DEP_2)
	v_fma_f64 v[152:153], v[128:129], v[48:49], -v[152:153]
	v_mul_f64 v[128:129], v[128:129], v[136:137]
	v_add_f64 v[28:29], v[28:29], -v[152:153]
	s_delay_alu instid0(VALU_DEP_2) | instskip(SKIP_2) | instid1(VALU_DEP_2)
	v_fma_f64 v[154:155], v[130:131], v[48:49], v[128:129]
	s_waitcnt lgkmcnt(0)
	v_mul_f64 v[128:129], v[134:135], v[136:137]
	v_add_f64 v[30:31], v[30:31], -v[154:155]
	s_delay_alu instid0(VALU_DEP_2) | instskip(SKIP_1) | instid1(VALU_DEP_2)
	;; [unrolled: 20-line block ×5, first 2 shown]
	v_fma_f64 v[130:131], v[132:133], v[48:49], -v[130:131]
	v_mul_f64 v[132:133], v[132:133], v[136:137]
	v_add_f64 v[0:1], v[0:1], -v[130:131]
	s_delay_alu instid0(VALU_DEP_2) | instskip(NEXT) | instid1(VALU_DEP_1)
	v_fma_f64 v[132:133], v[134:135], v[48:49], v[132:133]
	v_add_f64 v[2:3], v[2:3], -v[132:133]
.LBB43_91:
	s_or_b32 exec_lo, exec_lo, s3
	s_delay_alu instid0(SALU_CYCLE_1)
	s_mov_b32 s4, exec_lo
	s_waitcnt lgkmcnt(0)
	s_barrier
	buffer_gl0_inv
	v_cmpx_eq_u32_e32 10, v224
	s_cbranch_execz .LBB43_98
; %bb.92:
	ds_store_2addr_b64 v225, v[44:45], v[46:47] offset1:1
	ds_store_2addr_b64 v226, v[40:41], v[42:43] offset0:22 offset1:23
	ds_store_2addr_b64 v226, v[36:37], v[38:39] offset0:24 offset1:25
	;; [unrolled: 1-line block ×11, first 2 shown]
	ds_load_2addr_b64 v[128:131], v225 offset1:1
	s_waitcnt lgkmcnt(0)
	v_cmp_neq_f64_e32 vcc_lo, 0, v[128:129]
	v_cmp_neq_f64_e64 s3, 0, v[130:131]
	s_delay_alu instid0(VALU_DEP_1) | instskip(NEXT) | instid1(SALU_CYCLE_1)
	s_or_b32 s3, vcc_lo, s3
	s_and_b32 exec_lo, exec_lo, s3
	s_cbranch_execz .LBB43_98
; %bb.93:
	v_cmp_gt_f64_e32 vcc_lo, 0, v[128:129]
	v_cmp_gt_f64_e64 s3, 0, v[130:131]
	v_xor_b32_e32 v132, 0x80000000, v129
	v_xor_b32_e32 v134, 0x80000000, v131
                                        ; implicit-def: $vgpr136_vgpr137
	s_delay_alu instid0(VALU_DEP_2) | instskip(NEXT) | instid1(VALU_DEP_2)
	v_cndmask_b32_e32 v133, v129, v132, vcc_lo
	v_cndmask_b32_e64 v135, v131, v134, s3
	v_cndmask_b32_e32 v132, v128, v128, vcc_lo
	v_cndmask_b32_e64 v134, v130, v130, s3
	s_mov_b32 s3, exec_lo
	s_delay_alu instid0(VALU_DEP_1)
	v_cmpx_ngt_f64_e32 v[132:133], v[134:135]
	s_xor_b32 s3, exec_lo, s3
                                        ; implicit-def: $vgpr132_vgpr133_vgpr134_vgpr135
	s_cbranch_execz .LBB43_95
; %bb.94:
	v_div_scale_f64 v[132:133], null, v[130:131], v[130:131], v[128:129]
	v_div_scale_f64 v[138:139], vcc_lo, v[128:129], v[130:131], v[128:129]
	s_delay_alu instid0(VALU_DEP_2) | instskip(SKIP_2) | instid1(VALU_DEP_1)
	v_rcp_f64_e32 v[134:135], v[132:133]
	s_waitcnt_depctr 0xfff
	v_fma_f64 v[136:137], -v[132:133], v[134:135], 1.0
	v_fma_f64 v[134:135], v[134:135], v[136:137], v[134:135]
	s_delay_alu instid0(VALU_DEP_1) | instskip(NEXT) | instid1(VALU_DEP_1)
	v_fma_f64 v[136:137], -v[132:133], v[134:135], 1.0
	v_fma_f64 v[134:135], v[134:135], v[136:137], v[134:135]
	s_delay_alu instid0(VALU_DEP_1) | instskip(NEXT) | instid1(VALU_DEP_1)
	v_mul_f64 v[136:137], v[138:139], v[134:135]
	v_fma_f64 v[132:133], -v[132:133], v[136:137], v[138:139]
	s_delay_alu instid0(VALU_DEP_1) | instskip(NEXT) | instid1(VALU_DEP_1)
	v_div_fmas_f64 v[132:133], v[132:133], v[134:135], v[136:137]
	v_div_fixup_f64 v[132:133], v[132:133], v[130:131], v[128:129]
	s_delay_alu instid0(VALU_DEP_1) | instskip(NEXT) | instid1(VALU_DEP_1)
	v_fma_f64 v[128:129], v[128:129], v[132:133], v[130:131]
	v_div_scale_f64 v[130:131], null, v[128:129], v[128:129], 1.0
	s_delay_alu instid0(VALU_DEP_1) | instskip(SKIP_2) | instid1(VALU_DEP_1)
	v_rcp_f64_e32 v[134:135], v[130:131]
	s_waitcnt_depctr 0xfff
	v_fma_f64 v[136:137], -v[130:131], v[134:135], 1.0
	v_fma_f64 v[134:135], v[134:135], v[136:137], v[134:135]
	s_delay_alu instid0(VALU_DEP_1) | instskip(NEXT) | instid1(VALU_DEP_1)
	v_fma_f64 v[136:137], -v[130:131], v[134:135], 1.0
	v_fma_f64 v[134:135], v[134:135], v[136:137], v[134:135]
	v_div_scale_f64 v[136:137], vcc_lo, 1.0, v[128:129], 1.0
	s_delay_alu instid0(VALU_DEP_1) | instskip(NEXT) | instid1(VALU_DEP_1)
	v_mul_f64 v[138:139], v[136:137], v[134:135]
	v_fma_f64 v[130:131], -v[130:131], v[138:139], v[136:137]
	s_delay_alu instid0(VALU_DEP_1) | instskip(NEXT) | instid1(VALU_DEP_1)
	v_div_fmas_f64 v[130:131], v[130:131], v[134:135], v[138:139]
	v_div_fixup_f64 v[134:135], v[130:131], v[128:129], 1.0
                                        ; implicit-def: $vgpr128_vgpr129
	s_delay_alu instid0(VALU_DEP_1)
	v_mul_f64 v[136:137], v[132:133], v[134:135]
	v_xor_b32_e32 v135, 0x80000000, v135
.LBB43_95:
	s_and_not1_saveexec_b32 s3, s3
	s_cbranch_execz .LBB43_97
; %bb.96:
	v_div_scale_f64 v[132:133], null, v[128:129], v[128:129], v[130:131]
	v_div_scale_f64 v[138:139], vcc_lo, v[130:131], v[128:129], v[130:131]
	s_delay_alu instid0(VALU_DEP_2) | instskip(SKIP_2) | instid1(VALU_DEP_1)
	v_rcp_f64_e32 v[134:135], v[132:133]
	s_waitcnt_depctr 0xfff
	v_fma_f64 v[136:137], -v[132:133], v[134:135], 1.0
	v_fma_f64 v[134:135], v[134:135], v[136:137], v[134:135]
	s_delay_alu instid0(VALU_DEP_1) | instskip(NEXT) | instid1(VALU_DEP_1)
	v_fma_f64 v[136:137], -v[132:133], v[134:135], 1.0
	v_fma_f64 v[134:135], v[134:135], v[136:137], v[134:135]
	s_delay_alu instid0(VALU_DEP_1) | instskip(NEXT) | instid1(VALU_DEP_1)
	v_mul_f64 v[136:137], v[138:139], v[134:135]
	v_fma_f64 v[132:133], -v[132:133], v[136:137], v[138:139]
	s_delay_alu instid0(VALU_DEP_1) | instskip(NEXT) | instid1(VALU_DEP_1)
	v_div_fmas_f64 v[132:133], v[132:133], v[134:135], v[136:137]
	v_div_fixup_f64 v[132:133], v[132:133], v[128:129], v[130:131]
	s_delay_alu instid0(VALU_DEP_1) | instskip(NEXT) | instid1(VALU_DEP_1)
	v_fma_f64 v[128:129], v[130:131], v[132:133], v[128:129]
	v_div_scale_f64 v[130:131], null, v[128:129], v[128:129], 1.0
	s_delay_alu instid0(VALU_DEP_1) | instskip(SKIP_2) | instid1(VALU_DEP_1)
	v_rcp_f64_e32 v[134:135], v[130:131]
	s_waitcnt_depctr 0xfff
	v_fma_f64 v[136:137], -v[130:131], v[134:135], 1.0
	v_fma_f64 v[134:135], v[134:135], v[136:137], v[134:135]
	s_delay_alu instid0(VALU_DEP_1) | instskip(NEXT) | instid1(VALU_DEP_1)
	v_fma_f64 v[136:137], -v[130:131], v[134:135], 1.0
	v_fma_f64 v[134:135], v[134:135], v[136:137], v[134:135]
	v_div_scale_f64 v[136:137], vcc_lo, 1.0, v[128:129], 1.0
	s_delay_alu instid0(VALU_DEP_1) | instskip(NEXT) | instid1(VALU_DEP_1)
	v_mul_f64 v[138:139], v[136:137], v[134:135]
	v_fma_f64 v[130:131], -v[130:131], v[138:139], v[136:137]
	s_delay_alu instid0(VALU_DEP_1) | instskip(NEXT) | instid1(VALU_DEP_1)
	v_div_fmas_f64 v[130:131], v[130:131], v[134:135], v[138:139]
	v_div_fixup_f64 v[136:137], v[130:131], v[128:129], 1.0
	s_delay_alu instid0(VALU_DEP_1)
	v_mul_f64 v[134:135], v[132:133], -v[136:137]
.LBB43_97:
	s_or_b32 exec_lo, exec_lo, s3
	ds_store_2addr_b64 v225, v[136:137], v[134:135] offset1:1
.LBB43_98:
	s_or_b32 exec_lo, exec_lo, s4
	s_waitcnt lgkmcnt(0)
	s_barrier
	buffer_gl0_inv
	ds_load_2addr_b64 v[128:131], v225 offset1:1
	s_mov_b32 s3, exec_lo
	v_cmpx_lt_u32_e32 10, v224
	s_cbranch_execz .LBB43_100
; %bb.99:
	s_waitcnt lgkmcnt(0)
	v_mul_f64 v[132:133], v[128:129], v[46:47]
	v_mul_f64 v[46:47], v[130:131], v[46:47]
	s_delay_alu instid0(VALU_DEP_2)
	v_fma_f64 v[140:141], v[130:131], v[44:45], v[132:133]
	ds_load_2addr_b64 v[132:135], v226 offset0:22 offset1:23
	ds_load_2addr_b64 v[136:139], v226 offset0:24 offset1:25
	v_fma_f64 v[44:45], v[128:129], v[44:45], -v[46:47]
	s_waitcnt lgkmcnt(1)
	v_mul_f64 v[46:47], v[134:135], v[140:141]
	s_delay_alu instid0(VALU_DEP_1) | instskip(SKIP_1) | instid1(VALU_DEP_2)
	v_fma_f64 v[46:47], v[132:133], v[44:45], -v[46:47]
	v_mul_f64 v[132:133], v[132:133], v[140:141]
	v_add_f64 v[40:41], v[40:41], -v[46:47]
	s_delay_alu instid0(VALU_DEP_2) | instskip(SKIP_3) | instid1(VALU_DEP_3)
	v_fma_f64 v[142:143], v[134:135], v[44:45], v[132:133]
	s_waitcnt lgkmcnt(0)
	v_mul_f64 v[132:133], v[138:139], v[140:141]
	v_dual_mov_b32 v46, v140 :: v_dual_mov_b32 v47, v141
	v_add_f64 v[42:43], v[42:43], -v[142:143]
	s_delay_alu instid0(VALU_DEP_3) | instskip(SKIP_1) | instid1(VALU_DEP_2)
	v_fma_f64 v[144:145], v[136:137], v[44:45], -v[132:133]
	v_mul_f64 v[132:133], v[136:137], v[140:141]
	v_add_f64 v[36:37], v[36:37], -v[144:145]
	s_delay_alu instid0(VALU_DEP_2)
	v_fma_f64 v[146:147], v[138:139], v[44:45], v[132:133]
	ds_load_2addr_b64 v[132:135], v226 offset0:26 offset1:27
	ds_load_2addr_b64 v[136:139], v226 offset0:28 offset1:29
	s_waitcnt lgkmcnt(1)
	v_mul_f64 v[148:149], v[134:135], v[140:141]
	v_add_f64 v[38:39], v[38:39], -v[146:147]
	s_delay_alu instid0(VALU_DEP_2) | instskip(SKIP_1) | instid1(VALU_DEP_2)
	v_fma_f64 v[148:149], v[132:133], v[44:45], -v[148:149]
	v_mul_f64 v[132:133], v[132:133], v[140:141]
	v_add_f64 v[32:33], v[32:33], -v[148:149]
	s_delay_alu instid0(VALU_DEP_2) | instskip(SKIP_2) | instid1(VALU_DEP_2)
	v_fma_f64 v[150:151], v[134:135], v[44:45], v[132:133]
	s_waitcnt lgkmcnt(0)
	v_mul_f64 v[132:133], v[138:139], v[140:141]
	v_add_f64 v[34:35], v[34:35], -v[150:151]
	s_delay_alu instid0(VALU_DEP_2) | instskip(SKIP_1) | instid1(VALU_DEP_2)
	v_fma_f64 v[152:153], v[136:137], v[44:45], -v[132:133]
	v_mul_f64 v[132:133], v[136:137], v[140:141]
	v_add_f64 v[28:29], v[28:29], -v[152:153]
	s_delay_alu instid0(VALU_DEP_2)
	v_fma_f64 v[154:155], v[138:139], v[44:45], v[132:133]
	ds_load_2addr_b64 v[132:135], v226 offset0:30 offset1:31
	ds_load_2addr_b64 v[136:139], v226 offset0:32 offset1:33
	s_waitcnt lgkmcnt(1)
	v_mul_f64 v[156:157], v[134:135], v[140:141]
	v_add_f64 v[30:31], v[30:31], -v[154:155]
	s_delay_alu instid0(VALU_DEP_2) | instskip(SKIP_1) | instid1(VALU_DEP_2)
	v_fma_f64 v[156:157], v[132:133], v[44:45], -v[156:157]
	v_mul_f64 v[132:133], v[132:133], v[140:141]
	v_add_f64 v[24:25], v[24:25], -v[156:157]
	s_delay_alu instid0(VALU_DEP_2) | instskip(SKIP_2) | instid1(VALU_DEP_2)
	v_fma_f64 v[158:159], v[134:135], v[44:45], v[132:133]
	s_waitcnt lgkmcnt(0)
	v_mul_f64 v[132:133], v[138:139], v[140:141]
	v_add_f64 v[26:27], v[26:27], -v[158:159]
	s_delay_alu instid0(VALU_DEP_2) | instskip(SKIP_1) | instid1(VALU_DEP_2)
	;; [unrolled: 20-line block ×4, first 2 shown]
	v_fma_f64 v[222:223], v[136:137], v[44:45], -v[132:133]
	v_mul_f64 v[132:133], v[136:137], v[140:141]
	v_add_f64 v[4:5], v[4:5], -v[222:223]
	s_delay_alu instid0(VALU_DEP_2) | instskip(SKIP_4) | instid1(VALU_DEP_2)
	v_fma_f64 v[136:137], v[138:139], v[44:45], v[132:133]
	ds_load_2addr_b64 v[132:135], v226 offset0:42 offset1:43
	s_waitcnt lgkmcnt(0)
	v_mul_f64 v[138:139], v[134:135], v[140:141]
	v_add_f64 v[6:7], v[6:7], -v[136:137]
	v_fma_f64 v[138:139], v[132:133], v[44:45], -v[138:139]
	v_mul_f64 v[132:133], v[132:133], v[140:141]
	s_delay_alu instid0(VALU_DEP_2) | instskip(NEXT) | instid1(VALU_DEP_2)
	v_add_f64 v[0:1], v[0:1], -v[138:139]
	v_fma_f64 v[132:133], v[134:135], v[44:45], v[132:133]
	s_delay_alu instid0(VALU_DEP_1)
	v_add_f64 v[2:3], v[2:3], -v[132:133]
.LBB43_100:
	s_or_b32 exec_lo, exec_lo, s3
	s_delay_alu instid0(SALU_CYCLE_1)
	s_mov_b32 s4, exec_lo
	s_waitcnt lgkmcnt(0)
	s_barrier
	buffer_gl0_inv
	v_cmpx_eq_u32_e32 11, v224
	s_cbranch_execz .LBB43_107
; %bb.101:
	ds_store_2addr_b64 v225, v[40:41], v[42:43] offset1:1
	ds_store_2addr_b64 v226, v[36:37], v[38:39] offset0:24 offset1:25
	ds_store_2addr_b64 v226, v[32:33], v[34:35] offset0:26 offset1:27
	;; [unrolled: 1-line block ×10, first 2 shown]
	ds_load_2addr_b64 v[132:135], v225 offset1:1
	s_waitcnt lgkmcnt(0)
	v_cmp_neq_f64_e32 vcc_lo, 0, v[132:133]
	v_cmp_neq_f64_e64 s3, 0, v[134:135]
	s_delay_alu instid0(VALU_DEP_1) | instskip(NEXT) | instid1(SALU_CYCLE_1)
	s_or_b32 s3, vcc_lo, s3
	s_and_b32 exec_lo, exec_lo, s3
	s_cbranch_execz .LBB43_107
; %bb.102:
	v_cmp_gt_f64_e32 vcc_lo, 0, v[132:133]
	v_cmp_gt_f64_e64 s3, 0, v[134:135]
	v_xor_b32_e32 v136, 0x80000000, v133
	v_xor_b32_e32 v138, 0x80000000, v135
                                        ; implicit-def: $vgpr140_vgpr141
	s_delay_alu instid0(VALU_DEP_2) | instskip(NEXT) | instid1(VALU_DEP_2)
	v_cndmask_b32_e32 v137, v133, v136, vcc_lo
	v_cndmask_b32_e64 v139, v135, v138, s3
	v_cndmask_b32_e32 v136, v132, v132, vcc_lo
	v_cndmask_b32_e64 v138, v134, v134, s3
	s_mov_b32 s3, exec_lo
	s_delay_alu instid0(VALU_DEP_1)
	v_cmpx_ngt_f64_e32 v[136:137], v[138:139]
	s_xor_b32 s3, exec_lo, s3
                                        ; implicit-def: $vgpr136_vgpr137_vgpr138_vgpr139
	s_cbranch_execz .LBB43_104
; %bb.103:
	v_div_scale_f64 v[136:137], null, v[134:135], v[134:135], v[132:133]
	v_div_scale_f64 v[142:143], vcc_lo, v[132:133], v[134:135], v[132:133]
	s_delay_alu instid0(VALU_DEP_2) | instskip(SKIP_2) | instid1(VALU_DEP_1)
	v_rcp_f64_e32 v[138:139], v[136:137]
	s_waitcnt_depctr 0xfff
	v_fma_f64 v[140:141], -v[136:137], v[138:139], 1.0
	v_fma_f64 v[138:139], v[138:139], v[140:141], v[138:139]
	s_delay_alu instid0(VALU_DEP_1) | instskip(NEXT) | instid1(VALU_DEP_1)
	v_fma_f64 v[140:141], -v[136:137], v[138:139], 1.0
	v_fma_f64 v[138:139], v[138:139], v[140:141], v[138:139]
	s_delay_alu instid0(VALU_DEP_1) | instskip(NEXT) | instid1(VALU_DEP_1)
	v_mul_f64 v[140:141], v[142:143], v[138:139]
	v_fma_f64 v[136:137], -v[136:137], v[140:141], v[142:143]
	s_delay_alu instid0(VALU_DEP_1) | instskip(NEXT) | instid1(VALU_DEP_1)
	v_div_fmas_f64 v[136:137], v[136:137], v[138:139], v[140:141]
	v_div_fixup_f64 v[136:137], v[136:137], v[134:135], v[132:133]
	s_delay_alu instid0(VALU_DEP_1) | instskip(NEXT) | instid1(VALU_DEP_1)
	v_fma_f64 v[132:133], v[132:133], v[136:137], v[134:135]
	v_div_scale_f64 v[134:135], null, v[132:133], v[132:133], 1.0
	s_delay_alu instid0(VALU_DEP_1) | instskip(SKIP_2) | instid1(VALU_DEP_1)
	v_rcp_f64_e32 v[138:139], v[134:135]
	s_waitcnt_depctr 0xfff
	v_fma_f64 v[140:141], -v[134:135], v[138:139], 1.0
	v_fma_f64 v[138:139], v[138:139], v[140:141], v[138:139]
	s_delay_alu instid0(VALU_DEP_1) | instskip(NEXT) | instid1(VALU_DEP_1)
	v_fma_f64 v[140:141], -v[134:135], v[138:139], 1.0
	v_fma_f64 v[138:139], v[138:139], v[140:141], v[138:139]
	v_div_scale_f64 v[140:141], vcc_lo, 1.0, v[132:133], 1.0
	s_delay_alu instid0(VALU_DEP_1) | instskip(NEXT) | instid1(VALU_DEP_1)
	v_mul_f64 v[142:143], v[140:141], v[138:139]
	v_fma_f64 v[134:135], -v[134:135], v[142:143], v[140:141]
	s_delay_alu instid0(VALU_DEP_1) | instskip(NEXT) | instid1(VALU_DEP_1)
	v_div_fmas_f64 v[134:135], v[134:135], v[138:139], v[142:143]
	v_div_fixup_f64 v[138:139], v[134:135], v[132:133], 1.0
                                        ; implicit-def: $vgpr132_vgpr133
	s_delay_alu instid0(VALU_DEP_1)
	v_mul_f64 v[140:141], v[136:137], v[138:139]
	v_xor_b32_e32 v139, 0x80000000, v139
.LBB43_104:
	s_and_not1_saveexec_b32 s3, s3
	s_cbranch_execz .LBB43_106
; %bb.105:
	v_div_scale_f64 v[136:137], null, v[132:133], v[132:133], v[134:135]
	v_div_scale_f64 v[142:143], vcc_lo, v[134:135], v[132:133], v[134:135]
	s_delay_alu instid0(VALU_DEP_2) | instskip(SKIP_2) | instid1(VALU_DEP_1)
	v_rcp_f64_e32 v[138:139], v[136:137]
	s_waitcnt_depctr 0xfff
	v_fma_f64 v[140:141], -v[136:137], v[138:139], 1.0
	v_fma_f64 v[138:139], v[138:139], v[140:141], v[138:139]
	s_delay_alu instid0(VALU_DEP_1) | instskip(NEXT) | instid1(VALU_DEP_1)
	v_fma_f64 v[140:141], -v[136:137], v[138:139], 1.0
	v_fma_f64 v[138:139], v[138:139], v[140:141], v[138:139]
	s_delay_alu instid0(VALU_DEP_1) | instskip(NEXT) | instid1(VALU_DEP_1)
	v_mul_f64 v[140:141], v[142:143], v[138:139]
	v_fma_f64 v[136:137], -v[136:137], v[140:141], v[142:143]
	s_delay_alu instid0(VALU_DEP_1) | instskip(NEXT) | instid1(VALU_DEP_1)
	v_div_fmas_f64 v[136:137], v[136:137], v[138:139], v[140:141]
	v_div_fixup_f64 v[136:137], v[136:137], v[132:133], v[134:135]
	s_delay_alu instid0(VALU_DEP_1) | instskip(NEXT) | instid1(VALU_DEP_1)
	v_fma_f64 v[132:133], v[134:135], v[136:137], v[132:133]
	v_div_scale_f64 v[134:135], null, v[132:133], v[132:133], 1.0
	s_delay_alu instid0(VALU_DEP_1) | instskip(SKIP_2) | instid1(VALU_DEP_1)
	v_rcp_f64_e32 v[138:139], v[134:135]
	s_waitcnt_depctr 0xfff
	v_fma_f64 v[140:141], -v[134:135], v[138:139], 1.0
	v_fma_f64 v[138:139], v[138:139], v[140:141], v[138:139]
	s_delay_alu instid0(VALU_DEP_1) | instskip(NEXT) | instid1(VALU_DEP_1)
	v_fma_f64 v[140:141], -v[134:135], v[138:139], 1.0
	v_fma_f64 v[138:139], v[138:139], v[140:141], v[138:139]
	v_div_scale_f64 v[140:141], vcc_lo, 1.0, v[132:133], 1.0
	s_delay_alu instid0(VALU_DEP_1) | instskip(NEXT) | instid1(VALU_DEP_1)
	v_mul_f64 v[142:143], v[140:141], v[138:139]
	v_fma_f64 v[134:135], -v[134:135], v[142:143], v[140:141]
	s_delay_alu instid0(VALU_DEP_1) | instskip(NEXT) | instid1(VALU_DEP_1)
	v_div_fmas_f64 v[134:135], v[134:135], v[138:139], v[142:143]
	v_div_fixup_f64 v[140:141], v[134:135], v[132:133], 1.0
	s_delay_alu instid0(VALU_DEP_1)
	v_mul_f64 v[138:139], v[136:137], -v[140:141]
.LBB43_106:
	s_or_b32 exec_lo, exec_lo, s3
	ds_store_2addr_b64 v225, v[140:141], v[138:139] offset1:1
.LBB43_107:
	s_or_b32 exec_lo, exec_lo, s4
	s_waitcnt lgkmcnt(0)
	s_barrier
	buffer_gl0_inv
	ds_load_2addr_b64 v[132:135], v225 offset1:1
	s_mov_b32 s3, exec_lo
	v_cmpx_lt_u32_e32 11, v224
	s_cbranch_execz .LBB43_109
; %bb.108:
	s_waitcnt lgkmcnt(0)
	v_mul_f64 v[136:137], v[132:133], v[42:43]
	v_mul_f64 v[42:43], v[134:135], v[42:43]
	s_delay_alu instid0(VALU_DEP_2)
	v_fma_f64 v[144:145], v[134:135], v[40:41], v[136:137]
	ds_load_2addr_b64 v[136:139], v226 offset0:24 offset1:25
	ds_load_2addr_b64 v[140:143], v226 offset0:26 offset1:27
	v_fma_f64 v[40:41], v[132:133], v[40:41], -v[42:43]
	s_waitcnt lgkmcnt(1)
	v_mul_f64 v[42:43], v[138:139], v[144:145]
	s_delay_alu instid0(VALU_DEP_1) | instskip(SKIP_1) | instid1(VALU_DEP_2)
	v_fma_f64 v[42:43], v[136:137], v[40:41], -v[42:43]
	v_mul_f64 v[136:137], v[136:137], v[144:145]
	v_add_f64 v[36:37], v[36:37], -v[42:43]
	s_delay_alu instid0(VALU_DEP_2) | instskip(SKIP_3) | instid1(VALU_DEP_3)
	v_fma_f64 v[146:147], v[138:139], v[40:41], v[136:137]
	s_waitcnt lgkmcnt(0)
	v_mul_f64 v[136:137], v[142:143], v[144:145]
	v_dual_mov_b32 v42, v144 :: v_dual_mov_b32 v43, v145
	v_add_f64 v[38:39], v[38:39], -v[146:147]
	s_delay_alu instid0(VALU_DEP_3) | instskip(SKIP_1) | instid1(VALU_DEP_2)
	v_fma_f64 v[148:149], v[140:141], v[40:41], -v[136:137]
	v_mul_f64 v[136:137], v[140:141], v[144:145]
	v_add_f64 v[32:33], v[32:33], -v[148:149]
	s_delay_alu instid0(VALU_DEP_2)
	v_fma_f64 v[150:151], v[142:143], v[40:41], v[136:137]
	ds_load_2addr_b64 v[136:139], v226 offset0:28 offset1:29
	ds_load_2addr_b64 v[140:143], v226 offset0:30 offset1:31
	s_waitcnt lgkmcnt(1)
	v_mul_f64 v[152:153], v[138:139], v[144:145]
	v_add_f64 v[34:35], v[34:35], -v[150:151]
	s_delay_alu instid0(VALU_DEP_2) | instskip(SKIP_1) | instid1(VALU_DEP_2)
	v_fma_f64 v[152:153], v[136:137], v[40:41], -v[152:153]
	v_mul_f64 v[136:137], v[136:137], v[144:145]
	v_add_f64 v[28:29], v[28:29], -v[152:153]
	s_delay_alu instid0(VALU_DEP_2) | instskip(SKIP_2) | instid1(VALU_DEP_2)
	v_fma_f64 v[154:155], v[138:139], v[40:41], v[136:137]
	s_waitcnt lgkmcnt(0)
	v_mul_f64 v[136:137], v[142:143], v[144:145]
	v_add_f64 v[30:31], v[30:31], -v[154:155]
	s_delay_alu instid0(VALU_DEP_2) | instskip(SKIP_1) | instid1(VALU_DEP_2)
	v_fma_f64 v[156:157], v[140:141], v[40:41], -v[136:137]
	v_mul_f64 v[136:137], v[140:141], v[144:145]
	v_add_f64 v[24:25], v[24:25], -v[156:157]
	s_delay_alu instid0(VALU_DEP_2)
	v_fma_f64 v[158:159], v[142:143], v[40:41], v[136:137]
	ds_load_2addr_b64 v[136:139], v226 offset0:32 offset1:33
	ds_load_2addr_b64 v[140:143], v226 offset0:34 offset1:35
	s_waitcnt lgkmcnt(1)
	v_mul_f64 v[160:161], v[138:139], v[144:145]
	v_add_f64 v[26:27], v[26:27], -v[158:159]
	s_delay_alu instid0(VALU_DEP_2) | instskip(SKIP_1) | instid1(VALU_DEP_2)
	v_fma_f64 v[160:161], v[136:137], v[40:41], -v[160:161]
	v_mul_f64 v[136:137], v[136:137], v[144:145]
	v_add_f64 v[20:21], v[20:21], -v[160:161]
	s_delay_alu instid0(VALU_DEP_2) | instskip(SKIP_2) | instid1(VALU_DEP_2)
	v_fma_f64 v[162:163], v[138:139], v[40:41], v[136:137]
	s_waitcnt lgkmcnt(0)
	v_mul_f64 v[136:137], v[142:143], v[144:145]
	v_add_f64 v[22:23], v[22:23], -v[162:163]
	s_delay_alu instid0(VALU_DEP_2) | instskip(SKIP_1) | instid1(VALU_DEP_2)
	;; [unrolled: 20-line block ×4, first 2 shown]
	v_fma_f64 v[138:139], v[140:141], v[40:41], -v[138:139]
	v_mul_f64 v[140:141], v[140:141], v[144:145]
	v_add_f64 v[0:1], v[0:1], -v[138:139]
	s_delay_alu instid0(VALU_DEP_2) | instskip(NEXT) | instid1(VALU_DEP_1)
	v_fma_f64 v[140:141], v[142:143], v[40:41], v[140:141]
	v_add_f64 v[2:3], v[2:3], -v[140:141]
.LBB43_109:
	s_or_b32 exec_lo, exec_lo, s3
	s_delay_alu instid0(SALU_CYCLE_1)
	s_mov_b32 s4, exec_lo
	s_waitcnt lgkmcnt(0)
	s_barrier
	buffer_gl0_inv
	v_cmpx_eq_u32_e32 12, v224
	s_cbranch_execz .LBB43_116
; %bb.110:
	ds_store_2addr_b64 v225, v[36:37], v[38:39] offset1:1
	ds_store_2addr_b64 v226, v[32:33], v[34:35] offset0:26 offset1:27
	ds_store_2addr_b64 v226, v[28:29], v[30:31] offset0:28 offset1:29
	;; [unrolled: 1-line block ×9, first 2 shown]
	ds_load_2addr_b64 v[136:139], v225 offset1:1
	s_waitcnt lgkmcnt(0)
	v_cmp_neq_f64_e32 vcc_lo, 0, v[136:137]
	v_cmp_neq_f64_e64 s3, 0, v[138:139]
	s_delay_alu instid0(VALU_DEP_1) | instskip(NEXT) | instid1(SALU_CYCLE_1)
	s_or_b32 s3, vcc_lo, s3
	s_and_b32 exec_lo, exec_lo, s3
	s_cbranch_execz .LBB43_116
; %bb.111:
	v_cmp_gt_f64_e32 vcc_lo, 0, v[136:137]
	v_cmp_gt_f64_e64 s3, 0, v[138:139]
	v_xor_b32_e32 v140, 0x80000000, v137
	v_xor_b32_e32 v142, 0x80000000, v139
                                        ; implicit-def: $vgpr144_vgpr145
	s_delay_alu instid0(VALU_DEP_2) | instskip(NEXT) | instid1(VALU_DEP_2)
	v_cndmask_b32_e32 v141, v137, v140, vcc_lo
	v_cndmask_b32_e64 v143, v139, v142, s3
	v_cndmask_b32_e32 v140, v136, v136, vcc_lo
	v_cndmask_b32_e64 v142, v138, v138, s3
	s_mov_b32 s3, exec_lo
	s_delay_alu instid0(VALU_DEP_1)
	v_cmpx_ngt_f64_e32 v[140:141], v[142:143]
	s_xor_b32 s3, exec_lo, s3
                                        ; implicit-def: $vgpr140_vgpr141_vgpr142_vgpr143
	s_cbranch_execz .LBB43_113
; %bb.112:
	v_div_scale_f64 v[140:141], null, v[138:139], v[138:139], v[136:137]
	v_div_scale_f64 v[146:147], vcc_lo, v[136:137], v[138:139], v[136:137]
	s_delay_alu instid0(VALU_DEP_2) | instskip(SKIP_2) | instid1(VALU_DEP_1)
	v_rcp_f64_e32 v[142:143], v[140:141]
	s_waitcnt_depctr 0xfff
	v_fma_f64 v[144:145], -v[140:141], v[142:143], 1.0
	v_fma_f64 v[142:143], v[142:143], v[144:145], v[142:143]
	s_delay_alu instid0(VALU_DEP_1) | instskip(NEXT) | instid1(VALU_DEP_1)
	v_fma_f64 v[144:145], -v[140:141], v[142:143], 1.0
	v_fma_f64 v[142:143], v[142:143], v[144:145], v[142:143]
	s_delay_alu instid0(VALU_DEP_1) | instskip(NEXT) | instid1(VALU_DEP_1)
	v_mul_f64 v[144:145], v[146:147], v[142:143]
	v_fma_f64 v[140:141], -v[140:141], v[144:145], v[146:147]
	s_delay_alu instid0(VALU_DEP_1) | instskip(NEXT) | instid1(VALU_DEP_1)
	v_div_fmas_f64 v[140:141], v[140:141], v[142:143], v[144:145]
	v_div_fixup_f64 v[140:141], v[140:141], v[138:139], v[136:137]
	s_delay_alu instid0(VALU_DEP_1) | instskip(NEXT) | instid1(VALU_DEP_1)
	v_fma_f64 v[136:137], v[136:137], v[140:141], v[138:139]
	v_div_scale_f64 v[138:139], null, v[136:137], v[136:137], 1.0
	s_delay_alu instid0(VALU_DEP_1) | instskip(SKIP_2) | instid1(VALU_DEP_1)
	v_rcp_f64_e32 v[142:143], v[138:139]
	s_waitcnt_depctr 0xfff
	v_fma_f64 v[144:145], -v[138:139], v[142:143], 1.0
	v_fma_f64 v[142:143], v[142:143], v[144:145], v[142:143]
	s_delay_alu instid0(VALU_DEP_1) | instskip(NEXT) | instid1(VALU_DEP_1)
	v_fma_f64 v[144:145], -v[138:139], v[142:143], 1.0
	v_fma_f64 v[142:143], v[142:143], v[144:145], v[142:143]
	v_div_scale_f64 v[144:145], vcc_lo, 1.0, v[136:137], 1.0
	s_delay_alu instid0(VALU_DEP_1) | instskip(NEXT) | instid1(VALU_DEP_1)
	v_mul_f64 v[146:147], v[144:145], v[142:143]
	v_fma_f64 v[138:139], -v[138:139], v[146:147], v[144:145]
	s_delay_alu instid0(VALU_DEP_1) | instskip(NEXT) | instid1(VALU_DEP_1)
	v_div_fmas_f64 v[138:139], v[138:139], v[142:143], v[146:147]
	v_div_fixup_f64 v[142:143], v[138:139], v[136:137], 1.0
                                        ; implicit-def: $vgpr136_vgpr137
	s_delay_alu instid0(VALU_DEP_1)
	v_mul_f64 v[144:145], v[140:141], v[142:143]
	v_xor_b32_e32 v143, 0x80000000, v143
.LBB43_113:
	s_and_not1_saveexec_b32 s3, s3
	s_cbranch_execz .LBB43_115
; %bb.114:
	v_div_scale_f64 v[140:141], null, v[136:137], v[136:137], v[138:139]
	v_div_scale_f64 v[146:147], vcc_lo, v[138:139], v[136:137], v[138:139]
	s_delay_alu instid0(VALU_DEP_2) | instskip(SKIP_2) | instid1(VALU_DEP_1)
	v_rcp_f64_e32 v[142:143], v[140:141]
	s_waitcnt_depctr 0xfff
	v_fma_f64 v[144:145], -v[140:141], v[142:143], 1.0
	v_fma_f64 v[142:143], v[142:143], v[144:145], v[142:143]
	s_delay_alu instid0(VALU_DEP_1) | instskip(NEXT) | instid1(VALU_DEP_1)
	v_fma_f64 v[144:145], -v[140:141], v[142:143], 1.0
	v_fma_f64 v[142:143], v[142:143], v[144:145], v[142:143]
	s_delay_alu instid0(VALU_DEP_1) | instskip(NEXT) | instid1(VALU_DEP_1)
	v_mul_f64 v[144:145], v[146:147], v[142:143]
	v_fma_f64 v[140:141], -v[140:141], v[144:145], v[146:147]
	s_delay_alu instid0(VALU_DEP_1) | instskip(NEXT) | instid1(VALU_DEP_1)
	v_div_fmas_f64 v[140:141], v[140:141], v[142:143], v[144:145]
	v_div_fixup_f64 v[140:141], v[140:141], v[136:137], v[138:139]
	s_delay_alu instid0(VALU_DEP_1) | instskip(NEXT) | instid1(VALU_DEP_1)
	v_fma_f64 v[136:137], v[138:139], v[140:141], v[136:137]
	v_div_scale_f64 v[138:139], null, v[136:137], v[136:137], 1.0
	s_delay_alu instid0(VALU_DEP_1) | instskip(SKIP_2) | instid1(VALU_DEP_1)
	v_rcp_f64_e32 v[142:143], v[138:139]
	s_waitcnt_depctr 0xfff
	v_fma_f64 v[144:145], -v[138:139], v[142:143], 1.0
	v_fma_f64 v[142:143], v[142:143], v[144:145], v[142:143]
	s_delay_alu instid0(VALU_DEP_1) | instskip(NEXT) | instid1(VALU_DEP_1)
	v_fma_f64 v[144:145], -v[138:139], v[142:143], 1.0
	v_fma_f64 v[142:143], v[142:143], v[144:145], v[142:143]
	v_div_scale_f64 v[144:145], vcc_lo, 1.0, v[136:137], 1.0
	s_delay_alu instid0(VALU_DEP_1) | instskip(NEXT) | instid1(VALU_DEP_1)
	v_mul_f64 v[146:147], v[144:145], v[142:143]
	v_fma_f64 v[138:139], -v[138:139], v[146:147], v[144:145]
	s_delay_alu instid0(VALU_DEP_1) | instskip(NEXT) | instid1(VALU_DEP_1)
	v_div_fmas_f64 v[138:139], v[138:139], v[142:143], v[146:147]
	v_div_fixup_f64 v[144:145], v[138:139], v[136:137], 1.0
	s_delay_alu instid0(VALU_DEP_1)
	v_mul_f64 v[142:143], v[140:141], -v[144:145]
.LBB43_115:
	s_or_b32 exec_lo, exec_lo, s3
	ds_store_2addr_b64 v225, v[144:145], v[142:143] offset1:1
.LBB43_116:
	s_or_b32 exec_lo, exec_lo, s4
	s_waitcnt lgkmcnt(0)
	s_barrier
	buffer_gl0_inv
	ds_load_2addr_b64 v[136:139], v225 offset1:1
	s_mov_b32 s3, exec_lo
	v_cmpx_lt_u32_e32 12, v224
	s_cbranch_execz .LBB43_118
; %bb.117:
	s_waitcnt lgkmcnt(0)
	v_mul_f64 v[140:141], v[136:137], v[38:39]
	v_mul_f64 v[38:39], v[138:139], v[38:39]
	s_delay_alu instid0(VALU_DEP_2)
	v_fma_f64 v[148:149], v[138:139], v[36:37], v[140:141]
	ds_load_2addr_b64 v[140:143], v226 offset0:26 offset1:27
	ds_load_2addr_b64 v[144:147], v226 offset0:28 offset1:29
	v_fma_f64 v[36:37], v[136:137], v[36:37], -v[38:39]
	s_waitcnt lgkmcnt(1)
	v_mul_f64 v[38:39], v[142:143], v[148:149]
	s_delay_alu instid0(VALU_DEP_1) | instskip(SKIP_1) | instid1(VALU_DEP_2)
	v_fma_f64 v[38:39], v[140:141], v[36:37], -v[38:39]
	v_mul_f64 v[140:141], v[140:141], v[148:149]
	v_add_f64 v[32:33], v[32:33], -v[38:39]
	s_delay_alu instid0(VALU_DEP_2) | instskip(SKIP_3) | instid1(VALU_DEP_3)
	v_fma_f64 v[150:151], v[142:143], v[36:37], v[140:141]
	s_waitcnt lgkmcnt(0)
	v_mul_f64 v[140:141], v[146:147], v[148:149]
	v_dual_mov_b32 v38, v148 :: v_dual_mov_b32 v39, v149
	v_add_f64 v[34:35], v[34:35], -v[150:151]
	s_delay_alu instid0(VALU_DEP_3) | instskip(SKIP_1) | instid1(VALU_DEP_2)
	v_fma_f64 v[152:153], v[144:145], v[36:37], -v[140:141]
	v_mul_f64 v[140:141], v[144:145], v[148:149]
	v_add_f64 v[28:29], v[28:29], -v[152:153]
	s_delay_alu instid0(VALU_DEP_2)
	v_fma_f64 v[154:155], v[146:147], v[36:37], v[140:141]
	ds_load_2addr_b64 v[140:143], v226 offset0:30 offset1:31
	ds_load_2addr_b64 v[144:147], v226 offset0:32 offset1:33
	s_waitcnt lgkmcnt(1)
	v_mul_f64 v[156:157], v[142:143], v[148:149]
	v_add_f64 v[30:31], v[30:31], -v[154:155]
	s_delay_alu instid0(VALU_DEP_2) | instskip(SKIP_1) | instid1(VALU_DEP_2)
	v_fma_f64 v[156:157], v[140:141], v[36:37], -v[156:157]
	v_mul_f64 v[140:141], v[140:141], v[148:149]
	v_add_f64 v[24:25], v[24:25], -v[156:157]
	s_delay_alu instid0(VALU_DEP_2) | instskip(SKIP_2) | instid1(VALU_DEP_2)
	v_fma_f64 v[158:159], v[142:143], v[36:37], v[140:141]
	s_waitcnt lgkmcnt(0)
	v_mul_f64 v[140:141], v[146:147], v[148:149]
	v_add_f64 v[26:27], v[26:27], -v[158:159]
	s_delay_alu instid0(VALU_DEP_2) | instskip(SKIP_1) | instid1(VALU_DEP_2)
	v_fma_f64 v[160:161], v[144:145], v[36:37], -v[140:141]
	v_mul_f64 v[140:141], v[144:145], v[148:149]
	v_add_f64 v[20:21], v[20:21], -v[160:161]
	s_delay_alu instid0(VALU_DEP_2)
	v_fma_f64 v[162:163], v[146:147], v[36:37], v[140:141]
	ds_load_2addr_b64 v[140:143], v226 offset0:34 offset1:35
	ds_load_2addr_b64 v[144:147], v226 offset0:36 offset1:37
	s_waitcnt lgkmcnt(1)
	v_mul_f64 v[164:165], v[142:143], v[148:149]
	v_add_f64 v[22:23], v[22:23], -v[162:163]
	s_delay_alu instid0(VALU_DEP_2) | instskip(SKIP_1) | instid1(VALU_DEP_2)
	v_fma_f64 v[164:165], v[140:141], v[36:37], -v[164:165]
	v_mul_f64 v[140:141], v[140:141], v[148:149]
	v_add_f64 v[16:17], v[16:17], -v[164:165]
	s_delay_alu instid0(VALU_DEP_2) | instskip(SKIP_2) | instid1(VALU_DEP_2)
	v_fma_f64 v[166:167], v[142:143], v[36:37], v[140:141]
	s_waitcnt lgkmcnt(0)
	v_mul_f64 v[140:141], v[146:147], v[148:149]
	v_add_f64 v[18:19], v[18:19], -v[166:167]
	s_delay_alu instid0(VALU_DEP_2) | instskip(SKIP_1) | instid1(VALU_DEP_2)
	;; [unrolled: 20-line block ×3, first 2 shown]
	v_fma_f64 v[222:223], v[144:145], v[36:37], -v[140:141]
	v_mul_f64 v[140:141], v[144:145], v[148:149]
	v_add_f64 v[4:5], v[4:5], -v[222:223]
	s_delay_alu instid0(VALU_DEP_2) | instskip(SKIP_4) | instid1(VALU_DEP_2)
	v_fma_f64 v[144:145], v[146:147], v[36:37], v[140:141]
	ds_load_2addr_b64 v[140:143], v226 offset0:42 offset1:43
	s_waitcnt lgkmcnt(0)
	v_mul_f64 v[146:147], v[142:143], v[148:149]
	v_add_f64 v[6:7], v[6:7], -v[144:145]
	v_fma_f64 v[146:147], v[140:141], v[36:37], -v[146:147]
	v_mul_f64 v[140:141], v[140:141], v[148:149]
	s_delay_alu instid0(VALU_DEP_2) | instskip(NEXT) | instid1(VALU_DEP_2)
	v_add_f64 v[0:1], v[0:1], -v[146:147]
	v_fma_f64 v[140:141], v[142:143], v[36:37], v[140:141]
	s_delay_alu instid0(VALU_DEP_1)
	v_add_f64 v[2:3], v[2:3], -v[140:141]
.LBB43_118:
	s_or_b32 exec_lo, exec_lo, s3
	s_delay_alu instid0(SALU_CYCLE_1)
	s_mov_b32 s4, exec_lo
	s_waitcnt lgkmcnt(0)
	s_barrier
	buffer_gl0_inv
	v_cmpx_eq_u32_e32 13, v224
	s_cbranch_execz .LBB43_125
; %bb.119:
	ds_store_2addr_b64 v225, v[32:33], v[34:35] offset1:1
	ds_store_2addr_b64 v226, v[28:29], v[30:31] offset0:28 offset1:29
	ds_store_2addr_b64 v226, v[24:25], v[26:27] offset0:30 offset1:31
	;; [unrolled: 1-line block ×8, first 2 shown]
	ds_load_2addr_b64 v[140:143], v225 offset1:1
	s_waitcnt lgkmcnt(0)
	v_cmp_neq_f64_e32 vcc_lo, 0, v[140:141]
	v_cmp_neq_f64_e64 s3, 0, v[142:143]
	s_delay_alu instid0(VALU_DEP_1) | instskip(NEXT) | instid1(SALU_CYCLE_1)
	s_or_b32 s3, vcc_lo, s3
	s_and_b32 exec_lo, exec_lo, s3
	s_cbranch_execz .LBB43_125
; %bb.120:
	v_cmp_gt_f64_e32 vcc_lo, 0, v[140:141]
	v_cmp_gt_f64_e64 s3, 0, v[142:143]
	v_xor_b32_e32 v144, 0x80000000, v141
	v_xor_b32_e32 v146, 0x80000000, v143
                                        ; implicit-def: $vgpr148_vgpr149
	s_delay_alu instid0(VALU_DEP_2) | instskip(NEXT) | instid1(VALU_DEP_2)
	v_cndmask_b32_e32 v145, v141, v144, vcc_lo
	v_cndmask_b32_e64 v147, v143, v146, s3
	v_cndmask_b32_e32 v144, v140, v140, vcc_lo
	v_cndmask_b32_e64 v146, v142, v142, s3
	s_mov_b32 s3, exec_lo
	s_delay_alu instid0(VALU_DEP_1)
	v_cmpx_ngt_f64_e32 v[144:145], v[146:147]
	s_xor_b32 s3, exec_lo, s3
                                        ; implicit-def: $vgpr144_vgpr145_vgpr146_vgpr147
	s_cbranch_execz .LBB43_122
; %bb.121:
	v_div_scale_f64 v[144:145], null, v[142:143], v[142:143], v[140:141]
	v_div_scale_f64 v[150:151], vcc_lo, v[140:141], v[142:143], v[140:141]
	s_delay_alu instid0(VALU_DEP_2) | instskip(SKIP_2) | instid1(VALU_DEP_1)
	v_rcp_f64_e32 v[146:147], v[144:145]
	s_waitcnt_depctr 0xfff
	v_fma_f64 v[148:149], -v[144:145], v[146:147], 1.0
	v_fma_f64 v[146:147], v[146:147], v[148:149], v[146:147]
	s_delay_alu instid0(VALU_DEP_1) | instskip(NEXT) | instid1(VALU_DEP_1)
	v_fma_f64 v[148:149], -v[144:145], v[146:147], 1.0
	v_fma_f64 v[146:147], v[146:147], v[148:149], v[146:147]
	s_delay_alu instid0(VALU_DEP_1) | instskip(NEXT) | instid1(VALU_DEP_1)
	v_mul_f64 v[148:149], v[150:151], v[146:147]
	v_fma_f64 v[144:145], -v[144:145], v[148:149], v[150:151]
	s_delay_alu instid0(VALU_DEP_1) | instskip(NEXT) | instid1(VALU_DEP_1)
	v_div_fmas_f64 v[144:145], v[144:145], v[146:147], v[148:149]
	v_div_fixup_f64 v[144:145], v[144:145], v[142:143], v[140:141]
	s_delay_alu instid0(VALU_DEP_1) | instskip(NEXT) | instid1(VALU_DEP_1)
	v_fma_f64 v[140:141], v[140:141], v[144:145], v[142:143]
	v_div_scale_f64 v[142:143], null, v[140:141], v[140:141], 1.0
	s_delay_alu instid0(VALU_DEP_1) | instskip(SKIP_2) | instid1(VALU_DEP_1)
	v_rcp_f64_e32 v[146:147], v[142:143]
	s_waitcnt_depctr 0xfff
	v_fma_f64 v[148:149], -v[142:143], v[146:147], 1.0
	v_fma_f64 v[146:147], v[146:147], v[148:149], v[146:147]
	s_delay_alu instid0(VALU_DEP_1) | instskip(NEXT) | instid1(VALU_DEP_1)
	v_fma_f64 v[148:149], -v[142:143], v[146:147], 1.0
	v_fma_f64 v[146:147], v[146:147], v[148:149], v[146:147]
	v_div_scale_f64 v[148:149], vcc_lo, 1.0, v[140:141], 1.0
	s_delay_alu instid0(VALU_DEP_1) | instskip(NEXT) | instid1(VALU_DEP_1)
	v_mul_f64 v[150:151], v[148:149], v[146:147]
	v_fma_f64 v[142:143], -v[142:143], v[150:151], v[148:149]
	s_delay_alu instid0(VALU_DEP_1) | instskip(NEXT) | instid1(VALU_DEP_1)
	v_div_fmas_f64 v[142:143], v[142:143], v[146:147], v[150:151]
	v_div_fixup_f64 v[146:147], v[142:143], v[140:141], 1.0
                                        ; implicit-def: $vgpr140_vgpr141
	s_delay_alu instid0(VALU_DEP_1)
	v_mul_f64 v[148:149], v[144:145], v[146:147]
	v_xor_b32_e32 v147, 0x80000000, v147
.LBB43_122:
	s_and_not1_saveexec_b32 s3, s3
	s_cbranch_execz .LBB43_124
; %bb.123:
	v_div_scale_f64 v[144:145], null, v[140:141], v[140:141], v[142:143]
	v_div_scale_f64 v[150:151], vcc_lo, v[142:143], v[140:141], v[142:143]
	s_delay_alu instid0(VALU_DEP_2) | instskip(SKIP_2) | instid1(VALU_DEP_1)
	v_rcp_f64_e32 v[146:147], v[144:145]
	s_waitcnt_depctr 0xfff
	v_fma_f64 v[148:149], -v[144:145], v[146:147], 1.0
	v_fma_f64 v[146:147], v[146:147], v[148:149], v[146:147]
	s_delay_alu instid0(VALU_DEP_1) | instskip(NEXT) | instid1(VALU_DEP_1)
	v_fma_f64 v[148:149], -v[144:145], v[146:147], 1.0
	v_fma_f64 v[146:147], v[146:147], v[148:149], v[146:147]
	s_delay_alu instid0(VALU_DEP_1) | instskip(NEXT) | instid1(VALU_DEP_1)
	v_mul_f64 v[148:149], v[150:151], v[146:147]
	v_fma_f64 v[144:145], -v[144:145], v[148:149], v[150:151]
	s_delay_alu instid0(VALU_DEP_1) | instskip(NEXT) | instid1(VALU_DEP_1)
	v_div_fmas_f64 v[144:145], v[144:145], v[146:147], v[148:149]
	v_div_fixup_f64 v[144:145], v[144:145], v[140:141], v[142:143]
	s_delay_alu instid0(VALU_DEP_1) | instskip(NEXT) | instid1(VALU_DEP_1)
	v_fma_f64 v[140:141], v[142:143], v[144:145], v[140:141]
	v_div_scale_f64 v[142:143], null, v[140:141], v[140:141], 1.0
	s_delay_alu instid0(VALU_DEP_1) | instskip(SKIP_2) | instid1(VALU_DEP_1)
	v_rcp_f64_e32 v[146:147], v[142:143]
	s_waitcnt_depctr 0xfff
	v_fma_f64 v[148:149], -v[142:143], v[146:147], 1.0
	v_fma_f64 v[146:147], v[146:147], v[148:149], v[146:147]
	s_delay_alu instid0(VALU_DEP_1) | instskip(NEXT) | instid1(VALU_DEP_1)
	v_fma_f64 v[148:149], -v[142:143], v[146:147], 1.0
	v_fma_f64 v[146:147], v[146:147], v[148:149], v[146:147]
	v_div_scale_f64 v[148:149], vcc_lo, 1.0, v[140:141], 1.0
	s_delay_alu instid0(VALU_DEP_1) | instskip(NEXT) | instid1(VALU_DEP_1)
	v_mul_f64 v[150:151], v[148:149], v[146:147]
	v_fma_f64 v[142:143], -v[142:143], v[150:151], v[148:149]
	s_delay_alu instid0(VALU_DEP_1) | instskip(NEXT) | instid1(VALU_DEP_1)
	v_div_fmas_f64 v[142:143], v[142:143], v[146:147], v[150:151]
	v_div_fixup_f64 v[148:149], v[142:143], v[140:141], 1.0
	s_delay_alu instid0(VALU_DEP_1)
	v_mul_f64 v[146:147], v[144:145], -v[148:149]
.LBB43_124:
	s_or_b32 exec_lo, exec_lo, s3
	ds_store_2addr_b64 v225, v[148:149], v[146:147] offset1:1
.LBB43_125:
	s_or_b32 exec_lo, exec_lo, s4
	s_waitcnt lgkmcnt(0)
	s_barrier
	buffer_gl0_inv
	ds_load_2addr_b64 v[140:143], v225 offset1:1
	s_mov_b32 s3, exec_lo
	v_cmpx_lt_u32_e32 13, v224
	s_cbranch_execz .LBB43_127
; %bb.126:
	s_waitcnt lgkmcnt(0)
	v_mul_f64 v[144:145], v[140:141], v[34:35]
	v_mul_f64 v[34:35], v[142:143], v[34:35]
	s_delay_alu instid0(VALU_DEP_2)
	v_fma_f64 v[152:153], v[142:143], v[32:33], v[144:145]
	ds_load_2addr_b64 v[144:147], v226 offset0:28 offset1:29
	ds_load_2addr_b64 v[148:151], v226 offset0:30 offset1:31
	v_fma_f64 v[32:33], v[140:141], v[32:33], -v[34:35]
	s_waitcnt lgkmcnt(1)
	v_mul_f64 v[34:35], v[146:147], v[152:153]
	s_delay_alu instid0(VALU_DEP_1) | instskip(SKIP_1) | instid1(VALU_DEP_2)
	v_fma_f64 v[34:35], v[144:145], v[32:33], -v[34:35]
	v_mul_f64 v[144:145], v[144:145], v[152:153]
	v_add_f64 v[28:29], v[28:29], -v[34:35]
	s_delay_alu instid0(VALU_DEP_2) | instskip(SKIP_3) | instid1(VALU_DEP_3)
	v_fma_f64 v[154:155], v[146:147], v[32:33], v[144:145]
	s_waitcnt lgkmcnt(0)
	v_mul_f64 v[144:145], v[150:151], v[152:153]
	v_dual_mov_b32 v34, v152 :: v_dual_mov_b32 v35, v153
	v_add_f64 v[30:31], v[30:31], -v[154:155]
	s_delay_alu instid0(VALU_DEP_3) | instskip(SKIP_1) | instid1(VALU_DEP_2)
	v_fma_f64 v[156:157], v[148:149], v[32:33], -v[144:145]
	v_mul_f64 v[144:145], v[148:149], v[152:153]
	v_add_f64 v[24:25], v[24:25], -v[156:157]
	s_delay_alu instid0(VALU_DEP_2)
	v_fma_f64 v[158:159], v[150:151], v[32:33], v[144:145]
	ds_load_2addr_b64 v[144:147], v226 offset0:32 offset1:33
	ds_load_2addr_b64 v[148:151], v226 offset0:34 offset1:35
	s_waitcnt lgkmcnt(1)
	v_mul_f64 v[160:161], v[146:147], v[152:153]
	v_add_f64 v[26:27], v[26:27], -v[158:159]
	s_delay_alu instid0(VALU_DEP_2) | instskip(SKIP_1) | instid1(VALU_DEP_2)
	v_fma_f64 v[160:161], v[144:145], v[32:33], -v[160:161]
	v_mul_f64 v[144:145], v[144:145], v[152:153]
	v_add_f64 v[20:21], v[20:21], -v[160:161]
	s_delay_alu instid0(VALU_DEP_2) | instskip(SKIP_2) | instid1(VALU_DEP_2)
	v_fma_f64 v[162:163], v[146:147], v[32:33], v[144:145]
	s_waitcnt lgkmcnt(0)
	v_mul_f64 v[144:145], v[150:151], v[152:153]
	v_add_f64 v[22:23], v[22:23], -v[162:163]
	s_delay_alu instid0(VALU_DEP_2) | instskip(SKIP_1) | instid1(VALU_DEP_2)
	v_fma_f64 v[164:165], v[148:149], v[32:33], -v[144:145]
	v_mul_f64 v[144:145], v[148:149], v[152:153]
	v_add_f64 v[16:17], v[16:17], -v[164:165]
	s_delay_alu instid0(VALU_DEP_2)
	v_fma_f64 v[166:167], v[150:151], v[32:33], v[144:145]
	ds_load_2addr_b64 v[144:147], v226 offset0:36 offset1:37
	ds_load_2addr_b64 v[148:151], v226 offset0:38 offset1:39
	s_waitcnt lgkmcnt(1)
	v_mul_f64 v[168:169], v[146:147], v[152:153]
	v_add_f64 v[18:19], v[18:19], -v[166:167]
	s_delay_alu instid0(VALU_DEP_2) | instskip(SKIP_1) | instid1(VALU_DEP_2)
	v_fma_f64 v[168:169], v[144:145], v[32:33], -v[168:169]
	v_mul_f64 v[144:145], v[144:145], v[152:153]
	v_add_f64 v[12:13], v[12:13], -v[168:169]
	s_delay_alu instid0(VALU_DEP_2) | instskip(SKIP_2) | instid1(VALU_DEP_2)
	v_fma_f64 v[170:171], v[146:147], v[32:33], v[144:145]
	s_waitcnt lgkmcnt(0)
	v_mul_f64 v[144:145], v[150:151], v[152:153]
	v_add_f64 v[14:15], v[14:15], -v[170:171]
	s_delay_alu instid0(VALU_DEP_2) | instskip(SKIP_1) | instid1(VALU_DEP_2)
	;; [unrolled: 20-line block ×3, first 2 shown]
	v_fma_f64 v[146:147], v[148:149], v[32:33], -v[146:147]
	v_mul_f64 v[148:149], v[148:149], v[152:153]
	v_add_f64 v[0:1], v[0:1], -v[146:147]
	s_delay_alu instid0(VALU_DEP_2) | instskip(NEXT) | instid1(VALU_DEP_1)
	v_fma_f64 v[148:149], v[150:151], v[32:33], v[148:149]
	v_add_f64 v[2:3], v[2:3], -v[148:149]
.LBB43_127:
	s_or_b32 exec_lo, exec_lo, s3
	s_delay_alu instid0(SALU_CYCLE_1)
	s_mov_b32 s4, exec_lo
	s_waitcnt lgkmcnt(0)
	s_barrier
	buffer_gl0_inv
	v_cmpx_eq_u32_e32 14, v224
	s_cbranch_execz .LBB43_134
; %bb.128:
	ds_store_2addr_b64 v225, v[28:29], v[30:31] offset1:1
	ds_store_2addr_b64 v226, v[24:25], v[26:27] offset0:30 offset1:31
	ds_store_2addr_b64 v226, v[20:21], v[22:23] offset0:32 offset1:33
	;; [unrolled: 1-line block ×7, first 2 shown]
	ds_load_2addr_b64 v[144:147], v225 offset1:1
	s_waitcnt lgkmcnt(0)
	v_cmp_neq_f64_e32 vcc_lo, 0, v[144:145]
	v_cmp_neq_f64_e64 s3, 0, v[146:147]
	s_delay_alu instid0(VALU_DEP_1) | instskip(NEXT) | instid1(SALU_CYCLE_1)
	s_or_b32 s3, vcc_lo, s3
	s_and_b32 exec_lo, exec_lo, s3
	s_cbranch_execz .LBB43_134
; %bb.129:
	v_cmp_gt_f64_e32 vcc_lo, 0, v[144:145]
	v_cmp_gt_f64_e64 s3, 0, v[146:147]
	v_xor_b32_e32 v148, 0x80000000, v145
	v_xor_b32_e32 v150, 0x80000000, v147
                                        ; implicit-def: $vgpr152_vgpr153
	s_delay_alu instid0(VALU_DEP_2) | instskip(NEXT) | instid1(VALU_DEP_2)
	v_cndmask_b32_e32 v149, v145, v148, vcc_lo
	v_cndmask_b32_e64 v151, v147, v150, s3
	v_cndmask_b32_e32 v148, v144, v144, vcc_lo
	v_cndmask_b32_e64 v150, v146, v146, s3
	s_mov_b32 s3, exec_lo
	s_delay_alu instid0(VALU_DEP_1)
	v_cmpx_ngt_f64_e32 v[148:149], v[150:151]
	s_xor_b32 s3, exec_lo, s3
                                        ; implicit-def: $vgpr148_vgpr149_vgpr150_vgpr151
	s_cbranch_execz .LBB43_131
; %bb.130:
	v_div_scale_f64 v[148:149], null, v[146:147], v[146:147], v[144:145]
	v_div_scale_f64 v[154:155], vcc_lo, v[144:145], v[146:147], v[144:145]
	s_delay_alu instid0(VALU_DEP_2) | instskip(SKIP_2) | instid1(VALU_DEP_1)
	v_rcp_f64_e32 v[150:151], v[148:149]
	s_waitcnt_depctr 0xfff
	v_fma_f64 v[152:153], -v[148:149], v[150:151], 1.0
	v_fma_f64 v[150:151], v[150:151], v[152:153], v[150:151]
	s_delay_alu instid0(VALU_DEP_1) | instskip(NEXT) | instid1(VALU_DEP_1)
	v_fma_f64 v[152:153], -v[148:149], v[150:151], 1.0
	v_fma_f64 v[150:151], v[150:151], v[152:153], v[150:151]
	s_delay_alu instid0(VALU_DEP_1) | instskip(NEXT) | instid1(VALU_DEP_1)
	v_mul_f64 v[152:153], v[154:155], v[150:151]
	v_fma_f64 v[148:149], -v[148:149], v[152:153], v[154:155]
	s_delay_alu instid0(VALU_DEP_1) | instskip(NEXT) | instid1(VALU_DEP_1)
	v_div_fmas_f64 v[148:149], v[148:149], v[150:151], v[152:153]
	v_div_fixup_f64 v[148:149], v[148:149], v[146:147], v[144:145]
	s_delay_alu instid0(VALU_DEP_1) | instskip(NEXT) | instid1(VALU_DEP_1)
	v_fma_f64 v[144:145], v[144:145], v[148:149], v[146:147]
	v_div_scale_f64 v[146:147], null, v[144:145], v[144:145], 1.0
	s_delay_alu instid0(VALU_DEP_1) | instskip(SKIP_2) | instid1(VALU_DEP_1)
	v_rcp_f64_e32 v[150:151], v[146:147]
	s_waitcnt_depctr 0xfff
	v_fma_f64 v[152:153], -v[146:147], v[150:151], 1.0
	v_fma_f64 v[150:151], v[150:151], v[152:153], v[150:151]
	s_delay_alu instid0(VALU_DEP_1) | instskip(NEXT) | instid1(VALU_DEP_1)
	v_fma_f64 v[152:153], -v[146:147], v[150:151], 1.0
	v_fma_f64 v[150:151], v[150:151], v[152:153], v[150:151]
	v_div_scale_f64 v[152:153], vcc_lo, 1.0, v[144:145], 1.0
	s_delay_alu instid0(VALU_DEP_1) | instskip(NEXT) | instid1(VALU_DEP_1)
	v_mul_f64 v[154:155], v[152:153], v[150:151]
	v_fma_f64 v[146:147], -v[146:147], v[154:155], v[152:153]
	s_delay_alu instid0(VALU_DEP_1) | instskip(NEXT) | instid1(VALU_DEP_1)
	v_div_fmas_f64 v[146:147], v[146:147], v[150:151], v[154:155]
	v_div_fixup_f64 v[150:151], v[146:147], v[144:145], 1.0
                                        ; implicit-def: $vgpr144_vgpr145
	s_delay_alu instid0(VALU_DEP_1)
	v_mul_f64 v[152:153], v[148:149], v[150:151]
	v_xor_b32_e32 v151, 0x80000000, v151
.LBB43_131:
	s_and_not1_saveexec_b32 s3, s3
	s_cbranch_execz .LBB43_133
; %bb.132:
	v_div_scale_f64 v[148:149], null, v[144:145], v[144:145], v[146:147]
	v_div_scale_f64 v[154:155], vcc_lo, v[146:147], v[144:145], v[146:147]
	s_delay_alu instid0(VALU_DEP_2) | instskip(SKIP_2) | instid1(VALU_DEP_1)
	v_rcp_f64_e32 v[150:151], v[148:149]
	s_waitcnt_depctr 0xfff
	v_fma_f64 v[152:153], -v[148:149], v[150:151], 1.0
	v_fma_f64 v[150:151], v[150:151], v[152:153], v[150:151]
	s_delay_alu instid0(VALU_DEP_1) | instskip(NEXT) | instid1(VALU_DEP_1)
	v_fma_f64 v[152:153], -v[148:149], v[150:151], 1.0
	v_fma_f64 v[150:151], v[150:151], v[152:153], v[150:151]
	s_delay_alu instid0(VALU_DEP_1) | instskip(NEXT) | instid1(VALU_DEP_1)
	v_mul_f64 v[152:153], v[154:155], v[150:151]
	v_fma_f64 v[148:149], -v[148:149], v[152:153], v[154:155]
	s_delay_alu instid0(VALU_DEP_1) | instskip(NEXT) | instid1(VALU_DEP_1)
	v_div_fmas_f64 v[148:149], v[148:149], v[150:151], v[152:153]
	v_div_fixup_f64 v[148:149], v[148:149], v[144:145], v[146:147]
	s_delay_alu instid0(VALU_DEP_1) | instskip(NEXT) | instid1(VALU_DEP_1)
	v_fma_f64 v[144:145], v[146:147], v[148:149], v[144:145]
	v_div_scale_f64 v[146:147], null, v[144:145], v[144:145], 1.0
	s_delay_alu instid0(VALU_DEP_1) | instskip(SKIP_2) | instid1(VALU_DEP_1)
	v_rcp_f64_e32 v[150:151], v[146:147]
	s_waitcnt_depctr 0xfff
	v_fma_f64 v[152:153], -v[146:147], v[150:151], 1.0
	v_fma_f64 v[150:151], v[150:151], v[152:153], v[150:151]
	s_delay_alu instid0(VALU_DEP_1) | instskip(NEXT) | instid1(VALU_DEP_1)
	v_fma_f64 v[152:153], -v[146:147], v[150:151], 1.0
	v_fma_f64 v[150:151], v[150:151], v[152:153], v[150:151]
	v_div_scale_f64 v[152:153], vcc_lo, 1.0, v[144:145], 1.0
	s_delay_alu instid0(VALU_DEP_1) | instskip(NEXT) | instid1(VALU_DEP_1)
	v_mul_f64 v[154:155], v[152:153], v[150:151]
	v_fma_f64 v[146:147], -v[146:147], v[154:155], v[152:153]
	s_delay_alu instid0(VALU_DEP_1) | instskip(NEXT) | instid1(VALU_DEP_1)
	v_div_fmas_f64 v[146:147], v[146:147], v[150:151], v[154:155]
	v_div_fixup_f64 v[152:153], v[146:147], v[144:145], 1.0
	s_delay_alu instid0(VALU_DEP_1)
	v_mul_f64 v[150:151], v[148:149], -v[152:153]
.LBB43_133:
	s_or_b32 exec_lo, exec_lo, s3
	ds_store_2addr_b64 v225, v[152:153], v[150:151] offset1:1
.LBB43_134:
	s_or_b32 exec_lo, exec_lo, s4
	s_waitcnt lgkmcnt(0)
	s_barrier
	buffer_gl0_inv
	ds_load_2addr_b64 v[144:147], v225 offset1:1
	s_mov_b32 s3, exec_lo
	v_cmpx_lt_u32_e32 14, v224
	s_cbranch_execz .LBB43_136
; %bb.135:
	s_waitcnt lgkmcnt(0)
	v_mul_f64 v[148:149], v[144:145], v[30:31]
	v_mul_f64 v[30:31], v[146:147], v[30:31]
	s_delay_alu instid0(VALU_DEP_2)
	v_fma_f64 v[222:223], v[146:147], v[28:29], v[148:149]
	ds_load_2addr_b64 v[148:151], v226 offset0:30 offset1:31
	ds_load_2addr_b64 v[152:155], v226 offset0:32 offset1:33
	;; [unrolled: 1-line block ×7, first 2 shown]
	v_fma_f64 v[28:29], v[144:145], v[28:29], -v[30:31]
	s_waitcnt lgkmcnt(6)
	v_mul_f64 v[30:31], v[150:151], v[222:223]
	v_mul_f64 v[227:228], v[148:149], v[222:223]
	s_waitcnt lgkmcnt(5)
	v_mul_f64 v[229:230], v[154:155], v[222:223]
	v_mul_f64 v[231:232], v[152:153], v[222:223]
	;; [unrolled: 3-line block ×7, first 2 shown]
	v_fma_f64 v[30:31], v[148:149], v[28:29], -v[30:31]
	v_fma_f64 v[148:149], v[150:151], v[28:29], v[227:228]
	v_fma_f64 v[150:151], v[152:153], v[28:29], -v[229:230]
	v_fma_f64 v[152:153], v[154:155], v[28:29], v[231:232]
	;; [unrolled: 2-line block ×7, first 2 shown]
	v_add_f64 v[24:25], v[24:25], -v[30:31]
	v_add_f64 v[26:27], v[26:27], -v[148:149]
	;; [unrolled: 1-line block ×14, first 2 shown]
	v_dual_mov_b32 v30, v222 :: v_dual_mov_b32 v31, v223
.LBB43_136:
	s_or_b32 exec_lo, exec_lo, s3
	s_delay_alu instid0(SALU_CYCLE_1)
	s_mov_b32 s4, exec_lo
	s_waitcnt lgkmcnt(0)
	s_barrier
	buffer_gl0_inv
	v_cmpx_eq_u32_e32 15, v224
	s_cbranch_execz .LBB43_143
; %bb.137:
	ds_store_2addr_b64 v225, v[24:25], v[26:27] offset1:1
	ds_store_2addr_b64 v226, v[20:21], v[22:23] offset0:32 offset1:33
	ds_store_2addr_b64 v226, v[16:17], v[18:19] offset0:34 offset1:35
	ds_store_2addr_b64 v226, v[12:13], v[14:15] offset0:36 offset1:37
	ds_store_2addr_b64 v226, v[8:9], v[10:11] offset0:38 offset1:39
	ds_store_2addr_b64 v226, v[4:5], v[6:7] offset0:40 offset1:41
	ds_store_2addr_b64 v226, v[0:1], v[2:3] offset0:42 offset1:43
	ds_load_2addr_b64 v[148:151], v225 offset1:1
	s_waitcnt lgkmcnt(0)
	v_cmp_neq_f64_e32 vcc_lo, 0, v[148:149]
	v_cmp_neq_f64_e64 s3, 0, v[150:151]
	s_delay_alu instid0(VALU_DEP_1) | instskip(NEXT) | instid1(SALU_CYCLE_1)
	s_or_b32 s3, vcc_lo, s3
	s_and_b32 exec_lo, exec_lo, s3
	s_cbranch_execz .LBB43_143
; %bb.138:
	v_cmp_gt_f64_e32 vcc_lo, 0, v[148:149]
	v_cmp_gt_f64_e64 s3, 0, v[150:151]
	v_xor_b32_e32 v152, 0x80000000, v149
	v_xor_b32_e32 v154, 0x80000000, v151
                                        ; implicit-def: $vgpr156_vgpr157
	s_delay_alu instid0(VALU_DEP_2) | instskip(NEXT) | instid1(VALU_DEP_2)
	v_cndmask_b32_e32 v153, v149, v152, vcc_lo
	v_cndmask_b32_e64 v155, v151, v154, s3
	v_cndmask_b32_e32 v152, v148, v148, vcc_lo
	v_cndmask_b32_e64 v154, v150, v150, s3
	s_mov_b32 s3, exec_lo
	s_delay_alu instid0(VALU_DEP_1)
	v_cmpx_ngt_f64_e32 v[152:153], v[154:155]
	s_xor_b32 s3, exec_lo, s3
                                        ; implicit-def: $vgpr152_vgpr153_vgpr154_vgpr155
	s_cbranch_execz .LBB43_140
; %bb.139:
	v_div_scale_f64 v[152:153], null, v[150:151], v[150:151], v[148:149]
	v_div_scale_f64 v[158:159], vcc_lo, v[148:149], v[150:151], v[148:149]
	s_delay_alu instid0(VALU_DEP_2) | instskip(SKIP_2) | instid1(VALU_DEP_1)
	v_rcp_f64_e32 v[154:155], v[152:153]
	s_waitcnt_depctr 0xfff
	v_fma_f64 v[156:157], -v[152:153], v[154:155], 1.0
	v_fma_f64 v[154:155], v[154:155], v[156:157], v[154:155]
	s_delay_alu instid0(VALU_DEP_1) | instskip(NEXT) | instid1(VALU_DEP_1)
	v_fma_f64 v[156:157], -v[152:153], v[154:155], 1.0
	v_fma_f64 v[154:155], v[154:155], v[156:157], v[154:155]
	s_delay_alu instid0(VALU_DEP_1) | instskip(NEXT) | instid1(VALU_DEP_1)
	v_mul_f64 v[156:157], v[158:159], v[154:155]
	v_fma_f64 v[152:153], -v[152:153], v[156:157], v[158:159]
	s_delay_alu instid0(VALU_DEP_1) | instskip(NEXT) | instid1(VALU_DEP_1)
	v_div_fmas_f64 v[152:153], v[152:153], v[154:155], v[156:157]
	v_div_fixup_f64 v[152:153], v[152:153], v[150:151], v[148:149]
	s_delay_alu instid0(VALU_DEP_1) | instskip(NEXT) | instid1(VALU_DEP_1)
	v_fma_f64 v[148:149], v[148:149], v[152:153], v[150:151]
	v_div_scale_f64 v[150:151], null, v[148:149], v[148:149], 1.0
	s_delay_alu instid0(VALU_DEP_1) | instskip(SKIP_2) | instid1(VALU_DEP_1)
	v_rcp_f64_e32 v[154:155], v[150:151]
	s_waitcnt_depctr 0xfff
	v_fma_f64 v[156:157], -v[150:151], v[154:155], 1.0
	v_fma_f64 v[154:155], v[154:155], v[156:157], v[154:155]
	s_delay_alu instid0(VALU_DEP_1) | instskip(NEXT) | instid1(VALU_DEP_1)
	v_fma_f64 v[156:157], -v[150:151], v[154:155], 1.0
	v_fma_f64 v[154:155], v[154:155], v[156:157], v[154:155]
	v_div_scale_f64 v[156:157], vcc_lo, 1.0, v[148:149], 1.0
	s_delay_alu instid0(VALU_DEP_1) | instskip(NEXT) | instid1(VALU_DEP_1)
	v_mul_f64 v[158:159], v[156:157], v[154:155]
	v_fma_f64 v[150:151], -v[150:151], v[158:159], v[156:157]
	s_delay_alu instid0(VALU_DEP_1) | instskip(NEXT) | instid1(VALU_DEP_1)
	v_div_fmas_f64 v[150:151], v[150:151], v[154:155], v[158:159]
	v_div_fixup_f64 v[154:155], v[150:151], v[148:149], 1.0
                                        ; implicit-def: $vgpr148_vgpr149
	s_delay_alu instid0(VALU_DEP_1)
	v_mul_f64 v[156:157], v[152:153], v[154:155]
	v_xor_b32_e32 v155, 0x80000000, v155
.LBB43_140:
	s_and_not1_saveexec_b32 s3, s3
	s_cbranch_execz .LBB43_142
; %bb.141:
	v_div_scale_f64 v[152:153], null, v[148:149], v[148:149], v[150:151]
	v_div_scale_f64 v[158:159], vcc_lo, v[150:151], v[148:149], v[150:151]
	s_delay_alu instid0(VALU_DEP_2) | instskip(SKIP_2) | instid1(VALU_DEP_1)
	v_rcp_f64_e32 v[154:155], v[152:153]
	s_waitcnt_depctr 0xfff
	v_fma_f64 v[156:157], -v[152:153], v[154:155], 1.0
	v_fma_f64 v[154:155], v[154:155], v[156:157], v[154:155]
	s_delay_alu instid0(VALU_DEP_1) | instskip(NEXT) | instid1(VALU_DEP_1)
	v_fma_f64 v[156:157], -v[152:153], v[154:155], 1.0
	v_fma_f64 v[154:155], v[154:155], v[156:157], v[154:155]
	s_delay_alu instid0(VALU_DEP_1) | instskip(NEXT) | instid1(VALU_DEP_1)
	v_mul_f64 v[156:157], v[158:159], v[154:155]
	v_fma_f64 v[152:153], -v[152:153], v[156:157], v[158:159]
	s_delay_alu instid0(VALU_DEP_1) | instskip(NEXT) | instid1(VALU_DEP_1)
	v_div_fmas_f64 v[152:153], v[152:153], v[154:155], v[156:157]
	v_div_fixup_f64 v[152:153], v[152:153], v[148:149], v[150:151]
	s_delay_alu instid0(VALU_DEP_1) | instskip(NEXT) | instid1(VALU_DEP_1)
	v_fma_f64 v[148:149], v[150:151], v[152:153], v[148:149]
	v_div_scale_f64 v[150:151], null, v[148:149], v[148:149], 1.0
	s_delay_alu instid0(VALU_DEP_1) | instskip(SKIP_2) | instid1(VALU_DEP_1)
	v_rcp_f64_e32 v[154:155], v[150:151]
	s_waitcnt_depctr 0xfff
	v_fma_f64 v[156:157], -v[150:151], v[154:155], 1.0
	v_fma_f64 v[154:155], v[154:155], v[156:157], v[154:155]
	s_delay_alu instid0(VALU_DEP_1) | instskip(NEXT) | instid1(VALU_DEP_1)
	v_fma_f64 v[156:157], -v[150:151], v[154:155], 1.0
	v_fma_f64 v[154:155], v[154:155], v[156:157], v[154:155]
	v_div_scale_f64 v[156:157], vcc_lo, 1.0, v[148:149], 1.0
	s_delay_alu instid0(VALU_DEP_1) | instskip(NEXT) | instid1(VALU_DEP_1)
	v_mul_f64 v[158:159], v[156:157], v[154:155]
	v_fma_f64 v[150:151], -v[150:151], v[158:159], v[156:157]
	s_delay_alu instid0(VALU_DEP_1) | instskip(NEXT) | instid1(VALU_DEP_1)
	v_div_fmas_f64 v[150:151], v[150:151], v[154:155], v[158:159]
	v_div_fixup_f64 v[156:157], v[150:151], v[148:149], 1.0
	s_delay_alu instid0(VALU_DEP_1)
	v_mul_f64 v[154:155], v[152:153], -v[156:157]
.LBB43_142:
	s_or_b32 exec_lo, exec_lo, s3
	ds_store_2addr_b64 v225, v[156:157], v[154:155] offset1:1
.LBB43_143:
	s_or_b32 exec_lo, exec_lo, s4
	s_waitcnt lgkmcnt(0)
	s_barrier
	buffer_gl0_inv
	ds_load_2addr_b64 v[148:151], v225 offset1:1
	s_mov_b32 s3, exec_lo
	v_cmpx_lt_u32_e32 15, v224
	s_cbranch_execz .LBB43_145
; %bb.144:
	s_waitcnt lgkmcnt(0)
	v_mul_f64 v[152:153], v[148:149], v[26:27]
	v_mul_f64 v[26:27], v[150:151], v[26:27]
	s_delay_alu instid0(VALU_DEP_2)
	v_fma_f64 v[222:223], v[150:151], v[24:25], v[152:153]
	ds_load_2addr_b64 v[152:155], v226 offset0:32 offset1:33
	ds_load_2addr_b64 v[156:159], v226 offset0:34 offset1:35
	;; [unrolled: 1-line block ×6, first 2 shown]
	v_fma_f64 v[24:25], v[148:149], v[24:25], -v[26:27]
	s_waitcnt lgkmcnt(5)
	v_mul_f64 v[26:27], v[154:155], v[222:223]
	v_mul_f64 v[227:228], v[152:153], v[222:223]
	s_waitcnt lgkmcnt(4)
	v_mul_f64 v[229:230], v[158:159], v[222:223]
	v_mul_f64 v[231:232], v[156:157], v[222:223]
	;; [unrolled: 3-line block ×6, first 2 shown]
	v_fma_f64 v[26:27], v[152:153], v[24:25], -v[26:27]
	v_fma_f64 v[152:153], v[154:155], v[24:25], v[227:228]
	v_fma_f64 v[154:155], v[156:157], v[24:25], -v[229:230]
	v_fma_f64 v[156:157], v[158:159], v[24:25], v[231:232]
	;; [unrolled: 2-line block ×6, first 2 shown]
	v_add_f64 v[20:21], v[20:21], -v[26:27]
	v_add_f64 v[22:23], v[22:23], -v[152:153]
	;; [unrolled: 1-line block ×12, first 2 shown]
	v_dual_mov_b32 v26, v222 :: v_dual_mov_b32 v27, v223
.LBB43_145:
	s_or_b32 exec_lo, exec_lo, s3
	s_delay_alu instid0(SALU_CYCLE_1)
	s_mov_b32 s4, exec_lo
	s_waitcnt lgkmcnt(0)
	s_barrier
	buffer_gl0_inv
	v_cmpx_eq_u32_e32 16, v224
	s_cbranch_execz .LBB43_152
; %bb.146:
	ds_store_2addr_b64 v225, v[20:21], v[22:23] offset1:1
	ds_store_2addr_b64 v226, v[16:17], v[18:19] offset0:34 offset1:35
	ds_store_2addr_b64 v226, v[12:13], v[14:15] offset0:36 offset1:37
	;; [unrolled: 1-line block ×5, first 2 shown]
	ds_load_2addr_b64 v[152:155], v225 offset1:1
	s_waitcnt lgkmcnt(0)
	v_cmp_neq_f64_e32 vcc_lo, 0, v[152:153]
	v_cmp_neq_f64_e64 s3, 0, v[154:155]
	s_delay_alu instid0(VALU_DEP_1) | instskip(NEXT) | instid1(SALU_CYCLE_1)
	s_or_b32 s3, vcc_lo, s3
	s_and_b32 exec_lo, exec_lo, s3
	s_cbranch_execz .LBB43_152
; %bb.147:
	v_cmp_gt_f64_e32 vcc_lo, 0, v[152:153]
	v_cmp_gt_f64_e64 s3, 0, v[154:155]
	v_xor_b32_e32 v156, 0x80000000, v153
	v_xor_b32_e32 v158, 0x80000000, v155
                                        ; implicit-def: $vgpr160_vgpr161
	s_delay_alu instid0(VALU_DEP_2) | instskip(NEXT) | instid1(VALU_DEP_2)
	v_cndmask_b32_e32 v157, v153, v156, vcc_lo
	v_cndmask_b32_e64 v159, v155, v158, s3
	v_cndmask_b32_e32 v156, v152, v152, vcc_lo
	v_cndmask_b32_e64 v158, v154, v154, s3
	s_mov_b32 s3, exec_lo
	s_delay_alu instid0(VALU_DEP_1)
	v_cmpx_ngt_f64_e32 v[156:157], v[158:159]
	s_xor_b32 s3, exec_lo, s3
                                        ; implicit-def: $vgpr156_vgpr157_vgpr158_vgpr159
	s_cbranch_execz .LBB43_149
; %bb.148:
	v_div_scale_f64 v[156:157], null, v[154:155], v[154:155], v[152:153]
	v_div_scale_f64 v[162:163], vcc_lo, v[152:153], v[154:155], v[152:153]
	s_delay_alu instid0(VALU_DEP_2) | instskip(SKIP_2) | instid1(VALU_DEP_1)
	v_rcp_f64_e32 v[158:159], v[156:157]
	s_waitcnt_depctr 0xfff
	v_fma_f64 v[160:161], -v[156:157], v[158:159], 1.0
	v_fma_f64 v[158:159], v[158:159], v[160:161], v[158:159]
	s_delay_alu instid0(VALU_DEP_1) | instskip(NEXT) | instid1(VALU_DEP_1)
	v_fma_f64 v[160:161], -v[156:157], v[158:159], 1.0
	v_fma_f64 v[158:159], v[158:159], v[160:161], v[158:159]
	s_delay_alu instid0(VALU_DEP_1) | instskip(NEXT) | instid1(VALU_DEP_1)
	v_mul_f64 v[160:161], v[162:163], v[158:159]
	v_fma_f64 v[156:157], -v[156:157], v[160:161], v[162:163]
	s_delay_alu instid0(VALU_DEP_1) | instskip(NEXT) | instid1(VALU_DEP_1)
	v_div_fmas_f64 v[156:157], v[156:157], v[158:159], v[160:161]
	v_div_fixup_f64 v[156:157], v[156:157], v[154:155], v[152:153]
	s_delay_alu instid0(VALU_DEP_1) | instskip(NEXT) | instid1(VALU_DEP_1)
	v_fma_f64 v[152:153], v[152:153], v[156:157], v[154:155]
	v_div_scale_f64 v[154:155], null, v[152:153], v[152:153], 1.0
	s_delay_alu instid0(VALU_DEP_1) | instskip(SKIP_2) | instid1(VALU_DEP_1)
	v_rcp_f64_e32 v[158:159], v[154:155]
	s_waitcnt_depctr 0xfff
	v_fma_f64 v[160:161], -v[154:155], v[158:159], 1.0
	v_fma_f64 v[158:159], v[158:159], v[160:161], v[158:159]
	s_delay_alu instid0(VALU_DEP_1) | instskip(NEXT) | instid1(VALU_DEP_1)
	v_fma_f64 v[160:161], -v[154:155], v[158:159], 1.0
	v_fma_f64 v[158:159], v[158:159], v[160:161], v[158:159]
	v_div_scale_f64 v[160:161], vcc_lo, 1.0, v[152:153], 1.0
	s_delay_alu instid0(VALU_DEP_1) | instskip(NEXT) | instid1(VALU_DEP_1)
	v_mul_f64 v[162:163], v[160:161], v[158:159]
	v_fma_f64 v[154:155], -v[154:155], v[162:163], v[160:161]
	s_delay_alu instid0(VALU_DEP_1) | instskip(NEXT) | instid1(VALU_DEP_1)
	v_div_fmas_f64 v[154:155], v[154:155], v[158:159], v[162:163]
	v_div_fixup_f64 v[158:159], v[154:155], v[152:153], 1.0
                                        ; implicit-def: $vgpr152_vgpr153
	s_delay_alu instid0(VALU_DEP_1)
	v_mul_f64 v[160:161], v[156:157], v[158:159]
	v_xor_b32_e32 v159, 0x80000000, v159
.LBB43_149:
	s_and_not1_saveexec_b32 s3, s3
	s_cbranch_execz .LBB43_151
; %bb.150:
	v_div_scale_f64 v[156:157], null, v[152:153], v[152:153], v[154:155]
	v_div_scale_f64 v[162:163], vcc_lo, v[154:155], v[152:153], v[154:155]
	s_delay_alu instid0(VALU_DEP_2) | instskip(SKIP_2) | instid1(VALU_DEP_1)
	v_rcp_f64_e32 v[158:159], v[156:157]
	s_waitcnt_depctr 0xfff
	v_fma_f64 v[160:161], -v[156:157], v[158:159], 1.0
	v_fma_f64 v[158:159], v[158:159], v[160:161], v[158:159]
	s_delay_alu instid0(VALU_DEP_1) | instskip(NEXT) | instid1(VALU_DEP_1)
	v_fma_f64 v[160:161], -v[156:157], v[158:159], 1.0
	v_fma_f64 v[158:159], v[158:159], v[160:161], v[158:159]
	s_delay_alu instid0(VALU_DEP_1) | instskip(NEXT) | instid1(VALU_DEP_1)
	v_mul_f64 v[160:161], v[162:163], v[158:159]
	v_fma_f64 v[156:157], -v[156:157], v[160:161], v[162:163]
	s_delay_alu instid0(VALU_DEP_1) | instskip(NEXT) | instid1(VALU_DEP_1)
	v_div_fmas_f64 v[156:157], v[156:157], v[158:159], v[160:161]
	v_div_fixup_f64 v[156:157], v[156:157], v[152:153], v[154:155]
	s_delay_alu instid0(VALU_DEP_1) | instskip(NEXT) | instid1(VALU_DEP_1)
	v_fma_f64 v[152:153], v[154:155], v[156:157], v[152:153]
	v_div_scale_f64 v[154:155], null, v[152:153], v[152:153], 1.0
	s_delay_alu instid0(VALU_DEP_1) | instskip(SKIP_2) | instid1(VALU_DEP_1)
	v_rcp_f64_e32 v[158:159], v[154:155]
	s_waitcnt_depctr 0xfff
	v_fma_f64 v[160:161], -v[154:155], v[158:159], 1.0
	v_fma_f64 v[158:159], v[158:159], v[160:161], v[158:159]
	s_delay_alu instid0(VALU_DEP_1) | instskip(NEXT) | instid1(VALU_DEP_1)
	v_fma_f64 v[160:161], -v[154:155], v[158:159], 1.0
	v_fma_f64 v[158:159], v[158:159], v[160:161], v[158:159]
	v_div_scale_f64 v[160:161], vcc_lo, 1.0, v[152:153], 1.0
	s_delay_alu instid0(VALU_DEP_1) | instskip(NEXT) | instid1(VALU_DEP_1)
	v_mul_f64 v[162:163], v[160:161], v[158:159]
	v_fma_f64 v[154:155], -v[154:155], v[162:163], v[160:161]
	s_delay_alu instid0(VALU_DEP_1) | instskip(NEXT) | instid1(VALU_DEP_1)
	v_div_fmas_f64 v[154:155], v[154:155], v[158:159], v[162:163]
	v_div_fixup_f64 v[160:161], v[154:155], v[152:153], 1.0
	s_delay_alu instid0(VALU_DEP_1)
	v_mul_f64 v[158:159], v[156:157], -v[160:161]
.LBB43_151:
	s_or_b32 exec_lo, exec_lo, s3
	ds_store_2addr_b64 v225, v[160:161], v[158:159] offset1:1
.LBB43_152:
	s_or_b32 exec_lo, exec_lo, s4
	s_waitcnt lgkmcnt(0)
	s_barrier
	buffer_gl0_inv
	ds_load_2addr_b64 v[152:155], v225 offset1:1
	s_mov_b32 s3, exec_lo
	v_cmpx_lt_u32_e32 16, v224
	s_cbranch_execz .LBB43_154
; %bb.153:
	s_waitcnt lgkmcnt(0)
	v_mul_f64 v[156:157], v[152:153], v[22:23]
	v_mul_f64 v[22:23], v[154:155], v[22:23]
	s_delay_alu instid0(VALU_DEP_2)
	v_fma_f64 v[222:223], v[154:155], v[20:21], v[156:157]
	ds_load_2addr_b64 v[156:159], v226 offset0:34 offset1:35
	ds_load_2addr_b64 v[160:163], v226 offset0:36 offset1:37
	;; [unrolled: 1-line block ×5, first 2 shown]
	v_fma_f64 v[20:21], v[152:153], v[20:21], -v[22:23]
	s_waitcnt lgkmcnt(4)
	v_mul_f64 v[22:23], v[158:159], v[222:223]
	v_mul_f64 v[227:228], v[156:157], v[222:223]
	s_waitcnt lgkmcnt(3)
	v_mul_f64 v[229:230], v[162:163], v[222:223]
	v_mul_f64 v[231:232], v[160:161], v[222:223]
	;; [unrolled: 3-line block ×5, first 2 shown]
	v_fma_f64 v[22:23], v[156:157], v[20:21], -v[22:23]
	v_fma_f64 v[156:157], v[158:159], v[20:21], v[227:228]
	v_fma_f64 v[158:159], v[160:161], v[20:21], -v[229:230]
	v_fma_f64 v[160:161], v[162:163], v[20:21], v[231:232]
	;; [unrolled: 2-line block ×5, first 2 shown]
	v_add_f64 v[16:17], v[16:17], -v[22:23]
	v_add_f64 v[18:19], v[18:19], -v[156:157]
	;; [unrolled: 1-line block ×10, first 2 shown]
	v_dual_mov_b32 v22, v222 :: v_dual_mov_b32 v23, v223
.LBB43_154:
	s_or_b32 exec_lo, exec_lo, s3
	s_delay_alu instid0(SALU_CYCLE_1)
	s_mov_b32 s4, exec_lo
	s_waitcnt lgkmcnt(0)
	s_barrier
	buffer_gl0_inv
	v_cmpx_eq_u32_e32 17, v224
	s_cbranch_execz .LBB43_161
; %bb.155:
	ds_store_2addr_b64 v225, v[16:17], v[18:19] offset1:1
	ds_store_2addr_b64 v226, v[12:13], v[14:15] offset0:36 offset1:37
	ds_store_2addr_b64 v226, v[8:9], v[10:11] offset0:38 offset1:39
	ds_store_2addr_b64 v226, v[4:5], v[6:7] offset0:40 offset1:41
	ds_store_2addr_b64 v226, v[0:1], v[2:3] offset0:42 offset1:43
	ds_load_2addr_b64 v[156:159], v225 offset1:1
	s_waitcnt lgkmcnt(0)
	v_cmp_neq_f64_e32 vcc_lo, 0, v[156:157]
	v_cmp_neq_f64_e64 s3, 0, v[158:159]
	s_delay_alu instid0(VALU_DEP_1) | instskip(NEXT) | instid1(SALU_CYCLE_1)
	s_or_b32 s3, vcc_lo, s3
	s_and_b32 exec_lo, exec_lo, s3
	s_cbranch_execz .LBB43_161
; %bb.156:
	v_cmp_gt_f64_e32 vcc_lo, 0, v[156:157]
	v_cmp_gt_f64_e64 s3, 0, v[158:159]
	v_xor_b32_e32 v160, 0x80000000, v157
	v_xor_b32_e32 v162, 0x80000000, v159
                                        ; implicit-def: $vgpr164_vgpr165
	s_delay_alu instid0(VALU_DEP_2) | instskip(NEXT) | instid1(VALU_DEP_2)
	v_cndmask_b32_e32 v161, v157, v160, vcc_lo
	v_cndmask_b32_e64 v163, v159, v162, s3
	v_cndmask_b32_e32 v160, v156, v156, vcc_lo
	v_cndmask_b32_e64 v162, v158, v158, s3
	s_mov_b32 s3, exec_lo
	s_delay_alu instid0(VALU_DEP_1)
	v_cmpx_ngt_f64_e32 v[160:161], v[162:163]
	s_xor_b32 s3, exec_lo, s3
                                        ; implicit-def: $vgpr160_vgpr161_vgpr162_vgpr163
	s_cbranch_execz .LBB43_158
; %bb.157:
	v_div_scale_f64 v[160:161], null, v[158:159], v[158:159], v[156:157]
	v_div_scale_f64 v[166:167], vcc_lo, v[156:157], v[158:159], v[156:157]
	s_delay_alu instid0(VALU_DEP_2) | instskip(SKIP_2) | instid1(VALU_DEP_1)
	v_rcp_f64_e32 v[162:163], v[160:161]
	s_waitcnt_depctr 0xfff
	v_fma_f64 v[164:165], -v[160:161], v[162:163], 1.0
	v_fma_f64 v[162:163], v[162:163], v[164:165], v[162:163]
	s_delay_alu instid0(VALU_DEP_1) | instskip(NEXT) | instid1(VALU_DEP_1)
	v_fma_f64 v[164:165], -v[160:161], v[162:163], 1.0
	v_fma_f64 v[162:163], v[162:163], v[164:165], v[162:163]
	s_delay_alu instid0(VALU_DEP_1) | instskip(NEXT) | instid1(VALU_DEP_1)
	v_mul_f64 v[164:165], v[166:167], v[162:163]
	v_fma_f64 v[160:161], -v[160:161], v[164:165], v[166:167]
	s_delay_alu instid0(VALU_DEP_1) | instskip(NEXT) | instid1(VALU_DEP_1)
	v_div_fmas_f64 v[160:161], v[160:161], v[162:163], v[164:165]
	v_div_fixup_f64 v[160:161], v[160:161], v[158:159], v[156:157]
	s_delay_alu instid0(VALU_DEP_1) | instskip(NEXT) | instid1(VALU_DEP_1)
	v_fma_f64 v[156:157], v[156:157], v[160:161], v[158:159]
	v_div_scale_f64 v[158:159], null, v[156:157], v[156:157], 1.0
	s_delay_alu instid0(VALU_DEP_1) | instskip(SKIP_2) | instid1(VALU_DEP_1)
	v_rcp_f64_e32 v[162:163], v[158:159]
	s_waitcnt_depctr 0xfff
	v_fma_f64 v[164:165], -v[158:159], v[162:163], 1.0
	v_fma_f64 v[162:163], v[162:163], v[164:165], v[162:163]
	s_delay_alu instid0(VALU_DEP_1) | instskip(NEXT) | instid1(VALU_DEP_1)
	v_fma_f64 v[164:165], -v[158:159], v[162:163], 1.0
	v_fma_f64 v[162:163], v[162:163], v[164:165], v[162:163]
	v_div_scale_f64 v[164:165], vcc_lo, 1.0, v[156:157], 1.0
	s_delay_alu instid0(VALU_DEP_1) | instskip(NEXT) | instid1(VALU_DEP_1)
	v_mul_f64 v[166:167], v[164:165], v[162:163]
	v_fma_f64 v[158:159], -v[158:159], v[166:167], v[164:165]
	s_delay_alu instid0(VALU_DEP_1) | instskip(NEXT) | instid1(VALU_DEP_1)
	v_div_fmas_f64 v[158:159], v[158:159], v[162:163], v[166:167]
	v_div_fixup_f64 v[162:163], v[158:159], v[156:157], 1.0
                                        ; implicit-def: $vgpr156_vgpr157
	s_delay_alu instid0(VALU_DEP_1)
	v_mul_f64 v[164:165], v[160:161], v[162:163]
	v_xor_b32_e32 v163, 0x80000000, v163
.LBB43_158:
	s_and_not1_saveexec_b32 s3, s3
	s_cbranch_execz .LBB43_160
; %bb.159:
	v_div_scale_f64 v[160:161], null, v[156:157], v[156:157], v[158:159]
	v_div_scale_f64 v[166:167], vcc_lo, v[158:159], v[156:157], v[158:159]
	s_delay_alu instid0(VALU_DEP_2) | instskip(SKIP_2) | instid1(VALU_DEP_1)
	v_rcp_f64_e32 v[162:163], v[160:161]
	s_waitcnt_depctr 0xfff
	v_fma_f64 v[164:165], -v[160:161], v[162:163], 1.0
	v_fma_f64 v[162:163], v[162:163], v[164:165], v[162:163]
	s_delay_alu instid0(VALU_DEP_1) | instskip(NEXT) | instid1(VALU_DEP_1)
	v_fma_f64 v[164:165], -v[160:161], v[162:163], 1.0
	v_fma_f64 v[162:163], v[162:163], v[164:165], v[162:163]
	s_delay_alu instid0(VALU_DEP_1) | instskip(NEXT) | instid1(VALU_DEP_1)
	v_mul_f64 v[164:165], v[166:167], v[162:163]
	v_fma_f64 v[160:161], -v[160:161], v[164:165], v[166:167]
	s_delay_alu instid0(VALU_DEP_1) | instskip(NEXT) | instid1(VALU_DEP_1)
	v_div_fmas_f64 v[160:161], v[160:161], v[162:163], v[164:165]
	v_div_fixup_f64 v[160:161], v[160:161], v[156:157], v[158:159]
	s_delay_alu instid0(VALU_DEP_1) | instskip(NEXT) | instid1(VALU_DEP_1)
	v_fma_f64 v[156:157], v[158:159], v[160:161], v[156:157]
	v_div_scale_f64 v[158:159], null, v[156:157], v[156:157], 1.0
	s_delay_alu instid0(VALU_DEP_1) | instskip(SKIP_2) | instid1(VALU_DEP_1)
	v_rcp_f64_e32 v[162:163], v[158:159]
	s_waitcnt_depctr 0xfff
	v_fma_f64 v[164:165], -v[158:159], v[162:163], 1.0
	v_fma_f64 v[162:163], v[162:163], v[164:165], v[162:163]
	s_delay_alu instid0(VALU_DEP_1) | instskip(NEXT) | instid1(VALU_DEP_1)
	v_fma_f64 v[164:165], -v[158:159], v[162:163], 1.0
	v_fma_f64 v[162:163], v[162:163], v[164:165], v[162:163]
	v_div_scale_f64 v[164:165], vcc_lo, 1.0, v[156:157], 1.0
	s_delay_alu instid0(VALU_DEP_1) | instskip(NEXT) | instid1(VALU_DEP_1)
	v_mul_f64 v[166:167], v[164:165], v[162:163]
	v_fma_f64 v[158:159], -v[158:159], v[166:167], v[164:165]
	s_delay_alu instid0(VALU_DEP_1) | instskip(NEXT) | instid1(VALU_DEP_1)
	v_div_fmas_f64 v[158:159], v[158:159], v[162:163], v[166:167]
	v_div_fixup_f64 v[164:165], v[158:159], v[156:157], 1.0
	s_delay_alu instid0(VALU_DEP_1)
	v_mul_f64 v[162:163], v[160:161], -v[164:165]
.LBB43_160:
	s_or_b32 exec_lo, exec_lo, s3
	ds_store_2addr_b64 v225, v[164:165], v[162:163] offset1:1
.LBB43_161:
	s_or_b32 exec_lo, exec_lo, s4
	s_waitcnt lgkmcnt(0)
	s_barrier
	buffer_gl0_inv
	ds_load_2addr_b64 v[156:159], v225 offset1:1
	s_mov_b32 s3, exec_lo
	v_cmpx_lt_u32_e32 17, v224
	s_cbranch_execz .LBB43_163
; %bb.162:
	s_waitcnt lgkmcnt(0)
	v_mul_f64 v[160:161], v[156:157], v[18:19]
	v_mul_f64 v[18:19], v[158:159], v[18:19]
	s_delay_alu instid0(VALU_DEP_2)
	v_fma_f64 v[222:223], v[158:159], v[16:17], v[160:161]
	ds_load_2addr_b64 v[160:163], v226 offset0:36 offset1:37
	ds_load_2addr_b64 v[164:167], v226 offset0:38 offset1:39
	;; [unrolled: 1-line block ×4, first 2 shown]
	v_fma_f64 v[16:17], v[156:157], v[16:17], -v[18:19]
	s_waitcnt lgkmcnt(3)
	v_mul_f64 v[18:19], v[162:163], v[222:223]
	v_mul_f64 v[227:228], v[160:161], v[222:223]
	s_waitcnt lgkmcnt(2)
	v_mul_f64 v[229:230], v[166:167], v[222:223]
	v_mul_f64 v[231:232], v[164:165], v[222:223]
	;; [unrolled: 3-line block ×4, first 2 shown]
	v_fma_f64 v[18:19], v[160:161], v[16:17], -v[18:19]
	v_fma_f64 v[160:161], v[162:163], v[16:17], v[227:228]
	v_fma_f64 v[162:163], v[164:165], v[16:17], -v[229:230]
	v_fma_f64 v[164:165], v[166:167], v[16:17], v[231:232]
	;; [unrolled: 2-line block ×4, first 2 shown]
	v_add_f64 v[12:13], v[12:13], -v[18:19]
	v_add_f64 v[14:15], v[14:15], -v[160:161]
	;; [unrolled: 1-line block ×8, first 2 shown]
	v_dual_mov_b32 v18, v222 :: v_dual_mov_b32 v19, v223
.LBB43_163:
	s_or_b32 exec_lo, exec_lo, s3
	s_delay_alu instid0(SALU_CYCLE_1)
	s_mov_b32 s4, exec_lo
	s_waitcnt lgkmcnt(0)
	s_barrier
	buffer_gl0_inv
	v_cmpx_eq_u32_e32 18, v224
	s_cbranch_execz .LBB43_170
; %bb.164:
	ds_store_2addr_b64 v225, v[12:13], v[14:15] offset1:1
	ds_store_2addr_b64 v226, v[8:9], v[10:11] offset0:38 offset1:39
	ds_store_2addr_b64 v226, v[4:5], v[6:7] offset0:40 offset1:41
	;; [unrolled: 1-line block ×3, first 2 shown]
	ds_load_2addr_b64 v[160:163], v225 offset1:1
	s_waitcnt lgkmcnt(0)
	v_cmp_neq_f64_e32 vcc_lo, 0, v[160:161]
	v_cmp_neq_f64_e64 s3, 0, v[162:163]
	s_delay_alu instid0(VALU_DEP_1) | instskip(NEXT) | instid1(SALU_CYCLE_1)
	s_or_b32 s3, vcc_lo, s3
	s_and_b32 exec_lo, exec_lo, s3
	s_cbranch_execz .LBB43_170
; %bb.165:
	v_cmp_gt_f64_e32 vcc_lo, 0, v[160:161]
	v_cmp_gt_f64_e64 s3, 0, v[162:163]
	v_xor_b32_e32 v164, 0x80000000, v161
	v_xor_b32_e32 v166, 0x80000000, v163
                                        ; implicit-def: $vgpr168_vgpr169
	s_delay_alu instid0(VALU_DEP_2) | instskip(NEXT) | instid1(VALU_DEP_2)
	v_cndmask_b32_e32 v165, v161, v164, vcc_lo
	v_cndmask_b32_e64 v167, v163, v166, s3
	v_cndmask_b32_e32 v164, v160, v160, vcc_lo
	v_cndmask_b32_e64 v166, v162, v162, s3
	s_mov_b32 s3, exec_lo
	s_delay_alu instid0(VALU_DEP_1)
	v_cmpx_ngt_f64_e32 v[164:165], v[166:167]
	s_xor_b32 s3, exec_lo, s3
                                        ; implicit-def: $vgpr164_vgpr165_vgpr166_vgpr167
	s_cbranch_execz .LBB43_167
; %bb.166:
	v_div_scale_f64 v[164:165], null, v[162:163], v[162:163], v[160:161]
	v_div_scale_f64 v[170:171], vcc_lo, v[160:161], v[162:163], v[160:161]
	s_delay_alu instid0(VALU_DEP_2) | instskip(SKIP_2) | instid1(VALU_DEP_1)
	v_rcp_f64_e32 v[166:167], v[164:165]
	s_waitcnt_depctr 0xfff
	v_fma_f64 v[168:169], -v[164:165], v[166:167], 1.0
	v_fma_f64 v[166:167], v[166:167], v[168:169], v[166:167]
	s_delay_alu instid0(VALU_DEP_1) | instskip(NEXT) | instid1(VALU_DEP_1)
	v_fma_f64 v[168:169], -v[164:165], v[166:167], 1.0
	v_fma_f64 v[166:167], v[166:167], v[168:169], v[166:167]
	s_delay_alu instid0(VALU_DEP_1) | instskip(NEXT) | instid1(VALU_DEP_1)
	v_mul_f64 v[168:169], v[170:171], v[166:167]
	v_fma_f64 v[164:165], -v[164:165], v[168:169], v[170:171]
	s_delay_alu instid0(VALU_DEP_1) | instskip(NEXT) | instid1(VALU_DEP_1)
	v_div_fmas_f64 v[164:165], v[164:165], v[166:167], v[168:169]
	v_div_fixup_f64 v[164:165], v[164:165], v[162:163], v[160:161]
	s_delay_alu instid0(VALU_DEP_1) | instskip(NEXT) | instid1(VALU_DEP_1)
	v_fma_f64 v[160:161], v[160:161], v[164:165], v[162:163]
	v_div_scale_f64 v[162:163], null, v[160:161], v[160:161], 1.0
	s_delay_alu instid0(VALU_DEP_1) | instskip(SKIP_2) | instid1(VALU_DEP_1)
	v_rcp_f64_e32 v[166:167], v[162:163]
	s_waitcnt_depctr 0xfff
	v_fma_f64 v[168:169], -v[162:163], v[166:167], 1.0
	v_fma_f64 v[166:167], v[166:167], v[168:169], v[166:167]
	s_delay_alu instid0(VALU_DEP_1) | instskip(NEXT) | instid1(VALU_DEP_1)
	v_fma_f64 v[168:169], -v[162:163], v[166:167], 1.0
	v_fma_f64 v[166:167], v[166:167], v[168:169], v[166:167]
	v_div_scale_f64 v[168:169], vcc_lo, 1.0, v[160:161], 1.0
	s_delay_alu instid0(VALU_DEP_1) | instskip(NEXT) | instid1(VALU_DEP_1)
	v_mul_f64 v[170:171], v[168:169], v[166:167]
	v_fma_f64 v[162:163], -v[162:163], v[170:171], v[168:169]
	s_delay_alu instid0(VALU_DEP_1) | instskip(NEXT) | instid1(VALU_DEP_1)
	v_div_fmas_f64 v[162:163], v[162:163], v[166:167], v[170:171]
	v_div_fixup_f64 v[166:167], v[162:163], v[160:161], 1.0
                                        ; implicit-def: $vgpr160_vgpr161
	s_delay_alu instid0(VALU_DEP_1)
	v_mul_f64 v[168:169], v[164:165], v[166:167]
	v_xor_b32_e32 v167, 0x80000000, v167
.LBB43_167:
	s_and_not1_saveexec_b32 s3, s3
	s_cbranch_execz .LBB43_169
; %bb.168:
	v_div_scale_f64 v[164:165], null, v[160:161], v[160:161], v[162:163]
	v_div_scale_f64 v[170:171], vcc_lo, v[162:163], v[160:161], v[162:163]
	s_delay_alu instid0(VALU_DEP_2) | instskip(SKIP_2) | instid1(VALU_DEP_1)
	v_rcp_f64_e32 v[166:167], v[164:165]
	s_waitcnt_depctr 0xfff
	v_fma_f64 v[168:169], -v[164:165], v[166:167], 1.0
	v_fma_f64 v[166:167], v[166:167], v[168:169], v[166:167]
	s_delay_alu instid0(VALU_DEP_1) | instskip(NEXT) | instid1(VALU_DEP_1)
	v_fma_f64 v[168:169], -v[164:165], v[166:167], 1.0
	v_fma_f64 v[166:167], v[166:167], v[168:169], v[166:167]
	s_delay_alu instid0(VALU_DEP_1) | instskip(NEXT) | instid1(VALU_DEP_1)
	v_mul_f64 v[168:169], v[170:171], v[166:167]
	v_fma_f64 v[164:165], -v[164:165], v[168:169], v[170:171]
	s_delay_alu instid0(VALU_DEP_1) | instskip(NEXT) | instid1(VALU_DEP_1)
	v_div_fmas_f64 v[164:165], v[164:165], v[166:167], v[168:169]
	v_div_fixup_f64 v[164:165], v[164:165], v[160:161], v[162:163]
	s_delay_alu instid0(VALU_DEP_1) | instskip(NEXT) | instid1(VALU_DEP_1)
	v_fma_f64 v[160:161], v[162:163], v[164:165], v[160:161]
	v_div_scale_f64 v[162:163], null, v[160:161], v[160:161], 1.0
	s_delay_alu instid0(VALU_DEP_1) | instskip(SKIP_2) | instid1(VALU_DEP_1)
	v_rcp_f64_e32 v[166:167], v[162:163]
	s_waitcnt_depctr 0xfff
	v_fma_f64 v[168:169], -v[162:163], v[166:167], 1.0
	v_fma_f64 v[166:167], v[166:167], v[168:169], v[166:167]
	s_delay_alu instid0(VALU_DEP_1) | instskip(NEXT) | instid1(VALU_DEP_1)
	v_fma_f64 v[168:169], -v[162:163], v[166:167], 1.0
	v_fma_f64 v[166:167], v[166:167], v[168:169], v[166:167]
	v_div_scale_f64 v[168:169], vcc_lo, 1.0, v[160:161], 1.0
	s_delay_alu instid0(VALU_DEP_1) | instskip(NEXT) | instid1(VALU_DEP_1)
	v_mul_f64 v[170:171], v[168:169], v[166:167]
	v_fma_f64 v[162:163], -v[162:163], v[170:171], v[168:169]
	s_delay_alu instid0(VALU_DEP_1) | instskip(NEXT) | instid1(VALU_DEP_1)
	v_div_fmas_f64 v[162:163], v[162:163], v[166:167], v[170:171]
	v_div_fixup_f64 v[168:169], v[162:163], v[160:161], 1.0
	s_delay_alu instid0(VALU_DEP_1)
	v_mul_f64 v[166:167], v[164:165], -v[168:169]
.LBB43_169:
	s_or_b32 exec_lo, exec_lo, s3
	ds_store_2addr_b64 v225, v[168:169], v[166:167] offset1:1
.LBB43_170:
	s_or_b32 exec_lo, exec_lo, s4
	s_waitcnt lgkmcnt(0)
	s_barrier
	buffer_gl0_inv
	ds_load_2addr_b64 v[160:163], v225 offset1:1
	s_mov_b32 s3, exec_lo
	v_cmpx_lt_u32_e32 18, v224
	s_cbranch_execz .LBB43_172
; %bb.171:
	s_waitcnt lgkmcnt(0)
	v_mul_f64 v[164:165], v[160:161], v[14:15]
	v_mul_f64 v[14:15], v[162:163], v[14:15]
	s_delay_alu instid0(VALU_DEP_2)
	v_fma_f64 v[222:223], v[162:163], v[12:13], v[164:165]
	ds_load_2addr_b64 v[164:167], v226 offset0:38 offset1:39
	ds_load_2addr_b64 v[168:171], v226 offset0:40 offset1:41
	;; [unrolled: 1-line block ×3, first 2 shown]
	v_fma_f64 v[12:13], v[160:161], v[12:13], -v[14:15]
	s_waitcnt lgkmcnt(2)
	v_mul_f64 v[14:15], v[166:167], v[222:223]
	v_mul_f64 v[227:228], v[164:165], v[222:223]
	s_waitcnt lgkmcnt(1)
	v_mul_f64 v[229:230], v[170:171], v[222:223]
	v_mul_f64 v[231:232], v[168:169], v[222:223]
	;; [unrolled: 3-line block ×3, first 2 shown]
	v_fma_f64 v[14:15], v[164:165], v[12:13], -v[14:15]
	v_fma_f64 v[164:165], v[166:167], v[12:13], v[227:228]
	v_fma_f64 v[166:167], v[168:169], v[12:13], -v[229:230]
	v_fma_f64 v[168:169], v[170:171], v[12:13], v[231:232]
	;; [unrolled: 2-line block ×3, first 2 shown]
	v_add_f64 v[8:9], v[8:9], -v[14:15]
	v_add_f64 v[10:11], v[10:11], -v[164:165]
	v_add_f64 v[4:5], v[4:5], -v[166:167]
	v_add_f64 v[6:7], v[6:7], -v[168:169]
	v_add_f64 v[0:1], v[0:1], -v[170:171]
	v_add_f64 v[2:3], v[2:3], -v[172:173]
	v_dual_mov_b32 v14, v222 :: v_dual_mov_b32 v15, v223
.LBB43_172:
	s_or_b32 exec_lo, exec_lo, s3
	s_delay_alu instid0(SALU_CYCLE_1)
	s_mov_b32 s4, exec_lo
	s_waitcnt lgkmcnt(0)
	s_barrier
	buffer_gl0_inv
	v_cmpx_eq_u32_e32 19, v224
	s_cbranch_execz .LBB43_179
; %bb.173:
	ds_store_2addr_b64 v225, v[8:9], v[10:11] offset1:1
	ds_store_2addr_b64 v226, v[4:5], v[6:7] offset0:40 offset1:41
	ds_store_2addr_b64 v226, v[0:1], v[2:3] offset0:42 offset1:43
	ds_load_2addr_b64 v[164:167], v225 offset1:1
	s_waitcnt lgkmcnt(0)
	v_cmp_neq_f64_e32 vcc_lo, 0, v[164:165]
	v_cmp_neq_f64_e64 s3, 0, v[166:167]
	s_delay_alu instid0(VALU_DEP_1) | instskip(NEXT) | instid1(SALU_CYCLE_1)
	s_or_b32 s3, vcc_lo, s3
	s_and_b32 exec_lo, exec_lo, s3
	s_cbranch_execz .LBB43_179
; %bb.174:
	v_cmp_gt_f64_e32 vcc_lo, 0, v[164:165]
	v_cmp_gt_f64_e64 s3, 0, v[166:167]
	v_xor_b32_e32 v168, 0x80000000, v165
	v_xor_b32_e32 v170, 0x80000000, v167
                                        ; implicit-def: $vgpr172_vgpr173
	s_delay_alu instid0(VALU_DEP_2) | instskip(NEXT) | instid1(VALU_DEP_2)
	v_cndmask_b32_e32 v169, v165, v168, vcc_lo
	v_cndmask_b32_e64 v171, v167, v170, s3
	v_cndmask_b32_e32 v168, v164, v164, vcc_lo
	v_cndmask_b32_e64 v170, v166, v166, s3
	s_mov_b32 s3, exec_lo
	s_delay_alu instid0(VALU_DEP_1)
	v_cmpx_ngt_f64_e32 v[168:169], v[170:171]
	s_xor_b32 s3, exec_lo, s3
                                        ; implicit-def: $vgpr168_vgpr169_vgpr170_vgpr171
	s_cbranch_execz .LBB43_176
; %bb.175:
	v_div_scale_f64 v[168:169], null, v[166:167], v[166:167], v[164:165]
	v_div_scale_f64 v[174:175], vcc_lo, v[164:165], v[166:167], v[164:165]
	s_delay_alu instid0(VALU_DEP_2) | instskip(SKIP_2) | instid1(VALU_DEP_1)
	v_rcp_f64_e32 v[170:171], v[168:169]
	s_waitcnt_depctr 0xfff
	v_fma_f64 v[172:173], -v[168:169], v[170:171], 1.0
	v_fma_f64 v[170:171], v[170:171], v[172:173], v[170:171]
	s_delay_alu instid0(VALU_DEP_1) | instskip(NEXT) | instid1(VALU_DEP_1)
	v_fma_f64 v[172:173], -v[168:169], v[170:171], 1.0
	v_fma_f64 v[170:171], v[170:171], v[172:173], v[170:171]
	s_delay_alu instid0(VALU_DEP_1) | instskip(NEXT) | instid1(VALU_DEP_1)
	v_mul_f64 v[172:173], v[174:175], v[170:171]
	v_fma_f64 v[168:169], -v[168:169], v[172:173], v[174:175]
	s_delay_alu instid0(VALU_DEP_1) | instskip(NEXT) | instid1(VALU_DEP_1)
	v_div_fmas_f64 v[168:169], v[168:169], v[170:171], v[172:173]
	v_div_fixup_f64 v[168:169], v[168:169], v[166:167], v[164:165]
	s_delay_alu instid0(VALU_DEP_1) | instskip(NEXT) | instid1(VALU_DEP_1)
	v_fma_f64 v[164:165], v[164:165], v[168:169], v[166:167]
	v_div_scale_f64 v[166:167], null, v[164:165], v[164:165], 1.0
	s_delay_alu instid0(VALU_DEP_1) | instskip(SKIP_2) | instid1(VALU_DEP_1)
	v_rcp_f64_e32 v[170:171], v[166:167]
	s_waitcnt_depctr 0xfff
	v_fma_f64 v[172:173], -v[166:167], v[170:171], 1.0
	v_fma_f64 v[170:171], v[170:171], v[172:173], v[170:171]
	s_delay_alu instid0(VALU_DEP_1) | instskip(NEXT) | instid1(VALU_DEP_1)
	v_fma_f64 v[172:173], -v[166:167], v[170:171], 1.0
	v_fma_f64 v[170:171], v[170:171], v[172:173], v[170:171]
	v_div_scale_f64 v[172:173], vcc_lo, 1.0, v[164:165], 1.0
	s_delay_alu instid0(VALU_DEP_1) | instskip(NEXT) | instid1(VALU_DEP_1)
	v_mul_f64 v[174:175], v[172:173], v[170:171]
	v_fma_f64 v[166:167], -v[166:167], v[174:175], v[172:173]
	s_delay_alu instid0(VALU_DEP_1) | instskip(NEXT) | instid1(VALU_DEP_1)
	v_div_fmas_f64 v[166:167], v[166:167], v[170:171], v[174:175]
	v_div_fixup_f64 v[170:171], v[166:167], v[164:165], 1.0
                                        ; implicit-def: $vgpr164_vgpr165
	s_delay_alu instid0(VALU_DEP_1)
	v_mul_f64 v[172:173], v[168:169], v[170:171]
	v_xor_b32_e32 v171, 0x80000000, v171
.LBB43_176:
	s_and_not1_saveexec_b32 s3, s3
	s_cbranch_execz .LBB43_178
; %bb.177:
	v_div_scale_f64 v[168:169], null, v[164:165], v[164:165], v[166:167]
	v_div_scale_f64 v[174:175], vcc_lo, v[166:167], v[164:165], v[166:167]
	s_delay_alu instid0(VALU_DEP_2) | instskip(SKIP_2) | instid1(VALU_DEP_1)
	v_rcp_f64_e32 v[170:171], v[168:169]
	s_waitcnt_depctr 0xfff
	v_fma_f64 v[172:173], -v[168:169], v[170:171], 1.0
	v_fma_f64 v[170:171], v[170:171], v[172:173], v[170:171]
	s_delay_alu instid0(VALU_DEP_1) | instskip(NEXT) | instid1(VALU_DEP_1)
	v_fma_f64 v[172:173], -v[168:169], v[170:171], 1.0
	v_fma_f64 v[170:171], v[170:171], v[172:173], v[170:171]
	s_delay_alu instid0(VALU_DEP_1) | instskip(NEXT) | instid1(VALU_DEP_1)
	v_mul_f64 v[172:173], v[174:175], v[170:171]
	v_fma_f64 v[168:169], -v[168:169], v[172:173], v[174:175]
	s_delay_alu instid0(VALU_DEP_1) | instskip(NEXT) | instid1(VALU_DEP_1)
	v_div_fmas_f64 v[168:169], v[168:169], v[170:171], v[172:173]
	v_div_fixup_f64 v[168:169], v[168:169], v[164:165], v[166:167]
	s_delay_alu instid0(VALU_DEP_1) | instskip(NEXT) | instid1(VALU_DEP_1)
	v_fma_f64 v[164:165], v[166:167], v[168:169], v[164:165]
	v_div_scale_f64 v[166:167], null, v[164:165], v[164:165], 1.0
	s_delay_alu instid0(VALU_DEP_1) | instskip(SKIP_2) | instid1(VALU_DEP_1)
	v_rcp_f64_e32 v[170:171], v[166:167]
	s_waitcnt_depctr 0xfff
	v_fma_f64 v[172:173], -v[166:167], v[170:171], 1.0
	v_fma_f64 v[170:171], v[170:171], v[172:173], v[170:171]
	s_delay_alu instid0(VALU_DEP_1) | instskip(NEXT) | instid1(VALU_DEP_1)
	v_fma_f64 v[172:173], -v[166:167], v[170:171], 1.0
	v_fma_f64 v[170:171], v[170:171], v[172:173], v[170:171]
	v_div_scale_f64 v[172:173], vcc_lo, 1.0, v[164:165], 1.0
	s_delay_alu instid0(VALU_DEP_1) | instskip(NEXT) | instid1(VALU_DEP_1)
	v_mul_f64 v[174:175], v[172:173], v[170:171]
	v_fma_f64 v[166:167], -v[166:167], v[174:175], v[172:173]
	s_delay_alu instid0(VALU_DEP_1) | instskip(NEXT) | instid1(VALU_DEP_1)
	v_div_fmas_f64 v[166:167], v[166:167], v[170:171], v[174:175]
	v_div_fixup_f64 v[172:173], v[166:167], v[164:165], 1.0
	s_delay_alu instid0(VALU_DEP_1)
	v_mul_f64 v[170:171], v[168:169], -v[172:173]
.LBB43_178:
	s_or_b32 exec_lo, exec_lo, s3
	ds_store_2addr_b64 v225, v[172:173], v[170:171] offset1:1
.LBB43_179:
	s_or_b32 exec_lo, exec_lo, s4
	s_waitcnt lgkmcnt(0)
	s_barrier
	buffer_gl0_inv
	ds_load_2addr_b64 v[164:167], v225 offset1:1
	s_mov_b32 s3, exec_lo
	v_cmpx_lt_u32_e32 19, v224
	s_cbranch_execz .LBB43_181
; %bb.180:
	s_waitcnt lgkmcnt(0)
	v_mul_f64 v[168:169], v[164:165], v[10:11]
	v_mul_f64 v[10:11], v[166:167], v[10:11]
	s_delay_alu instid0(VALU_DEP_2)
	v_fma_f64 v[222:223], v[166:167], v[8:9], v[168:169]
	ds_load_2addr_b64 v[168:171], v226 offset0:40 offset1:41
	ds_load_2addr_b64 v[172:175], v226 offset0:42 offset1:43
	v_fma_f64 v[8:9], v[164:165], v[8:9], -v[10:11]
	s_waitcnt lgkmcnt(1)
	v_mul_f64 v[10:11], v[170:171], v[222:223]
	v_mul_f64 v[227:228], v[168:169], v[222:223]
	s_waitcnt lgkmcnt(0)
	v_mul_f64 v[229:230], v[174:175], v[222:223]
	v_mul_f64 v[231:232], v[172:173], v[222:223]
	s_delay_alu instid0(VALU_DEP_4) | instskip(NEXT) | instid1(VALU_DEP_4)
	v_fma_f64 v[10:11], v[168:169], v[8:9], -v[10:11]
	v_fma_f64 v[168:169], v[170:171], v[8:9], v[227:228]
	s_delay_alu instid0(VALU_DEP_4) | instskip(NEXT) | instid1(VALU_DEP_4)
	v_fma_f64 v[170:171], v[172:173], v[8:9], -v[229:230]
	v_fma_f64 v[172:173], v[174:175], v[8:9], v[231:232]
	s_delay_alu instid0(VALU_DEP_4) | instskip(NEXT) | instid1(VALU_DEP_4)
	v_add_f64 v[4:5], v[4:5], -v[10:11]
	v_add_f64 v[6:7], v[6:7], -v[168:169]
	s_delay_alu instid0(VALU_DEP_4) | instskip(NEXT) | instid1(VALU_DEP_4)
	v_add_f64 v[0:1], v[0:1], -v[170:171]
	v_add_f64 v[2:3], v[2:3], -v[172:173]
	v_dual_mov_b32 v10, v222 :: v_dual_mov_b32 v11, v223
.LBB43_181:
	s_or_b32 exec_lo, exec_lo, s3
	s_delay_alu instid0(SALU_CYCLE_1)
	s_mov_b32 s4, exec_lo
	s_waitcnt lgkmcnt(0)
	s_barrier
	buffer_gl0_inv
	v_cmpx_eq_u32_e32 20, v224
	s_cbranch_execz .LBB43_188
; %bb.182:
	ds_store_2addr_b64 v225, v[4:5], v[6:7] offset1:1
	ds_store_2addr_b64 v226, v[0:1], v[2:3] offset0:42 offset1:43
	ds_load_2addr_b64 v[168:171], v225 offset1:1
	s_waitcnt lgkmcnt(0)
	v_cmp_neq_f64_e32 vcc_lo, 0, v[168:169]
	v_cmp_neq_f64_e64 s3, 0, v[170:171]
	s_delay_alu instid0(VALU_DEP_1) | instskip(NEXT) | instid1(SALU_CYCLE_1)
	s_or_b32 s3, vcc_lo, s3
	s_and_b32 exec_lo, exec_lo, s3
	s_cbranch_execz .LBB43_188
; %bb.183:
	v_cmp_gt_f64_e32 vcc_lo, 0, v[168:169]
	v_cmp_gt_f64_e64 s3, 0, v[170:171]
	v_xor_b32_e32 v172, 0x80000000, v169
	v_xor_b32_e32 v174, 0x80000000, v171
                                        ; implicit-def: $vgpr222_vgpr223
	s_delay_alu instid0(VALU_DEP_2) | instskip(NEXT) | instid1(VALU_DEP_2)
	v_cndmask_b32_e32 v173, v169, v172, vcc_lo
	v_cndmask_b32_e64 v175, v171, v174, s3
	v_cndmask_b32_e32 v172, v168, v168, vcc_lo
	v_cndmask_b32_e64 v174, v170, v170, s3
	s_mov_b32 s3, exec_lo
	s_delay_alu instid0(VALU_DEP_1)
	v_cmpx_ngt_f64_e32 v[172:173], v[174:175]
	s_xor_b32 s3, exec_lo, s3
                                        ; implicit-def: $vgpr172_vgpr173_vgpr174_vgpr175
	s_cbranch_execz .LBB43_185
; %bb.184:
	v_div_scale_f64 v[172:173], null, v[170:171], v[170:171], v[168:169]
	v_div_scale_f64 v[227:228], vcc_lo, v[168:169], v[170:171], v[168:169]
	s_delay_alu instid0(VALU_DEP_2) | instskip(SKIP_2) | instid1(VALU_DEP_1)
	v_rcp_f64_e32 v[174:175], v[172:173]
	s_waitcnt_depctr 0xfff
	v_fma_f64 v[222:223], -v[172:173], v[174:175], 1.0
	v_fma_f64 v[174:175], v[174:175], v[222:223], v[174:175]
	s_delay_alu instid0(VALU_DEP_1) | instskip(NEXT) | instid1(VALU_DEP_1)
	v_fma_f64 v[222:223], -v[172:173], v[174:175], 1.0
	v_fma_f64 v[174:175], v[174:175], v[222:223], v[174:175]
	s_delay_alu instid0(VALU_DEP_1) | instskip(NEXT) | instid1(VALU_DEP_1)
	v_mul_f64 v[222:223], v[227:228], v[174:175]
	v_fma_f64 v[172:173], -v[172:173], v[222:223], v[227:228]
	s_delay_alu instid0(VALU_DEP_1) | instskip(NEXT) | instid1(VALU_DEP_1)
	v_div_fmas_f64 v[172:173], v[172:173], v[174:175], v[222:223]
	v_div_fixup_f64 v[172:173], v[172:173], v[170:171], v[168:169]
	s_delay_alu instid0(VALU_DEP_1) | instskip(NEXT) | instid1(VALU_DEP_1)
	v_fma_f64 v[168:169], v[168:169], v[172:173], v[170:171]
	v_div_scale_f64 v[170:171], null, v[168:169], v[168:169], 1.0
	s_delay_alu instid0(VALU_DEP_1) | instskip(SKIP_2) | instid1(VALU_DEP_1)
	v_rcp_f64_e32 v[174:175], v[170:171]
	s_waitcnt_depctr 0xfff
	v_fma_f64 v[222:223], -v[170:171], v[174:175], 1.0
	v_fma_f64 v[174:175], v[174:175], v[222:223], v[174:175]
	s_delay_alu instid0(VALU_DEP_1) | instskip(NEXT) | instid1(VALU_DEP_1)
	v_fma_f64 v[222:223], -v[170:171], v[174:175], 1.0
	v_fma_f64 v[174:175], v[174:175], v[222:223], v[174:175]
	v_div_scale_f64 v[222:223], vcc_lo, 1.0, v[168:169], 1.0
	s_delay_alu instid0(VALU_DEP_1) | instskip(NEXT) | instid1(VALU_DEP_1)
	v_mul_f64 v[227:228], v[222:223], v[174:175]
	v_fma_f64 v[170:171], -v[170:171], v[227:228], v[222:223]
	s_delay_alu instid0(VALU_DEP_1) | instskip(NEXT) | instid1(VALU_DEP_1)
	v_div_fmas_f64 v[170:171], v[170:171], v[174:175], v[227:228]
	v_div_fixup_f64 v[174:175], v[170:171], v[168:169], 1.0
                                        ; implicit-def: $vgpr168_vgpr169
	s_delay_alu instid0(VALU_DEP_1)
	v_mul_f64 v[222:223], v[172:173], v[174:175]
	v_xor_b32_e32 v175, 0x80000000, v175
.LBB43_185:
	s_and_not1_saveexec_b32 s3, s3
	s_cbranch_execz .LBB43_187
; %bb.186:
	v_div_scale_f64 v[172:173], null, v[168:169], v[168:169], v[170:171]
	v_div_scale_f64 v[227:228], vcc_lo, v[170:171], v[168:169], v[170:171]
	s_delay_alu instid0(VALU_DEP_2) | instskip(SKIP_2) | instid1(VALU_DEP_1)
	v_rcp_f64_e32 v[174:175], v[172:173]
	s_waitcnt_depctr 0xfff
	v_fma_f64 v[222:223], -v[172:173], v[174:175], 1.0
	v_fma_f64 v[174:175], v[174:175], v[222:223], v[174:175]
	s_delay_alu instid0(VALU_DEP_1) | instskip(NEXT) | instid1(VALU_DEP_1)
	v_fma_f64 v[222:223], -v[172:173], v[174:175], 1.0
	v_fma_f64 v[174:175], v[174:175], v[222:223], v[174:175]
	s_delay_alu instid0(VALU_DEP_1) | instskip(NEXT) | instid1(VALU_DEP_1)
	v_mul_f64 v[222:223], v[227:228], v[174:175]
	v_fma_f64 v[172:173], -v[172:173], v[222:223], v[227:228]
	s_delay_alu instid0(VALU_DEP_1) | instskip(NEXT) | instid1(VALU_DEP_1)
	v_div_fmas_f64 v[172:173], v[172:173], v[174:175], v[222:223]
	v_div_fixup_f64 v[172:173], v[172:173], v[168:169], v[170:171]
	s_delay_alu instid0(VALU_DEP_1) | instskip(NEXT) | instid1(VALU_DEP_1)
	v_fma_f64 v[168:169], v[170:171], v[172:173], v[168:169]
	v_div_scale_f64 v[170:171], null, v[168:169], v[168:169], 1.0
	s_delay_alu instid0(VALU_DEP_1) | instskip(SKIP_2) | instid1(VALU_DEP_1)
	v_rcp_f64_e32 v[174:175], v[170:171]
	s_waitcnt_depctr 0xfff
	v_fma_f64 v[222:223], -v[170:171], v[174:175], 1.0
	v_fma_f64 v[174:175], v[174:175], v[222:223], v[174:175]
	s_delay_alu instid0(VALU_DEP_1) | instskip(NEXT) | instid1(VALU_DEP_1)
	v_fma_f64 v[222:223], -v[170:171], v[174:175], 1.0
	v_fma_f64 v[174:175], v[174:175], v[222:223], v[174:175]
	v_div_scale_f64 v[222:223], vcc_lo, 1.0, v[168:169], 1.0
	s_delay_alu instid0(VALU_DEP_1) | instskip(NEXT) | instid1(VALU_DEP_1)
	v_mul_f64 v[227:228], v[222:223], v[174:175]
	v_fma_f64 v[170:171], -v[170:171], v[227:228], v[222:223]
	s_delay_alu instid0(VALU_DEP_1) | instskip(NEXT) | instid1(VALU_DEP_1)
	v_div_fmas_f64 v[170:171], v[170:171], v[174:175], v[227:228]
	v_div_fixup_f64 v[222:223], v[170:171], v[168:169], 1.0
	s_delay_alu instid0(VALU_DEP_1)
	v_mul_f64 v[174:175], v[172:173], -v[222:223]
.LBB43_187:
	s_or_b32 exec_lo, exec_lo, s3
	ds_store_2addr_b64 v225, v[222:223], v[174:175] offset1:1
.LBB43_188:
	s_or_b32 exec_lo, exec_lo, s4
	s_waitcnt lgkmcnt(0)
	s_barrier
	buffer_gl0_inv
	ds_load_2addr_b64 v[168:171], v225 offset1:1
	s_mov_b32 s3, exec_lo
	v_cmpx_lt_u32_e32 20, v224
	s_cbranch_execz .LBB43_190
; %bb.189:
	s_waitcnt lgkmcnt(0)
	v_mul_f64 v[172:173], v[168:169], v[6:7]
	v_mul_f64 v[6:7], v[170:171], v[6:7]
	s_delay_alu instid0(VALU_DEP_2)
	v_fma_f64 v[222:223], v[170:171], v[4:5], v[172:173]
	ds_load_2addr_b64 v[172:175], v226 offset0:42 offset1:43
	v_fma_f64 v[4:5], v[168:169], v[4:5], -v[6:7]
	s_waitcnt lgkmcnt(0)
	v_mul_f64 v[6:7], v[174:175], v[222:223]
	v_mul_f64 v[226:227], v[172:173], v[222:223]
	s_delay_alu instid0(VALU_DEP_2) | instskip(NEXT) | instid1(VALU_DEP_2)
	v_fma_f64 v[6:7], v[172:173], v[4:5], -v[6:7]
	v_fma_f64 v[172:173], v[174:175], v[4:5], v[226:227]
	s_delay_alu instid0(VALU_DEP_2) | instskip(NEXT) | instid1(VALU_DEP_2)
	v_add_f64 v[0:1], v[0:1], -v[6:7]
	v_add_f64 v[2:3], v[2:3], -v[172:173]
	v_dual_mov_b32 v6, v222 :: v_dual_mov_b32 v7, v223
.LBB43_190:
	s_or_b32 exec_lo, exec_lo, s3
	s_delay_alu instid0(SALU_CYCLE_1)
	s_mov_b32 s4, exec_lo
	s_waitcnt lgkmcnt(0)
	s_barrier
	buffer_gl0_inv
	v_cmpx_eq_u32_e32 21, v224
	s_cbranch_execz .LBB43_197
; %bb.191:
	v_cmp_neq_f64_e32 vcc_lo, 0, v[0:1]
	v_cmp_neq_f64_e64 s3, 0, v[2:3]
	ds_store_2addr_b64 v225, v[0:1], v[2:3] offset1:1
	s_or_b32 s3, vcc_lo, s3
	s_delay_alu instid0(SALU_CYCLE_1)
	s_and_b32 exec_lo, exec_lo, s3
	s_cbranch_execz .LBB43_197
; %bb.192:
	v_cmp_gt_f64_e32 vcc_lo, 0, v[0:1]
	v_cmp_gt_f64_e64 s3, 0, v[2:3]
	v_xor_b32_e32 v172, 0x80000000, v1
	v_xor_b32_e32 v174, 0x80000000, v3
                                        ; implicit-def: $vgpr222_vgpr223
	s_delay_alu instid0(VALU_DEP_2) | instskip(NEXT) | instid1(VALU_DEP_2)
	v_cndmask_b32_e32 v173, v1, v172, vcc_lo
	v_cndmask_b32_e64 v175, v3, v174, s3
	v_cndmask_b32_e32 v172, v0, v0, vcc_lo
	v_cndmask_b32_e64 v174, v2, v2, s3
	s_mov_b32 s3, exec_lo
	s_delay_alu instid0(VALU_DEP_1)
	v_cmpx_ngt_f64_e32 v[172:173], v[174:175]
	s_xor_b32 s3, exec_lo, s3
                                        ; implicit-def: $vgpr172_vgpr173_vgpr174_vgpr175
	s_cbranch_execz .LBB43_194
; %bb.193:
	v_div_scale_f64 v[172:173], null, v[2:3], v[2:3], v[0:1]
	v_div_scale_f64 v[226:227], vcc_lo, v[0:1], v[2:3], v[0:1]
	s_delay_alu instid0(VALU_DEP_2) | instskip(SKIP_2) | instid1(VALU_DEP_1)
	v_rcp_f64_e32 v[174:175], v[172:173]
	s_waitcnt_depctr 0xfff
	v_fma_f64 v[222:223], -v[172:173], v[174:175], 1.0
	v_fma_f64 v[174:175], v[174:175], v[222:223], v[174:175]
	s_delay_alu instid0(VALU_DEP_1) | instskip(NEXT) | instid1(VALU_DEP_1)
	v_fma_f64 v[222:223], -v[172:173], v[174:175], 1.0
	v_fma_f64 v[174:175], v[174:175], v[222:223], v[174:175]
	s_delay_alu instid0(VALU_DEP_1) | instskip(NEXT) | instid1(VALU_DEP_1)
	v_mul_f64 v[222:223], v[226:227], v[174:175]
	v_fma_f64 v[172:173], -v[172:173], v[222:223], v[226:227]
	s_delay_alu instid0(VALU_DEP_1) | instskip(NEXT) | instid1(VALU_DEP_1)
	v_div_fmas_f64 v[172:173], v[172:173], v[174:175], v[222:223]
	v_div_fixup_f64 v[172:173], v[172:173], v[2:3], v[0:1]
	s_delay_alu instid0(VALU_DEP_1) | instskip(NEXT) | instid1(VALU_DEP_1)
	v_fma_f64 v[174:175], v[0:1], v[172:173], v[2:3]
	v_div_scale_f64 v[222:223], null, v[174:175], v[174:175], 1.0
	s_delay_alu instid0(VALU_DEP_1) | instskip(SKIP_2) | instid1(VALU_DEP_1)
	v_rcp_f64_e32 v[226:227], v[222:223]
	s_waitcnt_depctr 0xfff
	v_fma_f64 v[228:229], -v[222:223], v[226:227], 1.0
	v_fma_f64 v[226:227], v[226:227], v[228:229], v[226:227]
	s_delay_alu instid0(VALU_DEP_1) | instskip(NEXT) | instid1(VALU_DEP_1)
	v_fma_f64 v[228:229], -v[222:223], v[226:227], 1.0
	v_fma_f64 v[226:227], v[226:227], v[228:229], v[226:227]
	v_div_scale_f64 v[228:229], vcc_lo, 1.0, v[174:175], 1.0
	s_delay_alu instid0(VALU_DEP_1) | instskip(NEXT) | instid1(VALU_DEP_1)
	v_mul_f64 v[230:231], v[228:229], v[226:227]
	v_fma_f64 v[222:223], -v[222:223], v[230:231], v[228:229]
	s_delay_alu instid0(VALU_DEP_1) | instskip(NEXT) | instid1(VALU_DEP_1)
	v_div_fmas_f64 v[222:223], v[222:223], v[226:227], v[230:231]
	v_div_fixup_f64 v[174:175], v[222:223], v[174:175], 1.0
	s_delay_alu instid0(VALU_DEP_1)
	v_mul_f64 v[222:223], v[172:173], v[174:175]
	v_xor_b32_e32 v175, 0x80000000, v175
.LBB43_194:
	s_and_not1_saveexec_b32 s3, s3
	s_cbranch_execz .LBB43_196
; %bb.195:
	v_div_scale_f64 v[172:173], null, v[0:1], v[0:1], v[2:3]
	v_div_scale_f64 v[226:227], vcc_lo, v[2:3], v[0:1], v[2:3]
	s_delay_alu instid0(VALU_DEP_2) | instskip(SKIP_2) | instid1(VALU_DEP_1)
	v_rcp_f64_e32 v[174:175], v[172:173]
	s_waitcnt_depctr 0xfff
	v_fma_f64 v[222:223], -v[172:173], v[174:175], 1.0
	v_fma_f64 v[174:175], v[174:175], v[222:223], v[174:175]
	s_delay_alu instid0(VALU_DEP_1) | instskip(NEXT) | instid1(VALU_DEP_1)
	v_fma_f64 v[222:223], -v[172:173], v[174:175], 1.0
	v_fma_f64 v[174:175], v[174:175], v[222:223], v[174:175]
	s_delay_alu instid0(VALU_DEP_1) | instskip(NEXT) | instid1(VALU_DEP_1)
	v_mul_f64 v[222:223], v[226:227], v[174:175]
	v_fma_f64 v[172:173], -v[172:173], v[222:223], v[226:227]
	s_delay_alu instid0(VALU_DEP_1) | instskip(NEXT) | instid1(VALU_DEP_1)
	v_div_fmas_f64 v[172:173], v[172:173], v[174:175], v[222:223]
	v_div_fixup_f64 v[172:173], v[172:173], v[0:1], v[2:3]
	s_delay_alu instid0(VALU_DEP_1) | instskip(NEXT) | instid1(VALU_DEP_1)
	v_fma_f64 v[174:175], v[2:3], v[172:173], v[0:1]
	v_div_scale_f64 v[222:223], null, v[174:175], v[174:175], 1.0
	s_delay_alu instid0(VALU_DEP_1) | instskip(SKIP_2) | instid1(VALU_DEP_1)
	v_rcp_f64_e32 v[226:227], v[222:223]
	s_waitcnt_depctr 0xfff
	v_fma_f64 v[228:229], -v[222:223], v[226:227], 1.0
	v_fma_f64 v[226:227], v[226:227], v[228:229], v[226:227]
	s_delay_alu instid0(VALU_DEP_1) | instskip(NEXT) | instid1(VALU_DEP_1)
	v_fma_f64 v[228:229], -v[222:223], v[226:227], 1.0
	v_fma_f64 v[226:227], v[226:227], v[228:229], v[226:227]
	v_div_scale_f64 v[228:229], vcc_lo, 1.0, v[174:175], 1.0
	s_delay_alu instid0(VALU_DEP_1) | instskip(NEXT) | instid1(VALU_DEP_1)
	v_mul_f64 v[230:231], v[228:229], v[226:227]
	v_fma_f64 v[222:223], -v[222:223], v[230:231], v[228:229]
	s_delay_alu instid0(VALU_DEP_1) | instskip(NEXT) | instid1(VALU_DEP_1)
	v_div_fmas_f64 v[222:223], v[222:223], v[226:227], v[230:231]
	v_div_fixup_f64 v[222:223], v[222:223], v[174:175], 1.0
	s_delay_alu instid0(VALU_DEP_1)
	v_mul_f64 v[174:175], v[172:173], -v[222:223]
.LBB43_196:
	s_or_b32 exec_lo, exec_lo, s3
	ds_store_2addr_b64 v225, v[222:223], v[174:175] offset1:1
.LBB43_197:
	s_or_b32 exec_lo, exec_lo, s4
	s_waitcnt lgkmcnt(0)
	s_barrier
	buffer_gl0_inv
	ds_load_2addr_b64 v[172:175], v225 offset1:1
	s_mov_b32 s3, exec_lo
	v_cmpx_lt_u32_e32 21, v224
	s_cbranch_execz .LBB43_199
; %bb.198:
	s_waitcnt lgkmcnt(0)
	v_mul_f64 v[222:223], v[174:175], v[2:3]
	v_mul_f64 v[2:3], v[172:173], v[2:3]
	s_delay_alu instid0(VALU_DEP_2) | instskip(NEXT) | instid1(VALU_DEP_2)
	v_fma_f64 v[222:223], v[172:173], v[0:1], -v[222:223]
	v_fma_f64 v[2:3], v[174:175], v[0:1], v[2:3]
	s_delay_alu instid0(VALU_DEP_2)
	v_dual_mov_b32 v0, v222 :: v_dual_mov_b32 v1, v223
.LBB43_199:
	s_or_b32 exec_lo, exec_lo, s3
	s_waitcnt lgkmcnt(0)
	s_barrier
	buffer_gl0_inv
	s_and_saveexec_b32 s10, s2
	s_cbranch_execz .LBB43_202
; %bb.200:
	s_load_b64 s[0:1], s[0:1], 0x28
	v_lshlrev_b64 v[176:177], 2, v[176:177]
	v_cmp_neq_f64_e64 s2, 0, v[94:95]
	v_cmp_eq_f64_e64 s3, 0, v[96:97]
	v_cmp_eq_f64_e64 s4, 0, v[98:99]
	;; [unrolled: 1-line block ×6, first 2 shown]
	s_waitcnt lgkmcnt(0)
	v_add_co_u32 v176, vcc_lo, s0, v176
	v_add_co_ci_u32_e32 v177, vcc_lo, s1, v177, vcc_lo
	v_cmp_eq_f64_e32 vcc_lo, 0, v[88:89]
	v_cmp_eq_f64_e64 s0, 0, v[90:91]
	v_cmp_neq_f64_e64 s1, 0, v[92:93]
	global_load_b32 v222, v[176:177], off
	s_and_b32 s0, vcc_lo, s0
	s_or_b32 s1, s1, s2
	v_cndmask_b32_e64 v88, 0, 1, s0
	s_or_b32 vcc_lo, s1, s0
	v_cmp_eq_f64_e64 s0, 0, v[110:111]
	s_and_b32 s2, s3, s4
	s_and_b32 s4, s5, s6
	v_cndmask_b32_e32 v88, 2, v88, vcc_lo
	v_cmp_eq_f64_e32 vcc_lo, 0, v[108:109]
	s_and_b32 s6, s7, s8
	s_delay_alu instid0(VALU_DEP_2) | instskip(NEXT) | instid1(VALU_DEP_1)
	v_cmp_eq_u32_e64 s1, 0, v88
	s_and_b32 s1, s2, s1
	v_cmp_eq_f64_e64 s2, 0, v[114:115]
	v_cndmask_b32_e64 v88, v88, 3, s1
	v_cmp_eq_f64_e64 s1, 0, v[112:113]
	s_delay_alu instid0(VALU_DEP_2) | instskip(NEXT) | instid1(VALU_DEP_1)
	v_cmp_eq_u32_e64 s3, 0, v88
	s_and_b32 s3, s4, s3
	v_cmp_eq_f64_e64 s4, 0, v[118:119]
	v_cndmask_b32_e64 v88, v88, 4, s3
	v_cmp_eq_f64_e64 s3, 0, v[116:117]
	;; [unrolled: 6-line block ×3, first 2 shown]
	s_and_b32 s0, vcc_lo, s0
	v_cmp_eq_f64_e32 vcc_lo, 0, v[124:125]
	s_delay_alu instid0(VALU_DEP_3) | instskip(NEXT) | instid1(VALU_DEP_1)
	v_cmp_eq_u32_e64 s7, 0, v88
	s_and_b32 s0, s0, s7
	s_delay_alu instid0(SALU_CYCLE_1) | instskip(SKIP_3) | instid1(VALU_DEP_3)
	v_cndmask_b32_e64 v88, v88, 6, s0
	v_cmp_eq_f64_e64 s0, 0, v[126:127]
	s_and_b32 s1, s1, s2
	v_cmp_eq_f64_e64 s2, 0, v[130:131]
	v_cmp_eq_u32_e64 s7, 0, v88
	s_delay_alu instid0(VALU_DEP_1) | instskip(NEXT) | instid1(SALU_CYCLE_1)
	s_and_b32 s1, s1, s7
	v_cndmask_b32_e64 v88, v88, 7, s1
	v_cmp_eq_f64_e64 s1, 0, v[128:129]
	s_and_b32 s3, s3, s4
	v_cmp_eq_f64_e64 s4, 0, v[134:135]
	s_delay_alu instid0(VALU_DEP_3) | instskip(NEXT) | instid1(VALU_DEP_1)
	v_cmp_eq_u32_e64 s7, 0, v88
	s_and_b32 s3, s3, s7
	s_delay_alu instid0(SALU_CYCLE_1) | instskip(SKIP_3) | instid1(VALU_DEP_3)
	v_cndmask_b32_e64 v88, v88, 8, s3
	v_cmp_eq_f64_e64 s3, 0, v[132:133]
	s_and_b32 s5, s5, s6
	v_cmp_eq_f64_e64 s6, 0, v[138:139]
	v_cmp_eq_u32_e64 s7, 0, v88
	s_delay_alu instid0(VALU_DEP_1) | instskip(NEXT) | instid1(SALU_CYCLE_1)
	s_and_b32 s5, s5, s7
	v_cndmask_b32_e64 v88, v88, 9, s5
	v_cmp_eq_f64_e64 s5, 0, v[136:137]
	s_and_b32 s0, vcc_lo, s0
	v_cmp_eq_f64_e32 vcc_lo, 0, v[140:141]
	s_delay_alu instid0(VALU_DEP_3) | instskip(NEXT) | instid1(VALU_DEP_1)
	v_cmp_eq_u32_e64 s7, 0, v88
	s_and_b32 s0, s0, s7
	s_delay_alu instid0(SALU_CYCLE_1) | instskip(SKIP_3) | instid1(VALU_DEP_3)
	v_cndmask_b32_e64 v88, v88, 10, s0
	v_cmp_eq_f64_e64 s0, 0, v[142:143]
	s_and_b32 s1, s1, s2
	v_cmp_eq_f64_e64 s2, 0, v[146:147]
	v_cmp_eq_u32_e64 s7, 0, v88
	s_delay_alu instid0(VALU_DEP_1) | instskip(NEXT) | instid1(SALU_CYCLE_1)
	s_and_b32 s1, s1, s7
	v_cndmask_b32_e64 v88, v88, 11, s1
	v_cmp_eq_f64_e64 s1, 0, v[144:145]
	s_and_b32 s3, s3, s4
	v_cmp_eq_f64_e64 s4, 0, v[150:151]
	s_delay_alu instid0(VALU_DEP_3) | instskip(NEXT) | instid1(VALU_DEP_1)
	v_cmp_eq_u32_e64 s7, 0, v88
	s_and_b32 s3, s3, s7
	s_delay_alu instid0(SALU_CYCLE_1) | instskip(SKIP_3) | instid1(VALU_DEP_3)
	v_cndmask_b32_e64 v88, v88, 12, s3
	v_cmp_eq_f64_e64 s3, 0, v[148:149]
	s_and_b32 s5, s5, s6
	v_cmp_eq_f64_e64 s6, 0, v[154:155]
	v_cmp_eq_u32_e64 s7, 0, v88
	s_delay_alu instid0(VALU_DEP_1) | instskip(NEXT) | instid1(SALU_CYCLE_1)
	s_and_b32 s5, s5, s7
	v_cndmask_b32_e64 v88, v88, 13, s5
	v_cmp_eq_f64_e64 s5, 0, v[152:153]
	;; [unrolled: 30-line block ×3, first 2 shown]
	s_and_b32 s0, vcc_lo, s0
	v_cmp_eq_f64_e32 vcc_lo, 0, v[172:173]
	s_delay_alu instid0(VALU_DEP_3) | instskip(NEXT) | instid1(VALU_DEP_1)
	v_cmp_eq_u32_e64 s7, 0, v88
	s_and_b32 s0, s0, s7
	s_delay_alu instid0(SALU_CYCLE_1) | instskip(SKIP_2) | instid1(VALU_DEP_2)
	v_cndmask_b32_e64 v88, v88, 18, s0
	v_cmp_eq_f64_e64 s0, 0, v[174:175]
	s_and_b32 s1, s1, s2
	v_cmp_eq_u32_e64 s7, 0, v88
	s_delay_alu instid0(VALU_DEP_1) | instskip(NEXT) | instid1(SALU_CYCLE_1)
	s_and_b32 s1, s1, s7
	v_cndmask_b32_e64 v88, v88, 19, s1
	s_and_b32 s2, s3, s4
	s_delay_alu instid0(VALU_DEP_1) | instskip(NEXT) | instid1(VALU_DEP_1)
	v_cmp_eq_u32_e64 s1, 0, v88
	s_and_b32 s1, s2, s1
	s_delay_alu instid0(SALU_CYCLE_1) | instskip(SKIP_1) | instid1(VALU_DEP_1)
	v_cndmask_b32_e64 v88, v88, 20, s1
	s_and_b32 s2, s5, s6
	v_cmp_eq_u32_e64 s1, 0, v88
	s_delay_alu instid0(VALU_DEP_1) | instskip(NEXT) | instid1(SALU_CYCLE_1)
	s_and_b32 s1, s2, s1
	v_cndmask_b32_e64 v88, v88, 21, s1
	s_and_b32 s0, vcc_lo, s0
	s_delay_alu instid0(VALU_DEP_1) | instskip(NEXT) | instid1(VALU_DEP_1)
	v_cmp_eq_u32_e64 s1, 0, v88
	s_and_b32 s0, s0, s1
	s_delay_alu instid0(SALU_CYCLE_1) | instskip(NEXT) | instid1(VALU_DEP_1)
	v_cndmask_b32_e64 v88, v88, 22, s0
	v_cmp_ne_u32_e64 s0, 0, v88
	s_waitcnt vmcnt(0)
	v_cmp_eq_u32_e32 vcc_lo, 0, v222
	s_delay_alu instid0(VALU_DEP_2) | instskip(NEXT) | instid1(SALU_CYCLE_1)
	s_and_b32 s0, vcc_lo, s0
	s_and_b32 exec_lo, exec_lo, s0
	s_cbranch_execz .LBB43_202
; %bb.201:
	v_add_nc_u32_e32 v88, s9, v88
	global_store_b32 v[176:177], v88, off
.LBB43_202:
	s_or_b32 exec_lo, exec_lo, s10
	s_clause 0x15
	global_store_b128 v[218:219], v[84:87], off
	global_store_b128 v[220:221], v[80:83], off
	;; [unrolled: 1-line block ×22, first 2 shown]
.LBB43_203:
	s_nop 0
	s_sendmsg sendmsg(MSG_DEALLOC_VGPRS)
	s_endpgm
	.section	.rodata,"a",@progbits
	.p2align	6, 0x0
	.amdhsa_kernel _ZN9rocsolver6v33100L23getf2_npvt_small_kernelILi22E19rocblas_complex_numIdEiiPKPS3_EEvT1_T3_lS7_lPT2_S7_S7_
		.amdhsa_group_segment_fixed_size 0
		.amdhsa_private_segment_fixed_size 0
		.amdhsa_kernarg_size 312
		.amdhsa_user_sgpr_count 14
		.amdhsa_user_sgpr_dispatch_ptr 0
		.amdhsa_user_sgpr_queue_ptr 0
		.amdhsa_user_sgpr_kernarg_segment_ptr 1
		.amdhsa_user_sgpr_dispatch_id 0
		.amdhsa_user_sgpr_private_segment_size 0
		.amdhsa_wavefront_size32 1
		.amdhsa_uses_dynamic_stack 0
		.amdhsa_enable_private_segment 0
		.amdhsa_system_sgpr_workgroup_id_x 1
		.amdhsa_system_sgpr_workgroup_id_y 1
		.amdhsa_system_sgpr_workgroup_id_z 0
		.amdhsa_system_sgpr_workgroup_info 0
		.amdhsa_system_vgpr_workitem_id 1
		.amdhsa_next_free_vgpr 253
		.amdhsa_next_free_sgpr 16
		.amdhsa_reserve_vcc 1
		.amdhsa_float_round_mode_32 0
		.amdhsa_float_round_mode_16_64 0
		.amdhsa_float_denorm_mode_32 3
		.amdhsa_float_denorm_mode_16_64 3
		.amdhsa_dx10_clamp 1
		.amdhsa_ieee_mode 1
		.amdhsa_fp16_overflow 0
		.amdhsa_workgroup_processor_mode 1
		.amdhsa_memory_ordered 1
		.amdhsa_forward_progress 0
		.amdhsa_shared_vgpr_count 0
		.amdhsa_exception_fp_ieee_invalid_op 0
		.amdhsa_exception_fp_denorm_src 0
		.amdhsa_exception_fp_ieee_div_zero 0
		.amdhsa_exception_fp_ieee_overflow 0
		.amdhsa_exception_fp_ieee_underflow 0
		.amdhsa_exception_fp_ieee_inexact 0
		.amdhsa_exception_int_div_zero 0
	.end_amdhsa_kernel
	.section	.text._ZN9rocsolver6v33100L23getf2_npvt_small_kernelILi22E19rocblas_complex_numIdEiiPKPS3_EEvT1_T3_lS7_lPT2_S7_S7_,"axG",@progbits,_ZN9rocsolver6v33100L23getf2_npvt_small_kernelILi22E19rocblas_complex_numIdEiiPKPS3_EEvT1_T3_lS7_lPT2_S7_S7_,comdat
.Lfunc_end43:
	.size	_ZN9rocsolver6v33100L23getf2_npvt_small_kernelILi22E19rocblas_complex_numIdEiiPKPS3_EEvT1_T3_lS7_lPT2_S7_S7_, .Lfunc_end43-_ZN9rocsolver6v33100L23getf2_npvt_small_kernelILi22E19rocblas_complex_numIdEiiPKPS3_EEvT1_T3_lS7_lPT2_S7_S7_
                                        ; -- End function
	.section	.AMDGPU.csdata,"",@progbits
; Kernel info:
; codeLenInByte = 35760
; NumSgprs: 18
; NumVgprs: 253
; ScratchSize: 0
; MemoryBound: 1
; FloatMode: 240
; IeeeMode: 1
; LDSByteSize: 0 bytes/workgroup (compile time only)
; SGPRBlocks: 2
; VGPRBlocks: 31
; NumSGPRsForWavesPerEU: 18
; NumVGPRsForWavesPerEU: 253
; Occupancy: 5
; WaveLimiterHint : 1
; COMPUTE_PGM_RSRC2:SCRATCH_EN: 0
; COMPUTE_PGM_RSRC2:USER_SGPR: 14
; COMPUTE_PGM_RSRC2:TRAP_HANDLER: 0
; COMPUTE_PGM_RSRC2:TGID_X_EN: 1
; COMPUTE_PGM_RSRC2:TGID_Y_EN: 1
; COMPUTE_PGM_RSRC2:TGID_Z_EN: 0
; COMPUTE_PGM_RSRC2:TIDIG_COMP_CNT: 1
	.section	.text._ZN9rocsolver6v33100L18getf2_small_kernelILi23E19rocblas_complex_numIdEiiPKPS3_EEvT1_T3_lS7_lPS7_llPT2_S7_S7_S9_l,"axG",@progbits,_ZN9rocsolver6v33100L18getf2_small_kernelILi23E19rocblas_complex_numIdEiiPKPS3_EEvT1_T3_lS7_lPS7_llPT2_S7_S7_S9_l,comdat
	.globl	_ZN9rocsolver6v33100L18getf2_small_kernelILi23E19rocblas_complex_numIdEiiPKPS3_EEvT1_T3_lS7_lPS7_llPT2_S7_S7_S9_l ; -- Begin function _ZN9rocsolver6v33100L18getf2_small_kernelILi23E19rocblas_complex_numIdEiiPKPS3_EEvT1_T3_lS7_lPS7_llPT2_S7_S7_S9_l
	.p2align	8
	.type	_ZN9rocsolver6v33100L18getf2_small_kernelILi23E19rocblas_complex_numIdEiiPKPS3_EEvT1_T3_lS7_lPS7_llPT2_S7_S7_S9_l,@function
_ZN9rocsolver6v33100L18getf2_small_kernelILi23E19rocblas_complex_numIdEiiPKPS3_EEvT1_T3_lS7_lPS7_llPT2_S7_S7_S9_l: ; @_ZN9rocsolver6v33100L18getf2_small_kernelILi23E19rocblas_complex_numIdEiiPKPS3_EEvT1_T3_lS7_lPS7_llPT2_S7_S7_S9_l
; %bb.0:
	s_clause 0x1
	s_load_b32 s2, s[0:1], 0x6c
	s_load_b64 s[12:13], s[0:1], 0x48
	v_bfe_u32 v92, v0, 10, 10
	s_waitcnt lgkmcnt(0)
	s_lshr_b32 s2, s2, 16
	s_delay_alu instid0(VALU_DEP_1) | instid1(SALU_CYCLE_1)
	v_mad_u64_u32 v[7:8], null, s15, s2, v[92:93]
	s_mov_b32 s2, exec_lo
	s_delay_alu instid0(VALU_DEP_1)
	v_cmpx_gt_i32_e64 s12, v7
	s_cbranch_execz .LBB44_486
; %bb.1:
	s_clause 0x1
	s_load_b128 s[4:7], s[0:1], 0x8
	s_load_b128 s[8:11], s[0:1], 0x50
	v_ashrrev_i32_e32 v8, 31, v7
	v_mov_b32_e32 v239, 0
	v_mov_b32_e32 v240, 0
	s_delay_alu instid0(VALU_DEP_3) | instskip(SKIP_1) | instid1(VALU_DEP_1)
	v_lshlrev_b64 v[1:2], 3, v[7:8]
	s_waitcnt lgkmcnt(0)
	v_add_co_u32 v1, vcc_lo, s4, v1
	s_delay_alu instid0(VALU_DEP_2)
	v_add_co_ci_u32_e32 v2, vcc_lo, s5, v2, vcc_lo
	s_cmp_eq_u64 s[8:9], 0
	s_cselect_b32 s4, -1, 0
	global_load_b64 v[1:2], v[1:2], off
	s_and_b32 vcc_lo, exec_lo, s4
	s_cbranch_vccnz .LBB44_3
; %bb.2:
	v_mul_lo_u32 v5, v8, s10
	v_mul_lo_u32 v6, v7, s11
	v_mad_u64_u32 v[3:4], null, v7, s10, 0
	s_delay_alu instid0(VALU_DEP_1) | instskip(NEXT) | instid1(VALU_DEP_1)
	v_add3_u32 v4, v4, v6, v5
	v_lshlrev_b64 v[3:4], 2, v[3:4]
	s_delay_alu instid0(VALU_DEP_1) | instskip(NEXT) | instid1(VALU_DEP_2)
	v_add_co_u32 v239, vcc_lo, s8, v3
	v_add_co_ci_u32_e32 v240, vcc_lo, s9, v4, vcc_lo
.LBB44_3:
	s_clause 0x1
	s_load_b32 s8, s[0:1], 0x18
	s_load_b32 s5, s[0:1], 0x0
	v_dual_mov_b32 v100, 0 :: v_dual_and_b32 v105, 0x3ff, v0
	s_lshl_b64 s[2:3], s[6:7], 4
	scratch_store_b64 off, v[7:8], off offset:24 ; 8-byte Folded Spill
	s_waitcnt vmcnt(0)
	v_add_co_u32 v103, vcc_lo, v1, s2
	v_lshlrev_b32_e32 v48, 4, v105
	v_add_co_ci_u32_e32 v104, vcc_lo, s3, v2, vcc_lo
	s_delay_alu instid0(VALU_DEP_2) | instskip(NEXT) | instid1(VALU_DEP_2)
	v_add_co_u32 v2, vcc_lo, v103, v48
	v_add_co_ci_u32_e32 v3, vcc_lo, 0, v104, vcc_lo
	s_waitcnt lgkmcnt(0)
	v_add3_u32 v0, s8, s8, v105
	s_ashr_i32 s9, s8, 31
	s_max_i32 s2, s5, 23
	s_lshl_b64 s[10:11], s[8:9], 4
	v_mul_lo_u32 v49, s2, v92
	v_add_nc_u32_e32 v4, s8, v0
	v_add_co_u32 v6, vcc_lo, v2, s10
	v_ashrrev_i32_e32 v1, 31, v0
	v_add_co_ci_u32_e32 v7, vcc_lo, s11, v3, vcc_lo
	s_delay_alu instid0(VALU_DEP_4) | instskip(SKIP_1) | instid1(VALU_DEP_4)
	v_ashrrev_i32_e32 v5, 31, v4
	v_add_nc_u32_e32 v8, s8, v4
	v_lshlrev_b64 v[0:1], 4, v[0:1]
	s_clause 0x1
	global_load_b128 v[95:98], v[2:3], off
	global_load_b128 v[28:31], v[6:7], off
	v_lshl_add_u32 v102, v49, 4, 0
	v_lshlrev_b64 v[2:3], 4, v[4:5]
	v_ashrrev_i32_e32 v9, 31, v8
	v_add_nc_u32_e32 v4, s8, v8
	v_add_co_u32 v0, vcc_lo, v103, v0
	v_add_co_ci_u32_e32 v1, vcc_lo, v104, v1, vcc_lo
	s_delay_alu instid0(VALU_DEP_4) | instskip(NEXT) | instid1(VALU_DEP_4)
	v_lshlrev_b64 v[6:7], 4, v[8:9]
	v_add_nc_u32_e32 v8, s8, v4
	v_ashrrev_i32_e32 v5, 31, v4
	v_add_co_u32 v2, vcc_lo, v103, v2
	v_add_co_ci_u32_e32 v3, vcc_lo, v104, v3, vcc_lo
	s_delay_alu instid0(VALU_DEP_4) | instskip(NEXT) | instid1(VALU_DEP_4)
	v_add_nc_u32_e32 v10, s8, v8
	v_lshlrev_b64 v[4:5], 4, v[4:5]
	v_ashrrev_i32_e32 v9, 31, v8
	s_clause 0x1
	global_load_b128 v[88:91], v[0:1], off
	global_load_b128 v[76:79], v[2:3], off
	v_add_co_u32 v0, vcc_lo, v103, v6
	v_ashrrev_i32_e32 v11, 31, v10
	v_add_nc_u32_e32 v6, s8, v10
	v_add_co_ci_u32_e32 v1, vcc_lo, v104, v7, vcc_lo
	v_lshlrev_b64 v[2:3], 4, v[8:9]
	v_add_co_u32 v4, vcc_lo, v103, v4
	v_add_co_ci_u32_e32 v5, vcc_lo, v104, v5, vcc_lo
	v_lshlrev_b64 v[8:9], 4, v[10:11]
	v_add_nc_u32_e32 v10, s8, v6
	v_ashrrev_i32_e32 v7, 31, v6
	s_clause 0x1
	global_load_b128 v[84:87], v[0:1], off
	global_load_b128 v[80:83], v[4:5], off
	v_add_co_u32 v0, vcc_lo, v103, v2
	v_ashrrev_i32_e32 v11, 31, v10
	v_add_nc_u32_e32 v4, s8, v10
	v_add_co_ci_u32_e32 v1, vcc_lo, v104, v3, vcc_lo
	v_lshlrev_b64 v[2:3], 4, v[6:7]
	v_add_co_u32 v6, vcc_lo, v103, v8
	v_add_co_ci_u32_e32 v7, vcc_lo, v104, v9, vcc_lo
	v_lshlrev_b64 v[8:9], 4, v[10:11]
	v_ashrrev_i32_e32 v5, 31, v4
	v_add_nc_u32_e32 v10, s8, v4
	s_clause 0x1
	global_load_b128 v[72:75], v[0:1], off
	global_load_b128 v[68:71], v[6:7], off
	v_add_co_u32 v0, vcc_lo, v103, v2
	v_add_co_ci_u32_e32 v1, vcc_lo, v104, v3, vcc_lo
	v_lshlrev_b64 v[2:3], 4, v[4:5]
	v_ashrrev_i32_e32 v11, 31, v10
	v_add_nc_u32_e32 v4, s8, v10
	v_add_co_u32 v6, vcc_lo, v103, v8
	v_add_co_ci_u32_e32 v7, vcc_lo, v104, v9, vcc_lo
	s_delay_alu instid0(VALU_DEP_4) | instskip(NEXT) | instid1(VALU_DEP_4)
	v_lshlrev_b64 v[8:9], 4, v[10:11]
	v_ashrrev_i32_e32 v5, 31, v4
	v_add_nc_u32_e32 v10, s8, v4
	s_clause 0x1
	global_load_b128 v[60:63], v[0:1], off
	global_load_b128 v[56:59], v[6:7], off
	v_add_co_u32 v0, vcc_lo, v103, v2
	v_add_co_ci_u32_e32 v1, vcc_lo, v104, v3, vcc_lo
	v_lshlrev_b64 v[2:3], 4, v[4:5]
	v_ashrrev_i32_e32 v11, 31, v10
	v_add_nc_u32_e32 v4, s8, v10
	v_add_co_u32 v6, vcc_lo, v103, v8
	v_add_co_ci_u32_e32 v7, vcc_lo, v104, v9, vcc_lo
	s_delay_alu instid0(VALU_DEP_4) | instskip(NEXT) | instid1(VALU_DEP_4)
	;; [unrolled: 14-line block ×5, first 2 shown]
	v_lshlrev_b64 v[8:9], 4, v[10:11]
	v_ashrrev_i32_e32 v5, 31, v4
	v_add_nc_u32_e32 v10, s8, v4
	s_clause 0x1
	global_load_b128 v[24:27], v[0:1], off
	global_load_b128 v[20:23], v[6:7], off
	v_add_co_u32 v0, vcc_lo, v103, v2
	v_add_co_ci_u32_e32 v1, vcc_lo, v104, v3, vcc_lo
	v_lshlrev_b64 v[2:3], 4, v[4:5]
	v_add_nc_u32_e32 v4, s8, v10
	v_ashrrev_i32_e32 v11, 31, v10
	v_add_co_u32 v6, vcc_lo, v103, v8
	v_add_co_ci_u32_e32 v7, vcc_lo, v104, v9, vcc_lo
	s_delay_alu instid0(VALU_DEP_4) | instskip(NEXT) | instid1(VALU_DEP_4)
	v_ashrrev_i32_e32 v5, 31, v4
	v_lshlrev_b64 v[8:9], 4, v[10:11]
	v_add_co_u32 v2, vcc_lo, v103, v2
	v_add_co_ci_u32_e32 v3, vcc_lo, v104, v3, vcc_lo
	s_delay_alu instid0(VALU_DEP_4) | instskip(NEXT) | instid1(VALU_DEP_4)
	v_lshlrev_b64 v[4:5], 4, v[4:5]
	v_add_co_u32 v12, vcc_lo, v103, v8
	v_add_co_ci_u32_e32 v13, vcc_lo, v104, v9, vcc_lo
	v_add_nc_u32_e32 v48, v102, v48
	s_delay_alu instid0(VALU_DEP_4)
	v_add_co_u32 v93, vcc_lo, v103, v4
	v_add_co_ci_u32_e32 v94, vcc_lo, v104, v5, vcc_lo
	s_clause 0x4
	global_load_b128 v[8:11], v[0:1], off
	global_load_b128 v[4:7], v[6:7], off
	global_load_b128 v[16:19], v[2:3], off
	global_load_b128 v[12:15], v[12:13], off
	global_load_b128 v[0:3], v[93:94], off
	v_lshlrev_b32_e32 v107, 4, v49
	s_cmp_lt_i32 s5, 2
	s_waitcnt vmcnt(22)
	scratch_store_b128 off, v[95:98], off   ; 16-byte Folded Spill
	ds_store_2addr_b64 v48, v[95:96], v[97:98] offset1:1
	s_waitcnt vmcnt(0) lgkmcnt(0)
	s_waitcnt_vscnt null, 0x0
	s_barrier
	buffer_gl0_inv
	ds_load_2addr_b64 v[92:95], v102 offset1:1
	s_cbranch_scc1 .LBB44_6
; %bb.4:
	v_add3_u32 v101, v107, 0, 16
	v_mov_b32_e32 v100, 0
	s_mov_b32 s6, 1
	s_set_inst_prefetch_distance 0x1
	.p2align	6
.LBB44_5:                               ; =>This Inner Loop Header: Depth=1
	ds_load_2addr_b64 v[108:111], v101 offset1:1
	s_waitcnt lgkmcnt(1)
	v_cmp_gt_f64_e32 vcc_lo, 0, v[92:93]
	v_xor_b32_e32 v48, 0x80000000, v93
	v_cmp_gt_f64_e64 s2, 0, v[94:95]
	v_xor_b32_e32 v49, 0x80000000, v95
	v_add_nc_u32_e32 v101, 16, v101
	s_waitcnt lgkmcnt(0)
	v_cmp_gt_f64_e64 s3, 0, v[108:109]
	v_mov_b32_e32 v116, v108
	v_dual_mov_b32 v118, v110 :: v_dual_cndmask_b32 v113, v93, v48
	v_xor_b32_e32 v48, 0x80000000, v109
	v_cndmask_b32_e64 v115, v95, v49, s2
	v_xor_b32_e32 v49, 0x80000000, v111
	v_cndmask_b32_e32 v112, v92, v92, vcc_lo
	v_cndmask_b32_e64 v114, v94, v94, s2
	s_delay_alu instid0(VALU_DEP_1) | instskip(SKIP_2) | instid1(VALU_DEP_1)
	v_add_f64 v[112:113], v[112:113], v[114:115]
	v_cndmask_b32_e64 v117, v109, v48, s3
	v_cmp_gt_f64_e64 s3, 0, v[110:111]
	v_cndmask_b32_e64 v119, v111, v49, s3
	s_delay_alu instid0(VALU_DEP_1) | instskip(NEXT) | instid1(VALU_DEP_1)
	v_add_f64 v[116:117], v[116:117], v[118:119]
	v_cmp_lt_f64_e32 vcc_lo, v[112:113], v[116:117]
	v_cndmask_b32_e32 v95, v95, v111, vcc_lo
	v_dual_cndmask_b32 v93, v93, v109 :: v_dual_cndmask_b32 v92, v92, v108
	v_cndmask_b32_e32 v94, v94, v110, vcc_lo
	v_cndmask_b32_e64 v100, v100, s6, vcc_lo
	s_add_i32 s6, s6, 1
	s_delay_alu instid0(SALU_CYCLE_1)
	s_cmp_eq_u32 s5, s6
	s_cbranch_scc0 .LBB44_5
.LBB44_6:
	s_set_inst_prefetch_distance 0x2
	s_waitcnt lgkmcnt(0)
	v_cmp_neq_f64_e32 vcc_lo, 0, v[92:93]
	v_cmp_neq_f64_e64 s2, 0, v[94:95]
	v_dual_mov_b32 v106, 1 :: v_dual_mov_b32 v109, 1
	s_delay_alu instid0(VALU_DEP_2) | instskip(NEXT) | instid1(SALU_CYCLE_1)
	s_or_b32 s2, vcc_lo, s2
	s_and_saveexec_b32 s3, s2
	s_cbranch_execz .LBB44_12
; %bb.7:
	v_cmp_gt_f64_e32 vcc_lo, 0, v[92:93]
	v_cmp_gt_f64_e64 s2, 0, v[94:95]
	v_xor_b32_e32 v48, 0x80000000, v93
	v_xor_b32_e32 v49, 0x80000000, v95
                                        ; implicit-def: $sgpr6
                                        ; implicit-def: $sgpr7
	s_delay_alu instid0(VALU_DEP_2) | instskip(NEXT) | instid1(VALU_DEP_2)
	v_cndmask_b32_e32 v109, v93, v48, vcc_lo
	v_cndmask_b32_e64 v111, v95, v49, s2
	v_cndmask_b32_e32 v108, v92, v92, vcc_lo
	v_cndmask_b32_e64 v110, v94, v94, s2
	s_mov_b32 s2, exec_lo
	s_delay_alu instid0(VALU_DEP_1)
	v_cmpx_ngt_f64_e32 v[108:109], v[110:111]
	s_xor_b32 s2, exec_lo, s2
	s_cbranch_execz .LBB44_9
; %bb.8:
	v_div_scale_f64 v[108:109], null, v[94:95], v[94:95], v[92:93]
	v_div_scale_f64 v[114:115], vcc_lo, v[92:93], v[94:95], v[92:93]
	s_mov_b32 s7, 2
	s_mov_b32 s6, 0
	s_delay_alu instid0(VALU_DEP_2) | instskip(SKIP_2) | instid1(VALU_DEP_1)
	v_rcp_f64_e32 v[110:111], v[108:109]
	s_waitcnt_depctr 0xfff
	v_fma_f64 v[112:113], -v[108:109], v[110:111], 1.0
	v_fma_f64 v[110:111], v[110:111], v[112:113], v[110:111]
	s_delay_alu instid0(VALU_DEP_1) | instskip(NEXT) | instid1(VALU_DEP_1)
	v_fma_f64 v[112:113], -v[108:109], v[110:111], 1.0
	v_fma_f64 v[110:111], v[110:111], v[112:113], v[110:111]
	s_delay_alu instid0(VALU_DEP_1) | instskip(NEXT) | instid1(VALU_DEP_1)
	v_mul_f64 v[112:113], v[114:115], v[110:111]
	v_fma_f64 v[108:109], -v[108:109], v[112:113], v[114:115]
	s_delay_alu instid0(VALU_DEP_1) | instskip(NEXT) | instid1(VALU_DEP_1)
	v_div_fmas_f64 v[108:109], v[108:109], v[110:111], v[112:113]
	v_div_fixup_f64 v[108:109], v[108:109], v[94:95], v[92:93]
	s_delay_alu instid0(VALU_DEP_1) | instskip(NEXT) | instid1(VALU_DEP_1)
	v_fma_f64 v[92:93], v[92:93], v[108:109], v[94:95]
	v_div_scale_f64 v[94:95], null, v[92:93], v[92:93], 1.0
	s_delay_alu instid0(VALU_DEP_1) | instskip(SKIP_2) | instid1(VALU_DEP_1)
	v_rcp_f64_e32 v[110:111], v[94:95]
	s_waitcnt_depctr 0xfff
	v_fma_f64 v[112:113], -v[94:95], v[110:111], 1.0
	v_fma_f64 v[110:111], v[110:111], v[112:113], v[110:111]
	s_delay_alu instid0(VALU_DEP_1) | instskip(NEXT) | instid1(VALU_DEP_1)
	v_fma_f64 v[112:113], -v[94:95], v[110:111], 1.0
	v_fma_f64 v[110:111], v[110:111], v[112:113], v[110:111]
	v_div_scale_f64 v[112:113], vcc_lo, 1.0, v[92:93], 1.0
	s_delay_alu instid0(VALU_DEP_1) | instskip(NEXT) | instid1(VALU_DEP_1)
	v_mul_f64 v[114:115], v[112:113], v[110:111]
	v_fma_f64 v[94:95], -v[94:95], v[114:115], v[112:113]
	s_delay_alu instid0(VALU_DEP_1) | instskip(NEXT) | instid1(VALU_DEP_1)
	v_div_fmas_f64 v[94:95], v[94:95], v[110:111], v[114:115]
	v_div_fixup_f64 v[94:95], v[94:95], v[92:93], 1.0
	s_delay_alu instid0(VALU_DEP_1)
	v_mul_f64 v[92:93], v[108:109], v[94:95]
	v_xor_b32_e32 v95, 0x80000000, v95
.LBB44_9:
	s_or_saveexec_b32 s2, s2
	v_dual_mov_b32 v109, s6 :: v_dual_mov_b32 v106, s7
	s_xor_b32 exec_lo, exec_lo, s2
	s_cbranch_execz .LBB44_11
; %bb.10:
	s_delay_alu instid0(VALU_DEP_3) | instskip(SKIP_2) | instid1(VALU_DEP_3)
	v_div_scale_f64 v[108:109], null, v[92:93], v[92:93], v[94:95]
	v_div_scale_f64 v[114:115], vcc_lo, v[94:95], v[92:93], v[94:95]
	v_mov_b32_e32 v106, 2
	v_rcp_f64_e32 v[110:111], v[108:109]
	s_waitcnt_depctr 0xfff
	v_fma_f64 v[112:113], -v[108:109], v[110:111], 1.0
	s_delay_alu instid0(VALU_DEP_1) | instskip(NEXT) | instid1(VALU_DEP_1)
	v_fma_f64 v[110:111], v[110:111], v[112:113], v[110:111]
	v_fma_f64 v[112:113], -v[108:109], v[110:111], 1.0
	s_delay_alu instid0(VALU_DEP_1) | instskip(NEXT) | instid1(VALU_DEP_1)
	v_fma_f64 v[110:111], v[110:111], v[112:113], v[110:111]
	v_mul_f64 v[112:113], v[114:115], v[110:111]
	s_delay_alu instid0(VALU_DEP_1) | instskip(NEXT) | instid1(VALU_DEP_1)
	v_fma_f64 v[108:109], -v[108:109], v[112:113], v[114:115]
	v_div_fmas_f64 v[108:109], v[108:109], v[110:111], v[112:113]
	s_delay_alu instid0(VALU_DEP_1) | instskip(NEXT) | instid1(VALU_DEP_1)
	v_div_fixup_f64 v[108:109], v[108:109], v[92:93], v[94:95]
	v_fma_f64 v[92:93], v[94:95], v[108:109], v[92:93]
	s_delay_alu instid0(VALU_DEP_1) | instskip(NEXT) | instid1(VALU_DEP_1)
	v_div_scale_f64 v[94:95], null, v[92:93], v[92:93], 1.0
	v_rcp_f64_e32 v[110:111], v[94:95]
	s_waitcnt_depctr 0xfff
	v_fma_f64 v[112:113], -v[94:95], v[110:111], 1.0
	s_delay_alu instid0(VALU_DEP_1) | instskip(NEXT) | instid1(VALU_DEP_1)
	v_fma_f64 v[110:111], v[110:111], v[112:113], v[110:111]
	v_fma_f64 v[112:113], -v[94:95], v[110:111], 1.0
	s_delay_alu instid0(VALU_DEP_1) | instskip(SKIP_1) | instid1(VALU_DEP_1)
	v_fma_f64 v[110:111], v[110:111], v[112:113], v[110:111]
	v_div_scale_f64 v[112:113], vcc_lo, 1.0, v[92:93], 1.0
	v_mul_f64 v[114:115], v[112:113], v[110:111]
	s_delay_alu instid0(VALU_DEP_1) | instskip(NEXT) | instid1(VALU_DEP_1)
	v_fma_f64 v[94:95], -v[94:95], v[114:115], v[112:113]
	v_div_fmas_f64 v[94:95], v[94:95], v[110:111], v[114:115]
	s_delay_alu instid0(VALU_DEP_1) | instskip(NEXT) | instid1(VALU_DEP_1)
	v_div_fixup_f64 v[92:93], v[94:95], v[92:93], 1.0
	v_mul_f64 v[94:95], v[108:109], -v[92:93]
	v_mov_b32_e32 v109, 0
.LBB44_11:
	s_or_b32 exec_lo, exec_lo, s2
.LBB44_12:
	s_delay_alu instid0(SALU_CYCLE_1) | instskip(NEXT) | instid1(SALU_CYCLE_1)
	s_or_b32 exec_lo, exec_lo, s3
	s_mov_b32 s2, exec_lo
	v_cmpx_ne_u32_e64 v105, v100
	s_xor_b32 s2, exec_lo, s2
	s_cbranch_execz .LBB44_18
; %bb.13:
	s_mov_b32 s3, exec_lo
	v_cmpx_eq_u32_e32 0, v105
	s_cbranch_execz .LBB44_17
; %bb.14:
	v_cmp_ne_u32_e32 vcc_lo, 0, v100
	s_xor_b32 s6, s4, -1
	s_delay_alu instid0(SALU_CYCLE_1) | instskip(NEXT) | instid1(SALU_CYCLE_1)
	s_and_b32 s7, s6, vcc_lo
	s_and_saveexec_b32 s6, s7
	s_cbranch_execz .LBB44_16
; %bb.15:
	v_ashrrev_i32_e32 v101, 31, v100
	s_delay_alu instid0(VALU_DEP_1) | instskip(NEXT) | instid1(VALU_DEP_1)
	v_lshlrev_b64 v[110:111], 2, v[100:101]
	v_add_co_u32 v110, vcc_lo, v239, v110
	s_delay_alu instid0(VALU_DEP_2)
	v_add_co_ci_u32_e32 v111, vcc_lo, v240, v111, vcc_lo
	s_clause 0x1
	flat_load_b32 v48, v[110:111]
	flat_load_b32 v49, v[239:240]
	s_waitcnt vmcnt(1) lgkmcnt(1)
	flat_store_b32 v[239:240], v48
	s_waitcnt vmcnt(0) lgkmcnt(1)
	flat_store_b32 v[110:111], v49
.LBB44_16:
	s_or_b32 exec_lo, exec_lo, s6
	v_mov_b32_e32 v105, v100
.LBB44_17:
	s_or_b32 exec_lo, exec_lo, s3
.LBB44_18:
	s_or_saveexec_b32 s2, s2
	s_delay_alu instid0(VALU_DEP_1)
	v_mov_b32_e32 v108, v105
	s_xor_b32 exec_lo, exec_lo, s2
	s_cbranch_execz .LBB44_20
; %bb.19:
	v_mov_b32_e32 v108, 0
	ds_store_2addr_b64 v102, v[28:29], v[30:31] offset0:2 offset1:3
	ds_store_2addr_b64 v102, v[88:89], v[90:91] offset0:4 offset1:5
	;; [unrolled: 1-line block ×22, first 2 shown]
.LBB44_20:
	s_or_b32 exec_lo, exec_lo, s2
	s_delay_alu instid0(VALU_DEP_1)
	v_cmp_lt_i32_e32 vcc_lo, 0, v108
	s_waitcnt lgkmcnt(0)
	s_waitcnt_vscnt null, 0x0
	s_barrier
	buffer_gl0_inv
	s_mov_b32 s2, exec_lo
	s_delay_alu instid0(SALU_CYCLE_1)
	s_and_b32 s3, s2, vcc_lo
	scratch_store_b64 off, v[239:240], off offset:16 ; 8-byte Folded Spill
	s_mov_b32 exec_lo, s3
	s_cbranch_execz .LBB44_22
; %bb.21:
	scratch_load_b128 v[48:51], off, off    ; 16-byte Folded Reload
	ds_load_2addr_b64 v[110:113], v102 offset0:2 offset1:3
	ds_load_2addr_b64 v[114:117], v102 offset0:4 offset1:5
	;; [unrolled: 1-line block ×18, first 2 shown]
	s_waitcnt vmcnt(0)
	v_mul_f64 v[100:101], v[92:93], v[50:51]
	v_mul_f64 v[182:183], v[94:95], v[50:51]
	s_delay_alu instid0(VALU_DEP_2) | instskip(NEXT) | instid1(VALU_DEP_2)
	v_fma_f64 v[50:51], v[94:95], v[48:49], v[100:101]
	v_fma_f64 v[48:49], v[92:93], v[48:49], -v[182:183]
	ds_load_2addr_b64 v[92:95], v102 offset0:38 offset1:39
	ds_load_2addr_b64 v[182:185], v102 offset0:40 offset1:41
	;; [unrolled: 1-line block ×4, first 2 shown]
	s_waitcnt lgkmcnt(10)
	v_mul_f64 v[238:239], v[154:155], v[50:51]
	s_waitcnt lgkmcnt(9)
	v_mul_f64 v[240:241], v[160:161], v[50:51]
	v_mul_f64 v[236:237], v[156:157], v[50:51]
	;; [unrolled: 1-line block ×25, first 2 shown]
	s_waitcnt lgkmcnt(8)
	v_mul_f64 v[244:245], v[164:165], v[50:51]
	v_mul_f64 v[246:247], v[162:163], v[50:51]
	s_waitcnt lgkmcnt(7)
	v_mul_f64 v[248:249], v[168:169], v[50:51]
	v_mul_f64 v[250:251], v[166:167], v[50:51]
	;; [unrolled: 3-line block ×4, first 2 shown]
	scratch_store_b128 off, v[48:51], off   ; 16-byte Folded Spill
	v_fma_f64 v[156:157], v[156:157], v[48:49], v[238:239]
	v_fma_f64 v[158:159], v[158:159], v[48:49], -v[240:241]
	scratch_load_b64 v[239:240], off, off offset:16 ; 8-byte Folded Reload
	v_fma_f64 v[154:155], v[154:155], v[48:49], -v[236:237]
	v_fma_f64 v[100:101], v[110:111], v[48:49], -v[100:101]
	v_fma_f64 v[110:111], v[112:113], v[48:49], v[194:195]
	s_waitcnt lgkmcnt(4)
	v_mul_f64 v[112:113], v[180:181], v[50:51]
	v_mul_f64 v[194:195], v[178:179], v[50:51]
	v_fma_f64 v[114:115], v[114:115], v[48:49], -v[196:197]
	v_fma_f64 v[116:117], v[116:117], v[48:49], v[198:199]
	s_waitcnt lgkmcnt(3)
	v_mul_f64 v[196:197], v[94:95], v[50:51]
	v_mul_f64 v[198:199], v[92:93], v[50:51]
	;; [unrolled: 5-line block ×5, first 2 shown]
	v_fma_f64 v[130:131], v[130:131], v[48:49], -v[212:213]
	v_fma_f64 v[132:133], v[132:133], v[48:49], v[214:215]
	v_fma_f64 v[134:135], v[134:135], v[48:49], -v[216:217]
	v_fma_f64 v[136:137], v[136:137], v[48:49], v[218:219]
	;; [unrolled: 2-line block ×6, first 2 shown]
	v_fma_f64 v[160:161], v[160:161], v[48:49], v[242:243]
	v_fma_f64 v[162:163], v[162:163], v[48:49], -v[244:245]
	v_fma_f64 v[164:165], v[164:165], v[48:49], v[246:247]
	v_fma_f64 v[166:167], v[166:167], v[48:49], -v[248:249]
	;; [unrolled: 2-line block ×5, first 2 shown]
	v_fma_f64 v[174:175], v[180:181], v[48:49], v[194:195]
	v_add_f64 v[28:29], v[28:29], -v[100:101]
	v_fma_f64 v[92:93], v[92:93], v[48:49], -v[196:197]
	v_fma_f64 v[94:95], v[94:95], v[48:49], v[198:199]
	v_add_f64 v[30:31], v[30:31], -v[110:111]
	v_add_f64 v[88:89], v[88:89], -v[114:115]
	v_fma_f64 v[176:177], v[182:183], v[48:49], -v[200:201]
	v_fma_f64 v[178:179], v[184:185], v[48:49], v[202:203]
	v_add_f64 v[90:91], v[90:91], -v[116:117]
	v_add_f64 v[76:77], v[76:77], -v[118:119]
	v_fma_f64 v[180:181], v[186:187], v[48:49], -v[204:205]
	v_fma_f64 v[182:183], v[188:189], v[48:49], v[206:207]
	v_add_f64 v[78:79], v[78:79], -v[120:121]
	v_add_f64 v[84:85], v[84:85], -v[122:123]
	v_fma_f64 v[184:185], v[190:191], v[48:49], -v[208:209]
	v_fma_f64 v[186:187], v[192:193], v[48:49], v[210:211]
	v_add_f64 v[86:87], v[86:87], -v[124:125]
	v_add_f64 v[80:81], v[80:81], -v[126:127]
	v_add_f64 v[82:83], v[82:83], -v[128:129]
	;; [unrolled: 1-line block ×36, first 2 shown]
.LBB44_22:
	s_or_b32 exec_lo, exec_lo, s2
	v_lshl_add_u32 v48, v108, 4, v102
	s_waitcnt vmcnt(0)
	s_waitcnt_vscnt null, 0x0
	s_barrier
	buffer_gl0_inv
	v_mov_b32_e32 v100, 1
	ds_store_2addr_b64 v48, v[28:29], v[30:31] offset1:1
	s_waitcnt lgkmcnt(0)
	s_barrier
	buffer_gl0_inv
	ds_load_2addr_b64 v[92:95], v102 offset0:2 offset1:3
	s_cmp_lt_i32 s5, 3
	s_cbranch_scc1 .LBB44_25
; %bb.23:
	v_add3_u32 v101, v107, 0, 32
	v_mov_b32_e32 v100, 1
	s_mov_b32 s6, 2
	s_set_inst_prefetch_distance 0x1
	.p2align	6
.LBB44_24:                              ; =>This Inner Loop Header: Depth=1
	ds_load_2addr_b64 v[110:113], v101 offset1:1
	s_waitcnt lgkmcnt(1)
	v_cmp_gt_f64_e32 vcc_lo, 0, v[92:93]
	v_xor_b32_e32 v48, 0x80000000, v93
	v_cmp_gt_f64_e64 s2, 0, v[94:95]
	v_xor_b32_e32 v49, 0x80000000, v95
	v_add_nc_u32_e32 v101, 16, v101
	s_waitcnt lgkmcnt(0)
	v_cmp_gt_f64_e64 s3, 0, v[110:111]
	v_mov_b32_e32 v114, v110
	v_dual_mov_b32 v116, v112 :: v_dual_cndmask_b32 v97, v93, v48
	v_xor_b32_e32 v48, 0x80000000, v111
	v_cndmask_b32_e64 v99, v95, v49, s2
	v_xor_b32_e32 v49, 0x80000000, v113
	v_cndmask_b32_e32 v96, v92, v92, vcc_lo
	v_cndmask_b32_e64 v98, v94, v94, s2
	s_delay_alu instid0(VALU_DEP_1) | instskip(SKIP_2) | instid1(VALU_DEP_1)
	v_add_f64 v[96:97], v[96:97], v[98:99]
	v_cndmask_b32_e64 v115, v111, v48, s3
	v_cmp_gt_f64_e64 s3, 0, v[112:113]
	v_cndmask_b32_e64 v117, v113, v49, s3
	s_delay_alu instid0(VALU_DEP_1) | instskip(NEXT) | instid1(VALU_DEP_1)
	v_add_f64 v[114:115], v[114:115], v[116:117]
	v_cmp_lt_f64_e32 vcc_lo, v[96:97], v[114:115]
	v_cndmask_b32_e32 v95, v95, v113, vcc_lo
	v_dual_cndmask_b32 v93, v93, v111 :: v_dual_cndmask_b32 v92, v92, v110
	v_cndmask_b32_e32 v94, v94, v112, vcc_lo
	v_cndmask_b32_e64 v100, v100, s6, vcc_lo
	s_add_i32 s6, s6, 1
	s_delay_alu instid0(SALU_CYCLE_1)
	s_cmp_lg_u32 s5, s6
	s_cbranch_scc1 .LBB44_24
.LBB44_25:
	s_set_inst_prefetch_distance 0x2
	s_waitcnt lgkmcnt(0)
	v_cmp_neq_f64_e32 vcc_lo, 0, v[92:93]
	v_cmp_neq_f64_e64 s2, 0, v[94:95]
	s_delay_alu instid0(VALU_DEP_1) | instskip(NEXT) | instid1(SALU_CYCLE_1)
	s_or_b32 s2, vcc_lo, s2
	s_and_saveexec_b32 s3, s2
	s_cbranch_execz .LBB44_31
; %bb.26:
	v_cmp_gt_f64_e32 vcc_lo, 0, v[92:93]
	v_cmp_gt_f64_e64 s2, 0, v[94:95]
	v_xor_b32_e32 v48, 0x80000000, v93
	v_xor_b32_e32 v49, 0x80000000, v95
	s_delay_alu instid0(VALU_DEP_2) | instskip(NEXT) | instid1(VALU_DEP_2)
	v_cndmask_b32_e32 v97, v93, v48, vcc_lo
	v_cndmask_b32_e64 v99, v95, v49, s2
	v_cndmask_b32_e32 v96, v92, v92, vcc_lo
	v_cndmask_b32_e64 v98, v94, v94, s2
	s_mov_b32 s2, exec_lo
	s_delay_alu instid0(VALU_DEP_1)
	v_cmpx_ngt_f64_e32 v[96:97], v[98:99]
	s_xor_b32 s2, exec_lo, s2
	s_cbranch_execz .LBB44_28
; %bb.27:
	v_div_scale_f64 v[96:97], null, v[94:95], v[94:95], v[92:93]
	v_div_scale_f64 v[112:113], vcc_lo, v[92:93], v[94:95], v[92:93]
	s_delay_alu instid0(VALU_DEP_2) | instskip(SKIP_2) | instid1(VALU_DEP_1)
	v_rcp_f64_e32 v[98:99], v[96:97]
	s_waitcnt_depctr 0xfff
	v_fma_f64 v[110:111], -v[96:97], v[98:99], 1.0
	v_fma_f64 v[98:99], v[98:99], v[110:111], v[98:99]
	s_delay_alu instid0(VALU_DEP_1) | instskip(NEXT) | instid1(VALU_DEP_1)
	v_fma_f64 v[110:111], -v[96:97], v[98:99], 1.0
	v_fma_f64 v[98:99], v[98:99], v[110:111], v[98:99]
	s_delay_alu instid0(VALU_DEP_1) | instskip(NEXT) | instid1(VALU_DEP_1)
	v_mul_f64 v[110:111], v[112:113], v[98:99]
	v_fma_f64 v[96:97], -v[96:97], v[110:111], v[112:113]
	s_delay_alu instid0(VALU_DEP_1) | instskip(NEXT) | instid1(VALU_DEP_1)
	v_div_fmas_f64 v[96:97], v[96:97], v[98:99], v[110:111]
	v_div_fixup_f64 v[96:97], v[96:97], v[94:95], v[92:93]
	s_delay_alu instid0(VALU_DEP_1) | instskip(NEXT) | instid1(VALU_DEP_1)
	v_fma_f64 v[92:93], v[92:93], v[96:97], v[94:95]
	v_div_scale_f64 v[94:95], null, v[92:93], v[92:93], 1.0
	s_delay_alu instid0(VALU_DEP_1) | instskip(SKIP_2) | instid1(VALU_DEP_1)
	v_rcp_f64_e32 v[98:99], v[94:95]
	s_waitcnt_depctr 0xfff
	v_fma_f64 v[110:111], -v[94:95], v[98:99], 1.0
	v_fma_f64 v[98:99], v[98:99], v[110:111], v[98:99]
	s_delay_alu instid0(VALU_DEP_1) | instskip(NEXT) | instid1(VALU_DEP_1)
	v_fma_f64 v[110:111], -v[94:95], v[98:99], 1.0
	v_fma_f64 v[98:99], v[98:99], v[110:111], v[98:99]
	v_div_scale_f64 v[110:111], vcc_lo, 1.0, v[92:93], 1.0
	s_delay_alu instid0(VALU_DEP_1) | instskip(NEXT) | instid1(VALU_DEP_1)
	v_mul_f64 v[112:113], v[110:111], v[98:99]
	v_fma_f64 v[94:95], -v[94:95], v[112:113], v[110:111]
	s_delay_alu instid0(VALU_DEP_1) | instskip(NEXT) | instid1(VALU_DEP_1)
	v_div_fmas_f64 v[94:95], v[94:95], v[98:99], v[112:113]
	v_div_fixup_f64 v[94:95], v[94:95], v[92:93], 1.0
	s_delay_alu instid0(VALU_DEP_1)
	v_mul_f64 v[92:93], v[96:97], v[94:95]
	v_xor_b32_e32 v95, 0x80000000, v95
.LBB44_28:
	s_and_not1_saveexec_b32 s2, s2
	s_cbranch_execz .LBB44_30
; %bb.29:
	s_delay_alu instid0(VALU_DEP_1) | instskip(SKIP_1) | instid1(VALU_DEP_2)
	v_div_scale_f64 v[96:97], null, v[92:93], v[92:93], v[94:95]
	v_div_scale_f64 v[112:113], vcc_lo, v[94:95], v[92:93], v[94:95]
	v_rcp_f64_e32 v[98:99], v[96:97]
	s_waitcnt_depctr 0xfff
	v_fma_f64 v[110:111], -v[96:97], v[98:99], 1.0
	s_delay_alu instid0(VALU_DEP_1) | instskip(NEXT) | instid1(VALU_DEP_1)
	v_fma_f64 v[98:99], v[98:99], v[110:111], v[98:99]
	v_fma_f64 v[110:111], -v[96:97], v[98:99], 1.0
	s_delay_alu instid0(VALU_DEP_1) | instskip(NEXT) | instid1(VALU_DEP_1)
	v_fma_f64 v[98:99], v[98:99], v[110:111], v[98:99]
	v_mul_f64 v[110:111], v[112:113], v[98:99]
	s_delay_alu instid0(VALU_DEP_1) | instskip(NEXT) | instid1(VALU_DEP_1)
	v_fma_f64 v[96:97], -v[96:97], v[110:111], v[112:113]
	v_div_fmas_f64 v[96:97], v[96:97], v[98:99], v[110:111]
	s_delay_alu instid0(VALU_DEP_1) | instskip(NEXT) | instid1(VALU_DEP_1)
	v_div_fixup_f64 v[96:97], v[96:97], v[92:93], v[94:95]
	v_fma_f64 v[92:93], v[94:95], v[96:97], v[92:93]
	s_delay_alu instid0(VALU_DEP_1) | instskip(NEXT) | instid1(VALU_DEP_1)
	v_div_scale_f64 v[94:95], null, v[92:93], v[92:93], 1.0
	v_rcp_f64_e32 v[98:99], v[94:95]
	s_waitcnt_depctr 0xfff
	v_fma_f64 v[110:111], -v[94:95], v[98:99], 1.0
	s_delay_alu instid0(VALU_DEP_1) | instskip(NEXT) | instid1(VALU_DEP_1)
	v_fma_f64 v[98:99], v[98:99], v[110:111], v[98:99]
	v_fma_f64 v[110:111], -v[94:95], v[98:99], 1.0
	s_delay_alu instid0(VALU_DEP_1) | instskip(SKIP_1) | instid1(VALU_DEP_1)
	v_fma_f64 v[98:99], v[98:99], v[110:111], v[98:99]
	v_div_scale_f64 v[110:111], vcc_lo, 1.0, v[92:93], 1.0
	v_mul_f64 v[112:113], v[110:111], v[98:99]
	s_delay_alu instid0(VALU_DEP_1) | instskip(NEXT) | instid1(VALU_DEP_1)
	v_fma_f64 v[94:95], -v[94:95], v[112:113], v[110:111]
	v_div_fmas_f64 v[94:95], v[94:95], v[98:99], v[112:113]
	s_delay_alu instid0(VALU_DEP_1) | instskip(NEXT) | instid1(VALU_DEP_1)
	v_div_fixup_f64 v[92:93], v[94:95], v[92:93], 1.0
	v_mul_f64 v[94:95], v[96:97], -v[92:93]
.LBB44_30:
	s_or_b32 exec_lo, exec_lo, s2
	v_mov_b32_e32 v106, v109
.LBB44_31:
	s_or_b32 exec_lo, exec_lo, s3
	s_delay_alu instid0(SALU_CYCLE_1)
	s_mov_b32 s2, exec_lo
	v_cmpx_ne_u32_e64 v108, v100
	s_xor_b32 s2, exec_lo, s2
	s_cbranch_execz .LBB44_37
; %bb.32:
	s_mov_b32 s3, exec_lo
	v_cmpx_eq_u32_e32 1, v108
	s_cbranch_execz .LBB44_36
; %bb.33:
	v_cmp_ne_u32_e32 vcc_lo, 1, v100
	s_xor_b32 s6, s4, -1
	s_delay_alu instid0(SALU_CYCLE_1) | instskip(NEXT) | instid1(SALU_CYCLE_1)
	s_and_b32 s7, s6, vcc_lo
	s_and_saveexec_b32 s6, s7
	s_cbranch_execz .LBB44_35
; %bb.34:
	v_ashrrev_i32_e32 v101, 31, v100
	s_delay_alu instid0(VALU_DEP_1) | instskip(NEXT) | instid1(VALU_DEP_1)
	v_lshlrev_b64 v[96:97], 2, v[100:101]
	v_add_co_u32 v96, vcc_lo, v239, v96
	s_delay_alu instid0(VALU_DEP_2)
	v_add_co_ci_u32_e32 v97, vcc_lo, v240, v97, vcc_lo
	s_clause 0x1
	flat_load_b32 v48, v[96:97]
	flat_load_b32 v49, v[239:240] offset:4
	s_waitcnt vmcnt(1) lgkmcnt(1)
	flat_store_b32 v[239:240], v48 offset:4
	s_waitcnt vmcnt(0) lgkmcnt(1)
	flat_store_b32 v[96:97], v49
.LBB44_35:
	s_or_b32 exec_lo, exec_lo, s6
	v_mov_b32_e32 v108, v100
	v_mov_b32_e32 v105, v100
.LBB44_36:
	s_or_b32 exec_lo, exec_lo, s3
.LBB44_37:
	s_and_not1_saveexec_b32 s2, s2
	s_cbranch_execz .LBB44_39
; %bb.38:
	v_mov_b32_e32 v108, 1
	ds_store_2addr_b64 v102, v[88:89], v[90:91] offset0:4 offset1:5
	ds_store_2addr_b64 v102, v[76:77], v[78:79] offset0:6 offset1:7
	;; [unrolled: 1-line block ×21, first 2 shown]
.LBB44_39:
	s_or_b32 exec_lo, exec_lo, s2
	s_delay_alu instid0(SALU_CYCLE_1)
	s_mov_b32 s2, exec_lo
	s_waitcnt lgkmcnt(0)
	s_waitcnt_vscnt null, 0x0
	s_barrier
	buffer_gl0_inv
	v_cmpx_lt_i32_e32 1, v108
	s_cbranch_execz .LBB44_41
; %bb.40:
	v_mul_f64 v[96:97], v[92:93], v[30:31]
	v_mul_f64 v[98:99], v[94:95], v[30:31]
	ds_load_2addr_b64 v[109:112], v102 offset0:4 offset1:5
	ds_load_2addr_b64 v[113:116], v102 offset0:6 offset1:7
	;; [unrolled: 1-line block ×21, first 2 shown]
	v_fma_f64 v[30:31], v[94:95], v[28:29], v[96:97]
	v_fma_f64 v[28:29], v[92:93], v[28:29], -v[98:99]
	s_waitcnt lgkmcnt(18)
	s_delay_alu instid0(VALU_DEP_2)
	v_mul_f64 v[100:101], v[119:120], v[30:31]
	v_mul_f64 v[193:194], v[117:118], v[30:31]
	s_waitcnt lgkmcnt(17)
	v_mul_f64 v[195:196], v[123:124], v[30:31]
	v_mul_f64 v[197:198], v[121:122], v[30:31]
	s_waitcnt lgkmcnt(16)
	;; [unrolled: 3-line block ×12, first 2 shown]
	v_mul_f64 v[239:240], v[167:168], v[30:31]
	v_mul_f64 v[92:93], v[111:112], v[30:31]
	;; [unrolled: 1-line block ×6, first 2 shown]
	s_waitcnt lgkmcnt(5)
	v_mul_f64 v[243:244], v[171:172], v[30:31]
	v_mul_f64 v[245:246], v[169:170], v[30:31]
	s_waitcnt lgkmcnt(4)
	v_mul_f64 v[247:248], v[175:176], v[30:31]
	v_mul_f64 v[249:250], v[173:174], v[30:31]
	;; [unrolled: 3-line block ×4, first 2 shown]
	v_fma_f64 v[100:101], v[117:118], v[28:29], -v[100:101]
	v_fma_f64 v[117:118], v[119:120], v[28:29], v[193:194]
	v_fma_f64 v[119:120], v[121:122], v[28:29], -v[195:196]
	v_fma_f64 v[121:122], v[123:124], v[28:29], v[197:198]
	;; [unrolled: 2-line block ×12, first 2 shown]
	v_fma_f64 v[163:164], v[165:166], v[28:29], -v[239:240]
	scratch_load_b64 v[239:240], off, off offset:16 ; 8-byte Folded Reload
	v_fma_f64 v[92:93], v[109:110], v[28:29], -v[92:93]
	v_fma_f64 v[94:95], v[111:112], v[28:29], v[94:95]
	s_waitcnt lgkmcnt(1)
	v_mul_f64 v[109:110], v[187:188], v[30:31]
	v_mul_f64 v[111:112], v[185:186], v[30:31]
	v_fma_f64 v[96:97], v[113:114], v[28:29], -v[96:97]
	v_fma_f64 v[98:99], v[115:116], v[28:29], v[98:99]
	s_waitcnt lgkmcnt(0)
	v_mul_f64 v[113:114], v[191:192], v[30:31]
	v_mul_f64 v[115:116], v[189:190], v[30:31]
	v_fma_f64 v[165:166], v[167:168], v[28:29], v[241:242]
	v_fma_f64 v[167:168], v[169:170], v[28:29], -v[243:244]
	v_fma_f64 v[169:170], v[171:172], v[28:29], v[245:246]
	v_fma_f64 v[171:172], v[173:174], v[28:29], -v[247:248]
	v_fma_f64 v[173:174], v[175:176], v[28:29], v[249:250]
	v_fma_f64 v[175:176], v[177:178], v[28:29], -v[251:252]
	v_fma_f64 v[177:178], v[179:180], v[28:29], v[253:254]
	v_fma_f64 v[48:49], v[181:182], v[28:29], -v[48:49]
	v_fma_f64 v[50:51], v[183:184], v[28:29], v[50:51]
	v_add_f64 v[84:85], v[84:85], -v[100:101]
	v_add_f64 v[86:87], v[86:87], -v[117:118]
	v_add_f64 v[80:81], v[80:81], -v[119:120]
	v_add_f64 v[82:83], v[82:83], -v[121:122]
	v_add_f64 v[72:73], v[72:73], -v[123:124]
	v_add_f64 v[74:75], v[74:75], -v[125:126]
	v_add_f64 v[68:69], v[68:69], -v[127:128]
	v_add_f64 v[70:71], v[70:71], -v[129:130]
	v_add_f64 v[60:61], v[60:61], -v[131:132]
	v_add_f64 v[62:63], v[62:63], -v[133:134]
	v_add_f64 v[56:57], v[56:57], -v[135:136]
	v_add_f64 v[58:59], v[58:59], -v[137:138]
	v_add_f64 v[64:65], v[64:65], -v[139:140]
	v_add_f64 v[66:67], v[66:67], -v[141:142]
	v_add_f64 v[44:45], v[44:45], -v[143:144]
	v_add_f64 v[46:47], v[46:47], -v[145:146]
	v_add_f64 v[52:53], v[52:53], -v[147:148]
	v_add_f64 v[54:55], v[54:55], -v[149:150]
	v_add_f64 v[32:33], v[32:33], -v[151:152]
	v_add_f64 v[34:35], v[34:35], -v[153:154]
	v_add_f64 v[40:41], v[40:41], -v[155:156]
	v_add_f64 v[88:89], v[88:89], -v[92:93]
	v_add_f64 v[90:91], v[90:91], -v[94:95]
	v_fma_f64 v[109:110], v[185:186], v[28:29], -v[109:110]
	v_fma_f64 v[111:112], v[187:188], v[28:29], v[111:112]
	v_add_f64 v[76:77], v[76:77], -v[96:97]
	v_add_f64 v[78:79], v[78:79], -v[98:99]
	v_fma_f64 v[113:114], v[189:190], v[28:29], -v[113:114]
	v_fma_f64 v[115:116], v[191:192], v[28:29], v[115:116]
	v_add_f64 v[42:43], v[42:43], -v[157:158]
	v_add_f64 v[36:37], v[36:37], -v[159:160]
	v_add_f64 v[38:39], v[38:39], -v[161:162]
	v_add_f64 v[24:25], v[24:25], -v[163:164]
	v_add_f64 v[26:27], v[26:27], -v[165:166]
	v_add_f64 v[20:21], v[20:21], -v[167:168]
	v_add_f64 v[22:23], v[22:23], -v[169:170]
	v_add_f64 v[8:9], v[8:9], -v[171:172]
	v_add_f64 v[10:11], v[10:11], -v[173:174]
	v_add_f64 v[4:5], v[4:5], -v[175:176]
	v_add_f64 v[6:7], v[6:7], -v[177:178]
	v_add_f64 v[16:17], v[16:17], -v[48:49]
	v_add_f64 v[18:19], v[18:19], -v[50:51]
	v_add_f64 v[12:13], v[12:13], -v[109:110]
	v_add_f64 v[14:15], v[14:15], -v[111:112]
	v_add_f64 v[0:1], v[0:1], -v[113:114]
	v_add_f64 v[2:3], v[2:3], -v[115:116]
.LBB44_41:
	s_or_b32 exec_lo, exec_lo, s2
	v_lshl_add_u32 v48, v108, 4, v102
	s_waitcnt vmcnt(0)
	s_barrier
	buffer_gl0_inv
	v_mov_b32_e32 v100, 2
	ds_store_2addr_b64 v48, v[88:89], v[90:91] offset1:1
	s_waitcnt lgkmcnt(0)
	s_barrier
	buffer_gl0_inv
	ds_load_2addr_b64 v[92:95], v102 offset0:4 offset1:5
	s_cmp_lt_i32 s5, 4
	s_cbranch_scc1 .LBB44_44
; %bb.42:
	v_add3_u32 v101, v107, 0, 48
	v_mov_b32_e32 v100, 2
	s_mov_b32 s6, 3
	s_set_inst_prefetch_distance 0x1
	.p2align	6
.LBB44_43:                              ; =>This Inner Loop Header: Depth=1
	ds_load_2addr_b64 v[109:112], v101 offset1:1
	s_waitcnt lgkmcnt(1)
	v_cmp_gt_f64_e32 vcc_lo, 0, v[92:93]
	v_xor_b32_e32 v48, 0x80000000, v93
	v_cmp_gt_f64_e64 s2, 0, v[94:95]
	v_xor_b32_e32 v50, 0x80000000, v95
	v_add_nc_u32_e32 v101, 16, v101
	s_waitcnt lgkmcnt(0)
	v_cmp_gt_f64_e64 s3, 0, v[109:110]
	v_mov_b32_e32 v96, v109
	v_dual_mov_b32 v98, v111 :: v_dual_cndmask_b32 v49, v93, v48
	v_xor_b32_e32 v48, 0x80000000, v110
	v_cndmask_b32_e64 v51, v95, v50, s2
	v_xor_b32_e32 v50, 0x80000000, v112
	s_delay_alu instid0(VALU_DEP_3) | instskip(SKIP_2) | instid1(VALU_DEP_2)
	v_cndmask_b32_e64 v97, v110, v48, s3
	v_cmp_gt_f64_e64 s3, 0, v[111:112]
	v_cndmask_b32_e32 v48, v92, v92, vcc_lo
	v_cndmask_b32_e64 v99, v112, v50, s3
	v_cndmask_b32_e64 v50, v94, v94, s2
	s_delay_alu instid0(VALU_DEP_2) | instskip(NEXT) | instid1(VALU_DEP_2)
	v_add_f64 v[96:97], v[96:97], v[98:99]
	v_add_f64 v[48:49], v[48:49], v[50:51]
	s_delay_alu instid0(VALU_DEP_1) | instskip(SKIP_4) | instid1(SALU_CYCLE_1)
	v_cmp_lt_f64_e32 vcc_lo, v[48:49], v[96:97]
	v_dual_cndmask_b32 v93, v93, v110 :: v_dual_cndmask_b32 v92, v92, v109
	v_dual_cndmask_b32 v95, v95, v112 :: v_dual_cndmask_b32 v94, v94, v111
	v_cndmask_b32_e64 v100, v100, s6, vcc_lo
	s_add_i32 s6, s6, 1
	s_cmp_lg_u32 s5, s6
	s_cbranch_scc1 .LBB44_43
.LBB44_44:
	s_set_inst_prefetch_distance 0x2
	s_waitcnt lgkmcnt(0)
	v_cmp_eq_f64_e32 vcc_lo, 0, v[92:93]
	v_cmp_eq_f64_e64 s2, 0, v[94:95]
	s_delay_alu instid0(VALU_DEP_1) | instskip(NEXT) | instid1(SALU_CYCLE_1)
	s_and_b32 s2, vcc_lo, s2
	s_and_saveexec_b32 s3, s2
	s_delay_alu instid0(SALU_CYCLE_1)
	s_xor_b32 s2, exec_lo, s3
; %bb.45:
	v_cmp_ne_u32_e32 vcc_lo, 0, v106
	v_cndmask_b32_e32 v106, 3, v106, vcc_lo
; %bb.46:
	s_and_not1_saveexec_b32 s3, s2
	s_cbranch_execz .LBB44_52
; %bb.47:
	v_cmp_gt_f64_e32 vcc_lo, 0, v[92:93]
	v_cmp_gt_f64_e64 s2, 0, v[94:95]
	v_xor_b32_e32 v48, 0x80000000, v93
	v_xor_b32_e32 v50, 0x80000000, v95
	s_delay_alu instid0(VALU_DEP_2) | instskip(NEXT) | instid1(VALU_DEP_2)
	v_cndmask_b32_e32 v49, v93, v48, vcc_lo
	v_cndmask_b32_e64 v51, v95, v50, s2
	v_cndmask_b32_e32 v48, v92, v92, vcc_lo
	v_cndmask_b32_e64 v50, v94, v94, s2
	s_mov_b32 s2, exec_lo
	s_delay_alu instid0(VALU_DEP_1)
	v_cmpx_ngt_f64_e32 v[48:49], v[50:51]
	s_xor_b32 s2, exec_lo, s2
	s_cbranch_execz .LBB44_49
; %bb.48:
	v_div_scale_f64 v[48:49], null, v[94:95], v[94:95], v[92:93]
	v_div_scale_f64 v[98:99], vcc_lo, v[92:93], v[94:95], v[92:93]
	s_delay_alu instid0(VALU_DEP_2) | instskip(SKIP_2) | instid1(VALU_DEP_1)
	v_rcp_f64_e32 v[50:51], v[48:49]
	s_waitcnt_depctr 0xfff
	v_fma_f64 v[96:97], -v[48:49], v[50:51], 1.0
	v_fma_f64 v[50:51], v[50:51], v[96:97], v[50:51]
	s_delay_alu instid0(VALU_DEP_1) | instskip(NEXT) | instid1(VALU_DEP_1)
	v_fma_f64 v[96:97], -v[48:49], v[50:51], 1.0
	v_fma_f64 v[50:51], v[50:51], v[96:97], v[50:51]
	s_delay_alu instid0(VALU_DEP_1) | instskip(NEXT) | instid1(VALU_DEP_1)
	v_mul_f64 v[96:97], v[98:99], v[50:51]
	v_fma_f64 v[48:49], -v[48:49], v[96:97], v[98:99]
	s_delay_alu instid0(VALU_DEP_1) | instskip(NEXT) | instid1(VALU_DEP_1)
	v_div_fmas_f64 v[48:49], v[48:49], v[50:51], v[96:97]
	v_div_fixup_f64 v[48:49], v[48:49], v[94:95], v[92:93]
	s_delay_alu instid0(VALU_DEP_1) | instskip(NEXT) | instid1(VALU_DEP_1)
	v_fma_f64 v[50:51], v[92:93], v[48:49], v[94:95]
	v_div_scale_f64 v[92:93], null, v[50:51], v[50:51], 1.0
	s_delay_alu instid0(VALU_DEP_1) | instskip(SKIP_2) | instid1(VALU_DEP_1)
	v_rcp_f64_e32 v[94:95], v[92:93]
	s_waitcnt_depctr 0xfff
	v_fma_f64 v[96:97], -v[92:93], v[94:95], 1.0
	v_fma_f64 v[94:95], v[94:95], v[96:97], v[94:95]
	s_delay_alu instid0(VALU_DEP_1) | instskip(NEXT) | instid1(VALU_DEP_1)
	v_fma_f64 v[96:97], -v[92:93], v[94:95], 1.0
	v_fma_f64 v[94:95], v[94:95], v[96:97], v[94:95]
	v_div_scale_f64 v[96:97], vcc_lo, 1.0, v[50:51], 1.0
	s_delay_alu instid0(VALU_DEP_1) | instskip(NEXT) | instid1(VALU_DEP_1)
	v_mul_f64 v[98:99], v[96:97], v[94:95]
	v_fma_f64 v[92:93], -v[92:93], v[98:99], v[96:97]
	s_delay_alu instid0(VALU_DEP_1) | instskip(NEXT) | instid1(VALU_DEP_1)
	v_div_fmas_f64 v[92:93], v[92:93], v[94:95], v[98:99]
	v_div_fixup_f64 v[94:95], v[92:93], v[50:51], 1.0
	s_delay_alu instid0(VALU_DEP_1)
	v_mul_f64 v[92:93], v[48:49], v[94:95]
	v_xor_b32_e32 v95, 0x80000000, v95
.LBB44_49:
	s_and_not1_saveexec_b32 s2, s2
	s_cbranch_execz .LBB44_51
; %bb.50:
	s_delay_alu instid0(VALU_DEP_1) | instskip(SKIP_1) | instid1(VALU_DEP_2)
	v_div_scale_f64 v[48:49], null, v[92:93], v[92:93], v[94:95]
	v_div_scale_f64 v[98:99], vcc_lo, v[94:95], v[92:93], v[94:95]
	v_rcp_f64_e32 v[50:51], v[48:49]
	s_waitcnt_depctr 0xfff
	v_fma_f64 v[96:97], -v[48:49], v[50:51], 1.0
	s_delay_alu instid0(VALU_DEP_1) | instskip(NEXT) | instid1(VALU_DEP_1)
	v_fma_f64 v[50:51], v[50:51], v[96:97], v[50:51]
	v_fma_f64 v[96:97], -v[48:49], v[50:51], 1.0
	s_delay_alu instid0(VALU_DEP_1) | instskip(NEXT) | instid1(VALU_DEP_1)
	v_fma_f64 v[50:51], v[50:51], v[96:97], v[50:51]
	v_mul_f64 v[96:97], v[98:99], v[50:51]
	s_delay_alu instid0(VALU_DEP_1) | instskip(NEXT) | instid1(VALU_DEP_1)
	v_fma_f64 v[48:49], -v[48:49], v[96:97], v[98:99]
	v_div_fmas_f64 v[48:49], v[48:49], v[50:51], v[96:97]
	s_delay_alu instid0(VALU_DEP_1) | instskip(NEXT) | instid1(VALU_DEP_1)
	v_div_fixup_f64 v[48:49], v[48:49], v[92:93], v[94:95]
	v_fma_f64 v[50:51], v[94:95], v[48:49], v[92:93]
	s_delay_alu instid0(VALU_DEP_1) | instskip(NEXT) | instid1(VALU_DEP_1)
	v_div_scale_f64 v[92:93], null, v[50:51], v[50:51], 1.0
	v_rcp_f64_e32 v[94:95], v[92:93]
	s_waitcnt_depctr 0xfff
	v_fma_f64 v[96:97], -v[92:93], v[94:95], 1.0
	s_delay_alu instid0(VALU_DEP_1) | instskip(NEXT) | instid1(VALU_DEP_1)
	v_fma_f64 v[94:95], v[94:95], v[96:97], v[94:95]
	v_fma_f64 v[96:97], -v[92:93], v[94:95], 1.0
	s_delay_alu instid0(VALU_DEP_1) | instskip(SKIP_1) | instid1(VALU_DEP_1)
	v_fma_f64 v[94:95], v[94:95], v[96:97], v[94:95]
	v_div_scale_f64 v[96:97], vcc_lo, 1.0, v[50:51], 1.0
	v_mul_f64 v[98:99], v[96:97], v[94:95]
	s_delay_alu instid0(VALU_DEP_1) | instskip(NEXT) | instid1(VALU_DEP_1)
	v_fma_f64 v[92:93], -v[92:93], v[98:99], v[96:97]
	v_div_fmas_f64 v[92:93], v[92:93], v[94:95], v[98:99]
	s_delay_alu instid0(VALU_DEP_1) | instskip(NEXT) | instid1(VALU_DEP_1)
	v_div_fixup_f64 v[92:93], v[92:93], v[50:51], 1.0
	v_mul_f64 v[94:95], v[48:49], -v[92:93]
.LBB44_51:
	s_or_b32 exec_lo, exec_lo, s2
.LBB44_52:
	s_delay_alu instid0(SALU_CYCLE_1) | instskip(NEXT) | instid1(SALU_CYCLE_1)
	s_or_b32 exec_lo, exec_lo, s3
	s_mov_b32 s2, exec_lo
	v_cmpx_ne_u32_e64 v108, v100
	s_xor_b32 s2, exec_lo, s2
	s_cbranch_execz .LBB44_58
; %bb.53:
	s_mov_b32 s3, exec_lo
	v_cmpx_eq_u32_e32 2, v108
	s_cbranch_execz .LBB44_57
; %bb.54:
	v_cmp_ne_u32_e32 vcc_lo, 2, v100
	s_xor_b32 s6, s4, -1
	s_delay_alu instid0(SALU_CYCLE_1) | instskip(NEXT) | instid1(SALU_CYCLE_1)
	s_and_b32 s7, s6, vcc_lo
	s_and_saveexec_b32 s6, s7
	s_cbranch_execz .LBB44_56
; %bb.55:
	v_ashrrev_i32_e32 v101, 31, v100
	s_delay_alu instid0(VALU_DEP_1) | instskip(NEXT) | instid1(VALU_DEP_1)
	v_lshlrev_b64 v[48:49], 2, v[100:101]
	v_add_co_u32 v48, vcc_lo, v239, v48
	s_delay_alu instid0(VALU_DEP_2)
	v_add_co_ci_u32_e32 v49, vcc_lo, v240, v49, vcc_lo
	s_clause 0x1
	flat_load_b32 v50, v[48:49]
	flat_load_b32 v51, v[239:240] offset:8
	s_waitcnt vmcnt(1) lgkmcnt(1)
	flat_store_b32 v[239:240], v50 offset:8
	s_waitcnt vmcnt(0) lgkmcnt(1)
	flat_store_b32 v[48:49], v51
.LBB44_56:
	s_or_b32 exec_lo, exec_lo, s6
	v_mov_b32_e32 v108, v100
	v_mov_b32_e32 v105, v100
.LBB44_57:
	s_or_b32 exec_lo, exec_lo, s3
.LBB44_58:
	s_and_not1_saveexec_b32 s2, s2
	s_cbranch_execz .LBB44_60
; %bb.59:
	v_mov_b32_e32 v108, 2
	ds_store_2addr_b64 v102, v[76:77], v[78:79] offset0:6 offset1:7
	ds_store_2addr_b64 v102, v[84:85], v[86:87] offset0:8 offset1:9
	;; [unrolled: 1-line block ×20, first 2 shown]
.LBB44_60:
	s_or_b32 exec_lo, exec_lo, s2
	s_delay_alu instid0(SALU_CYCLE_1)
	s_mov_b32 s2, exec_lo
	s_waitcnt lgkmcnt(0)
	s_waitcnt_vscnt null, 0x0
	s_barrier
	buffer_gl0_inv
	v_cmpx_lt_i32_e32 2, v108
	s_cbranch_execz .LBB44_62
; %bb.61:
	v_mul_f64 v[48:49], v[92:93], v[90:91]
	v_mul_f64 v[50:51], v[94:95], v[90:91]
	ds_load_2addr_b64 v[109:112], v102 offset0:6 offset1:7
	ds_load_2addr_b64 v[113:116], v102 offset0:8 offset1:9
	;; [unrolled: 1-line block ×20, first 2 shown]
	v_fma_f64 v[90:91], v[94:95], v[88:89], v[48:49]
	v_fma_f64 v[48:49], v[92:93], v[88:89], -v[50:51]
	s_waitcnt lgkmcnt(17)
	s_delay_alu instid0(VALU_DEP_2)
	v_mul_f64 v[96:97], v[119:120], v[90:91]
	s_waitcnt lgkmcnt(14)
	v_mul_f64 v[197:198], v[129:130], v[90:91]
	s_waitcnt lgkmcnt(10)
	;; [unrolled: 2-line block ×4, first 2 shown]
	v_mul_f64 v[239:240], v[175:176], v[90:91]
	v_mul_f64 v[98:99], v[117:118], v[90:91]
	;; [unrolled: 1-line block ×30, first 2 shown]
	s_waitcnt lgkmcnt(2)
	v_mul_f64 v[243:244], v[179:180], v[90:91]
	v_mul_f64 v[245:246], v[177:178], v[90:91]
	s_waitcnt lgkmcnt(1)
	v_mul_f64 v[247:248], v[183:184], v[90:91]
	v_mul_f64 v[249:250], v[181:182], v[90:91]
	v_fma_f64 v[96:97], v[117:118], v[48:49], -v[96:97]
	v_fma_f64 v[117:118], v[131:132], v[48:49], v[197:198]
	v_fma_f64 v[131:132], v[145:146], v[48:49], -v[211:212]
	v_fma_f64 v[145:146], v[159:160], v[48:49], v[225:226]
	v_fma_f64 v[159:160], v[173:174], v[48:49], -v[239:240]
	scratch_load_b64 v[239:240], off, off offset:16 ; 8-byte Folded Reload
	s_waitcnt lgkmcnt(0)
	v_mul_f64 v[251:252], v[187:188], v[90:91]
	v_mul_f64 v[253:254], v[185:186], v[90:91]
	v_fma_f64 v[98:99], v[119:120], v[48:49], v[98:99]
	v_fma_f64 v[50:51], v[109:110], v[48:49], -v[50:51]
	v_fma_f64 v[88:89], v[111:112], v[48:49], v[88:89]
	v_fma_f64 v[92:93], v[113:114], v[48:49], -v[92:93]
	;; [unrolled: 2-line block ×5, first 2 shown]
	v_fma_f64 v[119:120], v[133:134], v[48:49], -v[199:200]
	v_fma_f64 v[121:122], v[135:136], v[48:49], v[201:202]
	v_fma_f64 v[123:124], v[137:138], v[48:49], -v[203:204]
	v_fma_f64 v[125:126], v[139:140], v[48:49], v[205:206]
	;; [unrolled: 2-line block ×3, first 2 shown]
	v_fma_f64 v[133:134], v[147:148], v[48:49], v[213:214]
	v_fma_f64 v[135:136], v[149:150], v[48:49], -v[215:216]
	v_fma_f64 v[137:138], v[151:152], v[48:49], v[217:218]
	v_fma_f64 v[139:140], v[153:154], v[48:49], -v[219:220]
	;; [unrolled: 2-line block ×3, first 2 shown]
	v_fma_f64 v[147:148], v[161:162], v[48:49], -v[227:228]
	v_fma_f64 v[149:150], v[163:164], v[48:49], v[229:230]
	v_fma_f64 v[151:152], v[165:166], v[48:49], -v[231:232]
	v_fma_f64 v[153:154], v[167:168], v[48:49], v[233:234]
	;; [unrolled: 2-line block ×3, first 2 shown]
	v_fma_f64 v[161:162], v[175:176], v[48:49], v[241:242]
	v_fma_f64 v[163:164], v[177:178], v[48:49], -v[243:244]
	v_fma_f64 v[165:166], v[179:180], v[48:49], v[245:246]
	v_fma_f64 v[167:168], v[181:182], v[48:49], -v[247:248]
	v_fma_f64 v[169:170], v[183:184], v[48:49], v[249:250]
	v_add_f64 v[80:81], v[80:81], -v[96:97]
	v_add_f64 v[62:63], v[62:63], -v[117:118]
	;; [unrolled: 1-line block ×3, first 2 shown]
	v_fma_f64 v[171:172], v[185:186], v[48:49], -v[251:252]
	v_fma_f64 v[173:174], v[187:188], v[48:49], v[253:254]
	v_add_f64 v[82:83], v[82:83], -v[98:99]
	v_add_f64 v[76:77], v[76:77], -v[50:51]
	;; [unrolled: 1-line block ×35, first 2 shown]
	v_dual_mov_b32 v89, v49 :: v_dual_mov_b32 v88, v48
	v_add_f64 v[0:1], v[0:1], -v[171:172]
	v_add_f64 v[2:3], v[2:3], -v[173:174]
.LBB44_62:
	s_or_b32 exec_lo, exec_lo, s2
	v_lshl_add_u32 v48, v108, 4, v102
	s_waitcnt vmcnt(0)
	s_barrier
	buffer_gl0_inv
	v_mov_b32_e32 v100, 3
	ds_store_2addr_b64 v48, v[76:77], v[78:79] offset1:1
	s_waitcnt lgkmcnt(0)
	s_barrier
	buffer_gl0_inv
	ds_load_2addr_b64 v[92:95], v102 offset0:6 offset1:7
	s_cmp_lt_i32 s5, 5
	s_mov_b32 s6, 4
	s_cbranch_scc1 .LBB44_65
; %bb.63:
	v_add3_u32 v101, v107, 0, 64
	v_mov_b32_e32 v100, 3
	s_set_inst_prefetch_distance 0x1
	.p2align	6
.LBB44_64:                              ; =>This Inner Loop Header: Depth=1
	ds_load_2addr_b64 v[109:112], v101 offset1:1
	s_waitcnt lgkmcnt(1)
	v_cmp_gt_f64_e32 vcc_lo, 0, v[92:93]
	v_xor_b32_e32 v48, 0x80000000, v93
	v_cmp_gt_f64_e64 s2, 0, v[94:95]
	v_xor_b32_e32 v50, 0x80000000, v95
	v_add_nc_u32_e32 v101, 16, v101
	s_waitcnt lgkmcnt(0)
	v_cmp_gt_f64_e64 s3, 0, v[109:110]
	v_mov_b32_e32 v96, v109
	v_dual_mov_b32 v98, v111 :: v_dual_cndmask_b32 v49, v93, v48
	v_xor_b32_e32 v48, 0x80000000, v110
	v_cndmask_b32_e64 v51, v95, v50, s2
	v_xor_b32_e32 v50, 0x80000000, v112
	s_delay_alu instid0(VALU_DEP_3) | instskip(SKIP_2) | instid1(VALU_DEP_2)
	v_cndmask_b32_e64 v97, v110, v48, s3
	v_cmp_gt_f64_e64 s3, 0, v[111:112]
	v_cndmask_b32_e32 v48, v92, v92, vcc_lo
	v_cndmask_b32_e64 v99, v112, v50, s3
	v_cndmask_b32_e64 v50, v94, v94, s2
	s_delay_alu instid0(VALU_DEP_2) | instskip(NEXT) | instid1(VALU_DEP_2)
	v_add_f64 v[96:97], v[96:97], v[98:99]
	v_add_f64 v[48:49], v[48:49], v[50:51]
	s_delay_alu instid0(VALU_DEP_1) | instskip(SKIP_4) | instid1(SALU_CYCLE_1)
	v_cmp_lt_f64_e32 vcc_lo, v[48:49], v[96:97]
	v_dual_cndmask_b32 v93, v93, v110 :: v_dual_cndmask_b32 v92, v92, v109
	v_dual_cndmask_b32 v95, v95, v112 :: v_dual_cndmask_b32 v94, v94, v111
	v_cndmask_b32_e64 v100, v100, s6, vcc_lo
	s_add_i32 s6, s6, 1
	s_cmp_lg_u32 s5, s6
	s_cbranch_scc1 .LBB44_64
.LBB44_65:
	s_set_inst_prefetch_distance 0x2
	s_waitcnt lgkmcnt(0)
	v_cmp_eq_f64_e32 vcc_lo, 0, v[92:93]
	v_cmp_eq_f64_e64 s2, 0, v[94:95]
	s_delay_alu instid0(VALU_DEP_1) | instskip(NEXT) | instid1(SALU_CYCLE_1)
	s_and_b32 s2, vcc_lo, s2
	s_and_saveexec_b32 s3, s2
	s_delay_alu instid0(SALU_CYCLE_1)
	s_xor_b32 s2, exec_lo, s3
; %bb.66:
	v_cmp_ne_u32_e32 vcc_lo, 0, v106
	v_cndmask_b32_e32 v106, 4, v106, vcc_lo
; %bb.67:
	s_and_not1_saveexec_b32 s3, s2
	s_cbranch_execz .LBB44_73
; %bb.68:
	v_cmp_gt_f64_e32 vcc_lo, 0, v[92:93]
	v_cmp_gt_f64_e64 s2, 0, v[94:95]
	v_xor_b32_e32 v48, 0x80000000, v93
	v_xor_b32_e32 v50, 0x80000000, v95
	s_delay_alu instid0(VALU_DEP_2) | instskip(NEXT) | instid1(VALU_DEP_2)
	v_cndmask_b32_e32 v49, v93, v48, vcc_lo
	v_cndmask_b32_e64 v51, v95, v50, s2
	v_cndmask_b32_e32 v48, v92, v92, vcc_lo
	v_cndmask_b32_e64 v50, v94, v94, s2
	s_mov_b32 s2, exec_lo
	s_delay_alu instid0(VALU_DEP_1)
	v_cmpx_ngt_f64_e32 v[48:49], v[50:51]
	s_xor_b32 s2, exec_lo, s2
	s_cbranch_execz .LBB44_70
; %bb.69:
	v_div_scale_f64 v[48:49], null, v[94:95], v[94:95], v[92:93]
	v_div_scale_f64 v[98:99], vcc_lo, v[92:93], v[94:95], v[92:93]
	s_delay_alu instid0(VALU_DEP_2) | instskip(SKIP_2) | instid1(VALU_DEP_1)
	v_rcp_f64_e32 v[50:51], v[48:49]
	s_waitcnt_depctr 0xfff
	v_fma_f64 v[96:97], -v[48:49], v[50:51], 1.0
	v_fma_f64 v[50:51], v[50:51], v[96:97], v[50:51]
	s_delay_alu instid0(VALU_DEP_1) | instskip(NEXT) | instid1(VALU_DEP_1)
	v_fma_f64 v[96:97], -v[48:49], v[50:51], 1.0
	v_fma_f64 v[50:51], v[50:51], v[96:97], v[50:51]
	s_delay_alu instid0(VALU_DEP_1) | instskip(NEXT) | instid1(VALU_DEP_1)
	v_mul_f64 v[96:97], v[98:99], v[50:51]
	v_fma_f64 v[48:49], -v[48:49], v[96:97], v[98:99]
	s_delay_alu instid0(VALU_DEP_1) | instskip(NEXT) | instid1(VALU_DEP_1)
	v_div_fmas_f64 v[48:49], v[48:49], v[50:51], v[96:97]
	v_div_fixup_f64 v[48:49], v[48:49], v[94:95], v[92:93]
	s_delay_alu instid0(VALU_DEP_1) | instskip(NEXT) | instid1(VALU_DEP_1)
	v_fma_f64 v[50:51], v[92:93], v[48:49], v[94:95]
	v_div_scale_f64 v[92:93], null, v[50:51], v[50:51], 1.0
	s_delay_alu instid0(VALU_DEP_1) | instskip(SKIP_2) | instid1(VALU_DEP_1)
	v_rcp_f64_e32 v[94:95], v[92:93]
	s_waitcnt_depctr 0xfff
	v_fma_f64 v[96:97], -v[92:93], v[94:95], 1.0
	v_fma_f64 v[94:95], v[94:95], v[96:97], v[94:95]
	s_delay_alu instid0(VALU_DEP_1) | instskip(NEXT) | instid1(VALU_DEP_1)
	v_fma_f64 v[96:97], -v[92:93], v[94:95], 1.0
	v_fma_f64 v[94:95], v[94:95], v[96:97], v[94:95]
	v_div_scale_f64 v[96:97], vcc_lo, 1.0, v[50:51], 1.0
	s_delay_alu instid0(VALU_DEP_1) | instskip(NEXT) | instid1(VALU_DEP_1)
	v_mul_f64 v[98:99], v[96:97], v[94:95]
	v_fma_f64 v[92:93], -v[92:93], v[98:99], v[96:97]
	s_delay_alu instid0(VALU_DEP_1) | instskip(NEXT) | instid1(VALU_DEP_1)
	v_div_fmas_f64 v[92:93], v[92:93], v[94:95], v[98:99]
	v_div_fixup_f64 v[94:95], v[92:93], v[50:51], 1.0
	s_delay_alu instid0(VALU_DEP_1)
	v_mul_f64 v[92:93], v[48:49], v[94:95]
	v_xor_b32_e32 v95, 0x80000000, v95
.LBB44_70:
	s_and_not1_saveexec_b32 s2, s2
	s_cbranch_execz .LBB44_72
; %bb.71:
	s_delay_alu instid0(VALU_DEP_1) | instskip(SKIP_1) | instid1(VALU_DEP_2)
	v_div_scale_f64 v[48:49], null, v[92:93], v[92:93], v[94:95]
	v_div_scale_f64 v[98:99], vcc_lo, v[94:95], v[92:93], v[94:95]
	v_rcp_f64_e32 v[50:51], v[48:49]
	s_waitcnt_depctr 0xfff
	v_fma_f64 v[96:97], -v[48:49], v[50:51], 1.0
	s_delay_alu instid0(VALU_DEP_1) | instskip(NEXT) | instid1(VALU_DEP_1)
	v_fma_f64 v[50:51], v[50:51], v[96:97], v[50:51]
	v_fma_f64 v[96:97], -v[48:49], v[50:51], 1.0
	s_delay_alu instid0(VALU_DEP_1) | instskip(NEXT) | instid1(VALU_DEP_1)
	v_fma_f64 v[50:51], v[50:51], v[96:97], v[50:51]
	v_mul_f64 v[96:97], v[98:99], v[50:51]
	s_delay_alu instid0(VALU_DEP_1) | instskip(NEXT) | instid1(VALU_DEP_1)
	v_fma_f64 v[48:49], -v[48:49], v[96:97], v[98:99]
	v_div_fmas_f64 v[48:49], v[48:49], v[50:51], v[96:97]
	s_delay_alu instid0(VALU_DEP_1) | instskip(NEXT) | instid1(VALU_DEP_1)
	v_div_fixup_f64 v[48:49], v[48:49], v[92:93], v[94:95]
	v_fma_f64 v[50:51], v[94:95], v[48:49], v[92:93]
	s_delay_alu instid0(VALU_DEP_1) | instskip(NEXT) | instid1(VALU_DEP_1)
	v_div_scale_f64 v[92:93], null, v[50:51], v[50:51], 1.0
	v_rcp_f64_e32 v[94:95], v[92:93]
	s_waitcnt_depctr 0xfff
	v_fma_f64 v[96:97], -v[92:93], v[94:95], 1.0
	s_delay_alu instid0(VALU_DEP_1) | instskip(NEXT) | instid1(VALU_DEP_1)
	v_fma_f64 v[94:95], v[94:95], v[96:97], v[94:95]
	v_fma_f64 v[96:97], -v[92:93], v[94:95], 1.0
	s_delay_alu instid0(VALU_DEP_1) | instskip(SKIP_1) | instid1(VALU_DEP_1)
	v_fma_f64 v[94:95], v[94:95], v[96:97], v[94:95]
	v_div_scale_f64 v[96:97], vcc_lo, 1.0, v[50:51], 1.0
	v_mul_f64 v[98:99], v[96:97], v[94:95]
	s_delay_alu instid0(VALU_DEP_1) | instskip(NEXT) | instid1(VALU_DEP_1)
	v_fma_f64 v[92:93], -v[92:93], v[98:99], v[96:97]
	v_div_fmas_f64 v[92:93], v[92:93], v[94:95], v[98:99]
	s_delay_alu instid0(VALU_DEP_1) | instskip(NEXT) | instid1(VALU_DEP_1)
	v_div_fixup_f64 v[92:93], v[92:93], v[50:51], 1.0
	v_mul_f64 v[94:95], v[48:49], -v[92:93]
.LBB44_72:
	s_or_b32 exec_lo, exec_lo, s2
.LBB44_73:
	s_delay_alu instid0(SALU_CYCLE_1) | instskip(NEXT) | instid1(SALU_CYCLE_1)
	s_or_b32 exec_lo, exec_lo, s3
	s_mov_b32 s2, exec_lo
	v_cmpx_ne_u32_e64 v108, v100
	s_xor_b32 s2, exec_lo, s2
	s_cbranch_execz .LBB44_79
; %bb.74:
	s_mov_b32 s3, exec_lo
	v_cmpx_eq_u32_e32 3, v108
	s_cbranch_execz .LBB44_78
; %bb.75:
	v_cmp_ne_u32_e32 vcc_lo, 3, v100
	s_xor_b32 s6, s4, -1
	s_delay_alu instid0(SALU_CYCLE_1) | instskip(NEXT) | instid1(SALU_CYCLE_1)
	s_and_b32 s7, s6, vcc_lo
	s_and_saveexec_b32 s6, s7
	s_cbranch_execz .LBB44_77
; %bb.76:
	v_ashrrev_i32_e32 v101, 31, v100
	s_delay_alu instid0(VALU_DEP_1) | instskip(NEXT) | instid1(VALU_DEP_1)
	v_lshlrev_b64 v[48:49], 2, v[100:101]
	v_add_co_u32 v48, vcc_lo, v239, v48
	s_delay_alu instid0(VALU_DEP_2)
	v_add_co_ci_u32_e32 v49, vcc_lo, v240, v49, vcc_lo
	s_clause 0x1
	flat_load_b32 v50, v[48:49]
	flat_load_b32 v51, v[239:240] offset:12
	s_waitcnt vmcnt(1) lgkmcnt(1)
	flat_store_b32 v[239:240], v50 offset:12
	s_waitcnt vmcnt(0) lgkmcnt(1)
	flat_store_b32 v[48:49], v51
.LBB44_77:
	s_or_b32 exec_lo, exec_lo, s6
	v_mov_b32_e32 v108, v100
	v_mov_b32_e32 v105, v100
.LBB44_78:
	s_or_b32 exec_lo, exec_lo, s3
.LBB44_79:
	s_and_not1_saveexec_b32 s2, s2
	s_cbranch_execz .LBB44_81
; %bb.80:
	v_mov_b32_e32 v108, 3
	ds_store_2addr_b64 v102, v[84:85], v[86:87] offset0:8 offset1:9
	ds_store_2addr_b64 v102, v[80:81], v[82:83] offset0:10 offset1:11
	;; [unrolled: 1-line block ×19, first 2 shown]
.LBB44_81:
	s_or_b32 exec_lo, exec_lo, s2
	s_delay_alu instid0(SALU_CYCLE_1)
	s_mov_b32 s2, exec_lo
	s_waitcnt lgkmcnt(0)
	s_waitcnt_vscnt null, 0x0
	s_barrier
	buffer_gl0_inv
	v_cmpx_lt_i32_e32 3, v108
	s_cbranch_execz .LBB44_83
; %bb.82:
	v_mul_f64 v[50:51], v[92:93], v[78:79]
	v_mul_f64 v[48:49], v[94:95], v[78:79]
	s_delay_alu instid0(VALU_DEP_2) | instskip(NEXT) | instid1(VALU_DEP_2)
	v_fma_f64 v[78:79], v[94:95], v[76:77], v[50:51]
	v_fma_f64 v[48:49], v[92:93], v[76:77], -v[48:49]
	ds_load_2addr_b64 v[92:95], v102 offset0:8 offset1:9
	ds_load_2addr_b64 v[109:112], v102 offset0:10 offset1:11
	s_waitcnt lgkmcnt(1)
	v_mul_f64 v[50:51], v[94:95], v[78:79]
	v_mul_f64 v[76:77], v[92:93], v[78:79]
	s_delay_alu instid0(VALU_DEP_2) | instskip(SKIP_2) | instid1(VALU_DEP_3)
	v_fma_f64 v[50:51], v[92:93], v[48:49], -v[50:51]
	s_waitcnt lgkmcnt(0)
	v_mul_f64 v[92:93], v[111:112], v[78:79]
	v_fma_f64 v[76:77], v[94:95], v[48:49], v[76:77]
	s_delay_alu instid0(VALU_DEP_3) | instskip(NEXT) | instid1(VALU_DEP_3)
	v_add_f64 v[84:85], v[84:85], -v[50:51]
	v_fma_f64 v[96:97], v[109:110], v[48:49], -v[92:93]
	v_mul_f64 v[92:93], v[109:110], v[78:79]
	s_delay_alu instid0(VALU_DEP_4) | instskip(SKIP_1) | instid1(VALU_DEP_4)
	v_add_f64 v[86:87], v[86:87], -v[76:77]
	v_dual_mov_b32 v77, v49 :: v_dual_mov_b32 v76, v48
	v_add_f64 v[80:81], v[80:81], -v[96:97]
	s_delay_alu instid0(VALU_DEP_4)
	v_fma_f64 v[98:99], v[111:112], v[48:49], v[92:93]
	ds_load_2addr_b64 v[92:95], v102 offset0:12 offset1:13
	ds_load_2addr_b64 v[109:112], v102 offset0:14 offset1:15
	s_waitcnt lgkmcnt(1)
	v_mul_f64 v[100:101], v[94:95], v[78:79]
	v_add_f64 v[82:83], v[82:83], -v[98:99]
	s_delay_alu instid0(VALU_DEP_2) | instskip(SKIP_1) | instid1(VALU_DEP_2)
	v_fma_f64 v[100:101], v[92:93], v[48:49], -v[100:101]
	v_mul_f64 v[92:93], v[92:93], v[78:79]
	v_add_f64 v[72:73], v[72:73], -v[100:101]
	s_delay_alu instid0(VALU_DEP_2) | instskip(SKIP_2) | instid1(VALU_DEP_2)
	v_fma_f64 v[113:114], v[94:95], v[48:49], v[92:93]
	s_waitcnt lgkmcnt(0)
	v_mul_f64 v[92:93], v[111:112], v[78:79]
	v_add_f64 v[74:75], v[74:75], -v[113:114]
	s_delay_alu instid0(VALU_DEP_2) | instskip(SKIP_1) | instid1(VALU_DEP_2)
	v_fma_f64 v[115:116], v[109:110], v[48:49], -v[92:93]
	v_mul_f64 v[92:93], v[109:110], v[78:79]
	v_add_f64 v[68:69], v[68:69], -v[115:116]
	s_delay_alu instid0(VALU_DEP_2)
	v_fma_f64 v[117:118], v[111:112], v[48:49], v[92:93]
	ds_load_2addr_b64 v[92:95], v102 offset0:16 offset1:17
	ds_load_2addr_b64 v[109:112], v102 offset0:18 offset1:19
	s_waitcnt lgkmcnt(1)
	v_mul_f64 v[119:120], v[94:95], v[78:79]
	v_add_f64 v[70:71], v[70:71], -v[117:118]
	s_delay_alu instid0(VALU_DEP_2) | instskip(SKIP_1) | instid1(VALU_DEP_2)
	v_fma_f64 v[119:120], v[92:93], v[48:49], -v[119:120]
	v_mul_f64 v[92:93], v[92:93], v[78:79]
	v_add_f64 v[60:61], v[60:61], -v[119:120]
	s_delay_alu instid0(VALU_DEP_2) | instskip(SKIP_2) | instid1(VALU_DEP_2)
	v_fma_f64 v[121:122], v[94:95], v[48:49], v[92:93]
	s_waitcnt lgkmcnt(0)
	v_mul_f64 v[92:93], v[111:112], v[78:79]
	v_add_f64 v[62:63], v[62:63], -v[121:122]
	s_delay_alu instid0(VALU_DEP_2) | instskip(SKIP_1) | instid1(VALU_DEP_2)
	v_fma_f64 v[123:124], v[109:110], v[48:49], -v[92:93]
	v_mul_f64 v[92:93], v[109:110], v[78:79]
	v_add_f64 v[56:57], v[56:57], -v[123:124]
	s_delay_alu instid0(VALU_DEP_2)
	;; [unrolled: 20-line block ×7, first 2 shown]
	v_fma_f64 v[165:166], v[111:112], v[48:49], v[92:93]
	ds_load_2addr_b64 v[92:95], v102 offset0:40 offset1:41
	ds_load_2addr_b64 v[109:112], v102 offset0:42 offset1:43
	s_waitcnt lgkmcnt(1)
	v_mul_f64 v[167:168], v[94:95], v[78:79]
	v_add_f64 v[6:7], v[6:7], -v[165:166]
	s_delay_alu instid0(VALU_DEP_2) | instskip(SKIP_1) | instid1(VALU_DEP_2)
	v_fma_f64 v[167:168], v[92:93], v[48:49], -v[167:168]
	v_mul_f64 v[92:93], v[92:93], v[78:79]
	v_add_f64 v[16:17], v[16:17], -v[167:168]
	s_delay_alu instid0(VALU_DEP_2) | instskip(SKIP_2) | instid1(VALU_DEP_2)
	v_fma_f64 v[169:170], v[94:95], v[48:49], v[92:93]
	s_waitcnt lgkmcnt(0)
	v_mul_f64 v[92:93], v[111:112], v[78:79]
	v_add_f64 v[18:19], v[18:19], -v[169:170]
	s_delay_alu instid0(VALU_DEP_2) | instskip(SKIP_1) | instid1(VALU_DEP_2)
	v_fma_f64 v[171:172], v[109:110], v[48:49], -v[92:93]
	v_mul_f64 v[92:93], v[109:110], v[78:79]
	v_add_f64 v[12:13], v[12:13], -v[171:172]
	s_delay_alu instid0(VALU_DEP_2) | instskip(SKIP_4) | instid1(VALU_DEP_2)
	v_fma_f64 v[109:110], v[111:112], v[48:49], v[92:93]
	ds_load_2addr_b64 v[92:95], v102 offset0:44 offset1:45
	s_waitcnt lgkmcnt(0)
	v_mul_f64 v[111:112], v[94:95], v[78:79]
	v_add_f64 v[14:15], v[14:15], -v[109:110]
	v_fma_f64 v[111:112], v[92:93], v[48:49], -v[111:112]
	v_mul_f64 v[92:93], v[92:93], v[78:79]
	s_delay_alu instid0(VALU_DEP_2) | instskip(NEXT) | instid1(VALU_DEP_2)
	v_add_f64 v[0:1], v[0:1], -v[111:112]
	v_fma_f64 v[92:93], v[94:95], v[48:49], v[92:93]
	s_delay_alu instid0(VALU_DEP_1)
	v_add_f64 v[2:3], v[2:3], -v[92:93]
.LBB44_83:
	s_or_b32 exec_lo, exec_lo, s2
	v_lshl_add_u32 v48, v108, 4, v102
	s_barrier
	buffer_gl0_inv
	v_mov_b32_e32 v100, 4
	ds_store_2addr_b64 v48, v[84:85], v[86:87] offset1:1
	s_waitcnt lgkmcnt(0)
	s_barrier
	buffer_gl0_inv
	ds_load_2addr_b64 v[92:95], v102 offset0:8 offset1:9
	s_cmp_lt_i32 s5, 6
	s_cbranch_scc1 .LBB44_86
; %bb.84:
	v_add3_u32 v101, v107, 0, 0x50
	v_mov_b32_e32 v100, 4
	s_mov_b32 s6, 5
	s_set_inst_prefetch_distance 0x1
	.p2align	6
.LBB44_85:                              ; =>This Inner Loop Header: Depth=1
	ds_load_2addr_b64 v[109:112], v101 offset1:1
	s_waitcnt lgkmcnt(1)
	v_cmp_gt_f64_e32 vcc_lo, 0, v[92:93]
	v_xor_b32_e32 v48, 0x80000000, v93
	v_cmp_gt_f64_e64 s2, 0, v[94:95]
	v_xor_b32_e32 v50, 0x80000000, v95
	v_add_nc_u32_e32 v101, 16, v101
	s_waitcnt lgkmcnt(0)
	v_cmp_gt_f64_e64 s3, 0, v[109:110]
	v_mov_b32_e32 v96, v109
	v_dual_mov_b32 v98, v111 :: v_dual_cndmask_b32 v49, v93, v48
	v_xor_b32_e32 v48, 0x80000000, v110
	v_cndmask_b32_e64 v51, v95, v50, s2
	v_xor_b32_e32 v50, 0x80000000, v112
	s_delay_alu instid0(VALU_DEP_3) | instskip(SKIP_2) | instid1(VALU_DEP_2)
	v_cndmask_b32_e64 v97, v110, v48, s3
	v_cmp_gt_f64_e64 s3, 0, v[111:112]
	v_cndmask_b32_e32 v48, v92, v92, vcc_lo
	v_cndmask_b32_e64 v99, v112, v50, s3
	v_cndmask_b32_e64 v50, v94, v94, s2
	s_delay_alu instid0(VALU_DEP_2) | instskip(NEXT) | instid1(VALU_DEP_2)
	v_add_f64 v[96:97], v[96:97], v[98:99]
	v_add_f64 v[48:49], v[48:49], v[50:51]
	s_delay_alu instid0(VALU_DEP_1) | instskip(SKIP_4) | instid1(SALU_CYCLE_1)
	v_cmp_lt_f64_e32 vcc_lo, v[48:49], v[96:97]
	v_dual_cndmask_b32 v93, v93, v110 :: v_dual_cndmask_b32 v92, v92, v109
	v_dual_cndmask_b32 v95, v95, v112 :: v_dual_cndmask_b32 v94, v94, v111
	v_cndmask_b32_e64 v100, v100, s6, vcc_lo
	s_add_i32 s6, s6, 1
	s_cmp_lg_u32 s5, s6
	s_cbranch_scc1 .LBB44_85
.LBB44_86:
	s_set_inst_prefetch_distance 0x2
	s_waitcnt lgkmcnt(0)
	v_cmp_eq_f64_e32 vcc_lo, 0, v[92:93]
	v_cmp_eq_f64_e64 s2, 0, v[94:95]
	s_delay_alu instid0(VALU_DEP_1) | instskip(NEXT) | instid1(SALU_CYCLE_1)
	s_and_b32 s2, vcc_lo, s2
	s_and_saveexec_b32 s3, s2
	s_delay_alu instid0(SALU_CYCLE_1)
	s_xor_b32 s2, exec_lo, s3
; %bb.87:
	v_cmp_ne_u32_e32 vcc_lo, 0, v106
	v_cndmask_b32_e32 v106, 5, v106, vcc_lo
; %bb.88:
	s_and_not1_saveexec_b32 s3, s2
	s_cbranch_execz .LBB44_94
; %bb.89:
	v_cmp_gt_f64_e32 vcc_lo, 0, v[92:93]
	v_cmp_gt_f64_e64 s2, 0, v[94:95]
	v_xor_b32_e32 v48, 0x80000000, v93
	v_xor_b32_e32 v50, 0x80000000, v95
	s_delay_alu instid0(VALU_DEP_2) | instskip(NEXT) | instid1(VALU_DEP_2)
	v_cndmask_b32_e32 v49, v93, v48, vcc_lo
	v_cndmask_b32_e64 v51, v95, v50, s2
	v_cndmask_b32_e32 v48, v92, v92, vcc_lo
	v_cndmask_b32_e64 v50, v94, v94, s2
	s_mov_b32 s2, exec_lo
	s_delay_alu instid0(VALU_DEP_1)
	v_cmpx_ngt_f64_e32 v[48:49], v[50:51]
	s_xor_b32 s2, exec_lo, s2
	s_cbranch_execz .LBB44_91
; %bb.90:
	v_div_scale_f64 v[48:49], null, v[94:95], v[94:95], v[92:93]
	v_div_scale_f64 v[98:99], vcc_lo, v[92:93], v[94:95], v[92:93]
	s_delay_alu instid0(VALU_DEP_2) | instskip(SKIP_2) | instid1(VALU_DEP_1)
	v_rcp_f64_e32 v[50:51], v[48:49]
	s_waitcnt_depctr 0xfff
	v_fma_f64 v[96:97], -v[48:49], v[50:51], 1.0
	v_fma_f64 v[50:51], v[50:51], v[96:97], v[50:51]
	s_delay_alu instid0(VALU_DEP_1) | instskip(NEXT) | instid1(VALU_DEP_1)
	v_fma_f64 v[96:97], -v[48:49], v[50:51], 1.0
	v_fma_f64 v[50:51], v[50:51], v[96:97], v[50:51]
	s_delay_alu instid0(VALU_DEP_1) | instskip(NEXT) | instid1(VALU_DEP_1)
	v_mul_f64 v[96:97], v[98:99], v[50:51]
	v_fma_f64 v[48:49], -v[48:49], v[96:97], v[98:99]
	s_delay_alu instid0(VALU_DEP_1) | instskip(NEXT) | instid1(VALU_DEP_1)
	v_div_fmas_f64 v[48:49], v[48:49], v[50:51], v[96:97]
	v_div_fixup_f64 v[48:49], v[48:49], v[94:95], v[92:93]
	s_delay_alu instid0(VALU_DEP_1) | instskip(NEXT) | instid1(VALU_DEP_1)
	v_fma_f64 v[50:51], v[92:93], v[48:49], v[94:95]
	v_div_scale_f64 v[92:93], null, v[50:51], v[50:51], 1.0
	s_delay_alu instid0(VALU_DEP_1) | instskip(SKIP_2) | instid1(VALU_DEP_1)
	v_rcp_f64_e32 v[94:95], v[92:93]
	s_waitcnt_depctr 0xfff
	v_fma_f64 v[96:97], -v[92:93], v[94:95], 1.0
	v_fma_f64 v[94:95], v[94:95], v[96:97], v[94:95]
	s_delay_alu instid0(VALU_DEP_1) | instskip(NEXT) | instid1(VALU_DEP_1)
	v_fma_f64 v[96:97], -v[92:93], v[94:95], 1.0
	v_fma_f64 v[94:95], v[94:95], v[96:97], v[94:95]
	v_div_scale_f64 v[96:97], vcc_lo, 1.0, v[50:51], 1.0
	s_delay_alu instid0(VALU_DEP_1) | instskip(NEXT) | instid1(VALU_DEP_1)
	v_mul_f64 v[98:99], v[96:97], v[94:95]
	v_fma_f64 v[92:93], -v[92:93], v[98:99], v[96:97]
	s_delay_alu instid0(VALU_DEP_1) | instskip(NEXT) | instid1(VALU_DEP_1)
	v_div_fmas_f64 v[92:93], v[92:93], v[94:95], v[98:99]
	v_div_fixup_f64 v[94:95], v[92:93], v[50:51], 1.0
	s_delay_alu instid0(VALU_DEP_1)
	v_mul_f64 v[92:93], v[48:49], v[94:95]
	v_xor_b32_e32 v95, 0x80000000, v95
.LBB44_91:
	s_and_not1_saveexec_b32 s2, s2
	s_cbranch_execz .LBB44_93
; %bb.92:
	s_delay_alu instid0(VALU_DEP_1) | instskip(SKIP_1) | instid1(VALU_DEP_2)
	v_div_scale_f64 v[48:49], null, v[92:93], v[92:93], v[94:95]
	v_div_scale_f64 v[98:99], vcc_lo, v[94:95], v[92:93], v[94:95]
	v_rcp_f64_e32 v[50:51], v[48:49]
	s_waitcnt_depctr 0xfff
	v_fma_f64 v[96:97], -v[48:49], v[50:51], 1.0
	s_delay_alu instid0(VALU_DEP_1) | instskip(NEXT) | instid1(VALU_DEP_1)
	v_fma_f64 v[50:51], v[50:51], v[96:97], v[50:51]
	v_fma_f64 v[96:97], -v[48:49], v[50:51], 1.0
	s_delay_alu instid0(VALU_DEP_1) | instskip(NEXT) | instid1(VALU_DEP_1)
	v_fma_f64 v[50:51], v[50:51], v[96:97], v[50:51]
	v_mul_f64 v[96:97], v[98:99], v[50:51]
	s_delay_alu instid0(VALU_DEP_1) | instskip(NEXT) | instid1(VALU_DEP_1)
	v_fma_f64 v[48:49], -v[48:49], v[96:97], v[98:99]
	v_div_fmas_f64 v[48:49], v[48:49], v[50:51], v[96:97]
	s_delay_alu instid0(VALU_DEP_1) | instskip(NEXT) | instid1(VALU_DEP_1)
	v_div_fixup_f64 v[48:49], v[48:49], v[92:93], v[94:95]
	v_fma_f64 v[50:51], v[94:95], v[48:49], v[92:93]
	s_delay_alu instid0(VALU_DEP_1) | instskip(NEXT) | instid1(VALU_DEP_1)
	v_div_scale_f64 v[92:93], null, v[50:51], v[50:51], 1.0
	v_rcp_f64_e32 v[94:95], v[92:93]
	s_waitcnt_depctr 0xfff
	v_fma_f64 v[96:97], -v[92:93], v[94:95], 1.0
	s_delay_alu instid0(VALU_DEP_1) | instskip(NEXT) | instid1(VALU_DEP_1)
	v_fma_f64 v[94:95], v[94:95], v[96:97], v[94:95]
	v_fma_f64 v[96:97], -v[92:93], v[94:95], 1.0
	s_delay_alu instid0(VALU_DEP_1) | instskip(SKIP_1) | instid1(VALU_DEP_1)
	v_fma_f64 v[94:95], v[94:95], v[96:97], v[94:95]
	v_div_scale_f64 v[96:97], vcc_lo, 1.0, v[50:51], 1.0
	v_mul_f64 v[98:99], v[96:97], v[94:95]
	s_delay_alu instid0(VALU_DEP_1) | instskip(NEXT) | instid1(VALU_DEP_1)
	v_fma_f64 v[92:93], -v[92:93], v[98:99], v[96:97]
	v_div_fmas_f64 v[92:93], v[92:93], v[94:95], v[98:99]
	s_delay_alu instid0(VALU_DEP_1) | instskip(NEXT) | instid1(VALU_DEP_1)
	v_div_fixup_f64 v[92:93], v[92:93], v[50:51], 1.0
	v_mul_f64 v[94:95], v[48:49], -v[92:93]
.LBB44_93:
	s_or_b32 exec_lo, exec_lo, s2
.LBB44_94:
	s_delay_alu instid0(SALU_CYCLE_1) | instskip(NEXT) | instid1(SALU_CYCLE_1)
	s_or_b32 exec_lo, exec_lo, s3
	s_mov_b32 s2, exec_lo
	v_cmpx_ne_u32_e64 v108, v100
	s_xor_b32 s2, exec_lo, s2
	s_cbranch_execz .LBB44_100
; %bb.95:
	s_mov_b32 s3, exec_lo
	v_cmpx_eq_u32_e32 4, v108
	s_cbranch_execz .LBB44_99
; %bb.96:
	v_cmp_ne_u32_e32 vcc_lo, 4, v100
	s_xor_b32 s6, s4, -1
	s_delay_alu instid0(SALU_CYCLE_1) | instskip(NEXT) | instid1(SALU_CYCLE_1)
	s_and_b32 s7, s6, vcc_lo
	s_and_saveexec_b32 s6, s7
	s_cbranch_execz .LBB44_98
; %bb.97:
	v_ashrrev_i32_e32 v101, 31, v100
	s_delay_alu instid0(VALU_DEP_1) | instskip(NEXT) | instid1(VALU_DEP_1)
	v_lshlrev_b64 v[48:49], 2, v[100:101]
	v_add_co_u32 v48, vcc_lo, v239, v48
	s_delay_alu instid0(VALU_DEP_2)
	v_add_co_ci_u32_e32 v49, vcc_lo, v240, v49, vcc_lo
	s_clause 0x1
	flat_load_b32 v50, v[48:49]
	flat_load_b32 v51, v[239:240] offset:16
	s_waitcnt vmcnt(1) lgkmcnt(1)
	flat_store_b32 v[239:240], v50 offset:16
	s_waitcnt vmcnt(0) lgkmcnt(1)
	flat_store_b32 v[48:49], v51
.LBB44_98:
	s_or_b32 exec_lo, exec_lo, s6
	v_mov_b32_e32 v108, v100
	v_mov_b32_e32 v105, v100
.LBB44_99:
	s_or_b32 exec_lo, exec_lo, s3
.LBB44_100:
	s_and_not1_saveexec_b32 s2, s2
	s_cbranch_execz .LBB44_102
; %bb.101:
	v_mov_b32_e32 v108, 4
	ds_store_2addr_b64 v102, v[80:81], v[82:83] offset0:10 offset1:11
	ds_store_2addr_b64 v102, v[72:73], v[74:75] offset0:12 offset1:13
	;; [unrolled: 1-line block ×18, first 2 shown]
.LBB44_102:
	s_or_b32 exec_lo, exec_lo, s2
	s_delay_alu instid0(SALU_CYCLE_1)
	s_mov_b32 s2, exec_lo
	s_waitcnt lgkmcnt(0)
	s_waitcnt_vscnt null, 0x0
	s_barrier
	buffer_gl0_inv
	v_cmpx_lt_i32_e32 4, v108
	s_cbranch_execz .LBB44_104
; %bb.103:
	v_mul_f64 v[48:49], v[92:93], v[86:87]
	v_mul_f64 v[50:51], v[94:95], v[86:87]
	ds_load_2addr_b64 v[109:112], v102 offset0:10 offset1:11
	ds_load_2addr_b64 v[113:116], v102 offset0:12 offset1:13
	;; [unrolled: 1-line block ×18, first 2 shown]
	v_fma_f64 v[86:87], v[94:95], v[84:85], v[48:49]
	v_fma_f64 v[48:49], v[92:93], v[84:85], -v[50:51]
	s_waitcnt lgkmcnt(17)
	s_delay_alu instid0(VALU_DEP_2)
	v_mul_f64 v[50:51], v[111:112], v[86:87]
	v_mul_f64 v[84:85], v[109:110], v[86:87]
	s_waitcnt lgkmcnt(16)
	v_mul_f64 v[92:93], v[115:116], v[86:87]
	v_mul_f64 v[94:95], v[113:114], v[86:87]
	s_waitcnt lgkmcnt(15)
	;; [unrolled: 3-line block ×17, first 2 shown]
	v_mul_f64 v[235:236], v[179:180], v[86:87]
	v_mul_f64 v[237:238], v[177:178], v[86:87]
	v_fma_f64 v[50:51], v[109:110], v[48:49], -v[50:51]
	v_fma_f64 v[84:85], v[111:112], v[48:49], v[84:85]
	v_fma_f64 v[92:93], v[113:114], v[48:49], -v[92:93]
	v_fma_f64 v[94:95], v[115:116], v[48:49], v[94:95]
	v_fma_f64 v[96:97], v[117:118], v[48:49], -v[96:97]
	v_fma_f64 v[98:99], v[119:120], v[48:49], v[98:99]
	v_fma_f64 v[100:101], v[121:122], v[48:49], -v[100:101]
	v_fma_f64 v[109:110], v[123:124], v[48:49], v[181:182]
	v_fma_f64 v[111:112], v[125:126], v[48:49], -v[183:184]
	v_fma_f64 v[113:114], v[127:128], v[48:49], v[185:186]
	v_fma_f64 v[115:116], v[129:130], v[48:49], -v[187:188]
	v_fma_f64 v[117:118], v[131:132], v[48:49], v[189:190]
	v_fma_f64 v[119:120], v[133:134], v[48:49], -v[191:192]
	v_fma_f64 v[121:122], v[135:136], v[48:49], v[193:194]
	v_fma_f64 v[123:124], v[137:138], v[48:49], -v[195:196]
	v_fma_f64 v[125:126], v[139:140], v[48:49], v[197:198]
	v_fma_f64 v[127:128], v[141:142], v[48:49], -v[199:200]
	v_fma_f64 v[129:130], v[143:144], v[48:49], v[201:202]
	v_fma_f64 v[131:132], v[145:146], v[48:49], -v[203:204]
	v_fma_f64 v[133:134], v[147:148], v[48:49], v[205:206]
	v_fma_f64 v[135:136], v[149:150], v[48:49], -v[207:208]
	v_fma_f64 v[137:138], v[151:152], v[48:49], v[209:210]
	v_fma_f64 v[139:140], v[153:154], v[48:49], -v[211:212]
	v_fma_f64 v[141:142], v[155:156], v[48:49], v[213:214]
	v_fma_f64 v[143:144], v[157:158], v[48:49], -v[215:216]
	v_fma_f64 v[145:146], v[159:160], v[48:49], v[217:218]
	v_fma_f64 v[147:148], v[161:162], v[48:49], -v[219:220]
	v_fma_f64 v[149:150], v[163:164], v[48:49], v[221:222]
	v_fma_f64 v[151:152], v[165:166], v[48:49], -v[223:224]
	v_fma_f64 v[153:154], v[167:168], v[48:49], v[225:226]
	v_fma_f64 v[155:156], v[169:170], v[48:49], -v[227:228]
	v_fma_f64 v[157:158], v[171:172], v[48:49], v[229:230]
	v_fma_f64 v[159:160], v[173:174], v[48:49], -v[231:232]
	v_fma_f64 v[161:162], v[175:176], v[48:49], v[233:234]
	v_fma_f64 v[163:164], v[177:178], v[48:49], -v[235:236]
	v_fma_f64 v[165:166], v[179:180], v[48:49], v[237:238]
	v_add_f64 v[80:81], v[80:81], -v[50:51]
	v_add_f64 v[82:83], v[82:83], -v[84:85]
	;; [unrolled: 1-line block ×36, first 2 shown]
	v_dual_mov_b32 v85, v49 :: v_dual_mov_b32 v84, v48
.LBB44_104:
	s_or_b32 exec_lo, exec_lo, s2
	v_lshl_add_u32 v48, v108, 4, v102
	s_barrier
	buffer_gl0_inv
	v_mov_b32_e32 v100, 5
	ds_store_2addr_b64 v48, v[80:81], v[82:83] offset1:1
	s_waitcnt lgkmcnt(0)
	s_barrier
	buffer_gl0_inv
	ds_load_2addr_b64 v[92:95], v102 offset0:10 offset1:11
	s_cmp_lt_i32 s5, 7
	s_cbranch_scc1 .LBB44_107
; %bb.105:
	v_add3_u32 v101, v107, 0, 0x60
	v_mov_b32_e32 v100, 5
	s_mov_b32 s6, 6
	s_set_inst_prefetch_distance 0x1
	.p2align	6
.LBB44_106:                             ; =>This Inner Loop Header: Depth=1
	ds_load_2addr_b64 v[109:112], v101 offset1:1
	s_waitcnt lgkmcnt(1)
	v_cmp_gt_f64_e32 vcc_lo, 0, v[92:93]
	v_xor_b32_e32 v48, 0x80000000, v93
	v_cmp_gt_f64_e64 s2, 0, v[94:95]
	v_xor_b32_e32 v50, 0x80000000, v95
	v_add_nc_u32_e32 v101, 16, v101
	s_waitcnt lgkmcnt(0)
	v_cmp_gt_f64_e64 s3, 0, v[109:110]
	v_mov_b32_e32 v96, v109
	v_dual_mov_b32 v98, v111 :: v_dual_cndmask_b32 v49, v93, v48
	v_xor_b32_e32 v48, 0x80000000, v110
	v_cndmask_b32_e64 v51, v95, v50, s2
	v_xor_b32_e32 v50, 0x80000000, v112
	s_delay_alu instid0(VALU_DEP_3) | instskip(SKIP_2) | instid1(VALU_DEP_2)
	v_cndmask_b32_e64 v97, v110, v48, s3
	v_cmp_gt_f64_e64 s3, 0, v[111:112]
	v_cndmask_b32_e32 v48, v92, v92, vcc_lo
	v_cndmask_b32_e64 v99, v112, v50, s3
	v_cndmask_b32_e64 v50, v94, v94, s2
	s_delay_alu instid0(VALU_DEP_2) | instskip(NEXT) | instid1(VALU_DEP_2)
	v_add_f64 v[96:97], v[96:97], v[98:99]
	v_add_f64 v[48:49], v[48:49], v[50:51]
	s_delay_alu instid0(VALU_DEP_1) | instskip(SKIP_4) | instid1(SALU_CYCLE_1)
	v_cmp_lt_f64_e32 vcc_lo, v[48:49], v[96:97]
	v_dual_cndmask_b32 v93, v93, v110 :: v_dual_cndmask_b32 v92, v92, v109
	v_dual_cndmask_b32 v95, v95, v112 :: v_dual_cndmask_b32 v94, v94, v111
	v_cndmask_b32_e64 v100, v100, s6, vcc_lo
	s_add_i32 s6, s6, 1
	s_cmp_lg_u32 s5, s6
	s_cbranch_scc1 .LBB44_106
.LBB44_107:
	s_set_inst_prefetch_distance 0x2
	s_waitcnt lgkmcnt(0)
	v_cmp_eq_f64_e32 vcc_lo, 0, v[92:93]
	v_cmp_eq_f64_e64 s2, 0, v[94:95]
	s_delay_alu instid0(VALU_DEP_1) | instskip(NEXT) | instid1(SALU_CYCLE_1)
	s_and_b32 s2, vcc_lo, s2
	s_and_saveexec_b32 s3, s2
	s_delay_alu instid0(SALU_CYCLE_1)
	s_xor_b32 s2, exec_lo, s3
; %bb.108:
	v_cmp_ne_u32_e32 vcc_lo, 0, v106
	v_cndmask_b32_e32 v106, 6, v106, vcc_lo
; %bb.109:
	s_and_not1_saveexec_b32 s3, s2
	s_cbranch_execz .LBB44_115
; %bb.110:
	v_cmp_gt_f64_e32 vcc_lo, 0, v[92:93]
	v_cmp_gt_f64_e64 s2, 0, v[94:95]
	v_xor_b32_e32 v48, 0x80000000, v93
	v_xor_b32_e32 v50, 0x80000000, v95
	s_delay_alu instid0(VALU_DEP_2) | instskip(NEXT) | instid1(VALU_DEP_2)
	v_cndmask_b32_e32 v49, v93, v48, vcc_lo
	v_cndmask_b32_e64 v51, v95, v50, s2
	v_cndmask_b32_e32 v48, v92, v92, vcc_lo
	v_cndmask_b32_e64 v50, v94, v94, s2
	s_mov_b32 s2, exec_lo
	s_delay_alu instid0(VALU_DEP_1)
	v_cmpx_ngt_f64_e32 v[48:49], v[50:51]
	s_xor_b32 s2, exec_lo, s2
	s_cbranch_execz .LBB44_112
; %bb.111:
	v_div_scale_f64 v[48:49], null, v[94:95], v[94:95], v[92:93]
	v_div_scale_f64 v[98:99], vcc_lo, v[92:93], v[94:95], v[92:93]
	s_delay_alu instid0(VALU_DEP_2) | instskip(SKIP_2) | instid1(VALU_DEP_1)
	v_rcp_f64_e32 v[50:51], v[48:49]
	s_waitcnt_depctr 0xfff
	v_fma_f64 v[96:97], -v[48:49], v[50:51], 1.0
	v_fma_f64 v[50:51], v[50:51], v[96:97], v[50:51]
	s_delay_alu instid0(VALU_DEP_1) | instskip(NEXT) | instid1(VALU_DEP_1)
	v_fma_f64 v[96:97], -v[48:49], v[50:51], 1.0
	v_fma_f64 v[50:51], v[50:51], v[96:97], v[50:51]
	s_delay_alu instid0(VALU_DEP_1) | instskip(NEXT) | instid1(VALU_DEP_1)
	v_mul_f64 v[96:97], v[98:99], v[50:51]
	v_fma_f64 v[48:49], -v[48:49], v[96:97], v[98:99]
	s_delay_alu instid0(VALU_DEP_1) | instskip(NEXT) | instid1(VALU_DEP_1)
	v_div_fmas_f64 v[48:49], v[48:49], v[50:51], v[96:97]
	v_div_fixup_f64 v[48:49], v[48:49], v[94:95], v[92:93]
	s_delay_alu instid0(VALU_DEP_1) | instskip(NEXT) | instid1(VALU_DEP_1)
	v_fma_f64 v[50:51], v[92:93], v[48:49], v[94:95]
	v_div_scale_f64 v[92:93], null, v[50:51], v[50:51], 1.0
	s_delay_alu instid0(VALU_DEP_1) | instskip(SKIP_2) | instid1(VALU_DEP_1)
	v_rcp_f64_e32 v[94:95], v[92:93]
	s_waitcnt_depctr 0xfff
	v_fma_f64 v[96:97], -v[92:93], v[94:95], 1.0
	v_fma_f64 v[94:95], v[94:95], v[96:97], v[94:95]
	s_delay_alu instid0(VALU_DEP_1) | instskip(NEXT) | instid1(VALU_DEP_1)
	v_fma_f64 v[96:97], -v[92:93], v[94:95], 1.0
	v_fma_f64 v[94:95], v[94:95], v[96:97], v[94:95]
	v_div_scale_f64 v[96:97], vcc_lo, 1.0, v[50:51], 1.0
	s_delay_alu instid0(VALU_DEP_1) | instskip(NEXT) | instid1(VALU_DEP_1)
	v_mul_f64 v[98:99], v[96:97], v[94:95]
	v_fma_f64 v[92:93], -v[92:93], v[98:99], v[96:97]
	s_delay_alu instid0(VALU_DEP_1) | instskip(NEXT) | instid1(VALU_DEP_1)
	v_div_fmas_f64 v[92:93], v[92:93], v[94:95], v[98:99]
	v_div_fixup_f64 v[94:95], v[92:93], v[50:51], 1.0
	s_delay_alu instid0(VALU_DEP_1)
	v_mul_f64 v[92:93], v[48:49], v[94:95]
	v_xor_b32_e32 v95, 0x80000000, v95
.LBB44_112:
	s_and_not1_saveexec_b32 s2, s2
	s_cbranch_execz .LBB44_114
; %bb.113:
	s_delay_alu instid0(VALU_DEP_1) | instskip(SKIP_1) | instid1(VALU_DEP_2)
	v_div_scale_f64 v[48:49], null, v[92:93], v[92:93], v[94:95]
	v_div_scale_f64 v[98:99], vcc_lo, v[94:95], v[92:93], v[94:95]
	v_rcp_f64_e32 v[50:51], v[48:49]
	s_waitcnt_depctr 0xfff
	v_fma_f64 v[96:97], -v[48:49], v[50:51], 1.0
	s_delay_alu instid0(VALU_DEP_1) | instskip(NEXT) | instid1(VALU_DEP_1)
	v_fma_f64 v[50:51], v[50:51], v[96:97], v[50:51]
	v_fma_f64 v[96:97], -v[48:49], v[50:51], 1.0
	s_delay_alu instid0(VALU_DEP_1) | instskip(NEXT) | instid1(VALU_DEP_1)
	v_fma_f64 v[50:51], v[50:51], v[96:97], v[50:51]
	v_mul_f64 v[96:97], v[98:99], v[50:51]
	s_delay_alu instid0(VALU_DEP_1) | instskip(NEXT) | instid1(VALU_DEP_1)
	v_fma_f64 v[48:49], -v[48:49], v[96:97], v[98:99]
	v_div_fmas_f64 v[48:49], v[48:49], v[50:51], v[96:97]
	s_delay_alu instid0(VALU_DEP_1) | instskip(NEXT) | instid1(VALU_DEP_1)
	v_div_fixup_f64 v[48:49], v[48:49], v[92:93], v[94:95]
	v_fma_f64 v[50:51], v[94:95], v[48:49], v[92:93]
	s_delay_alu instid0(VALU_DEP_1) | instskip(NEXT) | instid1(VALU_DEP_1)
	v_div_scale_f64 v[92:93], null, v[50:51], v[50:51], 1.0
	v_rcp_f64_e32 v[94:95], v[92:93]
	s_waitcnt_depctr 0xfff
	v_fma_f64 v[96:97], -v[92:93], v[94:95], 1.0
	s_delay_alu instid0(VALU_DEP_1) | instskip(NEXT) | instid1(VALU_DEP_1)
	v_fma_f64 v[94:95], v[94:95], v[96:97], v[94:95]
	v_fma_f64 v[96:97], -v[92:93], v[94:95], 1.0
	s_delay_alu instid0(VALU_DEP_1) | instskip(SKIP_1) | instid1(VALU_DEP_1)
	v_fma_f64 v[94:95], v[94:95], v[96:97], v[94:95]
	v_div_scale_f64 v[96:97], vcc_lo, 1.0, v[50:51], 1.0
	v_mul_f64 v[98:99], v[96:97], v[94:95]
	s_delay_alu instid0(VALU_DEP_1) | instskip(NEXT) | instid1(VALU_DEP_1)
	v_fma_f64 v[92:93], -v[92:93], v[98:99], v[96:97]
	v_div_fmas_f64 v[92:93], v[92:93], v[94:95], v[98:99]
	s_delay_alu instid0(VALU_DEP_1) | instskip(NEXT) | instid1(VALU_DEP_1)
	v_div_fixup_f64 v[92:93], v[92:93], v[50:51], 1.0
	v_mul_f64 v[94:95], v[48:49], -v[92:93]
.LBB44_114:
	s_or_b32 exec_lo, exec_lo, s2
.LBB44_115:
	s_delay_alu instid0(SALU_CYCLE_1) | instskip(NEXT) | instid1(SALU_CYCLE_1)
	s_or_b32 exec_lo, exec_lo, s3
	s_mov_b32 s2, exec_lo
	v_cmpx_ne_u32_e64 v108, v100
	s_xor_b32 s2, exec_lo, s2
	s_cbranch_execz .LBB44_121
; %bb.116:
	s_mov_b32 s3, exec_lo
	v_cmpx_eq_u32_e32 5, v108
	s_cbranch_execz .LBB44_120
; %bb.117:
	v_cmp_ne_u32_e32 vcc_lo, 5, v100
	s_xor_b32 s6, s4, -1
	s_delay_alu instid0(SALU_CYCLE_1) | instskip(NEXT) | instid1(SALU_CYCLE_1)
	s_and_b32 s7, s6, vcc_lo
	s_and_saveexec_b32 s6, s7
	s_cbranch_execz .LBB44_119
; %bb.118:
	v_ashrrev_i32_e32 v101, 31, v100
	s_delay_alu instid0(VALU_DEP_1) | instskip(NEXT) | instid1(VALU_DEP_1)
	v_lshlrev_b64 v[48:49], 2, v[100:101]
	v_add_co_u32 v48, vcc_lo, v239, v48
	s_delay_alu instid0(VALU_DEP_2)
	v_add_co_ci_u32_e32 v49, vcc_lo, v240, v49, vcc_lo
	s_clause 0x1
	flat_load_b32 v50, v[48:49]
	flat_load_b32 v51, v[239:240] offset:20
	s_waitcnt vmcnt(1) lgkmcnt(1)
	flat_store_b32 v[239:240], v50 offset:20
	s_waitcnt vmcnt(0) lgkmcnt(1)
	flat_store_b32 v[48:49], v51
.LBB44_119:
	s_or_b32 exec_lo, exec_lo, s6
	v_mov_b32_e32 v108, v100
	v_mov_b32_e32 v105, v100
.LBB44_120:
	s_or_b32 exec_lo, exec_lo, s3
.LBB44_121:
	s_and_not1_saveexec_b32 s2, s2
	s_cbranch_execz .LBB44_123
; %bb.122:
	v_mov_b32_e32 v108, 5
	ds_store_2addr_b64 v102, v[72:73], v[74:75] offset0:12 offset1:13
	ds_store_2addr_b64 v102, v[68:69], v[70:71] offset0:14 offset1:15
	;; [unrolled: 1-line block ×17, first 2 shown]
.LBB44_123:
	s_or_b32 exec_lo, exec_lo, s2
	s_delay_alu instid0(SALU_CYCLE_1)
	s_mov_b32 s2, exec_lo
	s_waitcnt lgkmcnt(0)
	s_waitcnt_vscnt null, 0x0
	s_barrier
	buffer_gl0_inv
	v_cmpx_lt_i32_e32 5, v108
	s_cbranch_execz .LBB44_125
; %bb.124:
	v_mul_f64 v[48:49], v[92:93], v[82:83]
	v_mul_f64 v[50:51], v[94:95], v[82:83]
	ds_load_2addr_b64 v[109:112], v102 offset0:12 offset1:13
	ds_load_2addr_b64 v[113:116], v102 offset0:14 offset1:15
	;; [unrolled: 1-line block ×17, first 2 shown]
	v_fma_f64 v[82:83], v[94:95], v[80:81], v[48:49]
	v_fma_f64 v[48:49], v[92:93], v[80:81], -v[50:51]
	s_waitcnt lgkmcnt(16)
	s_delay_alu instid0(VALU_DEP_2)
	v_mul_f64 v[50:51], v[111:112], v[82:83]
	v_mul_f64 v[80:81], v[109:110], v[82:83]
	s_waitcnt lgkmcnt(15)
	v_mul_f64 v[92:93], v[115:116], v[82:83]
	v_mul_f64 v[94:95], v[113:114], v[82:83]
	s_waitcnt lgkmcnt(14)
	;; [unrolled: 3-line block ×16, first 2 shown]
	v_mul_f64 v[227:228], v[175:176], v[82:83]
	v_mul_f64 v[229:230], v[173:174], v[82:83]
	v_fma_f64 v[50:51], v[109:110], v[48:49], -v[50:51]
	v_fma_f64 v[80:81], v[111:112], v[48:49], v[80:81]
	v_fma_f64 v[92:93], v[113:114], v[48:49], -v[92:93]
	v_fma_f64 v[94:95], v[115:116], v[48:49], v[94:95]
	v_fma_f64 v[96:97], v[117:118], v[48:49], -v[96:97]
	v_fma_f64 v[98:99], v[119:120], v[48:49], v[98:99]
	v_fma_f64 v[100:101], v[121:122], v[48:49], -v[100:101]
	v_fma_f64 v[109:110], v[123:124], v[48:49], v[177:178]
	v_fma_f64 v[111:112], v[125:126], v[48:49], -v[179:180]
	v_fma_f64 v[113:114], v[127:128], v[48:49], v[181:182]
	v_fma_f64 v[115:116], v[129:130], v[48:49], -v[183:184]
	v_fma_f64 v[117:118], v[131:132], v[48:49], v[185:186]
	v_fma_f64 v[119:120], v[133:134], v[48:49], -v[187:188]
	v_fma_f64 v[121:122], v[135:136], v[48:49], v[189:190]
	v_fma_f64 v[123:124], v[137:138], v[48:49], -v[191:192]
	v_fma_f64 v[125:126], v[139:140], v[48:49], v[193:194]
	v_fma_f64 v[127:128], v[141:142], v[48:49], -v[195:196]
	v_fma_f64 v[129:130], v[143:144], v[48:49], v[197:198]
	v_fma_f64 v[131:132], v[145:146], v[48:49], -v[199:200]
	v_fma_f64 v[133:134], v[147:148], v[48:49], v[201:202]
	v_fma_f64 v[135:136], v[149:150], v[48:49], -v[203:204]
	v_fma_f64 v[137:138], v[151:152], v[48:49], v[205:206]
	v_fma_f64 v[139:140], v[153:154], v[48:49], -v[207:208]
	v_fma_f64 v[141:142], v[155:156], v[48:49], v[209:210]
	v_fma_f64 v[143:144], v[157:158], v[48:49], -v[211:212]
	v_fma_f64 v[145:146], v[159:160], v[48:49], v[213:214]
	v_fma_f64 v[147:148], v[161:162], v[48:49], -v[215:216]
	v_fma_f64 v[149:150], v[163:164], v[48:49], v[217:218]
	v_fma_f64 v[151:152], v[165:166], v[48:49], -v[219:220]
	v_fma_f64 v[153:154], v[167:168], v[48:49], v[221:222]
	v_fma_f64 v[155:156], v[169:170], v[48:49], -v[223:224]
	v_fma_f64 v[157:158], v[171:172], v[48:49], v[225:226]
	v_fma_f64 v[159:160], v[173:174], v[48:49], -v[227:228]
	v_fma_f64 v[161:162], v[175:176], v[48:49], v[229:230]
	v_add_f64 v[72:73], v[72:73], -v[50:51]
	v_add_f64 v[74:75], v[74:75], -v[80:81]
	;; [unrolled: 1-line block ×34, first 2 shown]
	v_dual_mov_b32 v81, v49 :: v_dual_mov_b32 v80, v48
.LBB44_125:
	s_or_b32 exec_lo, exec_lo, s2
	v_lshl_add_u32 v48, v108, 4, v102
	s_barrier
	buffer_gl0_inv
	v_mov_b32_e32 v100, 6
	ds_store_2addr_b64 v48, v[72:73], v[74:75] offset1:1
	s_waitcnt lgkmcnt(0)
	s_barrier
	buffer_gl0_inv
	ds_load_2addr_b64 v[92:95], v102 offset0:12 offset1:13
	s_cmp_lt_i32 s5, 8
	s_cbranch_scc1 .LBB44_128
; %bb.126:
	v_add3_u32 v101, v107, 0, 0x70
	v_mov_b32_e32 v100, 6
	s_mov_b32 s6, 7
	s_set_inst_prefetch_distance 0x1
	.p2align	6
.LBB44_127:                             ; =>This Inner Loop Header: Depth=1
	ds_load_2addr_b64 v[109:112], v101 offset1:1
	s_waitcnt lgkmcnt(1)
	v_cmp_gt_f64_e32 vcc_lo, 0, v[92:93]
	v_xor_b32_e32 v48, 0x80000000, v93
	v_cmp_gt_f64_e64 s2, 0, v[94:95]
	v_xor_b32_e32 v50, 0x80000000, v95
	v_add_nc_u32_e32 v101, 16, v101
	s_waitcnt lgkmcnt(0)
	v_cmp_gt_f64_e64 s3, 0, v[109:110]
	v_mov_b32_e32 v96, v109
	v_dual_mov_b32 v98, v111 :: v_dual_cndmask_b32 v49, v93, v48
	v_xor_b32_e32 v48, 0x80000000, v110
	v_cndmask_b32_e64 v51, v95, v50, s2
	v_xor_b32_e32 v50, 0x80000000, v112
	s_delay_alu instid0(VALU_DEP_3) | instskip(SKIP_2) | instid1(VALU_DEP_2)
	v_cndmask_b32_e64 v97, v110, v48, s3
	v_cmp_gt_f64_e64 s3, 0, v[111:112]
	v_cndmask_b32_e32 v48, v92, v92, vcc_lo
	v_cndmask_b32_e64 v99, v112, v50, s3
	v_cndmask_b32_e64 v50, v94, v94, s2
	s_delay_alu instid0(VALU_DEP_2) | instskip(NEXT) | instid1(VALU_DEP_2)
	v_add_f64 v[96:97], v[96:97], v[98:99]
	v_add_f64 v[48:49], v[48:49], v[50:51]
	s_delay_alu instid0(VALU_DEP_1) | instskip(SKIP_4) | instid1(SALU_CYCLE_1)
	v_cmp_lt_f64_e32 vcc_lo, v[48:49], v[96:97]
	v_dual_cndmask_b32 v93, v93, v110 :: v_dual_cndmask_b32 v92, v92, v109
	v_dual_cndmask_b32 v95, v95, v112 :: v_dual_cndmask_b32 v94, v94, v111
	v_cndmask_b32_e64 v100, v100, s6, vcc_lo
	s_add_i32 s6, s6, 1
	s_cmp_lg_u32 s5, s6
	s_cbranch_scc1 .LBB44_127
.LBB44_128:
	s_set_inst_prefetch_distance 0x2
	s_waitcnt lgkmcnt(0)
	v_cmp_eq_f64_e32 vcc_lo, 0, v[92:93]
	v_cmp_eq_f64_e64 s2, 0, v[94:95]
	s_delay_alu instid0(VALU_DEP_1) | instskip(NEXT) | instid1(SALU_CYCLE_1)
	s_and_b32 s2, vcc_lo, s2
	s_and_saveexec_b32 s3, s2
	s_delay_alu instid0(SALU_CYCLE_1)
	s_xor_b32 s2, exec_lo, s3
; %bb.129:
	v_cmp_ne_u32_e32 vcc_lo, 0, v106
	v_cndmask_b32_e32 v106, 7, v106, vcc_lo
; %bb.130:
	s_and_not1_saveexec_b32 s3, s2
	s_cbranch_execz .LBB44_136
; %bb.131:
	v_cmp_gt_f64_e32 vcc_lo, 0, v[92:93]
	v_cmp_gt_f64_e64 s2, 0, v[94:95]
	v_xor_b32_e32 v48, 0x80000000, v93
	v_xor_b32_e32 v50, 0x80000000, v95
	s_delay_alu instid0(VALU_DEP_2) | instskip(NEXT) | instid1(VALU_DEP_2)
	v_cndmask_b32_e32 v49, v93, v48, vcc_lo
	v_cndmask_b32_e64 v51, v95, v50, s2
	v_cndmask_b32_e32 v48, v92, v92, vcc_lo
	v_cndmask_b32_e64 v50, v94, v94, s2
	s_mov_b32 s2, exec_lo
	s_delay_alu instid0(VALU_DEP_1)
	v_cmpx_ngt_f64_e32 v[48:49], v[50:51]
	s_xor_b32 s2, exec_lo, s2
	s_cbranch_execz .LBB44_133
; %bb.132:
	v_div_scale_f64 v[48:49], null, v[94:95], v[94:95], v[92:93]
	v_div_scale_f64 v[98:99], vcc_lo, v[92:93], v[94:95], v[92:93]
	s_delay_alu instid0(VALU_DEP_2) | instskip(SKIP_2) | instid1(VALU_DEP_1)
	v_rcp_f64_e32 v[50:51], v[48:49]
	s_waitcnt_depctr 0xfff
	v_fma_f64 v[96:97], -v[48:49], v[50:51], 1.0
	v_fma_f64 v[50:51], v[50:51], v[96:97], v[50:51]
	s_delay_alu instid0(VALU_DEP_1) | instskip(NEXT) | instid1(VALU_DEP_1)
	v_fma_f64 v[96:97], -v[48:49], v[50:51], 1.0
	v_fma_f64 v[50:51], v[50:51], v[96:97], v[50:51]
	s_delay_alu instid0(VALU_DEP_1) | instskip(NEXT) | instid1(VALU_DEP_1)
	v_mul_f64 v[96:97], v[98:99], v[50:51]
	v_fma_f64 v[48:49], -v[48:49], v[96:97], v[98:99]
	s_delay_alu instid0(VALU_DEP_1) | instskip(NEXT) | instid1(VALU_DEP_1)
	v_div_fmas_f64 v[48:49], v[48:49], v[50:51], v[96:97]
	v_div_fixup_f64 v[48:49], v[48:49], v[94:95], v[92:93]
	s_delay_alu instid0(VALU_DEP_1) | instskip(NEXT) | instid1(VALU_DEP_1)
	v_fma_f64 v[50:51], v[92:93], v[48:49], v[94:95]
	v_div_scale_f64 v[92:93], null, v[50:51], v[50:51], 1.0
	s_delay_alu instid0(VALU_DEP_1) | instskip(SKIP_2) | instid1(VALU_DEP_1)
	v_rcp_f64_e32 v[94:95], v[92:93]
	s_waitcnt_depctr 0xfff
	v_fma_f64 v[96:97], -v[92:93], v[94:95], 1.0
	v_fma_f64 v[94:95], v[94:95], v[96:97], v[94:95]
	s_delay_alu instid0(VALU_DEP_1) | instskip(NEXT) | instid1(VALU_DEP_1)
	v_fma_f64 v[96:97], -v[92:93], v[94:95], 1.0
	v_fma_f64 v[94:95], v[94:95], v[96:97], v[94:95]
	v_div_scale_f64 v[96:97], vcc_lo, 1.0, v[50:51], 1.0
	s_delay_alu instid0(VALU_DEP_1) | instskip(NEXT) | instid1(VALU_DEP_1)
	v_mul_f64 v[98:99], v[96:97], v[94:95]
	v_fma_f64 v[92:93], -v[92:93], v[98:99], v[96:97]
	s_delay_alu instid0(VALU_DEP_1) | instskip(NEXT) | instid1(VALU_DEP_1)
	v_div_fmas_f64 v[92:93], v[92:93], v[94:95], v[98:99]
	v_div_fixup_f64 v[94:95], v[92:93], v[50:51], 1.0
	s_delay_alu instid0(VALU_DEP_1)
	v_mul_f64 v[92:93], v[48:49], v[94:95]
	v_xor_b32_e32 v95, 0x80000000, v95
.LBB44_133:
	s_and_not1_saveexec_b32 s2, s2
	s_cbranch_execz .LBB44_135
; %bb.134:
	s_delay_alu instid0(VALU_DEP_1) | instskip(SKIP_1) | instid1(VALU_DEP_2)
	v_div_scale_f64 v[48:49], null, v[92:93], v[92:93], v[94:95]
	v_div_scale_f64 v[98:99], vcc_lo, v[94:95], v[92:93], v[94:95]
	v_rcp_f64_e32 v[50:51], v[48:49]
	s_waitcnt_depctr 0xfff
	v_fma_f64 v[96:97], -v[48:49], v[50:51], 1.0
	s_delay_alu instid0(VALU_DEP_1) | instskip(NEXT) | instid1(VALU_DEP_1)
	v_fma_f64 v[50:51], v[50:51], v[96:97], v[50:51]
	v_fma_f64 v[96:97], -v[48:49], v[50:51], 1.0
	s_delay_alu instid0(VALU_DEP_1) | instskip(NEXT) | instid1(VALU_DEP_1)
	v_fma_f64 v[50:51], v[50:51], v[96:97], v[50:51]
	v_mul_f64 v[96:97], v[98:99], v[50:51]
	s_delay_alu instid0(VALU_DEP_1) | instskip(NEXT) | instid1(VALU_DEP_1)
	v_fma_f64 v[48:49], -v[48:49], v[96:97], v[98:99]
	v_div_fmas_f64 v[48:49], v[48:49], v[50:51], v[96:97]
	s_delay_alu instid0(VALU_DEP_1) | instskip(NEXT) | instid1(VALU_DEP_1)
	v_div_fixup_f64 v[48:49], v[48:49], v[92:93], v[94:95]
	v_fma_f64 v[50:51], v[94:95], v[48:49], v[92:93]
	s_delay_alu instid0(VALU_DEP_1) | instskip(NEXT) | instid1(VALU_DEP_1)
	v_div_scale_f64 v[92:93], null, v[50:51], v[50:51], 1.0
	v_rcp_f64_e32 v[94:95], v[92:93]
	s_waitcnt_depctr 0xfff
	v_fma_f64 v[96:97], -v[92:93], v[94:95], 1.0
	s_delay_alu instid0(VALU_DEP_1) | instskip(NEXT) | instid1(VALU_DEP_1)
	v_fma_f64 v[94:95], v[94:95], v[96:97], v[94:95]
	v_fma_f64 v[96:97], -v[92:93], v[94:95], 1.0
	s_delay_alu instid0(VALU_DEP_1) | instskip(SKIP_1) | instid1(VALU_DEP_1)
	v_fma_f64 v[94:95], v[94:95], v[96:97], v[94:95]
	v_div_scale_f64 v[96:97], vcc_lo, 1.0, v[50:51], 1.0
	v_mul_f64 v[98:99], v[96:97], v[94:95]
	s_delay_alu instid0(VALU_DEP_1) | instskip(NEXT) | instid1(VALU_DEP_1)
	v_fma_f64 v[92:93], -v[92:93], v[98:99], v[96:97]
	v_div_fmas_f64 v[92:93], v[92:93], v[94:95], v[98:99]
	s_delay_alu instid0(VALU_DEP_1) | instskip(NEXT) | instid1(VALU_DEP_1)
	v_div_fixup_f64 v[92:93], v[92:93], v[50:51], 1.0
	v_mul_f64 v[94:95], v[48:49], -v[92:93]
.LBB44_135:
	s_or_b32 exec_lo, exec_lo, s2
.LBB44_136:
	s_delay_alu instid0(SALU_CYCLE_1) | instskip(NEXT) | instid1(SALU_CYCLE_1)
	s_or_b32 exec_lo, exec_lo, s3
	s_mov_b32 s2, exec_lo
	v_cmpx_ne_u32_e64 v108, v100
	s_xor_b32 s2, exec_lo, s2
	s_cbranch_execz .LBB44_142
; %bb.137:
	s_mov_b32 s3, exec_lo
	v_cmpx_eq_u32_e32 6, v108
	s_cbranch_execz .LBB44_141
; %bb.138:
	v_cmp_ne_u32_e32 vcc_lo, 6, v100
	s_xor_b32 s6, s4, -1
	s_delay_alu instid0(SALU_CYCLE_1) | instskip(NEXT) | instid1(SALU_CYCLE_1)
	s_and_b32 s7, s6, vcc_lo
	s_and_saveexec_b32 s6, s7
	s_cbranch_execz .LBB44_140
; %bb.139:
	v_ashrrev_i32_e32 v101, 31, v100
	s_delay_alu instid0(VALU_DEP_1) | instskip(NEXT) | instid1(VALU_DEP_1)
	v_lshlrev_b64 v[48:49], 2, v[100:101]
	v_add_co_u32 v48, vcc_lo, v239, v48
	s_delay_alu instid0(VALU_DEP_2)
	v_add_co_ci_u32_e32 v49, vcc_lo, v240, v49, vcc_lo
	s_clause 0x1
	flat_load_b32 v50, v[48:49]
	flat_load_b32 v51, v[239:240] offset:24
	s_waitcnt vmcnt(1) lgkmcnt(1)
	flat_store_b32 v[239:240], v50 offset:24
	s_waitcnt vmcnt(0) lgkmcnt(1)
	flat_store_b32 v[48:49], v51
.LBB44_140:
	s_or_b32 exec_lo, exec_lo, s6
	v_mov_b32_e32 v108, v100
	v_mov_b32_e32 v105, v100
.LBB44_141:
	s_or_b32 exec_lo, exec_lo, s3
.LBB44_142:
	s_and_not1_saveexec_b32 s2, s2
	s_cbranch_execz .LBB44_144
; %bb.143:
	v_mov_b32_e32 v108, 6
	ds_store_2addr_b64 v102, v[68:69], v[70:71] offset0:14 offset1:15
	ds_store_2addr_b64 v102, v[60:61], v[62:63] offset0:16 offset1:17
	;; [unrolled: 1-line block ×16, first 2 shown]
.LBB44_144:
	s_or_b32 exec_lo, exec_lo, s2
	s_delay_alu instid0(SALU_CYCLE_1)
	s_mov_b32 s2, exec_lo
	s_waitcnt lgkmcnt(0)
	s_waitcnt_vscnt null, 0x0
	s_barrier
	buffer_gl0_inv
	v_cmpx_lt_i32_e32 6, v108
	s_cbranch_execz .LBB44_146
; %bb.145:
	v_mul_f64 v[48:49], v[92:93], v[74:75]
	v_mul_f64 v[50:51], v[94:95], v[74:75]
	ds_load_2addr_b64 v[109:112], v102 offset0:14 offset1:15
	ds_load_2addr_b64 v[113:116], v102 offset0:16 offset1:17
	;; [unrolled: 1-line block ×16, first 2 shown]
	v_fma_f64 v[48:49], v[94:95], v[72:73], v[48:49]
	v_fma_f64 v[72:73], v[92:93], v[72:73], -v[50:51]
	s_waitcnt lgkmcnt(15)
	s_delay_alu instid0(VALU_DEP_2)
	v_mul_f64 v[50:51], v[111:112], v[48:49]
	v_mul_f64 v[74:75], v[109:110], v[48:49]
	s_waitcnt lgkmcnt(14)
	v_mul_f64 v[92:93], v[115:116], v[48:49]
	v_mul_f64 v[94:95], v[113:114], v[48:49]
	s_waitcnt lgkmcnt(13)
	;; [unrolled: 3-line block ×15, first 2 shown]
	v_mul_f64 v[219:220], v[171:172], v[48:49]
	v_mul_f64 v[221:222], v[169:170], v[48:49]
	v_fma_f64 v[50:51], v[109:110], v[72:73], -v[50:51]
	v_fma_f64 v[74:75], v[111:112], v[72:73], v[74:75]
	v_fma_f64 v[92:93], v[113:114], v[72:73], -v[92:93]
	v_fma_f64 v[94:95], v[115:116], v[72:73], v[94:95]
	;; [unrolled: 2-line block ×16, first 2 shown]
	v_add_f64 v[68:69], v[68:69], -v[50:51]
	v_add_f64 v[70:71], v[70:71], -v[74:75]
	;; [unrolled: 1-line block ×32, first 2 shown]
	v_dual_mov_b32 v75, v49 :: v_dual_mov_b32 v74, v48
.LBB44_146:
	s_or_b32 exec_lo, exec_lo, s2
	v_lshl_add_u32 v48, v108, 4, v102
	s_barrier
	buffer_gl0_inv
	v_mov_b32_e32 v100, 7
	ds_store_2addr_b64 v48, v[68:69], v[70:71] offset1:1
	s_waitcnt lgkmcnt(0)
	s_barrier
	buffer_gl0_inv
	ds_load_2addr_b64 v[92:95], v102 offset0:14 offset1:15
	s_cmp_lt_i32 s5, 9
	s_cbranch_scc1 .LBB44_149
; %bb.147:
	v_add3_u32 v101, v107, 0, 0x80
	v_mov_b32_e32 v100, 7
	s_mov_b32 s6, 8
	s_set_inst_prefetch_distance 0x1
	.p2align	6
.LBB44_148:                             ; =>This Inner Loop Header: Depth=1
	ds_load_2addr_b64 v[109:112], v101 offset1:1
	s_waitcnt lgkmcnt(1)
	v_cmp_gt_f64_e32 vcc_lo, 0, v[92:93]
	v_xor_b32_e32 v48, 0x80000000, v93
	v_cmp_gt_f64_e64 s2, 0, v[94:95]
	v_xor_b32_e32 v50, 0x80000000, v95
	v_add_nc_u32_e32 v101, 16, v101
	s_waitcnt lgkmcnt(0)
	v_cmp_gt_f64_e64 s3, 0, v[109:110]
	v_mov_b32_e32 v96, v109
	v_dual_mov_b32 v98, v111 :: v_dual_cndmask_b32 v49, v93, v48
	v_xor_b32_e32 v48, 0x80000000, v110
	v_cndmask_b32_e64 v51, v95, v50, s2
	v_xor_b32_e32 v50, 0x80000000, v112
	s_delay_alu instid0(VALU_DEP_3) | instskip(SKIP_2) | instid1(VALU_DEP_2)
	v_cndmask_b32_e64 v97, v110, v48, s3
	v_cmp_gt_f64_e64 s3, 0, v[111:112]
	v_cndmask_b32_e32 v48, v92, v92, vcc_lo
	v_cndmask_b32_e64 v99, v112, v50, s3
	v_cndmask_b32_e64 v50, v94, v94, s2
	s_delay_alu instid0(VALU_DEP_2) | instskip(NEXT) | instid1(VALU_DEP_2)
	v_add_f64 v[96:97], v[96:97], v[98:99]
	v_add_f64 v[48:49], v[48:49], v[50:51]
	s_delay_alu instid0(VALU_DEP_1) | instskip(SKIP_4) | instid1(SALU_CYCLE_1)
	v_cmp_lt_f64_e32 vcc_lo, v[48:49], v[96:97]
	v_dual_cndmask_b32 v93, v93, v110 :: v_dual_cndmask_b32 v92, v92, v109
	v_dual_cndmask_b32 v95, v95, v112 :: v_dual_cndmask_b32 v94, v94, v111
	v_cndmask_b32_e64 v100, v100, s6, vcc_lo
	s_add_i32 s6, s6, 1
	s_cmp_lg_u32 s5, s6
	s_cbranch_scc1 .LBB44_148
.LBB44_149:
	s_set_inst_prefetch_distance 0x2
	s_waitcnt lgkmcnt(0)
	v_cmp_eq_f64_e32 vcc_lo, 0, v[92:93]
	v_cmp_eq_f64_e64 s2, 0, v[94:95]
	s_delay_alu instid0(VALU_DEP_1) | instskip(NEXT) | instid1(SALU_CYCLE_1)
	s_and_b32 s2, vcc_lo, s2
	s_and_saveexec_b32 s3, s2
	s_delay_alu instid0(SALU_CYCLE_1)
	s_xor_b32 s2, exec_lo, s3
; %bb.150:
	v_cmp_ne_u32_e32 vcc_lo, 0, v106
	v_cndmask_b32_e32 v106, 8, v106, vcc_lo
; %bb.151:
	s_and_not1_saveexec_b32 s3, s2
	s_cbranch_execz .LBB44_157
; %bb.152:
	v_cmp_gt_f64_e32 vcc_lo, 0, v[92:93]
	v_cmp_gt_f64_e64 s2, 0, v[94:95]
	v_xor_b32_e32 v48, 0x80000000, v93
	v_xor_b32_e32 v50, 0x80000000, v95
	s_delay_alu instid0(VALU_DEP_2) | instskip(NEXT) | instid1(VALU_DEP_2)
	v_cndmask_b32_e32 v49, v93, v48, vcc_lo
	v_cndmask_b32_e64 v51, v95, v50, s2
	v_cndmask_b32_e32 v48, v92, v92, vcc_lo
	v_cndmask_b32_e64 v50, v94, v94, s2
	s_mov_b32 s2, exec_lo
	s_delay_alu instid0(VALU_DEP_1)
	v_cmpx_ngt_f64_e32 v[48:49], v[50:51]
	s_xor_b32 s2, exec_lo, s2
	s_cbranch_execz .LBB44_154
; %bb.153:
	v_div_scale_f64 v[48:49], null, v[94:95], v[94:95], v[92:93]
	v_div_scale_f64 v[98:99], vcc_lo, v[92:93], v[94:95], v[92:93]
	s_delay_alu instid0(VALU_DEP_2) | instskip(SKIP_2) | instid1(VALU_DEP_1)
	v_rcp_f64_e32 v[50:51], v[48:49]
	s_waitcnt_depctr 0xfff
	v_fma_f64 v[96:97], -v[48:49], v[50:51], 1.0
	v_fma_f64 v[50:51], v[50:51], v[96:97], v[50:51]
	s_delay_alu instid0(VALU_DEP_1) | instskip(NEXT) | instid1(VALU_DEP_1)
	v_fma_f64 v[96:97], -v[48:49], v[50:51], 1.0
	v_fma_f64 v[50:51], v[50:51], v[96:97], v[50:51]
	s_delay_alu instid0(VALU_DEP_1) | instskip(NEXT) | instid1(VALU_DEP_1)
	v_mul_f64 v[96:97], v[98:99], v[50:51]
	v_fma_f64 v[48:49], -v[48:49], v[96:97], v[98:99]
	s_delay_alu instid0(VALU_DEP_1) | instskip(NEXT) | instid1(VALU_DEP_1)
	v_div_fmas_f64 v[48:49], v[48:49], v[50:51], v[96:97]
	v_div_fixup_f64 v[48:49], v[48:49], v[94:95], v[92:93]
	s_delay_alu instid0(VALU_DEP_1) | instskip(NEXT) | instid1(VALU_DEP_1)
	v_fma_f64 v[50:51], v[92:93], v[48:49], v[94:95]
	v_div_scale_f64 v[92:93], null, v[50:51], v[50:51], 1.0
	s_delay_alu instid0(VALU_DEP_1) | instskip(SKIP_2) | instid1(VALU_DEP_1)
	v_rcp_f64_e32 v[94:95], v[92:93]
	s_waitcnt_depctr 0xfff
	v_fma_f64 v[96:97], -v[92:93], v[94:95], 1.0
	v_fma_f64 v[94:95], v[94:95], v[96:97], v[94:95]
	s_delay_alu instid0(VALU_DEP_1) | instskip(NEXT) | instid1(VALU_DEP_1)
	v_fma_f64 v[96:97], -v[92:93], v[94:95], 1.0
	v_fma_f64 v[94:95], v[94:95], v[96:97], v[94:95]
	v_div_scale_f64 v[96:97], vcc_lo, 1.0, v[50:51], 1.0
	s_delay_alu instid0(VALU_DEP_1) | instskip(NEXT) | instid1(VALU_DEP_1)
	v_mul_f64 v[98:99], v[96:97], v[94:95]
	v_fma_f64 v[92:93], -v[92:93], v[98:99], v[96:97]
	s_delay_alu instid0(VALU_DEP_1) | instskip(NEXT) | instid1(VALU_DEP_1)
	v_div_fmas_f64 v[92:93], v[92:93], v[94:95], v[98:99]
	v_div_fixup_f64 v[94:95], v[92:93], v[50:51], 1.0
	s_delay_alu instid0(VALU_DEP_1)
	v_mul_f64 v[92:93], v[48:49], v[94:95]
	v_xor_b32_e32 v95, 0x80000000, v95
.LBB44_154:
	s_and_not1_saveexec_b32 s2, s2
	s_cbranch_execz .LBB44_156
; %bb.155:
	s_delay_alu instid0(VALU_DEP_1) | instskip(SKIP_1) | instid1(VALU_DEP_2)
	v_div_scale_f64 v[48:49], null, v[92:93], v[92:93], v[94:95]
	v_div_scale_f64 v[98:99], vcc_lo, v[94:95], v[92:93], v[94:95]
	v_rcp_f64_e32 v[50:51], v[48:49]
	s_waitcnt_depctr 0xfff
	v_fma_f64 v[96:97], -v[48:49], v[50:51], 1.0
	s_delay_alu instid0(VALU_DEP_1) | instskip(NEXT) | instid1(VALU_DEP_1)
	v_fma_f64 v[50:51], v[50:51], v[96:97], v[50:51]
	v_fma_f64 v[96:97], -v[48:49], v[50:51], 1.0
	s_delay_alu instid0(VALU_DEP_1) | instskip(NEXT) | instid1(VALU_DEP_1)
	v_fma_f64 v[50:51], v[50:51], v[96:97], v[50:51]
	v_mul_f64 v[96:97], v[98:99], v[50:51]
	s_delay_alu instid0(VALU_DEP_1) | instskip(NEXT) | instid1(VALU_DEP_1)
	v_fma_f64 v[48:49], -v[48:49], v[96:97], v[98:99]
	v_div_fmas_f64 v[48:49], v[48:49], v[50:51], v[96:97]
	s_delay_alu instid0(VALU_DEP_1) | instskip(NEXT) | instid1(VALU_DEP_1)
	v_div_fixup_f64 v[48:49], v[48:49], v[92:93], v[94:95]
	v_fma_f64 v[50:51], v[94:95], v[48:49], v[92:93]
	s_delay_alu instid0(VALU_DEP_1) | instskip(NEXT) | instid1(VALU_DEP_1)
	v_div_scale_f64 v[92:93], null, v[50:51], v[50:51], 1.0
	v_rcp_f64_e32 v[94:95], v[92:93]
	s_waitcnt_depctr 0xfff
	v_fma_f64 v[96:97], -v[92:93], v[94:95], 1.0
	s_delay_alu instid0(VALU_DEP_1) | instskip(NEXT) | instid1(VALU_DEP_1)
	v_fma_f64 v[94:95], v[94:95], v[96:97], v[94:95]
	v_fma_f64 v[96:97], -v[92:93], v[94:95], 1.0
	s_delay_alu instid0(VALU_DEP_1) | instskip(SKIP_1) | instid1(VALU_DEP_1)
	v_fma_f64 v[94:95], v[94:95], v[96:97], v[94:95]
	v_div_scale_f64 v[96:97], vcc_lo, 1.0, v[50:51], 1.0
	v_mul_f64 v[98:99], v[96:97], v[94:95]
	s_delay_alu instid0(VALU_DEP_1) | instskip(NEXT) | instid1(VALU_DEP_1)
	v_fma_f64 v[92:93], -v[92:93], v[98:99], v[96:97]
	v_div_fmas_f64 v[92:93], v[92:93], v[94:95], v[98:99]
	s_delay_alu instid0(VALU_DEP_1) | instskip(NEXT) | instid1(VALU_DEP_1)
	v_div_fixup_f64 v[92:93], v[92:93], v[50:51], 1.0
	v_mul_f64 v[94:95], v[48:49], -v[92:93]
.LBB44_156:
	s_or_b32 exec_lo, exec_lo, s2
.LBB44_157:
	s_delay_alu instid0(SALU_CYCLE_1) | instskip(NEXT) | instid1(SALU_CYCLE_1)
	s_or_b32 exec_lo, exec_lo, s3
	s_mov_b32 s2, exec_lo
	v_cmpx_ne_u32_e64 v108, v100
	s_xor_b32 s2, exec_lo, s2
	s_cbranch_execz .LBB44_163
; %bb.158:
	s_mov_b32 s3, exec_lo
	v_cmpx_eq_u32_e32 7, v108
	s_cbranch_execz .LBB44_162
; %bb.159:
	v_cmp_ne_u32_e32 vcc_lo, 7, v100
	s_xor_b32 s6, s4, -1
	s_delay_alu instid0(SALU_CYCLE_1) | instskip(NEXT) | instid1(SALU_CYCLE_1)
	s_and_b32 s7, s6, vcc_lo
	s_and_saveexec_b32 s6, s7
	s_cbranch_execz .LBB44_161
; %bb.160:
	v_ashrrev_i32_e32 v101, 31, v100
	s_delay_alu instid0(VALU_DEP_1) | instskip(NEXT) | instid1(VALU_DEP_1)
	v_lshlrev_b64 v[48:49], 2, v[100:101]
	v_add_co_u32 v48, vcc_lo, v239, v48
	s_delay_alu instid0(VALU_DEP_2)
	v_add_co_ci_u32_e32 v49, vcc_lo, v240, v49, vcc_lo
	s_clause 0x1
	flat_load_b32 v50, v[48:49]
	flat_load_b32 v51, v[239:240] offset:28
	s_waitcnt vmcnt(1) lgkmcnt(1)
	flat_store_b32 v[239:240], v50 offset:28
	s_waitcnt vmcnt(0) lgkmcnt(1)
	flat_store_b32 v[48:49], v51
.LBB44_161:
	s_or_b32 exec_lo, exec_lo, s6
	v_mov_b32_e32 v108, v100
	v_mov_b32_e32 v105, v100
.LBB44_162:
	s_or_b32 exec_lo, exec_lo, s3
.LBB44_163:
	s_and_not1_saveexec_b32 s2, s2
	s_cbranch_execz .LBB44_165
; %bb.164:
	v_mov_b32_e32 v108, 7
	ds_store_2addr_b64 v102, v[60:61], v[62:63] offset0:16 offset1:17
	ds_store_2addr_b64 v102, v[56:57], v[58:59] offset0:18 offset1:19
	;; [unrolled: 1-line block ×15, first 2 shown]
.LBB44_165:
	s_or_b32 exec_lo, exec_lo, s2
	s_delay_alu instid0(SALU_CYCLE_1)
	s_mov_b32 s2, exec_lo
	s_waitcnt lgkmcnt(0)
	s_waitcnt_vscnt null, 0x0
	s_barrier
	buffer_gl0_inv
	v_cmpx_lt_i32_e32 7, v108
	s_cbranch_execz .LBB44_167
; %bb.166:
	v_mul_f64 v[48:49], v[92:93], v[70:71]
	v_mul_f64 v[50:51], v[94:95], v[70:71]
	ds_load_2addr_b64 v[109:112], v102 offset0:16 offset1:17
	ds_load_2addr_b64 v[113:116], v102 offset0:18 offset1:19
	;; [unrolled: 1-line block ×15, first 2 shown]
	v_fma_f64 v[48:49], v[94:95], v[68:69], v[48:49]
	v_fma_f64 v[68:69], v[92:93], v[68:69], -v[50:51]
	s_waitcnt lgkmcnt(14)
	s_delay_alu instid0(VALU_DEP_2)
	v_mul_f64 v[50:51], v[111:112], v[48:49]
	v_mul_f64 v[70:71], v[109:110], v[48:49]
	s_waitcnt lgkmcnt(13)
	v_mul_f64 v[92:93], v[115:116], v[48:49]
	v_mul_f64 v[94:95], v[113:114], v[48:49]
	s_waitcnt lgkmcnt(12)
	;; [unrolled: 3-line block ×14, first 2 shown]
	v_mul_f64 v[211:212], v[167:168], v[48:49]
	v_mul_f64 v[213:214], v[165:166], v[48:49]
	v_fma_f64 v[50:51], v[109:110], v[68:69], -v[50:51]
	v_fma_f64 v[70:71], v[111:112], v[68:69], v[70:71]
	v_fma_f64 v[92:93], v[113:114], v[68:69], -v[92:93]
	v_fma_f64 v[94:95], v[115:116], v[68:69], v[94:95]
	;; [unrolled: 2-line block ×15, first 2 shown]
	v_add_f64 v[60:61], v[60:61], -v[50:51]
	v_add_f64 v[62:63], v[62:63], -v[70:71]
	;; [unrolled: 1-line block ×30, first 2 shown]
	v_dual_mov_b32 v71, v49 :: v_dual_mov_b32 v70, v48
.LBB44_167:
	s_or_b32 exec_lo, exec_lo, s2
	v_lshl_add_u32 v48, v108, 4, v102
	s_barrier
	buffer_gl0_inv
	v_mov_b32_e32 v100, 8
	ds_store_2addr_b64 v48, v[60:61], v[62:63] offset1:1
	s_waitcnt lgkmcnt(0)
	s_barrier
	buffer_gl0_inv
	ds_load_2addr_b64 v[92:95], v102 offset0:16 offset1:17
	s_cmp_lt_i32 s5, 10
	s_cbranch_scc1 .LBB44_170
; %bb.168:
	v_add3_u32 v101, v107, 0, 0x90
	v_mov_b32_e32 v100, 8
	s_mov_b32 s6, 9
	s_set_inst_prefetch_distance 0x1
	.p2align	6
.LBB44_169:                             ; =>This Inner Loop Header: Depth=1
	ds_load_2addr_b64 v[109:112], v101 offset1:1
	s_waitcnt lgkmcnt(1)
	v_cmp_gt_f64_e32 vcc_lo, 0, v[92:93]
	v_xor_b32_e32 v48, 0x80000000, v93
	v_cmp_gt_f64_e64 s2, 0, v[94:95]
	v_xor_b32_e32 v50, 0x80000000, v95
	v_add_nc_u32_e32 v101, 16, v101
	s_waitcnt lgkmcnt(0)
	v_cmp_gt_f64_e64 s3, 0, v[109:110]
	v_mov_b32_e32 v96, v109
	v_dual_mov_b32 v98, v111 :: v_dual_cndmask_b32 v49, v93, v48
	v_xor_b32_e32 v48, 0x80000000, v110
	v_cndmask_b32_e64 v51, v95, v50, s2
	v_xor_b32_e32 v50, 0x80000000, v112
	s_delay_alu instid0(VALU_DEP_3) | instskip(SKIP_2) | instid1(VALU_DEP_2)
	v_cndmask_b32_e64 v97, v110, v48, s3
	v_cmp_gt_f64_e64 s3, 0, v[111:112]
	v_cndmask_b32_e32 v48, v92, v92, vcc_lo
	v_cndmask_b32_e64 v99, v112, v50, s3
	v_cndmask_b32_e64 v50, v94, v94, s2
	s_delay_alu instid0(VALU_DEP_2) | instskip(NEXT) | instid1(VALU_DEP_2)
	v_add_f64 v[96:97], v[96:97], v[98:99]
	v_add_f64 v[48:49], v[48:49], v[50:51]
	s_delay_alu instid0(VALU_DEP_1) | instskip(SKIP_4) | instid1(SALU_CYCLE_1)
	v_cmp_lt_f64_e32 vcc_lo, v[48:49], v[96:97]
	v_dual_cndmask_b32 v93, v93, v110 :: v_dual_cndmask_b32 v92, v92, v109
	v_dual_cndmask_b32 v95, v95, v112 :: v_dual_cndmask_b32 v94, v94, v111
	v_cndmask_b32_e64 v100, v100, s6, vcc_lo
	s_add_i32 s6, s6, 1
	s_cmp_lg_u32 s5, s6
	s_cbranch_scc1 .LBB44_169
.LBB44_170:
	s_set_inst_prefetch_distance 0x2
	s_waitcnt lgkmcnt(0)
	v_cmp_eq_f64_e32 vcc_lo, 0, v[92:93]
	v_cmp_eq_f64_e64 s2, 0, v[94:95]
	s_delay_alu instid0(VALU_DEP_1) | instskip(NEXT) | instid1(SALU_CYCLE_1)
	s_and_b32 s2, vcc_lo, s2
	s_and_saveexec_b32 s3, s2
	s_delay_alu instid0(SALU_CYCLE_1)
	s_xor_b32 s2, exec_lo, s3
; %bb.171:
	v_cmp_ne_u32_e32 vcc_lo, 0, v106
	v_cndmask_b32_e32 v106, 9, v106, vcc_lo
; %bb.172:
	s_and_not1_saveexec_b32 s3, s2
	s_cbranch_execz .LBB44_178
; %bb.173:
	v_cmp_gt_f64_e32 vcc_lo, 0, v[92:93]
	v_cmp_gt_f64_e64 s2, 0, v[94:95]
	v_xor_b32_e32 v48, 0x80000000, v93
	v_xor_b32_e32 v50, 0x80000000, v95
	s_delay_alu instid0(VALU_DEP_2) | instskip(NEXT) | instid1(VALU_DEP_2)
	v_cndmask_b32_e32 v49, v93, v48, vcc_lo
	v_cndmask_b32_e64 v51, v95, v50, s2
	v_cndmask_b32_e32 v48, v92, v92, vcc_lo
	v_cndmask_b32_e64 v50, v94, v94, s2
	s_mov_b32 s2, exec_lo
	s_delay_alu instid0(VALU_DEP_1)
	v_cmpx_ngt_f64_e32 v[48:49], v[50:51]
	s_xor_b32 s2, exec_lo, s2
	s_cbranch_execz .LBB44_175
; %bb.174:
	v_div_scale_f64 v[48:49], null, v[94:95], v[94:95], v[92:93]
	v_div_scale_f64 v[98:99], vcc_lo, v[92:93], v[94:95], v[92:93]
	s_delay_alu instid0(VALU_DEP_2) | instskip(SKIP_2) | instid1(VALU_DEP_1)
	v_rcp_f64_e32 v[50:51], v[48:49]
	s_waitcnt_depctr 0xfff
	v_fma_f64 v[96:97], -v[48:49], v[50:51], 1.0
	v_fma_f64 v[50:51], v[50:51], v[96:97], v[50:51]
	s_delay_alu instid0(VALU_DEP_1) | instskip(NEXT) | instid1(VALU_DEP_1)
	v_fma_f64 v[96:97], -v[48:49], v[50:51], 1.0
	v_fma_f64 v[50:51], v[50:51], v[96:97], v[50:51]
	s_delay_alu instid0(VALU_DEP_1) | instskip(NEXT) | instid1(VALU_DEP_1)
	v_mul_f64 v[96:97], v[98:99], v[50:51]
	v_fma_f64 v[48:49], -v[48:49], v[96:97], v[98:99]
	s_delay_alu instid0(VALU_DEP_1) | instskip(NEXT) | instid1(VALU_DEP_1)
	v_div_fmas_f64 v[48:49], v[48:49], v[50:51], v[96:97]
	v_div_fixup_f64 v[48:49], v[48:49], v[94:95], v[92:93]
	s_delay_alu instid0(VALU_DEP_1) | instskip(NEXT) | instid1(VALU_DEP_1)
	v_fma_f64 v[50:51], v[92:93], v[48:49], v[94:95]
	v_div_scale_f64 v[92:93], null, v[50:51], v[50:51], 1.0
	s_delay_alu instid0(VALU_DEP_1) | instskip(SKIP_2) | instid1(VALU_DEP_1)
	v_rcp_f64_e32 v[94:95], v[92:93]
	s_waitcnt_depctr 0xfff
	v_fma_f64 v[96:97], -v[92:93], v[94:95], 1.0
	v_fma_f64 v[94:95], v[94:95], v[96:97], v[94:95]
	s_delay_alu instid0(VALU_DEP_1) | instskip(NEXT) | instid1(VALU_DEP_1)
	v_fma_f64 v[96:97], -v[92:93], v[94:95], 1.0
	v_fma_f64 v[94:95], v[94:95], v[96:97], v[94:95]
	v_div_scale_f64 v[96:97], vcc_lo, 1.0, v[50:51], 1.0
	s_delay_alu instid0(VALU_DEP_1) | instskip(NEXT) | instid1(VALU_DEP_1)
	v_mul_f64 v[98:99], v[96:97], v[94:95]
	v_fma_f64 v[92:93], -v[92:93], v[98:99], v[96:97]
	s_delay_alu instid0(VALU_DEP_1) | instskip(NEXT) | instid1(VALU_DEP_1)
	v_div_fmas_f64 v[92:93], v[92:93], v[94:95], v[98:99]
	v_div_fixup_f64 v[94:95], v[92:93], v[50:51], 1.0
	s_delay_alu instid0(VALU_DEP_1)
	v_mul_f64 v[92:93], v[48:49], v[94:95]
	v_xor_b32_e32 v95, 0x80000000, v95
.LBB44_175:
	s_and_not1_saveexec_b32 s2, s2
	s_cbranch_execz .LBB44_177
; %bb.176:
	s_delay_alu instid0(VALU_DEP_1) | instskip(SKIP_1) | instid1(VALU_DEP_2)
	v_div_scale_f64 v[48:49], null, v[92:93], v[92:93], v[94:95]
	v_div_scale_f64 v[98:99], vcc_lo, v[94:95], v[92:93], v[94:95]
	v_rcp_f64_e32 v[50:51], v[48:49]
	s_waitcnt_depctr 0xfff
	v_fma_f64 v[96:97], -v[48:49], v[50:51], 1.0
	s_delay_alu instid0(VALU_DEP_1) | instskip(NEXT) | instid1(VALU_DEP_1)
	v_fma_f64 v[50:51], v[50:51], v[96:97], v[50:51]
	v_fma_f64 v[96:97], -v[48:49], v[50:51], 1.0
	s_delay_alu instid0(VALU_DEP_1) | instskip(NEXT) | instid1(VALU_DEP_1)
	v_fma_f64 v[50:51], v[50:51], v[96:97], v[50:51]
	v_mul_f64 v[96:97], v[98:99], v[50:51]
	s_delay_alu instid0(VALU_DEP_1) | instskip(NEXT) | instid1(VALU_DEP_1)
	v_fma_f64 v[48:49], -v[48:49], v[96:97], v[98:99]
	v_div_fmas_f64 v[48:49], v[48:49], v[50:51], v[96:97]
	s_delay_alu instid0(VALU_DEP_1) | instskip(NEXT) | instid1(VALU_DEP_1)
	v_div_fixup_f64 v[48:49], v[48:49], v[92:93], v[94:95]
	v_fma_f64 v[50:51], v[94:95], v[48:49], v[92:93]
	s_delay_alu instid0(VALU_DEP_1) | instskip(NEXT) | instid1(VALU_DEP_1)
	v_div_scale_f64 v[92:93], null, v[50:51], v[50:51], 1.0
	v_rcp_f64_e32 v[94:95], v[92:93]
	s_waitcnt_depctr 0xfff
	v_fma_f64 v[96:97], -v[92:93], v[94:95], 1.0
	s_delay_alu instid0(VALU_DEP_1) | instskip(NEXT) | instid1(VALU_DEP_1)
	v_fma_f64 v[94:95], v[94:95], v[96:97], v[94:95]
	v_fma_f64 v[96:97], -v[92:93], v[94:95], 1.0
	s_delay_alu instid0(VALU_DEP_1) | instskip(SKIP_1) | instid1(VALU_DEP_1)
	v_fma_f64 v[94:95], v[94:95], v[96:97], v[94:95]
	v_div_scale_f64 v[96:97], vcc_lo, 1.0, v[50:51], 1.0
	v_mul_f64 v[98:99], v[96:97], v[94:95]
	s_delay_alu instid0(VALU_DEP_1) | instskip(NEXT) | instid1(VALU_DEP_1)
	v_fma_f64 v[92:93], -v[92:93], v[98:99], v[96:97]
	v_div_fmas_f64 v[92:93], v[92:93], v[94:95], v[98:99]
	s_delay_alu instid0(VALU_DEP_1) | instskip(NEXT) | instid1(VALU_DEP_1)
	v_div_fixup_f64 v[92:93], v[92:93], v[50:51], 1.0
	v_mul_f64 v[94:95], v[48:49], -v[92:93]
.LBB44_177:
	s_or_b32 exec_lo, exec_lo, s2
.LBB44_178:
	s_delay_alu instid0(SALU_CYCLE_1) | instskip(NEXT) | instid1(SALU_CYCLE_1)
	s_or_b32 exec_lo, exec_lo, s3
	s_mov_b32 s2, exec_lo
	v_cmpx_ne_u32_e64 v108, v100
	s_xor_b32 s2, exec_lo, s2
	s_cbranch_execz .LBB44_184
; %bb.179:
	s_mov_b32 s3, exec_lo
	v_cmpx_eq_u32_e32 8, v108
	s_cbranch_execz .LBB44_183
; %bb.180:
	v_cmp_ne_u32_e32 vcc_lo, 8, v100
	s_xor_b32 s6, s4, -1
	s_delay_alu instid0(SALU_CYCLE_1) | instskip(NEXT) | instid1(SALU_CYCLE_1)
	s_and_b32 s7, s6, vcc_lo
	s_and_saveexec_b32 s6, s7
	s_cbranch_execz .LBB44_182
; %bb.181:
	v_ashrrev_i32_e32 v101, 31, v100
	s_delay_alu instid0(VALU_DEP_1) | instskip(NEXT) | instid1(VALU_DEP_1)
	v_lshlrev_b64 v[48:49], 2, v[100:101]
	v_add_co_u32 v48, vcc_lo, v239, v48
	s_delay_alu instid0(VALU_DEP_2)
	v_add_co_ci_u32_e32 v49, vcc_lo, v240, v49, vcc_lo
	s_clause 0x1
	flat_load_b32 v50, v[48:49]
	flat_load_b32 v51, v[239:240] offset:32
	s_waitcnt vmcnt(1) lgkmcnt(1)
	flat_store_b32 v[239:240], v50 offset:32
	s_waitcnt vmcnt(0) lgkmcnt(1)
	flat_store_b32 v[48:49], v51
.LBB44_182:
	s_or_b32 exec_lo, exec_lo, s6
	v_mov_b32_e32 v108, v100
	v_mov_b32_e32 v105, v100
.LBB44_183:
	s_or_b32 exec_lo, exec_lo, s3
.LBB44_184:
	s_and_not1_saveexec_b32 s2, s2
	s_cbranch_execz .LBB44_186
; %bb.185:
	v_mov_b32_e32 v108, 8
	ds_store_2addr_b64 v102, v[56:57], v[58:59] offset0:18 offset1:19
	ds_store_2addr_b64 v102, v[64:65], v[66:67] offset0:20 offset1:21
	;; [unrolled: 1-line block ×14, first 2 shown]
.LBB44_186:
	s_or_b32 exec_lo, exec_lo, s2
	s_delay_alu instid0(SALU_CYCLE_1)
	s_mov_b32 s2, exec_lo
	s_waitcnt lgkmcnt(0)
	s_waitcnt_vscnt null, 0x0
	s_barrier
	buffer_gl0_inv
	v_cmpx_lt_i32_e32 8, v108
	s_cbranch_execz .LBB44_188
; %bb.187:
	v_mul_f64 v[48:49], v[92:93], v[62:63]
	v_mul_f64 v[50:51], v[94:95], v[62:63]
	ds_load_2addr_b64 v[109:112], v102 offset0:18 offset1:19
	ds_load_2addr_b64 v[113:116], v102 offset0:20 offset1:21
	;; [unrolled: 1-line block ×14, first 2 shown]
	v_fma_f64 v[48:49], v[94:95], v[60:61], v[48:49]
	v_fma_f64 v[60:61], v[92:93], v[60:61], -v[50:51]
	s_waitcnt lgkmcnt(13)
	s_delay_alu instid0(VALU_DEP_2)
	v_mul_f64 v[50:51], v[111:112], v[48:49]
	v_mul_f64 v[62:63], v[109:110], v[48:49]
	s_waitcnt lgkmcnt(12)
	v_mul_f64 v[92:93], v[115:116], v[48:49]
	v_mul_f64 v[94:95], v[113:114], v[48:49]
	s_waitcnt lgkmcnt(11)
	;; [unrolled: 3-line block ×13, first 2 shown]
	v_mul_f64 v[203:204], v[163:164], v[48:49]
	v_mul_f64 v[205:206], v[161:162], v[48:49]
	v_fma_f64 v[50:51], v[109:110], v[60:61], -v[50:51]
	v_fma_f64 v[62:63], v[111:112], v[60:61], v[62:63]
	v_fma_f64 v[92:93], v[113:114], v[60:61], -v[92:93]
	v_fma_f64 v[94:95], v[115:116], v[60:61], v[94:95]
	;; [unrolled: 2-line block ×14, first 2 shown]
	v_add_f64 v[56:57], v[56:57], -v[50:51]
	v_add_f64 v[58:59], v[58:59], -v[62:63]
	;; [unrolled: 1-line block ×28, first 2 shown]
	v_dual_mov_b32 v63, v49 :: v_dual_mov_b32 v62, v48
.LBB44_188:
	s_or_b32 exec_lo, exec_lo, s2
	v_lshl_add_u32 v48, v108, 4, v102
	s_barrier
	buffer_gl0_inv
	v_mov_b32_e32 v100, 9
	ds_store_2addr_b64 v48, v[56:57], v[58:59] offset1:1
	s_waitcnt lgkmcnt(0)
	s_barrier
	buffer_gl0_inv
	ds_load_2addr_b64 v[92:95], v102 offset0:18 offset1:19
	s_cmp_lt_i32 s5, 11
	s_cbranch_scc1 .LBB44_191
; %bb.189:
	v_add3_u32 v101, v107, 0, 0xa0
	v_mov_b32_e32 v100, 9
	s_mov_b32 s6, 10
	s_set_inst_prefetch_distance 0x1
	.p2align	6
.LBB44_190:                             ; =>This Inner Loop Header: Depth=1
	ds_load_2addr_b64 v[109:112], v101 offset1:1
	s_waitcnt lgkmcnt(1)
	v_cmp_gt_f64_e32 vcc_lo, 0, v[92:93]
	v_xor_b32_e32 v48, 0x80000000, v93
	v_cmp_gt_f64_e64 s2, 0, v[94:95]
	v_xor_b32_e32 v50, 0x80000000, v95
	v_add_nc_u32_e32 v101, 16, v101
	s_waitcnt lgkmcnt(0)
	v_cmp_gt_f64_e64 s3, 0, v[109:110]
	v_mov_b32_e32 v96, v109
	v_dual_mov_b32 v98, v111 :: v_dual_cndmask_b32 v49, v93, v48
	v_xor_b32_e32 v48, 0x80000000, v110
	v_cndmask_b32_e64 v51, v95, v50, s2
	v_xor_b32_e32 v50, 0x80000000, v112
	s_delay_alu instid0(VALU_DEP_3) | instskip(SKIP_2) | instid1(VALU_DEP_2)
	v_cndmask_b32_e64 v97, v110, v48, s3
	v_cmp_gt_f64_e64 s3, 0, v[111:112]
	v_cndmask_b32_e32 v48, v92, v92, vcc_lo
	v_cndmask_b32_e64 v99, v112, v50, s3
	v_cndmask_b32_e64 v50, v94, v94, s2
	s_delay_alu instid0(VALU_DEP_2) | instskip(NEXT) | instid1(VALU_DEP_2)
	v_add_f64 v[96:97], v[96:97], v[98:99]
	v_add_f64 v[48:49], v[48:49], v[50:51]
	s_delay_alu instid0(VALU_DEP_1) | instskip(SKIP_4) | instid1(SALU_CYCLE_1)
	v_cmp_lt_f64_e32 vcc_lo, v[48:49], v[96:97]
	v_dual_cndmask_b32 v93, v93, v110 :: v_dual_cndmask_b32 v92, v92, v109
	v_dual_cndmask_b32 v95, v95, v112 :: v_dual_cndmask_b32 v94, v94, v111
	v_cndmask_b32_e64 v100, v100, s6, vcc_lo
	s_add_i32 s6, s6, 1
	s_cmp_lg_u32 s5, s6
	s_cbranch_scc1 .LBB44_190
.LBB44_191:
	s_set_inst_prefetch_distance 0x2
	s_waitcnt lgkmcnt(0)
	v_cmp_eq_f64_e32 vcc_lo, 0, v[92:93]
	v_cmp_eq_f64_e64 s2, 0, v[94:95]
	s_delay_alu instid0(VALU_DEP_1) | instskip(NEXT) | instid1(SALU_CYCLE_1)
	s_and_b32 s2, vcc_lo, s2
	s_and_saveexec_b32 s3, s2
	s_delay_alu instid0(SALU_CYCLE_1)
	s_xor_b32 s2, exec_lo, s3
; %bb.192:
	v_cmp_ne_u32_e32 vcc_lo, 0, v106
	v_cndmask_b32_e32 v106, 10, v106, vcc_lo
; %bb.193:
	s_and_not1_saveexec_b32 s3, s2
	s_cbranch_execz .LBB44_199
; %bb.194:
	v_cmp_gt_f64_e32 vcc_lo, 0, v[92:93]
	v_cmp_gt_f64_e64 s2, 0, v[94:95]
	v_xor_b32_e32 v48, 0x80000000, v93
	v_xor_b32_e32 v50, 0x80000000, v95
	s_delay_alu instid0(VALU_DEP_2) | instskip(NEXT) | instid1(VALU_DEP_2)
	v_cndmask_b32_e32 v49, v93, v48, vcc_lo
	v_cndmask_b32_e64 v51, v95, v50, s2
	v_cndmask_b32_e32 v48, v92, v92, vcc_lo
	v_cndmask_b32_e64 v50, v94, v94, s2
	s_mov_b32 s2, exec_lo
	s_delay_alu instid0(VALU_DEP_1)
	v_cmpx_ngt_f64_e32 v[48:49], v[50:51]
	s_xor_b32 s2, exec_lo, s2
	s_cbranch_execz .LBB44_196
; %bb.195:
	v_div_scale_f64 v[48:49], null, v[94:95], v[94:95], v[92:93]
	v_div_scale_f64 v[98:99], vcc_lo, v[92:93], v[94:95], v[92:93]
	s_delay_alu instid0(VALU_DEP_2) | instskip(SKIP_2) | instid1(VALU_DEP_1)
	v_rcp_f64_e32 v[50:51], v[48:49]
	s_waitcnt_depctr 0xfff
	v_fma_f64 v[96:97], -v[48:49], v[50:51], 1.0
	v_fma_f64 v[50:51], v[50:51], v[96:97], v[50:51]
	s_delay_alu instid0(VALU_DEP_1) | instskip(NEXT) | instid1(VALU_DEP_1)
	v_fma_f64 v[96:97], -v[48:49], v[50:51], 1.0
	v_fma_f64 v[50:51], v[50:51], v[96:97], v[50:51]
	s_delay_alu instid0(VALU_DEP_1) | instskip(NEXT) | instid1(VALU_DEP_1)
	v_mul_f64 v[96:97], v[98:99], v[50:51]
	v_fma_f64 v[48:49], -v[48:49], v[96:97], v[98:99]
	s_delay_alu instid0(VALU_DEP_1) | instskip(NEXT) | instid1(VALU_DEP_1)
	v_div_fmas_f64 v[48:49], v[48:49], v[50:51], v[96:97]
	v_div_fixup_f64 v[48:49], v[48:49], v[94:95], v[92:93]
	s_delay_alu instid0(VALU_DEP_1) | instskip(NEXT) | instid1(VALU_DEP_1)
	v_fma_f64 v[50:51], v[92:93], v[48:49], v[94:95]
	v_div_scale_f64 v[92:93], null, v[50:51], v[50:51], 1.0
	s_delay_alu instid0(VALU_DEP_1) | instskip(SKIP_2) | instid1(VALU_DEP_1)
	v_rcp_f64_e32 v[94:95], v[92:93]
	s_waitcnt_depctr 0xfff
	v_fma_f64 v[96:97], -v[92:93], v[94:95], 1.0
	v_fma_f64 v[94:95], v[94:95], v[96:97], v[94:95]
	s_delay_alu instid0(VALU_DEP_1) | instskip(NEXT) | instid1(VALU_DEP_1)
	v_fma_f64 v[96:97], -v[92:93], v[94:95], 1.0
	v_fma_f64 v[94:95], v[94:95], v[96:97], v[94:95]
	v_div_scale_f64 v[96:97], vcc_lo, 1.0, v[50:51], 1.0
	s_delay_alu instid0(VALU_DEP_1) | instskip(NEXT) | instid1(VALU_DEP_1)
	v_mul_f64 v[98:99], v[96:97], v[94:95]
	v_fma_f64 v[92:93], -v[92:93], v[98:99], v[96:97]
	s_delay_alu instid0(VALU_DEP_1) | instskip(NEXT) | instid1(VALU_DEP_1)
	v_div_fmas_f64 v[92:93], v[92:93], v[94:95], v[98:99]
	v_div_fixup_f64 v[94:95], v[92:93], v[50:51], 1.0
	s_delay_alu instid0(VALU_DEP_1)
	v_mul_f64 v[92:93], v[48:49], v[94:95]
	v_xor_b32_e32 v95, 0x80000000, v95
.LBB44_196:
	s_and_not1_saveexec_b32 s2, s2
	s_cbranch_execz .LBB44_198
; %bb.197:
	s_delay_alu instid0(VALU_DEP_1) | instskip(SKIP_1) | instid1(VALU_DEP_2)
	v_div_scale_f64 v[48:49], null, v[92:93], v[92:93], v[94:95]
	v_div_scale_f64 v[98:99], vcc_lo, v[94:95], v[92:93], v[94:95]
	v_rcp_f64_e32 v[50:51], v[48:49]
	s_waitcnt_depctr 0xfff
	v_fma_f64 v[96:97], -v[48:49], v[50:51], 1.0
	s_delay_alu instid0(VALU_DEP_1) | instskip(NEXT) | instid1(VALU_DEP_1)
	v_fma_f64 v[50:51], v[50:51], v[96:97], v[50:51]
	v_fma_f64 v[96:97], -v[48:49], v[50:51], 1.0
	s_delay_alu instid0(VALU_DEP_1) | instskip(NEXT) | instid1(VALU_DEP_1)
	v_fma_f64 v[50:51], v[50:51], v[96:97], v[50:51]
	v_mul_f64 v[96:97], v[98:99], v[50:51]
	s_delay_alu instid0(VALU_DEP_1) | instskip(NEXT) | instid1(VALU_DEP_1)
	v_fma_f64 v[48:49], -v[48:49], v[96:97], v[98:99]
	v_div_fmas_f64 v[48:49], v[48:49], v[50:51], v[96:97]
	s_delay_alu instid0(VALU_DEP_1) | instskip(NEXT) | instid1(VALU_DEP_1)
	v_div_fixup_f64 v[48:49], v[48:49], v[92:93], v[94:95]
	v_fma_f64 v[50:51], v[94:95], v[48:49], v[92:93]
	s_delay_alu instid0(VALU_DEP_1) | instskip(NEXT) | instid1(VALU_DEP_1)
	v_div_scale_f64 v[92:93], null, v[50:51], v[50:51], 1.0
	v_rcp_f64_e32 v[94:95], v[92:93]
	s_waitcnt_depctr 0xfff
	v_fma_f64 v[96:97], -v[92:93], v[94:95], 1.0
	s_delay_alu instid0(VALU_DEP_1) | instskip(NEXT) | instid1(VALU_DEP_1)
	v_fma_f64 v[94:95], v[94:95], v[96:97], v[94:95]
	v_fma_f64 v[96:97], -v[92:93], v[94:95], 1.0
	s_delay_alu instid0(VALU_DEP_1) | instskip(SKIP_1) | instid1(VALU_DEP_1)
	v_fma_f64 v[94:95], v[94:95], v[96:97], v[94:95]
	v_div_scale_f64 v[96:97], vcc_lo, 1.0, v[50:51], 1.0
	v_mul_f64 v[98:99], v[96:97], v[94:95]
	s_delay_alu instid0(VALU_DEP_1) | instskip(NEXT) | instid1(VALU_DEP_1)
	v_fma_f64 v[92:93], -v[92:93], v[98:99], v[96:97]
	v_div_fmas_f64 v[92:93], v[92:93], v[94:95], v[98:99]
	s_delay_alu instid0(VALU_DEP_1) | instskip(NEXT) | instid1(VALU_DEP_1)
	v_div_fixup_f64 v[92:93], v[92:93], v[50:51], 1.0
	v_mul_f64 v[94:95], v[48:49], -v[92:93]
.LBB44_198:
	s_or_b32 exec_lo, exec_lo, s2
.LBB44_199:
	s_delay_alu instid0(SALU_CYCLE_1) | instskip(NEXT) | instid1(SALU_CYCLE_1)
	s_or_b32 exec_lo, exec_lo, s3
	s_mov_b32 s2, exec_lo
	v_cmpx_ne_u32_e64 v108, v100
	s_xor_b32 s2, exec_lo, s2
	s_cbranch_execz .LBB44_205
; %bb.200:
	s_mov_b32 s3, exec_lo
	v_cmpx_eq_u32_e32 9, v108
	s_cbranch_execz .LBB44_204
; %bb.201:
	v_cmp_ne_u32_e32 vcc_lo, 9, v100
	s_xor_b32 s6, s4, -1
	s_delay_alu instid0(SALU_CYCLE_1) | instskip(NEXT) | instid1(SALU_CYCLE_1)
	s_and_b32 s7, s6, vcc_lo
	s_and_saveexec_b32 s6, s7
	s_cbranch_execz .LBB44_203
; %bb.202:
	v_ashrrev_i32_e32 v101, 31, v100
	s_delay_alu instid0(VALU_DEP_1) | instskip(NEXT) | instid1(VALU_DEP_1)
	v_lshlrev_b64 v[48:49], 2, v[100:101]
	v_add_co_u32 v48, vcc_lo, v239, v48
	s_delay_alu instid0(VALU_DEP_2)
	v_add_co_ci_u32_e32 v49, vcc_lo, v240, v49, vcc_lo
	s_clause 0x1
	flat_load_b32 v50, v[48:49]
	flat_load_b32 v51, v[239:240] offset:36
	s_waitcnt vmcnt(1) lgkmcnt(1)
	flat_store_b32 v[239:240], v50 offset:36
	s_waitcnt vmcnt(0) lgkmcnt(1)
	flat_store_b32 v[48:49], v51
.LBB44_203:
	s_or_b32 exec_lo, exec_lo, s6
	v_mov_b32_e32 v108, v100
	v_mov_b32_e32 v105, v100
.LBB44_204:
	s_or_b32 exec_lo, exec_lo, s3
.LBB44_205:
	s_and_not1_saveexec_b32 s2, s2
	s_cbranch_execz .LBB44_207
; %bb.206:
	v_mov_b32_e32 v108, 9
	ds_store_2addr_b64 v102, v[64:65], v[66:67] offset0:20 offset1:21
	ds_store_2addr_b64 v102, v[44:45], v[46:47] offset0:22 offset1:23
	;; [unrolled: 1-line block ×13, first 2 shown]
.LBB44_207:
	s_or_b32 exec_lo, exec_lo, s2
	s_delay_alu instid0(SALU_CYCLE_1)
	s_mov_b32 s2, exec_lo
	s_waitcnt lgkmcnt(0)
	s_waitcnt_vscnt null, 0x0
	s_barrier
	buffer_gl0_inv
	v_cmpx_lt_i32_e32 9, v108
	s_cbranch_execz .LBB44_209
; %bb.208:
	v_mul_f64 v[48:49], v[92:93], v[58:59]
	v_mul_f64 v[50:51], v[94:95], v[58:59]
	ds_load_2addr_b64 v[109:112], v102 offset0:20 offset1:21
	ds_load_2addr_b64 v[113:116], v102 offset0:22 offset1:23
	;; [unrolled: 1-line block ×13, first 2 shown]
	v_fma_f64 v[48:49], v[94:95], v[56:57], v[48:49]
	v_fma_f64 v[56:57], v[92:93], v[56:57], -v[50:51]
	s_waitcnt lgkmcnt(12)
	s_delay_alu instid0(VALU_DEP_2)
	v_mul_f64 v[50:51], v[111:112], v[48:49]
	v_mul_f64 v[58:59], v[109:110], v[48:49]
	s_waitcnt lgkmcnt(11)
	v_mul_f64 v[92:93], v[115:116], v[48:49]
	v_mul_f64 v[94:95], v[113:114], v[48:49]
	s_waitcnt lgkmcnt(10)
	;; [unrolled: 3-line block ×12, first 2 shown]
	v_mul_f64 v[195:196], v[159:160], v[48:49]
	v_mul_f64 v[197:198], v[157:158], v[48:49]
	v_fma_f64 v[50:51], v[109:110], v[56:57], -v[50:51]
	v_fma_f64 v[58:59], v[111:112], v[56:57], v[58:59]
	v_fma_f64 v[92:93], v[113:114], v[56:57], -v[92:93]
	v_fma_f64 v[94:95], v[115:116], v[56:57], v[94:95]
	v_fma_f64 v[96:97], v[117:118], v[56:57], -v[96:97]
	v_fma_f64 v[98:99], v[119:120], v[56:57], v[98:99]
	v_fma_f64 v[100:101], v[121:122], v[56:57], -v[100:101]
	v_fma_f64 v[109:110], v[123:124], v[56:57], v[161:162]
	v_fma_f64 v[111:112], v[125:126], v[56:57], -v[163:164]
	v_fma_f64 v[113:114], v[127:128], v[56:57], v[165:166]
	v_fma_f64 v[115:116], v[129:130], v[56:57], -v[167:168]
	v_fma_f64 v[117:118], v[131:132], v[56:57], v[169:170]
	v_fma_f64 v[119:120], v[133:134], v[56:57], -v[171:172]
	v_fma_f64 v[121:122], v[135:136], v[56:57], v[173:174]
	v_fma_f64 v[123:124], v[137:138], v[56:57], -v[175:176]
	v_fma_f64 v[125:126], v[139:140], v[56:57], v[177:178]
	v_fma_f64 v[127:128], v[141:142], v[56:57], -v[179:180]
	v_fma_f64 v[129:130], v[143:144], v[56:57], v[181:182]
	v_fma_f64 v[131:132], v[145:146], v[56:57], -v[183:184]
	v_fma_f64 v[133:134], v[147:148], v[56:57], v[185:186]
	v_fma_f64 v[135:136], v[149:150], v[56:57], -v[187:188]
	v_fma_f64 v[137:138], v[151:152], v[56:57], v[189:190]
	v_fma_f64 v[139:140], v[153:154], v[56:57], -v[191:192]
	v_fma_f64 v[141:142], v[155:156], v[56:57], v[193:194]
	v_fma_f64 v[143:144], v[157:158], v[56:57], -v[195:196]
	v_fma_f64 v[145:146], v[159:160], v[56:57], v[197:198]
	v_add_f64 v[64:65], v[64:65], -v[50:51]
	v_add_f64 v[66:67], v[66:67], -v[58:59]
	;; [unrolled: 1-line block ×26, first 2 shown]
	v_dual_mov_b32 v59, v49 :: v_dual_mov_b32 v58, v48
.LBB44_209:
	s_or_b32 exec_lo, exec_lo, s2
	v_lshl_add_u32 v48, v108, 4, v102
	s_barrier
	buffer_gl0_inv
	v_mov_b32_e32 v100, 10
	ds_store_2addr_b64 v48, v[64:65], v[66:67] offset1:1
	s_waitcnt lgkmcnt(0)
	s_barrier
	buffer_gl0_inv
	ds_load_2addr_b64 v[92:95], v102 offset0:20 offset1:21
	s_cmp_lt_i32 s5, 12
	s_cbranch_scc1 .LBB44_212
; %bb.210:
	v_add3_u32 v101, v107, 0, 0xb0
	v_mov_b32_e32 v100, 10
	s_mov_b32 s6, 11
	s_set_inst_prefetch_distance 0x1
	.p2align	6
.LBB44_211:                             ; =>This Inner Loop Header: Depth=1
	ds_load_2addr_b64 v[109:112], v101 offset1:1
	s_waitcnt lgkmcnt(1)
	v_cmp_gt_f64_e32 vcc_lo, 0, v[92:93]
	v_xor_b32_e32 v48, 0x80000000, v93
	v_cmp_gt_f64_e64 s2, 0, v[94:95]
	v_xor_b32_e32 v50, 0x80000000, v95
	v_add_nc_u32_e32 v101, 16, v101
	s_waitcnt lgkmcnt(0)
	v_cmp_gt_f64_e64 s3, 0, v[109:110]
	v_mov_b32_e32 v96, v109
	v_dual_mov_b32 v98, v111 :: v_dual_cndmask_b32 v49, v93, v48
	v_xor_b32_e32 v48, 0x80000000, v110
	v_cndmask_b32_e64 v51, v95, v50, s2
	v_xor_b32_e32 v50, 0x80000000, v112
	s_delay_alu instid0(VALU_DEP_3) | instskip(SKIP_2) | instid1(VALU_DEP_2)
	v_cndmask_b32_e64 v97, v110, v48, s3
	v_cmp_gt_f64_e64 s3, 0, v[111:112]
	v_cndmask_b32_e32 v48, v92, v92, vcc_lo
	v_cndmask_b32_e64 v99, v112, v50, s3
	v_cndmask_b32_e64 v50, v94, v94, s2
	s_delay_alu instid0(VALU_DEP_2) | instskip(NEXT) | instid1(VALU_DEP_2)
	v_add_f64 v[96:97], v[96:97], v[98:99]
	v_add_f64 v[48:49], v[48:49], v[50:51]
	s_delay_alu instid0(VALU_DEP_1) | instskip(SKIP_4) | instid1(SALU_CYCLE_1)
	v_cmp_lt_f64_e32 vcc_lo, v[48:49], v[96:97]
	v_dual_cndmask_b32 v93, v93, v110 :: v_dual_cndmask_b32 v92, v92, v109
	v_dual_cndmask_b32 v95, v95, v112 :: v_dual_cndmask_b32 v94, v94, v111
	v_cndmask_b32_e64 v100, v100, s6, vcc_lo
	s_add_i32 s6, s6, 1
	s_cmp_lg_u32 s5, s6
	s_cbranch_scc1 .LBB44_211
.LBB44_212:
	s_set_inst_prefetch_distance 0x2
	s_waitcnt lgkmcnt(0)
	v_cmp_eq_f64_e32 vcc_lo, 0, v[92:93]
	v_cmp_eq_f64_e64 s2, 0, v[94:95]
	s_delay_alu instid0(VALU_DEP_1) | instskip(NEXT) | instid1(SALU_CYCLE_1)
	s_and_b32 s2, vcc_lo, s2
	s_and_saveexec_b32 s3, s2
	s_delay_alu instid0(SALU_CYCLE_1)
	s_xor_b32 s2, exec_lo, s3
; %bb.213:
	v_cmp_ne_u32_e32 vcc_lo, 0, v106
	v_cndmask_b32_e32 v106, 11, v106, vcc_lo
; %bb.214:
	s_and_not1_saveexec_b32 s3, s2
	s_cbranch_execz .LBB44_220
; %bb.215:
	v_cmp_gt_f64_e32 vcc_lo, 0, v[92:93]
	v_cmp_gt_f64_e64 s2, 0, v[94:95]
	v_xor_b32_e32 v48, 0x80000000, v93
	v_xor_b32_e32 v50, 0x80000000, v95
	s_delay_alu instid0(VALU_DEP_2) | instskip(NEXT) | instid1(VALU_DEP_2)
	v_cndmask_b32_e32 v49, v93, v48, vcc_lo
	v_cndmask_b32_e64 v51, v95, v50, s2
	v_cndmask_b32_e32 v48, v92, v92, vcc_lo
	v_cndmask_b32_e64 v50, v94, v94, s2
	s_mov_b32 s2, exec_lo
	s_delay_alu instid0(VALU_DEP_1)
	v_cmpx_ngt_f64_e32 v[48:49], v[50:51]
	s_xor_b32 s2, exec_lo, s2
	s_cbranch_execz .LBB44_217
; %bb.216:
	v_div_scale_f64 v[48:49], null, v[94:95], v[94:95], v[92:93]
	v_div_scale_f64 v[98:99], vcc_lo, v[92:93], v[94:95], v[92:93]
	s_delay_alu instid0(VALU_DEP_2) | instskip(SKIP_2) | instid1(VALU_DEP_1)
	v_rcp_f64_e32 v[50:51], v[48:49]
	s_waitcnt_depctr 0xfff
	v_fma_f64 v[96:97], -v[48:49], v[50:51], 1.0
	v_fma_f64 v[50:51], v[50:51], v[96:97], v[50:51]
	s_delay_alu instid0(VALU_DEP_1) | instskip(NEXT) | instid1(VALU_DEP_1)
	v_fma_f64 v[96:97], -v[48:49], v[50:51], 1.0
	v_fma_f64 v[50:51], v[50:51], v[96:97], v[50:51]
	s_delay_alu instid0(VALU_DEP_1) | instskip(NEXT) | instid1(VALU_DEP_1)
	v_mul_f64 v[96:97], v[98:99], v[50:51]
	v_fma_f64 v[48:49], -v[48:49], v[96:97], v[98:99]
	s_delay_alu instid0(VALU_DEP_1) | instskip(NEXT) | instid1(VALU_DEP_1)
	v_div_fmas_f64 v[48:49], v[48:49], v[50:51], v[96:97]
	v_div_fixup_f64 v[48:49], v[48:49], v[94:95], v[92:93]
	s_delay_alu instid0(VALU_DEP_1) | instskip(NEXT) | instid1(VALU_DEP_1)
	v_fma_f64 v[50:51], v[92:93], v[48:49], v[94:95]
	v_div_scale_f64 v[92:93], null, v[50:51], v[50:51], 1.0
	s_delay_alu instid0(VALU_DEP_1) | instskip(SKIP_2) | instid1(VALU_DEP_1)
	v_rcp_f64_e32 v[94:95], v[92:93]
	s_waitcnt_depctr 0xfff
	v_fma_f64 v[96:97], -v[92:93], v[94:95], 1.0
	v_fma_f64 v[94:95], v[94:95], v[96:97], v[94:95]
	s_delay_alu instid0(VALU_DEP_1) | instskip(NEXT) | instid1(VALU_DEP_1)
	v_fma_f64 v[96:97], -v[92:93], v[94:95], 1.0
	v_fma_f64 v[94:95], v[94:95], v[96:97], v[94:95]
	v_div_scale_f64 v[96:97], vcc_lo, 1.0, v[50:51], 1.0
	s_delay_alu instid0(VALU_DEP_1) | instskip(NEXT) | instid1(VALU_DEP_1)
	v_mul_f64 v[98:99], v[96:97], v[94:95]
	v_fma_f64 v[92:93], -v[92:93], v[98:99], v[96:97]
	s_delay_alu instid0(VALU_DEP_1) | instskip(NEXT) | instid1(VALU_DEP_1)
	v_div_fmas_f64 v[92:93], v[92:93], v[94:95], v[98:99]
	v_div_fixup_f64 v[94:95], v[92:93], v[50:51], 1.0
	s_delay_alu instid0(VALU_DEP_1)
	v_mul_f64 v[92:93], v[48:49], v[94:95]
	v_xor_b32_e32 v95, 0x80000000, v95
.LBB44_217:
	s_and_not1_saveexec_b32 s2, s2
	s_cbranch_execz .LBB44_219
; %bb.218:
	s_delay_alu instid0(VALU_DEP_1) | instskip(SKIP_1) | instid1(VALU_DEP_2)
	v_div_scale_f64 v[48:49], null, v[92:93], v[92:93], v[94:95]
	v_div_scale_f64 v[98:99], vcc_lo, v[94:95], v[92:93], v[94:95]
	v_rcp_f64_e32 v[50:51], v[48:49]
	s_waitcnt_depctr 0xfff
	v_fma_f64 v[96:97], -v[48:49], v[50:51], 1.0
	s_delay_alu instid0(VALU_DEP_1) | instskip(NEXT) | instid1(VALU_DEP_1)
	v_fma_f64 v[50:51], v[50:51], v[96:97], v[50:51]
	v_fma_f64 v[96:97], -v[48:49], v[50:51], 1.0
	s_delay_alu instid0(VALU_DEP_1) | instskip(NEXT) | instid1(VALU_DEP_1)
	v_fma_f64 v[50:51], v[50:51], v[96:97], v[50:51]
	v_mul_f64 v[96:97], v[98:99], v[50:51]
	s_delay_alu instid0(VALU_DEP_1) | instskip(NEXT) | instid1(VALU_DEP_1)
	v_fma_f64 v[48:49], -v[48:49], v[96:97], v[98:99]
	v_div_fmas_f64 v[48:49], v[48:49], v[50:51], v[96:97]
	s_delay_alu instid0(VALU_DEP_1) | instskip(NEXT) | instid1(VALU_DEP_1)
	v_div_fixup_f64 v[48:49], v[48:49], v[92:93], v[94:95]
	v_fma_f64 v[50:51], v[94:95], v[48:49], v[92:93]
	s_delay_alu instid0(VALU_DEP_1) | instskip(NEXT) | instid1(VALU_DEP_1)
	v_div_scale_f64 v[92:93], null, v[50:51], v[50:51], 1.0
	v_rcp_f64_e32 v[94:95], v[92:93]
	s_waitcnt_depctr 0xfff
	v_fma_f64 v[96:97], -v[92:93], v[94:95], 1.0
	s_delay_alu instid0(VALU_DEP_1) | instskip(NEXT) | instid1(VALU_DEP_1)
	v_fma_f64 v[94:95], v[94:95], v[96:97], v[94:95]
	v_fma_f64 v[96:97], -v[92:93], v[94:95], 1.0
	s_delay_alu instid0(VALU_DEP_1) | instskip(SKIP_1) | instid1(VALU_DEP_1)
	v_fma_f64 v[94:95], v[94:95], v[96:97], v[94:95]
	v_div_scale_f64 v[96:97], vcc_lo, 1.0, v[50:51], 1.0
	v_mul_f64 v[98:99], v[96:97], v[94:95]
	s_delay_alu instid0(VALU_DEP_1) | instskip(NEXT) | instid1(VALU_DEP_1)
	v_fma_f64 v[92:93], -v[92:93], v[98:99], v[96:97]
	v_div_fmas_f64 v[92:93], v[92:93], v[94:95], v[98:99]
	s_delay_alu instid0(VALU_DEP_1) | instskip(NEXT) | instid1(VALU_DEP_1)
	v_div_fixup_f64 v[92:93], v[92:93], v[50:51], 1.0
	v_mul_f64 v[94:95], v[48:49], -v[92:93]
.LBB44_219:
	s_or_b32 exec_lo, exec_lo, s2
.LBB44_220:
	s_delay_alu instid0(SALU_CYCLE_1) | instskip(NEXT) | instid1(SALU_CYCLE_1)
	s_or_b32 exec_lo, exec_lo, s3
	s_mov_b32 s2, exec_lo
	v_cmpx_ne_u32_e64 v108, v100
	s_xor_b32 s2, exec_lo, s2
	s_cbranch_execz .LBB44_226
; %bb.221:
	s_mov_b32 s3, exec_lo
	v_cmpx_eq_u32_e32 10, v108
	s_cbranch_execz .LBB44_225
; %bb.222:
	v_cmp_ne_u32_e32 vcc_lo, 10, v100
	s_xor_b32 s6, s4, -1
	s_delay_alu instid0(SALU_CYCLE_1) | instskip(NEXT) | instid1(SALU_CYCLE_1)
	s_and_b32 s7, s6, vcc_lo
	s_and_saveexec_b32 s6, s7
	s_cbranch_execz .LBB44_224
; %bb.223:
	v_ashrrev_i32_e32 v101, 31, v100
	s_delay_alu instid0(VALU_DEP_1) | instskip(NEXT) | instid1(VALU_DEP_1)
	v_lshlrev_b64 v[48:49], 2, v[100:101]
	v_add_co_u32 v48, vcc_lo, v239, v48
	s_delay_alu instid0(VALU_DEP_2)
	v_add_co_ci_u32_e32 v49, vcc_lo, v240, v49, vcc_lo
	s_clause 0x1
	flat_load_b32 v50, v[48:49]
	flat_load_b32 v51, v[239:240] offset:40
	s_waitcnt vmcnt(1) lgkmcnt(1)
	flat_store_b32 v[239:240], v50 offset:40
	s_waitcnt vmcnt(0) lgkmcnt(1)
	flat_store_b32 v[48:49], v51
.LBB44_224:
	s_or_b32 exec_lo, exec_lo, s6
	v_mov_b32_e32 v108, v100
	v_mov_b32_e32 v105, v100
.LBB44_225:
	s_or_b32 exec_lo, exec_lo, s3
.LBB44_226:
	s_and_not1_saveexec_b32 s2, s2
	s_cbranch_execz .LBB44_228
; %bb.227:
	v_mov_b32_e32 v108, 10
	ds_store_2addr_b64 v102, v[44:45], v[46:47] offset0:22 offset1:23
	ds_store_2addr_b64 v102, v[52:53], v[54:55] offset0:24 offset1:25
	;; [unrolled: 1-line block ×12, first 2 shown]
.LBB44_228:
	s_or_b32 exec_lo, exec_lo, s2
	s_delay_alu instid0(SALU_CYCLE_1)
	s_mov_b32 s2, exec_lo
	s_waitcnt lgkmcnt(0)
	s_waitcnt_vscnt null, 0x0
	s_barrier
	buffer_gl0_inv
	v_cmpx_lt_i32_e32 10, v108
	s_cbranch_execz .LBB44_230
; %bb.229:
	v_mul_f64 v[48:49], v[92:93], v[66:67]
	v_mul_f64 v[50:51], v[94:95], v[66:67]
	ds_load_2addr_b64 v[109:112], v102 offset0:22 offset1:23
	ds_load_2addr_b64 v[113:116], v102 offset0:24 offset1:25
	;; [unrolled: 1-line block ×12, first 2 shown]
	v_fma_f64 v[48:49], v[94:95], v[64:65], v[48:49]
	v_fma_f64 v[64:65], v[92:93], v[64:65], -v[50:51]
	s_waitcnt lgkmcnt(11)
	s_delay_alu instid0(VALU_DEP_2)
	v_mul_f64 v[50:51], v[111:112], v[48:49]
	v_mul_f64 v[66:67], v[109:110], v[48:49]
	s_waitcnt lgkmcnt(10)
	v_mul_f64 v[92:93], v[115:116], v[48:49]
	v_mul_f64 v[94:95], v[113:114], v[48:49]
	s_waitcnt lgkmcnt(9)
	;; [unrolled: 3-line block ×11, first 2 shown]
	v_mul_f64 v[187:188], v[155:156], v[48:49]
	v_mul_f64 v[189:190], v[153:154], v[48:49]
	v_fma_f64 v[50:51], v[109:110], v[64:65], -v[50:51]
	v_fma_f64 v[66:67], v[111:112], v[64:65], v[66:67]
	v_fma_f64 v[92:93], v[113:114], v[64:65], -v[92:93]
	v_fma_f64 v[94:95], v[115:116], v[64:65], v[94:95]
	;; [unrolled: 2-line block ×12, first 2 shown]
	v_add_f64 v[44:45], v[44:45], -v[50:51]
	v_add_f64 v[46:47], v[46:47], -v[66:67]
	;; [unrolled: 1-line block ×24, first 2 shown]
	v_dual_mov_b32 v67, v49 :: v_dual_mov_b32 v66, v48
.LBB44_230:
	s_or_b32 exec_lo, exec_lo, s2
	v_lshl_add_u32 v48, v108, 4, v102
	s_barrier
	buffer_gl0_inv
	v_mov_b32_e32 v100, 11
	ds_store_2addr_b64 v48, v[44:45], v[46:47] offset1:1
	s_waitcnt lgkmcnt(0)
	s_barrier
	buffer_gl0_inv
	ds_load_2addr_b64 v[92:95], v102 offset0:22 offset1:23
	s_cmp_lt_i32 s5, 13
	s_cbranch_scc1 .LBB44_233
; %bb.231:
	v_add3_u32 v101, v107, 0, 0xc0
	v_mov_b32_e32 v100, 11
	s_mov_b32 s6, 12
	s_set_inst_prefetch_distance 0x1
	.p2align	6
.LBB44_232:                             ; =>This Inner Loop Header: Depth=1
	ds_load_2addr_b64 v[109:112], v101 offset1:1
	s_waitcnt lgkmcnt(1)
	v_cmp_gt_f64_e32 vcc_lo, 0, v[92:93]
	v_xor_b32_e32 v48, 0x80000000, v93
	v_cmp_gt_f64_e64 s2, 0, v[94:95]
	v_xor_b32_e32 v50, 0x80000000, v95
	v_add_nc_u32_e32 v101, 16, v101
	s_waitcnt lgkmcnt(0)
	v_cmp_gt_f64_e64 s3, 0, v[109:110]
	v_mov_b32_e32 v96, v109
	v_dual_mov_b32 v98, v111 :: v_dual_cndmask_b32 v49, v93, v48
	v_xor_b32_e32 v48, 0x80000000, v110
	v_cndmask_b32_e64 v51, v95, v50, s2
	v_xor_b32_e32 v50, 0x80000000, v112
	s_delay_alu instid0(VALU_DEP_3) | instskip(SKIP_2) | instid1(VALU_DEP_2)
	v_cndmask_b32_e64 v97, v110, v48, s3
	v_cmp_gt_f64_e64 s3, 0, v[111:112]
	v_cndmask_b32_e32 v48, v92, v92, vcc_lo
	v_cndmask_b32_e64 v99, v112, v50, s3
	v_cndmask_b32_e64 v50, v94, v94, s2
	s_delay_alu instid0(VALU_DEP_2) | instskip(NEXT) | instid1(VALU_DEP_2)
	v_add_f64 v[96:97], v[96:97], v[98:99]
	v_add_f64 v[48:49], v[48:49], v[50:51]
	s_delay_alu instid0(VALU_DEP_1) | instskip(SKIP_4) | instid1(SALU_CYCLE_1)
	v_cmp_lt_f64_e32 vcc_lo, v[48:49], v[96:97]
	v_dual_cndmask_b32 v93, v93, v110 :: v_dual_cndmask_b32 v92, v92, v109
	v_dual_cndmask_b32 v95, v95, v112 :: v_dual_cndmask_b32 v94, v94, v111
	v_cndmask_b32_e64 v100, v100, s6, vcc_lo
	s_add_i32 s6, s6, 1
	s_cmp_lg_u32 s5, s6
	s_cbranch_scc1 .LBB44_232
.LBB44_233:
	s_set_inst_prefetch_distance 0x2
	s_waitcnt lgkmcnt(0)
	v_cmp_eq_f64_e32 vcc_lo, 0, v[92:93]
	v_cmp_eq_f64_e64 s2, 0, v[94:95]
	s_delay_alu instid0(VALU_DEP_1) | instskip(NEXT) | instid1(SALU_CYCLE_1)
	s_and_b32 s2, vcc_lo, s2
	s_and_saveexec_b32 s3, s2
	s_delay_alu instid0(SALU_CYCLE_1)
	s_xor_b32 s2, exec_lo, s3
; %bb.234:
	v_cmp_ne_u32_e32 vcc_lo, 0, v106
	v_cndmask_b32_e32 v106, 12, v106, vcc_lo
; %bb.235:
	s_and_not1_saveexec_b32 s3, s2
	s_cbranch_execz .LBB44_241
; %bb.236:
	v_cmp_gt_f64_e32 vcc_lo, 0, v[92:93]
	v_cmp_gt_f64_e64 s2, 0, v[94:95]
	v_xor_b32_e32 v48, 0x80000000, v93
	v_xor_b32_e32 v50, 0x80000000, v95
	s_delay_alu instid0(VALU_DEP_2) | instskip(NEXT) | instid1(VALU_DEP_2)
	v_cndmask_b32_e32 v49, v93, v48, vcc_lo
	v_cndmask_b32_e64 v51, v95, v50, s2
	v_cndmask_b32_e32 v48, v92, v92, vcc_lo
	v_cndmask_b32_e64 v50, v94, v94, s2
	s_mov_b32 s2, exec_lo
	s_delay_alu instid0(VALU_DEP_1)
	v_cmpx_ngt_f64_e32 v[48:49], v[50:51]
	s_xor_b32 s2, exec_lo, s2
	s_cbranch_execz .LBB44_238
; %bb.237:
	v_div_scale_f64 v[48:49], null, v[94:95], v[94:95], v[92:93]
	v_div_scale_f64 v[98:99], vcc_lo, v[92:93], v[94:95], v[92:93]
	s_delay_alu instid0(VALU_DEP_2) | instskip(SKIP_2) | instid1(VALU_DEP_1)
	v_rcp_f64_e32 v[50:51], v[48:49]
	s_waitcnt_depctr 0xfff
	v_fma_f64 v[96:97], -v[48:49], v[50:51], 1.0
	v_fma_f64 v[50:51], v[50:51], v[96:97], v[50:51]
	s_delay_alu instid0(VALU_DEP_1) | instskip(NEXT) | instid1(VALU_DEP_1)
	v_fma_f64 v[96:97], -v[48:49], v[50:51], 1.0
	v_fma_f64 v[50:51], v[50:51], v[96:97], v[50:51]
	s_delay_alu instid0(VALU_DEP_1) | instskip(NEXT) | instid1(VALU_DEP_1)
	v_mul_f64 v[96:97], v[98:99], v[50:51]
	v_fma_f64 v[48:49], -v[48:49], v[96:97], v[98:99]
	s_delay_alu instid0(VALU_DEP_1) | instskip(NEXT) | instid1(VALU_DEP_1)
	v_div_fmas_f64 v[48:49], v[48:49], v[50:51], v[96:97]
	v_div_fixup_f64 v[48:49], v[48:49], v[94:95], v[92:93]
	s_delay_alu instid0(VALU_DEP_1) | instskip(NEXT) | instid1(VALU_DEP_1)
	v_fma_f64 v[50:51], v[92:93], v[48:49], v[94:95]
	v_div_scale_f64 v[92:93], null, v[50:51], v[50:51], 1.0
	s_delay_alu instid0(VALU_DEP_1) | instskip(SKIP_2) | instid1(VALU_DEP_1)
	v_rcp_f64_e32 v[94:95], v[92:93]
	s_waitcnt_depctr 0xfff
	v_fma_f64 v[96:97], -v[92:93], v[94:95], 1.0
	v_fma_f64 v[94:95], v[94:95], v[96:97], v[94:95]
	s_delay_alu instid0(VALU_DEP_1) | instskip(NEXT) | instid1(VALU_DEP_1)
	v_fma_f64 v[96:97], -v[92:93], v[94:95], 1.0
	v_fma_f64 v[94:95], v[94:95], v[96:97], v[94:95]
	v_div_scale_f64 v[96:97], vcc_lo, 1.0, v[50:51], 1.0
	s_delay_alu instid0(VALU_DEP_1) | instskip(NEXT) | instid1(VALU_DEP_1)
	v_mul_f64 v[98:99], v[96:97], v[94:95]
	v_fma_f64 v[92:93], -v[92:93], v[98:99], v[96:97]
	s_delay_alu instid0(VALU_DEP_1) | instskip(NEXT) | instid1(VALU_DEP_1)
	v_div_fmas_f64 v[92:93], v[92:93], v[94:95], v[98:99]
	v_div_fixup_f64 v[94:95], v[92:93], v[50:51], 1.0
	s_delay_alu instid0(VALU_DEP_1)
	v_mul_f64 v[92:93], v[48:49], v[94:95]
	v_xor_b32_e32 v95, 0x80000000, v95
.LBB44_238:
	s_and_not1_saveexec_b32 s2, s2
	s_cbranch_execz .LBB44_240
; %bb.239:
	s_delay_alu instid0(VALU_DEP_1) | instskip(SKIP_1) | instid1(VALU_DEP_2)
	v_div_scale_f64 v[48:49], null, v[92:93], v[92:93], v[94:95]
	v_div_scale_f64 v[98:99], vcc_lo, v[94:95], v[92:93], v[94:95]
	v_rcp_f64_e32 v[50:51], v[48:49]
	s_waitcnt_depctr 0xfff
	v_fma_f64 v[96:97], -v[48:49], v[50:51], 1.0
	s_delay_alu instid0(VALU_DEP_1) | instskip(NEXT) | instid1(VALU_DEP_1)
	v_fma_f64 v[50:51], v[50:51], v[96:97], v[50:51]
	v_fma_f64 v[96:97], -v[48:49], v[50:51], 1.0
	s_delay_alu instid0(VALU_DEP_1) | instskip(NEXT) | instid1(VALU_DEP_1)
	v_fma_f64 v[50:51], v[50:51], v[96:97], v[50:51]
	v_mul_f64 v[96:97], v[98:99], v[50:51]
	s_delay_alu instid0(VALU_DEP_1) | instskip(NEXT) | instid1(VALU_DEP_1)
	v_fma_f64 v[48:49], -v[48:49], v[96:97], v[98:99]
	v_div_fmas_f64 v[48:49], v[48:49], v[50:51], v[96:97]
	s_delay_alu instid0(VALU_DEP_1) | instskip(NEXT) | instid1(VALU_DEP_1)
	v_div_fixup_f64 v[48:49], v[48:49], v[92:93], v[94:95]
	v_fma_f64 v[50:51], v[94:95], v[48:49], v[92:93]
	s_delay_alu instid0(VALU_DEP_1) | instskip(NEXT) | instid1(VALU_DEP_1)
	v_div_scale_f64 v[92:93], null, v[50:51], v[50:51], 1.0
	v_rcp_f64_e32 v[94:95], v[92:93]
	s_waitcnt_depctr 0xfff
	v_fma_f64 v[96:97], -v[92:93], v[94:95], 1.0
	s_delay_alu instid0(VALU_DEP_1) | instskip(NEXT) | instid1(VALU_DEP_1)
	v_fma_f64 v[94:95], v[94:95], v[96:97], v[94:95]
	v_fma_f64 v[96:97], -v[92:93], v[94:95], 1.0
	s_delay_alu instid0(VALU_DEP_1) | instskip(SKIP_1) | instid1(VALU_DEP_1)
	v_fma_f64 v[94:95], v[94:95], v[96:97], v[94:95]
	v_div_scale_f64 v[96:97], vcc_lo, 1.0, v[50:51], 1.0
	v_mul_f64 v[98:99], v[96:97], v[94:95]
	s_delay_alu instid0(VALU_DEP_1) | instskip(NEXT) | instid1(VALU_DEP_1)
	v_fma_f64 v[92:93], -v[92:93], v[98:99], v[96:97]
	v_div_fmas_f64 v[92:93], v[92:93], v[94:95], v[98:99]
	s_delay_alu instid0(VALU_DEP_1) | instskip(NEXT) | instid1(VALU_DEP_1)
	v_div_fixup_f64 v[92:93], v[92:93], v[50:51], 1.0
	v_mul_f64 v[94:95], v[48:49], -v[92:93]
.LBB44_240:
	s_or_b32 exec_lo, exec_lo, s2
.LBB44_241:
	s_delay_alu instid0(SALU_CYCLE_1) | instskip(NEXT) | instid1(SALU_CYCLE_1)
	s_or_b32 exec_lo, exec_lo, s3
	s_mov_b32 s2, exec_lo
	v_cmpx_ne_u32_e64 v108, v100
	s_xor_b32 s2, exec_lo, s2
	s_cbranch_execz .LBB44_247
; %bb.242:
	s_mov_b32 s3, exec_lo
	v_cmpx_eq_u32_e32 11, v108
	s_cbranch_execz .LBB44_246
; %bb.243:
	v_cmp_ne_u32_e32 vcc_lo, 11, v100
	s_xor_b32 s6, s4, -1
	s_delay_alu instid0(SALU_CYCLE_1) | instskip(NEXT) | instid1(SALU_CYCLE_1)
	s_and_b32 s7, s6, vcc_lo
	s_and_saveexec_b32 s6, s7
	s_cbranch_execz .LBB44_245
; %bb.244:
	v_ashrrev_i32_e32 v101, 31, v100
	s_delay_alu instid0(VALU_DEP_1) | instskip(NEXT) | instid1(VALU_DEP_1)
	v_lshlrev_b64 v[48:49], 2, v[100:101]
	v_add_co_u32 v48, vcc_lo, v239, v48
	s_delay_alu instid0(VALU_DEP_2)
	v_add_co_ci_u32_e32 v49, vcc_lo, v240, v49, vcc_lo
	s_clause 0x1
	flat_load_b32 v50, v[48:49]
	flat_load_b32 v51, v[239:240] offset:44
	s_waitcnt vmcnt(1) lgkmcnt(1)
	flat_store_b32 v[239:240], v50 offset:44
	s_waitcnt vmcnt(0) lgkmcnt(1)
	flat_store_b32 v[48:49], v51
.LBB44_245:
	s_or_b32 exec_lo, exec_lo, s6
	v_mov_b32_e32 v108, v100
	v_mov_b32_e32 v105, v100
.LBB44_246:
	s_or_b32 exec_lo, exec_lo, s3
.LBB44_247:
	s_and_not1_saveexec_b32 s2, s2
	s_cbranch_execz .LBB44_249
; %bb.248:
	v_mov_b32_e32 v108, 11
	ds_store_2addr_b64 v102, v[52:53], v[54:55] offset0:24 offset1:25
	ds_store_2addr_b64 v102, v[32:33], v[34:35] offset0:26 offset1:27
	;; [unrolled: 1-line block ×11, first 2 shown]
.LBB44_249:
	s_or_b32 exec_lo, exec_lo, s2
	s_delay_alu instid0(SALU_CYCLE_1)
	s_mov_b32 s2, exec_lo
	s_waitcnt lgkmcnt(0)
	s_waitcnt_vscnt null, 0x0
	s_barrier
	buffer_gl0_inv
	v_cmpx_lt_i32_e32 11, v108
	s_cbranch_execz .LBB44_251
; %bb.250:
	v_mul_f64 v[48:49], v[92:93], v[46:47]
	v_mul_f64 v[46:47], v[94:95], v[46:47]
	ds_load_2addr_b64 v[109:112], v102 offset0:24 offset1:25
	ds_load_2addr_b64 v[113:116], v102 offset0:26 offset1:27
	;; [unrolled: 1-line block ×11, first 2 shown]
	v_fma_f64 v[48:49], v[94:95], v[44:45], v[48:49]
	v_fma_f64 v[44:45], v[92:93], v[44:45], -v[46:47]
	s_waitcnt lgkmcnt(10)
	s_delay_alu instid0(VALU_DEP_2)
	v_mul_f64 v[46:47], v[111:112], v[48:49]
	v_mul_f64 v[50:51], v[109:110], v[48:49]
	s_waitcnt lgkmcnt(9)
	v_mul_f64 v[92:93], v[115:116], v[48:49]
	v_mul_f64 v[94:95], v[113:114], v[48:49]
	s_waitcnt lgkmcnt(8)
	v_mul_f64 v[96:97], v[119:120], v[48:49]
	v_mul_f64 v[98:99], v[117:118], v[48:49]
	s_waitcnt lgkmcnt(7)
	v_mul_f64 v[100:101], v[123:124], v[48:49]
	v_mul_f64 v[153:154], v[121:122], v[48:49]
	s_waitcnt lgkmcnt(6)
	v_mul_f64 v[155:156], v[127:128], v[48:49]
	v_mul_f64 v[157:158], v[125:126], v[48:49]
	s_waitcnt lgkmcnt(5)
	v_mul_f64 v[159:160], v[131:132], v[48:49]
	v_mul_f64 v[161:162], v[129:130], v[48:49]
	s_waitcnt lgkmcnt(4)
	v_mul_f64 v[163:164], v[135:136], v[48:49]
	v_mul_f64 v[165:166], v[133:134], v[48:49]
	s_waitcnt lgkmcnt(3)
	v_mul_f64 v[167:168], v[139:140], v[48:49]
	v_mul_f64 v[169:170], v[137:138], v[48:49]
	s_waitcnt lgkmcnt(2)
	v_mul_f64 v[171:172], v[143:144], v[48:49]
	v_mul_f64 v[173:174], v[141:142], v[48:49]
	s_waitcnt lgkmcnt(1)
	v_mul_f64 v[175:176], v[147:148], v[48:49]
	v_mul_f64 v[177:178], v[145:146], v[48:49]
	s_waitcnt lgkmcnt(0)
	v_mul_f64 v[179:180], v[151:152], v[48:49]
	v_mul_f64 v[181:182], v[149:150], v[48:49]
	v_fma_f64 v[46:47], v[109:110], v[44:45], -v[46:47]
	v_fma_f64 v[50:51], v[111:112], v[44:45], v[50:51]
	v_fma_f64 v[92:93], v[113:114], v[44:45], -v[92:93]
	v_fma_f64 v[94:95], v[115:116], v[44:45], v[94:95]
	;; [unrolled: 2-line block ×11, first 2 shown]
	v_add_f64 v[52:53], v[52:53], -v[46:47]
	v_add_f64 v[54:55], v[54:55], -v[50:51]
	;; [unrolled: 1-line block ×22, first 2 shown]
	v_dual_mov_b32 v46, v48 :: v_dual_mov_b32 v47, v49
.LBB44_251:
	s_or_b32 exec_lo, exec_lo, s2
	v_lshl_add_u32 v48, v108, 4, v102
	s_barrier
	buffer_gl0_inv
	v_mov_b32_e32 v100, 12
	ds_store_2addr_b64 v48, v[52:53], v[54:55] offset1:1
	s_waitcnt lgkmcnt(0)
	s_barrier
	buffer_gl0_inv
	ds_load_2addr_b64 v[92:95], v102 offset0:24 offset1:25
	s_cmp_lt_i32 s5, 14
	s_cbranch_scc1 .LBB44_254
; %bb.252:
	v_add3_u32 v101, v107, 0, 0xd0
	v_mov_b32_e32 v100, 12
	s_mov_b32 s6, 13
	s_set_inst_prefetch_distance 0x1
	.p2align	6
.LBB44_253:                             ; =>This Inner Loop Header: Depth=1
	ds_load_2addr_b64 v[109:112], v101 offset1:1
	s_waitcnt lgkmcnt(1)
	v_cmp_gt_f64_e32 vcc_lo, 0, v[92:93]
	v_xor_b32_e32 v48, 0x80000000, v93
	v_cmp_gt_f64_e64 s2, 0, v[94:95]
	v_xor_b32_e32 v50, 0x80000000, v95
	v_add_nc_u32_e32 v101, 16, v101
	s_waitcnt lgkmcnt(0)
	v_cmp_gt_f64_e64 s3, 0, v[109:110]
	v_mov_b32_e32 v96, v109
	v_dual_mov_b32 v98, v111 :: v_dual_cndmask_b32 v49, v93, v48
	v_xor_b32_e32 v48, 0x80000000, v110
	v_cndmask_b32_e64 v51, v95, v50, s2
	v_xor_b32_e32 v50, 0x80000000, v112
	s_delay_alu instid0(VALU_DEP_3) | instskip(SKIP_2) | instid1(VALU_DEP_2)
	v_cndmask_b32_e64 v97, v110, v48, s3
	v_cmp_gt_f64_e64 s3, 0, v[111:112]
	v_cndmask_b32_e32 v48, v92, v92, vcc_lo
	v_cndmask_b32_e64 v99, v112, v50, s3
	v_cndmask_b32_e64 v50, v94, v94, s2
	s_delay_alu instid0(VALU_DEP_2) | instskip(NEXT) | instid1(VALU_DEP_2)
	v_add_f64 v[96:97], v[96:97], v[98:99]
	v_add_f64 v[48:49], v[48:49], v[50:51]
	s_delay_alu instid0(VALU_DEP_1) | instskip(SKIP_4) | instid1(SALU_CYCLE_1)
	v_cmp_lt_f64_e32 vcc_lo, v[48:49], v[96:97]
	v_dual_cndmask_b32 v93, v93, v110 :: v_dual_cndmask_b32 v92, v92, v109
	v_dual_cndmask_b32 v95, v95, v112 :: v_dual_cndmask_b32 v94, v94, v111
	v_cndmask_b32_e64 v100, v100, s6, vcc_lo
	s_add_i32 s6, s6, 1
	s_cmp_lg_u32 s5, s6
	s_cbranch_scc1 .LBB44_253
.LBB44_254:
	s_set_inst_prefetch_distance 0x2
	s_waitcnt lgkmcnt(0)
	v_cmp_eq_f64_e32 vcc_lo, 0, v[92:93]
	v_cmp_eq_f64_e64 s2, 0, v[94:95]
	s_delay_alu instid0(VALU_DEP_1) | instskip(NEXT) | instid1(SALU_CYCLE_1)
	s_and_b32 s2, vcc_lo, s2
	s_and_saveexec_b32 s3, s2
	s_delay_alu instid0(SALU_CYCLE_1)
	s_xor_b32 s2, exec_lo, s3
; %bb.255:
	v_cmp_ne_u32_e32 vcc_lo, 0, v106
	v_cndmask_b32_e32 v106, 13, v106, vcc_lo
; %bb.256:
	s_and_not1_saveexec_b32 s3, s2
	s_cbranch_execz .LBB44_262
; %bb.257:
	v_cmp_gt_f64_e32 vcc_lo, 0, v[92:93]
	v_cmp_gt_f64_e64 s2, 0, v[94:95]
	v_xor_b32_e32 v48, 0x80000000, v93
	v_xor_b32_e32 v50, 0x80000000, v95
	s_delay_alu instid0(VALU_DEP_2) | instskip(NEXT) | instid1(VALU_DEP_2)
	v_cndmask_b32_e32 v49, v93, v48, vcc_lo
	v_cndmask_b32_e64 v51, v95, v50, s2
	v_cndmask_b32_e32 v48, v92, v92, vcc_lo
	v_cndmask_b32_e64 v50, v94, v94, s2
	s_mov_b32 s2, exec_lo
	s_delay_alu instid0(VALU_DEP_1)
	v_cmpx_ngt_f64_e32 v[48:49], v[50:51]
	s_xor_b32 s2, exec_lo, s2
	s_cbranch_execz .LBB44_259
; %bb.258:
	v_div_scale_f64 v[48:49], null, v[94:95], v[94:95], v[92:93]
	v_div_scale_f64 v[98:99], vcc_lo, v[92:93], v[94:95], v[92:93]
	s_delay_alu instid0(VALU_DEP_2) | instskip(SKIP_2) | instid1(VALU_DEP_1)
	v_rcp_f64_e32 v[50:51], v[48:49]
	s_waitcnt_depctr 0xfff
	v_fma_f64 v[96:97], -v[48:49], v[50:51], 1.0
	v_fma_f64 v[50:51], v[50:51], v[96:97], v[50:51]
	s_delay_alu instid0(VALU_DEP_1) | instskip(NEXT) | instid1(VALU_DEP_1)
	v_fma_f64 v[96:97], -v[48:49], v[50:51], 1.0
	v_fma_f64 v[50:51], v[50:51], v[96:97], v[50:51]
	s_delay_alu instid0(VALU_DEP_1) | instskip(NEXT) | instid1(VALU_DEP_1)
	v_mul_f64 v[96:97], v[98:99], v[50:51]
	v_fma_f64 v[48:49], -v[48:49], v[96:97], v[98:99]
	s_delay_alu instid0(VALU_DEP_1) | instskip(NEXT) | instid1(VALU_DEP_1)
	v_div_fmas_f64 v[48:49], v[48:49], v[50:51], v[96:97]
	v_div_fixup_f64 v[48:49], v[48:49], v[94:95], v[92:93]
	s_delay_alu instid0(VALU_DEP_1) | instskip(NEXT) | instid1(VALU_DEP_1)
	v_fma_f64 v[50:51], v[92:93], v[48:49], v[94:95]
	v_div_scale_f64 v[92:93], null, v[50:51], v[50:51], 1.0
	s_delay_alu instid0(VALU_DEP_1) | instskip(SKIP_2) | instid1(VALU_DEP_1)
	v_rcp_f64_e32 v[94:95], v[92:93]
	s_waitcnt_depctr 0xfff
	v_fma_f64 v[96:97], -v[92:93], v[94:95], 1.0
	v_fma_f64 v[94:95], v[94:95], v[96:97], v[94:95]
	s_delay_alu instid0(VALU_DEP_1) | instskip(NEXT) | instid1(VALU_DEP_1)
	v_fma_f64 v[96:97], -v[92:93], v[94:95], 1.0
	v_fma_f64 v[94:95], v[94:95], v[96:97], v[94:95]
	v_div_scale_f64 v[96:97], vcc_lo, 1.0, v[50:51], 1.0
	s_delay_alu instid0(VALU_DEP_1) | instskip(NEXT) | instid1(VALU_DEP_1)
	v_mul_f64 v[98:99], v[96:97], v[94:95]
	v_fma_f64 v[92:93], -v[92:93], v[98:99], v[96:97]
	s_delay_alu instid0(VALU_DEP_1) | instskip(NEXT) | instid1(VALU_DEP_1)
	v_div_fmas_f64 v[92:93], v[92:93], v[94:95], v[98:99]
	v_div_fixup_f64 v[94:95], v[92:93], v[50:51], 1.0
	s_delay_alu instid0(VALU_DEP_1)
	v_mul_f64 v[92:93], v[48:49], v[94:95]
	v_xor_b32_e32 v95, 0x80000000, v95
.LBB44_259:
	s_and_not1_saveexec_b32 s2, s2
	s_cbranch_execz .LBB44_261
; %bb.260:
	s_delay_alu instid0(VALU_DEP_1) | instskip(SKIP_1) | instid1(VALU_DEP_2)
	v_div_scale_f64 v[48:49], null, v[92:93], v[92:93], v[94:95]
	v_div_scale_f64 v[98:99], vcc_lo, v[94:95], v[92:93], v[94:95]
	v_rcp_f64_e32 v[50:51], v[48:49]
	s_waitcnt_depctr 0xfff
	v_fma_f64 v[96:97], -v[48:49], v[50:51], 1.0
	s_delay_alu instid0(VALU_DEP_1) | instskip(NEXT) | instid1(VALU_DEP_1)
	v_fma_f64 v[50:51], v[50:51], v[96:97], v[50:51]
	v_fma_f64 v[96:97], -v[48:49], v[50:51], 1.0
	s_delay_alu instid0(VALU_DEP_1) | instskip(NEXT) | instid1(VALU_DEP_1)
	v_fma_f64 v[50:51], v[50:51], v[96:97], v[50:51]
	v_mul_f64 v[96:97], v[98:99], v[50:51]
	s_delay_alu instid0(VALU_DEP_1) | instskip(NEXT) | instid1(VALU_DEP_1)
	v_fma_f64 v[48:49], -v[48:49], v[96:97], v[98:99]
	v_div_fmas_f64 v[48:49], v[48:49], v[50:51], v[96:97]
	s_delay_alu instid0(VALU_DEP_1) | instskip(NEXT) | instid1(VALU_DEP_1)
	v_div_fixup_f64 v[48:49], v[48:49], v[92:93], v[94:95]
	v_fma_f64 v[50:51], v[94:95], v[48:49], v[92:93]
	s_delay_alu instid0(VALU_DEP_1) | instskip(NEXT) | instid1(VALU_DEP_1)
	v_div_scale_f64 v[92:93], null, v[50:51], v[50:51], 1.0
	v_rcp_f64_e32 v[94:95], v[92:93]
	s_waitcnt_depctr 0xfff
	v_fma_f64 v[96:97], -v[92:93], v[94:95], 1.0
	s_delay_alu instid0(VALU_DEP_1) | instskip(NEXT) | instid1(VALU_DEP_1)
	v_fma_f64 v[94:95], v[94:95], v[96:97], v[94:95]
	v_fma_f64 v[96:97], -v[92:93], v[94:95], 1.0
	s_delay_alu instid0(VALU_DEP_1) | instskip(SKIP_1) | instid1(VALU_DEP_1)
	v_fma_f64 v[94:95], v[94:95], v[96:97], v[94:95]
	v_div_scale_f64 v[96:97], vcc_lo, 1.0, v[50:51], 1.0
	v_mul_f64 v[98:99], v[96:97], v[94:95]
	s_delay_alu instid0(VALU_DEP_1) | instskip(NEXT) | instid1(VALU_DEP_1)
	v_fma_f64 v[92:93], -v[92:93], v[98:99], v[96:97]
	v_div_fmas_f64 v[92:93], v[92:93], v[94:95], v[98:99]
	s_delay_alu instid0(VALU_DEP_1) | instskip(NEXT) | instid1(VALU_DEP_1)
	v_div_fixup_f64 v[92:93], v[92:93], v[50:51], 1.0
	v_mul_f64 v[94:95], v[48:49], -v[92:93]
.LBB44_261:
	s_or_b32 exec_lo, exec_lo, s2
.LBB44_262:
	s_delay_alu instid0(SALU_CYCLE_1) | instskip(NEXT) | instid1(SALU_CYCLE_1)
	s_or_b32 exec_lo, exec_lo, s3
	s_mov_b32 s2, exec_lo
	v_cmpx_ne_u32_e64 v108, v100
	s_xor_b32 s2, exec_lo, s2
	s_cbranch_execz .LBB44_268
; %bb.263:
	s_mov_b32 s3, exec_lo
	v_cmpx_eq_u32_e32 12, v108
	s_cbranch_execz .LBB44_267
; %bb.264:
	v_cmp_ne_u32_e32 vcc_lo, 12, v100
	s_xor_b32 s6, s4, -1
	s_delay_alu instid0(SALU_CYCLE_1) | instskip(NEXT) | instid1(SALU_CYCLE_1)
	s_and_b32 s7, s6, vcc_lo
	s_and_saveexec_b32 s6, s7
	s_cbranch_execz .LBB44_266
; %bb.265:
	v_ashrrev_i32_e32 v101, 31, v100
	s_delay_alu instid0(VALU_DEP_1) | instskip(NEXT) | instid1(VALU_DEP_1)
	v_lshlrev_b64 v[48:49], 2, v[100:101]
	v_add_co_u32 v48, vcc_lo, v239, v48
	s_delay_alu instid0(VALU_DEP_2)
	v_add_co_ci_u32_e32 v49, vcc_lo, v240, v49, vcc_lo
	s_clause 0x1
	flat_load_b32 v50, v[48:49]
	flat_load_b32 v51, v[239:240] offset:48
	s_waitcnt vmcnt(1) lgkmcnt(1)
	flat_store_b32 v[239:240], v50 offset:48
	s_waitcnt vmcnt(0) lgkmcnt(1)
	flat_store_b32 v[48:49], v51
.LBB44_266:
	s_or_b32 exec_lo, exec_lo, s6
	v_mov_b32_e32 v108, v100
	v_mov_b32_e32 v105, v100
.LBB44_267:
	s_or_b32 exec_lo, exec_lo, s3
.LBB44_268:
	s_and_not1_saveexec_b32 s2, s2
	s_cbranch_execz .LBB44_270
; %bb.269:
	v_mov_b32_e32 v108, 12
	ds_store_2addr_b64 v102, v[32:33], v[34:35] offset0:26 offset1:27
	ds_store_2addr_b64 v102, v[40:41], v[42:43] offset0:28 offset1:29
	;; [unrolled: 1-line block ×10, first 2 shown]
.LBB44_270:
	s_or_b32 exec_lo, exec_lo, s2
	s_delay_alu instid0(SALU_CYCLE_1)
	s_mov_b32 s2, exec_lo
	s_waitcnt lgkmcnt(0)
	s_waitcnt_vscnt null, 0x0
	s_barrier
	buffer_gl0_inv
	v_cmpx_lt_i32_e32 12, v108
	s_cbranch_execz .LBB44_272
; %bb.271:
	v_mul_f64 v[48:49], v[92:93], v[54:55]
	v_mul_f64 v[50:51], v[94:95], v[54:55]
	ds_load_2addr_b64 v[109:112], v102 offset0:26 offset1:27
	ds_load_2addr_b64 v[113:116], v102 offset0:28 offset1:29
	;; [unrolled: 1-line block ×10, first 2 shown]
	v_fma_f64 v[48:49], v[94:95], v[52:53], v[48:49]
	v_fma_f64 v[52:53], v[92:93], v[52:53], -v[50:51]
	s_waitcnt lgkmcnt(9)
	s_delay_alu instid0(VALU_DEP_2)
	v_mul_f64 v[50:51], v[111:112], v[48:49]
	v_mul_f64 v[54:55], v[109:110], v[48:49]
	s_waitcnt lgkmcnt(8)
	v_mul_f64 v[92:93], v[115:116], v[48:49]
	v_mul_f64 v[94:95], v[113:114], v[48:49]
	s_waitcnt lgkmcnt(7)
	;; [unrolled: 3-line block ×9, first 2 shown]
	v_mul_f64 v[171:172], v[147:148], v[48:49]
	v_mul_f64 v[173:174], v[145:146], v[48:49]
	v_fma_f64 v[50:51], v[109:110], v[52:53], -v[50:51]
	v_fma_f64 v[54:55], v[111:112], v[52:53], v[54:55]
	v_fma_f64 v[92:93], v[113:114], v[52:53], -v[92:93]
	v_fma_f64 v[94:95], v[115:116], v[52:53], v[94:95]
	;; [unrolled: 2-line block ×10, first 2 shown]
	v_add_f64 v[32:33], v[32:33], -v[50:51]
	v_add_f64 v[34:35], v[34:35], -v[54:55]
	;; [unrolled: 1-line block ×20, first 2 shown]
	v_dual_mov_b32 v55, v49 :: v_dual_mov_b32 v54, v48
.LBB44_272:
	s_or_b32 exec_lo, exec_lo, s2
	v_lshl_add_u32 v48, v108, 4, v102
	s_barrier
	buffer_gl0_inv
	v_mov_b32_e32 v100, 13
	ds_store_2addr_b64 v48, v[32:33], v[34:35] offset1:1
	s_waitcnt lgkmcnt(0)
	s_barrier
	buffer_gl0_inv
	ds_load_2addr_b64 v[92:95], v102 offset0:26 offset1:27
	s_cmp_lt_i32 s5, 15
	s_cbranch_scc1 .LBB44_275
; %bb.273:
	v_add3_u32 v101, v107, 0, 0xe0
	v_mov_b32_e32 v100, 13
	s_mov_b32 s6, 14
	s_set_inst_prefetch_distance 0x1
	.p2align	6
.LBB44_274:                             ; =>This Inner Loop Header: Depth=1
	ds_load_2addr_b64 v[109:112], v101 offset1:1
	s_waitcnt lgkmcnt(1)
	v_cmp_gt_f64_e32 vcc_lo, 0, v[92:93]
	v_xor_b32_e32 v48, 0x80000000, v93
	v_cmp_gt_f64_e64 s2, 0, v[94:95]
	v_xor_b32_e32 v50, 0x80000000, v95
	v_add_nc_u32_e32 v101, 16, v101
	s_waitcnt lgkmcnt(0)
	v_cmp_gt_f64_e64 s3, 0, v[109:110]
	v_mov_b32_e32 v96, v109
	v_dual_mov_b32 v98, v111 :: v_dual_cndmask_b32 v49, v93, v48
	v_xor_b32_e32 v48, 0x80000000, v110
	v_cndmask_b32_e64 v51, v95, v50, s2
	v_xor_b32_e32 v50, 0x80000000, v112
	s_delay_alu instid0(VALU_DEP_3) | instskip(SKIP_2) | instid1(VALU_DEP_2)
	v_cndmask_b32_e64 v97, v110, v48, s3
	v_cmp_gt_f64_e64 s3, 0, v[111:112]
	v_cndmask_b32_e32 v48, v92, v92, vcc_lo
	v_cndmask_b32_e64 v99, v112, v50, s3
	v_cndmask_b32_e64 v50, v94, v94, s2
	s_delay_alu instid0(VALU_DEP_2) | instskip(NEXT) | instid1(VALU_DEP_2)
	v_add_f64 v[96:97], v[96:97], v[98:99]
	v_add_f64 v[48:49], v[48:49], v[50:51]
	s_delay_alu instid0(VALU_DEP_1) | instskip(SKIP_4) | instid1(SALU_CYCLE_1)
	v_cmp_lt_f64_e32 vcc_lo, v[48:49], v[96:97]
	v_dual_cndmask_b32 v93, v93, v110 :: v_dual_cndmask_b32 v92, v92, v109
	v_dual_cndmask_b32 v95, v95, v112 :: v_dual_cndmask_b32 v94, v94, v111
	v_cndmask_b32_e64 v100, v100, s6, vcc_lo
	s_add_i32 s6, s6, 1
	s_cmp_lg_u32 s5, s6
	s_cbranch_scc1 .LBB44_274
.LBB44_275:
	s_set_inst_prefetch_distance 0x2
	s_waitcnt lgkmcnt(0)
	v_cmp_eq_f64_e32 vcc_lo, 0, v[92:93]
	v_cmp_eq_f64_e64 s2, 0, v[94:95]
	s_delay_alu instid0(VALU_DEP_1) | instskip(NEXT) | instid1(SALU_CYCLE_1)
	s_and_b32 s2, vcc_lo, s2
	s_and_saveexec_b32 s3, s2
	s_delay_alu instid0(SALU_CYCLE_1)
	s_xor_b32 s2, exec_lo, s3
; %bb.276:
	v_cmp_ne_u32_e32 vcc_lo, 0, v106
	v_cndmask_b32_e32 v106, 14, v106, vcc_lo
; %bb.277:
	s_and_not1_saveexec_b32 s3, s2
	s_cbranch_execz .LBB44_283
; %bb.278:
	v_cmp_gt_f64_e32 vcc_lo, 0, v[92:93]
	v_cmp_gt_f64_e64 s2, 0, v[94:95]
	v_xor_b32_e32 v48, 0x80000000, v93
	v_xor_b32_e32 v50, 0x80000000, v95
	s_delay_alu instid0(VALU_DEP_2) | instskip(NEXT) | instid1(VALU_DEP_2)
	v_cndmask_b32_e32 v49, v93, v48, vcc_lo
	v_cndmask_b32_e64 v51, v95, v50, s2
	v_cndmask_b32_e32 v48, v92, v92, vcc_lo
	v_cndmask_b32_e64 v50, v94, v94, s2
	s_mov_b32 s2, exec_lo
	s_delay_alu instid0(VALU_DEP_1)
	v_cmpx_ngt_f64_e32 v[48:49], v[50:51]
	s_xor_b32 s2, exec_lo, s2
	s_cbranch_execz .LBB44_280
; %bb.279:
	v_div_scale_f64 v[48:49], null, v[94:95], v[94:95], v[92:93]
	v_div_scale_f64 v[98:99], vcc_lo, v[92:93], v[94:95], v[92:93]
	s_delay_alu instid0(VALU_DEP_2) | instskip(SKIP_2) | instid1(VALU_DEP_1)
	v_rcp_f64_e32 v[50:51], v[48:49]
	s_waitcnt_depctr 0xfff
	v_fma_f64 v[96:97], -v[48:49], v[50:51], 1.0
	v_fma_f64 v[50:51], v[50:51], v[96:97], v[50:51]
	s_delay_alu instid0(VALU_DEP_1) | instskip(NEXT) | instid1(VALU_DEP_1)
	v_fma_f64 v[96:97], -v[48:49], v[50:51], 1.0
	v_fma_f64 v[50:51], v[50:51], v[96:97], v[50:51]
	s_delay_alu instid0(VALU_DEP_1) | instskip(NEXT) | instid1(VALU_DEP_1)
	v_mul_f64 v[96:97], v[98:99], v[50:51]
	v_fma_f64 v[48:49], -v[48:49], v[96:97], v[98:99]
	s_delay_alu instid0(VALU_DEP_1) | instskip(NEXT) | instid1(VALU_DEP_1)
	v_div_fmas_f64 v[48:49], v[48:49], v[50:51], v[96:97]
	v_div_fixup_f64 v[48:49], v[48:49], v[94:95], v[92:93]
	s_delay_alu instid0(VALU_DEP_1) | instskip(NEXT) | instid1(VALU_DEP_1)
	v_fma_f64 v[50:51], v[92:93], v[48:49], v[94:95]
	v_div_scale_f64 v[92:93], null, v[50:51], v[50:51], 1.0
	s_delay_alu instid0(VALU_DEP_1) | instskip(SKIP_2) | instid1(VALU_DEP_1)
	v_rcp_f64_e32 v[94:95], v[92:93]
	s_waitcnt_depctr 0xfff
	v_fma_f64 v[96:97], -v[92:93], v[94:95], 1.0
	v_fma_f64 v[94:95], v[94:95], v[96:97], v[94:95]
	s_delay_alu instid0(VALU_DEP_1) | instskip(NEXT) | instid1(VALU_DEP_1)
	v_fma_f64 v[96:97], -v[92:93], v[94:95], 1.0
	v_fma_f64 v[94:95], v[94:95], v[96:97], v[94:95]
	v_div_scale_f64 v[96:97], vcc_lo, 1.0, v[50:51], 1.0
	s_delay_alu instid0(VALU_DEP_1) | instskip(NEXT) | instid1(VALU_DEP_1)
	v_mul_f64 v[98:99], v[96:97], v[94:95]
	v_fma_f64 v[92:93], -v[92:93], v[98:99], v[96:97]
	s_delay_alu instid0(VALU_DEP_1) | instskip(NEXT) | instid1(VALU_DEP_1)
	v_div_fmas_f64 v[92:93], v[92:93], v[94:95], v[98:99]
	v_div_fixup_f64 v[94:95], v[92:93], v[50:51], 1.0
	s_delay_alu instid0(VALU_DEP_1)
	v_mul_f64 v[92:93], v[48:49], v[94:95]
	v_xor_b32_e32 v95, 0x80000000, v95
.LBB44_280:
	s_and_not1_saveexec_b32 s2, s2
	s_cbranch_execz .LBB44_282
; %bb.281:
	s_delay_alu instid0(VALU_DEP_1) | instskip(SKIP_1) | instid1(VALU_DEP_2)
	v_div_scale_f64 v[48:49], null, v[92:93], v[92:93], v[94:95]
	v_div_scale_f64 v[98:99], vcc_lo, v[94:95], v[92:93], v[94:95]
	v_rcp_f64_e32 v[50:51], v[48:49]
	s_waitcnt_depctr 0xfff
	v_fma_f64 v[96:97], -v[48:49], v[50:51], 1.0
	s_delay_alu instid0(VALU_DEP_1) | instskip(NEXT) | instid1(VALU_DEP_1)
	v_fma_f64 v[50:51], v[50:51], v[96:97], v[50:51]
	v_fma_f64 v[96:97], -v[48:49], v[50:51], 1.0
	s_delay_alu instid0(VALU_DEP_1) | instskip(NEXT) | instid1(VALU_DEP_1)
	v_fma_f64 v[50:51], v[50:51], v[96:97], v[50:51]
	v_mul_f64 v[96:97], v[98:99], v[50:51]
	s_delay_alu instid0(VALU_DEP_1) | instskip(NEXT) | instid1(VALU_DEP_1)
	v_fma_f64 v[48:49], -v[48:49], v[96:97], v[98:99]
	v_div_fmas_f64 v[48:49], v[48:49], v[50:51], v[96:97]
	s_delay_alu instid0(VALU_DEP_1) | instskip(NEXT) | instid1(VALU_DEP_1)
	v_div_fixup_f64 v[48:49], v[48:49], v[92:93], v[94:95]
	v_fma_f64 v[50:51], v[94:95], v[48:49], v[92:93]
	s_delay_alu instid0(VALU_DEP_1) | instskip(NEXT) | instid1(VALU_DEP_1)
	v_div_scale_f64 v[92:93], null, v[50:51], v[50:51], 1.0
	v_rcp_f64_e32 v[94:95], v[92:93]
	s_waitcnt_depctr 0xfff
	v_fma_f64 v[96:97], -v[92:93], v[94:95], 1.0
	s_delay_alu instid0(VALU_DEP_1) | instskip(NEXT) | instid1(VALU_DEP_1)
	v_fma_f64 v[94:95], v[94:95], v[96:97], v[94:95]
	v_fma_f64 v[96:97], -v[92:93], v[94:95], 1.0
	s_delay_alu instid0(VALU_DEP_1) | instskip(SKIP_1) | instid1(VALU_DEP_1)
	v_fma_f64 v[94:95], v[94:95], v[96:97], v[94:95]
	v_div_scale_f64 v[96:97], vcc_lo, 1.0, v[50:51], 1.0
	v_mul_f64 v[98:99], v[96:97], v[94:95]
	s_delay_alu instid0(VALU_DEP_1) | instskip(NEXT) | instid1(VALU_DEP_1)
	v_fma_f64 v[92:93], -v[92:93], v[98:99], v[96:97]
	v_div_fmas_f64 v[92:93], v[92:93], v[94:95], v[98:99]
	s_delay_alu instid0(VALU_DEP_1) | instskip(NEXT) | instid1(VALU_DEP_1)
	v_div_fixup_f64 v[92:93], v[92:93], v[50:51], 1.0
	v_mul_f64 v[94:95], v[48:49], -v[92:93]
.LBB44_282:
	s_or_b32 exec_lo, exec_lo, s2
.LBB44_283:
	s_delay_alu instid0(SALU_CYCLE_1) | instskip(NEXT) | instid1(SALU_CYCLE_1)
	s_or_b32 exec_lo, exec_lo, s3
	s_mov_b32 s2, exec_lo
	v_cmpx_ne_u32_e64 v108, v100
	s_xor_b32 s2, exec_lo, s2
	s_cbranch_execz .LBB44_289
; %bb.284:
	s_mov_b32 s3, exec_lo
	v_cmpx_eq_u32_e32 13, v108
	s_cbranch_execz .LBB44_288
; %bb.285:
	v_cmp_ne_u32_e32 vcc_lo, 13, v100
	s_xor_b32 s6, s4, -1
	s_delay_alu instid0(SALU_CYCLE_1) | instskip(NEXT) | instid1(SALU_CYCLE_1)
	s_and_b32 s7, s6, vcc_lo
	s_and_saveexec_b32 s6, s7
	s_cbranch_execz .LBB44_287
; %bb.286:
	v_ashrrev_i32_e32 v101, 31, v100
	s_delay_alu instid0(VALU_DEP_1) | instskip(NEXT) | instid1(VALU_DEP_1)
	v_lshlrev_b64 v[48:49], 2, v[100:101]
	v_add_co_u32 v48, vcc_lo, v239, v48
	s_delay_alu instid0(VALU_DEP_2)
	v_add_co_ci_u32_e32 v49, vcc_lo, v240, v49, vcc_lo
	s_clause 0x1
	flat_load_b32 v50, v[48:49]
	flat_load_b32 v51, v[239:240] offset:52
	s_waitcnt vmcnt(1) lgkmcnt(1)
	flat_store_b32 v[239:240], v50 offset:52
	s_waitcnt vmcnt(0) lgkmcnt(1)
	flat_store_b32 v[48:49], v51
.LBB44_287:
	s_or_b32 exec_lo, exec_lo, s6
	v_mov_b32_e32 v108, v100
	v_mov_b32_e32 v105, v100
.LBB44_288:
	s_or_b32 exec_lo, exec_lo, s3
.LBB44_289:
	s_and_not1_saveexec_b32 s2, s2
	s_cbranch_execz .LBB44_291
; %bb.290:
	v_mov_b32_e32 v108, 13
	ds_store_2addr_b64 v102, v[40:41], v[42:43] offset0:28 offset1:29
	ds_store_2addr_b64 v102, v[36:37], v[38:39] offset0:30 offset1:31
	;; [unrolled: 1-line block ×9, first 2 shown]
.LBB44_291:
	s_or_b32 exec_lo, exec_lo, s2
	s_delay_alu instid0(SALU_CYCLE_1)
	s_mov_b32 s2, exec_lo
	s_waitcnt lgkmcnt(0)
	s_waitcnt_vscnt null, 0x0
	s_barrier
	buffer_gl0_inv
	v_cmpx_lt_i32_e32 13, v108
	s_cbranch_execz .LBB44_293
; %bb.292:
	v_mul_f64 v[48:49], v[92:93], v[34:35]
	v_mul_f64 v[34:35], v[94:95], v[34:35]
	ds_load_2addr_b64 v[109:112], v102 offset0:28 offset1:29
	ds_load_2addr_b64 v[113:116], v102 offset0:30 offset1:31
	;; [unrolled: 1-line block ×9, first 2 shown]
	v_fma_f64 v[48:49], v[94:95], v[32:33], v[48:49]
	v_fma_f64 v[32:33], v[92:93], v[32:33], -v[34:35]
	s_waitcnt lgkmcnt(8)
	s_delay_alu instid0(VALU_DEP_2)
	v_mul_f64 v[34:35], v[111:112], v[48:49]
	v_mul_f64 v[50:51], v[109:110], v[48:49]
	s_waitcnt lgkmcnt(7)
	v_mul_f64 v[92:93], v[115:116], v[48:49]
	v_mul_f64 v[94:95], v[113:114], v[48:49]
	s_waitcnt lgkmcnt(6)
	;; [unrolled: 3-line block ×8, first 2 shown]
	v_mul_f64 v[163:164], v[143:144], v[48:49]
	v_mul_f64 v[165:166], v[141:142], v[48:49]
	v_fma_f64 v[34:35], v[109:110], v[32:33], -v[34:35]
	v_fma_f64 v[50:51], v[111:112], v[32:33], v[50:51]
	v_fma_f64 v[92:93], v[113:114], v[32:33], -v[92:93]
	v_fma_f64 v[94:95], v[115:116], v[32:33], v[94:95]
	;; [unrolled: 2-line block ×9, first 2 shown]
	v_add_f64 v[40:41], v[40:41], -v[34:35]
	v_add_f64 v[42:43], v[42:43], -v[50:51]
	;; [unrolled: 1-line block ×18, first 2 shown]
	v_dual_mov_b32 v34, v48 :: v_dual_mov_b32 v35, v49
.LBB44_293:
	s_or_b32 exec_lo, exec_lo, s2
	v_lshl_add_u32 v48, v108, 4, v102
	s_barrier
	buffer_gl0_inv
	v_mov_b32_e32 v100, 14
	ds_store_2addr_b64 v48, v[40:41], v[42:43] offset1:1
	s_waitcnt lgkmcnt(0)
	s_barrier
	buffer_gl0_inv
	ds_load_2addr_b64 v[92:95], v102 offset0:28 offset1:29
	s_cmp_lt_i32 s5, 16
	s_cbranch_scc1 .LBB44_296
; %bb.294:
	v_add3_u32 v101, v107, 0, 0xf0
	v_mov_b32_e32 v100, 14
	s_mov_b32 s6, 15
	s_set_inst_prefetch_distance 0x1
	.p2align	6
.LBB44_295:                             ; =>This Inner Loop Header: Depth=1
	ds_load_2addr_b64 v[109:112], v101 offset1:1
	s_waitcnt lgkmcnt(1)
	v_cmp_gt_f64_e32 vcc_lo, 0, v[92:93]
	v_xor_b32_e32 v48, 0x80000000, v93
	v_cmp_gt_f64_e64 s2, 0, v[94:95]
	v_xor_b32_e32 v50, 0x80000000, v95
	v_add_nc_u32_e32 v101, 16, v101
	s_waitcnt lgkmcnt(0)
	v_cmp_gt_f64_e64 s3, 0, v[109:110]
	v_mov_b32_e32 v96, v109
	v_dual_mov_b32 v98, v111 :: v_dual_cndmask_b32 v49, v93, v48
	v_xor_b32_e32 v48, 0x80000000, v110
	v_cndmask_b32_e64 v51, v95, v50, s2
	v_xor_b32_e32 v50, 0x80000000, v112
	s_delay_alu instid0(VALU_DEP_3) | instskip(SKIP_2) | instid1(VALU_DEP_2)
	v_cndmask_b32_e64 v97, v110, v48, s3
	v_cmp_gt_f64_e64 s3, 0, v[111:112]
	v_cndmask_b32_e32 v48, v92, v92, vcc_lo
	v_cndmask_b32_e64 v99, v112, v50, s3
	v_cndmask_b32_e64 v50, v94, v94, s2
	s_delay_alu instid0(VALU_DEP_2) | instskip(NEXT) | instid1(VALU_DEP_2)
	v_add_f64 v[96:97], v[96:97], v[98:99]
	v_add_f64 v[48:49], v[48:49], v[50:51]
	s_delay_alu instid0(VALU_DEP_1) | instskip(SKIP_4) | instid1(SALU_CYCLE_1)
	v_cmp_lt_f64_e32 vcc_lo, v[48:49], v[96:97]
	v_dual_cndmask_b32 v93, v93, v110 :: v_dual_cndmask_b32 v92, v92, v109
	v_dual_cndmask_b32 v95, v95, v112 :: v_dual_cndmask_b32 v94, v94, v111
	v_cndmask_b32_e64 v100, v100, s6, vcc_lo
	s_add_i32 s6, s6, 1
	s_cmp_lg_u32 s5, s6
	s_cbranch_scc1 .LBB44_295
.LBB44_296:
	s_set_inst_prefetch_distance 0x2
	s_waitcnt lgkmcnt(0)
	v_cmp_eq_f64_e32 vcc_lo, 0, v[92:93]
	v_cmp_eq_f64_e64 s2, 0, v[94:95]
	s_delay_alu instid0(VALU_DEP_1) | instskip(NEXT) | instid1(SALU_CYCLE_1)
	s_and_b32 s2, vcc_lo, s2
	s_and_saveexec_b32 s3, s2
	s_delay_alu instid0(SALU_CYCLE_1)
	s_xor_b32 s2, exec_lo, s3
; %bb.297:
	v_cmp_ne_u32_e32 vcc_lo, 0, v106
	v_cndmask_b32_e32 v106, 15, v106, vcc_lo
; %bb.298:
	s_and_not1_saveexec_b32 s3, s2
	s_cbranch_execz .LBB44_304
; %bb.299:
	v_cmp_gt_f64_e32 vcc_lo, 0, v[92:93]
	v_cmp_gt_f64_e64 s2, 0, v[94:95]
	v_xor_b32_e32 v48, 0x80000000, v93
	v_xor_b32_e32 v50, 0x80000000, v95
	s_delay_alu instid0(VALU_DEP_2) | instskip(NEXT) | instid1(VALU_DEP_2)
	v_cndmask_b32_e32 v49, v93, v48, vcc_lo
	v_cndmask_b32_e64 v51, v95, v50, s2
	v_cndmask_b32_e32 v48, v92, v92, vcc_lo
	v_cndmask_b32_e64 v50, v94, v94, s2
	s_mov_b32 s2, exec_lo
	s_delay_alu instid0(VALU_DEP_1)
	v_cmpx_ngt_f64_e32 v[48:49], v[50:51]
	s_xor_b32 s2, exec_lo, s2
	s_cbranch_execz .LBB44_301
; %bb.300:
	v_div_scale_f64 v[48:49], null, v[94:95], v[94:95], v[92:93]
	v_div_scale_f64 v[98:99], vcc_lo, v[92:93], v[94:95], v[92:93]
	s_delay_alu instid0(VALU_DEP_2) | instskip(SKIP_2) | instid1(VALU_DEP_1)
	v_rcp_f64_e32 v[50:51], v[48:49]
	s_waitcnt_depctr 0xfff
	v_fma_f64 v[96:97], -v[48:49], v[50:51], 1.0
	v_fma_f64 v[50:51], v[50:51], v[96:97], v[50:51]
	s_delay_alu instid0(VALU_DEP_1) | instskip(NEXT) | instid1(VALU_DEP_1)
	v_fma_f64 v[96:97], -v[48:49], v[50:51], 1.0
	v_fma_f64 v[50:51], v[50:51], v[96:97], v[50:51]
	s_delay_alu instid0(VALU_DEP_1) | instskip(NEXT) | instid1(VALU_DEP_1)
	v_mul_f64 v[96:97], v[98:99], v[50:51]
	v_fma_f64 v[48:49], -v[48:49], v[96:97], v[98:99]
	s_delay_alu instid0(VALU_DEP_1) | instskip(NEXT) | instid1(VALU_DEP_1)
	v_div_fmas_f64 v[48:49], v[48:49], v[50:51], v[96:97]
	v_div_fixup_f64 v[48:49], v[48:49], v[94:95], v[92:93]
	s_delay_alu instid0(VALU_DEP_1) | instskip(NEXT) | instid1(VALU_DEP_1)
	v_fma_f64 v[50:51], v[92:93], v[48:49], v[94:95]
	v_div_scale_f64 v[92:93], null, v[50:51], v[50:51], 1.0
	s_delay_alu instid0(VALU_DEP_1) | instskip(SKIP_2) | instid1(VALU_DEP_1)
	v_rcp_f64_e32 v[94:95], v[92:93]
	s_waitcnt_depctr 0xfff
	v_fma_f64 v[96:97], -v[92:93], v[94:95], 1.0
	v_fma_f64 v[94:95], v[94:95], v[96:97], v[94:95]
	s_delay_alu instid0(VALU_DEP_1) | instskip(NEXT) | instid1(VALU_DEP_1)
	v_fma_f64 v[96:97], -v[92:93], v[94:95], 1.0
	v_fma_f64 v[94:95], v[94:95], v[96:97], v[94:95]
	v_div_scale_f64 v[96:97], vcc_lo, 1.0, v[50:51], 1.0
	s_delay_alu instid0(VALU_DEP_1) | instskip(NEXT) | instid1(VALU_DEP_1)
	v_mul_f64 v[98:99], v[96:97], v[94:95]
	v_fma_f64 v[92:93], -v[92:93], v[98:99], v[96:97]
	s_delay_alu instid0(VALU_DEP_1) | instskip(NEXT) | instid1(VALU_DEP_1)
	v_div_fmas_f64 v[92:93], v[92:93], v[94:95], v[98:99]
	v_div_fixup_f64 v[94:95], v[92:93], v[50:51], 1.0
	s_delay_alu instid0(VALU_DEP_1)
	v_mul_f64 v[92:93], v[48:49], v[94:95]
	v_xor_b32_e32 v95, 0x80000000, v95
.LBB44_301:
	s_and_not1_saveexec_b32 s2, s2
	s_cbranch_execz .LBB44_303
; %bb.302:
	s_delay_alu instid0(VALU_DEP_1) | instskip(SKIP_1) | instid1(VALU_DEP_2)
	v_div_scale_f64 v[48:49], null, v[92:93], v[92:93], v[94:95]
	v_div_scale_f64 v[98:99], vcc_lo, v[94:95], v[92:93], v[94:95]
	v_rcp_f64_e32 v[50:51], v[48:49]
	s_waitcnt_depctr 0xfff
	v_fma_f64 v[96:97], -v[48:49], v[50:51], 1.0
	s_delay_alu instid0(VALU_DEP_1) | instskip(NEXT) | instid1(VALU_DEP_1)
	v_fma_f64 v[50:51], v[50:51], v[96:97], v[50:51]
	v_fma_f64 v[96:97], -v[48:49], v[50:51], 1.0
	s_delay_alu instid0(VALU_DEP_1) | instskip(NEXT) | instid1(VALU_DEP_1)
	v_fma_f64 v[50:51], v[50:51], v[96:97], v[50:51]
	v_mul_f64 v[96:97], v[98:99], v[50:51]
	s_delay_alu instid0(VALU_DEP_1) | instskip(NEXT) | instid1(VALU_DEP_1)
	v_fma_f64 v[48:49], -v[48:49], v[96:97], v[98:99]
	v_div_fmas_f64 v[48:49], v[48:49], v[50:51], v[96:97]
	s_delay_alu instid0(VALU_DEP_1) | instskip(NEXT) | instid1(VALU_DEP_1)
	v_div_fixup_f64 v[48:49], v[48:49], v[92:93], v[94:95]
	v_fma_f64 v[50:51], v[94:95], v[48:49], v[92:93]
	s_delay_alu instid0(VALU_DEP_1) | instskip(NEXT) | instid1(VALU_DEP_1)
	v_div_scale_f64 v[92:93], null, v[50:51], v[50:51], 1.0
	v_rcp_f64_e32 v[94:95], v[92:93]
	s_waitcnt_depctr 0xfff
	v_fma_f64 v[96:97], -v[92:93], v[94:95], 1.0
	s_delay_alu instid0(VALU_DEP_1) | instskip(NEXT) | instid1(VALU_DEP_1)
	v_fma_f64 v[94:95], v[94:95], v[96:97], v[94:95]
	v_fma_f64 v[96:97], -v[92:93], v[94:95], 1.0
	s_delay_alu instid0(VALU_DEP_1) | instskip(SKIP_1) | instid1(VALU_DEP_1)
	v_fma_f64 v[94:95], v[94:95], v[96:97], v[94:95]
	v_div_scale_f64 v[96:97], vcc_lo, 1.0, v[50:51], 1.0
	v_mul_f64 v[98:99], v[96:97], v[94:95]
	s_delay_alu instid0(VALU_DEP_1) | instskip(NEXT) | instid1(VALU_DEP_1)
	v_fma_f64 v[92:93], -v[92:93], v[98:99], v[96:97]
	v_div_fmas_f64 v[92:93], v[92:93], v[94:95], v[98:99]
	s_delay_alu instid0(VALU_DEP_1) | instskip(NEXT) | instid1(VALU_DEP_1)
	v_div_fixup_f64 v[92:93], v[92:93], v[50:51], 1.0
	v_mul_f64 v[94:95], v[48:49], -v[92:93]
.LBB44_303:
	s_or_b32 exec_lo, exec_lo, s2
.LBB44_304:
	s_delay_alu instid0(SALU_CYCLE_1) | instskip(NEXT) | instid1(SALU_CYCLE_1)
	s_or_b32 exec_lo, exec_lo, s3
	s_mov_b32 s2, exec_lo
	v_cmpx_ne_u32_e64 v108, v100
	s_xor_b32 s2, exec_lo, s2
	s_cbranch_execz .LBB44_310
; %bb.305:
	s_mov_b32 s3, exec_lo
	v_cmpx_eq_u32_e32 14, v108
	s_cbranch_execz .LBB44_309
; %bb.306:
	v_cmp_ne_u32_e32 vcc_lo, 14, v100
	s_xor_b32 s6, s4, -1
	s_delay_alu instid0(SALU_CYCLE_1) | instskip(NEXT) | instid1(SALU_CYCLE_1)
	s_and_b32 s7, s6, vcc_lo
	s_and_saveexec_b32 s6, s7
	s_cbranch_execz .LBB44_308
; %bb.307:
	v_ashrrev_i32_e32 v101, 31, v100
	s_delay_alu instid0(VALU_DEP_1) | instskip(NEXT) | instid1(VALU_DEP_1)
	v_lshlrev_b64 v[48:49], 2, v[100:101]
	v_add_co_u32 v48, vcc_lo, v239, v48
	s_delay_alu instid0(VALU_DEP_2)
	v_add_co_ci_u32_e32 v49, vcc_lo, v240, v49, vcc_lo
	s_clause 0x1
	flat_load_b32 v50, v[48:49]
	flat_load_b32 v51, v[239:240] offset:56
	s_waitcnt vmcnt(1) lgkmcnt(1)
	flat_store_b32 v[239:240], v50 offset:56
	s_waitcnt vmcnt(0) lgkmcnt(1)
	flat_store_b32 v[48:49], v51
.LBB44_308:
	s_or_b32 exec_lo, exec_lo, s6
	v_mov_b32_e32 v108, v100
	v_mov_b32_e32 v105, v100
.LBB44_309:
	s_or_b32 exec_lo, exec_lo, s3
.LBB44_310:
	s_and_not1_saveexec_b32 s2, s2
	s_cbranch_execz .LBB44_312
; %bb.311:
	v_mov_b32_e32 v108, 14
	ds_store_2addr_b64 v102, v[36:37], v[38:39] offset0:30 offset1:31
	ds_store_2addr_b64 v102, v[24:25], v[26:27] offset0:32 offset1:33
	;; [unrolled: 1-line block ×8, first 2 shown]
.LBB44_312:
	s_or_b32 exec_lo, exec_lo, s2
	s_delay_alu instid0(SALU_CYCLE_1)
	s_mov_b32 s2, exec_lo
	s_waitcnt lgkmcnt(0)
	s_waitcnt_vscnt null, 0x0
	s_barrier
	buffer_gl0_inv
	v_cmpx_lt_i32_e32 14, v108
	s_cbranch_execz .LBB44_314
; %bb.313:
	v_mul_f64 v[48:49], v[92:93], v[42:43]
	v_mul_f64 v[42:43], v[94:95], v[42:43]
	ds_load_2addr_b64 v[109:112], v102 offset0:30 offset1:31
	ds_load_2addr_b64 v[113:116], v102 offset0:32 offset1:33
	;; [unrolled: 1-line block ×8, first 2 shown]
	v_fma_f64 v[48:49], v[94:95], v[40:41], v[48:49]
	v_fma_f64 v[40:41], v[92:93], v[40:41], -v[42:43]
	s_waitcnt lgkmcnt(7)
	s_delay_alu instid0(VALU_DEP_2)
	v_mul_f64 v[42:43], v[111:112], v[48:49]
	v_mul_f64 v[50:51], v[109:110], v[48:49]
	s_waitcnt lgkmcnt(6)
	v_mul_f64 v[92:93], v[115:116], v[48:49]
	v_mul_f64 v[94:95], v[113:114], v[48:49]
	s_waitcnt lgkmcnt(5)
	;; [unrolled: 3-line block ×7, first 2 shown]
	v_mul_f64 v[155:156], v[139:140], v[48:49]
	v_mul_f64 v[157:158], v[137:138], v[48:49]
	v_fma_f64 v[42:43], v[109:110], v[40:41], -v[42:43]
	v_fma_f64 v[50:51], v[111:112], v[40:41], v[50:51]
	v_fma_f64 v[92:93], v[113:114], v[40:41], -v[92:93]
	v_fma_f64 v[94:95], v[115:116], v[40:41], v[94:95]
	;; [unrolled: 2-line block ×8, first 2 shown]
	v_add_f64 v[36:37], v[36:37], -v[42:43]
	v_add_f64 v[38:39], v[38:39], -v[50:51]
	;; [unrolled: 1-line block ×16, first 2 shown]
	v_dual_mov_b32 v42, v48 :: v_dual_mov_b32 v43, v49
.LBB44_314:
	s_or_b32 exec_lo, exec_lo, s2
	v_lshl_add_u32 v48, v108, 4, v102
	s_barrier
	buffer_gl0_inv
	v_mov_b32_e32 v100, 15
	ds_store_2addr_b64 v48, v[36:37], v[38:39] offset1:1
	s_waitcnt lgkmcnt(0)
	s_barrier
	buffer_gl0_inv
	ds_load_2addr_b64 v[92:95], v102 offset0:30 offset1:31
	s_cmp_lt_i32 s5, 17
	s_cbranch_scc1 .LBB44_317
; %bb.315:
	v_add3_u32 v101, v107, 0, 0x100
	v_mov_b32_e32 v100, 15
	s_mov_b32 s6, 16
	s_set_inst_prefetch_distance 0x1
	.p2align	6
.LBB44_316:                             ; =>This Inner Loop Header: Depth=1
	ds_load_2addr_b64 v[109:112], v101 offset1:1
	s_waitcnt lgkmcnt(1)
	v_cmp_gt_f64_e32 vcc_lo, 0, v[92:93]
	v_xor_b32_e32 v48, 0x80000000, v93
	v_cmp_gt_f64_e64 s2, 0, v[94:95]
	v_xor_b32_e32 v50, 0x80000000, v95
	v_add_nc_u32_e32 v101, 16, v101
	s_waitcnt lgkmcnt(0)
	v_cmp_gt_f64_e64 s3, 0, v[109:110]
	v_mov_b32_e32 v96, v109
	v_dual_mov_b32 v98, v111 :: v_dual_cndmask_b32 v49, v93, v48
	v_xor_b32_e32 v48, 0x80000000, v110
	v_cndmask_b32_e64 v51, v95, v50, s2
	v_xor_b32_e32 v50, 0x80000000, v112
	s_delay_alu instid0(VALU_DEP_3) | instskip(SKIP_2) | instid1(VALU_DEP_2)
	v_cndmask_b32_e64 v97, v110, v48, s3
	v_cmp_gt_f64_e64 s3, 0, v[111:112]
	v_cndmask_b32_e32 v48, v92, v92, vcc_lo
	v_cndmask_b32_e64 v99, v112, v50, s3
	v_cndmask_b32_e64 v50, v94, v94, s2
	s_delay_alu instid0(VALU_DEP_2) | instskip(NEXT) | instid1(VALU_DEP_2)
	v_add_f64 v[96:97], v[96:97], v[98:99]
	v_add_f64 v[48:49], v[48:49], v[50:51]
	s_delay_alu instid0(VALU_DEP_1) | instskip(SKIP_4) | instid1(SALU_CYCLE_1)
	v_cmp_lt_f64_e32 vcc_lo, v[48:49], v[96:97]
	v_dual_cndmask_b32 v93, v93, v110 :: v_dual_cndmask_b32 v92, v92, v109
	v_dual_cndmask_b32 v95, v95, v112 :: v_dual_cndmask_b32 v94, v94, v111
	v_cndmask_b32_e64 v100, v100, s6, vcc_lo
	s_add_i32 s6, s6, 1
	s_cmp_lg_u32 s5, s6
	s_cbranch_scc1 .LBB44_316
.LBB44_317:
	s_set_inst_prefetch_distance 0x2
	s_waitcnt lgkmcnt(0)
	v_cmp_eq_f64_e32 vcc_lo, 0, v[92:93]
	v_cmp_eq_f64_e64 s2, 0, v[94:95]
	s_delay_alu instid0(VALU_DEP_1) | instskip(NEXT) | instid1(SALU_CYCLE_1)
	s_and_b32 s2, vcc_lo, s2
	s_and_saveexec_b32 s3, s2
	s_delay_alu instid0(SALU_CYCLE_1)
	s_xor_b32 s2, exec_lo, s3
; %bb.318:
	v_cmp_ne_u32_e32 vcc_lo, 0, v106
	v_cndmask_b32_e32 v106, 16, v106, vcc_lo
; %bb.319:
	s_and_not1_saveexec_b32 s3, s2
	s_cbranch_execz .LBB44_325
; %bb.320:
	v_cmp_gt_f64_e32 vcc_lo, 0, v[92:93]
	v_cmp_gt_f64_e64 s2, 0, v[94:95]
	v_xor_b32_e32 v48, 0x80000000, v93
	v_xor_b32_e32 v50, 0x80000000, v95
	s_delay_alu instid0(VALU_DEP_2) | instskip(NEXT) | instid1(VALU_DEP_2)
	v_cndmask_b32_e32 v49, v93, v48, vcc_lo
	v_cndmask_b32_e64 v51, v95, v50, s2
	v_cndmask_b32_e32 v48, v92, v92, vcc_lo
	v_cndmask_b32_e64 v50, v94, v94, s2
	s_mov_b32 s2, exec_lo
	s_delay_alu instid0(VALU_DEP_1)
	v_cmpx_ngt_f64_e32 v[48:49], v[50:51]
	s_xor_b32 s2, exec_lo, s2
	s_cbranch_execz .LBB44_322
; %bb.321:
	v_div_scale_f64 v[48:49], null, v[94:95], v[94:95], v[92:93]
	v_div_scale_f64 v[98:99], vcc_lo, v[92:93], v[94:95], v[92:93]
	s_delay_alu instid0(VALU_DEP_2) | instskip(SKIP_2) | instid1(VALU_DEP_1)
	v_rcp_f64_e32 v[50:51], v[48:49]
	s_waitcnt_depctr 0xfff
	v_fma_f64 v[96:97], -v[48:49], v[50:51], 1.0
	v_fma_f64 v[50:51], v[50:51], v[96:97], v[50:51]
	s_delay_alu instid0(VALU_DEP_1) | instskip(NEXT) | instid1(VALU_DEP_1)
	v_fma_f64 v[96:97], -v[48:49], v[50:51], 1.0
	v_fma_f64 v[50:51], v[50:51], v[96:97], v[50:51]
	s_delay_alu instid0(VALU_DEP_1) | instskip(NEXT) | instid1(VALU_DEP_1)
	v_mul_f64 v[96:97], v[98:99], v[50:51]
	v_fma_f64 v[48:49], -v[48:49], v[96:97], v[98:99]
	s_delay_alu instid0(VALU_DEP_1) | instskip(NEXT) | instid1(VALU_DEP_1)
	v_div_fmas_f64 v[48:49], v[48:49], v[50:51], v[96:97]
	v_div_fixup_f64 v[48:49], v[48:49], v[94:95], v[92:93]
	s_delay_alu instid0(VALU_DEP_1) | instskip(NEXT) | instid1(VALU_DEP_1)
	v_fma_f64 v[50:51], v[92:93], v[48:49], v[94:95]
	v_div_scale_f64 v[92:93], null, v[50:51], v[50:51], 1.0
	s_delay_alu instid0(VALU_DEP_1) | instskip(SKIP_2) | instid1(VALU_DEP_1)
	v_rcp_f64_e32 v[94:95], v[92:93]
	s_waitcnt_depctr 0xfff
	v_fma_f64 v[96:97], -v[92:93], v[94:95], 1.0
	v_fma_f64 v[94:95], v[94:95], v[96:97], v[94:95]
	s_delay_alu instid0(VALU_DEP_1) | instskip(NEXT) | instid1(VALU_DEP_1)
	v_fma_f64 v[96:97], -v[92:93], v[94:95], 1.0
	v_fma_f64 v[94:95], v[94:95], v[96:97], v[94:95]
	v_div_scale_f64 v[96:97], vcc_lo, 1.0, v[50:51], 1.0
	s_delay_alu instid0(VALU_DEP_1) | instskip(NEXT) | instid1(VALU_DEP_1)
	v_mul_f64 v[98:99], v[96:97], v[94:95]
	v_fma_f64 v[92:93], -v[92:93], v[98:99], v[96:97]
	s_delay_alu instid0(VALU_DEP_1) | instskip(NEXT) | instid1(VALU_DEP_1)
	v_div_fmas_f64 v[92:93], v[92:93], v[94:95], v[98:99]
	v_div_fixup_f64 v[94:95], v[92:93], v[50:51], 1.0
	s_delay_alu instid0(VALU_DEP_1)
	v_mul_f64 v[92:93], v[48:49], v[94:95]
	v_xor_b32_e32 v95, 0x80000000, v95
.LBB44_322:
	s_and_not1_saveexec_b32 s2, s2
	s_cbranch_execz .LBB44_324
; %bb.323:
	s_delay_alu instid0(VALU_DEP_1) | instskip(SKIP_1) | instid1(VALU_DEP_2)
	v_div_scale_f64 v[48:49], null, v[92:93], v[92:93], v[94:95]
	v_div_scale_f64 v[98:99], vcc_lo, v[94:95], v[92:93], v[94:95]
	v_rcp_f64_e32 v[50:51], v[48:49]
	s_waitcnt_depctr 0xfff
	v_fma_f64 v[96:97], -v[48:49], v[50:51], 1.0
	s_delay_alu instid0(VALU_DEP_1) | instskip(NEXT) | instid1(VALU_DEP_1)
	v_fma_f64 v[50:51], v[50:51], v[96:97], v[50:51]
	v_fma_f64 v[96:97], -v[48:49], v[50:51], 1.0
	s_delay_alu instid0(VALU_DEP_1) | instskip(NEXT) | instid1(VALU_DEP_1)
	v_fma_f64 v[50:51], v[50:51], v[96:97], v[50:51]
	v_mul_f64 v[96:97], v[98:99], v[50:51]
	s_delay_alu instid0(VALU_DEP_1) | instskip(NEXT) | instid1(VALU_DEP_1)
	v_fma_f64 v[48:49], -v[48:49], v[96:97], v[98:99]
	v_div_fmas_f64 v[48:49], v[48:49], v[50:51], v[96:97]
	s_delay_alu instid0(VALU_DEP_1) | instskip(NEXT) | instid1(VALU_DEP_1)
	v_div_fixup_f64 v[48:49], v[48:49], v[92:93], v[94:95]
	v_fma_f64 v[50:51], v[94:95], v[48:49], v[92:93]
	s_delay_alu instid0(VALU_DEP_1) | instskip(NEXT) | instid1(VALU_DEP_1)
	v_div_scale_f64 v[92:93], null, v[50:51], v[50:51], 1.0
	v_rcp_f64_e32 v[94:95], v[92:93]
	s_waitcnt_depctr 0xfff
	v_fma_f64 v[96:97], -v[92:93], v[94:95], 1.0
	s_delay_alu instid0(VALU_DEP_1) | instskip(NEXT) | instid1(VALU_DEP_1)
	v_fma_f64 v[94:95], v[94:95], v[96:97], v[94:95]
	v_fma_f64 v[96:97], -v[92:93], v[94:95], 1.0
	s_delay_alu instid0(VALU_DEP_1) | instskip(SKIP_1) | instid1(VALU_DEP_1)
	v_fma_f64 v[94:95], v[94:95], v[96:97], v[94:95]
	v_div_scale_f64 v[96:97], vcc_lo, 1.0, v[50:51], 1.0
	v_mul_f64 v[98:99], v[96:97], v[94:95]
	s_delay_alu instid0(VALU_DEP_1) | instskip(NEXT) | instid1(VALU_DEP_1)
	v_fma_f64 v[92:93], -v[92:93], v[98:99], v[96:97]
	v_div_fmas_f64 v[92:93], v[92:93], v[94:95], v[98:99]
	s_delay_alu instid0(VALU_DEP_1) | instskip(NEXT) | instid1(VALU_DEP_1)
	v_div_fixup_f64 v[92:93], v[92:93], v[50:51], 1.0
	v_mul_f64 v[94:95], v[48:49], -v[92:93]
.LBB44_324:
	s_or_b32 exec_lo, exec_lo, s2
.LBB44_325:
	s_delay_alu instid0(SALU_CYCLE_1) | instskip(NEXT) | instid1(SALU_CYCLE_1)
	s_or_b32 exec_lo, exec_lo, s3
	s_mov_b32 s2, exec_lo
	v_cmpx_ne_u32_e64 v108, v100
	s_xor_b32 s2, exec_lo, s2
	s_cbranch_execz .LBB44_331
; %bb.326:
	s_mov_b32 s3, exec_lo
	v_cmpx_eq_u32_e32 15, v108
	s_cbranch_execz .LBB44_330
; %bb.327:
	v_cmp_ne_u32_e32 vcc_lo, 15, v100
	s_xor_b32 s6, s4, -1
	s_delay_alu instid0(SALU_CYCLE_1) | instskip(NEXT) | instid1(SALU_CYCLE_1)
	s_and_b32 s7, s6, vcc_lo
	s_and_saveexec_b32 s6, s7
	s_cbranch_execz .LBB44_329
; %bb.328:
	v_ashrrev_i32_e32 v101, 31, v100
	s_delay_alu instid0(VALU_DEP_1) | instskip(NEXT) | instid1(VALU_DEP_1)
	v_lshlrev_b64 v[48:49], 2, v[100:101]
	v_add_co_u32 v48, vcc_lo, v239, v48
	s_delay_alu instid0(VALU_DEP_2)
	v_add_co_ci_u32_e32 v49, vcc_lo, v240, v49, vcc_lo
	s_clause 0x1
	flat_load_b32 v50, v[48:49]
	flat_load_b32 v51, v[239:240] offset:60
	s_waitcnt vmcnt(1) lgkmcnt(1)
	flat_store_b32 v[239:240], v50 offset:60
	s_waitcnt vmcnt(0) lgkmcnt(1)
	flat_store_b32 v[48:49], v51
.LBB44_329:
	s_or_b32 exec_lo, exec_lo, s6
	v_mov_b32_e32 v108, v100
	v_mov_b32_e32 v105, v100
.LBB44_330:
	s_or_b32 exec_lo, exec_lo, s3
.LBB44_331:
	s_and_not1_saveexec_b32 s2, s2
	s_cbranch_execz .LBB44_333
; %bb.332:
	v_mov_b32_e32 v108, 15
	ds_store_2addr_b64 v102, v[24:25], v[26:27] offset0:32 offset1:33
	ds_store_2addr_b64 v102, v[20:21], v[22:23] offset0:34 offset1:35
	;; [unrolled: 1-line block ×7, first 2 shown]
.LBB44_333:
	s_or_b32 exec_lo, exec_lo, s2
	s_delay_alu instid0(SALU_CYCLE_1)
	s_mov_b32 s2, exec_lo
	s_waitcnt lgkmcnt(0)
	s_waitcnt_vscnt null, 0x0
	s_barrier
	buffer_gl0_inv
	v_cmpx_lt_i32_e32 15, v108
	s_cbranch_execz .LBB44_335
; %bb.334:
	v_mul_f64 v[48:49], v[92:93], v[38:39]
	v_mul_f64 v[38:39], v[94:95], v[38:39]
	ds_load_2addr_b64 v[109:112], v102 offset0:32 offset1:33
	ds_load_2addr_b64 v[113:116], v102 offset0:34 offset1:35
	;; [unrolled: 1-line block ×7, first 2 shown]
	v_fma_f64 v[48:49], v[94:95], v[36:37], v[48:49]
	v_fma_f64 v[36:37], v[92:93], v[36:37], -v[38:39]
	s_waitcnt lgkmcnt(6)
	s_delay_alu instid0(VALU_DEP_2)
	v_mul_f64 v[38:39], v[111:112], v[48:49]
	v_mul_f64 v[50:51], v[109:110], v[48:49]
	s_waitcnt lgkmcnt(5)
	v_mul_f64 v[92:93], v[115:116], v[48:49]
	v_mul_f64 v[94:95], v[113:114], v[48:49]
	s_waitcnt lgkmcnt(4)
	v_mul_f64 v[96:97], v[119:120], v[48:49]
	v_mul_f64 v[98:99], v[117:118], v[48:49]
	s_waitcnt lgkmcnt(3)
	v_mul_f64 v[100:101], v[123:124], v[48:49]
	v_mul_f64 v[137:138], v[121:122], v[48:49]
	s_waitcnt lgkmcnt(2)
	v_mul_f64 v[139:140], v[127:128], v[48:49]
	v_mul_f64 v[141:142], v[125:126], v[48:49]
	s_waitcnt lgkmcnt(1)
	v_mul_f64 v[143:144], v[131:132], v[48:49]
	v_mul_f64 v[145:146], v[129:130], v[48:49]
	s_waitcnt lgkmcnt(0)
	v_mul_f64 v[147:148], v[135:136], v[48:49]
	v_mul_f64 v[149:150], v[133:134], v[48:49]
	v_fma_f64 v[38:39], v[109:110], v[36:37], -v[38:39]
	v_fma_f64 v[50:51], v[111:112], v[36:37], v[50:51]
	v_fma_f64 v[92:93], v[113:114], v[36:37], -v[92:93]
	v_fma_f64 v[94:95], v[115:116], v[36:37], v[94:95]
	;; [unrolled: 2-line block ×7, first 2 shown]
	v_add_f64 v[24:25], v[24:25], -v[38:39]
	v_add_f64 v[26:27], v[26:27], -v[50:51]
	;; [unrolled: 1-line block ×14, first 2 shown]
	v_dual_mov_b32 v38, v48 :: v_dual_mov_b32 v39, v49
.LBB44_335:
	s_or_b32 exec_lo, exec_lo, s2
	v_lshl_add_u32 v48, v108, 4, v102
	s_barrier
	buffer_gl0_inv
	v_mov_b32_e32 v100, 16
	ds_store_2addr_b64 v48, v[24:25], v[26:27] offset1:1
	s_waitcnt lgkmcnt(0)
	s_barrier
	buffer_gl0_inv
	ds_load_2addr_b64 v[92:95], v102 offset0:32 offset1:33
	s_cmp_lt_i32 s5, 18
	s_cbranch_scc1 .LBB44_338
; %bb.336:
	v_add3_u32 v101, v107, 0, 0x110
	v_mov_b32_e32 v100, 16
	s_mov_b32 s6, 17
	s_set_inst_prefetch_distance 0x1
	.p2align	6
.LBB44_337:                             ; =>This Inner Loop Header: Depth=1
	ds_load_2addr_b64 v[109:112], v101 offset1:1
	s_waitcnt lgkmcnt(1)
	v_cmp_gt_f64_e32 vcc_lo, 0, v[92:93]
	v_xor_b32_e32 v48, 0x80000000, v93
	v_cmp_gt_f64_e64 s2, 0, v[94:95]
	v_xor_b32_e32 v50, 0x80000000, v95
	v_add_nc_u32_e32 v101, 16, v101
	s_waitcnt lgkmcnt(0)
	v_cmp_gt_f64_e64 s3, 0, v[109:110]
	v_mov_b32_e32 v96, v109
	v_dual_mov_b32 v98, v111 :: v_dual_cndmask_b32 v49, v93, v48
	v_xor_b32_e32 v48, 0x80000000, v110
	v_cndmask_b32_e64 v51, v95, v50, s2
	v_xor_b32_e32 v50, 0x80000000, v112
	s_delay_alu instid0(VALU_DEP_3) | instskip(SKIP_2) | instid1(VALU_DEP_2)
	v_cndmask_b32_e64 v97, v110, v48, s3
	v_cmp_gt_f64_e64 s3, 0, v[111:112]
	v_cndmask_b32_e32 v48, v92, v92, vcc_lo
	v_cndmask_b32_e64 v99, v112, v50, s3
	v_cndmask_b32_e64 v50, v94, v94, s2
	s_delay_alu instid0(VALU_DEP_2) | instskip(NEXT) | instid1(VALU_DEP_2)
	v_add_f64 v[96:97], v[96:97], v[98:99]
	v_add_f64 v[48:49], v[48:49], v[50:51]
	s_delay_alu instid0(VALU_DEP_1) | instskip(SKIP_4) | instid1(SALU_CYCLE_1)
	v_cmp_lt_f64_e32 vcc_lo, v[48:49], v[96:97]
	v_dual_cndmask_b32 v93, v93, v110 :: v_dual_cndmask_b32 v92, v92, v109
	v_dual_cndmask_b32 v95, v95, v112 :: v_dual_cndmask_b32 v94, v94, v111
	v_cndmask_b32_e64 v100, v100, s6, vcc_lo
	s_add_i32 s6, s6, 1
	s_cmp_lg_u32 s5, s6
	s_cbranch_scc1 .LBB44_337
.LBB44_338:
	s_set_inst_prefetch_distance 0x2
	s_waitcnt lgkmcnt(0)
	v_cmp_eq_f64_e32 vcc_lo, 0, v[92:93]
	v_cmp_eq_f64_e64 s2, 0, v[94:95]
	s_delay_alu instid0(VALU_DEP_1) | instskip(NEXT) | instid1(SALU_CYCLE_1)
	s_and_b32 s2, vcc_lo, s2
	s_and_saveexec_b32 s3, s2
	s_delay_alu instid0(SALU_CYCLE_1)
	s_xor_b32 s2, exec_lo, s3
; %bb.339:
	v_cmp_ne_u32_e32 vcc_lo, 0, v106
	v_cndmask_b32_e32 v106, 17, v106, vcc_lo
; %bb.340:
	s_and_not1_saveexec_b32 s3, s2
	s_cbranch_execz .LBB44_346
; %bb.341:
	v_cmp_gt_f64_e32 vcc_lo, 0, v[92:93]
	v_cmp_gt_f64_e64 s2, 0, v[94:95]
	v_xor_b32_e32 v48, 0x80000000, v93
	v_xor_b32_e32 v50, 0x80000000, v95
	s_delay_alu instid0(VALU_DEP_2) | instskip(NEXT) | instid1(VALU_DEP_2)
	v_cndmask_b32_e32 v49, v93, v48, vcc_lo
	v_cndmask_b32_e64 v51, v95, v50, s2
	v_cndmask_b32_e32 v48, v92, v92, vcc_lo
	v_cndmask_b32_e64 v50, v94, v94, s2
	s_mov_b32 s2, exec_lo
	s_delay_alu instid0(VALU_DEP_1)
	v_cmpx_ngt_f64_e32 v[48:49], v[50:51]
	s_xor_b32 s2, exec_lo, s2
	s_cbranch_execz .LBB44_343
; %bb.342:
	v_div_scale_f64 v[48:49], null, v[94:95], v[94:95], v[92:93]
	v_div_scale_f64 v[98:99], vcc_lo, v[92:93], v[94:95], v[92:93]
	s_delay_alu instid0(VALU_DEP_2) | instskip(SKIP_2) | instid1(VALU_DEP_1)
	v_rcp_f64_e32 v[50:51], v[48:49]
	s_waitcnt_depctr 0xfff
	v_fma_f64 v[96:97], -v[48:49], v[50:51], 1.0
	v_fma_f64 v[50:51], v[50:51], v[96:97], v[50:51]
	s_delay_alu instid0(VALU_DEP_1) | instskip(NEXT) | instid1(VALU_DEP_1)
	v_fma_f64 v[96:97], -v[48:49], v[50:51], 1.0
	v_fma_f64 v[50:51], v[50:51], v[96:97], v[50:51]
	s_delay_alu instid0(VALU_DEP_1) | instskip(NEXT) | instid1(VALU_DEP_1)
	v_mul_f64 v[96:97], v[98:99], v[50:51]
	v_fma_f64 v[48:49], -v[48:49], v[96:97], v[98:99]
	s_delay_alu instid0(VALU_DEP_1) | instskip(NEXT) | instid1(VALU_DEP_1)
	v_div_fmas_f64 v[48:49], v[48:49], v[50:51], v[96:97]
	v_div_fixup_f64 v[48:49], v[48:49], v[94:95], v[92:93]
	s_delay_alu instid0(VALU_DEP_1) | instskip(NEXT) | instid1(VALU_DEP_1)
	v_fma_f64 v[50:51], v[92:93], v[48:49], v[94:95]
	v_div_scale_f64 v[92:93], null, v[50:51], v[50:51], 1.0
	s_delay_alu instid0(VALU_DEP_1) | instskip(SKIP_2) | instid1(VALU_DEP_1)
	v_rcp_f64_e32 v[94:95], v[92:93]
	s_waitcnt_depctr 0xfff
	v_fma_f64 v[96:97], -v[92:93], v[94:95], 1.0
	v_fma_f64 v[94:95], v[94:95], v[96:97], v[94:95]
	s_delay_alu instid0(VALU_DEP_1) | instskip(NEXT) | instid1(VALU_DEP_1)
	v_fma_f64 v[96:97], -v[92:93], v[94:95], 1.0
	v_fma_f64 v[94:95], v[94:95], v[96:97], v[94:95]
	v_div_scale_f64 v[96:97], vcc_lo, 1.0, v[50:51], 1.0
	s_delay_alu instid0(VALU_DEP_1) | instskip(NEXT) | instid1(VALU_DEP_1)
	v_mul_f64 v[98:99], v[96:97], v[94:95]
	v_fma_f64 v[92:93], -v[92:93], v[98:99], v[96:97]
	s_delay_alu instid0(VALU_DEP_1) | instskip(NEXT) | instid1(VALU_DEP_1)
	v_div_fmas_f64 v[92:93], v[92:93], v[94:95], v[98:99]
	v_div_fixup_f64 v[94:95], v[92:93], v[50:51], 1.0
	s_delay_alu instid0(VALU_DEP_1)
	v_mul_f64 v[92:93], v[48:49], v[94:95]
	v_xor_b32_e32 v95, 0x80000000, v95
.LBB44_343:
	s_and_not1_saveexec_b32 s2, s2
	s_cbranch_execz .LBB44_345
; %bb.344:
	s_delay_alu instid0(VALU_DEP_1) | instskip(SKIP_1) | instid1(VALU_DEP_2)
	v_div_scale_f64 v[48:49], null, v[92:93], v[92:93], v[94:95]
	v_div_scale_f64 v[98:99], vcc_lo, v[94:95], v[92:93], v[94:95]
	v_rcp_f64_e32 v[50:51], v[48:49]
	s_waitcnt_depctr 0xfff
	v_fma_f64 v[96:97], -v[48:49], v[50:51], 1.0
	s_delay_alu instid0(VALU_DEP_1) | instskip(NEXT) | instid1(VALU_DEP_1)
	v_fma_f64 v[50:51], v[50:51], v[96:97], v[50:51]
	v_fma_f64 v[96:97], -v[48:49], v[50:51], 1.0
	s_delay_alu instid0(VALU_DEP_1) | instskip(NEXT) | instid1(VALU_DEP_1)
	v_fma_f64 v[50:51], v[50:51], v[96:97], v[50:51]
	v_mul_f64 v[96:97], v[98:99], v[50:51]
	s_delay_alu instid0(VALU_DEP_1) | instskip(NEXT) | instid1(VALU_DEP_1)
	v_fma_f64 v[48:49], -v[48:49], v[96:97], v[98:99]
	v_div_fmas_f64 v[48:49], v[48:49], v[50:51], v[96:97]
	s_delay_alu instid0(VALU_DEP_1) | instskip(NEXT) | instid1(VALU_DEP_1)
	v_div_fixup_f64 v[48:49], v[48:49], v[92:93], v[94:95]
	v_fma_f64 v[50:51], v[94:95], v[48:49], v[92:93]
	s_delay_alu instid0(VALU_DEP_1) | instskip(NEXT) | instid1(VALU_DEP_1)
	v_div_scale_f64 v[92:93], null, v[50:51], v[50:51], 1.0
	v_rcp_f64_e32 v[94:95], v[92:93]
	s_waitcnt_depctr 0xfff
	v_fma_f64 v[96:97], -v[92:93], v[94:95], 1.0
	s_delay_alu instid0(VALU_DEP_1) | instskip(NEXT) | instid1(VALU_DEP_1)
	v_fma_f64 v[94:95], v[94:95], v[96:97], v[94:95]
	v_fma_f64 v[96:97], -v[92:93], v[94:95], 1.0
	s_delay_alu instid0(VALU_DEP_1) | instskip(SKIP_1) | instid1(VALU_DEP_1)
	v_fma_f64 v[94:95], v[94:95], v[96:97], v[94:95]
	v_div_scale_f64 v[96:97], vcc_lo, 1.0, v[50:51], 1.0
	v_mul_f64 v[98:99], v[96:97], v[94:95]
	s_delay_alu instid0(VALU_DEP_1) | instskip(NEXT) | instid1(VALU_DEP_1)
	v_fma_f64 v[92:93], -v[92:93], v[98:99], v[96:97]
	v_div_fmas_f64 v[92:93], v[92:93], v[94:95], v[98:99]
	s_delay_alu instid0(VALU_DEP_1) | instskip(NEXT) | instid1(VALU_DEP_1)
	v_div_fixup_f64 v[92:93], v[92:93], v[50:51], 1.0
	v_mul_f64 v[94:95], v[48:49], -v[92:93]
.LBB44_345:
	s_or_b32 exec_lo, exec_lo, s2
.LBB44_346:
	s_delay_alu instid0(SALU_CYCLE_1) | instskip(NEXT) | instid1(SALU_CYCLE_1)
	s_or_b32 exec_lo, exec_lo, s3
	s_mov_b32 s2, exec_lo
	v_cmpx_ne_u32_e64 v108, v100
	s_xor_b32 s2, exec_lo, s2
	s_cbranch_execz .LBB44_352
; %bb.347:
	s_mov_b32 s3, exec_lo
	v_cmpx_eq_u32_e32 16, v108
	s_cbranch_execz .LBB44_351
; %bb.348:
	v_cmp_ne_u32_e32 vcc_lo, 16, v100
	s_xor_b32 s6, s4, -1
	s_delay_alu instid0(SALU_CYCLE_1) | instskip(NEXT) | instid1(SALU_CYCLE_1)
	s_and_b32 s7, s6, vcc_lo
	s_and_saveexec_b32 s6, s7
	s_cbranch_execz .LBB44_350
; %bb.349:
	v_ashrrev_i32_e32 v101, 31, v100
	s_delay_alu instid0(VALU_DEP_1) | instskip(NEXT) | instid1(VALU_DEP_1)
	v_lshlrev_b64 v[48:49], 2, v[100:101]
	v_add_co_u32 v48, vcc_lo, v239, v48
	s_delay_alu instid0(VALU_DEP_2)
	v_add_co_ci_u32_e32 v49, vcc_lo, v240, v49, vcc_lo
	s_clause 0x1
	flat_load_b32 v50, v[48:49]
	flat_load_b32 v51, v[239:240] offset:64
	s_waitcnt vmcnt(1) lgkmcnt(1)
	flat_store_b32 v[239:240], v50 offset:64
	s_waitcnt vmcnt(0) lgkmcnt(1)
	flat_store_b32 v[48:49], v51
.LBB44_350:
	s_or_b32 exec_lo, exec_lo, s6
	v_mov_b32_e32 v108, v100
	v_mov_b32_e32 v105, v100
.LBB44_351:
	s_or_b32 exec_lo, exec_lo, s3
.LBB44_352:
	s_and_not1_saveexec_b32 s2, s2
	s_cbranch_execz .LBB44_354
; %bb.353:
	v_mov_b32_e32 v108, 16
	ds_store_2addr_b64 v102, v[20:21], v[22:23] offset0:34 offset1:35
	ds_store_2addr_b64 v102, v[8:9], v[10:11] offset0:36 offset1:37
	;; [unrolled: 1-line block ×6, first 2 shown]
.LBB44_354:
	s_or_b32 exec_lo, exec_lo, s2
	s_delay_alu instid0(SALU_CYCLE_1)
	s_mov_b32 s2, exec_lo
	s_waitcnt lgkmcnt(0)
	s_waitcnt_vscnt null, 0x0
	s_barrier
	buffer_gl0_inv
	v_cmpx_lt_i32_e32 16, v108
	s_cbranch_execz .LBB44_356
; %bb.355:
	v_mul_f64 v[48:49], v[92:93], v[26:27]
	v_mul_f64 v[26:27], v[94:95], v[26:27]
	ds_load_2addr_b64 v[109:112], v102 offset0:34 offset1:35
	ds_load_2addr_b64 v[113:116], v102 offset0:36 offset1:37
	ds_load_2addr_b64 v[117:120], v102 offset0:38 offset1:39
	ds_load_2addr_b64 v[121:124], v102 offset0:40 offset1:41
	ds_load_2addr_b64 v[125:128], v102 offset0:42 offset1:43
	ds_load_2addr_b64 v[129:132], v102 offset0:44 offset1:45
	v_fma_f64 v[48:49], v[94:95], v[24:25], v[48:49]
	v_fma_f64 v[24:25], v[92:93], v[24:25], -v[26:27]
	s_waitcnt lgkmcnt(5)
	s_delay_alu instid0(VALU_DEP_2)
	v_mul_f64 v[26:27], v[111:112], v[48:49]
	v_mul_f64 v[50:51], v[109:110], v[48:49]
	s_waitcnt lgkmcnt(4)
	v_mul_f64 v[92:93], v[115:116], v[48:49]
	v_mul_f64 v[94:95], v[113:114], v[48:49]
	s_waitcnt lgkmcnt(3)
	;; [unrolled: 3-line block ×5, first 2 shown]
	v_mul_f64 v[139:140], v[131:132], v[48:49]
	v_mul_f64 v[141:142], v[129:130], v[48:49]
	v_fma_f64 v[26:27], v[109:110], v[24:25], -v[26:27]
	v_fma_f64 v[50:51], v[111:112], v[24:25], v[50:51]
	v_fma_f64 v[92:93], v[113:114], v[24:25], -v[92:93]
	v_fma_f64 v[94:95], v[115:116], v[24:25], v[94:95]
	;; [unrolled: 2-line block ×6, first 2 shown]
	v_add_f64 v[20:21], v[20:21], -v[26:27]
	v_add_f64 v[22:23], v[22:23], -v[50:51]
	;; [unrolled: 1-line block ×12, first 2 shown]
	v_dual_mov_b32 v26, v48 :: v_dual_mov_b32 v27, v49
.LBB44_356:
	s_or_b32 exec_lo, exec_lo, s2
	v_lshl_add_u32 v48, v108, 4, v102
	s_barrier
	buffer_gl0_inv
	v_mov_b32_e32 v100, 17
	ds_store_2addr_b64 v48, v[20:21], v[22:23] offset1:1
	s_waitcnt lgkmcnt(0)
	s_barrier
	buffer_gl0_inv
	ds_load_2addr_b64 v[92:95], v102 offset0:34 offset1:35
	s_cmp_lt_i32 s5, 19
	s_cbranch_scc1 .LBB44_359
; %bb.357:
	v_add3_u32 v101, v107, 0, 0x120
	v_mov_b32_e32 v100, 17
	s_mov_b32 s6, 18
	s_set_inst_prefetch_distance 0x1
	.p2align	6
.LBB44_358:                             ; =>This Inner Loop Header: Depth=1
	ds_load_2addr_b64 v[109:112], v101 offset1:1
	s_waitcnt lgkmcnt(1)
	v_cmp_gt_f64_e32 vcc_lo, 0, v[92:93]
	v_xor_b32_e32 v48, 0x80000000, v93
	v_cmp_gt_f64_e64 s2, 0, v[94:95]
	v_xor_b32_e32 v50, 0x80000000, v95
	v_add_nc_u32_e32 v101, 16, v101
	s_waitcnt lgkmcnt(0)
	v_cmp_gt_f64_e64 s3, 0, v[109:110]
	v_mov_b32_e32 v96, v109
	v_dual_mov_b32 v98, v111 :: v_dual_cndmask_b32 v49, v93, v48
	v_xor_b32_e32 v48, 0x80000000, v110
	v_cndmask_b32_e64 v51, v95, v50, s2
	v_xor_b32_e32 v50, 0x80000000, v112
	s_delay_alu instid0(VALU_DEP_3) | instskip(SKIP_2) | instid1(VALU_DEP_2)
	v_cndmask_b32_e64 v97, v110, v48, s3
	v_cmp_gt_f64_e64 s3, 0, v[111:112]
	v_cndmask_b32_e32 v48, v92, v92, vcc_lo
	v_cndmask_b32_e64 v99, v112, v50, s3
	v_cndmask_b32_e64 v50, v94, v94, s2
	s_delay_alu instid0(VALU_DEP_2) | instskip(NEXT) | instid1(VALU_DEP_2)
	v_add_f64 v[96:97], v[96:97], v[98:99]
	v_add_f64 v[48:49], v[48:49], v[50:51]
	s_delay_alu instid0(VALU_DEP_1) | instskip(SKIP_4) | instid1(SALU_CYCLE_1)
	v_cmp_lt_f64_e32 vcc_lo, v[48:49], v[96:97]
	v_dual_cndmask_b32 v93, v93, v110 :: v_dual_cndmask_b32 v92, v92, v109
	v_dual_cndmask_b32 v95, v95, v112 :: v_dual_cndmask_b32 v94, v94, v111
	v_cndmask_b32_e64 v100, v100, s6, vcc_lo
	s_add_i32 s6, s6, 1
	s_cmp_lg_u32 s5, s6
	s_cbranch_scc1 .LBB44_358
.LBB44_359:
	s_set_inst_prefetch_distance 0x2
	s_waitcnt lgkmcnt(0)
	v_cmp_eq_f64_e32 vcc_lo, 0, v[92:93]
	v_cmp_eq_f64_e64 s2, 0, v[94:95]
	s_delay_alu instid0(VALU_DEP_1) | instskip(NEXT) | instid1(SALU_CYCLE_1)
	s_and_b32 s2, vcc_lo, s2
	s_and_saveexec_b32 s3, s2
	s_delay_alu instid0(SALU_CYCLE_1)
	s_xor_b32 s2, exec_lo, s3
; %bb.360:
	v_cmp_ne_u32_e32 vcc_lo, 0, v106
	v_cndmask_b32_e32 v106, 18, v106, vcc_lo
; %bb.361:
	s_and_not1_saveexec_b32 s3, s2
	s_cbranch_execz .LBB44_367
; %bb.362:
	v_cmp_gt_f64_e32 vcc_lo, 0, v[92:93]
	v_cmp_gt_f64_e64 s2, 0, v[94:95]
	v_xor_b32_e32 v48, 0x80000000, v93
	v_xor_b32_e32 v50, 0x80000000, v95
	s_delay_alu instid0(VALU_DEP_2) | instskip(NEXT) | instid1(VALU_DEP_2)
	v_cndmask_b32_e32 v49, v93, v48, vcc_lo
	v_cndmask_b32_e64 v51, v95, v50, s2
	v_cndmask_b32_e32 v48, v92, v92, vcc_lo
	v_cndmask_b32_e64 v50, v94, v94, s2
	s_mov_b32 s2, exec_lo
	s_delay_alu instid0(VALU_DEP_1)
	v_cmpx_ngt_f64_e32 v[48:49], v[50:51]
	s_xor_b32 s2, exec_lo, s2
	s_cbranch_execz .LBB44_364
; %bb.363:
	v_div_scale_f64 v[48:49], null, v[94:95], v[94:95], v[92:93]
	v_div_scale_f64 v[98:99], vcc_lo, v[92:93], v[94:95], v[92:93]
	s_delay_alu instid0(VALU_DEP_2) | instskip(SKIP_2) | instid1(VALU_DEP_1)
	v_rcp_f64_e32 v[50:51], v[48:49]
	s_waitcnt_depctr 0xfff
	v_fma_f64 v[96:97], -v[48:49], v[50:51], 1.0
	v_fma_f64 v[50:51], v[50:51], v[96:97], v[50:51]
	s_delay_alu instid0(VALU_DEP_1) | instskip(NEXT) | instid1(VALU_DEP_1)
	v_fma_f64 v[96:97], -v[48:49], v[50:51], 1.0
	v_fma_f64 v[50:51], v[50:51], v[96:97], v[50:51]
	s_delay_alu instid0(VALU_DEP_1) | instskip(NEXT) | instid1(VALU_DEP_1)
	v_mul_f64 v[96:97], v[98:99], v[50:51]
	v_fma_f64 v[48:49], -v[48:49], v[96:97], v[98:99]
	s_delay_alu instid0(VALU_DEP_1) | instskip(NEXT) | instid1(VALU_DEP_1)
	v_div_fmas_f64 v[48:49], v[48:49], v[50:51], v[96:97]
	v_div_fixup_f64 v[48:49], v[48:49], v[94:95], v[92:93]
	s_delay_alu instid0(VALU_DEP_1) | instskip(NEXT) | instid1(VALU_DEP_1)
	v_fma_f64 v[50:51], v[92:93], v[48:49], v[94:95]
	v_div_scale_f64 v[92:93], null, v[50:51], v[50:51], 1.0
	s_delay_alu instid0(VALU_DEP_1) | instskip(SKIP_2) | instid1(VALU_DEP_1)
	v_rcp_f64_e32 v[94:95], v[92:93]
	s_waitcnt_depctr 0xfff
	v_fma_f64 v[96:97], -v[92:93], v[94:95], 1.0
	v_fma_f64 v[94:95], v[94:95], v[96:97], v[94:95]
	s_delay_alu instid0(VALU_DEP_1) | instskip(NEXT) | instid1(VALU_DEP_1)
	v_fma_f64 v[96:97], -v[92:93], v[94:95], 1.0
	v_fma_f64 v[94:95], v[94:95], v[96:97], v[94:95]
	v_div_scale_f64 v[96:97], vcc_lo, 1.0, v[50:51], 1.0
	s_delay_alu instid0(VALU_DEP_1) | instskip(NEXT) | instid1(VALU_DEP_1)
	v_mul_f64 v[98:99], v[96:97], v[94:95]
	v_fma_f64 v[92:93], -v[92:93], v[98:99], v[96:97]
	s_delay_alu instid0(VALU_DEP_1) | instskip(NEXT) | instid1(VALU_DEP_1)
	v_div_fmas_f64 v[92:93], v[92:93], v[94:95], v[98:99]
	v_div_fixup_f64 v[94:95], v[92:93], v[50:51], 1.0
	s_delay_alu instid0(VALU_DEP_1)
	v_mul_f64 v[92:93], v[48:49], v[94:95]
	v_xor_b32_e32 v95, 0x80000000, v95
.LBB44_364:
	s_and_not1_saveexec_b32 s2, s2
	s_cbranch_execz .LBB44_366
; %bb.365:
	s_delay_alu instid0(VALU_DEP_1) | instskip(SKIP_1) | instid1(VALU_DEP_2)
	v_div_scale_f64 v[48:49], null, v[92:93], v[92:93], v[94:95]
	v_div_scale_f64 v[98:99], vcc_lo, v[94:95], v[92:93], v[94:95]
	v_rcp_f64_e32 v[50:51], v[48:49]
	s_waitcnt_depctr 0xfff
	v_fma_f64 v[96:97], -v[48:49], v[50:51], 1.0
	s_delay_alu instid0(VALU_DEP_1) | instskip(NEXT) | instid1(VALU_DEP_1)
	v_fma_f64 v[50:51], v[50:51], v[96:97], v[50:51]
	v_fma_f64 v[96:97], -v[48:49], v[50:51], 1.0
	s_delay_alu instid0(VALU_DEP_1) | instskip(NEXT) | instid1(VALU_DEP_1)
	v_fma_f64 v[50:51], v[50:51], v[96:97], v[50:51]
	v_mul_f64 v[96:97], v[98:99], v[50:51]
	s_delay_alu instid0(VALU_DEP_1) | instskip(NEXT) | instid1(VALU_DEP_1)
	v_fma_f64 v[48:49], -v[48:49], v[96:97], v[98:99]
	v_div_fmas_f64 v[48:49], v[48:49], v[50:51], v[96:97]
	s_delay_alu instid0(VALU_DEP_1) | instskip(NEXT) | instid1(VALU_DEP_1)
	v_div_fixup_f64 v[48:49], v[48:49], v[92:93], v[94:95]
	v_fma_f64 v[50:51], v[94:95], v[48:49], v[92:93]
	s_delay_alu instid0(VALU_DEP_1) | instskip(NEXT) | instid1(VALU_DEP_1)
	v_div_scale_f64 v[92:93], null, v[50:51], v[50:51], 1.0
	v_rcp_f64_e32 v[94:95], v[92:93]
	s_waitcnt_depctr 0xfff
	v_fma_f64 v[96:97], -v[92:93], v[94:95], 1.0
	s_delay_alu instid0(VALU_DEP_1) | instskip(NEXT) | instid1(VALU_DEP_1)
	v_fma_f64 v[94:95], v[94:95], v[96:97], v[94:95]
	v_fma_f64 v[96:97], -v[92:93], v[94:95], 1.0
	s_delay_alu instid0(VALU_DEP_1) | instskip(SKIP_1) | instid1(VALU_DEP_1)
	v_fma_f64 v[94:95], v[94:95], v[96:97], v[94:95]
	v_div_scale_f64 v[96:97], vcc_lo, 1.0, v[50:51], 1.0
	v_mul_f64 v[98:99], v[96:97], v[94:95]
	s_delay_alu instid0(VALU_DEP_1) | instskip(NEXT) | instid1(VALU_DEP_1)
	v_fma_f64 v[92:93], -v[92:93], v[98:99], v[96:97]
	v_div_fmas_f64 v[92:93], v[92:93], v[94:95], v[98:99]
	s_delay_alu instid0(VALU_DEP_1) | instskip(NEXT) | instid1(VALU_DEP_1)
	v_div_fixup_f64 v[92:93], v[92:93], v[50:51], 1.0
	v_mul_f64 v[94:95], v[48:49], -v[92:93]
.LBB44_366:
	s_or_b32 exec_lo, exec_lo, s2
.LBB44_367:
	s_delay_alu instid0(SALU_CYCLE_1) | instskip(NEXT) | instid1(SALU_CYCLE_1)
	s_or_b32 exec_lo, exec_lo, s3
	s_mov_b32 s2, exec_lo
	v_cmpx_ne_u32_e64 v108, v100
	s_xor_b32 s2, exec_lo, s2
	s_cbranch_execz .LBB44_373
; %bb.368:
	s_mov_b32 s3, exec_lo
	v_cmpx_eq_u32_e32 17, v108
	s_cbranch_execz .LBB44_372
; %bb.369:
	v_cmp_ne_u32_e32 vcc_lo, 17, v100
	s_xor_b32 s6, s4, -1
	s_delay_alu instid0(SALU_CYCLE_1) | instskip(NEXT) | instid1(SALU_CYCLE_1)
	s_and_b32 s7, s6, vcc_lo
	s_and_saveexec_b32 s6, s7
	s_cbranch_execz .LBB44_371
; %bb.370:
	v_ashrrev_i32_e32 v101, 31, v100
	s_delay_alu instid0(VALU_DEP_1) | instskip(NEXT) | instid1(VALU_DEP_1)
	v_lshlrev_b64 v[48:49], 2, v[100:101]
	v_add_co_u32 v48, vcc_lo, v239, v48
	s_delay_alu instid0(VALU_DEP_2)
	v_add_co_ci_u32_e32 v49, vcc_lo, v240, v49, vcc_lo
	s_clause 0x1
	flat_load_b32 v50, v[48:49]
	flat_load_b32 v51, v[239:240] offset:68
	s_waitcnt vmcnt(1) lgkmcnt(1)
	flat_store_b32 v[239:240], v50 offset:68
	s_waitcnt vmcnt(0) lgkmcnt(1)
	flat_store_b32 v[48:49], v51
.LBB44_371:
	s_or_b32 exec_lo, exec_lo, s6
	v_mov_b32_e32 v108, v100
	v_mov_b32_e32 v105, v100
.LBB44_372:
	s_or_b32 exec_lo, exec_lo, s3
.LBB44_373:
	s_and_not1_saveexec_b32 s2, s2
	s_cbranch_execz .LBB44_375
; %bb.374:
	v_mov_b32_e32 v108, 17
	ds_store_2addr_b64 v102, v[8:9], v[10:11] offset0:36 offset1:37
	ds_store_2addr_b64 v102, v[4:5], v[6:7] offset0:38 offset1:39
	;; [unrolled: 1-line block ×5, first 2 shown]
.LBB44_375:
	s_or_b32 exec_lo, exec_lo, s2
	s_delay_alu instid0(SALU_CYCLE_1)
	s_mov_b32 s2, exec_lo
	s_waitcnt lgkmcnt(0)
	s_waitcnt_vscnt null, 0x0
	s_barrier
	buffer_gl0_inv
	v_cmpx_lt_i32_e32 17, v108
	s_cbranch_execz .LBB44_377
; %bb.376:
	v_mul_f64 v[48:49], v[92:93], v[22:23]
	v_mul_f64 v[22:23], v[94:95], v[22:23]
	ds_load_2addr_b64 v[109:112], v102 offset0:36 offset1:37
	ds_load_2addr_b64 v[113:116], v102 offset0:38 offset1:39
	;; [unrolled: 1-line block ×5, first 2 shown]
	v_fma_f64 v[48:49], v[94:95], v[20:21], v[48:49]
	v_fma_f64 v[20:21], v[92:93], v[20:21], -v[22:23]
	s_waitcnt lgkmcnt(4)
	s_delay_alu instid0(VALU_DEP_2)
	v_mul_f64 v[22:23], v[111:112], v[48:49]
	v_mul_f64 v[50:51], v[109:110], v[48:49]
	s_waitcnt lgkmcnt(3)
	v_mul_f64 v[92:93], v[115:116], v[48:49]
	v_mul_f64 v[94:95], v[113:114], v[48:49]
	s_waitcnt lgkmcnt(2)
	;; [unrolled: 3-line block ×4, first 2 shown]
	v_mul_f64 v[131:132], v[127:128], v[48:49]
	v_mul_f64 v[133:134], v[125:126], v[48:49]
	v_fma_f64 v[22:23], v[109:110], v[20:21], -v[22:23]
	v_fma_f64 v[50:51], v[111:112], v[20:21], v[50:51]
	v_fma_f64 v[92:93], v[113:114], v[20:21], -v[92:93]
	v_fma_f64 v[94:95], v[115:116], v[20:21], v[94:95]
	;; [unrolled: 2-line block ×5, first 2 shown]
	v_add_f64 v[8:9], v[8:9], -v[22:23]
	v_add_f64 v[10:11], v[10:11], -v[50:51]
	;; [unrolled: 1-line block ×10, first 2 shown]
	v_dual_mov_b32 v22, v48 :: v_dual_mov_b32 v23, v49
.LBB44_377:
	s_or_b32 exec_lo, exec_lo, s2
	v_lshl_add_u32 v48, v108, 4, v102
	s_barrier
	buffer_gl0_inv
	v_mov_b32_e32 v100, 18
	ds_store_2addr_b64 v48, v[8:9], v[10:11] offset1:1
	s_waitcnt lgkmcnt(0)
	s_barrier
	buffer_gl0_inv
	ds_load_2addr_b64 v[92:95], v102 offset0:36 offset1:37
	s_cmp_lt_i32 s5, 20
	s_cbranch_scc1 .LBB44_380
; %bb.378:
	v_add3_u32 v101, v107, 0, 0x130
	v_mov_b32_e32 v100, 18
	s_mov_b32 s6, 19
	s_set_inst_prefetch_distance 0x1
	.p2align	6
.LBB44_379:                             ; =>This Inner Loop Header: Depth=1
	ds_load_2addr_b64 v[109:112], v101 offset1:1
	s_waitcnt lgkmcnt(1)
	v_cmp_gt_f64_e32 vcc_lo, 0, v[92:93]
	v_xor_b32_e32 v48, 0x80000000, v93
	v_cmp_gt_f64_e64 s2, 0, v[94:95]
	v_xor_b32_e32 v50, 0x80000000, v95
	v_add_nc_u32_e32 v101, 16, v101
	s_waitcnt lgkmcnt(0)
	v_cmp_gt_f64_e64 s3, 0, v[109:110]
	v_mov_b32_e32 v96, v109
	v_dual_mov_b32 v98, v111 :: v_dual_cndmask_b32 v49, v93, v48
	v_xor_b32_e32 v48, 0x80000000, v110
	v_cndmask_b32_e64 v51, v95, v50, s2
	v_xor_b32_e32 v50, 0x80000000, v112
	s_delay_alu instid0(VALU_DEP_3) | instskip(SKIP_2) | instid1(VALU_DEP_2)
	v_cndmask_b32_e64 v97, v110, v48, s3
	v_cmp_gt_f64_e64 s3, 0, v[111:112]
	v_cndmask_b32_e32 v48, v92, v92, vcc_lo
	v_cndmask_b32_e64 v99, v112, v50, s3
	v_cndmask_b32_e64 v50, v94, v94, s2
	s_delay_alu instid0(VALU_DEP_2) | instskip(NEXT) | instid1(VALU_DEP_2)
	v_add_f64 v[96:97], v[96:97], v[98:99]
	v_add_f64 v[48:49], v[48:49], v[50:51]
	s_delay_alu instid0(VALU_DEP_1) | instskip(SKIP_4) | instid1(SALU_CYCLE_1)
	v_cmp_lt_f64_e32 vcc_lo, v[48:49], v[96:97]
	v_dual_cndmask_b32 v93, v93, v110 :: v_dual_cndmask_b32 v92, v92, v109
	v_dual_cndmask_b32 v95, v95, v112 :: v_dual_cndmask_b32 v94, v94, v111
	v_cndmask_b32_e64 v100, v100, s6, vcc_lo
	s_add_i32 s6, s6, 1
	s_cmp_lg_u32 s5, s6
	s_cbranch_scc1 .LBB44_379
.LBB44_380:
	s_set_inst_prefetch_distance 0x2
	s_waitcnt lgkmcnt(0)
	v_cmp_eq_f64_e32 vcc_lo, 0, v[92:93]
	v_cmp_eq_f64_e64 s2, 0, v[94:95]
	s_delay_alu instid0(VALU_DEP_1) | instskip(NEXT) | instid1(SALU_CYCLE_1)
	s_and_b32 s2, vcc_lo, s2
	s_and_saveexec_b32 s3, s2
	s_delay_alu instid0(SALU_CYCLE_1)
	s_xor_b32 s2, exec_lo, s3
; %bb.381:
	v_cmp_ne_u32_e32 vcc_lo, 0, v106
	v_cndmask_b32_e32 v106, 19, v106, vcc_lo
; %bb.382:
	s_and_not1_saveexec_b32 s3, s2
	s_cbranch_execz .LBB44_388
; %bb.383:
	v_cmp_gt_f64_e32 vcc_lo, 0, v[92:93]
	v_cmp_gt_f64_e64 s2, 0, v[94:95]
	v_xor_b32_e32 v48, 0x80000000, v93
	v_xor_b32_e32 v50, 0x80000000, v95
	s_delay_alu instid0(VALU_DEP_2) | instskip(NEXT) | instid1(VALU_DEP_2)
	v_cndmask_b32_e32 v49, v93, v48, vcc_lo
	v_cndmask_b32_e64 v51, v95, v50, s2
	v_cndmask_b32_e32 v48, v92, v92, vcc_lo
	v_cndmask_b32_e64 v50, v94, v94, s2
	s_mov_b32 s2, exec_lo
	s_delay_alu instid0(VALU_DEP_1)
	v_cmpx_ngt_f64_e32 v[48:49], v[50:51]
	s_xor_b32 s2, exec_lo, s2
	s_cbranch_execz .LBB44_385
; %bb.384:
	v_div_scale_f64 v[48:49], null, v[94:95], v[94:95], v[92:93]
	v_div_scale_f64 v[98:99], vcc_lo, v[92:93], v[94:95], v[92:93]
	s_delay_alu instid0(VALU_DEP_2) | instskip(SKIP_2) | instid1(VALU_DEP_1)
	v_rcp_f64_e32 v[50:51], v[48:49]
	s_waitcnt_depctr 0xfff
	v_fma_f64 v[96:97], -v[48:49], v[50:51], 1.0
	v_fma_f64 v[50:51], v[50:51], v[96:97], v[50:51]
	s_delay_alu instid0(VALU_DEP_1) | instskip(NEXT) | instid1(VALU_DEP_1)
	v_fma_f64 v[96:97], -v[48:49], v[50:51], 1.0
	v_fma_f64 v[50:51], v[50:51], v[96:97], v[50:51]
	s_delay_alu instid0(VALU_DEP_1) | instskip(NEXT) | instid1(VALU_DEP_1)
	v_mul_f64 v[96:97], v[98:99], v[50:51]
	v_fma_f64 v[48:49], -v[48:49], v[96:97], v[98:99]
	s_delay_alu instid0(VALU_DEP_1) | instskip(NEXT) | instid1(VALU_DEP_1)
	v_div_fmas_f64 v[48:49], v[48:49], v[50:51], v[96:97]
	v_div_fixup_f64 v[48:49], v[48:49], v[94:95], v[92:93]
	s_delay_alu instid0(VALU_DEP_1) | instskip(NEXT) | instid1(VALU_DEP_1)
	v_fma_f64 v[50:51], v[92:93], v[48:49], v[94:95]
	v_div_scale_f64 v[92:93], null, v[50:51], v[50:51], 1.0
	s_delay_alu instid0(VALU_DEP_1) | instskip(SKIP_2) | instid1(VALU_DEP_1)
	v_rcp_f64_e32 v[94:95], v[92:93]
	s_waitcnt_depctr 0xfff
	v_fma_f64 v[96:97], -v[92:93], v[94:95], 1.0
	v_fma_f64 v[94:95], v[94:95], v[96:97], v[94:95]
	s_delay_alu instid0(VALU_DEP_1) | instskip(NEXT) | instid1(VALU_DEP_1)
	v_fma_f64 v[96:97], -v[92:93], v[94:95], 1.0
	v_fma_f64 v[94:95], v[94:95], v[96:97], v[94:95]
	v_div_scale_f64 v[96:97], vcc_lo, 1.0, v[50:51], 1.0
	s_delay_alu instid0(VALU_DEP_1) | instskip(NEXT) | instid1(VALU_DEP_1)
	v_mul_f64 v[98:99], v[96:97], v[94:95]
	v_fma_f64 v[92:93], -v[92:93], v[98:99], v[96:97]
	s_delay_alu instid0(VALU_DEP_1) | instskip(NEXT) | instid1(VALU_DEP_1)
	v_div_fmas_f64 v[92:93], v[92:93], v[94:95], v[98:99]
	v_div_fixup_f64 v[94:95], v[92:93], v[50:51], 1.0
	s_delay_alu instid0(VALU_DEP_1)
	v_mul_f64 v[92:93], v[48:49], v[94:95]
	v_xor_b32_e32 v95, 0x80000000, v95
.LBB44_385:
	s_and_not1_saveexec_b32 s2, s2
	s_cbranch_execz .LBB44_387
; %bb.386:
	s_delay_alu instid0(VALU_DEP_1) | instskip(SKIP_1) | instid1(VALU_DEP_2)
	v_div_scale_f64 v[48:49], null, v[92:93], v[92:93], v[94:95]
	v_div_scale_f64 v[98:99], vcc_lo, v[94:95], v[92:93], v[94:95]
	v_rcp_f64_e32 v[50:51], v[48:49]
	s_waitcnt_depctr 0xfff
	v_fma_f64 v[96:97], -v[48:49], v[50:51], 1.0
	s_delay_alu instid0(VALU_DEP_1) | instskip(NEXT) | instid1(VALU_DEP_1)
	v_fma_f64 v[50:51], v[50:51], v[96:97], v[50:51]
	v_fma_f64 v[96:97], -v[48:49], v[50:51], 1.0
	s_delay_alu instid0(VALU_DEP_1) | instskip(NEXT) | instid1(VALU_DEP_1)
	v_fma_f64 v[50:51], v[50:51], v[96:97], v[50:51]
	v_mul_f64 v[96:97], v[98:99], v[50:51]
	s_delay_alu instid0(VALU_DEP_1) | instskip(NEXT) | instid1(VALU_DEP_1)
	v_fma_f64 v[48:49], -v[48:49], v[96:97], v[98:99]
	v_div_fmas_f64 v[48:49], v[48:49], v[50:51], v[96:97]
	s_delay_alu instid0(VALU_DEP_1) | instskip(NEXT) | instid1(VALU_DEP_1)
	v_div_fixup_f64 v[48:49], v[48:49], v[92:93], v[94:95]
	v_fma_f64 v[50:51], v[94:95], v[48:49], v[92:93]
	s_delay_alu instid0(VALU_DEP_1) | instskip(NEXT) | instid1(VALU_DEP_1)
	v_div_scale_f64 v[92:93], null, v[50:51], v[50:51], 1.0
	v_rcp_f64_e32 v[94:95], v[92:93]
	s_waitcnt_depctr 0xfff
	v_fma_f64 v[96:97], -v[92:93], v[94:95], 1.0
	s_delay_alu instid0(VALU_DEP_1) | instskip(NEXT) | instid1(VALU_DEP_1)
	v_fma_f64 v[94:95], v[94:95], v[96:97], v[94:95]
	v_fma_f64 v[96:97], -v[92:93], v[94:95], 1.0
	s_delay_alu instid0(VALU_DEP_1) | instskip(SKIP_1) | instid1(VALU_DEP_1)
	v_fma_f64 v[94:95], v[94:95], v[96:97], v[94:95]
	v_div_scale_f64 v[96:97], vcc_lo, 1.0, v[50:51], 1.0
	v_mul_f64 v[98:99], v[96:97], v[94:95]
	s_delay_alu instid0(VALU_DEP_1) | instskip(NEXT) | instid1(VALU_DEP_1)
	v_fma_f64 v[92:93], -v[92:93], v[98:99], v[96:97]
	v_div_fmas_f64 v[92:93], v[92:93], v[94:95], v[98:99]
	s_delay_alu instid0(VALU_DEP_1) | instskip(NEXT) | instid1(VALU_DEP_1)
	v_div_fixup_f64 v[92:93], v[92:93], v[50:51], 1.0
	v_mul_f64 v[94:95], v[48:49], -v[92:93]
.LBB44_387:
	s_or_b32 exec_lo, exec_lo, s2
.LBB44_388:
	s_delay_alu instid0(SALU_CYCLE_1) | instskip(NEXT) | instid1(SALU_CYCLE_1)
	s_or_b32 exec_lo, exec_lo, s3
	s_mov_b32 s2, exec_lo
	v_cmpx_ne_u32_e64 v108, v100
	s_xor_b32 s2, exec_lo, s2
	s_cbranch_execz .LBB44_394
; %bb.389:
	s_mov_b32 s3, exec_lo
	v_cmpx_eq_u32_e32 18, v108
	s_cbranch_execz .LBB44_393
; %bb.390:
	v_cmp_ne_u32_e32 vcc_lo, 18, v100
	s_xor_b32 s6, s4, -1
	s_delay_alu instid0(SALU_CYCLE_1) | instskip(NEXT) | instid1(SALU_CYCLE_1)
	s_and_b32 s7, s6, vcc_lo
	s_and_saveexec_b32 s6, s7
	s_cbranch_execz .LBB44_392
; %bb.391:
	v_ashrrev_i32_e32 v101, 31, v100
	s_delay_alu instid0(VALU_DEP_1) | instskip(NEXT) | instid1(VALU_DEP_1)
	v_lshlrev_b64 v[48:49], 2, v[100:101]
	v_add_co_u32 v48, vcc_lo, v239, v48
	s_delay_alu instid0(VALU_DEP_2)
	v_add_co_ci_u32_e32 v49, vcc_lo, v240, v49, vcc_lo
	s_clause 0x1
	flat_load_b32 v50, v[48:49]
	flat_load_b32 v51, v[239:240] offset:72
	s_waitcnt vmcnt(1) lgkmcnt(1)
	flat_store_b32 v[239:240], v50 offset:72
	s_waitcnt vmcnt(0) lgkmcnt(1)
	flat_store_b32 v[48:49], v51
.LBB44_392:
	s_or_b32 exec_lo, exec_lo, s6
	v_mov_b32_e32 v108, v100
	v_mov_b32_e32 v105, v100
.LBB44_393:
	s_or_b32 exec_lo, exec_lo, s3
.LBB44_394:
	s_and_not1_saveexec_b32 s2, s2
	s_cbranch_execz .LBB44_396
; %bb.395:
	v_mov_b32_e32 v108, 18
	ds_store_2addr_b64 v102, v[4:5], v[6:7] offset0:38 offset1:39
	ds_store_2addr_b64 v102, v[16:17], v[18:19] offset0:40 offset1:41
	;; [unrolled: 1-line block ×4, first 2 shown]
.LBB44_396:
	s_or_b32 exec_lo, exec_lo, s2
	s_delay_alu instid0(SALU_CYCLE_1)
	s_mov_b32 s2, exec_lo
	s_waitcnt lgkmcnt(0)
	s_waitcnt_vscnt null, 0x0
	s_barrier
	buffer_gl0_inv
	v_cmpx_lt_i32_e32 18, v108
	s_cbranch_execz .LBB44_398
; %bb.397:
	v_mul_f64 v[48:49], v[92:93], v[10:11]
	v_mul_f64 v[10:11], v[94:95], v[10:11]
	ds_load_2addr_b64 v[109:112], v102 offset0:38 offset1:39
	ds_load_2addr_b64 v[113:116], v102 offset0:40 offset1:41
	;; [unrolled: 1-line block ×4, first 2 shown]
	v_fma_f64 v[48:49], v[94:95], v[8:9], v[48:49]
	v_fma_f64 v[8:9], v[92:93], v[8:9], -v[10:11]
	s_waitcnt lgkmcnt(3)
	s_delay_alu instid0(VALU_DEP_2)
	v_mul_f64 v[10:11], v[111:112], v[48:49]
	v_mul_f64 v[50:51], v[109:110], v[48:49]
	s_waitcnt lgkmcnt(2)
	v_mul_f64 v[92:93], v[115:116], v[48:49]
	v_mul_f64 v[94:95], v[113:114], v[48:49]
	s_waitcnt lgkmcnt(1)
	;; [unrolled: 3-line block ×3, first 2 shown]
	v_mul_f64 v[100:101], v[123:124], v[48:49]
	v_mul_f64 v[125:126], v[121:122], v[48:49]
	v_fma_f64 v[10:11], v[109:110], v[8:9], -v[10:11]
	v_fma_f64 v[50:51], v[111:112], v[8:9], v[50:51]
	v_fma_f64 v[92:93], v[113:114], v[8:9], -v[92:93]
	v_fma_f64 v[94:95], v[115:116], v[8:9], v[94:95]
	;; [unrolled: 2-line block ×4, first 2 shown]
	v_add_f64 v[4:5], v[4:5], -v[10:11]
	v_add_f64 v[6:7], v[6:7], -v[50:51]
	;; [unrolled: 1-line block ×8, first 2 shown]
	v_dual_mov_b32 v10, v48 :: v_dual_mov_b32 v11, v49
.LBB44_398:
	s_or_b32 exec_lo, exec_lo, s2
	v_lshl_add_u32 v48, v108, 4, v102
	s_barrier
	buffer_gl0_inv
	v_mov_b32_e32 v100, 19
	ds_store_2addr_b64 v48, v[4:5], v[6:7] offset1:1
	s_waitcnt lgkmcnt(0)
	s_barrier
	buffer_gl0_inv
	ds_load_2addr_b64 v[92:95], v102 offset0:38 offset1:39
	s_cmp_lt_i32 s5, 21
	s_cbranch_scc1 .LBB44_401
; %bb.399:
	v_add3_u32 v101, v107, 0, 0x140
	v_mov_b32_e32 v100, 19
	s_mov_b32 s6, 20
	s_set_inst_prefetch_distance 0x1
	.p2align	6
.LBB44_400:                             ; =>This Inner Loop Header: Depth=1
	ds_load_2addr_b64 v[109:112], v101 offset1:1
	s_waitcnt lgkmcnt(1)
	v_cmp_gt_f64_e32 vcc_lo, 0, v[92:93]
	v_xor_b32_e32 v48, 0x80000000, v93
	v_cmp_gt_f64_e64 s2, 0, v[94:95]
	v_xor_b32_e32 v50, 0x80000000, v95
	v_add_nc_u32_e32 v101, 16, v101
	s_waitcnt lgkmcnt(0)
	v_cmp_gt_f64_e64 s3, 0, v[109:110]
	v_mov_b32_e32 v96, v109
	v_dual_mov_b32 v98, v111 :: v_dual_cndmask_b32 v49, v93, v48
	v_xor_b32_e32 v48, 0x80000000, v110
	v_cndmask_b32_e64 v51, v95, v50, s2
	v_xor_b32_e32 v50, 0x80000000, v112
	s_delay_alu instid0(VALU_DEP_3) | instskip(SKIP_2) | instid1(VALU_DEP_2)
	v_cndmask_b32_e64 v97, v110, v48, s3
	v_cmp_gt_f64_e64 s3, 0, v[111:112]
	v_cndmask_b32_e32 v48, v92, v92, vcc_lo
	v_cndmask_b32_e64 v99, v112, v50, s3
	v_cndmask_b32_e64 v50, v94, v94, s2
	s_delay_alu instid0(VALU_DEP_2) | instskip(NEXT) | instid1(VALU_DEP_2)
	v_add_f64 v[96:97], v[96:97], v[98:99]
	v_add_f64 v[48:49], v[48:49], v[50:51]
	s_delay_alu instid0(VALU_DEP_1) | instskip(SKIP_4) | instid1(SALU_CYCLE_1)
	v_cmp_lt_f64_e32 vcc_lo, v[48:49], v[96:97]
	v_dual_cndmask_b32 v93, v93, v110 :: v_dual_cndmask_b32 v92, v92, v109
	v_dual_cndmask_b32 v95, v95, v112 :: v_dual_cndmask_b32 v94, v94, v111
	v_cndmask_b32_e64 v100, v100, s6, vcc_lo
	s_add_i32 s6, s6, 1
	s_cmp_lg_u32 s5, s6
	s_cbranch_scc1 .LBB44_400
.LBB44_401:
	s_set_inst_prefetch_distance 0x2
	s_waitcnt lgkmcnt(0)
	v_cmp_eq_f64_e32 vcc_lo, 0, v[92:93]
	v_cmp_eq_f64_e64 s2, 0, v[94:95]
	s_delay_alu instid0(VALU_DEP_1) | instskip(NEXT) | instid1(SALU_CYCLE_1)
	s_and_b32 s2, vcc_lo, s2
	s_and_saveexec_b32 s3, s2
	s_delay_alu instid0(SALU_CYCLE_1)
	s_xor_b32 s2, exec_lo, s3
; %bb.402:
	v_cmp_ne_u32_e32 vcc_lo, 0, v106
	v_cndmask_b32_e32 v106, 20, v106, vcc_lo
; %bb.403:
	s_and_not1_saveexec_b32 s3, s2
	s_cbranch_execz .LBB44_409
; %bb.404:
	v_cmp_gt_f64_e32 vcc_lo, 0, v[92:93]
	v_cmp_gt_f64_e64 s2, 0, v[94:95]
	v_xor_b32_e32 v48, 0x80000000, v93
	v_xor_b32_e32 v50, 0x80000000, v95
	s_delay_alu instid0(VALU_DEP_2) | instskip(NEXT) | instid1(VALU_DEP_2)
	v_cndmask_b32_e32 v49, v93, v48, vcc_lo
	v_cndmask_b32_e64 v51, v95, v50, s2
	v_cndmask_b32_e32 v48, v92, v92, vcc_lo
	v_cndmask_b32_e64 v50, v94, v94, s2
	s_mov_b32 s2, exec_lo
	s_delay_alu instid0(VALU_DEP_1)
	v_cmpx_ngt_f64_e32 v[48:49], v[50:51]
	s_xor_b32 s2, exec_lo, s2
	s_cbranch_execz .LBB44_406
; %bb.405:
	v_div_scale_f64 v[48:49], null, v[94:95], v[94:95], v[92:93]
	v_div_scale_f64 v[98:99], vcc_lo, v[92:93], v[94:95], v[92:93]
	s_delay_alu instid0(VALU_DEP_2) | instskip(SKIP_2) | instid1(VALU_DEP_1)
	v_rcp_f64_e32 v[50:51], v[48:49]
	s_waitcnt_depctr 0xfff
	v_fma_f64 v[96:97], -v[48:49], v[50:51], 1.0
	v_fma_f64 v[50:51], v[50:51], v[96:97], v[50:51]
	s_delay_alu instid0(VALU_DEP_1) | instskip(NEXT) | instid1(VALU_DEP_1)
	v_fma_f64 v[96:97], -v[48:49], v[50:51], 1.0
	v_fma_f64 v[50:51], v[50:51], v[96:97], v[50:51]
	s_delay_alu instid0(VALU_DEP_1) | instskip(NEXT) | instid1(VALU_DEP_1)
	v_mul_f64 v[96:97], v[98:99], v[50:51]
	v_fma_f64 v[48:49], -v[48:49], v[96:97], v[98:99]
	s_delay_alu instid0(VALU_DEP_1) | instskip(NEXT) | instid1(VALU_DEP_1)
	v_div_fmas_f64 v[48:49], v[48:49], v[50:51], v[96:97]
	v_div_fixup_f64 v[48:49], v[48:49], v[94:95], v[92:93]
	s_delay_alu instid0(VALU_DEP_1) | instskip(NEXT) | instid1(VALU_DEP_1)
	v_fma_f64 v[50:51], v[92:93], v[48:49], v[94:95]
	v_div_scale_f64 v[92:93], null, v[50:51], v[50:51], 1.0
	s_delay_alu instid0(VALU_DEP_1) | instskip(SKIP_2) | instid1(VALU_DEP_1)
	v_rcp_f64_e32 v[94:95], v[92:93]
	s_waitcnt_depctr 0xfff
	v_fma_f64 v[96:97], -v[92:93], v[94:95], 1.0
	v_fma_f64 v[94:95], v[94:95], v[96:97], v[94:95]
	s_delay_alu instid0(VALU_DEP_1) | instskip(NEXT) | instid1(VALU_DEP_1)
	v_fma_f64 v[96:97], -v[92:93], v[94:95], 1.0
	v_fma_f64 v[94:95], v[94:95], v[96:97], v[94:95]
	v_div_scale_f64 v[96:97], vcc_lo, 1.0, v[50:51], 1.0
	s_delay_alu instid0(VALU_DEP_1) | instskip(NEXT) | instid1(VALU_DEP_1)
	v_mul_f64 v[98:99], v[96:97], v[94:95]
	v_fma_f64 v[92:93], -v[92:93], v[98:99], v[96:97]
	s_delay_alu instid0(VALU_DEP_1) | instskip(NEXT) | instid1(VALU_DEP_1)
	v_div_fmas_f64 v[92:93], v[92:93], v[94:95], v[98:99]
	v_div_fixup_f64 v[94:95], v[92:93], v[50:51], 1.0
	s_delay_alu instid0(VALU_DEP_1)
	v_mul_f64 v[92:93], v[48:49], v[94:95]
	v_xor_b32_e32 v95, 0x80000000, v95
.LBB44_406:
	s_and_not1_saveexec_b32 s2, s2
	s_cbranch_execz .LBB44_408
; %bb.407:
	s_delay_alu instid0(VALU_DEP_1) | instskip(SKIP_1) | instid1(VALU_DEP_2)
	v_div_scale_f64 v[48:49], null, v[92:93], v[92:93], v[94:95]
	v_div_scale_f64 v[98:99], vcc_lo, v[94:95], v[92:93], v[94:95]
	v_rcp_f64_e32 v[50:51], v[48:49]
	s_waitcnt_depctr 0xfff
	v_fma_f64 v[96:97], -v[48:49], v[50:51], 1.0
	s_delay_alu instid0(VALU_DEP_1) | instskip(NEXT) | instid1(VALU_DEP_1)
	v_fma_f64 v[50:51], v[50:51], v[96:97], v[50:51]
	v_fma_f64 v[96:97], -v[48:49], v[50:51], 1.0
	s_delay_alu instid0(VALU_DEP_1) | instskip(NEXT) | instid1(VALU_DEP_1)
	v_fma_f64 v[50:51], v[50:51], v[96:97], v[50:51]
	v_mul_f64 v[96:97], v[98:99], v[50:51]
	s_delay_alu instid0(VALU_DEP_1) | instskip(NEXT) | instid1(VALU_DEP_1)
	v_fma_f64 v[48:49], -v[48:49], v[96:97], v[98:99]
	v_div_fmas_f64 v[48:49], v[48:49], v[50:51], v[96:97]
	s_delay_alu instid0(VALU_DEP_1) | instskip(NEXT) | instid1(VALU_DEP_1)
	v_div_fixup_f64 v[48:49], v[48:49], v[92:93], v[94:95]
	v_fma_f64 v[50:51], v[94:95], v[48:49], v[92:93]
	s_delay_alu instid0(VALU_DEP_1) | instskip(NEXT) | instid1(VALU_DEP_1)
	v_div_scale_f64 v[92:93], null, v[50:51], v[50:51], 1.0
	v_rcp_f64_e32 v[94:95], v[92:93]
	s_waitcnt_depctr 0xfff
	v_fma_f64 v[96:97], -v[92:93], v[94:95], 1.0
	s_delay_alu instid0(VALU_DEP_1) | instskip(NEXT) | instid1(VALU_DEP_1)
	v_fma_f64 v[94:95], v[94:95], v[96:97], v[94:95]
	v_fma_f64 v[96:97], -v[92:93], v[94:95], 1.0
	s_delay_alu instid0(VALU_DEP_1) | instskip(SKIP_1) | instid1(VALU_DEP_1)
	v_fma_f64 v[94:95], v[94:95], v[96:97], v[94:95]
	v_div_scale_f64 v[96:97], vcc_lo, 1.0, v[50:51], 1.0
	v_mul_f64 v[98:99], v[96:97], v[94:95]
	s_delay_alu instid0(VALU_DEP_1) | instskip(NEXT) | instid1(VALU_DEP_1)
	v_fma_f64 v[92:93], -v[92:93], v[98:99], v[96:97]
	v_div_fmas_f64 v[92:93], v[92:93], v[94:95], v[98:99]
	s_delay_alu instid0(VALU_DEP_1) | instskip(NEXT) | instid1(VALU_DEP_1)
	v_div_fixup_f64 v[92:93], v[92:93], v[50:51], 1.0
	v_mul_f64 v[94:95], v[48:49], -v[92:93]
.LBB44_408:
	s_or_b32 exec_lo, exec_lo, s2
.LBB44_409:
	s_delay_alu instid0(SALU_CYCLE_1) | instskip(NEXT) | instid1(SALU_CYCLE_1)
	s_or_b32 exec_lo, exec_lo, s3
	s_mov_b32 s2, exec_lo
	v_cmpx_ne_u32_e64 v108, v100
	s_xor_b32 s2, exec_lo, s2
	s_cbranch_execz .LBB44_415
; %bb.410:
	s_mov_b32 s3, exec_lo
	v_cmpx_eq_u32_e32 19, v108
	s_cbranch_execz .LBB44_414
; %bb.411:
	v_cmp_ne_u32_e32 vcc_lo, 19, v100
	s_xor_b32 s6, s4, -1
	s_delay_alu instid0(SALU_CYCLE_1) | instskip(NEXT) | instid1(SALU_CYCLE_1)
	s_and_b32 s7, s6, vcc_lo
	s_and_saveexec_b32 s6, s7
	s_cbranch_execz .LBB44_413
; %bb.412:
	v_ashrrev_i32_e32 v101, 31, v100
	s_delay_alu instid0(VALU_DEP_1) | instskip(NEXT) | instid1(VALU_DEP_1)
	v_lshlrev_b64 v[48:49], 2, v[100:101]
	v_add_co_u32 v48, vcc_lo, v239, v48
	s_delay_alu instid0(VALU_DEP_2)
	v_add_co_ci_u32_e32 v49, vcc_lo, v240, v49, vcc_lo
	s_clause 0x1
	flat_load_b32 v50, v[48:49]
	flat_load_b32 v51, v[239:240] offset:76
	s_waitcnt vmcnt(1) lgkmcnt(1)
	flat_store_b32 v[239:240], v50 offset:76
	s_waitcnt vmcnt(0) lgkmcnt(1)
	flat_store_b32 v[48:49], v51
.LBB44_413:
	s_or_b32 exec_lo, exec_lo, s6
	v_mov_b32_e32 v108, v100
	v_mov_b32_e32 v105, v100
.LBB44_414:
	s_or_b32 exec_lo, exec_lo, s3
.LBB44_415:
	s_and_not1_saveexec_b32 s2, s2
	s_cbranch_execz .LBB44_417
; %bb.416:
	v_mov_b32_e32 v108, 19
	ds_store_2addr_b64 v102, v[16:17], v[18:19] offset0:40 offset1:41
	ds_store_2addr_b64 v102, v[12:13], v[14:15] offset0:42 offset1:43
	;; [unrolled: 1-line block ×3, first 2 shown]
.LBB44_417:
	s_or_b32 exec_lo, exec_lo, s2
	s_delay_alu instid0(SALU_CYCLE_1)
	s_mov_b32 s2, exec_lo
	s_waitcnt lgkmcnt(0)
	s_waitcnt_vscnt null, 0x0
	s_barrier
	buffer_gl0_inv
	v_cmpx_lt_i32_e32 19, v108
	s_cbranch_execz .LBB44_419
; %bb.418:
	v_mul_f64 v[48:49], v[92:93], v[6:7]
	v_mul_f64 v[6:7], v[94:95], v[6:7]
	ds_load_2addr_b64 v[109:112], v102 offset0:40 offset1:41
	ds_load_2addr_b64 v[113:116], v102 offset0:42 offset1:43
	;; [unrolled: 1-line block ×3, first 2 shown]
	v_fma_f64 v[48:49], v[94:95], v[4:5], v[48:49]
	v_fma_f64 v[4:5], v[92:93], v[4:5], -v[6:7]
	s_waitcnt lgkmcnt(2)
	s_delay_alu instid0(VALU_DEP_2)
	v_mul_f64 v[6:7], v[111:112], v[48:49]
	v_mul_f64 v[50:51], v[109:110], v[48:49]
	s_waitcnt lgkmcnt(1)
	v_mul_f64 v[92:93], v[115:116], v[48:49]
	v_mul_f64 v[94:95], v[113:114], v[48:49]
	s_waitcnt lgkmcnt(0)
	v_mul_f64 v[96:97], v[119:120], v[48:49]
	v_mul_f64 v[98:99], v[117:118], v[48:49]
	v_fma_f64 v[6:7], v[109:110], v[4:5], -v[6:7]
	v_fma_f64 v[50:51], v[111:112], v[4:5], v[50:51]
	v_fma_f64 v[92:93], v[113:114], v[4:5], -v[92:93]
	v_fma_f64 v[94:95], v[115:116], v[4:5], v[94:95]
	;; [unrolled: 2-line block ×3, first 2 shown]
	v_add_f64 v[16:17], v[16:17], -v[6:7]
	v_add_f64 v[18:19], v[18:19], -v[50:51]
	;; [unrolled: 1-line block ×6, first 2 shown]
	v_dual_mov_b32 v6, v48 :: v_dual_mov_b32 v7, v49
.LBB44_419:
	s_or_b32 exec_lo, exec_lo, s2
	v_lshl_add_u32 v48, v108, 4, v102
	s_barrier
	buffer_gl0_inv
	v_mov_b32_e32 v100, 20
	ds_store_2addr_b64 v48, v[16:17], v[18:19] offset1:1
	s_waitcnt lgkmcnt(0)
	s_barrier
	buffer_gl0_inv
	ds_load_2addr_b64 v[92:95], v102 offset0:40 offset1:41
	s_cmp_lt_i32 s5, 22
	s_cbranch_scc1 .LBB44_422
; %bb.420:
	v_add3_u32 v101, v107, 0, 0x150
	v_mov_b32_e32 v100, 20
	s_mov_b32 s6, 21
	s_set_inst_prefetch_distance 0x1
	.p2align	6
.LBB44_421:                             ; =>This Inner Loop Header: Depth=1
	ds_load_2addr_b64 v[109:112], v101 offset1:1
	s_waitcnt lgkmcnt(1)
	v_cmp_gt_f64_e32 vcc_lo, 0, v[92:93]
	v_xor_b32_e32 v48, 0x80000000, v93
	v_cmp_gt_f64_e64 s2, 0, v[94:95]
	v_xor_b32_e32 v50, 0x80000000, v95
	v_add_nc_u32_e32 v101, 16, v101
	s_waitcnt lgkmcnt(0)
	v_cmp_gt_f64_e64 s3, 0, v[109:110]
	v_mov_b32_e32 v96, v109
	v_dual_mov_b32 v98, v111 :: v_dual_cndmask_b32 v49, v93, v48
	v_xor_b32_e32 v48, 0x80000000, v110
	v_cndmask_b32_e64 v51, v95, v50, s2
	v_xor_b32_e32 v50, 0x80000000, v112
	s_delay_alu instid0(VALU_DEP_3) | instskip(SKIP_2) | instid1(VALU_DEP_2)
	v_cndmask_b32_e64 v97, v110, v48, s3
	v_cmp_gt_f64_e64 s3, 0, v[111:112]
	v_cndmask_b32_e32 v48, v92, v92, vcc_lo
	v_cndmask_b32_e64 v99, v112, v50, s3
	v_cndmask_b32_e64 v50, v94, v94, s2
	s_delay_alu instid0(VALU_DEP_2) | instskip(NEXT) | instid1(VALU_DEP_2)
	v_add_f64 v[96:97], v[96:97], v[98:99]
	v_add_f64 v[48:49], v[48:49], v[50:51]
	s_delay_alu instid0(VALU_DEP_1) | instskip(SKIP_4) | instid1(SALU_CYCLE_1)
	v_cmp_lt_f64_e32 vcc_lo, v[48:49], v[96:97]
	v_dual_cndmask_b32 v93, v93, v110 :: v_dual_cndmask_b32 v92, v92, v109
	v_dual_cndmask_b32 v95, v95, v112 :: v_dual_cndmask_b32 v94, v94, v111
	v_cndmask_b32_e64 v100, v100, s6, vcc_lo
	s_add_i32 s6, s6, 1
	s_cmp_lg_u32 s5, s6
	s_cbranch_scc1 .LBB44_421
.LBB44_422:
	s_set_inst_prefetch_distance 0x2
	s_waitcnt lgkmcnt(0)
	v_cmp_eq_f64_e32 vcc_lo, 0, v[92:93]
	v_cmp_eq_f64_e64 s2, 0, v[94:95]
	s_delay_alu instid0(VALU_DEP_1) | instskip(NEXT) | instid1(SALU_CYCLE_1)
	s_and_b32 s2, vcc_lo, s2
	s_and_saveexec_b32 s3, s2
	s_delay_alu instid0(SALU_CYCLE_1)
	s_xor_b32 s2, exec_lo, s3
; %bb.423:
	v_cmp_ne_u32_e32 vcc_lo, 0, v106
	v_cndmask_b32_e32 v106, 21, v106, vcc_lo
; %bb.424:
	s_and_not1_saveexec_b32 s3, s2
	s_cbranch_execz .LBB44_430
; %bb.425:
	v_cmp_gt_f64_e32 vcc_lo, 0, v[92:93]
	v_cmp_gt_f64_e64 s2, 0, v[94:95]
	v_xor_b32_e32 v48, 0x80000000, v93
	v_xor_b32_e32 v50, 0x80000000, v95
	s_delay_alu instid0(VALU_DEP_2) | instskip(NEXT) | instid1(VALU_DEP_2)
	v_cndmask_b32_e32 v49, v93, v48, vcc_lo
	v_cndmask_b32_e64 v51, v95, v50, s2
	v_cndmask_b32_e32 v48, v92, v92, vcc_lo
	v_cndmask_b32_e64 v50, v94, v94, s2
	s_mov_b32 s2, exec_lo
	s_delay_alu instid0(VALU_DEP_1)
	v_cmpx_ngt_f64_e32 v[48:49], v[50:51]
	s_xor_b32 s2, exec_lo, s2
	s_cbranch_execz .LBB44_427
; %bb.426:
	v_div_scale_f64 v[48:49], null, v[94:95], v[94:95], v[92:93]
	v_div_scale_f64 v[98:99], vcc_lo, v[92:93], v[94:95], v[92:93]
	s_delay_alu instid0(VALU_DEP_2) | instskip(SKIP_2) | instid1(VALU_DEP_1)
	v_rcp_f64_e32 v[50:51], v[48:49]
	s_waitcnt_depctr 0xfff
	v_fma_f64 v[96:97], -v[48:49], v[50:51], 1.0
	v_fma_f64 v[50:51], v[50:51], v[96:97], v[50:51]
	s_delay_alu instid0(VALU_DEP_1) | instskip(NEXT) | instid1(VALU_DEP_1)
	v_fma_f64 v[96:97], -v[48:49], v[50:51], 1.0
	v_fma_f64 v[50:51], v[50:51], v[96:97], v[50:51]
	s_delay_alu instid0(VALU_DEP_1) | instskip(NEXT) | instid1(VALU_DEP_1)
	v_mul_f64 v[96:97], v[98:99], v[50:51]
	v_fma_f64 v[48:49], -v[48:49], v[96:97], v[98:99]
	s_delay_alu instid0(VALU_DEP_1) | instskip(NEXT) | instid1(VALU_DEP_1)
	v_div_fmas_f64 v[48:49], v[48:49], v[50:51], v[96:97]
	v_div_fixup_f64 v[48:49], v[48:49], v[94:95], v[92:93]
	s_delay_alu instid0(VALU_DEP_1) | instskip(NEXT) | instid1(VALU_DEP_1)
	v_fma_f64 v[50:51], v[92:93], v[48:49], v[94:95]
	v_div_scale_f64 v[92:93], null, v[50:51], v[50:51], 1.0
	s_delay_alu instid0(VALU_DEP_1) | instskip(SKIP_2) | instid1(VALU_DEP_1)
	v_rcp_f64_e32 v[94:95], v[92:93]
	s_waitcnt_depctr 0xfff
	v_fma_f64 v[96:97], -v[92:93], v[94:95], 1.0
	v_fma_f64 v[94:95], v[94:95], v[96:97], v[94:95]
	s_delay_alu instid0(VALU_DEP_1) | instskip(NEXT) | instid1(VALU_DEP_1)
	v_fma_f64 v[96:97], -v[92:93], v[94:95], 1.0
	v_fma_f64 v[94:95], v[94:95], v[96:97], v[94:95]
	v_div_scale_f64 v[96:97], vcc_lo, 1.0, v[50:51], 1.0
	s_delay_alu instid0(VALU_DEP_1) | instskip(NEXT) | instid1(VALU_DEP_1)
	v_mul_f64 v[98:99], v[96:97], v[94:95]
	v_fma_f64 v[92:93], -v[92:93], v[98:99], v[96:97]
	s_delay_alu instid0(VALU_DEP_1) | instskip(NEXT) | instid1(VALU_DEP_1)
	v_div_fmas_f64 v[92:93], v[92:93], v[94:95], v[98:99]
	v_div_fixup_f64 v[94:95], v[92:93], v[50:51], 1.0
	s_delay_alu instid0(VALU_DEP_1)
	v_mul_f64 v[92:93], v[48:49], v[94:95]
	v_xor_b32_e32 v95, 0x80000000, v95
.LBB44_427:
	s_and_not1_saveexec_b32 s2, s2
	s_cbranch_execz .LBB44_429
; %bb.428:
	s_delay_alu instid0(VALU_DEP_1) | instskip(SKIP_1) | instid1(VALU_DEP_2)
	v_div_scale_f64 v[48:49], null, v[92:93], v[92:93], v[94:95]
	v_div_scale_f64 v[98:99], vcc_lo, v[94:95], v[92:93], v[94:95]
	v_rcp_f64_e32 v[50:51], v[48:49]
	s_waitcnt_depctr 0xfff
	v_fma_f64 v[96:97], -v[48:49], v[50:51], 1.0
	s_delay_alu instid0(VALU_DEP_1) | instskip(NEXT) | instid1(VALU_DEP_1)
	v_fma_f64 v[50:51], v[50:51], v[96:97], v[50:51]
	v_fma_f64 v[96:97], -v[48:49], v[50:51], 1.0
	s_delay_alu instid0(VALU_DEP_1) | instskip(NEXT) | instid1(VALU_DEP_1)
	v_fma_f64 v[50:51], v[50:51], v[96:97], v[50:51]
	v_mul_f64 v[96:97], v[98:99], v[50:51]
	s_delay_alu instid0(VALU_DEP_1) | instskip(NEXT) | instid1(VALU_DEP_1)
	v_fma_f64 v[48:49], -v[48:49], v[96:97], v[98:99]
	v_div_fmas_f64 v[48:49], v[48:49], v[50:51], v[96:97]
	s_delay_alu instid0(VALU_DEP_1) | instskip(NEXT) | instid1(VALU_DEP_1)
	v_div_fixup_f64 v[48:49], v[48:49], v[92:93], v[94:95]
	v_fma_f64 v[50:51], v[94:95], v[48:49], v[92:93]
	s_delay_alu instid0(VALU_DEP_1) | instskip(NEXT) | instid1(VALU_DEP_1)
	v_div_scale_f64 v[92:93], null, v[50:51], v[50:51], 1.0
	v_rcp_f64_e32 v[94:95], v[92:93]
	s_waitcnt_depctr 0xfff
	v_fma_f64 v[96:97], -v[92:93], v[94:95], 1.0
	s_delay_alu instid0(VALU_DEP_1) | instskip(NEXT) | instid1(VALU_DEP_1)
	v_fma_f64 v[94:95], v[94:95], v[96:97], v[94:95]
	v_fma_f64 v[96:97], -v[92:93], v[94:95], 1.0
	s_delay_alu instid0(VALU_DEP_1) | instskip(SKIP_1) | instid1(VALU_DEP_1)
	v_fma_f64 v[94:95], v[94:95], v[96:97], v[94:95]
	v_div_scale_f64 v[96:97], vcc_lo, 1.0, v[50:51], 1.0
	v_mul_f64 v[98:99], v[96:97], v[94:95]
	s_delay_alu instid0(VALU_DEP_1) | instskip(NEXT) | instid1(VALU_DEP_1)
	v_fma_f64 v[92:93], -v[92:93], v[98:99], v[96:97]
	v_div_fmas_f64 v[92:93], v[92:93], v[94:95], v[98:99]
	s_delay_alu instid0(VALU_DEP_1) | instskip(NEXT) | instid1(VALU_DEP_1)
	v_div_fixup_f64 v[92:93], v[92:93], v[50:51], 1.0
	v_mul_f64 v[94:95], v[48:49], -v[92:93]
.LBB44_429:
	s_or_b32 exec_lo, exec_lo, s2
.LBB44_430:
	s_delay_alu instid0(SALU_CYCLE_1) | instskip(NEXT) | instid1(SALU_CYCLE_1)
	s_or_b32 exec_lo, exec_lo, s3
	s_mov_b32 s2, exec_lo
	v_cmpx_ne_u32_e64 v108, v100
	s_xor_b32 s2, exec_lo, s2
	s_cbranch_execz .LBB44_436
; %bb.431:
	s_mov_b32 s3, exec_lo
	v_cmpx_eq_u32_e32 20, v108
	s_cbranch_execz .LBB44_435
; %bb.432:
	v_cmp_ne_u32_e32 vcc_lo, 20, v100
	s_xor_b32 s6, s4, -1
	s_delay_alu instid0(SALU_CYCLE_1) | instskip(NEXT) | instid1(SALU_CYCLE_1)
	s_and_b32 s7, s6, vcc_lo
	s_and_saveexec_b32 s6, s7
	s_cbranch_execz .LBB44_434
; %bb.433:
	v_ashrrev_i32_e32 v101, 31, v100
	s_delay_alu instid0(VALU_DEP_1) | instskip(NEXT) | instid1(VALU_DEP_1)
	v_lshlrev_b64 v[48:49], 2, v[100:101]
	v_add_co_u32 v48, vcc_lo, v239, v48
	s_delay_alu instid0(VALU_DEP_2)
	v_add_co_ci_u32_e32 v49, vcc_lo, v240, v49, vcc_lo
	s_clause 0x1
	flat_load_b32 v50, v[48:49]
	flat_load_b32 v51, v[239:240] offset:80
	s_waitcnt vmcnt(1) lgkmcnt(1)
	flat_store_b32 v[239:240], v50 offset:80
	s_waitcnt vmcnt(0) lgkmcnt(1)
	flat_store_b32 v[48:49], v51
.LBB44_434:
	s_or_b32 exec_lo, exec_lo, s6
	v_mov_b32_e32 v108, v100
	v_mov_b32_e32 v105, v100
.LBB44_435:
	s_or_b32 exec_lo, exec_lo, s3
.LBB44_436:
	s_and_not1_saveexec_b32 s2, s2
	s_cbranch_execz .LBB44_438
; %bb.437:
	v_mov_b32_e32 v108, 20
	ds_store_2addr_b64 v102, v[12:13], v[14:15] offset0:42 offset1:43
	ds_store_2addr_b64 v102, v[0:1], v[2:3] offset0:44 offset1:45
.LBB44_438:
	s_or_b32 exec_lo, exec_lo, s2
	s_delay_alu instid0(SALU_CYCLE_1)
	s_mov_b32 s2, exec_lo
	s_waitcnt lgkmcnt(0)
	s_waitcnt_vscnt null, 0x0
	s_barrier
	buffer_gl0_inv
	v_cmpx_lt_i32_e32 20, v108
	s_cbranch_execz .LBB44_440
; %bb.439:
	v_mul_f64 v[48:49], v[92:93], v[18:19]
	v_mul_f64 v[18:19], v[94:95], v[18:19]
	ds_load_2addr_b64 v[109:112], v102 offset0:42 offset1:43
	ds_load_2addr_b64 v[113:116], v102 offset0:44 offset1:45
	v_fma_f64 v[48:49], v[94:95], v[16:17], v[48:49]
	v_fma_f64 v[16:17], v[92:93], v[16:17], -v[18:19]
	s_waitcnt lgkmcnt(1)
	s_delay_alu instid0(VALU_DEP_2) | instskip(SKIP_4) | instid1(VALU_DEP_4)
	v_mul_f64 v[18:19], v[111:112], v[48:49]
	v_mul_f64 v[50:51], v[109:110], v[48:49]
	s_waitcnt lgkmcnt(0)
	v_mul_f64 v[92:93], v[115:116], v[48:49]
	v_mul_f64 v[94:95], v[113:114], v[48:49]
	v_fma_f64 v[18:19], v[109:110], v[16:17], -v[18:19]
	s_delay_alu instid0(VALU_DEP_4) | instskip(NEXT) | instid1(VALU_DEP_4)
	v_fma_f64 v[50:51], v[111:112], v[16:17], v[50:51]
	v_fma_f64 v[92:93], v[113:114], v[16:17], -v[92:93]
	s_delay_alu instid0(VALU_DEP_4) | instskip(NEXT) | instid1(VALU_DEP_4)
	v_fma_f64 v[94:95], v[115:116], v[16:17], v[94:95]
	v_add_f64 v[12:13], v[12:13], -v[18:19]
	s_delay_alu instid0(VALU_DEP_4) | instskip(NEXT) | instid1(VALU_DEP_4)
	v_add_f64 v[14:15], v[14:15], -v[50:51]
	v_add_f64 v[0:1], v[0:1], -v[92:93]
	s_delay_alu instid0(VALU_DEP_4)
	v_add_f64 v[2:3], v[2:3], -v[94:95]
	v_dual_mov_b32 v18, v48 :: v_dual_mov_b32 v19, v49
.LBB44_440:
	s_or_b32 exec_lo, exec_lo, s2
	v_lshl_add_u32 v48, v108, 4, v102
	s_barrier
	buffer_gl0_inv
	v_mov_b32_e32 v100, 21
	ds_store_2addr_b64 v48, v[12:13], v[14:15] offset1:1
	s_waitcnt lgkmcnt(0)
	s_barrier
	buffer_gl0_inv
	ds_load_2addr_b64 v[92:95], v102 offset0:42 offset1:43
	s_cmp_lt_i32 s5, 23
	s_cbranch_scc1 .LBB44_443
; %bb.441:
	v_add3_u32 v101, v107, 0, 0x160
	v_mov_b32_e32 v100, 21
	s_mov_b32 s6, 22
	s_set_inst_prefetch_distance 0x1
	.p2align	6
.LBB44_442:                             ; =>This Inner Loop Header: Depth=1
	ds_load_2addr_b64 v[109:112], v101 offset1:1
	s_waitcnt lgkmcnt(1)
	v_cmp_gt_f64_e32 vcc_lo, 0, v[92:93]
	v_xor_b32_e32 v48, 0x80000000, v93
	v_cmp_gt_f64_e64 s2, 0, v[94:95]
	v_xor_b32_e32 v50, 0x80000000, v95
	v_add_nc_u32_e32 v101, 16, v101
	s_waitcnt lgkmcnt(0)
	v_cmp_gt_f64_e64 s3, 0, v[109:110]
	v_mov_b32_e32 v96, v109
	v_dual_mov_b32 v98, v111 :: v_dual_cndmask_b32 v49, v93, v48
	v_xor_b32_e32 v48, 0x80000000, v110
	v_cndmask_b32_e64 v51, v95, v50, s2
	v_xor_b32_e32 v50, 0x80000000, v112
	s_delay_alu instid0(VALU_DEP_3) | instskip(SKIP_2) | instid1(VALU_DEP_2)
	v_cndmask_b32_e64 v97, v110, v48, s3
	v_cmp_gt_f64_e64 s3, 0, v[111:112]
	v_cndmask_b32_e32 v48, v92, v92, vcc_lo
	v_cndmask_b32_e64 v99, v112, v50, s3
	v_cndmask_b32_e64 v50, v94, v94, s2
	s_delay_alu instid0(VALU_DEP_2) | instskip(NEXT) | instid1(VALU_DEP_2)
	v_add_f64 v[96:97], v[96:97], v[98:99]
	v_add_f64 v[48:49], v[48:49], v[50:51]
	s_delay_alu instid0(VALU_DEP_1) | instskip(SKIP_4) | instid1(SALU_CYCLE_1)
	v_cmp_lt_f64_e32 vcc_lo, v[48:49], v[96:97]
	v_dual_cndmask_b32 v93, v93, v110 :: v_dual_cndmask_b32 v92, v92, v109
	v_dual_cndmask_b32 v95, v95, v112 :: v_dual_cndmask_b32 v94, v94, v111
	v_cndmask_b32_e64 v100, v100, s6, vcc_lo
	s_add_i32 s6, s6, 1
	s_cmp_lg_u32 s5, s6
	s_cbranch_scc1 .LBB44_442
.LBB44_443:
	s_set_inst_prefetch_distance 0x2
	s_waitcnt lgkmcnt(0)
	v_cmp_eq_f64_e32 vcc_lo, 0, v[92:93]
	v_cmp_eq_f64_e64 s2, 0, v[94:95]
	s_delay_alu instid0(VALU_DEP_1) | instskip(NEXT) | instid1(SALU_CYCLE_1)
	s_and_b32 s2, vcc_lo, s2
	s_and_saveexec_b32 s3, s2
	s_delay_alu instid0(SALU_CYCLE_1)
	s_xor_b32 s2, exec_lo, s3
; %bb.444:
	v_cmp_ne_u32_e32 vcc_lo, 0, v106
	v_cndmask_b32_e32 v106, 22, v106, vcc_lo
; %bb.445:
	s_and_not1_saveexec_b32 s3, s2
	s_cbranch_execz .LBB44_451
; %bb.446:
	v_cmp_gt_f64_e32 vcc_lo, 0, v[92:93]
	v_cmp_gt_f64_e64 s2, 0, v[94:95]
	v_xor_b32_e32 v48, 0x80000000, v93
	v_xor_b32_e32 v50, 0x80000000, v95
	s_delay_alu instid0(VALU_DEP_2) | instskip(NEXT) | instid1(VALU_DEP_2)
	v_cndmask_b32_e32 v49, v93, v48, vcc_lo
	v_cndmask_b32_e64 v51, v95, v50, s2
	v_cndmask_b32_e32 v48, v92, v92, vcc_lo
	v_cndmask_b32_e64 v50, v94, v94, s2
	s_mov_b32 s2, exec_lo
	s_delay_alu instid0(VALU_DEP_1)
	v_cmpx_ngt_f64_e32 v[48:49], v[50:51]
	s_xor_b32 s2, exec_lo, s2
	s_cbranch_execz .LBB44_448
; %bb.447:
	v_div_scale_f64 v[48:49], null, v[94:95], v[94:95], v[92:93]
	v_div_scale_f64 v[98:99], vcc_lo, v[92:93], v[94:95], v[92:93]
	s_delay_alu instid0(VALU_DEP_2) | instskip(SKIP_2) | instid1(VALU_DEP_1)
	v_rcp_f64_e32 v[50:51], v[48:49]
	s_waitcnt_depctr 0xfff
	v_fma_f64 v[96:97], -v[48:49], v[50:51], 1.0
	v_fma_f64 v[50:51], v[50:51], v[96:97], v[50:51]
	s_delay_alu instid0(VALU_DEP_1) | instskip(NEXT) | instid1(VALU_DEP_1)
	v_fma_f64 v[96:97], -v[48:49], v[50:51], 1.0
	v_fma_f64 v[50:51], v[50:51], v[96:97], v[50:51]
	s_delay_alu instid0(VALU_DEP_1) | instskip(NEXT) | instid1(VALU_DEP_1)
	v_mul_f64 v[96:97], v[98:99], v[50:51]
	v_fma_f64 v[48:49], -v[48:49], v[96:97], v[98:99]
	s_delay_alu instid0(VALU_DEP_1) | instskip(NEXT) | instid1(VALU_DEP_1)
	v_div_fmas_f64 v[48:49], v[48:49], v[50:51], v[96:97]
	v_div_fixup_f64 v[48:49], v[48:49], v[94:95], v[92:93]
	s_delay_alu instid0(VALU_DEP_1) | instskip(NEXT) | instid1(VALU_DEP_1)
	v_fma_f64 v[50:51], v[92:93], v[48:49], v[94:95]
	v_div_scale_f64 v[92:93], null, v[50:51], v[50:51], 1.0
	s_delay_alu instid0(VALU_DEP_1) | instskip(SKIP_2) | instid1(VALU_DEP_1)
	v_rcp_f64_e32 v[94:95], v[92:93]
	s_waitcnt_depctr 0xfff
	v_fma_f64 v[96:97], -v[92:93], v[94:95], 1.0
	v_fma_f64 v[94:95], v[94:95], v[96:97], v[94:95]
	s_delay_alu instid0(VALU_DEP_1) | instskip(NEXT) | instid1(VALU_DEP_1)
	v_fma_f64 v[96:97], -v[92:93], v[94:95], 1.0
	v_fma_f64 v[94:95], v[94:95], v[96:97], v[94:95]
	v_div_scale_f64 v[96:97], vcc_lo, 1.0, v[50:51], 1.0
	s_delay_alu instid0(VALU_DEP_1) | instskip(NEXT) | instid1(VALU_DEP_1)
	v_mul_f64 v[98:99], v[96:97], v[94:95]
	v_fma_f64 v[92:93], -v[92:93], v[98:99], v[96:97]
	s_delay_alu instid0(VALU_DEP_1) | instskip(NEXT) | instid1(VALU_DEP_1)
	v_div_fmas_f64 v[92:93], v[92:93], v[94:95], v[98:99]
	v_div_fixup_f64 v[94:95], v[92:93], v[50:51], 1.0
	s_delay_alu instid0(VALU_DEP_1)
	v_mul_f64 v[92:93], v[48:49], v[94:95]
	v_xor_b32_e32 v95, 0x80000000, v95
.LBB44_448:
	s_and_not1_saveexec_b32 s2, s2
	s_cbranch_execz .LBB44_450
; %bb.449:
	s_delay_alu instid0(VALU_DEP_1) | instskip(SKIP_1) | instid1(VALU_DEP_2)
	v_div_scale_f64 v[48:49], null, v[92:93], v[92:93], v[94:95]
	v_div_scale_f64 v[98:99], vcc_lo, v[94:95], v[92:93], v[94:95]
	v_rcp_f64_e32 v[50:51], v[48:49]
	s_waitcnt_depctr 0xfff
	v_fma_f64 v[96:97], -v[48:49], v[50:51], 1.0
	s_delay_alu instid0(VALU_DEP_1) | instskip(NEXT) | instid1(VALU_DEP_1)
	v_fma_f64 v[50:51], v[50:51], v[96:97], v[50:51]
	v_fma_f64 v[96:97], -v[48:49], v[50:51], 1.0
	s_delay_alu instid0(VALU_DEP_1) | instskip(NEXT) | instid1(VALU_DEP_1)
	v_fma_f64 v[50:51], v[50:51], v[96:97], v[50:51]
	v_mul_f64 v[96:97], v[98:99], v[50:51]
	s_delay_alu instid0(VALU_DEP_1) | instskip(NEXT) | instid1(VALU_DEP_1)
	v_fma_f64 v[48:49], -v[48:49], v[96:97], v[98:99]
	v_div_fmas_f64 v[48:49], v[48:49], v[50:51], v[96:97]
	s_delay_alu instid0(VALU_DEP_1) | instskip(NEXT) | instid1(VALU_DEP_1)
	v_div_fixup_f64 v[48:49], v[48:49], v[92:93], v[94:95]
	v_fma_f64 v[50:51], v[94:95], v[48:49], v[92:93]
	s_delay_alu instid0(VALU_DEP_1) | instskip(NEXT) | instid1(VALU_DEP_1)
	v_div_scale_f64 v[92:93], null, v[50:51], v[50:51], 1.0
	v_rcp_f64_e32 v[94:95], v[92:93]
	s_waitcnt_depctr 0xfff
	v_fma_f64 v[96:97], -v[92:93], v[94:95], 1.0
	s_delay_alu instid0(VALU_DEP_1) | instskip(NEXT) | instid1(VALU_DEP_1)
	v_fma_f64 v[94:95], v[94:95], v[96:97], v[94:95]
	v_fma_f64 v[96:97], -v[92:93], v[94:95], 1.0
	s_delay_alu instid0(VALU_DEP_1) | instskip(SKIP_1) | instid1(VALU_DEP_1)
	v_fma_f64 v[94:95], v[94:95], v[96:97], v[94:95]
	v_div_scale_f64 v[96:97], vcc_lo, 1.0, v[50:51], 1.0
	v_mul_f64 v[98:99], v[96:97], v[94:95]
	s_delay_alu instid0(VALU_DEP_1) | instskip(NEXT) | instid1(VALU_DEP_1)
	v_fma_f64 v[92:93], -v[92:93], v[98:99], v[96:97]
	v_div_fmas_f64 v[92:93], v[92:93], v[94:95], v[98:99]
	s_delay_alu instid0(VALU_DEP_1) | instskip(NEXT) | instid1(VALU_DEP_1)
	v_div_fixup_f64 v[92:93], v[92:93], v[50:51], 1.0
	v_mul_f64 v[94:95], v[48:49], -v[92:93]
.LBB44_450:
	s_or_b32 exec_lo, exec_lo, s2
.LBB44_451:
	s_delay_alu instid0(SALU_CYCLE_1) | instskip(NEXT) | instid1(SALU_CYCLE_1)
	s_or_b32 exec_lo, exec_lo, s3
	s_mov_b32 s2, exec_lo
	v_cmpx_ne_u32_e64 v108, v100
	s_xor_b32 s2, exec_lo, s2
	s_cbranch_execz .LBB44_457
; %bb.452:
	s_mov_b32 s3, exec_lo
	v_cmpx_eq_u32_e32 21, v108
	s_cbranch_execz .LBB44_456
; %bb.453:
	v_cmp_ne_u32_e32 vcc_lo, 21, v100
	s_xor_b32 s6, s4, -1
	s_delay_alu instid0(SALU_CYCLE_1) | instskip(NEXT) | instid1(SALU_CYCLE_1)
	s_and_b32 s7, s6, vcc_lo
	s_and_saveexec_b32 s6, s7
	s_cbranch_execz .LBB44_455
; %bb.454:
	v_ashrrev_i32_e32 v101, 31, v100
	s_delay_alu instid0(VALU_DEP_1) | instskip(NEXT) | instid1(VALU_DEP_1)
	v_lshlrev_b64 v[48:49], 2, v[100:101]
	v_add_co_u32 v48, vcc_lo, v239, v48
	s_delay_alu instid0(VALU_DEP_2)
	v_add_co_ci_u32_e32 v49, vcc_lo, v240, v49, vcc_lo
	s_clause 0x1
	flat_load_b32 v50, v[48:49]
	flat_load_b32 v51, v[239:240] offset:84
	s_waitcnt vmcnt(1) lgkmcnt(1)
	flat_store_b32 v[239:240], v50 offset:84
	s_waitcnt vmcnt(0) lgkmcnt(1)
	flat_store_b32 v[48:49], v51
.LBB44_455:
	s_or_b32 exec_lo, exec_lo, s6
	v_mov_b32_e32 v108, v100
	v_mov_b32_e32 v105, v100
.LBB44_456:
	s_or_b32 exec_lo, exec_lo, s3
.LBB44_457:
	s_and_not1_saveexec_b32 s2, s2
	s_cbranch_execz .LBB44_459
; %bb.458:
	v_mov_b32_e32 v108, 21
	ds_store_2addr_b64 v102, v[0:1], v[2:3] offset0:44 offset1:45
.LBB44_459:
	s_or_b32 exec_lo, exec_lo, s2
	s_delay_alu instid0(SALU_CYCLE_1)
	s_mov_b32 s2, exec_lo
	s_waitcnt lgkmcnt(0)
	s_waitcnt_vscnt null, 0x0
	s_barrier
	buffer_gl0_inv
	v_cmpx_lt_i32_e32 21, v108
	s_cbranch_execz .LBB44_461
; %bb.460:
	v_mul_f64 v[48:49], v[92:93], v[14:15]
	v_mul_f64 v[14:15], v[94:95], v[14:15]
	ds_load_2addr_b64 v[109:112], v102 offset0:44 offset1:45
	v_fma_f64 v[48:49], v[94:95], v[12:13], v[48:49]
	v_fma_f64 v[12:13], v[92:93], v[12:13], -v[14:15]
	s_waitcnt lgkmcnt(0)
	s_delay_alu instid0(VALU_DEP_2) | instskip(SKIP_1) | instid1(VALU_DEP_2)
	v_mul_f64 v[14:15], v[111:112], v[48:49]
	v_mul_f64 v[50:51], v[109:110], v[48:49]
	v_fma_f64 v[14:15], v[109:110], v[12:13], -v[14:15]
	s_delay_alu instid0(VALU_DEP_2) | instskip(NEXT) | instid1(VALU_DEP_2)
	v_fma_f64 v[50:51], v[111:112], v[12:13], v[50:51]
	v_add_f64 v[0:1], v[0:1], -v[14:15]
	s_delay_alu instid0(VALU_DEP_2)
	v_add_f64 v[2:3], v[2:3], -v[50:51]
	v_dual_mov_b32 v14, v48 :: v_dual_mov_b32 v15, v49
.LBB44_461:
	s_or_b32 exec_lo, exec_lo, s2
	v_lshl_add_u32 v48, v108, 4, v102
	s_barrier
	buffer_gl0_inv
	v_mov_b32_e32 v100, 22
	ds_store_2addr_b64 v48, v[0:1], v[2:3] offset1:1
	s_waitcnt lgkmcnt(0)
	s_barrier
	buffer_gl0_inv
	ds_load_2addr_b64 v[92:95], v102 offset0:44 offset1:45
	s_cmp_lt_i32 s5, 24
	s_cbranch_scc1 .LBB44_464
; %bb.462:
	v_add3_u32 v101, v107, 0, 0x170
	v_mov_b32_e32 v100, 22
	s_mov_b32 s6, 23
	s_set_inst_prefetch_distance 0x1
	.p2align	6
.LBB44_463:                             ; =>This Inner Loop Header: Depth=1
	ds_load_2addr_b64 v[109:112], v101 offset1:1
	s_waitcnt lgkmcnt(1)
	v_cmp_gt_f64_e32 vcc_lo, 0, v[92:93]
	v_xor_b32_e32 v48, 0x80000000, v93
	v_cmp_gt_f64_e64 s2, 0, v[94:95]
	v_xor_b32_e32 v50, 0x80000000, v95
	v_add_nc_u32_e32 v101, 16, v101
	s_waitcnt lgkmcnt(0)
	v_cmp_gt_f64_e64 s3, 0, v[109:110]
	v_mov_b32_e32 v96, v109
	v_dual_mov_b32 v98, v111 :: v_dual_cndmask_b32 v49, v93, v48
	v_xor_b32_e32 v48, 0x80000000, v110
	v_cndmask_b32_e64 v51, v95, v50, s2
	v_xor_b32_e32 v50, 0x80000000, v112
	s_delay_alu instid0(VALU_DEP_3) | instskip(SKIP_2) | instid1(VALU_DEP_2)
	v_cndmask_b32_e64 v97, v110, v48, s3
	v_cmp_gt_f64_e64 s3, 0, v[111:112]
	v_cndmask_b32_e32 v48, v92, v92, vcc_lo
	v_cndmask_b32_e64 v99, v112, v50, s3
	v_cndmask_b32_e64 v50, v94, v94, s2
	s_delay_alu instid0(VALU_DEP_2) | instskip(NEXT) | instid1(VALU_DEP_2)
	v_add_f64 v[96:97], v[96:97], v[98:99]
	v_add_f64 v[48:49], v[48:49], v[50:51]
	s_delay_alu instid0(VALU_DEP_1) | instskip(SKIP_4) | instid1(SALU_CYCLE_1)
	v_cmp_lt_f64_e32 vcc_lo, v[48:49], v[96:97]
	v_dual_cndmask_b32 v93, v93, v110 :: v_dual_cndmask_b32 v92, v92, v109
	v_dual_cndmask_b32 v95, v95, v112 :: v_dual_cndmask_b32 v94, v94, v111
	v_cndmask_b32_e64 v100, v100, s6, vcc_lo
	s_add_i32 s6, s6, 1
	s_cmp_lg_u32 s5, s6
	s_cbranch_scc1 .LBB44_463
.LBB44_464:
	s_set_inst_prefetch_distance 0x2
	s_waitcnt lgkmcnt(0)
	v_cmp_eq_f64_e32 vcc_lo, 0, v[92:93]
	v_cmp_eq_f64_e64 s2, 0, v[94:95]
	s_delay_alu instid0(VALU_DEP_1) | instskip(NEXT) | instid1(SALU_CYCLE_1)
	s_and_b32 s2, vcc_lo, s2
	s_and_saveexec_b32 s3, s2
	s_delay_alu instid0(SALU_CYCLE_1)
	s_xor_b32 s2, exec_lo, s3
; %bb.465:
	v_cmp_ne_u32_e32 vcc_lo, 0, v106
	v_cndmask_b32_e32 v106, 23, v106, vcc_lo
; %bb.466:
	s_and_not1_saveexec_b32 s3, s2
	s_cbranch_execz .LBB44_472
; %bb.467:
	v_cmp_gt_f64_e32 vcc_lo, 0, v[92:93]
	v_cmp_gt_f64_e64 s2, 0, v[94:95]
	v_xor_b32_e32 v48, 0x80000000, v93
	v_xor_b32_e32 v50, 0x80000000, v95
	s_delay_alu instid0(VALU_DEP_2) | instskip(NEXT) | instid1(VALU_DEP_2)
	v_cndmask_b32_e32 v49, v93, v48, vcc_lo
	v_cndmask_b32_e64 v51, v95, v50, s2
	v_cndmask_b32_e32 v48, v92, v92, vcc_lo
	v_cndmask_b32_e64 v50, v94, v94, s2
	s_mov_b32 s2, exec_lo
	s_delay_alu instid0(VALU_DEP_1)
	v_cmpx_ngt_f64_e32 v[48:49], v[50:51]
	s_xor_b32 s2, exec_lo, s2
	s_cbranch_execz .LBB44_469
; %bb.468:
	v_div_scale_f64 v[48:49], null, v[94:95], v[94:95], v[92:93]
	v_div_scale_f64 v[98:99], vcc_lo, v[92:93], v[94:95], v[92:93]
	s_delay_alu instid0(VALU_DEP_2) | instskip(SKIP_2) | instid1(VALU_DEP_1)
	v_rcp_f64_e32 v[50:51], v[48:49]
	s_waitcnt_depctr 0xfff
	v_fma_f64 v[96:97], -v[48:49], v[50:51], 1.0
	v_fma_f64 v[50:51], v[50:51], v[96:97], v[50:51]
	s_delay_alu instid0(VALU_DEP_1) | instskip(NEXT) | instid1(VALU_DEP_1)
	v_fma_f64 v[96:97], -v[48:49], v[50:51], 1.0
	v_fma_f64 v[50:51], v[50:51], v[96:97], v[50:51]
	s_delay_alu instid0(VALU_DEP_1) | instskip(NEXT) | instid1(VALU_DEP_1)
	v_mul_f64 v[96:97], v[98:99], v[50:51]
	v_fma_f64 v[48:49], -v[48:49], v[96:97], v[98:99]
	s_delay_alu instid0(VALU_DEP_1) | instskip(NEXT) | instid1(VALU_DEP_1)
	v_div_fmas_f64 v[48:49], v[48:49], v[50:51], v[96:97]
	v_div_fixup_f64 v[48:49], v[48:49], v[94:95], v[92:93]
	s_delay_alu instid0(VALU_DEP_1) | instskip(NEXT) | instid1(VALU_DEP_1)
	v_fma_f64 v[50:51], v[92:93], v[48:49], v[94:95]
	v_div_scale_f64 v[92:93], null, v[50:51], v[50:51], 1.0
	s_delay_alu instid0(VALU_DEP_1) | instskip(SKIP_2) | instid1(VALU_DEP_1)
	v_rcp_f64_e32 v[94:95], v[92:93]
	s_waitcnt_depctr 0xfff
	v_fma_f64 v[96:97], -v[92:93], v[94:95], 1.0
	v_fma_f64 v[94:95], v[94:95], v[96:97], v[94:95]
	s_delay_alu instid0(VALU_DEP_1) | instskip(NEXT) | instid1(VALU_DEP_1)
	v_fma_f64 v[96:97], -v[92:93], v[94:95], 1.0
	v_fma_f64 v[94:95], v[94:95], v[96:97], v[94:95]
	v_div_scale_f64 v[96:97], vcc_lo, 1.0, v[50:51], 1.0
	s_delay_alu instid0(VALU_DEP_1) | instskip(NEXT) | instid1(VALU_DEP_1)
	v_mul_f64 v[98:99], v[96:97], v[94:95]
	v_fma_f64 v[92:93], -v[92:93], v[98:99], v[96:97]
	s_delay_alu instid0(VALU_DEP_1) | instskip(NEXT) | instid1(VALU_DEP_1)
	v_div_fmas_f64 v[92:93], v[92:93], v[94:95], v[98:99]
	v_div_fixup_f64 v[94:95], v[92:93], v[50:51], 1.0
	s_delay_alu instid0(VALU_DEP_1)
	v_mul_f64 v[92:93], v[48:49], v[94:95]
	v_xor_b32_e32 v95, 0x80000000, v95
.LBB44_469:
	s_and_not1_saveexec_b32 s2, s2
	s_cbranch_execz .LBB44_471
; %bb.470:
	s_delay_alu instid0(VALU_DEP_1) | instskip(SKIP_1) | instid1(VALU_DEP_2)
	v_div_scale_f64 v[48:49], null, v[92:93], v[92:93], v[94:95]
	v_div_scale_f64 v[98:99], vcc_lo, v[94:95], v[92:93], v[94:95]
	v_rcp_f64_e32 v[50:51], v[48:49]
	s_waitcnt_depctr 0xfff
	v_fma_f64 v[96:97], -v[48:49], v[50:51], 1.0
	s_delay_alu instid0(VALU_DEP_1) | instskip(NEXT) | instid1(VALU_DEP_1)
	v_fma_f64 v[50:51], v[50:51], v[96:97], v[50:51]
	v_fma_f64 v[96:97], -v[48:49], v[50:51], 1.0
	s_delay_alu instid0(VALU_DEP_1) | instskip(NEXT) | instid1(VALU_DEP_1)
	v_fma_f64 v[50:51], v[50:51], v[96:97], v[50:51]
	v_mul_f64 v[96:97], v[98:99], v[50:51]
	s_delay_alu instid0(VALU_DEP_1) | instskip(NEXT) | instid1(VALU_DEP_1)
	v_fma_f64 v[48:49], -v[48:49], v[96:97], v[98:99]
	v_div_fmas_f64 v[48:49], v[48:49], v[50:51], v[96:97]
	s_delay_alu instid0(VALU_DEP_1) | instskip(NEXT) | instid1(VALU_DEP_1)
	v_div_fixup_f64 v[48:49], v[48:49], v[92:93], v[94:95]
	v_fma_f64 v[50:51], v[94:95], v[48:49], v[92:93]
	s_delay_alu instid0(VALU_DEP_1) | instskip(NEXT) | instid1(VALU_DEP_1)
	v_div_scale_f64 v[92:93], null, v[50:51], v[50:51], 1.0
	v_rcp_f64_e32 v[94:95], v[92:93]
	s_waitcnt_depctr 0xfff
	v_fma_f64 v[96:97], -v[92:93], v[94:95], 1.0
	s_delay_alu instid0(VALU_DEP_1) | instskip(NEXT) | instid1(VALU_DEP_1)
	v_fma_f64 v[94:95], v[94:95], v[96:97], v[94:95]
	v_fma_f64 v[96:97], -v[92:93], v[94:95], 1.0
	s_delay_alu instid0(VALU_DEP_1) | instskip(SKIP_1) | instid1(VALU_DEP_1)
	v_fma_f64 v[94:95], v[94:95], v[96:97], v[94:95]
	v_div_scale_f64 v[96:97], vcc_lo, 1.0, v[50:51], 1.0
	v_mul_f64 v[98:99], v[96:97], v[94:95]
	s_delay_alu instid0(VALU_DEP_1) | instskip(NEXT) | instid1(VALU_DEP_1)
	v_fma_f64 v[92:93], -v[92:93], v[98:99], v[96:97]
	v_div_fmas_f64 v[92:93], v[92:93], v[94:95], v[98:99]
	s_delay_alu instid0(VALU_DEP_1) | instskip(NEXT) | instid1(VALU_DEP_1)
	v_div_fixup_f64 v[92:93], v[92:93], v[50:51], 1.0
	v_mul_f64 v[94:95], v[48:49], -v[92:93]
.LBB44_471:
	s_or_b32 exec_lo, exec_lo, s2
.LBB44_472:
	s_delay_alu instid0(SALU_CYCLE_1)
	s_or_b32 exec_lo, exec_lo, s3
	v_mov_b32_e32 v101, 22
	s_mov_b32 s2, exec_lo
	v_cmpx_ne_u32_e64 v108, v100
	s_cbranch_execz .LBB44_478
; %bb.473:
	s_mov_b32 s3, exec_lo
	v_cmpx_eq_u32_e32 22, v108
	s_cbranch_execz .LBB44_477
; %bb.474:
	v_cmp_ne_u32_e32 vcc_lo, 22, v100
	s_xor_b32 s4, s4, -1
	s_delay_alu instid0(SALU_CYCLE_1) | instskip(NEXT) | instid1(SALU_CYCLE_1)
	s_and_b32 s5, s4, vcc_lo
	s_and_saveexec_b32 s4, s5
	s_cbranch_execz .LBB44_476
; %bb.475:
	v_ashrrev_i32_e32 v101, 31, v100
	s_delay_alu instid0(VALU_DEP_1) | instskip(NEXT) | instid1(VALU_DEP_1)
	v_lshlrev_b64 v[48:49], 2, v[100:101]
	v_add_co_u32 v48, vcc_lo, v239, v48
	s_delay_alu instid0(VALU_DEP_2)
	v_add_co_ci_u32_e32 v49, vcc_lo, v240, v49, vcc_lo
	s_clause 0x1
	flat_load_b32 v50, v[48:49]
	flat_load_b32 v51, v[239:240] offset:88
	s_waitcnt vmcnt(1) lgkmcnt(1)
	flat_store_b32 v[239:240], v50 offset:88
	s_waitcnt vmcnt(0) lgkmcnt(1)
	flat_store_b32 v[48:49], v51
.LBB44_476:
	s_or_b32 exec_lo, exec_lo, s4
	v_mov_b32_e32 v108, v100
	v_mov_b32_e32 v105, v100
.LBB44_477:
	s_or_b32 exec_lo, exec_lo, s3
	s_delay_alu instid0(VALU_DEP_2)
	v_mov_b32_e32 v101, v108
.LBB44_478:
	s_or_b32 exec_lo, exec_lo, s2
	s_delay_alu instid0(SALU_CYCLE_1)
	s_mov_b32 s2, exec_lo
	s_waitcnt lgkmcnt(0)
	s_waitcnt_vscnt null, 0x0
	s_barrier
	buffer_gl0_inv
	v_cmpx_lt_i32_e32 22, v101
; %bb.479:
	v_mul_f64 v[48:49], v[94:95], v[2:3]
	v_mul_f64 v[2:3], v[92:93], v[2:3]
	s_delay_alu instid0(VALU_DEP_2) | instskip(NEXT) | instid1(VALU_DEP_2)
	v_fma_f64 v[48:49], v[92:93], v[0:1], -v[48:49]
	v_fma_f64 v[2:3], v[94:95], v[0:1], v[2:3]
	s_delay_alu instid0(VALU_DEP_2)
	v_dual_mov_b32 v0, v48 :: v_dual_mov_b32 v1, v49
; %bb.480:
	s_or_b32 exec_lo, exec_lo, s2
	s_load_b256 s[0:7], s[0:1], 0x28
	v_ashrrev_i32_e32 v102, 31, v101
	s_mov_b32 s9, exec_lo
	s_waitcnt lgkmcnt(0)
	s_barrier
	buffer_gl0_inv
	v_cmpx_gt_i32_e32 23, v101
	s_cbranch_execz .LBB44_482
; %bb.481:
	scratch_load_b64 v[92:93], off, off offset:24 ; 8-byte Folded Reload
	s_lshl_b64 s[2:3], s[2:3], 2
	s_delay_alu instid0(SALU_CYCLE_1)
	s_add_u32 s0, s2, s0
	s_addc_u32 s1, s3, s1
	s_waitcnt vmcnt(0)
	v_mul_lo_u32 v50, v93, s4
	v_mul_lo_u32 v51, v92, s5
	v_mad_u64_u32 v[48:49], null, v92, s4, 0
	s_delay_alu instid0(VALU_DEP_1) | instskip(SKIP_1) | instid1(VALU_DEP_2)
	v_add3_u32 v49, v49, v51, v50
	v_lshlrev_b64 v[50:51], 2, v[101:102]
	v_lshlrev_b64 v[48:49], 2, v[48:49]
	s_delay_alu instid0(VALU_DEP_1) | instskip(NEXT) | instid1(VALU_DEP_2)
	v_add_co_u32 v48, vcc_lo, s0, v48
	v_add_co_ci_u32_e32 v49, vcc_lo, s1, v49, vcc_lo
	s_delay_alu instid0(VALU_DEP_2) | instskip(NEXT) | instid1(VALU_DEP_2)
	v_add_co_u32 v48, vcc_lo, v48, v50
	v_add_co_ci_u32_e32 v49, vcc_lo, v49, v51, vcc_lo
	v_add3_u32 v50, v105, s13, 1
	global_store_b32 v[48:49], v50, off
.LBB44_482:
	s_or_b32 exec_lo, exec_lo, s9
	s_delay_alu instid0(SALU_CYCLE_1)
	s_mov_b32 s1, exec_lo
	v_cmpx_eq_u32_e32 0, v101
	s_cbranch_execz .LBB44_485
; %bb.483:
	scratch_load_b64 v[48:49], off, off offset:24 ; 8-byte Folded Reload
	v_cmp_lt_i32_e64 s0, 0, v106
	s_waitcnt vmcnt(0)
	v_lshlrev_b64 v[48:49], 2, v[48:49]
	s_delay_alu instid0(VALU_DEP_1) | instskip(NEXT) | instid1(VALU_DEP_2)
	v_add_co_u32 v92, vcc_lo, s6, v48
	v_add_co_ci_u32_e32 v93, vcc_lo, s7, v49, vcc_lo
	global_load_b32 v48, v[92:93], off
	s_waitcnt vmcnt(0)
	v_cmp_eq_u32_e32 vcc_lo, 0, v48
	s_and_b32 s0, vcc_lo, s0
	s_delay_alu instid0(SALU_CYCLE_1)
	s_and_b32 exec_lo, exec_lo, s0
	s_cbranch_execz .LBB44_485
; %bb.484:
	v_add_nc_u32_e32 v48, s13, v106
	global_store_b32 v[92:93], v48, off
.LBB44_485:
	s_or_b32 exec_lo, exec_lo, s1
	scratch_load_b128 v[93:96], off, off    ; 16-byte Folded Reload
	v_lshlrev_b64 v[50:51], 4, v[101:102]
	v_add3_u32 v48, s8, s8, v101
	s_delay_alu instid0(VALU_DEP_1) | instskip(NEXT) | instid1(VALU_DEP_3)
	v_ashrrev_i32_e32 v49, 31, v48
	v_add_co_u32 v50, vcc_lo, v103, v50
	s_delay_alu instid0(VALU_DEP_4) | instskip(SKIP_1) | instid1(VALU_DEP_4)
	v_add_co_ci_u32_e32 v51, vcc_lo, v104, v51, vcc_lo
	v_add_nc_u32_e32 v92, s8, v48
	v_lshlrev_b64 v[48:49], 4, v[48:49]
	s_waitcnt vmcnt(0)
	global_store_b128 v[50:51], v[93:96], off
	v_add_nc_u32_e32 v94, s8, v92
	v_add_co_u32 v50, vcc_lo, v50, s10
	v_ashrrev_i32_e32 v93, 31, v92
	v_add_co_ci_u32_e32 v51, vcc_lo, s11, v51, vcc_lo
	s_delay_alu instid0(VALU_DEP_4)
	v_add_nc_u32_e32 v96, s8, v94
	v_add_co_u32 v48, vcc_lo, v103, v48
	v_ashrrev_i32_e32 v95, 31, v94
	v_add_co_ci_u32_e32 v49, vcc_lo, v104, v49, vcc_lo
	v_lshlrev_b64 v[92:93], 4, v[92:93]
	v_ashrrev_i32_e32 v97, 31, v96
	s_clause 0x1
	global_store_b128 v[50:51], v[28:31], off
	global_store_b128 v[48:49], v[88:91], off
	v_lshlrev_b64 v[28:29], 4, v[94:95]
	v_add_nc_u32_e32 v50, s8, v96
	v_add_co_u32 v30, vcc_lo, v103, v92
	v_lshlrev_b64 v[48:49], 4, v[96:97]
	v_add_co_ci_u32_e32 v31, vcc_lo, v104, v93, vcc_lo
	v_add_co_u32 v28, vcc_lo, v103, v28
	v_add_co_ci_u32_e32 v29, vcc_lo, v104, v29, vcc_lo
	s_delay_alu instid0(VALU_DEP_4)
	v_add_co_u32 v48, vcc_lo, v103, v48
	v_add_nc_u32_e32 v88, s8, v50
	v_add_co_ci_u32_e32 v49, vcc_lo, v104, v49, vcc_lo
	v_ashrrev_i32_e32 v51, 31, v50
	global_store_b128 v[30:31], v[76:79], off
	v_ashrrev_i32_e32 v89, 31, v88
	s_clause 0x1
	global_store_b128 v[28:29], v[84:87], off
	global_store_b128 v[48:49], v[80:83], off
	v_add_nc_u32_e32 v48, s8, v88
	v_lshlrev_b64 v[30:31], 4, v[50:51]
	v_lshlrev_b64 v[28:29], 4, v[88:89]
	s_delay_alu instid0(VALU_DEP_3) | instskip(SKIP_1) | instid1(VALU_DEP_4)
	v_add_nc_u32_e32 v50, s8, v48
	v_ashrrev_i32_e32 v49, 31, v48
	v_add_co_u32 v30, vcc_lo, v103, v30
	v_add_co_ci_u32_e32 v31, vcc_lo, v104, v31, vcc_lo
	s_delay_alu instid0(VALU_DEP_4)
	v_add_nc_u32_e32 v76, s8, v50
	v_add_co_u32 v28, vcc_lo, v103, v28
	v_ashrrev_i32_e32 v51, 31, v50
	v_lshlrev_b64 v[48:49], 4, v[48:49]
	v_add_co_ci_u32_e32 v29, vcc_lo, v104, v29, vcc_lo
	v_ashrrev_i32_e32 v77, 31, v76
	s_clause 0x1
	global_store_b128 v[30:31], v[72:75], off
	global_store_b128 v[28:29], v[68:71], off
	v_lshlrev_b64 v[28:29], 4, v[50:51]
	v_add_co_u32 v30, vcc_lo, v103, v48
	v_add_co_ci_u32_e32 v31, vcc_lo, v104, v49, vcc_lo
	v_lshlrev_b64 v[48:49], 4, v[76:77]
	v_add_nc_u32_e32 v50, s8, v76
	v_add_co_u32 v28, vcc_lo, v103, v28
	v_add_co_ci_u32_e32 v29, vcc_lo, v104, v29, vcc_lo
	s_delay_alu instid0(VALU_DEP_4) | instskip(NEXT) | instid1(VALU_DEP_4)
	v_add_co_u32 v48, vcc_lo, v103, v48
	v_add_nc_u32_e32 v68, s8, v50
	v_add_co_ci_u32_e32 v49, vcc_lo, v104, v49, vcc_lo
	v_ashrrev_i32_e32 v51, 31, v50
	global_store_b128 v[30:31], v[60:63], off
	v_ashrrev_i32_e32 v69, 31, v68
	s_clause 0x1
	global_store_b128 v[28:29], v[56:59], off
	global_store_b128 v[48:49], v[64:67], off
	v_add_nc_u32_e32 v48, s8, v68
	v_lshlrev_b64 v[30:31], 4, v[50:51]
	v_lshlrev_b64 v[28:29], 4, v[68:69]
	s_delay_alu instid0(VALU_DEP_3) | instskip(SKIP_1) | instid1(VALU_DEP_4)
	v_add_nc_u32_e32 v50, s8, v48
	v_ashrrev_i32_e32 v49, 31, v48
	v_add_co_u32 v30, vcc_lo, v103, v30
	v_add_co_ci_u32_e32 v31, vcc_lo, v104, v31, vcc_lo
	s_delay_alu instid0(VALU_DEP_4)
	v_add_nc_u32_e32 v56, s8, v50
	v_add_co_u32 v28, vcc_lo, v103, v28
	v_ashrrev_i32_e32 v51, 31, v50
	v_add_co_ci_u32_e32 v29, vcc_lo, v104, v29, vcc_lo
	v_lshlrev_b64 v[48:49], 4, v[48:49]
	v_ashrrev_i32_e32 v57, 31, v56
	s_clause 0x1
	global_store_b128 v[30:31], v[44:47], off
	global_store_b128 v[28:29], v[52:55], off
	v_lshlrev_b64 v[28:29], 4, v[50:51]
	v_add_nc_u32_e32 v46, s8, v56
	v_add_co_u32 v30, vcc_lo, v103, v48
	v_lshlrev_b64 v[44:45], 4, v[56:57]
	v_add_co_ci_u32_e32 v31, vcc_lo, v104, v49, vcc_lo
	s_delay_alu instid0(VALU_DEP_4)
	v_add_nc_u32_e32 v48, s8, v46
	v_add_co_u32 v28, vcc_lo, v103, v28
	v_ashrrev_i32_e32 v47, 31, v46
	v_add_co_ci_u32_e32 v29, vcc_lo, v104, v29, vcc_lo
	v_add_co_u32 v44, vcc_lo, v103, v44
	v_ashrrev_i32_e32 v49, 31, v48
	v_add_co_ci_u32_e32 v45, vcc_lo, v104, v45, vcc_lo
	global_store_b128 v[30:31], v[32:35], off
	v_lshlrev_b64 v[30:31], 4, v[46:47]
	v_add_nc_u32_e32 v32, s8, v48
	s_clause 0x1
	global_store_b128 v[28:29], v[40:43], off
	global_store_b128 v[44:45], v[36:39], off
	v_lshlrev_b64 v[28:29], 4, v[48:49]
	v_add_co_u32 v30, vcc_lo, v103, v30
	v_add_nc_u32_e32 v34, s8, v32
	v_add_co_ci_u32_e32 v31, vcc_lo, v104, v31, vcc_lo
	s_delay_alu instid0(VALU_DEP_4) | instskip(SKIP_1) | instid1(VALU_DEP_4)
	v_add_co_u32 v28, vcc_lo, v103, v28
	v_add_co_ci_u32_e32 v29, vcc_lo, v104, v29, vcc_lo
	v_add_nc_u32_e32 v36, s8, v34
	v_ashrrev_i32_e32 v33, 31, v32
	s_clause 0x1
	global_store_b128 v[30:31], v[24:27], off
	global_store_b128 v[28:29], v[20:23], off
	v_ashrrev_i32_e32 v35, 31, v34
	v_add_nc_u32_e32 v22, s8, v36
	v_lshlrev_b64 v[24:25], 4, v[32:33]
	v_ashrrev_i32_e32 v37, 31, v36
	s_delay_alu instid0(VALU_DEP_4) | instskip(NEXT) | instid1(VALU_DEP_4)
	v_lshlrev_b64 v[20:21], 4, v[34:35]
	v_add_nc_u32_e32 v28, s8, v22
	v_ashrrev_i32_e32 v23, 31, v22
	v_add_co_u32 v24, vcc_lo, v103, v24
	v_lshlrev_b64 v[26:27], 4, v[36:37]
	s_delay_alu instid0(VALU_DEP_4)
	v_ashrrev_i32_e32 v29, 31, v28
	v_add_co_ci_u32_e32 v25, vcc_lo, v104, v25, vcc_lo
	v_add_co_u32 v20, vcc_lo, v103, v20
	v_lshlrev_b64 v[22:23], 4, v[22:23]
	v_add_co_ci_u32_e32 v21, vcc_lo, v104, v21, vcc_lo
	v_add_co_u32 v26, vcc_lo, v103, v26
	v_lshlrev_b64 v[28:29], 4, v[28:29]
	v_add_co_ci_u32_e32 v27, vcc_lo, v104, v27, vcc_lo
	v_add_co_u32 v22, vcc_lo, v103, v22
	v_add_co_ci_u32_e32 v23, vcc_lo, v104, v23, vcc_lo
	s_delay_alu instid0(VALU_DEP_4)
	v_add_co_u32 v28, vcc_lo, v103, v28
	v_add_co_ci_u32_e32 v29, vcc_lo, v104, v29, vcc_lo
	s_clause 0x4
	global_store_b128 v[24:25], v[8:11], off
	global_store_b128 v[20:21], v[4:7], off
	;; [unrolled: 1-line block ×5, first 2 shown]
.LBB44_486:
	s_nop 0
	s_sendmsg sendmsg(MSG_DEALLOC_VGPRS)
	s_endpgm
	.section	.rodata,"a",@progbits
	.p2align	6, 0x0
	.amdhsa_kernel _ZN9rocsolver6v33100L18getf2_small_kernelILi23E19rocblas_complex_numIdEiiPKPS3_EEvT1_T3_lS7_lPS7_llPT2_S7_S7_S9_l
		.amdhsa_group_segment_fixed_size 0
		.amdhsa_private_segment_fixed_size 36
		.amdhsa_kernarg_size 352
		.amdhsa_user_sgpr_count 14
		.amdhsa_user_sgpr_dispatch_ptr 0
		.amdhsa_user_sgpr_queue_ptr 0
		.amdhsa_user_sgpr_kernarg_segment_ptr 1
		.amdhsa_user_sgpr_dispatch_id 0
		.amdhsa_user_sgpr_private_segment_size 0
		.amdhsa_wavefront_size32 1
		.amdhsa_uses_dynamic_stack 0
		.amdhsa_enable_private_segment 1
		.amdhsa_system_sgpr_workgroup_id_x 1
		.amdhsa_system_sgpr_workgroup_id_y 1
		.amdhsa_system_sgpr_workgroup_id_z 0
		.amdhsa_system_sgpr_workgroup_info 0
		.amdhsa_system_vgpr_workitem_id 1
		.amdhsa_next_free_vgpr 256
		.amdhsa_next_free_sgpr 16
		.amdhsa_reserve_vcc 1
		.amdhsa_float_round_mode_32 0
		.amdhsa_float_round_mode_16_64 0
		.amdhsa_float_denorm_mode_32 3
		.amdhsa_float_denorm_mode_16_64 3
		.amdhsa_dx10_clamp 1
		.amdhsa_ieee_mode 1
		.amdhsa_fp16_overflow 0
		.amdhsa_workgroup_processor_mode 1
		.amdhsa_memory_ordered 1
		.amdhsa_forward_progress 0
		.amdhsa_shared_vgpr_count 0
		.amdhsa_exception_fp_ieee_invalid_op 0
		.amdhsa_exception_fp_denorm_src 0
		.amdhsa_exception_fp_ieee_div_zero 0
		.amdhsa_exception_fp_ieee_overflow 0
		.amdhsa_exception_fp_ieee_underflow 0
		.amdhsa_exception_fp_ieee_inexact 0
		.amdhsa_exception_int_div_zero 0
	.end_amdhsa_kernel
	.section	.text._ZN9rocsolver6v33100L18getf2_small_kernelILi23E19rocblas_complex_numIdEiiPKPS3_EEvT1_T3_lS7_lPS7_llPT2_S7_S7_S9_l,"axG",@progbits,_ZN9rocsolver6v33100L18getf2_small_kernelILi23E19rocblas_complex_numIdEiiPKPS3_EEvT1_T3_lS7_lPS7_llPT2_S7_S7_S9_l,comdat
.Lfunc_end44:
	.size	_ZN9rocsolver6v33100L18getf2_small_kernelILi23E19rocblas_complex_numIdEiiPKPS3_EEvT1_T3_lS7_lPS7_llPT2_S7_S7_S9_l, .Lfunc_end44-_ZN9rocsolver6v33100L18getf2_small_kernelILi23E19rocblas_complex_numIdEiiPKPS3_EEvT1_T3_lS7_lPS7_llPT2_S7_S7_S9_l
                                        ; -- End function
	.section	.AMDGPU.csdata,"",@progbits
; Kernel info:
; codeLenInByte = 46320
; NumSgprs: 18
; NumVgprs: 256
; ScratchSize: 36
; MemoryBound: 0
; FloatMode: 240
; IeeeMode: 1
; LDSByteSize: 0 bytes/workgroup (compile time only)
; SGPRBlocks: 2
; VGPRBlocks: 31
; NumSGPRsForWavesPerEU: 18
; NumVGPRsForWavesPerEU: 256
; Occupancy: 5
; WaveLimiterHint : 1
; COMPUTE_PGM_RSRC2:SCRATCH_EN: 1
; COMPUTE_PGM_RSRC2:USER_SGPR: 14
; COMPUTE_PGM_RSRC2:TRAP_HANDLER: 0
; COMPUTE_PGM_RSRC2:TGID_X_EN: 1
; COMPUTE_PGM_RSRC2:TGID_Y_EN: 1
; COMPUTE_PGM_RSRC2:TGID_Z_EN: 0
; COMPUTE_PGM_RSRC2:TIDIG_COMP_CNT: 1
	.section	.text._ZN9rocsolver6v33100L23getf2_npvt_small_kernelILi23E19rocblas_complex_numIdEiiPKPS3_EEvT1_T3_lS7_lPT2_S7_S7_,"axG",@progbits,_ZN9rocsolver6v33100L23getf2_npvt_small_kernelILi23E19rocblas_complex_numIdEiiPKPS3_EEvT1_T3_lS7_lPT2_S7_S7_,comdat
	.globl	_ZN9rocsolver6v33100L23getf2_npvt_small_kernelILi23E19rocblas_complex_numIdEiiPKPS3_EEvT1_T3_lS7_lPT2_S7_S7_ ; -- Begin function _ZN9rocsolver6v33100L23getf2_npvt_small_kernelILi23E19rocblas_complex_numIdEiiPKPS3_EEvT1_T3_lS7_lPT2_S7_S7_
	.p2align	8
	.type	_ZN9rocsolver6v33100L23getf2_npvt_small_kernelILi23E19rocblas_complex_numIdEiiPKPS3_EEvT1_T3_lS7_lPT2_S7_S7_,@function
_ZN9rocsolver6v33100L23getf2_npvt_small_kernelILi23E19rocblas_complex_numIdEiiPKPS3_EEvT1_T3_lS7_lPT2_S7_S7_: ; @_ZN9rocsolver6v33100L23getf2_npvt_small_kernelILi23E19rocblas_complex_numIdEiiPKPS3_EEvT1_T3_lS7_lPT2_S7_S7_
; %bb.0:
	s_clause 0x1
	s_load_b32 s2, s[0:1], 0x44
	s_load_b64 s[8:9], s[0:1], 0x30
	v_bfe_u32 v92, v0, 10, 10
	s_waitcnt lgkmcnt(0)
	s_lshr_b32 s10, s2, 16
	s_mov_b32 s2, exec_lo
	s_delay_alu instid0(VALU_DEP_1) | instskip(NEXT) | instid1(VALU_DEP_1)
	v_mad_u64_u32 v[184:185], null, s15, s10, v[92:93]
	v_cmpx_gt_i32_e64 s8, v184
	s_cbranch_execz .LBB45_212
; %bb.1:
	s_clause 0x1
	s_load_b128 s[4:7], s[0:1], 0x8
	s_load_b32 s2, s[0:1], 0x18
	v_ashrrev_i32_e32 v185, 31, v184
	v_and_b32_e32 v234, 0x3ff, v0
	v_lshlrev_b32_e32 v93, 4, v92
	s_mulk_i32 s10, 0x170
	v_mad_u32_u24 v236, 0x170, v92, 0
	v_lshlrev_b64 v[1:2], 3, v[184:185]
	v_lshlrev_b32_e32 v45, 4, v234
	v_add3_u32 v235, 0, s10, v93
	s_waitcnt lgkmcnt(0)
	s_delay_alu instid0(VALU_DEP_3) | instskip(NEXT) | instid1(VALU_DEP_4)
	v_add_co_u32 v1, vcc_lo, s4, v1
	v_add_co_ci_u32_e32 v2, vcc_lo, s5, v2, vcc_lo
	v_add3_u32 v3, s2, s2, v234
	s_lshl_b64 s[4:5], s[6:7], 4
	s_ashr_i32 s3, s2, 31
	global_load_b64 v[1:2], v[1:2], off
	s_lshl_b64 s[6:7], s[2:3], 4
	v_add_nc_u32_e32 v5, s2, v3
	v_ashrrev_i32_e32 v4, 31, v3
	v_cmp_ne_u32_e64 s3, 0, v234
	s_delay_alu instid0(VALU_DEP_3) | instskip(SKIP_1) | instid1(VALU_DEP_4)
	v_add_nc_u32_e32 v7, s2, v5
	v_ashrrev_i32_e32 v6, 31, v5
	v_lshlrev_b64 v[3:4], 4, v[3:4]
	s_delay_alu instid0(VALU_DEP_3) | instskip(SKIP_1) | instid1(VALU_DEP_4)
	v_add_nc_u32_e32 v9, s2, v7
	v_ashrrev_i32_e32 v8, 31, v7
	v_lshlrev_b64 v[5:6], 4, v[5:6]
	s_delay_alu instid0(VALU_DEP_3) | instskip(SKIP_1) | instid1(VALU_DEP_4)
	v_add_nc_u32_e32 v11, s2, v9
	v_ashrrev_i32_e32 v10, 31, v9
	v_lshlrev_b64 v[7:8], 4, v[7:8]
	s_delay_alu instid0(VALU_DEP_3) | instskip(SKIP_1) | instid1(VALU_DEP_4)
	v_add_nc_u32_e32 v13, s2, v11
	v_ashrrev_i32_e32 v12, 31, v11
	v_lshlrev_b64 v[9:10], 4, v[9:10]
	s_delay_alu instid0(VALU_DEP_3) | instskip(SKIP_1) | instid1(VALU_DEP_4)
	v_add_nc_u32_e32 v15, s2, v13
	v_ashrrev_i32_e32 v14, 31, v13
	v_lshlrev_b64 v[11:12], 4, v[11:12]
	s_delay_alu instid0(VALU_DEP_3) | instskip(SKIP_1) | instid1(VALU_DEP_4)
	v_add_nc_u32_e32 v17, s2, v15
	v_ashrrev_i32_e32 v16, 31, v15
	v_lshlrev_b64 v[13:14], 4, v[13:14]
	s_delay_alu instid0(VALU_DEP_3) | instskip(SKIP_1) | instid1(VALU_DEP_4)
	v_add_nc_u32_e32 v19, s2, v17
	v_ashrrev_i32_e32 v18, 31, v17
	v_lshlrev_b64 v[15:16], 4, v[15:16]
	s_delay_alu instid0(VALU_DEP_3) | instskip(SKIP_1) | instid1(VALU_DEP_4)
	v_add_nc_u32_e32 v21, s2, v19
	v_ashrrev_i32_e32 v20, 31, v19
	v_lshlrev_b64 v[17:18], 4, v[17:18]
	s_delay_alu instid0(VALU_DEP_3) | instskip(SKIP_1) | instid1(VALU_DEP_4)
	v_add_nc_u32_e32 v23, s2, v21
	v_ashrrev_i32_e32 v22, 31, v21
	v_lshlrev_b64 v[19:20], 4, v[19:20]
	s_delay_alu instid0(VALU_DEP_3) | instskip(SKIP_1) | instid1(VALU_DEP_4)
	v_add_nc_u32_e32 v25, s2, v23
	v_ashrrev_i32_e32 v24, 31, v23
	v_lshlrev_b64 v[21:22], 4, v[21:22]
	s_delay_alu instid0(VALU_DEP_3) | instskip(SKIP_1) | instid1(VALU_DEP_4)
	v_add_nc_u32_e32 v27, s2, v25
	v_ashrrev_i32_e32 v26, 31, v25
	v_lshlrev_b64 v[23:24], 4, v[23:24]
	s_delay_alu instid0(VALU_DEP_3) | instskip(SKIP_1) | instid1(VALU_DEP_4)
	v_add_nc_u32_e32 v29, s2, v27
	v_ashrrev_i32_e32 v28, 31, v27
	v_lshlrev_b64 v[25:26], 4, v[25:26]
	s_delay_alu instid0(VALU_DEP_3) | instskip(SKIP_1) | instid1(VALU_DEP_4)
	v_add_nc_u32_e32 v31, s2, v29
	v_ashrrev_i32_e32 v30, 31, v29
	v_lshlrev_b64 v[27:28], 4, v[27:28]
	s_delay_alu instid0(VALU_DEP_3) | instskip(SKIP_1) | instid1(VALU_DEP_4)
	v_add_nc_u32_e32 v33, s2, v31
	v_ashrrev_i32_e32 v32, 31, v31
	v_lshlrev_b64 v[29:30], 4, v[29:30]
	s_delay_alu instid0(VALU_DEP_3) | instskip(SKIP_1) | instid1(VALU_DEP_4)
	v_add_nc_u32_e32 v35, s2, v33
	v_ashrrev_i32_e32 v34, 31, v33
	v_lshlrev_b64 v[31:32], 4, v[31:32]
	s_delay_alu instid0(VALU_DEP_3) | instskip(SKIP_1) | instid1(VALU_DEP_4)
	v_add_nc_u32_e32 v37, s2, v35
	v_ashrrev_i32_e32 v36, 31, v35
	v_lshlrev_b64 v[33:34], 4, v[33:34]
	s_delay_alu instid0(VALU_DEP_3) | instskip(SKIP_1) | instid1(VALU_DEP_4)
	v_add_nc_u32_e32 v39, s2, v37
	v_ashrrev_i32_e32 v38, 31, v37
	v_lshlrev_b64 v[35:36], 4, v[35:36]
	s_delay_alu instid0(VALU_DEP_3) | instskip(SKIP_1) | instid1(VALU_DEP_4)
	v_add_nc_u32_e32 v41, s2, v39
	v_ashrrev_i32_e32 v40, 31, v39
	v_lshlrev_b64 v[37:38], 4, v[37:38]
	s_delay_alu instid0(VALU_DEP_3) | instskip(SKIP_1) | instid1(VALU_DEP_4)
	v_add_nc_u32_e32 v43, s2, v41
	v_ashrrev_i32_e32 v42, 31, v41
	v_lshlrev_b64 v[39:40], 4, v[39:40]
	v_cmp_eq_u32_e64 s2, 0, v234
	s_delay_alu instid0(VALU_DEP_4) | instskip(NEXT) | instid1(VALU_DEP_4)
	v_ashrrev_i32_e32 v44, 31, v43
	v_lshlrev_b64 v[41:42], 4, v[41:42]
	s_waitcnt vmcnt(0)
	v_add_co_u32 v46, vcc_lo, v1, s4
	v_add_co_ci_u32_e32 v2, vcc_lo, s5, v2, vcc_lo
	v_lshlrev_b64 v[0:1], 4, v[43:44]
	s_delay_alu instid0(VALU_DEP_3) | instskip(NEXT) | instid1(VALU_DEP_3)
	v_add_co_u32 v228, vcc_lo, v46, v45
	v_add_co_ci_u32_e32 v229, vcc_lo, 0, v2, vcc_lo
	v_add_co_u32 v226, vcc_lo, v46, v3
	v_add_co_ci_u32_e32 v227, vcc_lo, v2, v4, vcc_lo
	;; [unrolled: 2-line block ×23, first 2 shown]
	s_clause 0x16
	global_load_b128 v[80:83], v[226:227], off
	global_load_b128 v[76:79], v[224:225], off
	;; [unrolled: 1-line block ×23, first 2 shown]
	s_and_saveexec_b32 s5, s2
	s_cbranch_execz .LBB45_8
; %bb.2:
	s_waitcnt vmcnt(2)
	ds_store_2addr_b64 v235, v[88:89], v[90:91] offset1:1
	s_waitcnt vmcnt(1)
	ds_store_2addr_b64 v236, v[84:85], v[86:87] offset0:2 offset1:3
	ds_store_2addr_b64 v236, v[80:81], v[82:83] offset0:4 offset1:5
	;; [unrolled: 1-line block ×21, first 2 shown]
	s_waitcnt vmcnt(0)
	ds_store_2addr_b64 v236, v[0:1], v[2:3] offset0:44 offset1:45
	ds_load_2addr_b64 v[92:95], v235 offset1:1
	s_waitcnt lgkmcnt(0)
	v_cmp_neq_f64_e32 vcc_lo, 0, v[92:93]
	v_cmp_neq_f64_e64 s4, 0, v[94:95]
	s_delay_alu instid0(VALU_DEP_1) | instskip(NEXT) | instid1(SALU_CYCLE_1)
	s_or_b32 s4, vcc_lo, s4
	s_and_b32 exec_lo, exec_lo, s4
	s_cbranch_execz .LBB45_8
; %bb.3:
	v_cmp_gt_f64_e32 vcc_lo, 0, v[92:93]
	v_cmp_gt_f64_e64 s4, 0, v[94:95]
	v_xor_b32_e32 v96, 0x80000000, v93
	v_xor_b32_e32 v98, 0x80000000, v95
                                        ; implicit-def: $vgpr100_vgpr101
	s_delay_alu instid0(VALU_DEP_2) | instskip(NEXT) | instid1(VALU_DEP_2)
	v_cndmask_b32_e32 v97, v93, v96, vcc_lo
	v_cndmask_b32_e64 v99, v95, v98, s4
	v_cndmask_b32_e32 v96, v92, v92, vcc_lo
	v_cndmask_b32_e64 v98, v94, v94, s4
	s_mov_b32 s4, exec_lo
	s_delay_alu instid0(VALU_DEP_1)
	v_cmpx_ngt_f64_e32 v[96:97], v[98:99]
	s_xor_b32 s4, exec_lo, s4
                                        ; implicit-def: $vgpr96_vgpr97_vgpr98_vgpr99
	s_cbranch_execz .LBB45_5
; %bb.4:
	v_div_scale_f64 v[96:97], null, v[94:95], v[94:95], v[92:93]
	v_div_scale_f64 v[102:103], vcc_lo, v[92:93], v[94:95], v[92:93]
	s_delay_alu instid0(VALU_DEP_2) | instskip(SKIP_2) | instid1(VALU_DEP_1)
	v_rcp_f64_e32 v[98:99], v[96:97]
	s_waitcnt_depctr 0xfff
	v_fma_f64 v[100:101], -v[96:97], v[98:99], 1.0
	v_fma_f64 v[98:99], v[98:99], v[100:101], v[98:99]
	s_delay_alu instid0(VALU_DEP_1) | instskip(NEXT) | instid1(VALU_DEP_1)
	v_fma_f64 v[100:101], -v[96:97], v[98:99], 1.0
	v_fma_f64 v[98:99], v[98:99], v[100:101], v[98:99]
	s_delay_alu instid0(VALU_DEP_1) | instskip(NEXT) | instid1(VALU_DEP_1)
	v_mul_f64 v[100:101], v[102:103], v[98:99]
	v_fma_f64 v[96:97], -v[96:97], v[100:101], v[102:103]
	s_delay_alu instid0(VALU_DEP_1) | instskip(NEXT) | instid1(VALU_DEP_1)
	v_div_fmas_f64 v[96:97], v[96:97], v[98:99], v[100:101]
	v_div_fixup_f64 v[96:97], v[96:97], v[94:95], v[92:93]
	s_delay_alu instid0(VALU_DEP_1) | instskip(NEXT) | instid1(VALU_DEP_1)
	v_fma_f64 v[92:93], v[92:93], v[96:97], v[94:95]
	v_div_scale_f64 v[94:95], null, v[92:93], v[92:93], 1.0
	s_delay_alu instid0(VALU_DEP_1) | instskip(SKIP_2) | instid1(VALU_DEP_1)
	v_rcp_f64_e32 v[98:99], v[94:95]
	s_waitcnt_depctr 0xfff
	v_fma_f64 v[100:101], -v[94:95], v[98:99], 1.0
	v_fma_f64 v[98:99], v[98:99], v[100:101], v[98:99]
	s_delay_alu instid0(VALU_DEP_1) | instskip(NEXT) | instid1(VALU_DEP_1)
	v_fma_f64 v[100:101], -v[94:95], v[98:99], 1.0
	v_fma_f64 v[98:99], v[98:99], v[100:101], v[98:99]
	v_div_scale_f64 v[100:101], vcc_lo, 1.0, v[92:93], 1.0
	s_delay_alu instid0(VALU_DEP_1) | instskip(NEXT) | instid1(VALU_DEP_1)
	v_mul_f64 v[102:103], v[100:101], v[98:99]
	v_fma_f64 v[94:95], -v[94:95], v[102:103], v[100:101]
	s_delay_alu instid0(VALU_DEP_1) | instskip(NEXT) | instid1(VALU_DEP_1)
	v_div_fmas_f64 v[94:95], v[94:95], v[98:99], v[102:103]
	v_div_fixup_f64 v[98:99], v[94:95], v[92:93], 1.0
                                        ; implicit-def: $vgpr92_vgpr93
	s_delay_alu instid0(VALU_DEP_1)
	v_mul_f64 v[100:101], v[96:97], v[98:99]
	v_xor_b32_e32 v99, 0x80000000, v99
.LBB45_5:
	s_and_not1_saveexec_b32 s4, s4
	s_cbranch_execz .LBB45_7
; %bb.6:
	v_div_scale_f64 v[96:97], null, v[92:93], v[92:93], v[94:95]
	v_div_scale_f64 v[102:103], vcc_lo, v[94:95], v[92:93], v[94:95]
	s_delay_alu instid0(VALU_DEP_2) | instskip(SKIP_2) | instid1(VALU_DEP_1)
	v_rcp_f64_e32 v[98:99], v[96:97]
	s_waitcnt_depctr 0xfff
	v_fma_f64 v[100:101], -v[96:97], v[98:99], 1.0
	v_fma_f64 v[98:99], v[98:99], v[100:101], v[98:99]
	s_delay_alu instid0(VALU_DEP_1) | instskip(NEXT) | instid1(VALU_DEP_1)
	v_fma_f64 v[100:101], -v[96:97], v[98:99], 1.0
	v_fma_f64 v[98:99], v[98:99], v[100:101], v[98:99]
	s_delay_alu instid0(VALU_DEP_1) | instskip(NEXT) | instid1(VALU_DEP_1)
	v_mul_f64 v[100:101], v[102:103], v[98:99]
	v_fma_f64 v[96:97], -v[96:97], v[100:101], v[102:103]
	s_delay_alu instid0(VALU_DEP_1) | instskip(NEXT) | instid1(VALU_DEP_1)
	v_div_fmas_f64 v[96:97], v[96:97], v[98:99], v[100:101]
	v_div_fixup_f64 v[96:97], v[96:97], v[92:93], v[94:95]
	s_delay_alu instid0(VALU_DEP_1) | instskip(NEXT) | instid1(VALU_DEP_1)
	v_fma_f64 v[92:93], v[94:95], v[96:97], v[92:93]
	v_div_scale_f64 v[94:95], null, v[92:93], v[92:93], 1.0
	s_delay_alu instid0(VALU_DEP_1) | instskip(SKIP_2) | instid1(VALU_DEP_1)
	v_rcp_f64_e32 v[98:99], v[94:95]
	s_waitcnt_depctr 0xfff
	v_fma_f64 v[100:101], -v[94:95], v[98:99], 1.0
	v_fma_f64 v[98:99], v[98:99], v[100:101], v[98:99]
	s_delay_alu instid0(VALU_DEP_1) | instskip(NEXT) | instid1(VALU_DEP_1)
	v_fma_f64 v[100:101], -v[94:95], v[98:99], 1.0
	v_fma_f64 v[98:99], v[98:99], v[100:101], v[98:99]
	v_div_scale_f64 v[100:101], vcc_lo, 1.0, v[92:93], 1.0
	s_delay_alu instid0(VALU_DEP_1) | instskip(NEXT) | instid1(VALU_DEP_1)
	v_mul_f64 v[102:103], v[100:101], v[98:99]
	v_fma_f64 v[94:95], -v[94:95], v[102:103], v[100:101]
	s_delay_alu instid0(VALU_DEP_1) | instskip(NEXT) | instid1(VALU_DEP_1)
	v_div_fmas_f64 v[94:95], v[94:95], v[98:99], v[102:103]
	v_div_fixup_f64 v[100:101], v[94:95], v[92:93], 1.0
	s_delay_alu instid0(VALU_DEP_1)
	v_mul_f64 v[98:99], v[96:97], -v[100:101]
.LBB45_7:
	s_or_b32 exec_lo, exec_lo, s4
	ds_store_2addr_b64 v235, v[100:101], v[98:99] offset1:1
.LBB45_8:
	s_or_b32 exec_lo, exec_lo, s5
	s_waitcnt vmcnt(0) lgkmcnt(0)
	s_barrier
	buffer_gl0_inv
	ds_load_2addr_b64 v[92:95], v235 offset1:1
	s_and_saveexec_b32 s4, s3
	s_cbranch_execz .LBB45_10
; %bb.9:
	s_waitcnt lgkmcnt(0)
	v_mul_f64 v[96:97], v[92:93], v[90:91]
	v_mul_f64 v[112:113], v[94:95], v[90:91]
	s_delay_alu instid0(VALU_DEP_2)
	v_fma_f64 v[90:91], v[94:95], v[88:89], v[96:97]
	ds_load_2addr_b64 v[96:99], v236 offset0:2 offset1:3
	ds_load_2addr_b64 v[100:103], v236 offset0:4 offset1:5
	;; [unrolled: 1-line block ×4, first 2 shown]
	v_fma_f64 v[88:89], v[92:93], v[88:89], -v[112:113]
	ds_load_2addr_b64 v[112:115], v236 offset0:10 offset1:11
	ds_load_2addr_b64 v[116:119], v236 offset0:12 offset1:13
	;; [unrolled: 1-line block ×5, first 2 shown]
	s_waitcnt lgkmcnt(8)
	v_mul_f64 v[132:133], v[98:99], v[90:91]
	v_mul_f64 v[134:135], v[96:97], v[90:91]
	s_waitcnt lgkmcnt(7)
	v_mul_f64 v[136:137], v[102:103], v[90:91]
	v_mul_f64 v[138:139], v[100:101], v[90:91]
	;; [unrolled: 3-line block ×3, first 2 shown]
	v_mul_f64 v[142:143], v[104:105], v[90:91]
	s_waitcnt lgkmcnt(4)
	v_mul_f64 v[148:149], v[114:115], v[90:91]
	v_mul_f64 v[150:151], v[112:113], v[90:91]
	s_waitcnt lgkmcnt(3)
	v_mul_f64 v[152:153], v[118:119], v[90:91]
	v_mul_f64 v[154:155], v[116:117], v[90:91]
	;; [unrolled: 1-line block ×3, first 2 shown]
	s_waitcnt lgkmcnt(1)
	v_mul_f64 v[156:157], v[122:123], v[90:91]
	v_mul_f64 v[158:159], v[120:121], v[90:91]
	s_waitcnt lgkmcnt(0)
	v_mul_f64 v[160:161], v[126:127], v[90:91]
	v_mul_f64 v[162:163], v[124:125], v[90:91]
	v_fma_f64 v[132:133], v[96:97], v[88:89], -v[132:133]
	v_fma_f64 v[134:135], v[98:99], v[88:89], v[134:135]
	ds_load_2addr_b64 v[96:99], v236 offset0:20 offset1:21
	v_fma_f64 v[136:137], v[100:101], v[88:89], -v[136:137]
	v_fma_f64 v[138:139], v[102:103], v[88:89], v[138:139]
	v_fma_f64 v[144:145], v[108:109], v[88:89], -v[144:145]
	ds_load_2addr_b64 v[100:103], v236 offset0:22 offset1:23
	v_mul_f64 v[108:109], v[128:129], v[90:91]
	v_fma_f64 v[140:141], v[104:105], v[88:89], -v[140:141]
	v_fma_f64 v[142:143], v[106:107], v[88:89], v[142:143]
	ds_load_2addr_b64 v[104:107], v236 offset0:24 offset1:25
	v_fma_f64 v[112:113], v[112:113], v[88:89], -v[148:149]
	v_fma_f64 v[114:115], v[114:115], v[88:89], v[150:151]
	v_fma_f64 v[116:117], v[116:117], v[88:89], -v[152:153]
	v_fma_f64 v[118:119], v[118:119], v[88:89], v[154:155]
	v_mul_f64 v[164:165], v[130:131], v[90:91]
	v_fma_f64 v[146:147], v[110:111], v[88:89], v[146:147]
	v_fma_f64 v[120:121], v[120:121], v[88:89], -v[156:157]
	v_fma_f64 v[122:123], v[122:123], v[88:89], v[158:159]
	v_fma_f64 v[124:125], v[124:125], v[88:89], -v[160:161]
	v_fma_f64 v[126:127], v[126:127], v[88:89], v[162:163]
	s_waitcnt lgkmcnt(2)
	v_mul_f64 v[148:149], v[98:99], v[90:91]
	v_mul_f64 v[150:151], v[96:97], v[90:91]
	s_waitcnt lgkmcnt(1)
	v_mul_f64 v[152:153], v[102:103], v[90:91]
	v_mul_f64 v[154:155], v[100:101], v[90:91]
	;; [unrolled: 3-line block ×3, first 2 shown]
	v_add_f64 v[84:85], v[84:85], -v[132:133]
	v_add_f64 v[86:87], v[86:87], -v[134:135]
	;; [unrolled: 1-line block ×5, first 2 shown]
	v_fma_f64 v[130:131], v[130:131], v[88:89], v[108:109]
	ds_load_2addr_b64 v[108:111], v236 offset0:26 offset1:27
	v_add_f64 v[76:77], v[76:77], -v[140:141]
	v_add_f64 v[78:79], v[78:79], -v[142:143]
	;; [unrolled: 1-line block ×6, first 2 shown]
	v_fma_f64 v[128:129], v[128:129], v[88:89], -v[164:165]
	v_add_f64 v[74:75], v[74:75], -v[146:147]
	v_add_f64 v[60:61], v[60:61], -v[120:121]
	;; [unrolled: 1-line block ×5, first 2 shown]
	v_fma_f64 v[148:149], v[96:97], v[88:89], -v[148:149]
	v_fma_f64 v[150:151], v[98:99], v[88:89], v[150:151]
	ds_load_2addr_b64 v[96:99], v236 offset0:28 offset1:29
	v_fma_f64 v[152:153], v[100:101], v[88:89], -v[152:153]
	v_fma_f64 v[154:155], v[102:103], v[88:89], v[154:155]
	s_waitcnt lgkmcnt(1)
	v_mul_f64 v[100:101], v[110:111], v[90:91]
	v_mul_f64 v[102:103], v[108:109], v[90:91]
	v_fma_f64 v[104:105], v[104:105], v[88:89], -v[156:157]
	v_fma_f64 v[106:107], v[106:107], v[88:89], v[158:159]
	s_waitcnt lgkmcnt(0)
	v_mul_f64 v[156:157], v[98:99], v[90:91]
	v_mul_f64 v[158:159], v[96:97], v[90:91]
	v_add_f64 v[54:55], v[54:55], -v[130:131]
	v_add_f64 v[52:53], v[52:53], -v[128:129]
	v_add_f64 v[48:49], v[48:49], -v[148:149]
	v_add_f64 v[50:51], v[50:51], -v[150:151]
	v_add_f64 v[44:45], v[44:45], -v[152:153]
	v_add_f64 v[46:47], v[46:47], -v[154:155]
	v_fma_f64 v[108:109], v[108:109], v[88:89], -v[100:101]
	v_fma_f64 v[110:111], v[110:111], v[88:89], v[102:103]
	ds_load_2addr_b64 v[100:103], v236 offset0:30 offset1:31
	v_add_f64 v[40:41], v[40:41], -v[104:105]
	v_add_f64 v[42:43], v[42:43], -v[106:107]
	v_fma_f64 v[156:157], v[96:97], v[88:89], -v[156:157]
	v_fma_f64 v[158:159], v[98:99], v[88:89], v[158:159]
	ds_load_2addr_b64 v[96:99], v236 offset0:32 offset1:33
	s_waitcnt lgkmcnt(1)
	v_mul_f64 v[160:161], v[102:103], v[90:91]
	v_add_f64 v[36:37], v[36:37], -v[108:109]
	v_add_f64 v[38:39], v[38:39], -v[110:111]
	;; [unrolled: 1-line block ×4, first 2 shown]
	v_fma_f64 v[160:161], v[100:101], v[88:89], -v[160:161]
	v_mul_f64 v[100:101], v[100:101], v[90:91]
	s_delay_alu instid0(VALU_DEP_2) | instskip(NEXT) | instid1(VALU_DEP_2)
	v_add_f64 v[28:29], v[28:29], -v[160:161]
	v_fma_f64 v[162:163], v[102:103], v[88:89], v[100:101]
	s_waitcnt lgkmcnt(0)
	v_mul_f64 v[100:101], v[98:99], v[90:91]
	s_delay_alu instid0(VALU_DEP_2) | instskip(NEXT) | instid1(VALU_DEP_2)
	v_add_f64 v[30:31], v[30:31], -v[162:163]
	v_fma_f64 v[164:165], v[96:97], v[88:89], -v[100:101]
	v_mul_f64 v[96:97], v[96:97], v[90:91]
	s_delay_alu instid0(VALU_DEP_2) | instskip(NEXT) | instid1(VALU_DEP_2)
	v_add_f64 v[24:25], v[24:25], -v[164:165]
	v_fma_f64 v[166:167], v[98:99], v[88:89], v[96:97]
	ds_load_2addr_b64 v[96:99], v236 offset0:34 offset1:35
	ds_load_2addr_b64 v[100:103], v236 offset0:36 offset1:37
	s_waitcnt lgkmcnt(1)
	v_mul_f64 v[168:169], v[98:99], v[90:91]
	v_add_f64 v[26:27], v[26:27], -v[166:167]
	s_delay_alu instid0(VALU_DEP_2) | instskip(SKIP_1) | instid1(VALU_DEP_2)
	v_fma_f64 v[168:169], v[96:97], v[88:89], -v[168:169]
	v_mul_f64 v[96:97], v[96:97], v[90:91]
	v_add_f64 v[20:21], v[20:21], -v[168:169]
	s_delay_alu instid0(VALU_DEP_2) | instskip(SKIP_2) | instid1(VALU_DEP_2)
	v_fma_f64 v[170:171], v[98:99], v[88:89], v[96:97]
	s_waitcnt lgkmcnt(0)
	v_mul_f64 v[96:97], v[102:103], v[90:91]
	v_add_f64 v[22:23], v[22:23], -v[170:171]
	s_delay_alu instid0(VALU_DEP_2) | instskip(SKIP_1) | instid1(VALU_DEP_2)
	v_fma_f64 v[172:173], v[100:101], v[88:89], -v[96:97]
	v_mul_f64 v[96:97], v[100:101], v[90:91]
	v_add_f64 v[16:17], v[16:17], -v[172:173]
	s_delay_alu instid0(VALU_DEP_2)
	v_fma_f64 v[174:175], v[102:103], v[88:89], v[96:97]
	ds_load_2addr_b64 v[96:99], v236 offset0:38 offset1:39
	ds_load_2addr_b64 v[100:103], v236 offset0:40 offset1:41
	s_waitcnt lgkmcnt(1)
	v_mul_f64 v[176:177], v[98:99], v[90:91]
	v_add_f64 v[18:19], v[18:19], -v[174:175]
	s_delay_alu instid0(VALU_DEP_2) | instskip(SKIP_1) | instid1(VALU_DEP_2)
	v_fma_f64 v[176:177], v[96:97], v[88:89], -v[176:177]
	v_mul_f64 v[96:97], v[96:97], v[90:91]
	v_add_f64 v[12:13], v[12:13], -v[176:177]
	s_delay_alu instid0(VALU_DEP_2) | instskip(SKIP_2) | instid1(VALU_DEP_2)
	v_fma_f64 v[178:179], v[98:99], v[88:89], v[96:97]
	s_waitcnt lgkmcnt(0)
	v_mul_f64 v[96:97], v[102:103], v[90:91]
	v_add_f64 v[14:15], v[14:15], -v[178:179]
	s_delay_alu instid0(VALU_DEP_2) | instskip(SKIP_1) | instid1(VALU_DEP_2)
	v_fma_f64 v[180:181], v[100:101], v[88:89], -v[96:97]
	v_mul_f64 v[96:97], v[100:101], v[90:91]
	v_add_f64 v[8:9], v[8:9], -v[180:181]
	s_delay_alu instid0(VALU_DEP_2)
	v_fma_f64 v[182:183], v[102:103], v[88:89], v[96:97]
	ds_load_2addr_b64 v[96:99], v236 offset0:42 offset1:43
	ds_load_2addr_b64 v[100:103], v236 offset0:44 offset1:45
	s_waitcnt lgkmcnt(1)
	v_mul_f64 v[232:233], v[98:99], v[90:91]
	v_add_f64 v[10:11], v[10:11], -v[182:183]
	s_delay_alu instid0(VALU_DEP_2) | instskip(SKIP_1) | instid1(VALU_DEP_2)
	v_fma_f64 v[232:233], v[96:97], v[88:89], -v[232:233]
	v_mul_f64 v[96:97], v[96:97], v[90:91]
	v_add_f64 v[4:5], v[4:5], -v[232:233]
	s_delay_alu instid0(VALU_DEP_2) | instskip(SKIP_2) | instid1(VALU_DEP_2)
	v_fma_f64 v[96:97], v[98:99], v[88:89], v[96:97]
	s_waitcnt lgkmcnt(0)
	v_mul_f64 v[98:99], v[102:103], v[90:91]
	v_add_f64 v[6:7], v[6:7], -v[96:97]
	s_delay_alu instid0(VALU_DEP_2) | instskip(SKIP_1) | instid1(VALU_DEP_2)
	v_fma_f64 v[98:99], v[100:101], v[88:89], -v[98:99]
	v_mul_f64 v[100:101], v[100:101], v[90:91]
	v_add_f64 v[0:1], v[0:1], -v[98:99]
	s_delay_alu instid0(VALU_DEP_2) | instskip(NEXT) | instid1(VALU_DEP_1)
	v_fma_f64 v[100:101], v[102:103], v[88:89], v[100:101]
	v_add_f64 v[2:3], v[2:3], -v[100:101]
.LBB45_10:
	s_or_b32 exec_lo, exec_lo, s4
	s_delay_alu instid0(SALU_CYCLE_1)
	s_mov_b32 s4, exec_lo
	s_waitcnt lgkmcnt(0)
	s_barrier
	buffer_gl0_inv
	v_cmpx_eq_u32_e32 1, v234
	s_cbranch_execz .LBB45_17
; %bb.11:
	ds_store_2addr_b64 v235, v[84:85], v[86:87] offset1:1
	ds_store_2addr_b64 v236, v[80:81], v[82:83] offset0:4 offset1:5
	ds_store_2addr_b64 v236, v[76:77], v[78:79] offset0:6 offset1:7
	;; [unrolled: 1-line block ×21, first 2 shown]
	ds_load_2addr_b64 v[96:99], v235 offset1:1
	s_waitcnt lgkmcnt(0)
	v_cmp_neq_f64_e32 vcc_lo, 0, v[96:97]
	v_cmp_neq_f64_e64 s3, 0, v[98:99]
	s_delay_alu instid0(VALU_DEP_1) | instskip(NEXT) | instid1(SALU_CYCLE_1)
	s_or_b32 s3, vcc_lo, s3
	s_and_b32 exec_lo, exec_lo, s3
	s_cbranch_execz .LBB45_17
; %bb.12:
	v_cmp_gt_f64_e32 vcc_lo, 0, v[96:97]
	v_cmp_gt_f64_e64 s3, 0, v[98:99]
	v_xor_b32_e32 v100, 0x80000000, v97
	v_xor_b32_e32 v102, 0x80000000, v99
                                        ; implicit-def: $vgpr104_vgpr105
	s_delay_alu instid0(VALU_DEP_2) | instskip(NEXT) | instid1(VALU_DEP_2)
	v_cndmask_b32_e32 v101, v97, v100, vcc_lo
	v_cndmask_b32_e64 v103, v99, v102, s3
	v_cndmask_b32_e32 v100, v96, v96, vcc_lo
	v_cndmask_b32_e64 v102, v98, v98, s3
	s_mov_b32 s3, exec_lo
	s_delay_alu instid0(VALU_DEP_1)
	v_cmpx_ngt_f64_e32 v[100:101], v[102:103]
	s_xor_b32 s3, exec_lo, s3
                                        ; implicit-def: $vgpr100_vgpr101_vgpr102_vgpr103
	s_cbranch_execz .LBB45_14
; %bb.13:
	v_div_scale_f64 v[100:101], null, v[98:99], v[98:99], v[96:97]
	v_div_scale_f64 v[106:107], vcc_lo, v[96:97], v[98:99], v[96:97]
	s_delay_alu instid0(VALU_DEP_2) | instskip(SKIP_2) | instid1(VALU_DEP_1)
	v_rcp_f64_e32 v[102:103], v[100:101]
	s_waitcnt_depctr 0xfff
	v_fma_f64 v[104:105], -v[100:101], v[102:103], 1.0
	v_fma_f64 v[102:103], v[102:103], v[104:105], v[102:103]
	s_delay_alu instid0(VALU_DEP_1) | instskip(NEXT) | instid1(VALU_DEP_1)
	v_fma_f64 v[104:105], -v[100:101], v[102:103], 1.0
	v_fma_f64 v[102:103], v[102:103], v[104:105], v[102:103]
	s_delay_alu instid0(VALU_DEP_1) | instskip(NEXT) | instid1(VALU_DEP_1)
	v_mul_f64 v[104:105], v[106:107], v[102:103]
	v_fma_f64 v[100:101], -v[100:101], v[104:105], v[106:107]
	s_delay_alu instid0(VALU_DEP_1) | instskip(NEXT) | instid1(VALU_DEP_1)
	v_div_fmas_f64 v[100:101], v[100:101], v[102:103], v[104:105]
	v_div_fixup_f64 v[100:101], v[100:101], v[98:99], v[96:97]
	s_delay_alu instid0(VALU_DEP_1) | instskip(NEXT) | instid1(VALU_DEP_1)
	v_fma_f64 v[96:97], v[96:97], v[100:101], v[98:99]
	v_div_scale_f64 v[98:99], null, v[96:97], v[96:97], 1.0
	s_delay_alu instid0(VALU_DEP_1) | instskip(SKIP_2) | instid1(VALU_DEP_1)
	v_rcp_f64_e32 v[102:103], v[98:99]
	s_waitcnt_depctr 0xfff
	v_fma_f64 v[104:105], -v[98:99], v[102:103], 1.0
	v_fma_f64 v[102:103], v[102:103], v[104:105], v[102:103]
	s_delay_alu instid0(VALU_DEP_1) | instskip(NEXT) | instid1(VALU_DEP_1)
	v_fma_f64 v[104:105], -v[98:99], v[102:103], 1.0
	v_fma_f64 v[102:103], v[102:103], v[104:105], v[102:103]
	v_div_scale_f64 v[104:105], vcc_lo, 1.0, v[96:97], 1.0
	s_delay_alu instid0(VALU_DEP_1) | instskip(NEXT) | instid1(VALU_DEP_1)
	v_mul_f64 v[106:107], v[104:105], v[102:103]
	v_fma_f64 v[98:99], -v[98:99], v[106:107], v[104:105]
	s_delay_alu instid0(VALU_DEP_1) | instskip(NEXT) | instid1(VALU_DEP_1)
	v_div_fmas_f64 v[98:99], v[98:99], v[102:103], v[106:107]
	v_div_fixup_f64 v[102:103], v[98:99], v[96:97], 1.0
                                        ; implicit-def: $vgpr96_vgpr97
	s_delay_alu instid0(VALU_DEP_1)
	v_mul_f64 v[104:105], v[100:101], v[102:103]
	v_xor_b32_e32 v103, 0x80000000, v103
.LBB45_14:
	s_and_not1_saveexec_b32 s3, s3
	s_cbranch_execz .LBB45_16
; %bb.15:
	v_div_scale_f64 v[100:101], null, v[96:97], v[96:97], v[98:99]
	v_div_scale_f64 v[106:107], vcc_lo, v[98:99], v[96:97], v[98:99]
	s_delay_alu instid0(VALU_DEP_2) | instskip(SKIP_2) | instid1(VALU_DEP_1)
	v_rcp_f64_e32 v[102:103], v[100:101]
	s_waitcnt_depctr 0xfff
	v_fma_f64 v[104:105], -v[100:101], v[102:103], 1.0
	v_fma_f64 v[102:103], v[102:103], v[104:105], v[102:103]
	s_delay_alu instid0(VALU_DEP_1) | instskip(NEXT) | instid1(VALU_DEP_1)
	v_fma_f64 v[104:105], -v[100:101], v[102:103], 1.0
	v_fma_f64 v[102:103], v[102:103], v[104:105], v[102:103]
	s_delay_alu instid0(VALU_DEP_1) | instskip(NEXT) | instid1(VALU_DEP_1)
	v_mul_f64 v[104:105], v[106:107], v[102:103]
	v_fma_f64 v[100:101], -v[100:101], v[104:105], v[106:107]
	s_delay_alu instid0(VALU_DEP_1) | instskip(NEXT) | instid1(VALU_DEP_1)
	v_div_fmas_f64 v[100:101], v[100:101], v[102:103], v[104:105]
	v_div_fixup_f64 v[100:101], v[100:101], v[96:97], v[98:99]
	s_delay_alu instid0(VALU_DEP_1) | instskip(NEXT) | instid1(VALU_DEP_1)
	v_fma_f64 v[96:97], v[98:99], v[100:101], v[96:97]
	v_div_scale_f64 v[98:99], null, v[96:97], v[96:97], 1.0
	s_delay_alu instid0(VALU_DEP_1) | instskip(SKIP_2) | instid1(VALU_DEP_1)
	v_rcp_f64_e32 v[102:103], v[98:99]
	s_waitcnt_depctr 0xfff
	v_fma_f64 v[104:105], -v[98:99], v[102:103], 1.0
	v_fma_f64 v[102:103], v[102:103], v[104:105], v[102:103]
	s_delay_alu instid0(VALU_DEP_1) | instskip(NEXT) | instid1(VALU_DEP_1)
	v_fma_f64 v[104:105], -v[98:99], v[102:103], 1.0
	v_fma_f64 v[102:103], v[102:103], v[104:105], v[102:103]
	v_div_scale_f64 v[104:105], vcc_lo, 1.0, v[96:97], 1.0
	s_delay_alu instid0(VALU_DEP_1) | instskip(NEXT) | instid1(VALU_DEP_1)
	v_mul_f64 v[106:107], v[104:105], v[102:103]
	v_fma_f64 v[98:99], -v[98:99], v[106:107], v[104:105]
	s_delay_alu instid0(VALU_DEP_1) | instskip(NEXT) | instid1(VALU_DEP_1)
	v_div_fmas_f64 v[98:99], v[98:99], v[102:103], v[106:107]
	v_div_fixup_f64 v[104:105], v[98:99], v[96:97], 1.0
	s_delay_alu instid0(VALU_DEP_1)
	v_mul_f64 v[102:103], v[100:101], -v[104:105]
.LBB45_16:
	s_or_b32 exec_lo, exec_lo, s3
	ds_store_2addr_b64 v235, v[104:105], v[102:103] offset1:1
.LBB45_17:
	s_or_b32 exec_lo, exec_lo, s4
	s_waitcnt lgkmcnt(0)
	s_barrier
	buffer_gl0_inv
	ds_load_2addr_b64 v[96:99], v235 offset1:1
	s_mov_b32 s3, exec_lo
	v_cmpx_lt_u32_e32 1, v234
	s_cbranch_execz .LBB45_19
; %bb.18:
	s_waitcnt lgkmcnt(0)
	v_mul_f64 v[100:101], v[98:99], v[86:87]
	v_mul_f64 v[86:87], v[96:97], v[86:87]
	ds_load_2addr_b64 v[102:105], v236 offset0:4 offset1:5
	ds_load_2addr_b64 v[106:109], v236 offset0:6 offset1:7
	v_fma_f64 v[100:101], v[96:97], v[84:85], -v[100:101]
	v_fma_f64 v[86:87], v[98:99], v[84:85], v[86:87]
	s_waitcnt lgkmcnt(1)
	s_delay_alu instid0(VALU_DEP_1) | instskip(NEXT) | instid1(VALU_DEP_1)
	v_mul_f64 v[84:85], v[104:105], v[86:87]
	v_fma_f64 v[84:85], v[102:103], v[100:101], -v[84:85]
	v_mul_f64 v[102:103], v[102:103], v[86:87]
	s_delay_alu instid0(VALU_DEP_2) | instskip(NEXT) | instid1(VALU_DEP_2)
	v_add_f64 v[80:81], v[80:81], -v[84:85]
	v_fma_f64 v[102:103], v[104:105], v[100:101], v[102:103]
	s_waitcnt lgkmcnt(0)
	v_mul_f64 v[104:105], v[108:109], v[86:87]
	v_dual_mov_b32 v84, v100 :: v_dual_mov_b32 v85, v101
	s_delay_alu instid0(VALU_DEP_3) | instskip(NEXT) | instid1(VALU_DEP_3)
	v_add_f64 v[82:83], v[82:83], -v[102:103]
	v_fma_f64 v[104:105], v[106:107], v[100:101], -v[104:105]
	v_mul_f64 v[106:107], v[106:107], v[86:87]
	s_delay_alu instid0(VALU_DEP_2) | instskip(NEXT) | instid1(VALU_DEP_2)
	v_add_f64 v[76:77], v[76:77], -v[104:105]
	v_fma_f64 v[106:107], v[108:109], v[100:101], v[106:107]
	ds_load_2addr_b64 v[108:111], v236 offset0:8 offset1:9
	ds_load_2addr_b64 v[112:115], v236 offset0:10 offset1:11
	s_waitcnt lgkmcnt(1)
	v_mul_f64 v[116:117], v[110:111], v[86:87]
	v_add_f64 v[78:79], v[78:79], -v[106:107]
	s_delay_alu instid0(VALU_DEP_2) | instskip(SKIP_1) | instid1(VALU_DEP_2)
	v_fma_f64 v[116:117], v[108:109], v[100:101], -v[116:117]
	v_mul_f64 v[108:109], v[108:109], v[86:87]
	v_add_f64 v[72:73], v[72:73], -v[116:117]
	s_delay_alu instid0(VALU_DEP_2) | instskip(SKIP_2) | instid1(VALU_DEP_2)
	v_fma_f64 v[118:119], v[110:111], v[100:101], v[108:109]
	s_waitcnt lgkmcnt(0)
	v_mul_f64 v[108:109], v[114:115], v[86:87]
	v_add_f64 v[74:75], v[74:75], -v[118:119]
	s_delay_alu instid0(VALU_DEP_2) | instskip(SKIP_1) | instid1(VALU_DEP_2)
	v_fma_f64 v[120:121], v[112:113], v[100:101], -v[108:109]
	v_mul_f64 v[108:109], v[112:113], v[86:87]
	v_add_f64 v[68:69], v[68:69], -v[120:121]
	s_delay_alu instid0(VALU_DEP_2)
	v_fma_f64 v[122:123], v[114:115], v[100:101], v[108:109]
	ds_load_2addr_b64 v[108:111], v236 offset0:12 offset1:13
	ds_load_2addr_b64 v[112:115], v236 offset0:14 offset1:15
	s_waitcnt lgkmcnt(1)
	v_mul_f64 v[124:125], v[110:111], v[86:87]
	v_add_f64 v[70:71], v[70:71], -v[122:123]
	s_delay_alu instid0(VALU_DEP_2) | instskip(SKIP_1) | instid1(VALU_DEP_2)
	v_fma_f64 v[124:125], v[108:109], v[100:101], -v[124:125]
	v_mul_f64 v[108:109], v[108:109], v[86:87]
	v_add_f64 v[64:65], v[64:65], -v[124:125]
	s_delay_alu instid0(VALU_DEP_2) | instskip(SKIP_2) | instid1(VALU_DEP_2)
	v_fma_f64 v[126:127], v[110:111], v[100:101], v[108:109]
	s_waitcnt lgkmcnt(0)
	v_mul_f64 v[108:109], v[114:115], v[86:87]
	v_add_f64 v[66:67], v[66:67], -v[126:127]
	s_delay_alu instid0(VALU_DEP_2) | instskip(SKIP_1) | instid1(VALU_DEP_2)
	v_fma_f64 v[128:129], v[112:113], v[100:101], -v[108:109]
	v_mul_f64 v[108:109], v[112:113], v[86:87]
	v_add_f64 v[60:61], v[60:61], -v[128:129]
	s_delay_alu instid0(VALU_DEP_2)
	;; [unrolled: 20-line block ×8, first 2 shown]
	v_fma_f64 v[178:179], v[114:115], v[100:101], v[108:109]
	ds_load_2addr_b64 v[108:111], v236 offset0:40 offset1:41
	ds_load_2addr_b64 v[112:115], v236 offset0:42 offset1:43
	s_waitcnt lgkmcnt(1)
	v_mul_f64 v[180:181], v[110:111], v[86:87]
	v_add_f64 v[14:15], v[14:15], -v[178:179]
	s_delay_alu instid0(VALU_DEP_2) | instskip(SKIP_1) | instid1(VALU_DEP_2)
	v_fma_f64 v[180:181], v[108:109], v[100:101], -v[180:181]
	v_mul_f64 v[108:109], v[108:109], v[86:87]
	v_add_f64 v[8:9], v[8:9], -v[180:181]
	s_delay_alu instid0(VALU_DEP_2) | instskip(SKIP_2) | instid1(VALU_DEP_2)
	v_fma_f64 v[182:183], v[110:111], v[100:101], v[108:109]
	s_waitcnt lgkmcnt(0)
	v_mul_f64 v[108:109], v[114:115], v[86:87]
	v_add_f64 v[10:11], v[10:11], -v[182:183]
	s_delay_alu instid0(VALU_DEP_2) | instskip(SKIP_1) | instid1(VALU_DEP_2)
	v_fma_f64 v[232:233], v[112:113], v[100:101], -v[108:109]
	v_mul_f64 v[108:109], v[112:113], v[86:87]
	v_add_f64 v[4:5], v[4:5], -v[232:233]
	s_delay_alu instid0(VALU_DEP_2) | instskip(SKIP_4) | instid1(VALU_DEP_2)
	v_fma_f64 v[112:113], v[114:115], v[100:101], v[108:109]
	ds_load_2addr_b64 v[108:111], v236 offset0:44 offset1:45
	s_waitcnt lgkmcnt(0)
	v_mul_f64 v[114:115], v[110:111], v[86:87]
	v_add_f64 v[6:7], v[6:7], -v[112:113]
	v_fma_f64 v[114:115], v[108:109], v[100:101], -v[114:115]
	v_mul_f64 v[108:109], v[108:109], v[86:87]
	s_delay_alu instid0(VALU_DEP_2) | instskip(NEXT) | instid1(VALU_DEP_2)
	v_add_f64 v[0:1], v[0:1], -v[114:115]
	v_fma_f64 v[108:109], v[110:111], v[100:101], v[108:109]
	s_delay_alu instid0(VALU_DEP_1)
	v_add_f64 v[2:3], v[2:3], -v[108:109]
.LBB45_19:
	s_or_b32 exec_lo, exec_lo, s3
	s_delay_alu instid0(SALU_CYCLE_1)
	s_mov_b32 s4, exec_lo
	s_waitcnt lgkmcnt(0)
	s_barrier
	buffer_gl0_inv
	v_cmpx_eq_u32_e32 2, v234
	s_cbranch_execz .LBB45_26
; %bb.20:
	ds_store_2addr_b64 v235, v[80:81], v[82:83] offset1:1
	ds_store_2addr_b64 v236, v[76:77], v[78:79] offset0:6 offset1:7
	ds_store_2addr_b64 v236, v[72:73], v[74:75] offset0:8 offset1:9
	;; [unrolled: 1-line block ×20, first 2 shown]
	ds_load_2addr_b64 v[100:103], v235 offset1:1
	s_waitcnt lgkmcnt(0)
	v_cmp_neq_f64_e32 vcc_lo, 0, v[100:101]
	v_cmp_neq_f64_e64 s3, 0, v[102:103]
	s_delay_alu instid0(VALU_DEP_1) | instskip(NEXT) | instid1(SALU_CYCLE_1)
	s_or_b32 s3, vcc_lo, s3
	s_and_b32 exec_lo, exec_lo, s3
	s_cbranch_execz .LBB45_26
; %bb.21:
	v_cmp_gt_f64_e32 vcc_lo, 0, v[100:101]
	v_cmp_gt_f64_e64 s3, 0, v[102:103]
	v_xor_b32_e32 v104, 0x80000000, v101
	v_xor_b32_e32 v106, 0x80000000, v103
                                        ; implicit-def: $vgpr108_vgpr109
	s_delay_alu instid0(VALU_DEP_2) | instskip(NEXT) | instid1(VALU_DEP_2)
	v_cndmask_b32_e32 v105, v101, v104, vcc_lo
	v_cndmask_b32_e64 v107, v103, v106, s3
	v_cndmask_b32_e32 v104, v100, v100, vcc_lo
	v_cndmask_b32_e64 v106, v102, v102, s3
	s_mov_b32 s3, exec_lo
	s_delay_alu instid0(VALU_DEP_1)
	v_cmpx_ngt_f64_e32 v[104:105], v[106:107]
	s_xor_b32 s3, exec_lo, s3
                                        ; implicit-def: $vgpr104_vgpr105_vgpr106_vgpr107
	s_cbranch_execz .LBB45_23
; %bb.22:
	v_div_scale_f64 v[104:105], null, v[102:103], v[102:103], v[100:101]
	v_div_scale_f64 v[110:111], vcc_lo, v[100:101], v[102:103], v[100:101]
	s_delay_alu instid0(VALU_DEP_2) | instskip(SKIP_2) | instid1(VALU_DEP_1)
	v_rcp_f64_e32 v[106:107], v[104:105]
	s_waitcnt_depctr 0xfff
	v_fma_f64 v[108:109], -v[104:105], v[106:107], 1.0
	v_fma_f64 v[106:107], v[106:107], v[108:109], v[106:107]
	s_delay_alu instid0(VALU_DEP_1) | instskip(NEXT) | instid1(VALU_DEP_1)
	v_fma_f64 v[108:109], -v[104:105], v[106:107], 1.0
	v_fma_f64 v[106:107], v[106:107], v[108:109], v[106:107]
	s_delay_alu instid0(VALU_DEP_1) | instskip(NEXT) | instid1(VALU_DEP_1)
	v_mul_f64 v[108:109], v[110:111], v[106:107]
	v_fma_f64 v[104:105], -v[104:105], v[108:109], v[110:111]
	s_delay_alu instid0(VALU_DEP_1) | instskip(NEXT) | instid1(VALU_DEP_1)
	v_div_fmas_f64 v[104:105], v[104:105], v[106:107], v[108:109]
	v_div_fixup_f64 v[104:105], v[104:105], v[102:103], v[100:101]
	s_delay_alu instid0(VALU_DEP_1) | instskip(NEXT) | instid1(VALU_DEP_1)
	v_fma_f64 v[100:101], v[100:101], v[104:105], v[102:103]
	v_div_scale_f64 v[102:103], null, v[100:101], v[100:101], 1.0
	s_delay_alu instid0(VALU_DEP_1) | instskip(SKIP_2) | instid1(VALU_DEP_1)
	v_rcp_f64_e32 v[106:107], v[102:103]
	s_waitcnt_depctr 0xfff
	v_fma_f64 v[108:109], -v[102:103], v[106:107], 1.0
	v_fma_f64 v[106:107], v[106:107], v[108:109], v[106:107]
	s_delay_alu instid0(VALU_DEP_1) | instskip(NEXT) | instid1(VALU_DEP_1)
	v_fma_f64 v[108:109], -v[102:103], v[106:107], 1.0
	v_fma_f64 v[106:107], v[106:107], v[108:109], v[106:107]
	v_div_scale_f64 v[108:109], vcc_lo, 1.0, v[100:101], 1.0
	s_delay_alu instid0(VALU_DEP_1) | instskip(NEXT) | instid1(VALU_DEP_1)
	v_mul_f64 v[110:111], v[108:109], v[106:107]
	v_fma_f64 v[102:103], -v[102:103], v[110:111], v[108:109]
	s_delay_alu instid0(VALU_DEP_1) | instskip(NEXT) | instid1(VALU_DEP_1)
	v_div_fmas_f64 v[102:103], v[102:103], v[106:107], v[110:111]
	v_div_fixup_f64 v[106:107], v[102:103], v[100:101], 1.0
                                        ; implicit-def: $vgpr100_vgpr101
	s_delay_alu instid0(VALU_DEP_1)
	v_mul_f64 v[108:109], v[104:105], v[106:107]
	v_xor_b32_e32 v107, 0x80000000, v107
.LBB45_23:
	s_and_not1_saveexec_b32 s3, s3
	s_cbranch_execz .LBB45_25
; %bb.24:
	v_div_scale_f64 v[104:105], null, v[100:101], v[100:101], v[102:103]
	v_div_scale_f64 v[110:111], vcc_lo, v[102:103], v[100:101], v[102:103]
	s_delay_alu instid0(VALU_DEP_2) | instskip(SKIP_2) | instid1(VALU_DEP_1)
	v_rcp_f64_e32 v[106:107], v[104:105]
	s_waitcnt_depctr 0xfff
	v_fma_f64 v[108:109], -v[104:105], v[106:107], 1.0
	v_fma_f64 v[106:107], v[106:107], v[108:109], v[106:107]
	s_delay_alu instid0(VALU_DEP_1) | instskip(NEXT) | instid1(VALU_DEP_1)
	v_fma_f64 v[108:109], -v[104:105], v[106:107], 1.0
	v_fma_f64 v[106:107], v[106:107], v[108:109], v[106:107]
	s_delay_alu instid0(VALU_DEP_1) | instskip(NEXT) | instid1(VALU_DEP_1)
	v_mul_f64 v[108:109], v[110:111], v[106:107]
	v_fma_f64 v[104:105], -v[104:105], v[108:109], v[110:111]
	s_delay_alu instid0(VALU_DEP_1) | instskip(NEXT) | instid1(VALU_DEP_1)
	v_div_fmas_f64 v[104:105], v[104:105], v[106:107], v[108:109]
	v_div_fixup_f64 v[104:105], v[104:105], v[100:101], v[102:103]
	s_delay_alu instid0(VALU_DEP_1) | instskip(NEXT) | instid1(VALU_DEP_1)
	v_fma_f64 v[100:101], v[102:103], v[104:105], v[100:101]
	v_div_scale_f64 v[102:103], null, v[100:101], v[100:101], 1.0
	s_delay_alu instid0(VALU_DEP_1) | instskip(SKIP_2) | instid1(VALU_DEP_1)
	v_rcp_f64_e32 v[106:107], v[102:103]
	s_waitcnt_depctr 0xfff
	v_fma_f64 v[108:109], -v[102:103], v[106:107], 1.0
	v_fma_f64 v[106:107], v[106:107], v[108:109], v[106:107]
	s_delay_alu instid0(VALU_DEP_1) | instskip(NEXT) | instid1(VALU_DEP_1)
	v_fma_f64 v[108:109], -v[102:103], v[106:107], 1.0
	v_fma_f64 v[106:107], v[106:107], v[108:109], v[106:107]
	v_div_scale_f64 v[108:109], vcc_lo, 1.0, v[100:101], 1.0
	s_delay_alu instid0(VALU_DEP_1) | instskip(NEXT) | instid1(VALU_DEP_1)
	v_mul_f64 v[110:111], v[108:109], v[106:107]
	v_fma_f64 v[102:103], -v[102:103], v[110:111], v[108:109]
	s_delay_alu instid0(VALU_DEP_1) | instskip(NEXT) | instid1(VALU_DEP_1)
	v_div_fmas_f64 v[102:103], v[102:103], v[106:107], v[110:111]
	v_div_fixup_f64 v[108:109], v[102:103], v[100:101], 1.0
	s_delay_alu instid0(VALU_DEP_1)
	v_mul_f64 v[106:107], v[104:105], -v[108:109]
.LBB45_25:
	s_or_b32 exec_lo, exec_lo, s3
	ds_store_2addr_b64 v235, v[108:109], v[106:107] offset1:1
.LBB45_26:
	s_or_b32 exec_lo, exec_lo, s4
	s_waitcnt lgkmcnt(0)
	s_barrier
	buffer_gl0_inv
	ds_load_2addr_b64 v[100:103], v235 offset1:1
	s_mov_b32 s3, exec_lo
	v_cmpx_lt_u32_e32 2, v234
	s_cbranch_execz .LBB45_28
; %bb.27:
	s_waitcnt lgkmcnt(0)
	v_mul_f64 v[104:105], v[102:103], v[82:83]
	v_mul_f64 v[82:83], v[100:101], v[82:83]
	ds_load_2addr_b64 v[106:109], v236 offset0:6 offset1:7
	ds_load_2addr_b64 v[110:113], v236 offset0:8 offset1:9
	v_fma_f64 v[104:105], v[100:101], v[80:81], -v[104:105]
	v_fma_f64 v[82:83], v[102:103], v[80:81], v[82:83]
	s_waitcnt lgkmcnt(1)
	s_delay_alu instid0(VALU_DEP_1) | instskip(NEXT) | instid1(VALU_DEP_1)
	v_mul_f64 v[80:81], v[108:109], v[82:83]
	v_fma_f64 v[80:81], v[106:107], v[104:105], -v[80:81]
	v_mul_f64 v[106:107], v[106:107], v[82:83]
	s_delay_alu instid0(VALU_DEP_2) | instskip(NEXT) | instid1(VALU_DEP_2)
	v_add_f64 v[76:77], v[76:77], -v[80:81]
	v_fma_f64 v[114:115], v[108:109], v[104:105], v[106:107]
	s_waitcnt lgkmcnt(0)
	v_mul_f64 v[106:107], v[112:113], v[82:83]
	v_dual_mov_b32 v80, v104 :: v_dual_mov_b32 v81, v105
	s_delay_alu instid0(VALU_DEP_3) | instskip(NEXT) | instid1(VALU_DEP_3)
	v_add_f64 v[78:79], v[78:79], -v[114:115]
	v_fma_f64 v[116:117], v[110:111], v[104:105], -v[106:107]
	v_mul_f64 v[106:107], v[110:111], v[82:83]
	s_delay_alu instid0(VALU_DEP_2) | instskip(NEXT) | instid1(VALU_DEP_2)
	v_add_f64 v[72:73], v[72:73], -v[116:117]
	v_fma_f64 v[118:119], v[112:113], v[104:105], v[106:107]
	ds_load_2addr_b64 v[106:109], v236 offset0:10 offset1:11
	ds_load_2addr_b64 v[110:113], v236 offset0:12 offset1:13
	s_waitcnt lgkmcnt(1)
	v_mul_f64 v[120:121], v[108:109], v[82:83]
	v_add_f64 v[74:75], v[74:75], -v[118:119]
	s_delay_alu instid0(VALU_DEP_2) | instskip(SKIP_1) | instid1(VALU_DEP_2)
	v_fma_f64 v[120:121], v[106:107], v[104:105], -v[120:121]
	v_mul_f64 v[106:107], v[106:107], v[82:83]
	v_add_f64 v[68:69], v[68:69], -v[120:121]
	s_delay_alu instid0(VALU_DEP_2) | instskip(SKIP_2) | instid1(VALU_DEP_2)
	v_fma_f64 v[122:123], v[108:109], v[104:105], v[106:107]
	s_waitcnt lgkmcnt(0)
	v_mul_f64 v[106:107], v[112:113], v[82:83]
	v_add_f64 v[70:71], v[70:71], -v[122:123]
	s_delay_alu instid0(VALU_DEP_2) | instskip(SKIP_1) | instid1(VALU_DEP_2)
	v_fma_f64 v[124:125], v[110:111], v[104:105], -v[106:107]
	v_mul_f64 v[106:107], v[110:111], v[82:83]
	v_add_f64 v[64:65], v[64:65], -v[124:125]
	s_delay_alu instid0(VALU_DEP_2)
	v_fma_f64 v[126:127], v[112:113], v[104:105], v[106:107]
	ds_load_2addr_b64 v[106:109], v236 offset0:14 offset1:15
	ds_load_2addr_b64 v[110:113], v236 offset0:16 offset1:17
	s_waitcnt lgkmcnt(1)
	v_mul_f64 v[128:129], v[108:109], v[82:83]
	v_add_f64 v[66:67], v[66:67], -v[126:127]
	s_delay_alu instid0(VALU_DEP_2) | instskip(SKIP_1) | instid1(VALU_DEP_2)
	v_fma_f64 v[128:129], v[106:107], v[104:105], -v[128:129]
	v_mul_f64 v[106:107], v[106:107], v[82:83]
	v_add_f64 v[60:61], v[60:61], -v[128:129]
	s_delay_alu instid0(VALU_DEP_2) | instskip(SKIP_2) | instid1(VALU_DEP_2)
	v_fma_f64 v[130:131], v[108:109], v[104:105], v[106:107]
	s_waitcnt lgkmcnt(0)
	v_mul_f64 v[106:107], v[112:113], v[82:83]
	v_add_f64 v[62:63], v[62:63], -v[130:131]
	s_delay_alu instid0(VALU_DEP_2) | instskip(SKIP_1) | instid1(VALU_DEP_2)
	v_fma_f64 v[132:133], v[110:111], v[104:105], -v[106:107]
	v_mul_f64 v[106:107], v[110:111], v[82:83]
	v_add_f64 v[56:57], v[56:57], -v[132:133]
	s_delay_alu instid0(VALU_DEP_2)
	;; [unrolled: 20-line block ×8, first 2 shown]
	v_fma_f64 v[182:183], v[112:113], v[104:105], v[106:107]
	ds_load_2addr_b64 v[106:109], v236 offset0:42 offset1:43
	ds_load_2addr_b64 v[110:113], v236 offset0:44 offset1:45
	s_waitcnt lgkmcnt(1)
	v_mul_f64 v[232:233], v[108:109], v[82:83]
	v_add_f64 v[10:11], v[10:11], -v[182:183]
	s_delay_alu instid0(VALU_DEP_2) | instskip(SKIP_1) | instid1(VALU_DEP_2)
	v_fma_f64 v[232:233], v[106:107], v[104:105], -v[232:233]
	v_mul_f64 v[106:107], v[106:107], v[82:83]
	v_add_f64 v[4:5], v[4:5], -v[232:233]
	s_delay_alu instid0(VALU_DEP_2) | instskip(SKIP_2) | instid1(VALU_DEP_2)
	v_fma_f64 v[106:107], v[108:109], v[104:105], v[106:107]
	s_waitcnt lgkmcnt(0)
	v_mul_f64 v[108:109], v[112:113], v[82:83]
	v_add_f64 v[6:7], v[6:7], -v[106:107]
	s_delay_alu instid0(VALU_DEP_2) | instskip(SKIP_1) | instid1(VALU_DEP_2)
	v_fma_f64 v[108:109], v[110:111], v[104:105], -v[108:109]
	v_mul_f64 v[110:111], v[110:111], v[82:83]
	v_add_f64 v[0:1], v[0:1], -v[108:109]
	s_delay_alu instid0(VALU_DEP_2) | instskip(NEXT) | instid1(VALU_DEP_1)
	v_fma_f64 v[110:111], v[112:113], v[104:105], v[110:111]
	v_add_f64 v[2:3], v[2:3], -v[110:111]
.LBB45_28:
	s_or_b32 exec_lo, exec_lo, s3
	s_delay_alu instid0(SALU_CYCLE_1)
	s_mov_b32 s4, exec_lo
	s_waitcnt lgkmcnt(0)
	s_barrier
	buffer_gl0_inv
	v_cmpx_eq_u32_e32 3, v234
	s_cbranch_execz .LBB45_35
; %bb.29:
	ds_store_2addr_b64 v235, v[76:77], v[78:79] offset1:1
	ds_store_2addr_b64 v236, v[72:73], v[74:75] offset0:8 offset1:9
	ds_store_2addr_b64 v236, v[68:69], v[70:71] offset0:10 offset1:11
	;; [unrolled: 1-line block ×19, first 2 shown]
	ds_load_2addr_b64 v[104:107], v235 offset1:1
	s_waitcnt lgkmcnt(0)
	v_cmp_neq_f64_e32 vcc_lo, 0, v[104:105]
	v_cmp_neq_f64_e64 s3, 0, v[106:107]
	s_delay_alu instid0(VALU_DEP_1) | instskip(NEXT) | instid1(SALU_CYCLE_1)
	s_or_b32 s3, vcc_lo, s3
	s_and_b32 exec_lo, exec_lo, s3
	s_cbranch_execz .LBB45_35
; %bb.30:
	v_cmp_gt_f64_e32 vcc_lo, 0, v[104:105]
	v_cmp_gt_f64_e64 s3, 0, v[106:107]
	v_xor_b32_e32 v108, 0x80000000, v105
	v_xor_b32_e32 v110, 0x80000000, v107
                                        ; implicit-def: $vgpr112_vgpr113
	s_delay_alu instid0(VALU_DEP_2) | instskip(NEXT) | instid1(VALU_DEP_2)
	v_cndmask_b32_e32 v109, v105, v108, vcc_lo
	v_cndmask_b32_e64 v111, v107, v110, s3
	v_cndmask_b32_e32 v108, v104, v104, vcc_lo
	v_cndmask_b32_e64 v110, v106, v106, s3
	s_mov_b32 s3, exec_lo
	s_delay_alu instid0(VALU_DEP_1)
	v_cmpx_ngt_f64_e32 v[108:109], v[110:111]
	s_xor_b32 s3, exec_lo, s3
                                        ; implicit-def: $vgpr108_vgpr109_vgpr110_vgpr111
	s_cbranch_execz .LBB45_32
; %bb.31:
	v_div_scale_f64 v[108:109], null, v[106:107], v[106:107], v[104:105]
	v_div_scale_f64 v[114:115], vcc_lo, v[104:105], v[106:107], v[104:105]
	s_delay_alu instid0(VALU_DEP_2) | instskip(SKIP_2) | instid1(VALU_DEP_1)
	v_rcp_f64_e32 v[110:111], v[108:109]
	s_waitcnt_depctr 0xfff
	v_fma_f64 v[112:113], -v[108:109], v[110:111], 1.0
	v_fma_f64 v[110:111], v[110:111], v[112:113], v[110:111]
	s_delay_alu instid0(VALU_DEP_1) | instskip(NEXT) | instid1(VALU_DEP_1)
	v_fma_f64 v[112:113], -v[108:109], v[110:111], 1.0
	v_fma_f64 v[110:111], v[110:111], v[112:113], v[110:111]
	s_delay_alu instid0(VALU_DEP_1) | instskip(NEXT) | instid1(VALU_DEP_1)
	v_mul_f64 v[112:113], v[114:115], v[110:111]
	v_fma_f64 v[108:109], -v[108:109], v[112:113], v[114:115]
	s_delay_alu instid0(VALU_DEP_1) | instskip(NEXT) | instid1(VALU_DEP_1)
	v_div_fmas_f64 v[108:109], v[108:109], v[110:111], v[112:113]
	v_div_fixup_f64 v[108:109], v[108:109], v[106:107], v[104:105]
	s_delay_alu instid0(VALU_DEP_1) | instskip(NEXT) | instid1(VALU_DEP_1)
	v_fma_f64 v[104:105], v[104:105], v[108:109], v[106:107]
	v_div_scale_f64 v[106:107], null, v[104:105], v[104:105], 1.0
	s_delay_alu instid0(VALU_DEP_1) | instskip(SKIP_2) | instid1(VALU_DEP_1)
	v_rcp_f64_e32 v[110:111], v[106:107]
	s_waitcnt_depctr 0xfff
	v_fma_f64 v[112:113], -v[106:107], v[110:111], 1.0
	v_fma_f64 v[110:111], v[110:111], v[112:113], v[110:111]
	s_delay_alu instid0(VALU_DEP_1) | instskip(NEXT) | instid1(VALU_DEP_1)
	v_fma_f64 v[112:113], -v[106:107], v[110:111], 1.0
	v_fma_f64 v[110:111], v[110:111], v[112:113], v[110:111]
	v_div_scale_f64 v[112:113], vcc_lo, 1.0, v[104:105], 1.0
	s_delay_alu instid0(VALU_DEP_1) | instskip(NEXT) | instid1(VALU_DEP_1)
	v_mul_f64 v[114:115], v[112:113], v[110:111]
	v_fma_f64 v[106:107], -v[106:107], v[114:115], v[112:113]
	s_delay_alu instid0(VALU_DEP_1) | instskip(NEXT) | instid1(VALU_DEP_1)
	v_div_fmas_f64 v[106:107], v[106:107], v[110:111], v[114:115]
	v_div_fixup_f64 v[110:111], v[106:107], v[104:105], 1.0
                                        ; implicit-def: $vgpr104_vgpr105
	s_delay_alu instid0(VALU_DEP_1)
	v_mul_f64 v[112:113], v[108:109], v[110:111]
	v_xor_b32_e32 v111, 0x80000000, v111
.LBB45_32:
	s_and_not1_saveexec_b32 s3, s3
	s_cbranch_execz .LBB45_34
; %bb.33:
	v_div_scale_f64 v[108:109], null, v[104:105], v[104:105], v[106:107]
	v_div_scale_f64 v[114:115], vcc_lo, v[106:107], v[104:105], v[106:107]
	s_delay_alu instid0(VALU_DEP_2) | instskip(SKIP_2) | instid1(VALU_DEP_1)
	v_rcp_f64_e32 v[110:111], v[108:109]
	s_waitcnt_depctr 0xfff
	v_fma_f64 v[112:113], -v[108:109], v[110:111], 1.0
	v_fma_f64 v[110:111], v[110:111], v[112:113], v[110:111]
	s_delay_alu instid0(VALU_DEP_1) | instskip(NEXT) | instid1(VALU_DEP_1)
	v_fma_f64 v[112:113], -v[108:109], v[110:111], 1.0
	v_fma_f64 v[110:111], v[110:111], v[112:113], v[110:111]
	s_delay_alu instid0(VALU_DEP_1) | instskip(NEXT) | instid1(VALU_DEP_1)
	v_mul_f64 v[112:113], v[114:115], v[110:111]
	v_fma_f64 v[108:109], -v[108:109], v[112:113], v[114:115]
	s_delay_alu instid0(VALU_DEP_1) | instskip(NEXT) | instid1(VALU_DEP_1)
	v_div_fmas_f64 v[108:109], v[108:109], v[110:111], v[112:113]
	v_div_fixup_f64 v[108:109], v[108:109], v[104:105], v[106:107]
	s_delay_alu instid0(VALU_DEP_1) | instskip(NEXT) | instid1(VALU_DEP_1)
	v_fma_f64 v[104:105], v[106:107], v[108:109], v[104:105]
	v_div_scale_f64 v[106:107], null, v[104:105], v[104:105], 1.0
	s_delay_alu instid0(VALU_DEP_1) | instskip(SKIP_2) | instid1(VALU_DEP_1)
	v_rcp_f64_e32 v[110:111], v[106:107]
	s_waitcnt_depctr 0xfff
	v_fma_f64 v[112:113], -v[106:107], v[110:111], 1.0
	v_fma_f64 v[110:111], v[110:111], v[112:113], v[110:111]
	s_delay_alu instid0(VALU_DEP_1) | instskip(NEXT) | instid1(VALU_DEP_1)
	v_fma_f64 v[112:113], -v[106:107], v[110:111], 1.0
	v_fma_f64 v[110:111], v[110:111], v[112:113], v[110:111]
	v_div_scale_f64 v[112:113], vcc_lo, 1.0, v[104:105], 1.0
	s_delay_alu instid0(VALU_DEP_1) | instskip(NEXT) | instid1(VALU_DEP_1)
	v_mul_f64 v[114:115], v[112:113], v[110:111]
	v_fma_f64 v[106:107], -v[106:107], v[114:115], v[112:113]
	s_delay_alu instid0(VALU_DEP_1) | instskip(NEXT) | instid1(VALU_DEP_1)
	v_div_fmas_f64 v[106:107], v[106:107], v[110:111], v[114:115]
	v_div_fixup_f64 v[112:113], v[106:107], v[104:105], 1.0
	s_delay_alu instid0(VALU_DEP_1)
	v_mul_f64 v[110:111], v[108:109], -v[112:113]
.LBB45_34:
	s_or_b32 exec_lo, exec_lo, s3
	ds_store_2addr_b64 v235, v[112:113], v[110:111] offset1:1
.LBB45_35:
	s_or_b32 exec_lo, exec_lo, s4
	s_waitcnt lgkmcnt(0)
	s_barrier
	buffer_gl0_inv
	ds_load_2addr_b64 v[104:107], v235 offset1:1
	s_mov_b32 s3, exec_lo
	v_cmpx_lt_u32_e32 3, v234
	s_cbranch_execz .LBB45_37
; %bb.36:
	s_waitcnt lgkmcnt(0)
	v_mul_f64 v[108:109], v[106:107], v[78:79]
	v_mul_f64 v[78:79], v[104:105], v[78:79]
	ds_load_2addr_b64 v[110:113], v236 offset0:8 offset1:9
	ds_load_2addr_b64 v[114:117], v236 offset0:10 offset1:11
	v_fma_f64 v[108:109], v[104:105], v[76:77], -v[108:109]
	v_fma_f64 v[78:79], v[106:107], v[76:77], v[78:79]
	s_waitcnt lgkmcnt(1)
	s_delay_alu instid0(VALU_DEP_1) | instskip(NEXT) | instid1(VALU_DEP_1)
	v_mul_f64 v[76:77], v[112:113], v[78:79]
	v_fma_f64 v[76:77], v[110:111], v[108:109], -v[76:77]
	v_mul_f64 v[110:111], v[110:111], v[78:79]
	s_delay_alu instid0(VALU_DEP_2) | instskip(NEXT) | instid1(VALU_DEP_2)
	v_add_f64 v[72:73], v[72:73], -v[76:77]
	v_fma_f64 v[118:119], v[112:113], v[108:109], v[110:111]
	s_waitcnt lgkmcnt(0)
	v_mul_f64 v[110:111], v[116:117], v[78:79]
	v_dual_mov_b32 v76, v108 :: v_dual_mov_b32 v77, v109
	s_delay_alu instid0(VALU_DEP_3) | instskip(NEXT) | instid1(VALU_DEP_3)
	v_add_f64 v[74:75], v[74:75], -v[118:119]
	v_fma_f64 v[120:121], v[114:115], v[108:109], -v[110:111]
	v_mul_f64 v[110:111], v[114:115], v[78:79]
	s_delay_alu instid0(VALU_DEP_2) | instskip(NEXT) | instid1(VALU_DEP_2)
	v_add_f64 v[68:69], v[68:69], -v[120:121]
	v_fma_f64 v[122:123], v[116:117], v[108:109], v[110:111]
	ds_load_2addr_b64 v[110:113], v236 offset0:12 offset1:13
	ds_load_2addr_b64 v[114:117], v236 offset0:14 offset1:15
	s_waitcnt lgkmcnt(1)
	v_mul_f64 v[124:125], v[112:113], v[78:79]
	v_add_f64 v[70:71], v[70:71], -v[122:123]
	s_delay_alu instid0(VALU_DEP_2) | instskip(SKIP_1) | instid1(VALU_DEP_2)
	v_fma_f64 v[124:125], v[110:111], v[108:109], -v[124:125]
	v_mul_f64 v[110:111], v[110:111], v[78:79]
	v_add_f64 v[64:65], v[64:65], -v[124:125]
	s_delay_alu instid0(VALU_DEP_2) | instskip(SKIP_2) | instid1(VALU_DEP_2)
	v_fma_f64 v[126:127], v[112:113], v[108:109], v[110:111]
	s_waitcnt lgkmcnt(0)
	v_mul_f64 v[110:111], v[116:117], v[78:79]
	v_add_f64 v[66:67], v[66:67], -v[126:127]
	s_delay_alu instid0(VALU_DEP_2) | instskip(SKIP_1) | instid1(VALU_DEP_2)
	v_fma_f64 v[128:129], v[114:115], v[108:109], -v[110:111]
	v_mul_f64 v[110:111], v[114:115], v[78:79]
	v_add_f64 v[60:61], v[60:61], -v[128:129]
	s_delay_alu instid0(VALU_DEP_2)
	v_fma_f64 v[130:131], v[116:117], v[108:109], v[110:111]
	ds_load_2addr_b64 v[110:113], v236 offset0:16 offset1:17
	ds_load_2addr_b64 v[114:117], v236 offset0:18 offset1:19
	s_waitcnt lgkmcnt(1)
	v_mul_f64 v[132:133], v[112:113], v[78:79]
	v_add_f64 v[62:63], v[62:63], -v[130:131]
	s_delay_alu instid0(VALU_DEP_2) | instskip(SKIP_1) | instid1(VALU_DEP_2)
	v_fma_f64 v[132:133], v[110:111], v[108:109], -v[132:133]
	v_mul_f64 v[110:111], v[110:111], v[78:79]
	v_add_f64 v[56:57], v[56:57], -v[132:133]
	s_delay_alu instid0(VALU_DEP_2) | instskip(SKIP_2) | instid1(VALU_DEP_2)
	v_fma_f64 v[134:135], v[112:113], v[108:109], v[110:111]
	s_waitcnt lgkmcnt(0)
	v_mul_f64 v[110:111], v[116:117], v[78:79]
	v_add_f64 v[58:59], v[58:59], -v[134:135]
	s_delay_alu instid0(VALU_DEP_2) | instskip(SKIP_1) | instid1(VALU_DEP_2)
	v_fma_f64 v[136:137], v[114:115], v[108:109], -v[110:111]
	v_mul_f64 v[110:111], v[114:115], v[78:79]
	v_add_f64 v[52:53], v[52:53], -v[136:137]
	s_delay_alu instid0(VALU_DEP_2)
	;; [unrolled: 20-line block ×7, first 2 shown]
	v_fma_f64 v[178:179], v[116:117], v[108:109], v[110:111]
	ds_load_2addr_b64 v[110:113], v236 offset0:40 offset1:41
	ds_load_2addr_b64 v[114:117], v236 offset0:42 offset1:43
	s_waitcnt lgkmcnt(1)
	v_mul_f64 v[180:181], v[112:113], v[78:79]
	v_add_f64 v[14:15], v[14:15], -v[178:179]
	s_delay_alu instid0(VALU_DEP_2) | instskip(SKIP_1) | instid1(VALU_DEP_2)
	v_fma_f64 v[180:181], v[110:111], v[108:109], -v[180:181]
	v_mul_f64 v[110:111], v[110:111], v[78:79]
	v_add_f64 v[8:9], v[8:9], -v[180:181]
	s_delay_alu instid0(VALU_DEP_2) | instskip(SKIP_2) | instid1(VALU_DEP_2)
	v_fma_f64 v[182:183], v[112:113], v[108:109], v[110:111]
	s_waitcnt lgkmcnt(0)
	v_mul_f64 v[110:111], v[116:117], v[78:79]
	v_add_f64 v[10:11], v[10:11], -v[182:183]
	s_delay_alu instid0(VALU_DEP_2) | instskip(SKIP_1) | instid1(VALU_DEP_2)
	v_fma_f64 v[232:233], v[114:115], v[108:109], -v[110:111]
	v_mul_f64 v[110:111], v[114:115], v[78:79]
	v_add_f64 v[4:5], v[4:5], -v[232:233]
	s_delay_alu instid0(VALU_DEP_2) | instskip(SKIP_4) | instid1(VALU_DEP_2)
	v_fma_f64 v[114:115], v[116:117], v[108:109], v[110:111]
	ds_load_2addr_b64 v[110:113], v236 offset0:44 offset1:45
	s_waitcnt lgkmcnt(0)
	v_mul_f64 v[116:117], v[112:113], v[78:79]
	v_add_f64 v[6:7], v[6:7], -v[114:115]
	v_fma_f64 v[116:117], v[110:111], v[108:109], -v[116:117]
	v_mul_f64 v[110:111], v[110:111], v[78:79]
	s_delay_alu instid0(VALU_DEP_2) | instskip(NEXT) | instid1(VALU_DEP_2)
	v_add_f64 v[0:1], v[0:1], -v[116:117]
	v_fma_f64 v[110:111], v[112:113], v[108:109], v[110:111]
	s_delay_alu instid0(VALU_DEP_1)
	v_add_f64 v[2:3], v[2:3], -v[110:111]
.LBB45_37:
	s_or_b32 exec_lo, exec_lo, s3
	s_delay_alu instid0(SALU_CYCLE_1)
	s_mov_b32 s4, exec_lo
	s_waitcnt lgkmcnt(0)
	s_barrier
	buffer_gl0_inv
	v_cmpx_eq_u32_e32 4, v234
	s_cbranch_execz .LBB45_44
; %bb.38:
	ds_store_2addr_b64 v235, v[72:73], v[74:75] offset1:1
	ds_store_2addr_b64 v236, v[68:69], v[70:71] offset0:10 offset1:11
	ds_store_2addr_b64 v236, v[64:65], v[66:67] offset0:12 offset1:13
	;; [unrolled: 1-line block ×18, first 2 shown]
	ds_load_2addr_b64 v[108:111], v235 offset1:1
	s_waitcnt lgkmcnt(0)
	v_cmp_neq_f64_e32 vcc_lo, 0, v[108:109]
	v_cmp_neq_f64_e64 s3, 0, v[110:111]
	s_delay_alu instid0(VALU_DEP_1) | instskip(NEXT) | instid1(SALU_CYCLE_1)
	s_or_b32 s3, vcc_lo, s3
	s_and_b32 exec_lo, exec_lo, s3
	s_cbranch_execz .LBB45_44
; %bb.39:
	v_cmp_gt_f64_e32 vcc_lo, 0, v[108:109]
	v_cmp_gt_f64_e64 s3, 0, v[110:111]
	v_xor_b32_e32 v112, 0x80000000, v109
	v_xor_b32_e32 v114, 0x80000000, v111
                                        ; implicit-def: $vgpr116_vgpr117
	s_delay_alu instid0(VALU_DEP_2) | instskip(NEXT) | instid1(VALU_DEP_2)
	v_cndmask_b32_e32 v113, v109, v112, vcc_lo
	v_cndmask_b32_e64 v115, v111, v114, s3
	v_cndmask_b32_e32 v112, v108, v108, vcc_lo
	v_cndmask_b32_e64 v114, v110, v110, s3
	s_mov_b32 s3, exec_lo
	s_delay_alu instid0(VALU_DEP_1)
	v_cmpx_ngt_f64_e32 v[112:113], v[114:115]
	s_xor_b32 s3, exec_lo, s3
                                        ; implicit-def: $vgpr112_vgpr113_vgpr114_vgpr115
	s_cbranch_execz .LBB45_41
; %bb.40:
	v_div_scale_f64 v[112:113], null, v[110:111], v[110:111], v[108:109]
	v_div_scale_f64 v[118:119], vcc_lo, v[108:109], v[110:111], v[108:109]
	s_delay_alu instid0(VALU_DEP_2) | instskip(SKIP_2) | instid1(VALU_DEP_1)
	v_rcp_f64_e32 v[114:115], v[112:113]
	s_waitcnt_depctr 0xfff
	v_fma_f64 v[116:117], -v[112:113], v[114:115], 1.0
	v_fma_f64 v[114:115], v[114:115], v[116:117], v[114:115]
	s_delay_alu instid0(VALU_DEP_1) | instskip(NEXT) | instid1(VALU_DEP_1)
	v_fma_f64 v[116:117], -v[112:113], v[114:115], 1.0
	v_fma_f64 v[114:115], v[114:115], v[116:117], v[114:115]
	s_delay_alu instid0(VALU_DEP_1) | instskip(NEXT) | instid1(VALU_DEP_1)
	v_mul_f64 v[116:117], v[118:119], v[114:115]
	v_fma_f64 v[112:113], -v[112:113], v[116:117], v[118:119]
	s_delay_alu instid0(VALU_DEP_1) | instskip(NEXT) | instid1(VALU_DEP_1)
	v_div_fmas_f64 v[112:113], v[112:113], v[114:115], v[116:117]
	v_div_fixup_f64 v[112:113], v[112:113], v[110:111], v[108:109]
	s_delay_alu instid0(VALU_DEP_1) | instskip(NEXT) | instid1(VALU_DEP_1)
	v_fma_f64 v[108:109], v[108:109], v[112:113], v[110:111]
	v_div_scale_f64 v[110:111], null, v[108:109], v[108:109], 1.0
	s_delay_alu instid0(VALU_DEP_1) | instskip(SKIP_2) | instid1(VALU_DEP_1)
	v_rcp_f64_e32 v[114:115], v[110:111]
	s_waitcnt_depctr 0xfff
	v_fma_f64 v[116:117], -v[110:111], v[114:115], 1.0
	v_fma_f64 v[114:115], v[114:115], v[116:117], v[114:115]
	s_delay_alu instid0(VALU_DEP_1) | instskip(NEXT) | instid1(VALU_DEP_1)
	v_fma_f64 v[116:117], -v[110:111], v[114:115], 1.0
	v_fma_f64 v[114:115], v[114:115], v[116:117], v[114:115]
	v_div_scale_f64 v[116:117], vcc_lo, 1.0, v[108:109], 1.0
	s_delay_alu instid0(VALU_DEP_1) | instskip(NEXT) | instid1(VALU_DEP_1)
	v_mul_f64 v[118:119], v[116:117], v[114:115]
	v_fma_f64 v[110:111], -v[110:111], v[118:119], v[116:117]
	s_delay_alu instid0(VALU_DEP_1) | instskip(NEXT) | instid1(VALU_DEP_1)
	v_div_fmas_f64 v[110:111], v[110:111], v[114:115], v[118:119]
	v_div_fixup_f64 v[114:115], v[110:111], v[108:109], 1.0
                                        ; implicit-def: $vgpr108_vgpr109
	s_delay_alu instid0(VALU_DEP_1)
	v_mul_f64 v[116:117], v[112:113], v[114:115]
	v_xor_b32_e32 v115, 0x80000000, v115
.LBB45_41:
	s_and_not1_saveexec_b32 s3, s3
	s_cbranch_execz .LBB45_43
; %bb.42:
	v_div_scale_f64 v[112:113], null, v[108:109], v[108:109], v[110:111]
	v_div_scale_f64 v[118:119], vcc_lo, v[110:111], v[108:109], v[110:111]
	s_delay_alu instid0(VALU_DEP_2) | instskip(SKIP_2) | instid1(VALU_DEP_1)
	v_rcp_f64_e32 v[114:115], v[112:113]
	s_waitcnt_depctr 0xfff
	v_fma_f64 v[116:117], -v[112:113], v[114:115], 1.0
	v_fma_f64 v[114:115], v[114:115], v[116:117], v[114:115]
	s_delay_alu instid0(VALU_DEP_1) | instskip(NEXT) | instid1(VALU_DEP_1)
	v_fma_f64 v[116:117], -v[112:113], v[114:115], 1.0
	v_fma_f64 v[114:115], v[114:115], v[116:117], v[114:115]
	s_delay_alu instid0(VALU_DEP_1) | instskip(NEXT) | instid1(VALU_DEP_1)
	v_mul_f64 v[116:117], v[118:119], v[114:115]
	v_fma_f64 v[112:113], -v[112:113], v[116:117], v[118:119]
	s_delay_alu instid0(VALU_DEP_1) | instskip(NEXT) | instid1(VALU_DEP_1)
	v_div_fmas_f64 v[112:113], v[112:113], v[114:115], v[116:117]
	v_div_fixup_f64 v[112:113], v[112:113], v[108:109], v[110:111]
	s_delay_alu instid0(VALU_DEP_1) | instskip(NEXT) | instid1(VALU_DEP_1)
	v_fma_f64 v[108:109], v[110:111], v[112:113], v[108:109]
	v_div_scale_f64 v[110:111], null, v[108:109], v[108:109], 1.0
	s_delay_alu instid0(VALU_DEP_1) | instskip(SKIP_2) | instid1(VALU_DEP_1)
	v_rcp_f64_e32 v[114:115], v[110:111]
	s_waitcnt_depctr 0xfff
	v_fma_f64 v[116:117], -v[110:111], v[114:115], 1.0
	v_fma_f64 v[114:115], v[114:115], v[116:117], v[114:115]
	s_delay_alu instid0(VALU_DEP_1) | instskip(NEXT) | instid1(VALU_DEP_1)
	v_fma_f64 v[116:117], -v[110:111], v[114:115], 1.0
	v_fma_f64 v[114:115], v[114:115], v[116:117], v[114:115]
	v_div_scale_f64 v[116:117], vcc_lo, 1.0, v[108:109], 1.0
	s_delay_alu instid0(VALU_DEP_1) | instskip(NEXT) | instid1(VALU_DEP_1)
	v_mul_f64 v[118:119], v[116:117], v[114:115]
	v_fma_f64 v[110:111], -v[110:111], v[118:119], v[116:117]
	s_delay_alu instid0(VALU_DEP_1) | instskip(NEXT) | instid1(VALU_DEP_1)
	v_div_fmas_f64 v[110:111], v[110:111], v[114:115], v[118:119]
	v_div_fixup_f64 v[116:117], v[110:111], v[108:109], 1.0
	s_delay_alu instid0(VALU_DEP_1)
	v_mul_f64 v[114:115], v[112:113], -v[116:117]
.LBB45_43:
	s_or_b32 exec_lo, exec_lo, s3
	ds_store_2addr_b64 v235, v[116:117], v[114:115] offset1:1
.LBB45_44:
	s_or_b32 exec_lo, exec_lo, s4
	s_waitcnt lgkmcnt(0)
	s_barrier
	buffer_gl0_inv
	ds_load_2addr_b64 v[108:111], v235 offset1:1
	s_mov_b32 s3, exec_lo
	v_cmpx_lt_u32_e32 4, v234
	s_cbranch_execz .LBB45_46
; %bb.45:
	s_waitcnt lgkmcnt(0)
	v_mul_f64 v[112:113], v[110:111], v[74:75]
	v_mul_f64 v[74:75], v[108:109], v[74:75]
	ds_load_2addr_b64 v[114:117], v236 offset0:10 offset1:11
	ds_load_2addr_b64 v[118:121], v236 offset0:12 offset1:13
	v_fma_f64 v[112:113], v[108:109], v[72:73], -v[112:113]
	v_fma_f64 v[74:75], v[110:111], v[72:73], v[74:75]
	s_waitcnt lgkmcnt(1)
	s_delay_alu instid0(VALU_DEP_1) | instskip(NEXT) | instid1(VALU_DEP_1)
	v_mul_f64 v[72:73], v[116:117], v[74:75]
	v_fma_f64 v[72:73], v[114:115], v[112:113], -v[72:73]
	v_mul_f64 v[114:115], v[114:115], v[74:75]
	s_delay_alu instid0(VALU_DEP_2) | instskip(NEXT) | instid1(VALU_DEP_2)
	v_add_f64 v[68:69], v[68:69], -v[72:73]
	v_fma_f64 v[122:123], v[116:117], v[112:113], v[114:115]
	s_waitcnt lgkmcnt(0)
	v_mul_f64 v[114:115], v[120:121], v[74:75]
	v_dual_mov_b32 v72, v112 :: v_dual_mov_b32 v73, v113
	s_delay_alu instid0(VALU_DEP_3) | instskip(NEXT) | instid1(VALU_DEP_3)
	v_add_f64 v[70:71], v[70:71], -v[122:123]
	v_fma_f64 v[124:125], v[118:119], v[112:113], -v[114:115]
	v_mul_f64 v[114:115], v[118:119], v[74:75]
	s_delay_alu instid0(VALU_DEP_2) | instskip(NEXT) | instid1(VALU_DEP_2)
	v_add_f64 v[64:65], v[64:65], -v[124:125]
	v_fma_f64 v[126:127], v[120:121], v[112:113], v[114:115]
	ds_load_2addr_b64 v[114:117], v236 offset0:14 offset1:15
	ds_load_2addr_b64 v[118:121], v236 offset0:16 offset1:17
	s_waitcnt lgkmcnt(1)
	v_mul_f64 v[128:129], v[116:117], v[74:75]
	v_add_f64 v[66:67], v[66:67], -v[126:127]
	s_delay_alu instid0(VALU_DEP_2) | instskip(SKIP_1) | instid1(VALU_DEP_2)
	v_fma_f64 v[128:129], v[114:115], v[112:113], -v[128:129]
	v_mul_f64 v[114:115], v[114:115], v[74:75]
	v_add_f64 v[60:61], v[60:61], -v[128:129]
	s_delay_alu instid0(VALU_DEP_2) | instskip(SKIP_2) | instid1(VALU_DEP_2)
	v_fma_f64 v[130:131], v[116:117], v[112:113], v[114:115]
	s_waitcnt lgkmcnt(0)
	v_mul_f64 v[114:115], v[120:121], v[74:75]
	v_add_f64 v[62:63], v[62:63], -v[130:131]
	s_delay_alu instid0(VALU_DEP_2) | instskip(SKIP_1) | instid1(VALU_DEP_2)
	v_fma_f64 v[132:133], v[118:119], v[112:113], -v[114:115]
	v_mul_f64 v[114:115], v[118:119], v[74:75]
	v_add_f64 v[56:57], v[56:57], -v[132:133]
	s_delay_alu instid0(VALU_DEP_2)
	v_fma_f64 v[134:135], v[120:121], v[112:113], v[114:115]
	ds_load_2addr_b64 v[114:117], v236 offset0:18 offset1:19
	ds_load_2addr_b64 v[118:121], v236 offset0:20 offset1:21
	s_waitcnt lgkmcnt(1)
	v_mul_f64 v[136:137], v[116:117], v[74:75]
	v_add_f64 v[58:59], v[58:59], -v[134:135]
	s_delay_alu instid0(VALU_DEP_2) | instskip(SKIP_1) | instid1(VALU_DEP_2)
	v_fma_f64 v[136:137], v[114:115], v[112:113], -v[136:137]
	v_mul_f64 v[114:115], v[114:115], v[74:75]
	v_add_f64 v[52:53], v[52:53], -v[136:137]
	s_delay_alu instid0(VALU_DEP_2) | instskip(SKIP_2) | instid1(VALU_DEP_2)
	v_fma_f64 v[138:139], v[116:117], v[112:113], v[114:115]
	s_waitcnt lgkmcnt(0)
	v_mul_f64 v[114:115], v[120:121], v[74:75]
	v_add_f64 v[54:55], v[54:55], -v[138:139]
	s_delay_alu instid0(VALU_DEP_2) | instskip(SKIP_1) | instid1(VALU_DEP_2)
	v_fma_f64 v[140:141], v[118:119], v[112:113], -v[114:115]
	v_mul_f64 v[114:115], v[118:119], v[74:75]
	v_add_f64 v[48:49], v[48:49], -v[140:141]
	s_delay_alu instid0(VALU_DEP_2)
	;; [unrolled: 20-line block ×7, first 2 shown]
	v_fma_f64 v[182:183], v[120:121], v[112:113], v[114:115]
	ds_load_2addr_b64 v[114:117], v236 offset0:42 offset1:43
	ds_load_2addr_b64 v[118:121], v236 offset0:44 offset1:45
	s_waitcnt lgkmcnt(1)
	v_mul_f64 v[232:233], v[116:117], v[74:75]
	v_add_f64 v[10:11], v[10:11], -v[182:183]
	s_delay_alu instid0(VALU_DEP_2) | instskip(SKIP_1) | instid1(VALU_DEP_2)
	v_fma_f64 v[232:233], v[114:115], v[112:113], -v[232:233]
	v_mul_f64 v[114:115], v[114:115], v[74:75]
	v_add_f64 v[4:5], v[4:5], -v[232:233]
	s_delay_alu instid0(VALU_DEP_2) | instskip(SKIP_2) | instid1(VALU_DEP_2)
	v_fma_f64 v[114:115], v[116:117], v[112:113], v[114:115]
	s_waitcnt lgkmcnt(0)
	v_mul_f64 v[116:117], v[120:121], v[74:75]
	v_add_f64 v[6:7], v[6:7], -v[114:115]
	s_delay_alu instid0(VALU_DEP_2) | instskip(SKIP_1) | instid1(VALU_DEP_2)
	v_fma_f64 v[116:117], v[118:119], v[112:113], -v[116:117]
	v_mul_f64 v[118:119], v[118:119], v[74:75]
	v_add_f64 v[0:1], v[0:1], -v[116:117]
	s_delay_alu instid0(VALU_DEP_2) | instskip(NEXT) | instid1(VALU_DEP_1)
	v_fma_f64 v[118:119], v[120:121], v[112:113], v[118:119]
	v_add_f64 v[2:3], v[2:3], -v[118:119]
.LBB45_46:
	s_or_b32 exec_lo, exec_lo, s3
	s_delay_alu instid0(SALU_CYCLE_1)
	s_mov_b32 s4, exec_lo
	s_waitcnt lgkmcnt(0)
	s_barrier
	buffer_gl0_inv
	v_cmpx_eq_u32_e32 5, v234
	s_cbranch_execz .LBB45_53
; %bb.47:
	ds_store_2addr_b64 v235, v[68:69], v[70:71] offset1:1
	ds_store_2addr_b64 v236, v[64:65], v[66:67] offset0:12 offset1:13
	ds_store_2addr_b64 v236, v[60:61], v[62:63] offset0:14 offset1:15
	;; [unrolled: 1-line block ×17, first 2 shown]
	ds_load_2addr_b64 v[112:115], v235 offset1:1
	s_waitcnt lgkmcnt(0)
	v_cmp_neq_f64_e32 vcc_lo, 0, v[112:113]
	v_cmp_neq_f64_e64 s3, 0, v[114:115]
	s_delay_alu instid0(VALU_DEP_1) | instskip(NEXT) | instid1(SALU_CYCLE_1)
	s_or_b32 s3, vcc_lo, s3
	s_and_b32 exec_lo, exec_lo, s3
	s_cbranch_execz .LBB45_53
; %bb.48:
	v_cmp_gt_f64_e32 vcc_lo, 0, v[112:113]
	v_cmp_gt_f64_e64 s3, 0, v[114:115]
	v_xor_b32_e32 v116, 0x80000000, v113
	v_xor_b32_e32 v118, 0x80000000, v115
                                        ; implicit-def: $vgpr120_vgpr121
	s_delay_alu instid0(VALU_DEP_2) | instskip(NEXT) | instid1(VALU_DEP_2)
	v_cndmask_b32_e32 v117, v113, v116, vcc_lo
	v_cndmask_b32_e64 v119, v115, v118, s3
	v_cndmask_b32_e32 v116, v112, v112, vcc_lo
	v_cndmask_b32_e64 v118, v114, v114, s3
	s_mov_b32 s3, exec_lo
	s_delay_alu instid0(VALU_DEP_1)
	v_cmpx_ngt_f64_e32 v[116:117], v[118:119]
	s_xor_b32 s3, exec_lo, s3
                                        ; implicit-def: $vgpr116_vgpr117_vgpr118_vgpr119
	s_cbranch_execz .LBB45_50
; %bb.49:
	v_div_scale_f64 v[116:117], null, v[114:115], v[114:115], v[112:113]
	v_div_scale_f64 v[122:123], vcc_lo, v[112:113], v[114:115], v[112:113]
	s_delay_alu instid0(VALU_DEP_2) | instskip(SKIP_2) | instid1(VALU_DEP_1)
	v_rcp_f64_e32 v[118:119], v[116:117]
	s_waitcnt_depctr 0xfff
	v_fma_f64 v[120:121], -v[116:117], v[118:119], 1.0
	v_fma_f64 v[118:119], v[118:119], v[120:121], v[118:119]
	s_delay_alu instid0(VALU_DEP_1) | instskip(NEXT) | instid1(VALU_DEP_1)
	v_fma_f64 v[120:121], -v[116:117], v[118:119], 1.0
	v_fma_f64 v[118:119], v[118:119], v[120:121], v[118:119]
	s_delay_alu instid0(VALU_DEP_1) | instskip(NEXT) | instid1(VALU_DEP_1)
	v_mul_f64 v[120:121], v[122:123], v[118:119]
	v_fma_f64 v[116:117], -v[116:117], v[120:121], v[122:123]
	s_delay_alu instid0(VALU_DEP_1) | instskip(NEXT) | instid1(VALU_DEP_1)
	v_div_fmas_f64 v[116:117], v[116:117], v[118:119], v[120:121]
	v_div_fixup_f64 v[116:117], v[116:117], v[114:115], v[112:113]
	s_delay_alu instid0(VALU_DEP_1) | instskip(NEXT) | instid1(VALU_DEP_1)
	v_fma_f64 v[112:113], v[112:113], v[116:117], v[114:115]
	v_div_scale_f64 v[114:115], null, v[112:113], v[112:113], 1.0
	s_delay_alu instid0(VALU_DEP_1) | instskip(SKIP_2) | instid1(VALU_DEP_1)
	v_rcp_f64_e32 v[118:119], v[114:115]
	s_waitcnt_depctr 0xfff
	v_fma_f64 v[120:121], -v[114:115], v[118:119], 1.0
	v_fma_f64 v[118:119], v[118:119], v[120:121], v[118:119]
	s_delay_alu instid0(VALU_DEP_1) | instskip(NEXT) | instid1(VALU_DEP_1)
	v_fma_f64 v[120:121], -v[114:115], v[118:119], 1.0
	v_fma_f64 v[118:119], v[118:119], v[120:121], v[118:119]
	v_div_scale_f64 v[120:121], vcc_lo, 1.0, v[112:113], 1.0
	s_delay_alu instid0(VALU_DEP_1) | instskip(NEXT) | instid1(VALU_DEP_1)
	v_mul_f64 v[122:123], v[120:121], v[118:119]
	v_fma_f64 v[114:115], -v[114:115], v[122:123], v[120:121]
	s_delay_alu instid0(VALU_DEP_1) | instskip(NEXT) | instid1(VALU_DEP_1)
	v_div_fmas_f64 v[114:115], v[114:115], v[118:119], v[122:123]
	v_div_fixup_f64 v[118:119], v[114:115], v[112:113], 1.0
                                        ; implicit-def: $vgpr112_vgpr113
	s_delay_alu instid0(VALU_DEP_1)
	v_mul_f64 v[120:121], v[116:117], v[118:119]
	v_xor_b32_e32 v119, 0x80000000, v119
.LBB45_50:
	s_and_not1_saveexec_b32 s3, s3
	s_cbranch_execz .LBB45_52
; %bb.51:
	v_div_scale_f64 v[116:117], null, v[112:113], v[112:113], v[114:115]
	v_div_scale_f64 v[122:123], vcc_lo, v[114:115], v[112:113], v[114:115]
	s_delay_alu instid0(VALU_DEP_2) | instskip(SKIP_2) | instid1(VALU_DEP_1)
	v_rcp_f64_e32 v[118:119], v[116:117]
	s_waitcnt_depctr 0xfff
	v_fma_f64 v[120:121], -v[116:117], v[118:119], 1.0
	v_fma_f64 v[118:119], v[118:119], v[120:121], v[118:119]
	s_delay_alu instid0(VALU_DEP_1) | instskip(NEXT) | instid1(VALU_DEP_1)
	v_fma_f64 v[120:121], -v[116:117], v[118:119], 1.0
	v_fma_f64 v[118:119], v[118:119], v[120:121], v[118:119]
	s_delay_alu instid0(VALU_DEP_1) | instskip(NEXT) | instid1(VALU_DEP_1)
	v_mul_f64 v[120:121], v[122:123], v[118:119]
	v_fma_f64 v[116:117], -v[116:117], v[120:121], v[122:123]
	s_delay_alu instid0(VALU_DEP_1) | instskip(NEXT) | instid1(VALU_DEP_1)
	v_div_fmas_f64 v[116:117], v[116:117], v[118:119], v[120:121]
	v_div_fixup_f64 v[116:117], v[116:117], v[112:113], v[114:115]
	s_delay_alu instid0(VALU_DEP_1) | instskip(NEXT) | instid1(VALU_DEP_1)
	v_fma_f64 v[112:113], v[114:115], v[116:117], v[112:113]
	v_div_scale_f64 v[114:115], null, v[112:113], v[112:113], 1.0
	s_delay_alu instid0(VALU_DEP_1) | instskip(SKIP_2) | instid1(VALU_DEP_1)
	v_rcp_f64_e32 v[118:119], v[114:115]
	s_waitcnt_depctr 0xfff
	v_fma_f64 v[120:121], -v[114:115], v[118:119], 1.0
	v_fma_f64 v[118:119], v[118:119], v[120:121], v[118:119]
	s_delay_alu instid0(VALU_DEP_1) | instskip(NEXT) | instid1(VALU_DEP_1)
	v_fma_f64 v[120:121], -v[114:115], v[118:119], 1.0
	v_fma_f64 v[118:119], v[118:119], v[120:121], v[118:119]
	v_div_scale_f64 v[120:121], vcc_lo, 1.0, v[112:113], 1.0
	s_delay_alu instid0(VALU_DEP_1) | instskip(NEXT) | instid1(VALU_DEP_1)
	v_mul_f64 v[122:123], v[120:121], v[118:119]
	v_fma_f64 v[114:115], -v[114:115], v[122:123], v[120:121]
	s_delay_alu instid0(VALU_DEP_1) | instskip(NEXT) | instid1(VALU_DEP_1)
	v_div_fmas_f64 v[114:115], v[114:115], v[118:119], v[122:123]
	v_div_fixup_f64 v[120:121], v[114:115], v[112:113], 1.0
	s_delay_alu instid0(VALU_DEP_1)
	v_mul_f64 v[118:119], v[116:117], -v[120:121]
.LBB45_52:
	s_or_b32 exec_lo, exec_lo, s3
	ds_store_2addr_b64 v235, v[120:121], v[118:119] offset1:1
.LBB45_53:
	s_or_b32 exec_lo, exec_lo, s4
	s_waitcnt lgkmcnt(0)
	s_barrier
	buffer_gl0_inv
	ds_load_2addr_b64 v[112:115], v235 offset1:1
	s_mov_b32 s3, exec_lo
	v_cmpx_lt_u32_e32 5, v234
	s_cbranch_execz .LBB45_55
; %bb.54:
	s_waitcnt lgkmcnt(0)
	v_mul_f64 v[116:117], v[114:115], v[70:71]
	v_mul_f64 v[70:71], v[112:113], v[70:71]
	ds_load_2addr_b64 v[118:121], v236 offset0:12 offset1:13
	ds_load_2addr_b64 v[122:125], v236 offset0:14 offset1:15
	v_fma_f64 v[116:117], v[112:113], v[68:69], -v[116:117]
	v_fma_f64 v[70:71], v[114:115], v[68:69], v[70:71]
	s_waitcnt lgkmcnt(1)
	s_delay_alu instid0(VALU_DEP_1) | instskip(NEXT) | instid1(VALU_DEP_1)
	v_mul_f64 v[68:69], v[120:121], v[70:71]
	v_fma_f64 v[68:69], v[118:119], v[116:117], -v[68:69]
	v_mul_f64 v[118:119], v[118:119], v[70:71]
	s_delay_alu instid0(VALU_DEP_2) | instskip(NEXT) | instid1(VALU_DEP_2)
	v_add_f64 v[64:65], v[64:65], -v[68:69]
	v_fma_f64 v[126:127], v[120:121], v[116:117], v[118:119]
	s_waitcnt lgkmcnt(0)
	v_mul_f64 v[118:119], v[124:125], v[70:71]
	v_dual_mov_b32 v68, v116 :: v_dual_mov_b32 v69, v117
	s_delay_alu instid0(VALU_DEP_3) | instskip(NEXT) | instid1(VALU_DEP_3)
	v_add_f64 v[66:67], v[66:67], -v[126:127]
	v_fma_f64 v[128:129], v[122:123], v[116:117], -v[118:119]
	v_mul_f64 v[118:119], v[122:123], v[70:71]
	s_delay_alu instid0(VALU_DEP_2) | instskip(NEXT) | instid1(VALU_DEP_2)
	v_add_f64 v[60:61], v[60:61], -v[128:129]
	v_fma_f64 v[130:131], v[124:125], v[116:117], v[118:119]
	ds_load_2addr_b64 v[118:121], v236 offset0:16 offset1:17
	ds_load_2addr_b64 v[122:125], v236 offset0:18 offset1:19
	s_waitcnt lgkmcnt(1)
	v_mul_f64 v[132:133], v[120:121], v[70:71]
	v_add_f64 v[62:63], v[62:63], -v[130:131]
	s_delay_alu instid0(VALU_DEP_2) | instskip(SKIP_1) | instid1(VALU_DEP_2)
	v_fma_f64 v[132:133], v[118:119], v[116:117], -v[132:133]
	v_mul_f64 v[118:119], v[118:119], v[70:71]
	v_add_f64 v[56:57], v[56:57], -v[132:133]
	s_delay_alu instid0(VALU_DEP_2) | instskip(SKIP_2) | instid1(VALU_DEP_2)
	v_fma_f64 v[134:135], v[120:121], v[116:117], v[118:119]
	s_waitcnt lgkmcnt(0)
	v_mul_f64 v[118:119], v[124:125], v[70:71]
	v_add_f64 v[58:59], v[58:59], -v[134:135]
	s_delay_alu instid0(VALU_DEP_2) | instskip(SKIP_1) | instid1(VALU_DEP_2)
	v_fma_f64 v[136:137], v[122:123], v[116:117], -v[118:119]
	v_mul_f64 v[118:119], v[122:123], v[70:71]
	v_add_f64 v[52:53], v[52:53], -v[136:137]
	s_delay_alu instid0(VALU_DEP_2)
	v_fma_f64 v[138:139], v[124:125], v[116:117], v[118:119]
	ds_load_2addr_b64 v[118:121], v236 offset0:20 offset1:21
	ds_load_2addr_b64 v[122:125], v236 offset0:22 offset1:23
	s_waitcnt lgkmcnt(1)
	v_mul_f64 v[140:141], v[120:121], v[70:71]
	v_add_f64 v[54:55], v[54:55], -v[138:139]
	s_delay_alu instid0(VALU_DEP_2) | instskip(SKIP_1) | instid1(VALU_DEP_2)
	v_fma_f64 v[140:141], v[118:119], v[116:117], -v[140:141]
	v_mul_f64 v[118:119], v[118:119], v[70:71]
	v_add_f64 v[48:49], v[48:49], -v[140:141]
	s_delay_alu instid0(VALU_DEP_2) | instskip(SKIP_2) | instid1(VALU_DEP_2)
	v_fma_f64 v[142:143], v[120:121], v[116:117], v[118:119]
	s_waitcnt lgkmcnt(0)
	v_mul_f64 v[118:119], v[124:125], v[70:71]
	v_add_f64 v[50:51], v[50:51], -v[142:143]
	s_delay_alu instid0(VALU_DEP_2) | instskip(SKIP_1) | instid1(VALU_DEP_2)
	v_fma_f64 v[144:145], v[122:123], v[116:117], -v[118:119]
	v_mul_f64 v[118:119], v[122:123], v[70:71]
	v_add_f64 v[44:45], v[44:45], -v[144:145]
	s_delay_alu instid0(VALU_DEP_2)
	;; [unrolled: 20-line block ×6, first 2 shown]
	v_fma_f64 v[178:179], v[124:125], v[116:117], v[118:119]
	ds_load_2addr_b64 v[118:121], v236 offset0:40 offset1:41
	ds_load_2addr_b64 v[122:125], v236 offset0:42 offset1:43
	s_waitcnt lgkmcnt(1)
	v_mul_f64 v[180:181], v[120:121], v[70:71]
	v_add_f64 v[14:15], v[14:15], -v[178:179]
	s_delay_alu instid0(VALU_DEP_2) | instskip(SKIP_1) | instid1(VALU_DEP_2)
	v_fma_f64 v[180:181], v[118:119], v[116:117], -v[180:181]
	v_mul_f64 v[118:119], v[118:119], v[70:71]
	v_add_f64 v[8:9], v[8:9], -v[180:181]
	s_delay_alu instid0(VALU_DEP_2) | instskip(SKIP_2) | instid1(VALU_DEP_2)
	v_fma_f64 v[182:183], v[120:121], v[116:117], v[118:119]
	s_waitcnt lgkmcnt(0)
	v_mul_f64 v[118:119], v[124:125], v[70:71]
	v_add_f64 v[10:11], v[10:11], -v[182:183]
	s_delay_alu instid0(VALU_DEP_2) | instskip(SKIP_1) | instid1(VALU_DEP_2)
	v_fma_f64 v[232:233], v[122:123], v[116:117], -v[118:119]
	v_mul_f64 v[118:119], v[122:123], v[70:71]
	v_add_f64 v[4:5], v[4:5], -v[232:233]
	s_delay_alu instid0(VALU_DEP_2) | instskip(SKIP_4) | instid1(VALU_DEP_2)
	v_fma_f64 v[122:123], v[124:125], v[116:117], v[118:119]
	ds_load_2addr_b64 v[118:121], v236 offset0:44 offset1:45
	s_waitcnt lgkmcnt(0)
	v_mul_f64 v[124:125], v[120:121], v[70:71]
	v_add_f64 v[6:7], v[6:7], -v[122:123]
	v_fma_f64 v[124:125], v[118:119], v[116:117], -v[124:125]
	v_mul_f64 v[118:119], v[118:119], v[70:71]
	s_delay_alu instid0(VALU_DEP_2) | instskip(NEXT) | instid1(VALU_DEP_2)
	v_add_f64 v[0:1], v[0:1], -v[124:125]
	v_fma_f64 v[118:119], v[120:121], v[116:117], v[118:119]
	s_delay_alu instid0(VALU_DEP_1)
	v_add_f64 v[2:3], v[2:3], -v[118:119]
.LBB45_55:
	s_or_b32 exec_lo, exec_lo, s3
	s_delay_alu instid0(SALU_CYCLE_1)
	s_mov_b32 s4, exec_lo
	s_waitcnt lgkmcnt(0)
	s_barrier
	buffer_gl0_inv
	v_cmpx_eq_u32_e32 6, v234
	s_cbranch_execz .LBB45_62
; %bb.56:
	ds_store_2addr_b64 v235, v[64:65], v[66:67] offset1:1
	ds_store_2addr_b64 v236, v[60:61], v[62:63] offset0:14 offset1:15
	ds_store_2addr_b64 v236, v[56:57], v[58:59] offset0:16 offset1:17
	;; [unrolled: 1-line block ×16, first 2 shown]
	ds_load_2addr_b64 v[116:119], v235 offset1:1
	s_waitcnt lgkmcnt(0)
	v_cmp_neq_f64_e32 vcc_lo, 0, v[116:117]
	v_cmp_neq_f64_e64 s3, 0, v[118:119]
	s_delay_alu instid0(VALU_DEP_1) | instskip(NEXT) | instid1(SALU_CYCLE_1)
	s_or_b32 s3, vcc_lo, s3
	s_and_b32 exec_lo, exec_lo, s3
	s_cbranch_execz .LBB45_62
; %bb.57:
	v_cmp_gt_f64_e32 vcc_lo, 0, v[116:117]
	v_cmp_gt_f64_e64 s3, 0, v[118:119]
	v_xor_b32_e32 v120, 0x80000000, v117
	v_xor_b32_e32 v122, 0x80000000, v119
                                        ; implicit-def: $vgpr124_vgpr125
	s_delay_alu instid0(VALU_DEP_2) | instskip(NEXT) | instid1(VALU_DEP_2)
	v_cndmask_b32_e32 v121, v117, v120, vcc_lo
	v_cndmask_b32_e64 v123, v119, v122, s3
	v_cndmask_b32_e32 v120, v116, v116, vcc_lo
	v_cndmask_b32_e64 v122, v118, v118, s3
	s_mov_b32 s3, exec_lo
	s_delay_alu instid0(VALU_DEP_1)
	v_cmpx_ngt_f64_e32 v[120:121], v[122:123]
	s_xor_b32 s3, exec_lo, s3
                                        ; implicit-def: $vgpr120_vgpr121_vgpr122_vgpr123
	s_cbranch_execz .LBB45_59
; %bb.58:
	v_div_scale_f64 v[120:121], null, v[118:119], v[118:119], v[116:117]
	v_div_scale_f64 v[126:127], vcc_lo, v[116:117], v[118:119], v[116:117]
	s_delay_alu instid0(VALU_DEP_2) | instskip(SKIP_2) | instid1(VALU_DEP_1)
	v_rcp_f64_e32 v[122:123], v[120:121]
	s_waitcnt_depctr 0xfff
	v_fma_f64 v[124:125], -v[120:121], v[122:123], 1.0
	v_fma_f64 v[122:123], v[122:123], v[124:125], v[122:123]
	s_delay_alu instid0(VALU_DEP_1) | instskip(NEXT) | instid1(VALU_DEP_1)
	v_fma_f64 v[124:125], -v[120:121], v[122:123], 1.0
	v_fma_f64 v[122:123], v[122:123], v[124:125], v[122:123]
	s_delay_alu instid0(VALU_DEP_1) | instskip(NEXT) | instid1(VALU_DEP_1)
	v_mul_f64 v[124:125], v[126:127], v[122:123]
	v_fma_f64 v[120:121], -v[120:121], v[124:125], v[126:127]
	s_delay_alu instid0(VALU_DEP_1) | instskip(NEXT) | instid1(VALU_DEP_1)
	v_div_fmas_f64 v[120:121], v[120:121], v[122:123], v[124:125]
	v_div_fixup_f64 v[120:121], v[120:121], v[118:119], v[116:117]
	s_delay_alu instid0(VALU_DEP_1) | instskip(NEXT) | instid1(VALU_DEP_1)
	v_fma_f64 v[116:117], v[116:117], v[120:121], v[118:119]
	v_div_scale_f64 v[118:119], null, v[116:117], v[116:117], 1.0
	s_delay_alu instid0(VALU_DEP_1) | instskip(SKIP_2) | instid1(VALU_DEP_1)
	v_rcp_f64_e32 v[122:123], v[118:119]
	s_waitcnt_depctr 0xfff
	v_fma_f64 v[124:125], -v[118:119], v[122:123], 1.0
	v_fma_f64 v[122:123], v[122:123], v[124:125], v[122:123]
	s_delay_alu instid0(VALU_DEP_1) | instskip(NEXT) | instid1(VALU_DEP_1)
	v_fma_f64 v[124:125], -v[118:119], v[122:123], 1.0
	v_fma_f64 v[122:123], v[122:123], v[124:125], v[122:123]
	v_div_scale_f64 v[124:125], vcc_lo, 1.0, v[116:117], 1.0
	s_delay_alu instid0(VALU_DEP_1) | instskip(NEXT) | instid1(VALU_DEP_1)
	v_mul_f64 v[126:127], v[124:125], v[122:123]
	v_fma_f64 v[118:119], -v[118:119], v[126:127], v[124:125]
	s_delay_alu instid0(VALU_DEP_1) | instskip(NEXT) | instid1(VALU_DEP_1)
	v_div_fmas_f64 v[118:119], v[118:119], v[122:123], v[126:127]
	v_div_fixup_f64 v[122:123], v[118:119], v[116:117], 1.0
                                        ; implicit-def: $vgpr116_vgpr117
	s_delay_alu instid0(VALU_DEP_1)
	v_mul_f64 v[124:125], v[120:121], v[122:123]
	v_xor_b32_e32 v123, 0x80000000, v123
.LBB45_59:
	s_and_not1_saveexec_b32 s3, s3
	s_cbranch_execz .LBB45_61
; %bb.60:
	v_div_scale_f64 v[120:121], null, v[116:117], v[116:117], v[118:119]
	v_div_scale_f64 v[126:127], vcc_lo, v[118:119], v[116:117], v[118:119]
	s_delay_alu instid0(VALU_DEP_2) | instskip(SKIP_2) | instid1(VALU_DEP_1)
	v_rcp_f64_e32 v[122:123], v[120:121]
	s_waitcnt_depctr 0xfff
	v_fma_f64 v[124:125], -v[120:121], v[122:123], 1.0
	v_fma_f64 v[122:123], v[122:123], v[124:125], v[122:123]
	s_delay_alu instid0(VALU_DEP_1) | instskip(NEXT) | instid1(VALU_DEP_1)
	v_fma_f64 v[124:125], -v[120:121], v[122:123], 1.0
	v_fma_f64 v[122:123], v[122:123], v[124:125], v[122:123]
	s_delay_alu instid0(VALU_DEP_1) | instskip(NEXT) | instid1(VALU_DEP_1)
	v_mul_f64 v[124:125], v[126:127], v[122:123]
	v_fma_f64 v[120:121], -v[120:121], v[124:125], v[126:127]
	s_delay_alu instid0(VALU_DEP_1) | instskip(NEXT) | instid1(VALU_DEP_1)
	v_div_fmas_f64 v[120:121], v[120:121], v[122:123], v[124:125]
	v_div_fixup_f64 v[120:121], v[120:121], v[116:117], v[118:119]
	s_delay_alu instid0(VALU_DEP_1) | instskip(NEXT) | instid1(VALU_DEP_1)
	v_fma_f64 v[116:117], v[118:119], v[120:121], v[116:117]
	v_div_scale_f64 v[118:119], null, v[116:117], v[116:117], 1.0
	s_delay_alu instid0(VALU_DEP_1) | instskip(SKIP_2) | instid1(VALU_DEP_1)
	v_rcp_f64_e32 v[122:123], v[118:119]
	s_waitcnt_depctr 0xfff
	v_fma_f64 v[124:125], -v[118:119], v[122:123], 1.0
	v_fma_f64 v[122:123], v[122:123], v[124:125], v[122:123]
	s_delay_alu instid0(VALU_DEP_1) | instskip(NEXT) | instid1(VALU_DEP_1)
	v_fma_f64 v[124:125], -v[118:119], v[122:123], 1.0
	v_fma_f64 v[122:123], v[122:123], v[124:125], v[122:123]
	v_div_scale_f64 v[124:125], vcc_lo, 1.0, v[116:117], 1.0
	s_delay_alu instid0(VALU_DEP_1) | instskip(NEXT) | instid1(VALU_DEP_1)
	v_mul_f64 v[126:127], v[124:125], v[122:123]
	v_fma_f64 v[118:119], -v[118:119], v[126:127], v[124:125]
	s_delay_alu instid0(VALU_DEP_1) | instskip(NEXT) | instid1(VALU_DEP_1)
	v_div_fmas_f64 v[118:119], v[118:119], v[122:123], v[126:127]
	v_div_fixup_f64 v[124:125], v[118:119], v[116:117], 1.0
	s_delay_alu instid0(VALU_DEP_1)
	v_mul_f64 v[122:123], v[120:121], -v[124:125]
.LBB45_61:
	s_or_b32 exec_lo, exec_lo, s3
	ds_store_2addr_b64 v235, v[124:125], v[122:123] offset1:1
.LBB45_62:
	s_or_b32 exec_lo, exec_lo, s4
	s_waitcnt lgkmcnt(0)
	s_barrier
	buffer_gl0_inv
	ds_load_2addr_b64 v[116:119], v235 offset1:1
	s_mov_b32 s3, exec_lo
	v_cmpx_lt_u32_e32 6, v234
	s_cbranch_execz .LBB45_64
; %bb.63:
	s_waitcnt lgkmcnt(0)
	v_mul_f64 v[120:121], v[116:117], v[66:67]
	v_mul_f64 v[66:67], v[118:119], v[66:67]
	ds_load_2addr_b64 v[122:125], v236 offset0:14 offset1:15
	ds_load_2addr_b64 v[126:129], v236 offset0:16 offset1:17
	v_fma_f64 v[120:121], v[118:119], v[64:65], v[120:121]
	v_fma_f64 v[64:65], v[116:117], v[64:65], -v[66:67]
	s_waitcnt lgkmcnt(1)
	s_delay_alu instid0(VALU_DEP_2) | instskip(NEXT) | instid1(VALU_DEP_1)
	v_mul_f64 v[66:67], v[124:125], v[120:121]
	v_fma_f64 v[66:67], v[122:123], v[64:65], -v[66:67]
	v_mul_f64 v[122:123], v[122:123], v[120:121]
	s_delay_alu instid0(VALU_DEP_2) | instskip(NEXT) | instid1(VALU_DEP_2)
	v_add_f64 v[60:61], v[60:61], -v[66:67]
	v_fma_f64 v[130:131], v[124:125], v[64:65], v[122:123]
	s_waitcnt lgkmcnt(0)
	v_mul_f64 v[122:123], v[128:129], v[120:121]
	v_dual_mov_b32 v66, v120 :: v_dual_mov_b32 v67, v121
	s_delay_alu instid0(VALU_DEP_3) | instskip(NEXT) | instid1(VALU_DEP_3)
	v_add_f64 v[62:63], v[62:63], -v[130:131]
	v_fma_f64 v[132:133], v[126:127], v[64:65], -v[122:123]
	v_mul_f64 v[122:123], v[126:127], v[120:121]
	s_delay_alu instid0(VALU_DEP_2) | instskip(NEXT) | instid1(VALU_DEP_2)
	v_add_f64 v[56:57], v[56:57], -v[132:133]
	v_fma_f64 v[134:135], v[128:129], v[64:65], v[122:123]
	ds_load_2addr_b64 v[122:125], v236 offset0:18 offset1:19
	ds_load_2addr_b64 v[126:129], v236 offset0:20 offset1:21
	s_waitcnt lgkmcnt(1)
	v_mul_f64 v[136:137], v[124:125], v[120:121]
	v_add_f64 v[58:59], v[58:59], -v[134:135]
	s_delay_alu instid0(VALU_DEP_2) | instskip(SKIP_1) | instid1(VALU_DEP_2)
	v_fma_f64 v[136:137], v[122:123], v[64:65], -v[136:137]
	v_mul_f64 v[122:123], v[122:123], v[120:121]
	v_add_f64 v[52:53], v[52:53], -v[136:137]
	s_delay_alu instid0(VALU_DEP_2) | instskip(SKIP_2) | instid1(VALU_DEP_2)
	v_fma_f64 v[138:139], v[124:125], v[64:65], v[122:123]
	s_waitcnt lgkmcnt(0)
	v_mul_f64 v[122:123], v[128:129], v[120:121]
	v_add_f64 v[54:55], v[54:55], -v[138:139]
	s_delay_alu instid0(VALU_DEP_2) | instskip(SKIP_1) | instid1(VALU_DEP_2)
	v_fma_f64 v[140:141], v[126:127], v[64:65], -v[122:123]
	v_mul_f64 v[122:123], v[126:127], v[120:121]
	v_add_f64 v[48:49], v[48:49], -v[140:141]
	s_delay_alu instid0(VALU_DEP_2)
	v_fma_f64 v[142:143], v[128:129], v[64:65], v[122:123]
	ds_load_2addr_b64 v[122:125], v236 offset0:22 offset1:23
	ds_load_2addr_b64 v[126:129], v236 offset0:24 offset1:25
	s_waitcnt lgkmcnt(1)
	v_mul_f64 v[144:145], v[124:125], v[120:121]
	v_add_f64 v[50:51], v[50:51], -v[142:143]
	s_delay_alu instid0(VALU_DEP_2) | instskip(SKIP_1) | instid1(VALU_DEP_2)
	v_fma_f64 v[144:145], v[122:123], v[64:65], -v[144:145]
	v_mul_f64 v[122:123], v[122:123], v[120:121]
	v_add_f64 v[44:45], v[44:45], -v[144:145]
	s_delay_alu instid0(VALU_DEP_2) | instskip(SKIP_2) | instid1(VALU_DEP_2)
	v_fma_f64 v[146:147], v[124:125], v[64:65], v[122:123]
	s_waitcnt lgkmcnt(0)
	v_mul_f64 v[122:123], v[128:129], v[120:121]
	v_add_f64 v[46:47], v[46:47], -v[146:147]
	s_delay_alu instid0(VALU_DEP_2) | instskip(SKIP_1) | instid1(VALU_DEP_2)
	v_fma_f64 v[148:149], v[126:127], v[64:65], -v[122:123]
	v_mul_f64 v[122:123], v[126:127], v[120:121]
	v_add_f64 v[40:41], v[40:41], -v[148:149]
	s_delay_alu instid0(VALU_DEP_2)
	;; [unrolled: 20-line block ×6, first 2 shown]
	v_fma_f64 v[182:183], v[128:129], v[64:65], v[122:123]
	ds_load_2addr_b64 v[122:125], v236 offset0:42 offset1:43
	ds_load_2addr_b64 v[126:129], v236 offset0:44 offset1:45
	s_waitcnt lgkmcnt(1)
	v_mul_f64 v[232:233], v[124:125], v[120:121]
	v_add_f64 v[10:11], v[10:11], -v[182:183]
	s_delay_alu instid0(VALU_DEP_2) | instskip(SKIP_1) | instid1(VALU_DEP_2)
	v_fma_f64 v[232:233], v[122:123], v[64:65], -v[232:233]
	v_mul_f64 v[122:123], v[122:123], v[120:121]
	v_add_f64 v[4:5], v[4:5], -v[232:233]
	s_delay_alu instid0(VALU_DEP_2) | instskip(SKIP_2) | instid1(VALU_DEP_2)
	v_fma_f64 v[122:123], v[124:125], v[64:65], v[122:123]
	s_waitcnt lgkmcnt(0)
	v_mul_f64 v[124:125], v[128:129], v[120:121]
	v_add_f64 v[6:7], v[6:7], -v[122:123]
	s_delay_alu instid0(VALU_DEP_2) | instskip(SKIP_1) | instid1(VALU_DEP_2)
	v_fma_f64 v[124:125], v[126:127], v[64:65], -v[124:125]
	v_mul_f64 v[126:127], v[126:127], v[120:121]
	v_add_f64 v[0:1], v[0:1], -v[124:125]
	s_delay_alu instid0(VALU_DEP_2) | instskip(NEXT) | instid1(VALU_DEP_1)
	v_fma_f64 v[126:127], v[128:129], v[64:65], v[126:127]
	v_add_f64 v[2:3], v[2:3], -v[126:127]
.LBB45_64:
	s_or_b32 exec_lo, exec_lo, s3
	s_delay_alu instid0(SALU_CYCLE_1)
	s_mov_b32 s4, exec_lo
	s_waitcnt lgkmcnt(0)
	s_barrier
	buffer_gl0_inv
	v_cmpx_eq_u32_e32 7, v234
	s_cbranch_execz .LBB45_71
; %bb.65:
	ds_store_2addr_b64 v235, v[60:61], v[62:63] offset1:1
	ds_store_2addr_b64 v236, v[56:57], v[58:59] offset0:16 offset1:17
	ds_store_2addr_b64 v236, v[52:53], v[54:55] offset0:18 offset1:19
	;; [unrolled: 1-line block ×15, first 2 shown]
	ds_load_2addr_b64 v[120:123], v235 offset1:1
	s_waitcnt lgkmcnt(0)
	v_cmp_neq_f64_e32 vcc_lo, 0, v[120:121]
	v_cmp_neq_f64_e64 s3, 0, v[122:123]
	s_delay_alu instid0(VALU_DEP_1) | instskip(NEXT) | instid1(SALU_CYCLE_1)
	s_or_b32 s3, vcc_lo, s3
	s_and_b32 exec_lo, exec_lo, s3
	s_cbranch_execz .LBB45_71
; %bb.66:
	v_cmp_gt_f64_e32 vcc_lo, 0, v[120:121]
	v_cmp_gt_f64_e64 s3, 0, v[122:123]
	v_xor_b32_e32 v124, 0x80000000, v121
	v_xor_b32_e32 v126, 0x80000000, v123
                                        ; implicit-def: $vgpr128_vgpr129
	s_delay_alu instid0(VALU_DEP_2) | instskip(NEXT) | instid1(VALU_DEP_2)
	v_cndmask_b32_e32 v125, v121, v124, vcc_lo
	v_cndmask_b32_e64 v127, v123, v126, s3
	v_cndmask_b32_e32 v124, v120, v120, vcc_lo
	v_cndmask_b32_e64 v126, v122, v122, s3
	s_mov_b32 s3, exec_lo
	s_delay_alu instid0(VALU_DEP_1)
	v_cmpx_ngt_f64_e32 v[124:125], v[126:127]
	s_xor_b32 s3, exec_lo, s3
                                        ; implicit-def: $vgpr124_vgpr125_vgpr126_vgpr127
	s_cbranch_execz .LBB45_68
; %bb.67:
	v_div_scale_f64 v[124:125], null, v[122:123], v[122:123], v[120:121]
	v_div_scale_f64 v[130:131], vcc_lo, v[120:121], v[122:123], v[120:121]
	s_delay_alu instid0(VALU_DEP_2) | instskip(SKIP_2) | instid1(VALU_DEP_1)
	v_rcp_f64_e32 v[126:127], v[124:125]
	s_waitcnt_depctr 0xfff
	v_fma_f64 v[128:129], -v[124:125], v[126:127], 1.0
	v_fma_f64 v[126:127], v[126:127], v[128:129], v[126:127]
	s_delay_alu instid0(VALU_DEP_1) | instskip(NEXT) | instid1(VALU_DEP_1)
	v_fma_f64 v[128:129], -v[124:125], v[126:127], 1.0
	v_fma_f64 v[126:127], v[126:127], v[128:129], v[126:127]
	s_delay_alu instid0(VALU_DEP_1) | instskip(NEXT) | instid1(VALU_DEP_1)
	v_mul_f64 v[128:129], v[130:131], v[126:127]
	v_fma_f64 v[124:125], -v[124:125], v[128:129], v[130:131]
	s_delay_alu instid0(VALU_DEP_1) | instskip(NEXT) | instid1(VALU_DEP_1)
	v_div_fmas_f64 v[124:125], v[124:125], v[126:127], v[128:129]
	v_div_fixup_f64 v[124:125], v[124:125], v[122:123], v[120:121]
	s_delay_alu instid0(VALU_DEP_1) | instskip(NEXT) | instid1(VALU_DEP_1)
	v_fma_f64 v[120:121], v[120:121], v[124:125], v[122:123]
	v_div_scale_f64 v[122:123], null, v[120:121], v[120:121], 1.0
	s_delay_alu instid0(VALU_DEP_1) | instskip(SKIP_2) | instid1(VALU_DEP_1)
	v_rcp_f64_e32 v[126:127], v[122:123]
	s_waitcnt_depctr 0xfff
	v_fma_f64 v[128:129], -v[122:123], v[126:127], 1.0
	v_fma_f64 v[126:127], v[126:127], v[128:129], v[126:127]
	s_delay_alu instid0(VALU_DEP_1) | instskip(NEXT) | instid1(VALU_DEP_1)
	v_fma_f64 v[128:129], -v[122:123], v[126:127], 1.0
	v_fma_f64 v[126:127], v[126:127], v[128:129], v[126:127]
	v_div_scale_f64 v[128:129], vcc_lo, 1.0, v[120:121], 1.0
	s_delay_alu instid0(VALU_DEP_1) | instskip(NEXT) | instid1(VALU_DEP_1)
	v_mul_f64 v[130:131], v[128:129], v[126:127]
	v_fma_f64 v[122:123], -v[122:123], v[130:131], v[128:129]
	s_delay_alu instid0(VALU_DEP_1) | instskip(NEXT) | instid1(VALU_DEP_1)
	v_div_fmas_f64 v[122:123], v[122:123], v[126:127], v[130:131]
	v_div_fixup_f64 v[126:127], v[122:123], v[120:121], 1.0
                                        ; implicit-def: $vgpr120_vgpr121
	s_delay_alu instid0(VALU_DEP_1)
	v_mul_f64 v[128:129], v[124:125], v[126:127]
	v_xor_b32_e32 v127, 0x80000000, v127
.LBB45_68:
	s_and_not1_saveexec_b32 s3, s3
	s_cbranch_execz .LBB45_70
; %bb.69:
	v_div_scale_f64 v[124:125], null, v[120:121], v[120:121], v[122:123]
	v_div_scale_f64 v[130:131], vcc_lo, v[122:123], v[120:121], v[122:123]
	s_delay_alu instid0(VALU_DEP_2) | instskip(SKIP_2) | instid1(VALU_DEP_1)
	v_rcp_f64_e32 v[126:127], v[124:125]
	s_waitcnt_depctr 0xfff
	v_fma_f64 v[128:129], -v[124:125], v[126:127], 1.0
	v_fma_f64 v[126:127], v[126:127], v[128:129], v[126:127]
	s_delay_alu instid0(VALU_DEP_1) | instskip(NEXT) | instid1(VALU_DEP_1)
	v_fma_f64 v[128:129], -v[124:125], v[126:127], 1.0
	v_fma_f64 v[126:127], v[126:127], v[128:129], v[126:127]
	s_delay_alu instid0(VALU_DEP_1) | instskip(NEXT) | instid1(VALU_DEP_1)
	v_mul_f64 v[128:129], v[130:131], v[126:127]
	v_fma_f64 v[124:125], -v[124:125], v[128:129], v[130:131]
	s_delay_alu instid0(VALU_DEP_1) | instskip(NEXT) | instid1(VALU_DEP_1)
	v_div_fmas_f64 v[124:125], v[124:125], v[126:127], v[128:129]
	v_div_fixup_f64 v[124:125], v[124:125], v[120:121], v[122:123]
	s_delay_alu instid0(VALU_DEP_1) | instskip(NEXT) | instid1(VALU_DEP_1)
	v_fma_f64 v[120:121], v[122:123], v[124:125], v[120:121]
	v_div_scale_f64 v[122:123], null, v[120:121], v[120:121], 1.0
	s_delay_alu instid0(VALU_DEP_1) | instskip(SKIP_2) | instid1(VALU_DEP_1)
	v_rcp_f64_e32 v[126:127], v[122:123]
	s_waitcnt_depctr 0xfff
	v_fma_f64 v[128:129], -v[122:123], v[126:127], 1.0
	v_fma_f64 v[126:127], v[126:127], v[128:129], v[126:127]
	s_delay_alu instid0(VALU_DEP_1) | instskip(NEXT) | instid1(VALU_DEP_1)
	v_fma_f64 v[128:129], -v[122:123], v[126:127], 1.0
	v_fma_f64 v[126:127], v[126:127], v[128:129], v[126:127]
	v_div_scale_f64 v[128:129], vcc_lo, 1.0, v[120:121], 1.0
	s_delay_alu instid0(VALU_DEP_1) | instskip(NEXT) | instid1(VALU_DEP_1)
	v_mul_f64 v[130:131], v[128:129], v[126:127]
	v_fma_f64 v[122:123], -v[122:123], v[130:131], v[128:129]
	s_delay_alu instid0(VALU_DEP_1) | instskip(NEXT) | instid1(VALU_DEP_1)
	v_div_fmas_f64 v[122:123], v[122:123], v[126:127], v[130:131]
	v_div_fixup_f64 v[128:129], v[122:123], v[120:121], 1.0
	s_delay_alu instid0(VALU_DEP_1)
	v_mul_f64 v[126:127], v[124:125], -v[128:129]
.LBB45_70:
	s_or_b32 exec_lo, exec_lo, s3
	ds_store_2addr_b64 v235, v[128:129], v[126:127] offset1:1
.LBB45_71:
	s_or_b32 exec_lo, exec_lo, s4
	s_waitcnt lgkmcnt(0)
	s_barrier
	buffer_gl0_inv
	ds_load_2addr_b64 v[120:123], v235 offset1:1
	s_mov_b32 s3, exec_lo
	v_cmpx_lt_u32_e32 7, v234
	s_cbranch_execz .LBB45_73
; %bb.72:
	s_waitcnt lgkmcnt(0)
	v_mul_f64 v[124:125], v[120:121], v[62:63]
	v_mul_f64 v[62:63], v[122:123], v[62:63]
	s_delay_alu instid0(VALU_DEP_2)
	v_fma_f64 v[132:133], v[122:123], v[60:61], v[124:125]
	ds_load_2addr_b64 v[124:127], v236 offset0:16 offset1:17
	ds_load_2addr_b64 v[128:131], v236 offset0:18 offset1:19
	v_fma_f64 v[60:61], v[120:121], v[60:61], -v[62:63]
	s_waitcnt lgkmcnt(1)
	v_mul_f64 v[62:63], v[126:127], v[132:133]
	s_delay_alu instid0(VALU_DEP_1) | instskip(SKIP_1) | instid1(VALU_DEP_2)
	v_fma_f64 v[62:63], v[124:125], v[60:61], -v[62:63]
	v_mul_f64 v[124:125], v[124:125], v[132:133]
	v_add_f64 v[56:57], v[56:57], -v[62:63]
	s_delay_alu instid0(VALU_DEP_2) | instskip(SKIP_3) | instid1(VALU_DEP_3)
	v_fma_f64 v[134:135], v[126:127], v[60:61], v[124:125]
	s_waitcnt lgkmcnt(0)
	v_mul_f64 v[124:125], v[130:131], v[132:133]
	v_dual_mov_b32 v62, v132 :: v_dual_mov_b32 v63, v133
	v_add_f64 v[58:59], v[58:59], -v[134:135]
	s_delay_alu instid0(VALU_DEP_3) | instskip(SKIP_1) | instid1(VALU_DEP_2)
	v_fma_f64 v[136:137], v[128:129], v[60:61], -v[124:125]
	v_mul_f64 v[124:125], v[128:129], v[132:133]
	v_add_f64 v[52:53], v[52:53], -v[136:137]
	s_delay_alu instid0(VALU_DEP_2)
	v_fma_f64 v[138:139], v[130:131], v[60:61], v[124:125]
	ds_load_2addr_b64 v[124:127], v236 offset0:20 offset1:21
	ds_load_2addr_b64 v[128:131], v236 offset0:22 offset1:23
	s_waitcnt lgkmcnt(1)
	v_mul_f64 v[140:141], v[126:127], v[132:133]
	v_add_f64 v[54:55], v[54:55], -v[138:139]
	s_delay_alu instid0(VALU_DEP_2) | instskip(SKIP_1) | instid1(VALU_DEP_2)
	v_fma_f64 v[140:141], v[124:125], v[60:61], -v[140:141]
	v_mul_f64 v[124:125], v[124:125], v[132:133]
	v_add_f64 v[48:49], v[48:49], -v[140:141]
	s_delay_alu instid0(VALU_DEP_2) | instskip(SKIP_2) | instid1(VALU_DEP_2)
	v_fma_f64 v[142:143], v[126:127], v[60:61], v[124:125]
	s_waitcnt lgkmcnt(0)
	v_mul_f64 v[124:125], v[130:131], v[132:133]
	v_add_f64 v[50:51], v[50:51], -v[142:143]
	s_delay_alu instid0(VALU_DEP_2) | instskip(SKIP_1) | instid1(VALU_DEP_2)
	v_fma_f64 v[144:145], v[128:129], v[60:61], -v[124:125]
	v_mul_f64 v[124:125], v[128:129], v[132:133]
	v_add_f64 v[44:45], v[44:45], -v[144:145]
	s_delay_alu instid0(VALU_DEP_2)
	v_fma_f64 v[146:147], v[130:131], v[60:61], v[124:125]
	ds_load_2addr_b64 v[124:127], v236 offset0:24 offset1:25
	ds_load_2addr_b64 v[128:131], v236 offset0:26 offset1:27
	s_waitcnt lgkmcnt(1)
	v_mul_f64 v[148:149], v[126:127], v[132:133]
	v_add_f64 v[46:47], v[46:47], -v[146:147]
	s_delay_alu instid0(VALU_DEP_2) | instskip(SKIP_1) | instid1(VALU_DEP_2)
	v_fma_f64 v[148:149], v[124:125], v[60:61], -v[148:149]
	v_mul_f64 v[124:125], v[124:125], v[132:133]
	v_add_f64 v[40:41], v[40:41], -v[148:149]
	s_delay_alu instid0(VALU_DEP_2) | instskip(SKIP_2) | instid1(VALU_DEP_2)
	v_fma_f64 v[150:151], v[126:127], v[60:61], v[124:125]
	s_waitcnt lgkmcnt(0)
	v_mul_f64 v[124:125], v[130:131], v[132:133]
	v_add_f64 v[42:43], v[42:43], -v[150:151]
	s_delay_alu instid0(VALU_DEP_2) | instskip(SKIP_1) | instid1(VALU_DEP_2)
	;; [unrolled: 20-line block ×6, first 2 shown]
	v_fma_f64 v[232:233], v[128:129], v[60:61], -v[124:125]
	v_mul_f64 v[124:125], v[128:129], v[132:133]
	v_add_f64 v[4:5], v[4:5], -v[232:233]
	s_delay_alu instid0(VALU_DEP_2) | instskip(SKIP_4) | instid1(VALU_DEP_2)
	v_fma_f64 v[128:129], v[130:131], v[60:61], v[124:125]
	ds_load_2addr_b64 v[124:127], v236 offset0:44 offset1:45
	s_waitcnt lgkmcnt(0)
	v_mul_f64 v[130:131], v[126:127], v[132:133]
	v_add_f64 v[6:7], v[6:7], -v[128:129]
	v_fma_f64 v[130:131], v[124:125], v[60:61], -v[130:131]
	v_mul_f64 v[124:125], v[124:125], v[132:133]
	s_delay_alu instid0(VALU_DEP_2) | instskip(NEXT) | instid1(VALU_DEP_2)
	v_add_f64 v[0:1], v[0:1], -v[130:131]
	v_fma_f64 v[124:125], v[126:127], v[60:61], v[124:125]
	s_delay_alu instid0(VALU_DEP_1)
	v_add_f64 v[2:3], v[2:3], -v[124:125]
.LBB45_73:
	s_or_b32 exec_lo, exec_lo, s3
	s_delay_alu instid0(SALU_CYCLE_1)
	s_mov_b32 s4, exec_lo
	s_waitcnt lgkmcnt(0)
	s_barrier
	buffer_gl0_inv
	v_cmpx_eq_u32_e32 8, v234
	s_cbranch_execz .LBB45_80
; %bb.74:
	ds_store_2addr_b64 v235, v[56:57], v[58:59] offset1:1
	ds_store_2addr_b64 v236, v[52:53], v[54:55] offset0:18 offset1:19
	ds_store_2addr_b64 v236, v[48:49], v[50:51] offset0:20 offset1:21
	;; [unrolled: 1-line block ×14, first 2 shown]
	ds_load_2addr_b64 v[124:127], v235 offset1:1
	s_waitcnt lgkmcnt(0)
	v_cmp_neq_f64_e32 vcc_lo, 0, v[124:125]
	v_cmp_neq_f64_e64 s3, 0, v[126:127]
	s_delay_alu instid0(VALU_DEP_1) | instskip(NEXT) | instid1(SALU_CYCLE_1)
	s_or_b32 s3, vcc_lo, s3
	s_and_b32 exec_lo, exec_lo, s3
	s_cbranch_execz .LBB45_80
; %bb.75:
	v_cmp_gt_f64_e32 vcc_lo, 0, v[124:125]
	v_cmp_gt_f64_e64 s3, 0, v[126:127]
	v_xor_b32_e32 v128, 0x80000000, v125
	v_xor_b32_e32 v130, 0x80000000, v127
                                        ; implicit-def: $vgpr132_vgpr133
	s_delay_alu instid0(VALU_DEP_2) | instskip(NEXT) | instid1(VALU_DEP_2)
	v_cndmask_b32_e32 v129, v125, v128, vcc_lo
	v_cndmask_b32_e64 v131, v127, v130, s3
	v_cndmask_b32_e32 v128, v124, v124, vcc_lo
	v_cndmask_b32_e64 v130, v126, v126, s3
	s_mov_b32 s3, exec_lo
	s_delay_alu instid0(VALU_DEP_1)
	v_cmpx_ngt_f64_e32 v[128:129], v[130:131]
	s_xor_b32 s3, exec_lo, s3
                                        ; implicit-def: $vgpr128_vgpr129_vgpr130_vgpr131
	s_cbranch_execz .LBB45_77
; %bb.76:
	v_div_scale_f64 v[128:129], null, v[126:127], v[126:127], v[124:125]
	v_div_scale_f64 v[134:135], vcc_lo, v[124:125], v[126:127], v[124:125]
	s_delay_alu instid0(VALU_DEP_2) | instskip(SKIP_2) | instid1(VALU_DEP_1)
	v_rcp_f64_e32 v[130:131], v[128:129]
	s_waitcnt_depctr 0xfff
	v_fma_f64 v[132:133], -v[128:129], v[130:131], 1.0
	v_fma_f64 v[130:131], v[130:131], v[132:133], v[130:131]
	s_delay_alu instid0(VALU_DEP_1) | instskip(NEXT) | instid1(VALU_DEP_1)
	v_fma_f64 v[132:133], -v[128:129], v[130:131], 1.0
	v_fma_f64 v[130:131], v[130:131], v[132:133], v[130:131]
	s_delay_alu instid0(VALU_DEP_1) | instskip(NEXT) | instid1(VALU_DEP_1)
	v_mul_f64 v[132:133], v[134:135], v[130:131]
	v_fma_f64 v[128:129], -v[128:129], v[132:133], v[134:135]
	s_delay_alu instid0(VALU_DEP_1) | instskip(NEXT) | instid1(VALU_DEP_1)
	v_div_fmas_f64 v[128:129], v[128:129], v[130:131], v[132:133]
	v_div_fixup_f64 v[128:129], v[128:129], v[126:127], v[124:125]
	s_delay_alu instid0(VALU_DEP_1) | instskip(NEXT) | instid1(VALU_DEP_1)
	v_fma_f64 v[124:125], v[124:125], v[128:129], v[126:127]
	v_div_scale_f64 v[126:127], null, v[124:125], v[124:125], 1.0
	s_delay_alu instid0(VALU_DEP_1) | instskip(SKIP_2) | instid1(VALU_DEP_1)
	v_rcp_f64_e32 v[130:131], v[126:127]
	s_waitcnt_depctr 0xfff
	v_fma_f64 v[132:133], -v[126:127], v[130:131], 1.0
	v_fma_f64 v[130:131], v[130:131], v[132:133], v[130:131]
	s_delay_alu instid0(VALU_DEP_1) | instskip(NEXT) | instid1(VALU_DEP_1)
	v_fma_f64 v[132:133], -v[126:127], v[130:131], 1.0
	v_fma_f64 v[130:131], v[130:131], v[132:133], v[130:131]
	v_div_scale_f64 v[132:133], vcc_lo, 1.0, v[124:125], 1.0
	s_delay_alu instid0(VALU_DEP_1) | instskip(NEXT) | instid1(VALU_DEP_1)
	v_mul_f64 v[134:135], v[132:133], v[130:131]
	v_fma_f64 v[126:127], -v[126:127], v[134:135], v[132:133]
	s_delay_alu instid0(VALU_DEP_1) | instskip(NEXT) | instid1(VALU_DEP_1)
	v_div_fmas_f64 v[126:127], v[126:127], v[130:131], v[134:135]
	v_div_fixup_f64 v[130:131], v[126:127], v[124:125], 1.0
                                        ; implicit-def: $vgpr124_vgpr125
	s_delay_alu instid0(VALU_DEP_1)
	v_mul_f64 v[132:133], v[128:129], v[130:131]
	v_xor_b32_e32 v131, 0x80000000, v131
.LBB45_77:
	s_and_not1_saveexec_b32 s3, s3
	s_cbranch_execz .LBB45_79
; %bb.78:
	v_div_scale_f64 v[128:129], null, v[124:125], v[124:125], v[126:127]
	v_div_scale_f64 v[134:135], vcc_lo, v[126:127], v[124:125], v[126:127]
	s_delay_alu instid0(VALU_DEP_2) | instskip(SKIP_2) | instid1(VALU_DEP_1)
	v_rcp_f64_e32 v[130:131], v[128:129]
	s_waitcnt_depctr 0xfff
	v_fma_f64 v[132:133], -v[128:129], v[130:131], 1.0
	v_fma_f64 v[130:131], v[130:131], v[132:133], v[130:131]
	s_delay_alu instid0(VALU_DEP_1) | instskip(NEXT) | instid1(VALU_DEP_1)
	v_fma_f64 v[132:133], -v[128:129], v[130:131], 1.0
	v_fma_f64 v[130:131], v[130:131], v[132:133], v[130:131]
	s_delay_alu instid0(VALU_DEP_1) | instskip(NEXT) | instid1(VALU_DEP_1)
	v_mul_f64 v[132:133], v[134:135], v[130:131]
	v_fma_f64 v[128:129], -v[128:129], v[132:133], v[134:135]
	s_delay_alu instid0(VALU_DEP_1) | instskip(NEXT) | instid1(VALU_DEP_1)
	v_div_fmas_f64 v[128:129], v[128:129], v[130:131], v[132:133]
	v_div_fixup_f64 v[128:129], v[128:129], v[124:125], v[126:127]
	s_delay_alu instid0(VALU_DEP_1) | instskip(NEXT) | instid1(VALU_DEP_1)
	v_fma_f64 v[124:125], v[126:127], v[128:129], v[124:125]
	v_div_scale_f64 v[126:127], null, v[124:125], v[124:125], 1.0
	s_delay_alu instid0(VALU_DEP_1) | instskip(SKIP_2) | instid1(VALU_DEP_1)
	v_rcp_f64_e32 v[130:131], v[126:127]
	s_waitcnt_depctr 0xfff
	v_fma_f64 v[132:133], -v[126:127], v[130:131], 1.0
	v_fma_f64 v[130:131], v[130:131], v[132:133], v[130:131]
	s_delay_alu instid0(VALU_DEP_1) | instskip(NEXT) | instid1(VALU_DEP_1)
	v_fma_f64 v[132:133], -v[126:127], v[130:131], 1.0
	v_fma_f64 v[130:131], v[130:131], v[132:133], v[130:131]
	v_div_scale_f64 v[132:133], vcc_lo, 1.0, v[124:125], 1.0
	s_delay_alu instid0(VALU_DEP_1) | instskip(NEXT) | instid1(VALU_DEP_1)
	v_mul_f64 v[134:135], v[132:133], v[130:131]
	v_fma_f64 v[126:127], -v[126:127], v[134:135], v[132:133]
	s_delay_alu instid0(VALU_DEP_1) | instskip(NEXT) | instid1(VALU_DEP_1)
	v_div_fmas_f64 v[126:127], v[126:127], v[130:131], v[134:135]
	v_div_fixup_f64 v[132:133], v[126:127], v[124:125], 1.0
	s_delay_alu instid0(VALU_DEP_1)
	v_mul_f64 v[130:131], v[128:129], -v[132:133]
.LBB45_79:
	s_or_b32 exec_lo, exec_lo, s3
	ds_store_2addr_b64 v235, v[132:133], v[130:131] offset1:1
.LBB45_80:
	s_or_b32 exec_lo, exec_lo, s4
	s_waitcnt lgkmcnt(0)
	s_barrier
	buffer_gl0_inv
	ds_load_2addr_b64 v[124:127], v235 offset1:1
	s_mov_b32 s3, exec_lo
	v_cmpx_lt_u32_e32 8, v234
	s_cbranch_execz .LBB45_82
; %bb.81:
	s_waitcnt lgkmcnt(0)
	v_mul_f64 v[128:129], v[124:125], v[58:59]
	v_mul_f64 v[58:59], v[126:127], v[58:59]
	s_delay_alu instid0(VALU_DEP_2)
	v_fma_f64 v[136:137], v[126:127], v[56:57], v[128:129]
	ds_load_2addr_b64 v[128:131], v236 offset0:18 offset1:19
	ds_load_2addr_b64 v[132:135], v236 offset0:20 offset1:21
	v_fma_f64 v[56:57], v[124:125], v[56:57], -v[58:59]
	s_waitcnt lgkmcnt(1)
	v_mul_f64 v[58:59], v[130:131], v[136:137]
	s_delay_alu instid0(VALU_DEP_1) | instskip(SKIP_1) | instid1(VALU_DEP_2)
	v_fma_f64 v[58:59], v[128:129], v[56:57], -v[58:59]
	v_mul_f64 v[128:129], v[128:129], v[136:137]
	v_add_f64 v[52:53], v[52:53], -v[58:59]
	s_delay_alu instid0(VALU_DEP_2) | instskip(SKIP_3) | instid1(VALU_DEP_3)
	v_fma_f64 v[138:139], v[130:131], v[56:57], v[128:129]
	s_waitcnt lgkmcnt(0)
	v_mul_f64 v[128:129], v[134:135], v[136:137]
	v_dual_mov_b32 v58, v136 :: v_dual_mov_b32 v59, v137
	v_add_f64 v[54:55], v[54:55], -v[138:139]
	s_delay_alu instid0(VALU_DEP_3) | instskip(SKIP_1) | instid1(VALU_DEP_2)
	v_fma_f64 v[140:141], v[132:133], v[56:57], -v[128:129]
	v_mul_f64 v[128:129], v[132:133], v[136:137]
	v_add_f64 v[48:49], v[48:49], -v[140:141]
	s_delay_alu instid0(VALU_DEP_2)
	v_fma_f64 v[142:143], v[134:135], v[56:57], v[128:129]
	ds_load_2addr_b64 v[128:131], v236 offset0:22 offset1:23
	ds_load_2addr_b64 v[132:135], v236 offset0:24 offset1:25
	s_waitcnt lgkmcnt(1)
	v_mul_f64 v[144:145], v[130:131], v[136:137]
	v_add_f64 v[50:51], v[50:51], -v[142:143]
	s_delay_alu instid0(VALU_DEP_2) | instskip(SKIP_1) | instid1(VALU_DEP_2)
	v_fma_f64 v[144:145], v[128:129], v[56:57], -v[144:145]
	v_mul_f64 v[128:129], v[128:129], v[136:137]
	v_add_f64 v[44:45], v[44:45], -v[144:145]
	s_delay_alu instid0(VALU_DEP_2) | instskip(SKIP_2) | instid1(VALU_DEP_2)
	v_fma_f64 v[146:147], v[130:131], v[56:57], v[128:129]
	s_waitcnt lgkmcnt(0)
	v_mul_f64 v[128:129], v[134:135], v[136:137]
	v_add_f64 v[46:47], v[46:47], -v[146:147]
	s_delay_alu instid0(VALU_DEP_2) | instskip(SKIP_1) | instid1(VALU_DEP_2)
	v_fma_f64 v[148:149], v[132:133], v[56:57], -v[128:129]
	v_mul_f64 v[128:129], v[132:133], v[136:137]
	v_add_f64 v[40:41], v[40:41], -v[148:149]
	s_delay_alu instid0(VALU_DEP_2)
	v_fma_f64 v[150:151], v[134:135], v[56:57], v[128:129]
	ds_load_2addr_b64 v[128:131], v236 offset0:26 offset1:27
	ds_load_2addr_b64 v[132:135], v236 offset0:28 offset1:29
	s_waitcnt lgkmcnt(1)
	v_mul_f64 v[152:153], v[130:131], v[136:137]
	v_add_f64 v[42:43], v[42:43], -v[150:151]
	s_delay_alu instid0(VALU_DEP_2) | instskip(SKIP_1) | instid1(VALU_DEP_2)
	v_fma_f64 v[152:153], v[128:129], v[56:57], -v[152:153]
	v_mul_f64 v[128:129], v[128:129], v[136:137]
	v_add_f64 v[36:37], v[36:37], -v[152:153]
	s_delay_alu instid0(VALU_DEP_2) | instskip(SKIP_2) | instid1(VALU_DEP_2)
	v_fma_f64 v[154:155], v[130:131], v[56:57], v[128:129]
	s_waitcnt lgkmcnt(0)
	v_mul_f64 v[128:129], v[134:135], v[136:137]
	v_add_f64 v[38:39], v[38:39], -v[154:155]
	s_delay_alu instid0(VALU_DEP_2) | instskip(SKIP_1) | instid1(VALU_DEP_2)
	;; [unrolled: 20-line block ×6, first 2 shown]
	v_fma_f64 v[130:131], v[132:133], v[56:57], -v[130:131]
	v_mul_f64 v[132:133], v[132:133], v[136:137]
	v_add_f64 v[0:1], v[0:1], -v[130:131]
	s_delay_alu instid0(VALU_DEP_2) | instskip(NEXT) | instid1(VALU_DEP_1)
	v_fma_f64 v[132:133], v[134:135], v[56:57], v[132:133]
	v_add_f64 v[2:3], v[2:3], -v[132:133]
.LBB45_82:
	s_or_b32 exec_lo, exec_lo, s3
	s_delay_alu instid0(SALU_CYCLE_1)
	s_mov_b32 s4, exec_lo
	s_waitcnt lgkmcnt(0)
	s_barrier
	buffer_gl0_inv
	v_cmpx_eq_u32_e32 9, v234
	s_cbranch_execz .LBB45_89
; %bb.83:
	ds_store_2addr_b64 v235, v[52:53], v[54:55] offset1:1
	ds_store_2addr_b64 v236, v[48:49], v[50:51] offset0:20 offset1:21
	ds_store_2addr_b64 v236, v[44:45], v[46:47] offset0:22 offset1:23
	;; [unrolled: 1-line block ×13, first 2 shown]
	ds_load_2addr_b64 v[128:131], v235 offset1:1
	s_waitcnt lgkmcnt(0)
	v_cmp_neq_f64_e32 vcc_lo, 0, v[128:129]
	v_cmp_neq_f64_e64 s3, 0, v[130:131]
	s_delay_alu instid0(VALU_DEP_1) | instskip(NEXT) | instid1(SALU_CYCLE_1)
	s_or_b32 s3, vcc_lo, s3
	s_and_b32 exec_lo, exec_lo, s3
	s_cbranch_execz .LBB45_89
; %bb.84:
	v_cmp_gt_f64_e32 vcc_lo, 0, v[128:129]
	v_cmp_gt_f64_e64 s3, 0, v[130:131]
	v_xor_b32_e32 v132, 0x80000000, v129
	v_xor_b32_e32 v134, 0x80000000, v131
                                        ; implicit-def: $vgpr136_vgpr137
	s_delay_alu instid0(VALU_DEP_2) | instskip(NEXT) | instid1(VALU_DEP_2)
	v_cndmask_b32_e32 v133, v129, v132, vcc_lo
	v_cndmask_b32_e64 v135, v131, v134, s3
	v_cndmask_b32_e32 v132, v128, v128, vcc_lo
	v_cndmask_b32_e64 v134, v130, v130, s3
	s_mov_b32 s3, exec_lo
	s_delay_alu instid0(VALU_DEP_1)
	v_cmpx_ngt_f64_e32 v[132:133], v[134:135]
	s_xor_b32 s3, exec_lo, s3
                                        ; implicit-def: $vgpr132_vgpr133_vgpr134_vgpr135
	s_cbranch_execz .LBB45_86
; %bb.85:
	v_div_scale_f64 v[132:133], null, v[130:131], v[130:131], v[128:129]
	v_div_scale_f64 v[138:139], vcc_lo, v[128:129], v[130:131], v[128:129]
	s_delay_alu instid0(VALU_DEP_2) | instskip(SKIP_2) | instid1(VALU_DEP_1)
	v_rcp_f64_e32 v[134:135], v[132:133]
	s_waitcnt_depctr 0xfff
	v_fma_f64 v[136:137], -v[132:133], v[134:135], 1.0
	v_fma_f64 v[134:135], v[134:135], v[136:137], v[134:135]
	s_delay_alu instid0(VALU_DEP_1) | instskip(NEXT) | instid1(VALU_DEP_1)
	v_fma_f64 v[136:137], -v[132:133], v[134:135], 1.0
	v_fma_f64 v[134:135], v[134:135], v[136:137], v[134:135]
	s_delay_alu instid0(VALU_DEP_1) | instskip(NEXT) | instid1(VALU_DEP_1)
	v_mul_f64 v[136:137], v[138:139], v[134:135]
	v_fma_f64 v[132:133], -v[132:133], v[136:137], v[138:139]
	s_delay_alu instid0(VALU_DEP_1) | instskip(NEXT) | instid1(VALU_DEP_1)
	v_div_fmas_f64 v[132:133], v[132:133], v[134:135], v[136:137]
	v_div_fixup_f64 v[132:133], v[132:133], v[130:131], v[128:129]
	s_delay_alu instid0(VALU_DEP_1) | instskip(NEXT) | instid1(VALU_DEP_1)
	v_fma_f64 v[128:129], v[128:129], v[132:133], v[130:131]
	v_div_scale_f64 v[130:131], null, v[128:129], v[128:129], 1.0
	s_delay_alu instid0(VALU_DEP_1) | instskip(SKIP_2) | instid1(VALU_DEP_1)
	v_rcp_f64_e32 v[134:135], v[130:131]
	s_waitcnt_depctr 0xfff
	v_fma_f64 v[136:137], -v[130:131], v[134:135], 1.0
	v_fma_f64 v[134:135], v[134:135], v[136:137], v[134:135]
	s_delay_alu instid0(VALU_DEP_1) | instskip(NEXT) | instid1(VALU_DEP_1)
	v_fma_f64 v[136:137], -v[130:131], v[134:135], 1.0
	v_fma_f64 v[134:135], v[134:135], v[136:137], v[134:135]
	v_div_scale_f64 v[136:137], vcc_lo, 1.0, v[128:129], 1.0
	s_delay_alu instid0(VALU_DEP_1) | instskip(NEXT) | instid1(VALU_DEP_1)
	v_mul_f64 v[138:139], v[136:137], v[134:135]
	v_fma_f64 v[130:131], -v[130:131], v[138:139], v[136:137]
	s_delay_alu instid0(VALU_DEP_1) | instskip(NEXT) | instid1(VALU_DEP_1)
	v_div_fmas_f64 v[130:131], v[130:131], v[134:135], v[138:139]
	v_div_fixup_f64 v[134:135], v[130:131], v[128:129], 1.0
                                        ; implicit-def: $vgpr128_vgpr129
	s_delay_alu instid0(VALU_DEP_1)
	v_mul_f64 v[136:137], v[132:133], v[134:135]
	v_xor_b32_e32 v135, 0x80000000, v135
.LBB45_86:
	s_and_not1_saveexec_b32 s3, s3
	s_cbranch_execz .LBB45_88
; %bb.87:
	v_div_scale_f64 v[132:133], null, v[128:129], v[128:129], v[130:131]
	v_div_scale_f64 v[138:139], vcc_lo, v[130:131], v[128:129], v[130:131]
	s_delay_alu instid0(VALU_DEP_2) | instskip(SKIP_2) | instid1(VALU_DEP_1)
	v_rcp_f64_e32 v[134:135], v[132:133]
	s_waitcnt_depctr 0xfff
	v_fma_f64 v[136:137], -v[132:133], v[134:135], 1.0
	v_fma_f64 v[134:135], v[134:135], v[136:137], v[134:135]
	s_delay_alu instid0(VALU_DEP_1) | instskip(NEXT) | instid1(VALU_DEP_1)
	v_fma_f64 v[136:137], -v[132:133], v[134:135], 1.0
	v_fma_f64 v[134:135], v[134:135], v[136:137], v[134:135]
	s_delay_alu instid0(VALU_DEP_1) | instskip(NEXT) | instid1(VALU_DEP_1)
	v_mul_f64 v[136:137], v[138:139], v[134:135]
	v_fma_f64 v[132:133], -v[132:133], v[136:137], v[138:139]
	s_delay_alu instid0(VALU_DEP_1) | instskip(NEXT) | instid1(VALU_DEP_1)
	v_div_fmas_f64 v[132:133], v[132:133], v[134:135], v[136:137]
	v_div_fixup_f64 v[132:133], v[132:133], v[128:129], v[130:131]
	s_delay_alu instid0(VALU_DEP_1) | instskip(NEXT) | instid1(VALU_DEP_1)
	v_fma_f64 v[128:129], v[130:131], v[132:133], v[128:129]
	v_div_scale_f64 v[130:131], null, v[128:129], v[128:129], 1.0
	s_delay_alu instid0(VALU_DEP_1) | instskip(SKIP_2) | instid1(VALU_DEP_1)
	v_rcp_f64_e32 v[134:135], v[130:131]
	s_waitcnt_depctr 0xfff
	v_fma_f64 v[136:137], -v[130:131], v[134:135], 1.0
	v_fma_f64 v[134:135], v[134:135], v[136:137], v[134:135]
	s_delay_alu instid0(VALU_DEP_1) | instskip(NEXT) | instid1(VALU_DEP_1)
	v_fma_f64 v[136:137], -v[130:131], v[134:135], 1.0
	v_fma_f64 v[134:135], v[134:135], v[136:137], v[134:135]
	v_div_scale_f64 v[136:137], vcc_lo, 1.0, v[128:129], 1.0
	s_delay_alu instid0(VALU_DEP_1) | instskip(NEXT) | instid1(VALU_DEP_1)
	v_mul_f64 v[138:139], v[136:137], v[134:135]
	v_fma_f64 v[130:131], -v[130:131], v[138:139], v[136:137]
	s_delay_alu instid0(VALU_DEP_1) | instskip(NEXT) | instid1(VALU_DEP_1)
	v_div_fmas_f64 v[130:131], v[130:131], v[134:135], v[138:139]
	v_div_fixup_f64 v[136:137], v[130:131], v[128:129], 1.0
	s_delay_alu instid0(VALU_DEP_1)
	v_mul_f64 v[134:135], v[132:133], -v[136:137]
.LBB45_88:
	s_or_b32 exec_lo, exec_lo, s3
	ds_store_2addr_b64 v235, v[136:137], v[134:135] offset1:1
.LBB45_89:
	s_or_b32 exec_lo, exec_lo, s4
	s_waitcnt lgkmcnt(0)
	s_barrier
	buffer_gl0_inv
	ds_load_2addr_b64 v[128:131], v235 offset1:1
	s_mov_b32 s3, exec_lo
	v_cmpx_lt_u32_e32 9, v234
	s_cbranch_execz .LBB45_91
; %bb.90:
	s_waitcnt lgkmcnt(0)
	v_mul_f64 v[132:133], v[128:129], v[54:55]
	v_mul_f64 v[54:55], v[130:131], v[54:55]
	s_delay_alu instid0(VALU_DEP_2)
	v_fma_f64 v[140:141], v[130:131], v[52:53], v[132:133]
	ds_load_2addr_b64 v[132:135], v236 offset0:20 offset1:21
	ds_load_2addr_b64 v[136:139], v236 offset0:22 offset1:23
	v_fma_f64 v[52:53], v[128:129], v[52:53], -v[54:55]
	s_waitcnt lgkmcnt(1)
	v_mul_f64 v[54:55], v[134:135], v[140:141]
	s_delay_alu instid0(VALU_DEP_1) | instskip(SKIP_1) | instid1(VALU_DEP_2)
	v_fma_f64 v[54:55], v[132:133], v[52:53], -v[54:55]
	v_mul_f64 v[132:133], v[132:133], v[140:141]
	v_add_f64 v[48:49], v[48:49], -v[54:55]
	s_delay_alu instid0(VALU_DEP_2) | instskip(SKIP_3) | instid1(VALU_DEP_3)
	v_fma_f64 v[142:143], v[134:135], v[52:53], v[132:133]
	s_waitcnt lgkmcnt(0)
	v_mul_f64 v[132:133], v[138:139], v[140:141]
	v_dual_mov_b32 v54, v140 :: v_dual_mov_b32 v55, v141
	v_add_f64 v[50:51], v[50:51], -v[142:143]
	s_delay_alu instid0(VALU_DEP_3) | instskip(SKIP_1) | instid1(VALU_DEP_2)
	v_fma_f64 v[144:145], v[136:137], v[52:53], -v[132:133]
	v_mul_f64 v[132:133], v[136:137], v[140:141]
	v_add_f64 v[44:45], v[44:45], -v[144:145]
	s_delay_alu instid0(VALU_DEP_2)
	v_fma_f64 v[146:147], v[138:139], v[52:53], v[132:133]
	ds_load_2addr_b64 v[132:135], v236 offset0:24 offset1:25
	ds_load_2addr_b64 v[136:139], v236 offset0:26 offset1:27
	s_waitcnt lgkmcnt(1)
	v_mul_f64 v[148:149], v[134:135], v[140:141]
	v_add_f64 v[46:47], v[46:47], -v[146:147]
	s_delay_alu instid0(VALU_DEP_2) | instskip(SKIP_1) | instid1(VALU_DEP_2)
	v_fma_f64 v[148:149], v[132:133], v[52:53], -v[148:149]
	v_mul_f64 v[132:133], v[132:133], v[140:141]
	v_add_f64 v[40:41], v[40:41], -v[148:149]
	s_delay_alu instid0(VALU_DEP_2) | instskip(SKIP_2) | instid1(VALU_DEP_2)
	v_fma_f64 v[150:151], v[134:135], v[52:53], v[132:133]
	s_waitcnt lgkmcnt(0)
	v_mul_f64 v[132:133], v[138:139], v[140:141]
	v_add_f64 v[42:43], v[42:43], -v[150:151]
	s_delay_alu instid0(VALU_DEP_2) | instskip(SKIP_1) | instid1(VALU_DEP_2)
	v_fma_f64 v[152:153], v[136:137], v[52:53], -v[132:133]
	v_mul_f64 v[132:133], v[136:137], v[140:141]
	v_add_f64 v[36:37], v[36:37], -v[152:153]
	s_delay_alu instid0(VALU_DEP_2)
	v_fma_f64 v[154:155], v[138:139], v[52:53], v[132:133]
	ds_load_2addr_b64 v[132:135], v236 offset0:28 offset1:29
	ds_load_2addr_b64 v[136:139], v236 offset0:30 offset1:31
	s_waitcnt lgkmcnt(1)
	v_mul_f64 v[156:157], v[134:135], v[140:141]
	v_add_f64 v[38:39], v[38:39], -v[154:155]
	s_delay_alu instid0(VALU_DEP_2) | instskip(SKIP_1) | instid1(VALU_DEP_2)
	v_fma_f64 v[156:157], v[132:133], v[52:53], -v[156:157]
	v_mul_f64 v[132:133], v[132:133], v[140:141]
	v_add_f64 v[32:33], v[32:33], -v[156:157]
	s_delay_alu instid0(VALU_DEP_2) | instskip(SKIP_2) | instid1(VALU_DEP_2)
	v_fma_f64 v[158:159], v[134:135], v[52:53], v[132:133]
	s_waitcnt lgkmcnt(0)
	v_mul_f64 v[132:133], v[138:139], v[140:141]
	v_add_f64 v[34:35], v[34:35], -v[158:159]
	s_delay_alu instid0(VALU_DEP_2) | instskip(SKIP_1) | instid1(VALU_DEP_2)
	;; [unrolled: 20-line block ×5, first 2 shown]
	v_fma_f64 v[232:233], v[136:137], v[52:53], -v[132:133]
	v_mul_f64 v[132:133], v[136:137], v[140:141]
	v_add_f64 v[4:5], v[4:5], -v[232:233]
	s_delay_alu instid0(VALU_DEP_2) | instskip(SKIP_4) | instid1(VALU_DEP_2)
	v_fma_f64 v[136:137], v[138:139], v[52:53], v[132:133]
	ds_load_2addr_b64 v[132:135], v236 offset0:44 offset1:45
	s_waitcnt lgkmcnt(0)
	v_mul_f64 v[138:139], v[134:135], v[140:141]
	v_add_f64 v[6:7], v[6:7], -v[136:137]
	v_fma_f64 v[138:139], v[132:133], v[52:53], -v[138:139]
	v_mul_f64 v[132:133], v[132:133], v[140:141]
	s_delay_alu instid0(VALU_DEP_2) | instskip(NEXT) | instid1(VALU_DEP_2)
	v_add_f64 v[0:1], v[0:1], -v[138:139]
	v_fma_f64 v[132:133], v[134:135], v[52:53], v[132:133]
	s_delay_alu instid0(VALU_DEP_1)
	v_add_f64 v[2:3], v[2:3], -v[132:133]
.LBB45_91:
	s_or_b32 exec_lo, exec_lo, s3
	s_delay_alu instid0(SALU_CYCLE_1)
	s_mov_b32 s4, exec_lo
	s_waitcnt lgkmcnt(0)
	s_barrier
	buffer_gl0_inv
	v_cmpx_eq_u32_e32 10, v234
	s_cbranch_execz .LBB45_98
; %bb.92:
	ds_store_2addr_b64 v235, v[48:49], v[50:51] offset1:1
	ds_store_2addr_b64 v236, v[44:45], v[46:47] offset0:22 offset1:23
	ds_store_2addr_b64 v236, v[40:41], v[42:43] offset0:24 offset1:25
	;; [unrolled: 1-line block ×12, first 2 shown]
	ds_load_2addr_b64 v[132:135], v235 offset1:1
	s_waitcnt lgkmcnt(0)
	v_cmp_neq_f64_e32 vcc_lo, 0, v[132:133]
	v_cmp_neq_f64_e64 s3, 0, v[134:135]
	s_delay_alu instid0(VALU_DEP_1) | instskip(NEXT) | instid1(SALU_CYCLE_1)
	s_or_b32 s3, vcc_lo, s3
	s_and_b32 exec_lo, exec_lo, s3
	s_cbranch_execz .LBB45_98
; %bb.93:
	v_cmp_gt_f64_e32 vcc_lo, 0, v[132:133]
	v_cmp_gt_f64_e64 s3, 0, v[134:135]
	v_xor_b32_e32 v136, 0x80000000, v133
	v_xor_b32_e32 v138, 0x80000000, v135
                                        ; implicit-def: $vgpr140_vgpr141
	s_delay_alu instid0(VALU_DEP_2) | instskip(NEXT) | instid1(VALU_DEP_2)
	v_cndmask_b32_e32 v137, v133, v136, vcc_lo
	v_cndmask_b32_e64 v139, v135, v138, s3
	v_cndmask_b32_e32 v136, v132, v132, vcc_lo
	v_cndmask_b32_e64 v138, v134, v134, s3
	s_mov_b32 s3, exec_lo
	s_delay_alu instid0(VALU_DEP_1)
	v_cmpx_ngt_f64_e32 v[136:137], v[138:139]
	s_xor_b32 s3, exec_lo, s3
                                        ; implicit-def: $vgpr136_vgpr137_vgpr138_vgpr139
	s_cbranch_execz .LBB45_95
; %bb.94:
	v_div_scale_f64 v[136:137], null, v[134:135], v[134:135], v[132:133]
	v_div_scale_f64 v[142:143], vcc_lo, v[132:133], v[134:135], v[132:133]
	s_delay_alu instid0(VALU_DEP_2) | instskip(SKIP_2) | instid1(VALU_DEP_1)
	v_rcp_f64_e32 v[138:139], v[136:137]
	s_waitcnt_depctr 0xfff
	v_fma_f64 v[140:141], -v[136:137], v[138:139], 1.0
	v_fma_f64 v[138:139], v[138:139], v[140:141], v[138:139]
	s_delay_alu instid0(VALU_DEP_1) | instskip(NEXT) | instid1(VALU_DEP_1)
	v_fma_f64 v[140:141], -v[136:137], v[138:139], 1.0
	v_fma_f64 v[138:139], v[138:139], v[140:141], v[138:139]
	s_delay_alu instid0(VALU_DEP_1) | instskip(NEXT) | instid1(VALU_DEP_1)
	v_mul_f64 v[140:141], v[142:143], v[138:139]
	v_fma_f64 v[136:137], -v[136:137], v[140:141], v[142:143]
	s_delay_alu instid0(VALU_DEP_1) | instskip(NEXT) | instid1(VALU_DEP_1)
	v_div_fmas_f64 v[136:137], v[136:137], v[138:139], v[140:141]
	v_div_fixup_f64 v[136:137], v[136:137], v[134:135], v[132:133]
	s_delay_alu instid0(VALU_DEP_1) | instskip(NEXT) | instid1(VALU_DEP_1)
	v_fma_f64 v[132:133], v[132:133], v[136:137], v[134:135]
	v_div_scale_f64 v[134:135], null, v[132:133], v[132:133], 1.0
	s_delay_alu instid0(VALU_DEP_1) | instskip(SKIP_2) | instid1(VALU_DEP_1)
	v_rcp_f64_e32 v[138:139], v[134:135]
	s_waitcnt_depctr 0xfff
	v_fma_f64 v[140:141], -v[134:135], v[138:139], 1.0
	v_fma_f64 v[138:139], v[138:139], v[140:141], v[138:139]
	s_delay_alu instid0(VALU_DEP_1) | instskip(NEXT) | instid1(VALU_DEP_1)
	v_fma_f64 v[140:141], -v[134:135], v[138:139], 1.0
	v_fma_f64 v[138:139], v[138:139], v[140:141], v[138:139]
	v_div_scale_f64 v[140:141], vcc_lo, 1.0, v[132:133], 1.0
	s_delay_alu instid0(VALU_DEP_1) | instskip(NEXT) | instid1(VALU_DEP_1)
	v_mul_f64 v[142:143], v[140:141], v[138:139]
	v_fma_f64 v[134:135], -v[134:135], v[142:143], v[140:141]
	s_delay_alu instid0(VALU_DEP_1) | instskip(NEXT) | instid1(VALU_DEP_1)
	v_div_fmas_f64 v[134:135], v[134:135], v[138:139], v[142:143]
	v_div_fixup_f64 v[138:139], v[134:135], v[132:133], 1.0
                                        ; implicit-def: $vgpr132_vgpr133
	s_delay_alu instid0(VALU_DEP_1)
	v_mul_f64 v[140:141], v[136:137], v[138:139]
	v_xor_b32_e32 v139, 0x80000000, v139
.LBB45_95:
	s_and_not1_saveexec_b32 s3, s3
	s_cbranch_execz .LBB45_97
; %bb.96:
	v_div_scale_f64 v[136:137], null, v[132:133], v[132:133], v[134:135]
	v_div_scale_f64 v[142:143], vcc_lo, v[134:135], v[132:133], v[134:135]
	s_delay_alu instid0(VALU_DEP_2) | instskip(SKIP_2) | instid1(VALU_DEP_1)
	v_rcp_f64_e32 v[138:139], v[136:137]
	s_waitcnt_depctr 0xfff
	v_fma_f64 v[140:141], -v[136:137], v[138:139], 1.0
	v_fma_f64 v[138:139], v[138:139], v[140:141], v[138:139]
	s_delay_alu instid0(VALU_DEP_1) | instskip(NEXT) | instid1(VALU_DEP_1)
	v_fma_f64 v[140:141], -v[136:137], v[138:139], 1.0
	v_fma_f64 v[138:139], v[138:139], v[140:141], v[138:139]
	s_delay_alu instid0(VALU_DEP_1) | instskip(NEXT) | instid1(VALU_DEP_1)
	v_mul_f64 v[140:141], v[142:143], v[138:139]
	v_fma_f64 v[136:137], -v[136:137], v[140:141], v[142:143]
	s_delay_alu instid0(VALU_DEP_1) | instskip(NEXT) | instid1(VALU_DEP_1)
	v_div_fmas_f64 v[136:137], v[136:137], v[138:139], v[140:141]
	v_div_fixup_f64 v[136:137], v[136:137], v[132:133], v[134:135]
	s_delay_alu instid0(VALU_DEP_1) | instskip(NEXT) | instid1(VALU_DEP_1)
	v_fma_f64 v[132:133], v[134:135], v[136:137], v[132:133]
	v_div_scale_f64 v[134:135], null, v[132:133], v[132:133], 1.0
	s_delay_alu instid0(VALU_DEP_1) | instskip(SKIP_2) | instid1(VALU_DEP_1)
	v_rcp_f64_e32 v[138:139], v[134:135]
	s_waitcnt_depctr 0xfff
	v_fma_f64 v[140:141], -v[134:135], v[138:139], 1.0
	v_fma_f64 v[138:139], v[138:139], v[140:141], v[138:139]
	s_delay_alu instid0(VALU_DEP_1) | instskip(NEXT) | instid1(VALU_DEP_1)
	v_fma_f64 v[140:141], -v[134:135], v[138:139], 1.0
	v_fma_f64 v[138:139], v[138:139], v[140:141], v[138:139]
	v_div_scale_f64 v[140:141], vcc_lo, 1.0, v[132:133], 1.0
	s_delay_alu instid0(VALU_DEP_1) | instskip(NEXT) | instid1(VALU_DEP_1)
	v_mul_f64 v[142:143], v[140:141], v[138:139]
	v_fma_f64 v[134:135], -v[134:135], v[142:143], v[140:141]
	s_delay_alu instid0(VALU_DEP_1) | instskip(NEXT) | instid1(VALU_DEP_1)
	v_div_fmas_f64 v[134:135], v[134:135], v[138:139], v[142:143]
	v_div_fixup_f64 v[140:141], v[134:135], v[132:133], 1.0
	s_delay_alu instid0(VALU_DEP_1)
	v_mul_f64 v[138:139], v[136:137], -v[140:141]
.LBB45_97:
	s_or_b32 exec_lo, exec_lo, s3
	ds_store_2addr_b64 v235, v[140:141], v[138:139] offset1:1
.LBB45_98:
	s_or_b32 exec_lo, exec_lo, s4
	s_waitcnt lgkmcnt(0)
	s_barrier
	buffer_gl0_inv
	ds_load_2addr_b64 v[132:135], v235 offset1:1
	s_mov_b32 s3, exec_lo
	v_cmpx_lt_u32_e32 10, v234
	s_cbranch_execz .LBB45_100
; %bb.99:
	s_waitcnt lgkmcnt(0)
	v_mul_f64 v[136:137], v[132:133], v[50:51]
	v_mul_f64 v[50:51], v[134:135], v[50:51]
	s_delay_alu instid0(VALU_DEP_2)
	v_fma_f64 v[144:145], v[134:135], v[48:49], v[136:137]
	ds_load_2addr_b64 v[136:139], v236 offset0:22 offset1:23
	ds_load_2addr_b64 v[140:143], v236 offset0:24 offset1:25
	v_fma_f64 v[48:49], v[132:133], v[48:49], -v[50:51]
	s_waitcnt lgkmcnt(1)
	v_mul_f64 v[50:51], v[138:139], v[144:145]
	s_delay_alu instid0(VALU_DEP_1) | instskip(SKIP_1) | instid1(VALU_DEP_2)
	v_fma_f64 v[50:51], v[136:137], v[48:49], -v[50:51]
	v_mul_f64 v[136:137], v[136:137], v[144:145]
	v_add_f64 v[44:45], v[44:45], -v[50:51]
	s_delay_alu instid0(VALU_DEP_2) | instskip(SKIP_3) | instid1(VALU_DEP_3)
	v_fma_f64 v[146:147], v[138:139], v[48:49], v[136:137]
	s_waitcnt lgkmcnt(0)
	v_mul_f64 v[136:137], v[142:143], v[144:145]
	v_dual_mov_b32 v50, v144 :: v_dual_mov_b32 v51, v145
	v_add_f64 v[46:47], v[46:47], -v[146:147]
	s_delay_alu instid0(VALU_DEP_3) | instskip(SKIP_1) | instid1(VALU_DEP_2)
	v_fma_f64 v[148:149], v[140:141], v[48:49], -v[136:137]
	v_mul_f64 v[136:137], v[140:141], v[144:145]
	v_add_f64 v[40:41], v[40:41], -v[148:149]
	s_delay_alu instid0(VALU_DEP_2)
	v_fma_f64 v[150:151], v[142:143], v[48:49], v[136:137]
	ds_load_2addr_b64 v[136:139], v236 offset0:26 offset1:27
	ds_load_2addr_b64 v[140:143], v236 offset0:28 offset1:29
	s_waitcnt lgkmcnt(1)
	v_mul_f64 v[152:153], v[138:139], v[144:145]
	v_add_f64 v[42:43], v[42:43], -v[150:151]
	s_delay_alu instid0(VALU_DEP_2) | instskip(SKIP_1) | instid1(VALU_DEP_2)
	v_fma_f64 v[152:153], v[136:137], v[48:49], -v[152:153]
	v_mul_f64 v[136:137], v[136:137], v[144:145]
	v_add_f64 v[36:37], v[36:37], -v[152:153]
	s_delay_alu instid0(VALU_DEP_2) | instskip(SKIP_2) | instid1(VALU_DEP_2)
	v_fma_f64 v[154:155], v[138:139], v[48:49], v[136:137]
	s_waitcnt lgkmcnt(0)
	v_mul_f64 v[136:137], v[142:143], v[144:145]
	v_add_f64 v[38:39], v[38:39], -v[154:155]
	s_delay_alu instid0(VALU_DEP_2) | instskip(SKIP_1) | instid1(VALU_DEP_2)
	v_fma_f64 v[156:157], v[140:141], v[48:49], -v[136:137]
	v_mul_f64 v[136:137], v[140:141], v[144:145]
	v_add_f64 v[32:33], v[32:33], -v[156:157]
	s_delay_alu instid0(VALU_DEP_2)
	v_fma_f64 v[158:159], v[142:143], v[48:49], v[136:137]
	ds_load_2addr_b64 v[136:139], v236 offset0:30 offset1:31
	ds_load_2addr_b64 v[140:143], v236 offset0:32 offset1:33
	s_waitcnt lgkmcnt(1)
	v_mul_f64 v[160:161], v[138:139], v[144:145]
	v_add_f64 v[34:35], v[34:35], -v[158:159]
	s_delay_alu instid0(VALU_DEP_2) | instskip(SKIP_1) | instid1(VALU_DEP_2)
	v_fma_f64 v[160:161], v[136:137], v[48:49], -v[160:161]
	v_mul_f64 v[136:137], v[136:137], v[144:145]
	v_add_f64 v[28:29], v[28:29], -v[160:161]
	s_delay_alu instid0(VALU_DEP_2) | instskip(SKIP_2) | instid1(VALU_DEP_2)
	v_fma_f64 v[162:163], v[138:139], v[48:49], v[136:137]
	s_waitcnt lgkmcnt(0)
	v_mul_f64 v[136:137], v[142:143], v[144:145]
	v_add_f64 v[30:31], v[30:31], -v[162:163]
	s_delay_alu instid0(VALU_DEP_2) | instskip(SKIP_1) | instid1(VALU_DEP_2)
	;; [unrolled: 20-line block ×5, first 2 shown]
	v_fma_f64 v[138:139], v[140:141], v[48:49], -v[138:139]
	v_mul_f64 v[140:141], v[140:141], v[144:145]
	v_add_f64 v[0:1], v[0:1], -v[138:139]
	s_delay_alu instid0(VALU_DEP_2) | instskip(NEXT) | instid1(VALU_DEP_1)
	v_fma_f64 v[140:141], v[142:143], v[48:49], v[140:141]
	v_add_f64 v[2:3], v[2:3], -v[140:141]
.LBB45_100:
	s_or_b32 exec_lo, exec_lo, s3
	s_delay_alu instid0(SALU_CYCLE_1)
	s_mov_b32 s4, exec_lo
	s_waitcnt lgkmcnt(0)
	s_barrier
	buffer_gl0_inv
	v_cmpx_eq_u32_e32 11, v234
	s_cbranch_execz .LBB45_107
; %bb.101:
	ds_store_2addr_b64 v235, v[44:45], v[46:47] offset1:1
	ds_store_2addr_b64 v236, v[40:41], v[42:43] offset0:24 offset1:25
	ds_store_2addr_b64 v236, v[36:37], v[38:39] offset0:26 offset1:27
	;; [unrolled: 1-line block ×11, first 2 shown]
	ds_load_2addr_b64 v[136:139], v235 offset1:1
	s_waitcnt lgkmcnt(0)
	v_cmp_neq_f64_e32 vcc_lo, 0, v[136:137]
	v_cmp_neq_f64_e64 s3, 0, v[138:139]
	s_delay_alu instid0(VALU_DEP_1) | instskip(NEXT) | instid1(SALU_CYCLE_1)
	s_or_b32 s3, vcc_lo, s3
	s_and_b32 exec_lo, exec_lo, s3
	s_cbranch_execz .LBB45_107
; %bb.102:
	v_cmp_gt_f64_e32 vcc_lo, 0, v[136:137]
	v_cmp_gt_f64_e64 s3, 0, v[138:139]
	v_xor_b32_e32 v140, 0x80000000, v137
	v_xor_b32_e32 v142, 0x80000000, v139
                                        ; implicit-def: $vgpr144_vgpr145
	s_delay_alu instid0(VALU_DEP_2) | instskip(NEXT) | instid1(VALU_DEP_2)
	v_cndmask_b32_e32 v141, v137, v140, vcc_lo
	v_cndmask_b32_e64 v143, v139, v142, s3
	v_cndmask_b32_e32 v140, v136, v136, vcc_lo
	v_cndmask_b32_e64 v142, v138, v138, s3
	s_mov_b32 s3, exec_lo
	s_delay_alu instid0(VALU_DEP_1)
	v_cmpx_ngt_f64_e32 v[140:141], v[142:143]
	s_xor_b32 s3, exec_lo, s3
                                        ; implicit-def: $vgpr140_vgpr141_vgpr142_vgpr143
	s_cbranch_execz .LBB45_104
; %bb.103:
	v_div_scale_f64 v[140:141], null, v[138:139], v[138:139], v[136:137]
	v_div_scale_f64 v[146:147], vcc_lo, v[136:137], v[138:139], v[136:137]
	s_delay_alu instid0(VALU_DEP_2) | instskip(SKIP_2) | instid1(VALU_DEP_1)
	v_rcp_f64_e32 v[142:143], v[140:141]
	s_waitcnt_depctr 0xfff
	v_fma_f64 v[144:145], -v[140:141], v[142:143], 1.0
	v_fma_f64 v[142:143], v[142:143], v[144:145], v[142:143]
	s_delay_alu instid0(VALU_DEP_1) | instskip(NEXT) | instid1(VALU_DEP_1)
	v_fma_f64 v[144:145], -v[140:141], v[142:143], 1.0
	v_fma_f64 v[142:143], v[142:143], v[144:145], v[142:143]
	s_delay_alu instid0(VALU_DEP_1) | instskip(NEXT) | instid1(VALU_DEP_1)
	v_mul_f64 v[144:145], v[146:147], v[142:143]
	v_fma_f64 v[140:141], -v[140:141], v[144:145], v[146:147]
	s_delay_alu instid0(VALU_DEP_1) | instskip(NEXT) | instid1(VALU_DEP_1)
	v_div_fmas_f64 v[140:141], v[140:141], v[142:143], v[144:145]
	v_div_fixup_f64 v[140:141], v[140:141], v[138:139], v[136:137]
	s_delay_alu instid0(VALU_DEP_1) | instskip(NEXT) | instid1(VALU_DEP_1)
	v_fma_f64 v[136:137], v[136:137], v[140:141], v[138:139]
	v_div_scale_f64 v[138:139], null, v[136:137], v[136:137], 1.0
	s_delay_alu instid0(VALU_DEP_1) | instskip(SKIP_2) | instid1(VALU_DEP_1)
	v_rcp_f64_e32 v[142:143], v[138:139]
	s_waitcnt_depctr 0xfff
	v_fma_f64 v[144:145], -v[138:139], v[142:143], 1.0
	v_fma_f64 v[142:143], v[142:143], v[144:145], v[142:143]
	s_delay_alu instid0(VALU_DEP_1) | instskip(NEXT) | instid1(VALU_DEP_1)
	v_fma_f64 v[144:145], -v[138:139], v[142:143], 1.0
	v_fma_f64 v[142:143], v[142:143], v[144:145], v[142:143]
	v_div_scale_f64 v[144:145], vcc_lo, 1.0, v[136:137], 1.0
	s_delay_alu instid0(VALU_DEP_1) | instskip(NEXT) | instid1(VALU_DEP_1)
	v_mul_f64 v[146:147], v[144:145], v[142:143]
	v_fma_f64 v[138:139], -v[138:139], v[146:147], v[144:145]
	s_delay_alu instid0(VALU_DEP_1) | instskip(NEXT) | instid1(VALU_DEP_1)
	v_div_fmas_f64 v[138:139], v[138:139], v[142:143], v[146:147]
	v_div_fixup_f64 v[142:143], v[138:139], v[136:137], 1.0
                                        ; implicit-def: $vgpr136_vgpr137
	s_delay_alu instid0(VALU_DEP_1)
	v_mul_f64 v[144:145], v[140:141], v[142:143]
	v_xor_b32_e32 v143, 0x80000000, v143
.LBB45_104:
	s_and_not1_saveexec_b32 s3, s3
	s_cbranch_execz .LBB45_106
; %bb.105:
	v_div_scale_f64 v[140:141], null, v[136:137], v[136:137], v[138:139]
	v_div_scale_f64 v[146:147], vcc_lo, v[138:139], v[136:137], v[138:139]
	s_delay_alu instid0(VALU_DEP_2) | instskip(SKIP_2) | instid1(VALU_DEP_1)
	v_rcp_f64_e32 v[142:143], v[140:141]
	s_waitcnt_depctr 0xfff
	v_fma_f64 v[144:145], -v[140:141], v[142:143], 1.0
	v_fma_f64 v[142:143], v[142:143], v[144:145], v[142:143]
	s_delay_alu instid0(VALU_DEP_1) | instskip(NEXT) | instid1(VALU_DEP_1)
	v_fma_f64 v[144:145], -v[140:141], v[142:143], 1.0
	v_fma_f64 v[142:143], v[142:143], v[144:145], v[142:143]
	s_delay_alu instid0(VALU_DEP_1) | instskip(NEXT) | instid1(VALU_DEP_1)
	v_mul_f64 v[144:145], v[146:147], v[142:143]
	v_fma_f64 v[140:141], -v[140:141], v[144:145], v[146:147]
	s_delay_alu instid0(VALU_DEP_1) | instskip(NEXT) | instid1(VALU_DEP_1)
	v_div_fmas_f64 v[140:141], v[140:141], v[142:143], v[144:145]
	v_div_fixup_f64 v[140:141], v[140:141], v[136:137], v[138:139]
	s_delay_alu instid0(VALU_DEP_1) | instskip(NEXT) | instid1(VALU_DEP_1)
	v_fma_f64 v[136:137], v[138:139], v[140:141], v[136:137]
	v_div_scale_f64 v[138:139], null, v[136:137], v[136:137], 1.0
	s_delay_alu instid0(VALU_DEP_1) | instskip(SKIP_2) | instid1(VALU_DEP_1)
	v_rcp_f64_e32 v[142:143], v[138:139]
	s_waitcnt_depctr 0xfff
	v_fma_f64 v[144:145], -v[138:139], v[142:143], 1.0
	v_fma_f64 v[142:143], v[142:143], v[144:145], v[142:143]
	s_delay_alu instid0(VALU_DEP_1) | instskip(NEXT) | instid1(VALU_DEP_1)
	v_fma_f64 v[144:145], -v[138:139], v[142:143], 1.0
	v_fma_f64 v[142:143], v[142:143], v[144:145], v[142:143]
	v_div_scale_f64 v[144:145], vcc_lo, 1.0, v[136:137], 1.0
	s_delay_alu instid0(VALU_DEP_1) | instskip(NEXT) | instid1(VALU_DEP_1)
	v_mul_f64 v[146:147], v[144:145], v[142:143]
	v_fma_f64 v[138:139], -v[138:139], v[146:147], v[144:145]
	s_delay_alu instid0(VALU_DEP_1) | instskip(NEXT) | instid1(VALU_DEP_1)
	v_div_fmas_f64 v[138:139], v[138:139], v[142:143], v[146:147]
	v_div_fixup_f64 v[144:145], v[138:139], v[136:137], 1.0
	s_delay_alu instid0(VALU_DEP_1)
	v_mul_f64 v[142:143], v[140:141], -v[144:145]
.LBB45_106:
	s_or_b32 exec_lo, exec_lo, s3
	ds_store_2addr_b64 v235, v[144:145], v[142:143] offset1:1
.LBB45_107:
	s_or_b32 exec_lo, exec_lo, s4
	s_waitcnt lgkmcnt(0)
	s_barrier
	buffer_gl0_inv
	ds_load_2addr_b64 v[136:139], v235 offset1:1
	s_mov_b32 s3, exec_lo
	v_cmpx_lt_u32_e32 11, v234
	s_cbranch_execz .LBB45_109
; %bb.108:
	s_waitcnt lgkmcnt(0)
	v_mul_f64 v[140:141], v[136:137], v[46:47]
	v_mul_f64 v[46:47], v[138:139], v[46:47]
	s_delay_alu instid0(VALU_DEP_2)
	v_fma_f64 v[148:149], v[138:139], v[44:45], v[140:141]
	ds_load_2addr_b64 v[140:143], v236 offset0:24 offset1:25
	ds_load_2addr_b64 v[144:147], v236 offset0:26 offset1:27
	v_fma_f64 v[44:45], v[136:137], v[44:45], -v[46:47]
	s_waitcnt lgkmcnt(1)
	v_mul_f64 v[46:47], v[142:143], v[148:149]
	s_delay_alu instid0(VALU_DEP_1) | instskip(SKIP_1) | instid1(VALU_DEP_2)
	v_fma_f64 v[46:47], v[140:141], v[44:45], -v[46:47]
	v_mul_f64 v[140:141], v[140:141], v[148:149]
	v_add_f64 v[40:41], v[40:41], -v[46:47]
	s_delay_alu instid0(VALU_DEP_2) | instskip(SKIP_3) | instid1(VALU_DEP_3)
	v_fma_f64 v[150:151], v[142:143], v[44:45], v[140:141]
	s_waitcnt lgkmcnt(0)
	v_mul_f64 v[140:141], v[146:147], v[148:149]
	v_dual_mov_b32 v46, v148 :: v_dual_mov_b32 v47, v149
	v_add_f64 v[42:43], v[42:43], -v[150:151]
	s_delay_alu instid0(VALU_DEP_3) | instskip(SKIP_1) | instid1(VALU_DEP_2)
	v_fma_f64 v[152:153], v[144:145], v[44:45], -v[140:141]
	v_mul_f64 v[140:141], v[144:145], v[148:149]
	v_add_f64 v[36:37], v[36:37], -v[152:153]
	s_delay_alu instid0(VALU_DEP_2)
	v_fma_f64 v[154:155], v[146:147], v[44:45], v[140:141]
	ds_load_2addr_b64 v[140:143], v236 offset0:28 offset1:29
	ds_load_2addr_b64 v[144:147], v236 offset0:30 offset1:31
	s_waitcnt lgkmcnt(1)
	v_mul_f64 v[156:157], v[142:143], v[148:149]
	v_add_f64 v[38:39], v[38:39], -v[154:155]
	s_delay_alu instid0(VALU_DEP_2) | instskip(SKIP_1) | instid1(VALU_DEP_2)
	v_fma_f64 v[156:157], v[140:141], v[44:45], -v[156:157]
	v_mul_f64 v[140:141], v[140:141], v[148:149]
	v_add_f64 v[32:33], v[32:33], -v[156:157]
	s_delay_alu instid0(VALU_DEP_2) | instskip(SKIP_2) | instid1(VALU_DEP_2)
	v_fma_f64 v[158:159], v[142:143], v[44:45], v[140:141]
	s_waitcnt lgkmcnt(0)
	v_mul_f64 v[140:141], v[146:147], v[148:149]
	v_add_f64 v[34:35], v[34:35], -v[158:159]
	s_delay_alu instid0(VALU_DEP_2) | instskip(SKIP_1) | instid1(VALU_DEP_2)
	v_fma_f64 v[160:161], v[144:145], v[44:45], -v[140:141]
	v_mul_f64 v[140:141], v[144:145], v[148:149]
	v_add_f64 v[28:29], v[28:29], -v[160:161]
	s_delay_alu instid0(VALU_DEP_2)
	v_fma_f64 v[162:163], v[146:147], v[44:45], v[140:141]
	ds_load_2addr_b64 v[140:143], v236 offset0:32 offset1:33
	ds_load_2addr_b64 v[144:147], v236 offset0:34 offset1:35
	s_waitcnt lgkmcnt(1)
	v_mul_f64 v[164:165], v[142:143], v[148:149]
	v_add_f64 v[30:31], v[30:31], -v[162:163]
	s_delay_alu instid0(VALU_DEP_2) | instskip(SKIP_1) | instid1(VALU_DEP_2)
	v_fma_f64 v[164:165], v[140:141], v[44:45], -v[164:165]
	v_mul_f64 v[140:141], v[140:141], v[148:149]
	v_add_f64 v[24:25], v[24:25], -v[164:165]
	s_delay_alu instid0(VALU_DEP_2) | instskip(SKIP_2) | instid1(VALU_DEP_2)
	v_fma_f64 v[166:167], v[142:143], v[44:45], v[140:141]
	s_waitcnt lgkmcnt(0)
	v_mul_f64 v[140:141], v[146:147], v[148:149]
	v_add_f64 v[26:27], v[26:27], -v[166:167]
	s_delay_alu instid0(VALU_DEP_2) | instskip(SKIP_1) | instid1(VALU_DEP_2)
	;; [unrolled: 20-line block ×4, first 2 shown]
	v_fma_f64 v[232:233], v[144:145], v[44:45], -v[140:141]
	v_mul_f64 v[140:141], v[144:145], v[148:149]
	v_add_f64 v[4:5], v[4:5], -v[232:233]
	s_delay_alu instid0(VALU_DEP_2) | instskip(SKIP_4) | instid1(VALU_DEP_2)
	v_fma_f64 v[144:145], v[146:147], v[44:45], v[140:141]
	ds_load_2addr_b64 v[140:143], v236 offset0:44 offset1:45
	s_waitcnt lgkmcnt(0)
	v_mul_f64 v[146:147], v[142:143], v[148:149]
	v_add_f64 v[6:7], v[6:7], -v[144:145]
	v_fma_f64 v[146:147], v[140:141], v[44:45], -v[146:147]
	v_mul_f64 v[140:141], v[140:141], v[148:149]
	s_delay_alu instid0(VALU_DEP_2) | instskip(NEXT) | instid1(VALU_DEP_2)
	v_add_f64 v[0:1], v[0:1], -v[146:147]
	v_fma_f64 v[140:141], v[142:143], v[44:45], v[140:141]
	s_delay_alu instid0(VALU_DEP_1)
	v_add_f64 v[2:3], v[2:3], -v[140:141]
.LBB45_109:
	s_or_b32 exec_lo, exec_lo, s3
	s_delay_alu instid0(SALU_CYCLE_1)
	s_mov_b32 s4, exec_lo
	s_waitcnt lgkmcnt(0)
	s_barrier
	buffer_gl0_inv
	v_cmpx_eq_u32_e32 12, v234
	s_cbranch_execz .LBB45_116
; %bb.110:
	ds_store_2addr_b64 v235, v[40:41], v[42:43] offset1:1
	ds_store_2addr_b64 v236, v[36:37], v[38:39] offset0:26 offset1:27
	ds_store_2addr_b64 v236, v[32:33], v[34:35] offset0:28 offset1:29
	;; [unrolled: 1-line block ×10, first 2 shown]
	ds_load_2addr_b64 v[140:143], v235 offset1:1
	s_waitcnt lgkmcnt(0)
	v_cmp_neq_f64_e32 vcc_lo, 0, v[140:141]
	v_cmp_neq_f64_e64 s3, 0, v[142:143]
	s_delay_alu instid0(VALU_DEP_1) | instskip(NEXT) | instid1(SALU_CYCLE_1)
	s_or_b32 s3, vcc_lo, s3
	s_and_b32 exec_lo, exec_lo, s3
	s_cbranch_execz .LBB45_116
; %bb.111:
	v_cmp_gt_f64_e32 vcc_lo, 0, v[140:141]
	v_cmp_gt_f64_e64 s3, 0, v[142:143]
	v_xor_b32_e32 v144, 0x80000000, v141
	v_xor_b32_e32 v146, 0x80000000, v143
                                        ; implicit-def: $vgpr148_vgpr149
	s_delay_alu instid0(VALU_DEP_2) | instskip(NEXT) | instid1(VALU_DEP_2)
	v_cndmask_b32_e32 v145, v141, v144, vcc_lo
	v_cndmask_b32_e64 v147, v143, v146, s3
	v_cndmask_b32_e32 v144, v140, v140, vcc_lo
	v_cndmask_b32_e64 v146, v142, v142, s3
	s_mov_b32 s3, exec_lo
	s_delay_alu instid0(VALU_DEP_1)
	v_cmpx_ngt_f64_e32 v[144:145], v[146:147]
	s_xor_b32 s3, exec_lo, s3
                                        ; implicit-def: $vgpr144_vgpr145_vgpr146_vgpr147
	s_cbranch_execz .LBB45_113
; %bb.112:
	v_div_scale_f64 v[144:145], null, v[142:143], v[142:143], v[140:141]
	v_div_scale_f64 v[150:151], vcc_lo, v[140:141], v[142:143], v[140:141]
	s_delay_alu instid0(VALU_DEP_2) | instskip(SKIP_2) | instid1(VALU_DEP_1)
	v_rcp_f64_e32 v[146:147], v[144:145]
	s_waitcnt_depctr 0xfff
	v_fma_f64 v[148:149], -v[144:145], v[146:147], 1.0
	v_fma_f64 v[146:147], v[146:147], v[148:149], v[146:147]
	s_delay_alu instid0(VALU_DEP_1) | instskip(NEXT) | instid1(VALU_DEP_1)
	v_fma_f64 v[148:149], -v[144:145], v[146:147], 1.0
	v_fma_f64 v[146:147], v[146:147], v[148:149], v[146:147]
	s_delay_alu instid0(VALU_DEP_1) | instskip(NEXT) | instid1(VALU_DEP_1)
	v_mul_f64 v[148:149], v[150:151], v[146:147]
	v_fma_f64 v[144:145], -v[144:145], v[148:149], v[150:151]
	s_delay_alu instid0(VALU_DEP_1) | instskip(NEXT) | instid1(VALU_DEP_1)
	v_div_fmas_f64 v[144:145], v[144:145], v[146:147], v[148:149]
	v_div_fixup_f64 v[144:145], v[144:145], v[142:143], v[140:141]
	s_delay_alu instid0(VALU_DEP_1) | instskip(NEXT) | instid1(VALU_DEP_1)
	v_fma_f64 v[140:141], v[140:141], v[144:145], v[142:143]
	v_div_scale_f64 v[142:143], null, v[140:141], v[140:141], 1.0
	s_delay_alu instid0(VALU_DEP_1) | instskip(SKIP_2) | instid1(VALU_DEP_1)
	v_rcp_f64_e32 v[146:147], v[142:143]
	s_waitcnt_depctr 0xfff
	v_fma_f64 v[148:149], -v[142:143], v[146:147], 1.0
	v_fma_f64 v[146:147], v[146:147], v[148:149], v[146:147]
	s_delay_alu instid0(VALU_DEP_1) | instskip(NEXT) | instid1(VALU_DEP_1)
	v_fma_f64 v[148:149], -v[142:143], v[146:147], 1.0
	v_fma_f64 v[146:147], v[146:147], v[148:149], v[146:147]
	v_div_scale_f64 v[148:149], vcc_lo, 1.0, v[140:141], 1.0
	s_delay_alu instid0(VALU_DEP_1) | instskip(NEXT) | instid1(VALU_DEP_1)
	v_mul_f64 v[150:151], v[148:149], v[146:147]
	v_fma_f64 v[142:143], -v[142:143], v[150:151], v[148:149]
	s_delay_alu instid0(VALU_DEP_1) | instskip(NEXT) | instid1(VALU_DEP_1)
	v_div_fmas_f64 v[142:143], v[142:143], v[146:147], v[150:151]
	v_div_fixup_f64 v[146:147], v[142:143], v[140:141], 1.0
                                        ; implicit-def: $vgpr140_vgpr141
	s_delay_alu instid0(VALU_DEP_1)
	v_mul_f64 v[148:149], v[144:145], v[146:147]
	v_xor_b32_e32 v147, 0x80000000, v147
.LBB45_113:
	s_and_not1_saveexec_b32 s3, s3
	s_cbranch_execz .LBB45_115
; %bb.114:
	v_div_scale_f64 v[144:145], null, v[140:141], v[140:141], v[142:143]
	v_div_scale_f64 v[150:151], vcc_lo, v[142:143], v[140:141], v[142:143]
	s_delay_alu instid0(VALU_DEP_2) | instskip(SKIP_2) | instid1(VALU_DEP_1)
	v_rcp_f64_e32 v[146:147], v[144:145]
	s_waitcnt_depctr 0xfff
	v_fma_f64 v[148:149], -v[144:145], v[146:147], 1.0
	v_fma_f64 v[146:147], v[146:147], v[148:149], v[146:147]
	s_delay_alu instid0(VALU_DEP_1) | instskip(NEXT) | instid1(VALU_DEP_1)
	v_fma_f64 v[148:149], -v[144:145], v[146:147], 1.0
	v_fma_f64 v[146:147], v[146:147], v[148:149], v[146:147]
	s_delay_alu instid0(VALU_DEP_1) | instskip(NEXT) | instid1(VALU_DEP_1)
	v_mul_f64 v[148:149], v[150:151], v[146:147]
	v_fma_f64 v[144:145], -v[144:145], v[148:149], v[150:151]
	s_delay_alu instid0(VALU_DEP_1) | instskip(NEXT) | instid1(VALU_DEP_1)
	v_div_fmas_f64 v[144:145], v[144:145], v[146:147], v[148:149]
	v_div_fixup_f64 v[144:145], v[144:145], v[140:141], v[142:143]
	s_delay_alu instid0(VALU_DEP_1) | instskip(NEXT) | instid1(VALU_DEP_1)
	v_fma_f64 v[140:141], v[142:143], v[144:145], v[140:141]
	v_div_scale_f64 v[142:143], null, v[140:141], v[140:141], 1.0
	s_delay_alu instid0(VALU_DEP_1) | instskip(SKIP_2) | instid1(VALU_DEP_1)
	v_rcp_f64_e32 v[146:147], v[142:143]
	s_waitcnt_depctr 0xfff
	v_fma_f64 v[148:149], -v[142:143], v[146:147], 1.0
	v_fma_f64 v[146:147], v[146:147], v[148:149], v[146:147]
	s_delay_alu instid0(VALU_DEP_1) | instskip(NEXT) | instid1(VALU_DEP_1)
	v_fma_f64 v[148:149], -v[142:143], v[146:147], 1.0
	v_fma_f64 v[146:147], v[146:147], v[148:149], v[146:147]
	v_div_scale_f64 v[148:149], vcc_lo, 1.0, v[140:141], 1.0
	s_delay_alu instid0(VALU_DEP_1) | instskip(NEXT) | instid1(VALU_DEP_1)
	v_mul_f64 v[150:151], v[148:149], v[146:147]
	v_fma_f64 v[142:143], -v[142:143], v[150:151], v[148:149]
	s_delay_alu instid0(VALU_DEP_1) | instskip(NEXT) | instid1(VALU_DEP_1)
	v_div_fmas_f64 v[142:143], v[142:143], v[146:147], v[150:151]
	v_div_fixup_f64 v[148:149], v[142:143], v[140:141], 1.0
	s_delay_alu instid0(VALU_DEP_1)
	v_mul_f64 v[146:147], v[144:145], -v[148:149]
.LBB45_115:
	s_or_b32 exec_lo, exec_lo, s3
	ds_store_2addr_b64 v235, v[148:149], v[146:147] offset1:1
.LBB45_116:
	s_or_b32 exec_lo, exec_lo, s4
	s_waitcnt lgkmcnt(0)
	s_barrier
	buffer_gl0_inv
	ds_load_2addr_b64 v[140:143], v235 offset1:1
	s_mov_b32 s3, exec_lo
	v_cmpx_lt_u32_e32 12, v234
	s_cbranch_execz .LBB45_118
; %bb.117:
	s_waitcnt lgkmcnt(0)
	v_mul_f64 v[144:145], v[140:141], v[42:43]
	v_mul_f64 v[42:43], v[142:143], v[42:43]
	s_delay_alu instid0(VALU_DEP_2)
	v_fma_f64 v[152:153], v[142:143], v[40:41], v[144:145]
	ds_load_2addr_b64 v[144:147], v236 offset0:26 offset1:27
	ds_load_2addr_b64 v[148:151], v236 offset0:28 offset1:29
	v_fma_f64 v[40:41], v[140:141], v[40:41], -v[42:43]
	s_waitcnt lgkmcnt(1)
	v_mul_f64 v[42:43], v[146:147], v[152:153]
	s_delay_alu instid0(VALU_DEP_1) | instskip(SKIP_1) | instid1(VALU_DEP_2)
	v_fma_f64 v[42:43], v[144:145], v[40:41], -v[42:43]
	v_mul_f64 v[144:145], v[144:145], v[152:153]
	v_add_f64 v[36:37], v[36:37], -v[42:43]
	s_delay_alu instid0(VALU_DEP_2) | instskip(SKIP_3) | instid1(VALU_DEP_3)
	v_fma_f64 v[154:155], v[146:147], v[40:41], v[144:145]
	s_waitcnt lgkmcnt(0)
	v_mul_f64 v[144:145], v[150:151], v[152:153]
	v_dual_mov_b32 v42, v152 :: v_dual_mov_b32 v43, v153
	v_add_f64 v[38:39], v[38:39], -v[154:155]
	s_delay_alu instid0(VALU_DEP_3) | instskip(SKIP_1) | instid1(VALU_DEP_2)
	v_fma_f64 v[156:157], v[148:149], v[40:41], -v[144:145]
	v_mul_f64 v[144:145], v[148:149], v[152:153]
	v_add_f64 v[32:33], v[32:33], -v[156:157]
	s_delay_alu instid0(VALU_DEP_2)
	v_fma_f64 v[158:159], v[150:151], v[40:41], v[144:145]
	ds_load_2addr_b64 v[144:147], v236 offset0:30 offset1:31
	ds_load_2addr_b64 v[148:151], v236 offset0:32 offset1:33
	s_waitcnt lgkmcnt(1)
	v_mul_f64 v[160:161], v[146:147], v[152:153]
	v_add_f64 v[34:35], v[34:35], -v[158:159]
	s_delay_alu instid0(VALU_DEP_2) | instskip(SKIP_1) | instid1(VALU_DEP_2)
	v_fma_f64 v[160:161], v[144:145], v[40:41], -v[160:161]
	v_mul_f64 v[144:145], v[144:145], v[152:153]
	v_add_f64 v[28:29], v[28:29], -v[160:161]
	s_delay_alu instid0(VALU_DEP_2) | instskip(SKIP_2) | instid1(VALU_DEP_2)
	v_fma_f64 v[162:163], v[146:147], v[40:41], v[144:145]
	s_waitcnt lgkmcnt(0)
	v_mul_f64 v[144:145], v[150:151], v[152:153]
	v_add_f64 v[30:31], v[30:31], -v[162:163]
	s_delay_alu instid0(VALU_DEP_2) | instskip(SKIP_1) | instid1(VALU_DEP_2)
	v_fma_f64 v[164:165], v[148:149], v[40:41], -v[144:145]
	v_mul_f64 v[144:145], v[148:149], v[152:153]
	v_add_f64 v[24:25], v[24:25], -v[164:165]
	s_delay_alu instid0(VALU_DEP_2)
	v_fma_f64 v[166:167], v[150:151], v[40:41], v[144:145]
	ds_load_2addr_b64 v[144:147], v236 offset0:34 offset1:35
	ds_load_2addr_b64 v[148:151], v236 offset0:36 offset1:37
	s_waitcnt lgkmcnt(1)
	v_mul_f64 v[168:169], v[146:147], v[152:153]
	v_add_f64 v[26:27], v[26:27], -v[166:167]
	s_delay_alu instid0(VALU_DEP_2) | instskip(SKIP_1) | instid1(VALU_DEP_2)
	v_fma_f64 v[168:169], v[144:145], v[40:41], -v[168:169]
	v_mul_f64 v[144:145], v[144:145], v[152:153]
	v_add_f64 v[20:21], v[20:21], -v[168:169]
	s_delay_alu instid0(VALU_DEP_2) | instskip(SKIP_2) | instid1(VALU_DEP_2)
	v_fma_f64 v[170:171], v[146:147], v[40:41], v[144:145]
	s_waitcnt lgkmcnt(0)
	v_mul_f64 v[144:145], v[150:151], v[152:153]
	v_add_f64 v[22:23], v[22:23], -v[170:171]
	s_delay_alu instid0(VALU_DEP_2) | instskip(SKIP_1) | instid1(VALU_DEP_2)
	;; [unrolled: 20-line block ×4, first 2 shown]
	v_fma_f64 v[146:147], v[148:149], v[40:41], -v[146:147]
	v_mul_f64 v[148:149], v[148:149], v[152:153]
	v_add_f64 v[0:1], v[0:1], -v[146:147]
	s_delay_alu instid0(VALU_DEP_2) | instskip(NEXT) | instid1(VALU_DEP_1)
	v_fma_f64 v[148:149], v[150:151], v[40:41], v[148:149]
	v_add_f64 v[2:3], v[2:3], -v[148:149]
.LBB45_118:
	s_or_b32 exec_lo, exec_lo, s3
	s_delay_alu instid0(SALU_CYCLE_1)
	s_mov_b32 s4, exec_lo
	s_waitcnt lgkmcnt(0)
	s_barrier
	buffer_gl0_inv
	v_cmpx_eq_u32_e32 13, v234
	s_cbranch_execz .LBB45_125
; %bb.119:
	ds_store_2addr_b64 v235, v[36:37], v[38:39] offset1:1
	ds_store_2addr_b64 v236, v[32:33], v[34:35] offset0:28 offset1:29
	ds_store_2addr_b64 v236, v[28:29], v[30:31] offset0:30 offset1:31
	;; [unrolled: 1-line block ×9, first 2 shown]
	ds_load_2addr_b64 v[144:147], v235 offset1:1
	s_waitcnt lgkmcnt(0)
	v_cmp_neq_f64_e32 vcc_lo, 0, v[144:145]
	v_cmp_neq_f64_e64 s3, 0, v[146:147]
	s_delay_alu instid0(VALU_DEP_1) | instskip(NEXT) | instid1(SALU_CYCLE_1)
	s_or_b32 s3, vcc_lo, s3
	s_and_b32 exec_lo, exec_lo, s3
	s_cbranch_execz .LBB45_125
; %bb.120:
	v_cmp_gt_f64_e32 vcc_lo, 0, v[144:145]
	v_cmp_gt_f64_e64 s3, 0, v[146:147]
	v_xor_b32_e32 v148, 0x80000000, v145
	v_xor_b32_e32 v150, 0x80000000, v147
                                        ; implicit-def: $vgpr152_vgpr153
	s_delay_alu instid0(VALU_DEP_2) | instskip(NEXT) | instid1(VALU_DEP_2)
	v_cndmask_b32_e32 v149, v145, v148, vcc_lo
	v_cndmask_b32_e64 v151, v147, v150, s3
	v_cndmask_b32_e32 v148, v144, v144, vcc_lo
	v_cndmask_b32_e64 v150, v146, v146, s3
	s_mov_b32 s3, exec_lo
	s_delay_alu instid0(VALU_DEP_1)
	v_cmpx_ngt_f64_e32 v[148:149], v[150:151]
	s_xor_b32 s3, exec_lo, s3
                                        ; implicit-def: $vgpr148_vgpr149_vgpr150_vgpr151
	s_cbranch_execz .LBB45_122
; %bb.121:
	v_div_scale_f64 v[148:149], null, v[146:147], v[146:147], v[144:145]
	v_div_scale_f64 v[154:155], vcc_lo, v[144:145], v[146:147], v[144:145]
	s_delay_alu instid0(VALU_DEP_2) | instskip(SKIP_2) | instid1(VALU_DEP_1)
	v_rcp_f64_e32 v[150:151], v[148:149]
	s_waitcnt_depctr 0xfff
	v_fma_f64 v[152:153], -v[148:149], v[150:151], 1.0
	v_fma_f64 v[150:151], v[150:151], v[152:153], v[150:151]
	s_delay_alu instid0(VALU_DEP_1) | instskip(NEXT) | instid1(VALU_DEP_1)
	v_fma_f64 v[152:153], -v[148:149], v[150:151], 1.0
	v_fma_f64 v[150:151], v[150:151], v[152:153], v[150:151]
	s_delay_alu instid0(VALU_DEP_1) | instskip(NEXT) | instid1(VALU_DEP_1)
	v_mul_f64 v[152:153], v[154:155], v[150:151]
	v_fma_f64 v[148:149], -v[148:149], v[152:153], v[154:155]
	s_delay_alu instid0(VALU_DEP_1) | instskip(NEXT) | instid1(VALU_DEP_1)
	v_div_fmas_f64 v[148:149], v[148:149], v[150:151], v[152:153]
	v_div_fixup_f64 v[148:149], v[148:149], v[146:147], v[144:145]
	s_delay_alu instid0(VALU_DEP_1) | instskip(NEXT) | instid1(VALU_DEP_1)
	v_fma_f64 v[144:145], v[144:145], v[148:149], v[146:147]
	v_div_scale_f64 v[146:147], null, v[144:145], v[144:145], 1.0
	s_delay_alu instid0(VALU_DEP_1) | instskip(SKIP_2) | instid1(VALU_DEP_1)
	v_rcp_f64_e32 v[150:151], v[146:147]
	s_waitcnt_depctr 0xfff
	v_fma_f64 v[152:153], -v[146:147], v[150:151], 1.0
	v_fma_f64 v[150:151], v[150:151], v[152:153], v[150:151]
	s_delay_alu instid0(VALU_DEP_1) | instskip(NEXT) | instid1(VALU_DEP_1)
	v_fma_f64 v[152:153], -v[146:147], v[150:151], 1.0
	v_fma_f64 v[150:151], v[150:151], v[152:153], v[150:151]
	v_div_scale_f64 v[152:153], vcc_lo, 1.0, v[144:145], 1.0
	s_delay_alu instid0(VALU_DEP_1) | instskip(NEXT) | instid1(VALU_DEP_1)
	v_mul_f64 v[154:155], v[152:153], v[150:151]
	v_fma_f64 v[146:147], -v[146:147], v[154:155], v[152:153]
	s_delay_alu instid0(VALU_DEP_1) | instskip(NEXT) | instid1(VALU_DEP_1)
	v_div_fmas_f64 v[146:147], v[146:147], v[150:151], v[154:155]
	v_div_fixup_f64 v[150:151], v[146:147], v[144:145], 1.0
                                        ; implicit-def: $vgpr144_vgpr145
	s_delay_alu instid0(VALU_DEP_1)
	v_mul_f64 v[152:153], v[148:149], v[150:151]
	v_xor_b32_e32 v151, 0x80000000, v151
.LBB45_122:
	s_and_not1_saveexec_b32 s3, s3
	s_cbranch_execz .LBB45_124
; %bb.123:
	v_div_scale_f64 v[148:149], null, v[144:145], v[144:145], v[146:147]
	v_div_scale_f64 v[154:155], vcc_lo, v[146:147], v[144:145], v[146:147]
	s_delay_alu instid0(VALU_DEP_2) | instskip(SKIP_2) | instid1(VALU_DEP_1)
	v_rcp_f64_e32 v[150:151], v[148:149]
	s_waitcnt_depctr 0xfff
	v_fma_f64 v[152:153], -v[148:149], v[150:151], 1.0
	v_fma_f64 v[150:151], v[150:151], v[152:153], v[150:151]
	s_delay_alu instid0(VALU_DEP_1) | instskip(NEXT) | instid1(VALU_DEP_1)
	v_fma_f64 v[152:153], -v[148:149], v[150:151], 1.0
	v_fma_f64 v[150:151], v[150:151], v[152:153], v[150:151]
	s_delay_alu instid0(VALU_DEP_1) | instskip(NEXT) | instid1(VALU_DEP_1)
	v_mul_f64 v[152:153], v[154:155], v[150:151]
	v_fma_f64 v[148:149], -v[148:149], v[152:153], v[154:155]
	s_delay_alu instid0(VALU_DEP_1) | instskip(NEXT) | instid1(VALU_DEP_1)
	v_div_fmas_f64 v[148:149], v[148:149], v[150:151], v[152:153]
	v_div_fixup_f64 v[148:149], v[148:149], v[144:145], v[146:147]
	s_delay_alu instid0(VALU_DEP_1) | instskip(NEXT) | instid1(VALU_DEP_1)
	v_fma_f64 v[144:145], v[146:147], v[148:149], v[144:145]
	v_div_scale_f64 v[146:147], null, v[144:145], v[144:145], 1.0
	s_delay_alu instid0(VALU_DEP_1) | instskip(SKIP_2) | instid1(VALU_DEP_1)
	v_rcp_f64_e32 v[150:151], v[146:147]
	s_waitcnt_depctr 0xfff
	v_fma_f64 v[152:153], -v[146:147], v[150:151], 1.0
	v_fma_f64 v[150:151], v[150:151], v[152:153], v[150:151]
	s_delay_alu instid0(VALU_DEP_1) | instskip(NEXT) | instid1(VALU_DEP_1)
	v_fma_f64 v[152:153], -v[146:147], v[150:151], 1.0
	v_fma_f64 v[150:151], v[150:151], v[152:153], v[150:151]
	v_div_scale_f64 v[152:153], vcc_lo, 1.0, v[144:145], 1.0
	s_delay_alu instid0(VALU_DEP_1) | instskip(NEXT) | instid1(VALU_DEP_1)
	v_mul_f64 v[154:155], v[152:153], v[150:151]
	v_fma_f64 v[146:147], -v[146:147], v[154:155], v[152:153]
	s_delay_alu instid0(VALU_DEP_1) | instskip(NEXT) | instid1(VALU_DEP_1)
	v_div_fmas_f64 v[146:147], v[146:147], v[150:151], v[154:155]
	v_div_fixup_f64 v[152:153], v[146:147], v[144:145], 1.0
	s_delay_alu instid0(VALU_DEP_1)
	v_mul_f64 v[150:151], v[148:149], -v[152:153]
.LBB45_124:
	s_or_b32 exec_lo, exec_lo, s3
	ds_store_2addr_b64 v235, v[152:153], v[150:151] offset1:1
.LBB45_125:
	s_or_b32 exec_lo, exec_lo, s4
	s_waitcnt lgkmcnt(0)
	s_barrier
	buffer_gl0_inv
	ds_load_2addr_b64 v[144:147], v235 offset1:1
	s_mov_b32 s3, exec_lo
	v_cmpx_lt_u32_e32 13, v234
	s_cbranch_execz .LBB45_127
; %bb.126:
	s_waitcnt lgkmcnt(0)
	v_mul_f64 v[148:149], v[144:145], v[38:39]
	v_mul_f64 v[38:39], v[146:147], v[38:39]
	s_delay_alu instid0(VALU_DEP_2)
	v_fma_f64 v[156:157], v[146:147], v[36:37], v[148:149]
	ds_load_2addr_b64 v[148:151], v236 offset0:28 offset1:29
	ds_load_2addr_b64 v[152:155], v236 offset0:30 offset1:31
	v_fma_f64 v[36:37], v[144:145], v[36:37], -v[38:39]
	s_waitcnt lgkmcnt(1)
	v_mul_f64 v[38:39], v[150:151], v[156:157]
	s_delay_alu instid0(VALU_DEP_1) | instskip(SKIP_1) | instid1(VALU_DEP_2)
	v_fma_f64 v[38:39], v[148:149], v[36:37], -v[38:39]
	v_mul_f64 v[148:149], v[148:149], v[156:157]
	v_add_f64 v[32:33], v[32:33], -v[38:39]
	s_delay_alu instid0(VALU_DEP_2) | instskip(SKIP_3) | instid1(VALU_DEP_3)
	v_fma_f64 v[158:159], v[150:151], v[36:37], v[148:149]
	s_waitcnt lgkmcnt(0)
	v_mul_f64 v[148:149], v[154:155], v[156:157]
	v_dual_mov_b32 v38, v156 :: v_dual_mov_b32 v39, v157
	v_add_f64 v[34:35], v[34:35], -v[158:159]
	s_delay_alu instid0(VALU_DEP_3) | instskip(SKIP_1) | instid1(VALU_DEP_2)
	v_fma_f64 v[160:161], v[152:153], v[36:37], -v[148:149]
	v_mul_f64 v[148:149], v[152:153], v[156:157]
	v_add_f64 v[28:29], v[28:29], -v[160:161]
	s_delay_alu instid0(VALU_DEP_2)
	v_fma_f64 v[162:163], v[154:155], v[36:37], v[148:149]
	ds_load_2addr_b64 v[148:151], v236 offset0:32 offset1:33
	ds_load_2addr_b64 v[152:155], v236 offset0:34 offset1:35
	s_waitcnt lgkmcnt(1)
	v_mul_f64 v[164:165], v[150:151], v[156:157]
	v_add_f64 v[30:31], v[30:31], -v[162:163]
	s_delay_alu instid0(VALU_DEP_2) | instskip(SKIP_1) | instid1(VALU_DEP_2)
	v_fma_f64 v[164:165], v[148:149], v[36:37], -v[164:165]
	v_mul_f64 v[148:149], v[148:149], v[156:157]
	v_add_f64 v[24:25], v[24:25], -v[164:165]
	s_delay_alu instid0(VALU_DEP_2) | instskip(SKIP_2) | instid1(VALU_DEP_2)
	v_fma_f64 v[166:167], v[150:151], v[36:37], v[148:149]
	s_waitcnt lgkmcnt(0)
	v_mul_f64 v[148:149], v[154:155], v[156:157]
	v_add_f64 v[26:27], v[26:27], -v[166:167]
	s_delay_alu instid0(VALU_DEP_2) | instskip(SKIP_1) | instid1(VALU_DEP_2)
	v_fma_f64 v[168:169], v[152:153], v[36:37], -v[148:149]
	v_mul_f64 v[148:149], v[152:153], v[156:157]
	v_add_f64 v[20:21], v[20:21], -v[168:169]
	s_delay_alu instid0(VALU_DEP_2)
	v_fma_f64 v[170:171], v[154:155], v[36:37], v[148:149]
	ds_load_2addr_b64 v[148:151], v236 offset0:36 offset1:37
	ds_load_2addr_b64 v[152:155], v236 offset0:38 offset1:39
	s_waitcnt lgkmcnt(1)
	v_mul_f64 v[172:173], v[150:151], v[156:157]
	v_add_f64 v[22:23], v[22:23], -v[170:171]
	s_delay_alu instid0(VALU_DEP_2) | instskip(SKIP_1) | instid1(VALU_DEP_2)
	v_fma_f64 v[172:173], v[148:149], v[36:37], -v[172:173]
	v_mul_f64 v[148:149], v[148:149], v[156:157]
	v_add_f64 v[16:17], v[16:17], -v[172:173]
	s_delay_alu instid0(VALU_DEP_2) | instskip(SKIP_2) | instid1(VALU_DEP_2)
	v_fma_f64 v[174:175], v[150:151], v[36:37], v[148:149]
	s_waitcnt lgkmcnt(0)
	v_mul_f64 v[148:149], v[154:155], v[156:157]
	v_add_f64 v[18:19], v[18:19], -v[174:175]
	s_delay_alu instid0(VALU_DEP_2) | instskip(SKIP_1) | instid1(VALU_DEP_2)
	;; [unrolled: 20-line block ×3, first 2 shown]
	v_fma_f64 v[232:233], v[152:153], v[36:37], -v[148:149]
	v_mul_f64 v[148:149], v[152:153], v[156:157]
	v_add_f64 v[4:5], v[4:5], -v[232:233]
	s_delay_alu instid0(VALU_DEP_2) | instskip(SKIP_4) | instid1(VALU_DEP_2)
	v_fma_f64 v[152:153], v[154:155], v[36:37], v[148:149]
	ds_load_2addr_b64 v[148:151], v236 offset0:44 offset1:45
	s_waitcnt lgkmcnt(0)
	v_mul_f64 v[154:155], v[150:151], v[156:157]
	v_add_f64 v[6:7], v[6:7], -v[152:153]
	v_fma_f64 v[154:155], v[148:149], v[36:37], -v[154:155]
	v_mul_f64 v[148:149], v[148:149], v[156:157]
	s_delay_alu instid0(VALU_DEP_2) | instskip(NEXT) | instid1(VALU_DEP_2)
	v_add_f64 v[0:1], v[0:1], -v[154:155]
	v_fma_f64 v[148:149], v[150:151], v[36:37], v[148:149]
	s_delay_alu instid0(VALU_DEP_1)
	v_add_f64 v[2:3], v[2:3], -v[148:149]
.LBB45_127:
	s_or_b32 exec_lo, exec_lo, s3
	s_delay_alu instid0(SALU_CYCLE_1)
	s_mov_b32 s4, exec_lo
	s_waitcnt lgkmcnt(0)
	s_barrier
	buffer_gl0_inv
	v_cmpx_eq_u32_e32 14, v234
	s_cbranch_execz .LBB45_134
; %bb.128:
	ds_store_2addr_b64 v235, v[32:33], v[34:35] offset1:1
	ds_store_2addr_b64 v236, v[28:29], v[30:31] offset0:30 offset1:31
	ds_store_2addr_b64 v236, v[24:25], v[26:27] offset0:32 offset1:33
	;; [unrolled: 1-line block ×8, first 2 shown]
	ds_load_2addr_b64 v[148:151], v235 offset1:1
	s_waitcnt lgkmcnt(0)
	v_cmp_neq_f64_e32 vcc_lo, 0, v[148:149]
	v_cmp_neq_f64_e64 s3, 0, v[150:151]
	s_delay_alu instid0(VALU_DEP_1) | instskip(NEXT) | instid1(SALU_CYCLE_1)
	s_or_b32 s3, vcc_lo, s3
	s_and_b32 exec_lo, exec_lo, s3
	s_cbranch_execz .LBB45_134
; %bb.129:
	v_cmp_gt_f64_e32 vcc_lo, 0, v[148:149]
	v_cmp_gt_f64_e64 s3, 0, v[150:151]
	v_xor_b32_e32 v152, 0x80000000, v149
	v_xor_b32_e32 v154, 0x80000000, v151
                                        ; implicit-def: $vgpr156_vgpr157
	s_delay_alu instid0(VALU_DEP_2) | instskip(NEXT) | instid1(VALU_DEP_2)
	v_cndmask_b32_e32 v153, v149, v152, vcc_lo
	v_cndmask_b32_e64 v155, v151, v154, s3
	v_cndmask_b32_e32 v152, v148, v148, vcc_lo
	v_cndmask_b32_e64 v154, v150, v150, s3
	s_mov_b32 s3, exec_lo
	s_delay_alu instid0(VALU_DEP_1)
	v_cmpx_ngt_f64_e32 v[152:153], v[154:155]
	s_xor_b32 s3, exec_lo, s3
                                        ; implicit-def: $vgpr152_vgpr153_vgpr154_vgpr155
	s_cbranch_execz .LBB45_131
; %bb.130:
	v_div_scale_f64 v[152:153], null, v[150:151], v[150:151], v[148:149]
	v_div_scale_f64 v[158:159], vcc_lo, v[148:149], v[150:151], v[148:149]
	s_delay_alu instid0(VALU_DEP_2) | instskip(SKIP_2) | instid1(VALU_DEP_1)
	v_rcp_f64_e32 v[154:155], v[152:153]
	s_waitcnt_depctr 0xfff
	v_fma_f64 v[156:157], -v[152:153], v[154:155], 1.0
	v_fma_f64 v[154:155], v[154:155], v[156:157], v[154:155]
	s_delay_alu instid0(VALU_DEP_1) | instskip(NEXT) | instid1(VALU_DEP_1)
	v_fma_f64 v[156:157], -v[152:153], v[154:155], 1.0
	v_fma_f64 v[154:155], v[154:155], v[156:157], v[154:155]
	s_delay_alu instid0(VALU_DEP_1) | instskip(NEXT) | instid1(VALU_DEP_1)
	v_mul_f64 v[156:157], v[158:159], v[154:155]
	v_fma_f64 v[152:153], -v[152:153], v[156:157], v[158:159]
	s_delay_alu instid0(VALU_DEP_1) | instskip(NEXT) | instid1(VALU_DEP_1)
	v_div_fmas_f64 v[152:153], v[152:153], v[154:155], v[156:157]
	v_div_fixup_f64 v[152:153], v[152:153], v[150:151], v[148:149]
	s_delay_alu instid0(VALU_DEP_1) | instskip(NEXT) | instid1(VALU_DEP_1)
	v_fma_f64 v[148:149], v[148:149], v[152:153], v[150:151]
	v_div_scale_f64 v[150:151], null, v[148:149], v[148:149], 1.0
	s_delay_alu instid0(VALU_DEP_1) | instskip(SKIP_2) | instid1(VALU_DEP_1)
	v_rcp_f64_e32 v[154:155], v[150:151]
	s_waitcnt_depctr 0xfff
	v_fma_f64 v[156:157], -v[150:151], v[154:155], 1.0
	v_fma_f64 v[154:155], v[154:155], v[156:157], v[154:155]
	s_delay_alu instid0(VALU_DEP_1) | instskip(NEXT) | instid1(VALU_DEP_1)
	v_fma_f64 v[156:157], -v[150:151], v[154:155], 1.0
	v_fma_f64 v[154:155], v[154:155], v[156:157], v[154:155]
	v_div_scale_f64 v[156:157], vcc_lo, 1.0, v[148:149], 1.0
	s_delay_alu instid0(VALU_DEP_1) | instskip(NEXT) | instid1(VALU_DEP_1)
	v_mul_f64 v[158:159], v[156:157], v[154:155]
	v_fma_f64 v[150:151], -v[150:151], v[158:159], v[156:157]
	s_delay_alu instid0(VALU_DEP_1) | instskip(NEXT) | instid1(VALU_DEP_1)
	v_div_fmas_f64 v[150:151], v[150:151], v[154:155], v[158:159]
	v_div_fixup_f64 v[154:155], v[150:151], v[148:149], 1.0
                                        ; implicit-def: $vgpr148_vgpr149
	s_delay_alu instid0(VALU_DEP_1)
	v_mul_f64 v[156:157], v[152:153], v[154:155]
	v_xor_b32_e32 v155, 0x80000000, v155
.LBB45_131:
	s_and_not1_saveexec_b32 s3, s3
	s_cbranch_execz .LBB45_133
; %bb.132:
	v_div_scale_f64 v[152:153], null, v[148:149], v[148:149], v[150:151]
	v_div_scale_f64 v[158:159], vcc_lo, v[150:151], v[148:149], v[150:151]
	s_delay_alu instid0(VALU_DEP_2) | instskip(SKIP_2) | instid1(VALU_DEP_1)
	v_rcp_f64_e32 v[154:155], v[152:153]
	s_waitcnt_depctr 0xfff
	v_fma_f64 v[156:157], -v[152:153], v[154:155], 1.0
	v_fma_f64 v[154:155], v[154:155], v[156:157], v[154:155]
	s_delay_alu instid0(VALU_DEP_1) | instskip(NEXT) | instid1(VALU_DEP_1)
	v_fma_f64 v[156:157], -v[152:153], v[154:155], 1.0
	v_fma_f64 v[154:155], v[154:155], v[156:157], v[154:155]
	s_delay_alu instid0(VALU_DEP_1) | instskip(NEXT) | instid1(VALU_DEP_1)
	v_mul_f64 v[156:157], v[158:159], v[154:155]
	v_fma_f64 v[152:153], -v[152:153], v[156:157], v[158:159]
	s_delay_alu instid0(VALU_DEP_1) | instskip(NEXT) | instid1(VALU_DEP_1)
	v_div_fmas_f64 v[152:153], v[152:153], v[154:155], v[156:157]
	v_div_fixup_f64 v[152:153], v[152:153], v[148:149], v[150:151]
	s_delay_alu instid0(VALU_DEP_1) | instskip(NEXT) | instid1(VALU_DEP_1)
	v_fma_f64 v[148:149], v[150:151], v[152:153], v[148:149]
	v_div_scale_f64 v[150:151], null, v[148:149], v[148:149], 1.0
	s_delay_alu instid0(VALU_DEP_1) | instskip(SKIP_2) | instid1(VALU_DEP_1)
	v_rcp_f64_e32 v[154:155], v[150:151]
	s_waitcnt_depctr 0xfff
	v_fma_f64 v[156:157], -v[150:151], v[154:155], 1.0
	v_fma_f64 v[154:155], v[154:155], v[156:157], v[154:155]
	s_delay_alu instid0(VALU_DEP_1) | instskip(NEXT) | instid1(VALU_DEP_1)
	v_fma_f64 v[156:157], -v[150:151], v[154:155], 1.0
	v_fma_f64 v[154:155], v[154:155], v[156:157], v[154:155]
	v_div_scale_f64 v[156:157], vcc_lo, 1.0, v[148:149], 1.0
	s_delay_alu instid0(VALU_DEP_1) | instskip(NEXT) | instid1(VALU_DEP_1)
	v_mul_f64 v[158:159], v[156:157], v[154:155]
	v_fma_f64 v[150:151], -v[150:151], v[158:159], v[156:157]
	s_delay_alu instid0(VALU_DEP_1) | instskip(NEXT) | instid1(VALU_DEP_1)
	v_div_fmas_f64 v[150:151], v[150:151], v[154:155], v[158:159]
	v_div_fixup_f64 v[156:157], v[150:151], v[148:149], 1.0
	s_delay_alu instid0(VALU_DEP_1)
	v_mul_f64 v[154:155], v[152:153], -v[156:157]
.LBB45_133:
	s_or_b32 exec_lo, exec_lo, s3
	ds_store_2addr_b64 v235, v[156:157], v[154:155] offset1:1
.LBB45_134:
	s_or_b32 exec_lo, exec_lo, s4
	s_waitcnt lgkmcnt(0)
	s_barrier
	buffer_gl0_inv
	ds_load_2addr_b64 v[148:151], v235 offset1:1
	s_mov_b32 s3, exec_lo
	v_cmpx_lt_u32_e32 14, v234
	s_cbranch_execz .LBB45_136
; %bb.135:
	s_waitcnt lgkmcnt(0)
	v_mul_f64 v[152:153], v[148:149], v[34:35]
	v_mul_f64 v[34:35], v[150:151], v[34:35]
	s_delay_alu instid0(VALU_DEP_2)
	v_fma_f64 v[160:161], v[150:151], v[32:33], v[152:153]
	ds_load_2addr_b64 v[152:155], v236 offset0:30 offset1:31
	ds_load_2addr_b64 v[156:159], v236 offset0:32 offset1:33
	v_fma_f64 v[32:33], v[148:149], v[32:33], -v[34:35]
	s_waitcnt lgkmcnt(1)
	v_mul_f64 v[34:35], v[154:155], v[160:161]
	s_delay_alu instid0(VALU_DEP_1) | instskip(SKIP_1) | instid1(VALU_DEP_2)
	v_fma_f64 v[34:35], v[152:153], v[32:33], -v[34:35]
	v_mul_f64 v[152:153], v[152:153], v[160:161]
	v_add_f64 v[28:29], v[28:29], -v[34:35]
	s_delay_alu instid0(VALU_DEP_2) | instskip(SKIP_3) | instid1(VALU_DEP_3)
	v_fma_f64 v[162:163], v[154:155], v[32:33], v[152:153]
	s_waitcnt lgkmcnt(0)
	v_mul_f64 v[152:153], v[158:159], v[160:161]
	v_dual_mov_b32 v34, v160 :: v_dual_mov_b32 v35, v161
	v_add_f64 v[30:31], v[30:31], -v[162:163]
	s_delay_alu instid0(VALU_DEP_3) | instskip(SKIP_1) | instid1(VALU_DEP_2)
	v_fma_f64 v[164:165], v[156:157], v[32:33], -v[152:153]
	v_mul_f64 v[152:153], v[156:157], v[160:161]
	v_add_f64 v[24:25], v[24:25], -v[164:165]
	s_delay_alu instid0(VALU_DEP_2)
	v_fma_f64 v[166:167], v[158:159], v[32:33], v[152:153]
	ds_load_2addr_b64 v[152:155], v236 offset0:34 offset1:35
	ds_load_2addr_b64 v[156:159], v236 offset0:36 offset1:37
	s_waitcnt lgkmcnt(1)
	v_mul_f64 v[168:169], v[154:155], v[160:161]
	v_add_f64 v[26:27], v[26:27], -v[166:167]
	s_delay_alu instid0(VALU_DEP_2) | instskip(SKIP_1) | instid1(VALU_DEP_2)
	v_fma_f64 v[168:169], v[152:153], v[32:33], -v[168:169]
	v_mul_f64 v[152:153], v[152:153], v[160:161]
	v_add_f64 v[20:21], v[20:21], -v[168:169]
	s_delay_alu instid0(VALU_DEP_2) | instskip(SKIP_2) | instid1(VALU_DEP_2)
	v_fma_f64 v[170:171], v[154:155], v[32:33], v[152:153]
	s_waitcnt lgkmcnt(0)
	v_mul_f64 v[152:153], v[158:159], v[160:161]
	v_add_f64 v[22:23], v[22:23], -v[170:171]
	s_delay_alu instid0(VALU_DEP_2) | instskip(SKIP_1) | instid1(VALU_DEP_2)
	v_fma_f64 v[172:173], v[156:157], v[32:33], -v[152:153]
	v_mul_f64 v[152:153], v[156:157], v[160:161]
	v_add_f64 v[16:17], v[16:17], -v[172:173]
	s_delay_alu instid0(VALU_DEP_2)
	v_fma_f64 v[174:175], v[158:159], v[32:33], v[152:153]
	ds_load_2addr_b64 v[152:155], v236 offset0:38 offset1:39
	ds_load_2addr_b64 v[156:159], v236 offset0:40 offset1:41
	s_waitcnt lgkmcnt(1)
	v_mul_f64 v[176:177], v[154:155], v[160:161]
	v_add_f64 v[18:19], v[18:19], -v[174:175]
	s_delay_alu instid0(VALU_DEP_2) | instskip(SKIP_1) | instid1(VALU_DEP_2)
	v_fma_f64 v[176:177], v[152:153], v[32:33], -v[176:177]
	v_mul_f64 v[152:153], v[152:153], v[160:161]
	v_add_f64 v[12:13], v[12:13], -v[176:177]
	s_delay_alu instid0(VALU_DEP_2) | instskip(SKIP_2) | instid1(VALU_DEP_2)
	v_fma_f64 v[178:179], v[154:155], v[32:33], v[152:153]
	s_waitcnt lgkmcnt(0)
	v_mul_f64 v[152:153], v[158:159], v[160:161]
	v_add_f64 v[14:15], v[14:15], -v[178:179]
	s_delay_alu instid0(VALU_DEP_2) | instskip(SKIP_1) | instid1(VALU_DEP_2)
	;; [unrolled: 20-line block ×3, first 2 shown]
	v_fma_f64 v[154:155], v[156:157], v[32:33], -v[154:155]
	v_mul_f64 v[156:157], v[156:157], v[160:161]
	v_add_f64 v[0:1], v[0:1], -v[154:155]
	s_delay_alu instid0(VALU_DEP_2) | instskip(NEXT) | instid1(VALU_DEP_1)
	v_fma_f64 v[156:157], v[158:159], v[32:33], v[156:157]
	v_add_f64 v[2:3], v[2:3], -v[156:157]
.LBB45_136:
	s_or_b32 exec_lo, exec_lo, s3
	s_delay_alu instid0(SALU_CYCLE_1)
	s_mov_b32 s4, exec_lo
	s_waitcnt lgkmcnt(0)
	s_barrier
	buffer_gl0_inv
	v_cmpx_eq_u32_e32 15, v234
	s_cbranch_execz .LBB45_143
; %bb.137:
	ds_store_2addr_b64 v235, v[28:29], v[30:31] offset1:1
	ds_store_2addr_b64 v236, v[24:25], v[26:27] offset0:32 offset1:33
	ds_store_2addr_b64 v236, v[20:21], v[22:23] offset0:34 offset1:35
	;; [unrolled: 1-line block ×7, first 2 shown]
	ds_load_2addr_b64 v[152:155], v235 offset1:1
	s_waitcnt lgkmcnt(0)
	v_cmp_neq_f64_e32 vcc_lo, 0, v[152:153]
	v_cmp_neq_f64_e64 s3, 0, v[154:155]
	s_delay_alu instid0(VALU_DEP_1) | instskip(NEXT) | instid1(SALU_CYCLE_1)
	s_or_b32 s3, vcc_lo, s3
	s_and_b32 exec_lo, exec_lo, s3
	s_cbranch_execz .LBB45_143
; %bb.138:
	v_cmp_gt_f64_e32 vcc_lo, 0, v[152:153]
	v_cmp_gt_f64_e64 s3, 0, v[154:155]
	v_xor_b32_e32 v156, 0x80000000, v153
	v_xor_b32_e32 v158, 0x80000000, v155
                                        ; implicit-def: $vgpr160_vgpr161
	s_delay_alu instid0(VALU_DEP_2) | instskip(NEXT) | instid1(VALU_DEP_2)
	v_cndmask_b32_e32 v157, v153, v156, vcc_lo
	v_cndmask_b32_e64 v159, v155, v158, s3
	v_cndmask_b32_e32 v156, v152, v152, vcc_lo
	v_cndmask_b32_e64 v158, v154, v154, s3
	s_mov_b32 s3, exec_lo
	s_delay_alu instid0(VALU_DEP_1)
	v_cmpx_ngt_f64_e32 v[156:157], v[158:159]
	s_xor_b32 s3, exec_lo, s3
                                        ; implicit-def: $vgpr156_vgpr157_vgpr158_vgpr159
	s_cbranch_execz .LBB45_140
; %bb.139:
	v_div_scale_f64 v[156:157], null, v[154:155], v[154:155], v[152:153]
	v_div_scale_f64 v[162:163], vcc_lo, v[152:153], v[154:155], v[152:153]
	s_delay_alu instid0(VALU_DEP_2) | instskip(SKIP_2) | instid1(VALU_DEP_1)
	v_rcp_f64_e32 v[158:159], v[156:157]
	s_waitcnt_depctr 0xfff
	v_fma_f64 v[160:161], -v[156:157], v[158:159], 1.0
	v_fma_f64 v[158:159], v[158:159], v[160:161], v[158:159]
	s_delay_alu instid0(VALU_DEP_1) | instskip(NEXT) | instid1(VALU_DEP_1)
	v_fma_f64 v[160:161], -v[156:157], v[158:159], 1.0
	v_fma_f64 v[158:159], v[158:159], v[160:161], v[158:159]
	s_delay_alu instid0(VALU_DEP_1) | instskip(NEXT) | instid1(VALU_DEP_1)
	v_mul_f64 v[160:161], v[162:163], v[158:159]
	v_fma_f64 v[156:157], -v[156:157], v[160:161], v[162:163]
	s_delay_alu instid0(VALU_DEP_1) | instskip(NEXT) | instid1(VALU_DEP_1)
	v_div_fmas_f64 v[156:157], v[156:157], v[158:159], v[160:161]
	v_div_fixup_f64 v[156:157], v[156:157], v[154:155], v[152:153]
	s_delay_alu instid0(VALU_DEP_1) | instskip(NEXT) | instid1(VALU_DEP_1)
	v_fma_f64 v[152:153], v[152:153], v[156:157], v[154:155]
	v_div_scale_f64 v[154:155], null, v[152:153], v[152:153], 1.0
	s_delay_alu instid0(VALU_DEP_1) | instskip(SKIP_2) | instid1(VALU_DEP_1)
	v_rcp_f64_e32 v[158:159], v[154:155]
	s_waitcnt_depctr 0xfff
	v_fma_f64 v[160:161], -v[154:155], v[158:159], 1.0
	v_fma_f64 v[158:159], v[158:159], v[160:161], v[158:159]
	s_delay_alu instid0(VALU_DEP_1) | instskip(NEXT) | instid1(VALU_DEP_1)
	v_fma_f64 v[160:161], -v[154:155], v[158:159], 1.0
	v_fma_f64 v[158:159], v[158:159], v[160:161], v[158:159]
	v_div_scale_f64 v[160:161], vcc_lo, 1.0, v[152:153], 1.0
	s_delay_alu instid0(VALU_DEP_1) | instskip(NEXT) | instid1(VALU_DEP_1)
	v_mul_f64 v[162:163], v[160:161], v[158:159]
	v_fma_f64 v[154:155], -v[154:155], v[162:163], v[160:161]
	s_delay_alu instid0(VALU_DEP_1) | instskip(NEXT) | instid1(VALU_DEP_1)
	v_div_fmas_f64 v[154:155], v[154:155], v[158:159], v[162:163]
	v_div_fixup_f64 v[158:159], v[154:155], v[152:153], 1.0
                                        ; implicit-def: $vgpr152_vgpr153
	s_delay_alu instid0(VALU_DEP_1)
	v_mul_f64 v[160:161], v[156:157], v[158:159]
	v_xor_b32_e32 v159, 0x80000000, v159
.LBB45_140:
	s_and_not1_saveexec_b32 s3, s3
	s_cbranch_execz .LBB45_142
; %bb.141:
	v_div_scale_f64 v[156:157], null, v[152:153], v[152:153], v[154:155]
	v_div_scale_f64 v[162:163], vcc_lo, v[154:155], v[152:153], v[154:155]
	s_delay_alu instid0(VALU_DEP_2) | instskip(SKIP_2) | instid1(VALU_DEP_1)
	v_rcp_f64_e32 v[158:159], v[156:157]
	s_waitcnt_depctr 0xfff
	v_fma_f64 v[160:161], -v[156:157], v[158:159], 1.0
	v_fma_f64 v[158:159], v[158:159], v[160:161], v[158:159]
	s_delay_alu instid0(VALU_DEP_1) | instskip(NEXT) | instid1(VALU_DEP_1)
	v_fma_f64 v[160:161], -v[156:157], v[158:159], 1.0
	v_fma_f64 v[158:159], v[158:159], v[160:161], v[158:159]
	s_delay_alu instid0(VALU_DEP_1) | instskip(NEXT) | instid1(VALU_DEP_1)
	v_mul_f64 v[160:161], v[162:163], v[158:159]
	v_fma_f64 v[156:157], -v[156:157], v[160:161], v[162:163]
	s_delay_alu instid0(VALU_DEP_1) | instskip(NEXT) | instid1(VALU_DEP_1)
	v_div_fmas_f64 v[156:157], v[156:157], v[158:159], v[160:161]
	v_div_fixup_f64 v[156:157], v[156:157], v[152:153], v[154:155]
	s_delay_alu instid0(VALU_DEP_1) | instskip(NEXT) | instid1(VALU_DEP_1)
	v_fma_f64 v[152:153], v[154:155], v[156:157], v[152:153]
	v_div_scale_f64 v[154:155], null, v[152:153], v[152:153], 1.0
	s_delay_alu instid0(VALU_DEP_1) | instskip(SKIP_2) | instid1(VALU_DEP_1)
	v_rcp_f64_e32 v[158:159], v[154:155]
	s_waitcnt_depctr 0xfff
	v_fma_f64 v[160:161], -v[154:155], v[158:159], 1.0
	v_fma_f64 v[158:159], v[158:159], v[160:161], v[158:159]
	s_delay_alu instid0(VALU_DEP_1) | instskip(NEXT) | instid1(VALU_DEP_1)
	v_fma_f64 v[160:161], -v[154:155], v[158:159], 1.0
	v_fma_f64 v[158:159], v[158:159], v[160:161], v[158:159]
	v_div_scale_f64 v[160:161], vcc_lo, 1.0, v[152:153], 1.0
	s_delay_alu instid0(VALU_DEP_1) | instskip(NEXT) | instid1(VALU_DEP_1)
	v_mul_f64 v[162:163], v[160:161], v[158:159]
	v_fma_f64 v[154:155], -v[154:155], v[162:163], v[160:161]
	s_delay_alu instid0(VALU_DEP_1) | instskip(NEXT) | instid1(VALU_DEP_1)
	v_div_fmas_f64 v[154:155], v[154:155], v[158:159], v[162:163]
	v_div_fixup_f64 v[160:161], v[154:155], v[152:153], 1.0
	s_delay_alu instid0(VALU_DEP_1)
	v_mul_f64 v[158:159], v[156:157], -v[160:161]
.LBB45_142:
	s_or_b32 exec_lo, exec_lo, s3
	ds_store_2addr_b64 v235, v[160:161], v[158:159] offset1:1
.LBB45_143:
	s_or_b32 exec_lo, exec_lo, s4
	s_waitcnt lgkmcnt(0)
	s_barrier
	buffer_gl0_inv
	ds_load_2addr_b64 v[152:155], v235 offset1:1
	s_mov_b32 s3, exec_lo
	v_cmpx_lt_u32_e32 15, v234
	s_cbranch_execz .LBB45_145
; %bb.144:
	s_waitcnt lgkmcnt(0)
	v_mul_f64 v[156:157], v[152:153], v[30:31]
	v_mul_f64 v[30:31], v[154:155], v[30:31]
	s_delay_alu instid0(VALU_DEP_2)
	v_fma_f64 v[164:165], v[154:155], v[28:29], v[156:157]
	ds_load_2addr_b64 v[156:159], v236 offset0:32 offset1:33
	ds_load_2addr_b64 v[160:163], v236 offset0:34 offset1:35
	v_fma_f64 v[28:29], v[152:153], v[28:29], -v[30:31]
	s_waitcnt lgkmcnt(1)
	v_mul_f64 v[30:31], v[158:159], v[164:165]
	s_delay_alu instid0(VALU_DEP_1) | instskip(SKIP_1) | instid1(VALU_DEP_2)
	v_fma_f64 v[30:31], v[156:157], v[28:29], -v[30:31]
	v_mul_f64 v[156:157], v[156:157], v[164:165]
	v_add_f64 v[24:25], v[24:25], -v[30:31]
	s_delay_alu instid0(VALU_DEP_2) | instskip(SKIP_3) | instid1(VALU_DEP_3)
	v_fma_f64 v[166:167], v[158:159], v[28:29], v[156:157]
	s_waitcnt lgkmcnt(0)
	v_mul_f64 v[156:157], v[162:163], v[164:165]
	v_dual_mov_b32 v30, v164 :: v_dual_mov_b32 v31, v165
	v_add_f64 v[26:27], v[26:27], -v[166:167]
	s_delay_alu instid0(VALU_DEP_3) | instskip(SKIP_1) | instid1(VALU_DEP_2)
	v_fma_f64 v[168:169], v[160:161], v[28:29], -v[156:157]
	v_mul_f64 v[156:157], v[160:161], v[164:165]
	v_add_f64 v[20:21], v[20:21], -v[168:169]
	s_delay_alu instid0(VALU_DEP_2)
	v_fma_f64 v[170:171], v[162:163], v[28:29], v[156:157]
	ds_load_2addr_b64 v[156:159], v236 offset0:36 offset1:37
	ds_load_2addr_b64 v[160:163], v236 offset0:38 offset1:39
	s_waitcnt lgkmcnt(1)
	v_mul_f64 v[172:173], v[158:159], v[164:165]
	v_add_f64 v[22:23], v[22:23], -v[170:171]
	s_delay_alu instid0(VALU_DEP_2) | instskip(SKIP_1) | instid1(VALU_DEP_2)
	v_fma_f64 v[172:173], v[156:157], v[28:29], -v[172:173]
	v_mul_f64 v[156:157], v[156:157], v[164:165]
	v_add_f64 v[16:17], v[16:17], -v[172:173]
	s_delay_alu instid0(VALU_DEP_2) | instskip(SKIP_2) | instid1(VALU_DEP_2)
	v_fma_f64 v[174:175], v[158:159], v[28:29], v[156:157]
	s_waitcnt lgkmcnt(0)
	v_mul_f64 v[156:157], v[162:163], v[164:165]
	v_add_f64 v[18:19], v[18:19], -v[174:175]
	s_delay_alu instid0(VALU_DEP_2) | instskip(SKIP_1) | instid1(VALU_DEP_2)
	v_fma_f64 v[176:177], v[160:161], v[28:29], -v[156:157]
	v_mul_f64 v[156:157], v[160:161], v[164:165]
	v_add_f64 v[12:13], v[12:13], -v[176:177]
	s_delay_alu instid0(VALU_DEP_2)
	v_fma_f64 v[178:179], v[162:163], v[28:29], v[156:157]
	ds_load_2addr_b64 v[156:159], v236 offset0:40 offset1:41
	ds_load_2addr_b64 v[160:163], v236 offset0:42 offset1:43
	s_waitcnt lgkmcnt(1)
	v_mul_f64 v[180:181], v[158:159], v[164:165]
	v_add_f64 v[14:15], v[14:15], -v[178:179]
	s_delay_alu instid0(VALU_DEP_2) | instskip(SKIP_1) | instid1(VALU_DEP_2)
	v_fma_f64 v[180:181], v[156:157], v[28:29], -v[180:181]
	v_mul_f64 v[156:157], v[156:157], v[164:165]
	v_add_f64 v[8:9], v[8:9], -v[180:181]
	s_delay_alu instid0(VALU_DEP_2) | instskip(SKIP_2) | instid1(VALU_DEP_2)
	v_fma_f64 v[182:183], v[158:159], v[28:29], v[156:157]
	s_waitcnt lgkmcnt(0)
	v_mul_f64 v[156:157], v[162:163], v[164:165]
	v_add_f64 v[10:11], v[10:11], -v[182:183]
	s_delay_alu instid0(VALU_DEP_2) | instskip(SKIP_1) | instid1(VALU_DEP_2)
	v_fma_f64 v[232:233], v[160:161], v[28:29], -v[156:157]
	v_mul_f64 v[156:157], v[160:161], v[164:165]
	v_add_f64 v[4:5], v[4:5], -v[232:233]
	s_delay_alu instid0(VALU_DEP_2) | instskip(SKIP_4) | instid1(VALU_DEP_2)
	v_fma_f64 v[160:161], v[162:163], v[28:29], v[156:157]
	ds_load_2addr_b64 v[156:159], v236 offset0:44 offset1:45
	s_waitcnt lgkmcnt(0)
	v_mul_f64 v[162:163], v[158:159], v[164:165]
	v_add_f64 v[6:7], v[6:7], -v[160:161]
	v_fma_f64 v[162:163], v[156:157], v[28:29], -v[162:163]
	v_mul_f64 v[156:157], v[156:157], v[164:165]
	s_delay_alu instid0(VALU_DEP_2) | instskip(NEXT) | instid1(VALU_DEP_2)
	v_add_f64 v[0:1], v[0:1], -v[162:163]
	v_fma_f64 v[156:157], v[158:159], v[28:29], v[156:157]
	s_delay_alu instid0(VALU_DEP_1)
	v_add_f64 v[2:3], v[2:3], -v[156:157]
.LBB45_145:
	s_or_b32 exec_lo, exec_lo, s3
	s_delay_alu instid0(SALU_CYCLE_1)
	s_mov_b32 s4, exec_lo
	s_waitcnt lgkmcnt(0)
	s_barrier
	buffer_gl0_inv
	v_cmpx_eq_u32_e32 16, v234
	s_cbranch_execz .LBB45_152
; %bb.146:
	ds_store_2addr_b64 v235, v[24:25], v[26:27] offset1:1
	ds_store_2addr_b64 v236, v[20:21], v[22:23] offset0:34 offset1:35
	ds_store_2addr_b64 v236, v[16:17], v[18:19] offset0:36 offset1:37
	;; [unrolled: 1-line block ×6, first 2 shown]
	ds_load_2addr_b64 v[156:159], v235 offset1:1
	s_waitcnt lgkmcnt(0)
	v_cmp_neq_f64_e32 vcc_lo, 0, v[156:157]
	v_cmp_neq_f64_e64 s3, 0, v[158:159]
	s_delay_alu instid0(VALU_DEP_1) | instskip(NEXT) | instid1(SALU_CYCLE_1)
	s_or_b32 s3, vcc_lo, s3
	s_and_b32 exec_lo, exec_lo, s3
	s_cbranch_execz .LBB45_152
; %bb.147:
	v_cmp_gt_f64_e32 vcc_lo, 0, v[156:157]
	v_cmp_gt_f64_e64 s3, 0, v[158:159]
	v_xor_b32_e32 v160, 0x80000000, v157
	v_xor_b32_e32 v162, 0x80000000, v159
                                        ; implicit-def: $vgpr164_vgpr165
	s_delay_alu instid0(VALU_DEP_2) | instskip(NEXT) | instid1(VALU_DEP_2)
	v_cndmask_b32_e32 v161, v157, v160, vcc_lo
	v_cndmask_b32_e64 v163, v159, v162, s3
	v_cndmask_b32_e32 v160, v156, v156, vcc_lo
	v_cndmask_b32_e64 v162, v158, v158, s3
	s_mov_b32 s3, exec_lo
	s_delay_alu instid0(VALU_DEP_1)
	v_cmpx_ngt_f64_e32 v[160:161], v[162:163]
	s_xor_b32 s3, exec_lo, s3
                                        ; implicit-def: $vgpr160_vgpr161_vgpr162_vgpr163
	s_cbranch_execz .LBB45_149
; %bb.148:
	v_div_scale_f64 v[160:161], null, v[158:159], v[158:159], v[156:157]
	v_div_scale_f64 v[166:167], vcc_lo, v[156:157], v[158:159], v[156:157]
	s_delay_alu instid0(VALU_DEP_2) | instskip(SKIP_2) | instid1(VALU_DEP_1)
	v_rcp_f64_e32 v[162:163], v[160:161]
	s_waitcnt_depctr 0xfff
	v_fma_f64 v[164:165], -v[160:161], v[162:163], 1.0
	v_fma_f64 v[162:163], v[162:163], v[164:165], v[162:163]
	s_delay_alu instid0(VALU_DEP_1) | instskip(NEXT) | instid1(VALU_DEP_1)
	v_fma_f64 v[164:165], -v[160:161], v[162:163], 1.0
	v_fma_f64 v[162:163], v[162:163], v[164:165], v[162:163]
	s_delay_alu instid0(VALU_DEP_1) | instskip(NEXT) | instid1(VALU_DEP_1)
	v_mul_f64 v[164:165], v[166:167], v[162:163]
	v_fma_f64 v[160:161], -v[160:161], v[164:165], v[166:167]
	s_delay_alu instid0(VALU_DEP_1) | instskip(NEXT) | instid1(VALU_DEP_1)
	v_div_fmas_f64 v[160:161], v[160:161], v[162:163], v[164:165]
	v_div_fixup_f64 v[160:161], v[160:161], v[158:159], v[156:157]
	s_delay_alu instid0(VALU_DEP_1) | instskip(NEXT) | instid1(VALU_DEP_1)
	v_fma_f64 v[156:157], v[156:157], v[160:161], v[158:159]
	v_div_scale_f64 v[158:159], null, v[156:157], v[156:157], 1.0
	s_delay_alu instid0(VALU_DEP_1) | instskip(SKIP_2) | instid1(VALU_DEP_1)
	v_rcp_f64_e32 v[162:163], v[158:159]
	s_waitcnt_depctr 0xfff
	v_fma_f64 v[164:165], -v[158:159], v[162:163], 1.0
	v_fma_f64 v[162:163], v[162:163], v[164:165], v[162:163]
	s_delay_alu instid0(VALU_DEP_1) | instskip(NEXT) | instid1(VALU_DEP_1)
	v_fma_f64 v[164:165], -v[158:159], v[162:163], 1.0
	v_fma_f64 v[162:163], v[162:163], v[164:165], v[162:163]
	v_div_scale_f64 v[164:165], vcc_lo, 1.0, v[156:157], 1.0
	s_delay_alu instid0(VALU_DEP_1) | instskip(NEXT) | instid1(VALU_DEP_1)
	v_mul_f64 v[166:167], v[164:165], v[162:163]
	v_fma_f64 v[158:159], -v[158:159], v[166:167], v[164:165]
	s_delay_alu instid0(VALU_DEP_1) | instskip(NEXT) | instid1(VALU_DEP_1)
	v_div_fmas_f64 v[158:159], v[158:159], v[162:163], v[166:167]
	v_div_fixup_f64 v[162:163], v[158:159], v[156:157], 1.0
                                        ; implicit-def: $vgpr156_vgpr157
	s_delay_alu instid0(VALU_DEP_1)
	v_mul_f64 v[164:165], v[160:161], v[162:163]
	v_xor_b32_e32 v163, 0x80000000, v163
.LBB45_149:
	s_and_not1_saveexec_b32 s3, s3
	s_cbranch_execz .LBB45_151
; %bb.150:
	v_div_scale_f64 v[160:161], null, v[156:157], v[156:157], v[158:159]
	v_div_scale_f64 v[166:167], vcc_lo, v[158:159], v[156:157], v[158:159]
	s_delay_alu instid0(VALU_DEP_2) | instskip(SKIP_2) | instid1(VALU_DEP_1)
	v_rcp_f64_e32 v[162:163], v[160:161]
	s_waitcnt_depctr 0xfff
	v_fma_f64 v[164:165], -v[160:161], v[162:163], 1.0
	v_fma_f64 v[162:163], v[162:163], v[164:165], v[162:163]
	s_delay_alu instid0(VALU_DEP_1) | instskip(NEXT) | instid1(VALU_DEP_1)
	v_fma_f64 v[164:165], -v[160:161], v[162:163], 1.0
	v_fma_f64 v[162:163], v[162:163], v[164:165], v[162:163]
	s_delay_alu instid0(VALU_DEP_1) | instskip(NEXT) | instid1(VALU_DEP_1)
	v_mul_f64 v[164:165], v[166:167], v[162:163]
	v_fma_f64 v[160:161], -v[160:161], v[164:165], v[166:167]
	s_delay_alu instid0(VALU_DEP_1) | instskip(NEXT) | instid1(VALU_DEP_1)
	v_div_fmas_f64 v[160:161], v[160:161], v[162:163], v[164:165]
	v_div_fixup_f64 v[160:161], v[160:161], v[156:157], v[158:159]
	s_delay_alu instid0(VALU_DEP_1) | instskip(NEXT) | instid1(VALU_DEP_1)
	v_fma_f64 v[156:157], v[158:159], v[160:161], v[156:157]
	v_div_scale_f64 v[158:159], null, v[156:157], v[156:157], 1.0
	s_delay_alu instid0(VALU_DEP_1) | instskip(SKIP_2) | instid1(VALU_DEP_1)
	v_rcp_f64_e32 v[162:163], v[158:159]
	s_waitcnt_depctr 0xfff
	v_fma_f64 v[164:165], -v[158:159], v[162:163], 1.0
	v_fma_f64 v[162:163], v[162:163], v[164:165], v[162:163]
	s_delay_alu instid0(VALU_DEP_1) | instskip(NEXT) | instid1(VALU_DEP_1)
	v_fma_f64 v[164:165], -v[158:159], v[162:163], 1.0
	v_fma_f64 v[162:163], v[162:163], v[164:165], v[162:163]
	v_div_scale_f64 v[164:165], vcc_lo, 1.0, v[156:157], 1.0
	s_delay_alu instid0(VALU_DEP_1) | instskip(NEXT) | instid1(VALU_DEP_1)
	v_mul_f64 v[166:167], v[164:165], v[162:163]
	v_fma_f64 v[158:159], -v[158:159], v[166:167], v[164:165]
	s_delay_alu instid0(VALU_DEP_1) | instskip(NEXT) | instid1(VALU_DEP_1)
	v_div_fmas_f64 v[158:159], v[158:159], v[162:163], v[166:167]
	v_div_fixup_f64 v[164:165], v[158:159], v[156:157], 1.0
	s_delay_alu instid0(VALU_DEP_1)
	v_mul_f64 v[162:163], v[160:161], -v[164:165]
.LBB45_151:
	s_or_b32 exec_lo, exec_lo, s3
	ds_store_2addr_b64 v235, v[164:165], v[162:163] offset1:1
.LBB45_152:
	s_or_b32 exec_lo, exec_lo, s4
	s_waitcnt lgkmcnt(0)
	s_barrier
	buffer_gl0_inv
	ds_load_2addr_b64 v[156:159], v235 offset1:1
	s_mov_b32 s3, exec_lo
	v_cmpx_lt_u32_e32 16, v234
	s_cbranch_execz .LBB45_154
; %bb.153:
	s_waitcnt lgkmcnt(0)
	v_mul_f64 v[160:161], v[156:157], v[26:27]
	v_mul_f64 v[26:27], v[158:159], v[26:27]
	ds_load_2addr_b64 v[164:167], v236 offset0:36 offset1:37
	v_fma_f64 v[168:169], v[158:159], v[24:25], v[160:161]
	ds_load_2addr_b64 v[160:163], v236 offset0:34 offset1:35
	v_fma_f64 v[24:25], v[156:157], v[24:25], -v[26:27]
	s_waitcnt lgkmcnt(0)
	v_mul_f64 v[26:27], v[162:163], v[168:169]
	s_delay_alu instid0(VALU_DEP_1) | instskip(SKIP_1) | instid1(VALU_DEP_2)
	v_fma_f64 v[26:27], v[160:161], v[24:25], -v[26:27]
	v_mul_f64 v[160:161], v[160:161], v[168:169]
	v_add_f64 v[20:21], v[20:21], -v[26:27]
	s_delay_alu instid0(VALU_DEP_2) | instskip(SKIP_2) | instid1(VALU_DEP_3)
	v_fma_f64 v[170:171], v[162:163], v[24:25], v[160:161]
	v_mul_f64 v[160:161], v[166:167], v[168:169]
	v_dual_mov_b32 v26, v168 :: v_dual_mov_b32 v27, v169
	v_add_f64 v[22:23], v[22:23], -v[170:171]
	s_delay_alu instid0(VALU_DEP_3) | instskip(SKIP_1) | instid1(VALU_DEP_2)
	v_fma_f64 v[172:173], v[164:165], v[24:25], -v[160:161]
	v_mul_f64 v[160:161], v[164:165], v[168:169]
	v_add_f64 v[16:17], v[16:17], -v[172:173]
	s_delay_alu instid0(VALU_DEP_2)
	v_fma_f64 v[174:175], v[166:167], v[24:25], v[160:161]
	ds_load_2addr_b64 v[160:163], v236 offset0:38 offset1:39
	ds_load_2addr_b64 v[164:167], v236 offset0:40 offset1:41
	s_waitcnt lgkmcnt(1)
	v_mul_f64 v[176:177], v[162:163], v[168:169]
	v_add_f64 v[18:19], v[18:19], -v[174:175]
	s_delay_alu instid0(VALU_DEP_2) | instskip(SKIP_1) | instid1(VALU_DEP_2)
	v_fma_f64 v[176:177], v[160:161], v[24:25], -v[176:177]
	v_mul_f64 v[160:161], v[160:161], v[168:169]
	v_add_f64 v[12:13], v[12:13], -v[176:177]
	s_delay_alu instid0(VALU_DEP_2) | instskip(SKIP_2) | instid1(VALU_DEP_2)
	v_fma_f64 v[178:179], v[162:163], v[24:25], v[160:161]
	s_waitcnt lgkmcnt(0)
	v_mul_f64 v[160:161], v[166:167], v[168:169]
	v_add_f64 v[14:15], v[14:15], -v[178:179]
	s_delay_alu instid0(VALU_DEP_2) | instskip(SKIP_1) | instid1(VALU_DEP_2)
	v_fma_f64 v[180:181], v[164:165], v[24:25], -v[160:161]
	v_mul_f64 v[160:161], v[164:165], v[168:169]
	v_add_f64 v[8:9], v[8:9], -v[180:181]
	s_delay_alu instid0(VALU_DEP_2)
	v_fma_f64 v[182:183], v[166:167], v[24:25], v[160:161]
	ds_load_2addr_b64 v[160:163], v236 offset0:42 offset1:43
	ds_load_2addr_b64 v[164:167], v236 offset0:44 offset1:45
	s_waitcnt lgkmcnt(1)
	v_mul_f64 v[232:233], v[162:163], v[168:169]
	v_add_f64 v[10:11], v[10:11], -v[182:183]
	s_delay_alu instid0(VALU_DEP_2) | instskip(SKIP_1) | instid1(VALU_DEP_2)
	v_fma_f64 v[232:233], v[160:161], v[24:25], -v[232:233]
	v_mul_f64 v[160:161], v[160:161], v[168:169]
	v_add_f64 v[4:5], v[4:5], -v[232:233]
	s_delay_alu instid0(VALU_DEP_2) | instskip(SKIP_2) | instid1(VALU_DEP_2)
	v_fma_f64 v[160:161], v[162:163], v[24:25], v[160:161]
	s_waitcnt lgkmcnt(0)
	v_mul_f64 v[162:163], v[166:167], v[168:169]
	v_add_f64 v[6:7], v[6:7], -v[160:161]
	s_delay_alu instid0(VALU_DEP_2) | instskip(SKIP_1) | instid1(VALU_DEP_2)
	v_fma_f64 v[162:163], v[164:165], v[24:25], -v[162:163]
	v_mul_f64 v[164:165], v[164:165], v[168:169]
	v_add_f64 v[0:1], v[0:1], -v[162:163]
	s_delay_alu instid0(VALU_DEP_2) | instskip(NEXT) | instid1(VALU_DEP_1)
	v_fma_f64 v[164:165], v[166:167], v[24:25], v[164:165]
	v_add_f64 v[2:3], v[2:3], -v[164:165]
.LBB45_154:
	s_or_b32 exec_lo, exec_lo, s3
	s_delay_alu instid0(SALU_CYCLE_1)
	s_mov_b32 s4, exec_lo
	s_waitcnt lgkmcnt(0)
	s_barrier
	buffer_gl0_inv
	v_cmpx_eq_u32_e32 17, v234
	s_cbranch_execz .LBB45_161
; %bb.155:
	ds_store_2addr_b64 v235, v[20:21], v[22:23] offset1:1
	ds_store_2addr_b64 v236, v[16:17], v[18:19] offset0:36 offset1:37
	ds_store_2addr_b64 v236, v[12:13], v[14:15] offset0:38 offset1:39
	;; [unrolled: 1-line block ×5, first 2 shown]
	ds_load_2addr_b64 v[160:163], v235 offset1:1
	s_waitcnt lgkmcnt(0)
	v_cmp_neq_f64_e32 vcc_lo, 0, v[160:161]
	v_cmp_neq_f64_e64 s3, 0, v[162:163]
	s_delay_alu instid0(VALU_DEP_1) | instskip(NEXT) | instid1(SALU_CYCLE_1)
	s_or_b32 s3, vcc_lo, s3
	s_and_b32 exec_lo, exec_lo, s3
	s_cbranch_execz .LBB45_161
; %bb.156:
	v_cmp_gt_f64_e32 vcc_lo, 0, v[160:161]
	v_cmp_gt_f64_e64 s3, 0, v[162:163]
	v_xor_b32_e32 v164, 0x80000000, v161
	v_xor_b32_e32 v166, 0x80000000, v163
                                        ; implicit-def: $vgpr168_vgpr169
	s_delay_alu instid0(VALU_DEP_2) | instskip(NEXT) | instid1(VALU_DEP_2)
	v_cndmask_b32_e32 v165, v161, v164, vcc_lo
	v_cndmask_b32_e64 v167, v163, v166, s3
	v_cndmask_b32_e32 v164, v160, v160, vcc_lo
	v_cndmask_b32_e64 v166, v162, v162, s3
	s_mov_b32 s3, exec_lo
	s_delay_alu instid0(VALU_DEP_1)
	v_cmpx_ngt_f64_e32 v[164:165], v[166:167]
	s_xor_b32 s3, exec_lo, s3
                                        ; implicit-def: $vgpr164_vgpr165_vgpr166_vgpr167
	s_cbranch_execz .LBB45_158
; %bb.157:
	v_div_scale_f64 v[164:165], null, v[162:163], v[162:163], v[160:161]
	v_div_scale_f64 v[170:171], vcc_lo, v[160:161], v[162:163], v[160:161]
	s_delay_alu instid0(VALU_DEP_2) | instskip(SKIP_2) | instid1(VALU_DEP_1)
	v_rcp_f64_e32 v[166:167], v[164:165]
	s_waitcnt_depctr 0xfff
	v_fma_f64 v[168:169], -v[164:165], v[166:167], 1.0
	v_fma_f64 v[166:167], v[166:167], v[168:169], v[166:167]
	s_delay_alu instid0(VALU_DEP_1) | instskip(NEXT) | instid1(VALU_DEP_1)
	v_fma_f64 v[168:169], -v[164:165], v[166:167], 1.0
	v_fma_f64 v[166:167], v[166:167], v[168:169], v[166:167]
	s_delay_alu instid0(VALU_DEP_1) | instskip(NEXT) | instid1(VALU_DEP_1)
	v_mul_f64 v[168:169], v[170:171], v[166:167]
	v_fma_f64 v[164:165], -v[164:165], v[168:169], v[170:171]
	s_delay_alu instid0(VALU_DEP_1) | instskip(NEXT) | instid1(VALU_DEP_1)
	v_div_fmas_f64 v[164:165], v[164:165], v[166:167], v[168:169]
	v_div_fixup_f64 v[164:165], v[164:165], v[162:163], v[160:161]
	s_delay_alu instid0(VALU_DEP_1) | instskip(NEXT) | instid1(VALU_DEP_1)
	v_fma_f64 v[160:161], v[160:161], v[164:165], v[162:163]
	v_div_scale_f64 v[162:163], null, v[160:161], v[160:161], 1.0
	s_delay_alu instid0(VALU_DEP_1) | instskip(SKIP_2) | instid1(VALU_DEP_1)
	v_rcp_f64_e32 v[166:167], v[162:163]
	s_waitcnt_depctr 0xfff
	v_fma_f64 v[168:169], -v[162:163], v[166:167], 1.0
	v_fma_f64 v[166:167], v[166:167], v[168:169], v[166:167]
	s_delay_alu instid0(VALU_DEP_1) | instskip(NEXT) | instid1(VALU_DEP_1)
	v_fma_f64 v[168:169], -v[162:163], v[166:167], 1.0
	v_fma_f64 v[166:167], v[166:167], v[168:169], v[166:167]
	v_div_scale_f64 v[168:169], vcc_lo, 1.0, v[160:161], 1.0
	s_delay_alu instid0(VALU_DEP_1) | instskip(NEXT) | instid1(VALU_DEP_1)
	v_mul_f64 v[170:171], v[168:169], v[166:167]
	v_fma_f64 v[162:163], -v[162:163], v[170:171], v[168:169]
	s_delay_alu instid0(VALU_DEP_1) | instskip(NEXT) | instid1(VALU_DEP_1)
	v_div_fmas_f64 v[162:163], v[162:163], v[166:167], v[170:171]
	v_div_fixup_f64 v[166:167], v[162:163], v[160:161], 1.0
                                        ; implicit-def: $vgpr160_vgpr161
	s_delay_alu instid0(VALU_DEP_1)
	v_mul_f64 v[168:169], v[164:165], v[166:167]
	v_xor_b32_e32 v167, 0x80000000, v167
.LBB45_158:
	s_and_not1_saveexec_b32 s3, s3
	s_cbranch_execz .LBB45_160
; %bb.159:
	v_div_scale_f64 v[164:165], null, v[160:161], v[160:161], v[162:163]
	v_div_scale_f64 v[170:171], vcc_lo, v[162:163], v[160:161], v[162:163]
	s_delay_alu instid0(VALU_DEP_2) | instskip(SKIP_2) | instid1(VALU_DEP_1)
	v_rcp_f64_e32 v[166:167], v[164:165]
	s_waitcnt_depctr 0xfff
	v_fma_f64 v[168:169], -v[164:165], v[166:167], 1.0
	v_fma_f64 v[166:167], v[166:167], v[168:169], v[166:167]
	s_delay_alu instid0(VALU_DEP_1) | instskip(NEXT) | instid1(VALU_DEP_1)
	v_fma_f64 v[168:169], -v[164:165], v[166:167], 1.0
	v_fma_f64 v[166:167], v[166:167], v[168:169], v[166:167]
	s_delay_alu instid0(VALU_DEP_1) | instskip(NEXT) | instid1(VALU_DEP_1)
	v_mul_f64 v[168:169], v[170:171], v[166:167]
	v_fma_f64 v[164:165], -v[164:165], v[168:169], v[170:171]
	s_delay_alu instid0(VALU_DEP_1) | instskip(NEXT) | instid1(VALU_DEP_1)
	v_div_fmas_f64 v[164:165], v[164:165], v[166:167], v[168:169]
	v_div_fixup_f64 v[164:165], v[164:165], v[160:161], v[162:163]
	s_delay_alu instid0(VALU_DEP_1) | instskip(NEXT) | instid1(VALU_DEP_1)
	v_fma_f64 v[160:161], v[162:163], v[164:165], v[160:161]
	v_div_scale_f64 v[162:163], null, v[160:161], v[160:161], 1.0
	s_delay_alu instid0(VALU_DEP_1) | instskip(SKIP_2) | instid1(VALU_DEP_1)
	v_rcp_f64_e32 v[166:167], v[162:163]
	s_waitcnt_depctr 0xfff
	v_fma_f64 v[168:169], -v[162:163], v[166:167], 1.0
	v_fma_f64 v[166:167], v[166:167], v[168:169], v[166:167]
	s_delay_alu instid0(VALU_DEP_1) | instskip(NEXT) | instid1(VALU_DEP_1)
	v_fma_f64 v[168:169], -v[162:163], v[166:167], 1.0
	v_fma_f64 v[166:167], v[166:167], v[168:169], v[166:167]
	v_div_scale_f64 v[168:169], vcc_lo, 1.0, v[160:161], 1.0
	s_delay_alu instid0(VALU_DEP_1) | instskip(NEXT) | instid1(VALU_DEP_1)
	v_mul_f64 v[170:171], v[168:169], v[166:167]
	v_fma_f64 v[162:163], -v[162:163], v[170:171], v[168:169]
	s_delay_alu instid0(VALU_DEP_1) | instskip(NEXT) | instid1(VALU_DEP_1)
	v_div_fmas_f64 v[162:163], v[162:163], v[166:167], v[170:171]
	v_div_fixup_f64 v[168:169], v[162:163], v[160:161], 1.0
	s_delay_alu instid0(VALU_DEP_1)
	v_mul_f64 v[166:167], v[164:165], -v[168:169]
.LBB45_160:
	s_or_b32 exec_lo, exec_lo, s3
	ds_store_2addr_b64 v235, v[168:169], v[166:167] offset1:1
.LBB45_161:
	s_or_b32 exec_lo, exec_lo, s4
	s_waitcnt lgkmcnt(0)
	s_barrier
	buffer_gl0_inv
	ds_load_2addr_b64 v[160:163], v235 offset1:1
	s_mov_b32 s3, exec_lo
	v_cmpx_lt_u32_e32 17, v234
	s_cbranch_execz .LBB45_163
; %bb.162:
	s_waitcnt lgkmcnt(0)
	v_mul_f64 v[164:165], v[160:161], v[22:23]
	v_mul_f64 v[22:23], v[162:163], v[22:23]
	s_delay_alu instid0(VALU_DEP_2)
	v_fma_f64 v[172:173], v[162:163], v[20:21], v[164:165]
	ds_load_2addr_b64 v[164:167], v236 offset0:36 offset1:37
	ds_load_2addr_b64 v[168:171], v236 offset0:38 offset1:39
	v_fma_f64 v[20:21], v[160:161], v[20:21], -v[22:23]
	s_waitcnt lgkmcnt(1)
	v_mul_f64 v[22:23], v[166:167], v[172:173]
	v_mul_f64 v[174:175], v[164:165], v[172:173]
	s_delay_alu instid0(VALU_DEP_2) | instskip(NEXT) | instid1(VALU_DEP_2)
	v_fma_f64 v[22:23], v[164:165], v[20:21], -v[22:23]
	v_fma_f64 v[174:175], v[166:167], v[20:21], v[174:175]
	s_waitcnt lgkmcnt(0)
	v_mul_f64 v[164:165], v[170:171], v[172:173]
	v_mul_f64 v[166:167], v[168:169], v[172:173]
	s_delay_alu instid0(VALU_DEP_4) | instskip(NEXT) | instid1(VALU_DEP_4)
	v_add_f64 v[16:17], v[16:17], -v[22:23]
	v_add_f64 v[18:19], v[18:19], -v[174:175]
	s_delay_alu instid0(VALU_DEP_4) | instskip(NEXT) | instid1(VALU_DEP_4)
	v_fma_f64 v[176:177], v[168:169], v[20:21], -v[164:165]
	v_fma_f64 v[178:179], v[170:171], v[20:21], v[166:167]
	ds_load_2addr_b64 v[164:167], v236 offset0:40 offset1:41
	ds_load_2addr_b64 v[168:171], v236 offset0:42 offset1:43
	v_dual_mov_b32 v22, v172 :: v_dual_mov_b32 v23, v173
	s_waitcnt lgkmcnt(1)
	v_mul_f64 v[180:181], v[166:167], v[172:173]
	v_add_f64 v[12:13], v[12:13], -v[176:177]
	v_add_f64 v[14:15], v[14:15], -v[178:179]
	s_delay_alu instid0(VALU_DEP_3) | instskip(SKIP_1) | instid1(VALU_DEP_2)
	v_fma_f64 v[180:181], v[164:165], v[20:21], -v[180:181]
	v_mul_f64 v[164:165], v[164:165], v[172:173]
	v_add_f64 v[8:9], v[8:9], -v[180:181]
	s_delay_alu instid0(VALU_DEP_2) | instskip(SKIP_2) | instid1(VALU_DEP_2)
	v_fma_f64 v[182:183], v[166:167], v[20:21], v[164:165]
	s_waitcnt lgkmcnt(0)
	v_mul_f64 v[164:165], v[170:171], v[172:173]
	v_add_f64 v[10:11], v[10:11], -v[182:183]
	s_delay_alu instid0(VALU_DEP_2) | instskip(SKIP_1) | instid1(VALU_DEP_2)
	v_fma_f64 v[232:233], v[168:169], v[20:21], -v[164:165]
	v_mul_f64 v[164:165], v[168:169], v[172:173]
	v_add_f64 v[4:5], v[4:5], -v[232:233]
	s_delay_alu instid0(VALU_DEP_2) | instskip(SKIP_4) | instid1(VALU_DEP_2)
	v_fma_f64 v[168:169], v[170:171], v[20:21], v[164:165]
	ds_load_2addr_b64 v[164:167], v236 offset0:44 offset1:45
	s_waitcnt lgkmcnt(0)
	v_mul_f64 v[170:171], v[166:167], v[172:173]
	v_add_f64 v[6:7], v[6:7], -v[168:169]
	v_fma_f64 v[170:171], v[164:165], v[20:21], -v[170:171]
	v_mul_f64 v[164:165], v[164:165], v[172:173]
	s_delay_alu instid0(VALU_DEP_2) | instskip(NEXT) | instid1(VALU_DEP_2)
	v_add_f64 v[0:1], v[0:1], -v[170:171]
	v_fma_f64 v[164:165], v[166:167], v[20:21], v[164:165]
	s_delay_alu instid0(VALU_DEP_1)
	v_add_f64 v[2:3], v[2:3], -v[164:165]
.LBB45_163:
	s_or_b32 exec_lo, exec_lo, s3
	s_delay_alu instid0(SALU_CYCLE_1)
	s_mov_b32 s4, exec_lo
	s_waitcnt lgkmcnt(0)
	s_barrier
	buffer_gl0_inv
	v_cmpx_eq_u32_e32 18, v234
	s_cbranch_execz .LBB45_170
; %bb.164:
	ds_store_2addr_b64 v235, v[16:17], v[18:19] offset1:1
	ds_store_2addr_b64 v236, v[12:13], v[14:15] offset0:38 offset1:39
	ds_store_2addr_b64 v236, v[8:9], v[10:11] offset0:40 offset1:41
	ds_store_2addr_b64 v236, v[4:5], v[6:7] offset0:42 offset1:43
	ds_store_2addr_b64 v236, v[0:1], v[2:3] offset0:44 offset1:45
	ds_load_2addr_b64 v[164:167], v235 offset1:1
	s_waitcnt lgkmcnt(0)
	v_cmp_neq_f64_e32 vcc_lo, 0, v[164:165]
	v_cmp_neq_f64_e64 s3, 0, v[166:167]
	s_delay_alu instid0(VALU_DEP_1) | instskip(NEXT) | instid1(SALU_CYCLE_1)
	s_or_b32 s3, vcc_lo, s3
	s_and_b32 exec_lo, exec_lo, s3
	s_cbranch_execz .LBB45_170
; %bb.165:
	v_cmp_gt_f64_e32 vcc_lo, 0, v[164:165]
	v_cmp_gt_f64_e64 s3, 0, v[166:167]
	v_xor_b32_e32 v168, 0x80000000, v165
	v_xor_b32_e32 v170, 0x80000000, v167
                                        ; implicit-def: $vgpr172_vgpr173
	s_delay_alu instid0(VALU_DEP_2) | instskip(NEXT) | instid1(VALU_DEP_2)
	v_cndmask_b32_e32 v169, v165, v168, vcc_lo
	v_cndmask_b32_e64 v171, v167, v170, s3
	v_cndmask_b32_e32 v168, v164, v164, vcc_lo
	v_cndmask_b32_e64 v170, v166, v166, s3
	s_mov_b32 s3, exec_lo
	s_delay_alu instid0(VALU_DEP_1)
	v_cmpx_ngt_f64_e32 v[168:169], v[170:171]
	s_xor_b32 s3, exec_lo, s3
                                        ; implicit-def: $vgpr168_vgpr169_vgpr170_vgpr171
	s_cbranch_execz .LBB45_167
; %bb.166:
	v_div_scale_f64 v[168:169], null, v[166:167], v[166:167], v[164:165]
	v_div_scale_f64 v[174:175], vcc_lo, v[164:165], v[166:167], v[164:165]
	s_delay_alu instid0(VALU_DEP_2) | instskip(SKIP_2) | instid1(VALU_DEP_1)
	v_rcp_f64_e32 v[170:171], v[168:169]
	s_waitcnt_depctr 0xfff
	v_fma_f64 v[172:173], -v[168:169], v[170:171], 1.0
	v_fma_f64 v[170:171], v[170:171], v[172:173], v[170:171]
	s_delay_alu instid0(VALU_DEP_1) | instskip(NEXT) | instid1(VALU_DEP_1)
	v_fma_f64 v[172:173], -v[168:169], v[170:171], 1.0
	v_fma_f64 v[170:171], v[170:171], v[172:173], v[170:171]
	s_delay_alu instid0(VALU_DEP_1) | instskip(NEXT) | instid1(VALU_DEP_1)
	v_mul_f64 v[172:173], v[174:175], v[170:171]
	v_fma_f64 v[168:169], -v[168:169], v[172:173], v[174:175]
	s_delay_alu instid0(VALU_DEP_1) | instskip(NEXT) | instid1(VALU_DEP_1)
	v_div_fmas_f64 v[168:169], v[168:169], v[170:171], v[172:173]
	v_div_fixup_f64 v[168:169], v[168:169], v[166:167], v[164:165]
	s_delay_alu instid0(VALU_DEP_1) | instskip(NEXT) | instid1(VALU_DEP_1)
	v_fma_f64 v[164:165], v[164:165], v[168:169], v[166:167]
	v_div_scale_f64 v[166:167], null, v[164:165], v[164:165], 1.0
	s_delay_alu instid0(VALU_DEP_1) | instskip(SKIP_2) | instid1(VALU_DEP_1)
	v_rcp_f64_e32 v[170:171], v[166:167]
	s_waitcnt_depctr 0xfff
	v_fma_f64 v[172:173], -v[166:167], v[170:171], 1.0
	v_fma_f64 v[170:171], v[170:171], v[172:173], v[170:171]
	s_delay_alu instid0(VALU_DEP_1) | instskip(NEXT) | instid1(VALU_DEP_1)
	v_fma_f64 v[172:173], -v[166:167], v[170:171], 1.0
	v_fma_f64 v[170:171], v[170:171], v[172:173], v[170:171]
	v_div_scale_f64 v[172:173], vcc_lo, 1.0, v[164:165], 1.0
	s_delay_alu instid0(VALU_DEP_1) | instskip(NEXT) | instid1(VALU_DEP_1)
	v_mul_f64 v[174:175], v[172:173], v[170:171]
	v_fma_f64 v[166:167], -v[166:167], v[174:175], v[172:173]
	s_delay_alu instid0(VALU_DEP_1) | instskip(NEXT) | instid1(VALU_DEP_1)
	v_div_fmas_f64 v[166:167], v[166:167], v[170:171], v[174:175]
	v_div_fixup_f64 v[170:171], v[166:167], v[164:165], 1.0
                                        ; implicit-def: $vgpr164_vgpr165
	s_delay_alu instid0(VALU_DEP_1)
	v_mul_f64 v[172:173], v[168:169], v[170:171]
	v_xor_b32_e32 v171, 0x80000000, v171
.LBB45_167:
	s_and_not1_saveexec_b32 s3, s3
	s_cbranch_execz .LBB45_169
; %bb.168:
	v_div_scale_f64 v[168:169], null, v[164:165], v[164:165], v[166:167]
	v_div_scale_f64 v[174:175], vcc_lo, v[166:167], v[164:165], v[166:167]
	s_delay_alu instid0(VALU_DEP_2) | instskip(SKIP_2) | instid1(VALU_DEP_1)
	v_rcp_f64_e32 v[170:171], v[168:169]
	s_waitcnt_depctr 0xfff
	v_fma_f64 v[172:173], -v[168:169], v[170:171], 1.0
	v_fma_f64 v[170:171], v[170:171], v[172:173], v[170:171]
	s_delay_alu instid0(VALU_DEP_1) | instskip(NEXT) | instid1(VALU_DEP_1)
	v_fma_f64 v[172:173], -v[168:169], v[170:171], 1.0
	v_fma_f64 v[170:171], v[170:171], v[172:173], v[170:171]
	s_delay_alu instid0(VALU_DEP_1) | instskip(NEXT) | instid1(VALU_DEP_1)
	v_mul_f64 v[172:173], v[174:175], v[170:171]
	v_fma_f64 v[168:169], -v[168:169], v[172:173], v[174:175]
	s_delay_alu instid0(VALU_DEP_1) | instskip(NEXT) | instid1(VALU_DEP_1)
	v_div_fmas_f64 v[168:169], v[168:169], v[170:171], v[172:173]
	v_div_fixup_f64 v[168:169], v[168:169], v[164:165], v[166:167]
	s_delay_alu instid0(VALU_DEP_1) | instskip(NEXT) | instid1(VALU_DEP_1)
	v_fma_f64 v[164:165], v[166:167], v[168:169], v[164:165]
	v_div_scale_f64 v[166:167], null, v[164:165], v[164:165], 1.0
	s_delay_alu instid0(VALU_DEP_1) | instskip(SKIP_2) | instid1(VALU_DEP_1)
	v_rcp_f64_e32 v[170:171], v[166:167]
	s_waitcnt_depctr 0xfff
	v_fma_f64 v[172:173], -v[166:167], v[170:171], 1.0
	v_fma_f64 v[170:171], v[170:171], v[172:173], v[170:171]
	s_delay_alu instid0(VALU_DEP_1) | instskip(NEXT) | instid1(VALU_DEP_1)
	v_fma_f64 v[172:173], -v[166:167], v[170:171], 1.0
	v_fma_f64 v[170:171], v[170:171], v[172:173], v[170:171]
	v_div_scale_f64 v[172:173], vcc_lo, 1.0, v[164:165], 1.0
	s_delay_alu instid0(VALU_DEP_1) | instskip(NEXT) | instid1(VALU_DEP_1)
	v_mul_f64 v[174:175], v[172:173], v[170:171]
	v_fma_f64 v[166:167], -v[166:167], v[174:175], v[172:173]
	s_delay_alu instid0(VALU_DEP_1) | instskip(NEXT) | instid1(VALU_DEP_1)
	v_div_fmas_f64 v[166:167], v[166:167], v[170:171], v[174:175]
	v_div_fixup_f64 v[172:173], v[166:167], v[164:165], 1.0
	s_delay_alu instid0(VALU_DEP_1)
	v_mul_f64 v[170:171], v[168:169], -v[172:173]
.LBB45_169:
	s_or_b32 exec_lo, exec_lo, s3
	ds_store_2addr_b64 v235, v[172:173], v[170:171] offset1:1
.LBB45_170:
	s_or_b32 exec_lo, exec_lo, s4
	s_waitcnt lgkmcnt(0)
	s_barrier
	buffer_gl0_inv
	ds_load_2addr_b64 v[164:167], v235 offset1:1
	s_mov_b32 s3, exec_lo
	v_cmpx_lt_u32_e32 18, v234
	s_cbranch_execz .LBB45_172
; %bb.171:
	s_waitcnt lgkmcnt(0)
	v_mul_f64 v[168:169], v[164:165], v[18:19]
	v_mul_f64 v[18:19], v[166:167], v[18:19]
	s_delay_alu instid0(VALU_DEP_2)
	v_fma_f64 v[232:233], v[166:167], v[16:17], v[168:169]
	ds_load_2addr_b64 v[168:171], v236 offset0:38 offset1:39
	ds_load_2addr_b64 v[172:175], v236 offset0:40 offset1:41
	;; [unrolled: 1-line block ×4, first 2 shown]
	v_fma_f64 v[16:17], v[164:165], v[16:17], -v[18:19]
	s_waitcnt lgkmcnt(3)
	v_mul_f64 v[18:19], v[170:171], v[232:233]
	v_mul_f64 v[237:238], v[168:169], v[232:233]
	s_waitcnt lgkmcnt(2)
	v_mul_f64 v[239:240], v[174:175], v[232:233]
	v_mul_f64 v[241:242], v[172:173], v[232:233]
	;; [unrolled: 3-line block ×4, first 2 shown]
	v_fma_f64 v[18:19], v[168:169], v[16:17], -v[18:19]
	v_fma_f64 v[168:169], v[170:171], v[16:17], v[237:238]
	v_fma_f64 v[170:171], v[172:173], v[16:17], -v[239:240]
	v_fma_f64 v[172:173], v[174:175], v[16:17], v[241:242]
	;; [unrolled: 2-line block ×4, first 2 shown]
	v_add_f64 v[12:13], v[12:13], -v[18:19]
	v_add_f64 v[14:15], v[14:15], -v[168:169]
	;; [unrolled: 1-line block ×8, first 2 shown]
	v_dual_mov_b32 v18, v232 :: v_dual_mov_b32 v19, v233
.LBB45_172:
	s_or_b32 exec_lo, exec_lo, s3
	s_delay_alu instid0(SALU_CYCLE_1)
	s_mov_b32 s4, exec_lo
	s_waitcnt lgkmcnt(0)
	s_barrier
	buffer_gl0_inv
	v_cmpx_eq_u32_e32 19, v234
	s_cbranch_execz .LBB45_179
; %bb.173:
	ds_store_2addr_b64 v235, v[12:13], v[14:15] offset1:1
	ds_store_2addr_b64 v236, v[8:9], v[10:11] offset0:40 offset1:41
	ds_store_2addr_b64 v236, v[4:5], v[6:7] offset0:42 offset1:43
	;; [unrolled: 1-line block ×3, first 2 shown]
	ds_load_2addr_b64 v[168:171], v235 offset1:1
	s_waitcnt lgkmcnt(0)
	v_cmp_neq_f64_e32 vcc_lo, 0, v[168:169]
	v_cmp_neq_f64_e64 s3, 0, v[170:171]
	s_delay_alu instid0(VALU_DEP_1) | instskip(NEXT) | instid1(SALU_CYCLE_1)
	s_or_b32 s3, vcc_lo, s3
	s_and_b32 exec_lo, exec_lo, s3
	s_cbranch_execz .LBB45_179
; %bb.174:
	v_cmp_gt_f64_e32 vcc_lo, 0, v[168:169]
	v_cmp_gt_f64_e64 s3, 0, v[170:171]
	v_xor_b32_e32 v172, 0x80000000, v169
	v_xor_b32_e32 v174, 0x80000000, v171
                                        ; implicit-def: $vgpr176_vgpr177
	s_delay_alu instid0(VALU_DEP_2) | instskip(NEXT) | instid1(VALU_DEP_2)
	v_cndmask_b32_e32 v173, v169, v172, vcc_lo
	v_cndmask_b32_e64 v175, v171, v174, s3
	v_cndmask_b32_e32 v172, v168, v168, vcc_lo
	v_cndmask_b32_e64 v174, v170, v170, s3
	s_mov_b32 s3, exec_lo
	s_delay_alu instid0(VALU_DEP_1)
	v_cmpx_ngt_f64_e32 v[172:173], v[174:175]
	s_xor_b32 s3, exec_lo, s3
                                        ; implicit-def: $vgpr172_vgpr173_vgpr174_vgpr175
	s_cbranch_execz .LBB45_176
; %bb.175:
	v_div_scale_f64 v[172:173], null, v[170:171], v[170:171], v[168:169]
	v_div_scale_f64 v[178:179], vcc_lo, v[168:169], v[170:171], v[168:169]
	s_delay_alu instid0(VALU_DEP_2) | instskip(SKIP_2) | instid1(VALU_DEP_1)
	v_rcp_f64_e32 v[174:175], v[172:173]
	s_waitcnt_depctr 0xfff
	v_fma_f64 v[176:177], -v[172:173], v[174:175], 1.0
	v_fma_f64 v[174:175], v[174:175], v[176:177], v[174:175]
	s_delay_alu instid0(VALU_DEP_1) | instskip(NEXT) | instid1(VALU_DEP_1)
	v_fma_f64 v[176:177], -v[172:173], v[174:175], 1.0
	v_fma_f64 v[174:175], v[174:175], v[176:177], v[174:175]
	s_delay_alu instid0(VALU_DEP_1) | instskip(NEXT) | instid1(VALU_DEP_1)
	v_mul_f64 v[176:177], v[178:179], v[174:175]
	v_fma_f64 v[172:173], -v[172:173], v[176:177], v[178:179]
	s_delay_alu instid0(VALU_DEP_1) | instskip(NEXT) | instid1(VALU_DEP_1)
	v_div_fmas_f64 v[172:173], v[172:173], v[174:175], v[176:177]
	v_div_fixup_f64 v[172:173], v[172:173], v[170:171], v[168:169]
	s_delay_alu instid0(VALU_DEP_1) | instskip(NEXT) | instid1(VALU_DEP_1)
	v_fma_f64 v[168:169], v[168:169], v[172:173], v[170:171]
	v_div_scale_f64 v[170:171], null, v[168:169], v[168:169], 1.0
	s_delay_alu instid0(VALU_DEP_1) | instskip(SKIP_2) | instid1(VALU_DEP_1)
	v_rcp_f64_e32 v[174:175], v[170:171]
	s_waitcnt_depctr 0xfff
	v_fma_f64 v[176:177], -v[170:171], v[174:175], 1.0
	v_fma_f64 v[174:175], v[174:175], v[176:177], v[174:175]
	s_delay_alu instid0(VALU_DEP_1) | instskip(NEXT) | instid1(VALU_DEP_1)
	v_fma_f64 v[176:177], -v[170:171], v[174:175], 1.0
	v_fma_f64 v[174:175], v[174:175], v[176:177], v[174:175]
	v_div_scale_f64 v[176:177], vcc_lo, 1.0, v[168:169], 1.0
	s_delay_alu instid0(VALU_DEP_1) | instskip(NEXT) | instid1(VALU_DEP_1)
	v_mul_f64 v[178:179], v[176:177], v[174:175]
	v_fma_f64 v[170:171], -v[170:171], v[178:179], v[176:177]
	s_delay_alu instid0(VALU_DEP_1) | instskip(NEXT) | instid1(VALU_DEP_1)
	v_div_fmas_f64 v[170:171], v[170:171], v[174:175], v[178:179]
	v_div_fixup_f64 v[174:175], v[170:171], v[168:169], 1.0
                                        ; implicit-def: $vgpr168_vgpr169
	s_delay_alu instid0(VALU_DEP_1)
	v_mul_f64 v[176:177], v[172:173], v[174:175]
	v_xor_b32_e32 v175, 0x80000000, v175
.LBB45_176:
	s_and_not1_saveexec_b32 s3, s3
	s_cbranch_execz .LBB45_178
; %bb.177:
	v_div_scale_f64 v[172:173], null, v[168:169], v[168:169], v[170:171]
	v_div_scale_f64 v[178:179], vcc_lo, v[170:171], v[168:169], v[170:171]
	s_delay_alu instid0(VALU_DEP_2) | instskip(SKIP_2) | instid1(VALU_DEP_1)
	v_rcp_f64_e32 v[174:175], v[172:173]
	s_waitcnt_depctr 0xfff
	v_fma_f64 v[176:177], -v[172:173], v[174:175], 1.0
	v_fma_f64 v[174:175], v[174:175], v[176:177], v[174:175]
	s_delay_alu instid0(VALU_DEP_1) | instskip(NEXT) | instid1(VALU_DEP_1)
	v_fma_f64 v[176:177], -v[172:173], v[174:175], 1.0
	v_fma_f64 v[174:175], v[174:175], v[176:177], v[174:175]
	s_delay_alu instid0(VALU_DEP_1) | instskip(NEXT) | instid1(VALU_DEP_1)
	v_mul_f64 v[176:177], v[178:179], v[174:175]
	v_fma_f64 v[172:173], -v[172:173], v[176:177], v[178:179]
	s_delay_alu instid0(VALU_DEP_1) | instskip(NEXT) | instid1(VALU_DEP_1)
	v_div_fmas_f64 v[172:173], v[172:173], v[174:175], v[176:177]
	v_div_fixup_f64 v[172:173], v[172:173], v[168:169], v[170:171]
	s_delay_alu instid0(VALU_DEP_1) | instskip(NEXT) | instid1(VALU_DEP_1)
	v_fma_f64 v[168:169], v[170:171], v[172:173], v[168:169]
	v_div_scale_f64 v[170:171], null, v[168:169], v[168:169], 1.0
	s_delay_alu instid0(VALU_DEP_1) | instskip(SKIP_2) | instid1(VALU_DEP_1)
	v_rcp_f64_e32 v[174:175], v[170:171]
	s_waitcnt_depctr 0xfff
	v_fma_f64 v[176:177], -v[170:171], v[174:175], 1.0
	v_fma_f64 v[174:175], v[174:175], v[176:177], v[174:175]
	s_delay_alu instid0(VALU_DEP_1) | instskip(NEXT) | instid1(VALU_DEP_1)
	v_fma_f64 v[176:177], -v[170:171], v[174:175], 1.0
	v_fma_f64 v[174:175], v[174:175], v[176:177], v[174:175]
	v_div_scale_f64 v[176:177], vcc_lo, 1.0, v[168:169], 1.0
	s_delay_alu instid0(VALU_DEP_1) | instskip(NEXT) | instid1(VALU_DEP_1)
	v_mul_f64 v[178:179], v[176:177], v[174:175]
	v_fma_f64 v[170:171], -v[170:171], v[178:179], v[176:177]
	s_delay_alu instid0(VALU_DEP_1) | instskip(NEXT) | instid1(VALU_DEP_1)
	v_div_fmas_f64 v[170:171], v[170:171], v[174:175], v[178:179]
	v_div_fixup_f64 v[176:177], v[170:171], v[168:169], 1.0
	s_delay_alu instid0(VALU_DEP_1)
	v_mul_f64 v[174:175], v[172:173], -v[176:177]
.LBB45_178:
	s_or_b32 exec_lo, exec_lo, s3
	ds_store_2addr_b64 v235, v[176:177], v[174:175] offset1:1
.LBB45_179:
	s_or_b32 exec_lo, exec_lo, s4
	s_waitcnt lgkmcnt(0)
	s_barrier
	buffer_gl0_inv
	ds_load_2addr_b64 v[168:171], v235 offset1:1
	s_mov_b32 s3, exec_lo
	v_cmpx_lt_u32_e32 19, v234
	s_cbranch_execz .LBB45_181
; %bb.180:
	s_waitcnt lgkmcnt(0)
	v_mul_f64 v[172:173], v[168:169], v[14:15]
	v_mul_f64 v[14:15], v[170:171], v[14:15]
	s_delay_alu instid0(VALU_DEP_2)
	v_fma_f64 v[232:233], v[170:171], v[12:13], v[172:173]
	ds_load_2addr_b64 v[172:175], v236 offset0:40 offset1:41
	ds_load_2addr_b64 v[176:179], v236 offset0:42 offset1:43
	;; [unrolled: 1-line block ×3, first 2 shown]
	v_fma_f64 v[12:13], v[168:169], v[12:13], -v[14:15]
	s_waitcnt lgkmcnt(2)
	v_mul_f64 v[14:15], v[174:175], v[232:233]
	v_mul_f64 v[237:238], v[172:173], v[232:233]
	s_waitcnt lgkmcnt(1)
	v_mul_f64 v[239:240], v[178:179], v[232:233]
	v_mul_f64 v[241:242], v[176:177], v[232:233]
	;; [unrolled: 3-line block ×3, first 2 shown]
	v_fma_f64 v[14:15], v[172:173], v[12:13], -v[14:15]
	v_fma_f64 v[172:173], v[174:175], v[12:13], v[237:238]
	v_fma_f64 v[174:175], v[176:177], v[12:13], -v[239:240]
	v_fma_f64 v[176:177], v[178:179], v[12:13], v[241:242]
	;; [unrolled: 2-line block ×3, first 2 shown]
	v_add_f64 v[8:9], v[8:9], -v[14:15]
	v_add_f64 v[10:11], v[10:11], -v[172:173]
	;; [unrolled: 1-line block ×6, first 2 shown]
	v_dual_mov_b32 v14, v232 :: v_dual_mov_b32 v15, v233
.LBB45_181:
	s_or_b32 exec_lo, exec_lo, s3
	s_delay_alu instid0(SALU_CYCLE_1)
	s_mov_b32 s4, exec_lo
	s_waitcnt lgkmcnt(0)
	s_barrier
	buffer_gl0_inv
	v_cmpx_eq_u32_e32 20, v234
	s_cbranch_execz .LBB45_188
; %bb.182:
	ds_store_2addr_b64 v235, v[8:9], v[10:11] offset1:1
	ds_store_2addr_b64 v236, v[4:5], v[6:7] offset0:42 offset1:43
	ds_store_2addr_b64 v236, v[0:1], v[2:3] offset0:44 offset1:45
	ds_load_2addr_b64 v[172:175], v235 offset1:1
	s_waitcnt lgkmcnt(0)
	v_cmp_neq_f64_e32 vcc_lo, 0, v[172:173]
	v_cmp_neq_f64_e64 s3, 0, v[174:175]
	s_delay_alu instid0(VALU_DEP_1) | instskip(NEXT) | instid1(SALU_CYCLE_1)
	s_or_b32 s3, vcc_lo, s3
	s_and_b32 exec_lo, exec_lo, s3
	s_cbranch_execz .LBB45_188
; %bb.183:
	v_cmp_gt_f64_e32 vcc_lo, 0, v[172:173]
	v_cmp_gt_f64_e64 s3, 0, v[174:175]
	v_xor_b32_e32 v176, 0x80000000, v173
	v_xor_b32_e32 v178, 0x80000000, v175
                                        ; implicit-def: $vgpr180_vgpr181
	s_delay_alu instid0(VALU_DEP_2) | instskip(NEXT) | instid1(VALU_DEP_2)
	v_cndmask_b32_e32 v177, v173, v176, vcc_lo
	v_cndmask_b32_e64 v179, v175, v178, s3
	v_cndmask_b32_e32 v176, v172, v172, vcc_lo
	v_cndmask_b32_e64 v178, v174, v174, s3
	s_mov_b32 s3, exec_lo
	s_delay_alu instid0(VALU_DEP_1)
	v_cmpx_ngt_f64_e32 v[176:177], v[178:179]
	s_xor_b32 s3, exec_lo, s3
                                        ; implicit-def: $vgpr176_vgpr177_vgpr178_vgpr179
	s_cbranch_execz .LBB45_185
; %bb.184:
	v_div_scale_f64 v[176:177], null, v[174:175], v[174:175], v[172:173]
	v_div_scale_f64 v[182:183], vcc_lo, v[172:173], v[174:175], v[172:173]
	s_delay_alu instid0(VALU_DEP_2) | instskip(SKIP_2) | instid1(VALU_DEP_1)
	v_rcp_f64_e32 v[178:179], v[176:177]
	s_waitcnt_depctr 0xfff
	v_fma_f64 v[180:181], -v[176:177], v[178:179], 1.0
	v_fma_f64 v[178:179], v[178:179], v[180:181], v[178:179]
	s_delay_alu instid0(VALU_DEP_1) | instskip(NEXT) | instid1(VALU_DEP_1)
	v_fma_f64 v[180:181], -v[176:177], v[178:179], 1.0
	v_fma_f64 v[178:179], v[178:179], v[180:181], v[178:179]
	s_delay_alu instid0(VALU_DEP_1) | instskip(NEXT) | instid1(VALU_DEP_1)
	v_mul_f64 v[180:181], v[182:183], v[178:179]
	v_fma_f64 v[176:177], -v[176:177], v[180:181], v[182:183]
	s_delay_alu instid0(VALU_DEP_1) | instskip(NEXT) | instid1(VALU_DEP_1)
	v_div_fmas_f64 v[176:177], v[176:177], v[178:179], v[180:181]
	v_div_fixup_f64 v[176:177], v[176:177], v[174:175], v[172:173]
	s_delay_alu instid0(VALU_DEP_1) | instskip(NEXT) | instid1(VALU_DEP_1)
	v_fma_f64 v[172:173], v[172:173], v[176:177], v[174:175]
	v_div_scale_f64 v[174:175], null, v[172:173], v[172:173], 1.0
	s_delay_alu instid0(VALU_DEP_1) | instskip(SKIP_2) | instid1(VALU_DEP_1)
	v_rcp_f64_e32 v[178:179], v[174:175]
	s_waitcnt_depctr 0xfff
	v_fma_f64 v[180:181], -v[174:175], v[178:179], 1.0
	v_fma_f64 v[178:179], v[178:179], v[180:181], v[178:179]
	s_delay_alu instid0(VALU_DEP_1) | instskip(NEXT) | instid1(VALU_DEP_1)
	v_fma_f64 v[180:181], -v[174:175], v[178:179], 1.0
	v_fma_f64 v[178:179], v[178:179], v[180:181], v[178:179]
	v_div_scale_f64 v[180:181], vcc_lo, 1.0, v[172:173], 1.0
	s_delay_alu instid0(VALU_DEP_1) | instskip(NEXT) | instid1(VALU_DEP_1)
	v_mul_f64 v[182:183], v[180:181], v[178:179]
	v_fma_f64 v[174:175], -v[174:175], v[182:183], v[180:181]
	s_delay_alu instid0(VALU_DEP_1) | instskip(NEXT) | instid1(VALU_DEP_1)
	v_div_fmas_f64 v[174:175], v[174:175], v[178:179], v[182:183]
	v_div_fixup_f64 v[178:179], v[174:175], v[172:173], 1.0
                                        ; implicit-def: $vgpr172_vgpr173
	s_delay_alu instid0(VALU_DEP_1)
	v_mul_f64 v[180:181], v[176:177], v[178:179]
	v_xor_b32_e32 v179, 0x80000000, v179
.LBB45_185:
	s_and_not1_saveexec_b32 s3, s3
	s_cbranch_execz .LBB45_187
; %bb.186:
	v_div_scale_f64 v[176:177], null, v[172:173], v[172:173], v[174:175]
	v_div_scale_f64 v[182:183], vcc_lo, v[174:175], v[172:173], v[174:175]
	s_delay_alu instid0(VALU_DEP_2) | instskip(SKIP_2) | instid1(VALU_DEP_1)
	v_rcp_f64_e32 v[178:179], v[176:177]
	s_waitcnt_depctr 0xfff
	v_fma_f64 v[180:181], -v[176:177], v[178:179], 1.0
	v_fma_f64 v[178:179], v[178:179], v[180:181], v[178:179]
	s_delay_alu instid0(VALU_DEP_1) | instskip(NEXT) | instid1(VALU_DEP_1)
	v_fma_f64 v[180:181], -v[176:177], v[178:179], 1.0
	v_fma_f64 v[178:179], v[178:179], v[180:181], v[178:179]
	s_delay_alu instid0(VALU_DEP_1) | instskip(NEXT) | instid1(VALU_DEP_1)
	v_mul_f64 v[180:181], v[182:183], v[178:179]
	v_fma_f64 v[176:177], -v[176:177], v[180:181], v[182:183]
	s_delay_alu instid0(VALU_DEP_1) | instskip(NEXT) | instid1(VALU_DEP_1)
	v_div_fmas_f64 v[176:177], v[176:177], v[178:179], v[180:181]
	v_div_fixup_f64 v[176:177], v[176:177], v[172:173], v[174:175]
	s_delay_alu instid0(VALU_DEP_1) | instskip(NEXT) | instid1(VALU_DEP_1)
	v_fma_f64 v[172:173], v[174:175], v[176:177], v[172:173]
	v_div_scale_f64 v[174:175], null, v[172:173], v[172:173], 1.0
	s_delay_alu instid0(VALU_DEP_1) | instskip(SKIP_2) | instid1(VALU_DEP_1)
	v_rcp_f64_e32 v[178:179], v[174:175]
	s_waitcnt_depctr 0xfff
	v_fma_f64 v[180:181], -v[174:175], v[178:179], 1.0
	v_fma_f64 v[178:179], v[178:179], v[180:181], v[178:179]
	s_delay_alu instid0(VALU_DEP_1) | instskip(NEXT) | instid1(VALU_DEP_1)
	v_fma_f64 v[180:181], -v[174:175], v[178:179], 1.0
	v_fma_f64 v[178:179], v[178:179], v[180:181], v[178:179]
	v_div_scale_f64 v[180:181], vcc_lo, 1.0, v[172:173], 1.0
	s_delay_alu instid0(VALU_DEP_1) | instskip(NEXT) | instid1(VALU_DEP_1)
	v_mul_f64 v[182:183], v[180:181], v[178:179]
	v_fma_f64 v[174:175], -v[174:175], v[182:183], v[180:181]
	s_delay_alu instid0(VALU_DEP_1) | instskip(NEXT) | instid1(VALU_DEP_1)
	v_div_fmas_f64 v[174:175], v[174:175], v[178:179], v[182:183]
	v_div_fixup_f64 v[180:181], v[174:175], v[172:173], 1.0
	s_delay_alu instid0(VALU_DEP_1)
	v_mul_f64 v[178:179], v[176:177], -v[180:181]
.LBB45_187:
	s_or_b32 exec_lo, exec_lo, s3
	ds_store_2addr_b64 v235, v[180:181], v[178:179] offset1:1
.LBB45_188:
	s_or_b32 exec_lo, exec_lo, s4
	s_waitcnt lgkmcnt(0)
	s_barrier
	buffer_gl0_inv
	ds_load_2addr_b64 v[172:175], v235 offset1:1
	s_mov_b32 s3, exec_lo
	v_cmpx_lt_u32_e32 20, v234
	s_cbranch_execz .LBB45_190
; %bb.189:
	s_waitcnt lgkmcnt(0)
	v_mul_f64 v[176:177], v[172:173], v[10:11]
	v_mul_f64 v[10:11], v[174:175], v[10:11]
	s_delay_alu instid0(VALU_DEP_2)
	v_fma_f64 v[232:233], v[174:175], v[8:9], v[176:177]
	ds_load_2addr_b64 v[176:179], v236 offset0:42 offset1:43
	ds_load_2addr_b64 v[180:183], v236 offset0:44 offset1:45
	v_fma_f64 v[8:9], v[172:173], v[8:9], -v[10:11]
	s_waitcnt lgkmcnt(1)
	v_mul_f64 v[10:11], v[178:179], v[232:233]
	v_mul_f64 v[237:238], v[176:177], v[232:233]
	s_waitcnt lgkmcnt(0)
	v_mul_f64 v[239:240], v[182:183], v[232:233]
	v_mul_f64 v[241:242], v[180:181], v[232:233]
	s_delay_alu instid0(VALU_DEP_4) | instskip(NEXT) | instid1(VALU_DEP_4)
	v_fma_f64 v[10:11], v[176:177], v[8:9], -v[10:11]
	v_fma_f64 v[176:177], v[178:179], v[8:9], v[237:238]
	s_delay_alu instid0(VALU_DEP_4) | instskip(NEXT) | instid1(VALU_DEP_4)
	v_fma_f64 v[178:179], v[180:181], v[8:9], -v[239:240]
	v_fma_f64 v[180:181], v[182:183], v[8:9], v[241:242]
	s_delay_alu instid0(VALU_DEP_4) | instskip(NEXT) | instid1(VALU_DEP_4)
	v_add_f64 v[4:5], v[4:5], -v[10:11]
	v_add_f64 v[6:7], v[6:7], -v[176:177]
	s_delay_alu instid0(VALU_DEP_4) | instskip(NEXT) | instid1(VALU_DEP_4)
	v_add_f64 v[0:1], v[0:1], -v[178:179]
	v_add_f64 v[2:3], v[2:3], -v[180:181]
	v_dual_mov_b32 v10, v232 :: v_dual_mov_b32 v11, v233
.LBB45_190:
	s_or_b32 exec_lo, exec_lo, s3
	s_delay_alu instid0(SALU_CYCLE_1)
	s_mov_b32 s4, exec_lo
	s_waitcnt lgkmcnt(0)
	s_barrier
	buffer_gl0_inv
	v_cmpx_eq_u32_e32 21, v234
	s_cbranch_execz .LBB45_197
; %bb.191:
	ds_store_2addr_b64 v235, v[4:5], v[6:7] offset1:1
	ds_store_2addr_b64 v236, v[0:1], v[2:3] offset0:44 offset1:45
	ds_load_2addr_b64 v[176:179], v235 offset1:1
	s_waitcnt lgkmcnt(0)
	v_cmp_neq_f64_e32 vcc_lo, 0, v[176:177]
	v_cmp_neq_f64_e64 s3, 0, v[178:179]
	s_delay_alu instid0(VALU_DEP_1) | instskip(NEXT) | instid1(SALU_CYCLE_1)
	s_or_b32 s3, vcc_lo, s3
	s_and_b32 exec_lo, exec_lo, s3
	s_cbranch_execz .LBB45_197
; %bb.192:
	v_cmp_gt_f64_e32 vcc_lo, 0, v[176:177]
	v_cmp_gt_f64_e64 s3, 0, v[178:179]
	v_xor_b32_e32 v180, 0x80000000, v177
	v_xor_b32_e32 v182, 0x80000000, v179
                                        ; implicit-def: $vgpr232_vgpr233
	s_delay_alu instid0(VALU_DEP_2) | instskip(NEXT) | instid1(VALU_DEP_2)
	v_cndmask_b32_e32 v181, v177, v180, vcc_lo
	v_cndmask_b32_e64 v183, v179, v182, s3
	v_cndmask_b32_e32 v180, v176, v176, vcc_lo
	v_cndmask_b32_e64 v182, v178, v178, s3
	s_mov_b32 s3, exec_lo
	s_delay_alu instid0(VALU_DEP_1)
	v_cmpx_ngt_f64_e32 v[180:181], v[182:183]
	s_xor_b32 s3, exec_lo, s3
                                        ; implicit-def: $vgpr180_vgpr181_vgpr182_vgpr183
	s_cbranch_execz .LBB45_194
; %bb.193:
	v_div_scale_f64 v[180:181], null, v[178:179], v[178:179], v[176:177]
	v_div_scale_f64 v[237:238], vcc_lo, v[176:177], v[178:179], v[176:177]
	s_delay_alu instid0(VALU_DEP_2) | instskip(SKIP_2) | instid1(VALU_DEP_1)
	v_rcp_f64_e32 v[182:183], v[180:181]
	s_waitcnt_depctr 0xfff
	v_fma_f64 v[232:233], -v[180:181], v[182:183], 1.0
	v_fma_f64 v[182:183], v[182:183], v[232:233], v[182:183]
	s_delay_alu instid0(VALU_DEP_1) | instskip(NEXT) | instid1(VALU_DEP_1)
	v_fma_f64 v[232:233], -v[180:181], v[182:183], 1.0
	v_fma_f64 v[182:183], v[182:183], v[232:233], v[182:183]
	s_delay_alu instid0(VALU_DEP_1) | instskip(NEXT) | instid1(VALU_DEP_1)
	v_mul_f64 v[232:233], v[237:238], v[182:183]
	v_fma_f64 v[180:181], -v[180:181], v[232:233], v[237:238]
	s_delay_alu instid0(VALU_DEP_1) | instskip(NEXT) | instid1(VALU_DEP_1)
	v_div_fmas_f64 v[180:181], v[180:181], v[182:183], v[232:233]
	v_div_fixup_f64 v[180:181], v[180:181], v[178:179], v[176:177]
	s_delay_alu instid0(VALU_DEP_1) | instskip(NEXT) | instid1(VALU_DEP_1)
	v_fma_f64 v[176:177], v[176:177], v[180:181], v[178:179]
	v_div_scale_f64 v[178:179], null, v[176:177], v[176:177], 1.0
	s_delay_alu instid0(VALU_DEP_1) | instskip(SKIP_2) | instid1(VALU_DEP_1)
	v_rcp_f64_e32 v[182:183], v[178:179]
	s_waitcnt_depctr 0xfff
	v_fma_f64 v[232:233], -v[178:179], v[182:183], 1.0
	v_fma_f64 v[182:183], v[182:183], v[232:233], v[182:183]
	s_delay_alu instid0(VALU_DEP_1) | instskip(NEXT) | instid1(VALU_DEP_1)
	v_fma_f64 v[232:233], -v[178:179], v[182:183], 1.0
	v_fma_f64 v[182:183], v[182:183], v[232:233], v[182:183]
	v_div_scale_f64 v[232:233], vcc_lo, 1.0, v[176:177], 1.0
	s_delay_alu instid0(VALU_DEP_1) | instskip(NEXT) | instid1(VALU_DEP_1)
	v_mul_f64 v[237:238], v[232:233], v[182:183]
	v_fma_f64 v[178:179], -v[178:179], v[237:238], v[232:233]
	s_delay_alu instid0(VALU_DEP_1) | instskip(NEXT) | instid1(VALU_DEP_1)
	v_div_fmas_f64 v[178:179], v[178:179], v[182:183], v[237:238]
	v_div_fixup_f64 v[182:183], v[178:179], v[176:177], 1.0
                                        ; implicit-def: $vgpr176_vgpr177
	s_delay_alu instid0(VALU_DEP_1)
	v_mul_f64 v[232:233], v[180:181], v[182:183]
	v_xor_b32_e32 v183, 0x80000000, v183
.LBB45_194:
	s_and_not1_saveexec_b32 s3, s3
	s_cbranch_execz .LBB45_196
; %bb.195:
	v_div_scale_f64 v[180:181], null, v[176:177], v[176:177], v[178:179]
	v_div_scale_f64 v[237:238], vcc_lo, v[178:179], v[176:177], v[178:179]
	s_delay_alu instid0(VALU_DEP_2) | instskip(SKIP_2) | instid1(VALU_DEP_1)
	v_rcp_f64_e32 v[182:183], v[180:181]
	s_waitcnt_depctr 0xfff
	v_fma_f64 v[232:233], -v[180:181], v[182:183], 1.0
	v_fma_f64 v[182:183], v[182:183], v[232:233], v[182:183]
	s_delay_alu instid0(VALU_DEP_1) | instskip(NEXT) | instid1(VALU_DEP_1)
	v_fma_f64 v[232:233], -v[180:181], v[182:183], 1.0
	v_fma_f64 v[182:183], v[182:183], v[232:233], v[182:183]
	s_delay_alu instid0(VALU_DEP_1) | instskip(NEXT) | instid1(VALU_DEP_1)
	v_mul_f64 v[232:233], v[237:238], v[182:183]
	v_fma_f64 v[180:181], -v[180:181], v[232:233], v[237:238]
	s_delay_alu instid0(VALU_DEP_1) | instskip(NEXT) | instid1(VALU_DEP_1)
	v_div_fmas_f64 v[180:181], v[180:181], v[182:183], v[232:233]
	v_div_fixup_f64 v[180:181], v[180:181], v[176:177], v[178:179]
	s_delay_alu instid0(VALU_DEP_1) | instskip(NEXT) | instid1(VALU_DEP_1)
	v_fma_f64 v[176:177], v[178:179], v[180:181], v[176:177]
	v_div_scale_f64 v[178:179], null, v[176:177], v[176:177], 1.0
	s_delay_alu instid0(VALU_DEP_1) | instskip(SKIP_2) | instid1(VALU_DEP_1)
	v_rcp_f64_e32 v[182:183], v[178:179]
	s_waitcnt_depctr 0xfff
	v_fma_f64 v[232:233], -v[178:179], v[182:183], 1.0
	v_fma_f64 v[182:183], v[182:183], v[232:233], v[182:183]
	s_delay_alu instid0(VALU_DEP_1) | instskip(NEXT) | instid1(VALU_DEP_1)
	v_fma_f64 v[232:233], -v[178:179], v[182:183], 1.0
	v_fma_f64 v[182:183], v[182:183], v[232:233], v[182:183]
	v_div_scale_f64 v[232:233], vcc_lo, 1.0, v[176:177], 1.0
	s_delay_alu instid0(VALU_DEP_1) | instskip(NEXT) | instid1(VALU_DEP_1)
	v_mul_f64 v[237:238], v[232:233], v[182:183]
	v_fma_f64 v[178:179], -v[178:179], v[237:238], v[232:233]
	s_delay_alu instid0(VALU_DEP_1) | instskip(NEXT) | instid1(VALU_DEP_1)
	v_div_fmas_f64 v[178:179], v[178:179], v[182:183], v[237:238]
	v_div_fixup_f64 v[232:233], v[178:179], v[176:177], 1.0
	s_delay_alu instid0(VALU_DEP_1)
	v_mul_f64 v[182:183], v[180:181], -v[232:233]
.LBB45_196:
	s_or_b32 exec_lo, exec_lo, s3
	ds_store_2addr_b64 v235, v[232:233], v[182:183] offset1:1
.LBB45_197:
	s_or_b32 exec_lo, exec_lo, s4
	s_waitcnt lgkmcnt(0)
	s_barrier
	buffer_gl0_inv
	ds_load_2addr_b64 v[176:179], v235 offset1:1
	s_mov_b32 s3, exec_lo
	v_cmpx_lt_u32_e32 21, v234
	s_cbranch_execz .LBB45_199
; %bb.198:
	s_waitcnt lgkmcnt(0)
	v_mul_f64 v[180:181], v[176:177], v[6:7]
	v_mul_f64 v[6:7], v[178:179], v[6:7]
	s_delay_alu instid0(VALU_DEP_2)
	v_fma_f64 v[232:233], v[178:179], v[4:5], v[180:181]
	ds_load_2addr_b64 v[180:183], v236 offset0:44 offset1:45
	v_fma_f64 v[4:5], v[176:177], v[4:5], -v[6:7]
	s_waitcnt lgkmcnt(0)
	v_mul_f64 v[6:7], v[182:183], v[232:233]
	v_mul_f64 v[236:237], v[180:181], v[232:233]
	s_delay_alu instid0(VALU_DEP_2) | instskip(NEXT) | instid1(VALU_DEP_2)
	v_fma_f64 v[6:7], v[180:181], v[4:5], -v[6:7]
	v_fma_f64 v[180:181], v[182:183], v[4:5], v[236:237]
	s_delay_alu instid0(VALU_DEP_2) | instskip(NEXT) | instid1(VALU_DEP_2)
	v_add_f64 v[0:1], v[0:1], -v[6:7]
	v_add_f64 v[2:3], v[2:3], -v[180:181]
	v_dual_mov_b32 v6, v232 :: v_dual_mov_b32 v7, v233
.LBB45_199:
	s_or_b32 exec_lo, exec_lo, s3
	s_delay_alu instid0(SALU_CYCLE_1)
	s_mov_b32 s4, exec_lo
	s_waitcnt lgkmcnt(0)
	s_barrier
	buffer_gl0_inv
	v_cmpx_eq_u32_e32 22, v234
	s_cbranch_execz .LBB45_206
; %bb.200:
	v_cmp_neq_f64_e32 vcc_lo, 0, v[0:1]
	v_cmp_neq_f64_e64 s3, 0, v[2:3]
	ds_store_2addr_b64 v235, v[0:1], v[2:3] offset1:1
	s_or_b32 s3, vcc_lo, s3
	s_delay_alu instid0(SALU_CYCLE_1)
	s_and_b32 exec_lo, exec_lo, s3
	s_cbranch_execz .LBB45_206
; %bb.201:
	v_cmp_gt_f64_e32 vcc_lo, 0, v[0:1]
	v_cmp_gt_f64_e64 s3, 0, v[2:3]
	v_xor_b32_e32 v180, 0x80000000, v1
	v_xor_b32_e32 v182, 0x80000000, v3
                                        ; implicit-def: $vgpr232_vgpr233
	s_delay_alu instid0(VALU_DEP_2) | instskip(NEXT) | instid1(VALU_DEP_2)
	v_cndmask_b32_e32 v181, v1, v180, vcc_lo
	v_cndmask_b32_e64 v183, v3, v182, s3
	v_cndmask_b32_e32 v180, v0, v0, vcc_lo
	v_cndmask_b32_e64 v182, v2, v2, s3
	s_mov_b32 s3, exec_lo
	s_delay_alu instid0(VALU_DEP_1)
	v_cmpx_ngt_f64_e32 v[180:181], v[182:183]
	s_xor_b32 s3, exec_lo, s3
                                        ; implicit-def: $vgpr180_vgpr181_vgpr182_vgpr183
	s_cbranch_execz .LBB45_203
; %bb.202:
	v_div_scale_f64 v[180:181], null, v[2:3], v[2:3], v[0:1]
	v_div_scale_f64 v[236:237], vcc_lo, v[0:1], v[2:3], v[0:1]
	s_delay_alu instid0(VALU_DEP_2) | instskip(SKIP_2) | instid1(VALU_DEP_1)
	v_rcp_f64_e32 v[182:183], v[180:181]
	s_waitcnt_depctr 0xfff
	v_fma_f64 v[232:233], -v[180:181], v[182:183], 1.0
	v_fma_f64 v[182:183], v[182:183], v[232:233], v[182:183]
	s_delay_alu instid0(VALU_DEP_1) | instskip(NEXT) | instid1(VALU_DEP_1)
	v_fma_f64 v[232:233], -v[180:181], v[182:183], 1.0
	v_fma_f64 v[182:183], v[182:183], v[232:233], v[182:183]
	s_delay_alu instid0(VALU_DEP_1) | instskip(NEXT) | instid1(VALU_DEP_1)
	v_mul_f64 v[232:233], v[236:237], v[182:183]
	v_fma_f64 v[180:181], -v[180:181], v[232:233], v[236:237]
	s_delay_alu instid0(VALU_DEP_1) | instskip(NEXT) | instid1(VALU_DEP_1)
	v_div_fmas_f64 v[180:181], v[180:181], v[182:183], v[232:233]
	v_div_fixup_f64 v[180:181], v[180:181], v[2:3], v[0:1]
	s_delay_alu instid0(VALU_DEP_1) | instskip(NEXT) | instid1(VALU_DEP_1)
	v_fma_f64 v[182:183], v[0:1], v[180:181], v[2:3]
	v_div_scale_f64 v[232:233], null, v[182:183], v[182:183], 1.0
	s_delay_alu instid0(VALU_DEP_1) | instskip(SKIP_2) | instid1(VALU_DEP_1)
	v_rcp_f64_e32 v[236:237], v[232:233]
	s_waitcnt_depctr 0xfff
	v_fma_f64 v[238:239], -v[232:233], v[236:237], 1.0
	v_fma_f64 v[236:237], v[236:237], v[238:239], v[236:237]
	s_delay_alu instid0(VALU_DEP_1) | instskip(NEXT) | instid1(VALU_DEP_1)
	v_fma_f64 v[238:239], -v[232:233], v[236:237], 1.0
	v_fma_f64 v[236:237], v[236:237], v[238:239], v[236:237]
	v_div_scale_f64 v[238:239], vcc_lo, 1.0, v[182:183], 1.0
	s_delay_alu instid0(VALU_DEP_1) | instskip(NEXT) | instid1(VALU_DEP_1)
	v_mul_f64 v[240:241], v[238:239], v[236:237]
	v_fma_f64 v[232:233], -v[232:233], v[240:241], v[238:239]
	s_delay_alu instid0(VALU_DEP_1) | instskip(NEXT) | instid1(VALU_DEP_1)
	v_div_fmas_f64 v[232:233], v[232:233], v[236:237], v[240:241]
	v_div_fixup_f64 v[182:183], v[232:233], v[182:183], 1.0
	s_delay_alu instid0(VALU_DEP_1)
	v_mul_f64 v[232:233], v[180:181], v[182:183]
	v_xor_b32_e32 v183, 0x80000000, v183
.LBB45_203:
	s_and_not1_saveexec_b32 s3, s3
	s_cbranch_execz .LBB45_205
; %bb.204:
	v_div_scale_f64 v[180:181], null, v[0:1], v[0:1], v[2:3]
	v_div_scale_f64 v[236:237], vcc_lo, v[2:3], v[0:1], v[2:3]
	s_delay_alu instid0(VALU_DEP_2) | instskip(SKIP_2) | instid1(VALU_DEP_1)
	v_rcp_f64_e32 v[182:183], v[180:181]
	s_waitcnt_depctr 0xfff
	v_fma_f64 v[232:233], -v[180:181], v[182:183], 1.0
	v_fma_f64 v[182:183], v[182:183], v[232:233], v[182:183]
	s_delay_alu instid0(VALU_DEP_1) | instskip(NEXT) | instid1(VALU_DEP_1)
	v_fma_f64 v[232:233], -v[180:181], v[182:183], 1.0
	v_fma_f64 v[182:183], v[182:183], v[232:233], v[182:183]
	s_delay_alu instid0(VALU_DEP_1) | instskip(NEXT) | instid1(VALU_DEP_1)
	v_mul_f64 v[232:233], v[236:237], v[182:183]
	v_fma_f64 v[180:181], -v[180:181], v[232:233], v[236:237]
	s_delay_alu instid0(VALU_DEP_1) | instskip(NEXT) | instid1(VALU_DEP_1)
	v_div_fmas_f64 v[180:181], v[180:181], v[182:183], v[232:233]
	v_div_fixup_f64 v[180:181], v[180:181], v[0:1], v[2:3]
	s_delay_alu instid0(VALU_DEP_1) | instskip(NEXT) | instid1(VALU_DEP_1)
	v_fma_f64 v[182:183], v[2:3], v[180:181], v[0:1]
	v_div_scale_f64 v[232:233], null, v[182:183], v[182:183], 1.0
	s_delay_alu instid0(VALU_DEP_1) | instskip(SKIP_2) | instid1(VALU_DEP_1)
	v_rcp_f64_e32 v[236:237], v[232:233]
	s_waitcnt_depctr 0xfff
	v_fma_f64 v[238:239], -v[232:233], v[236:237], 1.0
	v_fma_f64 v[236:237], v[236:237], v[238:239], v[236:237]
	s_delay_alu instid0(VALU_DEP_1) | instskip(NEXT) | instid1(VALU_DEP_1)
	v_fma_f64 v[238:239], -v[232:233], v[236:237], 1.0
	v_fma_f64 v[236:237], v[236:237], v[238:239], v[236:237]
	v_div_scale_f64 v[238:239], vcc_lo, 1.0, v[182:183], 1.0
	s_delay_alu instid0(VALU_DEP_1) | instskip(NEXT) | instid1(VALU_DEP_1)
	v_mul_f64 v[240:241], v[238:239], v[236:237]
	v_fma_f64 v[232:233], -v[232:233], v[240:241], v[238:239]
	s_delay_alu instid0(VALU_DEP_1) | instskip(NEXT) | instid1(VALU_DEP_1)
	v_div_fmas_f64 v[232:233], v[232:233], v[236:237], v[240:241]
	v_div_fixup_f64 v[232:233], v[232:233], v[182:183], 1.0
	s_delay_alu instid0(VALU_DEP_1)
	v_mul_f64 v[182:183], v[180:181], -v[232:233]
.LBB45_205:
	s_or_b32 exec_lo, exec_lo, s3
	ds_store_2addr_b64 v235, v[232:233], v[182:183] offset1:1
.LBB45_206:
	s_or_b32 exec_lo, exec_lo, s4
	s_waitcnt lgkmcnt(0)
	s_barrier
	buffer_gl0_inv
	ds_load_2addr_b64 v[180:183], v235 offset1:1
	s_mov_b32 s3, exec_lo
	v_cmpx_lt_u32_e32 22, v234
	s_cbranch_execz .LBB45_208
; %bb.207:
	s_waitcnt lgkmcnt(0)
	v_mul_f64 v[232:233], v[182:183], v[2:3]
	v_mul_f64 v[2:3], v[180:181], v[2:3]
	s_delay_alu instid0(VALU_DEP_2) | instskip(NEXT) | instid1(VALU_DEP_2)
	v_fma_f64 v[232:233], v[180:181], v[0:1], -v[232:233]
	v_fma_f64 v[2:3], v[182:183], v[0:1], v[2:3]
	s_delay_alu instid0(VALU_DEP_2)
	v_dual_mov_b32 v0, v232 :: v_dual_mov_b32 v1, v233
.LBB45_208:
	s_or_b32 exec_lo, exec_lo, s3
	s_waitcnt lgkmcnt(0)
	s_barrier
	buffer_gl0_inv
	s_and_saveexec_b32 s10, s2
	s_cbranch_execz .LBB45_211
; %bb.209:
	s_load_b64 s[0:1], s[0:1], 0x28
	v_lshlrev_b64 v[184:185], 2, v[184:185]
	v_cmp_neq_f64_e64 s2, 0, v[98:99]
	v_cmp_eq_f64_e64 s3, 0, v[100:101]
	v_cmp_eq_f64_e64 s4, 0, v[102:103]
	;; [unrolled: 1-line block ×6, first 2 shown]
	s_waitcnt lgkmcnt(0)
	v_add_co_u32 v184, vcc_lo, s0, v184
	v_add_co_ci_u32_e32 v185, vcc_lo, s1, v185, vcc_lo
	v_cmp_eq_f64_e32 vcc_lo, 0, v[92:93]
	v_cmp_eq_f64_e64 s0, 0, v[94:95]
	v_cmp_neq_f64_e64 s1, 0, v[96:97]
	global_load_b32 v232, v[184:185], off
	s_and_b32 s0, vcc_lo, s0
	s_or_b32 s1, s1, s2
	v_cndmask_b32_e64 v92, 0, 1, s0
	s_or_b32 vcc_lo, s1, s0
	v_cmp_eq_f64_e64 s0, 0, v[114:115]
	s_and_b32 s2, s3, s4
	s_and_b32 s4, s5, s6
	v_cndmask_b32_e32 v92, 2, v92, vcc_lo
	v_cmp_eq_f64_e32 vcc_lo, 0, v[112:113]
	s_and_b32 s6, s7, s8
	s_delay_alu instid0(VALU_DEP_2) | instskip(NEXT) | instid1(VALU_DEP_1)
	v_cmp_eq_u32_e64 s1, 0, v92
	s_and_b32 s1, s2, s1
	v_cmp_eq_f64_e64 s2, 0, v[118:119]
	v_cndmask_b32_e64 v92, v92, 3, s1
	v_cmp_eq_f64_e64 s1, 0, v[116:117]
	s_delay_alu instid0(VALU_DEP_2) | instskip(NEXT) | instid1(VALU_DEP_1)
	v_cmp_eq_u32_e64 s3, 0, v92
	s_and_b32 s3, s4, s3
	v_cmp_eq_f64_e64 s4, 0, v[122:123]
	v_cndmask_b32_e64 v92, v92, 4, s3
	v_cmp_eq_f64_e64 s3, 0, v[120:121]
	;; [unrolled: 6-line block ×3, first 2 shown]
	s_and_b32 s0, vcc_lo, s0
	v_cmp_eq_f64_e32 vcc_lo, 0, v[128:129]
	s_delay_alu instid0(VALU_DEP_3) | instskip(NEXT) | instid1(VALU_DEP_1)
	v_cmp_eq_u32_e64 s7, 0, v92
	s_and_b32 s0, s0, s7
	s_delay_alu instid0(SALU_CYCLE_1) | instskip(SKIP_3) | instid1(VALU_DEP_3)
	v_cndmask_b32_e64 v92, v92, 6, s0
	v_cmp_eq_f64_e64 s0, 0, v[130:131]
	s_and_b32 s1, s1, s2
	v_cmp_eq_f64_e64 s2, 0, v[134:135]
	v_cmp_eq_u32_e64 s7, 0, v92
	s_delay_alu instid0(VALU_DEP_1) | instskip(NEXT) | instid1(SALU_CYCLE_1)
	s_and_b32 s1, s1, s7
	v_cndmask_b32_e64 v92, v92, 7, s1
	v_cmp_eq_f64_e64 s1, 0, v[132:133]
	s_and_b32 s3, s3, s4
	v_cmp_eq_f64_e64 s4, 0, v[138:139]
	s_delay_alu instid0(VALU_DEP_3) | instskip(NEXT) | instid1(VALU_DEP_1)
	v_cmp_eq_u32_e64 s7, 0, v92
	s_and_b32 s3, s3, s7
	s_delay_alu instid0(SALU_CYCLE_1) | instskip(SKIP_3) | instid1(VALU_DEP_3)
	v_cndmask_b32_e64 v92, v92, 8, s3
	v_cmp_eq_f64_e64 s3, 0, v[136:137]
	s_and_b32 s5, s5, s6
	v_cmp_eq_f64_e64 s6, 0, v[142:143]
	v_cmp_eq_u32_e64 s7, 0, v92
	s_delay_alu instid0(VALU_DEP_1) | instskip(NEXT) | instid1(SALU_CYCLE_1)
	s_and_b32 s5, s5, s7
	v_cndmask_b32_e64 v92, v92, 9, s5
	v_cmp_eq_f64_e64 s5, 0, v[140:141]
	s_and_b32 s0, vcc_lo, s0
	v_cmp_eq_f64_e32 vcc_lo, 0, v[144:145]
	s_delay_alu instid0(VALU_DEP_3) | instskip(NEXT) | instid1(VALU_DEP_1)
	v_cmp_eq_u32_e64 s7, 0, v92
	s_and_b32 s0, s0, s7
	s_delay_alu instid0(SALU_CYCLE_1) | instskip(SKIP_3) | instid1(VALU_DEP_3)
	v_cndmask_b32_e64 v92, v92, 10, s0
	v_cmp_eq_f64_e64 s0, 0, v[146:147]
	s_and_b32 s1, s1, s2
	v_cmp_eq_f64_e64 s2, 0, v[150:151]
	v_cmp_eq_u32_e64 s7, 0, v92
	s_delay_alu instid0(VALU_DEP_1) | instskip(NEXT) | instid1(SALU_CYCLE_1)
	s_and_b32 s1, s1, s7
	v_cndmask_b32_e64 v92, v92, 11, s1
	v_cmp_eq_f64_e64 s1, 0, v[148:149]
	s_and_b32 s3, s3, s4
	v_cmp_eq_f64_e64 s4, 0, v[154:155]
	s_delay_alu instid0(VALU_DEP_3) | instskip(NEXT) | instid1(VALU_DEP_1)
	v_cmp_eq_u32_e64 s7, 0, v92
	s_and_b32 s3, s3, s7
	s_delay_alu instid0(SALU_CYCLE_1) | instskip(SKIP_3) | instid1(VALU_DEP_3)
	v_cndmask_b32_e64 v92, v92, 12, s3
	v_cmp_eq_f64_e64 s3, 0, v[152:153]
	s_and_b32 s5, s5, s6
	v_cmp_eq_f64_e64 s6, 0, v[158:159]
	v_cmp_eq_u32_e64 s7, 0, v92
	s_delay_alu instid0(VALU_DEP_1) | instskip(NEXT) | instid1(SALU_CYCLE_1)
	s_and_b32 s5, s5, s7
	v_cndmask_b32_e64 v92, v92, 13, s5
	v_cmp_eq_f64_e64 s5, 0, v[156:157]
	;; [unrolled: 30-line block ×3, first 2 shown]
	s_and_b32 s0, vcc_lo, s0
	v_cmp_eq_f64_e32 vcc_lo, 0, v[176:177]
	s_delay_alu instid0(VALU_DEP_3) | instskip(NEXT) | instid1(VALU_DEP_1)
	v_cmp_eq_u32_e64 s7, 0, v92
	s_and_b32 s0, s0, s7
	s_delay_alu instid0(SALU_CYCLE_1) | instskip(SKIP_3) | instid1(VALU_DEP_3)
	v_cndmask_b32_e64 v92, v92, 18, s0
	v_cmp_eq_f64_e64 s0, 0, v[178:179]
	s_and_b32 s1, s1, s2
	v_cmp_eq_f64_e64 s2, 0, v[182:183]
	v_cmp_eq_u32_e64 s7, 0, v92
	s_delay_alu instid0(VALU_DEP_1) | instskip(NEXT) | instid1(SALU_CYCLE_1)
	s_and_b32 s1, s1, s7
	v_cndmask_b32_e64 v92, v92, 19, s1
	v_cmp_eq_f64_e64 s1, 0, v[180:181]
	s_and_b32 s3, s3, s4
	s_delay_alu instid0(VALU_DEP_2) | instskip(NEXT) | instid1(VALU_DEP_1)
	v_cmp_eq_u32_e64 s7, 0, v92
	s_and_b32 s3, s3, s7
	s_delay_alu instid0(SALU_CYCLE_1) | instskip(SKIP_1) | instid1(VALU_DEP_1)
	v_cndmask_b32_e64 v92, v92, 20, s3
	s_and_b32 s4, s5, s6
	v_cmp_eq_u32_e64 s3, 0, v92
	s_delay_alu instid0(VALU_DEP_1) | instskip(NEXT) | instid1(SALU_CYCLE_1)
	s_and_b32 s3, s4, s3
	v_cndmask_b32_e64 v92, v92, 21, s3
	s_and_b32 s0, vcc_lo, s0
	s_delay_alu instid0(VALU_DEP_1) | instskip(NEXT) | instid1(VALU_DEP_1)
	v_cmp_eq_u32_e64 s3, 0, v92
	s_and_b32 s0, s0, s3
	s_delay_alu instid0(SALU_CYCLE_1) | instskip(SKIP_1) | instid1(VALU_DEP_1)
	v_cndmask_b32_e64 v92, v92, 22, s0
	s_and_b32 s0, s1, s2
	v_cmp_eq_u32_e32 vcc_lo, 0, v92
	s_and_b32 s0, s0, vcc_lo
	s_delay_alu instid0(SALU_CYCLE_1) | instskip(NEXT) | instid1(VALU_DEP_1)
	v_cndmask_b32_e64 v92, v92, 23, s0
	v_cmp_ne_u32_e64 s0, 0, v92
	s_waitcnt vmcnt(0)
	v_cmp_eq_u32_e32 vcc_lo, 0, v232
	s_delay_alu instid0(VALU_DEP_2) | instskip(NEXT) | instid1(SALU_CYCLE_1)
	s_and_b32 s0, vcc_lo, s0
	s_and_b32 exec_lo, exec_lo, s0
	s_cbranch_execz .LBB45_211
; %bb.210:
	v_add_nc_u32_e32 v92, s9, v92
	global_store_b32 v[184:185], v92, off
.LBB45_211:
	s_or_b32 exec_lo, exec_lo, s10
	s_clause 0x16
	global_store_b128 v[228:229], v[88:91], off
	global_store_b128 v[230:231], v[84:87], off
	;; [unrolled: 1-line block ×23, first 2 shown]
.LBB45_212:
	s_nop 0
	s_sendmsg sendmsg(MSG_DEALLOC_VGPRS)
	s_endpgm
	.section	.rodata,"a",@progbits
	.p2align	6, 0x0
	.amdhsa_kernel _ZN9rocsolver6v33100L23getf2_npvt_small_kernelILi23E19rocblas_complex_numIdEiiPKPS3_EEvT1_T3_lS7_lPT2_S7_S7_
		.amdhsa_group_segment_fixed_size 0
		.amdhsa_private_segment_fixed_size 0
		.amdhsa_kernarg_size 312
		.amdhsa_user_sgpr_count 14
		.amdhsa_user_sgpr_dispatch_ptr 0
		.amdhsa_user_sgpr_queue_ptr 0
		.amdhsa_user_sgpr_kernarg_segment_ptr 1
		.amdhsa_user_sgpr_dispatch_id 0
		.amdhsa_user_sgpr_private_segment_size 0
		.amdhsa_wavefront_size32 1
		.amdhsa_uses_dynamic_stack 0
		.amdhsa_enable_private_segment 0
		.amdhsa_system_sgpr_workgroup_id_x 1
		.amdhsa_system_sgpr_workgroup_id_y 1
		.amdhsa_system_sgpr_workgroup_id_z 0
		.amdhsa_system_sgpr_workgroup_info 0
		.amdhsa_system_vgpr_workitem_id 1
		.amdhsa_next_free_vgpr 251
		.amdhsa_next_free_sgpr 16
		.amdhsa_reserve_vcc 1
		.amdhsa_float_round_mode_32 0
		.amdhsa_float_round_mode_16_64 0
		.amdhsa_float_denorm_mode_32 3
		.amdhsa_float_denorm_mode_16_64 3
		.amdhsa_dx10_clamp 1
		.amdhsa_ieee_mode 1
		.amdhsa_fp16_overflow 0
		.amdhsa_workgroup_processor_mode 1
		.amdhsa_memory_ordered 1
		.amdhsa_forward_progress 0
		.amdhsa_shared_vgpr_count 0
		.amdhsa_exception_fp_ieee_invalid_op 0
		.amdhsa_exception_fp_denorm_src 0
		.amdhsa_exception_fp_ieee_div_zero 0
		.amdhsa_exception_fp_ieee_overflow 0
		.amdhsa_exception_fp_ieee_underflow 0
		.amdhsa_exception_fp_ieee_inexact 0
		.amdhsa_exception_int_div_zero 0
	.end_amdhsa_kernel
	.section	.text._ZN9rocsolver6v33100L23getf2_npvt_small_kernelILi23E19rocblas_complex_numIdEiiPKPS3_EEvT1_T3_lS7_lPT2_S7_S7_,"axG",@progbits,_ZN9rocsolver6v33100L23getf2_npvt_small_kernelILi23E19rocblas_complex_numIdEiiPKPS3_EEvT1_T3_lS7_lPT2_S7_S7_,comdat
.Lfunc_end45:
	.size	_ZN9rocsolver6v33100L23getf2_npvt_small_kernelILi23E19rocblas_complex_numIdEiiPKPS3_EEvT1_T3_lS7_lPT2_S7_S7_, .Lfunc_end45-_ZN9rocsolver6v33100L23getf2_npvt_small_kernelILi23E19rocblas_complex_numIdEiiPKPS3_EEvT1_T3_lS7_lPT2_S7_S7_
                                        ; -- End function
	.section	.AMDGPU.csdata,"",@progbits
; Kernel info:
; codeLenInByte = 38396
; NumSgprs: 18
; NumVgprs: 251
; ScratchSize: 0
; MemoryBound: 1
; FloatMode: 240
; IeeeMode: 1
; LDSByteSize: 0 bytes/workgroup (compile time only)
; SGPRBlocks: 2
; VGPRBlocks: 31
; NumSGPRsForWavesPerEU: 18
; NumVGPRsForWavesPerEU: 251
; Occupancy: 5
; WaveLimiterHint : 1
; COMPUTE_PGM_RSRC2:SCRATCH_EN: 0
; COMPUTE_PGM_RSRC2:USER_SGPR: 14
; COMPUTE_PGM_RSRC2:TRAP_HANDLER: 0
; COMPUTE_PGM_RSRC2:TGID_X_EN: 1
; COMPUTE_PGM_RSRC2:TGID_Y_EN: 1
; COMPUTE_PGM_RSRC2:TGID_Z_EN: 0
; COMPUTE_PGM_RSRC2:TIDIG_COMP_CNT: 1
	.section	.text._ZN9rocsolver6v33100L18getf2_small_kernelILi24E19rocblas_complex_numIdEiiPKPS3_EEvT1_T3_lS7_lPS7_llPT2_S7_S7_S9_l,"axG",@progbits,_ZN9rocsolver6v33100L18getf2_small_kernelILi24E19rocblas_complex_numIdEiiPKPS3_EEvT1_T3_lS7_lPS7_llPT2_S7_S7_S9_l,comdat
	.globl	_ZN9rocsolver6v33100L18getf2_small_kernelILi24E19rocblas_complex_numIdEiiPKPS3_EEvT1_T3_lS7_lPS7_llPT2_S7_S7_S9_l ; -- Begin function _ZN9rocsolver6v33100L18getf2_small_kernelILi24E19rocblas_complex_numIdEiiPKPS3_EEvT1_T3_lS7_lPS7_llPT2_S7_S7_S9_l
	.p2align	8
	.type	_ZN9rocsolver6v33100L18getf2_small_kernelILi24E19rocblas_complex_numIdEiiPKPS3_EEvT1_T3_lS7_lPS7_llPT2_S7_S7_S9_l,@function
_ZN9rocsolver6v33100L18getf2_small_kernelILi24E19rocblas_complex_numIdEiiPKPS3_EEvT1_T3_lS7_lPS7_llPT2_S7_S7_S9_l: ; @_ZN9rocsolver6v33100L18getf2_small_kernelILi24E19rocblas_complex_numIdEiiPKPS3_EEvT1_T3_lS7_lPS7_llPT2_S7_S7_S9_l
; %bb.0:
	s_clause 0x1
	s_load_b32 s2, s[0:1], 0x6c
	s_load_b64 s[12:13], s[0:1], 0x48
	v_bfe_u32 v96, v0, 10, 10
	s_waitcnt lgkmcnt(0)
	s_lshr_b32 s2, s2, 16
	s_delay_alu instid0(VALU_DEP_1) | instid1(SALU_CYCLE_1)
	v_mad_u64_u32 v[7:8], null, s15, s2, v[96:97]
	s_mov_b32 s2, exec_lo
	s_delay_alu instid0(VALU_DEP_1)
	v_cmpx_gt_i32_e64 s12, v7
	s_cbranch_execz .LBB46_507
; %bb.1:
	s_clause 0x1
	s_load_b128 s[4:7], s[0:1], 0x8
	s_load_b128 s[8:11], s[0:1], 0x50
	v_ashrrev_i32_e32 v8, 31, v7
	v_mov_b32_e32 v3, 0
	v_mov_b32_e32 v4, 0
	s_delay_alu instid0(VALU_DEP_3)
	v_lshlrev_b64 v[1:2], 3, v[7:8]
	scratch_store_b64 off, v[3:4], off offset:16 ; 8-byte Folded Spill
	s_waitcnt lgkmcnt(0)
	v_add_co_u32 v1, vcc_lo, s4, v1
	v_add_co_ci_u32_e32 v2, vcc_lo, s5, v2, vcc_lo
	s_cmp_eq_u64 s[8:9], 0
	s_cselect_b32 s4, -1, 0
	global_load_b64 v[1:2], v[1:2], off
	s_and_b32 vcc_lo, exec_lo, s4
	s_cbranch_vccnz .LBB46_3
; %bb.2:
	v_mul_lo_u32 v5, v8, s10
	v_mul_lo_u32 v6, v7, s11
	v_mad_u64_u32 v[3:4], null, v7, s10, 0
	s_delay_alu instid0(VALU_DEP_1) | instskip(NEXT) | instid1(VALU_DEP_1)
	v_add3_u32 v4, v4, v6, v5
	v_lshlrev_b64 v[3:4], 2, v[3:4]
	s_delay_alu instid0(VALU_DEP_1) | instskip(NEXT) | instid1(VALU_DEP_2)
	v_add_co_u32 v3, vcc_lo, s8, v3
	v_add_co_ci_u32_e32 v4, vcc_lo, s9, v4, vcc_lo
	scratch_store_b64 off, v[3:4], off offset:16 ; 8-byte Folded Spill
.LBB46_3:
	s_clause 0x1
	s_load_b32 s8, s[0:1], 0x18
	s_load_b32 s5, s[0:1], 0x0
	v_and_b32_e32 v78, 0x3ff, v0
	s_lshl_b64 s[2:3], s[6:7], 4
	scratch_store_b64 off, v[7:8], off offset:24 ; 8-byte Folded Spill
	s_waitcnt vmcnt(0)
	v_add_co_u32 v94, vcc_lo, v1, s2
	v_lshlrev_b32_e32 v48, 4, v78
	v_add_co_ci_u32_e32 v255, vcc_lo, s3, v2, vcc_lo
	v_mov_b32_e32 v104, 0
	s_delay_alu instid0(VALU_DEP_3) | instskip(NEXT) | instid1(VALU_DEP_3)
	v_add_co_u32 v2, vcc_lo, v94, v48
	v_add_co_ci_u32_e32 v3, vcc_lo, 0, v255, vcc_lo
	s_waitcnt lgkmcnt(0)
	v_add3_u32 v0, s8, s8, v78
	s_ashr_i32 s9, s8, 31
	s_max_i32 s2, s5, 24
	s_lshl_b64 s[10:11], s[8:9], 4
	v_mul_lo_u32 v49, s2, v96
	v_add_nc_u32_e32 v4, s8, v0
	v_ashrrev_i32_e32 v1, 31, v0
	v_add_co_u32 v6, vcc_lo, v2, s10
	v_add_co_ci_u32_e32 v7, vcc_lo, s11, v3, vcc_lo
	s_delay_alu instid0(VALU_DEP_4)
	v_ashrrev_i32_e32 v5, 31, v4
	v_add_nc_u32_e32 v8, s8, v4
	v_lshlrev_b64 v[0:1], 4, v[0:1]
	s_clause 0x1
	global_load_b128 v[90:93], v[2:3], off
	global_load_b128 v[239:242], v[6:7], off
	v_lshl_add_u32 v106, v49, 4, 0
	v_lshlrev_b64 v[2:3], 4, v[4:5]
	v_ashrrev_i32_e32 v9, 31, v8
	v_add_nc_u32_e32 v4, s8, v8
	v_add_co_u32 v0, vcc_lo, v94, v0
	v_add_co_ci_u32_e32 v1, vcc_lo, v255, v1, vcc_lo
	s_delay_alu instid0(VALU_DEP_4) | instskip(NEXT) | instid1(VALU_DEP_4)
	v_lshlrev_b64 v[6:7], 4, v[8:9]
	v_add_nc_u32_e32 v8, s8, v4
	v_ashrrev_i32_e32 v5, 31, v4
	v_add_co_u32 v2, vcc_lo, v94, v2
	v_add_co_ci_u32_e32 v3, vcc_lo, v255, v3, vcc_lo
	s_delay_alu instid0(VALU_DEP_4) | instskip(NEXT) | instid1(VALU_DEP_4)
	v_add_nc_u32_e32 v10, s8, v8
	v_lshlrev_b64 v[4:5], 4, v[4:5]
	v_ashrrev_i32_e32 v9, 31, v8
	s_clause 0x1
	global_load_b128 v[251:254], v[0:1], off
	global_load_b128 v[107:110], v[2:3], off
	v_add_co_u32 v0, vcc_lo, v94, v6
	v_ashrrev_i32_e32 v11, 31, v10
	v_add_nc_u32_e32 v6, s8, v10
	v_add_co_ci_u32_e32 v1, vcc_lo, v255, v7, vcc_lo
	v_lshlrev_b64 v[2:3], 4, v[8:9]
	v_add_co_u32 v4, vcc_lo, v94, v4
	v_add_co_ci_u32_e32 v5, vcc_lo, v255, v5, vcc_lo
	v_lshlrev_b64 v[8:9], 4, v[10:11]
	v_add_nc_u32_e32 v10, s8, v6
	v_ashrrev_i32_e32 v7, 31, v6
	s_clause 0x1
	global_load_b128 v[243:246], v[0:1], off
	global_load_b128 v[247:250], v[4:5], off
	v_add_co_u32 v0, vcc_lo, v94, v2
	v_add_co_ci_u32_e32 v1, vcc_lo, v255, v3, vcc_lo
	v_ashrrev_i32_e32 v11, 31, v10
	v_lshlrev_b64 v[2:3], 4, v[6:7]
	v_add_co_u32 v6, vcc_lo, v94, v8
	v_add_co_ci_u32_e32 v7, vcc_lo, v255, v9, vcc_lo
	s_delay_alu instid0(VALU_DEP_4)
	v_lshlrev_b64 v[8:9], 4, v[10:11]
	global_load_b128 v[11:14], v[0:1], off
	v_add_nc_u32_e32 v4, s8, v10
	global_load_b128 v[68:71], v[6:7], off
	v_add_co_u32 v0, vcc_lo, v94, v2
	v_add_co_ci_u32_e32 v1, vcc_lo, v255, v3, vcc_lo
	v_ashrrev_i32_e32 v5, 31, v4
	v_add_nc_u32_e32 v10, s8, v4
	v_add_co_u32 v6, vcc_lo, v94, v8
	v_add_co_ci_u32_e32 v7, vcc_lo, v255, v9, vcc_lo
	s_delay_alu instid0(VALU_DEP_4) | instskip(NEXT) | instid1(VALU_DEP_4)
	v_lshlrev_b64 v[2:3], 4, v[4:5]
	v_add_nc_u32_e32 v4, s8, v10
	v_add_nc_u32_e32 v48, v106, v48
	v_lshlrev_b32_e32 v87, 4, v49
	s_cmp_lt_i32 s5, 2
	s_delay_alu instid0(VALU_DEP_3)
	v_ashrrev_i32_e32 v5, 31, v4
	s_waitcnt vmcnt(1)
	scratch_store_b128 off, v[11:14], off   ; 16-byte Folded Spill
	v_ashrrev_i32_e32 v11, 31, v10
	s_clause 0x1
	global_load_b128 v[72:75], v[0:1], off
	global_load_b128 v[56:59], v[6:7], off
	v_add_co_u32 v0, vcc_lo, v94, v2
	v_add_co_ci_u32_e32 v1, vcc_lo, v255, v3, vcc_lo
	v_lshlrev_b64 v[8:9], 4, v[10:11]
	v_add_nc_u32_e32 v10, s8, v4
	v_lshlrev_b64 v[2:3], 4, v[4:5]
	s_delay_alu instid0(VALU_DEP_2) | instskip(SKIP_3) | instid1(VALU_DEP_4)
	v_ashrrev_i32_e32 v11, 31, v10
	v_add_nc_u32_e32 v4, s8, v10
	v_add_co_u32 v6, vcc_lo, v94, v8
	v_add_co_ci_u32_e32 v7, vcc_lo, v255, v9, vcc_lo
	v_lshlrev_b64 v[8:9], 4, v[10:11]
	s_delay_alu instid0(VALU_DEP_4)
	v_ashrrev_i32_e32 v5, 31, v4
	v_add_nc_u32_e32 v10, s8, v4
	s_clause 0x1
	global_load_b128 v[64:67], v[0:1], off
	global_load_b128 v[60:63], v[6:7], off
	v_add_co_u32 v0, vcc_lo, v94, v2
	v_add_co_ci_u32_e32 v1, vcc_lo, v255, v3, vcc_lo
	v_lshlrev_b64 v[2:3], 4, v[4:5]
	v_ashrrev_i32_e32 v11, 31, v10
	v_add_nc_u32_e32 v4, s8, v10
	v_add_co_u32 v6, vcc_lo, v94, v8
	v_add_co_ci_u32_e32 v7, vcc_lo, v255, v9, vcc_lo
	s_delay_alu instid0(VALU_DEP_4) | instskip(NEXT) | instid1(VALU_DEP_4)
	v_lshlrev_b64 v[8:9], 4, v[10:11]
	v_ashrrev_i32_e32 v5, 31, v4
	v_add_nc_u32_e32 v10, s8, v4
	s_clause 0x1
	global_load_b128 v[44:47], v[0:1], off
	global_load_b128 v[40:43], v[6:7], off
	v_add_co_u32 v0, vcc_lo, v94, v2
	v_add_co_ci_u32_e32 v1, vcc_lo, v255, v3, vcc_lo
	v_lshlrev_b64 v[2:3], 4, v[4:5]
	v_ashrrev_i32_e32 v11, 31, v10
	v_add_nc_u32_e32 v4, s8, v10
	v_add_co_u32 v6, vcc_lo, v94, v8
	v_add_co_ci_u32_e32 v7, vcc_lo, v255, v9, vcc_lo
	s_delay_alu instid0(VALU_DEP_4) | instskip(NEXT) | instid1(VALU_DEP_4)
	v_lshlrev_b64 v[8:9], 4, v[10:11]
	;; [unrolled: 14-line block ×4, first 2 shown]
	v_add_nc_u32_e32 v10, s8, v4
	v_ashrrev_i32_e32 v5, 31, v4
	v_add_co_u32 v2, vcc_lo, v94, v2
	v_add_co_ci_u32_e32 v3, vcc_lo, v255, v3, vcc_lo
	s_delay_alu instid0(VALU_DEP_4) | instskip(NEXT) | instid1(VALU_DEP_4)
	v_ashrrev_i32_e32 v11, 31, v10
	v_lshlrev_b64 v[4:5], 4, v[4:5]
	v_add_co_u32 v8, vcc_lo, v94, v8
	v_add_co_ci_u32_e32 v9, vcc_lo, v255, v9, vcc_lo
	s_delay_alu instid0(VALU_DEP_4) | instskip(NEXT) | instid1(VALU_DEP_4)
	v_lshlrev_b64 v[10:11], 4, v[10:11]
	v_add_co_u32 v4, vcc_lo, v94, v4
	v_add_co_ci_u32_e32 v5, vcc_lo, v255, v5, vcc_lo
	s_delay_alu instid0(VALU_DEP_3) | instskip(NEXT) | instid1(VALU_DEP_4)
	v_add_co_u32 v97, vcc_lo, v94, v10
	v_add_co_ci_u32_e32 v98, vcc_lo, v255, v11, vcc_lo
	s_clause 0x5
	global_load_b128 v[24:27], v[0:1], off
	global_load_b128 v[16:19], v[6:7], off
	;; [unrolled: 1-line block ×6, first 2 shown]
	ds_store_2addr_b64 v48, v[90:91], v[92:93] offset1:1
	s_waitcnt vmcnt(0) lgkmcnt(0)
	s_waitcnt_vscnt null, 0x0
	s_barrier
	buffer_gl0_inv
	ds_load_2addr_b64 v[96:99], v106 offset1:1
	s_cbranch_scc1 .LBB46_6
; %bb.4:
	v_add3_u32 v105, v87, 0, 16
	v_mov_b32_e32 v104, 0
	s_mov_b32 s6, 1
	s_set_inst_prefetch_distance 0x1
	.p2align	6
.LBB46_5:                               ; =>This Inner Loop Header: Depth=1
	ds_load_2addr_b64 v[112:115], v105 offset1:1
	s_waitcnt lgkmcnt(1)
	v_cmp_gt_f64_e32 vcc_lo, 0, v[96:97]
	v_xor_b32_e32 v48, 0x80000000, v97
	v_cmp_gt_f64_e64 s2, 0, v[98:99]
	v_xor_b32_e32 v49, 0x80000000, v99
	v_add_nc_u32_e32 v105, 16, v105
	s_waitcnt lgkmcnt(0)
	v_cmp_gt_f64_e64 s3, 0, v[112:113]
	v_mov_b32_e32 v120, v112
	v_dual_mov_b32 v122, v114 :: v_dual_cndmask_b32 v117, v97, v48
	v_xor_b32_e32 v48, 0x80000000, v113
	v_cndmask_b32_e64 v119, v99, v49, s2
	v_xor_b32_e32 v49, 0x80000000, v115
	v_cndmask_b32_e32 v116, v96, v96, vcc_lo
	v_cndmask_b32_e64 v118, v98, v98, s2
	s_delay_alu instid0(VALU_DEP_1) | instskip(SKIP_2) | instid1(VALU_DEP_1)
	v_add_f64 v[116:117], v[116:117], v[118:119]
	v_cndmask_b32_e64 v121, v113, v48, s3
	v_cmp_gt_f64_e64 s3, 0, v[114:115]
	v_cndmask_b32_e64 v123, v115, v49, s3
	s_delay_alu instid0(VALU_DEP_1) | instskip(NEXT) | instid1(VALU_DEP_1)
	v_add_f64 v[120:121], v[120:121], v[122:123]
	v_cmp_lt_f64_e32 vcc_lo, v[116:117], v[120:121]
	v_cndmask_b32_e32 v99, v99, v115, vcc_lo
	v_dual_cndmask_b32 v97, v97, v113 :: v_dual_cndmask_b32 v96, v96, v112
	v_cndmask_b32_e32 v98, v98, v114, vcc_lo
	v_cndmask_b32_e64 v104, v104, s6, vcc_lo
	s_add_i32 s6, s6, 1
	s_delay_alu instid0(SALU_CYCLE_1)
	s_cmp_eq_u32 s5, s6
	s_cbranch_scc0 .LBB46_5
.LBB46_6:
	s_set_inst_prefetch_distance 0x2
	s_waitcnt lgkmcnt(0)
	v_cmp_neq_f64_e32 vcc_lo, 0, v[96:97]
	v_cmp_neq_f64_e64 s2, 0, v[98:99]
	v_dual_mov_b32 v86, 1 :: v_dual_mov_b32 v113, 1
	s_delay_alu instid0(VALU_DEP_2) | instskip(NEXT) | instid1(SALU_CYCLE_1)
	s_or_b32 s2, vcc_lo, s2
	s_and_saveexec_b32 s3, s2
	s_cbranch_execz .LBB46_12
; %bb.7:
	v_cmp_gt_f64_e32 vcc_lo, 0, v[96:97]
	v_cmp_gt_f64_e64 s2, 0, v[98:99]
	v_xor_b32_e32 v48, 0x80000000, v97
	v_xor_b32_e32 v49, 0x80000000, v99
                                        ; implicit-def: $sgpr6
                                        ; implicit-def: $sgpr7
	s_delay_alu instid0(VALU_DEP_2) | instskip(NEXT) | instid1(VALU_DEP_2)
	v_cndmask_b32_e32 v113, v97, v48, vcc_lo
	v_cndmask_b32_e64 v115, v99, v49, s2
	v_cndmask_b32_e32 v112, v96, v96, vcc_lo
	v_cndmask_b32_e64 v114, v98, v98, s2
	s_mov_b32 s2, exec_lo
	s_delay_alu instid0(VALU_DEP_1)
	v_cmpx_ngt_f64_e32 v[112:113], v[114:115]
	s_xor_b32 s2, exec_lo, s2
	s_cbranch_execz .LBB46_9
; %bb.8:
	v_div_scale_f64 v[112:113], null, v[98:99], v[98:99], v[96:97]
	v_div_scale_f64 v[118:119], vcc_lo, v[96:97], v[98:99], v[96:97]
	s_mov_b32 s7, 2
	s_mov_b32 s6, 0
	s_delay_alu instid0(VALU_DEP_2) | instskip(SKIP_2) | instid1(VALU_DEP_1)
	v_rcp_f64_e32 v[114:115], v[112:113]
	s_waitcnt_depctr 0xfff
	v_fma_f64 v[116:117], -v[112:113], v[114:115], 1.0
	v_fma_f64 v[114:115], v[114:115], v[116:117], v[114:115]
	s_delay_alu instid0(VALU_DEP_1) | instskip(NEXT) | instid1(VALU_DEP_1)
	v_fma_f64 v[116:117], -v[112:113], v[114:115], 1.0
	v_fma_f64 v[114:115], v[114:115], v[116:117], v[114:115]
	s_delay_alu instid0(VALU_DEP_1) | instskip(NEXT) | instid1(VALU_DEP_1)
	v_mul_f64 v[116:117], v[118:119], v[114:115]
	v_fma_f64 v[112:113], -v[112:113], v[116:117], v[118:119]
	s_delay_alu instid0(VALU_DEP_1) | instskip(NEXT) | instid1(VALU_DEP_1)
	v_div_fmas_f64 v[112:113], v[112:113], v[114:115], v[116:117]
	v_div_fixup_f64 v[112:113], v[112:113], v[98:99], v[96:97]
	s_delay_alu instid0(VALU_DEP_1) | instskip(NEXT) | instid1(VALU_DEP_1)
	v_fma_f64 v[96:97], v[96:97], v[112:113], v[98:99]
	v_div_scale_f64 v[98:99], null, v[96:97], v[96:97], 1.0
	s_delay_alu instid0(VALU_DEP_1) | instskip(SKIP_2) | instid1(VALU_DEP_1)
	v_rcp_f64_e32 v[114:115], v[98:99]
	s_waitcnt_depctr 0xfff
	v_fma_f64 v[116:117], -v[98:99], v[114:115], 1.0
	v_fma_f64 v[114:115], v[114:115], v[116:117], v[114:115]
	s_delay_alu instid0(VALU_DEP_1) | instskip(NEXT) | instid1(VALU_DEP_1)
	v_fma_f64 v[116:117], -v[98:99], v[114:115], 1.0
	v_fma_f64 v[114:115], v[114:115], v[116:117], v[114:115]
	v_div_scale_f64 v[116:117], vcc_lo, 1.0, v[96:97], 1.0
	s_delay_alu instid0(VALU_DEP_1) | instskip(NEXT) | instid1(VALU_DEP_1)
	v_mul_f64 v[118:119], v[116:117], v[114:115]
	v_fma_f64 v[98:99], -v[98:99], v[118:119], v[116:117]
	s_delay_alu instid0(VALU_DEP_1) | instskip(NEXT) | instid1(VALU_DEP_1)
	v_div_fmas_f64 v[98:99], v[98:99], v[114:115], v[118:119]
	v_div_fixup_f64 v[98:99], v[98:99], v[96:97], 1.0
	s_delay_alu instid0(VALU_DEP_1)
	v_mul_f64 v[96:97], v[112:113], v[98:99]
	v_xor_b32_e32 v99, 0x80000000, v99
.LBB46_9:
	s_or_saveexec_b32 s2, s2
	v_dual_mov_b32 v113, s6 :: v_dual_mov_b32 v86, s7
	s_xor_b32 exec_lo, exec_lo, s2
	s_cbranch_execz .LBB46_11
; %bb.10:
	s_delay_alu instid0(VALU_DEP_3) | instskip(SKIP_2) | instid1(VALU_DEP_3)
	v_div_scale_f64 v[112:113], null, v[96:97], v[96:97], v[98:99]
	v_div_scale_f64 v[118:119], vcc_lo, v[98:99], v[96:97], v[98:99]
	v_mov_b32_e32 v86, 2
	v_rcp_f64_e32 v[114:115], v[112:113]
	s_waitcnt_depctr 0xfff
	v_fma_f64 v[116:117], -v[112:113], v[114:115], 1.0
	s_delay_alu instid0(VALU_DEP_1) | instskip(NEXT) | instid1(VALU_DEP_1)
	v_fma_f64 v[114:115], v[114:115], v[116:117], v[114:115]
	v_fma_f64 v[116:117], -v[112:113], v[114:115], 1.0
	s_delay_alu instid0(VALU_DEP_1) | instskip(NEXT) | instid1(VALU_DEP_1)
	v_fma_f64 v[114:115], v[114:115], v[116:117], v[114:115]
	v_mul_f64 v[116:117], v[118:119], v[114:115]
	s_delay_alu instid0(VALU_DEP_1) | instskip(NEXT) | instid1(VALU_DEP_1)
	v_fma_f64 v[112:113], -v[112:113], v[116:117], v[118:119]
	v_div_fmas_f64 v[112:113], v[112:113], v[114:115], v[116:117]
	s_delay_alu instid0(VALU_DEP_1) | instskip(NEXT) | instid1(VALU_DEP_1)
	v_div_fixup_f64 v[112:113], v[112:113], v[96:97], v[98:99]
	v_fma_f64 v[96:97], v[98:99], v[112:113], v[96:97]
	s_delay_alu instid0(VALU_DEP_1) | instskip(NEXT) | instid1(VALU_DEP_1)
	v_div_scale_f64 v[98:99], null, v[96:97], v[96:97], 1.0
	v_rcp_f64_e32 v[114:115], v[98:99]
	s_waitcnt_depctr 0xfff
	v_fma_f64 v[116:117], -v[98:99], v[114:115], 1.0
	s_delay_alu instid0(VALU_DEP_1) | instskip(NEXT) | instid1(VALU_DEP_1)
	v_fma_f64 v[114:115], v[114:115], v[116:117], v[114:115]
	v_fma_f64 v[116:117], -v[98:99], v[114:115], 1.0
	s_delay_alu instid0(VALU_DEP_1) | instskip(SKIP_1) | instid1(VALU_DEP_1)
	v_fma_f64 v[114:115], v[114:115], v[116:117], v[114:115]
	v_div_scale_f64 v[116:117], vcc_lo, 1.0, v[96:97], 1.0
	v_mul_f64 v[118:119], v[116:117], v[114:115]
	s_delay_alu instid0(VALU_DEP_1) | instskip(NEXT) | instid1(VALU_DEP_1)
	v_fma_f64 v[98:99], -v[98:99], v[118:119], v[116:117]
	v_div_fmas_f64 v[98:99], v[98:99], v[114:115], v[118:119]
	s_delay_alu instid0(VALU_DEP_1) | instskip(NEXT) | instid1(VALU_DEP_1)
	v_div_fixup_f64 v[96:97], v[98:99], v[96:97], 1.0
	v_mul_f64 v[98:99], v[112:113], -v[96:97]
	v_mov_b32_e32 v113, 0
.LBB46_11:
	s_or_b32 exec_lo, exec_lo, s2
.LBB46_12:
	s_delay_alu instid0(SALU_CYCLE_1) | instskip(NEXT) | instid1(SALU_CYCLE_1)
	s_or_b32 exec_lo, exec_lo, s3
	s_mov_b32 s2, exec_lo
	v_cmpx_ne_u32_e64 v78, v104
	s_xor_b32 s2, exec_lo, s2
	s_cbranch_execz .LBB46_18
; %bb.13:
	s_mov_b32 s3, exec_lo
	v_cmpx_eq_u32_e32 0, v78
	s_cbranch_execz .LBB46_17
; %bb.14:
	v_cmp_ne_u32_e32 vcc_lo, 0, v104
	s_xor_b32 s6, s4, -1
	s_delay_alu instid0(SALU_CYCLE_1) | instskip(NEXT) | instid1(SALU_CYCLE_1)
	s_and_b32 s7, s6, vcc_lo
	s_and_saveexec_b32 s6, s7
	s_cbranch_execz .LBB46_16
; %bb.15:
	scratch_load_b64 v[50:51], off, off offset:16 ; 8-byte Folded Reload
	v_ashrrev_i32_e32 v105, 31, v104
	s_delay_alu instid0(VALU_DEP_1) | instskip(SKIP_1) | instid1(VALU_DEP_1)
	v_lshlrev_b64 v[114:115], 2, v[104:105]
	s_waitcnt vmcnt(0)
	v_add_co_u32 v114, vcc_lo, v50, v114
	s_delay_alu instid0(VALU_DEP_2)
	v_add_co_ci_u32_e32 v115, vcc_lo, v51, v115, vcc_lo
	s_clause 0x1
	flat_load_b32 v48, v[114:115]
	flat_load_b32 v49, v[50:51]
	s_waitcnt vmcnt(1) lgkmcnt(1)
	flat_store_b32 v[50:51], v48
	s_waitcnt vmcnt(0) lgkmcnt(1)
	flat_store_b32 v[114:115], v49
.LBB46_16:
	s_or_b32 exec_lo, exec_lo, s6
	v_mov_b32_e32 v78, v104
.LBB46_17:
	s_or_b32 exec_lo, exec_lo, s3
.LBB46_18:
	s_or_saveexec_b32 s2, s2
	s_delay_alu instid0(VALU_DEP_1)
	v_mov_b32_e32 v95, v78
	s_xor_b32 exec_lo, exec_lo, s2
	s_cbranch_execz .LBB46_20
; %bb.19:
	ds_store_2addr_b64 v106, v[239:240], v[241:242] offset0:2 offset1:3
	ds_store_2addr_b64 v106, v[251:252], v[253:254] offset0:4 offset1:5
	;; [unrolled: 1-line block ×5, first 2 shown]
	scratch_load_b128 v[48:51], off, off    ; 16-byte Folded Reload
	v_mov_b32_e32 v95, 0
	s_waitcnt vmcnt(0)
	ds_store_2addr_b64 v106, v[48:49], v[50:51] offset0:12 offset1:13
	ds_store_2addr_b64 v106, v[68:69], v[70:71] offset0:14 offset1:15
	ds_store_2addr_b64 v106, v[72:73], v[74:75] offset0:16 offset1:17
	ds_store_2addr_b64 v106, v[56:57], v[58:59] offset0:18 offset1:19
	ds_store_2addr_b64 v106, v[64:65], v[66:67] offset0:20 offset1:21
	ds_store_2addr_b64 v106, v[60:61], v[62:63] offset0:22 offset1:23
	ds_store_2addr_b64 v106, v[44:45], v[46:47] offset0:24 offset1:25
	ds_store_2addr_b64 v106, v[40:41], v[42:43] offset0:26 offset1:27
	ds_store_2addr_b64 v106, v[32:33], v[34:35] offset0:28 offset1:29
	ds_store_2addr_b64 v106, v[28:29], v[30:31] offset0:30 offset1:31
	ds_store_2addr_b64 v106, v[36:37], v[38:39] offset0:32 offset1:33
	ds_store_2addr_b64 v106, v[20:21], v[22:23] offset0:34 offset1:35
	ds_store_2addr_b64 v106, v[24:25], v[26:27] offset0:36 offset1:37
	ds_store_2addr_b64 v106, v[16:17], v[18:19] offset0:38 offset1:39
	ds_store_2addr_b64 v106, v[12:13], v[14:15] offset0:40 offset1:41
	ds_store_2addr_b64 v106, v[8:9], v[10:11] offset0:42 offset1:43
	ds_store_2addr_b64 v106, v[4:5], v[6:7] offset0:44 offset1:45
	ds_store_2addr_b64 v106, v[0:1], v[2:3] offset0:46 offset1:47
.LBB46_20:
	s_or_b32 exec_lo, exec_lo, s2
	s_delay_alu instid0(SALU_CYCLE_1)
	s_mov_b32 s2, exec_lo
	s_waitcnt lgkmcnt(0)
	s_waitcnt_vscnt null, 0x0
	s_barrier
	buffer_gl0_inv
	v_cmpx_lt_i32_e32 0, v95
	s_cbranch_execz .LBB46_22
; %bb.21:
	v_mul_f64 v[104:105], v[96:97], v[92:93]
	v_mul_f64 v[170:171], v[98:99], v[92:93]
	ds_load_2addr_b64 v[114:117], v106 offset0:2 offset1:3
	ds_load_2addr_b64 v[118:121], v106 offset0:4 offset1:5
	;; [unrolled: 1-line block ×14, first 2 shown]
	v_dual_mov_b32 v48, v239 :: v_dual_mov_b32 v49, v240
	v_dual_mov_b32 v50, v241 :: v_dual_mov_b32 v51, v242
	;; [unrolled: 1-line block ×4, first 2 shown]
	v_fma_f64 v[92:93], v[98:99], v[90:91], v[104:105]
	v_fma_f64 v[52:53], v[96:97], v[90:91], -v[170:171]
	v_dual_mov_b32 v88, v243 :: v_dual_mov_b32 v89, v244
	v_dual_mov_b32 v90, v245 :: v_dual_mov_b32 v91, v246
	ds_load_2addr_b64 v[96:99], v106 offset0:30 offset1:31
	ds_load_2addr_b64 v[170:173], v106 offset0:32 offset1:33
	;; [unrolled: 1-line block ×9, first 2 shown]
	s_waitcnt lgkmcnt(13)
	v_mul_f64 v[238:239], v[150:151], v[92:93]
	s_waitcnt lgkmcnt(12)
	v_mul_f64 v[240:241], v[156:157], v[92:93]
	v_mul_f64 v[242:243], v[154:155], v[92:93]
	;; [unrolled: 1-line block ×21, first 2 shown]
	s_waitcnt lgkmcnt(11)
	v_mul_f64 v[244:245], v[160:161], v[92:93]
	v_mul_f64 v[246:247], v[158:159], v[92:93]
	s_waitcnt lgkmcnt(10)
	v_mul_f64 v[248:249], v[164:165], v[92:93]
	v_mul_f64 v[54:55], v[162:163], v[92:93]
	;; [unrolled: 3-line block ×4, first 2 shown]
	v_fma_f64 v[152:153], v[152:153], v[52:53], v[238:239]
	v_fma_f64 v[154:155], v[154:155], v[52:53], -v[240:241]
	v_fma_f64 v[156:157], v[156:157], v[52:53], v[242:243]
	v_dual_mov_b32 v242, v51 :: v_dual_mov_b32 v241, v50
	v_dual_mov_b32 v240, v49 :: v_dual_mov_b32 v239, v48
	scratch_load_b128 v[48:51], off, off    ; 16-byte Folded Reload
	v_fma_f64 v[104:105], v[114:115], v[52:53], -v[104:105]
	v_fma_f64 v[114:115], v[116:117], v[52:53], v[202:203]
	s_waitcnt lgkmcnt(7)
	v_mul_f64 v[116:117], v[172:173], v[92:93]
	v_mul_f64 v[202:203], v[170:171], v[92:93]
	v_fma_f64 v[118:119], v[118:119], v[52:53], -v[204:205]
	v_fma_f64 v[120:121], v[120:121], v[52:53], v[206:207]
	s_waitcnt lgkmcnt(6)
	v_mul_f64 v[204:205], v[176:177], v[92:93]
	v_mul_f64 v[206:207], v[174:175], v[92:93]
	;; [unrolled: 5-line block ×8, first 2 shown]
	v_fma_f64 v[146:147], v[146:147], v[52:53], -v[232:233]
	v_fma_f64 v[148:149], v[148:149], v[52:53], v[234:235]
	v_fma_f64 v[150:151], v[150:151], v[52:53], -v[236:237]
	v_fma_f64 v[158:159], v[158:159], v[52:53], -v[244:245]
	v_fma_f64 v[160:161], v[160:161], v[52:53], v[246:247]
	v_fma_f64 v[162:163], v[162:163], v[52:53], -v[248:249]
	v_fma_f64 v[164:165], v[164:165], v[52:53], v[54:55]
	;; [unrolled: 2-line block ×6, first 2 shown]
	v_dual_mov_b32 v246, v91 :: v_dual_mov_b32 v245, v90
	v_fma_f64 v[172:173], v[178:179], v[52:53], -v[208:209]
	v_fma_f64 v[174:175], v[180:181], v[52:53], v[210:211]
	v_dual_mov_b32 v250, v83 :: v_dual_mov_b32 v249, v82
	v_fma_f64 v[176:177], v[182:183], v[52:53], -v[212:213]
	v_fma_f64 v[178:179], v[184:185], v[52:53], v[214:215]
	;; [unrolled: 3-line block ×4, first 2 shown]
	v_add_f64 v[239:240], v[239:240], -v[104:105]
	v_fma_f64 v[188:189], v[194:195], v[52:53], -v[224:225]
	v_fma_f64 v[190:191], v[196:197], v[52:53], v[226:227]
	v_add_f64 v[241:242], v[241:242], -v[114:115]
	v_add_f64 v[251:252], v[251:252], -v[118:119]
	v_fma_f64 v[192:193], v[198:199], v[52:53], -v[228:229]
	v_fma_f64 v[194:195], v[200:201], v[52:53], v[230:231]
	v_add_f64 v[253:254], v[253:254], -v[120:121]
	v_add_f64 v[107:108], v[107:108], -v[122:123]
	;; [unrolled: 1-line block ×41, first 2 shown]
	v_dual_mov_b32 v91, v53 :: v_dual_mov_b32 v90, v52
	s_waitcnt vmcnt(0)
	v_add_f64 v[48:49], v[48:49], -v[134:135]
	v_add_f64 v[50:51], v[50:51], -v[136:137]
	scratch_store_b128 off, v[48:51], off   ; 16-byte Folded Spill
.LBB46_22:
	s_or_b32 exec_lo, exec_lo, s2
	v_lshl_add_u32 v48, v95, 4, v106
	s_waitcnt_vscnt null, 0x0
	s_barrier
	buffer_gl0_inv
	v_mov_b32_e32 v104, 1
	ds_store_2addr_b64 v48, v[239:240], v[241:242] offset1:1
	s_waitcnt lgkmcnt(0)
	s_barrier
	buffer_gl0_inv
	ds_load_2addr_b64 v[96:99], v106 offset0:2 offset1:3
	s_cmp_lt_i32 s5, 3
	s_cbranch_scc1 .LBB46_25
; %bb.23:
	v_add3_u32 v105, v87, 0, 32
	v_mov_b32_e32 v104, 1
	s_mov_b32 s6, 2
	s_set_inst_prefetch_distance 0x1
	.p2align	6
.LBB46_24:                              ; =>This Inner Loop Header: Depth=1
	ds_load_2addr_b64 v[114:117], v105 offset1:1
	s_waitcnt lgkmcnt(1)
	v_cmp_gt_f64_e32 vcc_lo, 0, v[96:97]
	v_xor_b32_e32 v48, 0x80000000, v97
	v_cmp_gt_f64_e64 s2, 0, v[98:99]
	v_xor_b32_e32 v49, 0x80000000, v99
	v_add_nc_u32_e32 v105, 16, v105
	s_waitcnt lgkmcnt(0)
	v_cmp_gt_f64_e64 s3, 0, v[114:115]
	v_mov_b32_e32 v118, v114
	v_dual_mov_b32 v120, v116 :: v_dual_cndmask_b32 v101, v97, v48
	v_xor_b32_e32 v48, 0x80000000, v115
	v_cndmask_b32_e64 v103, v99, v49, s2
	v_xor_b32_e32 v49, 0x80000000, v117
	v_cndmask_b32_e32 v100, v96, v96, vcc_lo
	v_cndmask_b32_e64 v102, v98, v98, s2
	s_delay_alu instid0(VALU_DEP_1) | instskip(SKIP_2) | instid1(VALU_DEP_1)
	v_add_f64 v[100:101], v[100:101], v[102:103]
	v_cndmask_b32_e64 v119, v115, v48, s3
	v_cmp_gt_f64_e64 s3, 0, v[116:117]
	v_cndmask_b32_e64 v121, v117, v49, s3
	s_delay_alu instid0(VALU_DEP_1) | instskip(NEXT) | instid1(VALU_DEP_1)
	v_add_f64 v[118:119], v[118:119], v[120:121]
	v_cmp_lt_f64_e32 vcc_lo, v[100:101], v[118:119]
	v_cndmask_b32_e32 v99, v99, v117, vcc_lo
	v_dual_cndmask_b32 v97, v97, v115 :: v_dual_cndmask_b32 v96, v96, v114
	v_cndmask_b32_e32 v98, v98, v116, vcc_lo
	v_cndmask_b32_e64 v104, v104, s6, vcc_lo
	s_add_i32 s6, s6, 1
	s_delay_alu instid0(SALU_CYCLE_1)
	s_cmp_lg_u32 s5, s6
	s_cbranch_scc1 .LBB46_24
.LBB46_25:
	s_set_inst_prefetch_distance 0x2
	s_waitcnt lgkmcnt(0)
	v_cmp_neq_f64_e32 vcc_lo, 0, v[96:97]
	v_cmp_neq_f64_e64 s2, 0, v[98:99]
	s_delay_alu instid0(VALU_DEP_1) | instskip(NEXT) | instid1(SALU_CYCLE_1)
	s_or_b32 s2, vcc_lo, s2
	s_and_saveexec_b32 s3, s2
	s_cbranch_execz .LBB46_31
; %bb.26:
	v_cmp_gt_f64_e32 vcc_lo, 0, v[96:97]
	v_cmp_gt_f64_e64 s2, 0, v[98:99]
	v_xor_b32_e32 v48, 0x80000000, v97
	v_xor_b32_e32 v49, 0x80000000, v99
	s_delay_alu instid0(VALU_DEP_2) | instskip(NEXT) | instid1(VALU_DEP_2)
	v_cndmask_b32_e32 v101, v97, v48, vcc_lo
	v_cndmask_b32_e64 v103, v99, v49, s2
	v_cndmask_b32_e32 v100, v96, v96, vcc_lo
	v_cndmask_b32_e64 v102, v98, v98, s2
	s_mov_b32 s2, exec_lo
	s_delay_alu instid0(VALU_DEP_1)
	v_cmpx_ngt_f64_e32 v[100:101], v[102:103]
	s_xor_b32 s2, exec_lo, s2
	s_cbranch_execz .LBB46_28
; %bb.27:
	v_div_scale_f64 v[100:101], null, v[98:99], v[98:99], v[96:97]
	v_div_scale_f64 v[116:117], vcc_lo, v[96:97], v[98:99], v[96:97]
	s_delay_alu instid0(VALU_DEP_2) | instskip(SKIP_2) | instid1(VALU_DEP_1)
	v_rcp_f64_e32 v[102:103], v[100:101]
	s_waitcnt_depctr 0xfff
	v_fma_f64 v[114:115], -v[100:101], v[102:103], 1.0
	v_fma_f64 v[102:103], v[102:103], v[114:115], v[102:103]
	s_delay_alu instid0(VALU_DEP_1) | instskip(NEXT) | instid1(VALU_DEP_1)
	v_fma_f64 v[114:115], -v[100:101], v[102:103], 1.0
	v_fma_f64 v[102:103], v[102:103], v[114:115], v[102:103]
	s_delay_alu instid0(VALU_DEP_1) | instskip(NEXT) | instid1(VALU_DEP_1)
	v_mul_f64 v[114:115], v[116:117], v[102:103]
	v_fma_f64 v[100:101], -v[100:101], v[114:115], v[116:117]
	s_delay_alu instid0(VALU_DEP_1) | instskip(NEXT) | instid1(VALU_DEP_1)
	v_div_fmas_f64 v[100:101], v[100:101], v[102:103], v[114:115]
	v_div_fixup_f64 v[100:101], v[100:101], v[98:99], v[96:97]
	s_delay_alu instid0(VALU_DEP_1) | instskip(NEXT) | instid1(VALU_DEP_1)
	v_fma_f64 v[96:97], v[96:97], v[100:101], v[98:99]
	v_div_scale_f64 v[98:99], null, v[96:97], v[96:97], 1.0
	s_delay_alu instid0(VALU_DEP_1) | instskip(SKIP_2) | instid1(VALU_DEP_1)
	v_rcp_f64_e32 v[102:103], v[98:99]
	s_waitcnt_depctr 0xfff
	v_fma_f64 v[114:115], -v[98:99], v[102:103], 1.0
	v_fma_f64 v[102:103], v[102:103], v[114:115], v[102:103]
	s_delay_alu instid0(VALU_DEP_1) | instskip(NEXT) | instid1(VALU_DEP_1)
	v_fma_f64 v[114:115], -v[98:99], v[102:103], 1.0
	v_fma_f64 v[102:103], v[102:103], v[114:115], v[102:103]
	v_div_scale_f64 v[114:115], vcc_lo, 1.0, v[96:97], 1.0
	s_delay_alu instid0(VALU_DEP_1) | instskip(NEXT) | instid1(VALU_DEP_1)
	v_mul_f64 v[116:117], v[114:115], v[102:103]
	v_fma_f64 v[98:99], -v[98:99], v[116:117], v[114:115]
	s_delay_alu instid0(VALU_DEP_1) | instskip(NEXT) | instid1(VALU_DEP_1)
	v_div_fmas_f64 v[98:99], v[98:99], v[102:103], v[116:117]
	v_div_fixup_f64 v[98:99], v[98:99], v[96:97], 1.0
	s_delay_alu instid0(VALU_DEP_1)
	v_mul_f64 v[96:97], v[100:101], v[98:99]
	v_xor_b32_e32 v99, 0x80000000, v99
.LBB46_28:
	s_and_not1_saveexec_b32 s2, s2
	s_cbranch_execz .LBB46_30
; %bb.29:
	s_delay_alu instid0(VALU_DEP_1) | instskip(SKIP_1) | instid1(VALU_DEP_2)
	v_div_scale_f64 v[100:101], null, v[96:97], v[96:97], v[98:99]
	v_div_scale_f64 v[116:117], vcc_lo, v[98:99], v[96:97], v[98:99]
	v_rcp_f64_e32 v[102:103], v[100:101]
	s_waitcnt_depctr 0xfff
	v_fma_f64 v[114:115], -v[100:101], v[102:103], 1.0
	s_delay_alu instid0(VALU_DEP_1) | instskip(NEXT) | instid1(VALU_DEP_1)
	v_fma_f64 v[102:103], v[102:103], v[114:115], v[102:103]
	v_fma_f64 v[114:115], -v[100:101], v[102:103], 1.0
	s_delay_alu instid0(VALU_DEP_1) | instskip(NEXT) | instid1(VALU_DEP_1)
	v_fma_f64 v[102:103], v[102:103], v[114:115], v[102:103]
	v_mul_f64 v[114:115], v[116:117], v[102:103]
	s_delay_alu instid0(VALU_DEP_1) | instskip(NEXT) | instid1(VALU_DEP_1)
	v_fma_f64 v[100:101], -v[100:101], v[114:115], v[116:117]
	v_div_fmas_f64 v[100:101], v[100:101], v[102:103], v[114:115]
	s_delay_alu instid0(VALU_DEP_1) | instskip(NEXT) | instid1(VALU_DEP_1)
	v_div_fixup_f64 v[100:101], v[100:101], v[96:97], v[98:99]
	v_fma_f64 v[96:97], v[98:99], v[100:101], v[96:97]
	s_delay_alu instid0(VALU_DEP_1) | instskip(NEXT) | instid1(VALU_DEP_1)
	v_div_scale_f64 v[98:99], null, v[96:97], v[96:97], 1.0
	v_rcp_f64_e32 v[102:103], v[98:99]
	s_waitcnt_depctr 0xfff
	v_fma_f64 v[114:115], -v[98:99], v[102:103], 1.0
	s_delay_alu instid0(VALU_DEP_1) | instskip(NEXT) | instid1(VALU_DEP_1)
	v_fma_f64 v[102:103], v[102:103], v[114:115], v[102:103]
	v_fma_f64 v[114:115], -v[98:99], v[102:103], 1.0
	s_delay_alu instid0(VALU_DEP_1) | instskip(SKIP_1) | instid1(VALU_DEP_1)
	v_fma_f64 v[102:103], v[102:103], v[114:115], v[102:103]
	v_div_scale_f64 v[114:115], vcc_lo, 1.0, v[96:97], 1.0
	v_mul_f64 v[116:117], v[114:115], v[102:103]
	s_delay_alu instid0(VALU_DEP_1) | instskip(NEXT) | instid1(VALU_DEP_1)
	v_fma_f64 v[98:99], -v[98:99], v[116:117], v[114:115]
	v_div_fmas_f64 v[98:99], v[98:99], v[102:103], v[116:117]
	s_delay_alu instid0(VALU_DEP_1) | instskip(NEXT) | instid1(VALU_DEP_1)
	v_div_fixup_f64 v[96:97], v[98:99], v[96:97], 1.0
	v_mul_f64 v[98:99], v[100:101], -v[96:97]
.LBB46_30:
	s_or_b32 exec_lo, exec_lo, s2
	v_mov_b32_e32 v86, v113
.LBB46_31:
	s_or_b32 exec_lo, exec_lo, s3
	s_delay_alu instid0(SALU_CYCLE_1)
	s_mov_b32 s2, exec_lo
	v_cmpx_ne_u32_e64 v95, v104
	s_xor_b32 s2, exec_lo, s2
	s_cbranch_execz .LBB46_37
; %bb.32:
	s_mov_b32 s3, exec_lo
	v_cmpx_eq_u32_e32 1, v95
	s_cbranch_execz .LBB46_36
; %bb.33:
	v_cmp_ne_u32_e32 vcc_lo, 1, v104
	s_xor_b32 s6, s4, -1
	s_delay_alu instid0(SALU_CYCLE_1) | instskip(NEXT) | instid1(SALU_CYCLE_1)
	s_and_b32 s7, s6, vcc_lo
	s_and_saveexec_b32 s6, s7
	s_cbranch_execz .LBB46_35
; %bb.34:
	scratch_load_b64 v[50:51], off, off offset:16 ; 8-byte Folded Reload
	v_ashrrev_i32_e32 v105, 31, v104
	s_delay_alu instid0(VALU_DEP_1) | instskip(SKIP_1) | instid1(VALU_DEP_1)
	v_lshlrev_b64 v[100:101], 2, v[104:105]
	s_waitcnt vmcnt(0)
	v_add_co_u32 v100, vcc_lo, v50, v100
	s_delay_alu instid0(VALU_DEP_2)
	v_add_co_ci_u32_e32 v101, vcc_lo, v51, v101, vcc_lo
	s_clause 0x1
	flat_load_b32 v48, v[100:101]
	flat_load_b32 v49, v[50:51] offset:4
	s_waitcnt vmcnt(1) lgkmcnt(1)
	flat_store_b32 v[50:51], v48 offset:4
	s_waitcnt vmcnt(0) lgkmcnt(1)
	flat_store_b32 v[100:101], v49
.LBB46_35:
	s_or_b32 exec_lo, exec_lo, s6
	v_mov_b32_e32 v95, v104
	v_mov_b32_e32 v78, v104
.LBB46_36:
	s_or_b32 exec_lo, exec_lo, s3
.LBB46_37:
	s_and_not1_saveexec_b32 s2, s2
	s_cbranch_execz .LBB46_39
; %bb.38:
	ds_store_2addr_b64 v106, v[251:252], v[253:254] offset0:4 offset1:5
	ds_store_2addr_b64 v106, v[107:108], v[109:110] offset0:6 offset1:7
	;; [unrolled: 1-line block ×4, first 2 shown]
	scratch_load_b128 v[48:51], off, off    ; 16-byte Folded Reload
	v_mov_b32_e32 v95, 1
	s_waitcnt vmcnt(0)
	ds_store_2addr_b64 v106, v[48:49], v[50:51] offset0:12 offset1:13
	ds_store_2addr_b64 v106, v[68:69], v[70:71] offset0:14 offset1:15
	;; [unrolled: 1-line block ×18, first 2 shown]
.LBB46_39:
	s_or_b32 exec_lo, exec_lo, s2
	s_delay_alu instid0(SALU_CYCLE_1)
	s_mov_b32 s2, exec_lo
	s_waitcnt lgkmcnt(0)
	s_waitcnt_vscnt null, 0x0
	s_barrier
	buffer_gl0_inv
	v_cmpx_lt_i32_e32 1, v95
	s_cbranch_execz .LBB46_41
; %bb.40:
	v_mul_f64 v[100:101], v[96:97], v[241:242]
	v_mul_f64 v[102:103], v[98:99], v[241:242]
	ds_load_2addr_b64 v[113:116], v106 offset0:4 offset1:5
	ds_load_2addr_b64 v[117:120], v106 offset0:6 offset1:7
	;; [unrolled: 1-line block ×18, first 2 shown]
	v_fma_f64 v[241:242], v[98:99], v[239:240], v[100:101]
	v_fma_f64 v[48:49], v[96:97], v[239:240], -v[102:103]
	ds_load_2addr_b64 v[96:99], v106 offset0:40 offset1:41
	ds_load_2addr_b64 v[185:188], v106 offset0:42 offset1:43
	ds_load_2addr_b64 v[189:192], v106 offset0:44 offset1:45
	ds_load_2addr_b64 v[193:196], v106 offset0:46 offset1:47
	v_dual_mov_b32 v50, v241 :: v_dual_mov_b32 v51, v242
	s_waitcnt lgkmcnt(21)
	v_mul_f64 v[100:101], v[115:116], v[241:242]
	v_mul_f64 v[102:103], v[113:114], v[241:242]
	s_waitcnt lgkmcnt(20)
	v_mul_f64 v[104:105], v[119:120], v[241:242]
	v_mul_f64 v[197:198], v[117:118], v[241:242]
	s_waitcnt lgkmcnt(8)
	v_mul_f64 v[80:81], v[167:168], v[50:51]
	s_waitcnt lgkmcnt(7)
	v_mul_f64 v[82:83], v[169:170], v[50:51]
	v_mul_f64 v[88:89], v[165:166], v[50:51]
	;; [unrolled: 1-line block ×25, first 2 shown]
	s_waitcnt lgkmcnt(6)
	v_mul_f64 v[111:112], v[175:176], v[50:51]
	v_mul_f64 v[84:85], v[173:174], v[50:51]
	s_waitcnt lgkmcnt(5)
	v_mul_f64 v[52:53], v[179:180], v[50:51]
	v_mul_f64 v[54:55], v[177:178], v[50:51]
	v_fma_f64 v[100:101], v[113:114], v[48:49], -v[100:101]
	v_fma_f64 v[102:103], v[115:116], v[48:49], v[102:103]
	s_waitcnt lgkmcnt(4)
	v_mul_f64 v[113:114], v[183:184], v[50:51]
	v_mul_f64 v[115:116], v[181:182], v[50:51]
	v_fma_f64 v[165:166], v[165:166], v[48:49], -v[80:81]
	v_fma_f64 v[171:172], v[171:172], v[48:49], v[82:83]
	scratch_load_b128 v[79:82], off, off    ; 16-byte Folded Reload
	v_fma_f64 v[104:105], v[117:118], v[48:49], -v[104:105]
	v_fma_f64 v[117:118], v[119:120], v[48:49], v[197:198]
	s_waitcnt lgkmcnt(3)
	v_mul_f64 v[119:120], v[98:99], v[50:51]
	v_mul_f64 v[197:198], v[96:97], v[50:51]
	v_fma_f64 v[121:122], v[121:122], v[48:49], -v[199:200]
	v_fma_f64 v[123:124], v[123:124], v[48:49], v[201:202]
	s_waitcnt lgkmcnt(2)
	v_mul_f64 v[199:200], v[187:188], v[50:51]
	v_mul_f64 v[201:202], v[185:186], v[50:51]
	;; [unrolled: 5-line block ×4, first 2 shown]
	v_fma_f64 v[133:134], v[133:134], v[48:49], -v[211:212]
	v_fma_f64 v[135:136], v[135:136], v[48:49], v[213:214]
	v_fma_f64 v[137:138], v[137:138], v[48:49], -v[215:216]
	v_fma_f64 v[139:140], v[139:140], v[48:49], v[217:218]
	;; [unrolled: 2-line block ×8, first 2 shown]
	v_fma_f64 v[167:168], v[167:168], v[48:49], v[88:89]
	v_fma_f64 v[169:170], v[169:170], v[48:49], -v[76:77]
	v_fma_f64 v[173:174], v[173:174], v[48:49], -v[111:112]
	v_fma_f64 v[175:176], v[175:176], v[48:49], v[84:85]
	v_fma_f64 v[52:53], v[177:178], v[48:49], -v[52:53]
	v_fma_f64 v[54:55], v[179:180], v[48:49], v[54:55]
	;; [unrolled: 2-line block ×4, first 2 shown]
	v_add_f64 v[251:252], v[251:252], -v[100:101]
	v_add_f64 v[253:254], v[253:254], -v[102:103]
	v_fma_f64 v[119:120], v[185:186], v[48:49], -v[199:200]
	v_fma_f64 v[177:178], v[187:188], v[48:49], v[201:202]
	v_add_f64 v[107:108], v[107:108], -v[104:105]
	v_add_f64 v[109:110], v[109:110], -v[117:118]
	v_fma_f64 v[179:180], v[189:190], v[48:49], -v[203:204]
	v_fma_f64 v[181:182], v[191:192], v[48:49], v[205:206]
	;; [unrolled: 4-line block ×3, first 2 shown]
	v_add_f64 v[247:248], v[247:248], -v[125:126]
	v_add_f64 v[249:250], v[249:250], -v[127:128]
	;; [unrolled: 1-line block ×34, first 2 shown]
	v_dual_mov_b32 v242, v51 :: v_dual_mov_b32 v241, v50
	v_add_f64 v[0:1], v[0:1], -v[183:184]
	v_add_f64 v[2:3], v[2:3], -v[185:186]
	v_dual_mov_b32 v240, v49 :: v_dual_mov_b32 v239, v48
	s_waitcnt vmcnt(0)
	v_add_f64 v[79:80], v[79:80], -v[129:130]
	v_add_f64 v[81:82], v[81:82], -v[131:132]
	scratch_store_b128 off, v[79:82], off   ; 16-byte Folded Spill
.LBB46_41:
	s_or_b32 exec_lo, exec_lo, s2
	v_lshl_add_u32 v48, v95, 4, v106
	s_waitcnt_vscnt null, 0x0
	s_barrier
	buffer_gl0_inv
	v_mov_b32_e32 v104, 2
	ds_store_2addr_b64 v48, v[251:252], v[253:254] offset1:1
	s_waitcnt lgkmcnt(0)
	s_barrier
	buffer_gl0_inv
	ds_load_2addr_b64 v[96:99], v106 offset0:4 offset1:5
	s_cmp_lt_i32 s5, 4
	s_cbranch_scc1 .LBB46_44
; %bb.42:
	v_add3_u32 v105, v87, 0, 48
	v_mov_b32_e32 v104, 2
	s_mov_b32 s6, 3
	s_set_inst_prefetch_distance 0x1
	.p2align	6
.LBB46_43:                              ; =>This Inner Loop Header: Depth=1
	ds_load_2addr_b64 v[113:116], v105 offset1:1
	s_waitcnt lgkmcnt(1)
	v_cmp_gt_f64_e32 vcc_lo, 0, v[96:97]
	v_xor_b32_e32 v48, 0x80000000, v97
	v_cmp_gt_f64_e64 s2, 0, v[98:99]
	v_xor_b32_e32 v49, 0x80000000, v99
	v_add_nc_u32_e32 v105, 16, v105
	s_waitcnt lgkmcnt(0)
	v_cmp_gt_f64_e64 s3, 0, v[113:114]
	v_mov_b32_e32 v100, v113
	v_dual_mov_b32 v102, v115 :: v_dual_cndmask_b32 v53, v97, v48
	v_xor_b32_e32 v48, 0x80000000, v114
	v_cndmask_b32_e64 v55, v99, v49, s2
	v_xor_b32_e32 v49, 0x80000000, v116
	v_cndmask_b32_e32 v52, v96, v96, vcc_lo
	v_cndmask_b32_e64 v54, v98, v98, s2
	s_delay_alu instid0(VALU_DEP_1) | instskip(SKIP_2) | instid1(VALU_DEP_1)
	v_add_f64 v[52:53], v[52:53], v[54:55]
	v_cndmask_b32_e64 v101, v114, v48, s3
	v_cmp_gt_f64_e64 s3, 0, v[115:116]
	v_cndmask_b32_e64 v103, v116, v49, s3
	s_delay_alu instid0(VALU_DEP_1) | instskip(NEXT) | instid1(VALU_DEP_1)
	v_add_f64 v[100:101], v[100:101], v[102:103]
	v_cmp_lt_f64_e32 vcc_lo, v[52:53], v[100:101]
	v_dual_cndmask_b32 v97, v97, v114 :: v_dual_cndmask_b32 v96, v96, v113
	v_dual_cndmask_b32 v99, v99, v116 :: v_dual_cndmask_b32 v98, v98, v115
	v_cndmask_b32_e64 v104, v104, s6, vcc_lo
	s_add_i32 s6, s6, 1
	s_delay_alu instid0(SALU_CYCLE_1)
	s_cmp_lg_u32 s5, s6
	s_cbranch_scc1 .LBB46_43
.LBB46_44:
	s_set_inst_prefetch_distance 0x2
	s_waitcnt lgkmcnt(0)
	v_cmp_eq_f64_e32 vcc_lo, 0, v[96:97]
	v_cmp_eq_f64_e64 s2, 0, v[98:99]
	s_delay_alu instid0(VALU_DEP_1) | instskip(NEXT) | instid1(SALU_CYCLE_1)
	s_and_b32 s2, vcc_lo, s2
	s_and_saveexec_b32 s3, s2
	s_delay_alu instid0(SALU_CYCLE_1)
	s_xor_b32 s2, exec_lo, s3
; %bb.45:
	v_cmp_ne_u32_e32 vcc_lo, 0, v86
	v_cndmask_b32_e32 v86, 3, v86, vcc_lo
; %bb.46:
	s_and_not1_saveexec_b32 s3, s2
	s_cbranch_execz .LBB46_52
; %bb.47:
	v_cmp_gt_f64_e32 vcc_lo, 0, v[96:97]
	v_cmp_gt_f64_e64 s2, 0, v[98:99]
	v_xor_b32_e32 v48, 0x80000000, v97
	v_xor_b32_e32 v49, 0x80000000, v99
	s_delay_alu instid0(VALU_DEP_2) | instskip(NEXT) | instid1(VALU_DEP_2)
	v_cndmask_b32_e32 v53, v97, v48, vcc_lo
	v_cndmask_b32_e64 v55, v99, v49, s2
	v_cndmask_b32_e32 v52, v96, v96, vcc_lo
	v_cndmask_b32_e64 v54, v98, v98, s2
	s_mov_b32 s2, exec_lo
	s_delay_alu instid0(VALU_DEP_1)
	v_cmpx_ngt_f64_e32 v[52:53], v[54:55]
	s_xor_b32 s2, exec_lo, s2
	s_cbranch_execz .LBB46_49
; %bb.48:
	v_div_scale_f64 v[52:53], null, v[98:99], v[98:99], v[96:97]
	v_div_scale_f64 v[102:103], vcc_lo, v[96:97], v[98:99], v[96:97]
	s_delay_alu instid0(VALU_DEP_2) | instskip(SKIP_2) | instid1(VALU_DEP_1)
	v_rcp_f64_e32 v[54:55], v[52:53]
	s_waitcnt_depctr 0xfff
	v_fma_f64 v[100:101], -v[52:53], v[54:55], 1.0
	v_fma_f64 v[54:55], v[54:55], v[100:101], v[54:55]
	s_delay_alu instid0(VALU_DEP_1) | instskip(NEXT) | instid1(VALU_DEP_1)
	v_fma_f64 v[100:101], -v[52:53], v[54:55], 1.0
	v_fma_f64 v[54:55], v[54:55], v[100:101], v[54:55]
	s_delay_alu instid0(VALU_DEP_1) | instskip(NEXT) | instid1(VALU_DEP_1)
	v_mul_f64 v[100:101], v[102:103], v[54:55]
	v_fma_f64 v[52:53], -v[52:53], v[100:101], v[102:103]
	s_delay_alu instid0(VALU_DEP_1) | instskip(NEXT) | instid1(VALU_DEP_1)
	v_div_fmas_f64 v[52:53], v[52:53], v[54:55], v[100:101]
	v_div_fixup_f64 v[52:53], v[52:53], v[98:99], v[96:97]
	s_delay_alu instid0(VALU_DEP_1) | instskip(NEXT) | instid1(VALU_DEP_1)
	v_fma_f64 v[54:55], v[96:97], v[52:53], v[98:99]
	v_div_scale_f64 v[96:97], null, v[54:55], v[54:55], 1.0
	s_delay_alu instid0(VALU_DEP_1) | instskip(SKIP_2) | instid1(VALU_DEP_1)
	v_rcp_f64_e32 v[98:99], v[96:97]
	s_waitcnt_depctr 0xfff
	v_fma_f64 v[100:101], -v[96:97], v[98:99], 1.0
	v_fma_f64 v[98:99], v[98:99], v[100:101], v[98:99]
	s_delay_alu instid0(VALU_DEP_1) | instskip(NEXT) | instid1(VALU_DEP_1)
	v_fma_f64 v[100:101], -v[96:97], v[98:99], 1.0
	v_fma_f64 v[98:99], v[98:99], v[100:101], v[98:99]
	v_div_scale_f64 v[100:101], vcc_lo, 1.0, v[54:55], 1.0
	s_delay_alu instid0(VALU_DEP_1) | instskip(NEXT) | instid1(VALU_DEP_1)
	v_mul_f64 v[102:103], v[100:101], v[98:99]
	v_fma_f64 v[96:97], -v[96:97], v[102:103], v[100:101]
	s_delay_alu instid0(VALU_DEP_1) | instskip(NEXT) | instid1(VALU_DEP_1)
	v_div_fmas_f64 v[96:97], v[96:97], v[98:99], v[102:103]
	v_div_fixup_f64 v[98:99], v[96:97], v[54:55], 1.0
	s_delay_alu instid0(VALU_DEP_1)
	v_mul_f64 v[96:97], v[52:53], v[98:99]
	v_xor_b32_e32 v99, 0x80000000, v99
.LBB46_49:
	s_and_not1_saveexec_b32 s2, s2
	s_cbranch_execz .LBB46_51
; %bb.50:
	s_delay_alu instid0(VALU_DEP_1) | instskip(SKIP_1) | instid1(VALU_DEP_2)
	v_div_scale_f64 v[52:53], null, v[96:97], v[96:97], v[98:99]
	v_div_scale_f64 v[102:103], vcc_lo, v[98:99], v[96:97], v[98:99]
	v_rcp_f64_e32 v[54:55], v[52:53]
	s_waitcnt_depctr 0xfff
	v_fma_f64 v[100:101], -v[52:53], v[54:55], 1.0
	s_delay_alu instid0(VALU_DEP_1) | instskip(NEXT) | instid1(VALU_DEP_1)
	v_fma_f64 v[54:55], v[54:55], v[100:101], v[54:55]
	v_fma_f64 v[100:101], -v[52:53], v[54:55], 1.0
	s_delay_alu instid0(VALU_DEP_1) | instskip(NEXT) | instid1(VALU_DEP_1)
	v_fma_f64 v[54:55], v[54:55], v[100:101], v[54:55]
	v_mul_f64 v[100:101], v[102:103], v[54:55]
	s_delay_alu instid0(VALU_DEP_1) | instskip(NEXT) | instid1(VALU_DEP_1)
	v_fma_f64 v[52:53], -v[52:53], v[100:101], v[102:103]
	v_div_fmas_f64 v[52:53], v[52:53], v[54:55], v[100:101]
	s_delay_alu instid0(VALU_DEP_1) | instskip(NEXT) | instid1(VALU_DEP_1)
	v_div_fixup_f64 v[52:53], v[52:53], v[96:97], v[98:99]
	v_fma_f64 v[54:55], v[98:99], v[52:53], v[96:97]
	s_delay_alu instid0(VALU_DEP_1) | instskip(NEXT) | instid1(VALU_DEP_1)
	v_div_scale_f64 v[96:97], null, v[54:55], v[54:55], 1.0
	v_rcp_f64_e32 v[98:99], v[96:97]
	s_waitcnt_depctr 0xfff
	v_fma_f64 v[100:101], -v[96:97], v[98:99], 1.0
	s_delay_alu instid0(VALU_DEP_1) | instskip(NEXT) | instid1(VALU_DEP_1)
	v_fma_f64 v[98:99], v[98:99], v[100:101], v[98:99]
	v_fma_f64 v[100:101], -v[96:97], v[98:99], 1.0
	s_delay_alu instid0(VALU_DEP_1) | instskip(SKIP_1) | instid1(VALU_DEP_1)
	v_fma_f64 v[98:99], v[98:99], v[100:101], v[98:99]
	v_div_scale_f64 v[100:101], vcc_lo, 1.0, v[54:55], 1.0
	v_mul_f64 v[102:103], v[100:101], v[98:99]
	s_delay_alu instid0(VALU_DEP_1) | instskip(NEXT) | instid1(VALU_DEP_1)
	v_fma_f64 v[96:97], -v[96:97], v[102:103], v[100:101]
	v_div_fmas_f64 v[96:97], v[96:97], v[98:99], v[102:103]
	s_delay_alu instid0(VALU_DEP_1) | instskip(NEXT) | instid1(VALU_DEP_1)
	v_div_fixup_f64 v[96:97], v[96:97], v[54:55], 1.0
	v_mul_f64 v[98:99], v[52:53], -v[96:97]
.LBB46_51:
	s_or_b32 exec_lo, exec_lo, s2
.LBB46_52:
	s_delay_alu instid0(SALU_CYCLE_1) | instskip(NEXT) | instid1(SALU_CYCLE_1)
	s_or_b32 exec_lo, exec_lo, s3
	s_mov_b32 s2, exec_lo
	v_cmpx_ne_u32_e64 v95, v104
	s_xor_b32 s2, exec_lo, s2
	s_cbranch_execz .LBB46_58
; %bb.53:
	s_mov_b32 s3, exec_lo
	v_cmpx_eq_u32_e32 2, v95
	s_cbranch_execz .LBB46_57
; %bb.54:
	v_cmp_ne_u32_e32 vcc_lo, 2, v104
	s_xor_b32 s6, s4, -1
	s_delay_alu instid0(SALU_CYCLE_1) | instskip(NEXT) | instid1(SALU_CYCLE_1)
	s_and_b32 s7, s6, vcc_lo
	s_and_saveexec_b32 s6, s7
	s_cbranch_execz .LBB46_56
; %bb.55:
	scratch_load_b64 v[50:51], off, off offset:16 ; 8-byte Folded Reload
	v_ashrrev_i32_e32 v105, 31, v104
	s_delay_alu instid0(VALU_DEP_1) | instskip(SKIP_1) | instid1(VALU_DEP_1)
	v_lshlrev_b64 v[52:53], 2, v[104:105]
	s_waitcnt vmcnt(0)
	v_add_co_u32 v52, vcc_lo, v50, v52
	s_delay_alu instid0(VALU_DEP_2)
	v_add_co_ci_u32_e32 v53, vcc_lo, v51, v53, vcc_lo
	s_clause 0x1
	flat_load_b32 v48, v[52:53]
	flat_load_b32 v49, v[50:51] offset:8
	s_waitcnt vmcnt(1) lgkmcnt(1)
	flat_store_b32 v[50:51], v48 offset:8
	s_waitcnt vmcnt(0) lgkmcnt(1)
	flat_store_b32 v[52:53], v49
.LBB46_56:
	s_or_b32 exec_lo, exec_lo, s6
	v_mov_b32_e32 v95, v104
	v_mov_b32_e32 v78, v104
.LBB46_57:
	s_or_b32 exec_lo, exec_lo, s3
.LBB46_58:
	s_and_not1_saveexec_b32 s2, s2
	s_cbranch_execz .LBB46_60
; %bb.59:
	ds_store_2addr_b64 v106, v[107:108], v[109:110] offset0:6 offset1:7
	ds_store_2addr_b64 v106, v[243:244], v[245:246] offset0:8 offset1:9
	;; [unrolled: 1-line block ×3, first 2 shown]
	scratch_load_b128 v[48:51], off, off    ; 16-byte Folded Reload
	v_mov_b32_e32 v95, 2
	s_waitcnt vmcnt(0)
	ds_store_2addr_b64 v106, v[48:49], v[50:51] offset0:12 offset1:13
	ds_store_2addr_b64 v106, v[68:69], v[70:71] offset0:14 offset1:15
	;; [unrolled: 1-line block ×18, first 2 shown]
.LBB46_60:
	s_or_b32 exec_lo, exec_lo, s2
	s_delay_alu instid0(SALU_CYCLE_1)
	s_mov_b32 s2, exec_lo
	s_waitcnt lgkmcnt(0)
	s_waitcnt_vscnt null, 0x0
	s_barrier
	buffer_gl0_inv
	v_cmpx_lt_i32_e32 2, v95
	s_cbranch_execz .LBB46_62
; %bb.61:
	v_mul_f64 v[52:53], v[96:97], v[253:254]
	v_mul_f64 v[54:55], v[98:99], v[253:254]
	ds_load_2addr_b64 v[113:116], v106 offset0:6 offset1:7
	ds_load_2addr_b64 v[117:120], v106 offset0:8 offset1:9
	;; [unrolled: 1-line block ×21, first 2 shown]
	v_fma_f64 v[253:254], v[98:99], v[251:252], v[52:53]
	v_fma_f64 v[52:53], v[96:97], v[251:252], -v[54:55]
	v_mov_b32_e32 v251, v78
	s_waitcnt lgkmcnt(16)
	s_delay_alu instid0(VALU_DEP_3)
	v_mul_f64 v[48:49], v[131:132], v[253:254]
	v_mul_f64 v[100:101], v[123:124], v[253:254]
	;; [unrolled: 1-line block ×5, first 2 shown]
	s_waitcnt lgkmcnt(15)
	v_mul_f64 v[205:206], v[133:134], v[253:254]
	s_waitcnt lgkmcnt(13)
	v_mul_f64 v[211:212], v[143:144], v[253:254]
	s_waitcnt lgkmcnt(12)
	v_mul_f64 v[217:218], v[145:146], v[253:254]
	s_waitcnt lgkmcnt(10)
	v_mul_f64 v[223:224], v[155:156], v[253:254]
	s_waitcnt lgkmcnt(9)
	v_mul_f64 v[229:230], v[157:158], v[253:254]
	s_waitcnt lgkmcnt(7)
	v_mul_f64 v[235:236], v[167:168], v[253:254]
	s_waitcnt lgkmcnt(6)
	v_mul_f64 v[199:200], v[169:170], v[253:254]
	s_waitcnt lgkmcnt(4)
	v_mul_f64 v[82:83], v[179:180], v[253:254]
	v_mul_f64 v[203:204], v[135:136], v[253:254]
	v_mul_f64 v[213:214], v[141:142], v[253:254]
	;; [unrolled: 1-line block ×20, first 2 shown]
	s_waitcnt lgkmcnt(3)
	v_mul_f64 v[78:79], v[183:184], v[253:254]
	v_mul_f64 v[111:112], v[181:182], v[253:254]
	s_waitcnt lgkmcnt(2)
	v_mul_f64 v[50:51], v[185:186], v[253:254]
	scratch_store_b64 off, v[48:49], off offset:32 ; 8-byte Folded Spill
	v_fma_f64 v[100:101], v[121:122], v[52:53], -v[100:101]
	v_fma_f64 v[121:122], v[127:128], v[52:53], v[84:85]
	scratch_load_b64 v[84:85], off, off offset:32 ; 8-byte Folded Reload
	v_mul_f64 v[48:49], v[129:130], v[253:254]
	v_fma_f64 v[102:103], v[123:124], v[52:53], v[102:103]
	v_fma_f64 v[104:105], v[125:126], v[52:53], -v[104:105]
	v_fma_f64 v[127:128], v[133:134], v[52:53], -v[203:204]
	;; [unrolled: 1-line block ×3, first 2 shown]
	v_fma_f64 v[80:81], v[115:116], v[52:53], v[80:81]
	s_waitcnt lgkmcnt(1)
	v_mul_f64 v[113:114], v[191:192], v[253:254]
	v_mul_f64 v[115:116], v[189:190], v[253:254]
	v_fma_f64 v[96:97], v[117:118], v[52:53], -v[96:97]
	v_fma_f64 v[98:99], v[119:120], v[52:53], v[98:99]
	s_waitcnt lgkmcnt(0)
	v_mul_f64 v[117:118], v[195:196], v[253:254]
	v_mul_f64 v[119:120], v[193:194], v[253:254]
	v_fma_f64 v[133:134], v[139:140], v[52:53], v[209:210]
	v_fma_f64 v[139:140], v[145:146], v[52:53], -v[215:216]
	v_fma_f64 v[145:146], v[151:152], v[52:53], v[221:222]
	v_fma_f64 v[151:152], v[157:158], v[52:53], -v[227:228]
	;; [unrolled: 2-line block ×4, first 2 shown]
	v_fma_f64 v[50:51], v[187:188], v[52:53], v[50:51]
	v_mov_b32_e32 v78, v251
	v_dual_mov_b32 v252, v53 :: v_dual_mov_b32 v251, v52
	v_add_f64 v[247:248], v[247:248], -v[100:101]
	scratch_store_b64 off, v[48:49], off offset:40 ; 8-byte Folded Spill
	v_mul_f64 v[48:49], v[187:188], v[253:254]
	v_add_f64 v[249:250], v[249:250], -v[102:103]
	v_add_f64 v[72:73], v[72:73], -v[127:128]
	;; [unrolled: 1-line block ×4, first 2 shown]
	v_fma_f64 v[113:114], v[189:190], v[52:53], -v[113:114]
	v_fma_f64 v[115:116], v[191:192], v[52:53], v[115:116]
	v_add_f64 v[243:244], v[243:244], -v[96:97]
	v_add_f64 v[245:246], v[245:246], -v[98:99]
	v_fma_f64 v[117:118], v[193:194], v[52:53], -v[117:118]
	v_fma_f64 v[119:120], v[195:196], v[52:53], v[119:120]
	v_add_f64 v[58:59], v[58:59], -v[133:134]
	v_add_f64 v[60:61], v[60:61], -v[139:140]
	;; [unrolled: 1-line block ×9, first 2 shown]
	v_fma_f64 v[48:49], v[185:186], v[52:53], -v[48:49]
	v_add_f64 v[4:5], v[4:5], -v[113:114]
	v_add_f64 v[6:7], v[6:7], -v[115:116]
	;; [unrolled: 1-line block ×5, first 2 shown]
	s_waitcnt vmcnt(0)
	v_fma_f64 v[123:124], v[129:130], v[52:53], -v[84:85]
	scratch_load_b64 v[84:85], off, off offset:40 ; 8-byte Folded Reload
	v_fma_f64 v[129:130], v[135:136], v[52:53], v[205:206]
	v_fma_f64 v[135:136], v[141:142], v[52:53], -v[211:212]
	v_fma_f64 v[141:142], v[147:148], v[52:53], v[217:218]
	v_fma_f64 v[147:148], v[153:154], v[52:53], -v[223:224]
	;; [unrolled: 2-line block ×4, first 2 shown]
	v_fma_f64 v[177:178], v[183:184], v[52:53], v[111:112]
	v_add_f64 v[68:69], v[68:69], -v[123:124]
	v_add_f64 v[74:75], v[74:75], -v[129:130]
	;; [unrolled: 1-line block ×10, first 2 shown]
	s_waitcnt vmcnt(0)
	v_fma_f64 v[125:126], v[131:132], v[52:53], v[84:85]
	scratch_load_b128 v[82:85], off, off    ; 16-byte Folded Reload
	v_fma_f64 v[131:132], v[137:138], v[52:53], -v[207:208]
	v_fma_f64 v[137:138], v[143:144], v[52:53], v[213:214]
	v_fma_f64 v[143:144], v[149:150], v[52:53], -v[219:220]
	v_fma_f64 v[149:150], v[155:156], v[52:53], v[225:226]
	;; [unrolled: 2-line block ×4, first 2 shown]
	v_add_f64 v[70:71], v[70:71], -v[125:126]
	v_add_f64 v[56:57], v[56:57], -v[131:132]
	;; [unrolled: 1-line block ×9, first 2 shown]
	s_waitcnt vmcnt(0)
	v_add_f64 v[82:83], v[82:83], -v[104:105]
	v_add_f64 v[84:85], v[84:85], -v[121:122]
	scratch_store_b128 off, v[82:85], off   ; 16-byte Folded Spill
.LBB46_62:
	s_or_b32 exec_lo, exec_lo, s2
	v_lshl_add_u32 v48, v95, 4, v106
	s_waitcnt_vscnt null, 0x0
	s_barrier
	buffer_gl0_inv
	v_mov_b32_e32 v104, 3
	ds_store_2addr_b64 v48, v[107:108], v[109:110] offset1:1
	s_waitcnt lgkmcnt(0)
	s_barrier
	buffer_gl0_inv
	ds_load_2addr_b64 v[96:99], v106 offset0:6 offset1:7
	s_cmp_lt_i32 s5, 5
	s_mov_b32 s6, 4
	s_cbranch_scc1 .LBB46_65
; %bb.63:
	v_add3_u32 v105, v87, 0, 64
	v_mov_b32_e32 v104, 3
	s_set_inst_prefetch_distance 0x1
	.p2align	6
.LBB46_64:                              ; =>This Inner Loop Header: Depth=1
	ds_load_2addr_b64 v[113:116], v105 offset1:1
	s_waitcnt lgkmcnt(1)
	v_cmp_gt_f64_e32 vcc_lo, 0, v[96:97]
	v_xor_b32_e32 v48, 0x80000000, v97
	v_cmp_gt_f64_e64 s2, 0, v[98:99]
	v_xor_b32_e32 v50, 0x80000000, v99
	v_add_nc_u32_e32 v105, 16, v105
	s_waitcnt lgkmcnt(0)
	v_cmp_gt_f64_e64 s3, 0, v[113:114]
	v_mov_b32_e32 v52, v113
	v_dual_mov_b32 v54, v115 :: v_dual_cndmask_b32 v49, v97, v48
	v_xor_b32_e32 v48, 0x80000000, v114
	v_cndmask_b32_e64 v51, v99, v50, s2
	v_xor_b32_e32 v50, 0x80000000, v116
	s_delay_alu instid0(VALU_DEP_3) | instskip(SKIP_2) | instid1(VALU_DEP_2)
	v_cndmask_b32_e64 v53, v114, v48, s3
	v_cmp_gt_f64_e64 s3, 0, v[115:116]
	v_cndmask_b32_e32 v48, v96, v96, vcc_lo
	v_cndmask_b32_e64 v55, v116, v50, s3
	v_cndmask_b32_e64 v50, v98, v98, s2
	s_delay_alu instid0(VALU_DEP_2) | instskip(NEXT) | instid1(VALU_DEP_2)
	v_add_f64 v[52:53], v[52:53], v[54:55]
	v_add_f64 v[48:49], v[48:49], v[50:51]
	s_delay_alu instid0(VALU_DEP_1) | instskip(SKIP_4) | instid1(SALU_CYCLE_1)
	v_cmp_lt_f64_e32 vcc_lo, v[48:49], v[52:53]
	v_dual_cndmask_b32 v97, v97, v114 :: v_dual_cndmask_b32 v96, v96, v113
	v_dual_cndmask_b32 v99, v99, v116 :: v_dual_cndmask_b32 v98, v98, v115
	v_cndmask_b32_e64 v104, v104, s6, vcc_lo
	s_add_i32 s6, s6, 1
	s_cmp_lg_u32 s5, s6
	s_cbranch_scc1 .LBB46_64
.LBB46_65:
	s_set_inst_prefetch_distance 0x2
	s_waitcnt lgkmcnt(0)
	v_cmp_eq_f64_e32 vcc_lo, 0, v[96:97]
	v_cmp_eq_f64_e64 s2, 0, v[98:99]
	s_delay_alu instid0(VALU_DEP_1) | instskip(NEXT) | instid1(SALU_CYCLE_1)
	s_and_b32 s2, vcc_lo, s2
	s_and_saveexec_b32 s3, s2
	s_delay_alu instid0(SALU_CYCLE_1)
	s_xor_b32 s2, exec_lo, s3
; %bb.66:
	v_cmp_ne_u32_e32 vcc_lo, 0, v86
	v_cndmask_b32_e32 v86, 4, v86, vcc_lo
; %bb.67:
	s_and_not1_saveexec_b32 s3, s2
	s_cbranch_execz .LBB46_73
; %bb.68:
	v_cmp_gt_f64_e32 vcc_lo, 0, v[96:97]
	v_cmp_gt_f64_e64 s2, 0, v[98:99]
	v_xor_b32_e32 v48, 0x80000000, v97
	v_xor_b32_e32 v50, 0x80000000, v99
	s_delay_alu instid0(VALU_DEP_2) | instskip(NEXT) | instid1(VALU_DEP_2)
	v_cndmask_b32_e32 v49, v97, v48, vcc_lo
	v_cndmask_b32_e64 v51, v99, v50, s2
	v_cndmask_b32_e32 v48, v96, v96, vcc_lo
	v_cndmask_b32_e64 v50, v98, v98, s2
	s_mov_b32 s2, exec_lo
	s_delay_alu instid0(VALU_DEP_1)
	v_cmpx_ngt_f64_e32 v[48:49], v[50:51]
	s_xor_b32 s2, exec_lo, s2
	s_cbranch_execz .LBB46_70
; %bb.69:
	v_div_scale_f64 v[48:49], null, v[98:99], v[98:99], v[96:97]
	v_div_scale_f64 v[54:55], vcc_lo, v[96:97], v[98:99], v[96:97]
	s_delay_alu instid0(VALU_DEP_2) | instskip(SKIP_2) | instid1(VALU_DEP_1)
	v_rcp_f64_e32 v[50:51], v[48:49]
	s_waitcnt_depctr 0xfff
	v_fma_f64 v[52:53], -v[48:49], v[50:51], 1.0
	v_fma_f64 v[50:51], v[50:51], v[52:53], v[50:51]
	s_delay_alu instid0(VALU_DEP_1) | instskip(NEXT) | instid1(VALU_DEP_1)
	v_fma_f64 v[52:53], -v[48:49], v[50:51], 1.0
	v_fma_f64 v[50:51], v[50:51], v[52:53], v[50:51]
	s_delay_alu instid0(VALU_DEP_1) | instskip(NEXT) | instid1(VALU_DEP_1)
	v_mul_f64 v[52:53], v[54:55], v[50:51]
	v_fma_f64 v[48:49], -v[48:49], v[52:53], v[54:55]
	s_delay_alu instid0(VALU_DEP_1) | instskip(NEXT) | instid1(VALU_DEP_1)
	v_div_fmas_f64 v[48:49], v[48:49], v[50:51], v[52:53]
	v_div_fixup_f64 v[48:49], v[48:49], v[98:99], v[96:97]
	s_delay_alu instid0(VALU_DEP_1) | instskip(NEXT) | instid1(VALU_DEP_1)
	v_fma_f64 v[50:51], v[96:97], v[48:49], v[98:99]
	v_div_scale_f64 v[52:53], null, v[50:51], v[50:51], 1.0
	s_delay_alu instid0(VALU_DEP_1) | instskip(SKIP_2) | instid1(VALU_DEP_1)
	v_rcp_f64_e32 v[54:55], v[52:53]
	s_waitcnt_depctr 0xfff
	v_fma_f64 v[96:97], -v[52:53], v[54:55], 1.0
	v_fma_f64 v[54:55], v[54:55], v[96:97], v[54:55]
	s_delay_alu instid0(VALU_DEP_1) | instskip(NEXT) | instid1(VALU_DEP_1)
	v_fma_f64 v[96:97], -v[52:53], v[54:55], 1.0
	v_fma_f64 v[54:55], v[54:55], v[96:97], v[54:55]
	v_div_scale_f64 v[96:97], vcc_lo, 1.0, v[50:51], 1.0
	s_delay_alu instid0(VALU_DEP_1) | instskip(NEXT) | instid1(VALU_DEP_1)
	v_mul_f64 v[98:99], v[96:97], v[54:55]
	v_fma_f64 v[52:53], -v[52:53], v[98:99], v[96:97]
	s_delay_alu instid0(VALU_DEP_1) | instskip(NEXT) | instid1(VALU_DEP_1)
	v_div_fmas_f64 v[52:53], v[52:53], v[54:55], v[98:99]
	v_div_fixup_f64 v[98:99], v[52:53], v[50:51], 1.0
	s_delay_alu instid0(VALU_DEP_1)
	v_mul_f64 v[96:97], v[48:49], v[98:99]
	v_xor_b32_e32 v99, 0x80000000, v99
.LBB46_70:
	s_and_not1_saveexec_b32 s2, s2
	s_cbranch_execz .LBB46_72
; %bb.71:
	s_delay_alu instid0(VALU_DEP_1) | instskip(SKIP_1) | instid1(VALU_DEP_2)
	v_div_scale_f64 v[48:49], null, v[96:97], v[96:97], v[98:99]
	v_div_scale_f64 v[54:55], vcc_lo, v[98:99], v[96:97], v[98:99]
	v_rcp_f64_e32 v[50:51], v[48:49]
	s_waitcnt_depctr 0xfff
	v_fma_f64 v[52:53], -v[48:49], v[50:51], 1.0
	s_delay_alu instid0(VALU_DEP_1) | instskip(NEXT) | instid1(VALU_DEP_1)
	v_fma_f64 v[50:51], v[50:51], v[52:53], v[50:51]
	v_fma_f64 v[52:53], -v[48:49], v[50:51], 1.0
	s_delay_alu instid0(VALU_DEP_1) | instskip(NEXT) | instid1(VALU_DEP_1)
	v_fma_f64 v[50:51], v[50:51], v[52:53], v[50:51]
	v_mul_f64 v[52:53], v[54:55], v[50:51]
	s_delay_alu instid0(VALU_DEP_1) | instskip(NEXT) | instid1(VALU_DEP_1)
	v_fma_f64 v[48:49], -v[48:49], v[52:53], v[54:55]
	v_div_fmas_f64 v[48:49], v[48:49], v[50:51], v[52:53]
	s_delay_alu instid0(VALU_DEP_1) | instskip(NEXT) | instid1(VALU_DEP_1)
	v_div_fixup_f64 v[48:49], v[48:49], v[96:97], v[98:99]
	v_fma_f64 v[50:51], v[98:99], v[48:49], v[96:97]
	s_delay_alu instid0(VALU_DEP_1) | instskip(NEXT) | instid1(VALU_DEP_1)
	v_div_scale_f64 v[52:53], null, v[50:51], v[50:51], 1.0
	v_rcp_f64_e32 v[54:55], v[52:53]
	s_waitcnt_depctr 0xfff
	v_fma_f64 v[96:97], -v[52:53], v[54:55], 1.0
	s_delay_alu instid0(VALU_DEP_1) | instskip(NEXT) | instid1(VALU_DEP_1)
	v_fma_f64 v[54:55], v[54:55], v[96:97], v[54:55]
	v_fma_f64 v[96:97], -v[52:53], v[54:55], 1.0
	s_delay_alu instid0(VALU_DEP_1) | instskip(SKIP_1) | instid1(VALU_DEP_1)
	v_fma_f64 v[54:55], v[54:55], v[96:97], v[54:55]
	v_div_scale_f64 v[96:97], vcc_lo, 1.0, v[50:51], 1.0
	v_mul_f64 v[98:99], v[96:97], v[54:55]
	s_delay_alu instid0(VALU_DEP_1) | instskip(NEXT) | instid1(VALU_DEP_1)
	v_fma_f64 v[52:53], -v[52:53], v[98:99], v[96:97]
	v_div_fmas_f64 v[52:53], v[52:53], v[54:55], v[98:99]
	s_delay_alu instid0(VALU_DEP_1) | instskip(NEXT) | instid1(VALU_DEP_1)
	v_div_fixup_f64 v[96:97], v[52:53], v[50:51], 1.0
	v_mul_f64 v[98:99], v[48:49], -v[96:97]
.LBB46_72:
	s_or_b32 exec_lo, exec_lo, s2
.LBB46_73:
	s_delay_alu instid0(SALU_CYCLE_1) | instskip(NEXT) | instid1(SALU_CYCLE_1)
	s_or_b32 exec_lo, exec_lo, s3
	s_mov_b32 s2, exec_lo
	v_cmpx_ne_u32_e64 v95, v104
	s_xor_b32 s2, exec_lo, s2
	s_cbranch_execz .LBB46_79
; %bb.74:
	s_mov_b32 s3, exec_lo
	v_cmpx_eq_u32_e32 3, v95
	s_cbranch_execz .LBB46_78
; %bb.75:
	v_cmp_ne_u32_e32 vcc_lo, 3, v104
	s_xor_b32 s6, s4, -1
	s_delay_alu instid0(SALU_CYCLE_1) | instskip(NEXT) | instid1(SALU_CYCLE_1)
	s_and_b32 s7, s6, vcc_lo
	s_and_saveexec_b32 s6, s7
	s_cbranch_execz .LBB46_77
; %bb.76:
	scratch_load_b64 v[52:53], off, off offset:16 ; 8-byte Folded Reload
	v_ashrrev_i32_e32 v105, 31, v104
	s_delay_alu instid0(VALU_DEP_1) | instskip(SKIP_1) | instid1(VALU_DEP_1)
	v_lshlrev_b64 v[48:49], 2, v[104:105]
	s_waitcnt vmcnt(0)
	v_add_co_u32 v48, vcc_lo, v52, v48
	s_delay_alu instid0(VALU_DEP_2)
	v_add_co_ci_u32_e32 v49, vcc_lo, v53, v49, vcc_lo
	s_clause 0x1
	flat_load_b32 v50, v[48:49]
	flat_load_b32 v51, v[52:53] offset:12
	s_waitcnt vmcnt(1) lgkmcnt(1)
	flat_store_b32 v[52:53], v50 offset:12
	s_waitcnt vmcnt(0) lgkmcnt(1)
	flat_store_b32 v[48:49], v51
.LBB46_77:
	s_or_b32 exec_lo, exec_lo, s6
	v_mov_b32_e32 v95, v104
	v_mov_b32_e32 v78, v104
.LBB46_78:
	s_or_b32 exec_lo, exec_lo, s3
.LBB46_79:
	s_and_not1_saveexec_b32 s2, s2
	s_cbranch_execz .LBB46_81
; %bb.80:
	ds_store_2addr_b64 v106, v[243:244], v[245:246] offset0:8 offset1:9
	ds_store_2addr_b64 v106, v[247:248], v[249:250] offset0:10 offset1:11
	scratch_load_b128 v[48:51], off, off    ; 16-byte Folded Reload
	v_mov_b32_e32 v95, 3
	s_waitcnt vmcnt(0)
	ds_store_2addr_b64 v106, v[48:49], v[50:51] offset0:12 offset1:13
	ds_store_2addr_b64 v106, v[68:69], v[70:71] offset0:14 offset1:15
	;; [unrolled: 1-line block ×18, first 2 shown]
.LBB46_81:
	s_or_b32 exec_lo, exec_lo, s2
	s_delay_alu instid0(SALU_CYCLE_1)
	s_mov_b32 s2, exec_lo
	s_waitcnt lgkmcnt(0)
	s_waitcnt_vscnt null, 0x0
	s_barrier
	buffer_gl0_inv
	v_cmpx_lt_i32_e32 3, v95
	s_cbranch_execz .LBB46_83
; %bb.82:
	v_mul_f64 v[50:51], v[96:97], v[109:110]
	v_mul_f64 v[48:49], v[98:99], v[109:110]
	s_delay_alu instid0(VALU_DEP_2) | instskip(NEXT) | instid1(VALU_DEP_2)
	v_fma_f64 v[109:110], v[98:99], v[107:108], v[50:51]
	v_fma_f64 v[48:49], v[96:97], v[107:108], -v[48:49]
	ds_load_2addr_b64 v[96:99], v106 offset0:8 offset1:9
	ds_load_2addr_b64 v[113:116], v106 offset0:10 offset1:11
	s_waitcnt lgkmcnt(1)
	v_mul_f64 v[50:51], v[98:99], v[109:110]
	v_mul_f64 v[52:53], v[96:97], v[109:110]
	s_waitcnt lgkmcnt(0)
	v_mul_f64 v[54:55], v[115:116], v[109:110]
	v_mul_f64 v[88:89], v[113:114], v[109:110]
	v_dual_mov_b32 v108, v49 :: v_dual_mov_b32 v107, v48
	v_fma_f64 v[50:51], v[96:97], v[48:49], -v[50:51]
	v_fma_f64 v[52:53], v[98:99], v[48:49], v[52:53]
	v_fma_f64 v[54:55], v[113:114], v[48:49], -v[54:55]
	v_fma_f64 v[88:89], v[115:116], v[48:49], v[88:89]
	ds_load_2addr_b64 v[96:99], v106 offset0:12 offset1:13
	ds_load_2addr_b64 v[113:116], v106 offset0:14 offset1:15
	s_waitcnt lgkmcnt(1)
	v_mul_f64 v[100:101], v[98:99], v[109:110]
	v_add_f64 v[243:244], v[243:244], -v[50:51]
	v_add_f64 v[245:246], v[245:246], -v[52:53]
	;; [unrolled: 1-line block ×4, first 2 shown]
	v_fma_f64 v[100:101], v[96:97], v[48:49], -v[100:101]
	v_mul_f64 v[96:97], v[96:97], v[109:110]
	s_delay_alu instid0(VALU_DEP_1) | instskip(SKIP_2) | instid1(VALU_DEP_1)
	v_fma_f64 v[102:103], v[98:99], v[48:49], v[96:97]
	s_waitcnt lgkmcnt(0)
	v_mul_f64 v[96:97], v[115:116], v[109:110]
	v_fma_f64 v[104:105], v[113:114], v[48:49], -v[96:97]
	v_mul_f64 v[96:97], v[113:114], v[109:110]
	s_delay_alu instid0(VALU_DEP_2) | instskip(NEXT) | instid1(VALU_DEP_2)
	v_add_f64 v[68:69], v[68:69], -v[104:105]
	v_fma_f64 v[117:118], v[115:116], v[48:49], v[96:97]
	ds_load_2addr_b64 v[96:99], v106 offset0:16 offset1:17
	ds_load_2addr_b64 v[113:116], v106 offset0:18 offset1:19
	s_waitcnt lgkmcnt(1)
	v_mul_f64 v[119:120], v[98:99], v[109:110]
	v_add_f64 v[70:71], v[70:71], -v[117:118]
	s_delay_alu instid0(VALU_DEP_2) | instskip(SKIP_1) | instid1(VALU_DEP_2)
	v_fma_f64 v[119:120], v[96:97], v[48:49], -v[119:120]
	v_mul_f64 v[96:97], v[96:97], v[109:110]
	v_add_f64 v[72:73], v[72:73], -v[119:120]
	s_delay_alu instid0(VALU_DEP_2) | instskip(SKIP_2) | instid1(VALU_DEP_2)
	v_fma_f64 v[121:122], v[98:99], v[48:49], v[96:97]
	s_waitcnt lgkmcnt(0)
	v_mul_f64 v[96:97], v[115:116], v[109:110]
	v_add_f64 v[74:75], v[74:75], -v[121:122]
	s_delay_alu instid0(VALU_DEP_2) | instskip(SKIP_1) | instid1(VALU_DEP_2)
	v_fma_f64 v[123:124], v[113:114], v[48:49], -v[96:97]
	v_mul_f64 v[96:97], v[113:114], v[109:110]
	v_add_f64 v[56:57], v[56:57], -v[123:124]
	s_delay_alu instid0(VALU_DEP_2)
	v_fma_f64 v[125:126], v[115:116], v[48:49], v[96:97]
	ds_load_2addr_b64 v[96:99], v106 offset0:20 offset1:21
	ds_load_2addr_b64 v[113:116], v106 offset0:22 offset1:23
	s_waitcnt lgkmcnt(1)
	v_mul_f64 v[127:128], v[98:99], v[109:110]
	v_add_f64 v[58:59], v[58:59], -v[125:126]
	s_delay_alu instid0(VALU_DEP_2) | instskip(SKIP_1) | instid1(VALU_DEP_2)
	v_fma_f64 v[127:128], v[96:97], v[48:49], -v[127:128]
	v_mul_f64 v[96:97], v[96:97], v[109:110]
	v_add_f64 v[64:65], v[64:65], -v[127:128]
	s_delay_alu instid0(VALU_DEP_2) | instskip(SKIP_2) | instid1(VALU_DEP_2)
	v_fma_f64 v[129:130], v[98:99], v[48:49], v[96:97]
	s_waitcnt lgkmcnt(0)
	v_mul_f64 v[96:97], v[115:116], v[109:110]
	v_add_f64 v[66:67], v[66:67], -v[129:130]
	s_delay_alu instid0(VALU_DEP_2) | instskip(SKIP_1) | instid1(VALU_DEP_2)
	v_fma_f64 v[131:132], v[113:114], v[48:49], -v[96:97]
	v_mul_f64 v[96:97], v[113:114], v[109:110]
	v_add_f64 v[60:61], v[60:61], -v[131:132]
	s_delay_alu instid0(VALU_DEP_2)
	;; [unrolled: 20-line block ×7, first 2 shown]
	v_fma_f64 v[173:174], v[115:116], v[48:49], v[96:97]
	ds_load_2addr_b64 v[96:99], v106 offset0:44 offset1:45
	ds_load_2addr_b64 v[113:116], v106 offset0:46 offset1:47
	scratch_load_b128 v[50:53], off, off    ; 16-byte Folded Reload
	s_waitcnt lgkmcnt(1)
	v_mul_f64 v[175:176], v[98:99], v[109:110]
	v_add_f64 v[10:11], v[10:11], -v[173:174]
	s_delay_alu instid0(VALU_DEP_2) | instskip(SKIP_1) | instid1(VALU_DEP_2)
	v_fma_f64 v[175:176], v[96:97], v[48:49], -v[175:176]
	v_mul_f64 v[96:97], v[96:97], v[109:110]
	v_add_f64 v[4:5], v[4:5], -v[175:176]
	s_delay_alu instid0(VALU_DEP_2) | instskip(SKIP_2) | instid1(VALU_DEP_2)
	v_fma_f64 v[96:97], v[98:99], v[48:49], v[96:97]
	s_waitcnt lgkmcnt(0)
	v_mul_f64 v[98:99], v[115:116], v[109:110]
	v_add_f64 v[6:7], v[6:7], -v[96:97]
	s_delay_alu instid0(VALU_DEP_2) | instskip(SKIP_1) | instid1(VALU_DEP_2)
	v_fma_f64 v[98:99], v[113:114], v[48:49], -v[98:99]
	v_mul_f64 v[113:114], v[113:114], v[109:110]
	v_add_f64 v[0:1], v[0:1], -v[98:99]
	s_delay_alu instid0(VALU_DEP_2) | instskip(NEXT) | instid1(VALU_DEP_1)
	v_fma_f64 v[113:114], v[115:116], v[48:49], v[113:114]
	v_add_f64 v[2:3], v[2:3], -v[113:114]
	s_waitcnt vmcnt(0)
	v_add_f64 v[50:51], v[50:51], -v[100:101]
	v_add_f64 v[52:53], v[52:53], -v[102:103]
	scratch_store_b128 off, v[50:53], off   ; 16-byte Folded Spill
.LBB46_83:
	s_or_b32 exec_lo, exec_lo, s2
	v_lshl_add_u32 v48, v95, 4, v106
	s_waitcnt_vscnt null, 0x0
	s_barrier
	buffer_gl0_inv
	v_mov_b32_e32 v104, 4
	ds_store_2addr_b64 v48, v[243:244], v[245:246] offset1:1
	s_waitcnt lgkmcnt(0)
	s_barrier
	buffer_gl0_inv
	ds_load_2addr_b64 v[96:99], v106 offset0:8 offset1:9
	s_cmp_lt_i32 s5, 6
	s_cbranch_scc1 .LBB46_86
; %bb.84:
	v_add3_u32 v105, v87, 0, 0x50
	v_mov_b32_e32 v104, 4
	s_mov_b32 s6, 5
	s_set_inst_prefetch_distance 0x1
	.p2align	6
.LBB46_85:                              ; =>This Inner Loop Header: Depth=1
	ds_load_2addr_b64 v[113:116], v105 offset1:1
	s_waitcnt lgkmcnt(1)
	v_cmp_gt_f64_e32 vcc_lo, 0, v[96:97]
	v_xor_b32_e32 v48, 0x80000000, v97
	v_cmp_gt_f64_e64 s2, 0, v[98:99]
	v_xor_b32_e32 v50, 0x80000000, v99
	v_add_nc_u32_e32 v105, 16, v105
	s_waitcnt lgkmcnt(0)
	v_cmp_gt_f64_e64 s3, 0, v[113:114]
	v_mov_b32_e32 v52, v113
	v_dual_mov_b32 v54, v115 :: v_dual_cndmask_b32 v49, v97, v48
	v_xor_b32_e32 v48, 0x80000000, v114
	v_cndmask_b32_e64 v51, v99, v50, s2
	v_xor_b32_e32 v50, 0x80000000, v116
	s_delay_alu instid0(VALU_DEP_3) | instskip(SKIP_2) | instid1(VALU_DEP_2)
	v_cndmask_b32_e64 v53, v114, v48, s3
	v_cmp_gt_f64_e64 s3, 0, v[115:116]
	v_cndmask_b32_e32 v48, v96, v96, vcc_lo
	v_cndmask_b32_e64 v55, v116, v50, s3
	v_cndmask_b32_e64 v50, v98, v98, s2
	s_delay_alu instid0(VALU_DEP_2) | instskip(NEXT) | instid1(VALU_DEP_2)
	v_add_f64 v[52:53], v[52:53], v[54:55]
	v_add_f64 v[48:49], v[48:49], v[50:51]
	s_delay_alu instid0(VALU_DEP_1) | instskip(SKIP_4) | instid1(SALU_CYCLE_1)
	v_cmp_lt_f64_e32 vcc_lo, v[48:49], v[52:53]
	v_dual_cndmask_b32 v97, v97, v114 :: v_dual_cndmask_b32 v96, v96, v113
	v_dual_cndmask_b32 v99, v99, v116 :: v_dual_cndmask_b32 v98, v98, v115
	v_cndmask_b32_e64 v104, v104, s6, vcc_lo
	s_add_i32 s6, s6, 1
	s_cmp_lg_u32 s5, s6
	s_cbranch_scc1 .LBB46_85
.LBB46_86:
	s_set_inst_prefetch_distance 0x2
	s_waitcnt lgkmcnt(0)
	v_cmp_eq_f64_e32 vcc_lo, 0, v[96:97]
	v_cmp_eq_f64_e64 s2, 0, v[98:99]
	s_delay_alu instid0(VALU_DEP_1) | instskip(NEXT) | instid1(SALU_CYCLE_1)
	s_and_b32 s2, vcc_lo, s2
	s_and_saveexec_b32 s3, s2
	s_delay_alu instid0(SALU_CYCLE_1)
	s_xor_b32 s2, exec_lo, s3
; %bb.87:
	v_cmp_ne_u32_e32 vcc_lo, 0, v86
	v_cndmask_b32_e32 v86, 5, v86, vcc_lo
; %bb.88:
	s_and_not1_saveexec_b32 s3, s2
	s_cbranch_execz .LBB46_94
; %bb.89:
	v_cmp_gt_f64_e32 vcc_lo, 0, v[96:97]
	v_cmp_gt_f64_e64 s2, 0, v[98:99]
	v_xor_b32_e32 v48, 0x80000000, v97
	v_xor_b32_e32 v50, 0x80000000, v99
	s_delay_alu instid0(VALU_DEP_2) | instskip(NEXT) | instid1(VALU_DEP_2)
	v_cndmask_b32_e32 v49, v97, v48, vcc_lo
	v_cndmask_b32_e64 v51, v99, v50, s2
	v_cndmask_b32_e32 v48, v96, v96, vcc_lo
	v_cndmask_b32_e64 v50, v98, v98, s2
	s_mov_b32 s2, exec_lo
	s_delay_alu instid0(VALU_DEP_1)
	v_cmpx_ngt_f64_e32 v[48:49], v[50:51]
	s_xor_b32 s2, exec_lo, s2
	s_cbranch_execz .LBB46_91
; %bb.90:
	v_div_scale_f64 v[48:49], null, v[98:99], v[98:99], v[96:97]
	v_div_scale_f64 v[54:55], vcc_lo, v[96:97], v[98:99], v[96:97]
	s_delay_alu instid0(VALU_DEP_2) | instskip(SKIP_2) | instid1(VALU_DEP_1)
	v_rcp_f64_e32 v[50:51], v[48:49]
	s_waitcnt_depctr 0xfff
	v_fma_f64 v[52:53], -v[48:49], v[50:51], 1.0
	v_fma_f64 v[50:51], v[50:51], v[52:53], v[50:51]
	s_delay_alu instid0(VALU_DEP_1) | instskip(NEXT) | instid1(VALU_DEP_1)
	v_fma_f64 v[52:53], -v[48:49], v[50:51], 1.0
	v_fma_f64 v[50:51], v[50:51], v[52:53], v[50:51]
	s_delay_alu instid0(VALU_DEP_1) | instskip(NEXT) | instid1(VALU_DEP_1)
	v_mul_f64 v[52:53], v[54:55], v[50:51]
	v_fma_f64 v[48:49], -v[48:49], v[52:53], v[54:55]
	s_delay_alu instid0(VALU_DEP_1) | instskip(NEXT) | instid1(VALU_DEP_1)
	v_div_fmas_f64 v[48:49], v[48:49], v[50:51], v[52:53]
	v_div_fixup_f64 v[48:49], v[48:49], v[98:99], v[96:97]
	s_delay_alu instid0(VALU_DEP_1) | instskip(NEXT) | instid1(VALU_DEP_1)
	v_fma_f64 v[50:51], v[96:97], v[48:49], v[98:99]
	v_div_scale_f64 v[52:53], null, v[50:51], v[50:51], 1.0
	s_delay_alu instid0(VALU_DEP_1) | instskip(SKIP_2) | instid1(VALU_DEP_1)
	v_rcp_f64_e32 v[54:55], v[52:53]
	s_waitcnt_depctr 0xfff
	v_fma_f64 v[96:97], -v[52:53], v[54:55], 1.0
	v_fma_f64 v[54:55], v[54:55], v[96:97], v[54:55]
	s_delay_alu instid0(VALU_DEP_1) | instskip(NEXT) | instid1(VALU_DEP_1)
	v_fma_f64 v[96:97], -v[52:53], v[54:55], 1.0
	v_fma_f64 v[54:55], v[54:55], v[96:97], v[54:55]
	v_div_scale_f64 v[96:97], vcc_lo, 1.0, v[50:51], 1.0
	s_delay_alu instid0(VALU_DEP_1) | instskip(NEXT) | instid1(VALU_DEP_1)
	v_mul_f64 v[98:99], v[96:97], v[54:55]
	v_fma_f64 v[52:53], -v[52:53], v[98:99], v[96:97]
	s_delay_alu instid0(VALU_DEP_1) | instskip(NEXT) | instid1(VALU_DEP_1)
	v_div_fmas_f64 v[52:53], v[52:53], v[54:55], v[98:99]
	v_div_fixup_f64 v[98:99], v[52:53], v[50:51], 1.0
	s_delay_alu instid0(VALU_DEP_1)
	v_mul_f64 v[96:97], v[48:49], v[98:99]
	v_xor_b32_e32 v99, 0x80000000, v99
.LBB46_91:
	s_and_not1_saveexec_b32 s2, s2
	s_cbranch_execz .LBB46_93
; %bb.92:
	s_delay_alu instid0(VALU_DEP_1) | instskip(SKIP_1) | instid1(VALU_DEP_2)
	v_div_scale_f64 v[48:49], null, v[96:97], v[96:97], v[98:99]
	v_div_scale_f64 v[54:55], vcc_lo, v[98:99], v[96:97], v[98:99]
	v_rcp_f64_e32 v[50:51], v[48:49]
	s_waitcnt_depctr 0xfff
	v_fma_f64 v[52:53], -v[48:49], v[50:51], 1.0
	s_delay_alu instid0(VALU_DEP_1) | instskip(NEXT) | instid1(VALU_DEP_1)
	v_fma_f64 v[50:51], v[50:51], v[52:53], v[50:51]
	v_fma_f64 v[52:53], -v[48:49], v[50:51], 1.0
	s_delay_alu instid0(VALU_DEP_1) | instskip(NEXT) | instid1(VALU_DEP_1)
	v_fma_f64 v[50:51], v[50:51], v[52:53], v[50:51]
	v_mul_f64 v[52:53], v[54:55], v[50:51]
	s_delay_alu instid0(VALU_DEP_1) | instskip(NEXT) | instid1(VALU_DEP_1)
	v_fma_f64 v[48:49], -v[48:49], v[52:53], v[54:55]
	v_div_fmas_f64 v[48:49], v[48:49], v[50:51], v[52:53]
	s_delay_alu instid0(VALU_DEP_1) | instskip(NEXT) | instid1(VALU_DEP_1)
	v_div_fixup_f64 v[48:49], v[48:49], v[96:97], v[98:99]
	v_fma_f64 v[50:51], v[98:99], v[48:49], v[96:97]
	s_delay_alu instid0(VALU_DEP_1) | instskip(NEXT) | instid1(VALU_DEP_1)
	v_div_scale_f64 v[52:53], null, v[50:51], v[50:51], 1.0
	v_rcp_f64_e32 v[54:55], v[52:53]
	s_waitcnt_depctr 0xfff
	v_fma_f64 v[96:97], -v[52:53], v[54:55], 1.0
	s_delay_alu instid0(VALU_DEP_1) | instskip(NEXT) | instid1(VALU_DEP_1)
	v_fma_f64 v[54:55], v[54:55], v[96:97], v[54:55]
	v_fma_f64 v[96:97], -v[52:53], v[54:55], 1.0
	s_delay_alu instid0(VALU_DEP_1) | instskip(SKIP_1) | instid1(VALU_DEP_1)
	v_fma_f64 v[54:55], v[54:55], v[96:97], v[54:55]
	v_div_scale_f64 v[96:97], vcc_lo, 1.0, v[50:51], 1.0
	v_mul_f64 v[98:99], v[96:97], v[54:55]
	s_delay_alu instid0(VALU_DEP_1) | instskip(NEXT) | instid1(VALU_DEP_1)
	v_fma_f64 v[52:53], -v[52:53], v[98:99], v[96:97]
	v_div_fmas_f64 v[52:53], v[52:53], v[54:55], v[98:99]
	s_delay_alu instid0(VALU_DEP_1) | instskip(NEXT) | instid1(VALU_DEP_1)
	v_div_fixup_f64 v[96:97], v[52:53], v[50:51], 1.0
	v_mul_f64 v[98:99], v[48:49], -v[96:97]
.LBB46_93:
	s_or_b32 exec_lo, exec_lo, s2
.LBB46_94:
	s_delay_alu instid0(SALU_CYCLE_1) | instskip(NEXT) | instid1(SALU_CYCLE_1)
	s_or_b32 exec_lo, exec_lo, s3
	s_mov_b32 s2, exec_lo
	v_cmpx_ne_u32_e64 v95, v104
	s_xor_b32 s2, exec_lo, s2
	s_cbranch_execz .LBB46_100
; %bb.95:
	s_mov_b32 s3, exec_lo
	v_cmpx_eq_u32_e32 4, v95
	s_cbranch_execz .LBB46_99
; %bb.96:
	v_cmp_ne_u32_e32 vcc_lo, 4, v104
	s_xor_b32 s6, s4, -1
	s_delay_alu instid0(SALU_CYCLE_1) | instskip(NEXT) | instid1(SALU_CYCLE_1)
	s_and_b32 s7, s6, vcc_lo
	s_and_saveexec_b32 s6, s7
	s_cbranch_execz .LBB46_98
; %bb.97:
	scratch_load_b64 v[52:53], off, off offset:16 ; 8-byte Folded Reload
	v_ashrrev_i32_e32 v105, 31, v104
	s_delay_alu instid0(VALU_DEP_1) | instskip(SKIP_1) | instid1(VALU_DEP_1)
	v_lshlrev_b64 v[48:49], 2, v[104:105]
	s_waitcnt vmcnt(0)
	v_add_co_u32 v48, vcc_lo, v52, v48
	s_delay_alu instid0(VALU_DEP_2)
	v_add_co_ci_u32_e32 v49, vcc_lo, v53, v49, vcc_lo
	s_clause 0x1
	flat_load_b32 v50, v[48:49]
	flat_load_b32 v51, v[52:53] offset:16
	s_waitcnt vmcnt(1) lgkmcnt(1)
	flat_store_b32 v[52:53], v50 offset:16
	s_waitcnt vmcnt(0) lgkmcnt(1)
	flat_store_b32 v[48:49], v51
.LBB46_98:
	s_or_b32 exec_lo, exec_lo, s6
	v_mov_b32_e32 v95, v104
	v_mov_b32_e32 v78, v104
.LBB46_99:
	s_or_b32 exec_lo, exec_lo, s3
.LBB46_100:
	s_and_not1_saveexec_b32 s2, s2
	s_cbranch_execz .LBB46_102
; %bb.101:
	scratch_load_b128 v[48:51], off, off    ; 16-byte Folded Reload
	v_mov_b32_e32 v95, 4
	ds_store_2addr_b64 v106, v[247:248], v[249:250] offset0:10 offset1:11
	s_waitcnt vmcnt(0)
	ds_store_2addr_b64 v106, v[48:49], v[50:51] offset0:12 offset1:13
	ds_store_2addr_b64 v106, v[68:69], v[70:71] offset0:14 offset1:15
	;; [unrolled: 1-line block ×18, first 2 shown]
.LBB46_102:
	s_or_b32 exec_lo, exec_lo, s2
	s_delay_alu instid0(SALU_CYCLE_1)
	s_mov_b32 s2, exec_lo
	s_waitcnt lgkmcnt(0)
	s_waitcnt_vscnt null, 0x0
	s_barrier
	buffer_gl0_inv
	v_cmpx_lt_i32_e32 4, v95
	s_cbranch_execz .LBB46_104
; %bb.103:
	v_mul_f64 v[50:51], v[96:97], v[245:246]
	v_mul_f64 v[48:49], v[98:99], v[245:246]
	s_delay_alu instid0(VALU_DEP_2) | instskip(NEXT) | instid1(VALU_DEP_2)
	v_fma_f64 v[245:246], v[98:99], v[243:244], v[50:51]
	v_fma_f64 v[48:49], v[96:97], v[243:244], -v[48:49]
	ds_load_2addr_b64 v[96:99], v106 offset0:10 offset1:11
	ds_load_2addr_b64 v[113:116], v106 offset0:12 offset1:13
	s_waitcnt lgkmcnt(1)
	v_mul_f64 v[50:51], v[98:99], v[245:246]
	v_mul_f64 v[52:53], v[96:97], v[245:246]
	s_waitcnt lgkmcnt(0)
	v_mul_f64 v[54:55], v[115:116], v[245:246]
	v_mul_f64 v[80:81], v[113:114], v[245:246]
	v_dual_mov_b32 v244, v49 :: v_dual_mov_b32 v243, v48
	v_fma_f64 v[50:51], v[96:97], v[48:49], -v[50:51]
	v_fma_f64 v[52:53], v[98:99], v[48:49], v[52:53]
	v_fma_f64 v[54:55], v[113:114], v[48:49], -v[54:55]
	v_fma_f64 v[80:81], v[115:116], v[48:49], v[80:81]
	ds_load_2addr_b64 v[96:99], v106 offset0:14 offset1:15
	ds_load_2addr_b64 v[113:116], v106 offset0:16 offset1:17
	s_waitcnt lgkmcnt(1)
	v_mul_f64 v[100:101], v[98:99], v[245:246]
	v_add_f64 v[247:248], v[247:248], -v[50:51]
	v_add_f64 v[249:250], v[249:250], -v[52:53]
	s_delay_alu instid0(VALU_DEP_3) | instskip(SKIP_1) | instid1(VALU_DEP_2)
	v_fma_f64 v[100:101], v[96:97], v[48:49], -v[100:101]
	v_mul_f64 v[96:97], v[96:97], v[245:246]
	v_add_f64 v[68:69], v[68:69], -v[100:101]
	s_delay_alu instid0(VALU_DEP_2) | instskip(SKIP_2) | instid1(VALU_DEP_2)
	v_fma_f64 v[102:103], v[98:99], v[48:49], v[96:97]
	s_waitcnt lgkmcnt(0)
	v_mul_f64 v[96:97], v[115:116], v[245:246]
	v_add_f64 v[70:71], v[70:71], -v[102:103]
	s_delay_alu instid0(VALU_DEP_2) | instskip(SKIP_1) | instid1(VALU_DEP_2)
	v_fma_f64 v[104:105], v[113:114], v[48:49], -v[96:97]
	v_mul_f64 v[96:97], v[113:114], v[245:246]
	v_add_f64 v[72:73], v[72:73], -v[104:105]
	s_delay_alu instid0(VALU_DEP_2)
	v_fma_f64 v[117:118], v[115:116], v[48:49], v[96:97]
	ds_load_2addr_b64 v[96:99], v106 offset0:18 offset1:19
	ds_load_2addr_b64 v[113:116], v106 offset0:20 offset1:21
	s_waitcnt lgkmcnt(1)
	v_mul_f64 v[119:120], v[98:99], v[245:246]
	v_add_f64 v[74:75], v[74:75], -v[117:118]
	s_delay_alu instid0(VALU_DEP_2) | instskip(SKIP_1) | instid1(VALU_DEP_2)
	v_fma_f64 v[119:120], v[96:97], v[48:49], -v[119:120]
	v_mul_f64 v[96:97], v[96:97], v[245:246]
	v_add_f64 v[56:57], v[56:57], -v[119:120]
	s_delay_alu instid0(VALU_DEP_2) | instskip(SKIP_2) | instid1(VALU_DEP_2)
	v_fma_f64 v[121:122], v[98:99], v[48:49], v[96:97]
	s_waitcnt lgkmcnt(0)
	v_mul_f64 v[96:97], v[115:116], v[245:246]
	v_add_f64 v[58:59], v[58:59], -v[121:122]
	s_delay_alu instid0(VALU_DEP_2) | instskip(SKIP_1) | instid1(VALU_DEP_2)
	v_fma_f64 v[123:124], v[113:114], v[48:49], -v[96:97]
	v_mul_f64 v[96:97], v[113:114], v[245:246]
	v_add_f64 v[64:65], v[64:65], -v[123:124]
	s_delay_alu instid0(VALU_DEP_2)
	v_fma_f64 v[125:126], v[115:116], v[48:49], v[96:97]
	ds_load_2addr_b64 v[96:99], v106 offset0:22 offset1:23
	ds_load_2addr_b64 v[113:116], v106 offset0:24 offset1:25
	s_waitcnt lgkmcnt(1)
	v_mul_f64 v[127:128], v[98:99], v[245:246]
	v_add_f64 v[66:67], v[66:67], -v[125:126]
	s_delay_alu instid0(VALU_DEP_2) | instskip(SKIP_1) | instid1(VALU_DEP_2)
	;; [unrolled: 20-line block ×6, first 2 shown]
	v_fma_f64 v[159:160], v[96:97], v[48:49], -v[159:160]
	v_mul_f64 v[96:97], v[96:97], v[245:246]
	v_add_f64 v[16:17], v[16:17], -v[159:160]
	s_delay_alu instid0(VALU_DEP_2) | instskip(SKIP_2) | instid1(VALU_DEP_2)
	v_fma_f64 v[161:162], v[98:99], v[48:49], v[96:97]
	s_waitcnt lgkmcnt(0)
	v_mul_f64 v[96:97], v[115:116], v[245:246]
	v_add_f64 v[18:19], v[18:19], -v[161:162]
	s_delay_alu instid0(VALU_DEP_2) | instskip(SKIP_1) | instid1(VALU_DEP_2)
	v_fma_f64 v[163:164], v[113:114], v[48:49], -v[96:97]
	v_mul_f64 v[96:97], v[113:114], v[245:246]
	v_add_f64 v[12:13], v[12:13], -v[163:164]
	s_delay_alu instid0(VALU_DEP_2)
	v_fma_f64 v[165:166], v[115:116], v[48:49], v[96:97]
	ds_load_2addr_b64 v[96:99], v106 offset0:42 offset1:43
	ds_load_2addr_b64 v[113:116], v106 offset0:44 offset1:45
	scratch_load_b128 v[50:53], off, off    ; 16-byte Folded Reload
	s_waitcnt lgkmcnt(1)
	v_mul_f64 v[167:168], v[98:99], v[245:246]
	v_add_f64 v[14:15], v[14:15], -v[165:166]
	s_delay_alu instid0(VALU_DEP_2) | instskip(SKIP_1) | instid1(VALU_DEP_2)
	v_fma_f64 v[167:168], v[96:97], v[48:49], -v[167:168]
	v_mul_f64 v[96:97], v[96:97], v[245:246]
	v_add_f64 v[8:9], v[8:9], -v[167:168]
	s_delay_alu instid0(VALU_DEP_2) | instskip(SKIP_2) | instid1(VALU_DEP_2)
	v_fma_f64 v[169:170], v[98:99], v[48:49], v[96:97]
	s_waitcnt lgkmcnt(0)
	v_mul_f64 v[96:97], v[115:116], v[245:246]
	v_add_f64 v[10:11], v[10:11], -v[169:170]
	s_delay_alu instid0(VALU_DEP_2) | instskip(SKIP_1) | instid1(VALU_DEP_2)
	v_fma_f64 v[171:172], v[113:114], v[48:49], -v[96:97]
	v_mul_f64 v[96:97], v[113:114], v[245:246]
	v_add_f64 v[4:5], v[4:5], -v[171:172]
	s_delay_alu instid0(VALU_DEP_2) | instskip(SKIP_4) | instid1(VALU_DEP_2)
	v_fma_f64 v[113:114], v[115:116], v[48:49], v[96:97]
	ds_load_2addr_b64 v[96:99], v106 offset0:46 offset1:47
	s_waitcnt lgkmcnt(0)
	v_mul_f64 v[115:116], v[98:99], v[245:246]
	v_add_f64 v[6:7], v[6:7], -v[113:114]
	v_fma_f64 v[115:116], v[96:97], v[48:49], -v[115:116]
	v_mul_f64 v[96:97], v[96:97], v[245:246]
	s_delay_alu instid0(VALU_DEP_2) | instskip(NEXT) | instid1(VALU_DEP_2)
	v_add_f64 v[0:1], v[0:1], -v[115:116]
	v_fma_f64 v[96:97], v[98:99], v[48:49], v[96:97]
	s_delay_alu instid0(VALU_DEP_1)
	v_add_f64 v[2:3], v[2:3], -v[96:97]
	s_waitcnt vmcnt(0)
	v_add_f64 v[50:51], v[50:51], -v[54:55]
	v_add_f64 v[52:53], v[52:53], -v[80:81]
	scratch_store_b128 off, v[50:53], off   ; 16-byte Folded Spill
.LBB46_104:
	s_or_b32 exec_lo, exec_lo, s2
	v_lshl_add_u32 v48, v95, 4, v106
	s_waitcnt_vscnt null, 0x0
	s_barrier
	buffer_gl0_inv
	v_mov_b32_e32 v104, 5
	ds_store_2addr_b64 v48, v[247:248], v[249:250] offset1:1
	s_waitcnt lgkmcnt(0)
	s_barrier
	buffer_gl0_inv
	ds_load_2addr_b64 v[96:99], v106 offset0:10 offset1:11
	s_cmp_lt_i32 s5, 7
	s_cbranch_scc1 .LBB46_107
; %bb.105:
	v_add3_u32 v105, v87, 0, 0x60
	v_mov_b32_e32 v104, 5
	s_mov_b32 s6, 6
	s_set_inst_prefetch_distance 0x1
	.p2align	6
.LBB46_106:                             ; =>This Inner Loop Header: Depth=1
	ds_load_2addr_b64 v[113:116], v105 offset1:1
	s_waitcnt lgkmcnt(1)
	v_cmp_gt_f64_e32 vcc_lo, 0, v[96:97]
	v_xor_b32_e32 v48, 0x80000000, v97
	v_cmp_gt_f64_e64 s2, 0, v[98:99]
	v_xor_b32_e32 v50, 0x80000000, v99
	v_add_nc_u32_e32 v105, 16, v105
	s_waitcnt lgkmcnt(0)
	v_cmp_gt_f64_e64 s3, 0, v[113:114]
	v_mov_b32_e32 v52, v113
	v_dual_mov_b32 v54, v115 :: v_dual_cndmask_b32 v49, v97, v48
	v_xor_b32_e32 v48, 0x80000000, v114
	v_cndmask_b32_e64 v51, v99, v50, s2
	v_xor_b32_e32 v50, 0x80000000, v116
	s_delay_alu instid0(VALU_DEP_3) | instskip(SKIP_2) | instid1(VALU_DEP_2)
	v_cndmask_b32_e64 v53, v114, v48, s3
	v_cmp_gt_f64_e64 s3, 0, v[115:116]
	v_cndmask_b32_e32 v48, v96, v96, vcc_lo
	v_cndmask_b32_e64 v55, v116, v50, s3
	v_cndmask_b32_e64 v50, v98, v98, s2
	s_delay_alu instid0(VALU_DEP_2) | instskip(NEXT) | instid1(VALU_DEP_2)
	v_add_f64 v[52:53], v[52:53], v[54:55]
	v_add_f64 v[48:49], v[48:49], v[50:51]
	s_delay_alu instid0(VALU_DEP_1) | instskip(SKIP_4) | instid1(SALU_CYCLE_1)
	v_cmp_lt_f64_e32 vcc_lo, v[48:49], v[52:53]
	v_dual_cndmask_b32 v97, v97, v114 :: v_dual_cndmask_b32 v96, v96, v113
	v_dual_cndmask_b32 v99, v99, v116 :: v_dual_cndmask_b32 v98, v98, v115
	v_cndmask_b32_e64 v104, v104, s6, vcc_lo
	s_add_i32 s6, s6, 1
	s_cmp_lg_u32 s5, s6
	s_cbranch_scc1 .LBB46_106
.LBB46_107:
	s_set_inst_prefetch_distance 0x2
	s_waitcnt lgkmcnt(0)
	v_cmp_eq_f64_e32 vcc_lo, 0, v[96:97]
	v_cmp_eq_f64_e64 s2, 0, v[98:99]
	s_delay_alu instid0(VALU_DEP_1) | instskip(NEXT) | instid1(SALU_CYCLE_1)
	s_and_b32 s2, vcc_lo, s2
	s_and_saveexec_b32 s3, s2
	s_delay_alu instid0(SALU_CYCLE_1)
	s_xor_b32 s2, exec_lo, s3
; %bb.108:
	v_cmp_ne_u32_e32 vcc_lo, 0, v86
	v_cndmask_b32_e32 v86, 6, v86, vcc_lo
; %bb.109:
	s_and_not1_saveexec_b32 s3, s2
	s_cbranch_execz .LBB46_115
; %bb.110:
	v_cmp_gt_f64_e32 vcc_lo, 0, v[96:97]
	v_cmp_gt_f64_e64 s2, 0, v[98:99]
	v_xor_b32_e32 v48, 0x80000000, v97
	v_xor_b32_e32 v50, 0x80000000, v99
	s_delay_alu instid0(VALU_DEP_2) | instskip(NEXT) | instid1(VALU_DEP_2)
	v_cndmask_b32_e32 v49, v97, v48, vcc_lo
	v_cndmask_b32_e64 v51, v99, v50, s2
	v_cndmask_b32_e32 v48, v96, v96, vcc_lo
	v_cndmask_b32_e64 v50, v98, v98, s2
	s_mov_b32 s2, exec_lo
	s_delay_alu instid0(VALU_DEP_1)
	v_cmpx_ngt_f64_e32 v[48:49], v[50:51]
	s_xor_b32 s2, exec_lo, s2
	s_cbranch_execz .LBB46_112
; %bb.111:
	v_div_scale_f64 v[48:49], null, v[98:99], v[98:99], v[96:97]
	v_div_scale_f64 v[54:55], vcc_lo, v[96:97], v[98:99], v[96:97]
	s_delay_alu instid0(VALU_DEP_2) | instskip(SKIP_2) | instid1(VALU_DEP_1)
	v_rcp_f64_e32 v[50:51], v[48:49]
	s_waitcnt_depctr 0xfff
	v_fma_f64 v[52:53], -v[48:49], v[50:51], 1.0
	v_fma_f64 v[50:51], v[50:51], v[52:53], v[50:51]
	s_delay_alu instid0(VALU_DEP_1) | instskip(NEXT) | instid1(VALU_DEP_1)
	v_fma_f64 v[52:53], -v[48:49], v[50:51], 1.0
	v_fma_f64 v[50:51], v[50:51], v[52:53], v[50:51]
	s_delay_alu instid0(VALU_DEP_1) | instskip(NEXT) | instid1(VALU_DEP_1)
	v_mul_f64 v[52:53], v[54:55], v[50:51]
	v_fma_f64 v[48:49], -v[48:49], v[52:53], v[54:55]
	s_delay_alu instid0(VALU_DEP_1) | instskip(NEXT) | instid1(VALU_DEP_1)
	v_div_fmas_f64 v[48:49], v[48:49], v[50:51], v[52:53]
	v_div_fixup_f64 v[48:49], v[48:49], v[98:99], v[96:97]
	s_delay_alu instid0(VALU_DEP_1) | instskip(NEXT) | instid1(VALU_DEP_1)
	v_fma_f64 v[50:51], v[96:97], v[48:49], v[98:99]
	v_div_scale_f64 v[52:53], null, v[50:51], v[50:51], 1.0
	s_delay_alu instid0(VALU_DEP_1) | instskip(SKIP_2) | instid1(VALU_DEP_1)
	v_rcp_f64_e32 v[54:55], v[52:53]
	s_waitcnt_depctr 0xfff
	v_fma_f64 v[96:97], -v[52:53], v[54:55], 1.0
	v_fma_f64 v[54:55], v[54:55], v[96:97], v[54:55]
	s_delay_alu instid0(VALU_DEP_1) | instskip(NEXT) | instid1(VALU_DEP_1)
	v_fma_f64 v[96:97], -v[52:53], v[54:55], 1.0
	v_fma_f64 v[54:55], v[54:55], v[96:97], v[54:55]
	v_div_scale_f64 v[96:97], vcc_lo, 1.0, v[50:51], 1.0
	s_delay_alu instid0(VALU_DEP_1) | instskip(NEXT) | instid1(VALU_DEP_1)
	v_mul_f64 v[98:99], v[96:97], v[54:55]
	v_fma_f64 v[52:53], -v[52:53], v[98:99], v[96:97]
	s_delay_alu instid0(VALU_DEP_1) | instskip(NEXT) | instid1(VALU_DEP_1)
	v_div_fmas_f64 v[52:53], v[52:53], v[54:55], v[98:99]
	v_div_fixup_f64 v[98:99], v[52:53], v[50:51], 1.0
	s_delay_alu instid0(VALU_DEP_1)
	v_mul_f64 v[96:97], v[48:49], v[98:99]
	v_xor_b32_e32 v99, 0x80000000, v99
.LBB46_112:
	s_and_not1_saveexec_b32 s2, s2
	s_cbranch_execz .LBB46_114
; %bb.113:
	s_delay_alu instid0(VALU_DEP_1) | instskip(SKIP_1) | instid1(VALU_DEP_2)
	v_div_scale_f64 v[48:49], null, v[96:97], v[96:97], v[98:99]
	v_div_scale_f64 v[54:55], vcc_lo, v[98:99], v[96:97], v[98:99]
	v_rcp_f64_e32 v[50:51], v[48:49]
	s_waitcnt_depctr 0xfff
	v_fma_f64 v[52:53], -v[48:49], v[50:51], 1.0
	s_delay_alu instid0(VALU_DEP_1) | instskip(NEXT) | instid1(VALU_DEP_1)
	v_fma_f64 v[50:51], v[50:51], v[52:53], v[50:51]
	v_fma_f64 v[52:53], -v[48:49], v[50:51], 1.0
	s_delay_alu instid0(VALU_DEP_1) | instskip(NEXT) | instid1(VALU_DEP_1)
	v_fma_f64 v[50:51], v[50:51], v[52:53], v[50:51]
	v_mul_f64 v[52:53], v[54:55], v[50:51]
	s_delay_alu instid0(VALU_DEP_1) | instskip(NEXT) | instid1(VALU_DEP_1)
	v_fma_f64 v[48:49], -v[48:49], v[52:53], v[54:55]
	v_div_fmas_f64 v[48:49], v[48:49], v[50:51], v[52:53]
	s_delay_alu instid0(VALU_DEP_1) | instskip(NEXT) | instid1(VALU_DEP_1)
	v_div_fixup_f64 v[48:49], v[48:49], v[96:97], v[98:99]
	v_fma_f64 v[50:51], v[98:99], v[48:49], v[96:97]
	s_delay_alu instid0(VALU_DEP_1) | instskip(NEXT) | instid1(VALU_DEP_1)
	v_div_scale_f64 v[52:53], null, v[50:51], v[50:51], 1.0
	v_rcp_f64_e32 v[54:55], v[52:53]
	s_waitcnt_depctr 0xfff
	v_fma_f64 v[96:97], -v[52:53], v[54:55], 1.0
	s_delay_alu instid0(VALU_DEP_1) | instskip(NEXT) | instid1(VALU_DEP_1)
	v_fma_f64 v[54:55], v[54:55], v[96:97], v[54:55]
	v_fma_f64 v[96:97], -v[52:53], v[54:55], 1.0
	s_delay_alu instid0(VALU_DEP_1) | instskip(SKIP_1) | instid1(VALU_DEP_1)
	v_fma_f64 v[54:55], v[54:55], v[96:97], v[54:55]
	v_div_scale_f64 v[96:97], vcc_lo, 1.0, v[50:51], 1.0
	v_mul_f64 v[98:99], v[96:97], v[54:55]
	s_delay_alu instid0(VALU_DEP_1) | instskip(NEXT) | instid1(VALU_DEP_1)
	v_fma_f64 v[52:53], -v[52:53], v[98:99], v[96:97]
	v_div_fmas_f64 v[52:53], v[52:53], v[54:55], v[98:99]
	s_delay_alu instid0(VALU_DEP_1) | instskip(NEXT) | instid1(VALU_DEP_1)
	v_div_fixup_f64 v[96:97], v[52:53], v[50:51], 1.0
	v_mul_f64 v[98:99], v[48:49], -v[96:97]
.LBB46_114:
	s_or_b32 exec_lo, exec_lo, s2
.LBB46_115:
	s_delay_alu instid0(SALU_CYCLE_1) | instskip(NEXT) | instid1(SALU_CYCLE_1)
	s_or_b32 exec_lo, exec_lo, s3
	s_mov_b32 s2, exec_lo
	v_cmpx_ne_u32_e64 v95, v104
	s_xor_b32 s2, exec_lo, s2
	s_cbranch_execz .LBB46_121
; %bb.116:
	s_mov_b32 s3, exec_lo
	v_cmpx_eq_u32_e32 5, v95
	s_cbranch_execz .LBB46_120
; %bb.117:
	v_cmp_ne_u32_e32 vcc_lo, 5, v104
	s_xor_b32 s6, s4, -1
	s_delay_alu instid0(SALU_CYCLE_1) | instskip(NEXT) | instid1(SALU_CYCLE_1)
	s_and_b32 s7, s6, vcc_lo
	s_and_saveexec_b32 s6, s7
	s_cbranch_execz .LBB46_119
; %bb.118:
	scratch_load_b64 v[52:53], off, off offset:16 ; 8-byte Folded Reload
	v_ashrrev_i32_e32 v105, 31, v104
	s_delay_alu instid0(VALU_DEP_1) | instskip(SKIP_1) | instid1(VALU_DEP_1)
	v_lshlrev_b64 v[48:49], 2, v[104:105]
	s_waitcnt vmcnt(0)
	v_add_co_u32 v48, vcc_lo, v52, v48
	s_delay_alu instid0(VALU_DEP_2)
	v_add_co_ci_u32_e32 v49, vcc_lo, v53, v49, vcc_lo
	s_clause 0x1
	flat_load_b32 v50, v[48:49]
	flat_load_b32 v51, v[52:53] offset:20
	s_waitcnt vmcnt(1) lgkmcnt(1)
	flat_store_b32 v[52:53], v50 offset:20
	s_waitcnt vmcnt(0) lgkmcnt(1)
	flat_store_b32 v[48:49], v51
.LBB46_119:
	s_or_b32 exec_lo, exec_lo, s6
	v_mov_b32_e32 v95, v104
	v_mov_b32_e32 v78, v104
.LBB46_120:
	s_or_b32 exec_lo, exec_lo, s3
.LBB46_121:
	s_and_not1_saveexec_b32 s2, s2
	s_cbranch_execz .LBB46_123
; %bb.122:
	scratch_load_b128 v[48:51], off, off    ; 16-byte Folded Reload
	v_mov_b32_e32 v95, 5
	s_waitcnt vmcnt(0)
	ds_store_2addr_b64 v106, v[48:49], v[50:51] offset0:12 offset1:13
	ds_store_2addr_b64 v106, v[68:69], v[70:71] offset0:14 offset1:15
	;; [unrolled: 1-line block ×18, first 2 shown]
.LBB46_123:
	s_or_b32 exec_lo, exec_lo, s2
	s_delay_alu instid0(SALU_CYCLE_1)
	s_mov_b32 s2, exec_lo
	s_waitcnt lgkmcnt(0)
	s_waitcnt_vscnt null, 0x0
	s_barrier
	buffer_gl0_inv
	v_cmpx_lt_i32_e32 5, v95
	s_cbranch_execz .LBB46_125
; %bb.124:
	ds_load_2addr_b64 v[113:116], v106 offset0:12 offset1:13
	ds_load_2addr_b64 v[117:120], v106 offset0:14 offset1:15
	;; [unrolled: 1-line block ×18, first 2 shown]
	scratch_load_b128 v[79:82], off, off    ; 16-byte Folded Reload
	v_mul_f64 v[48:49], v[96:97], v[249:250]
	v_mul_f64 v[50:51], v[98:99], v[249:250]
	s_delay_alu instid0(VALU_DEP_2) | instskip(NEXT) | instid1(VALU_DEP_2)
	v_fma_f64 v[249:250], v[98:99], v[247:248], v[48:49]
	v_fma_f64 v[48:49], v[96:97], v[247:248], -v[50:51]
	s_waitcnt lgkmcnt(17)
	s_delay_alu instid0(VALU_DEP_2)
	v_mul_f64 v[50:51], v[115:116], v[249:250]
	v_mul_f64 v[52:53], v[113:114], v[249:250]
	s_waitcnt lgkmcnt(16)
	v_mul_f64 v[54:55], v[119:120], v[249:250]
	v_mul_f64 v[76:77], v[117:118], v[249:250]
	s_waitcnt lgkmcnt(15)
	;; [unrolled: 3-line block ×17, first 2 shown]
	v_mul_f64 v[235:236], v[183:184], v[249:250]
	v_mul_f64 v[237:238], v[181:182], v[249:250]
	v_dual_mov_b32 v248, v49 :: v_dual_mov_b32 v247, v48
	v_fma_f64 v[50:51], v[113:114], v[48:49], -v[50:51]
	v_fma_f64 v[52:53], v[115:116], v[48:49], v[52:53]
	v_fma_f64 v[54:55], v[117:118], v[48:49], -v[54:55]
	v_fma_f64 v[76:77], v[119:120], v[48:49], v[76:77]
	;; [unrolled: 2-line block ×18, first 2 shown]
	v_add_f64 v[68:69], v[68:69], -v[54:55]
	v_add_f64 v[70:71], v[70:71], -v[76:77]
	;; [unrolled: 1-line block ×34, first 2 shown]
	s_waitcnt vmcnt(0)
	v_add_f64 v[79:80], v[79:80], -v[50:51]
	v_add_f64 v[81:82], v[81:82], -v[52:53]
	scratch_store_b128 off, v[79:82], off   ; 16-byte Folded Spill
.LBB46_125:
	s_or_b32 exec_lo, exec_lo, s2
	s_waitcnt_vscnt null, 0x0
	s_barrier
	buffer_gl0_inv
	scratch_load_b128 v[49:52], off, off    ; 16-byte Folded Reload
	v_lshl_add_u32 v48, v95, 4, v106
	v_mov_b32_e32 v104, 6
	s_cmp_lt_i32 s5, 8
	s_waitcnt vmcnt(0)
	ds_store_2addr_b64 v48, v[49:50], v[51:52] offset1:1
	s_waitcnt lgkmcnt(0)
	s_barrier
	buffer_gl0_inv
	ds_load_2addr_b64 v[96:99], v106 offset0:12 offset1:13
	s_cbranch_scc1 .LBB46_128
; %bb.126:
	v_add3_u32 v105, v87, 0, 0x70
	v_mov_b32_e32 v104, 6
	s_mov_b32 s6, 7
	s_set_inst_prefetch_distance 0x1
	.p2align	6
.LBB46_127:                             ; =>This Inner Loop Header: Depth=1
	ds_load_2addr_b64 v[113:116], v105 offset1:1
	s_waitcnt lgkmcnt(1)
	v_cmp_gt_f64_e32 vcc_lo, 0, v[96:97]
	v_xor_b32_e32 v48, 0x80000000, v97
	v_cmp_gt_f64_e64 s2, 0, v[98:99]
	v_xor_b32_e32 v50, 0x80000000, v99
	v_add_nc_u32_e32 v105, 16, v105
	s_waitcnt lgkmcnt(0)
	v_cmp_gt_f64_e64 s3, 0, v[113:114]
	v_mov_b32_e32 v52, v113
	v_dual_mov_b32 v54, v115 :: v_dual_cndmask_b32 v49, v97, v48
	v_xor_b32_e32 v48, 0x80000000, v114
	v_cndmask_b32_e64 v51, v99, v50, s2
	v_xor_b32_e32 v50, 0x80000000, v116
	s_delay_alu instid0(VALU_DEP_3) | instskip(SKIP_2) | instid1(VALU_DEP_2)
	v_cndmask_b32_e64 v53, v114, v48, s3
	v_cmp_gt_f64_e64 s3, 0, v[115:116]
	v_cndmask_b32_e32 v48, v96, v96, vcc_lo
	v_cndmask_b32_e64 v55, v116, v50, s3
	v_cndmask_b32_e64 v50, v98, v98, s2
	s_delay_alu instid0(VALU_DEP_2) | instskip(NEXT) | instid1(VALU_DEP_2)
	v_add_f64 v[52:53], v[52:53], v[54:55]
	v_add_f64 v[48:49], v[48:49], v[50:51]
	s_delay_alu instid0(VALU_DEP_1) | instskip(SKIP_4) | instid1(SALU_CYCLE_1)
	v_cmp_lt_f64_e32 vcc_lo, v[48:49], v[52:53]
	v_dual_cndmask_b32 v97, v97, v114 :: v_dual_cndmask_b32 v96, v96, v113
	v_dual_cndmask_b32 v99, v99, v116 :: v_dual_cndmask_b32 v98, v98, v115
	v_cndmask_b32_e64 v104, v104, s6, vcc_lo
	s_add_i32 s6, s6, 1
	s_cmp_lg_u32 s5, s6
	s_cbranch_scc1 .LBB46_127
.LBB46_128:
	s_set_inst_prefetch_distance 0x2
	s_waitcnt lgkmcnt(0)
	v_cmp_eq_f64_e32 vcc_lo, 0, v[96:97]
	v_cmp_eq_f64_e64 s2, 0, v[98:99]
	s_delay_alu instid0(VALU_DEP_1) | instskip(NEXT) | instid1(SALU_CYCLE_1)
	s_and_b32 s2, vcc_lo, s2
	s_and_saveexec_b32 s3, s2
	s_delay_alu instid0(SALU_CYCLE_1)
	s_xor_b32 s2, exec_lo, s3
; %bb.129:
	v_cmp_ne_u32_e32 vcc_lo, 0, v86
	v_cndmask_b32_e32 v86, 7, v86, vcc_lo
; %bb.130:
	s_and_not1_saveexec_b32 s3, s2
	s_cbranch_execz .LBB46_136
; %bb.131:
	v_cmp_gt_f64_e32 vcc_lo, 0, v[96:97]
	v_cmp_gt_f64_e64 s2, 0, v[98:99]
	v_xor_b32_e32 v48, 0x80000000, v97
	v_xor_b32_e32 v50, 0x80000000, v99
	s_delay_alu instid0(VALU_DEP_2) | instskip(NEXT) | instid1(VALU_DEP_2)
	v_cndmask_b32_e32 v49, v97, v48, vcc_lo
	v_cndmask_b32_e64 v51, v99, v50, s2
	v_cndmask_b32_e32 v48, v96, v96, vcc_lo
	v_cndmask_b32_e64 v50, v98, v98, s2
	s_mov_b32 s2, exec_lo
	s_delay_alu instid0(VALU_DEP_1)
	v_cmpx_ngt_f64_e32 v[48:49], v[50:51]
	s_xor_b32 s2, exec_lo, s2
	s_cbranch_execz .LBB46_133
; %bb.132:
	v_div_scale_f64 v[48:49], null, v[98:99], v[98:99], v[96:97]
	v_div_scale_f64 v[54:55], vcc_lo, v[96:97], v[98:99], v[96:97]
	s_delay_alu instid0(VALU_DEP_2) | instskip(SKIP_2) | instid1(VALU_DEP_1)
	v_rcp_f64_e32 v[50:51], v[48:49]
	s_waitcnt_depctr 0xfff
	v_fma_f64 v[52:53], -v[48:49], v[50:51], 1.0
	v_fma_f64 v[50:51], v[50:51], v[52:53], v[50:51]
	s_delay_alu instid0(VALU_DEP_1) | instskip(NEXT) | instid1(VALU_DEP_1)
	v_fma_f64 v[52:53], -v[48:49], v[50:51], 1.0
	v_fma_f64 v[50:51], v[50:51], v[52:53], v[50:51]
	s_delay_alu instid0(VALU_DEP_1) | instskip(NEXT) | instid1(VALU_DEP_1)
	v_mul_f64 v[52:53], v[54:55], v[50:51]
	v_fma_f64 v[48:49], -v[48:49], v[52:53], v[54:55]
	s_delay_alu instid0(VALU_DEP_1) | instskip(NEXT) | instid1(VALU_DEP_1)
	v_div_fmas_f64 v[48:49], v[48:49], v[50:51], v[52:53]
	v_div_fixup_f64 v[48:49], v[48:49], v[98:99], v[96:97]
	s_delay_alu instid0(VALU_DEP_1) | instskip(NEXT) | instid1(VALU_DEP_1)
	v_fma_f64 v[50:51], v[96:97], v[48:49], v[98:99]
	v_div_scale_f64 v[52:53], null, v[50:51], v[50:51], 1.0
	s_delay_alu instid0(VALU_DEP_1) | instskip(SKIP_2) | instid1(VALU_DEP_1)
	v_rcp_f64_e32 v[54:55], v[52:53]
	s_waitcnt_depctr 0xfff
	v_fma_f64 v[96:97], -v[52:53], v[54:55], 1.0
	v_fma_f64 v[54:55], v[54:55], v[96:97], v[54:55]
	s_delay_alu instid0(VALU_DEP_1) | instskip(NEXT) | instid1(VALU_DEP_1)
	v_fma_f64 v[96:97], -v[52:53], v[54:55], 1.0
	v_fma_f64 v[54:55], v[54:55], v[96:97], v[54:55]
	v_div_scale_f64 v[96:97], vcc_lo, 1.0, v[50:51], 1.0
	s_delay_alu instid0(VALU_DEP_1) | instskip(NEXT) | instid1(VALU_DEP_1)
	v_mul_f64 v[98:99], v[96:97], v[54:55]
	v_fma_f64 v[52:53], -v[52:53], v[98:99], v[96:97]
	s_delay_alu instid0(VALU_DEP_1) | instskip(NEXT) | instid1(VALU_DEP_1)
	v_div_fmas_f64 v[52:53], v[52:53], v[54:55], v[98:99]
	v_div_fixup_f64 v[98:99], v[52:53], v[50:51], 1.0
	s_delay_alu instid0(VALU_DEP_1)
	v_mul_f64 v[96:97], v[48:49], v[98:99]
	v_xor_b32_e32 v99, 0x80000000, v99
.LBB46_133:
	s_and_not1_saveexec_b32 s2, s2
	s_cbranch_execz .LBB46_135
; %bb.134:
	s_delay_alu instid0(VALU_DEP_1) | instskip(SKIP_1) | instid1(VALU_DEP_2)
	v_div_scale_f64 v[48:49], null, v[96:97], v[96:97], v[98:99]
	v_div_scale_f64 v[54:55], vcc_lo, v[98:99], v[96:97], v[98:99]
	v_rcp_f64_e32 v[50:51], v[48:49]
	s_waitcnt_depctr 0xfff
	v_fma_f64 v[52:53], -v[48:49], v[50:51], 1.0
	s_delay_alu instid0(VALU_DEP_1) | instskip(NEXT) | instid1(VALU_DEP_1)
	v_fma_f64 v[50:51], v[50:51], v[52:53], v[50:51]
	v_fma_f64 v[52:53], -v[48:49], v[50:51], 1.0
	s_delay_alu instid0(VALU_DEP_1) | instskip(NEXT) | instid1(VALU_DEP_1)
	v_fma_f64 v[50:51], v[50:51], v[52:53], v[50:51]
	v_mul_f64 v[52:53], v[54:55], v[50:51]
	s_delay_alu instid0(VALU_DEP_1) | instskip(NEXT) | instid1(VALU_DEP_1)
	v_fma_f64 v[48:49], -v[48:49], v[52:53], v[54:55]
	v_div_fmas_f64 v[48:49], v[48:49], v[50:51], v[52:53]
	s_delay_alu instid0(VALU_DEP_1) | instskip(NEXT) | instid1(VALU_DEP_1)
	v_div_fixup_f64 v[48:49], v[48:49], v[96:97], v[98:99]
	v_fma_f64 v[50:51], v[98:99], v[48:49], v[96:97]
	s_delay_alu instid0(VALU_DEP_1) | instskip(NEXT) | instid1(VALU_DEP_1)
	v_div_scale_f64 v[52:53], null, v[50:51], v[50:51], 1.0
	v_rcp_f64_e32 v[54:55], v[52:53]
	s_waitcnt_depctr 0xfff
	v_fma_f64 v[96:97], -v[52:53], v[54:55], 1.0
	s_delay_alu instid0(VALU_DEP_1) | instskip(NEXT) | instid1(VALU_DEP_1)
	v_fma_f64 v[54:55], v[54:55], v[96:97], v[54:55]
	v_fma_f64 v[96:97], -v[52:53], v[54:55], 1.0
	s_delay_alu instid0(VALU_DEP_1) | instskip(SKIP_1) | instid1(VALU_DEP_1)
	v_fma_f64 v[54:55], v[54:55], v[96:97], v[54:55]
	v_div_scale_f64 v[96:97], vcc_lo, 1.0, v[50:51], 1.0
	v_mul_f64 v[98:99], v[96:97], v[54:55]
	s_delay_alu instid0(VALU_DEP_1) | instskip(NEXT) | instid1(VALU_DEP_1)
	v_fma_f64 v[52:53], -v[52:53], v[98:99], v[96:97]
	v_div_fmas_f64 v[52:53], v[52:53], v[54:55], v[98:99]
	s_delay_alu instid0(VALU_DEP_1) | instskip(NEXT) | instid1(VALU_DEP_1)
	v_div_fixup_f64 v[96:97], v[52:53], v[50:51], 1.0
	v_mul_f64 v[98:99], v[48:49], -v[96:97]
.LBB46_135:
	s_or_b32 exec_lo, exec_lo, s2
.LBB46_136:
	s_delay_alu instid0(SALU_CYCLE_1) | instskip(NEXT) | instid1(SALU_CYCLE_1)
	s_or_b32 exec_lo, exec_lo, s3
	s_mov_b32 s2, exec_lo
	v_cmpx_ne_u32_e64 v95, v104
	s_xor_b32 s2, exec_lo, s2
	s_cbranch_execz .LBB46_142
; %bb.137:
	s_mov_b32 s3, exec_lo
	v_cmpx_eq_u32_e32 6, v95
	s_cbranch_execz .LBB46_141
; %bb.138:
	v_cmp_ne_u32_e32 vcc_lo, 6, v104
	s_xor_b32 s6, s4, -1
	s_delay_alu instid0(SALU_CYCLE_1) | instskip(NEXT) | instid1(SALU_CYCLE_1)
	s_and_b32 s7, s6, vcc_lo
	s_and_saveexec_b32 s6, s7
	s_cbranch_execz .LBB46_140
; %bb.139:
	scratch_load_b64 v[52:53], off, off offset:16 ; 8-byte Folded Reload
	v_ashrrev_i32_e32 v105, 31, v104
	s_delay_alu instid0(VALU_DEP_1) | instskip(SKIP_1) | instid1(VALU_DEP_1)
	v_lshlrev_b64 v[48:49], 2, v[104:105]
	s_waitcnt vmcnt(0)
	v_add_co_u32 v48, vcc_lo, v52, v48
	s_delay_alu instid0(VALU_DEP_2)
	v_add_co_ci_u32_e32 v49, vcc_lo, v53, v49, vcc_lo
	s_clause 0x1
	flat_load_b32 v50, v[48:49]
	flat_load_b32 v51, v[52:53] offset:24
	s_waitcnt vmcnt(1) lgkmcnt(1)
	flat_store_b32 v[52:53], v50 offset:24
	s_waitcnt vmcnt(0) lgkmcnt(1)
	flat_store_b32 v[48:49], v51
.LBB46_140:
	s_or_b32 exec_lo, exec_lo, s6
	v_mov_b32_e32 v95, v104
	v_mov_b32_e32 v78, v104
.LBB46_141:
	s_or_b32 exec_lo, exec_lo, s3
.LBB46_142:
	s_and_not1_saveexec_b32 s2, s2
	s_cbranch_execz .LBB46_144
; %bb.143:
	v_mov_b32_e32 v95, 6
	ds_store_2addr_b64 v106, v[68:69], v[70:71] offset0:14 offset1:15
	ds_store_2addr_b64 v106, v[72:73], v[74:75] offset0:16 offset1:17
	;; [unrolled: 1-line block ×17, first 2 shown]
.LBB46_144:
	s_or_b32 exec_lo, exec_lo, s2
	s_delay_alu instid0(SALU_CYCLE_1)
	s_mov_b32 s2, exec_lo
	s_waitcnt lgkmcnt(0)
	s_waitcnt_vscnt null, 0x0
	s_barrier
	buffer_gl0_inv
	v_cmpx_lt_i32_e32 6, v95
	s_cbranch_execz .LBB46_146
; %bb.145:
	v_dual_mov_b32 v76, v86 :: v_dual_mov_b32 v77, v87
	scratch_load_b128 v[84:87], off, off    ; 16-byte Folded Reload
	ds_load_2addr_b64 v[113:116], v106 offset0:14 offset1:15
	ds_load_2addr_b64 v[117:120], v106 offset0:16 offset1:17
	;; [unrolled: 1-line block ×17, first 2 shown]
	s_waitcnt vmcnt(0)
	v_mul_f64 v[48:49], v[96:97], v[86:87]
	v_mul_f64 v[50:51], v[98:99], v[86:87]
	s_delay_alu instid0(VALU_DEP_2) | instskip(NEXT) | instid1(VALU_DEP_2)
	v_fma_f64 v[86:87], v[98:99], v[84:85], v[48:49]
	v_fma_f64 v[48:49], v[96:97], v[84:85], -v[50:51]
	s_waitcnt lgkmcnt(16)
	s_delay_alu instid0(VALU_DEP_2)
	v_mul_f64 v[50:51], v[115:116], v[86:87]
	v_mul_f64 v[52:53], v[113:114], v[86:87]
	s_waitcnt lgkmcnt(15)
	v_mul_f64 v[54:55], v[119:120], v[86:87]
	v_mul_f64 v[84:85], v[117:118], v[86:87]
	s_waitcnt lgkmcnt(14)
	;; [unrolled: 3-line block ×16, first 2 shown]
	v_mul_f64 v[227:228], v[179:180], v[86:87]
	v_mul_f64 v[229:230], v[177:178], v[86:87]
	v_fma_f64 v[50:51], v[113:114], v[48:49], -v[50:51]
	v_fma_f64 v[52:53], v[115:116], v[48:49], v[52:53]
	v_fma_f64 v[54:55], v[117:118], v[48:49], -v[54:55]
	v_fma_f64 v[84:85], v[119:120], v[48:49], v[84:85]
	;; [unrolled: 2-line block ×17, first 2 shown]
	v_add_f64 v[68:69], v[68:69], -v[50:51]
	v_add_f64 v[70:71], v[70:71], -v[52:53]
	;; [unrolled: 1-line block ×34, first 2 shown]
	v_dual_mov_b32 v85, v49 :: v_dual_mov_b32 v84, v48
	scratch_store_b128 off, v[84:87], off   ; 16-byte Folded Spill
	v_dual_mov_b32 v87, v77 :: v_dual_mov_b32 v86, v76
.LBB46_146:
	s_or_b32 exec_lo, exec_lo, s2
	v_lshl_add_u32 v48, v95, 4, v106
	s_waitcnt_vscnt null, 0x0
	s_barrier
	buffer_gl0_inv
	v_mov_b32_e32 v104, 7
	ds_store_2addr_b64 v48, v[68:69], v[70:71] offset1:1
	s_waitcnt lgkmcnt(0)
	s_barrier
	buffer_gl0_inv
	ds_load_2addr_b64 v[96:99], v106 offset0:14 offset1:15
	s_cmp_lt_i32 s5, 9
	s_cbranch_scc1 .LBB46_149
; %bb.147:
	v_add3_u32 v105, v87, 0, 0x80
	v_mov_b32_e32 v104, 7
	s_mov_b32 s6, 8
	s_set_inst_prefetch_distance 0x1
	.p2align	6
.LBB46_148:                             ; =>This Inner Loop Header: Depth=1
	ds_load_2addr_b64 v[113:116], v105 offset1:1
	s_waitcnt lgkmcnt(1)
	v_cmp_gt_f64_e32 vcc_lo, 0, v[96:97]
	v_xor_b32_e32 v48, 0x80000000, v97
	v_cmp_gt_f64_e64 s2, 0, v[98:99]
	v_xor_b32_e32 v50, 0x80000000, v99
	v_add_nc_u32_e32 v105, 16, v105
	s_waitcnt lgkmcnt(0)
	v_cmp_gt_f64_e64 s3, 0, v[113:114]
	v_mov_b32_e32 v52, v113
	v_dual_mov_b32 v54, v115 :: v_dual_cndmask_b32 v49, v97, v48
	v_xor_b32_e32 v48, 0x80000000, v114
	v_cndmask_b32_e64 v51, v99, v50, s2
	v_xor_b32_e32 v50, 0x80000000, v116
	s_delay_alu instid0(VALU_DEP_3) | instskip(SKIP_2) | instid1(VALU_DEP_2)
	v_cndmask_b32_e64 v53, v114, v48, s3
	v_cmp_gt_f64_e64 s3, 0, v[115:116]
	v_cndmask_b32_e32 v48, v96, v96, vcc_lo
	v_cndmask_b32_e64 v55, v116, v50, s3
	v_cndmask_b32_e64 v50, v98, v98, s2
	s_delay_alu instid0(VALU_DEP_2) | instskip(NEXT) | instid1(VALU_DEP_2)
	v_add_f64 v[52:53], v[52:53], v[54:55]
	v_add_f64 v[48:49], v[48:49], v[50:51]
	s_delay_alu instid0(VALU_DEP_1) | instskip(SKIP_4) | instid1(SALU_CYCLE_1)
	v_cmp_lt_f64_e32 vcc_lo, v[48:49], v[52:53]
	v_dual_cndmask_b32 v97, v97, v114 :: v_dual_cndmask_b32 v96, v96, v113
	v_dual_cndmask_b32 v99, v99, v116 :: v_dual_cndmask_b32 v98, v98, v115
	v_cndmask_b32_e64 v104, v104, s6, vcc_lo
	s_add_i32 s6, s6, 1
	s_cmp_lg_u32 s5, s6
	s_cbranch_scc1 .LBB46_148
.LBB46_149:
	s_set_inst_prefetch_distance 0x2
	s_waitcnt lgkmcnt(0)
	v_cmp_eq_f64_e32 vcc_lo, 0, v[96:97]
	v_cmp_eq_f64_e64 s2, 0, v[98:99]
	s_delay_alu instid0(VALU_DEP_1) | instskip(NEXT) | instid1(SALU_CYCLE_1)
	s_and_b32 s2, vcc_lo, s2
	s_and_saveexec_b32 s3, s2
	s_delay_alu instid0(SALU_CYCLE_1)
	s_xor_b32 s2, exec_lo, s3
; %bb.150:
	v_cmp_ne_u32_e32 vcc_lo, 0, v86
	v_cndmask_b32_e32 v86, 8, v86, vcc_lo
; %bb.151:
	s_and_not1_saveexec_b32 s3, s2
	s_cbranch_execz .LBB46_157
; %bb.152:
	v_cmp_gt_f64_e32 vcc_lo, 0, v[96:97]
	v_cmp_gt_f64_e64 s2, 0, v[98:99]
	v_xor_b32_e32 v48, 0x80000000, v97
	v_xor_b32_e32 v50, 0x80000000, v99
	s_delay_alu instid0(VALU_DEP_2) | instskip(NEXT) | instid1(VALU_DEP_2)
	v_cndmask_b32_e32 v49, v97, v48, vcc_lo
	v_cndmask_b32_e64 v51, v99, v50, s2
	v_cndmask_b32_e32 v48, v96, v96, vcc_lo
	v_cndmask_b32_e64 v50, v98, v98, s2
	s_mov_b32 s2, exec_lo
	s_delay_alu instid0(VALU_DEP_1)
	v_cmpx_ngt_f64_e32 v[48:49], v[50:51]
	s_xor_b32 s2, exec_lo, s2
	s_cbranch_execz .LBB46_154
; %bb.153:
	v_div_scale_f64 v[48:49], null, v[98:99], v[98:99], v[96:97]
	v_div_scale_f64 v[54:55], vcc_lo, v[96:97], v[98:99], v[96:97]
	s_delay_alu instid0(VALU_DEP_2) | instskip(SKIP_2) | instid1(VALU_DEP_1)
	v_rcp_f64_e32 v[50:51], v[48:49]
	s_waitcnt_depctr 0xfff
	v_fma_f64 v[52:53], -v[48:49], v[50:51], 1.0
	v_fma_f64 v[50:51], v[50:51], v[52:53], v[50:51]
	s_delay_alu instid0(VALU_DEP_1) | instskip(NEXT) | instid1(VALU_DEP_1)
	v_fma_f64 v[52:53], -v[48:49], v[50:51], 1.0
	v_fma_f64 v[50:51], v[50:51], v[52:53], v[50:51]
	s_delay_alu instid0(VALU_DEP_1) | instskip(NEXT) | instid1(VALU_DEP_1)
	v_mul_f64 v[52:53], v[54:55], v[50:51]
	v_fma_f64 v[48:49], -v[48:49], v[52:53], v[54:55]
	s_delay_alu instid0(VALU_DEP_1) | instskip(NEXT) | instid1(VALU_DEP_1)
	v_div_fmas_f64 v[48:49], v[48:49], v[50:51], v[52:53]
	v_div_fixup_f64 v[48:49], v[48:49], v[98:99], v[96:97]
	s_delay_alu instid0(VALU_DEP_1) | instskip(NEXT) | instid1(VALU_DEP_1)
	v_fma_f64 v[50:51], v[96:97], v[48:49], v[98:99]
	v_div_scale_f64 v[52:53], null, v[50:51], v[50:51], 1.0
	s_delay_alu instid0(VALU_DEP_1) | instskip(SKIP_2) | instid1(VALU_DEP_1)
	v_rcp_f64_e32 v[54:55], v[52:53]
	s_waitcnt_depctr 0xfff
	v_fma_f64 v[96:97], -v[52:53], v[54:55], 1.0
	v_fma_f64 v[54:55], v[54:55], v[96:97], v[54:55]
	s_delay_alu instid0(VALU_DEP_1) | instskip(NEXT) | instid1(VALU_DEP_1)
	v_fma_f64 v[96:97], -v[52:53], v[54:55], 1.0
	v_fma_f64 v[54:55], v[54:55], v[96:97], v[54:55]
	v_div_scale_f64 v[96:97], vcc_lo, 1.0, v[50:51], 1.0
	s_delay_alu instid0(VALU_DEP_1) | instskip(NEXT) | instid1(VALU_DEP_1)
	v_mul_f64 v[98:99], v[96:97], v[54:55]
	v_fma_f64 v[52:53], -v[52:53], v[98:99], v[96:97]
	s_delay_alu instid0(VALU_DEP_1) | instskip(NEXT) | instid1(VALU_DEP_1)
	v_div_fmas_f64 v[52:53], v[52:53], v[54:55], v[98:99]
	v_div_fixup_f64 v[98:99], v[52:53], v[50:51], 1.0
	s_delay_alu instid0(VALU_DEP_1)
	v_mul_f64 v[96:97], v[48:49], v[98:99]
	v_xor_b32_e32 v99, 0x80000000, v99
.LBB46_154:
	s_and_not1_saveexec_b32 s2, s2
	s_cbranch_execz .LBB46_156
; %bb.155:
	s_delay_alu instid0(VALU_DEP_1) | instskip(SKIP_1) | instid1(VALU_DEP_2)
	v_div_scale_f64 v[48:49], null, v[96:97], v[96:97], v[98:99]
	v_div_scale_f64 v[54:55], vcc_lo, v[98:99], v[96:97], v[98:99]
	v_rcp_f64_e32 v[50:51], v[48:49]
	s_waitcnt_depctr 0xfff
	v_fma_f64 v[52:53], -v[48:49], v[50:51], 1.0
	s_delay_alu instid0(VALU_DEP_1) | instskip(NEXT) | instid1(VALU_DEP_1)
	v_fma_f64 v[50:51], v[50:51], v[52:53], v[50:51]
	v_fma_f64 v[52:53], -v[48:49], v[50:51], 1.0
	s_delay_alu instid0(VALU_DEP_1) | instskip(NEXT) | instid1(VALU_DEP_1)
	v_fma_f64 v[50:51], v[50:51], v[52:53], v[50:51]
	v_mul_f64 v[52:53], v[54:55], v[50:51]
	s_delay_alu instid0(VALU_DEP_1) | instskip(NEXT) | instid1(VALU_DEP_1)
	v_fma_f64 v[48:49], -v[48:49], v[52:53], v[54:55]
	v_div_fmas_f64 v[48:49], v[48:49], v[50:51], v[52:53]
	s_delay_alu instid0(VALU_DEP_1) | instskip(NEXT) | instid1(VALU_DEP_1)
	v_div_fixup_f64 v[48:49], v[48:49], v[96:97], v[98:99]
	v_fma_f64 v[50:51], v[98:99], v[48:49], v[96:97]
	s_delay_alu instid0(VALU_DEP_1) | instskip(NEXT) | instid1(VALU_DEP_1)
	v_div_scale_f64 v[52:53], null, v[50:51], v[50:51], 1.0
	v_rcp_f64_e32 v[54:55], v[52:53]
	s_waitcnt_depctr 0xfff
	v_fma_f64 v[96:97], -v[52:53], v[54:55], 1.0
	s_delay_alu instid0(VALU_DEP_1) | instskip(NEXT) | instid1(VALU_DEP_1)
	v_fma_f64 v[54:55], v[54:55], v[96:97], v[54:55]
	v_fma_f64 v[96:97], -v[52:53], v[54:55], 1.0
	s_delay_alu instid0(VALU_DEP_1) | instskip(SKIP_1) | instid1(VALU_DEP_1)
	v_fma_f64 v[54:55], v[54:55], v[96:97], v[54:55]
	v_div_scale_f64 v[96:97], vcc_lo, 1.0, v[50:51], 1.0
	v_mul_f64 v[98:99], v[96:97], v[54:55]
	s_delay_alu instid0(VALU_DEP_1) | instskip(NEXT) | instid1(VALU_DEP_1)
	v_fma_f64 v[52:53], -v[52:53], v[98:99], v[96:97]
	v_div_fmas_f64 v[52:53], v[52:53], v[54:55], v[98:99]
	s_delay_alu instid0(VALU_DEP_1) | instskip(NEXT) | instid1(VALU_DEP_1)
	v_div_fixup_f64 v[96:97], v[52:53], v[50:51], 1.0
	v_mul_f64 v[98:99], v[48:49], -v[96:97]
.LBB46_156:
	s_or_b32 exec_lo, exec_lo, s2
.LBB46_157:
	s_delay_alu instid0(SALU_CYCLE_1) | instskip(NEXT) | instid1(SALU_CYCLE_1)
	s_or_b32 exec_lo, exec_lo, s3
	s_mov_b32 s2, exec_lo
	v_cmpx_ne_u32_e64 v95, v104
	s_xor_b32 s2, exec_lo, s2
	s_cbranch_execz .LBB46_163
; %bb.158:
	s_mov_b32 s3, exec_lo
	v_cmpx_eq_u32_e32 7, v95
	s_cbranch_execz .LBB46_162
; %bb.159:
	v_cmp_ne_u32_e32 vcc_lo, 7, v104
	s_xor_b32 s6, s4, -1
	s_delay_alu instid0(SALU_CYCLE_1) | instskip(NEXT) | instid1(SALU_CYCLE_1)
	s_and_b32 s7, s6, vcc_lo
	s_and_saveexec_b32 s6, s7
	s_cbranch_execz .LBB46_161
; %bb.160:
	scratch_load_b64 v[52:53], off, off offset:16 ; 8-byte Folded Reload
	v_ashrrev_i32_e32 v105, 31, v104
	s_delay_alu instid0(VALU_DEP_1) | instskip(SKIP_1) | instid1(VALU_DEP_1)
	v_lshlrev_b64 v[48:49], 2, v[104:105]
	s_waitcnt vmcnt(0)
	v_add_co_u32 v48, vcc_lo, v52, v48
	s_delay_alu instid0(VALU_DEP_2)
	v_add_co_ci_u32_e32 v49, vcc_lo, v53, v49, vcc_lo
	s_clause 0x1
	flat_load_b32 v50, v[48:49]
	flat_load_b32 v51, v[52:53] offset:28
	s_waitcnt vmcnt(1) lgkmcnt(1)
	flat_store_b32 v[52:53], v50 offset:28
	s_waitcnt vmcnt(0) lgkmcnt(1)
	flat_store_b32 v[48:49], v51
.LBB46_161:
	s_or_b32 exec_lo, exec_lo, s6
	v_mov_b32_e32 v95, v104
	v_mov_b32_e32 v78, v104
.LBB46_162:
	s_or_b32 exec_lo, exec_lo, s3
.LBB46_163:
	s_and_not1_saveexec_b32 s2, s2
	s_cbranch_execz .LBB46_165
; %bb.164:
	v_mov_b32_e32 v95, 7
	ds_store_2addr_b64 v106, v[72:73], v[74:75] offset0:16 offset1:17
	ds_store_2addr_b64 v106, v[56:57], v[58:59] offset0:18 offset1:19
	;; [unrolled: 1-line block ×16, first 2 shown]
.LBB46_165:
	s_or_b32 exec_lo, exec_lo, s2
	s_delay_alu instid0(SALU_CYCLE_1)
	s_mov_b32 s2, exec_lo
	s_waitcnt lgkmcnt(0)
	s_waitcnt_vscnt null, 0x0
	s_barrier
	buffer_gl0_inv
	v_cmpx_lt_i32_e32 7, v95
	s_cbranch_execz .LBB46_167
; %bb.166:
	v_mul_f64 v[48:49], v[96:97], v[70:71]
	v_mul_f64 v[50:51], v[98:99], v[70:71]
	ds_load_2addr_b64 v[113:116], v106 offset0:16 offset1:17
	ds_load_2addr_b64 v[117:120], v106 offset0:18 offset1:19
	;; [unrolled: 1-line block ×16, first 2 shown]
	v_fma_f64 v[48:49], v[98:99], v[68:69], v[48:49]
	v_fma_f64 v[68:69], v[96:97], v[68:69], -v[50:51]
	s_waitcnt lgkmcnt(15)
	s_delay_alu instid0(VALU_DEP_2)
	v_mul_f64 v[50:51], v[115:116], v[48:49]
	v_mul_f64 v[52:53], v[113:114], v[48:49]
	s_waitcnt lgkmcnt(14)
	v_mul_f64 v[54:55], v[119:120], v[48:49]
	v_mul_f64 v[70:71], v[117:118], v[48:49]
	s_waitcnt lgkmcnt(13)
	;; [unrolled: 3-line block ×15, first 2 shown]
	v_mul_f64 v[219:220], v[175:176], v[48:49]
	v_mul_f64 v[221:222], v[173:174], v[48:49]
	v_fma_f64 v[50:51], v[113:114], v[68:69], -v[50:51]
	v_fma_f64 v[52:53], v[115:116], v[68:69], v[52:53]
	v_fma_f64 v[54:55], v[117:118], v[68:69], -v[54:55]
	v_fma_f64 v[70:71], v[119:120], v[68:69], v[70:71]
	;; [unrolled: 2-line block ×16, first 2 shown]
	v_add_f64 v[72:73], v[72:73], -v[50:51]
	v_add_f64 v[74:75], v[74:75], -v[52:53]
	v_add_f64 v[56:57], v[56:57], -v[54:55]
	v_add_f64 v[58:59], v[58:59], -v[70:71]
	v_add_f64 v[64:65], v[64:65], -v[96:97]
	v_add_f64 v[66:67], v[66:67], -v[98:99]
	v_add_f64 v[60:61], v[60:61], -v[100:101]
	v_add_f64 v[62:63], v[62:63], -v[102:103]
	v_add_f64 v[44:45], v[44:45], -v[104:105]
	v_add_f64 v[46:47], v[46:47], -v[113:114]
	v_add_f64 v[40:41], v[40:41], -v[115:116]
	v_add_f64 v[42:43], v[42:43], -v[117:118]
	v_add_f64 v[32:33], v[32:33], -v[119:120]
	v_add_f64 v[34:35], v[34:35], -v[121:122]
	v_add_f64 v[28:29], v[28:29], -v[123:124]
	v_add_f64 v[30:31], v[30:31], -v[125:126]
	v_add_f64 v[36:37], v[36:37], -v[127:128]
	v_add_f64 v[38:39], v[38:39], -v[129:130]
	v_add_f64 v[20:21], v[20:21], -v[131:132]
	v_add_f64 v[22:23], v[22:23], -v[133:134]
	v_add_f64 v[24:25], v[24:25], -v[135:136]
	v_add_f64 v[26:27], v[26:27], -v[137:138]
	v_add_f64 v[16:17], v[16:17], -v[139:140]
	v_add_f64 v[18:19], v[18:19], -v[141:142]
	v_add_f64 v[12:13], v[12:13], -v[143:144]
	v_add_f64 v[14:15], v[14:15], -v[145:146]
	v_add_f64 v[8:9], v[8:9], -v[147:148]
	v_add_f64 v[10:11], v[10:11], -v[149:150]
	v_add_f64 v[4:5], v[4:5], -v[151:152]
	v_add_f64 v[6:7], v[6:7], -v[153:154]
	v_add_f64 v[0:1], v[0:1], -v[155:156]
	v_add_f64 v[2:3], v[2:3], -v[157:158]
	v_dual_mov_b32 v71, v49 :: v_dual_mov_b32 v70, v48
.LBB46_167:
	s_or_b32 exec_lo, exec_lo, s2
	v_lshl_add_u32 v48, v95, 4, v106
	s_barrier
	buffer_gl0_inv
	v_mov_b32_e32 v104, 8
	ds_store_2addr_b64 v48, v[72:73], v[74:75] offset1:1
	s_waitcnt lgkmcnt(0)
	s_barrier
	buffer_gl0_inv
	ds_load_2addr_b64 v[96:99], v106 offset0:16 offset1:17
	s_cmp_lt_i32 s5, 10
	s_cbranch_scc1 .LBB46_170
; %bb.168:
	v_add3_u32 v105, v87, 0, 0x90
	v_mov_b32_e32 v104, 8
	s_mov_b32 s6, 9
	s_set_inst_prefetch_distance 0x1
	.p2align	6
.LBB46_169:                             ; =>This Inner Loop Header: Depth=1
	ds_load_2addr_b64 v[113:116], v105 offset1:1
	s_waitcnt lgkmcnt(1)
	v_cmp_gt_f64_e32 vcc_lo, 0, v[96:97]
	v_xor_b32_e32 v48, 0x80000000, v97
	v_cmp_gt_f64_e64 s2, 0, v[98:99]
	v_xor_b32_e32 v50, 0x80000000, v99
	v_add_nc_u32_e32 v105, 16, v105
	s_waitcnt lgkmcnt(0)
	v_cmp_gt_f64_e64 s3, 0, v[113:114]
	v_mov_b32_e32 v52, v113
	v_dual_mov_b32 v54, v115 :: v_dual_cndmask_b32 v49, v97, v48
	v_xor_b32_e32 v48, 0x80000000, v114
	v_cndmask_b32_e64 v51, v99, v50, s2
	v_xor_b32_e32 v50, 0x80000000, v116
	s_delay_alu instid0(VALU_DEP_3) | instskip(SKIP_2) | instid1(VALU_DEP_2)
	v_cndmask_b32_e64 v53, v114, v48, s3
	v_cmp_gt_f64_e64 s3, 0, v[115:116]
	v_cndmask_b32_e32 v48, v96, v96, vcc_lo
	v_cndmask_b32_e64 v55, v116, v50, s3
	v_cndmask_b32_e64 v50, v98, v98, s2
	s_delay_alu instid0(VALU_DEP_2) | instskip(NEXT) | instid1(VALU_DEP_2)
	v_add_f64 v[52:53], v[52:53], v[54:55]
	v_add_f64 v[48:49], v[48:49], v[50:51]
	s_delay_alu instid0(VALU_DEP_1) | instskip(SKIP_4) | instid1(SALU_CYCLE_1)
	v_cmp_lt_f64_e32 vcc_lo, v[48:49], v[52:53]
	v_dual_cndmask_b32 v97, v97, v114 :: v_dual_cndmask_b32 v96, v96, v113
	v_dual_cndmask_b32 v99, v99, v116 :: v_dual_cndmask_b32 v98, v98, v115
	v_cndmask_b32_e64 v104, v104, s6, vcc_lo
	s_add_i32 s6, s6, 1
	s_cmp_lg_u32 s5, s6
	s_cbranch_scc1 .LBB46_169
.LBB46_170:
	s_set_inst_prefetch_distance 0x2
	s_waitcnt lgkmcnt(0)
	v_cmp_eq_f64_e32 vcc_lo, 0, v[96:97]
	v_cmp_eq_f64_e64 s2, 0, v[98:99]
	s_delay_alu instid0(VALU_DEP_1) | instskip(NEXT) | instid1(SALU_CYCLE_1)
	s_and_b32 s2, vcc_lo, s2
	s_and_saveexec_b32 s3, s2
	s_delay_alu instid0(SALU_CYCLE_1)
	s_xor_b32 s2, exec_lo, s3
; %bb.171:
	v_cmp_ne_u32_e32 vcc_lo, 0, v86
	v_cndmask_b32_e32 v86, 9, v86, vcc_lo
; %bb.172:
	s_and_not1_saveexec_b32 s3, s2
	s_cbranch_execz .LBB46_178
; %bb.173:
	v_cmp_gt_f64_e32 vcc_lo, 0, v[96:97]
	v_cmp_gt_f64_e64 s2, 0, v[98:99]
	v_xor_b32_e32 v48, 0x80000000, v97
	v_xor_b32_e32 v50, 0x80000000, v99
	s_delay_alu instid0(VALU_DEP_2) | instskip(NEXT) | instid1(VALU_DEP_2)
	v_cndmask_b32_e32 v49, v97, v48, vcc_lo
	v_cndmask_b32_e64 v51, v99, v50, s2
	v_cndmask_b32_e32 v48, v96, v96, vcc_lo
	v_cndmask_b32_e64 v50, v98, v98, s2
	s_mov_b32 s2, exec_lo
	s_delay_alu instid0(VALU_DEP_1)
	v_cmpx_ngt_f64_e32 v[48:49], v[50:51]
	s_xor_b32 s2, exec_lo, s2
	s_cbranch_execz .LBB46_175
; %bb.174:
	v_div_scale_f64 v[48:49], null, v[98:99], v[98:99], v[96:97]
	v_div_scale_f64 v[54:55], vcc_lo, v[96:97], v[98:99], v[96:97]
	s_delay_alu instid0(VALU_DEP_2) | instskip(SKIP_2) | instid1(VALU_DEP_1)
	v_rcp_f64_e32 v[50:51], v[48:49]
	s_waitcnt_depctr 0xfff
	v_fma_f64 v[52:53], -v[48:49], v[50:51], 1.0
	v_fma_f64 v[50:51], v[50:51], v[52:53], v[50:51]
	s_delay_alu instid0(VALU_DEP_1) | instskip(NEXT) | instid1(VALU_DEP_1)
	v_fma_f64 v[52:53], -v[48:49], v[50:51], 1.0
	v_fma_f64 v[50:51], v[50:51], v[52:53], v[50:51]
	s_delay_alu instid0(VALU_DEP_1) | instskip(NEXT) | instid1(VALU_DEP_1)
	v_mul_f64 v[52:53], v[54:55], v[50:51]
	v_fma_f64 v[48:49], -v[48:49], v[52:53], v[54:55]
	s_delay_alu instid0(VALU_DEP_1) | instskip(NEXT) | instid1(VALU_DEP_1)
	v_div_fmas_f64 v[48:49], v[48:49], v[50:51], v[52:53]
	v_div_fixup_f64 v[48:49], v[48:49], v[98:99], v[96:97]
	s_delay_alu instid0(VALU_DEP_1) | instskip(NEXT) | instid1(VALU_DEP_1)
	v_fma_f64 v[50:51], v[96:97], v[48:49], v[98:99]
	v_div_scale_f64 v[52:53], null, v[50:51], v[50:51], 1.0
	s_delay_alu instid0(VALU_DEP_1) | instskip(SKIP_2) | instid1(VALU_DEP_1)
	v_rcp_f64_e32 v[54:55], v[52:53]
	s_waitcnt_depctr 0xfff
	v_fma_f64 v[96:97], -v[52:53], v[54:55], 1.0
	v_fma_f64 v[54:55], v[54:55], v[96:97], v[54:55]
	s_delay_alu instid0(VALU_DEP_1) | instskip(NEXT) | instid1(VALU_DEP_1)
	v_fma_f64 v[96:97], -v[52:53], v[54:55], 1.0
	v_fma_f64 v[54:55], v[54:55], v[96:97], v[54:55]
	v_div_scale_f64 v[96:97], vcc_lo, 1.0, v[50:51], 1.0
	s_delay_alu instid0(VALU_DEP_1) | instskip(NEXT) | instid1(VALU_DEP_1)
	v_mul_f64 v[98:99], v[96:97], v[54:55]
	v_fma_f64 v[52:53], -v[52:53], v[98:99], v[96:97]
	s_delay_alu instid0(VALU_DEP_1) | instskip(NEXT) | instid1(VALU_DEP_1)
	v_div_fmas_f64 v[52:53], v[52:53], v[54:55], v[98:99]
	v_div_fixup_f64 v[98:99], v[52:53], v[50:51], 1.0
	s_delay_alu instid0(VALU_DEP_1)
	v_mul_f64 v[96:97], v[48:49], v[98:99]
	v_xor_b32_e32 v99, 0x80000000, v99
.LBB46_175:
	s_and_not1_saveexec_b32 s2, s2
	s_cbranch_execz .LBB46_177
; %bb.176:
	s_delay_alu instid0(VALU_DEP_1) | instskip(SKIP_1) | instid1(VALU_DEP_2)
	v_div_scale_f64 v[48:49], null, v[96:97], v[96:97], v[98:99]
	v_div_scale_f64 v[54:55], vcc_lo, v[98:99], v[96:97], v[98:99]
	v_rcp_f64_e32 v[50:51], v[48:49]
	s_waitcnt_depctr 0xfff
	v_fma_f64 v[52:53], -v[48:49], v[50:51], 1.0
	s_delay_alu instid0(VALU_DEP_1) | instskip(NEXT) | instid1(VALU_DEP_1)
	v_fma_f64 v[50:51], v[50:51], v[52:53], v[50:51]
	v_fma_f64 v[52:53], -v[48:49], v[50:51], 1.0
	s_delay_alu instid0(VALU_DEP_1) | instskip(NEXT) | instid1(VALU_DEP_1)
	v_fma_f64 v[50:51], v[50:51], v[52:53], v[50:51]
	v_mul_f64 v[52:53], v[54:55], v[50:51]
	s_delay_alu instid0(VALU_DEP_1) | instskip(NEXT) | instid1(VALU_DEP_1)
	v_fma_f64 v[48:49], -v[48:49], v[52:53], v[54:55]
	v_div_fmas_f64 v[48:49], v[48:49], v[50:51], v[52:53]
	s_delay_alu instid0(VALU_DEP_1) | instskip(NEXT) | instid1(VALU_DEP_1)
	v_div_fixup_f64 v[48:49], v[48:49], v[96:97], v[98:99]
	v_fma_f64 v[50:51], v[98:99], v[48:49], v[96:97]
	s_delay_alu instid0(VALU_DEP_1) | instskip(NEXT) | instid1(VALU_DEP_1)
	v_div_scale_f64 v[52:53], null, v[50:51], v[50:51], 1.0
	v_rcp_f64_e32 v[54:55], v[52:53]
	s_waitcnt_depctr 0xfff
	v_fma_f64 v[96:97], -v[52:53], v[54:55], 1.0
	s_delay_alu instid0(VALU_DEP_1) | instskip(NEXT) | instid1(VALU_DEP_1)
	v_fma_f64 v[54:55], v[54:55], v[96:97], v[54:55]
	v_fma_f64 v[96:97], -v[52:53], v[54:55], 1.0
	s_delay_alu instid0(VALU_DEP_1) | instskip(SKIP_1) | instid1(VALU_DEP_1)
	v_fma_f64 v[54:55], v[54:55], v[96:97], v[54:55]
	v_div_scale_f64 v[96:97], vcc_lo, 1.0, v[50:51], 1.0
	v_mul_f64 v[98:99], v[96:97], v[54:55]
	s_delay_alu instid0(VALU_DEP_1) | instskip(NEXT) | instid1(VALU_DEP_1)
	v_fma_f64 v[52:53], -v[52:53], v[98:99], v[96:97]
	v_div_fmas_f64 v[52:53], v[52:53], v[54:55], v[98:99]
	s_delay_alu instid0(VALU_DEP_1) | instskip(NEXT) | instid1(VALU_DEP_1)
	v_div_fixup_f64 v[96:97], v[52:53], v[50:51], 1.0
	v_mul_f64 v[98:99], v[48:49], -v[96:97]
.LBB46_177:
	s_or_b32 exec_lo, exec_lo, s2
.LBB46_178:
	s_delay_alu instid0(SALU_CYCLE_1) | instskip(NEXT) | instid1(SALU_CYCLE_1)
	s_or_b32 exec_lo, exec_lo, s3
	s_mov_b32 s2, exec_lo
	v_cmpx_ne_u32_e64 v95, v104
	s_xor_b32 s2, exec_lo, s2
	s_cbranch_execz .LBB46_184
; %bb.179:
	s_mov_b32 s3, exec_lo
	v_cmpx_eq_u32_e32 8, v95
	s_cbranch_execz .LBB46_183
; %bb.180:
	v_cmp_ne_u32_e32 vcc_lo, 8, v104
	s_xor_b32 s6, s4, -1
	s_delay_alu instid0(SALU_CYCLE_1) | instskip(NEXT) | instid1(SALU_CYCLE_1)
	s_and_b32 s7, s6, vcc_lo
	s_and_saveexec_b32 s6, s7
	s_cbranch_execz .LBB46_182
; %bb.181:
	scratch_load_b64 v[52:53], off, off offset:16 ; 8-byte Folded Reload
	v_ashrrev_i32_e32 v105, 31, v104
	s_delay_alu instid0(VALU_DEP_1) | instskip(SKIP_1) | instid1(VALU_DEP_1)
	v_lshlrev_b64 v[48:49], 2, v[104:105]
	s_waitcnt vmcnt(0)
	v_add_co_u32 v48, vcc_lo, v52, v48
	s_delay_alu instid0(VALU_DEP_2)
	v_add_co_ci_u32_e32 v49, vcc_lo, v53, v49, vcc_lo
	s_clause 0x1
	flat_load_b32 v50, v[48:49]
	flat_load_b32 v51, v[52:53] offset:32
	s_waitcnt vmcnt(1) lgkmcnt(1)
	flat_store_b32 v[52:53], v50 offset:32
	s_waitcnt vmcnt(0) lgkmcnt(1)
	flat_store_b32 v[48:49], v51
.LBB46_182:
	s_or_b32 exec_lo, exec_lo, s6
	v_mov_b32_e32 v95, v104
	v_mov_b32_e32 v78, v104
.LBB46_183:
	s_or_b32 exec_lo, exec_lo, s3
.LBB46_184:
	s_and_not1_saveexec_b32 s2, s2
	s_cbranch_execz .LBB46_186
; %bb.185:
	v_mov_b32_e32 v95, 8
	ds_store_2addr_b64 v106, v[56:57], v[58:59] offset0:18 offset1:19
	ds_store_2addr_b64 v106, v[64:65], v[66:67] offset0:20 offset1:21
	;; [unrolled: 1-line block ×15, first 2 shown]
.LBB46_186:
	s_or_b32 exec_lo, exec_lo, s2
	s_delay_alu instid0(SALU_CYCLE_1)
	s_mov_b32 s2, exec_lo
	s_waitcnt lgkmcnt(0)
	s_waitcnt_vscnt null, 0x0
	s_barrier
	buffer_gl0_inv
	v_cmpx_lt_i32_e32 8, v95
	s_cbranch_execz .LBB46_188
; %bb.187:
	v_mul_f64 v[48:49], v[96:97], v[74:75]
	v_mul_f64 v[50:51], v[98:99], v[74:75]
	ds_load_2addr_b64 v[113:116], v106 offset0:18 offset1:19
	ds_load_2addr_b64 v[117:120], v106 offset0:20 offset1:21
	;; [unrolled: 1-line block ×15, first 2 shown]
	v_fma_f64 v[48:49], v[98:99], v[72:73], v[48:49]
	v_fma_f64 v[72:73], v[96:97], v[72:73], -v[50:51]
	s_waitcnt lgkmcnt(14)
	s_delay_alu instid0(VALU_DEP_2)
	v_mul_f64 v[50:51], v[115:116], v[48:49]
	v_mul_f64 v[52:53], v[113:114], v[48:49]
	s_waitcnt lgkmcnt(13)
	v_mul_f64 v[54:55], v[119:120], v[48:49]
	v_mul_f64 v[74:75], v[117:118], v[48:49]
	s_waitcnt lgkmcnt(12)
	;; [unrolled: 3-line block ×14, first 2 shown]
	v_mul_f64 v[211:212], v[171:172], v[48:49]
	v_mul_f64 v[213:214], v[169:170], v[48:49]
	v_fma_f64 v[50:51], v[113:114], v[72:73], -v[50:51]
	v_fma_f64 v[52:53], v[115:116], v[72:73], v[52:53]
	v_fma_f64 v[54:55], v[117:118], v[72:73], -v[54:55]
	v_fma_f64 v[74:75], v[119:120], v[72:73], v[74:75]
	;; [unrolled: 2-line block ×15, first 2 shown]
	v_add_f64 v[56:57], v[56:57], -v[50:51]
	v_add_f64 v[58:59], v[58:59], -v[52:53]
	v_add_f64 v[64:65], v[64:65], -v[54:55]
	v_add_f64 v[66:67], v[66:67], -v[74:75]
	v_add_f64 v[60:61], v[60:61], -v[96:97]
	v_add_f64 v[62:63], v[62:63], -v[98:99]
	v_add_f64 v[44:45], v[44:45], -v[100:101]
	v_add_f64 v[46:47], v[46:47], -v[102:103]
	v_add_f64 v[40:41], v[40:41], -v[104:105]
	v_add_f64 v[42:43], v[42:43], -v[113:114]
	v_add_f64 v[32:33], v[32:33], -v[115:116]
	v_add_f64 v[34:35], v[34:35], -v[117:118]
	v_add_f64 v[28:29], v[28:29], -v[119:120]
	v_add_f64 v[30:31], v[30:31], -v[121:122]
	v_add_f64 v[36:37], v[36:37], -v[123:124]
	v_add_f64 v[38:39], v[38:39], -v[125:126]
	v_add_f64 v[20:21], v[20:21], -v[127:128]
	v_add_f64 v[22:23], v[22:23], -v[129:130]
	v_add_f64 v[24:25], v[24:25], -v[131:132]
	v_add_f64 v[26:27], v[26:27], -v[133:134]
	v_add_f64 v[16:17], v[16:17], -v[135:136]
	v_add_f64 v[18:19], v[18:19], -v[137:138]
	v_add_f64 v[12:13], v[12:13], -v[139:140]
	v_add_f64 v[14:15], v[14:15], -v[141:142]
	v_add_f64 v[8:9], v[8:9], -v[143:144]
	v_add_f64 v[10:11], v[10:11], -v[145:146]
	v_add_f64 v[4:5], v[4:5], -v[147:148]
	v_add_f64 v[6:7], v[6:7], -v[149:150]
	v_add_f64 v[0:1], v[0:1], -v[151:152]
	v_add_f64 v[2:3], v[2:3], -v[153:154]
	v_dual_mov_b32 v75, v49 :: v_dual_mov_b32 v74, v48
.LBB46_188:
	s_or_b32 exec_lo, exec_lo, s2
	v_lshl_add_u32 v48, v95, 4, v106
	s_barrier
	buffer_gl0_inv
	v_mov_b32_e32 v104, 9
	ds_store_2addr_b64 v48, v[56:57], v[58:59] offset1:1
	s_waitcnt lgkmcnt(0)
	s_barrier
	buffer_gl0_inv
	ds_load_2addr_b64 v[96:99], v106 offset0:18 offset1:19
	s_cmp_lt_i32 s5, 11
	s_cbranch_scc1 .LBB46_191
; %bb.189:
	v_add3_u32 v105, v87, 0, 0xa0
	v_mov_b32_e32 v104, 9
	s_mov_b32 s6, 10
	s_set_inst_prefetch_distance 0x1
	.p2align	6
.LBB46_190:                             ; =>This Inner Loop Header: Depth=1
	ds_load_2addr_b64 v[113:116], v105 offset1:1
	s_waitcnt lgkmcnt(1)
	v_cmp_gt_f64_e32 vcc_lo, 0, v[96:97]
	v_xor_b32_e32 v48, 0x80000000, v97
	v_cmp_gt_f64_e64 s2, 0, v[98:99]
	v_xor_b32_e32 v50, 0x80000000, v99
	v_add_nc_u32_e32 v105, 16, v105
	s_waitcnt lgkmcnt(0)
	v_cmp_gt_f64_e64 s3, 0, v[113:114]
	v_mov_b32_e32 v52, v113
	v_dual_mov_b32 v54, v115 :: v_dual_cndmask_b32 v49, v97, v48
	v_xor_b32_e32 v48, 0x80000000, v114
	v_cndmask_b32_e64 v51, v99, v50, s2
	v_xor_b32_e32 v50, 0x80000000, v116
	s_delay_alu instid0(VALU_DEP_3) | instskip(SKIP_2) | instid1(VALU_DEP_2)
	v_cndmask_b32_e64 v53, v114, v48, s3
	v_cmp_gt_f64_e64 s3, 0, v[115:116]
	v_cndmask_b32_e32 v48, v96, v96, vcc_lo
	v_cndmask_b32_e64 v55, v116, v50, s3
	v_cndmask_b32_e64 v50, v98, v98, s2
	s_delay_alu instid0(VALU_DEP_2) | instskip(NEXT) | instid1(VALU_DEP_2)
	v_add_f64 v[52:53], v[52:53], v[54:55]
	v_add_f64 v[48:49], v[48:49], v[50:51]
	s_delay_alu instid0(VALU_DEP_1) | instskip(SKIP_4) | instid1(SALU_CYCLE_1)
	v_cmp_lt_f64_e32 vcc_lo, v[48:49], v[52:53]
	v_dual_cndmask_b32 v97, v97, v114 :: v_dual_cndmask_b32 v96, v96, v113
	v_dual_cndmask_b32 v99, v99, v116 :: v_dual_cndmask_b32 v98, v98, v115
	v_cndmask_b32_e64 v104, v104, s6, vcc_lo
	s_add_i32 s6, s6, 1
	s_cmp_lg_u32 s5, s6
	s_cbranch_scc1 .LBB46_190
.LBB46_191:
	s_set_inst_prefetch_distance 0x2
	s_waitcnt lgkmcnt(0)
	v_cmp_eq_f64_e32 vcc_lo, 0, v[96:97]
	v_cmp_eq_f64_e64 s2, 0, v[98:99]
	s_delay_alu instid0(VALU_DEP_1) | instskip(NEXT) | instid1(SALU_CYCLE_1)
	s_and_b32 s2, vcc_lo, s2
	s_and_saveexec_b32 s3, s2
	s_delay_alu instid0(SALU_CYCLE_1)
	s_xor_b32 s2, exec_lo, s3
; %bb.192:
	v_cmp_ne_u32_e32 vcc_lo, 0, v86
	v_cndmask_b32_e32 v86, 10, v86, vcc_lo
; %bb.193:
	s_and_not1_saveexec_b32 s3, s2
	s_cbranch_execz .LBB46_199
; %bb.194:
	v_cmp_gt_f64_e32 vcc_lo, 0, v[96:97]
	v_cmp_gt_f64_e64 s2, 0, v[98:99]
	v_xor_b32_e32 v48, 0x80000000, v97
	v_xor_b32_e32 v50, 0x80000000, v99
	s_delay_alu instid0(VALU_DEP_2) | instskip(NEXT) | instid1(VALU_DEP_2)
	v_cndmask_b32_e32 v49, v97, v48, vcc_lo
	v_cndmask_b32_e64 v51, v99, v50, s2
	v_cndmask_b32_e32 v48, v96, v96, vcc_lo
	v_cndmask_b32_e64 v50, v98, v98, s2
	s_mov_b32 s2, exec_lo
	s_delay_alu instid0(VALU_DEP_1)
	v_cmpx_ngt_f64_e32 v[48:49], v[50:51]
	s_xor_b32 s2, exec_lo, s2
	s_cbranch_execz .LBB46_196
; %bb.195:
	v_div_scale_f64 v[48:49], null, v[98:99], v[98:99], v[96:97]
	v_div_scale_f64 v[54:55], vcc_lo, v[96:97], v[98:99], v[96:97]
	s_delay_alu instid0(VALU_DEP_2) | instskip(SKIP_2) | instid1(VALU_DEP_1)
	v_rcp_f64_e32 v[50:51], v[48:49]
	s_waitcnt_depctr 0xfff
	v_fma_f64 v[52:53], -v[48:49], v[50:51], 1.0
	v_fma_f64 v[50:51], v[50:51], v[52:53], v[50:51]
	s_delay_alu instid0(VALU_DEP_1) | instskip(NEXT) | instid1(VALU_DEP_1)
	v_fma_f64 v[52:53], -v[48:49], v[50:51], 1.0
	v_fma_f64 v[50:51], v[50:51], v[52:53], v[50:51]
	s_delay_alu instid0(VALU_DEP_1) | instskip(NEXT) | instid1(VALU_DEP_1)
	v_mul_f64 v[52:53], v[54:55], v[50:51]
	v_fma_f64 v[48:49], -v[48:49], v[52:53], v[54:55]
	s_delay_alu instid0(VALU_DEP_1) | instskip(NEXT) | instid1(VALU_DEP_1)
	v_div_fmas_f64 v[48:49], v[48:49], v[50:51], v[52:53]
	v_div_fixup_f64 v[48:49], v[48:49], v[98:99], v[96:97]
	s_delay_alu instid0(VALU_DEP_1) | instskip(NEXT) | instid1(VALU_DEP_1)
	v_fma_f64 v[50:51], v[96:97], v[48:49], v[98:99]
	v_div_scale_f64 v[52:53], null, v[50:51], v[50:51], 1.0
	s_delay_alu instid0(VALU_DEP_1) | instskip(SKIP_2) | instid1(VALU_DEP_1)
	v_rcp_f64_e32 v[54:55], v[52:53]
	s_waitcnt_depctr 0xfff
	v_fma_f64 v[96:97], -v[52:53], v[54:55], 1.0
	v_fma_f64 v[54:55], v[54:55], v[96:97], v[54:55]
	s_delay_alu instid0(VALU_DEP_1) | instskip(NEXT) | instid1(VALU_DEP_1)
	v_fma_f64 v[96:97], -v[52:53], v[54:55], 1.0
	v_fma_f64 v[54:55], v[54:55], v[96:97], v[54:55]
	v_div_scale_f64 v[96:97], vcc_lo, 1.0, v[50:51], 1.0
	s_delay_alu instid0(VALU_DEP_1) | instskip(NEXT) | instid1(VALU_DEP_1)
	v_mul_f64 v[98:99], v[96:97], v[54:55]
	v_fma_f64 v[52:53], -v[52:53], v[98:99], v[96:97]
	s_delay_alu instid0(VALU_DEP_1) | instskip(NEXT) | instid1(VALU_DEP_1)
	v_div_fmas_f64 v[52:53], v[52:53], v[54:55], v[98:99]
	v_div_fixup_f64 v[98:99], v[52:53], v[50:51], 1.0
	s_delay_alu instid0(VALU_DEP_1)
	v_mul_f64 v[96:97], v[48:49], v[98:99]
	v_xor_b32_e32 v99, 0x80000000, v99
.LBB46_196:
	s_and_not1_saveexec_b32 s2, s2
	s_cbranch_execz .LBB46_198
; %bb.197:
	s_delay_alu instid0(VALU_DEP_1) | instskip(SKIP_1) | instid1(VALU_DEP_2)
	v_div_scale_f64 v[48:49], null, v[96:97], v[96:97], v[98:99]
	v_div_scale_f64 v[54:55], vcc_lo, v[98:99], v[96:97], v[98:99]
	v_rcp_f64_e32 v[50:51], v[48:49]
	s_waitcnt_depctr 0xfff
	v_fma_f64 v[52:53], -v[48:49], v[50:51], 1.0
	s_delay_alu instid0(VALU_DEP_1) | instskip(NEXT) | instid1(VALU_DEP_1)
	v_fma_f64 v[50:51], v[50:51], v[52:53], v[50:51]
	v_fma_f64 v[52:53], -v[48:49], v[50:51], 1.0
	s_delay_alu instid0(VALU_DEP_1) | instskip(NEXT) | instid1(VALU_DEP_1)
	v_fma_f64 v[50:51], v[50:51], v[52:53], v[50:51]
	v_mul_f64 v[52:53], v[54:55], v[50:51]
	s_delay_alu instid0(VALU_DEP_1) | instskip(NEXT) | instid1(VALU_DEP_1)
	v_fma_f64 v[48:49], -v[48:49], v[52:53], v[54:55]
	v_div_fmas_f64 v[48:49], v[48:49], v[50:51], v[52:53]
	s_delay_alu instid0(VALU_DEP_1) | instskip(NEXT) | instid1(VALU_DEP_1)
	v_div_fixup_f64 v[48:49], v[48:49], v[96:97], v[98:99]
	v_fma_f64 v[50:51], v[98:99], v[48:49], v[96:97]
	s_delay_alu instid0(VALU_DEP_1) | instskip(NEXT) | instid1(VALU_DEP_1)
	v_div_scale_f64 v[52:53], null, v[50:51], v[50:51], 1.0
	v_rcp_f64_e32 v[54:55], v[52:53]
	s_waitcnt_depctr 0xfff
	v_fma_f64 v[96:97], -v[52:53], v[54:55], 1.0
	s_delay_alu instid0(VALU_DEP_1) | instskip(NEXT) | instid1(VALU_DEP_1)
	v_fma_f64 v[54:55], v[54:55], v[96:97], v[54:55]
	v_fma_f64 v[96:97], -v[52:53], v[54:55], 1.0
	s_delay_alu instid0(VALU_DEP_1) | instskip(SKIP_1) | instid1(VALU_DEP_1)
	v_fma_f64 v[54:55], v[54:55], v[96:97], v[54:55]
	v_div_scale_f64 v[96:97], vcc_lo, 1.0, v[50:51], 1.0
	v_mul_f64 v[98:99], v[96:97], v[54:55]
	s_delay_alu instid0(VALU_DEP_1) | instskip(NEXT) | instid1(VALU_DEP_1)
	v_fma_f64 v[52:53], -v[52:53], v[98:99], v[96:97]
	v_div_fmas_f64 v[52:53], v[52:53], v[54:55], v[98:99]
	s_delay_alu instid0(VALU_DEP_1) | instskip(NEXT) | instid1(VALU_DEP_1)
	v_div_fixup_f64 v[96:97], v[52:53], v[50:51], 1.0
	v_mul_f64 v[98:99], v[48:49], -v[96:97]
.LBB46_198:
	s_or_b32 exec_lo, exec_lo, s2
.LBB46_199:
	s_delay_alu instid0(SALU_CYCLE_1) | instskip(NEXT) | instid1(SALU_CYCLE_1)
	s_or_b32 exec_lo, exec_lo, s3
	s_mov_b32 s2, exec_lo
	v_cmpx_ne_u32_e64 v95, v104
	s_xor_b32 s2, exec_lo, s2
	s_cbranch_execz .LBB46_205
; %bb.200:
	s_mov_b32 s3, exec_lo
	v_cmpx_eq_u32_e32 9, v95
	s_cbranch_execz .LBB46_204
; %bb.201:
	v_cmp_ne_u32_e32 vcc_lo, 9, v104
	s_xor_b32 s6, s4, -1
	s_delay_alu instid0(SALU_CYCLE_1) | instskip(NEXT) | instid1(SALU_CYCLE_1)
	s_and_b32 s7, s6, vcc_lo
	s_and_saveexec_b32 s6, s7
	s_cbranch_execz .LBB46_203
; %bb.202:
	scratch_load_b64 v[52:53], off, off offset:16 ; 8-byte Folded Reload
	v_ashrrev_i32_e32 v105, 31, v104
	s_delay_alu instid0(VALU_DEP_1) | instskip(SKIP_1) | instid1(VALU_DEP_1)
	v_lshlrev_b64 v[48:49], 2, v[104:105]
	s_waitcnt vmcnt(0)
	v_add_co_u32 v48, vcc_lo, v52, v48
	s_delay_alu instid0(VALU_DEP_2)
	v_add_co_ci_u32_e32 v49, vcc_lo, v53, v49, vcc_lo
	s_clause 0x1
	flat_load_b32 v50, v[48:49]
	flat_load_b32 v51, v[52:53] offset:36
	s_waitcnt vmcnt(1) lgkmcnt(1)
	flat_store_b32 v[52:53], v50 offset:36
	s_waitcnt vmcnt(0) lgkmcnt(1)
	flat_store_b32 v[48:49], v51
.LBB46_203:
	s_or_b32 exec_lo, exec_lo, s6
	v_mov_b32_e32 v95, v104
	v_mov_b32_e32 v78, v104
.LBB46_204:
	s_or_b32 exec_lo, exec_lo, s3
.LBB46_205:
	s_and_not1_saveexec_b32 s2, s2
	s_cbranch_execz .LBB46_207
; %bb.206:
	v_mov_b32_e32 v95, 9
	ds_store_2addr_b64 v106, v[64:65], v[66:67] offset0:20 offset1:21
	ds_store_2addr_b64 v106, v[60:61], v[62:63] offset0:22 offset1:23
	;; [unrolled: 1-line block ×14, first 2 shown]
.LBB46_207:
	s_or_b32 exec_lo, exec_lo, s2
	s_delay_alu instid0(SALU_CYCLE_1)
	s_mov_b32 s2, exec_lo
	s_waitcnt lgkmcnt(0)
	s_waitcnt_vscnt null, 0x0
	s_barrier
	buffer_gl0_inv
	v_cmpx_lt_i32_e32 9, v95
	s_cbranch_execz .LBB46_209
; %bb.208:
	v_mul_f64 v[48:49], v[96:97], v[58:59]
	v_mul_f64 v[50:51], v[98:99], v[58:59]
	ds_load_2addr_b64 v[113:116], v106 offset0:20 offset1:21
	ds_load_2addr_b64 v[117:120], v106 offset0:22 offset1:23
	;; [unrolled: 1-line block ×14, first 2 shown]
	v_fma_f64 v[48:49], v[98:99], v[56:57], v[48:49]
	v_fma_f64 v[56:57], v[96:97], v[56:57], -v[50:51]
	s_waitcnt lgkmcnt(13)
	s_delay_alu instid0(VALU_DEP_2)
	v_mul_f64 v[50:51], v[115:116], v[48:49]
	v_mul_f64 v[52:53], v[113:114], v[48:49]
	s_waitcnt lgkmcnt(12)
	v_mul_f64 v[54:55], v[119:120], v[48:49]
	v_mul_f64 v[58:59], v[117:118], v[48:49]
	s_waitcnt lgkmcnt(11)
	;; [unrolled: 3-line block ×13, first 2 shown]
	v_mul_f64 v[203:204], v[167:168], v[48:49]
	v_mul_f64 v[205:206], v[165:166], v[48:49]
	v_fma_f64 v[50:51], v[113:114], v[56:57], -v[50:51]
	v_fma_f64 v[52:53], v[115:116], v[56:57], v[52:53]
	v_fma_f64 v[54:55], v[117:118], v[56:57], -v[54:55]
	v_fma_f64 v[58:59], v[119:120], v[56:57], v[58:59]
	;; [unrolled: 2-line block ×14, first 2 shown]
	v_add_f64 v[64:65], v[64:65], -v[50:51]
	v_add_f64 v[66:67], v[66:67], -v[52:53]
	;; [unrolled: 1-line block ×28, first 2 shown]
	v_dual_mov_b32 v59, v49 :: v_dual_mov_b32 v58, v48
.LBB46_209:
	s_or_b32 exec_lo, exec_lo, s2
	v_lshl_add_u32 v48, v95, 4, v106
	s_barrier
	buffer_gl0_inv
	v_mov_b32_e32 v104, 10
	ds_store_2addr_b64 v48, v[64:65], v[66:67] offset1:1
	s_waitcnt lgkmcnt(0)
	s_barrier
	buffer_gl0_inv
	ds_load_2addr_b64 v[96:99], v106 offset0:20 offset1:21
	s_cmp_lt_i32 s5, 12
	s_cbranch_scc1 .LBB46_212
; %bb.210:
	v_add3_u32 v105, v87, 0, 0xb0
	v_mov_b32_e32 v104, 10
	s_mov_b32 s6, 11
	s_set_inst_prefetch_distance 0x1
	.p2align	6
.LBB46_211:                             ; =>This Inner Loop Header: Depth=1
	ds_load_2addr_b64 v[113:116], v105 offset1:1
	s_waitcnt lgkmcnt(1)
	v_cmp_gt_f64_e32 vcc_lo, 0, v[96:97]
	v_xor_b32_e32 v48, 0x80000000, v97
	v_cmp_gt_f64_e64 s2, 0, v[98:99]
	v_xor_b32_e32 v50, 0x80000000, v99
	v_add_nc_u32_e32 v105, 16, v105
	s_waitcnt lgkmcnt(0)
	v_cmp_gt_f64_e64 s3, 0, v[113:114]
	v_mov_b32_e32 v52, v113
	v_dual_mov_b32 v54, v115 :: v_dual_cndmask_b32 v49, v97, v48
	v_xor_b32_e32 v48, 0x80000000, v114
	v_cndmask_b32_e64 v51, v99, v50, s2
	v_xor_b32_e32 v50, 0x80000000, v116
	s_delay_alu instid0(VALU_DEP_3) | instskip(SKIP_2) | instid1(VALU_DEP_2)
	v_cndmask_b32_e64 v53, v114, v48, s3
	v_cmp_gt_f64_e64 s3, 0, v[115:116]
	v_cndmask_b32_e32 v48, v96, v96, vcc_lo
	v_cndmask_b32_e64 v55, v116, v50, s3
	v_cndmask_b32_e64 v50, v98, v98, s2
	s_delay_alu instid0(VALU_DEP_2) | instskip(NEXT) | instid1(VALU_DEP_2)
	v_add_f64 v[52:53], v[52:53], v[54:55]
	v_add_f64 v[48:49], v[48:49], v[50:51]
	s_delay_alu instid0(VALU_DEP_1) | instskip(SKIP_4) | instid1(SALU_CYCLE_1)
	v_cmp_lt_f64_e32 vcc_lo, v[48:49], v[52:53]
	v_dual_cndmask_b32 v97, v97, v114 :: v_dual_cndmask_b32 v96, v96, v113
	v_dual_cndmask_b32 v99, v99, v116 :: v_dual_cndmask_b32 v98, v98, v115
	v_cndmask_b32_e64 v104, v104, s6, vcc_lo
	s_add_i32 s6, s6, 1
	s_cmp_lg_u32 s5, s6
	s_cbranch_scc1 .LBB46_211
.LBB46_212:
	s_set_inst_prefetch_distance 0x2
	s_waitcnt lgkmcnt(0)
	v_cmp_eq_f64_e32 vcc_lo, 0, v[96:97]
	v_cmp_eq_f64_e64 s2, 0, v[98:99]
	s_delay_alu instid0(VALU_DEP_1) | instskip(NEXT) | instid1(SALU_CYCLE_1)
	s_and_b32 s2, vcc_lo, s2
	s_and_saveexec_b32 s3, s2
	s_delay_alu instid0(SALU_CYCLE_1)
	s_xor_b32 s2, exec_lo, s3
; %bb.213:
	v_cmp_ne_u32_e32 vcc_lo, 0, v86
	v_cndmask_b32_e32 v86, 11, v86, vcc_lo
; %bb.214:
	s_and_not1_saveexec_b32 s3, s2
	s_cbranch_execz .LBB46_220
; %bb.215:
	v_cmp_gt_f64_e32 vcc_lo, 0, v[96:97]
	v_cmp_gt_f64_e64 s2, 0, v[98:99]
	v_xor_b32_e32 v48, 0x80000000, v97
	v_xor_b32_e32 v50, 0x80000000, v99
	s_delay_alu instid0(VALU_DEP_2) | instskip(NEXT) | instid1(VALU_DEP_2)
	v_cndmask_b32_e32 v49, v97, v48, vcc_lo
	v_cndmask_b32_e64 v51, v99, v50, s2
	v_cndmask_b32_e32 v48, v96, v96, vcc_lo
	v_cndmask_b32_e64 v50, v98, v98, s2
	s_mov_b32 s2, exec_lo
	s_delay_alu instid0(VALU_DEP_1)
	v_cmpx_ngt_f64_e32 v[48:49], v[50:51]
	s_xor_b32 s2, exec_lo, s2
	s_cbranch_execz .LBB46_217
; %bb.216:
	v_div_scale_f64 v[48:49], null, v[98:99], v[98:99], v[96:97]
	v_div_scale_f64 v[54:55], vcc_lo, v[96:97], v[98:99], v[96:97]
	s_delay_alu instid0(VALU_DEP_2) | instskip(SKIP_2) | instid1(VALU_DEP_1)
	v_rcp_f64_e32 v[50:51], v[48:49]
	s_waitcnt_depctr 0xfff
	v_fma_f64 v[52:53], -v[48:49], v[50:51], 1.0
	v_fma_f64 v[50:51], v[50:51], v[52:53], v[50:51]
	s_delay_alu instid0(VALU_DEP_1) | instskip(NEXT) | instid1(VALU_DEP_1)
	v_fma_f64 v[52:53], -v[48:49], v[50:51], 1.0
	v_fma_f64 v[50:51], v[50:51], v[52:53], v[50:51]
	s_delay_alu instid0(VALU_DEP_1) | instskip(NEXT) | instid1(VALU_DEP_1)
	v_mul_f64 v[52:53], v[54:55], v[50:51]
	v_fma_f64 v[48:49], -v[48:49], v[52:53], v[54:55]
	s_delay_alu instid0(VALU_DEP_1) | instskip(NEXT) | instid1(VALU_DEP_1)
	v_div_fmas_f64 v[48:49], v[48:49], v[50:51], v[52:53]
	v_div_fixup_f64 v[48:49], v[48:49], v[98:99], v[96:97]
	s_delay_alu instid0(VALU_DEP_1) | instskip(NEXT) | instid1(VALU_DEP_1)
	v_fma_f64 v[50:51], v[96:97], v[48:49], v[98:99]
	v_div_scale_f64 v[52:53], null, v[50:51], v[50:51], 1.0
	s_delay_alu instid0(VALU_DEP_1) | instskip(SKIP_2) | instid1(VALU_DEP_1)
	v_rcp_f64_e32 v[54:55], v[52:53]
	s_waitcnt_depctr 0xfff
	v_fma_f64 v[96:97], -v[52:53], v[54:55], 1.0
	v_fma_f64 v[54:55], v[54:55], v[96:97], v[54:55]
	s_delay_alu instid0(VALU_DEP_1) | instskip(NEXT) | instid1(VALU_DEP_1)
	v_fma_f64 v[96:97], -v[52:53], v[54:55], 1.0
	v_fma_f64 v[54:55], v[54:55], v[96:97], v[54:55]
	v_div_scale_f64 v[96:97], vcc_lo, 1.0, v[50:51], 1.0
	s_delay_alu instid0(VALU_DEP_1) | instskip(NEXT) | instid1(VALU_DEP_1)
	v_mul_f64 v[98:99], v[96:97], v[54:55]
	v_fma_f64 v[52:53], -v[52:53], v[98:99], v[96:97]
	s_delay_alu instid0(VALU_DEP_1) | instskip(NEXT) | instid1(VALU_DEP_1)
	v_div_fmas_f64 v[52:53], v[52:53], v[54:55], v[98:99]
	v_div_fixup_f64 v[98:99], v[52:53], v[50:51], 1.0
	s_delay_alu instid0(VALU_DEP_1)
	v_mul_f64 v[96:97], v[48:49], v[98:99]
	v_xor_b32_e32 v99, 0x80000000, v99
.LBB46_217:
	s_and_not1_saveexec_b32 s2, s2
	s_cbranch_execz .LBB46_219
; %bb.218:
	s_delay_alu instid0(VALU_DEP_1) | instskip(SKIP_1) | instid1(VALU_DEP_2)
	v_div_scale_f64 v[48:49], null, v[96:97], v[96:97], v[98:99]
	v_div_scale_f64 v[54:55], vcc_lo, v[98:99], v[96:97], v[98:99]
	v_rcp_f64_e32 v[50:51], v[48:49]
	s_waitcnt_depctr 0xfff
	v_fma_f64 v[52:53], -v[48:49], v[50:51], 1.0
	s_delay_alu instid0(VALU_DEP_1) | instskip(NEXT) | instid1(VALU_DEP_1)
	v_fma_f64 v[50:51], v[50:51], v[52:53], v[50:51]
	v_fma_f64 v[52:53], -v[48:49], v[50:51], 1.0
	s_delay_alu instid0(VALU_DEP_1) | instskip(NEXT) | instid1(VALU_DEP_1)
	v_fma_f64 v[50:51], v[50:51], v[52:53], v[50:51]
	v_mul_f64 v[52:53], v[54:55], v[50:51]
	s_delay_alu instid0(VALU_DEP_1) | instskip(NEXT) | instid1(VALU_DEP_1)
	v_fma_f64 v[48:49], -v[48:49], v[52:53], v[54:55]
	v_div_fmas_f64 v[48:49], v[48:49], v[50:51], v[52:53]
	s_delay_alu instid0(VALU_DEP_1) | instskip(NEXT) | instid1(VALU_DEP_1)
	v_div_fixup_f64 v[48:49], v[48:49], v[96:97], v[98:99]
	v_fma_f64 v[50:51], v[98:99], v[48:49], v[96:97]
	s_delay_alu instid0(VALU_DEP_1) | instskip(NEXT) | instid1(VALU_DEP_1)
	v_div_scale_f64 v[52:53], null, v[50:51], v[50:51], 1.0
	v_rcp_f64_e32 v[54:55], v[52:53]
	s_waitcnt_depctr 0xfff
	v_fma_f64 v[96:97], -v[52:53], v[54:55], 1.0
	s_delay_alu instid0(VALU_DEP_1) | instskip(NEXT) | instid1(VALU_DEP_1)
	v_fma_f64 v[54:55], v[54:55], v[96:97], v[54:55]
	v_fma_f64 v[96:97], -v[52:53], v[54:55], 1.0
	s_delay_alu instid0(VALU_DEP_1) | instskip(SKIP_1) | instid1(VALU_DEP_1)
	v_fma_f64 v[54:55], v[54:55], v[96:97], v[54:55]
	v_div_scale_f64 v[96:97], vcc_lo, 1.0, v[50:51], 1.0
	v_mul_f64 v[98:99], v[96:97], v[54:55]
	s_delay_alu instid0(VALU_DEP_1) | instskip(NEXT) | instid1(VALU_DEP_1)
	v_fma_f64 v[52:53], -v[52:53], v[98:99], v[96:97]
	v_div_fmas_f64 v[52:53], v[52:53], v[54:55], v[98:99]
	s_delay_alu instid0(VALU_DEP_1) | instskip(NEXT) | instid1(VALU_DEP_1)
	v_div_fixup_f64 v[96:97], v[52:53], v[50:51], 1.0
	v_mul_f64 v[98:99], v[48:49], -v[96:97]
.LBB46_219:
	s_or_b32 exec_lo, exec_lo, s2
.LBB46_220:
	s_delay_alu instid0(SALU_CYCLE_1) | instskip(NEXT) | instid1(SALU_CYCLE_1)
	s_or_b32 exec_lo, exec_lo, s3
	s_mov_b32 s2, exec_lo
	v_cmpx_ne_u32_e64 v95, v104
	s_xor_b32 s2, exec_lo, s2
	s_cbranch_execz .LBB46_226
; %bb.221:
	s_mov_b32 s3, exec_lo
	v_cmpx_eq_u32_e32 10, v95
	s_cbranch_execz .LBB46_225
; %bb.222:
	v_cmp_ne_u32_e32 vcc_lo, 10, v104
	s_xor_b32 s6, s4, -1
	s_delay_alu instid0(SALU_CYCLE_1) | instskip(NEXT) | instid1(SALU_CYCLE_1)
	s_and_b32 s7, s6, vcc_lo
	s_and_saveexec_b32 s6, s7
	s_cbranch_execz .LBB46_224
; %bb.223:
	scratch_load_b64 v[52:53], off, off offset:16 ; 8-byte Folded Reload
	v_ashrrev_i32_e32 v105, 31, v104
	s_delay_alu instid0(VALU_DEP_1) | instskip(SKIP_1) | instid1(VALU_DEP_1)
	v_lshlrev_b64 v[48:49], 2, v[104:105]
	s_waitcnt vmcnt(0)
	v_add_co_u32 v48, vcc_lo, v52, v48
	s_delay_alu instid0(VALU_DEP_2)
	v_add_co_ci_u32_e32 v49, vcc_lo, v53, v49, vcc_lo
	s_clause 0x1
	flat_load_b32 v50, v[48:49]
	flat_load_b32 v51, v[52:53] offset:40
	s_waitcnt vmcnt(1) lgkmcnt(1)
	flat_store_b32 v[52:53], v50 offset:40
	s_waitcnt vmcnt(0) lgkmcnt(1)
	flat_store_b32 v[48:49], v51
.LBB46_224:
	s_or_b32 exec_lo, exec_lo, s6
	v_mov_b32_e32 v95, v104
	v_mov_b32_e32 v78, v104
.LBB46_225:
	s_or_b32 exec_lo, exec_lo, s3
.LBB46_226:
	s_and_not1_saveexec_b32 s2, s2
	s_cbranch_execz .LBB46_228
; %bb.227:
	v_mov_b32_e32 v95, 10
	ds_store_2addr_b64 v106, v[60:61], v[62:63] offset0:22 offset1:23
	ds_store_2addr_b64 v106, v[44:45], v[46:47] offset0:24 offset1:25
	;; [unrolled: 1-line block ×13, first 2 shown]
.LBB46_228:
	s_or_b32 exec_lo, exec_lo, s2
	s_delay_alu instid0(SALU_CYCLE_1)
	s_mov_b32 s2, exec_lo
	s_waitcnt lgkmcnt(0)
	s_waitcnt_vscnt null, 0x0
	s_barrier
	buffer_gl0_inv
	v_cmpx_lt_i32_e32 10, v95
	s_cbranch_execz .LBB46_230
; %bb.229:
	v_mul_f64 v[48:49], v[96:97], v[66:67]
	v_mul_f64 v[50:51], v[98:99], v[66:67]
	ds_load_2addr_b64 v[113:116], v106 offset0:22 offset1:23
	ds_load_2addr_b64 v[117:120], v106 offset0:24 offset1:25
	;; [unrolled: 1-line block ×13, first 2 shown]
	v_fma_f64 v[48:49], v[98:99], v[64:65], v[48:49]
	v_fma_f64 v[64:65], v[96:97], v[64:65], -v[50:51]
	s_waitcnt lgkmcnt(12)
	s_delay_alu instid0(VALU_DEP_2)
	v_mul_f64 v[50:51], v[115:116], v[48:49]
	v_mul_f64 v[52:53], v[113:114], v[48:49]
	s_waitcnt lgkmcnt(11)
	v_mul_f64 v[54:55], v[119:120], v[48:49]
	v_mul_f64 v[66:67], v[117:118], v[48:49]
	s_waitcnt lgkmcnt(10)
	;; [unrolled: 3-line block ×12, first 2 shown]
	v_mul_f64 v[195:196], v[163:164], v[48:49]
	v_mul_f64 v[197:198], v[161:162], v[48:49]
	v_fma_f64 v[50:51], v[113:114], v[64:65], -v[50:51]
	v_fma_f64 v[52:53], v[115:116], v[64:65], v[52:53]
	v_fma_f64 v[54:55], v[117:118], v[64:65], -v[54:55]
	v_fma_f64 v[66:67], v[119:120], v[64:65], v[66:67]
	;; [unrolled: 2-line block ×13, first 2 shown]
	v_add_f64 v[60:61], v[60:61], -v[50:51]
	v_add_f64 v[62:63], v[62:63], -v[52:53]
	;; [unrolled: 1-line block ×26, first 2 shown]
	v_dual_mov_b32 v67, v49 :: v_dual_mov_b32 v66, v48
.LBB46_230:
	s_or_b32 exec_lo, exec_lo, s2
	v_lshl_add_u32 v48, v95, 4, v106
	s_barrier
	buffer_gl0_inv
	v_mov_b32_e32 v104, 11
	ds_store_2addr_b64 v48, v[60:61], v[62:63] offset1:1
	s_waitcnt lgkmcnt(0)
	s_barrier
	buffer_gl0_inv
	ds_load_2addr_b64 v[96:99], v106 offset0:22 offset1:23
	s_cmp_lt_i32 s5, 13
	s_cbranch_scc1 .LBB46_233
; %bb.231:
	v_add3_u32 v105, v87, 0, 0xc0
	v_mov_b32_e32 v104, 11
	s_mov_b32 s6, 12
	s_set_inst_prefetch_distance 0x1
	.p2align	6
.LBB46_232:                             ; =>This Inner Loop Header: Depth=1
	ds_load_2addr_b64 v[113:116], v105 offset1:1
	s_waitcnt lgkmcnt(1)
	v_cmp_gt_f64_e32 vcc_lo, 0, v[96:97]
	v_xor_b32_e32 v48, 0x80000000, v97
	v_cmp_gt_f64_e64 s2, 0, v[98:99]
	v_xor_b32_e32 v50, 0x80000000, v99
	v_add_nc_u32_e32 v105, 16, v105
	s_waitcnt lgkmcnt(0)
	v_cmp_gt_f64_e64 s3, 0, v[113:114]
	v_mov_b32_e32 v52, v113
	v_dual_mov_b32 v54, v115 :: v_dual_cndmask_b32 v49, v97, v48
	v_xor_b32_e32 v48, 0x80000000, v114
	v_cndmask_b32_e64 v51, v99, v50, s2
	v_xor_b32_e32 v50, 0x80000000, v116
	s_delay_alu instid0(VALU_DEP_3) | instskip(SKIP_2) | instid1(VALU_DEP_2)
	v_cndmask_b32_e64 v53, v114, v48, s3
	v_cmp_gt_f64_e64 s3, 0, v[115:116]
	v_cndmask_b32_e32 v48, v96, v96, vcc_lo
	v_cndmask_b32_e64 v55, v116, v50, s3
	v_cndmask_b32_e64 v50, v98, v98, s2
	s_delay_alu instid0(VALU_DEP_2) | instskip(NEXT) | instid1(VALU_DEP_2)
	v_add_f64 v[52:53], v[52:53], v[54:55]
	v_add_f64 v[48:49], v[48:49], v[50:51]
	s_delay_alu instid0(VALU_DEP_1) | instskip(SKIP_4) | instid1(SALU_CYCLE_1)
	v_cmp_lt_f64_e32 vcc_lo, v[48:49], v[52:53]
	v_dual_cndmask_b32 v97, v97, v114 :: v_dual_cndmask_b32 v96, v96, v113
	v_dual_cndmask_b32 v99, v99, v116 :: v_dual_cndmask_b32 v98, v98, v115
	v_cndmask_b32_e64 v104, v104, s6, vcc_lo
	s_add_i32 s6, s6, 1
	s_cmp_lg_u32 s5, s6
	s_cbranch_scc1 .LBB46_232
.LBB46_233:
	s_set_inst_prefetch_distance 0x2
	s_waitcnt lgkmcnt(0)
	v_cmp_eq_f64_e32 vcc_lo, 0, v[96:97]
	v_cmp_eq_f64_e64 s2, 0, v[98:99]
	s_delay_alu instid0(VALU_DEP_1) | instskip(NEXT) | instid1(SALU_CYCLE_1)
	s_and_b32 s2, vcc_lo, s2
	s_and_saveexec_b32 s3, s2
	s_delay_alu instid0(SALU_CYCLE_1)
	s_xor_b32 s2, exec_lo, s3
; %bb.234:
	v_cmp_ne_u32_e32 vcc_lo, 0, v86
	v_cndmask_b32_e32 v86, 12, v86, vcc_lo
; %bb.235:
	s_and_not1_saveexec_b32 s3, s2
	s_cbranch_execz .LBB46_241
; %bb.236:
	v_cmp_gt_f64_e32 vcc_lo, 0, v[96:97]
	v_cmp_gt_f64_e64 s2, 0, v[98:99]
	v_xor_b32_e32 v48, 0x80000000, v97
	v_xor_b32_e32 v50, 0x80000000, v99
	s_delay_alu instid0(VALU_DEP_2) | instskip(NEXT) | instid1(VALU_DEP_2)
	v_cndmask_b32_e32 v49, v97, v48, vcc_lo
	v_cndmask_b32_e64 v51, v99, v50, s2
	v_cndmask_b32_e32 v48, v96, v96, vcc_lo
	v_cndmask_b32_e64 v50, v98, v98, s2
	s_mov_b32 s2, exec_lo
	s_delay_alu instid0(VALU_DEP_1)
	v_cmpx_ngt_f64_e32 v[48:49], v[50:51]
	s_xor_b32 s2, exec_lo, s2
	s_cbranch_execz .LBB46_238
; %bb.237:
	v_div_scale_f64 v[48:49], null, v[98:99], v[98:99], v[96:97]
	v_div_scale_f64 v[54:55], vcc_lo, v[96:97], v[98:99], v[96:97]
	s_delay_alu instid0(VALU_DEP_2) | instskip(SKIP_2) | instid1(VALU_DEP_1)
	v_rcp_f64_e32 v[50:51], v[48:49]
	s_waitcnt_depctr 0xfff
	v_fma_f64 v[52:53], -v[48:49], v[50:51], 1.0
	v_fma_f64 v[50:51], v[50:51], v[52:53], v[50:51]
	s_delay_alu instid0(VALU_DEP_1) | instskip(NEXT) | instid1(VALU_DEP_1)
	v_fma_f64 v[52:53], -v[48:49], v[50:51], 1.0
	v_fma_f64 v[50:51], v[50:51], v[52:53], v[50:51]
	s_delay_alu instid0(VALU_DEP_1) | instskip(NEXT) | instid1(VALU_DEP_1)
	v_mul_f64 v[52:53], v[54:55], v[50:51]
	v_fma_f64 v[48:49], -v[48:49], v[52:53], v[54:55]
	s_delay_alu instid0(VALU_DEP_1) | instskip(NEXT) | instid1(VALU_DEP_1)
	v_div_fmas_f64 v[48:49], v[48:49], v[50:51], v[52:53]
	v_div_fixup_f64 v[48:49], v[48:49], v[98:99], v[96:97]
	s_delay_alu instid0(VALU_DEP_1) | instskip(NEXT) | instid1(VALU_DEP_1)
	v_fma_f64 v[50:51], v[96:97], v[48:49], v[98:99]
	v_div_scale_f64 v[52:53], null, v[50:51], v[50:51], 1.0
	s_delay_alu instid0(VALU_DEP_1) | instskip(SKIP_2) | instid1(VALU_DEP_1)
	v_rcp_f64_e32 v[54:55], v[52:53]
	s_waitcnt_depctr 0xfff
	v_fma_f64 v[96:97], -v[52:53], v[54:55], 1.0
	v_fma_f64 v[54:55], v[54:55], v[96:97], v[54:55]
	s_delay_alu instid0(VALU_DEP_1) | instskip(NEXT) | instid1(VALU_DEP_1)
	v_fma_f64 v[96:97], -v[52:53], v[54:55], 1.0
	v_fma_f64 v[54:55], v[54:55], v[96:97], v[54:55]
	v_div_scale_f64 v[96:97], vcc_lo, 1.0, v[50:51], 1.0
	s_delay_alu instid0(VALU_DEP_1) | instskip(NEXT) | instid1(VALU_DEP_1)
	v_mul_f64 v[98:99], v[96:97], v[54:55]
	v_fma_f64 v[52:53], -v[52:53], v[98:99], v[96:97]
	s_delay_alu instid0(VALU_DEP_1) | instskip(NEXT) | instid1(VALU_DEP_1)
	v_div_fmas_f64 v[52:53], v[52:53], v[54:55], v[98:99]
	v_div_fixup_f64 v[98:99], v[52:53], v[50:51], 1.0
	s_delay_alu instid0(VALU_DEP_1)
	v_mul_f64 v[96:97], v[48:49], v[98:99]
	v_xor_b32_e32 v99, 0x80000000, v99
.LBB46_238:
	s_and_not1_saveexec_b32 s2, s2
	s_cbranch_execz .LBB46_240
; %bb.239:
	s_delay_alu instid0(VALU_DEP_1) | instskip(SKIP_1) | instid1(VALU_DEP_2)
	v_div_scale_f64 v[48:49], null, v[96:97], v[96:97], v[98:99]
	v_div_scale_f64 v[54:55], vcc_lo, v[98:99], v[96:97], v[98:99]
	v_rcp_f64_e32 v[50:51], v[48:49]
	s_waitcnt_depctr 0xfff
	v_fma_f64 v[52:53], -v[48:49], v[50:51], 1.0
	s_delay_alu instid0(VALU_DEP_1) | instskip(NEXT) | instid1(VALU_DEP_1)
	v_fma_f64 v[50:51], v[50:51], v[52:53], v[50:51]
	v_fma_f64 v[52:53], -v[48:49], v[50:51], 1.0
	s_delay_alu instid0(VALU_DEP_1) | instskip(NEXT) | instid1(VALU_DEP_1)
	v_fma_f64 v[50:51], v[50:51], v[52:53], v[50:51]
	v_mul_f64 v[52:53], v[54:55], v[50:51]
	s_delay_alu instid0(VALU_DEP_1) | instskip(NEXT) | instid1(VALU_DEP_1)
	v_fma_f64 v[48:49], -v[48:49], v[52:53], v[54:55]
	v_div_fmas_f64 v[48:49], v[48:49], v[50:51], v[52:53]
	s_delay_alu instid0(VALU_DEP_1) | instskip(NEXT) | instid1(VALU_DEP_1)
	v_div_fixup_f64 v[48:49], v[48:49], v[96:97], v[98:99]
	v_fma_f64 v[50:51], v[98:99], v[48:49], v[96:97]
	s_delay_alu instid0(VALU_DEP_1) | instskip(NEXT) | instid1(VALU_DEP_1)
	v_div_scale_f64 v[52:53], null, v[50:51], v[50:51], 1.0
	v_rcp_f64_e32 v[54:55], v[52:53]
	s_waitcnt_depctr 0xfff
	v_fma_f64 v[96:97], -v[52:53], v[54:55], 1.0
	s_delay_alu instid0(VALU_DEP_1) | instskip(NEXT) | instid1(VALU_DEP_1)
	v_fma_f64 v[54:55], v[54:55], v[96:97], v[54:55]
	v_fma_f64 v[96:97], -v[52:53], v[54:55], 1.0
	s_delay_alu instid0(VALU_DEP_1) | instskip(SKIP_1) | instid1(VALU_DEP_1)
	v_fma_f64 v[54:55], v[54:55], v[96:97], v[54:55]
	v_div_scale_f64 v[96:97], vcc_lo, 1.0, v[50:51], 1.0
	v_mul_f64 v[98:99], v[96:97], v[54:55]
	s_delay_alu instid0(VALU_DEP_1) | instskip(NEXT) | instid1(VALU_DEP_1)
	v_fma_f64 v[52:53], -v[52:53], v[98:99], v[96:97]
	v_div_fmas_f64 v[52:53], v[52:53], v[54:55], v[98:99]
	s_delay_alu instid0(VALU_DEP_1) | instskip(NEXT) | instid1(VALU_DEP_1)
	v_div_fixup_f64 v[96:97], v[52:53], v[50:51], 1.0
	v_mul_f64 v[98:99], v[48:49], -v[96:97]
.LBB46_240:
	s_or_b32 exec_lo, exec_lo, s2
.LBB46_241:
	s_delay_alu instid0(SALU_CYCLE_1) | instskip(NEXT) | instid1(SALU_CYCLE_1)
	s_or_b32 exec_lo, exec_lo, s3
	s_mov_b32 s2, exec_lo
	v_cmpx_ne_u32_e64 v95, v104
	s_xor_b32 s2, exec_lo, s2
	s_cbranch_execz .LBB46_247
; %bb.242:
	s_mov_b32 s3, exec_lo
	v_cmpx_eq_u32_e32 11, v95
	s_cbranch_execz .LBB46_246
; %bb.243:
	v_cmp_ne_u32_e32 vcc_lo, 11, v104
	s_xor_b32 s6, s4, -1
	s_delay_alu instid0(SALU_CYCLE_1) | instskip(NEXT) | instid1(SALU_CYCLE_1)
	s_and_b32 s7, s6, vcc_lo
	s_and_saveexec_b32 s6, s7
	s_cbranch_execz .LBB46_245
; %bb.244:
	scratch_load_b64 v[52:53], off, off offset:16 ; 8-byte Folded Reload
	v_ashrrev_i32_e32 v105, 31, v104
	s_delay_alu instid0(VALU_DEP_1) | instskip(SKIP_1) | instid1(VALU_DEP_1)
	v_lshlrev_b64 v[48:49], 2, v[104:105]
	s_waitcnt vmcnt(0)
	v_add_co_u32 v48, vcc_lo, v52, v48
	s_delay_alu instid0(VALU_DEP_2)
	v_add_co_ci_u32_e32 v49, vcc_lo, v53, v49, vcc_lo
	s_clause 0x1
	flat_load_b32 v50, v[48:49]
	flat_load_b32 v51, v[52:53] offset:44
	s_waitcnt vmcnt(1) lgkmcnt(1)
	flat_store_b32 v[52:53], v50 offset:44
	s_waitcnt vmcnt(0) lgkmcnt(1)
	flat_store_b32 v[48:49], v51
.LBB46_245:
	s_or_b32 exec_lo, exec_lo, s6
	v_mov_b32_e32 v95, v104
	v_mov_b32_e32 v78, v104
.LBB46_246:
	s_or_b32 exec_lo, exec_lo, s3
.LBB46_247:
	s_and_not1_saveexec_b32 s2, s2
	s_cbranch_execz .LBB46_249
; %bb.248:
	v_mov_b32_e32 v95, 11
	ds_store_2addr_b64 v106, v[44:45], v[46:47] offset0:24 offset1:25
	ds_store_2addr_b64 v106, v[40:41], v[42:43] offset0:26 offset1:27
	;; [unrolled: 1-line block ×12, first 2 shown]
.LBB46_249:
	s_or_b32 exec_lo, exec_lo, s2
	s_delay_alu instid0(SALU_CYCLE_1)
	s_mov_b32 s2, exec_lo
	s_waitcnt lgkmcnt(0)
	s_waitcnt_vscnt null, 0x0
	s_barrier
	buffer_gl0_inv
	v_cmpx_lt_i32_e32 11, v95
	s_cbranch_execz .LBB46_251
; %bb.250:
	v_mul_f64 v[48:49], v[96:97], v[62:63]
	v_mul_f64 v[50:51], v[98:99], v[62:63]
	ds_load_2addr_b64 v[113:116], v106 offset0:24 offset1:25
	ds_load_2addr_b64 v[117:120], v106 offset0:26 offset1:27
	;; [unrolled: 1-line block ×12, first 2 shown]
	v_fma_f64 v[48:49], v[98:99], v[60:61], v[48:49]
	v_fma_f64 v[60:61], v[96:97], v[60:61], -v[50:51]
	s_waitcnt lgkmcnt(11)
	s_delay_alu instid0(VALU_DEP_2)
	v_mul_f64 v[50:51], v[115:116], v[48:49]
	v_mul_f64 v[52:53], v[113:114], v[48:49]
	s_waitcnt lgkmcnt(10)
	v_mul_f64 v[54:55], v[119:120], v[48:49]
	v_mul_f64 v[62:63], v[117:118], v[48:49]
	s_waitcnt lgkmcnt(9)
	;; [unrolled: 3-line block ×11, first 2 shown]
	v_mul_f64 v[187:188], v[159:160], v[48:49]
	v_mul_f64 v[189:190], v[157:158], v[48:49]
	v_fma_f64 v[50:51], v[113:114], v[60:61], -v[50:51]
	v_fma_f64 v[52:53], v[115:116], v[60:61], v[52:53]
	v_fma_f64 v[54:55], v[117:118], v[60:61], -v[54:55]
	v_fma_f64 v[62:63], v[119:120], v[60:61], v[62:63]
	;; [unrolled: 2-line block ×12, first 2 shown]
	v_add_f64 v[44:45], v[44:45], -v[50:51]
	v_add_f64 v[46:47], v[46:47], -v[52:53]
	;; [unrolled: 1-line block ×24, first 2 shown]
	v_dual_mov_b32 v63, v49 :: v_dual_mov_b32 v62, v48
.LBB46_251:
	s_or_b32 exec_lo, exec_lo, s2
	v_lshl_add_u32 v48, v95, 4, v106
	s_barrier
	buffer_gl0_inv
	v_mov_b32_e32 v104, 12
	ds_store_2addr_b64 v48, v[44:45], v[46:47] offset1:1
	s_waitcnt lgkmcnt(0)
	s_barrier
	buffer_gl0_inv
	ds_load_2addr_b64 v[96:99], v106 offset0:24 offset1:25
	s_cmp_lt_i32 s5, 14
	s_cbranch_scc1 .LBB46_254
; %bb.252:
	v_add3_u32 v105, v87, 0, 0xd0
	v_mov_b32_e32 v104, 12
	s_mov_b32 s6, 13
	s_set_inst_prefetch_distance 0x1
	.p2align	6
.LBB46_253:                             ; =>This Inner Loop Header: Depth=1
	ds_load_2addr_b64 v[113:116], v105 offset1:1
	s_waitcnt lgkmcnt(1)
	v_cmp_gt_f64_e32 vcc_lo, 0, v[96:97]
	v_xor_b32_e32 v48, 0x80000000, v97
	v_cmp_gt_f64_e64 s2, 0, v[98:99]
	v_xor_b32_e32 v50, 0x80000000, v99
	v_add_nc_u32_e32 v105, 16, v105
	s_waitcnt lgkmcnt(0)
	v_cmp_gt_f64_e64 s3, 0, v[113:114]
	v_mov_b32_e32 v52, v113
	v_dual_mov_b32 v54, v115 :: v_dual_cndmask_b32 v49, v97, v48
	v_xor_b32_e32 v48, 0x80000000, v114
	v_cndmask_b32_e64 v51, v99, v50, s2
	v_xor_b32_e32 v50, 0x80000000, v116
	s_delay_alu instid0(VALU_DEP_3) | instskip(SKIP_2) | instid1(VALU_DEP_2)
	v_cndmask_b32_e64 v53, v114, v48, s3
	v_cmp_gt_f64_e64 s3, 0, v[115:116]
	v_cndmask_b32_e32 v48, v96, v96, vcc_lo
	v_cndmask_b32_e64 v55, v116, v50, s3
	v_cndmask_b32_e64 v50, v98, v98, s2
	s_delay_alu instid0(VALU_DEP_2) | instskip(NEXT) | instid1(VALU_DEP_2)
	v_add_f64 v[52:53], v[52:53], v[54:55]
	v_add_f64 v[48:49], v[48:49], v[50:51]
	s_delay_alu instid0(VALU_DEP_1) | instskip(SKIP_4) | instid1(SALU_CYCLE_1)
	v_cmp_lt_f64_e32 vcc_lo, v[48:49], v[52:53]
	v_dual_cndmask_b32 v97, v97, v114 :: v_dual_cndmask_b32 v96, v96, v113
	v_dual_cndmask_b32 v99, v99, v116 :: v_dual_cndmask_b32 v98, v98, v115
	v_cndmask_b32_e64 v104, v104, s6, vcc_lo
	s_add_i32 s6, s6, 1
	s_cmp_lg_u32 s5, s6
	s_cbranch_scc1 .LBB46_253
.LBB46_254:
	s_set_inst_prefetch_distance 0x2
	s_waitcnt lgkmcnt(0)
	v_cmp_eq_f64_e32 vcc_lo, 0, v[96:97]
	v_cmp_eq_f64_e64 s2, 0, v[98:99]
	s_delay_alu instid0(VALU_DEP_1) | instskip(NEXT) | instid1(SALU_CYCLE_1)
	s_and_b32 s2, vcc_lo, s2
	s_and_saveexec_b32 s3, s2
	s_delay_alu instid0(SALU_CYCLE_1)
	s_xor_b32 s2, exec_lo, s3
; %bb.255:
	v_cmp_ne_u32_e32 vcc_lo, 0, v86
	v_cndmask_b32_e32 v86, 13, v86, vcc_lo
; %bb.256:
	s_and_not1_saveexec_b32 s3, s2
	s_cbranch_execz .LBB46_262
; %bb.257:
	v_cmp_gt_f64_e32 vcc_lo, 0, v[96:97]
	v_cmp_gt_f64_e64 s2, 0, v[98:99]
	v_xor_b32_e32 v48, 0x80000000, v97
	v_xor_b32_e32 v50, 0x80000000, v99
	s_delay_alu instid0(VALU_DEP_2) | instskip(NEXT) | instid1(VALU_DEP_2)
	v_cndmask_b32_e32 v49, v97, v48, vcc_lo
	v_cndmask_b32_e64 v51, v99, v50, s2
	v_cndmask_b32_e32 v48, v96, v96, vcc_lo
	v_cndmask_b32_e64 v50, v98, v98, s2
	s_mov_b32 s2, exec_lo
	s_delay_alu instid0(VALU_DEP_1)
	v_cmpx_ngt_f64_e32 v[48:49], v[50:51]
	s_xor_b32 s2, exec_lo, s2
	s_cbranch_execz .LBB46_259
; %bb.258:
	v_div_scale_f64 v[48:49], null, v[98:99], v[98:99], v[96:97]
	v_div_scale_f64 v[54:55], vcc_lo, v[96:97], v[98:99], v[96:97]
	s_delay_alu instid0(VALU_DEP_2) | instskip(SKIP_2) | instid1(VALU_DEP_1)
	v_rcp_f64_e32 v[50:51], v[48:49]
	s_waitcnt_depctr 0xfff
	v_fma_f64 v[52:53], -v[48:49], v[50:51], 1.0
	v_fma_f64 v[50:51], v[50:51], v[52:53], v[50:51]
	s_delay_alu instid0(VALU_DEP_1) | instskip(NEXT) | instid1(VALU_DEP_1)
	v_fma_f64 v[52:53], -v[48:49], v[50:51], 1.0
	v_fma_f64 v[50:51], v[50:51], v[52:53], v[50:51]
	s_delay_alu instid0(VALU_DEP_1) | instskip(NEXT) | instid1(VALU_DEP_1)
	v_mul_f64 v[52:53], v[54:55], v[50:51]
	v_fma_f64 v[48:49], -v[48:49], v[52:53], v[54:55]
	s_delay_alu instid0(VALU_DEP_1) | instskip(NEXT) | instid1(VALU_DEP_1)
	v_div_fmas_f64 v[48:49], v[48:49], v[50:51], v[52:53]
	v_div_fixup_f64 v[48:49], v[48:49], v[98:99], v[96:97]
	s_delay_alu instid0(VALU_DEP_1) | instskip(NEXT) | instid1(VALU_DEP_1)
	v_fma_f64 v[50:51], v[96:97], v[48:49], v[98:99]
	v_div_scale_f64 v[52:53], null, v[50:51], v[50:51], 1.0
	s_delay_alu instid0(VALU_DEP_1) | instskip(SKIP_2) | instid1(VALU_DEP_1)
	v_rcp_f64_e32 v[54:55], v[52:53]
	s_waitcnt_depctr 0xfff
	v_fma_f64 v[96:97], -v[52:53], v[54:55], 1.0
	v_fma_f64 v[54:55], v[54:55], v[96:97], v[54:55]
	s_delay_alu instid0(VALU_DEP_1) | instskip(NEXT) | instid1(VALU_DEP_1)
	v_fma_f64 v[96:97], -v[52:53], v[54:55], 1.0
	v_fma_f64 v[54:55], v[54:55], v[96:97], v[54:55]
	v_div_scale_f64 v[96:97], vcc_lo, 1.0, v[50:51], 1.0
	s_delay_alu instid0(VALU_DEP_1) | instskip(NEXT) | instid1(VALU_DEP_1)
	v_mul_f64 v[98:99], v[96:97], v[54:55]
	v_fma_f64 v[52:53], -v[52:53], v[98:99], v[96:97]
	s_delay_alu instid0(VALU_DEP_1) | instskip(NEXT) | instid1(VALU_DEP_1)
	v_div_fmas_f64 v[52:53], v[52:53], v[54:55], v[98:99]
	v_div_fixup_f64 v[98:99], v[52:53], v[50:51], 1.0
	s_delay_alu instid0(VALU_DEP_1)
	v_mul_f64 v[96:97], v[48:49], v[98:99]
	v_xor_b32_e32 v99, 0x80000000, v99
.LBB46_259:
	s_and_not1_saveexec_b32 s2, s2
	s_cbranch_execz .LBB46_261
; %bb.260:
	s_delay_alu instid0(VALU_DEP_1) | instskip(SKIP_1) | instid1(VALU_DEP_2)
	v_div_scale_f64 v[48:49], null, v[96:97], v[96:97], v[98:99]
	v_div_scale_f64 v[54:55], vcc_lo, v[98:99], v[96:97], v[98:99]
	v_rcp_f64_e32 v[50:51], v[48:49]
	s_waitcnt_depctr 0xfff
	v_fma_f64 v[52:53], -v[48:49], v[50:51], 1.0
	s_delay_alu instid0(VALU_DEP_1) | instskip(NEXT) | instid1(VALU_DEP_1)
	v_fma_f64 v[50:51], v[50:51], v[52:53], v[50:51]
	v_fma_f64 v[52:53], -v[48:49], v[50:51], 1.0
	s_delay_alu instid0(VALU_DEP_1) | instskip(NEXT) | instid1(VALU_DEP_1)
	v_fma_f64 v[50:51], v[50:51], v[52:53], v[50:51]
	v_mul_f64 v[52:53], v[54:55], v[50:51]
	s_delay_alu instid0(VALU_DEP_1) | instskip(NEXT) | instid1(VALU_DEP_1)
	v_fma_f64 v[48:49], -v[48:49], v[52:53], v[54:55]
	v_div_fmas_f64 v[48:49], v[48:49], v[50:51], v[52:53]
	s_delay_alu instid0(VALU_DEP_1) | instskip(NEXT) | instid1(VALU_DEP_1)
	v_div_fixup_f64 v[48:49], v[48:49], v[96:97], v[98:99]
	v_fma_f64 v[50:51], v[98:99], v[48:49], v[96:97]
	s_delay_alu instid0(VALU_DEP_1) | instskip(NEXT) | instid1(VALU_DEP_1)
	v_div_scale_f64 v[52:53], null, v[50:51], v[50:51], 1.0
	v_rcp_f64_e32 v[54:55], v[52:53]
	s_waitcnt_depctr 0xfff
	v_fma_f64 v[96:97], -v[52:53], v[54:55], 1.0
	s_delay_alu instid0(VALU_DEP_1) | instskip(NEXT) | instid1(VALU_DEP_1)
	v_fma_f64 v[54:55], v[54:55], v[96:97], v[54:55]
	v_fma_f64 v[96:97], -v[52:53], v[54:55], 1.0
	s_delay_alu instid0(VALU_DEP_1) | instskip(SKIP_1) | instid1(VALU_DEP_1)
	v_fma_f64 v[54:55], v[54:55], v[96:97], v[54:55]
	v_div_scale_f64 v[96:97], vcc_lo, 1.0, v[50:51], 1.0
	v_mul_f64 v[98:99], v[96:97], v[54:55]
	s_delay_alu instid0(VALU_DEP_1) | instskip(NEXT) | instid1(VALU_DEP_1)
	v_fma_f64 v[52:53], -v[52:53], v[98:99], v[96:97]
	v_div_fmas_f64 v[52:53], v[52:53], v[54:55], v[98:99]
	s_delay_alu instid0(VALU_DEP_1) | instskip(NEXT) | instid1(VALU_DEP_1)
	v_div_fixup_f64 v[96:97], v[52:53], v[50:51], 1.0
	v_mul_f64 v[98:99], v[48:49], -v[96:97]
.LBB46_261:
	s_or_b32 exec_lo, exec_lo, s2
.LBB46_262:
	s_delay_alu instid0(SALU_CYCLE_1) | instskip(NEXT) | instid1(SALU_CYCLE_1)
	s_or_b32 exec_lo, exec_lo, s3
	s_mov_b32 s2, exec_lo
	v_cmpx_ne_u32_e64 v95, v104
	s_xor_b32 s2, exec_lo, s2
	s_cbranch_execz .LBB46_268
; %bb.263:
	s_mov_b32 s3, exec_lo
	v_cmpx_eq_u32_e32 12, v95
	s_cbranch_execz .LBB46_267
; %bb.264:
	v_cmp_ne_u32_e32 vcc_lo, 12, v104
	s_xor_b32 s6, s4, -1
	s_delay_alu instid0(SALU_CYCLE_1) | instskip(NEXT) | instid1(SALU_CYCLE_1)
	s_and_b32 s7, s6, vcc_lo
	s_and_saveexec_b32 s6, s7
	s_cbranch_execz .LBB46_266
; %bb.265:
	scratch_load_b64 v[52:53], off, off offset:16 ; 8-byte Folded Reload
	v_ashrrev_i32_e32 v105, 31, v104
	s_delay_alu instid0(VALU_DEP_1) | instskip(SKIP_1) | instid1(VALU_DEP_1)
	v_lshlrev_b64 v[48:49], 2, v[104:105]
	s_waitcnt vmcnt(0)
	v_add_co_u32 v48, vcc_lo, v52, v48
	s_delay_alu instid0(VALU_DEP_2)
	v_add_co_ci_u32_e32 v49, vcc_lo, v53, v49, vcc_lo
	s_clause 0x1
	flat_load_b32 v50, v[48:49]
	flat_load_b32 v51, v[52:53] offset:48
	s_waitcnt vmcnt(1) lgkmcnt(1)
	flat_store_b32 v[52:53], v50 offset:48
	s_waitcnt vmcnt(0) lgkmcnt(1)
	flat_store_b32 v[48:49], v51
.LBB46_266:
	s_or_b32 exec_lo, exec_lo, s6
	v_mov_b32_e32 v95, v104
	v_mov_b32_e32 v78, v104
.LBB46_267:
	s_or_b32 exec_lo, exec_lo, s3
.LBB46_268:
	s_and_not1_saveexec_b32 s2, s2
	s_cbranch_execz .LBB46_270
; %bb.269:
	v_mov_b32_e32 v95, 12
	ds_store_2addr_b64 v106, v[40:41], v[42:43] offset0:26 offset1:27
	ds_store_2addr_b64 v106, v[32:33], v[34:35] offset0:28 offset1:29
	;; [unrolled: 1-line block ×11, first 2 shown]
.LBB46_270:
	s_or_b32 exec_lo, exec_lo, s2
	s_delay_alu instid0(SALU_CYCLE_1)
	s_mov_b32 s2, exec_lo
	s_waitcnt lgkmcnt(0)
	s_waitcnt_vscnt null, 0x0
	s_barrier
	buffer_gl0_inv
	v_cmpx_lt_i32_e32 12, v95
	s_cbranch_execz .LBB46_272
; %bb.271:
	v_mul_f64 v[48:49], v[96:97], v[46:47]
	v_mul_f64 v[46:47], v[98:99], v[46:47]
	ds_load_2addr_b64 v[113:116], v106 offset0:26 offset1:27
	ds_load_2addr_b64 v[117:120], v106 offset0:28 offset1:29
	;; [unrolled: 1-line block ×11, first 2 shown]
	v_fma_f64 v[48:49], v[98:99], v[44:45], v[48:49]
	v_fma_f64 v[44:45], v[96:97], v[44:45], -v[46:47]
	s_waitcnt lgkmcnt(10)
	s_delay_alu instid0(VALU_DEP_2)
	v_mul_f64 v[46:47], v[115:116], v[48:49]
	v_mul_f64 v[50:51], v[113:114], v[48:49]
	s_waitcnt lgkmcnt(9)
	v_mul_f64 v[52:53], v[119:120], v[48:49]
	v_mul_f64 v[54:55], v[117:118], v[48:49]
	s_waitcnt lgkmcnt(8)
	;; [unrolled: 3-line block ×10, first 2 shown]
	v_mul_f64 v[179:180], v[155:156], v[48:49]
	v_mul_f64 v[181:182], v[153:154], v[48:49]
	v_fma_f64 v[46:47], v[113:114], v[44:45], -v[46:47]
	v_fma_f64 v[50:51], v[115:116], v[44:45], v[50:51]
	v_fma_f64 v[52:53], v[117:118], v[44:45], -v[52:53]
	v_fma_f64 v[54:55], v[119:120], v[44:45], v[54:55]
	v_fma_f64 v[96:97], v[121:122], v[44:45], -v[96:97]
	v_fma_f64 v[98:99], v[123:124], v[44:45], v[98:99]
	v_fma_f64 v[100:101], v[125:126], v[44:45], -v[100:101]
	v_fma_f64 v[102:103], v[127:128], v[44:45], v[102:103]
	v_fma_f64 v[104:105], v[129:130], v[44:45], -v[104:105]
	v_fma_f64 v[113:114], v[131:132], v[44:45], v[157:158]
	v_fma_f64 v[115:116], v[133:134], v[44:45], -v[159:160]
	v_fma_f64 v[117:118], v[135:136], v[44:45], v[161:162]
	v_fma_f64 v[119:120], v[137:138], v[44:45], -v[163:164]
	v_fma_f64 v[121:122], v[139:140], v[44:45], v[165:166]
	v_fma_f64 v[123:124], v[141:142], v[44:45], -v[167:168]
	v_fma_f64 v[125:126], v[143:144], v[44:45], v[169:170]
	v_fma_f64 v[127:128], v[145:146], v[44:45], -v[171:172]
	v_fma_f64 v[129:130], v[147:148], v[44:45], v[173:174]
	v_fma_f64 v[131:132], v[149:150], v[44:45], -v[175:176]
	v_fma_f64 v[133:134], v[151:152], v[44:45], v[177:178]
	v_fma_f64 v[135:136], v[153:154], v[44:45], -v[179:180]
	v_fma_f64 v[137:138], v[155:156], v[44:45], v[181:182]
	v_add_f64 v[40:41], v[40:41], -v[46:47]
	v_add_f64 v[42:43], v[42:43], -v[50:51]
	;; [unrolled: 1-line block ×22, first 2 shown]
	v_dual_mov_b32 v46, v48 :: v_dual_mov_b32 v47, v49
.LBB46_272:
	s_or_b32 exec_lo, exec_lo, s2
	v_lshl_add_u32 v48, v95, 4, v106
	s_barrier
	buffer_gl0_inv
	v_mov_b32_e32 v104, 13
	ds_store_2addr_b64 v48, v[40:41], v[42:43] offset1:1
	s_waitcnt lgkmcnt(0)
	s_barrier
	buffer_gl0_inv
	ds_load_2addr_b64 v[96:99], v106 offset0:26 offset1:27
	s_cmp_lt_i32 s5, 15
	s_cbranch_scc1 .LBB46_275
; %bb.273:
	v_add3_u32 v105, v87, 0, 0xe0
	v_mov_b32_e32 v104, 13
	s_mov_b32 s6, 14
	s_set_inst_prefetch_distance 0x1
	.p2align	6
.LBB46_274:                             ; =>This Inner Loop Header: Depth=1
	ds_load_2addr_b64 v[113:116], v105 offset1:1
	s_waitcnt lgkmcnt(1)
	v_cmp_gt_f64_e32 vcc_lo, 0, v[96:97]
	v_xor_b32_e32 v48, 0x80000000, v97
	v_cmp_gt_f64_e64 s2, 0, v[98:99]
	v_xor_b32_e32 v50, 0x80000000, v99
	v_add_nc_u32_e32 v105, 16, v105
	s_waitcnt lgkmcnt(0)
	v_cmp_gt_f64_e64 s3, 0, v[113:114]
	v_mov_b32_e32 v52, v113
	v_dual_mov_b32 v54, v115 :: v_dual_cndmask_b32 v49, v97, v48
	v_xor_b32_e32 v48, 0x80000000, v114
	v_cndmask_b32_e64 v51, v99, v50, s2
	v_xor_b32_e32 v50, 0x80000000, v116
	s_delay_alu instid0(VALU_DEP_3) | instskip(SKIP_2) | instid1(VALU_DEP_2)
	v_cndmask_b32_e64 v53, v114, v48, s3
	v_cmp_gt_f64_e64 s3, 0, v[115:116]
	v_cndmask_b32_e32 v48, v96, v96, vcc_lo
	v_cndmask_b32_e64 v55, v116, v50, s3
	v_cndmask_b32_e64 v50, v98, v98, s2
	s_delay_alu instid0(VALU_DEP_2) | instskip(NEXT) | instid1(VALU_DEP_2)
	v_add_f64 v[52:53], v[52:53], v[54:55]
	v_add_f64 v[48:49], v[48:49], v[50:51]
	s_delay_alu instid0(VALU_DEP_1) | instskip(SKIP_4) | instid1(SALU_CYCLE_1)
	v_cmp_lt_f64_e32 vcc_lo, v[48:49], v[52:53]
	v_dual_cndmask_b32 v97, v97, v114 :: v_dual_cndmask_b32 v96, v96, v113
	v_dual_cndmask_b32 v99, v99, v116 :: v_dual_cndmask_b32 v98, v98, v115
	v_cndmask_b32_e64 v104, v104, s6, vcc_lo
	s_add_i32 s6, s6, 1
	s_cmp_lg_u32 s5, s6
	s_cbranch_scc1 .LBB46_274
.LBB46_275:
	s_set_inst_prefetch_distance 0x2
	s_waitcnt lgkmcnt(0)
	v_cmp_eq_f64_e32 vcc_lo, 0, v[96:97]
	v_cmp_eq_f64_e64 s2, 0, v[98:99]
	s_delay_alu instid0(VALU_DEP_1) | instskip(NEXT) | instid1(SALU_CYCLE_1)
	s_and_b32 s2, vcc_lo, s2
	s_and_saveexec_b32 s3, s2
	s_delay_alu instid0(SALU_CYCLE_1)
	s_xor_b32 s2, exec_lo, s3
; %bb.276:
	v_cmp_ne_u32_e32 vcc_lo, 0, v86
	v_cndmask_b32_e32 v86, 14, v86, vcc_lo
; %bb.277:
	s_and_not1_saveexec_b32 s3, s2
	s_cbranch_execz .LBB46_283
; %bb.278:
	v_cmp_gt_f64_e32 vcc_lo, 0, v[96:97]
	v_cmp_gt_f64_e64 s2, 0, v[98:99]
	v_xor_b32_e32 v48, 0x80000000, v97
	v_xor_b32_e32 v50, 0x80000000, v99
	s_delay_alu instid0(VALU_DEP_2) | instskip(NEXT) | instid1(VALU_DEP_2)
	v_cndmask_b32_e32 v49, v97, v48, vcc_lo
	v_cndmask_b32_e64 v51, v99, v50, s2
	v_cndmask_b32_e32 v48, v96, v96, vcc_lo
	v_cndmask_b32_e64 v50, v98, v98, s2
	s_mov_b32 s2, exec_lo
	s_delay_alu instid0(VALU_DEP_1)
	v_cmpx_ngt_f64_e32 v[48:49], v[50:51]
	s_xor_b32 s2, exec_lo, s2
	s_cbranch_execz .LBB46_280
; %bb.279:
	v_div_scale_f64 v[48:49], null, v[98:99], v[98:99], v[96:97]
	v_div_scale_f64 v[54:55], vcc_lo, v[96:97], v[98:99], v[96:97]
	s_delay_alu instid0(VALU_DEP_2) | instskip(SKIP_2) | instid1(VALU_DEP_1)
	v_rcp_f64_e32 v[50:51], v[48:49]
	s_waitcnt_depctr 0xfff
	v_fma_f64 v[52:53], -v[48:49], v[50:51], 1.0
	v_fma_f64 v[50:51], v[50:51], v[52:53], v[50:51]
	s_delay_alu instid0(VALU_DEP_1) | instskip(NEXT) | instid1(VALU_DEP_1)
	v_fma_f64 v[52:53], -v[48:49], v[50:51], 1.0
	v_fma_f64 v[50:51], v[50:51], v[52:53], v[50:51]
	s_delay_alu instid0(VALU_DEP_1) | instskip(NEXT) | instid1(VALU_DEP_1)
	v_mul_f64 v[52:53], v[54:55], v[50:51]
	v_fma_f64 v[48:49], -v[48:49], v[52:53], v[54:55]
	s_delay_alu instid0(VALU_DEP_1) | instskip(NEXT) | instid1(VALU_DEP_1)
	v_div_fmas_f64 v[48:49], v[48:49], v[50:51], v[52:53]
	v_div_fixup_f64 v[48:49], v[48:49], v[98:99], v[96:97]
	s_delay_alu instid0(VALU_DEP_1) | instskip(NEXT) | instid1(VALU_DEP_1)
	v_fma_f64 v[50:51], v[96:97], v[48:49], v[98:99]
	v_div_scale_f64 v[52:53], null, v[50:51], v[50:51], 1.0
	s_delay_alu instid0(VALU_DEP_1) | instskip(SKIP_2) | instid1(VALU_DEP_1)
	v_rcp_f64_e32 v[54:55], v[52:53]
	s_waitcnt_depctr 0xfff
	v_fma_f64 v[96:97], -v[52:53], v[54:55], 1.0
	v_fma_f64 v[54:55], v[54:55], v[96:97], v[54:55]
	s_delay_alu instid0(VALU_DEP_1) | instskip(NEXT) | instid1(VALU_DEP_1)
	v_fma_f64 v[96:97], -v[52:53], v[54:55], 1.0
	v_fma_f64 v[54:55], v[54:55], v[96:97], v[54:55]
	v_div_scale_f64 v[96:97], vcc_lo, 1.0, v[50:51], 1.0
	s_delay_alu instid0(VALU_DEP_1) | instskip(NEXT) | instid1(VALU_DEP_1)
	v_mul_f64 v[98:99], v[96:97], v[54:55]
	v_fma_f64 v[52:53], -v[52:53], v[98:99], v[96:97]
	s_delay_alu instid0(VALU_DEP_1) | instskip(NEXT) | instid1(VALU_DEP_1)
	v_div_fmas_f64 v[52:53], v[52:53], v[54:55], v[98:99]
	v_div_fixup_f64 v[98:99], v[52:53], v[50:51], 1.0
	s_delay_alu instid0(VALU_DEP_1)
	v_mul_f64 v[96:97], v[48:49], v[98:99]
	v_xor_b32_e32 v99, 0x80000000, v99
.LBB46_280:
	s_and_not1_saveexec_b32 s2, s2
	s_cbranch_execz .LBB46_282
; %bb.281:
	s_delay_alu instid0(VALU_DEP_1) | instskip(SKIP_1) | instid1(VALU_DEP_2)
	v_div_scale_f64 v[48:49], null, v[96:97], v[96:97], v[98:99]
	v_div_scale_f64 v[54:55], vcc_lo, v[98:99], v[96:97], v[98:99]
	v_rcp_f64_e32 v[50:51], v[48:49]
	s_waitcnt_depctr 0xfff
	v_fma_f64 v[52:53], -v[48:49], v[50:51], 1.0
	s_delay_alu instid0(VALU_DEP_1) | instskip(NEXT) | instid1(VALU_DEP_1)
	v_fma_f64 v[50:51], v[50:51], v[52:53], v[50:51]
	v_fma_f64 v[52:53], -v[48:49], v[50:51], 1.0
	s_delay_alu instid0(VALU_DEP_1) | instskip(NEXT) | instid1(VALU_DEP_1)
	v_fma_f64 v[50:51], v[50:51], v[52:53], v[50:51]
	v_mul_f64 v[52:53], v[54:55], v[50:51]
	s_delay_alu instid0(VALU_DEP_1) | instskip(NEXT) | instid1(VALU_DEP_1)
	v_fma_f64 v[48:49], -v[48:49], v[52:53], v[54:55]
	v_div_fmas_f64 v[48:49], v[48:49], v[50:51], v[52:53]
	s_delay_alu instid0(VALU_DEP_1) | instskip(NEXT) | instid1(VALU_DEP_1)
	v_div_fixup_f64 v[48:49], v[48:49], v[96:97], v[98:99]
	v_fma_f64 v[50:51], v[98:99], v[48:49], v[96:97]
	s_delay_alu instid0(VALU_DEP_1) | instskip(NEXT) | instid1(VALU_DEP_1)
	v_div_scale_f64 v[52:53], null, v[50:51], v[50:51], 1.0
	v_rcp_f64_e32 v[54:55], v[52:53]
	s_waitcnt_depctr 0xfff
	v_fma_f64 v[96:97], -v[52:53], v[54:55], 1.0
	s_delay_alu instid0(VALU_DEP_1) | instskip(NEXT) | instid1(VALU_DEP_1)
	v_fma_f64 v[54:55], v[54:55], v[96:97], v[54:55]
	v_fma_f64 v[96:97], -v[52:53], v[54:55], 1.0
	s_delay_alu instid0(VALU_DEP_1) | instskip(SKIP_1) | instid1(VALU_DEP_1)
	v_fma_f64 v[54:55], v[54:55], v[96:97], v[54:55]
	v_div_scale_f64 v[96:97], vcc_lo, 1.0, v[50:51], 1.0
	v_mul_f64 v[98:99], v[96:97], v[54:55]
	s_delay_alu instid0(VALU_DEP_1) | instskip(NEXT) | instid1(VALU_DEP_1)
	v_fma_f64 v[52:53], -v[52:53], v[98:99], v[96:97]
	v_div_fmas_f64 v[52:53], v[52:53], v[54:55], v[98:99]
	s_delay_alu instid0(VALU_DEP_1) | instskip(NEXT) | instid1(VALU_DEP_1)
	v_div_fixup_f64 v[96:97], v[52:53], v[50:51], 1.0
	v_mul_f64 v[98:99], v[48:49], -v[96:97]
.LBB46_282:
	s_or_b32 exec_lo, exec_lo, s2
.LBB46_283:
	s_delay_alu instid0(SALU_CYCLE_1) | instskip(NEXT) | instid1(SALU_CYCLE_1)
	s_or_b32 exec_lo, exec_lo, s3
	s_mov_b32 s2, exec_lo
	v_cmpx_ne_u32_e64 v95, v104
	s_xor_b32 s2, exec_lo, s2
	s_cbranch_execz .LBB46_289
; %bb.284:
	s_mov_b32 s3, exec_lo
	v_cmpx_eq_u32_e32 13, v95
	s_cbranch_execz .LBB46_288
; %bb.285:
	v_cmp_ne_u32_e32 vcc_lo, 13, v104
	s_xor_b32 s6, s4, -1
	s_delay_alu instid0(SALU_CYCLE_1) | instskip(NEXT) | instid1(SALU_CYCLE_1)
	s_and_b32 s7, s6, vcc_lo
	s_and_saveexec_b32 s6, s7
	s_cbranch_execz .LBB46_287
; %bb.286:
	scratch_load_b64 v[52:53], off, off offset:16 ; 8-byte Folded Reload
	v_ashrrev_i32_e32 v105, 31, v104
	s_delay_alu instid0(VALU_DEP_1) | instskip(SKIP_1) | instid1(VALU_DEP_1)
	v_lshlrev_b64 v[48:49], 2, v[104:105]
	s_waitcnt vmcnt(0)
	v_add_co_u32 v48, vcc_lo, v52, v48
	s_delay_alu instid0(VALU_DEP_2)
	v_add_co_ci_u32_e32 v49, vcc_lo, v53, v49, vcc_lo
	s_clause 0x1
	flat_load_b32 v50, v[48:49]
	flat_load_b32 v51, v[52:53] offset:52
	s_waitcnt vmcnt(1) lgkmcnt(1)
	flat_store_b32 v[52:53], v50 offset:52
	s_waitcnt vmcnt(0) lgkmcnt(1)
	flat_store_b32 v[48:49], v51
.LBB46_287:
	s_or_b32 exec_lo, exec_lo, s6
	v_mov_b32_e32 v95, v104
	v_mov_b32_e32 v78, v104
.LBB46_288:
	s_or_b32 exec_lo, exec_lo, s3
.LBB46_289:
	s_and_not1_saveexec_b32 s2, s2
	s_cbranch_execz .LBB46_291
; %bb.290:
	v_mov_b32_e32 v95, 13
	ds_store_2addr_b64 v106, v[32:33], v[34:35] offset0:28 offset1:29
	ds_store_2addr_b64 v106, v[28:29], v[30:31] offset0:30 offset1:31
	;; [unrolled: 1-line block ×10, first 2 shown]
.LBB46_291:
	s_or_b32 exec_lo, exec_lo, s2
	s_delay_alu instid0(SALU_CYCLE_1)
	s_mov_b32 s2, exec_lo
	s_waitcnt lgkmcnt(0)
	s_waitcnt_vscnt null, 0x0
	s_barrier
	buffer_gl0_inv
	v_cmpx_lt_i32_e32 13, v95
	s_cbranch_execz .LBB46_293
; %bb.292:
	v_mul_f64 v[48:49], v[96:97], v[42:43]
	v_mul_f64 v[42:43], v[98:99], v[42:43]
	ds_load_2addr_b64 v[113:116], v106 offset0:28 offset1:29
	ds_load_2addr_b64 v[117:120], v106 offset0:30 offset1:31
	ds_load_2addr_b64 v[121:124], v106 offset0:32 offset1:33
	ds_load_2addr_b64 v[125:128], v106 offset0:34 offset1:35
	ds_load_2addr_b64 v[129:132], v106 offset0:36 offset1:37
	ds_load_2addr_b64 v[133:136], v106 offset0:38 offset1:39
	ds_load_2addr_b64 v[137:140], v106 offset0:40 offset1:41
	ds_load_2addr_b64 v[141:144], v106 offset0:42 offset1:43
	ds_load_2addr_b64 v[145:148], v106 offset0:44 offset1:45
	ds_load_2addr_b64 v[149:152], v106 offset0:46 offset1:47
	v_fma_f64 v[48:49], v[98:99], v[40:41], v[48:49]
	v_fma_f64 v[40:41], v[96:97], v[40:41], -v[42:43]
	s_waitcnt lgkmcnt(9)
	s_delay_alu instid0(VALU_DEP_2)
	v_mul_f64 v[42:43], v[115:116], v[48:49]
	v_mul_f64 v[50:51], v[113:114], v[48:49]
	s_waitcnt lgkmcnt(8)
	v_mul_f64 v[52:53], v[119:120], v[48:49]
	v_mul_f64 v[54:55], v[117:118], v[48:49]
	s_waitcnt lgkmcnt(7)
	;; [unrolled: 3-line block ×9, first 2 shown]
	v_mul_f64 v[171:172], v[151:152], v[48:49]
	v_mul_f64 v[173:174], v[149:150], v[48:49]
	v_fma_f64 v[42:43], v[113:114], v[40:41], -v[42:43]
	v_fma_f64 v[50:51], v[115:116], v[40:41], v[50:51]
	v_fma_f64 v[52:53], v[117:118], v[40:41], -v[52:53]
	v_fma_f64 v[54:55], v[119:120], v[40:41], v[54:55]
	;; [unrolled: 2-line block ×10, first 2 shown]
	v_add_f64 v[32:33], v[32:33], -v[42:43]
	v_add_f64 v[34:35], v[34:35], -v[50:51]
	;; [unrolled: 1-line block ×20, first 2 shown]
	v_dual_mov_b32 v42, v48 :: v_dual_mov_b32 v43, v49
.LBB46_293:
	s_or_b32 exec_lo, exec_lo, s2
	v_lshl_add_u32 v48, v95, 4, v106
	s_barrier
	buffer_gl0_inv
	v_mov_b32_e32 v104, 14
	ds_store_2addr_b64 v48, v[32:33], v[34:35] offset1:1
	s_waitcnt lgkmcnt(0)
	s_barrier
	buffer_gl0_inv
	ds_load_2addr_b64 v[96:99], v106 offset0:28 offset1:29
	s_cmp_lt_i32 s5, 16
	s_cbranch_scc1 .LBB46_296
; %bb.294:
	v_add3_u32 v105, v87, 0, 0xf0
	v_mov_b32_e32 v104, 14
	s_mov_b32 s6, 15
	s_set_inst_prefetch_distance 0x1
	.p2align	6
.LBB46_295:                             ; =>This Inner Loop Header: Depth=1
	ds_load_2addr_b64 v[113:116], v105 offset1:1
	s_waitcnt lgkmcnt(1)
	v_cmp_gt_f64_e32 vcc_lo, 0, v[96:97]
	v_xor_b32_e32 v48, 0x80000000, v97
	v_cmp_gt_f64_e64 s2, 0, v[98:99]
	v_xor_b32_e32 v50, 0x80000000, v99
	v_add_nc_u32_e32 v105, 16, v105
	s_waitcnt lgkmcnt(0)
	v_cmp_gt_f64_e64 s3, 0, v[113:114]
	v_mov_b32_e32 v52, v113
	v_dual_mov_b32 v54, v115 :: v_dual_cndmask_b32 v49, v97, v48
	v_xor_b32_e32 v48, 0x80000000, v114
	v_cndmask_b32_e64 v51, v99, v50, s2
	v_xor_b32_e32 v50, 0x80000000, v116
	s_delay_alu instid0(VALU_DEP_3) | instskip(SKIP_2) | instid1(VALU_DEP_2)
	v_cndmask_b32_e64 v53, v114, v48, s3
	v_cmp_gt_f64_e64 s3, 0, v[115:116]
	v_cndmask_b32_e32 v48, v96, v96, vcc_lo
	v_cndmask_b32_e64 v55, v116, v50, s3
	v_cndmask_b32_e64 v50, v98, v98, s2
	s_delay_alu instid0(VALU_DEP_2) | instskip(NEXT) | instid1(VALU_DEP_2)
	v_add_f64 v[52:53], v[52:53], v[54:55]
	v_add_f64 v[48:49], v[48:49], v[50:51]
	s_delay_alu instid0(VALU_DEP_1) | instskip(SKIP_4) | instid1(SALU_CYCLE_1)
	v_cmp_lt_f64_e32 vcc_lo, v[48:49], v[52:53]
	v_dual_cndmask_b32 v97, v97, v114 :: v_dual_cndmask_b32 v96, v96, v113
	v_dual_cndmask_b32 v99, v99, v116 :: v_dual_cndmask_b32 v98, v98, v115
	v_cndmask_b32_e64 v104, v104, s6, vcc_lo
	s_add_i32 s6, s6, 1
	s_cmp_lg_u32 s5, s6
	s_cbranch_scc1 .LBB46_295
.LBB46_296:
	s_set_inst_prefetch_distance 0x2
	s_waitcnt lgkmcnt(0)
	v_cmp_eq_f64_e32 vcc_lo, 0, v[96:97]
	v_cmp_eq_f64_e64 s2, 0, v[98:99]
	s_delay_alu instid0(VALU_DEP_1) | instskip(NEXT) | instid1(SALU_CYCLE_1)
	s_and_b32 s2, vcc_lo, s2
	s_and_saveexec_b32 s3, s2
	s_delay_alu instid0(SALU_CYCLE_1)
	s_xor_b32 s2, exec_lo, s3
; %bb.297:
	v_cmp_ne_u32_e32 vcc_lo, 0, v86
	v_cndmask_b32_e32 v86, 15, v86, vcc_lo
; %bb.298:
	s_and_not1_saveexec_b32 s3, s2
	s_cbranch_execz .LBB46_304
; %bb.299:
	v_cmp_gt_f64_e32 vcc_lo, 0, v[96:97]
	v_cmp_gt_f64_e64 s2, 0, v[98:99]
	v_xor_b32_e32 v48, 0x80000000, v97
	v_xor_b32_e32 v50, 0x80000000, v99
	s_delay_alu instid0(VALU_DEP_2) | instskip(NEXT) | instid1(VALU_DEP_2)
	v_cndmask_b32_e32 v49, v97, v48, vcc_lo
	v_cndmask_b32_e64 v51, v99, v50, s2
	v_cndmask_b32_e32 v48, v96, v96, vcc_lo
	v_cndmask_b32_e64 v50, v98, v98, s2
	s_mov_b32 s2, exec_lo
	s_delay_alu instid0(VALU_DEP_1)
	v_cmpx_ngt_f64_e32 v[48:49], v[50:51]
	s_xor_b32 s2, exec_lo, s2
	s_cbranch_execz .LBB46_301
; %bb.300:
	v_div_scale_f64 v[48:49], null, v[98:99], v[98:99], v[96:97]
	v_div_scale_f64 v[54:55], vcc_lo, v[96:97], v[98:99], v[96:97]
	s_delay_alu instid0(VALU_DEP_2) | instskip(SKIP_2) | instid1(VALU_DEP_1)
	v_rcp_f64_e32 v[50:51], v[48:49]
	s_waitcnt_depctr 0xfff
	v_fma_f64 v[52:53], -v[48:49], v[50:51], 1.0
	v_fma_f64 v[50:51], v[50:51], v[52:53], v[50:51]
	s_delay_alu instid0(VALU_DEP_1) | instskip(NEXT) | instid1(VALU_DEP_1)
	v_fma_f64 v[52:53], -v[48:49], v[50:51], 1.0
	v_fma_f64 v[50:51], v[50:51], v[52:53], v[50:51]
	s_delay_alu instid0(VALU_DEP_1) | instskip(NEXT) | instid1(VALU_DEP_1)
	v_mul_f64 v[52:53], v[54:55], v[50:51]
	v_fma_f64 v[48:49], -v[48:49], v[52:53], v[54:55]
	s_delay_alu instid0(VALU_DEP_1) | instskip(NEXT) | instid1(VALU_DEP_1)
	v_div_fmas_f64 v[48:49], v[48:49], v[50:51], v[52:53]
	v_div_fixup_f64 v[48:49], v[48:49], v[98:99], v[96:97]
	s_delay_alu instid0(VALU_DEP_1) | instskip(NEXT) | instid1(VALU_DEP_1)
	v_fma_f64 v[50:51], v[96:97], v[48:49], v[98:99]
	v_div_scale_f64 v[52:53], null, v[50:51], v[50:51], 1.0
	s_delay_alu instid0(VALU_DEP_1) | instskip(SKIP_2) | instid1(VALU_DEP_1)
	v_rcp_f64_e32 v[54:55], v[52:53]
	s_waitcnt_depctr 0xfff
	v_fma_f64 v[96:97], -v[52:53], v[54:55], 1.0
	v_fma_f64 v[54:55], v[54:55], v[96:97], v[54:55]
	s_delay_alu instid0(VALU_DEP_1) | instskip(NEXT) | instid1(VALU_DEP_1)
	v_fma_f64 v[96:97], -v[52:53], v[54:55], 1.0
	v_fma_f64 v[54:55], v[54:55], v[96:97], v[54:55]
	v_div_scale_f64 v[96:97], vcc_lo, 1.0, v[50:51], 1.0
	s_delay_alu instid0(VALU_DEP_1) | instskip(NEXT) | instid1(VALU_DEP_1)
	v_mul_f64 v[98:99], v[96:97], v[54:55]
	v_fma_f64 v[52:53], -v[52:53], v[98:99], v[96:97]
	s_delay_alu instid0(VALU_DEP_1) | instskip(NEXT) | instid1(VALU_DEP_1)
	v_div_fmas_f64 v[52:53], v[52:53], v[54:55], v[98:99]
	v_div_fixup_f64 v[98:99], v[52:53], v[50:51], 1.0
	s_delay_alu instid0(VALU_DEP_1)
	v_mul_f64 v[96:97], v[48:49], v[98:99]
	v_xor_b32_e32 v99, 0x80000000, v99
.LBB46_301:
	s_and_not1_saveexec_b32 s2, s2
	s_cbranch_execz .LBB46_303
; %bb.302:
	s_delay_alu instid0(VALU_DEP_1) | instskip(SKIP_1) | instid1(VALU_DEP_2)
	v_div_scale_f64 v[48:49], null, v[96:97], v[96:97], v[98:99]
	v_div_scale_f64 v[54:55], vcc_lo, v[98:99], v[96:97], v[98:99]
	v_rcp_f64_e32 v[50:51], v[48:49]
	s_waitcnt_depctr 0xfff
	v_fma_f64 v[52:53], -v[48:49], v[50:51], 1.0
	s_delay_alu instid0(VALU_DEP_1) | instskip(NEXT) | instid1(VALU_DEP_1)
	v_fma_f64 v[50:51], v[50:51], v[52:53], v[50:51]
	v_fma_f64 v[52:53], -v[48:49], v[50:51], 1.0
	s_delay_alu instid0(VALU_DEP_1) | instskip(NEXT) | instid1(VALU_DEP_1)
	v_fma_f64 v[50:51], v[50:51], v[52:53], v[50:51]
	v_mul_f64 v[52:53], v[54:55], v[50:51]
	s_delay_alu instid0(VALU_DEP_1) | instskip(NEXT) | instid1(VALU_DEP_1)
	v_fma_f64 v[48:49], -v[48:49], v[52:53], v[54:55]
	v_div_fmas_f64 v[48:49], v[48:49], v[50:51], v[52:53]
	s_delay_alu instid0(VALU_DEP_1) | instskip(NEXT) | instid1(VALU_DEP_1)
	v_div_fixup_f64 v[48:49], v[48:49], v[96:97], v[98:99]
	v_fma_f64 v[50:51], v[98:99], v[48:49], v[96:97]
	s_delay_alu instid0(VALU_DEP_1) | instskip(NEXT) | instid1(VALU_DEP_1)
	v_div_scale_f64 v[52:53], null, v[50:51], v[50:51], 1.0
	v_rcp_f64_e32 v[54:55], v[52:53]
	s_waitcnt_depctr 0xfff
	v_fma_f64 v[96:97], -v[52:53], v[54:55], 1.0
	s_delay_alu instid0(VALU_DEP_1) | instskip(NEXT) | instid1(VALU_DEP_1)
	v_fma_f64 v[54:55], v[54:55], v[96:97], v[54:55]
	v_fma_f64 v[96:97], -v[52:53], v[54:55], 1.0
	s_delay_alu instid0(VALU_DEP_1) | instskip(SKIP_1) | instid1(VALU_DEP_1)
	v_fma_f64 v[54:55], v[54:55], v[96:97], v[54:55]
	v_div_scale_f64 v[96:97], vcc_lo, 1.0, v[50:51], 1.0
	v_mul_f64 v[98:99], v[96:97], v[54:55]
	s_delay_alu instid0(VALU_DEP_1) | instskip(NEXT) | instid1(VALU_DEP_1)
	v_fma_f64 v[52:53], -v[52:53], v[98:99], v[96:97]
	v_div_fmas_f64 v[52:53], v[52:53], v[54:55], v[98:99]
	s_delay_alu instid0(VALU_DEP_1) | instskip(NEXT) | instid1(VALU_DEP_1)
	v_div_fixup_f64 v[96:97], v[52:53], v[50:51], 1.0
	v_mul_f64 v[98:99], v[48:49], -v[96:97]
.LBB46_303:
	s_or_b32 exec_lo, exec_lo, s2
.LBB46_304:
	s_delay_alu instid0(SALU_CYCLE_1) | instskip(NEXT) | instid1(SALU_CYCLE_1)
	s_or_b32 exec_lo, exec_lo, s3
	s_mov_b32 s2, exec_lo
	v_cmpx_ne_u32_e64 v95, v104
	s_xor_b32 s2, exec_lo, s2
	s_cbranch_execz .LBB46_310
; %bb.305:
	s_mov_b32 s3, exec_lo
	v_cmpx_eq_u32_e32 14, v95
	s_cbranch_execz .LBB46_309
; %bb.306:
	v_cmp_ne_u32_e32 vcc_lo, 14, v104
	s_xor_b32 s6, s4, -1
	s_delay_alu instid0(SALU_CYCLE_1) | instskip(NEXT) | instid1(SALU_CYCLE_1)
	s_and_b32 s7, s6, vcc_lo
	s_and_saveexec_b32 s6, s7
	s_cbranch_execz .LBB46_308
; %bb.307:
	scratch_load_b64 v[52:53], off, off offset:16 ; 8-byte Folded Reload
	v_ashrrev_i32_e32 v105, 31, v104
	s_delay_alu instid0(VALU_DEP_1) | instskip(SKIP_1) | instid1(VALU_DEP_1)
	v_lshlrev_b64 v[48:49], 2, v[104:105]
	s_waitcnt vmcnt(0)
	v_add_co_u32 v48, vcc_lo, v52, v48
	s_delay_alu instid0(VALU_DEP_2)
	v_add_co_ci_u32_e32 v49, vcc_lo, v53, v49, vcc_lo
	s_clause 0x1
	flat_load_b32 v50, v[48:49]
	flat_load_b32 v51, v[52:53] offset:56
	s_waitcnt vmcnt(1) lgkmcnt(1)
	flat_store_b32 v[52:53], v50 offset:56
	s_waitcnt vmcnt(0) lgkmcnt(1)
	flat_store_b32 v[48:49], v51
.LBB46_308:
	s_or_b32 exec_lo, exec_lo, s6
	v_mov_b32_e32 v95, v104
	v_mov_b32_e32 v78, v104
.LBB46_309:
	s_or_b32 exec_lo, exec_lo, s3
.LBB46_310:
	s_and_not1_saveexec_b32 s2, s2
	s_cbranch_execz .LBB46_312
; %bb.311:
	v_mov_b32_e32 v95, 14
	ds_store_2addr_b64 v106, v[28:29], v[30:31] offset0:30 offset1:31
	ds_store_2addr_b64 v106, v[36:37], v[38:39] offset0:32 offset1:33
	;; [unrolled: 1-line block ×9, first 2 shown]
.LBB46_312:
	s_or_b32 exec_lo, exec_lo, s2
	s_delay_alu instid0(SALU_CYCLE_1)
	s_mov_b32 s2, exec_lo
	s_waitcnt lgkmcnt(0)
	s_waitcnt_vscnt null, 0x0
	s_barrier
	buffer_gl0_inv
	v_cmpx_lt_i32_e32 14, v95
	s_cbranch_execz .LBB46_314
; %bb.313:
	v_mul_f64 v[48:49], v[96:97], v[34:35]
	v_mul_f64 v[34:35], v[98:99], v[34:35]
	ds_load_2addr_b64 v[113:116], v106 offset0:30 offset1:31
	ds_load_2addr_b64 v[117:120], v106 offset0:32 offset1:33
	;; [unrolled: 1-line block ×9, first 2 shown]
	v_fma_f64 v[48:49], v[98:99], v[32:33], v[48:49]
	v_fma_f64 v[32:33], v[96:97], v[32:33], -v[34:35]
	s_waitcnt lgkmcnt(8)
	s_delay_alu instid0(VALU_DEP_2)
	v_mul_f64 v[34:35], v[115:116], v[48:49]
	v_mul_f64 v[50:51], v[113:114], v[48:49]
	s_waitcnt lgkmcnt(7)
	v_mul_f64 v[52:53], v[119:120], v[48:49]
	v_mul_f64 v[54:55], v[117:118], v[48:49]
	s_waitcnt lgkmcnt(6)
	;; [unrolled: 3-line block ×8, first 2 shown]
	v_mul_f64 v[163:164], v[147:148], v[48:49]
	v_mul_f64 v[165:166], v[145:146], v[48:49]
	v_fma_f64 v[34:35], v[113:114], v[32:33], -v[34:35]
	v_fma_f64 v[50:51], v[115:116], v[32:33], v[50:51]
	v_fma_f64 v[52:53], v[117:118], v[32:33], -v[52:53]
	v_fma_f64 v[54:55], v[119:120], v[32:33], v[54:55]
	;; [unrolled: 2-line block ×9, first 2 shown]
	v_add_f64 v[28:29], v[28:29], -v[34:35]
	v_add_f64 v[30:31], v[30:31], -v[50:51]
	;; [unrolled: 1-line block ×18, first 2 shown]
	v_dual_mov_b32 v34, v48 :: v_dual_mov_b32 v35, v49
.LBB46_314:
	s_or_b32 exec_lo, exec_lo, s2
	v_lshl_add_u32 v48, v95, 4, v106
	s_barrier
	buffer_gl0_inv
	v_mov_b32_e32 v104, 15
	ds_store_2addr_b64 v48, v[28:29], v[30:31] offset1:1
	s_waitcnt lgkmcnt(0)
	s_barrier
	buffer_gl0_inv
	ds_load_2addr_b64 v[96:99], v106 offset0:30 offset1:31
	s_cmp_lt_i32 s5, 17
	s_cbranch_scc1 .LBB46_317
; %bb.315:
	v_add3_u32 v105, v87, 0, 0x100
	v_mov_b32_e32 v104, 15
	s_mov_b32 s6, 16
	s_set_inst_prefetch_distance 0x1
	.p2align	6
.LBB46_316:                             ; =>This Inner Loop Header: Depth=1
	ds_load_2addr_b64 v[113:116], v105 offset1:1
	s_waitcnt lgkmcnt(1)
	v_cmp_gt_f64_e32 vcc_lo, 0, v[96:97]
	v_xor_b32_e32 v48, 0x80000000, v97
	v_cmp_gt_f64_e64 s2, 0, v[98:99]
	v_xor_b32_e32 v50, 0x80000000, v99
	v_add_nc_u32_e32 v105, 16, v105
	s_waitcnt lgkmcnt(0)
	v_cmp_gt_f64_e64 s3, 0, v[113:114]
	v_mov_b32_e32 v52, v113
	v_dual_mov_b32 v54, v115 :: v_dual_cndmask_b32 v49, v97, v48
	v_xor_b32_e32 v48, 0x80000000, v114
	v_cndmask_b32_e64 v51, v99, v50, s2
	v_xor_b32_e32 v50, 0x80000000, v116
	s_delay_alu instid0(VALU_DEP_3) | instskip(SKIP_2) | instid1(VALU_DEP_2)
	v_cndmask_b32_e64 v53, v114, v48, s3
	v_cmp_gt_f64_e64 s3, 0, v[115:116]
	v_cndmask_b32_e32 v48, v96, v96, vcc_lo
	v_cndmask_b32_e64 v55, v116, v50, s3
	v_cndmask_b32_e64 v50, v98, v98, s2
	s_delay_alu instid0(VALU_DEP_2) | instskip(NEXT) | instid1(VALU_DEP_2)
	v_add_f64 v[52:53], v[52:53], v[54:55]
	v_add_f64 v[48:49], v[48:49], v[50:51]
	s_delay_alu instid0(VALU_DEP_1) | instskip(SKIP_4) | instid1(SALU_CYCLE_1)
	v_cmp_lt_f64_e32 vcc_lo, v[48:49], v[52:53]
	v_dual_cndmask_b32 v97, v97, v114 :: v_dual_cndmask_b32 v96, v96, v113
	v_dual_cndmask_b32 v99, v99, v116 :: v_dual_cndmask_b32 v98, v98, v115
	v_cndmask_b32_e64 v104, v104, s6, vcc_lo
	s_add_i32 s6, s6, 1
	s_cmp_lg_u32 s5, s6
	s_cbranch_scc1 .LBB46_316
.LBB46_317:
	s_set_inst_prefetch_distance 0x2
	s_waitcnt lgkmcnt(0)
	v_cmp_eq_f64_e32 vcc_lo, 0, v[96:97]
	v_cmp_eq_f64_e64 s2, 0, v[98:99]
	s_delay_alu instid0(VALU_DEP_1) | instskip(NEXT) | instid1(SALU_CYCLE_1)
	s_and_b32 s2, vcc_lo, s2
	s_and_saveexec_b32 s3, s2
	s_delay_alu instid0(SALU_CYCLE_1)
	s_xor_b32 s2, exec_lo, s3
; %bb.318:
	v_cmp_ne_u32_e32 vcc_lo, 0, v86
	v_cndmask_b32_e32 v86, 16, v86, vcc_lo
; %bb.319:
	s_and_not1_saveexec_b32 s3, s2
	s_cbranch_execz .LBB46_325
; %bb.320:
	v_cmp_gt_f64_e32 vcc_lo, 0, v[96:97]
	v_cmp_gt_f64_e64 s2, 0, v[98:99]
	v_xor_b32_e32 v48, 0x80000000, v97
	v_xor_b32_e32 v50, 0x80000000, v99
	s_delay_alu instid0(VALU_DEP_2) | instskip(NEXT) | instid1(VALU_DEP_2)
	v_cndmask_b32_e32 v49, v97, v48, vcc_lo
	v_cndmask_b32_e64 v51, v99, v50, s2
	v_cndmask_b32_e32 v48, v96, v96, vcc_lo
	v_cndmask_b32_e64 v50, v98, v98, s2
	s_mov_b32 s2, exec_lo
	s_delay_alu instid0(VALU_DEP_1)
	v_cmpx_ngt_f64_e32 v[48:49], v[50:51]
	s_xor_b32 s2, exec_lo, s2
	s_cbranch_execz .LBB46_322
; %bb.321:
	v_div_scale_f64 v[48:49], null, v[98:99], v[98:99], v[96:97]
	v_div_scale_f64 v[54:55], vcc_lo, v[96:97], v[98:99], v[96:97]
	s_delay_alu instid0(VALU_DEP_2) | instskip(SKIP_2) | instid1(VALU_DEP_1)
	v_rcp_f64_e32 v[50:51], v[48:49]
	s_waitcnt_depctr 0xfff
	v_fma_f64 v[52:53], -v[48:49], v[50:51], 1.0
	v_fma_f64 v[50:51], v[50:51], v[52:53], v[50:51]
	s_delay_alu instid0(VALU_DEP_1) | instskip(NEXT) | instid1(VALU_DEP_1)
	v_fma_f64 v[52:53], -v[48:49], v[50:51], 1.0
	v_fma_f64 v[50:51], v[50:51], v[52:53], v[50:51]
	s_delay_alu instid0(VALU_DEP_1) | instskip(NEXT) | instid1(VALU_DEP_1)
	v_mul_f64 v[52:53], v[54:55], v[50:51]
	v_fma_f64 v[48:49], -v[48:49], v[52:53], v[54:55]
	s_delay_alu instid0(VALU_DEP_1) | instskip(NEXT) | instid1(VALU_DEP_1)
	v_div_fmas_f64 v[48:49], v[48:49], v[50:51], v[52:53]
	v_div_fixup_f64 v[48:49], v[48:49], v[98:99], v[96:97]
	s_delay_alu instid0(VALU_DEP_1) | instskip(NEXT) | instid1(VALU_DEP_1)
	v_fma_f64 v[50:51], v[96:97], v[48:49], v[98:99]
	v_div_scale_f64 v[52:53], null, v[50:51], v[50:51], 1.0
	s_delay_alu instid0(VALU_DEP_1) | instskip(SKIP_2) | instid1(VALU_DEP_1)
	v_rcp_f64_e32 v[54:55], v[52:53]
	s_waitcnt_depctr 0xfff
	v_fma_f64 v[96:97], -v[52:53], v[54:55], 1.0
	v_fma_f64 v[54:55], v[54:55], v[96:97], v[54:55]
	s_delay_alu instid0(VALU_DEP_1) | instskip(NEXT) | instid1(VALU_DEP_1)
	v_fma_f64 v[96:97], -v[52:53], v[54:55], 1.0
	v_fma_f64 v[54:55], v[54:55], v[96:97], v[54:55]
	v_div_scale_f64 v[96:97], vcc_lo, 1.0, v[50:51], 1.0
	s_delay_alu instid0(VALU_DEP_1) | instskip(NEXT) | instid1(VALU_DEP_1)
	v_mul_f64 v[98:99], v[96:97], v[54:55]
	v_fma_f64 v[52:53], -v[52:53], v[98:99], v[96:97]
	s_delay_alu instid0(VALU_DEP_1) | instskip(NEXT) | instid1(VALU_DEP_1)
	v_div_fmas_f64 v[52:53], v[52:53], v[54:55], v[98:99]
	v_div_fixup_f64 v[98:99], v[52:53], v[50:51], 1.0
	s_delay_alu instid0(VALU_DEP_1)
	v_mul_f64 v[96:97], v[48:49], v[98:99]
	v_xor_b32_e32 v99, 0x80000000, v99
.LBB46_322:
	s_and_not1_saveexec_b32 s2, s2
	s_cbranch_execz .LBB46_324
; %bb.323:
	s_delay_alu instid0(VALU_DEP_1) | instskip(SKIP_1) | instid1(VALU_DEP_2)
	v_div_scale_f64 v[48:49], null, v[96:97], v[96:97], v[98:99]
	v_div_scale_f64 v[54:55], vcc_lo, v[98:99], v[96:97], v[98:99]
	v_rcp_f64_e32 v[50:51], v[48:49]
	s_waitcnt_depctr 0xfff
	v_fma_f64 v[52:53], -v[48:49], v[50:51], 1.0
	s_delay_alu instid0(VALU_DEP_1) | instskip(NEXT) | instid1(VALU_DEP_1)
	v_fma_f64 v[50:51], v[50:51], v[52:53], v[50:51]
	v_fma_f64 v[52:53], -v[48:49], v[50:51], 1.0
	s_delay_alu instid0(VALU_DEP_1) | instskip(NEXT) | instid1(VALU_DEP_1)
	v_fma_f64 v[50:51], v[50:51], v[52:53], v[50:51]
	v_mul_f64 v[52:53], v[54:55], v[50:51]
	s_delay_alu instid0(VALU_DEP_1) | instskip(NEXT) | instid1(VALU_DEP_1)
	v_fma_f64 v[48:49], -v[48:49], v[52:53], v[54:55]
	v_div_fmas_f64 v[48:49], v[48:49], v[50:51], v[52:53]
	s_delay_alu instid0(VALU_DEP_1) | instskip(NEXT) | instid1(VALU_DEP_1)
	v_div_fixup_f64 v[48:49], v[48:49], v[96:97], v[98:99]
	v_fma_f64 v[50:51], v[98:99], v[48:49], v[96:97]
	s_delay_alu instid0(VALU_DEP_1) | instskip(NEXT) | instid1(VALU_DEP_1)
	v_div_scale_f64 v[52:53], null, v[50:51], v[50:51], 1.0
	v_rcp_f64_e32 v[54:55], v[52:53]
	s_waitcnt_depctr 0xfff
	v_fma_f64 v[96:97], -v[52:53], v[54:55], 1.0
	s_delay_alu instid0(VALU_DEP_1) | instskip(NEXT) | instid1(VALU_DEP_1)
	v_fma_f64 v[54:55], v[54:55], v[96:97], v[54:55]
	v_fma_f64 v[96:97], -v[52:53], v[54:55], 1.0
	s_delay_alu instid0(VALU_DEP_1) | instskip(SKIP_1) | instid1(VALU_DEP_1)
	v_fma_f64 v[54:55], v[54:55], v[96:97], v[54:55]
	v_div_scale_f64 v[96:97], vcc_lo, 1.0, v[50:51], 1.0
	v_mul_f64 v[98:99], v[96:97], v[54:55]
	s_delay_alu instid0(VALU_DEP_1) | instskip(NEXT) | instid1(VALU_DEP_1)
	v_fma_f64 v[52:53], -v[52:53], v[98:99], v[96:97]
	v_div_fmas_f64 v[52:53], v[52:53], v[54:55], v[98:99]
	s_delay_alu instid0(VALU_DEP_1) | instskip(NEXT) | instid1(VALU_DEP_1)
	v_div_fixup_f64 v[96:97], v[52:53], v[50:51], 1.0
	v_mul_f64 v[98:99], v[48:49], -v[96:97]
.LBB46_324:
	s_or_b32 exec_lo, exec_lo, s2
.LBB46_325:
	s_delay_alu instid0(SALU_CYCLE_1) | instskip(NEXT) | instid1(SALU_CYCLE_1)
	s_or_b32 exec_lo, exec_lo, s3
	s_mov_b32 s2, exec_lo
	v_cmpx_ne_u32_e64 v95, v104
	s_xor_b32 s2, exec_lo, s2
	s_cbranch_execz .LBB46_331
; %bb.326:
	s_mov_b32 s3, exec_lo
	v_cmpx_eq_u32_e32 15, v95
	s_cbranch_execz .LBB46_330
; %bb.327:
	v_cmp_ne_u32_e32 vcc_lo, 15, v104
	s_xor_b32 s6, s4, -1
	s_delay_alu instid0(SALU_CYCLE_1) | instskip(NEXT) | instid1(SALU_CYCLE_1)
	s_and_b32 s7, s6, vcc_lo
	s_and_saveexec_b32 s6, s7
	s_cbranch_execz .LBB46_329
; %bb.328:
	scratch_load_b64 v[52:53], off, off offset:16 ; 8-byte Folded Reload
	v_ashrrev_i32_e32 v105, 31, v104
	s_delay_alu instid0(VALU_DEP_1) | instskip(SKIP_1) | instid1(VALU_DEP_1)
	v_lshlrev_b64 v[48:49], 2, v[104:105]
	s_waitcnt vmcnt(0)
	v_add_co_u32 v48, vcc_lo, v52, v48
	s_delay_alu instid0(VALU_DEP_2)
	v_add_co_ci_u32_e32 v49, vcc_lo, v53, v49, vcc_lo
	s_clause 0x1
	flat_load_b32 v50, v[48:49]
	flat_load_b32 v51, v[52:53] offset:60
	s_waitcnt vmcnt(1) lgkmcnt(1)
	flat_store_b32 v[52:53], v50 offset:60
	s_waitcnt vmcnt(0) lgkmcnt(1)
	flat_store_b32 v[48:49], v51
.LBB46_329:
	s_or_b32 exec_lo, exec_lo, s6
	v_mov_b32_e32 v95, v104
	v_mov_b32_e32 v78, v104
.LBB46_330:
	s_or_b32 exec_lo, exec_lo, s3
.LBB46_331:
	s_and_not1_saveexec_b32 s2, s2
	s_cbranch_execz .LBB46_333
; %bb.332:
	v_mov_b32_e32 v95, 15
	ds_store_2addr_b64 v106, v[36:37], v[38:39] offset0:32 offset1:33
	ds_store_2addr_b64 v106, v[20:21], v[22:23] offset0:34 offset1:35
	;; [unrolled: 1-line block ×8, first 2 shown]
.LBB46_333:
	s_or_b32 exec_lo, exec_lo, s2
	s_delay_alu instid0(SALU_CYCLE_1)
	s_mov_b32 s2, exec_lo
	s_waitcnt lgkmcnt(0)
	s_waitcnt_vscnt null, 0x0
	s_barrier
	buffer_gl0_inv
	v_cmpx_lt_i32_e32 15, v95
	s_cbranch_execz .LBB46_335
; %bb.334:
	v_mul_f64 v[48:49], v[96:97], v[30:31]
	v_mul_f64 v[30:31], v[98:99], v[30:31]
	ds_load_2addr_b64 v[113:116], v106 offset0:32 offset1:33
	ds_load_2addr_b64 v[117:120], v106 offset0:34 offset1:35
	;; [unrolled: 1-line block ×8, first 2 shown]
	v_fma_f64 v[48:49], v[98:99], v[28:29], v[48:49]
	v_fma_f64 v[28:29], v[96:97], v[28:29], -v[30:31]
	s_waitcnt lgkmcnt(7)
	s_delay_alu instid0(VALU_DEP_2)
	v_mul_f64 v[30:31], v[115:116], v[48:49]
	v_mul_f64 v[50:51], v[113:114], v[48:49]
	s_waitcnt lgkmcnt(6)
	v_mul_f64 v[52:53], v[119:120], v[48:49]
	v_mul_f64 v[54:55], v[117:118], v[48:49]
	s_waitcnt lgkmcnt(5)
	;; [unrolled: 3-line block ×7, first 2 shown]
	v_mul_f64 v[155:156], v[143:144], v[48:49]
	v_mul_f64 v[157:158], v[141:142], v[48:49]
	v_fma_f64 v[30:31], v[113:114], v[28:29], -v[30:31]
	v_fma_f64 v[50:51], v[115:116], v[28:29], v[50:51]
	v_fma_f64 v[52:53], v[117:118], v[28:29], -v[52:53]
	v_fma_f64 v[54:55], v[119:120], v[28:29], v[54:55]
	;; [unrolled: 2-line block ×8, first 2 shown]
	v_add_f64 v[36:37], v[36:37], -v[30:31]
	v_add_f64 v[38:39], v[38:39], -v[50:51]
	;; [unrolled: 1-line block ×16, first 2 shown]
	v_dual_mov_b32 v30, v48 :: v_dual_mov_b32 v31, v49
.LBB46_335:
	s_or_b32 exec_lo, exec_lo, s2
	v_lshl_add_u32 v48, v95, 4, v106
	s_barrier
	buffer_gl0_inv
	v_mov_b32_e32 v104, 16
	ds_store_2addr_b64 v48, v[36:37], v[38:39] offset1:1
	s_waitcnt lgkmcnt(0)
	s_barrier
	buffer_gl0_inv
	ds_load_2addr_b64 v[96:99], v106 offset0:32 offset1:33
	s_cmp_lt_i32 s5, 18
	s_cbranch_scc1 .LBB46_338
; %bb.336:
	v_add3_u32 v105, v87, 0, 0x110
	v_mov_b32_e32 v104, 16
	s_mov_b32 s6, 17
	s_set_inst_prefetch_distance 0x1
	.p2align	6
.LBB46_337:                             ; =>This Inner Loop Header: Depth=1
	ds_load_2addr_b64 v[113:116], v105 offset1:1
	s_waitcnt lgkmcnt(1)
	v_cmp_gt_f64_e32 vcc_lo, 0, v[96:97]
	v_xor_b32_e32 v48, 0x80000000, v97
	v_cmp_gt_f64_e64 s2, 0, v[98:99]
	v_xor_b32_e32 v50, 0x80000000, v99
	v_add_nc_u32_e32 v105, 16, v105
	s_waitcnt lgkmcnt(0)
	v_cmp_gt_f64_e64 s3, 0, v[113:114]
	v_mov_b32_e32 v52, v113
	v_dual_mov_b32 v54, v115 :: v_dual_cndmask_b32 v49, v97, v48
	v_xor_b32_e32 v48, 0x80000000, v114
	v_cndmask_b32_e64 v51, v99, v50, s2
	v_xor_b32_e32 v50, 0x80000000, v116
	s_delay_alu instid0(VALU_DEP_3) | instskip(SKIP_2) | instid1(VALU_DEP_2)
	v_cndmask_b32_e64 v53, v114, v48, s3
	v_cmp_gt_f64_e64 s3, 0, v[115:116]
	v_cndmask_b32_e32 v48, v96, v96, vcc_lo
	v_cndmask_b32_e64 v55, v116, v50, s3
	v_cndmask_b32_e64 v50, v98, v98, s2
	s_delay_alu instid0(VALU_DEP_2) | instskip(NEXT) | instid1(VALU_DEP_2)
	v_add_f64 v[52:53], v[52:53], v[54:55]
	v_add_f64 v[48:49], v[48:49], v[50:51]
	s_delay_alu instid0(VALU_DEP_1) | instskip(SKIP_4) | instid1(SALU_CYCLE_1)
	v_cmp_lt_f64_e32 vcc_lo, v[48:49], v[52:53]
	v_dual_cndmask_b32 v97, v97, v114 :: v_dual_cndmask_b32 v96, v96, v113
	v_dual_cndmask_b32 v99, v99, v116 :: v_dual_cndmask_b32 v98, v98, v115
	v_cndmask_b32_e64 v104, v104, s6, vcc_lo
	s_add_i32 s6, s6, 1
	s_cmp_lg_u32 s5, s6
	s_cbranch_scc1 .LBB46_337
.LBB46_338:
	s_set_inst_prefetch_distance 0x2
	s_waitcnt lgkmcnt(0)
	v_cmp_eq_f64_e32 vcc_lo, 0, v[96:97]
	v_cmp_eq_f64_e64 s2, 0, v[98:99]
	s_delay_alu instid0(VALU_DEP_1) | instskip(NEXT) | instid1(SALU_CYCLE_1)
	s_and_b32 s2, vcc_lo, s2
	s_and_saveexec_b32 s3, s2
	s_delay_alu instid0(SALU_CYCLE_1)
	s_xor_b32 s2, exec_lo, s3
; %bb.339:
	v_cmp_ne_u32_e32 vcc_lo, 0, v86
	v_cndmask_b32_e32 v86, 17, v86, vcc_lo
; %bb.340:
	s_and_not1_saveexec_b32 s3, s2
	s_cbranch_execz .LBB46_346
; %bb.341:
	v_cmp_gt_f64_e32 vcc_lo, 0, v[96:97]
	v_cmp_gt_f64_e64 s2, 0, v[98:99]
	v_xor_b32_e32 v48, 0x80000000, v97
	v_xor_b32_e32 v50, 0x80000000, v99
	s_delay_alu instid0(VALU_DEP_2) | instskip(NEXT) | instid1(VALU_DEP_2)
	v_cndmask_b32_e32 v49, v97, v48, vcc_lo
	v_cndmask_b32_e64 v51, v99, v50, s2
	v_cndmask_b32_e32 v48, v96, v96, vcc_lo
	v_cndmask_b32_e64 v50, v98, v98, s2
	s_mov_b32 s2, exec_lo
	s_delay_alu instid0(VALU_DEP_1)
	v_cmpx_ngt_f64_e32 v[48:49], v[50:51]
	s_xor_b32 s2, exec_lo, s2
	s_cbranch_execz .LBB46_343
; %bb.342:
	v_div_scale_f64 v[48:49], null, v[98:99], v[98:99], v[96:97]
	v_div_scale_f64 v[54:55], vcc_lo, v[96:97], v[98:99], v[96:97]
	s_delay_alu instid0(VALU_DEP_2) | instskip(SKIP_2) | instid1(VALU_DEP_1)
	v_rcp_f64_e32 v[50:51], v[48:49]
	s_waitcnt_depctr 0xfff
	v_fma_f64 v[52:53], -v[48:49], v[50:51], 1.0
	v_fma_f64 v[50:51], v[50:51], v[52:53], v[50:51]
	s_delay_alu instid0(VALU_DEP_1) | instskip(NEXT) | instid1(VALU_DEP_1)
	v_fma_f64 v[52:53], -v[48:49], v[50:51], 1.0
	v_fma_f64 v[50:51], v[50:51], v[52:53], v[50:51]
	s_delay_alu instid0(VALU_DEP_1) | instskip(NEXT) | instid1(VALU_DEP_1)
	v_mul_f64 v[52:53], v[54:55], v[50:51]
	v_fma_f64 v[48:49], -v[48:49], v[52:53], v[54:55]
	s_delay_alu instid0(VALU_DEP_1) | instskip(NEXT) | instid1(VALU_DEP_1)
	v_div_fmas_f64 v[48:49], v[48:49], v[50:51], v[52:53]
	v_div_fixup_f64 v[48:49], v[48:49], v[98:99], v[96:97]
	s_delay_alu instid0(VALU_DEP_1) | instskip(NEXT) | instid1(VALU_DEP_1)
	v_fma_f64 v[50:51], v[96:97], v[48:49], v[98:99]
	v_div_scale_f64 v[52:53], null, v[50:51], v[50:51], 1.0
	s_delay_alu instid0(VALU_DEP_1) | instskip(SKIP_2) | instid1(VALU_DEP_1)
	v_rcp_f64_e32 v[54:55], v[52:53]
	s_waitcnt_depctr 0xfff
	v_fma_f64 v[96:97], -v[52:53], v[54:55], 1.0
	v_fma_f64 v[54:55], v[54:55], v[96:97], v[54:55]
	s_delay_alu instid0(VALU_DEP_1) | instskip(NEXT) | instid1(VALU_DEP_1)
	v_fma_f64 v[96:97], -v[52:53], v[54:55], 1.0
	v_fma_f64 v[54:55], v[54:55], v[96:97], v[54:55]
	v_div_scale_f64 v[96:97], vcc_lo, 1.0, v[50:51], 1.0
	s_delay_alu instid0(VALU_DEP_1) | instskip(NEXT) | instid1(VALU_DEP_1)
	v_mul_f64 v[98:99], v[96:97], v[54:55]
	v_fma_f64 v[52:53], -v[52:53], v[98:99], v[96:97]
	s_delay_alu instid0(VALU_DEP_1) | instskip(NEXT) | instid1(VALU_DEP_1)
	v_div_fmas_f64 v[52:53], v[52:53], v[54:55], v[98:99]
	v_div_fixup_f64 v[98:99], v[52:53], v[50:51], 1.0
	s_delay_alu instid0(VALU_DEP_1)
	v_mul_f64 v[96:97], v[48:49], v[98:99]
	v_xor_b32_e32 v99, 0x80000000, v99
.LBB46_343:
	s_and_not1_saveexec_b32 s2, s2
	s_cbranch_execz .LBB46_345
; %bb.344:
	s_delay_alu instid0(VALU_DEP_1) | instskip(SKIP_1) | instid1(VALU_DEP_2)
	v_div_scale_f64 v[48:49], null, v[96:97], v[96:97], v[98:99]
	v_div_scale_f64 v[54:55], vcc_lo, v[98:99], v[96:97], v[98:99]
	v_rcp_f64_e32 v[50:51], v[48:49]
	s_waitcnt_depctr 0xfff
	v_fma_f64 v[52:53], -v[48:49], v[50:51], 1.0
	s_delay_alu instid0(VALU_DEP_1) | instskip(NEXT) | instid1(VALU_DEP_1)
	v_fma_f64 v[50:51], v[50:51], v[52:53], v[50:51]
	v_fma_f64 v[52:53], -v[48:49], v[50:51], 1.0
	s_delay_alu instid0(VALU_DEP_1) | instskip(NEXT) | instid1(VALU_DEP_1)
	v_fma_f64 v[50:51], v[50:51], v[52:53], v[50:51]
	v_mul_f64 v[52:53], v[54:55], v[50:51]
	s_delay_alu instid0(VALU_DEP_1) | instskip(NEXT) | instid1(VALU_DEP_1)
	v_fma_f64 v[48:49], -v[48:49], v[52:53], v[54:55]
	v_div_fmas_f64 v[48:49], v[48:49], v[50:51], v[52:53]
	s_delay_alu instid0(VALU_DEP_1) | instskip(NEXT) | instid1(VALU_DEP_1)
	v_div_fixup_f64 v[48:49], v[48:49], v[96:97], v[98:99]
	v_fma_f64 v[50:51], v[98:99], v[48:49], v[96:97]
	s_delay_alu instid0(VALU_DEP_1) | instskip(NEXT) | instid1(VALU_DEP_1)
	v_div_scale_f64 v[52:53], null, v[50:51], v[50:51], 1.0
	v_rcp_f64_e32 v[54:55], v[52:53]
	s_waitcnt_depctr 0xfff
	v_fma_f64 v[96:97], -v[52:53], v[54:55], 1.0
	s_delay_alu instid0(VALU_DEP_1) | instskip(NEXT) | instid1(VALU_DEP_1)
	v_fma_f64 v[54:55], v[54:55], v[96:97], v[54:55]
	v_fma_f64 v[96:97], -v[52:53], v[54:55], 1.0
	s_delay_alu instid0(VALU_DEP_1) | instskip(SKIP_1) | instid1(VALU_DEP_1)
	v_fma_f64 v[54:55], v[54:55], v[96:97], v[54:55]
	v_div_scale_f64 v[96:97], vcc_lo, 1.0, v[50:51], 1.0
	v_mul_f64 v[98:99], v[96:97], v[54:55]
	s_delay_alu instid0(VALU_DEP_1) | instskip(NEXT) | instid1(VALU_DEP_1)
	v_fma_f64 v[52:53], -v[52:53], v[98:99], v[96:97]
	v_div_fmas_f64 v[52:53], v[52:53], v[54:55], v[98:99]
	s_delay_alu instid0(VALU_DEP_1) | instskip(NEXT) | instid1(VALU_DEP_1)
	v_div_fixup_f64 v[96:97], v[52:53], v[50:51], 1.0
	v_mul_f64 v[98:99], v[48:49], -v[96:97]
.LBB46_345:
	s_or_b32 exec_lo, exec_lo, s2
.LBB46_346:
	s_delay_alu instid0(SALU_CYCLE_1) | instskip(NEXT) | instid1(SALU_CYCLE_1)
	s_or_b32 exec_lo, exec_lo, s3
	s_mov_b32 s2, exec_lo
	v_cmpx_ne_u32_e64 v95, v104
	s_xor_b32 s2, exec_lo, s2
	s_cbranch_execz .LBB46_352
; %bb.347:
	s_mov_b32 s3, exec_lo
	v_cmpx_eq_u32_e32 16, v95
	s_cbranch_execz .LBB46_351
; %bb.348:
	v_cmp_ne_u32_e32 vcc_lo, 16, v104
	s_xor_b32 s6, s4, -1
	s_delay_alu instid0(SALU_CYCLE_1) | instskip(NEXT) | instid1(SALU_CYCLE_1)
	s_and_b32 s7, s6, vcc_lo
	s_and_saveexec_b32 s6, s7
	s_cbranch_execz .LBB46_350
; %bb.349:
	scratch_load_b64 v[52:53], off, off offset:16 ; 8-byte Folded Reload
	v_ashrrev_i32_e32 v105, 31, v104
	s_delay_alu instid0(VALU_DEP_1) | instskip(SKIP_1) | instid1(VALU_DEP_1)
	v_lshlrev_b64 v[48:49], 2, v[104:105]
	s_waitcnt vmcnt(0)
	v_add_co_u32 v48, vcc_lo, v52, v48
	s_delay_alu instid0(VALU_DEP_2)
	v_add_co_ci_u32_e32 v49, vcc_lo, v53, v49, vcc_lo
	s_clause 0x1
	flat_load_b32 v50, v[48:49]
	flat_load_b32 v51, v[52:53] offset:64
	s_waitcnt vmcnt(1) lgkmcnt(1)
	flat_store_b32 v[52:53], v50 offset:64
	s_waitcnt vmcnt(0) lgkmcnt(1)
	flat_store_b32 v[48:49], v51
.LBB46_350:
	s_or_b32 exec_lo, exec_lo, s6
	v_mov_b32_e32 v95, v104
	v_mov_b32_e32 v78, v104
.LBB46_351:
	s_or_b32 exec_lo, exec_lo, s3
.LBB46_352:
	s_and_not1_saveexec_b32 s2, s2
	s_cbranch_execz .LBB46_354
; %bb.353:
	v_mov_b32_e32 v95, 16
	ds_store_2addr_b64 v106, v[20:21], v[22:23] offset0:34 offset1:35
	ds_store_2addr_b64 v106, v[24:25], v[26:27] offset0:36 offset1:37
	;; [unrolled: 1-line block ×7, first 2 shown]
.LBB46_354:
	s_or_b32 exec_lo, exec_lo, s2
	s_delay_alu instid0(SALU_CYCLE_1)
	s_mov_b32 s2, exec_lo
	s_waitcnt lgkmcnt(0)
	s_waitcnt_vscnt null, 0x0
	s_barrier
	buffer_gl0_inv
	v_cmpx_lt_i32_e32 16, v95
	s_cbranch_execz .LBB46_356
; %bb.355:
	v_mul_f64 v[48:49], v[96:97], v[38:39]
	v_mul_f64 v[38:39], v[98:99], v[38:39]
	ds_load_2addr_b64 v[113:116], v106 offset0:34 offset1:35
	ds_load_2addr_b64 v[117:120], v106 offset0:36 offset1:37
	;; [unrolled: 1-line block ×7, first 2 shown]
	v_fma_f64 v[48:49], v[98:99], v[36:37], v[48:49]
	v_fma_f64 v[36:37], v[96:97], v[36:37], -v[38:39]
	s_waitcnt lgkmcnt(6)
	s_delay_alu instid0(VALU_DEP_2)
	v_mul_f64 v[38:39], v[115:116], v[48:49]
	v_mul_f64 v[50:51], v[113:114], v[48:49]
	s_waitcnt lgkmcnt(5)
	v_mul_f64 v[52:53], v[119:120], v[48:49]
	v_mul_f64 v[54:55], v[117:118], v[48:49]
	s_waitcnt lgkmcnt(4)
	;; [unrolled: 3-line block ×6, first 2 shown]
	v_mul_f64 v[147:148], v[139:140], v[48:49]
	v_mul_f64 v[149:150], v[137:138], v[48:49]
	v_fma_f64 v[38:39], v[113:114], v[36:37], -v[38:39]
	v_fma_f64 v[50:51], v[115:116], v[36:37], v[50:51]
	v_fma_f64 v[52:53], v[117:118], v[36:37], -v[52:53]
	v_fma_f64 v[54:55], v[119:120], v[36:37], v[54:55]
	;; [unrolled: 2-line block ×7, first 2 shown]
	v_add_f64 v[20:21], v[20:21], -v[38:39]
	v_add_f64 v[22:23], v[22:23], -v[50:51]
	;; [unrolled: 1-line block ×14, first 2 shown]
	v_dual_mov_b32 v38, v48 :: v_dual_mov_b32 v39, v49
.LBB46_356:
	s_or_b32 exec_lo, exec_lo, s2
	v_lshl_add_u32 v48, v95, 4, v106
	s_barrier
	buffer_gl0_inv
	v_mov_b32_e32 v104, 17
	ds_store_2addr_b64 v48, v[20:21], v[22:23] offset1:1
	s_waitcnt lgkmcnt(0)
	s_barrier
	buffer_gl0_inv
	ds_load_2addr_b64 v[96:99], v106 offset0:34 offset1:35
	s_cmp_lt_i32 s5, 19
	s_cbranch_scc1 .LBB46_359
; %bb.357:
	v_add3_u32 v105, v87, 0, 0x120
	v_mov_b32_e32 v104, 17
	s_mov_b32 s6, 18
	s_set_inst_prefetch_distance 0x1
	.p2align	6
.LBB46_358:                             ; =>This Inner Loop Header: Depth=1
	ds_load_2addr_b64 v[113:116], v105 offset1:1
	s_waitcnt lgkmcnt(1)
	v_cmp_gt_f64_e32 vcc_lo, 0, v[96:97]
	v_xor_b32_e32 v48, 0x80000000, v97
	v_cmp_gt_f64_e64 s2, 0, v[98:99]
	v_xor_b32_e32 v50, 0x80000000, v99
	v_add_nc_u32_e32 v105, 16, v105
	s_waitcnt lgkmcnt(0)
	v_cmp_gt_f64_e64 s3, 0, v[113:114]
	v_mov_b32_e32 v52, v113
	v_dual_mov_b32 v54, v115 :: v_dual_cndmask_b32 v49, v97, v48
	v_xor_b32_e32 v48, 0x80000000, v114
	v_cndmask_b32_e64 v51, v99, v50, s2
	v_xor_b32_e32 v50, 0x80000000, v116
	s_delay_alu instid0(VALU_DEP_3) | instskip(SKIP_2) | instid1(VALU_DEP_2)
	v_cndmask_b32_e64 v53, v114, v48, s3
	v_cmp_gt_f64_e64 s3, 0, v[115:116]
	v_cndmask_b32_e32 v48, v96, v96, vcc_lo
	v_cndmask_b32_e64 v55, v116, v50, s3
	v_cndmask_b32_e64 v50, v98, v98, s2
	s_delay_alu instid0(VALU_DEP_2) | instskip(NEXT) | instid1(VALU_DEP_2)
	v_add_f64 v[52:53], v[52:53], v[54:55]
	v_add_f64 v[48:49], v[48:49], v[50:51]
	s_delay_alu instid0(VALU_DEP_1) | instskip(SKIP_4) | instid1(SALU_CYCLE_1)
	v_cmp_lt_f64_e32 vcc_lo, v[48:49], v[52:53]
	v_dual_cndmask_b32 v97, v97, v114 :: v_dual_cndmask_b32 v96, v96, v113
	v_dual_cndmask_b32 v99, v99, v116 :: v_dual_cndmask_b32 v98, v98, v115
	v_cndmask_b32_e64 v104, v104, s6, vcc_lo
	s_add_i32 s6, s6, 1
	s_cmp_lg_u32 s5, s6
	s_cbranch_scc1 .LBB46_358
.LBB46_359:
	s_set_inst_prefetch_distance 0x2
	s_waitcnt lgkmcnt(0)
	v_cmp_eq_f64_e32 vcc_lo, 0, v[96:97]
	v_cmp_eq_f64_e64 s2, 0, v[98:99]
	s_delay_alu instid0(VALU_DEP_1) | instskip(NEXT) | instid1(SALU_CYCLE_1)
	s_and_b32 s2, vcc_lo, s2
	s_and_saveexec_b32 s3, s2
	s_delay_alu instid0(SALU_CYCLE_1)
	s_xor_b32 s2, exec_lo, s3
; %bb.360:
	v_cmp_ne_u32_e32 vcc_lo, 0, v86
	v_cndmask_b32_e32 v86, 18, v86, vcc_lo
; %bb.361:
	s_and_not1_saveexec_b32 s3, s2
	s_cbranch_execz .LBB46_367
; %bb.362:
	v_cmp_gt_f64_e32 vcc_lo, 0, v[96:97]
	v_cmp_gt_f64_e64 s2, 0, v[98:99]
	v_xor_b32_e32 v48, 0x80000000, v97
	v_xor_b32_e32 v50, 0x80000000, v99
	s_delay_alu instid0(VALU_DEP_2) | instskip(NEXT) | instid1(VALU_DEP_2)
	v_cndmask_b32_e32 v49, v97, v48, vcc_lo
	v_cndmask_b32_e64 v51, v99, v50, s2
	v_cndmask_b32_e32 v48, v96, v96, vcc_lo
	v_cndmask_b32_e64 v50, v98, v98, s2
	s_mov_b32 s2, exec_lo
	s_delay_alu instid0(VALU_DEP_1)
	v_cmpx_ngt_f64_e32 v[48:49], v[50:51]
	s_xor_b32 s2, exec_lo, s2
	s_cbranch_execz .LBB46_364
; %bb.363:
	v_div_scale_f64 v[48:49], null, v[98:99], v[98:99], v[96:97]
	v_div_scale_f64 v[54:55], vcc_lo, v[96:97], v[98:99], v[96:97]
	s_delay_alu instid0(VALU_DEP_2) | instskip(SKIP_2) | instid1(VALU_DEP_1)
	v_rcp_f64_e32 v[50:51], v[48:49]
	s_waitcnt_depctr 0xfff
	v_fma_f64 v[52:53], -v[48:49], v[50:51], 1.0
	v_fma_f64 v[50:51], v[50:51], v[52:53], v[50:51]
	s_delay_alu instid0(VALU_DEP_1) | instskip(NEXT) | instid1(VALU_DEP_1)
	v_fma_f64 v[52:53], -v[48:49], v[50:51], 1.0
	v_fma_f64 v[50:51], v[50:51], v[52:53], v[50:51]
	s_delay_alu instid0(VALU_DEP_1) | instskip(NEXT) | instid1(VALU_DEP_1)
	v_mul_f64 v[52:53], v[54:55], v[50:51]
	v_fma_f64 v[48:49], -v[48:49], v[52:53], v[54:55]
	s_delay_alu instid0(VALU_DEP_1) | instskip(NEXT) | instid1(VALU_DEP_1)
	v_div_fmas_f64 v[48:49], v[48:49], v[50:51], v[52:53]
	v_div_fixup_f64 v[48:49], v[48:49], v[98:99], v[96:97]
	s_delay_alu instid0(VALU_DEP_1) | instskip(NEXT) | instid1(VALU_DEP_1)
	v_fma_f64 v[50:51], v[96:97], v[48:49], v[98:99]
	v_div_scale_f64 v[52:53], null, v[50:51], v[50:51], 1.0
	s_delay_alu instid0(VALU_DEP_1) | instskip(SKIP_2) | instid1(VALU_DEP_1)
	v_rcp_f64_e32 v[54:55], v[52:53]
	s_waitcnt_depctr 0xfff
	v_fma_f64 v[96:97], -v[52:53], v[54:55], 1.0
	v_fma_f64 v[54:55], v[54:55], v[96:97], v[54:55]
	s_delay_alu instid0(VALU_DEP_1) | instskip(NEXT) | instid1(VALU_DEP_1)
	v_fma_f64 v[96:97], -v[52:53], v[54:55], 1.0
	v_fma_f64 v[54:55], v[54:55], v[96:97], v[54:55]
	v_div_scale_f64 v[96:97], vcc_lo, 1.0, v[50:51], 1.0
	s_delay_alu instid0(VALU_DEP_1) | instskip(NEXT) | instid1(VALU_DEP_1)
	v_mul_f64 v[98:99], v[96:97], v[54:55]
	v_fma_f64 v[52:53], -v[52:53], v[98:99], v[96:97]
	s_delay_alu instid0(VALU_DEP_1) | instskip(NEXT) | instid1(VALU_DEP_1)
	v_div_fmas_f64 v[52:53], v[52:53], v[54:55], v[98:99]
	v_div_fixup_f64 v[98:99], v[52:53], v[50:51], 1.0
	s_delay_alu instid0(VALU_DEP_1)
	v_mul_f64 v[96:97], v[48:49], v[98:99]
	v_xor_b32_e32 v99, 0x80000000, v99
.LBB46_364:
	s_and_not1_saveexec_b32 s2, s2
	s_cbranch_execz .LBB46_366
; %bb.365:
	s_delay_alu instid0(VALU_DEP_1) | instskip(SKIP_1) | instid1(VALU_DEP_2)
	v_div_scale_f64 v[48:49], null, v[96:97], v[96:97], v[98:99]
	v_div_scale_f64 v[54:55], vcc_lo, v[98:99], v[96:97], v[98:99]
	v_rcp_f64_e32 v[50:51], v[48:49]
	s_waitcnt_depctr 0xfff
	v_fma_f64 v[52:53], -v[48:49], v[50:51], 1.0
	s_delay_alu instid0(VALU_DEP_1) | instskip(NEXT) | instid1(VALU_DEP_1)
	v_fma_f64 v[50:51], v[50:51], v[52:53], v[50:51]
	v_fma_f64 v[52:53], -v[48:49], v[50:51], 1.0
	s_delay_alu instid0(VALU_DEP_1) | instskip(NEXT) | instid1(VALU_DEP_1)
	v_fma_f64 v[50:51], v[50:51], v[52:53], v[50:51]
	v_mul_f64 v[52:53], v[54:55], v[50:51]
	s_delay_alu instid0(VALU_DEP_1) | instskip(NEXT) | instid1(VALU_DEP_1)
	v_fma_f64 v[48:49], -v[48:49], v[52:53], v[54:55]
	v_div_fmas_f64 v[48:49], v[48:49], v[50:51], v[52:53]
	s_delay_alu instid0(VALU_DEP_1) | instskip(NEXT) | instid1(VALU_DEP_1)
	v_div_fixup_f64 v[48:49], v[48:49], v[96:97], v[98:99]
	v_fma_f64 v[50:51], v[98:99], v[48:49], v[96:97]
	s_delay_alu instid0(VALU_DEP_1) | instskip(NEXT) | instid1(VALU_DEP_1)
	v_div_scale_f64 v[52:53], null, v[50:51], v[50:51], 1.0
	v_rcp_f64_e32 v[54:55], v[52:53]
	s_waitcnt_depctr 0xfff
	v_fma_f64 v[96:97], -v[52:53], v[54:55], 1.0
	s_delay_alu instid0(VALU_DEP_1) | instskip(NEXT) | instid1(VALU_DEP_1)
	v_fma_f64 v[54:55], v[54:55], v[96:97], v[54:55]
	v_fma_f64 v[96:97], -v[52:53], v[54:55], 1.0
	s_delay_alu instid0(VALU_DEP_1) | instskip(SKIP_1) | instid1(VALU_DEP_1)
	v_fma_f64 v[54:55], v[54:55], v[96:97], v[54:55]
	v_div_scale_f64 v[96:97], vcc_lo, 1.0, v[50:51], 1.0
	v_mul_f64 v[98:99], v[96:97], v[54:55]
	s_delay_alu instid0(VALU_DEP_1) | instskip(NEXT) | instid1(VALU_DEP_1)
	v_fma_f64 v[52:53], -v[52:53], v[98:99], v[96:97]
	v_div_fmas_f64 v[52:53], v[52:53], v[54:55], v[98:99]
	s_delay_alu instid0(VALU_DEP_1) | instskip(NEXT) | instid1(VALU_DEP_1)
	v_div_fixup_f64 v[96:97], v[52:53], v[50:51], 1.0
	v_mul_f64 v[98:99], v[48:49], -v[96:97]
.LBB46_366:
	s_or_b32 exec_lo, exec_lo, s2
.LBB46_367:
	s_delay_alu instid0(SALU_CYCLE_1) | instskip(NEXT) | instid1(SALU_CYCLE_1)
	s_or_b32 exec_lo, exec_lo, s3
	s_mov_b32 s2, exec_lo
	v_cmpx_ne_u32_e64 v95, v104
	s_xor_b32 s2, exec_lo, s2
	s_cbranch_execz .LBB46_373
; %bb.368:
	s_mov_b32 s3, exec_lo
	v_cmpx_eq_u32_e32 17, v95
	s_cbranch_execz .LBB46_372
; %bb.369:
	v_cmp_ne_u32_e32 vcc_lo, 17, v104
	s_xor_b32 s6, s4, -1
	s_delay_alu instid0(SALU_CYCLE_1) | instskip(NEXT) | instid1(SALU_CYCLE_1)
	s_and_b32 s7, s6, vcc_lo
	s_and_saveexec_b32 s6, s7
	s_cbranch_execz .LBB46_371
; %bb.370:
	scratch_load_b64 v[52:53], off, off offset:16 ; 8-byte Folded Reload
	v_ashrrev_i32_e32 v105, 31, v104
	s_delay_alu instid0(VALU_DEP_1) | instskip(SKIP_1) | instid1(VALU_DEP_1)
	v_lshlrev_b64 v[48:49], 2, v[104:105]
	s_waitcnt vmcnt(0)
	v_add_co_u32 v48, vcc_lo, v52, v48
	s_delay_alu instid0(VALU_DEP_2)
	v_add_co_ci_u32_e32 v49, vcc_lo, v53, v49, vcc_lo
	s_clause 0x1
	flat_load_b32 v50, v[48:49]
	flat_load_b32 v51, v[52:53] offset:68
	s_waitcnt vmcnt(1) lgkmcnt(1)
	flat_store_b32 v[52:53], v50 offset:68
	s_waitcnt vmcnt(0) lgkmcnt(1)
	flat_store_b32 v[48:49], v51
.LBB46_371:
	s_or_b32 exec_lo, exec_lo, s6
	v_mov_b32_e32 v95, v104
	v_mov_b32_e32 v78, v104
.LBB46_372:
	s_or_b32 exec_lo, exec_lo, s3
.LBB46_373:
	s_and_not1_saveexec_b32 s2, s2
	s_cbranch_execz .LBB46_375
; %bb.374:
	v_mov_b32_e32 v95, 17
	ds_store_2addr_b64 v106, v[24:25], v[26:27] offset0:36 offset1:37
	ds_store_2addr_b64 v106, v[16:17], v[18:19] offset0:38 offset1:39
	;; [unrolled: 1-line block ×6, first 2 shown]
.LBB46_375:
	s_or_b32 exec_lo, exec_lo, s2
	s_delay_alu instid0(SALU_CYCLE_1)
	s_mov_b32 s2, exec_lo
	s_waitcnt lgkmcnt(0)
	s_waitcnt_vscnt null, 0x0
	s_barrier
	buffer_gl0_inv
	v_cmpx_lt_i32_e32 17, v95
	s_cbranch_execz .LBB46_377
; %bb.376:
	v_mul_f64 v[48:49], v[96:97], v[22:23]
	v_mul_f64 v[22:23], v[98:99], v[22:23]
	ds_load_2addr_b64 v[113:116], v106 offset0:36 offset1:37
	ds_load_2addr_b64 v[117:120], v106 offset0:38 offset1:39
	;; [unrolled: 1-line block ×6, first 2 shown]
	v_fma_f64 v[48:49], v[98:99], v[20:21], v[48:49]
	v_fma_f64 v[20:21], v[96:97], v[20:21], -v[22:23]
	s_waitcnt lgkmcnt(5)
	s_delay_alu instid0(VALU_DEP_2)
	v_mul_f64 v[22:23], v[115:116], v[48:49]
	v_mul_f64 v[50:51], v[113:114], v[48:49]
	s_waitcnt lgkmcnt(4)
	v_mul_f64 v[52:53], v[119:120], v[48:49]
	v_mul_f64 v[54:55], v[117:118], v[48:49]
	s_waitcnt lgkmcnt(3)
	;; [unrolled: 3-line block ×5, first 2 shown]
	v_mul_f64 v[139:140], v[135:136], v[48:49]
	v_mul_f64 v[141:142], v[133:134], v[48:49]
	v_fma_f64 v[22:23], v[113:114], v[20:21], -v[22:23]
	v_fma_f64 v[50:51], v[115:116], v[20:21], v[50:51]
	v_fma_f64 v[52:53], v[117:118], v[20:21], -v[52:53]
	v_fma_f64 v[54:55], v[119:120], v[20:21], v[54:55]
	;; [unrolled: 2-line block ×6, first 2 shown]
	v_add_f64 v[24:25], v[24:25], -v[22:23]
	v_add_f64 v[26:27], v[26:27], -v[50:51]
	;; [unrolled: 1-line block ×12, first 2 shown]
	v_dual_mov_b32 v22, v48 :: v_dual_mov_b32 v23, v49
.LBB46_377:
	s_or_b32 exec_lo, exec_lo, s2
	v_lshl_add_u32 v48, v95, 4, v106
	s_barrier
	buffer_gl0_inv
	v_mov_b32_e32 v104, 18
	ds_store_2addr_b64 v48, v[24:25], v[26:27] offset1:1
	s_waitcnt lgkmcnt(0)
	s_barrier
	buffer_gl0_inv
	ds_load_2addr_b64 v[96:99], v106 offset0:36 offset1:37
	s_cmp_lt_i32 s5, 20
	s_cbranch_scc1 .LBB46_380
; %bb.378:
	v_add3_u32 v105, v87, 0, 0x130
	v_mov_b32_e32 v104, 18
	s_mov_b32 s6, 19
	s_set_inst_prefetch_distance 0x1
	.p2align	6
.LBB46_379:                             ; =>This Inner Loop Header: Depth=1
	ds_load_2addr_b64 v[113:116], v105 offset1:1
	s_waitcnt lgkmcnt(1)
	v_cmp_gt_f64_e32 vcc_lo, 0, v[96:97]
	v_xor_b32_e32 v48, 0x80000000, v97
	v_cmp_gt_f64_e64 s2, 0, v[98:99]
	v_xor_b32_e32 v50, 0x80000000, v99
	v_add_nc_u32_e32 v105, 16, v105
	s_waitcnt lgkmcnt(0)
	v_cmp_gt_f64_e64 s3, 0, v[113:114]
	v_mov_b32_e32 v52, v113
	v_dual_mov_b32 v54, v115 :: v_dual_cndmask_b32 v49, v97, v48
	v_xor_b32_e32 v48, 0x80000000, v114
	v_cndmask_b32_e64 v51, v99, v50, s2
	v_xor_b32_e32 v50, 0x80000000, v116
	s_delay_alu instid0(VALU_DEP_3) | instskip(SKIP_2) | instid1(VALU_DEP_2)
	v_cndmask_b32_e64 v53, v114, v48, s3
	v_cmp_gt_f64_e64 s3, 0, v[115:116]
	v_cndmask_b32_e32 v48, v96, v96, vcc_lo
	v_cndmask_b32_e64 v55, v116, v50, s3
	v_cndmask_b32_e64 v50, v98, v98, s2
	s_delay_alu instid0(VALU_DEP_2) | instskip(NEXT) | instid1(VALU_DEP_2)
	v_add_f64 v[52:53], v[52:53], v[54:55]
	v_add_f64 v[48:49], v[48:49], v[50:51]
	s_delay_alu instid0(VALU_DEP_1) | instskip(SKIP_4) | instid1(SALU_CYCLE_1)
	v_cmp_lt_f64_e32 vcc_lo, v[48:49], v[52:53]
	v_dual_cndmask_b32 v97, v97, v114 :: v_dual_cndmask_b32 v96, v96, v113
	v_dual_cndmask_b32 v99, v99, v116 :: v_dual_cndmask_b32 v98, v98, v115
	v_cndmask_b32_e64 v104, v104, s6, vcc_lo
	s_add_i32 s6, s6, 1
	s_cmp_lg_u32 s5, s6
	s_cbranch_scc1 .LBB46_379
.LBB46_380:
	s_set_inst_prefetch_distance 0x2
	s_waitcnt lgkmcnt(0)
	v_cmp_eq_f64_e32 vcc_lo, 0, v[96:97]
	v_cmp_eq_f64_e64 s2, 0, v[98:99]
	s_delay_alu instid0(VALU_DEP_1) | instskip(NEXT) | instid1(SALU_CYCLE_1)
	s_and_b32 s2, vcc_lo, s2
	s_and_saveexec_b32 s3, s2
	s_delay_alu instid0(SALU_CYCLE_1)
	s_xor_b32 s2, exec_lo, s3
; %bb.381:
	v_cmp_ne_u32_e32 vcc_lo, 0, v86
	v_cndmask_b32_e32 v86, 19, v86, vcc_lo
; %bb.382:
	s_and_not1_saveexec_b32 s3, s2
	s_cbranch_execz .LBB46_388
; %bb.383:
	v_cmp_gt_f64_e32 vcc_lo, 0, v[96:97]
	v_cmp_gt_f64_e64 s2, 0, v[98:99]
	v_xor_b32_e32 v48, 0x80000000, v97
	v_xor_b32_e32 v50, 0x80000000, v99
	s_delay_alu instid0(VALU_DEP_2) | instskip(NEXT) | instid1(VALU_DEP_2)
	v_cndmask_b32_e32 v49, v97, v48, vcc_lo
	v_cndmask_b32_e64 v51, v99, v50, s2
	v_cndmask_b32_e32 v48, v96, v96, vcc_lo
	v_cndmask_b32_e64 v50, v98, v98, s2
	s_mov_b32 s2, exec_lo
	s_delay_alu instid0(VALU_DEP_1)
	v_cmpx_ngt_f64_e32 v[48:49], v[50:51]
	s_xor_b32 s2, exec_lo, s2
	s_cbranch_execz .LBB46_385
; %bb.384:
	v_div_scale_f64 v[48:49], null, v[98:99], v[98:99], v[96:97]
	v_div_scale_f64 v[54:55], vcc_lo, v[96:97], v[98:99], v[96:97]
	s_delay_alu instid0(VALU_DEP_2) | instskip(SKIP_2) | instid1(VALU_DEP_1)
	v_rcp_f64_e32 v[50:51], v[48:49]
	s_waitcnt_depctr 0xfff
	v_fma_f64 v[52:53], -v[48:49], v[50:51], 1.0
	v_fma_f64 v[50:51], v[50:51], v[52:53], v[50:51]
	s_delay_alu instid0(VALU_DEP_1) | instskip(NEXT) | instid1(VALU_DEP_1)
	v_fma_f64 v[52:53], -v[48:49], v[50:51], 1.0
	v_fma_f64 v[50:51], v[50:51], v[52:53], v[50:51]
	s_delay_alu instid0(VALU_DEP_1) | instskip(NEXT) | instid1(VALU_DEP_1)
	v_mul_f64 v[52:53], v[54:55], v[50:51]
	v_fma_f64 v[48:49], -v[48:49], v[52:53], v[54:55]
	s_delay_alu instid0(VALU_DEP_1) | instskip(NEXT) | instid1(VALU_DEP_1)
	v_div_fmas_f64 v[48:49], v[48:49], v[50:51], v[52:53]
	v_div_fixup_f64 v[48:49], v[48:49], v[98:99], v[96:97]
	s_delay_alu instid0(VALU_DEP_1) | instskip(NEXT) | instid1(VALU_DEP_1)
	v_fma_f64 v[50:51], v[96:97], v[48:49], v[98:99]
	v_div_scale_f64 v[52:53], null, v[50:51], v[50:51], 1.0
	s_delay_alu instid0(VALU_DEP_1) | instskip(SKIP_2) | instid1(VALU_DEP_1)
	v_rcp_f64_e32 v[54:55], v[52:53]
	s_waitcnt_depctr 0xfff
	v_fma_f64 v[96:97], -v[52:53], v[54:55], 1.0
	v_fma_f64 v[54:55], v[54:55], v[96:97], v[54:55]
	s_delay_alu instid0(VALU_DEP_1) | instskip(NEXT) | instid1(VALU_DEP_1)
	v_fma_f64 v[96:97], -v[52:53], v[54:55], 1.0
	v_fma_f64 v[54:55], v[54:55], v[96:97], v[54:55]
	v_div_scale_f64 v[96:97], vcc_lo, 1.0, v[50:51], 1.0
	s_delay_alu instid0(VALU_DEP_1) | instskip(NEXT) | instid1(VALU_DEP_1)
	v_mul_f64 v[98:99], v[96:97], v[54:55]
	v_fma_f64 v[52:53], -v[52:53], v[98:99], v[96:97]
	s_delay_alu instid0(VALU_DEP_1) | instskip(NEXT) | instid1(VALU_DEP_1)
	v_div_fmas_f64 v[52:53], v[52:53], v[54:55], v[98:99]
	v_div_fixup_f64 v[98:99], v[52:53], v[50:51], 1.0
	s_delay_alu instid0(VALU_DEP_1)
	v_mul_f64 v[96:97], v[48:49], v[98:99]
	v_xor_b32_e32 v99, 0x80000000, v99
.LBB46_385:
	s_and_not1_saveexec_b32 s2, s2
	s_cbranch_execz .LBB46_387
; %bb.386:
	s_delay_alu instid0(VALU_DEP_1) | instskip(SKIP_1) | instid1(VALU_DEP_2)
	v_div_scale_f64 v[48:49], null, v[96:97], v[96:97], v[98:99]
	v_div_scale_f64 v[54:55], vcc_lo, v[98:99], v[96:97], v[98:99]
	v_rcp_f64_e32 v[50:51], v[48:49]
	s_waitcnt_depctr 0xfff
	v_fma_f64 v[52:53], -v[48:49], v[50:51], 1.0
	s_delay_alu instid0(VALU_DEP_1) | instskip(NEXT) | instid1(VALU_DEP_1)
	v_fma_f64 v[50:51], v[50:51], v[52:53], v[50:51]
	v_fma_f64 v[52:53], -v[48:49], v[50:51], 1.0
	s_delay_alu instid0(VALU_DEP_1) | instskip(NEXT) | instid1(VALU_DEP_1)
	v_fma_f64 v[50:51], v[50:51], v[52:53], v[50:51]
	v_mul_f64 v[52:53], v[54:55], v[50:51]
	s_delay_alu instid0(VALU_DEP_1) | instskip(NEXT) | instid1(VALU_DEP_1)
	v_fma_f64 v[48:49], -v[48:49], v[52:53], v[54:55]
	v_div_fmas_f64 v[48:49], v[48:49], v[50:51], v[52:53]
	s_delay_alu instid0(VALU_DEP_1) | instskip(NEXT) | instid1(VALU_DEP_1)
	v_div_fixup_f64 v[48:49], v[48:49], v[96:97], v[98:99]
	v_fma_f64 v[50:51], v[98:99], v[48:49], v[96:97]
	s_delay_alu instid0(VALU_DEP_1) | instskip(NEXT) | instid1(VALU_DEP_1)
	v_div_scale_f64 v[52:53], null, v[50:51], v[50:51], 1.0
	v_rcp_f64_e32 v[54:55], v[52:53]
	s_waitcnt_depctr 0xfff
	v_fma_f64 v[96:97], -v[52:53], v[54:55], 1.0
	s_delay_alu instid0(VALU_DEP_1) | instskip(NEXT) | instid1(VALU_DEP_1)
	v_fma_f64 v[54:55], v[54:55], v[96:97], v[54:55]
	v_fma_f64 v[96:97], -v[52:53], v[54:55], 1.0
	s_delay_alu instid0(VALU_DEP_1) | instskip(SKIP_1) | instid1(VALU_DEP_1)
	v_fma_f64 v[54:55], v[54:55], v[96:97], v[54:55]
	v_div_scale_f64 v[96:97], vcc_lo, 1.0, v[50:51], 1.0
	v_mul_f64 v[98:99], v[96:97], v[54:55]
	s_delay_alu instid0(VALU_DEP_1) | instskip(NEXT) | instid1(VALU_DEP_1)
	v_fma_f64 v[52:53], -v[52:53], v[98:99], v[96:97]
	v_div_fmas_f64 v[52:53], v[52:53], v[54:55], v[98:99]
	s_delay_alu instid0(VALU_DEP_1) | instskip(NEXT) | instid1(VALU_DEP_1)
	v_div_fixup_f64 v[96:97], v[52:53], v[50:51], 1.0
	v_mul_f64 v[98:99], v[48:49], -v[96:97]
.LBB46_387:
	s_or_b32 exec_lo, exec_lo, s2
.LBB46_388:
	s_delay_alu instid0(SALU_CYCLE_1) | instskip(NEXT) | instid1(SALU_CYCLE_1)
	s_or_b32 exec_lo, exec_lo, s3
	s_mov_b32 s2, exec_lo
	v_cmpx_ne_u32_e64 v95, v104
	s_xor_b32 s2, exec_lo, s2
	s_cbranch_execz .LBB46_394
; %bb.389:
	s_mov_b32 s3, exec_lo
	v_cmpx_eq_u32_e32 18, v95
	s_cbranch_execz .LBB46_393
; %bb.390:
	v_cmp_ne_u32_e32 vcc_lo, 18, v104
	s_xor_b32 s6, s4, -1
	s_delay_alu instid0(SALU_CYCLE_1) | instskip(NEXT) | instid1(SALU_CYCLE_1)
	s_and_b32 s7, s6, vcc_lo
	s_and_saveexec_b32 s6, s7
	s_cbranch_execz .LBB46_392
; %bb.391:
	scratch_load_b64 v[52:53], off, off offset:16 ; 8-byte Folded Reload
	v_ashrrev_i32_e32 v105, 31, v104
	s_delay_alu instid0(VALU_DEP_1) | instskip(SKIP_1) | instid1(VALU_DEP_1)
	v_lshlrev_b64 v[48:49], 2, v[104:105]
	s_waitcnt vmcnt(0)
	v_add_co_u32 v48, vcc_lo, v52, v48
	s_delay_alu instid0(VALU_DEP_2)
	v_add_co_ci_u32_e32 v49, vcc_lo, v53, v49, vcc_lo
	s_clause 0x1
	flat_load_b32 v50, v[48:49]
	flat_load_b32 v51, v[52:53] offset:72
	s_waitcnt vmcnt(1) lgkmcnt(1)
	flat_store_b32 v[52:53], v50 offset:72
	s_waitcnt vmcnt(0) lgkmcnt(1)
	flat_store_b32 v[48:49], v51
.LBB46_392:
	s_or_b32 exec_lo, exec_lo, s6
	v_mov_b32_e32 v95, v104
	v_mov_b32_e32 v78, v104
.LBB46_393:
	s_or_b32 exec_lo, exec_lo, s3
.LBB46_394:
	s_and_not1_saveexec_b32 s2, s2
	s_cbranch_execz .LBB46_396
; %bb.395:
	v_mov_b32_e32 v95, 18
	ds_store_2addr_b64 v106, v[16:17], v[18:19] offset0:38 offset1:39
	ds_store_2addr_b64 v106, v[12:13], v[14:15] offset0:40 offset1:41
	;; [unrolled: 1-line block ×5, first 2 shown]
.LBB46_396:
	s_or_b32 exec_lo, exec_lo, s2
	s_delay_alu instid0(SALU_CYCLE_1)
	s_mov_b32 s2, exec_lo
	s_waitcnt lgkmcnt(0)
	s_waitcnt_vscnt null, 0x0
	s_barrier
	buffer_gl0_inv
	v_cmpx_lt_i32_e32 18, v95
	s_cbranch_execz .LBB46_398
; %bb.397:
	v_mul_f64 v[48:49], v[96:97], v[26:27]
	v_mul_f64 v[26:27], v[98:99], v[26:27]
	ds_load_2addr_b64 v[113:116], v106 offset0:38 offset1:39
	ds_load_2addr_b64 v[117:120], v106 offset0:40 offset1:41
	;; [unrolled: 1-line block ×5, first 2 shown]
	v_fma_f64 v[48:49], v[98:99], v[24:25], v[48:49]
	v_fma_f64 v[24:25], v[96:97], v[24:25], -v[26:27]
	s_waitcnt lgkmcnt(4)
	s_delay_alu instid0(VALU_DEP_2)
	v_mul_f64 v[26:27], v[115:116], v[48:49]
	v_mul_f64 v[50:51], v[113:114], v[48:49]
	s_waitcnt lgkmcnt(3)
	v_mul_f64 v[52:53], v[119:120], v[48:49]
	v_mul_f64 v[54:55], v[117:118], v[48:49]
	s_waitcnt lgkmcnt(2)
	;; [unrolled: 3-line block ×4, first 2 shown]
	v_mul_f64 v[104:105], v[131:132], v[48:49]
	v_mul_f64 v[133:134], v[129:130], v[48:49]
	v_fma_f64 v[26:27], v[113:114], v[24:25], -v[26:27]
	v_fma_f64 v[50:51], v[115:116], v[24:25], v[50:51]
	v_fma_f64 v[52:53], v[117:118], v[24:25], -v[52:53]
	v_fma_f64 v[54:55], v[119:120], v[24:25], v[54:55]
	v_fma_f64 v[96:97], v[121:122], v[24:25], -v[96:97]
	v_fma_f64 v[98:99], v[123:124], v[24:25], v[98:99]
	v_fma_f64 v[100:101], v[125:126], v[24:25], -v[100:101]
	v_fma_f64 v[102:103], v[127:128], v[24:25], v[102:103]
	v_fma_f64 v[104:105], v[129:130], v[24:25], -v[104:105]
	v_fma_f64 v[113:114], v[131:132], v[24:25], v[133:134]
	v_add_f64 v[16:17], v[16:17], -v[26:27]
	v_add_f64 v[18:19], v[18:19], -v[50:51]
	;; [unrolled: 1-line block ×10, first 2 shown]
	v_dual_mov_b32 v26, v48 :: v_dual_mov_b32 v27, v49
.LBB46_398:
	s_or_b32 exec_lo, exec_lo, s2
	v_lshl_add_u32 v48, v95, 4, v106
	s_barrier
	buffer_gl0_inv
	v_mov_b32_e32 v104, 19
	ds_store_2addr_b64 v48, v[16:17], v[18:19] offset1:1
	s_waitcnt lgkmcnt(0)
	s_barrier
	buffer_gl0_inv
	ds_load_2addr_b64 v[96:99], v106 offset0:38 offset1:39
	s_cmp_lt_i32 s5, 21
	s_cbranch_scc1 .LBB46_401
; %bb.399:
	v_add3_u32 v105, v87, 0, 0x140
	v_mov_b32_e32 v104, 19
	s_mov_b32 s6, 20
	s_set_inst_prefetch_distance 0x1
	.p2align	6
.LBB46_400:                             ; =>This Inner Loop Header: Depth=1
	ds_load_2addr_b64 v[113:116], v105 offset1:1
	s_waitcnt lgkmcnt(1)
	v_cmp_gt_f64_e32 vcc_lo, 0, v[96:97]
	v_xor_b32_e32 v48, 0x80000000, v97
	v_cmp_gt_f64_e64 s2, 0, v[98:99]
	v_xor_b32_e32 v50, 0x80000000, v99
	v_add_nc_u32_e32 v105, 16, v105
	s_waitcnt lgkmcnt(0)
	v_cmp_gt_f64_e64 s3, 0, v[113:114]
	v_mov_b32_e32 v52, v113
	v_dual_mov_b32 v54, v115 :: v_dual_cndmask_b32 v49, v97, v48
	v_xor_b32_e32 v48, 0x80000000, v114
	v_cndmask_b32_e64 v51, v99, v50, s2
	v_xor_b32_e32 v50, 0x80000000, v116
	s_delay_alu instid0(VALU_DEP_3) | instskip(SKIP_2) | instid1(VALU_DEP_2)
	v_cndmask_b32_e64 v53, v114, v48, s3
	v_cmp_gt_f64_e64 s3, 0, v[115:116]
	v_cndmask_b32_e32 v48, v96, v96, vcc_lo
	v_cndmask_b32_e64 v55, v116, v50, s3
	v_cndmask_b32_e64 v50, v98, v98, s2
	s_delay_alu instid0(VALU_DEP_2) | instskip(NEXT) | instid1(VALU_DEP_2)
	v_add_f64 v[52:53], v[52:53], v[54:55]
	v_add_f64 v[48:49], v[48:49], v[50:51]
	s_delay_alu instid0(VALU_DEP_1) | instskip(SKIP_4) | instid1(SALU_CYCLE_1)
	v_cmp_lt_f64_e32 vcc_lo, v[48:49], v[52:53]
	v_dual_cndmask_b32 v97, v97, v114 :: v_dual_cndmask_b32 v96, v96, v113
	v_dual_cndmask_b32 v99, v99, v116 :: v_dual_cndmask_b32 v98, v98, v115
	v_cndmask_b32_e64 v104, v104, s6, vcc_lo
	s_add_i32 s6, s6, 1
	s_cmp_lg_u32 s5, s6
	s_cbranch_scc1 .LBB46_400
.LBB46_401:
	s_set_inst_prefetch_distance 0x2
	s_waitcnt lgkmcnt(0)
	v_cmp_eq_f64_e32 vcc_lo, 0, v[96:97]
	v_cmp_eq_f64_e64 s2, 0, v[98:99]
	s_delay_alu instid0(VALU_DEP_1) | instskip(NEXT) | instid1(SALU_CYCLE_1)
	s_and_b32 s2, vcc_lo, s2
	s_and_saveexec_b32 s3, s2
	s_delay_alu instid0(SALU_CYCLE_1)
	s_xor_b32 s2, exec_lo, s3
; %bb.402:
	v_cmp_ne_u32_e32 vcc_lo, 0, v86
	v_cndmask_b32_e32 v86, 20, v86, vcc_lo
; %bb.403:
	s_and_not1_saveexec_b32 s3, s2
	s_cbranch_execz .LBB46_409
; %bb.404:
	v_cmp_gt_f64_e32 vcc_lo, 0, v[96:97]
	v_cmp_gt_f64_e64 s2, 0, v[98:99]
	v_xor_b32_e32 v48, 0x80000000, v97
	v_xor_b32_e32 v50, 0x80000000, v99
	s_delay_alu instid0(VALU_DEP_2) | instskip(NEXT) | instid1(VALU_DEP_2)
	v_cndmask_b32_e32 v49, v97, v48, vcc_lo
	v_cndmask_b32_e64 v51, v99, v50, s2
	v_cndmask_b32_e32 v48, v96, v96, vcc_lo
	v_cndmask_b32_e64 v50, v98, v98, s2
	s_mov_b32 s2, exec_lo
	s_delay_alu instid0(VALU_DEP_1)
	v_cmpx_ngt_f64_e32 v[48:49], v[50:51]
	s_xor_b32 s2, exec_lo, s2
	s_cbranch_execz .LBB46_406
; %bb.405:
	v_div_scale_f64 v[48:49], null, v[98:99], v[98:99], v[96:97]
	v_div_scale_f64 v[54:55], vcc_lo, v[96:97], v[98:99], v[96:97]
	s_delay_alu instid0(VALU_DEP_2) | instskip(SKIP_2) | instid1(VALU_DEP_1)
	v_rcp_f64_e32 v[50:51], v[48:49]
	s_waitcnt_depctr 0xfff
	v_fma_f64 v[52:53], -v[48:49], v[50:51], 1.0
	v_fma_f64 v[50:51], v[50:51], v[52:53], v[50:51]
	s_delay_alu instid0(VALU_DEP_1) | instskip(NEXT) | instid1(VALU_DEP_1)
	v_fma_f64 v[52:53], -v[48:49], v[50:51], 1.0
	v_fma_f64 v[50:51], v[50:51], v[52:53], v[50:51]
	s_delay_alu instid0(VALU_DEP_1) | instskip(NEXT) | instid1(VALU_DEP_1)
	v_mul_f64 v[52:53], v[54:55], v[50:51]
	v_fma_f64 v[48:49], -v[48:49], v[52:53], v[54:55]
	s_delay_alu instid0(VALU_DEP_1) | instskip(NEXT) | instid1(VALU_DEP_1)
	v_div_fmas_f64 v[48:49], v[48:49], v[50:51], v[52:53]
	v_div_fixup_f64 v[48:49], v[48:49], v[98:99], v[96:97]
	s_delay_alu instid0(VALU_DEP_1) | instskip(NEXT) | instid1(VALU_DEP_1)
	v_fma_f64 v[50:51], v[96:97], v[48:49], v[98:99]
	v_div_scale_f64 v[52:53], null, v[50:51], v[50:51], 1.0
	s_delay_alu instid0(VALU_DEP_1) | instskip(SKIP_2) | instid1(VALU_DEP_1)
	v_rcp_f64_e32 v[54:55], v[52:53]
	s_waitcnt_depctr 0xfff
	v_fma_f64 v[96:97], -v[52:53], v[54:55], 1.0
	v_fma_f64 v[54:55], v[54:55], v[96:97], v[54:55]
	s_delay_alu instid0(VALU_DEP_1) | instskip(NEXT) | instid1(VALU_DEP_1)
	v_fma_f64 v[96:97], -v[52:53], v[54:55], 1.0
	v_fma_f64 v[54:55], v[54:55], v[96:97], v[54:55]
	v_div_scale_f64 v[96:97], vcc_lo, 1.0, v[50:51], 1.0
	s_delay_alu instid0(VALU_DEP_1) | instskip(NEXT) | instid1(VALU_DEP_1)
	v_mul_f64 v[98:99], v[96:97], v[54:55]
	v_fma_f64 v[52:53], -v[52:53], v[98:99], v[96:97]
	s_delay_alu instid0(VALU_DEP_1) | instskip(NEXT) | instid1(VALU_DEP_1)
	v_div_fmas_f64 v[52:53], v[52:53], v[54:55], v[98:99]
	v_div_fixup_f64 v[98:99], v[52:53], v[50:51], 1.0
	s_delay_alu instid0(VALU_DEP_1)
	v_mul_f64 v[96:97], v[48:49], v[98:99]
	v_xor_b32_e32 v99, 0x80000000, v99
.LBB46_406:
	s_and_not1_saveexec_b32 s2, s2
	s_cbranch_execz .LBB46_408
; %bb.407:
	s_delay_alu instid0(VALU_DEP_1) | instskip(SKIP_1) | instid1(VALU_DEP_2)
	v_div_scale_f64 v[48:49], null, v[96:97], v[96:97], v[98:99]
	v_div_scale_f64 v[54:55], vcc_lo, v[98:99], v[96:97], v[98:99]
	v_rcp_f64_e32 v[50:51], v[48:49]
	s_waitcnt_depctr 0xfff
	v_fma_f64 v[52:53], -v[48:49], v[50:51], 1.0
	s_delay_alu instid0(VALU_DEP_1) | instskip(NEXT) | instid1(VALU_DEP_1)
	v_fma_f64 v[50:51], v[50:51], v[52:53], v[50:51]
	v_fma_f64 v[52:53], -v[48:49], v[50:51], 1.0
	s_delay_alu instid0(VALU_DEP_1) | instskip(NEXT) | instid1(VALU_DEP_1)
	v_fma_f64 v[50:51], v[50:51], v[52:53], v[50:51]
	v_mul_f64 v[52:53], v[54:55], v[50:51]
	s_delay_alu instid0(VALU_DEP_1) | instskip(NEXT) | instid1(VALU_DEP_1)
	v_fma_f64 v[48:49], -v[48:49], v[52:53], v[54:55]
	v_div_fmas_f64 v[48:49], v[48:49], v[50:51], v[52:53]
	s_delay_alu instid0(VALU_DEP_1) | instskip(NEXT) | instid1(VALU_DEP_1)
	v_div_fixup_f64 v[48:49], v[48:49], v[96:97], v[98:99]
	v_fma_f64 v[50:51], v[98:99], v[48:49], v[96:97]
	s_delay_alu instid0(VALU_DEP_1) | instskip(NEXT) | instid1(VALU_DEP_1)
	v_div_scale_f64 v[52:53], null, v[50:51], v[50:51], 1.0
	v_rcp_f64_e32 v[54:55], v[52:53]
	s_waitcnt_depctr 0xfff
	v_fma_f64 v[96:97], -v[52:53], v[54:55], 1.0
	s_delay_alu instid0(VALU_DEP_1) | instskip(NEXT) | instid1(VALU_DEP_1)
	v_fma_f64 v[54:55], v[54:55], v[96:97], v[54:55]
	v_fma_f64 v[96:97], -v[52:53], v[54:55], 1.0
	s_delay_alu instid0(VALU_DEP_1) | instskip(SKIP_1) | instid1(VALU_DEP_1)
	v_fma_f64 v[54:55], v[54:55], v[96:97], v[54:55]
	v_div_scale_f64 v[96:97], vcc_lo, 1.0, v[50:51], 1.0
	v_mul_f64 v[98:99], v[96:97], v[54:55]
	s_delay_alu instid0(VALU_DEP_1) | instskip(NEXT) | instid1(VALU_DEP_1)
	v_fma_f64 v[52:53], -v[52:53], v[98:99], v[96:97]
	v_div_fmas_f64 v[52:53], v[52:53], v[54:55], v[98:99]
	s_delay_alu instid0(VALU_DEP_1) | instskip(NEXT) | instid1(VALU_DEP_1)
	v_div_fixup_f64 v[96:97], v[52:53], v[50:51], 1.0
	v_mul_f64 v[98:99], v[48:49], -v[96:97]
.LBB46_408:
	s_or_b32 exec_lo, exec_lo, s2
.LBB46_409:
	s_delay_alu instid0(SALU_CYCLE_1) | instskip(NEXT) | instid1(SALU_CYCLE_1)
	s_or_b32 exec_lo, exec_lo, s3
	s_mov_b32 s2, exec_lo
	v_cmpx_ne_u32_e64 v95, v104
	s_xor_b32 s2, exec_lo, s2
	s_cbranch_execz .LBB46_415
; %bb.410:
	s_mov_b32 s3, exec_lo
	v_cmpx_eq_u32_e32 19, v95
	s_cbranch_execz .LBB46_414
; %bb.411:
	v_cmp_ne_u32_e32 vcc_lo, 19, v104
	s_xor_b32 s6, s4, -1
	s_delay_alu instid0(SALU_CYCLE_1) | instskip(NEXT) | instid1(SALU_CYCLE_1)
	s_and_b32 s7, s6, vcc_lo
	s_and_saveexec_b32 s6, s7
	s_cbranch_execz .LBB46_413
; %bb.412:
	scratch_load_b64 v[52:53], off, off offset:16 ; 8-byte Folded Reload
	v_ashrrev_i32_e32 v105, 31, v104
	s_delay_alu instid0(VALU_DEP_1) | instskip(SKIP_1) | instid1(VALU_DEP_1)
	v_lshlrev_b64 v[48:49], 2, v[104:105]
	s_waitcnt vmcnt(0)
	v_add_co_u32 v48, vcc_lo, v52, v48
	s_delay_alu instid0(VALU_DEP_2)
	v_add_co_ci_u32_e32 v49, vcc_lo, v53, v49, vcc_lo
	s_clause 0x1
	flat_load_b32 v50, v[48:49]
	flat_load_b32 v51, v[52:53] offset:76
	s_waitcnt vmcnt(1) lgkmcnt(1)
	flat_store_b32 v[52:53], v50 offset:76
	s_waitcnt vmcnt(0) lgkmcnt(1)
	flat_store_b32 v[48:49], v51
.LBB46_413:
	s_or_b32 exec_lo, exec_lo, s6
	v_mov_b32_e32 v95, v104
	v_mov_b32_e32 v78, v104
.LBB46_414:
	s_or_b32 exec_lo, exec_lo, s3
.LBB46_415:
	s_and_not1_saveexec_b32 s2, s2
	s_cbranch_execz .LBB46_417
; %bb.416:
	v_mov_b32_e32 v95, 19
	ds_store_2addr_b64 v106, v[12:13], v[14:15] offset0:40 offset1:41
	ds_store_2addr_b64 v106, v[8:9], v[10:11] offset0:42 offset1:43
	;; [unrolled: 1-line block ×4, first 2 shown]
.LBB46_417:
	s_or_b32 exec_lo, exec_lo, s2
	s_delay_alu instid0(SALU_CYCLE_1)
	s_mov_b32 s2, exec_lo
	s_waitcnt lgkmcnt(0)
	s_waitcnt_vscnt null, 0x0
	s_barrier
	buffer_gl0_inv
	v_cmpx_lt_i32_e32 19, v95
	s_cbranch_execz .LBB46_419
; %bb.418:
	v_mul_f64 v[48:49], v[96:97], v[18:19]
	v_mul_f64 v[18:19], v[98:99], v[18:19]
	ds_load_2addr_b64 v[113:116], v106 offset0:40 offset1:41
	ds_load_2addr_b64 v[117:120], v106 offset0:42 offset1:43
	;; [unrolled: 1-line block ×4, first 2 shown]
	v_fma_f64 v[48:49], v[98:99], v[16:17], v[48:49]
	v_fma_f64 v[16:17], v[96:97], v[16:17], -v[18:19]
	s_waitcnt lgkmcnt(3)
	s_delay_alu instid0(VALU_DEP_2)
	v_mul_f64 v[18:19], v[115:116], v[48:49]
	v_mul_f64 v[50:51], v[113:114], v[48:49]
	s_waitcnt lgkmcnt(2)
	v_mul_f64 v[52:53], v[119:120], v[48:49]
	v_mul_f64 v[54:55], v[117:118], v[48:49]
	s_waitcnt lgkmcnt(1)
	;; [unrolled: 3-line block ×3, first 2 shown]
	v_mul_f64 v[100:101], v[127:128], v[48:49]
	v_mul_f64 v[102:103], v[125:126], v[48:49]
	v_fma_f64 v[18:19], v[113:114], v[16:17], -v[18:19]
	v_fma_f64 v[50:51], v[115:116], v[16:17], v[50:51]
	v_fma_f64 v[52:53], v[117:118], v[16:17], -v[52:53]
	v_fma_f64 v[54:55], v[119:120], v[16:17], v[54:55]
	;; [unrolled: 2-line block ×4, first 2 shown]
	v_add_f64 v[12:13], v[12:13], -v[18:19]
	v_add_f64 v[14:15], v[14:15], -v[50:51]
	;; [unrolled: 1-line block ×8, first 2 shown]
	v_dual_mov_b32 v18, v48 :: v_dual_mov_b32 v19, v49
.LBB46_419:
	s_or_b32 exec_lo, exec_lo, s2
	v_lshl_add_u32 v48, v95, 4, v106
	s_barrier
	buffer_gl0_inv
	v_mov_b32_e32 v104, 20
	ds_store_2addr_b64 v48, v[12:13], v[14:15] offset1:1
	s_waitcnt lgkmcnt(0)
	s_barrier
	buffer_gl0_inv
	ds_load_2addr_b64 v[96:99], v106 offset0:40 offset1:41
	s_cmp_lt_i32 s5, 22
	s_cbranch_scc1 .LBB46_422
; %bb.420:
	v_add3_u32 v105, v87, 0, 0x150
	v_mov_b32_e32 v104, 20
	s_mov_b32 s6, 21
	s_set_inst_prefetch_distance 0x1
	.p2align	6
.LBB46_421:                             ; =>This Inner Loop Header: Depth=1
	ds_load_2addr_b64 v[113:116], v105 offset1:1
	s_waitcnt lgkmcnt(1)
	v_cmp_gt_f64_e32 vcc_lo, 0, v[96:97]
	v_xor_b32_e32 v48, 0x80000000, v97
	v_cmp_gt_f64_e64 s2, 0, v[98:99]
	v_xor_b32_e32 v50, 0x80000000, v99
	v_add_nc_u32_e32 v105, 16, v105
	s_waitcnt lgkmcnt(0)
	v_cmp_gt_f64_e64 s3, 0, v[113:114]
	v_mov_b32_e32 v52, v113
	v_dual_mov_b32 v54, v115 :: v_dual_cndmask_b32 v49, v97, v48
	v_xor_b32_e32 v48, 0x80000000, v114
	v_cndmask_b32_e64 v51, v99, v50, s2
	v_xor_b32_e32 v50, 0x80000000, v116
	s_delay_alu instid0(VALU_DEP_3) | instskip(SKIP_2) | instid1(VALU_DEP_2)
	v_cndmask_b32_e64 v53, v114, v48, s3
	v_cmp_gt_f64_e64 s3, 0, v[115:116]
	v_cndmask_b32_e32 v48, v96, v96, vcc_lo
	v_cndmask_b32_e64 v55, v116, v50, s3
	v_cndmask_b32_e64 v50, v98, v98, s2
	s_delay_alu instid0(VALU_DEP_2) | instskip(NEXT) | instid1(VALU_DEP_2)
	v_add_f64 v[52:53], v[52:53], v[54:55]
	v_add_f64 v[48:49], v[48:49], v[50:51]
	s_delay_alu instid0(VALU_DEP_1) | instskip(SKIP_4) | instid1(SALU_CYCLE_1)
	v_cmp_lt_f64_e32 vcc_lo, v[48:49], v[52:53]
	v_dual_cndmask_b32 v97, v97, v114 :: v_dual_cndmask_b32 v96, v96, v113
	v_dual_cndmask_b32 v99, v99, v116 :: v_dual_cndmask_b32 v98, v98, v115
	v_cndmask_b32_e64 v104, v104, s6, vcc_lo
	s_add_i32 s6, s6, 1
	s_cmp_lg_u32 s5, s6
	s_cbranch_scc1 .LBB46_421
.LBB46_422:
	s_set_inst_prefetch_distance 0x2
	s_waitcnt lgkmcnt(0)
	v_cmp_eq_f64_e32 vcc_lo, 0, v[96:97]
	v_cmp_eq_f64_e64 s2, 0, v[98:99]
	s_delay_alu instid0(VALU_DEP_1) | instskip(NEXT) | instid1(SALU_CYCLE_1)
	s_and_b32 s2, vcc_lo, s2
	s_and_saveexec_b32 s3, s2
	s_delay_alu instid0(SALU_CYCLE_1)
	s_xor_b32 s2, exec_lo, s3
; %bb.423:
	v_cmp_ne_u32_e32 vcc_lo, 0, v86
	v_cndmask_b32_e32 v86, 21, v86, vcc_lo
; %bb.424:
	s_and_not1_saveexec_b32 s3, s2
	s_cbranch_execz .LBB46_430
; %bb.425:
	v_cmp_gt_f64_e32 vcc_lo, 0, v[96:97]
	v_cmp_gt_f64_e64 s2, 0, v[98:99]
	v_xor_b32_e32 v48, 0x80000000, v97
	v_xor_b32_e32 v50, 0x80000000, v99
	s_delay_alu instid0(VALU_DEP_2) | instskip(NEXT) | instid1(VALU_DEP_2)
	v_cndmask_b32_e32 v49, v97, v48, vcc_lo
	v_cndmask_b32_e64 v51, v99, v50, s2
	v_cndmask_b32_e32 v48, v96, v96, vcc_lo
	v_cndmask_b32_e64 v50, v98, v98, s2
	s_mov_b32 s2, exec_lo
	s_delay_alu instid0(VALU_DEP_1)
	v_cmpx_ngt_f64_e32 v[48:49], v[50:51]
	s_xor_b32 s2, exec_lo, s2
	s_cbranch_execz .LBB46_427
; %bb.426:
	v_div_scale_f64 v[48:49], null, v[98:99], v[98:99], v[96:97]
	v_div_scale_f64 v[54:55], vcc_lo, v[96:97], v[98:99], v[96:97]
	s_delay_alu instid0(VALU_DEP_2) | instskip(SKIP_2) | instid1(VALU_DEP_1)
	v_rcp_f64_e32 v[50:51], v[48:49]
	s_waitcnt_depctr 0xfff
	v_fma_f64 v[52:53], -v[48:49], v[50:51], 1.0
	v_fma_f64 v[50:51], v[50:51], v[52:53], v[50:51]
	s_delay_alu instid0(VALU_DEP_1) | instskip(NEXT) | instid1(VALU_DEP_1)
	v_fma_f64 v[52:53], -v[48:49], v[50:51], 1.0
	v_fma_f64 v[50:51], v[50:51], v[52:53], v[50:51]
	s_delay_alu instid0(VALU_DEP_1) | instskip(NEXT) | instid1(VALU_DEP_1)
	v_mul_f64 v[52:53], v[54:55], v[50:51]
	v_fma_f64 v[48:49], -v[48:49], v[52:53], v[54:55]
	s_delay_alu instid0(VALU_DEP_1) | instskip(NEXT) | instid1(VALU_DEP_1)
	v_div_fmas_f64 v[48:49], v[48:49], v[50:51], v[52:53]
	v_div_fixup_f64 v[48:49], v[48:49], v[98:99], v[96:97]
	s_delay_alu instid0(VALU_DEP_1) | instskip(NEXT) | instid1(VALU_DEP_1)
	v_fma_f64 v[50:51], v[96:97], v[48:49], v[98:99]
	v_div_scale_f64 v[52:53], null, v[50:51], v[50:51], 1.0
	s_delay_alu instid0(VALU_DEP_1) | instskip(SKIP_2) | instid1(VALU_DEP_1)
	v_rcp_f64_e32 v[54:55], v[52:53]
	s_waitcnt_depctr 0xfff
	v_fma_f64 v[96:97], -v[52:53], v[54:55], 1.0
	v_fma_f64 v[54:55], v[54:55], v[96:97], v[54:55]
	s_delay_alu instid0(VALU_DEP_1) | instskip(NEXT) | instid1(VALU_DEP_1)
	v_fma_f64 v[96:97], -v[52:53], v[54:55], 1.0
	v_fma_f64 v[54:55], v[54:55], v[96:97], v[54:55]
	v_div_scale_f64 v[96:97], vcc_lo, 1.0, v[50:51], 1.0
	s_delay_alu instid0(VALU_DEP_1) | instskip(NEXT) | instid1(VALU_DEP_1)
	v_mul_f64 v[98:99], v[96:97], v[54:55]
	v_fma_f64 v[52:53], -v[52:53], v[98:99], v[96:97]
	s_delay_alu instid0(VALU_DEP_1) | instskip(NEXT) | instid1(VALU_DEP_1)
	v_div_fmas_f64 v[52:53], v[52:53], v[54:55], v[98:99]
	v_div_fixup_f64 v[98:99], v[52:53], v[50:51], 1.0
	s_delay_alu instid0(VALU_DEP_1)
	v_mul_f64 v[96:97], v[48:49], v[98:99]
	v_xor_b32_e32 v99, 0x80000000, v99
.LBB46_427:
	s_and_not1_saveexec_b32 s2, s2
	s_cbranch_execz .LBB46_429
; %bb.428:
	s_delay_alu instid0(VALU_DEP_1) | instskip(SKIP_1) | instid1(VALU_DEP_2)
	v_div_scale_f64 v[48:49], null, v[96:97], v[96:97], v[98:99]
	v_div_scale_f64 v[54:55], vcc_lo, v[98:99], v[96:97], v[98:99]
	v_rcp_f64_e32 v[50:51], v[48:49]
	s_waitcnt_depctr 0xfff
	v_fma_f64 v[52:53], -v[48:49], v[50:51], 1.0
	s_delay_alu instid0(VALU_DEP_1) | instskip(NEXT) | instid1(VALU_DEP_1)
	v_fma_f64 v[50:51], v[50:51], v[52:53], v[50:51]
	v_fma_f64 v[52:53], -v[48:49], v[50:51], 1.0
	s_delay_alu instid0(VALU_DEP_1) | instskip(NEXT) | instid1(VALU_DEP_1)
	v_fma_f64 v[50:51], v[50:51], v[52:53], v[50:51]
	v_mul_f64 v[52:53], v[54:55], v[50:51]
	s_delay_alu instid0(VALU_DEP_1) | instskip(NEXT) | instid1(VALU_DEP_1)
	v_fma_f64 v[48:49], -v[48:49], v[52:53], v[54:55]
	v_div_fmas_f64 v[48:49], v[48:49], v[50:51], v[52:53]
	s_delay_alu instid0(VALU_DEP_1) | instskip(NEXT) | instid1(VALU_DEP_1)
	v_div_fixup_f64 v[48:49], v[48:49], v[96:97], v[98:99]
	v_fma_f64 v[50:51], v[98:99], v[48:49], v[96:97]
	s_delay_alu instid0(VALU_DEP_1) | instskip(NEXT) | instid1(VALU_DEP_1)
	v_div_scale_f64 v[52:53], null, v[50:51], v[50:51], 1.0
	v_rcp_f64_e32 v[54:55], v[52:53]
	s_waitcnt_depctr 0xfff
	v_fma_f64 v[96:97], -v[52:53], v[54:55], 1.0
	s_delay_alu instid0(VALU_DEP_1) | instskip(NEXT) | instid1(VALU_DEP_1)
	v_fma_f64 v[54:55], v[54:55], v[96:97], v[54:55]
	v_fma_f64 v[96:97], -v[52:53], v[54:55], 1.0
	s_delay_alu instid0(VALU_DEP_1) | instskip(SKIP_1) | instid1(VALU_DEP_1)
	v_fma_f64 v[54:55], v[54:55], v[96:97], v[54:55]
	v_div_scale_f64 v[96:97], vcc_lo, 1.0, v[50:51], 1.0
	v_mul_f64 v[98:99], v[96:97], v[54:55]
	s_delay_alu instid0(VALU_DEP_1) | instskip(NEXT) | instid1(VALU_DEP_1)
	v_fma_f64 v[52:53], -v[52:53], v[98:99], v[96:97]
	v_div_fmas_f64 v[52:53], v[52:53], v[54:55], v[98:99]
	s_delay_alu instid0(VALU_DEP_1) | instskip(NEXT) | instid1(VALU_DEP_1)
	v_div_fixup_f64 v[96:97], v[52:53], v[50:51], 1.0
	v_mul_f64 v[98:99], v[48:49], -v[96:97]
.LBB46_429:
	s_or_b32 exec_lo, exec_lo, s2
.LBB46_430:
	s_delay_alu instid0(SALU_CYCLE_1) | instskip(NEXT) | instid1(SALU_CYCLE_1)
	s_or_b32 exec_lo, exec_lo, s3
	s_mov_b32 s2, exec_lo
	v_cmpx_ne_u32_e64 v95, v104
	s_xor_b32 s2, exec_lo, s2
	s_cbranch_execz .LBB46_436
; %bb.431:
	s_mov_b32 s3, exec_lo
	v_cmpx_eq_u32_e32 20, v95
	s_cbranch_execz .LBB46_435
; %bb.432:
	v_cmp_ne_u32_e32 vcc_lo, 20, v104
	s_xor_b32 s6, s4, -1
	s_delay_alu instid0(SALU_CYCLE_1) | instskip(NEXT) | instid1(SALU_CYCLE_1)
	s_and_b32 s7, s6, vcc_lo
	s_and_saveexec_b32 s6, s7
	s_cbranch_execz .LBB46_434
; %bb.433:
	scratch_load_b64 v[52:53], off, off offset:16 ; 8-byte Folded Reload
	v_ashrrev_i32_e32 v105, 31, v104
	s_delay_alu instid0(VALU_DEP_1) | instskip(SKIP_1) | instid1(VALU_DEP_1)
	v_lshlrev_b64 v[48:49], 2, v[104:105]
	s_waitcnt vmcnt(0)
	v_add_co_u32 v48, vcc_lo, v52, v48
	s_delay_alu instid0(VALU_DEP_2)
	v_add_co_ci_u32_e32 v49, vcc_lo, v53, v49, vcc_lo
	s_clause 0x1
	flat_load_b32 v50, v[48:49]
	flat_load_b32 v51, v[52:53] offset:80
	s_waitcnt vmcnt(1) lgkmcnt(1)
	flat_store_b32 v[52:53], v50 offset:80
	s_waitcnt vmcnt(0) lgkmcnt(1)
	flat_store_b32 v[48:49], v51
.LBB46_434:
	s_or_b32 exec_lo, exec_lo, s6
	v_mov_b32_e32 v95, v104
	v_mov_b32_e32 v78, v104
.LBB46_435:
	s_or_b32 exec_lo, exec_lo, s3
.LBB46_436:
	s_and_not1_saveexec_b32 s2, s2
	s_cbranch_execz .LBB46_438
; %bb.437:
	v_mov_b32_e32 v95, 20
	ds_store_2addr_b64 v106, v[8:9], v[10:11] offset0:42 offset1:43
	ds_store_2addr_b64 v106, v[4:5], v[6:7] offset0:44 offset1:45
	;; [unrolled: 1-line block ×3, first 2 shown]
.LBB46_438:
	s_or_b32 exec_lo, exec_lo, s2
	s_delay_alu instid0(SALU_CYCLE_1)
	s_mov_b32 s2, exec_lo
	s_waitcnt lgkmcnt(0)
	s_waitcnt_vscnt null, 0x0
	s_barrier
	buffer_gl0_inv
	v_cmpx_lt_i32_e32 20, v95
	s_cbranch_execz .LBB46_440
; %bb.439:
	v_mul_f64 v[48:49], v[96:97], v[14:15]
	v_mul_f64 v[14:15], v[98:99], v[14:15]
	ds_load_2addr_b64 v[113:116], v106 offset0:42 offset1:43
	ds_load_2addr_b64 v[117:120], v106 offset0:44 offset1:45
	;; [unrolled: 1-line block ×3, first 2 shown]
	v_fma_f64 v[48:49], v[98:99], v[12:13], v[48:49]
	v_fma_f64 v[12:13], v[96:97], v[12:13], -v[14:15]
	s_waitcnt lgkmcnt(2)
	s_delay_alu instid0(VALU_DEP_2)
	v_mul_f64 v[14:15], v[115:116], v[48:49]
	v_mul_f64 v[50:51], v[113:114], v[48:49]
	s_waitcnt lgkmcnt(1)
	v_mul_f64 v[52:53], v[119:120], v[48:49]
	v_mul_f64 v[54:55], v[117:118], v[48:49]
	s_waitcnt lgkmcnt(0)
	v_mul_f64 v[96:97], v[123:124], v[48:49]
	v_mul_f64 v[98:99], v[121:122], v[48:49]
	v_fma_f64 v[14:15], v[113:114], v[12:13], -v[14:15]
	v_fma_f64 v[50:51], v[115:116], v[12:13], v[50:51]
	v_fma_f64 v[52:53], v[117:118], v[12:13], -v[52:53]
	v_fma_f64 v[54:55], v[119:120], v[12:13], v[54:55]
	;; [unrolled: 2-line block ×3, first 2 shown]
	v_add_f64 v[8:9], v[8:9], -v[14:15]
	v_add_f64 v[10:11], v[10:11], -v[50:51]
	;; [unrolled: 1-line block ×6, first 2 shown]
	v_dual_mov_b32 v14, v48 :: v_dual_mov_b32 v15, v49
.LBB46_440:
	s_or_b32 exec_lo, exec_lo, s2
	v_lshl_add_u32 v48, v95, 4, v106
	s_barrier
	buffer_gl0_inv
	v_mov_b32_e32 v104, 21
	ds_store_2addr_b64 v48, v[8:9], v[10:11] offset1:1
	s_waitcnt lgkmcnt(0)
	s_barrier
	buffer_gl0_inv
	ds_load_2addr_b64 v[96:99], v106 offset0:42 offset1:43
	s_cmp_lt_i32 s5, 23
	s_cbranch_scc1 .LBB46_443
; %bb.441:
	v_add3_u32 v105, v87, 0, 0x160
	v_mov_b32_e32 v104, 21
	s_mov_b32 s6, 22
	s_set_inst_prefetch_distance 0x1
	.p2align	6
.LBB46_442:                             ; =>This Inner Loop Header: Depth=1
	ds_load_2addr_b64 v[113:116], v105 offset1:1
	s_waitcnt lgkmcnt(1)
	v_cmp_gt_f64_e32 vcc_lo, 0, v[96:97]
	v_xor_b32_e32 v48, 0x80000000, v97
	v_cmp_gt_f64_e64 s2, 0, v[98:99]
	v_xor_b32_e32 v50, 0x80000000, v99
	v_add_nc_u32_e32 v105, 16, v105
	s_waitcnt lgkmcnt(0)
	v_cmp_gt_f64_e64 s3, 0, v[113:114]
	v_mov_b32_e32 v52, v113
	v_dual_mov_b32 v54, v115 :: v_dual_cndmask_b32 v49, v97, v48
	v_xor_b32_e32 v48, 0x80000000, v114
	v_cndmask_b32_e64 v51, v99, v50, s2
	v_xor_b32_e32 v50, 0x80000000, v116
	s_delay_alu instid0(VALU_DEP_3) | instskip(SKIP_2) | instid1(VALU_DEP_2)
	v_cndmask_b32_e64 v53, v114, v48, s3
	v_cmp_gt_f64_e64 s3, 0, v[115:116]
	v_cndmask_b32_e32 v48, v96, v96, vcc_lo
	v_cndmask_b32_e64 v55, v116, v50, s3
	v_cndmask_b32_e64 v50, v98, v98, s2
	s_delay_alu instid0(VALU_DEP_2) | instskip(NEXT) | instid1(VALU_DEP_2)
	v_add_f64 v[52:53], v[52:53], v[54:55]
	v_add_f64 v[48:49], v[48:49], v[50:51]
	s_delay_alu instid0(VALU_DEP_1) | instskip(SKIP_4) | instid1(SALU_CYCLE_1)
	v_cmp_lt_f64_e32 vcc_lo, v[48:49], v[52:53]
	v_dual_cndmask_b32 v97, v97, v114 :: v_dual_cndmask_b32 v96, v96, v113
	v_dual_cndmask_b32 v99, v99, v116 :: v_dual_cndmask_b32 v98, v98, v115
	v_cndmask_b32_e64 v104, v104, s6, vcc_lo
	s_add_i32 s6, s6, 1
	s_cmp_lg_u32 s5, s6
	s_cbranch_scc1 .LBB46_442
.LBB46_443:
	s_set_inst_prefetch_distance 0x2
	s_waitcnt lgkmcnt(0)
	v_cmp_eq_f64_e32 vcc_lo, 0, v[96:97]
	v_cmp_eq_f64_e64 s2, 0, v[98:99]
	s_delay_alu instid0(VALU_DEP_1) | instskip(NEXT) | instid1(SALU_CYCLE_1)
	s_and_b32 s2, vcc_lo, s2
	s_and_saveexec_b32 s3, s2
	s_delay_alu instid0(SALU_CYCLE_1)
	s_xor_b32 s2, exec_lo, s3
; %bb.444:
	v_cmp_ne_u32_e32 vcc_lo, 0, v86
	v_cndmask_b32_e32 v86, 22, v86, vcc_lo
; %bb.445:
	s_and_not1_saveexec_b32 s3, s2
	s_cbranch_execz .LBB46_451
; %bb.446:
	v_cmp_gt_f64_e32 vcc_lo, 0, v[96:97]
	v_cmp_gt_f64_e64 s2, 0, v[98:99]
	v_xor_b32_e32 v48, 0x80000000, v97
	v_xor_b32_e32 v50, 0x80000000, v99
	s_delay_alu instid0(VALU_DEP_2) | instskip(NEXT) | instid1(VALU_DEP_2)
	v_cndmask_b32_e32 v49, v97, v48, vcc_lo
	v_cndmask_b32_e64 v51, v99, v50, s2
	v_cndmask_b32_e32 v48, v96, v96, vcc_lo
	v_cndmask_b32_e64 v50, v98, v98, s2
	s_mov_b32 s2, exec_lo
	s_delay_alu instid0(VALU_DEP_1)
	v_cmpx_ngt_f64_e32 v[48:49], v[50:51]
	s_xor_b32 s2, exec_lo, s2
	s_cbranch_execz .LBB46_448
; %bb.447:
	v_div_scale_f64 v[48:49], null, v[98:99], v[98:99], v[96:97]
	v_div_scale_f64 v[54:55], vcc_lo, v[96:97], v[98:99], v[96:97]
	s_delay_alu instid0(VALU_DEP_2) | instskip(SKIP_2) | instid1(VALU_DEP_1)
	v_rcp_f64_e32 v[50:51], v[48:49]
	s_waitcnt_depctr 0xfff
	v_fma_f64 v[52:53], -v[48:49], v[50:51], 1.0
	v_fma_f64 v[50:51], v[50:51], v[52:53], v[50:51]
	s_delay_alu instid0(VALU_DEP_1) | instskip(NEXT) | instid1(VALU_DEP_1)
	v_fma_f64 v[52:53], -v[48:49], v[50:51], 1.0
	v_fma_f64 v[50:51], v[50:51], v[52:53], v[50:51]
	s_delay_alu instid0(VALU_DEP_1) | instskip(NEXT) | instid1(VALU_DEP_1)
	v_mul_f64 v[52:53], v[54:55], v[50:51]
	v_fma_f64 v[48:49], -v[48:49], v[52:53], v[54:55]
	s_delay_alu instid0(VALU_DEP_1) | instskip(NEXT) | instid1(VALU_DEP_1)
	v_div_fmas_f64 v[48:49], v[48:49], v[50:51], v[52:53]
	v_div_fixup_f64 v[48:49], v[48:49], v[98:99], v[96:97]
	s_delay_alu instid0(VALU_DEP_1) | instskip(NEXT) | instid1(VALU_DEP_1)
	v_fma_f64 v[50:51], v[96:97], v[48:49], v[98:99]
	v_div_scale_f64 v[52:53], null, v[50:51], v[50:51], 1.0
	s_delay_alu instid0(VALU_DEP_1) | instskip(SKIP_2) | instid1(VALU_DEP_1)
	v_rcp_f64_e32 v[54:55], v[52:53]
	s_waitcnt_depctr 0xfff
	v_fma_f64 v[96:97], -v[52:53], v[54:55], 1.0
	v_fma_f64 v[54:55], v[54:55], v[96:97], v[54:55]
	s_delay_alu instid0(VALU_DEP_1) | instskip(NEXT) | instid1(VALU_DEP_1)
	v_fma_f64 v[96:97], -v[52:53], v[54:55], 1.0
	v_fma_f64 v[54:55], v[54:55], v[96:97], v[54:55]
	v_div_scale_f64 v[96:97], vcc_lo, 1.0, v[50:51], 1.0
	s_delay_alu instid0(VALU_DEP_1) | instskip(NEXT) | instid1(VALU_DEP_1)
	v_mul_f64 v[98:99], v[96:97], v[54:55]
	v_fma_f64 v[52:53], -v[52:53], v[98:99], v[96:97]
	s_delay_alu instid0(VALU_DEP_1) | instskip(NEXT) | instid1(VALU_DEP_1)
	v_div_fmas_f64 v[52:53], v[52:53], v[54:55], v[98:99]
	v_div_fixup_f64 v[98:99], v[52:53], v[50:51], 1.0
	s_delay_alu instid0(VALU_DEP_1)
	v_mul_f64 v[96:97], v[48:49], v[98:99]
	v_xor_b32_e32 v99, 0x80000000, v99
.LBB46_448:
	s_and_not1_saveexec_b32 s2, s2
	s_cbranch_execz .LBB46_450
; %bb.449:
	s_delay_alu instid0(VALU_DEP_1) | instskip(SKIP_1) | instid1(VALU_DEP_2)
	v_div_scale_f64 v[48:49], null, v[96:97], v[96:97], v[98:99]
	v_div_scale_f64 v[54:55], vcc_lo, v[98:99], v[96:97], v[98:99]
	v_rcp_f64_e32 v[50:51], v[48:49]
	s_waitcnt_depctr 0xfff
	v_fma_f64 v[52:53], -v[48:49], v[50:51], 1.0
	s_delay_alu instid0(VALU_DEP_1) | instskip(NEXT) | instid1(VALU_DEP_1)
	v_fma_f64 v[50:51], v[50:51], v[52:53], v[50:51]
	v_fma_f64 v[52:53], -v[48:49], v[50:51], 1.0
	s_delay_alu instid0(VALU_DEP_1) | instskip(NEXT) | instid1(VALU_DEP_1)
	v_fma_f64 v[50:51], v[50:51], v[52:53], v[50:51]
	v_mul_f64 v[52:53], v[54:55], v[50:51]
	s_delay_alu instid0(VALU_DEP_1) | instskip(NEXT) | instid1(VALU_DEP_1)
	v_fma_f64 v[48:49], -v[48:49], v[52:53], v[54:55]
	v_div_fmas_f64 v[48:49], v[48:49], v[50:51], v[52:53]
	s_delay_alu instid0(VALU_DEP_1) | instskip(NEXT) | instid1(VALU_DEP_1)
	v_div_fixup_f64 v[48:49], v[48:49], v[96:97], v[98:99]
	v_fma_f64 v[50:51], v[98:99], v[48:49], v[96:97]
	s_delay_alu instid0(VALU_DEP_1) | instskip(NEXT) | instid1(VALU_DEP_1)
	v_div_scale_f64 v[52:53], null, v[50:51], v[50:51], 1.0
	v_rcp_f64_e32 v[54:55], v[52:53]
	s_waitcnt_depctr 0xfff
	v_fma_f64 v[96:97], -v[52:53], v[54:55], 1.0
	s_delay_alu instid0(VALU_DEP_1) | instskip(NEXT) | instid1(VALU_DEP_1)
	v_fma_f64 v[54:55], v[54:55], v[96:97], v[54:55]
	v_fma_f64 v[96:97], -v[52:53], v[54:55], 1.0
	s_delay_alu instid0(VALU_DEP_1) | instskip(SKIP_1) | instid1(VALU_DEP_1)
	v_fma_f64 v[54:55], v[54:55], v[96:97], v[54:55]
	v_div_scale_f64 v[96:97], vcc_lo, 1.0, v[50:51], 1.0
	v_mul_f64 v[98:99], v[96:97], v[54:55]
	s_delay_alu instid0(VALU_DEP_1) | instskip(NEXT) | instid1(VALU_DEP_1)
	v_fma_f64 v[52:53], -v[52:53], v[98:99], v[96:97]
	v_div_fmas_f64 v[52:53], v[52:53], v[54:55], v[98:99]
	s_delay_alu instid0(VALU_DEP_1) | instskip(NEXT) | instid1(VALU_DEP_1)
	v_div_fixup_f64 v[96:97], v[52:53], v[50:51], 1.0
	v_mul_f64 v[98:99], v[48:49], -v[96:97]
.LBB46_450:
	s_or_b32 exec_lo, exec_lo, s2
.LBB46_451:
	s_delay_alu instid0(SALU_CYCLE_1) | instskip(NEXT) | instid1(SALU_CYCLE_1)
	s_or_b32 exec_lo, exec_lo, s3
	s_mov_b32 s2, exec_lo
	v_cmpx_ne_u32_e64 v95, v104
	s_xor_b32 s2, exec_lo, s2
	s_cbranch_execz .LBB46_457
; %bb.452:
	s_mov_b32 s3, exec_lo
	v_cmpx_eq_u32_e32 21, v95
	s_cbranch_execz .LBB46_456
; %bb.453:
	v_cmp_ne_u32_e32 vcc_lo, 21, v104
	s_xor_b32 s6, s4, -1
	s_delay_alu instid0(SALU_CYCLE_1) | instskip(NEXT) | instid1(SALU_CYCLE_1)
	s_and_b32 s7, s6, vcc_lo
	s_and_saveexec_b32 s6, s7
	s_cbranch_execz .LBB46_455
; %bb.454:
	scratch_load_b64 v[52:53], off, off offset:16 ; 8-byte Folded Reload
	v_ashrrev_i32_e32 v105, 31, v104
	s_delay_alu instid0(VALU_DEP_1) | instskip(SKIP_1) | instid1(VALU_DEP_1)
	v_lshlrev_b64 v[48:49], 2, v[104:105]
	s_waitcnt vmcnt(0)
	v_add_co_u32 v48, vcc_lo, v52, v48
	s_delay_alu instid0(VALU_DEP_2)
	v_add_co_ci_u32_e32 v49, vcc_lo, v53, v49, vcc_lo
	s_clause 0x1
	flat_load_b32 v50, v[48:49]
	flat_load_b32 v51, v[52:53] offset:84
	s_waitcnt vmcnt(1) lgkmcnt(1)
	flat_store_b32 v[52:53], v50 offset:84
	s_waitcnt vmcnt(0) lgkmcnt(1)
	flat_store_b32 v[48:49], v51
.LBB46_455:
	s_or_b32 exec_lo, exec_lo, s6
	v_mov_b32_e32 v95, v104
	v_mov_b32_e32 v78, v104
.LBB46_456:
	s_or_b32 exec_lo, exec_lo, s3
.LBB46_457:
	s_and_not1_saveexec_b32 s2, s2
	s_cbranch_execz .LBB46_459
; %bb.458:
	v_mov_b32_e32 v95, 21
	ds_store_2addr_b64 v106, v[4:5], v[6:7] offset0:44 offset1:45
	ds_store_2addr_b64 v106, v[0:1], v[2:3] offset0:46 offset1:47
.LBB46_459:
	s_or_b32 exec_lo, exec_lo, s2
	s_delay_alu instid0(SALU_CYCLE_1)
	s_mov_b32 s2, exec_lo
	s_waitcnt lgkmcnt(0)
	s_waitcnt_vscnt null, 0x0
	s_barrier
	buffer_gl0_inv
	v_cmpx_lt_i32_e32 21, v95
	s_cbranch_execz .LBB46_461
; %bb.460:
	v_mul_f64 v[48:49], v[96:97], v[10:11]
	v_mul_f64 v[10:11], v[98:99], v[10:11]
	ds_load_2addr_b64 v[113:116], v106 offset0:44 offset1:45
	ds_load_2addr_b64 v[117:120], v106 offset0:46 offset1:47
	v_fma_f64 v[48:49], v[98:99], v[8:9], v[48:49]
	v_fma_f64 v[8:9], v[96:97], v[8:9], -v[10:11]
	s_waitcnt lgkmcnt(1)
	s_delay_alu instid0(VALU_DEP_2) | instskip(SKIP_4) | instid1(VALU_DEP_4)
	v_mul_f64 v[10:11], v[115:116], v[48:49]
	v_mul_f64 v[50:51], v[113:114], v[48:49]
	s_waitcnt lgkmcnt(0)
	v_mul_f64 v[52:53], v[119:120], v[48:49]
	v_mul_f64 v[54:55], v[117:118], v[48:49]
	v_fma_f64 v[10:11], v[113:114], v[8:9], -v[10:11]
	s_delay_alu instid0(VALU_DEP_4) | instskip(NEXT) | instid1(VALU_DEP_4)
	v_fma_f64 v[50:51], v[115:116], v[8:9], v[50:51]
	v_fma_f64 v[52:53], v[117:118], v[8:9], -v[52:53]
	s_delay_alu instid0(VALU_DEP_4) | instskip(NEXT) | instid1(VALU_DEP_4)
	v_fma_f64 v[54:55], v[119:120], v[8:9], v[54:55]
	v_add_f64 v[4:5], v[4:5], -v[10:11]
	s_delay_alu instid0(VALU_DEP_4) | instskip(NEXT) | instid1(VALU_DEP_4)
	v_add_f64 v[6:7], v[6:7], -v[50:51]
	v_add_f64 v[0:1], v[0:1], -v[52:53]
	s_delay_alu instid0(VALU_DEP_4)
	v_add_f64 v[2:3], v[2:3], -v[54:55]
	v_dual_mov_b32 v10, v48 :: v_dual_mov_b32 v11, v49
.LBB46_461:
	s_or_b32 exec_lo, exec_lo, s2
	v_lshl_add_u32 v48, v95, 4, v106
	s_barrier
	buffer_gl0_inv
	v_mov_b32_e32 v104, 22
	ds_store_2addr_b64 v48, v[4:5], v[6:7] offset1:1
	s_waitcnt lgkmcnt(0)
	s_barrier
	buffer_gl0_inv
	ds_load_2addr_b64 v[96:99], v106 offset0:44 offset1:45
	s_cmp_lt_i32 s5, 24
	s_cbranch_scc1 .LBB46_464
; %bb.462:
	v_add3_u32 v105, v87, 0, 0x170
	v_mov_b32_e32 v104, 22
	s_mov_b32 s6, 23
	s_set_inst_prefetch_distance 0x1
	.p2align	6
.LBB46_463:                             ; =>This Inner Loop Header: Depth=1
	ds_load_2addr_b64 v[113:116], v105 offset1:1
	s_waitcnt lgkmcnt(1)
	v_cmp_gt_f64_e32 vcc_lo, 0, v[96:97]
	v_xor_b32_e32 v48, 0x80000000, v97
	v_cmp_gt_f64_e64 s2, 0, v[98:99]
	v_xor_b32_e32 v50, 0x80000000, v99
	v_add_nc_u32_e32 v105, 16, v105
	s_waitcnt lgkmcnt(0)
	v_cmp_gt_f64_e64 s3, 0, v[113:114]
	v_mov_b32_e32 v52, v113
	v_dual_mov_b32 v54, v115 :: v_dual_cndmask_b32 v49, v97, v48
	v_xor_b32_e32 v48, 0x80000000, v114
	v_cndmask_b32_e64 v51, v99, v50, s2
	v_xor_b32_e32 v50, 0x80000000, v116
	s_delay_alu instid0(VALU_DEP_3) | instskip(SKIP_2) | instid1(VALU_DEP_2)
	v_cndmask_b32_e64 v53, v114, v48, s3
	v_cmp_gt_f64_e64 s3, 0, v[115:116]
	v_cndmask_b32_e32 v48, v96, v96, vcc_lo
	v_cndmask_b32_e64 v55, v116, v50, s3
	v_cndmask_b32_e64 v50, v98, v98, s2
	s_delay_alu instid0(VALU_DEP_2) | instskip(NEXT) | instid1(VALU_DEP_2)
	v_add_f64 v[52:53], v[52:53], v[54:55]
	v_add_f64 v[48:49], v[48:49], v[50:51]
	s_delay_alu instid0(VALU_DEP_1) | instskip(SKIP_4) | instid1(SALU_CYCLE_1)
	v_cmp_lt_f64_e32 vcc_lo, v[48:49], v[52:53]
	v_dual_cndmask_b32 v97, v97, v114 :: v_dual_cndmask_b32 v96, v96, v113
	v_dual_cndmask_b32 v99, v99, v116 :: v_dual_cndmask_b32 v98, v98, v115
	v_cndmask_b32_e64 v104, v104, s6, vcc_lo
	s_add_i32 s6, s6, 1
	s_cmp_lg_u32 s5, s6
	s_cbranch_scc1 .LBB46_463
.LBB46_464:
	s_set_inst_prefetch_distance 0x2
	s_waitcnt lgkmcnt(0)
	v_cmp_eq_f64_e32 vcc_lo, 0, v[96:97]
	v_cmp_eq_f64_e64 s2, 0, v[98:99]
	s_delay_alu instid0(VALU_DEP_1) | instskip(NEXT) | instid1(SALU_CYCLE_1)
	s_and_b32 s2, vcc_lo, s2
	s_and_saveexec_b32 s3, s2
	s_delay_alu instid0(SALU_CYCLE_1)
	s_xor_b32 s2, exec_lo, s3
; %bb.465:
	v_cmp_ne_u32_e32 vcc_lo, 0, v86
	v_cndmask_b32_e32 v86, 23, v86, vcc_lo
; %bb.466:
	s_and_not1_saveexec_b32 s3, s2
	s_cbranch_execz .LBB46_472
; %bb.467:
	v_cmp_gt_f64_e32 vcc_lo, 0, v[96:97]
	v_cmp_gt_f64_e64 s2, 0, v[98:99]
	v_xor_b32_e32 v48, 0x80000000, v97
	v_xor_b32_e32 v50, 0x80000000, v99
	s_delay_alu instid0(VALU_DEP_2) | instskip(NEXT) | instid1(VALU_DEP_2)
	v_cndmask_b32_e32 v49, v97, v48, vcc_lo
	v_cndmask_b32_e64 v51, v99, v50, s2
	v_cndmask_b32_e32 v48, v96, v96, vcc_lo
	v_cndmask_b32_e64 v50, v98, v98, s2
	s_mov_b32 s2, exec_lo
	s_delay_alu instid0(VALU_DEP_1)
	v_cmpx_ngt_f64_e32 v[48:49], v[50:51]
	s_xor_b32 s2, exec_lo, s2
	s_cbranch_execz .LBB46_469
; %bb.468:
	v_div_scale_f64 v[48:49], null, v[98:99], v[98:99], v[96:97]
	v_div_scale_f64 v[54:55], vcc_lo, v[96:97], v[98:99], v[96:97]
	s_delay_alu instid0(VALU_DEP_2) | instskip(SKIP_2) | instid1(VALU_DEP_1)
	v_rcp_f64_e32 v[50:51], v[48:49]
	s_waitcnt_depctr 0xfff
	v_fma_f64 v[52:53], -v[48:49], v[50:51], 1.0
	v_fma_f64 v[50:51], v[50:51], v[52:53], v[50:51]
	s_delay_alu instid0(VALU_DEP_1) | instskip(NEXT) | instid1(VALU_DEP_1)
	v_fma_f64 v[52:53], -v[48:49], v[50:51], 1.0
	v_fma_f64 v[50:51], v[50:51], v[52:53], v[50:51]
	s_delay_alu instid0(VALU_DEP_1) | instskip(NEXT) | instid1(VALU_DEP_1)
	v_mul_f64 v[52:53], v[54:55], v[50:51]
	v_fma_f64 v[48:49], -v[48:49], v[52:53], v[54:55]
	s_delay_alu instid0(VALU_DEP_1) | instskip(NEXT) | instid1(VALU_DEP_1)
	v_div_fmas_f64 v[48:49], v[48:49], v[50:51], v[52:53]
	v_div_fixup_f64 v[48:49], v[48:49], v[98:99], v[96:97]
	s_delay_alu instid0(VALU_DEP_1) | instskip(NEXT) | instid1(VALU_DEP_1)
	v_fma_f64 v[50:51], v[96:97], v[48:49], v[98:99]
	v_div_scale_f64 v[52:53], null, v[50:51], v[50:51], 1.0
	s_delay_alu instid0(VALU_DEP_1) | instskip(SKIP_2) | instid1(VALU_DEP_1)
	v_rcp_f64_e32 v[54:55], v[52:53]
	s_waitcnt_depctr 0xfff
	v_fma_f64 v[96:97], -v[52:53], v[54:55], 1.0
	v_fma_f64 v[54:55], v[54:55], v[96:97], v[54:55]
	s_delay_alu instid0(VALU_DEP_1) | instskip(NEXT) | instid1(VALU_DEP_1)
	v_fma_f64 v[96:97], -v[52:53], v[54:55], 1.0
	v_fma_f64 v[54:55], v[54:55], v[96:97], v[54:55]
	v_div_scale_f64 v[96:97], vcc_lo, 1.0, v[50:51], 1.0
	s_delay_alu instid0(VALU_DEP_1) | instskip(NEXT) | instid1(VALU_DEP_1)
	v_mul_f64 v[98:99], v[96:97], v[54:55]
	v_fma_f64 v[52:53], -v[52:53], v[98:99], v[96:97]
	s_delay_alu instid0(VALU_DEP_1) | instskip(NEXT) | instid1(VALU_DEP_1)
	v_div_fmas_f64 v[52:53], v[52:53], v[54:55], v[98:99]
	v_div_fixup_f64 v[98:99], v[52:53], v[50:51], 1.0
	s_delay_alu instid0(VALU_DEP_1)
	v_mul_f64 v[96:97], v[48:49], v[98:99]
	v_xor_b32_e32 v99, 0x80000000, v99
.LBB46_469:
	s_and_not1_saveexec_b32 s2, s2
	s_cbranch_execz .LBB46_471
; %bb.470:
	s_delay_alu instid0(VALU_DEP_1) | instskip(SKIP_1) | instid1(VALU_DEP_2)
	v_div_scale_f64 v[48:49], null, v[96:97], v[96:97], v[98:99]
	v_div_scale_f64 v[54:55], vcc_lo, v[98:99], v[96:97], v[98:99]
	v_rcp_f64_e32 v[50:51], v[48:49]
	s_waitcnt_depctr 0xfff
	v_fma_f64 v[52:53], -v[48:49], v[50:51], 1.0
	s_delay_alu instid0(VALU_DEP_1) | instskip(NEXT) | instid1(VALU_DEP_1)
	v_fma_f64 v[50:51], v[50:51], v[52:53], v[50:51]
	v_fma_f64 v[52:53], -v[48:49], v[50:51], 1.0
	s_delay_alu instid0(VALU_DEP_1) | instskip(NEXT) | instid1(VALU_DEP_1)
	v_fma_f64 v[50:51], v[50:51], v[52:53], v[50:51]
	v_mul_f64 v[52:53], v[54:55], v[50:51]
	s_delay_alu instid0(VALU_DEP_1) | instskip(NEXT) | instid1(VALU_DEP_1)
	v_fma_f64 v[48:49], -v[48:49], v[52:53], v[54:55]
	v_div_fmas_f64 v[48:49], v[48:49], v[50:51], v[52:53]
	s_delay_alu instid0(VALU_DEP_1) | instskip(NEXT) | instid1(VALU_DEP_1)
	v_div_fixup_f64 v[48:49], v[48:49], v[96:97], v[98:99]
	v_fma_f64 v[50:51], v[98:99], v[48:49], v[96:97]
	s_delay_alu instid0(VALU_DEP_1) | instskip(NEXT) | instid1(VALU_DEP_1)
	v_div_scale_f64 v[52:53], null, v[50:51], v[50:51], 1.0
	v_rcp_f64_e32 v[54:55], v[52:53]
	s_waitcnt_depctr 0xfff
	v_fma_f64 v[96:97], -v[52:53], v[54:55], 1.0
	s_delay_alu instid0(VALU_DEP_1) | instskip(NEXT) | instid1(VALU_DEP_1)
	v_fma_f64 v[54:55], v[54:55], v[96:97], v[54:55]
	v_fma_f64 v[96:97], -v[52:53], v[54:55], 1.0
	s_delay_alu instid0(VALU_DEP_1) | instskip(SKIP_1) | instid1(VALU_DEP_1)
	v_fma_f64 v[54:55], v[54:55], v[96:97], v[54:55]
	v_div_scale_f64 v[96:97], vcc_lo, 1.0, v[50:51], 1.0
	v_mul_f64 v[98:99], v[96:97], v[54:55]
	s_delay_alu instid0(VALU_DEP_1) | instskip(NEXT) | instid1(VALU_DEP_1)
	v_fma_f64 v[52:53], -v[52:53], v[98:99], v[96:97]
	v_div_fmas_f64 v[52:53], v[52:53], v[54:55], v[98:99]
	s_delay_alu instid0(VALU_DEP_1) | instskip(NEXT) | instid1(VALU_DEP_1)
	v_div_fixup_f64 v[96:97], v[52:53], v[50:51], 1.0
	v_mul_f64 v[98:99], v[48:49], -v[96:97]
.LBB46_471:
	s_or_b32 exec_lo, exec_lo, s2
.LBB46_472:
	s_delay_alu instid0(SALU_CYCLE_1) | instskip(NEXT) | instid1(SALU_CYCLE_1)
	s_or_b32 exec_lo, exec_lo, s3
	s_mov_b32 s2, exec_lo
	v_cmpx_ne_u32_e64 v95, v104
	s_xor_b32 s2, exec_lo, s2
	s_cbranch_execz .LBB46_478
; %bb.473:
	s_mov_b32 s3, exec_lo
	v_cmpx_eq_u32_e32 22, v95
	s_cbranch_execz .LBB46_477
; %bb.474:
	v_cmp_ne_u32_e32 vcc_lo, 22, v104
	s_xor_b32 s6, s4, -1
	s_delay_alu instid0(SALU_CYCLE_1) | instskip(NEXT) | instid1(SALU_CYCLE_1)
	s_and_b32 s7, s6, vcc_lo
	s_and_saveexec_b32 s6, s7
	s_cbranch_execz .LBB46_476
; %bb.475:
	scratch_load_b64 v[52:53], off, off offset:16 ; 8-byte Folded Reload
	v_ashrrev_i32_e32 v105, 31, v104
	s_delay_alu instid0(VALU_DEP_1) | instskip(SKIP_1) | instid1(VALU_DEP_1)
	v_lshlrev_b64 v[48:49], 2, v[104:105]
	s_waitcnt vmcnt(0)
	v_add_co_u32 v48, vcc_lo, v52, v48
	s_delay_alu instid0(VALU_DEP_2)
	v_add_co_ci_u32_e32 v49, vcc_lo, v53, v49, vcc_lo
	s_clause 0x1
	flat_load_b32 v50, v[48:49]
	flat_load_b32 v51, v[52:53] offset:88
	s_waitcnt vmcnt(1) lgkmcnt(1)
	flat_store_b32 v[52:53], v50 offset:88
	s_waitcnt vmcnt(0) lgkmcnt(1)
	flat_store_b32 v[48:49], v51
.LBB46_476:
	s_or_b32 exec_lo, exec_lo, s6
	v_mov_b32_e32 v95, v104
	v_mov_b32_e32 v78, v104
.LBB46_477:
	s_or_b32 exec_lo, exec_lo, s3
.LBB46_478:
	s_and_not1_saveexec_b32 s2, s2
	s_cbranch_execz .LBB46_480
; %bb.479:
	v_mov_b32_e32 v95, 22
	ds_store_2addr_b64 v106, v[0:1], v[2:3] offset0:46 offset1:47
.LBB46_480:
	s_or_b32 exec_lo, exec_lo, s2
	s_delay_alu instid0(SALU_CYCLE_1)
	s_mov_b32 s2, exec_lo
	s_waitcnt lgkmcnt(0)
	s_waitcnt_vscnt null, 0x0
	s_barrier
	buffer_gl0_inv
	v_cmpx_lt_i32_e32 22, v95
	s_cbranch_execz .LBB46_482
; %bb.481:
	v_mul_f64 v[48:49], v[96:97], v[6:7]
	v_mul_f64 v[6:7], v[98:99], v[6:7]
	ds_load_2addr_b64 v[113:116], v106 offset0:46 offset1:47
	v_fma_f64 v[48:49], v[98:99], v[4:5], v[48:49]
	v_fma_f64 v[4:5], v[96:97], v[4:5], -v[6:7]
	s_waitcnt lgkmcnt(0)
	s_delay_alu instid0(VALU_DEP_2) | instskip(SKIP_1) | instid1(VALU_DEP_2)
	v_mul_f64 v[6:7], v[115:116], v[48:49]
	v_mul_f64 v[50:51], v[113:114], v[48:49]
	v_fma_f64 v[6:7], v[113:114], v[4:5], -v[6:7]
	s_delay_alu instid0(VALU_DEP_2) | instskip(NEXT) | instid1(VALU_DEP_2)
	v_fma_f64 v[50:51], v[115:116], v[4:5], v[50:51]
	v_add_f64 v[0:1], v[0:1], -v[6:7]
	s_delay_alu instid0(VALU_DEP_2)
	v_add_f64 v[2:3], v[2:3], -v[50:51]
	v_dual_mov_b32 v6, v48 :: v_dual_mov_b32 v7, v49
.LBB46_482:
	s_or_b32 exec_lo, exec_lo, s2
	v_lshl_add_u32 v48, v95, 4, v106
	s_barrier
	buffer_gl0_inv
	v_mov_b32_e32 v104, 23
	ds_store_2addr_b64 v48, v[0:1], v[2:3] offset1:1
	s_waitcnt lgkmcnt(0)
	s_barrier
	buffer_gl0_inv
	ds_load_2addr_b64 v[96:99], v106 offset0:46 offset1:47
	s_cmp_lt_i32 s5, 25
	s_cbranch_scc1 .LBB46_485
; %bb.483:
	v_add3_u32 v105, v87, 0, 0x180
	v_mov_b32_e32 v104, 23
	s_mov_b32 s6, 24
	s_set_inst_prefetch_distance 0x1
	.p2align	6
.LBB46_484:                             ; =>This Inner Loop Header: Depth=1
	ds_load_2addr_b64 v[113:116], v105 offset1:1
	s_waitcnt lgkmcnt(1)
	v_cmp_gt_f64_e32 vcc_lo, 0, v[96:97]
	v_xor_b32_e32 v48, 0x80000000, v97
	v_cmp_gt_f64_e64 s2, 0, v[98:99]
	v_xor_b32_e32 v50, 0x80000000, v99
	v_add_nc_u32_e32 v105, 16, v105
	s_waitcnt lgkmcnt(0)
	v_cmp_gt_f64_e64 s3, 0, v[113:114]
	v_mov_b32_e32 v52, v113
	v_dual_mov_b32 v54, v115 :: v_dual_cndmask_b32 v49, v97, v48
	v_xor_b32_e32 v48, 0x80000000, v114
	v_cndmask_b32_e64 v51, v99, v50, s2
	v_xor_b32_e32 v50, 0x80000000, v116
	s_delay_alu instid0(VALU_DEP_3) | instskip(SKIP_2) | instid1(VALU_DEP_2)
	v_cndmask_b32_e64 v53, v114, v48, s3
	v_cmp_gt_f64_e64 s3, 0, v[115:116]
	v_cndmask_b32_e32 v48, v96, v96, vcc_lo
	v_cndmask_b32_e64 v55, v116, v50, s3
	v_cndmask_b32_e64 v50, v98, v98, s2
	s_delay_alu instid0(VALU_DEP_2) | instskip(NEXT) | instid1(VALU_DEP_2)
	v_add_f64 v[52:53], v[52:53], v[54:55]
	v_add_f64 v[48:49], v[48:49], v[50:51]
	s_delay_alu instid0(VALU_DEP_1) | instskip(SKIP_4) | instid1(SALU_CYCLE_1)
	v_cmp_lt_f64_e32 vcc_lo, v[48:49], v[52:53]
	v_dual_cndmask_b32 v97, v97, v114 :: v_dual_cndmask_b32 v96, v96, v113
	v_dual_cndmask_b32 v99, v99, v116 :: v_dual_cndmask_b32 v98, v98, v115
	v_cndmask_b32_e64 v104, v104, s6, vcc_lo
	s_add_i32 s6, s6, 1
	s_cmp_lg_u32 s5, s6
	s_cbranch_scc1 .LBB46_484
.LBB46_485:
	s_set_inst_prefetch_distance 0x2
	s_waitcnt lgkmcnt(0)
	v_cmp_eq_f64_e32 vcc_lo, 0, v[96:97]
	v_cmp_eq_f64_e64 s2, 0, v[98:99]
	s_delay_alu instid0(VALU_DEP_1) | instskip(NEXT) | instid1(SALU_CYCLE_1)
	s_and_b32 s2, vcc_lo, s2
	s_and_saveexec_b32 s3, s2
	s_delay_alu instid0(SALU_CYCLE_1)
	s_xor_b32 s2, exec_lo, s3
; %bb.486:
	v_cmp_ne_u32_e32 vcc_lo, 0, v86
	v_cndmask_b32_e32 v86, 24, v86, vcc_lo
; %bb.487:
	s_and_not1_saveexec_b32 s3, s2
	s_cbranch_execz .LBB46_493
; %bb.488:
	v_cmp_gt_f64_e32 vcc_lo, 0, v[96:97]
	v_cmp_gt_f64_e64 s2, 0, v[98:99]
	v_xor_b32_e32 v48, 0x80000000, v97
	v_xor_b32_e32 v50, 0x80000000, v99
	s_delay_alu instid0(VALU_DEP_2) | instskip(NEXT) | instid1(VALU_DEP_2)
	v_cndmask_b32_e32 v49, v97, v48, vcc_lo
	v_cndmask_b32_e64 v51, v99, v50, s2
	v_cndmask_b32_e32 v48, v96, v96, vcc_lo
	v_cndmask_b32_e64 v50, v98, v98, s2
	s_mov_b32 s2, exec_lo
	s_delay_alu instid0(VALU_DEP_1)
	v_cmpx_ngt_f64_e32 v[48:49], v[50:51]
	s_xor_b32 s2, exec_lo, s2
	s_cbranch_execz .LBB46_490
; %bb.489:
	v_div_scale_f64 v[48:49], null, v[98:99], v[98:99], v[96:97]
	v_div_scale_f64 v[54:55], vcc_lo, v[96:97], v[98:99], v[96:97]
	s_delay_alu instid0(VALU_DEP_2) | instskip(SKIP_2) | instid1(VALU_DEP_1)
	v_rcp_f64_e32 v[50:51], v[48:49]
	s_waitcnt_depctr 0xfff
	v_fma_f64 v[52:53], -v[48:49], v[50:51], 1.0
	v_fma_f64 v[50:51], v[50:51], v[52:53], v[50:51]
	s_delay_alu instid0(VALU_DEP_1) | instskip(NEXT) | instid1(VALU_DEP_1)
	v_fma_f64 v[52:53], -v[48:49], v[50:51], 1.0
	v_fma_f64 v[50:51], v[50:51], v[52:53], v[50:51]
	s_delay_alu instid0(VALU_DEP_1) | instskip(NEXT) | instid1(VALU_DEP_1)
	v_mul_f64 v[52:53], v[54:55], v[50:51]
	v_fma_f64 v[48:49], -v[48:49], v[52:53], v[54:55]
	s_delay_alu instid0(VALU_DEP_1) | instskip(NEXT) | instid1(VALU_DEP_1)
	v_div_fmas_f64 v[48:49], v[48:49], v[50:51], v[52:53]
	v_div_fixup_f64 v[48:49], v[48:49], v[98:99], v[96:97]
	s_delay_alu instid0(VALU_DEP_1) | instskip(NEXT) | instid1(VALU_DEP_1)
	v_fma_f64 v[50:51], v[96:97], v[48:49], v[98:99]
	v_div_scale_f64 v[52:53], null, v[50:51], v[50:51], 1.0
	s_delay_alu instid0(VALU_DEP_1) | instskip(SKIP_2) | instid1(VALU_DEP_1)
	v_rcp_f64_e32 v[54:55], v[52:53]
	s_waitcnt_depctr 0xfff
	v_fma_f64 v[96:97], -v[52:53], v[54:55], 1.0
	v_fma_f64 v[54:55], v[54:55], v[96:97], v[54:55]
	s_delay_alu instid0(VALU_DEP_1) | instskip(NEXT) | instid1(VALU_DEP_1)
	v_fma_f64 v[96:97], -v[52:53], v[54:55], 1.0
	v_fma_f64 v[54:55], v[54:55], v[96:97], v[54:55]
	v_div_scale_f64 v[96:97], vcc_lo, 1.0, v[50:51], 1.0
	s_delay_alu instid0(VALU_DEP_1) | instskip(NEXT) | instid1(VALU_DEP_1)
	v_mul_f64 v[98:99], v[96:97], v[54:55]
	v_fma_f64 v[52:53], -v[52:53], v[98:99], v[96:97]
	s_delay_alu instid0(VALU_DEP_1) | instskip(NEXT) | instid1(VALU_DEP_1)
	v_div_fmas_f64 v[52:53], v[52:53], v[54:55], v[98:99]
	v_div_fixup_f64 v[98:99], v[52:53], v[50:51], 1.0
	s_delay_alu instid0(VALU_DEP_1)
	v_mul_f64 v[96:97], v[48:49], v[98:99]
	v_xor_b32_e32 v99, 0x80000000, v99
.LBB46_490:
	s_and_not1_saveexec_b32 s2, s2
	s_cbranch_execz .LBB46_492
; %bb.491:
	s_delay_alu instid0(VALU_DEP_1) | instskip(SKIP_1) | instid1(VALU_DEP_2)
	v_div_scale_f64 v[48:49], null, v[96:97], v[96:97], v[98:99]
	v_div_scale_f64 v[54:55], vcc_lo, v[98:99], v[96:97], v[98:99]
	v_rcp_f64_e32 v[50:51], v[48:49]
	s_waitcnt_depctr 0xfff
	v_fma_f64 v[52:53], -v[48:49], v[50:51], 1.0
	s_delay_alu instid0(VALU_DEP_1) | instskip(NEXT) | instid1(VALU_DEP_1)
	v_fma_f64 v[50:51], v[50:51], v[52:53], v[50:51]
	v_fma_f64 v[52:53], -v[48:49], v[50:51], 1.0
	s_delay_alu instid0(VALU_DEP_1) | instskip(NEXT) | instid1(VALU_DEP_1)
	v_fma_f64 v[50:51], v[50:51], v[52:53], v[50:51]
	v_mul_f64 v[52:53], v[54:55], v[50:51]
	s_delay_alu instid0(VALU_DEP_1) | instskip(NEXT) | instid1(VALU_DEP_1)
	v_fma_f64 v[48:49], -v[48:49], v[52:53], v[54:55]
	v_div_fmas_f64 v[48:49], v[48:49], v[50:51], v[52:53]
	s_delay_alu instid0(VALU_DEP_1) | instskip(NEXT) | instid1(VALU_DEP_1)
	v_div_fixup_f64 v[48:49], v[48:49], v[96:97], v[98:99]
	v_fma_f64 v[50:51], v[98:99], v[48:49], v[96:97]
	s_delay_alu instid0(VALU_DEP_1) | instskip(NEXT) | instid1(VALU_DEP_1)
	v_div_scale_f64 v[52:53], null, v[50:51], v[50:51], 1.0
	v_rcp_f64_e32 v[54:55], v[52:53]
	s_waitcnt_depctr 0xfff
	v_fma_f64 v[96:97], -v[52:53], v[54:55], 1.0
	s_delay_alu instid0(VALU_DEP_1) | instskip(NEXT) | instid1(VALU_DEP_1)
	v_fma_f64 v[54:55], v[54:55], v[96:97], v[54:55]
	v_fma_f64 v[96:97], -v[52:53], v[54:55], 1.0
	s_delay_alu instid0(VALU_DEP_1) | instskip(SKIP_1) | instid1(VALU_DEP_1)
	v_fma_f64 v[54:55], v[54:55], v[96:97], v[54:55]
	v_div_scale_f64 v[96:97], vcc_lo, 1.0, v[50:51], 1.0
	v_mul_f64 v[98:99], v[96:97], v[54:55]
	s_delay_alu instid0(VALU_DEP_1) | instskip(NEXT) | instid1(VALU_DEP_1)
	v_fma_f64 v[52:53], -v[52:53], v[98:99], v[96:97]
	v_div_fmas_f64 v[52:53], v[52:53], v[54:55], v[98:99]
	s_delay_alu instid0(VALU_DEP_1) | instskip(NEXT) | instid1(VALU_DEP_1)
	v_div_fixup_f64 v[96:97], v[52:53], v[50:51], 1.0
	v_mul_f64 v[98:99], v[48:49], -v[96:97]
.LBB46_492:
	s_or_b32 exec_lo, exec_lo, s2
.LBB46_493:
	s_delay_alu instid0(SALU_CYCLE_1)
	s_or_b32 exec_lo, exec_lo, s3
	v_mov_b32_e32 v105, 23
	s_mov_b32 s2, exec_lo
	v_cmpx_ne_u32_e64 v95, v104
	s_cbranch_execz .LBB46_499
; %bb.494:
	s_mov_b32 s3, exec_lo
	v_cmpx_eq_u32_e32 23, v95
	s_cbranch_execz .LBB46_498
; %bb.495:
	v_cmp_ne_u32_e32 vcc_lo, 23, v104
	s_xor_b32 s4, s4, -1
	s_delay_alu instid0(SALU_CYCLE_1) | instskip(NEXT) | instid1(SALU_CYCLE_1)
	s_and_b32 s5, s4, vcc_lo
	s_and_saveexec_b32 s4, s5
	s_cbranch_execz .LBB46_497
; %bb.496:
	scratch_load_b64 v[52:53], off, off offset:16 ; 8-byte Folded Reload
	v_ashrrev_i32_e32 v105, 31, v104
	s_delay_alu instid0(VALU_DEP_1) | instskip(SKIP_1) | instid1(VALU_DEP_1)
	v_lshlrev_b64 v[48:49], 2, v[104:105]
	s_waitcnt vmcnt(0)
	v_add_co_u32 v48, vcc_lo, v52, v48
	s_delay_alu instid0(VALU_DEP_2)
	v_add_co_ci_u32_e32 v49, vcc_lo, v53, v49, vcc_lo
	s_clause 0x1
	flat_load_b32 v50, v[48:49]
	flat_load_b32 v51, v[52:53] offset:92
	s_waitcnt vmcnt(1) lgkmcnt(1)
	flat_store_b32 v[52:53], v50 offset:92
	s_waitcnt vmcnt(0) lgkmcnt(1)
	flat_store_b32 v[48:49], v51
.LBB46_497:
	s_or_b32 exec_lo, exec_lo, s4
	v_mov_b32_e32 v95, v104
	v_mov_b32_e32 v78, v104
.LBB46_498:
	s_or_b32 exec_lo, exec_lo, s3
	s_delay_alu instid0(VALU_DEP_2)
	v_mov_b32_e32 v105, v95
.LBB46_499:
	s_or_b32 exec_lo, exec_lo, s2
	s_delay_alu instid0(SALU_CYCLE_1)
	s_mov_b32 s2, exec_lo
	s_waitcnt lgkmcnt(0)
	s_waitcnt_vscnt null, 0x0
	s_barrier
	buffer_gl0_inv
	v_cmpx_lt_i32_e32 23, v105
; %bb.500:
	v_mul_f64 v[48:49], v[98:99], v[2:3]
	v_mul_f64 v[2:3], v[96:97], v[2:3]
	s_delay_alu instid0(VALU_DEP_2) | instskip(NEXT) | instid1(VALU_DEP_2)
	v_fma_f64 v[48:49], v[96:97], v[0:1], -v[48:49]
	v_fma_f64 v[2:3], v[98:99], v[0:1], v[2:3]
	s_delay_alu instid0(VALU_DEP_2)
	v_dual_mov_b32 v0, v48 :: v_dual_mov_b32 v1, v49
; %bb.501:
	s_or_b32 exec_lo, exec_lo, s2
	s_load_b256 s[0:7], s[0:1], 0x28
	v_ashrrev_i32_e32 v106, 31, v105
	s_mov_b32 s9, exec_lo
	s_waitcnt lgkmcnt(0)
	s_barrier
	buffer_gl0_inv
	v_cmpx_gt_i32_e32 24, v105
	s_cbranch_execz .LBB46_503
; %bb.502:
	scratch_load_b64 v[52:53], off, off offset:24 ; 8-byte Folded Reload
	s_lshl_b64 s[2:3], s[2:3], 2
	s_delay_alu instid0(SALU_CYCLE_1)
	s_add_u32 s0, s2, s0
	s_addc_u32 s1, s3, s1
	s_waitcnt vmcnt(0)
	v_mul_lo_u32 v50, v53, s4
	v_mul_lo_u32 v51, v52, s5
	v_mad_u64_u32 v[48:49], null, v52, s4, 0
	s_delay_alu instid0(VALU_DEP_1) | instskip(SKIP_1) | instid1(VALU_DEP_2)
	v_add3_u32 v49, v49, v51, v50
	v_lshlrev_b64 v[50:51], 2, v[105:106]
	v_lshlrev_b64 v[48:49], 2, v[48:49]
	s_delay_alu instid0(VALU_DEP_1) | instskip(NEXT) | instid1(VALU_DEP_2)
	v_add_co_u32 v48, vcc_lo, s0, v48
	v_add_co_ci_u32_e32 v49, vcc_lo, s1, v49, vcc_lo
	s_delay_alu instid0(VALU_DEP_2) | instskip(NEXT) | instid1(VALU_DEP_2)
	v_add_co_u32 v48, vcc_lo, v48, v50
	v_add_co_ci_u32_e32 v49, vcc_lo, v49, v51, vcc_lo
	v_add3_u32 v50, v78, s13, 1
	global_store_b32 v[48:49], v50, off
.LBB46_503:
	s_or_b32 exec_lo, exec_lo, s9
	s_delay_alu instid0(SALU_CYCLE_1)
	s_mov_b32 s1, exec_lo
	v_cmpx_eq_u32_e32 0, v105
	s_cbranch_execz .LBB46_506
; %bb.504:
	scratch_load_b64 v[48:49], off, off offset:24 ; 8-byte Folded Reload
	v_cmp_lt_i32_e64 s0, 0, v86
	s_waitcnt vmcnt(0)
	v_lshlrev_b64 v[48:49], 2, v[48:49]
	s_delay_alu instid0(VALU_DEP_1) | instskip(NEXT) | instid1(VALU_DEP_2)
	v_add_co_u32 v96, vcc_lo, s6, v48
	v_add_co_ci_u32_e32 v97, vcc_lo, s7, v49, vcc_lo
	global_load_b32 v48, v[96:97], off
	s_waitcnt vmcnt(0)
	v_cmp_eq_u32_e32 vcc_lo, 0, v48
	s_and_b32 s0, vcc_lo, s0
	s_delay_alu instid0(SALU_CYCLE_1)
	s_and_b32 exec_lo, exec_lo, s0
	s_cbranch_execz .LBB46_506
; %bb.505:
	v_add_nc_u32_e32 v48, s13, v86
	global_store_b32 v[96:97], v48, off
.LBB46_506:
	s_or_b32 exec_lo, exec_lo, s1
	v_add3_u32 v48, s8, s8, v105
	v_lshlrev_b64 v[50:51], 4, v[105:106]
	s_delay_alu instid0(VALU_DEP_2) | instskip(SKIP_1) | instid1(VALU_DEP_3)
	v_add_nc_u32_e32 v52, s8, v48
	v_ashrrev_i32_e32 v49, 31, v48
	v_add_co_u32 v50, vcc_lo, v94, v50
	s_delay_alu instid0(VALU_DEP_4) | instskip(NEXT) | instid1(VALU_DEP_4)
	v_add_co_ci_u32_e32 v51, vcc_lo, v255, v51, vcc_lo
	v_ashrrev_i32_e32 v53, 31, v52
	s_delay_alu instid0(VALU_DEP_4) | instskip(NEXT) | instid1(VALU_DEP_4)
	v_lshlrev_b64 v[48:49], 4, v[48:49]
	v_add_co_u32 v54, vcc_lo, v50, s10
	s_delay_alu instid0(VALU_DEP_4)
	v_add_co_ci_u32_e32 v55, vcc_lo, s11, v51, vcc_lo
	global_store_b128 v[50:51], v[90:93], off
	v_lshlrev_b64 v[50:51], 4, v[52:53]
	v_add_co_u32 v48, vcc_lo, v94, v48
	v_add_co_ci_u32_e32 v49, vcc_lo, v255, v49, vcc_lo
	global_store_b128 v[54:55], v[239:242], off
	v_add_co_u32 v50, vcc_lo, v94, v50
	v_add_co_ci_u32_e32 v51, vcc_lo, v255, v51, vcc_lo
	s_clause 0x1
	global_store_b128 v[48:49], v[251:254], off
	global_store_b128 v[50:51], v[107:110], off
	scratch_load_b128 v[76:79], off, off    ; 16-byte Folded Reload
	v_add_nc_u32_e32 v52, s8, v52
	s_delay_alu instid0(VALU_DEP_1) | instskip(SKIP_1) | instid1(VALU_DEP_2)
	v_add_nc_u32_e32 v54, s8, v52
	v_ashrrev_i32_e32 v53, 31, v52
	v_add_nc_u32_e32 v96, s8, v54
	v_ashrrev_i32_e32 v55, 31, v54
	s_delay_alu instid0(VALU_DEP_3) | instskip(NEXT) | instid1(VALU_DEP_3)
	v_lshlrev_b64 v[52:53], 4, v[52:53]
	v_ashrrev_i32_e32 v97, 31, v96
	s_delay_alu instid0(VALU_DEP_3) | instskip(SKIP_1) | instid1(VALU_DEP_4)
	v_lshlrev_b64 v[48:49], 4, v[54:55]
	v_add_nc_u32_e32 v54, s8, v96
	v_add_co_u32 v50, vcc_lo, v94, v52
	v_add_co_ci_u32_e32 v51, vcc_lo, v255, v53, vcc_lo
	v_lshlrev_b64 v[52:53], 4, v[96:97]
	v_add_co_u32 v48, vcc_lo, v94, v48
	v_add_co_ci_u32_e32 v49, vcc_lo, v255, v49, vcc_lo
	v_add_nc_u32_e32 v88, s8, v54
	s_delay_alu instid0(VALU_DEP_4) | instskip(SKIP_2) | instid1(VALU_DEP_4)
	v_add_co_u32 v52, vcc_lo, v94, v52
	v_add_co_ci_u32_e32 v53, vcc_lo, v255, v53, vcc_lo
	v_ashrrev_i32_e32 v55, 31, v54
	v_ashrrev_i32_e32 v89, 31, v88
	s_clause 0x1
	global_store_b128 v[50:51], v[243:246], off
	global_store_b128 v[48:49], v[247:250], off
	v_lshlrev_b64 v[50:51], 4, v[54:55]
	v_lshlrev_b64 v[48:49], 4, v[88:89]
	s_delay_alu instid0(VALU_DEP_2) | instskip(NEXT) | instid1(VALU_DEP_3)
	v_add_co_u32 v50, vcc_lo, v94, v50
	v_add_co_ci_u32_e32 v51, vcc_lo, v255, v51, vcc_lo
	s_delay_alu instid0(VALU_DEP_3) | instskip(NEXT) | instid1(VALU_DEP_4)
	v_add_co_u32 v48, vcc_lo, v94, v48
	v_add_co_ci_u32_e32 v49, vcc_lo, v255, v49, vcc_lo
	s_waitcnt vmcnt(0)
	global_store_b128 v[52:53], v[76:79], off
	v_add_nc_u32_e32 v52, s8, v88
	s_clause 0x1
	global_store_b128 v[50:51], v[68:71], off
	global_store_b128 v[48:49], v[72:75], off
	v_add_nc_u32_e32 v54, s8, v52
	v_ashrrev_i32_e32 v53, 31, v52
	s_delay_alu instid0(VALU_DEP_2) | instskip(SKIP_1) | instid1(VALU_DEP_3)
	v_add_nc_u32_e32 v76, s8, v54
	v_ashrrev_i32_e32 v55, 31, v54
	v_lshlrev_b64 v[52:53], 4, v[52:53]
	s_delay_alu instid0(VALU_DEP_3) | instskip(NEXT) | instid1(VALU_DEP_3)
	v_ashrrev_i32_e32 v77, 31, v76
	v_lshlrev_b64 v[48:49], 4, v[54:55]
	v_add_nc_u32_e32 v54, s8, v76
	s_delay_alu instid0(VALU_DEP_4)
	v_add_co_u32 v50, vcc_lo, v94, v52
	v_add_co_ci_u32_e32 v51, vcc_lo, v255, v53, vcc_lo
	v_lshlrev_b64 v[52:53], 4, v[76:77]
	v_add_co_u32 v48, vcc_lo, v94, v48
	v_add_co_ci_u32_e32 v49, vcc_lo, v255, v49, vcc_lo
	v_add_nc_u32_e32 v68, s8, v54
	s_delay_alu instid0(VALU_DEP_4) | instskip(SKIP_2) | instid1(VALU_DEP_4)
	v_add_co_u32 v52, vcc_lo, v94, v52
	v_add_co_ci_u32_e32 v53, vcc_lo, v255, v53, vcc_lo
	v_ashrrev_i32_e32 v55, 31, v54
	v_ashrrev_i32_e32 v69, 31, v68
	s_clause 0x2
	global_store_b128 v[50:51], v[56:59], off
	global_store_b128 v[48:49], v[64:67], off
	;; [unrolled: 1-line block ×3, first 2 shown]
	v_add_nc_u32_e32 v52, s8, v68
	v_lshlrev_b64 v[50:51], 4, v[54:55]
	v_lshlrev_b64 v[48:49], 4, v[68:69]
	s_delay_alu instid0(VALU_DEP_3) | instskip(SKIP_1) | instid1(VALU_DEP_4)
	v_add_nc_u32_e32 v54, s8, v52
	v_ashrrev_i32_e32 v53, 31, v52
	v_add_co_u32 v50, vcc_lo, v94, v50
	v_add_co_ci_u32_e32 v51, vcc_lo, v255, v51, vcc_lo
	s_delay_alu instid0(VALU_DEP_4)
	v_add_nc_u32_e32 v56, s8, v54
	v_add_co_u32 v48, vcc_lo, v94, v48
	v_ashrrev_i32_e32 v55, 31, v54
	v_add_co_ci_u32_e32 v49, vcc_lo, v255, v49, vcc_lo
	v_lshlrev_b64 v[52:53], 4, v[52:53]
	v_ashrrev_i32_e32 v57, 31, v56
	s_clause 0x1
	global_store_b128 v[50:51], v[44:47], off
	global_store_b128 v[48:49], v[40:43], off
	v_lshlrev_b64 v[40:41], 4, v[54:55]
	v_add_nc_u32_e32 v46, s8, v56
	v_add_co_u32 v42, vcc_lo, v94, v52
	v_lshlrev_b64 v[44:45], 4, v[56:57]
	v_add_co_ci_u32_e32 v43, vcc_lo, v255, v53, vcc_lo
	v_add_co_u32 v40, vcc_lo, v94, v40
	v_add_nc_u32_e32 v48, s8, v46
	v_add_co_ci_u32_e32 v41, vcc_lo, v255, v41, vcc_lo
	v_ashrrev_i32_e32 v47, 31, v46
	v_add_co_u32 v44, vcc_lo, v94, v44
	v_add_co_ci_u32_e32 v45, vcc_lo, v255, v45, vcc_lo
	v_ashrrev_i32_e32 v49, 31, v48
	global_store_b128 v[42:43], v[32:35], off
	v_lshlrev_b64 v[32:33], 4, v[46:47]
	s_clause 0x1
	global_store_b128 v[40:41], v[28:31], off
	global_store_b128 v[44:45], v[36:39], off
	v_add_nc_u32_e32 v30, s8, v48
	v_lshlrev_b64 v[28:29], 4, v[48:49]
	v_add_co_u32 v32, vcc_lo, v94, v32
	s_delay_alu instid0(VALU_DEP_3) | instskip(SKIP_1) | instid1(VALU_DEP_4)
	v_add_nc_u32_e32 v34, s8, v30
	v_add_co_ci_u32_e32 v33, vcc_lo, v255, v33, vcc_lo
	v_add_co_u32 v28, vcc_lo, v94, v28
	v_add_co_ci_u32_e32 v29, vcc_lo, v255, v29, vcc_lo
	s_delay_alu instid0(VALU_DEP_4)
	v_add_nc_u32_e32 v36, s8, v34
	v_ashrrev_i32_e32 v31, 31, v30
	s_clause 0x1
	global_store_b128 v[32:33], v[20:23], off
	global_store_b128 v[28:29], v[24:27], off
	v_ashrrev_i32_e32 v35, 31, v34
	v_add_nc_u32_e32 v24, s8, v36
	v_lshlrev_b64 v[20:21], 4, v[30:31]
	v_ashrrev_i32_e32 v37, 31, v36
	s_delay_alu instid0(VALU_DEP_4) | instskip(NEXT) | instid1(VALU_DEP_4)
	v_lshlrev_b64 v[22:23], 4, v[34:35]
	v_add_nc_u32_e32 v28, s8, v24
	v_ashrrev_i32_e32 v25, 31, v24
	v_add_co_u32 v20, vcc_lo, v94, v20
	v_lshlrev_b64 v[26:27], 4, v[36:37]
	s_delay_alu instid0(VALU_DEP_4)
	v_ashrrev_i32_e32 v29, 31, v28
	v_add_co_ci_u32_e32 v21, vcc_lo, v255, v21, vcc_lo
	v_add_co_u32 v22, vcc_lo, v94, v22
	v_lshlrev_b64 v[24:25], 4, v[24:25]
	v_add_co_ci_u32_e32 v23, vcc_lo, v255, v23, vcc_lo
	v_add_co_u32 v26, vcc_lo, v94, v26
	v_lshlrev_b64 v[28:29], 4, v[28:29]
	v_add_co_ci_u32_e32 v27, vcc_lo, v255, v27, vcc_lo
	v_add_co_u32 v24, vcc_lo, v94, v24
	v_add_co_ci_u32_e32 v25, vcc_lo, v255, v25, vcc_lo
	s_delay_alu instid0(VALU_DEP_4)
	v_add_co_u32 v28, vcc_lo, v94, v28
	v_add_co_ci_u32_e32 v29, vcc_lo, v255, v29, vcc_lo
	s_clause 0x4
	global_store_b128 v[20:21], v[16:19], off
	global_store_b128 v[22:23], v[12:15], off
	;; [unrolled: 1-line block ×5, first 2 shown]
.LBB46_507:
	s_nop 0
	s_sendmsg sendmsg(MSG_DEALLOC_VGPRS)
	s_endpgm
	.section	.rodata,"a",@progbits
	.p2align	6, 0x0
	.amdhsa_kernel _ZN9rocsolver6v33100L18getf2_small_kernelILi24E19rocblas_complex_numIdEiiPKPS3_EEvT1_T3_lS7_lPS7_llPT2_S7_S7_S9_l
		.amdhsa_group_segment_fixed_size 0
		.amdhsa_private_segment_fixed_size 52
		.amdhsa_kernarg_size 352
		.amdhsa_user_sgpr_count 14
		.amdhsa_user_sgpr_dispatch_ptr 0
		.amdhsa_user_sgpr_queue_ptr 0
		.amdhsa_user_sgpr_kernarg_segment_ptr 1
		.amdhsa_user_sgpr_dispatch_id 0
		.amdhsa_user_sgpr_private_segment_size 0
		.amdhsa_wavefront_size32 1
		.amdhsa_uses_dynamic_stack 0
		.amdhsa_enable_private_segment 1
		.amdhsa_system_sgpr_workgroup_id_x 1
		.amdhsa_system_sgpr_workgroup_id_y 1
		.amdhsa_system_sgpr_workgroup_id_z 0
		.amdhsa_system_sgpr_workgroup_info 0
		.amdhsa_system_vgpr_workitem_id 1
		.amdhsa_next_free_vgpr 256
		.amdhsa_next_free_sgpr 16
		.amdhsa_reserve_vcc 1
		.amdhsa_float_round_mode_32 0
		.amdhsa_float_round_mode_16_64 0
		.amdhsa_float_denorm_mode_32 3
		.amdhsa_float_denorm_mode_16_64 3
		.amdhsa_dx10_clamp 1
		.amdhsa_ieee_mode 1
		.amdhsa_fp16_overflow 0
		.amdhsa_workgroup_processor_mode 1
		.amdhsa_memory_ordered 1
		.amdhsa_forward_progress 0
		.amdhsa_shared_vgpr_count 0
		.amdhsa_exception_fp_ieee_invalid_op 0
		.amdhsa_exception_fp_denorm_src 0
		.amdhsa_exception_fp_ieee_div_zero 0
		.amdhsa_exception_fp_ieee_overflow 0
		.amdhsa_exception_fp_ieee_underflow 0
		.amdhsa_exception_fp_ieee_inexact 0
		.amdhsa_exception_int_div_zero 0
	.end_amdhsa_kernel
	.section	.text._ZN9rocsolver6v33100L18getf2_small_kernelILi24E19rocblas_complex_numIdEiiPKPS3_EEvT1_T3_lS7_lPS7_llPT2_S7_S7_S9_l,"axG",@progbits,_ZN9rocsolver6v33100L18getf2_small_kernelILi24E19rocblas_complex_numIdEiiPKPS3_EEvT1_T3_lS7_lPS7_llPT2_S7_S7_S9_l,comdat
.Lfunc_end46:
	.size	_ZN9rocsolver6v33100L18getf2_small_kernelILi24E19rocblas_complex_numIdEiiPKPS3_EEvT1_T3_lS7_lPS7_llPT2_S7_S7_S9_l, .Lfunc_end46-_ZN9rocsolver6v33100L18getf2_small_kernelILi24E19rocblas_complex_numIdEiiPKPS3_EEvT1_T3_lS7_lPS7_llPT2_S7_S7_S9_l
                                        ; -- End function
	.section	.AMDGPU.csdata,"",@progbits
; Kernel info:
; codeLenInByte = 49924
; NumSgprs: 18
; NumVgprs: 256
; ScratchSize: 52
; MemoryBound: 0
; FloatMode: 240
; IeeeMode: 1
; LDSByteSize: 0 bytes/workgroup (compile time only)
; SGPRBlocks: 2
; VGPRBlocks: 31
; NumSGPRsForWavesPerEU: 18
; NumVGPRsForWavesPerEU: 256
; Occupancy: 5
; WaveLimiterHint : 1
; COMPUTE_PGM_RSRC2:SCRATCH_EN: 1
; COMPUTE_PGM_RSRC2:USER_SGPR: 14
; COMPUTE_PGM_RSRC2:TRAP_HANDLER: 0
; COMPUTE_PGM_RSRC2:TGID_X_EN: 1
; COMPUTE_PGM_RSRC2:TGID_Y_EN: 1
; COMPUTE_PGM_RSRC2:TGID_Z_EN: 0
; COMPUTE_PGM_RSRC2:TIDIG_COMP_CNT: 1
	.section	.text._ZN9rocsolver6v33100L23getf2_npvt_small_kernelILi24E19rocblas_complex_numIdEiiPKPS3_EEvT1_T3_lS7_lPT2_S7_S7_,"axG",@progbits,_ZN9rocsolver6v33100L23getf2_npvt_small_kernelILi24E19rocblas_complex_numIdEiiPKPS3_EEvT1_T3_lS7_lPT2_S7_S7_,comdat
	.globl	_ZN9rocsolver6v33100L23getf2_npvt_small_kernelILi24E19rocblas_complex_numIdEiiPKPS3_EEvT1_T3_lS7_lPT2_S7_S7_ ; -- Begin function _ZN9rocsolver6v33100L23getf2_npvt_small_kernelILi24E19rocblas_complex_numIdEiiPKPS3_EEvT1_T3_lS7_lPT2_S7_S7_
	.p2align	8
	.type	_ZN9rocsolver6v33100L23getf2_npvt_small_kernelILi24E19rocblas_complex_numIdEiiPKPS3_EEvT1_T3_lS7_lPT2_S7_S7_,@function
_ZN9rocsolver6v33100L23getf2_npvt_small_kernelILi24E19rocblas_complex_numIdEiiPKPS3_EEvT1_T3_lS7_lPT2_S7_S7_: ; @_ZN9rocsolver6v33100L23getf2_npvt_small_kernelILi24E19rocblas_complex_numIdEiiPKPS3_EEvT1_T3_lS7_lPT2_S7_S7_
; %bb.0:
	s_clause 0x1
	s_load_b32 s2, s[0:1], 0x44
	s_load_b64 s[8:9], s[0:1], 0x30
	v_bfe_u32 v96, v0, 10, 10
	s_waitcnt lgkmcnt(0)
	s_lshr_b32 s10, s2, 16
	s_mov_b32 s2, exec_lo
	s_delay_alu instid0(VALU_DEP_1) | instskip(NEXT) | instid1(VALU_DEP_1)
	v_mad_u64_u32 v[192:193], null, s15, s10, v[96:97]
	v_cmpx_gt_i32_e64 s8, v192
	s_cbranch_execz .LBB47_221
; %bb.1:
	s_clause 0x1
	s_load_b128 s[4:7], s[0:1], 0x8
	s_load_b32 s2, s[0:1], 0x18
	v_ashrrev_i32_e32 v193, 31, v192
	v_and_b32_e32 v244, 0x3ff, v0
	v_lshlrev_b32_e32 v97, 4, v96
	s_mulk_i32 s10, 0x180
	v_mad_u32_u24 v246, 0x180, v96, 0
	v_lshlrev_b64 v[1:2], 3, v[192:193]
	v_lshlrev_b32_e32 v47, 4, v244
	v_add3_u32 v245, 0, s10, v97
	s_waitcnt lgkmcnt(0)
	s_delay_alu instid0(VALU_DEP_3) | instskip(NEXT) | instid1(VALU_DEP_4)
	v_add_co_u32 v1, vcc_lo, s4, v1
	v_add_co_ci_u32_e32 v2, vcc_lo, s5, v2, vcc_lo
	v_add3_u32 v3, s2, s2, v244
	s_lshl_b64 s[4:5], s[6:7], 4
	s_ashr_i32 s3, s2, 31
	global_load_b64 v[1:2], v[1:2], off
	s_lshl_b64 s[6:7], s[2:3], 4
	v_add_nc_u32_e32 v5, s2, v3
	v_ashrrev_i32_e32 v4, 31, v3
	v_cmp_ne_u32_e64 s3, 0, v244
	s_delay_alu instid0(VALU_DEP_3) | instskip(SKIP_1) | instid1(VALU_DEP_4)
	v_add_nc_u32_e32 v7, s2, v5
	v_ashrrev_i32_e32 v6, 31, v5
	v_lshlrev_b64 v[3:4], 4, v[3:4]
	s_delay_alu instid0(VALU_DEP_3) | instskip(SKIP_1) | instid1(VALU_DEP_4)
	v_add_nc_u32_e32 v9, s2, v7
	v_ashrrev_i32_e32 v8, 31, v7
	v_lshlrev_b64 v[5:6], 4, v[5:6]
	;; [unrolled: 4-line block ×20, first 2 shown]
	v_cmp_eq_u32_e64 s2, 0, v244
	s_delay_alu instid0(VALU_DEP_4) | instskip(NEXT) | instid1(VALU_DEP_4)
	v_ashrrev_i32_e32 v46, 31, v45
	v_lshlrev_b64 v[43:44], 4, v[43:44]
	s_waitcnt vmcnt(0)
	v_add_co_u32 v48, vcc_lo, v1, s4
	v_add_co_ci_u32_e32 v2, vcc_lo, s5, v2, vcc_lo
	v_lshlrev_b64 v[0:1], 4, v[45:46]
	s_delay_alu instid0(VALU_DEP_3) | instskip(NEXT) | instid1(VALU_DEP_3)
	v_add_co_u32 v238, vcc_lo, v48, v47
	v_add_co_ci_u32_e32 v239, vcc_lo, 0, v2, vcc_lo
	v_add_co_u32 v236, vcc_lo, v48, v3
	v_add_co_ci_u32_e32 v237, vcc_lo, v2, v4, vcc_lo
	;; [unrolled: 2-line block ×24, first 2 shown]
	s_clause 0x17
	global_load_b128 v[84:87], v[236:237], off
	global_load_b128 v[80:83], v[234:235], off
	global_load_b128 v[76:79], v[232:233], off
	global_load_b128 v[72:75], v[230:231], off
	global_load_b128 v[68:71], v[228:229], off
	global_load_b128 v[64:67], v[226:227], off
	global_load_b128 v[60:63], v[224:225], off
	global_load_b128 v[56:59], v[222:223], off
	global_load_b128 v[52:55], v[220:221], off
	global_load_b128 v[48:51], v[218:219], off
	global_load_b128 v[44:47], v[216:217], off
	global_load_b128 v[40:43], v[214:215], off
	global_load_b128 v[36:39], v[212:213], off
	global_load_b128 v[32:35], v[210:211], off
	global_load_b128 v[28:31], v[208:209], off
	global_load_b128 v[24:27], v[206:207], off
	global_load_b128 v[20:23], v[204:205], off
	global_load_b128 v[16:19], v[202:203], off
	global_load_b128 v[12:15], v[200:201], off
	global_load_b128 v[8:11], v[198:199], off
	global_load_b128 v[92:95], v[238:239], off
	global_load_b128 v[88:91], v[240:241], off
	global_load_b128 v[4:7], v[196:197], off
	global_load_b128 v[0:3], v[194:195], off
	s_and_saveexec_b32 s5, s2
	s_cbranch_execz .LBB47_8
; %bb.2:
	s_waitcnt vmcnt(3)
	ds_store_2addr_b64 v245, v[92:93], v[94:95] offset1:1
	s_waitcnt vmcnt(2)
	ds_store_2addr_b64 v246, v[88:89], v[90:91] offset0:2 offset1:3
	ds_store_2addr_b64 v246, v[84:85], v[86:87] offset0:4 offset1:5
	;; [unrolled: 1-line block ×21, first 2 shown]
	s_waitcnt vmcnt(1)
	ds_store_2addr_b64 v246, v[4:5], v[6:7] offset0:44 offset1:45
	s_waitcnt vmcnt(0)
	ds_store_2addr_b64 v246, v[0:1], v[2:3] offset0:46 offset1:47
	ds_load_2addr_b64 v[96:99], v245 offset1:1
	s_waitcnt lgkmcnt(0)
	v_cmp_neq_f64_e32 vcc_lo, 0, v[96:97]
	v_cmp_neq_f64_e64 s4, 0, v[98:99]
	s_delay_alu instid0(VALU_DEP_1) | instskip(NEXT) | instid1(SALU_CYCLE_1)
	s_or_b32 s4, vcc_lo, s4
	s_and_b32 exec_lo, exec_lo, s4
	s_cbranch_execz .LBB47_8
; %bb.3:
	v_cmp_gt_f64_e32 vcc_lo, 0, v[96:97]
	v_cmp_gt_f64_e64 s4, 0, v[98:99]
	v_xor_b32_e32 v100, 0x80000000, v97
	v_xor_b32_e32 v102, 0x80000000, v99
                                        ; implicit-def: $vgpr104_vgpr105
	s_delay_alu instid0(VALU_DEP_2) | instskip(NEXT) | instid1(VALU_DEP_2)
	v_cndmask_b32_e32 v101, v97, v100, vcc_lo
	v_cndmask_b32_e64 v103, v99, v102, s4
	v_cndmask_b32_e32 v100, v96, v96, vcc_lo
	v_cndmask_b32_e64 v102, v98, v98, s4
	s_mov_b32 s4, exec_lo
	s_delay_alu instid0(VALU_DEP_1)
	v_cmpx_ngt_f64_e32 v[100:101], v[102:103]
	s_xor_b32 s4, exec_lo, s4
                                        ; implicit-def: $vgpr100_vgpr101_vgpr102_vgpr103
	s_cbranch_execz .LBB47_5
; %bb.4:
	v_div_scale_f64 v[100:101], null, v[98:99], v[98:99], v[96:97]
	v_div_scale_f64 v[106:107], vcc_lo, v[96:97], v[98:99], v[96:97]
	s_delay_alu instid0(VALU_DEP_2) | instskip(SKIP_2) | instid1(VALU_DEP_1)
	v_rcp_f64_e32 v[102:103], v[100:101]
	s_waitcnt_depctr 0xfff
	v_fma_f64 v[104:105], -v[100:101], v[102:103], 1.0
	v_fma_f64 v[102:103], v[102:103], v[104:105], v[102:103]
	s_delay_alu instid0(VALU_DEP_1) | instskip(NEXT) | instid1(VALU_DEP_1)
	v_fma_f64 v[104:105], -v[100:101], v[102:103], 1.0
	v_fma_f64 v[102:103], v[102:103], v[104:105], v[102:103]
	s_delay_alu instid0(VALU_DEP_1) | instskip(NEXT) | instid1(VALU_DEP_1)
	v_mul_f64 v[104:105], v[106:107], v[102:103]
	v_fma_f64 v[100:101], -v[100:101], v[104:105], v[106:107]
	s_delay_alu instid0(VALU_DEP_1) | instskip(NEXT) | instid1(VALU_DEP_1)
	v_div_fmas_f64 v[100:101], v[100:101], v[102:103], v[104:105]
	v_div_fixup_f64 v[100:101], v[100:101], v[98:99], v[96:97]
	s_delay_alu instid0(VALU_DEP_1) | instskip(NEXT) | instid1(VALU_DEP_1)
	v_fma_f64 v[96:97], v[96:97], v[100:101], v[98:99]
	v_div_scale_f64 v[98:99], null, v[96:97], v[96:97], 1.0
	s_delay_alu instid0(VALU_DEP_1) | instskip(SKIP_2) | instid1(VALU_DEP_1)
	v_rcp_f64_e32 v[102:103], v[98:99]
	s_waitcnt_depctr 0xfff
	v_fma_f64 v[104:105], -v[98:99], v[102:103], 1.0
	v_fma_f64 v[102:103], v[102:103], v[104:105], v[102:103]
	s_delay_alu instid0(VALU_DEP_1) | instskip(NEXT) | instid1(VALU_DEP_1)
	v_fma_f64 v[104:105], -v[98:99], v[102:103], 1.0
	v_fma_f64 v[102:103], v[102:103], v[104:105], v[102:103]
	v_div_scale_f64 v[104:105], vcc_lo, 1.0, v[96:97], 1.0
	s_delay_alu instid0(VALU_DEP_1) | instskip(NEXT) | instid1(VALU_DEP_1)
	v_mul_f64 v[106:107], v[104:105], v[102:103]
	v_fma_f64 v[98:99], -v[98:99], v[106:107], v[104:105]
	s_delay_alu instid0(VALU_DEP_1) | instskip(NEXT) | instid1(VALU_DEP_1)
	v_div_fmas_f64 v[98:99], v[98:99], v[102:103], v[106:107]
	v_div_fixup_f64 v[102:103], v[98:99], v[96:97], 1.0
                                        ; implicit-def: $vgpr96_vgpr97
	s_delay_alu instid0(VALU_DEP_1)
	v_mul_f64 v[104:105], v[100:101], v[102:103]
	v_xor_b32_e32 v103, 0x80000000, v103
.LBB47_5:
	s_and_not1_saveexec_b32 s4, s4
	s_cbranch_execz .LBB47_7
; %bb.6:
	v_div_scale_f64 v[100:101], null, v[96:97], v[96:97], v[98:99]
	v_div_scale_f64 v[106:107], vcc_lo, v[98:99], v[96:97], v[98:99]
	s_delay_alu instid0(VALU_DEP_2) | instskip(SKIP_2) | instid1(VALU_DEP_1)
	v_rcp_f64_e32 v[102:103], v[100:101]
	s_waitcnt_depctr 0xfff
	v_fma_f64 v[104:105], -v[100:101], v[102:103], 1.0
	v_fma_f64 v[102:103], v[102:103], v[104:105], v[102:103]
	s_delay_alu instid0(VALU_DEP_1) | instskip(NEXT) | instid1(VALU_DEP_1)
	v_fma_f64 v[104:105], -v[100:101], v[102:103], 1.0
	v_fma_f64 v[102:103], v[102:103], v[104:105], v[102:103]
	s_delay_alu instid0(VALU_DEP_1) | instskip(NEXT) | instid1(VALU_DEP_1)
	v_mul_f64 v[104:105], v[106:107], v[102:103]
	v_fma_f64 v[100:101], -v[100:101], v[104:105], v[106:107]
	s_delay_alu instid0(VALU_DEP_1) | instskip(NEXT) | instid1(VALU_DEP_1)
	v_div_fmas_f64 v[100:101], v[100:101], v[102:103], v[104:105]
	v_div_fixup_f64 v[100:101], v[100:101], v[96:97], v[98:99]
	s_delay_alu instid0(VALU_DEP_1) | instskip(NEXT) | instid1(VALU_DEP_1)
	v_fma_f64 v[96:97], v[98:99], v[100:101], v[96:97]
	v_div_scale_f64 v[98:99], null, v[96:97], v[96:97], 1.0
	s_delay_alu instid0(VALU_DEP_1) | instskip(SKIP_2) | instid1(VALU_DEP_1)
	v_rcp_f64_e32 v[102:103], v[98:99]
	s_waitcnt_depctr 0xfff
	v_fma_f64 v[104:105], -v[98:99], v[102:103], 1.0
	v_fma_f64 v[102:103], v[102:103], v[104:105], v[102:103]
	s_delay_alu instid0(VALU_DEP_1) | instskip(NEXT) | instid1(VALU_DEP_1)
	v_fma_f64 v[104:105], -v[98:99], v[102:103], 1.0
	v_fma_f64 v[102:103], v[102:103], v[104:105], v[102:103]
	v_div_scale_f64 v[104:105], vcc_lo, 1.0, v[96:97], 1.0
	s_delay_alu instid0(VALU_DEP_1) | instskip(NEXT) | instid1(VALU_DEP_1)
	v_mul_f64 v[106:107], v[104:105], v[102:103]
	v_fma_f64 v[98:99], -v[98:99], v[106:107], v[104:105]
	s_delay_alu instid0(VALU_DEP_1) | instskip(NEXT) | instid1(VALU_DEP_1)
	v_div_fmas_f64 v[98:99], v[98:99], v[102:103], v[106:107]
	v_div_fixup_f64 v[104:105], v[98:99], v[96:97], 1.0
	s_delay_alu instid0(VALU_DEP_1)
	v_mul_f64 v[102:103], v[100:101], -v[104:105]
.LBB47_7:
	s_or_b32 exec_lo, exec_lo, s4
	ds_store_2addr_b64 v245, v[104:105], v[102:103] offset1:1
.LBB47_8:
	s_or_b32 exec_lo, exec_lo, s5
	s_waitcnt vmcnt(0) lgkmcnt(0)
	s_barrier
	buffer_gl0_inv
	ds_load_2addr_b64 v[96:99], v245 offset1:1
	s_and_saveexec_b32 s4, s3
	s_cbranch_execz .LBB47_10
; %bb.9:
	s_waitcnt lgkmcnt(0)
	v_mul_f64 v[100:101], v[96:97], v[94:95]
	v_mul_f64 v[116:117], v[98:99], v[94:95]
	s_delay_alu instid0(VALU_DEP_2)
	v_fma_f64 v[94:95], v[98:99], v[92:93], v[100:101]
	ds_load_2addr_b64 v[100:103], v246 offset0:2 offset1:3
	ds_load_2addr_b64 v[104:107], v246 offset0:4 offset1:5
	;; [unrolled: 1-line block ×4, first 2 shown]
	v_fma_f64 v[92:93], v[96:97], v[92:93], -v[116:117]
	ds_load_2addr_b64 v[116:119], v246 offset0:10 offset1:11
	ds_load_2addr_b64 v[120:123], v246 offset0:12 offset1:13
	;; [unrolled: 1-line block ×4, first 2 shown]
	s_waitcnt lgkmcnt(7)
	v_mul_f64 v[132:133], v[102:103], v[94:95]
	v_mul_f64 v[134:135], v[100:101], v[94:95]
	s_waitcnt lgkmcnt(6)
	v_mul_f64 v[136:137], v[106:107], v[94:95]
	v_mul_f64 v[138:139], v[104:105], v[94:95]
	;; [unrolled: 3-line block ×8, first 2 shown]
	v_fma_f64 v[132:133], v[100:101], v[92:93], -v[132:133]
	v_fma_f64 v[134:135], v[102:103], v[92:93], v[134:135]
	ds_load_2addr_b64 v[100:103], v246 offset0:18 offset1:19
	v_fma_f64 v[136:137], v[104:105], v[92:93], -v[136:137]
	v_fma_f64 v[138:139], v[106:107], v[92:93], v[138:139]
	ds_load_2addr_b64 v[104:107], v246 offset0:20 offset1:21
	v_fma_f64 v[140:141], v[108:109], v[92:93], -v[140:141]
	v_fma_f64 v[142:143], v[110:111], v[92:93], v[142:143]
	v_fma_f64 v[144:145], v[112:113], v[92:93], -v[144:145]
	v_fma_f64 v[146:147], v[114:115], v[92:93], v[146:147]
	ds_load_2addr_b64 v[108:111], v246 offset0:22 offset1:23
	ds_load_2addr_b64 v[112:115], v246 offset0:24 offset1:25
	v_fma_f64 v[116:117], v[116:117], v[92:93], -v[148:149]
	v_fma_f64 v[118:119], v[118:119], v[92:93], v[150:151]
	v_fma_f64 v[120:121], v[120:121], v[92:93], -v[152:153]
	v_fma_f64 v[122:123], v[122:123], v[92:93], v[154:155]
	;; [unrolled: 2-line block ×4, first 2 shown]
	s_waitcnt lgkmcnt(3)
	v_mul_f64 v[164:165], v[102:103], v[94:95]
	v_mul_f64 v[166:167], v[100:101], v[94:95]
	s_waitcnt lgkmcnt(2)
	v_mul_f64 v[148:149], v[106:107], v[94:95]
	v_mul_f64 v[150:151], v[104:105], v[94:95]
	;; [unrolled: 3-line block ×4, first 2 shown]
	v_add_f64 v[88:89], v[88:89], -v[132:133]
	v_add_f64 v[90:91], v[90:91], -v[134:135]
	;; [unrolled: 1-line block ×16, first 2 shown]
	v_fma_f64 v[156:157], v[100:101], v[92:93], -v[164:165]
	v_fma_f64 v[158:159], v[102:103], v[92:93], v[166:167]
	ds_load_2addr_b64 v[100:103], v246 offset0:26 offset1:27
	v_fma_f64 v[148:149], v[104:105], v[92:93], -v[148:149]
	v_fma_f64 v[150:151], v[106:107], v[92:93], v[150:151]
	ds_load_2addr_b64 v[104:107], v246 offset0:28 offset1:29
	v_fma_f64 v[108:109], v[108:109], v[92:93], -v[152:153]
	v_fma_f64 v[110:111], v[110:111], v[92:93], v[154:155]
	v_fma_f64 v[112:113], v[112:113], v[92:93], -v[160:161]
	v_fma_f64 v[114:115], v[114:115], v[92:93], v[162:163]
	s_waitcnt lgkmcnt(1)
	v_mul_f64 v[152:153], v[102:103], v[94:95]
	v_mul_f64 v[154:155], v[100:101], v[94:95]
	v_add_f64 v[56:57], v[56:57], -v[156:157]
	v_add_f64 v[58:59], v[58:59], -v[158:159]
	;; [unrolled: 1-line block ×8, first 2 shown]
	v_fma_f64 v[152:153], v[100:101], v[92:93], -v[152:153]
	v_fma_f64 v[154:155], v[102:103], v[92:93], v[154:155]
	s_waitcnt lgkmcnt(0)
	v_mul_f64 v[100:101], v[106:107], v[94:95]
	v_mul_f64 v[102:103], v[104:105], v[94:95]
	s_delay_alu instid0(VALU_DEP_4) | instskip(NEXT) | instid1(VALU_DEP_4)
	v_add_f64 v[40:41], v[40:41], -v[152:153]
	v_add_f64 v[42:43], v[42:43], -v[154:155]
	s_delay_alu instid0(VALU_DEP_4) | instskip(NEXT) | instid1(VALU_DEP_4)
	v_fma_f64 v[160:161], v[104:105], v[92:93], -v[100:101]
	v_fma_f64 v[162:163], v[106:107], v[92:93], v[102:103]
	ds_load_2addr_b64 v[100:103], v246 offset0:30 offset1:31
	ds_load_2addr_b64 v[104:107], v246 offset0:32 offset1:33
	s_waitcnt lgkmcnt(1)
	v_mul_f64 v[164:165], v[102:103], v[94:95]
	v_add_f64 v[36:37], v[36:37], -v[160:161]
	v_add_f64 v[38:39], v[38:39], -v[162:163]
	s_delay_alu instid0(VALU_DEP_3) | instskip(SKIP_1) | instid1(VALU_DEP_2)
	v_fma_f64 v[164:165], v[100:101], v[92:93], -v[164:165]
	v_mul_f64 v[100:101], v[100:101], v[94:95]
	v_add_f64 v[32:33], v[32:33], -v[164:165]
	s_delay_alu instid0(VALU_DEP_2) | instskip(SKIP_2) | instid1(VALU_DEP_2)
	v_fma_f64 v[166:167], v[102:103], v[92:93], v[100:101]
	s_waitcnt lgkmcnt(0)
	v_mul_f64 v[100:101], v[106:107], v[94:95]
	v_add_f64 v[34:35], v[34:35], -v[166:167]
	s_delay_alu instid0(VALU_DEP_2) | instskip(SKIP_1) | instid1(VALU_DEP_2)
	v_fma_f64 v[168:169], v[104:105], v[92:93], -v[100:101]
	v_mul_f64 v[100:101], v[104:105], v[94:95]
	v_add_f64 v[28:29], v[28:29], -v[168:169]
	s_delay_alu instid0(VALU_DEP_2)
	v_fma_f64 v[170:171], v[106:107], v[92:93], v[100:101]
	ds_load_2addr_b64 v[100:103], v246 offset0:34 offset1:35
	ds_load_2addr_b64 v[104:107], v246 offset0:36 offset1:37
	s_waitcnt lgkmcnt(1)
	v_mul_f64 v[172:173], v[102:103], v[94:95]
	v_add_f64 v[30:31], v[30:31], -v[170:171]
	s_delay_alu instid0(VALU_DEP_2) | instskip(SKIP_1) | instid1(VALU_DEP_2)
	v_fma_f64 v[172:173], v[100:101], v[92:93], -v[172:173]
	v_mul_f64 v[100:101], v[100:101], v[94:95]
	v_add_f64 v[24:25], v[24:25], -v[172:173]
	s_delay_alu instid0(VALU_DEP_2) | instskip(SKIP_2) | instid1(VALU_DEP_2)
	v_fma_f64 v[174:175], v[102:103], v[92:93], v[100:101]
	s_waitcnt lgkmcnt(0)
	v_mul_f64 v[100:101], v[106:107], v[94:95]
	v_add_f64 v[26:27], v[26:27], -v[174:175]
	s_delay_alu instid0(VALU_DEP_2) | instskip(SKIP_1) | instid1(VALU_DEP_2)
	v_fma_f64 v[176:177], v[104:105], v[92:93], -v[100:101]
	v_mul_f64 v[100:101], v[104:105], v[94:95]
	v_add_f64 v[20:21], v[20:21], -v[176:177]
	s_delay_alu instid0(VALU_DEP_2)
	v_fma_f64 v[178:179], v[106:107], v[92:93], v[100:101]
	ds_load_2addr_b64 v[100:103], v246 offset0:38 offset1:39
	ds_load_2addr_b64 v[104:107], v246 offset0:40 offset1:41
	s_waitcnt lgkmcnt(1)
	v_mul_f64 v[180:181], v[102:103], v[94:95]
	v_add_f64 v[22:23], v[22:23], -v[178:179]
	s_delay_alu instid0(VALU_DEP_2) | instskip(SKIP_1) | instid1(VALU_DEP_2)
	;; [unrolled: 20-line block ×3, first 2 shown]
	v_fma_f64 v[188:189], v[100:101], v[92:93], -v[188:189]
	v_mul_f64 v[100:101], v[100:101], v[94:95]
	v_add_f64 v[8:9], v[8:9], -v[188:189]
	s_delay_alu instid0(VALU_DEP_2) | instskip(SKIP_2) | instid1(VALU_DEP_2)
	v_fma_f64 v[190:191], v[102:103], v[92:93], v[100:101]
	s_waitcnt lgkmcnt(0)
	v_mul_f64 v[100:101], v[106:107], v[94:95]
	v_add_f64 v[10:11], v[10:11], -v[190:191]
	s_delay_alu instid0(VALU_DEP_2) | instskip(SKIP_1) | instid1(VALU_DEP_2)
	v_fma_f64 v[242:243], v[104:105], v[92:93], -v[100:101]
	v_mul_f64 v[100:101], v[104:105], v[94:95]
	v_add_f64 v[4:5], v[4:5], -v[242:243]
	s_delay_alu instid0(VALU_DEP_2) | instskip(SKIP_4) | instid1(VALU_DEP_2)
	v_fma_f64 v[104:105], v[106:107], v[92:93], v[100:101]
	ds_load_2addr_b64 v[100:103], v246 offset0:46 offset1:47
	s_waitcnt lgkmcnt(0)
	v_mul_f64 v[106:107], v[102:103], v[94:95]
	v_add_f64 v[6:7], v[6:7], -v[104:105]
	v_fma_f64 v[106:107], v[100:101], v[92:93], -v[106:107]
	v_mul_f64 v[100:101], v[100:101], v[94:95]
	s_delay_alu instid0(VALU_DEP_2) | instskip(NEXT) | instid1(VALU_DEP_2)
	v_add_f64 v[0:1], v[0:1], -v[106:107]
	v_fma_f64 v[100:101], v[102:103], v[92:93], v[100:101]
	s_delay_alu instid0(VALU_DEP_1)
	v_add_f64 v[2:3], v[2:3], -v[100:101]
.LBB47_10:
	s_or_b32 exec_lo, exec_lo, s4
	s_delay_alu instid0(SALU_CYCLE_1)
	s_mov_b32 s4, exec_lo
	s_waitcnt lgkmcnt(0)
	s_barrier
	buffer_gl0_inv
	v_cmpx_eq_u32_e32 1, v244
	s_cbranch_execz .LBB47_17
; %bb.11:
	ds_store_2addr_b64 v245, v[88:89], v[90:91] offset1:1
	ds_store_2addr_b64 v246, v[84:85], v[86:87] offset0:4 offset1:5
	ds_store_2addr_b64 v246, v[80:81], v[82:83] offset0:6 offset1:7
	;; [unrolled: 1-line block ×22, first 2 shown]
	ds_load_2addr_b64 v[100:103], v245 offset1:1
	s_waitcnt lgkmcnt(0)
	v_cmp_neq_f64_e32 vcc_lo, 0, v[100:101]
	v_cmp_neq_f64_e64 s3, 0, v[102:103]
	s_delay_alu instid0(VALU_DEP_1) | instskip(NEXT) | instid1(SALU_CYCLE_1)
	s_or_b32 s3, vcc_lo, s3
	s_and_b32 exec_lo, exec_lo, s3
	s_cbranch_execz .LBB47_17
; %bb.12:
	v_cmp_gt_f64_e32 vcc_lo, 0, v[100:101]
	v_cmp_gt_f64_e64 s3, 0, v[102:103]
	v_xor_b32_e32 v104, 0x80000000, v101
	v_xor_b32_e32 v106, 0x80000000, v103
                                        ; implicit-def: $vgpr108_vgpr109
	s_delay_alu instid0(VALU_DEP_2) | instskip(NEXT) | instid1(VALU_DEP_2)
	v_cndmask_b32_e32 v105, v101, v104, vcc_lo
	v_cndmask_b32_e64 v107, v103, v106, s3
	v_cndmask_b32_e32 v104, v100, v100, vcc_lo
	v_cndmask_b32_e64 v106, v102, v102, s3
	s_mov_b32 s3, exec_lo
	s_delay_alu instid0(VALU_DEP_1)
	v_cmpx_ngt_f64_e32 v[104:105], v[106:107]
	s_xor_b32 s3, exec_lo, s3
                                        ; implicit-def: $vgpr104_vgpr105_vgpr106_vgpr107
	s_cbranch_execz .LBB47_14
; %bb.13:
	v_div_scale_f64 v[104:105], null, v[102:103], v[102:103], v[100:101]
	v_div_scale_f64 v[110:111], vcc_lo, v[100:101], v[102:103], v[100:101]
	s_delay_alu instid0(VALU_DEP_2) | instskip(SKIP_2) | instid1(VALU_DEP_1)
	v_rcp_f64_e32 v[106:107], v[104:105]
	s_waitcnt_depctr 0xfff
	v_fma_f64 v[108:109], -v[104:105], v[106:107], 1.0
	v_fma_f64 v[106:107], v[106:107], v[108:109], v[106:107]
	s_delay_alu instid0(VALU_DEP_1) | instskip(NEXT) | instid1(VALU_DEP_1)
	v_fma_f64 v[108:109], -v[104:105], v[106:107], 1.0
	v_fma_f64 v[106:107], v[106:107], v[108:109], v[106:107]
	s_delay_alu instid0(VALU_DEP_1) | instskip(NEXT) | instid1(VALU_DEP_1)
	v_mul_f64 v[108:109], v[110:111], v[106:107]
	v_fma_f64 v[104:105], -v[104:105], v[108:109], v[110:111]
	s_delay_alu instid0(VALU_DEP_1) | instskip(NEXT) | instid1(VALU_DEP_1)
	v_div_fmas_f64 v[104:105], v[104:105], v[106:107], v[108:109]
	v_div_fixup_f64 v[104:105], v[104:105], v[102:103], v[100:101]
	s_delay_alu instid0(VALU_DEP_1) | instskip(NEXT) | instid1(VALU_DEP_1)
	v_fma_f64 v[100:101], v[100:101], v[104:105], v[102:103]
	v_div_scale_f64 v[102:103], null, v[100:101], v[100:101], 1.0
	s_delay_alu instid0(VALU_DEP_1) | instskip(SKIP_2) | instid1(VALU_DEP_1)
	v_rcp_f64_e32 v[106:107], v[102:103]
	s_waitcnt_depctr 0xfff
	v_fma_f64 v[108:109], -v[102:103], v[106:107], 1.0
	v_fma_f64 v[106:107], v[106:107], v[108:109], v[106:107]
	s_delay_alu instid0(VALU_DEP_1) | instskip(NEXT) | instid1(VALU_DEP_1)
	v_fma_f64 v[108:109], -v[102:103], v[106:107], 1.0
	v_fma_f64 v[106:107], v[106:107], v[108:109], v[106:107]
	v_div_scale_f64 v[108:109], vcc_lo, 1.0, v[100:101], 1.0
	s_delay_alu instid0(VALU_DEP_1) | instskip(NEXT) | instid1(VALU_DEP_1)
	v_mul_f64 v[110:111], v[108:109], v[106:107]
	v_fma_f64 v[102:103], -v[102:103], v[110:111], v[108:109]
	s_delay_alu instid0(VALU_DEP_1) | instskip(NEXT) | instid1(VALU_DEP_1)
	v_div_fmas_f64 v[102:103], v[102:103], v[106:107], v[110:111]
	v_div_fixup_f64 v[106:107], v[102:103], v[100:101], 1.0
                                        ; implicit-def: $vgpr100_vgpr101
	s_delay_alu instid0(VALU_DEP_1)
	v_mul_f64 v[108:109], v[104:105], v[106:107]
	v_xor_b32_e32 v107, 0x80000000, v107
.LBB47_14:
	s_and_not1_saveexec_b32 s3, s3
	s_cbranch_execz .LBB47_16
; %bb.15:
	v_div_scale_f64 v[104:105], null, v[100:101], v[100:101], v[102:103]
	v_div_scale_f64 v[110:111], vcc_lo, v[102:103], v[100:101], v[102:103]
	s_delay_alu instid0(VALU_DEP_2) | instskip(SKIP_2) | instid1(VALU_DEP_1)
	v_rcp_f64_e32 v[106:107], v[104:105]
	s_waitcnt_depctr 0xfff
	v_fma_f64 v[108:109], -v[104:105], v[106:107], 1.0
	v_fma_f64 v[106:107], v[106:107], v[108:109], v[106:107]
	s_delay_alu instid0(VALU_DEP_1) | instskip(NEXT) | instid1(VALU_DEP_1)
	v_fma_f64 v[108:109], -v[104:105], v[106:107], 1.0
	v_fma_f64 v[106:107], v[106:107], v[108:109], v[106:107]
	s_delay_alu instid0(VALU_DEP_1) | instskip(NEXT) | instid1(VALU_DEP_1)
	v_mul_f64 v[108:109], v[110:111], v[106:107]
	v_fma_f64 v[104:105], -v[104:105], v[108:109], v[110:111]
	s_delay_alu instid0(VALU_DEP_1) | instskip(NEXT) | instid1(VALU_DEP_1)
	v_div_fmas_f64 v[104:105], v[104:105], v[106:107], v[108:109]
	v_div_fixup_f64 v[104:105], v[104:105], v[100:101], v[102:103]
	s_delay_alu instid0(VALU_DEP_1) | instskip(NEXT) | instid1(VALU_DEP_1)
	v_fma_f64 v[100:101], v[102:103], v[104:105], v[100:101]
	v_div_scale_f64 v[102:103], null, v[100:101], v[100:101], 1.0
	s_delay_alu instid0(VALU_DEP_1) | instskip(SKIP_2) | instid1(VALU_DEP_1)
	v_rcp_f64_e32 v[106:107], v[102:103]
	s_waitcnt_depctr 0xfff
	v_fma_f64 v[108:109], -v[102:103], v[106:107], 1.0
	v_fma_f64 v[106:107], v[106:107], v[108:109], v[106:107]
	s_delay_alu instid0(VALU_DEP_1) | instskip(NEXT) | instid1(VALU_DEP_1)
	v_fma_f64 v[108:109], -v[102:103], v[106:107], 1.0
	v_fma_f64 v[106:107], v[106:107], v[108:109], v[106:107]
	v_div_scale_f64 v[108:109], vcc_lo, 1.0, v[100:101], 1.0
	s_delay_alu instid0(VALU_DEP_1) | instskip(NEXT) | instid1(VALU_DEP_1)
	v_mul_f64 v[110:111], v[108:109], v[106:107]
	v_fma_f64 v[102:103], -v[102:103], v[110:111], v[108:109]
	s_delay_alu instid0(VALU_DEP_1) | instskip(NEXT) | instid1(VALU_DEP_1)
	v_div_fmas_f64 v[102:103], v[102:103], v[106:107], v[110:111]
	v_div_fixup_f64 v[108:109], v[102:103], v[100:101], 1.0
	s_delay_alu instid0(VALU_DEP_1)
	v_mul_f64 v[106:107], v[104:105], -v[108:109]
.LBB47_16:
	s_or_b32 exec_lo, exec_lo, s3
	ds_store_2addr_b64 v245, v[108:109], v[106:107] offset1:1
.LBB47_17:
	s_or_b32 exec_lo, exec_lo, s4
	s_waitcnt lgkmcnt(0)
	s_barrier
	buffer_gl0_inv
	ds_load_2addr_b64 v[100:103], v245 offset1:1
	s_mov_b32 s3, exec_lo
	v_cmpx_lt_u32_e32 1, v244
	s_cbranch_execz .LBB47_19
; %bb.18:
	s_waitcnt lgkmcnt(0)
	v_mul_f64 v[104:105], v[102:103], v[90:91]
	v_mul_f64 v[90:91], v[100:101], v[90:91]
	ds_load_2addr_b64 v[106:109], v246 offset0:4 offset1:5
	ds_load_2addr_b64 v[110:113], v246 offset0:6 offset1:7
	ds_load_2addr_b64 v[114:117], v246 offset0:8 offset1:9
	ds_load_2addr_b64 v[118:121], v246 offset0:10 offset1:11
	v_fma_f64 v[104:105], v[100:101], v[88:89], -v[104:105]
	v_fma_f64 v[90:91], v[102:103], v[88:89], v[90:91]
	s_waitcnt lgkmcnt(3)
	s_delay_alu instid0(VALU_DEP_1) | instskip(NEXT) | instid1(VALU_DEP_1)
	v_mul_f64 v[88:89], v[108:109], v[90:91]
	v_fma_f64 v[88:89], v[106:107], v[104:105], -v[88:89]
	v_mul_f64 v[106:107], v[106:107], v[90:91]
	s_delay_alu instid0(VALU_DEP_2) | instskip(NEXT) | instid1(VALU_DEP_2)
	v_add_f64 v[84:85], v[84:85], -v[88:89]
	v_fma_f64 v[106:107], v[108:109], v[104:105], v[106:107]
	s_waitcnt lgkmcnt(2)
	v_mul_f64 v[108:109], v[112:113], v[90:91]
	v_dual_mov_b32 v88, v104 :: v_dual_mov_b32 v89, v105
	s_delay_alu instid0(VALU_DEP_3) | instskip(NEXT) | instid1(VALU_DEP_3)
	v_add_f64 v[86:87], v[86:87], -v[106:107]
	v_fma_f64 v[108:109], v[110:111], v[104:105], -v[108:109]
	v_mul_f64 v[110:111], v[110:111], v[90:91]
	s_delay_alu instid0(VALU_DEP_2) | instskip(NEXT) | instid1(VALU_DEP_2)
	v_add_f64 v[80:81], v[80:81], -v[108:109]
	v_fma_f64 v[110:111], v[112:113], v[104:105], v[110:111]
	s_waitcnt lgkmcnt(1)
	v_mul_f64 v[112:113], v[116:117], v[90:91]
	s_delay_alu instid0(VALU_DEP_2) | instskip(NEXT) | instid1(VALU_DEP_2)
	v_add_f64 v[82:83], v[82:83], -v[110:111]
	v_fma_f64 v[112:113], v[114:115], v[104:105], -v[112:113]
	v_mul_f64 v[114:115], v[114:115], v[90:91]
	s_delay_alu instid0(VALU_DEP_2) | instskip(NEXT) | instid1(VALU_DEP_2)
	v_add_f64 v[76:77], v[76:77], -v[112:113]
	v_fma_f64 v[114:115], v[116:117], v[104:105], v[114:115]
	s_waitcnt lgkmcnt(0)
	v_mul_f64 v[116:117], v[120:121], v[90:91]
	s_delay_alu instid0(VALU_DEP_2) | instskip(NEXT) | instid1(VALU_DEP_2)
	v_add_f64 v[78:79], v[78:79], -v[114:115]
	v_fma_f64 v[116:117], v[118:119], v[104:105], -v[116:117]
	v_mul_f64 v[118:119], v[118:119], v[90:91]
	s_delay_alu instid0(VALU_DEP_2) | instskip(NEXT) | instid1(VALU_DEP_2)
	v_add_f64 v[72:73], v[72:73], -v[116:117]
	v_fma_f64 v[118:119], v[120:121], v[104:105], v[118:119]
	ds_load_2addr_b64 v[120:123], v246 offset0:12 offset1:13
	ds_load_2addr_b64 v[124:127], v246 offset0:14 offset1:15
	s_waitcnt lgkmcnt(1)
	v_mul_f64 v[128:129], v[122:123], v[90:91]
	v_add_f64 v[74:75], v[74:75], -v[118:119]
	s_delay_alu instid0(VALU_DEP_2) | instskip(SKIP_1) | instid1(VALU_DEP_2)
	v_fma_f64 v[128:129], v[120:121], v[104:105], -v[128:129]
	v_mul_f64 v[120:121], v[120:121], v[90:91]
	v_add_f64 v[68:69], v[68:69], -v[128:129]
	s_delay_alu instid0(VALU_DEP_2) | instskip(SKIP_2) | instid1(VALU_DEP_2)
	v_fma_f64 v[130:131], v[122:123], v[104:105], v[120:121]
	s_waitcnt lgkmcnt(0)
	v_mul_f64 v[120:121], v[126:127], v[90:91]
	v_add_f64 v[70:71], v[70:71], -v[130:131]
	s_delay_alu instid0(VALU_DEP_2) | instskip(SKIP_1) | instid1(VALU_DEP_2)
	v_fma_f64 v[132:133], v[124:125], v[104:105], -v[120:121]
	v_mul_f64 v[120:121], v[124:125], v[90:91]
	v_add_f64 v[64:65], v[64:65], -v[132:133]
	s_delay_alu instid0(VALU_DEP_2)
	v_fma_f64 v[134:135], v[126:127], v[104:105], v[120:121]
	ds_load_2addr_b64 v[120:123], v246 offset0:16 offset1:17
	ds_load_2addr_b64 v[124:127], v246 offset0:18 offset1:19
	s_waitcnt lgkmcnt(1)
	v_mul_f64 v[136:137], v[122:123], v[90:91]
	v_add_f64 v[66:67], v[66:67], -v[134:135]
	s_delay_alu instid0(VALU_DEP_2) | instskip(SKIP_1) | instid1(VALU_DEP_2)
	v_fma_f64 v[136:137], v[120:121], v[104:105], -v[136:137]
	v_mul_f64 v[120:121], v[120:121], v[90:91]
	v_add_f64 v[60:61], v[60:61], -v[136:137]
	s_delay_alu instid0(VALU_DEP_2) | instskip(SKIP_2) | instid1(VALU_DEP_2)
	v_fma_f64 v[138:139], v[122:123], v[104:105], v[120:121]
	s_waitcnt lgkmcnt(0)
	v_mul_f64 v[120:121], v[126:127], v[90:91]
	v_add_f64 v[62:63], v[62:63], -v[138:139]
	s_delay_alu instid0(VALU_DEP_2) | instskip(SKIP_1) | instid1(VALU_DEP_2)
	v_fma_f64 v[140:141], v[124:125], v[104:105], -v[120:121]
	v_mul_f64 v[120:121], v[124:125], v[90:91]
	v_add_f64 v[56:57], v[56:57], -v[140:141]
	s_delay_alu instid0(VALU_DEP_2)
	v_fma_f64 v[142:143], v[126:127], v[104:105], v[120:121]
	ds_load_2addr_b64 v[120:123], v246 offset0:20 offset1:21
	ds_load_2addr_b64 v[124:127], v246 offset0:22 offset1:23
	s_waitcnt lgkmcnt(1)
	v_mul_f64 v[144:145], v[122:123], v[90:91]
	v_add_f64 v[58:59], v[58:59], -v[142:143]
	s_delay_alu instid0(VALU_DEP_2) | instskip(SKIP_1) | instid1(VALU_DEP_2)
	v_fma_f64 v[144:145], v[120:121], v[104:105], -v[144:145]
	v_mul_f64 v[120:121], v[120:121], v[90:91]
	v_add_f64 v[52:53], v[52:53], -v[144:145]
	s_delay_alu instid0(VALU_DEP_2) | instskip(SKIP_2) | instid1(VALU_DEP_2)
	v_fma_f64 v[146:147], v[122:123], v[104:105], v[120:121]
	s_waitcnt lgkmcnt(0)
	v_mul_f64 v[120:121], v[126:127], v[90:91]
	v_add_f64 v[54:55], v[54:55], -v[146:147]
	s_delay_alu instid0(VALU_DEP_2) | instskip(SKIP_1) | instid1(VALU_DEP_2)
	v_fma_f64 v[148:149], v[124:125], v[104:105], -v[120:121]
	v_mul_f64 v[120:121], v[124:125], v[90:91]
	v_add_f64 v[48:49], v[48:49], -v[148:149]
	s_delay_alu instid0(VALU_DEP_2)
	v_fma_f64 v[150:151], v[126:127], v[104:105], v[120:121]
	ds_load_2addr_b64 v[120:123], v246 offset0:24 offset1:25
	ds_load_2addr_b64 v[124:127], v246 offset0:26 offset1:27
	s_waitcnt lgkmcnt(1)
	v_mul_f64 v[152:153], v[122:123], v[90:91]
	v_add_f64 v[50:51], v[50:51], -v[150:151]
	s_delay_alu instid0(VALU_DEP_2) | instskip(SKIP_1) | instid1(VALU_DEP_2)
	v_fma_f64 v[152:153], v[120:121], v[104:105], -v[152:153]
	v_mul_f64 v[120:121], v[120:121], v[90:91]
	v_add_f64 v[44:45], v[44:45], -v[152:153]
	s_delay_alu instid0(VALU_DEP_2) | instskip(SKIP_2) | instid1(VALU_DEP_2)
	v_fma_f64 v[154:155], v[122:123], v[104:105], v[120:121]
	s_waitcnt lgkmcnt(0)
	v_mul_f64 v[120:121], v[126:127], v[90:91]
	v_add_f64 v[46:47], v[46:47], -v[154:155]
	s_delay_alu instid0(VALU_DEP_2) | instskip(SKIP_1) | instid1(VALU_DEP_2)
	v_fma_f64 v[156:157], v[124:125], v[104:105], -v[120:121]
	v_mul_f64 v[120:121], v[124:125], v[90:91]
	v_add_f64 v[40:41], v[40:41], -v[156:157]
	s_delay_alu instid0(VALU_DEP_2)
	v_fma_f64 v[158:159], v[126:127], v[104:105], v[120:121]
	ds_load_2addr_b64 v[120:123], v246 offset0:28 offset1:29
	ds_load_2addr_b64 v[124:127], v246 offset0:30 offset1:31
	s_waitcnt lgkmcnt(1)
	v_mul_f64 v[160:161], v[122:123], v[90:91]
	v_add_f64 v[42:43], v[42:43], -v[158:159]
	s_delay_alu instid0(VALU_DEP_2) | instskip(SKIP_1) | instid1(VALU_DEP_2)
	v_fma_f64 v[160:161], v[120:121], v[104:105], -v[160:161]
	v_mul_f64 v[120:121], v[120:121], v[90:91]
	v_add_f64 v[36:37], v[36:37], -v[160:161]
	s_delay_alu instid0(VALU_DEP_2) | instskip(SKIP_2) | instid1(VALU_DEP_2)
	v_fma_f64 v[162:163], v[122:123], v[104:105], v[120:121]
	s_waitcnt lgkmcnt(0)
	v_mul_f64 v[120:121], v[126:127], v[90:91]
	v_add_f64 v[38:39], v[38:39], -v[162:163]
	s_delay_alu instid0(VALU_DEP_2) | instskip(SKIP_1) | instid1(VALU_DEP_2)
	v_fma_f64 v[164:165], v[124:125], v[104:105], -v[120:121]
	v_mul_f64 v[120:121], v[124:125], v[90:91]
	v_add_f64 v[32:33], v[32:33], -v[164:165]
	s_delay_alu instid0(VALU_DEP_2)
	v_fma_f64 v[166:167], v[126:127], v[104:105], v[120:121]
	ds_load_2addr_b64 v[120:123], v246 offset0:32 offset1:33
	ds_load_2addr_b64 v[124:127], v246 offset0:34 offset1:35
	s_waitcnt lgkmcnt(1)
	v_mul_f64 v[168:169], v[122:123], v[90:91]
	v_add_f64 v[34:35], v[34:35], -v[166:167]
	s_delay_alu instid0(VALU_DEP_2) | instskip(SKIP_1) | instid1(VALU_DEP_2)
	v_fma_f64 v[168:169], v[120:121], v[104:105], -v[168:169]
	v_mul_f64 v[120:121], v[120:121], v[90:91]
	v_add_f64 v[28:29], v[28:29], -v[168:169]
	s_delay_alu instid0(VALU_DEP_2) | instskip(SKIP_2) | instid1(VALU_DEP_2)
	v_fma_f64 v[170:171], v[122:123], v[104:105], v[120:121]
	s_waitcnt lgkmcnt(0)
	v_mul_f64 v[120:121], v[126:127], v[90:91]
	v_add_f64 v[30:31], v[30:31], -v[170:171]
	s_delay_alu instid0(VALU_DEP_2) | instskip(SKIP_1) | instid1(VALU_DEP_2)
	v_fma_f64 v[172:173], v[124:125], v[104:105], -v[120:121]
	v_mul_f64 v[120:121], v[124:125], v[90:91]
	v_add_f64 v[24:25], v[24:25], -v[172:173]
	s_delay_alu instid0(VALU_DEP_2)
	v_fma_f64 v[174:175], v[126:127], v[104:105], v[120:121]
	ds_load_2addr_b64 v[120:123], v246 offset0:36 offset1:37
	ds_load_2addr_b64 v[124:127], v246 offset0:38 offset1:39
	s_waitcnt lgkmcnt(1)
	v_mul_f64 v[176:177], v[122:123], v[90:91]
	v_add_f64 v[26:27], v[26:27], -v[174:175]
	s_delay_alu instid0(VALU_DEP_2) | instskip(SKIP_1) | instid1(VALU_DEP_2)
	v_fma_f64 v[176:177], v[120:121], v[104:105], -v[176:177]
	v_mul_f64 v[120:121], v[120:121], v[90:91]
	v_add_f64 v[20:21], v[20:21], -v[176:177]
	s_delay_alu instid0(VALU_DEP_2) | instskip(SKIP_2) | instid1(VALU_DEP_2)
	v_fma_f64 v[178:179], v[122:123], v[104:105], v[120:121]
	s_waitcnt lgkmcnt(0)
	v_mul_f64 v[120:121], v[126:127], v[90:91]
	v_add_f64 v[22:23], v[22:23], -v[178:179]
	s_delay_alu instid0(VALU_DEP_2) | instskip(SKIP_1) | instid1(VALU_DEP_2)
	v_fma_f64 v[180:181], v[124:125], v[104:105], -v[120:121]
	v_mul_f64 v[120:121], v[124:125], v[90:91]
	v_add_f64 v[16:17], v[16:17], -v[180:181]
	s_delay_alu instid0(VALU_DEP_2)
	v_fma_f64 v[182:183], v[126:127], v[104:105], v[120:121]
	ds_load_2addr_b64 v[120:123], v246 offset0:40 offset1:41
	ds_load_2addr_b64 v[124:127], v246 offset0:42 offset1:43
	s_waitcnt lgkmcnt(1)
	v_mul_f64 v[184:185], v[122:123], v[90:91]
	v_add_f64 v[18:19], v[18:19], -v[182:183]
	s_delay_alu instid0(VALU_DEP_2) | instskip(SKIP_1) | instid1(VALU_DEP_2)
	v_fma_f64 v[184:185], v[120:121], v[104:105], -v[184:185]
	v_mul_f64 v[120:121], v[120:121], v[90:91]
	v_add_f64 v[12:13], v[12:13], -v[184:185]
	s_delay_alu instid0(VALU_DEP_2) | instskip(SKIP_2) | instid1(VALU_DEP_2)
	v_fma_f64 v[186:187], v[122:123], v[104:105], v[120:121]
	s_waitcnt lgkmcnt(0)
	v_mul_f64 v[120:121], v[126:127], v[90:91]
	v_add_f64 v[14:15], v[14:15], -v[186:187]
	s_delay_alu instid0(VALU_DEP_2) | instskip(SKIP_1) | instid1(VALU_DEP_2)
	v_fma_f64 v[188:189], v[124:125], v[104:105], -v[120:121]
	v_mul_f64 v[120:121], v[124:125], v[90:91]
	v_add_f64 v[8:9], v[8:9], -v[188:189]
	s_delay_alu instid0(VALU_DEP_2)
	v_fma_f64 v[190:191], v[126:127], v[104:105], v[120:121]
	ds_load_2addr_b64 v[120:123], v246 offset0:44 offset1:45
	ds_load_2addr_b64 v[124:127], v246 offset0:46 offset1:47
	s_waitcnt lgkmcnt(1)
	v_mul_f64 v[242:243], v[122:123], v[90:91]
	v_add_f64 v[10:11], v[10:11], -v[190:191]
	s_delay_alu instid0(VALU_DEP_2) | instskip(SKIP_1) | instid1(VALU_DEP_2)
	v_fma_f64 v[242:243], v[120:121], v[104:105], -v[242:243]
	v_mul_f64 v[120:121], v[120:121], v[90:91]
	v_add_f64 v[4:5], v[4:5], -v[242:243]
	s_delay_alu instid0(VALU_DEP_2) | instskip(SKIP_2) | instid1(VALU_DEP_2)
	v_fma_f64 v[120:121], v[122:123], v[104:105], v[120:121]
	s_waitcnt lgkmcnt(0)
	v_mul_f64 v[122:123], v[126:127], v[90:91]
	v_add_f64 v[6:7], v[6:7], -v[120:121]
	s_delay_alu instid0(VALU_DEP_2) | instskip(SKIP_1) | instid1(VALU_DEP_2)
	v_fma_f64 v[122:123], v[124:125], v[104:105], -v[122:123]
	v_mul_f64 v[124:125], v[124:125], v[90:91]
	v_add_f64 v[0:1], v[0:1], -v[122:123]
	s_delay_alu instid0(VALU_DEP_2) | instskip(NEXT) | instid1(VALU_DEP_1)
	v_fma_f64 v[124:125], v[126:127], v[104:105], v[124:125]
	v_add_f64 v[2:3], v[2:3], -v[124:125]
.LBB47_19:
	s_or_b32 exec_lo, exec_lo, s3
	s_delay_alu instid0(SALU_CYCLE_1)
	s_mov_b32 s4, exec_lo
	s_waitcnt lgkmcnt(0)
	s_barrier
	buffer_gl0_inv
	v_cmpx_eq_u32_e32 2, v244
	s_cbranch_execz .LBB47_26
; %bb.20:
	ds_store_2addr_b64 v245, v[84:85], v[86:87] offset1:1
	ds_store_2addr_b64 v246, v[80:81], v[82:83] offset0:6 offset1:7
	ds_store_2addr_b64 v246, v[76:77], v[78:79] offset0:8 offset1:9
	;; [unrolled: 1-line block ×21, first 2 shown]
	ds_load_2addr_b64 v[104:107], v245 offset1:1
	s_waitcnt lgkmcnt(0)
	v_cmp_neq_f64_e32 vcc_lo, 0, v[104:105]
	v_cmp_neq_f64_e64 s3, 0, v[106:107]
	s_delay_alu instid0(VALU_DEP_1) | instskip(NEXT) | instid1(SALU_CYCLE_1)
	s_or_b32 s3, vcc_lo, s3
	s_and_b32 exec_lo, exec_lo, s3
	s_cbranch_execz .LBB47_26
; %bb.21:
	v_cmp_gt_f64_e32 vcc_lo, 0, v[104:105]
	v_cmp_gt_f64_e64 s3, 0, v[106:107]
	v_xor_b32_e32 v108, 0x80000000, v105
	v_xor_b32_e32 v110, 0x80000000, v107
                                        ; implicit-def: $vgpr112_vgpr113
	s_delay_alu instid0(VALU_DEP_2) | instskip(NEXT) | instid1(VALU_DEP_2)
	v_cndmask_b32_e32 v109, v105, v108, vcc_lo
	v_cndmask_b32_e64 v111, v107, v110, s3
	v_cndmask_b32_e32 v108, v104, v104, vcc_lo
	v_cndmask_b32_e64 v110, v106, v106, s3
	s_mov_b32 s3, exec_lo
	s_delay_alu instid0(VALU_DEP_1)
	v_cmpx_ngt_f64_e32 v[108:109], v[110:111]
	s_xor_b32 s3, exec_lo, s3
                                        ; implicit-def: $vgpr108_vgpr109_vgpr110_vgpr111
	s_cbranch_execz .LBB47_23
; %bb.22:
	v_div_scale_f64 v[108:109], null, v[106:107], v[106:107], v[104:105]
	v_div_scale_f64 v[114:115], vcc_lo, v[104:105], v[106:107], v[104:105]
	s_delay_alu instid0(VALU_DEP_2) | instskip(SKIP_2) | instid1(VALU_DEP_1)
	v_rcp_f64_e32 v[110:111], v[108:109]
	s_waitcnt_depctr 0xfff
	v_fma_f64 v[112:113], -v[108:109], v[110:111], 1.0
	v_fma_f64 v[110:111], v[110:111], v[112:113], v[110:111]
	s_delay_alu instid0(VALU_DEP_1) | instskip(NEXT) | instid1(VALU_DEP_1)
	v_fma_f64 v[112:113], -v[108:109], v[110:111], 1.0
	v_fma_f64 v[110:111], v[110:111], v[112:113], v[110:111]
	s_delay_alu instid0(VALU_DEP_1) | instskip(NEXT) | instid1(VALU_DEP_1)
	v_mul_f64 v[112:113], v[114:115], v[110:111]
	v_fma_f64 v[108:109], -v[108:109], v[112:113], v[114:115]
	s_delay_alu instid0(VALU_DEP_1) | instskip(NEXT) | instid1(VALU_DEP_1)
	v_div_fmas_f64 v[108:109], v[108:109], v[110:111], v[112:113]
	v_div_fixup_f64 v[108:109], v[108:109], v[106:107], v[104:105]
	s_delay_alu instid0(VALU_DEP_1) | instskip(NEXT) | instid1(VALU_DEP_1)
	v_fma_f64 v[104:105], v[104:105], v[108:109], v[106:107]
	v_div_scale_f64 v[106:107], null, v[104:105], v[104:105], 1.0
	s_delay_alu instid0(VALU_DEP_1) | instskip(SKIP_2) | instid1(VALU_DEP_1)
	v_rcp_f64_e32 v[110:111], v[106:107]
	s_waitcnt_depctr 0xfff
	v_fma_f64 v[112:113], -v[106:107], v[110:111], 1.0
	v_fma_f64 v[110:111], v[110:111], v[112:113], v[110:111]
	s_delay_alu instid0(VALU_DEP_1) | instskip(NEXT) | instid1(VALU_DEP_1)
	v_fma_f64 v[112:113], -v[106:107], v[110:111], 1.0
	v_fma_f64 v[110:111], v[110:111], v[112:113], v[110:111]
	v_div_scale_f64 v[112:113], vcc_lo, 1.0, v[104:105], 1.0
	s_delay_alu instid0(VALU_DEP_1) | instskip(NEXT) | instid1(VALU_DEP_1)
	v_mul_f64 v[114:115], v[112:113], v[110:111]
	v_fma_f64 v[106:107], -v[106:107], v[114:115], v[112:113]
	s_delay_alu instid0(VALU_DEP_1) | instskip(NEXT) | instid1(VALU_DEP_1)
	v_div_fmas_f64 v[106:107], v[106:107], v[110:111], v[114:115]
	v_div_fixup_f64 v[110:111], v[106:107], v[104:105], 1.0
                                        ; implicit-def: $vgpr104_vgpr105
	s_delay_alu instid0(VALU_DEP_1)
	v_mul_f64 v[112:113], v[108:109], v[110:111]
	v_xor_b32_e32 v111, 0x80000000, v111
.LBB47_23:
	s_and_not1_saveexec_b32 s3, s3
	s_cbranch_execz .LBB47_25
; %bb.24:
	v_div_scale_f64 v[108:109], null, v[104:105], v[104:105], v[106:107]
	v_div_scale_f64 v[114:115], vcc_lo, v[106:107], v[104:105], v[106:107]
	s_delay_alu instid0(VALU_DEP_2) | instskip(SKIP_2) | instid1(VALU_DEP_1)
	v_rcp_f64_e32 v[110:111], v[108:109]
	s_waitcnt_depctr 0xfff
	v_fma_f64 v[112:113], -v[108:109], v[110:111], 1.0
	v_fma_f64 v[110:111], v[110:111], v[112:113], v[110:111]
	s_delay_alu instid0(VALU_DEP_1) | instskip(NEXT) | instid1(VALU_DEP_1)
	v_fma_f64 v[112:113], -v[108:109], v[110:111], 1.0
	v_fma_f64 v[110:111], v[110:111], v[112:113], v[110:111]
	s_delay_alu instid0(VALU_DEP_1) | instskip(NEXT) | instid1(VALU_DEP_1)
	v_mul_f64 v[112:113], v[114:115], v[110:111]
	v_fma_f64 v[108:109], -v[108:109], v[112:113], v[114:115]
	s_delay_alu instid0(VALU_DEP_1) | instskip(NEXT) | instid1(VALU_DEP_1)
	v_div_fmas_f64 v[108:109], v[108:109], v[110:111], v[112:113]
	v_div_fixup_f64 v[108:109], v[108:109], v[104:105], v[106:107]
	s_delay_alu instid0(VALU_DEP_1) | instskip(NEXT) | instid1(VALU_DEP_1)
	v_fma_f64 v[104:105], v[106:107], v[108:109], v[104:105]
	v_div_scale_f64 v[106:107], null, v[104:105], v[104:105], 1.0
	s_delay_alu instid0(VALU_DEP_1) | instskip(SKIP_2) | instid1(VALU_DEP_1)
	v_rcp_f64_e32 v[110:111], v[106:107]
	s_waitcnt_depctr 0xfff
	v_fma_f64 v[112:113], -v[106:107], v[110:111], 1.0
	v_fma_f64 v[110:111], v[110:111], v[112:113], v[110:111]
	s_delay_alu instid0(VALU_DEP_1) | instskip(NEXT) | instid1(VALU_DEP_1)
	v_fma_f64 v[112:113], -v[106:107], v[110:111], 1.0
	v_fma_f64 v[110:111], v[110:111], v[112:113], v[110:111]
	v_div_scale_f64 v[112:113], vcc_lo, 1.0, v[104:105], 1.0
	s_delay_alu instid0(VALU_DEP_1) | instskip(NEXT) | instid1(VALU_DEP_1)
	v_mul_f64 v[114:115], v[112:113], v[110:111]
	v_fma_f64 v[106:107], -v[106:107], v[114:115], v[112:113]
	s_delay_alu instid0(VALU_DEP_1) | instskip(NEXT) | instid1(VALU_DEP_1)
	v_div_fmas_f64 v[106:107], v[106:107], v[110:111], v[114:115]
	v_div_fixup_f64 v[112:113], v[106:107], v[104:105], 1.0
	s_delay_alu instid0(VALU_DEP_1)
	v_mul_f64 v[110:111], v[108:109], -v[112:113]
.LBB47_25:
	s_or_b32 exec_lo, exec_lo, s3
	ds_store_2addr_b64 v245, v[112:113], v[110:111] offset1:1
.LBB47_26:
	s_or_b32 exec_lo, exec_lo, s4
	s_waitcnt lgkmcnt(0)
	s_barrier
	buffer_gl0_inv
	ds_load_2addr_b64 v[104:107], v245 offset1:1
	s_mov_b32 s3, exec_lo
	v_cmpx_lt_u32_e32 2, v244
	s_cbranch_execz .LBB47_28
; %bb.27:
	s_waitcnt lgkmcnt(0)
	v_mul_f64 v[108:109], v[106:107], v[86:87]
	v_mul_f64 v[86:87], v[104:105], v[86:87]
	ds_load_2addr_b64 v[110:113], v246 offset0:6 offset1:7
	ds_load_2addr_b64 v[114:117], v246 offset0:8 offset1:9
	v_fma_f64 v[108:109], v[104:105], v[84:85], -v[108:109]
	v_fma_f64 v[86:87], v[106:107], v[84:85], v[86:87]
	s_waitcnt lgkmcnt(1)
	s_delay_alu instid0(VALU_DEP_1) | instskip(NEXT) | instid1(VALU_DEP_1)
	v_mul_f64 v[84:85], v[112:113], v[86:87]
	v_fma_f64 v[84:85], v[110:111], v[108:109], -v[84:85]
	v_mul_f64 v[110:111], v[110:111], v[86:87]
	s_delay_alu instid0(VALU_DEP_2) | instskip(NEXT) | instid1(VALU_DEP_2)
	v_add_f64 v[80:81], v[80:81], -v[84:85]
	v_fma_f64 v[110:111], v[112:113], v[108:109], v[110:111]
	s_waitcnt lgkmcnt(0)
	v_mul_f64 v[112:113], v[116:117], v[86:87]
	v_dual_mov_b32 v84, v108 :: v_dual_mov_b32 v85, v109
	s_delay_alu instid0(VALU_DEP_3) | instskip(NEXT) | instid1(VALU_DEP_3)
	v_add_f64 v[82:83], v[82:83], -v[110:111]
	v_fma_f64 v[112:113], v[114:115], v[108:109], -v[112:113]
	v_mul_f64 v[114:115], v[114:115], v[86:87]
	s_delay_alu instid0(VALU_DEP_2) | instskip(NEXT) | instid1(VALU_DEP_2)
	v_add_f64 v[76:77], v[76:77], -v[112:113]
	v_fma_f64 v[114:115], v[116:117], v[108:109], v[114:115]
	ds_load_2addr_b64 v[116:119], v246 offset0:10 offset1:11
	ds_load_2addr_b64 v[120:123], v246 offset0:12 offset1:13
	s_waitcnt lgkmcnt(1)
	v_mul_f64 v[124:125], v[118:119], v[86:87]
	v_add_f64 v[78:79], v[78:79], -v[114:115]
	s_delay_alu instid0(VALU_DEP_2) | instskip(SKIP_1) | instid1(VALU_DEP_2)
	v_fma_f64 v[124:125], v[116:117], v[108:109], -v[124:125]
	v_mul_f64 v[116:117], v[116:117], v[86:87]
	v_add_f64 v[72:73], v[72:73], -v[124:125]
	s_delay_alu instid0(VALU_DEP_2) | instskip(SKIP_2) | instid1(VALU_DEP_2)
	v_fma_f64 v[126:127], v[118:119], v[108:109], v[116:117]
	s_waitcnt lgkmcnt(0)
	v_mul_f64 v[116:117], v[122:123], v[86:87]
	v_add_f64 v[74:75], v[74:75], -v[126:127]
	s_delay_alu instid0(VALU_DEP_2) | instskip(SKIP_1) | instid1(VALU_DEP_2)
	v_fma_f64 v[128:129], v[120:121], v[108:109], -v[116:117]
	v_mul_f64 v[116:117], v[120:121], v[86:87]
	v_add_f64 v[68:69], v[68:69], -v[128:129]
	s_delay_alu instid0(VALU_DEP_2)
	v_fma_f64 v[130:131], v[122:123], v[108:109], v[116:117]
	ds_load_2addr_b64 v[116:119], v246 offset0:14 offset1:15
	ds_load_2addr_b64 v[120:123], v246 offset0:16 offset1:17
	s_waitcnt lgkmcnt(1)
	v_mul_f64 v[132:133], v[118:119], v[86:87]
	v_add_f64 v[70:71], v[70:71], -v[130:131]
	s_delay_alu instid0(VALU_DEP_2) | instskip(SKIP_1) | instid1(VALU_DEP_2)
	v_fma_f64 v[132:133], v[116:117], v[108:109], -v[132:133]
	v_mul_f64 v[116:117], v[116:117], v[86:87]
	v_add_f64 v[64:65], v[64:65], -v[132:133]
	s_delay_alu instid0(VALU_DEP_2) | instskip(SKIP_2) | instid1(VALU_DEP_2)
	v_fma_f64 v[134:135], v[118:119], v[108:109], v[116:117]
	s_waitcnt lgkmcnt(0)
	v_mul_f64 v[116:117], v[122:123], v[86:87]
	v_add_f64 v[66:67], v[66:67], -v[134:135]
	s_delay_alu instid0(VALU_DEP_2) | instskip(SKIP_1) | instid1(VALU_DEP_2)
	v_fma_f64 v[136:137], v[120:121], v[108:109], -v[116:117]
	v_mul_f64 v[116:117], v[120:121], v[86:87]
	v_add_f64 v[60:61], v[60:61], -v[136:137]
	s_delay_alu instid0(VALU_DEP_2)
	;; [unrolled: 20-line block ×8, first 2 shown]
	v_fma_f64 v[186:187], v[122:123], v[108:109], v[116:117]
	ds_load_2addr_b64 v[116:119], v246 offset0:42 offset1:43
	ds_load_2addr_b64 v[120:123], v246 offset0:44 offset1:45
	s_waitcnt lgkmcnt(1)
	v_mul_f64 v[188:189], v[118:119], v[86:87]
	v_add_f64 v[14:15], v[14:15], -v[186:187]
	s_delay_alu instid0(VALU_DEP_2) | instskip(SKIP_1) | instid1(VALU_DEP_2)
	v_fma_f64 v[188:189], v[116:117], v[108:109], -v[188:189]
	v_mul_f64 v[116:117], v[116:117], v[86:87]
	v_add_f64 v[8:9], v[8:9], -v[188:189]
	s_delay_alu instid0(VALU_DEP_2) | instskip(SKIP_2) | instid1(VALU_DEP_2)
	v_fma_f64 v[190:191], v[118:119], v[108:109], v[116:117]
	s_waitcnt lgkmcnt(0)
	v_mul_f64 v[116:117], v[122:123], v[86:87]
	v_add_f64 v[10:11], v[10:11], -v[190:191]
	s_delay_alu instid0(VALU_DEP_2) | instskip(SKIP_1) | instid1(VALU_DEP_2)
	v_fma_f64 v[242:243], v[120:121], v[108:109], -v[116:117]
	v_mul_f64 v[116:117], v[120:121], v[86:87]
	v_add_f64 v[4:5], v[4:5], -v[242:243]
	s_delay_alu instid0(VALU_DEP_2) | instskip(SKIP_4) | instid1(VALU_DEP_2)
	v_fma_f64 v[120:121], v[122:123], v[108:109], v[116:117]
	ds_load_2addr_b64 v[116:119], v246 offset0:46 offset1:47
	s_waitcnt lgkmcnt(0)
	v_mul_f64 v[122:123], v[118:119], v[86:87]
	v_add_f64 v[6:7], v[6:7], -v[120:121]
	v_fma_f64 v[122:123], v[116:117], v[108:109], -v[122:123]
	v_mul_f64 v[116:117], v[116:117], v[86:87]
	s_delay_alu instid0(VALU_DEP_2) | instskip(NEXT) | instid1(VALU_DEP_2)
	v_add_f64 v[0:1], v[0:1], -v[122:123]
	v_fma_f64 v[116:117], v[118:119], v[108:109], v[116:117]
	s_delay_alu instid0(VALU_DEP_1)
	v_add_f64 v[2:3], v[2:3], -v[116:117]
.LBB47_28:
	s_or_b32 exec_lo, exec_lo, s3
	s_delay_alu instid0(SALU_CYCLE_1)
	s_mov_b32 s4, exec_lo
	s_waitcnt lgkmcnt(0)
	s_barrier
	buffer_gl0_inv
	v_cmpx_eq_u32_e32 3, v244
	s_cbranch_execz .LBB47_35
; %bb.29:
	ds_store_2addr_b64 v245, v[80:81], v[82:83] offset1:1
	ds_store_2addr_b64 v246, v[76:77], v[78:79] offset0:8 offset1:9
	ds_store_2addr_b64 v246, v[72:73], v[74:75] offset0:10 offset1:11
	;; [unrolled: 1-line block ×20, first 2 shown]
	ds_load_2addr_b64 v[108:111], v245 offset1:1
	s_waitcnt lgkmcnt(0)
	v_cmp_neq_f64_e32 vcc_lo, 0, v[108:109]
	v_cmp_neq_f64_e64 s3, 0, v[110:111]
	s_delay_alu instid0(VALU_DEP_1) | instskip(NEXT) | instid1(SALU_CYCLE_1)
	s_or_b32 s3, vcc_lo, s3
	s_and_b32 exec_lo, exec_lo, s3
	s_cbranch_execz .LBB47_35
; %bb.30:
	v_cmp_gt_f64_e32 vcc_lo, 0, v[108:109]
	v_cmp_gt_f64_e64 s3, 0, v[110:111]
	v_xor_b32_e32 v112, 0x80000000, v109
	v_xor_b32_e32 v114, 0x80000000, v111
                                        ; implicit-def: $vgpr116_vgpr117
	s_delay_alu instid0(VALU_DEP_2) | instskip(NEXT) | instid1(VALU_DEP_2)
	v_cndmask_b32_e32 v113, v109, v112, vcc_lo
	v_cndmask_b32_e64 v115, v111, v114, s3
	v_cndmask_b32_e32 v112, v108, v108, vcc_lo
	v_cndmask_b32_e64 v114, v110, v110, s3
	s_mov_b32 s3, exec_lo
	s_delay_alu instid0(VALU_DEP_1)
	v_cmpx_ngt_f64_e32 v[112:113], v[114:115]
	s_xor_b32 s3, exec_lo, s3
                                        ; implicit-def: $vgpr112_vgpr113_vgpr114_vgpr115
	s_cbranch_execz .LBB47_32
; %bb.31:
	v_div_scale_f64 v[112:113], null, v[110:111], v[110:111], v[108:109]
	v_div_scale_f64 v[118:119], vcc_lo, v[108:109], v[110:111], v[108:109]
	s_delay_alu instid0(VALU_DEP_2) | instskip(SKIP_2) | instid1(VALU_DEP_1)
	v_rcp_f64_e32 v[114:115], v[112:113]
	s_waitcnt_depctr 0xfff
	v_fma_f64 v[116:117], -v[112:113], v[114:115], 1.0
	v_fma_f64 v[114:115], v[114:115], v[116:117], v[114:115]
	s_delay_alu instid0(VALU_DEP_1) | instskip(NEXT) | instid1(VALU_DEP_1)
	v_fma_f64 v[116:117], -v[112:113], v[114:115], 1.0
	v_fma_f64 v[114:115], v[114:115], v[116:117], v[114:115]
	s_delay_alu instid0(VALU_DEP_1) | instskip(NEXT) | instid1(VALU_DEP_1)
	v_mul_f64 v[116:117], v[118:119], v[114:115]
	v_fma_f64 v[112:113], -v[112:113], v[116:117], v[118:119]
	s_delay_alu instid0(VALU_DEP_1) | instskip(NEXT) | instid1(VALU_DEP_1)
	v_div_fmas_f64 v[112:113], v[112:113], v[114:115], v[116:117]
	v_div_fixup_f64 v[112:113], v[112:113], v[110:111], v[108:109]
	s_delay_alu instid0(VALU_DEP_1) | instskip(NEXT) | instid1(VALU_DEP_1)
	v_fma_f64 v[108:109], v[108:109], v[112:113], v[110:111]
	v_div_scale_f64 v[110:111], null, v[108:109], v[108:109], 1.0
	s_delay_alu instid0(VALU_DEP_1) | instskip(SKIP_2) | instid1(VALU_DEP_1)
	v_rcp_f64_e32 v[114:115], v[110:111]
	s_waitcnt_depctr 0xfff
	v_fma_f64 v[116:117], -v[110:111], v[114:115], 1.0
	v_fma_f64 v[114:115], v[114:115], v[116:117], v[114:115]
	s_delay_alu instid0(VALU_DEP_1) | instskip(NEXT) | instid1(VALU_DEP_1)
	v_fma_f64 v[116:117], -v[110:111], v[114:115], 1.0
	v_fma_f64 v[114:115], v[114:115], v[116:117], v[114:115]
	v_div_scale_f64 v[116:117], vcc_lo, 1.0, v[108:109], 1.0
	s_delay_alu instid0(VALU_DEP_1) | instskip(NEXT) | instid1(VALU_DEP_1)
	v_mul_f64 v[118:119], v[116:117], v[114:115]
	v_fma_f64 v[110:111], -v[110:111], v[118:119], v[116:117]
	s_delay_alu instid0(VALU_DEP_1) | instskip(NEXT) | instid1(VALU_DEP_1)
	v_div_fmas_f64 v[110:111], v[110:111], v[114:115], v[118:119]
	v_div_fixup_f64 v[114:115], v[110:111], v[108:109], 1.0
                                        ; implicit-def: $vgpr108_vgpr109
	s_delay_alu instid0(VALU_DEP_1)
	v_mul_f64 v[116:117], v[112:113], v[114:115]
	v_xor_b32_e32 v115, 0x80000000, v115
.LBB47_32:
	s_and_not1_saveexec_b32 s3, s3
	s_cbranch_execz .LBB47_34
; %bb.33:
	v_div_scale_f64 v[112:113], null, v[108:109], v[108:109], v[110:111]
	v_div_scale_f64 v[118:119], vcc_lo, v[110:111], v[108:109], v[110:111]
	s_delay_alu instid0(VALU_DEP_2) | instskip(SKIP_2) | instid1(VALU_DEP_1)
	v_rcp_f64_e32 v[114:115], v[112:113]
	s_waitcnt_depctr 0xfff
	v_fma_f64 v[116:117], -v[112:113], v[114:115], 1.0
	v_fma_f64 v[114:115], v[114:115], v[116:117], v[114:115]
	s_delay_alu instid0(VALU_DEP_1) | instskip(NEXT) | instid1(VALU_DEP_1)
	v_fma_f64 v[116:117], -v[112:113], v[114:115], 1.0
	v_fma_f64 v[114:115], v[114:115], v[116:117], v[114:115]
	s_delay_alu instid0(VALU_DEP_1) | instskip(NEXT) | instid1(VALU_DEP_1)
	v_mul_f64 v[116:117], v[118:119], v[114:115]
	v_fma_f64 v[112:113], -v[112:113], v[116:117], v[118:119]
	s_delay_alu instid0(VALU_DEP_1) | instskip(NEXT) | instid1(VALU_DEP_1)
	v_div_fmas_f64 v[112:113], v[112:113], v[114:115], v[116:117]
	v_div_fixup_f64 v[112:113], v[112:113], v[108:109], v[110:111]
	s_delay_alu instid0(VALU_DEP_1) | instskip(NEXT) | instid1(VALU_DEP_1)
	v_fma_f64 v[108:109], v[110:111], v[112:113], v[108:109]
	v_div_scale_f64 v[110:111], null, v[108:109], v[108:109], 1.0
	s_delay_alu instid0(VALU_DEP_1) | instskip(SKIP_2) | instid1(VALU_DEP_1)
	v_rcp_f64_e32 v[114:115], v[110:111]
	s_waitcnt_depctr 0xfff
	v_fma_f64 v[116:117], -v[110:111], v[114:115], 1.0
	v_fma_f64 v[114:115], v[114:115], v[116:117], v[114:115]
	s_delay_alu instid0(VALU_DEP_1) | instskip(NEXT) | instid1(VALU_DEP_1)
	v_fma_f64 v[116:117], -v[110:111], v[114:115], 1.0
	v_fma_f64 v[114:115], v[114:115], v[116:117], v[114:115]
	v_div_scale_f64 v[116:117], vcc_lo, 1.0, v[108:109], 1.0
	s_delay_alu instid0(VALU_DEP_1) | instskip(NEXT) | instid1(VALU_DEP_1)
	v_mul_f64 v[118:119], v[116:117], v[114:115]
	v_fma_f64 v[110:111], -v[110:111], v[118:119], v[116:117]
	s_delay_alu instid0(VALU_DEP_1) | instskip(NEXT) | instid1(VALU_DEP_1)
	v_div_fmas_f64 v[110:111], v[110:111], v[114:115], v[118:119]
	v_div_fixup_f64 v[116:117], v[110:111], v[108:109], 1.0
	s_delay_alu instid0(VALU_DEP_1)
	v_mul_f64 v[114:115], v[112:113], -v[116:117]
.LBB47_34:
	s_or_b32 exec_lo, exec_lo, s3
	ds_store_2addr_b64 v245, v[116:117], v[114:115] offset1:1
.LBB47_35:
	s_or_b32 exec_lo, exec_lo, s4
	s_waitcnt lgkmcnt(0)
	s_barrier
	buffer_gl0_inv
	ds_load_2addr_b64 v[108:111], v245 offset1:1
	s_mov_b32 s3, exec_lo
	v_cmpx_lt_u32_e32 3, v244
	s_cbranch_execz .LBB47_37
; %bb.36:
	s_waitcnt lgkmcnt(0)
	v_mul_f64 v[112:113], v[110:111], v[82:83]
	v_mul_f64 v[82:83], v[108:109], v[82:83]
	ds_load_2addr_b64 v[114:117], v246 offset0:8 offset1:9
	ds_load_2addr_b64 v[118:121], v246 offset0:10 offset1:11
	v_fma_f64 v[112:113], v[108:109], v[80:81], -v[112:113]
	v_fma_f64 v[82:83], v[110:111], v[80:81], v[82:83]
	s_waitcnt lgkmcnt(1)
	s_delay_alu instid0(VALU_DEP_1) | instskip(NEXT) | instid1(VALU_DEP_1)
	v_mul_f64 v[80:81], v[116:117], v[82:83]
	v_fma_f64 v[80:81], v[114:115], v[112:113], -v[80:81]
	v_mul_f64 v[114:115], v[114:115], v[82:83]
	s_delay_alu instid0(VALU_DEP_2) | instskip(NEXT) | instid1(VALU_DEP_2)
	v_add_f64 v[76:77], v[76:77], -v[80:81]
	v_fma_f64 v[122:123], v[116:117], v[112:113], v[114:115]
	s_waitcnt lgkmcnt(0)
	v_mul_f64 v[114:115], v[120:121], v[82:83]
	v_dual_mov_b32 v80, v112 :: v_dual_mov_b32 v81, v113
	s_delay_alu instid0(VALU_DEP_3) | instskip(NEXT) | instid1(VALU_DEP_3)
	v_add_f64 v[78:79], v[78:79], -v[122:123]
	v_fma_f64 v[124:125], v[118:119], v[112:113], -v[114:115]
	v_mul_f64 v[114:115], v[118:119], v[82:83]
	s_delay_alu instid0(VALU_DEP_2) | instskip(NEXT) | instid1(VALU_DEP_2)
	v_add_f64 v[72:73], v[72:73], -v[124:125]
	v_fma_f64 v[126:127], v[120:121], v[112:113], v[114:115]
	ds_load_2addr_b64 v[114:117], v246 offset0:12 offset1:13
	ds_load_2addr_b64 v[118:121], v246 offset0:14 offset1:15
	s_waitcnt lgkmcnt(1)
	v_mul_f64 v[128:129], v[116:117], v[82:83]
	v_add_f64 v[74:75], v[74:75], -v[126:127]
	s_delay_alu instid0(VALU_DEP_2) | instskip(SKIP_1) | instid1(VALU_DEP_2)
	v_fma_f64 v[128:129], v[114:115], v[112:113], -v[128:129]
	v_mul_f64 v[114:115], v[114:115], v[82:83]
	v_add_f64 v[68:69], v[68:69], -v[128:129]
	s_delay_alu instid0(VALU_DEP_2) | instskip(SKIP_2) | instid1(VALU_DEP_2)
	v_fma_f64 v[130:131], v[116:117], v[112:113], v[114:115]
	s_waitcnt lgkmcnt(0)
	v_mul_f64 v[114:115], v[120:121], v[82:83]
	v_add_f64 v[70:71], v[70:71], -v[130:131]
	s_delay_alu instid0(VALU_DEP_2) | instskip(SKIP_1) | instid1(VALU_DEP_2)
	v_fma_f64 v[132:133], v[118:119], v[112:113], -v[114:115]
	v_mul_f64 v[114:115], v[118:119], v[82:83]
	v_add_f64 v[64:65], v[64:65], -v[132:133]
	s_delay_alu instid0(VALU_DEP_2)
	v_fma_f64 v[134:135], v[120:121], v[112:113], v[114:115]
	ds_load_2addr_b64 v[114:117], v246 offset0:16 offset1:17
	ds_load_2addr_b64 v[118:121], v246 offset0:18 offset1:19
	s_waitcnt lgkmcnt(1)
	v_mul_f64 v[136:137], v[116:117], v[82:83]
	v_add_f64 v[66:67], v[66:67], -v[134:135]
	s_delay_alu instid0(VALU_DEP_2) | instskip(SKIP_1) | instid1(VALU_DEP_2)
	v_fma_f64 v[136:137], v[114:115], v[112:113], -v[136:137]
	v_mul_f64 v[114:115], v[114:115], v[82:83]
	v_add_f64 v[60:61], v[60:61], -v[136:137]
	s_delay_alu instid0(VALU_DEP_2) | instskip(SKIP_2) | instid1(VALU_DEP_2)
	v_fma_f64 v[138:139], v[116:117], v[112:113], v[114:115]
	s_waitcnt lgkmcnt(0)
	v_mul_f64 v[114:115], v[120:121], v[82:83]
	v_add_f64 v[62:63], v[62:63], -v[138:139]
	s_delay_alu instid0(VALU_DEP_2) | instskip(SKIP_1) | instid1(VALU_DEP_2)
	v_fma_f64 v[140:141], v[118:119], v[112:113], -v[114:115]
	v_mul_f64 v[114:115], v[118:119], v[82:83]
	v_add_f64 v[56:57], v[56:57], -v[140:141]
	s_delay_alu instid0(VALU_DEP_2)
	;; [unrolled: 20-line block ×8, first 2 shown]
	v_fma_f64 v[190:191], v[120:121], v[112:113], v[114:115]
	ds_load_2addr_b64 v[114:117], v246 offset0:44 offset1:45
	ds_load_2addr_b64 v[118:121], v246 offset0:46 offset1:47
	s_waitcnt lgkmcnt(1)
	v_mul_f64 v[242:243], v[116:117], v[82:83]
	v_add_f64 v[10:11], v[10:11], -v[190:191]
	s_delay_alu instid0(VALU_DEP_2) | instskip(SKIP_1) | instid1(VALU_DEP_2)
	v_fma_f64 v[242:243], v[114:115], v[112:113], -v[242:243]
	v_mul_f64 v[114:115], v[114:115], v[82:83]
	v_add_f64 v[4:5], v[4:5], -v[242:243]
	s_delay_alu instid0(VALU_DEP_2) | instskip(SKIP_2) | instid1(VALU_DEP_2)
	v_fma_f64 v[114:115], v[116:117], v[112:113], v[114:115]
	s_waitcnt lgkmcnt(0)
	v_mul_f64 v[116:117], v[120:121], v[82:83]
	v_add_f64 v[6:7], v[6:7], -v[114:115]
	s_delay_alu instid0(VALU_DEP_2) | instskip(SKIP_1) | instid1(VALU_DEP_2)
	v_fma_f64 v[116:117], v[118:119], v[112:113], -v[116:117]
	v_mul_f64 v[118:119], v[118:119], v[82:83]
	v_add_f64 v[0:1], v[0:1], -v[116:117]
	s_delay_alu instid0(VALU_DEP_2) | instskip(NEXT) | instid1(VALU_DEP_1)
	v_fma_f64 v[118:119], v[120:121], v[112:113], v[118:119]
	v_add_f64 v[2:3], v[2:3], -v[118:119]
.LBB47_37:
	s_or_b32 exec_lo, exec_lo, s3
	s_delay_alu instid0(SALU_CYCLE_1)
	s_mov_b32 s4, exec_lo
	s_waitcnt lgkmcnt(0)
	s_barrier
	buffer_gl0_inv
	v_cmpx_eq_u32_e32 4, v244
	s_cbranch_execz .LBB47_44
; %bb.38:
	ds_store_2addr_b64 v245, v[76:77], v[78:79] offset1:1
	ds_store_2addr_b64 v246, v[72:73], v[74:75] offset0:10 offset1:11
	ds_store_2addr_b64 v246, v[68:69], v[70:71] offset0:12 offset1:13
	;; [unrolled: 1-line block ×19, first 2 shown]
	ds_load_2addr_b64 v[112:115], v245 offset1:1
	s_waitcnt lgkmcnt(0)
	v_cmp_neq_f64_e32 vcc_lo, 0, v[112:113]
	v_cmp_neq_f64_e64 s3, 0, v[114:115]
	s_delay_alu instid0(VALU_DEP_1) | instskip(NEXT) | instid1(SALU_CYCLE_1)
	s_or_b32 s3, vcc_lo, s3
	s_and_b32 exec_lo, exec_lo, s3
	s_cbranch_execz .LBB47_44
; %bb.39:
	v_cmp_gt_f64_e32 vcc_lo, 0, v[112:113]
	v_cmp_gt_f64_e64 s3, 0, v[114:115]
	v_xor_b32_e32 v116, 0x80000000, v113
	v_xor_b32_e32 v118, 0x80000000, v115
                                        ; implicit-def: $vgpr120_vgpr121
	s_delay_alu instid0(VALU_DEP_2) | instskip(NEXT) | instid1(VALU_DEP_2)
	v_cndmask_b32_e32 v117, v113, v116, vcc_lo
	v_cndmask_b32_e64 v119, v115, v118, s3
	v_cndmask_b32_e32 v116, v112, v112, vcc_lo
	v_cndmask_b32_e64 v118, v114, v114, s3
	s_mov_b32 s3, exec_lo
	s_delay_alu instid0(VALU_DEP_1)
	v_cmpx_ngt_f64_e32 v[116:117], v[118:119]
	s_xor_b32 s3, exec_lo, s3
                                        ; implicit-def: $vgpr116_vgpr117_vgpr118_vgpr119
	s_cbranch_execz .LBB47_41
; %bb.40:
	v_div_scale_f64 v[116:117], null, v[114:115], v[114:115], v[112:113]
	v_div_scale_f64 v[122:123], vcc_lo, v[112:113], v[114:115], v[112:113]
	s_delay_alu instid0(VALU_DEP_2) | instskip(SKIP_2) | instid1(VALU_DEP_1)
	v_rcp_f64_e32 v[118:119], v[116:117]
	s_waitcnt_depctr 0xfff
	v_fma_f64 v[120:121], -v[116:117], v[118:119], 1.0
	v_fma_f64 v[118:119], v[118:119], v[120:121], v[118:119]
	s_delay_alu instid0(VALU_DEP_1) | instskip(NEXT) | instid1(VALU_DEP_1)
	v_fma_f64 v[120:121], -v[116:117], v[118:119], 1.0
	v_fma_f64 v[118:119], v[118:119], v[120:121], v[118:119]
	s_delay_alu instid0(VALU_DEP_1) | instskip(NEXT) | instid1(VALU_DEP_1)
	v_mul_f64 v[120:121], v[122:123], v[118:119]
	v_fma_f64 v[116:117], -v[116:117], v[120:121], v[122:123]
	s_delay_alu instid0(VALU_DEP_1) | instskip(NEXT) | instid1(VALU_DEP_1)
	v_div_fmas_f64 v[116:117], v[116:117], v[118:119], v[120:121]
	v_div_fixup_f64 v[116:117], v[116:117], v[114:115], v[112:113]
	s_delay_alu instid0(VALU_DEP_1) | instskip(NEXT) | instid1(VALU_DEP_1)
	v_fma_f64 v[112:113], v[112:113], v[116:117], v[114:115]
	v_div_scale_f64 v[114:115], null, v[112:113], v[112:113], 1.0
	s_delay_alu instid0(VALU_DEP_1) | instskip(SKIP_2) | instid1(VALU_DEP_1)
	v_rcp_f64_e32 v[118:119], v[114:115]
	s_waitcnt_depctr 0xfff
	v_fma_f64 v[120:121], -v[114:115], v[118:119], 1.0
	v_fma_f64 v[118:119], v[118:119], v[120:121], v[118:119]
	s_delay_alu instid0(VALU_DEP_1) | instskip(NEXT) | instid1(VALU_DEP_1)
	v_fma_f64 v[120:121], -v[114:115], v[118:119], 1.0
	v_fma_f64 v[118:119], v[118:119], v[120:121], v[118:119]
	v_div_scale_f64 v[120:121], vcc_lo, 1.0, v[112:113], 1.0
	s_delay_alu instid0(VALU_DEP_1) | instskip(NEXT) | instid1(VALU_DEP_1)
	v_mul_f64 v[122:123], v[120:121], v[118:119]
	v_fma_f64 v[114:115], -v[114:115], v[122:123], v[120:121]
	s_delay_alu instid0(VALU_DEP_1) | instskip(NEXT) | instid1(VALU_DEP_1)
	v_div_fmas_f64 v[114:115], v[114:115], v[118:119], v[122:123]
	v_div_fixup_f64 v[118:119], v[114:115], v[112:113], 1.0
                                        ; implicit-def: $vgpr112_vgpr113
	s_delay_alu instid0(VALU_DEP_1)
	v_mul_f64 v[120:121], v[116:117], v[118:119]
	v_xor_b32_e32 v119, 0x80000000, v119
.LBB47_41:
	s_and_not1_saveexec_b32 s3, s3
	s_cbranch_execz .LBB47_43
; %bb.42:
	v_div_scale_f64 v[116:117], null, v[112:113], v[112:113], v[114:115]
	v_div_scale_f64 v[122:123], vcc_lo, v[114:115], v[112:113], v[114:115]
	s_delay_alu instid0(VALU_DEP_2) | instskip(SKIP_2) | instid1(VALU_DEP_1)
	v_rcp_f64_e32 v[118:119], v[116:117]
	s_waitcnt_depctr 0xfff
	v_fma_f64 v[120:121], -v[116:117], v[118:119], 1.0
	v_fma_f64 v[118:119], v[118:119], v[120:121], v[118:119]
	s_delay_alu instid0(VALU_DEP_1) | instskip(NEXT) | instid1(VALU_DEP_1)
	v_fma_f64 v[120:121], -v[116:117], v[118:119], 1.0
	v_fma_f64 v[118:119], v[118:119], v[120:121], v[118:119]
	s_delay_alu instid0(VALU_DEP_1) | instskip(NEXT) | instid1(VALU_DEP_1)
	v_mul_f64 v[120:121], v[122:123], v[118:119]
	v_fma_f64 v[116:117], -v[116:117], v[120:121], v[122:123]
	s_delay_alu instid0(VALU_DEP_1) | instskip(NEXT) | instid1(VALU_DEP_1)
	v_div_fmas_f64 v[116:117], v[116:117], v[118:119], v[120:121]
	v_div_fixup_f64 v[116:117], v[116:117], v[112:113], v[114:115]
	s_delay_alu instid0(VALU_DEP_1) | instskip(NEXT) | instid1(VALU_DEP_1)
	v_fma_f64 v[112:113], v[114:115], v[116:117], v[112:113]
	v_div_scale_f64 v[114:115], null, v[112:113], v[112:113], 1.0
	s_delay_alu instid0(VALU_DEP_1) | instskip(SKIP_2) | instid1(VALU_DEP_1)
	v_rcp_f64_e32 v[118:119], v[114:115]
	s_waitcnt_depctr 0xfff
	v_fma_f64 v[120:121], -v[114:115], v[118:119], 1.0
	v_fma_f64 v[118:119], v[118:119], v[120:121], v[118:119]
	s_delay_alu instid0(VALU_DEP_1) | instskip(NEXT) | instid1(VALU_DEP_1)
	v_fma_f64 v[120:121], -v[114:115], v[118:119], 1.0
	v_fma_f64 v[118:119], v[118:119], v[120:121], v[118:119]
	v_div_scale_f64 v[120:121], vcc_lo, 1.0, v[112:113], 1.0
	s_delay_alu instid0(VALU_DEP_1) | instskip(NEXT) | instid1(VALU_DEP_1)
	v_mul_f64 v[122:123], v[120:121], v[118:119]
	v_fma_f64 v[114:115], -v[114:115], v[122:123], v[120:121]
	s_delay_alu instid0(VALU_DEP_1) | instskip(NEXT) | instid1(VALU_DEP_1)
	v_div_fmas_f64 v[114:115], v[114:115], v[118:119], v[122:123]
	v_div_fixup_f64 v[120:121], v[114:115], v[112:113], 1.0
	s_delay_alu instid0(VALU_DEP_1)
	v_mul_f64 v[118:119], v[116:117], -v[120:121]
.LBB47_43:
	s_or_b32 exec_lo, exec_lo, s3
	ds_store_2addr_b64 v245, v[120:121], v[118:119] offset1:1
.LBB47_44:
	s_or_b32 exec_lo, exec_lo, s4
	s_waitcnt lgkmcnt(0)
	s_barrier
	buffer_gl0_inv
	ds_load_2addr_b64 v[112:115], v245 offset1:1
	s_mov_b32 s3, exec_lo
	v_cmpx_lt_u32_e32 4, v244
	s_cbranch_execz .LBB47_46
; %bb.45:
	s_waitcnt lgkmcnt(0)
	v_mul_f64 v[116:117], v[114:115], v[78:79]
	v_mul_f64 v[78:79], v[112:113], v[78:79]
	ds_load_2addr_b64 v[118:121], v246 offset0:10 offset1:11
	ds_load_2addr_b64 v[122:125], v246 offset0:12 offset1:13
	v_fma_f64 v[116:117], v[112:113], v[76:77], -v[116:117]
	v_fma_f64 v[78:79], v[114:115], v[76:77], v[78:79]
	s_waitcnt lgkmcnt(1)
	s_delay_alu instid0(VALU_DEP_1) | instskip(NEXT) | instid1(VALU_DEP_1)
	v_mul_f64 v[76:77], v[120:121], v[78:79]
	v_fma_f64 v[76:77], v[118:119], v[116:117], -v[76:77]
	v_mul_f64 v[118:119], v[118:119], v[78:79]
	s_delay_alu instid0(VALU_DEP_2) | instskip(NEXT) | instid1(VALU_DEP_2)
	v_add_f64 v[72:73], v[72:73], -v[76:77]
	v_fma_f64 v[126:127], v[120:121], v[116:117], v[118:119]
	s_waitcnt lgkmcnt(0)
	v_mul_f64 v[118:119], v[124:125], v[78:79]
	v_dual_mov_b32 v76, v116 :: v_dual_mov_b32 v77, v117
	s_delay_alu instid0(VALU_DEP_3) | instskip(NEXT) | instid1(VALU_DEP_3)
	v_add_f64 v[74:75], v[74:75], -v[126:127]
	v_fma_f64 v[128:129], v[122:123], v[116:117], -v[118:119]
	v_mul_f64 v[118:119], v[122:123], v[78:79]
	s_delay_alu instid0(VALU_DEP_2) | instskip(NEXT) | instid1(VALU_DEP_2)
	v_add_f64 v[68:69], v[68:69], -v[128:129]
	v_fma_f64 v[130:131], v[124:125], v[116:117], v[118:119]
	ds_load_2addr_b64 v[118:121], v246 offset0:14 offset1:15
	ds_load_2addr_b64 v[122:125], v246 offset0:16 offset1:17
	s_waitcnt lgkmcnt(1)
	v_mul_f64 v[132:133], v[120:121], v[78:79]
	v_add_f64 v[70:71], v[70:71], -v[130:131]
	s_delay_alu instid0(VALU_DEP_2) | instskip(SKIP_1) | instid1(VALU_DEP_2)
	v_fma_f64 v[132:133], v[118:119], v[116:117], -v[132:133]
	v_mul_f64 v[118:119], v[118:119], v[78:79]
	v_add_f64 v[64:65], v[64:65], -v[132:133]
	s_delay_alu instid0(VALU_DEP_2) | instskip(SKIP_2) | instid1(VALU_DEP_2)
	v_fma_f64 v[134:135], v[120:121], v[116:117], v[118:119]
	s_waitcnt lgkmcnt(0)
	v_mul_f64 v[118:119], v[124:125], v[78:79]
	v_add_f64 v[66:67], v[66:67], -v[134:135]
	s_delay_alu instid0(VALU_DEP_2) | instskip(SKIP_1) | instid1(VALU_DEP_2)
	v_fma_f64 v[136:137], v[122:123], v[116:117], -v[118:119]
	v_mul_f64 v[118:119], v[122:123], v[78:79]
	v_add_f64 v[60:61], v[60:61], -v[136:137]
	s_delay_alu instid0(VALU_DEP_2)
	v_fma_f64 v[138:139], v[124:125], v[116:117], v[118:119]
	ds_load_2addr_b64 v[118:121], v246 offset0:18 offset1:19
	ds_load_2addr_b64 v[122:125], v246 offset0:20 offset1:21
	s_waitcnt lgkmcnt(1)
	v_mul_f64 v[140:141], v[120:121], v[78:79]
	v_add_f64 v[62:63], v[62:63], -v[138:139]
	s_delay_alu instid0(VALU_DEP_2) | instskip(SKIP_1) | instid1(VALU_DEP_2)
	v_fma_f64 v[140:141], v[118:119], v[116:117], -v[140:141]
	v_mul_f64 v[118:119], v[118:119], v[78:79]
	v_add_f64 v[56:57], v[56:57], -v[140:141]
	s_delay_alu instid0(VALU_DEP_2) | instskip(SKIP_2) | instid1(VALU_DEP_2)
	v_fma_f64 v[142:143], v[120:121], v[116:117], v[118:119]
	s_waitcnt lgkmcnt(0)
	v_mul_f64 v[118:119], v[124:125], v[78:79]
	v_add_f64 v[58:59], v[58:59], -v[142:143]
	s_delay_alu instid0(VALU_DEP_2) | instskip(SKIP_1) | instid1(VALU_DEP_2)
	v_fma_f64 v[144:145], v[122:123], v[116:117], -v[118:119]
	v_mul_f64 v[118:119], v[122:123], v[78:79]
	v_add_f64 v[52:53], v[52:53], -v[144:145]
	s_delay_alu instid0(VALU_DEP_2)
	;; [unrolled: 20-line block ×7, first 2 shown]
	v_fma_f64 v[186:187], v[124:125], v[116:117], v[118:119]
	ds_load_2addr_b64 v[118:121], v246 offset0:42 offset1:43
	ds_load_2addr_b64 v[122:125], v246 offset0:44 offset1:45
	s_waitcnt lgkmcnt(1)
	v_mul_f64 v[188:189], v[120:121], v[78:79]
	v_add_f64 v[14:15], v[14:15], -v[186:187]
	s_delay_alu instid0(VALU_DEP_2) | instskip(SKIP_1) | instid1(VALU_DEP_2)
	v_fma_f64 v[188:189], v[118:119], v[116:117], -v[188:189]
	v_mul_f64 v[118:119], v[118:119], v[78:79]
	v_add_f64 v[8:9], v[8:9], -v[188:189]
	s_delay_alu instid0(VALU_DEP_2) | instskip(SKIP_2) | instid1(VALU_DEP_2)
	v_fma_f64 v[190:191], v[120:121], v[116:117], v[118:119]
	s_waitcnt lgkmcnt(0)
	v_mul_f64 v[118:119], v[124:125], v[78:79]
	v_add_f64 v[10:11], v[10:11], -v[190:191]
	s_delay_alu instid0(VALU_DEP_2) | instskip(SKIP_1) | instid1(VALU_DEP_2)
	v_fma_f64 v[242:243], v[122:123], v[116:117], -v[118:119]
	v_mul_f64 v[118:119], v[122:123], v[78:79]
	v_add_f64 v[4:5], v[4:5], -v[242:243]
	s_delay_alu instid0(VALU_DEP_2) | instskip(SKIP_4) | instid1(VALU_DEP_2)
	v_fma_f64 v[122:123], v[124:125], v[116:117], v[118:119]
	ds_load_2addr_b64 v[118:121], v246 offset0:46 offset1:47
	s_waitcnt lgkmcnt(0)
	v_mul_f64 v[124:125], v[120:121], v[78:79]
	v_add_f64 v[6:7], v[6:7], -v[122:123]
	v_fma_f64 v[124:125], v[118:119], v[116:117], -v[124:125]
	v_mul_f64 v[118:119], v[118:119], v[78:79]
	s_delay_alu instid0(VALU_DEP_2) | instskip(NEXT) | instid1(VALU_DEP_2)
	v_add_f64 v[0:1], v[0:1], -v[124:125]
	v_fma_f64 v[118:119], v[120:121], v[116:117], v[118:119]
	s_delay_alu instid0(VALU_DEP_1)
	v_add_f64 v[2:3], v[2:3], -v[118:119]
.LBB47_46:
	s_or_b32 exec_lo, exec_lo, s3
	s_delay_alu instid0(SALU_CYCLE_1)
	s_mov_b32 s4, exec_lo
	s_waitcnt lgkmcnt(0)
	s_barrier
	buffer_gl0_inv
	v_cmpx_eq_u32_e32 5, v244
	s_cbranch_execz .LBB47_53
; %bb.47:
	ds_store_2addr_b64 v245, v[72:73], v[74:75] offset1:1
	ds_store_2addr_b64 v246, v[68:69], v[70:71] offset0:12 offset1:13
	ds_store_2addr_b64 v246, v[64:65], v[66:67] offset0:14 offset1:15
	;; [unrolled: 1-line block ×18, first 2 shown]
	ds_load_2addr_b64 v[116:119], v245 offset1:1
	s_waitcnt lgkmcnt(0)
	v_cmp_neq_f64_e32 vcc_lo, 0, v[116:117]
	v_cmp_neq_f64_e64 s3, 0, v[118:119]
	s_delay_alu instid0(VALU_DEP_1) | instskip(NEXT) | instid1(SALU_CYCLE_1)
	s_or_b32 s3, vcc_lo, s3
	s_and_b32 exec_lo, exec_lo, s3
	s_cbranch_execz .LBB47_53
; %bb.48:
	v_cmp_gt_f64_e32 vcc_lo, 0, v[116:117]
	v_cmp_gt_f64_e64 s3, 0, v[118:119]
	v_xor_b32_e32 v120, 0x80000000, v117
	v_xor_b32_e32 v122, 0x80000000, v119
                                        ; implicit-def: $vgpr124_vgpr125
	s_delay_alu instid0(VALU_DEP_2) | instskip(NEXT) | instid1(VALU_DEP_2)
	v_cndmask_b32_e32 v121, v117, v120, vcc_lo
	v_cndmask_b32_e64 v123, v119, v122, s3
	v_cndmask_b32_e32 v120, v116, v116, vcc_lo
	v_cndmask_b32_e64 v122, v118, v118, s3
	s_mov_b32 s3, exec_lo
	s_delay_alu instid0(VALU_DEP_1)
	v_cmpx_ngt_f64_e32 v[120:121], v[122:123]
	s_xor_b32 s3, exec_lo, s3
                                        ; implicit-def: $vgpr120_vgpr121_vgpr122_vgpr123
	s_cbranch_execz .LBB47_50
; %bb.49:
	v_div_scale_f64 v[120:121], null, v[118:119], v[118:119], v[116:117]
	v_div_scale_f64 v[126:127], vcc_lo, v[116:117], v[118:119], v[116:117]
	s_delay_alu instid0(VALU_DEP_2) | instskip(SKIP_2) | instid1(VALU_DEP_1)
	v_rcp_f64_e32 v[122:123], v[120:121]
	s_waitcnt_depctr 0xfff
	v_fma_f64 v[124:125], -v[120:121], v[122:123], 1.0
	v_fma_f64 v[122:123], v[122:123], v[124:125], v[122:123]
	s_delay_alu instid0(VALU_DEP_1) | instskip(NEXT) | instid1(VALU_DEP_1)
	v_fma_f64 v[124:125], -v[120:121], v[122:123], 1.0
	v_fma_f64 v[122:123], v[122:123], v[124:125], v[122:123]
	s_delay_alu instid0(VALU_DEP_1) | instskip(NEXT) | instid1(VALU_DEP_1)
	v_mul_f64 v[124:125], v[126:127], v[122:123]
	v_fma_f64 v[120:121], -v[120:121], v[124:125], v[126:127]
	s_delay_alu instid0(VALU_DEP_1) | instskip(NEXT) | instid1(VALU_DEP_1)
	v_div_fmas_f64 v[120:121], v[120:121], v[122:123], v[124:125]
	v_div_fixup_f64 v[120:121], v[120:121], v[118:119], v[116:117]
	s_delay_alu instid0(VALU_DEP_1) | instskip(NEXT) | instid1(VALU_DEP_1)
	v_fma_f64 v[116:117], v[116:117], v[120:121], v[118:119]
	v_div_scale_f64 v[118:119], null, v[116:117], v[116:117], 1.0
	s_delay_alu instid0(VALU_DEP_1) | instskip(SKIP_2) | instid1(VALU_DEP_1)
	v_rcp_f64_e32 v[122:123], v[118:119]
	s_waitcnt_depctr 0xfff
	v_fma_f64 v[124:125], -v[118:119], v[122:123], 1.0
	v_fma_f64 v[122:123], v[122:123], v[124:125], v[122:123]
	s_delay_alu instid0(VALU_DEP_1) | instskip(NEXT) | instid1(VALU_DEP_1)
	v_fma_f64 v[124:125], -v[118:119], v[122:123], 1.0
	v_fma_f64 v[122:123], v[122:123], v[124:125], v[122:123]
	v_div_scale_f64 v[124:125], vcc_lo, 1.0, v[116:117], 1.0
	s_delay_alu instid0(VALU_DEP_1) | instskip(NEXT) | instid1(VALU_DEP_1)
	v_mul_f64 v[126:127], v[124:125], v[122:123]
	v_fma_f64 v[118:119], -v[118:119], v[126:127], v[124:125]
	s_delay_alu instid0(VALU_DEP_1) | instskip(NEXT) | instid1(VALU_DEP_1)
	v_div_fmas_f64 v[118:119], v[118:119], v[122:123], v[126:127]
	v_div_fixup_f64 v[122:123], v[118:119], v[116:117], 1.0
                                        ; implicit-def: $vgpr116_vgpr117
	s_delay_alu instid0(VALU_DEP_1)
	v_mul_f64 v[124:125], v[120:121], v[122:123]
	v_xor_b32_e32 v123, 0x80000000, v123
.LBB47_50:
	s_and_not1_saveexec_b32 s3, s3
	s_cbranch_execz .LBB47_52
; %bb.51:
	v_div_scale_f64 v[120:121], null, v[116:117], v[116:117], v[118:119]
	v_div_scale_f64 v[126:127], vcc_lo, v[118:119], v[116:117], v[118:119]
	s_delay_alu instid0(VALU_DEP_2) | instskip(SKIP_2) | instid1(VALU_DEP_1)
	v_rcp_f64_e32 v[122:123], v[120:121]
	s_waitcnt_depctr 0xfff
	v_fma_f64 v[124:125], -v[120:121], v[122:123], 1.0
	v_fma_f64 v[122:123], v[122:123], v[124:125], v[122:123]
	s_delay_alu instid0(VALU_DEP_1) | instskip(NEXT) | instid1(VALU_DEP_1)
	v_fma_f64 v[124:125], -v[120:121], v[122:123], 1.0
	v_fma_f64 v[122:123], v[122:123], v[124:125], v[122:123]
	s_delay_alu instid0(VALU_DEP_1) | instskip(NEXT) | instid1(VALU_DEP_1)
	v_mul_f64 v[124:125], v[126:127], v[122:123]
	v_fma_f64 v[120:121], -v[120:121], v[124:125], v[126:127]
	s_delay_alu instid0(VALU_DEP_1) | instskip(NEXT) | instid1(VALU_DEP_1)
	v_div_fmas_f64 v[120:121], v[120:121], v[122:123], v[124:125]
	v_div_fixup_f64 v[120:121], v[120:121], v[116:117], v[118:119]
	s_delay_alu instid0(VALU_DEP_1) | instskip(NEXT) | instid1(VALU_DEP_1)
	v_fma_f64 v[116:117], v[118:119], v[120:121], v[116:117]
	v_div_scale_f64 v[118:119], null, v[116:117], v[116:117], 1.0
	s_delay_alu instid0(VALU_DEP_1) | instskip(SKIP_2) | instid1(VALU_DEP_1)
	v_rcp_f64_e32 v[122:123], v[118:119]
	s_waitcnt_depctr 0xfff
	v_fma_f64 v[124:125], -v[118:119], v[122:123], 1.0
	v_fma_f64 v[122:123], v[122:123], v[124:125], v[122:123]
	s_delay_alu instid0(VALU_DEP_1) | instskip(NEXT) | instid1(VALU_DEP_1)
	v_fma_f64 v[124:125], -v[118:119], v[122:123], 1.0
	v_fma_f64 v[122:123], v[122:123], v[124:125], v[122:123]
	v_div_scale_f64 v[124:125], vcc_lo, 1.0, v[116:117], 1.0
	s_delay_alu instid0(VALU_DEP_1) | instskip(NEXT) | instid1(VALU_DEP_1)
	v_mul_f64 v[126:127], v[124:125], v[122:123]
	v_fma_f64 v[118:119], -v[118:119], v[126:127], v[124:125]
	s_delay_alu instid0(VALU_DEP_1) | instskip(NEXT) | instid1(VALU_DEP_1)
	v_div_fmas_f64 v[118:119], v[118:119], v[122:123], v[126:127]
	v_div_fixup_f64 v[124:125], v[118:119], v[116:117], 1.0
	s_delay_alu instid0(VALU_DEP_1)
	v_mul_f64 v[122:123], v[120:121], -v[124:125]
.LBB47_52:
	s_or_b32 exec_lo, exec_lo, s3
	ds_store_2addr_b64 v245, v[124:125], v[122:123] offset1:1
.LBB47_53:
	s_or_b32 exec_lo, exec_lo, s4
	s_waitcnt lgkmcnt(0)
	s_barrier
	buffer_gl0_inv
	ds_load_2addr_b64 v[116:119], v245 offset1:1
	s_mov_b32 s3, exec_lo
	v_cmpx_lt_u32_e32 5, v244
	s_cbranch_execz .LBB47_55
; %bb.54:
	s_waitcnt lgkmcnt(0)
	v_mul_f64 v[120:121], v[118:119], v[74:75]
	v_mul_f64 v[74:75], v[116:117], v[74:75]
	ds_load_2addr_b64 v[122:125], v246 offset0:12 offset1:13
	ds_load_2addr_b64 v[126:129], v246 offset0:14 offset1:15
	v_fma_f64 v[120:121], v[116:117], v[72:73], -v[120:121]
	v_fma_f64 v[74:75], v[118:119], v[72:73], v[74:75]
	s_waitcnt lgkmcnt(1)
	s_delay_alu instid0(VALU_DEP_1) | instskip(NEXT) | instid1(VALU_DEP_1)
	v_mul_f64 v[72:73], v[124:125], v[74:75]
	v_fma_f64 v[72:73], v[122:123], v[120:121], -v[72:73]
	v_mul_f64 v[122:123], v[122:123], v[74:75]
	s_delay_alu instid0(VALU_DEP_2) | instskip(NEXT) | instid1(VALU_DEP_2)
	v_add_f64 v[68:69], v[68:69], -v[72:73]
	v_fma_f64 v[130:131], v[124:125], v[120:121], v[122:123]
	s_waitcnt lgkmcnt(0)
	v_mul_f64 v[122:123], v[128:129], v[74:75]
	v_dual_mov_b32 v72, v120 :: v_dual_mov_b32 v73, v121
	s_delay_alu instid0(VALU_DEP_3) | instskip(NEXT) | instid1(VALU_DEP_3)
	v_add_f64 v[70:71], v[70:71], -v[130:131]
	v_fma_f64 v[132:133], v[126:127], v[120:121], -v[122:123]
	v_mul_f64 v[122:123], v[126:127], v[74:75]
	s_delay_alu instid0(VALU_DEP_2) | instskip(NEXT) | instid1(VALU_DEP_2)
	v_add_f64 v[64:65], v[64:65], -v[132:133]
	v_fma_f64 v[134:135], v[128:129], v[120:121], v[122:123]
	ds_load_2addr_b64 v[122:125], v246 offset0:16 offset1:17
	ds_load_2addr_b64 v[126:129], v246 offset0:18 offset1:19
	s_waitcnt lgkmcnt(1)
	v_mul_f64 v[136:137], v[124:125], v[74:75]
	v_add_f64 v[66:67], v[66:67], -v[134:135]
	s_delay_alu instid0(VALU_DEP_2) | instskip(SKIP_1) | instid1(VALU_DEP_2)
	v_fma_f64 v[136:137], v[122:123], v[120:121], -v[136:137]
	v_mul_f64 v[122:123], v[122:123], v[74:75]
	v_add_f64 v[60:61], v[60:61], -v[136:137]
	s_delay_alu instid0(VALU_DEP_2) | instskip(SKIP_2) | instid1(VALU_DEP_2)
	v_fma_f64 v[138:139], v[124:125], v[120:121], v[122:123]
	s_waitcnt lgkmcnt(0)
	v_mul_f64 v[122:123], v[128:129], v[74:75]
	v_add_f64 v[62:63], v[62:63], -v[138:139]
	s_delay_alu instid0(VALU_DEP_2) | instskip(SKIP_1) | instid1(VALU_DEP_2)
	v_fma_f64 v[140:141], v[126:127], v[120:121], -v[122:123]
	v_mul_f64 v[122:123], v[126:127], v[74:75]
	v_add_f64 v[56:57], v[56:57], -v[140:141]
	s_delay_alu instid0(VALU_DEP_2)
	v_fma_f64 v[142:143], v[128:129], v[120:121], v[122:123]
	ds_load_2addr_b64 v[122:125], v246 offset0:20 offset1:21
	ds_load_2addr_b64 v[126:129], v246 offset0:22 offset1:23
	s_waitcnt lgkmcnt(1)
	v_mul_f64 v[144:145], v[124:125], v[74:75]
	v_add_f64 v[58:59], v[58:59], -v[142:143]
	s_delay_alu instid0(VALU_DEP_2) | instskip(SKIP_1) | instid1(VALU_DEP_2)
	v_fma_f64 v[144:145], v[122:123], v[120:121], -v[144:145]
	v_mul_f64 v[122:123], v[122:123], v[74:75]
	v_add_f64 v[52:53], v[52:53], -v[144:145]
	s_delay_alu instid0(VALU_DEP_2) | instskip(SKIP_2) | instid1(VALU_DEP_2)
	v_fma_f64 v[146:147], v[124:125], v[120:121], v[122:123]
	s_waitcnt lgkmcnt(0)
	v_mul_f64 v[122:123], v[128:129], v[74:75]
	v_add_f64 v[54:55], v[54:55], -v[146:147]
	s_delay_alu instid0(VALU_DEP_2) | instskip(SKIP_1) | instid1(VALU_DEP_2)
	v_fma_f64 v[148:149], v[126:127], v[120:121], -v[122:123]
	v_mul_f64 v[122:123], v[126:127], v[74:75]
	v_add_f64 v[48:49], v[48:49], -v[148:149]
	s_delay_alu instid0(VALU_DEP_2)
	;; [unrolled: 20-line block ×7, first 2 shown]
	v_fma_f64 v[190:191], v[128:129], v[120:121], v[122:123]
	ds_load_2addr_b64 v[122:125], v246 offset0:44 offset1:45
	ds_load_2addr_b64 v[126:129], v246 offset0:46 offset1:47
	s_waitcnt lgkmcnt(1)
	v_mul_f64 v[242:243], v[124:125], v[74:75]
	v_add_f64 v[10:11], v[10:11], -v[190:191]
	s_delay_alu instid0(VALU_DEP_2) | instskip(SKIP_1) | instid1(VALU_DEP_2)
	v_fma_f64 v[242:243], v[122:123], v[120:121], -v[242:243]
	v_mul_f64 v[122:123], v[122:123], v[74:75]
	v_add_f64 v[4:5], v[4:5], -v[242:243]
	s_delay_alu instid0(VALU_DEP_2) | instskip(SKIP_2) | instid1(VALU_DEP_2)
	v_fma_f64 v[122:123], v[124:125], v[120:121], v[122:123]
	s_waitcnt lgkmcnt(0)
	v_mul_f64 v[124:125], v[128:129], v[74:75]
	v_add_f64 v[6:7], v[6:7], -v[122:123]
	s_delay_alu instid0(VALU_DEP_2) | instskip(SKIP_1) | instid1(VALU_DEP_2)
	v_fma_f64 v[124:125], v[126:127], v[120:121], -v[124:125]
	v_mul_f64 v[126:127], v[126:127], v[74:75]
	v_add_f64 v[0:1], v[0:1], -v[124:125]
	s_delay_alu instid0(VALU_DEP_2) | instskip(NEXT) | instid1(VALU_DEP_1)
	v_fma_f64 v[126:127], v[128:129], v[120:121], v[126:127]
	v_add_f64 v[2:3], v[2:3], -v[126:127]
.LBB47_55:
	s_or_b32 exec_lo, exec_lo, s3
	s_delay_alu instid0(SALU_CYCLE_1)
	s_mov_b32 s4, exec_lo
	s_waitcnt lgkmcnt(0)
	s_barrier
	buffer_gl0_inv
	v_cmpx_eq_u32_e32 6, v244
	s_cbranch_execz .LBB47_62
; %bb.56:
	ds_store_2addr_b64 v245, v[68:69], v[70:71] offset1:1
	ds_store_2addr_b64 v246, v[64:65], v[66:67] offset0:14 offset1:15
	ds_store_2addr_b64 v246, v[60:61], v[62:63] offset0:16 offset1:17
	;; [unrolled: 1-line block ×17, first 2 shown]
	ds_load_2addr_b64 v[120:123], v245 offset1:1
	s_waitcnt lgkmcnt(0)
	v_cmp_neq_f64_e32 vcc_lo, 0, v[120:121]
	v_cmp_neq_f64_e64 s3, 0, v[122:123]
	s_delay_alu instid0(VALU_DEP_1) | instskip(NEXT) | instid1(SALU_CYCLE_1)
	s_or_b32 s3, vcc_lo, s3
	s_and_b32 exec_lo, exec_lo, s3
	s_cbranch_execz .LBB47_62
; %bb.57:
	v_cmp_gt_f64_e32 vcc_lo, 0, v[120:121]
	v_cmp_gt_f64_e64 s3, 0, v[122:123]
	v_xor_b32_e32 v124, 0x80000000, v121
	v_xor_b32_e32 v126, 0x80000000, v123
                                        ; implicit-def: $vgpr128_vgpr129
	s_delay_alu instid0(VALU_DEP_2) | instskip(NEXT) | instid1(VALU_DEP_2)
	v_cndmask_b32_e32 v125, v121, v124, vcc_lo
	v_cndmask_b32_e64 v127, v123, v126, s3
	v_cndmask_b32_e32 v124, v120, v120, vcc_lo
	v_cndmask_b32_e64 v126, v122, v122, s3
	s_mov_b32 s3, exec_lo
	s_delay_alu instid0(VALU_DEP_1)
	v_cmpx_ngt_f64_e32 v[124:125], v[126:127]
	s_xor_b32 s3, exec_lo, s3
                                        ; implicit-def: $vgpr124_vgpr125_vgpr126_vgpr127
	s_cbranch_execz .LBB47_59
; %bb.58:
	v_div_scale_f64 v[124:125], null, v[122:123], v[122:123], v[120:121]
	v_div_scale_f64 v[130:131], vcc_lo, v[120:121], v[122:123], v[120:121]
	s_delay_alu instid0(VALU_DEP_2) | instskip(SKIP_2) | instid1(VALU_DEP_1)
	v_rcp_f64_e32 v[126:127], v[124:125]
	s_waitcnt_depctr 0xfff
	v_fma_f64 v[128:129], -v[124:125], v[126:127], 1.0
	v_fma_f64 v[126:127], v[126:127], v[128:129], v[126:127]
	s_delay_alu instid0(VALU_DEP_1) | instskip(NEXT) | instid1(VALU_DEP_1)
	v_fma_f64 v[128:129], -v[124:125], v[126:127], 1.0
	v_fma_f64 v[126:127], v[126:127], v[128:129], v[126:127]
	s_delay_alu instid0(VALU_DEP_1) | instskip(NEXT) | instid1(VALU_DEP_1)
	v_mul_f64 v[128:129], v[130:131], v[126:127]
	v_fma_f64 v[124:125], -v[124:125], v[128:129], v[130:131]
	s_delay_alu instid0(VALU_DEP_1) | instskip(NEXT) | instid1(VALU_DEP_1)
	v_div_fmas_f64 v[124:125], v[124:125], v[126:127], v[128:129]
	v_div_fixup_f64 v[124:125], v[124:125], v[122:123], v[120:121]
	s_delay_alu instid0(VALU_DEP_1) | instskip(NEXT) | instid1(VALU_DEP_1)
	v_fma_f64 v[120:121], v[120:121], v[124:125], v[122:123]
	v_div_scale_f64 v[122:123], null, v[120:121], v[120:121], 1.0
	s_delay_alu instid0(VALU_DEP_1) | instskip(SKIP_2) | instid1(VALU_DEP_1)
	v_rcp_f64_e32 v[126:127], v[122:123]
	s_waitcnt_depctr 0xfff
	v_fma_f64 v[128:129], -v[122:123], v[126:127], 1.0
	v_fma_f64 v[126:127], v[126:127], v[128:129], v[126:127]
	s_delay_alu instid0(VALU_DEP_1) | instskip(NEXT) | instid1(VALU_DEP_1)
	v_fma_f64 v[128:129], -v[122:123], v[126:127], 1.0
	v_fma_f64 v[126:127], v[126:127], v[128:129], v[126:127]
	v_div_scale_f64 v[128:129], vcc_lo, 1.0, v[120:121], 1.0
	s_delay_alu instid0(VALU_DEP_1) | instskip(NEXT) | instid1(VALU_DEP_1)
	v_mul_f64 v[130:131], v[128:129], v[126:127]
	v_fma_f64 v[122:123], -v[122:123], v[130:131], v[128:129]
	s_delay_alu instid0(VALU_DEP_1) | instskip(NEXT) | instid1(VALU_DEP_1)
	v_div_fmas_f64 v[122:123], v[122:123], v[126:127], v[130:131]
	v_div_fixup_f64 v[126:127], v[122:123], v[120:121], 1.0
                                        ; implicit-def: $vgpr120_vgpr121
	s_delay_alu instid0(VALU_DEP_1)
	v_mul_f64 v[128:129], v[124:125], v[126:127]
	v_xor_b32_e32 v127, 0x80000000, v127
.LBB47_59:
	s_and_not1_saveexec_b32 s3, s3
	s_cbranch_execz .LBB47_61
; %bb.60:
	v_div_scale_f64 v[124:125], null, v[120:121], v[120:121], v[122:123]
	v_div_scale_f64 v[130:131], vcc_lo, v[122:123], v[120:121], v[122:123]
	s_delay_alu instid0(VALU_DEP_2) | instskip(SKIP_2) | instid1(VALU_DEP_1)
	v_rcp_f64_e32 v[126:127], v[124:125]
	s_waitcnt_depctr 0xfff
	v_fma_f64 v[128:129], -v[124:125], v[126:127], 1.0
	v_fma_f64 v[126:127], v[126:127], v[128:129], v[126:127]
	s_delay_alu instid0(VALU_DEP_1) | instskip(NEXT) | instid1(VALU_DEP_1)
	v_fma_f64 v[128:129], -v[124:125], v[126:127], 1.0
	v_fma_f64 v[126:127], v[126:127], v[128:129], v[126:127]
	s_delay_alu instid0(VALU_DEP_1) | instskip(NEXT) | instid1(VALU_DEP_1)
	v_mul_f64 v[128:129], v[130:131], v[126:127]
	v_fma_f64 v[124:125], -v[124:125], v[128:129], v[130:131]
	s_delay_alu instid0(VALU_DEP_1) | instskip(NEXT) | instid1(VALU_DEP_1)
	v_div_fmas_f64 v[124:125], v[124:125], v[126:127], v[128:129]
	v_div_fixup_f64 v[124:125], v[124:125], v[120:121], v[122:123]
	s_delay_alu instid0(VALU_DEP_1) | instskip(NEXT) | instid1(VALU_DEP_1)
	v_fma_f64 v[120:121], v[122:123], v[124:125], v[120:121]
	v_div_scale_f64 v[122:123], null, v[120:121], v[120:121], 1.0
	s_delay_alu instid0(VALU_DEP_1) | instskip(SKIP_2) | instid1(VALU_DEP_1)
	v_rcp_f64_e32 v[126:127], v[122:123]
	s_waitcnt_depctr 0xfff
	v_fma_f64 v[128:129], -v[122:123], v[126:127], 1.0
	v_fma_f64 v[126:127], v[126:127], v[128:129], v[126:127]
	s_delay_alu instid0(VALU_DEP_1) | instskip(NEXT) | instid1(VALU_DEP_1)
	v_fma_f64 v[128:129], -v[122:123], v[126:127], 1.0
	v_fma_f64 v[126:127], v[126:127], v[128:129], v[126:127]
	v_div_scale_f64 v[128:129], vcc_lo, 1.0, v[120:121], 1.0
	s_delay_alu instid0(VALU_DEP_1) | instskip(NEXT) | instid1(VALU_DEP_1)
	v_mul_f64 v[130:131], v[128:129], v[126:127]
	v_fma_f64 v[122:123], -v[122:123], v[130:131], v[128:129]
	s_delay_alu instid0(VALU_DEP_1) | instskip(NEXT) | instid1(VALU_DEP_1)
	v_div_fmas_f64 v[122:123], v[122:123], v[126:127], v[130:131]
	v_div_fixup_f64 v[128:129], v[122:123], v[120:121], 1.0
	s_delay_alu instid0(VALU_DEP_1)
	v_mul_f64 v[126:127], v[124:125], -v[128:129]
.LBB47_61:
	s_or_b32 exec_lo, exec_lo, s3
	ds_store_2addr_b64 v245, v[128:129], v[126:127] offset1:1
.LBB47_62:
	s_or_b32 exec_lo, exec_lo, s4
	s_waitcnt lgkmcnt(0)
	s_barrier
	buffer_gl0_inv
	ds_load_2addr_b64 v[120:123], v245 offset1:1
	s_mov_b32 s3, exec_lo
	v_cmpx_lt_u32_e32 6, v244
	s_cbranch_execz .LBB47_64
; %bb.63:
	s_waitcnt lgkmcnt(0)
	v_mul_f64 v[124:125], v[122:123], v[70:71]
	v_mul_f64 v[70:71], v[120:121], v[70:71]
	ds_load_2addr_b64 v[126:129], v246 offset0:14 offset1:15
	ds_load_2addr_b64 v[130:133], v246 offset0:16 offset1:17
	v_fma_f64 v[124:125], v[120:121], v[68:69], -v[124:125]
	v_fma_f64 v[70:71], v[122:123], v[68:69], v[70:71]
	s_waitcnt lgkmcnt(1)
	s_delay_alu instid0(VALU_DEP_1) | instskip(NEXT) | instid1(VALU_DEP_1)
	v_mul_f64 v[68:69], v[128:129], v[70:71]
	v_fma_f64 v[68:69], v[126:127], v[124:125], -v[68:69]
	v_mul_f64 v[126:127], v[126:127], v[70:71]
	s_delay_alu instid0(VALU_DEP_2) | instskip(NEXT) | instid1(VALU_DEP_2)
	v_add_f64 v[64:65], v[64:65], -v[68:69]
	v_fma_f64 v[134:135], v[128:129], v[124:125], v[126:127]
	s_waitcnt lgkmcnt(0)
	v_mul_f64 v[126:127], v[132:133], v[70:71]
	v_dual_mov_b32 v68, v124 :: v_dual_mov_b32 v69, v125
	s_delay_alu instid0(VALU_DEP_3) | instskip(NEXT) | instid1(VALU_DEP_3)
	v_add_f64 v[66:67], v[66:67], -v[134:135]
	v_fma_f64 v[136:137], v[130:131], v[124:125], -v[126:127]
	v_mul_f64 v[126:127], v[130:131], v[70:71]
	s_delay_alu instid0(VALU_DEP_2) | instskip(NEXT) | instid1(VALU_DEP_2)
	v_add_f64 v[60:61], v[60:61], -v[136:137]
	v_fma_f64 v[138:139], v[132:133], v[124:125], v[126:127]
	ds_load_2addr_b64 v[126:129], v246 offset0:18 offset1:19
	ds_load_2addr_b64 v[130:133], v246 offset0:20 offset1:21
	s_waitcnt lgkmcnt(1)
	v_mul_f64 v[140:141], v[128:129], v[70:71]
	v_add_f64 v[62:63], v[62:63], -v[138:139]
	s_delay_alu instid0(VALU_DEP_2) | instskip(SKIP_1) | instid1(VALU_DEP_2)
	v_fma_f64 v[140:141], v[126:127], v[124:125], -v[140:141]
	v_mul_f64 v[126:127], v[126:127], v[70:71]
	v_add_f64 v[56:57], v[56:57], -v[140:141]
	s_delay_alu instid0(VALU_DEP_2) | instskip(SKIP_2) | instid1(VALU_DEP_2)
	v_fma_f64 v[142:143], v[128:129], v[124:125], v[126:127]
	s_waitcnt lgkmcnt(0)
	v_mul_f64 v[126:127], v[132:133], v[70:71]
	v_add_f64 v[58:59], v[58:59], -v[142:143]
	s_delay_alu instid0(VALU_DEP_2) | instskip(SKIP_1) | instid1(VALU_DEP_2)
	v_fma_f64 v[144:145], v[130:131], v[124:125], -v[126:127]
	v_mul_f64 v[126:127], v[130:131], v[70:71]
	v_add_f64 v[52:53], v[52:53], -v[144:145]
	s_delay_alu instid0(VALU_DEP_2)
	v_fma_f64 v[146:147], v[132:133], v[124:125], v[126:127]
	ds_load_2addr_b64 v[126:129], v246 offset0:22 offset1:23
	ds_load_2addr_b64 v[130:133], v246 offset0:24 offset1:25
	s_waitcnt lgkmcnt(1)
	v_mul_f64 v[148:149], v[128:129], v[70:71]
	v_add_f64 v[54:55], v[54:55], -v[146:147]
	s_delay_alu instid0(VALU_DEP_2) | instskip(SKIP_1) | instid1(VALU_DEP_2)
	v_fma_f64 v[148:149], v[126:127], v[124:125], -v[148:149]
	v_mul_f64 v[126:127], v[126:127], v[70:71]
	v_add_f64 v[48:49], v[48:49], -v[148:149]
	s_delay_alu instid0(VALU_DEP_2) | instskip(SKIP_2) | instid1(VALU_DEP_2)
	v_fma_f64 v[150:151], v[128:129], v[124:125], v[126:127]
	s_waitcnt lgkmcnt(0)
	v_mul_f64 v[126:127], v[132:133], v[70:71]
	v_add_f64 v[50:51], v[50:51], -v[150:151]
	s_delay_alu instid0(VALU_DEP_2) | instskip(SKIP_1) | instid1(VALU_DEP_2)
	v_fma_f64 v[152:153], v[130:131], v[124:125], -v[126:127]
	v_mul_f64 v[126:127], v[130:131], v[70:71]
	v_add_f64 v[44:45], v[44:45], -v[152:153]
	s_delay_alu instid0(VALU_DEP_2)
	;; [unrolled: 20-line block ×6, first 2 shown]
	v_fma_f64 v[186:187], v[132:133], v[124:125], v[126:127]
	ds_load_2addr_b64 v[126:129], v246 offset0:42 offset1:43
	ds_load_2addr_b64 v[130:133], v246 offset0:44 offset1:45
	s_waitcnt lgkmcnt(1)
	v_mul_f64 v[188:189], v[128:129], v[70:71]
	v_add_f64 v[14:15], v[14:15], -v[186:187]
	s_delay_alu instid0(VALU_DEP_2) | instskip(SKIP_1) | instid1(VALU_DEP_2)
	v_fma_f64 v[188:189], v[126:127], v[124:125], -v[188:189]
	v_mul_f64 v[126:127], v[126:127], v[70:71]
	v_add_f64 v[8:9], v[8:9], -v[188:189]
	s_delay_alu instid0(VALU_DEP_2) | instskip(SKIP_2) | instid1(VALU_DEP_2)
	v_fma_f64 v[190:191], v[128:129], v[124:125], v[126:127]
	s_waitcnt lgkmcnt(0)
	v_mul_f64 v[126:127], v[132:133], v[70:71]
	v_add_f64 v[10:11], v[10:11], -v[190:191]
	s_delay_alu instid0(VALU_DEP_2) | instskip(SKIP_1) | instid1(VALU_DEP_2)
	v_fma_f64 v[242:243], v[130:131], v[124:125], -v[126:127]
	v_mul_f64 v[126:127], v[130:131], v[70:71]
	v_add_f64 v[4:5], v[4:5], -v[242:243]
	s_delay_alu instid0(VALU_DEP_2) | instskip(SKIP_4) | instid1(VALU_DEP_2)
	v_fma_f64 v[130:131], v[132:133], v[124:125], v[126:127]
	ds_load_2addr_b64 v[126:129], v246 offset0:46 offset1:47
	s_waitcnt lgkmcnt(0)
	v_mul_f64 v[132:133], v[128:129], v[70:71]
	v_add_f64 v[6:7], v[6:7], -v[130:131]
	v_fma_f64 v[132:133], v[126:127], v[124:125], -v[132:133]
	v_mul_f64 v[126:127], v[126:127], v[70:71]
	s_delay_alu instid0(VALU_DEP_2) | instskip(NEXT) | instid1(VALU_DEP_2)
	v_add_f64 v[0:1], v[0:1], -v[132:133]
	v_fma_f64 v[126:127], v[128:129], v[124:125], v[126:127]
	s_delay_alu instid0(VALU_DEP_1)
	v_add_f64 v[2:3], v[2:3], -v[126:127]
.LBB47_64:
	s_or_b32 exec_lo, exec_lo, s3
	s_delay_alu instid0(SALU_CYCLE_1)
	s_mov_b32 s4, exec_lo
	s_waitcnt lgkmcnt(0)
	s_barrier
	buffer_gl0_inv
	v_cmpx_eq_u32_e32 7, v244
	s_cbranch_execz .LBB47_71
; %bb.65:
	ds_store_2addr_b64 v245, v[64:65], v[66:67] offset1:1
	ds_store_2addr_b64 v246, v[60:61], v[62:63] offset0:16 offset1:17
	ds_store_2addr_b64 v246, v[56:57], v[58:59] offset0:18 offset1:19
	ds_store_2addr_b64 v246, v[52:53], v[54:55] offset0:20 offset1:21
	ds_store_2addr_b64 v246, v[48:49], v[50:51] offset0:22 offset1:23
	ds_store_2addr_b64 v246, v[44:45], v[46:47] offset0:24 offset1:25
	ds_store_2addr_b64 v246, v[40:41], v[42:43] offset0:26 offset1:27
	ds_store_2addr_b64 v246, v[36:37], v[38:39] offset0:28 offset1:29
	ds_store_2addr_b64 v246, v[32:33], v[34:35] offset0:30 offset1:31
	ds_store_2addr_b64 v246, v[28:29], v[30:31] offset0:32 offset1:33
	ds_store_2addr_b64 v246, v[24:25], v[26:27] offset0:34 offset1:35
	ds_store_2addr_b64 v246, v[20:21], v[22:23] offset0:36 offset1:37
	ds_store_2addr_b64 v246, v[16:17], v[18:19] offset0:38 offset1:39
	ds_store_2addr_b64 v246, v[12:13], v[14:15] offset0:40 offset1:41
	ds_store_2addr_b64 v246, v[8:9], v[10:11] offset0:42 offset1:43
	ds_store_2addr_b64 v246, v[4:5], v[6:7] offset0:44 offset1:45
	ds_store_2addr_b64 v246, v[0:1], v[2:3] offset0:46 offset1:47
	ds_load_2addr_b64 v[124:127], v245 offset1:1
	s_waitcnt lgkmcnt(0)
	v_cmp_neq_f64_e32 vcc_lo, 0, v[124:125]
	v_cmp_neq_f64_e64 s3, 0, v[126:127]
	s_delay_alu instid0(VALU_DEP_1) | instskip(NEXT) | instid1(SALU_CYCLE_1)
	s_or_b32 s3, vcc_lo, s3
	s_and_b32 exec_lo, exec_lo, s3
	s_cbranch_execz .LBB47_71
; %bb.66:
	v_cmp_gt_f64_e32 vcc_lo, 0, v[124:125]
	v_cmp_gt_f64_e64 s3, 0, v[126:127]
	v_xor_b32_e32 v128, 0x80000000, v125
	v_xor_b32_e32 v130, 0x80000000, v127
                                        ; implicit-def: $vgpr132_vgpr133
	s_delay_alu instid0(VALU_DEP_2) | instskip(NEXT) | instid1(VALU_DEP_2)
	v_cndmask_b32_e32 v129, v125, v128, vcc_lo
	v_cndmask_b32_e64 v131, v127, v130, s3
	v_cndmask_b32_e32 v128, v124, v124, vcc_lo
	v_cndmask_b32_e64 v130, v126, v126, s3
	s_mov_b32 s3, exec_lo
	s_delay_alu instid0(VALU_DEP_1)
	v_cmpx_ngt_f64_e32 v[128:129], v[130:131]
	s_xor_b32 s3, exec_lo, s3
                                        ; implicit-def: $vgpr128_vgpr129_vgpr130_vgpr131
	s_cbranch_execz .LBB47_68
; %bb.67:
	v_div_scale_f64 v[128:129], null, v[126:127], v[126:127], v[124:125]
	v_div_scale_f64 v[134:135], vcc_lo, v[124:125], v[126:127], v[124:125]
	s_delay_alu instid0(VALU_DEP_2) | instskip(SKIP_2) | instid1(VALU_DEP_1)
	v_rcp_f64_e32 v[130:131], v[128:129]
	s_waitcnt_depctr 0xfff
	v_fma_f64 v[132:133], -v[128:129], v[130:131], 1.0
	v_fma_f64 v[130:131], v[130:131], v[132:133], v[130:131]
	s_delay_alu instid0(VALU_DEP_1) | instskip(NEXT) | instid1(VALU_DEP_1)
	v_fma_f64 v[132:133], -v[128:129], v[130:131], 1.0
	v_fma_f64 v[130:131], v[130:131], v[132:133], v[130:131]
	s_delay_alu instid0(VALU_DEP_1) | instskip(NEXT) | instid1(VALU_DEP_1)
	v_mul_f64 v[132:133], v[134:135], v[130:131]
	v_fma_f64 v[128:129], -v[128:129], v[132:133], v[134:135]
	s_delay_alu instid0(VALU_DEP_1) | instskip(NEXT) | instid1(VALU_DEP_1)
	v_div_fmas_f64 v[128:129], v[128:129], v[130:131], v[132:133]
	v_div_fixup_f64 v[128:129], v[128:129], v[126:127], v[124:125]
	s_delay_alu instid0(VALU_DEP_1) | instskip(NEXT) | instid1(VALU_DEP_1)
	v_fma_f64 v[124:125], v[124:125], v[128:129], v[126:127]
	v_div_scale_f64 v[126:127], null, v[124:125], v[124:125], 1.0
	s_delay_alu instid0(VALU_DEP_1) | instskip(SKIP_2) | instid1(VALU_DEP_1)
	v_rcp_f64_e32 v[130:131], v[126:127]
	s_waitcnt_depctr 0xfff
	v_fma_f64 v[132:133], -v[126:127], v[130:131], 1.0
	v_fma_f64 v[130:131], v[130:131], v[132:133], v[130:131]
	s_delay_alu instid0(VALU_DEP_1) | instskip(NEXT) | instid1(VALU_DEP_1)
	v_fma_f64 v[132:133], -v[126:127], v[130:131], 1.0
	v_fma_f64 v[130:131], v[130:131], v[132:133], v[130:131]
	v_div_scale_f64 v[132:133], vcc_lo, 1.0, v[124:125], 1.0
	s_delay_alu instid0(VALU_DEP_1) | instskip(NEXT) | instid1(VALU_DEP_1)
	v_mul_f64 v[134:135], v[132:133], v[130:131]
	v_fma_f64 v[126:127], -v[126:127], v[134:135], v[132:133]
	s_delay_alu instid0(VALU_DEP_1) | instskip(NEXT) | instid1(VALU_DEP_1)
	v_div_fmas_f64 v[126:127], v[126:127], v[130:131], v[134:135]
	v_div_fixup_f64 v[130:131], v[126:127], v[124:125], 1.0
                                        ; implicit-def: $vgpr124_vgpr125
	s_delay_alu instid0(VALU_DEP_1)
	v_mul_f64 v[132:133], v[128:129], v[130:131]
	v_xor_b32_e32 v131, 0x80000000, v131
.LBB47_68:
	s_and_not1_saveexec_b32 s3, s3
	s_cbranch_execz .LBB47_70
; %bb.69:
	v_div_scale_f64 v[128:129], null, v[124:125], v[124:125], v[126:127]
	v_div_scale_f64 v[134:135], vcc_lo, v[126:127], v[124:125], v[126:127]
	s_delay_alu instid0(VALU_DEP_2) | instskip(SKIP_2) | instid1(VALU_DEP_1)
	v_rcp_f64_e32 v[130:131], v[128:129]
	s_waitcnt_depctr 0xfff
	v_fma_f64 v[132:133], -v[128:129], v[130:131], 1.0
	v_fma_f64 v[130:131], v[130:131], v[132:133], v[130:131]
	s_delay_alu instid0(VALU_DEP_1) | instskip(NEXT) | instid1(VALU_DEP_1)
	v_fma_f64 v[132:133], -v[128:129], v[130:131], 1.0
	v_fma_f64 v[130:131], v[130:131], v[132:133], v[130:131]
	s_delay_alu instid0(VALU_DEP_1) | instskip(NEXT) | instid1(VALU_DEP_1)
	v_mul_f64 v[132:133], v[134:135], v[130:131]
	v_fma_f64 v[128:129], -v[128:129], v[132:133], v[134:135]
	s_delay_alu instid0(VALU_DEP_1) | instskip(NEXT) | instid1(VALU_DEP_1)
	v_div_fmas_f64 v[128:129], v[128:129], v[130:131], v[132:133]
	v_div_fixup_f64 v[128:129], v[128:129], v[124:125], v[126:127]
	s_delay_alu instid0(VALU_DEP_1) | instskip(NEXT) | instid1(VALU_DEP_1)
	v_fma_f64 v[124:125], v[126:127], v[128:129], v[124:125]
	v_div_scale_f64 v[126:127], null, v[124:125], v[124:125], 1.0
	s_delay_alu instid0(VALU_DEP_1) | instskip(SKIP_2) | instid1(VALU_DEP_1)
	v_rcp_f64_e32 v[130:131], v[126:127]
	s_waitcnt_depctr 0xfff
	v_fma_f64 v[132:133], -v[126:127], v[130:131], 1.0
	v_fma_f64 v[130:131], v[130:131], v[132:133], v[130:131]
	s_delay_alu instid0(VALU_DEP_1) | instskip(NEXT) | instid1(VALU_DEP_1)
	v_fma_f64 v[132:133], -v[126:127], v[130:131], 1.0
	v_fma_f64 v[130:131], v[130:131], v[132:133], v[130:131]
	v_div_scale_f64 v[132:133], vcc_lo, 1.0, v[124:125], 1.0
	s_delay_alu instid0(VALU_DEP_1) | instskip(NEXT) | instid1(VALU_DEP_1)
	v_mul_f64 v[134:135], v[132:133], v[130:131]
	v_fma_f64 v[126:127], -v[126:127], v[134:135], v[132:133]
	s_delay_alu instid0(VALU_DEP_1) | instskip(NEXT) | instid1(VALU_DEP_1)
	v_div_fmas_f64 v[126:127], v[126:127], v[130:131], v[134:135]
	v_div_fixup_f64 v[132:133], v[126:127], v[124:125], 1.0
	s_delay_alu instid0(VALU_DEP_1)
	v_mul_f64 v[130:131], v[128:129], -v[132:133]
.LBB47_70:
	s_or_b32 exec_lo, exec_lo, s3
	ds_store_2addr_b64 v245, v[132:133], v[130:131] offset1:1
.LBB47_71:
	s_or_b32 exec_lo, exec_lo, s4
	s_waitcnt lgkmcnt(0)
	s_barrier
	buffer_gl0_inv
	ds_load_2addr_b64 v[124:127], v245 offset1:1
	s_mov_b32 s3, exec_lo
	v_cmpx_lt_u32_e32 7, v244
	s_cbranch_execz .LBB47_73
; %bb.72:
	s_waitcnt lgkmcnt(0)
	v_mul_f64 v[128:129], v[124:125], v[66:67]
	v_mul_f64 v[66:67], v[126:127], v[66:67]
	ds_load_2addr_b64 v[130:133], v246 offset0:16 offset1:17
	ds_load_2addr_b64 v[134:137], v246 offset0:18 offset1:19
	v_fma_f64 v[128:129], v[126:127], v[64:65], v[128:129]
	v_fma_f64 v[64:65], v[124:125], v[64:65], -v[66:67]
	s_waitcnt lgkmcnt(1)
	s_delay_alu instid0(VALU_DEP_2) | instskip(NEXT) | instid1(VALU_DEP_1)
	v_mul_f64 v[66:67], v[132:133], v[128:129]
	v_fma_f64 v[66:67], v[130:131], v[64:65], -v[66:67]
	v_mul_f64 v[130:131], v[130:131], v[128:129]
	s_delay_alu instid0(VALU_DEP_2) | instskip(NEXT) | instid1(VALU_DEP_2)
	v_add_f64 v[60:61], v[60:61], -v[66:67]
	v_fma_f64 v[138:139], v[132:133], v[64:65], v[130:131]
	s_waitcnt lgkmcnt(0)
	v_mul_f64 v[130:131], v[136:137], v[128:129]
	v_dual_mov_b32 v66, v128 :: v_dual_mov_b32 v67, v129
	s_delay_alu instid0(VALU_DEP_3) | instskip(NEXT) | instid1(VALU_DEP_3)
	v_add_f64 v[62:63], v[62:63], -v[138:139]
	v_fma_f64 v[140:141], v[134:135], v[64:65], -v[130:131]
	v_mul_f64 v[130:131], v[134:135], v[128:129]
	s_delay_alu instid0(VALU_DEP_2) | instskip(NEXT) | instid1(VALU_DEP_2)
	v_add_f64 v[56:57], v[56:57], -v[140:141]
	v_fma_f64 v[142:143], v[136:137], v[64:65], v[130:131]
	ds_load_2addr_b64 v[130:133], v246 offset0:20 offset1:21
	ds_load_2addr_b64 v[134:137], v246 offset0:22 offset1:23
	s_waitcnt lgkmcnt(1)
	v_mul_f64 v[144:145], v[132:133], v[128:129]
	v_add_f64 v[58:59], v[58:59], -v[142:143]
	s_delay_alu instid0(VALU_DEP_2) | instskip(SKIP_1) | instid1(VALU_DEP_2)
	v_fma_f64 v[144:145], v[130:131], v[64:65], -v[144:145]
	v_mul_f64 v[130:131], v[130:131], v[128:129]
	v_add_f64 v[52:53], v[52:53], -v[144:145]
	s_delay_alu instid0(VALU_DEP_2) | instskip(SKIP_2) | instid1(VALU_DEP_2)
	v_fma_f64 v[146:147], v[132:133], v[64:65], v[130:131]
	s_waitcnt lgkmcnt(0)
	v_mul_f64 v[130:131], v[136:137], v[128:129]
	v_add_f64 v[54:55], v[54:55], -v[146:147]
	s_delay_alu instid0(VALU_DEP_2) | instskip(SKIP_1) | instid1(VALU_DEP_2)
	v_fma_f64 v[148:149], v[134:135], v[64:65], -v[130:131]
	v_mul_f64 v[130:131], v[134:135], v[128:129]
	v_add_f64 v[48:49], v[48:49], -v[148:149]
	s_delay_alu instid0(VALU_DEP_2)
	v_fma_f64 v[150:151], v[136:137], v[64:65], v[130:131]
	ds_load_2addr_b64 v[130:133], v246 offset0:24 offset1:25
	ds_load_2addr_b64 v[134:137], v246 offset0:26 offset1:27
	s_waitcnt lgkmcnt(1)
	v_mul_f64 v[152:153], v[132:133], v[128:129]
	v_add_f64 v[50:51], v[50:51], -v[150:151]
	s_delay_alu instid0(VALU_DEP_2) | instskip(SKIP_1) | instid1(VALU_DEP_2)
	v_fma_f64 v[152:153], v[130:131], v[64:65], -v[152:153]
	v_mul_f64 v[130:131], v[130:131], v[128:129]
	v_add_f64 v[44:45], v[44:45], -v[152:153]
	s_delay_alu instid0(VALU_DEP_2) | instskip(SKIP_2) | instid1(VALU_DEP_2)
	v_fma_f64 v[154:155], v[132:133], v[64:65], v[130:131]
	s_waitcnt lgkmcnt(0)
	v_mul_f64 v[130:131], v[136:137], v[128:129]
	v_add_f64 v[46:47], v[46:47], -v[154:155]
	s_delay_alu instid0(VALU_DEP_2) | instskip(SKIP_1) | instid1(VALU_DEP_2)
	v_fma_f64 v[156:157], v[134:135], v[64:65], -v[130:131]
	v_mul_f64 v[130:131], v[134:135], v[128:129]
	v_add_f64 v[40:41], v[40:41], -v[156:157]
	s_delay_alu instid0(VALU_DEP_2)
	;; [unrolled: 20-line block ×6, first 2 shown]
	v_fma_f64 v[190:191], v[136:137], v[64:65], v[130:131]
	ds_load_2addr_b64 v[130:133], v246 offset0:44 offset1:45
	ds_load_2addr_b64 v[134:137], v246 offset0:46 offset1:47
	s_waitcnt lgkmcnt(1)
	v_mul_f64 v[242:243], v[132:133], v[128:129]
	v_add_f64 v[10:11], v[10:11], -v[190:191]
	s_delay_alu instid0(VALU_DEP_2) | instskip(SKIP_1) | instid1(VALU_DEP_2)
	v_fma_f64 v[242:243], v[130:131], v[64:65], -v[242:243]
	v_mul_f64 v[130:131], v[130:131], v[128:129]
	v_add_f64 v[4:5], v[4:5], -v[242:243]
	s_delay_alu instid0(VALU_DEP_2) | instskip(SKIP_2) | instid1(VALU_DEP_2)
	v_fma_f64 v[130:131], v[132:133], v[64:65], v[130:131]
	s_waitcnt lgkmcnt(0)
	v_mul_f64 v[132:133], v[136:137], v[128:129]
	v_add_f64 v[6:7], v[6:7], -v[130:131]
	s_delay_alu instid0(VALU_DEP_2) | instskip(SKIP_1) | instid1(VALU_DEP_2)
	v_fma_f64 v[132:133], v[134:135], v[64:65], -v[132:133]
	v_mul_f64 v[134:135], v[134:135], v[128:129]
	v_add_f64 v[0:1], v[0:1], -v[132:133]
	s_delay_alu instid0(VALU_DEP_2) | instskip(NEXT) | instid1(VALU_DEP_1)
	v_fma_f64 v[134:135], v[136:137], v[64:65], v[134:135]
	v_add_f64 v[2:3], v[2:3], -v[134:135]
.LBB47_73:
	s_or_b32 exec_lo, exec_lo, s3
	s_delay_alu instid0(SALU_CYCLE_1)
	s_mov_b32 s4, exec_lo
	s_waitcnt lgkmcnt(0)
	s_barrier
	buffer_gl0_inv
	v_cmpx_eq_u32_e32 8, v244
	s_cbranch_execz .LBB47_80
; %bb.74:
	ds_store_2addr_b64 v245, v[60:61], v[62:63] offset1:1
	ds_store_2addr_b64 v246, v[56:57], v[58:59] offset0:18 offset1:19
	ds_store_2addr_b64 v246, v[52:53], v[54:55] offset0:20 offset1:21
	;; [unrolled: 1-line block ×15, first 2 shown]
	ds_load_2addr_b64 v[128:131], v245 offset1:1
	s_waitcnt lgkmcnt(0)
	v_cmp_neq_f64_e32 vcc_lo, 0, v[128:129]
	v_cmp_neq_f64_e64 s3, 0, v[130:131]
	s_delay_alu instid0(VALU_DEP_1) | instskip(NEXT) | instid1(SALU_CYCLE_1)
	s_or_b32 s3, vcc_lo, s3
	s_and_b32 exec_lo, exec_lo, s3
	s_cbranch_execz .LBB47_80
; %bb.75:
	v_cmp_gt_f64_e32 vcc_lo, 0, v[128:129]
	v_cmp_gt_f64_e64 s3, 0, v[130:131]
	v_xor_b32_e32 v132, 0x80000000, v129
	v_xor_b32_e32 v134, 0x80000000, v131
                                        ; implicit-def: $vgpr136_vgpr137
	s_delay_alu instid0(VALU_DEP_2) | instskip(NEXT) | instid1(VALU_DEP_2)
	v_cndmask_b32_e32 v133, v129, v132, vcc_lo
	v_cndmask_b32_e64 v135, v131, v134, s3
	v_cndmask_b32_e32 v132, v128, v128, vcc_lo
	v_cndmask_b32_e64 v134, v130, v130, s3
	s_mov_b32 s3, exec_lo
	s_delay_alu instid0(VALU_DEP_1)
	v_cmpx_ngt_f64_e32 v[132:133], v[134:135]
	s_xor_b32 s3, exec_lo, s3
                                        ; implicit-def: $vgpr132_vgpr133_vgpr134_vgpr135
	s_cbranch_execz .LBB47_77
; %bb.76:
	v_div_scale_f64 v[132:133], null, v[130:131], v[130:131], v[128:129]
	v_div_scale_f64 v[138:139], vcc_lo, v[128:129], v[130:131], v[128:129]
	s_delay_alu instid0(VALU_DEP_2) | instskip(SKIP_2) | instid1(VALU_DEP_1)
	v_rcp_f64_e32 v[134:135], v[132:133]
	s_waitcnt_depctr 0xfff
	v_fma_f64 v[136:137], -v[132:133], v[134:135], 1.0
	v_fma_f64 v[134:135], v[134:135], v[136:137], v[134:135]
	s_delay_alu instid0(VALU_DEP_1) | instskip(NEXT) | instid1(VALU_DEP_1)
	v_fma_f64 v[136:137], -v[132:133], v[134:135], 1.0
	v_fma_f64 v[134:135], v[134:135], v[136:137], v[134:135]
	s_delay_alu instid0(VALU_DEP_1) | instskip(NEXT) | instid1(VALU_DEP_1)
	v_mul_f64 v[136:137], v[138:139], v[134:135]
	v_fma_f64 v[132:133], -v[132:133], v[136:137], v[138:139]
	s_delay_alu instid0(VALU_DEP_1) | instskip(NEXT) | instid1(VALU_DEP_1)
	v_div_fmas_f64 v[132:133], v[132:133], v[134:135], v[136:137]
	v_div_fixup_f64 v[132:133], v[132:133], v[130:131], v[128:129]
	s_delay_alu instid0(VALU_DEP_1) | instskip(NEXT) | instid1(VALU_DEP_1)
	v_fma_f64 v[128:129], v[128:129], v[132:133], v[130:131]
	v_div_scale_f64 v[130:131], null, v[128:129], v[128:129], 1.0
	s_delay_alu instid0(VALU_DEP_1) | instskip(SKIP_2) | instid1(VALU_DEP_1)
	v_rcp_f64_e32 v[134:135], v[130:131]
	s_waitcnt_depctr 0xfff
	v_fma_f64 v[136:137], -v[130:131], v[134:135], 1.0
	v_fma_f64 v[134:135], v[134:135], v[136:137], v[134:135]
	s_delay_alu instid0(VALU_DEP_1) | instskip(NEXT) | instid1(VALU_DEP_1)
	v_fma_f64 v[136:137], -v[130:131], v[134:135], 1.0
	v_fma_f64 v[134:135], v[134:135], v[136:137], v[134:135]
	v_div_scale_f64 v[136:137], vcc_lo, 1.0, v[128:129], 1.0
	s_delay_alu instid0(VALU_DEP_1) | instskip(NEXT) | instid1(VALU_DEP_1)
	v_mul_f64 v[138:139], v[136:137], v[134:135]
	v_fma_f64 v[130:131], -v[130:131], v[138:139], v[136:137]
	s_delay_alu instid0(VALU_DEP_1) | instskip(NEXT) | instid1(VALU_DEP_1)
	v_div_fmas_f64 v[130:131], v[130:131], v[134:135], v[138:139]
	v_div_fixup_f64 v[134:135], v[130:131], v[128:129], 1.0
                                        ; implicit-def: $vgpr128_vgpr129
	s_delay_alu instid0(VALU_DEP_1)
	v_mul_f64 v[136:137], v[132:133], v[134:135]
	v_xor_b32_e32 v135, 0x80000000, v135
.LBB47_77:
	s_and_not1_saveexec_b32 s3, s3
	s_cbranch_execz .LBB47_79
; %bb.78:
	v_div_scale_f64 v[132:133], null, v[128:129], v[128:129], v[130:131]
	v_div_scale_f64 v[138:139], vcc_lo, v[130:131], v[128:129], v[130:131]
	s_delay_alu instid0(VALU_DEP_2) | instskip(SKIP_2) | instid1(VALU_DEP_1)
	v_rcp_f64_e32 v[134:135], v[132:133]
	s_waitcnt_depctr 0xfff
	v_fma_f64 v[136:137], -v[132:133], v[134:135], 1.0
	v_fma_f64 v[134:135], v[134:135], v[136:137], v[134:135]
	s_delay_alu instid0(VALU_DEP_1) | instskip(NEXT) | instid1(VALU_DEP_1)
	v_fma_f64 v[136:137], -v[132:133], v[134:135], 1.0
	v_fma_f64 v[134:135], v[134:135], v[136:137], v[134:135]
	s_delay_alu instid0(VALU_DEP_1) | instskip(NEXT) | instid1(VALU_DEP_1)
	v_mul_f64 v[136:137], v[138:139], v[134:135]
	v_fma_f64 v[132:133], -v[132:133], v[136:137], v[138:139]
	s_delay_alu instid0(VALU_DEP_1) | instskip(NEXT) | instid1(VALU_DEP_1)
	v_div_fmas_f64 v[132:133], v[132:133], v[134:135], v[136:137]
	v_div_fixup_f64 v[132:133], v[132:133], v[128:129], v[130:131]
	s_delay_alu instid0(VALU_DEP_1) | instskip(NEXT) | instid1(VALU_DEP_1)
	v_fma_f64 v[128:129], v[130:131], v[132:133], v[128:129]
	v_div_scale_f64 v[130:131], null, v[128:129], v[128:129], 1.0
	s_delay_alu instid0(VALU_DEP_1) | instskip(SKIP_2) | instid1(VALU_DEP_1)
	v_rcp_f64_e32 v[134:135], v[130:131]
	s_waitcnt_depctr 0xfff
	v_fma_f64 v[136:137], -v[130:131], v[134:135], 1.0
	v_fma_f64 v[134:135], v[134:135], v[136:137], v[134:135]
	s_delay_alu instid0(VALU_DEP_1) | instskip(NEXT) | instid1(VALU_DEP_1)
	v_fma_f64 v[136:137], -v[130:131], v[134:135], 1.0
	v_fma_f64 v[134:135], v[134:135], v[136:137], v[134:135]
	v_div_scale_f64 v[136:137], vcc_lo, 1.0, v[128:129], 1.0
	s_delay_alu instid0(VALU_DEP_1) | instskip(NEXT) | instid1(VALU_DEP_1)
	v_mul_f64 v[138:139], v[136:137], v[134:135]
	v_fma_f64 v[130:131], -v[130:131], v[138:139], v[136:137]
	s_delay_alu instid0(VALU_DEP_1) | instskip(NEXT) | instid1(VALU_DEP_1)
	v_div_fmas_f64 v[130:131], v[130:131], v[134:135], v[138:139]
	v_div_fixup_f64 v[136:137], v[130:131], v[128:129], 1.0
	s_delay_alu instid0(VALU_DEP_1)
	v_mul_f64 v[134:135], v[132:133], -v[136:137]
.LBB47_79:
	s_or_b32 exec_lo, exec_lo, s3
	ds_store_2addr_b64 v245, v[136:137], v[134:135] offset1:1
.LBB47_80:
	s_or_b32 exec_lo, exec_lo, s4
	s_waitcnt lgkmcnt(0)
	s_barrier
	buffer_gl0_inv
	ds_load_2addr_b64 v[128:131], v245 offset1:1
	s_mov_b32 s3, exec_lo
	v_cmpx_lt_u32_e32 8, v244
	s_cbranch_execz .LBB47_82
; %bb.81:
	s_waitcnt lgkmcnt(0)
	v_mul_f64 v[132:133], v[128:129], v[62:63]
	v_mul_f64 v[62:63], v[130:131], v[62:63]
	s_delay_alu instid0(VALU_DEP_2)
	v_fma_f64 v[140:141], v[130:131], v[60:61], v[132:133]
	ds_load_2addr_b64 v[132:135], v246 offset0:18 offset1:19
	ds_load_2addr_b64 v[136:139], v246 offset0:20 offset1:21
	v_fma_f64 v[60:61], v[128:129], v[60:61], -v[62:63]
	s_waitcnt lgkmcnt(1)
	v_mul_f64 v[62:63], v[134:135], v[140:141]
	s_delay_alu instid0(VALU_DEP_1) | instskip(SKIP_1) | instid1(VALU_DEP_2)
	v_fma_f64 v[62:63], v[132:133], v[60:61], -v[62:63]
	v_mul_f64 v[132:133], v[132:133], v[140:141]
	v_add_f64 v[56:57], v[56:57], -v[62:63]
	s_delay_alu instid0(VALU_DEP_2) | instskip(SKIP_3) | instid1(VALU_DEP_3)
	v_fma_f64 v[142:143], v[134:135], v[60:61], v[132:133]
	s_waitcnt lgkmcnt(0)
	v_mul_f64 v[132:133], v[138:139], v[140:141]
	v_dual_mov_b32 v62, v140 :: v_dual_mov_b32 v63, v141
	v_add_f64 v[58:59], v[58:59], -v[142:143]
	s_delay_alu instid0(VALU_DEP_3) | instskip(SKIP_1) | instid1(VALU_DEP_2)
	v_fma_f64 v[144:145], v[136:137], v[60:61], -v[132:133]
	v_mul_f64 v[132:133], v[136:137], v[140:141]
	v_add_f64 v[52:53], v[52:53], -v[144:145]
	s_delay_alu instid0(VALU_DEP_2)
	v_fma_f64 v[146:147], v[138:139], v[60:61], v[132:133]
	ds_load_2addr_b64 v[132:135], v246 offset0:22 offset1:23
	ds_load_2addr_b64 v[136:139], v246 offset0:24 offset1:25
	s_waitcnt lgkmcnt(1)
	v_mul_f64 v[148:149], v[134:135], v[140:141]
	v_add_f64 v[54:55], v[54:55], -v[146:147]
	s_delay_alu instid0(VALU_DEP_2) | instskip(SKIP_1) | instid1(VALU_DEP_2)
	v_fma_f64 v[148:149], v[132:133], v[60:61], -v[148:149]
	v_mul_f64 v[132:133], v[132:133], v[140:141]
	v_add_f64 v[48:49], v[48:49], -v[148:149]
	s_delay_alu instid0(VALU_DEP_2) | instskip(SKIP_2) | instid1(VALU_DEP_2)
	v_fma_f64 v[150:151], v[134:135], v[60:61], v[132:133]
	s_waitcnt lgkmcnt(0)
	v_mul_f64 v[132:133], v[138:139], v[140:141]
	v_add_f64 v[50:51], v[50:51], -v[150:151]
	s_delay_alu instid0(VALU_DEP_2) | instskip(SKIP_1) | instid1(VALU_DEP_2)
	v_fma_f64 v[152:153], v[136:137], v[60:61], -v[132:133]
	v_mul_f64 v[132:133], v[136:137], v[140:141]
	v_add_f64 v[44:45], v[44:45], -v[152:153]
	s_delay_alu instid0(VALU_DEP_2)
	v_fma_f64 v[154:155], v[138:139], v[60:61], v[132:133]
	ds_load_2addr_b64 v[132:135], v246 offset0:26 offset1:27
	ds_load_2addr_b64 v[136:139], v246 offset0:28 offset1:29
	s_waitcnt lgkmcnt(1)
	v_mul_f64 v[156:157], v[134:135], v[140:141]
	v_add_f64 v[46:47], v[46:47], -v[154:155]
	s_delay_alu instid0(VALU_DEP_2) | instskip(SKIP_1) | instid1(VALU_DEP_2)
	v_fma_f64 v[156:157], v[132:133], v[60:61], -v[156:157]
	v_mul_f64 v[132:133], v[132:133], v[140:141]
	v_add_f64 v[40:41], v[40:41], -v[156:157]
	s_delay_alu instid0(VALU_DEP_2) | instskip(SKIP_2) | instid1(VALU_DEP_2)
	v_fma_f64 v[158:159], v[134:135], v[60:61], v[132:133]
	s_waitcnt lgkmcnt(0)
	v_mul_f64 v[132:133], v[138:139], v[140:141]
	v_add_f64 v[42:43], v[42:43], -v[158:159]
	s_delay_alu instid0(VALU_DEP_2) | instskip(SKIP_1) | instid1(VALU_DEP_2)
	;; [unrolled: 20-line block ×6, first 2 shown]
	v_fma_f64 v[242:243], v[136:137], v[60:61], -v[132:133]
	v_mul_f64 v[132:133], v[136:137], v[140:141]
	v_add_f64 v[4:5], v[4:5], -v[242:243]
	s_delay_alu instid0(VALU_DEP_2) | instskip(SKIP_4) | instid1(VALU_DEP_2)
	v_fma_f64 v[136:137], v[138:139], v[60:61], v[132:133]
	ds_load_2addr_b64 v[132:135], v246 offset0:46 offset1:47
	s_waitcnt lgkmcnt(0)
	v_mul_f64 v[138:139], v[134:135], v[140:141]
	v_add_f64 v[6:7], v[6:7], -v[136:137]
	v_fma_f64 v[138:139], v[132:133], v[60:61], -v[138:139]
	v_mul_f64 v[132:133], v[132:133], v[140:141]
	s_delay_alu instid0(VALU_DEP_2) | instskip(NEXT) | instid1(VALU_DEP_2)
	v_add_f64 v[0:1], v[0:1], -v[138:139]
	v_fma_f64 v[132:133], v[134:135], v[60:61], v[132:133]
	s_delay_alu instid0(VALU_DEP_1)
	v_add_f64 v[2:3], v[2:3], -v[132:133]
.LBB47_82:
	s_or_b32 exec_lo, exec_lo, s3
	s_delay_alu instid0(SALU_CYCLE_1)
	s_mov_b32 s4, exec_lo
	s_waitcnt lgkmcnt(0)
	s_barrier
	buffer_gl0_inv
	v_cmpx_eq_u32_e32 9, v244
	s_cbranch_execz .LBB47_89
; %bb.83:
	ds_store_2addr_b64 v245, v[56:57], v[58:59] offset1:1
	ds_store_2addr_b64 v246, v[52:53], v[54:55] offset0:20 offset1:21
	ds_store_2addr_b64 v246, v[48:49], v[50:51] offset0:22 offset1:23
	;; [unrolled: 1-line block ×14, first 2 shown]
	ds_load_2addr_b64 v[132:135], v245 offset1:1
	s_waitcnt lgkmcnt(0)
	v_cmp_neq_f64_e32 vcc_lo, 0, v[132:133]
	v_cmp_neq_f64_e64 s3, 0, v[134:135]
	s_delay_alu instid0(VALU_DEP_1) | instskip(NEXT) | instid1(SALU_CYCLE_1)
	s_or_b32 s3, vcc_lo, s3
	s_and_b32 exec_lo, exec_lo, s3
	s_cbranch_execz .LBB47_89
; %bb.84:
	v_cmp_gt_f64_e32 vcc_lo, 0, v[132:133]
	v_cmp_gt_f64_e64 s3, 0, v[134:135]
	v_xor_b32_e32 v136, 0x80000000, v133
	v_xor_b32_e32 v138, 0x80000000, v135
                                        ; implicit-def: $vgpr140_vgpr141
	s_delay_alu instid0(VALU_DEP_2) | instskip(NEXT) | instid1(VALU_DEP_2)
	v_cndmask_b32_e32 v137, v133, v136, vcc_lo
	v_cndmask_b32_e64 v139, v135, v138, s3
	v_cndmask_b32_e32 v136, v132, v132, vcc_lo
	v_cndmask_b32_e64 v138, v134, v134, s3
	s_mov_b32 s3, exec_lo
	s_delay_alu instid0(VALU_DEP_1)
	v_cmpx_ngt_f64_e32 v[136:137], v[138:139]
	s_xor_b32 s3, exec_lo, s3
                                        ; implicit-def: $vgpr136_vgpr137_vgpr138_vgpr139
	s_cbranch_execz .LBB47_86
; %bb.85:
	v_div_scale_f64 v[136:137], null, v[134:135], v[134:135], v[132:133]
	v_div_scale_f64 v[142:143], vcc_lo, v[132:133], v[134:135], v[132:133]
	s_delay_alu instid0(VALU_DEP_2) | instskip(SKIP_2) | instid1(VALU_DEP_1)
	v_rcp_f64_e32 v[138:139], v[136:137]
	s_waitcnt_depctr 0xfff
	v_fma_f64 v[140:141], -v[136:137], v[138:139], 1.0
	v_fma_f64 v[138:139], v[138:139], v[140:141], v[138:139]
	s_delay_alu instid0(VALU_DEP_1) | instskip(NEXT) | instid1(VALU_DEP_1)
	v_fma_f64 v[140:141], -v[136:137], v[138:139], 1.0
	v_fma_f64 v[138:139], v[138:139], v[140:141], v[138:139]
	s_delay_alu instid0(VALU_DEP_1) | instskip(NEXT) | instid1(VALU_DEP_1)
	v_mul_f64 v[140:141], v[142:143], v[138:139]
	v_fma_f64 v[136:137], -v[136:137], v[140:141], v[142:143]
	s_delay_alu instid0(VALU_DEP_1) | instskip(NEXT) | instid1(VALU_DEP_1)
	v_div_fmas_f64 v[136:137], v[136:137], v[138:139], v[140:141]
	v_div_fixup_f64 v[136:137], v[136:137], v[134:135], v[132:133]
	s_delay_alu instid0(VALU_DEP_1) | instskip(NEXT) | instid1(VALU_DEP_1)
	v_fma_f64 v[132:133], v[132:133], v[136:137], v[134:135]
	v_div_scale_f64 v[134:135], null, v[132:133], v[132:133], 1.0
	s_delay_alu instid0(VALU_DEP_1) | instskip(SKIP_2) | instid1(VALU_DEP_1)
	v_rcp_f64_e32 v[138:139], v[134:135]
	s_waitcnt_depctr 0xfff
	v_fma_f64 v[140:141], -v[134:135], v[138:139], 1.0
	v_fma_f64 v[138:139], v[138:139], v[140:141], v[138:139]
	s_delay_alu instid0(VALU_DEP_1) | instskip(NEXT) | instid1(VALU_DEP_1)
	v_fma_f64 v[140:141], -v[134:135], v[138:139], 1.0
	v_fma_f64 v[138:139], v[138:139], v[140:141], v[138:139]
	v_div_scale_f64 v[140:141], vcc_lo, 1.0, v[132:133], 1.0
	s_delay_alu instid0(VALU_DEP_1) | instskip(NEXT) | instid1(VALU_DEP_1)
	v_mul_f64 v[142:143], v[140:141], v[138:139]
	v_fma_f64 v[134:135], -v[134:135], v[142:143], v[140:141]
	s_delay_alu instid0(VALU_DEP_1) | instskip(NEXT) | instid1(VALU_DEP_1)
	v_div_fmas_f64 v[134:135], v[134:135], v[138:139], v[142:143]
	v_div_fixup_f64 v[138:139], v[134:135], v[132:133], 1.0
                                        ; implicit-def: $vgpr132_vgpr133
	s_delay_alu instid0(VALU_DEP_1)
	v_mul_f64 v[140:141], v[136:137], v[138:139]
	v_xor_b32_e32 v139, 0x80000000, v139
.LBB47_86:
	s_and_not1_saveexec_b32 s3, s3
	s_cbranch_execz .LBB47_88
; %bb.87:
	v_div_scale_f64 v[136:137], null, v[132:133], v[132:133], v[134:135]
	v_div_scale_f64 v[142:143], vcc_lo, v[134:135], v[132:133], v[134:135]
	s_delay_alu instid0(VALU_DEP_2) | instskip(SKIP_2) | instid1(VALU_DEP_1)
	v_rcp_f64_e32 v[138:139], v[136:137]
	s_waitcnt_depctr 0xfff
	v_fma_f64 v[140:141], -v[136:137], v[138:139], 1.0
	v_fma_f64 v[138:139], v[138:139], v[140:141], v[138:139]
	s_delay_alu instid0(VALU_DEP_1) | instskip(NEXT) | instid1(VALU_DEP_1)
	v_fma_f64 v[140:141], -v[136:137], v[138:139], 1.0
	v_fma_f64 v[138:139], v[138:139], v[140:141], v[138:139]
	s_delay_alu instid0(VALU_DEP_1) | instskip(NEXT) | instid1(VALU_DEP_1)
	v_mul_f64 v[140:141], v[142:143], v[138:139]
	v_fma_f64 v[136:137], -v[136:137], v[140:141], v[142:143]
	s_delay_alu instid0(VALU_DEP_1) | instskip(NEXT) | instid1(VALU_DEP_1)
	v_div_fmas_f64 v[136:137], v[136:137], v[138:139], v[140:141]
	v_div_fixup_f64 v[136:137], v[136:137], v[132:133], v[134:135]
	s_delay_alu instid0(VALU_DEP_1) | instskip(NEXT) | instid1(VALU_DEP_1)
	v_fma_f64 v[132:133], v[134:135], v[136:137], v[132:133]
	v_div_scale_f64 v[134:135], null, v[132:133], v[132:133], 1.0
	s_delay_alu instid0(VALU_DEP_1) | instskip(SKIP_2) | instid1(VALU_DEP_1)
	v_rcp_f64_e32 v[138:139], v[134:135]
	s_waitcnt_depctr 0xfff
	v_fma_f64 v[140:141], -v[134:135], v[138:139], 1.0
	v_fma_f64 v[138:139], v[138:139], v[140:141], v[138:139]
	s_delay_alu instid0(VALU_DEP_1) | instskip(NEXT) | instid1(VALU_DEP_1)
	v_fma_f64 v[140:141], -v[134:135], v[138:139], 1.0
	v_fma_f64 v[138:139], v[138:139], v[140:141], v[138:139]
	v_div_scale_f64 v[140:141], vcc_lo, 1.0, v[132:133], 1.0
	s_delay_alu instid0(VALU_DEP_1) | instskip(NEXT) | instid1(VALU_DEP_1)
	v_mul_f64 v[142:143], v[140:141], v[138:139]
	v_fma_f64 v[134:135], -v[134:135], v[142:143], v[140:141]
	s_delay_alu instid0(VALU_DEP_1) | instskip(NEXT) | instid1(VALU_DEP_1)
	v_div_fmas_f64 v[134:135], v[134:135], v[138:139], v[142:143]
	v_div_fixup_f64 v[140:141], v[134:135], v[132:133], 1.0
	s_delay_alu instid0(VALU_DEP_1)
	v_mul_f64 v[138:139], v[136:137], -v[140:141]
.LBB47_88:
	s_or_b32 exec_lo, exec_lo, s3
	ds_store_2addr_b64 v245, v[140:141], v[138:139] offset1:1
.LBB47_89:
	s_or_b32 exec_lo, exec_lo, s4
	s_waitcnt lgkmcnt(0)
	s_barrier
	buffer_gl0_inv
	ds_load_2addr_b64 v[132:135], v245 offset1:1
	s_mov_b32 s3, exec_lo
	v_cmpx_lt_u32_e32 9, v244
	s_cbranch_execz .LBB47_91
; %bb.90:
	s_waitcnt lgkmcnt(0)
	v_mul_f64 v[136:137], v[132:133], v[58:59]
	v_mul_f64 v[58:59], v[134:135], v[58:59]
	s_delay_alu instid0(VALU_DEP_2)
	v_fma_f64 v[144:145], v[134:135], v[56:57], v[136:137]
	ds_load_2addr_b64 v[136:139], v246 offset0:20 offset1:21
	ds_load_2addr_b64 v[140:143], v246 offset0:22 offset1:23
	v_fma_f64 v[56:57], v[132:133], v[56:57], -v[58:59]
	s_waitcnt lgkmcnt(1)
	v_mul_f64 v[58:59], v[138:139], v[144:145]
	s_delay_alu instid0(VALU_DEP_1) | instskip(SKIP_1) | instid1(VALU_DEP_2)
	v_fma_f64 v[58:59], v[136:137], v[56:57], -v[58:59]
	v_mul_f64 v[136:137], v[136:137], v[144:145]
	v_add_f64 v[52:53], v[52:53], -v[58:59]
	s_delay_alu instid0(VALU_DEP_2) | instskip(SKIP_3) | instid1(VALU_DEP_3)
	v_fma_f64 v[146:147], v[138:139], v[56:57], v[136:137]
	s_waitcnt lgkmcnt(0)
	v_mul_f64 v[136:137], v[142:143], v[144:145]
	v_dual_mov_b32 v58, v144 :: v_dual_mov_b32 v59, v145
	v_add_f64 v[54:55], v[54:55], -v[146:147]
	s_delay_alu instid0(VALU_DEP_3) | instskip(SKIP_1) | instid1(VALU_DEP_2)
	v_fma_f64 v[148:149], v[140:141], v[56:57], -v[136:137]
	v_mul_f64 v[136:137], v[140:141], v[144:145]
	v_add_f64 v[48:49], v[48:49], -v[148:149]
	s_delay_alu instid0(VALU_DEP_2)
	v_fma_f64 v[150:151], v[142:143], v[56:57], v[136:137]
	ds_load_2addr_b64 v[136:139], v246 offset0:24 offset1:25
	ds_load_2addr_b64 v[140:143], v246 offset0:26 offset1:27
	s_waitcnt lgkmcnt(1)
	v_mul_f64 v[152:153], v[138:139], v[144:145]
	v_add_f64 v[50:51], v[50:51], -v[150:151]
	s_delay_alu instid0(VALU_DEP_2) | instskip(SKIP_1) | instid1(VALU_DEP_2)
	v_fma_f64 v[152:153], v[136:137], v[56:57], -v[152:153]
	v_mul_f64 v[136:137], v[136:137], v[144:145]
	v_add_f64 v[44:45], v[44:45], -v[152:153]
	s_delay_alu instid0(VALU_DEP_2) | instskip(SKIP_2) | instid1(VALU_DEP_2)
	v_fma_f64 v[154:155], v[138:139], v[56:57], v[136:137]
	s_waitcnt lgkmcnt(0)
	v_mul_f64 v[136:137], v[142:143], v[144:145]
	v_add_f64 v[46:47], v[46:47], -v[154:155]
	s_delay_alu instid0(VALU_DEP_2) | instskip(SKIP_1) | instid1(VALU_DEP_2)
	v_fma_f64 v[156:157], v[140:141], v[56:57], -v[136:137]
	v_mul_f64 v[136:137], v[140:141], v[144:145]
	v_add_f64 v[40:41], v[40:41], -v[156:157]
	s_delay_alu instid0(VALU_DEP_2)
	v_fma_f64 v[158:159], v[142:143], v[56:57], v[136:137]
	ds_load_2addr_b64 v[136:139], v246 offset0:28 offset1:29
	ds_load_2addr_b64 v[140:143], v246 offset0:30 offset1:31
	s_waitcnt lgkmcnt(1)
	v_mul_f64 v[160:161], v[138:139], v[144:145]
	v_add_f64 v[42:43], v[42:43], -v[158:159]
	s_delay_alu instid0(VALU_DEP_2) | instskip(SKIP_1) | instid1(VALU_DEP_2)
	v_fma_f64 v[160:161], v[136:137], v[56:57], -v[160:161]
	v_mul_f64 v[136:137], v[136:137], v[144:145]
	v_add_f64 v[36:37], v[36:37], -v[160:161]
	s_delay_alu instid0(VALU_DEP_2) | instskip(SKIP_2) | instid1(VALU_DEP_2)
	v_fma_f64 v[162:163], v[138:139], v[56:57], v[136:137]
	s_waitcnt lgkmcnt(0)
	v_mul_f64 v[136:137], v[142:143], v[144:145]
	v_add_f64 v[38:39], v[38:39], -v[162:163]
	s_delay_alu instid0(VALU_DEP_2) | instskip(SKIP_1) | instid1(VALU_DEP_2)
	;; [unrolled: 20-line block ×6, first 2 shown]
	v_fma_f64 v[138:139], v[140:141], v[56:57], -v[138:139]
	v_mul_f64 v[140:141], v[140:141], v[144:145]
	v_add_f64 v[0:1], v[0:1], -v[138:139]
	s_delay_alu instid0(VALU_DEP_2) | instskip(NEXT) | instid1(VALU_DEP_1)
	v_fma_f64 v[140:141], v[142:143], v[56:57], v[140:141]
	v_add_f64 v[2:3], v[2:3], -v[140:141]
.LBB47_91:
	s_or_b32 exec_lo, exec_lo, s3
	s_delay_alu instid0(SALU_CYCLE_1)
	s_mov_b32 s4, exec_lo
	s_waitcnt lgkmcnt(0)
	s_barrier
	buffer_gl0_inv
	v_cmpx_eq_u32_e32 10, v244
	s_cbranch_execz .LBB47_98
; %bb.92:
	ds_store_2addr_b64 v245, v[52:53], v[54:55] offset1:1
	ds_store_2addr_b64 v246, v[48:49], v[50:51] offset0:22 offset1:23
	ds_store_2addr_b64 v246, v[44:45], v[46:47] offset0:24 offset1:25
	;; [unrolled: 1-line block ×13, first 2 shown]
	ds_load_2addr_b64 v[136:139], v245 offset1:1
	s_waitcnt lgkmcnt(0)
	v_cmp_neq_f64_e32 vcc_lo, 0, v[136:137]
	v_cmp_neq_f64_e64 s3, 0, v[138:139]
	s_delay_alu instid0(VALU_DEP_1) | instskip(NEXT) | instid1(SALU_CYCLE_1)
	s_or_b32 s3, vcc_lo, s3
	s_and_b32 exec_lo, exec_lo, s3
	s_cbranch_execz .LBB47_98
; %bb.93:
	v_cmp_gt_f64_e32 vcc_lo, 0, v[136:137]
	v_cmp_gt_f64_e64 s3, 0, v[138:139]
	v_xor_b32_e32 v140, 0x80000000, v137
	v_xor_b32_e32 v142, 0x80000000, v139
                                        ; implicit-def: $vgpr144_vgpr145
	s_delay_alu instid0(VALU_DEP_2) | instskip(NEXT) | instid1(VALU_DEP_2)
	v_cndmask_b32_e32 v141, v137, v140, vcc_lo
	v_cndmask_b32_e64 v143, v139, v142, s3
	v_cndmask_b32_e32 v140, v136, v136, vcc_lo
	v_cndmask_b32_e64 v142, v138, v138, s3
	s_mov_b32 s3, exec_lo
	s_delay_alu instid0(VALU_DEP_1)
	v_cmpx_ngt_f64_e32 v[140:141], v[142:143]
	s_xor_b32 s3, exec_lo, s3
                                        ; implicit-def: $vgpr140_vgpr141_vgpr142_vgpr143
	s_cbranch_execz .LBB47_95
; %bb.94:
	v_div_scale_f64 v[140:141], null, v[138:139], v[138:139], v[136:137]
	v_div_scale_f64 v[146:147], vcc_lo, v[136:137], v[138:139], v[136:137]
	s_delay_alu instid0(VALU_DEP_2) | instskip(SKIP_2) | instid1(VALU_DEP_1)
	v_rcp_f64_e32 v[142:143], v[140:141]
	s_waitcnt_depctr 0xfff
	v_fma_f64 v[144:145], -v[140:141], v[142:143], 1.0
	v_fma_f64 v[142:143], v[142:143], v[144:145], v[142:143]
	s_delay_alu instid0(VALU_DEP_1) | instskip(NEXT) | instid1(VALU_DEP_1)
	v_fma_f64 v[144:145], -v[140:141], v[142:143], 1.0
	v_fma_f64 v[142:143], v[142:143], v[144:145], v[142:143]
	s_delay_alu instid0(VALU_DEP_1) | instskip(NEXT) | instid1(VALU_DEP_1)
	v_mul_f64 v[144:145], v[146:147], v[142:143]
	v_fma_f64 v[140:141], -v[140:141], v[144:145], v[146:147]
	s_delay_alu instid0(VALU_DEP_1) | instskip(NEXT) | instid1(VALU_DEP_1)
	v_div_fmas_f64 v[140:141], v[140:141], v[142:143], v[144:145]
	v_div_fixup_f64 v[140:141], v[140:141], v[138:139], v[136:137]
	s_delay_alu instid0(VALU_DEP_1) | instskip(NEXT) | instid1(VALU_DEP_1)
	v_fma_f64 v[136:137], v[136:137], v[140:141], v[138:139]
	v_div_scale_f64 v[138:139], null, v[136:137], v[136:137], 1.0
	s_delay_alu instid0(VALU_DEP_1) | instskip(SKIP_2) | instid1(VALU_DEP_1)
	v_rcp_f64_e32 v[142:143], v[138:139]
	s_waitcnt_depctr 0xfff
	v_fma_f64 v[144:145], -v[138:139], v[142:143], 1.0
	v_fma_f64 v[142:143], v[142:143], v[144:145], v[142:143]
	s_delay_alu instid0(VALU_DEP_1) | instskip(NEXT) | instid1(VALU_DEP_1)
	v_fma_f64 v[144:145], -v[138:139], v[142:143], 1.0
	v_fma_f64 v[142:143], v[142:143], v[144:145], v[142:143]
	v_div_scale_f64 v[144:145], vcc_lo, 1.0, v[136:137], 1.0
	s_delay_alu instid0(VALU_DEP_1) | instskip(NEXT) | instid1(VALU_DEP_1)
	v_mul_f64 v[146:147], v[144:145], v[142:143]
	v_fma_f64 v[138:139], -v[138:139], v[146:147], v[144:145]
	s_delay_alu instid0(VALU_DEP_1) | instskip(NEXT) | instid1(VALU_DEP_1)
	v_div_fmas_f64 v[138:139], v[138:139], v[142:143], v[146:147]
	v_div_fixup_f64 v[142:143], v[138:139], v[136:137], 1.0
                                        ; implicit-def: $vgpr136_vgpr137
	s_delay_alu instid0(VALU_DEP_1)
	v_mul_f64 v[144:145], v[140:141], v[142:143]
	v_xor_b32_e32 v143, 0x80000000, v143
.LBB47_95:
	s_and_not1_saveexec_b32 s3, s3
	s_cbranch_execz .LBB47_97
; %bb.96:
	v_div_scale_f64 v[140:141], null, v[136:137], v[136:137], v[138:139]
	v_div_scale_f64 v[146:147], vcc_lo, v[138:139], v[136:137], v[138:139]
	s_delay_alu instid0(VALU_DEP_2) | instskip(SKIP_2) | instid1(VALU_DEP_1)
	v_rcp_f64_e32 v[142:143], v[140:141]
	s_waitcnt_depctr 0xfff
	v_fma_f64 v[144:145], -v[140:141], v[142:143], 1.0
	v_fma_f64 v[142:143], v[142:143], v[144:145], v[142:143]
	s_delay_alu instid0(VALU_DEP_1) | instskip(NEXT) | instid1(VALU_DEP_1)
	v_fma_f64 v[144:145], -v[140:141], v[142:143], 1.0
	v_fma_f64 v[142:143], v[142:143], v[144:145], v[142:143]
	s_delay_alu instid0(VALU_DEP_1) | instskip(NEXT) | instid1(VALU_DEP_1)
	v_mul_f64 v[144:145], v[146:147], v[142:143]
	v_fma_f64 v[140:141], -v[140:141], v[144:145], v[146:147]
	s_delay_alu instid0(VALU_DEP_1) | instskip(NEXT) | instid1(VALU_DEP_1)
	v_div_fmas_f64 v[140:141], v[140:141], v[142:143], v[144:145]
	v_div_fixup_f64 v[140:141], v[140:141], v[136:137], v[138:139]
	s_delay_alu instid0(VALU_DEP_1) | instskip(NEXT) | instid1(VALU_DEP_1)
	v_fma_f64 v[136:137], v[138:139], v[140:141], v[136:137]
	v_div_scale_f64 v[138:139], null, v[136:137], v[136:137], 1.0
	s_delay_alu instid0(VALU_DEP_1) | instskip(SKIP_2) | instid1(VALU_DEP_1)
	v_rcp_f64_e32 v[142:143], v[138:139]
	s_waitcnt_depctr 0xfff
	v_fma_f64 v[144:145], -v[138:139], v[142:143], 1.0
	v_fma_f64 v[142:143], v[142:143], v[144:145], v[142:143]
	s_delay_alu instid0(VALU_DEP_1) | instskip(NEXT) | instid1(VALU_DEP_1)
	v_fma_f64 v[144:145], -v[138:139], v[142:143], 1.0
	v_fma_f64 v[142:143], v[142:143], v[144:145], v[142:143]
	v_div_scale_f64 v[144:145], vcc_lo, 1.0, v[136:137], 1.0
	s_delay_alu instid0(VALU_DEP_1) | instskip(NEXT) | instid1(VALU_DEP_1)
	v_mul_f64 v[146:147], v[144:145], v[142:143]
	v_fma_f64 v[138:139], -v[138:139], v[146:147], v[144:145]
	s_delay_alu instid0(VALU_DEP_1) | instskip(NEXT) | instid1(VALU_DEP_1)
	v_div_fmas_f64 v[138:139], v[138:139], v[142:143], v[146:147]
	v_div_fixup_f64 v[144:145], v[138:139], v[136:137], 1.0
	s_delay_alu instid0(VALU_DEP_1)
	v_mul_f64 v[142:143], v[140:141], -v[144:145]
.LBB47_97:
	s_or_b32 exec_lo, exec_lo, s3
	ds_store_2addr_b64 v245, v[144:145], v[142:143] offset1:1
.LBB47_98:
	s_or_b32 exec_lo, exec_lo, s4
	s_waitcnt lgkmcnt(0)
	s_barrier
	buffer_gl0_inv
	ds_load_2addr_b64 v[136:139], v245 offset1:1
	s_mov_b32 s3, exec_lo
	v_cmpx_lt_u32_e32 10, v244
	s_cbranch_execz .LBB47_100
; %bb.99:
	s_waitcnt lgkmcnt(0)
	v_mul_f64 v[140:141], v[136:137], v[54:55]
	v_mul_f64 v[54:55], v[138:139], v[54:55]
	s_delay_alu instid0(VALU_DEP_2)
	v_fma_f64 v[148:149], v[138:139], v[52:53], v[140:141]
	ds_load_2addr_b64 v[140:143], v246 offset0:22 offset1:23
	ds_load_2addr_b64 v[144:147], v246 offset0:24 offset1:25
	v_fma_f64 v[52:53], v[136:137], v[52:53], -v[54:55]
	s_waitcnt lgkmcnt(1)
	v_mul_f64 v[54:55], v[142:143], v[148:149]
	s_delay_alu instid0(VALU_DEP_1) | instskip(SKIP_1) | instid1(VALU_DEP_2)
	v_fma_f64 v[54:55], v[140:141], v[52:53], -v[54:55]
	v_mul_f64 v[140:141], v[140:141], v[148:149]
	v_add_f64 v[48:49], v[48:49], -v[54:55]
	s_delay_alu instid0(VALU_DEP_2) | instskip(SKIP_3) | instid1(VALU_DEP_3)
	v_fma_f64 v[150:151], v[142:143], v[52:53], v[140:141]
	s_waitcnt lgkmcnt(0)
	v_mul_f64 v[140:141], v[146:147], v[148:149]
	v_dual_mov_b32 v54, v148 :: v_dual_mov_b32 v55, v149
	v_add_f64 v[50:51], v[50:51], -v[150:151]
	s_delay_alu instid0(VALU_DEP_3) | instskip(SKIP_1) | instid1(VALU_DEP_2)
	v_fma_f64 v[152:153], v[144:145], v[52:53], -v[140:141]
	v_mul_f64 v[140:141], v[144:145], v[148:149]
	v_add_f64 v[44:45], v[44:45], -v[152:153]
	s_delay_alu instid0(VALU_DEP_2)
	v_fma_f64 v[154:155], v[146:147], v[52:53], v[140:141]
	ds_load_2addr_b64 v[140:143], v246 offset0:26 offset1:27
	ds_load_2addr_b64 v[144:147], v246 offset0:28 offset1:29
	s_waitcnt lgkmcnt(1)
	v_mul_f64 v[156:157], v[142:143], v[148:149]
	v_add_f64 v[46:47], v[46:47], -v[154:155]
	s_delay_alu instid0(VALU_DEP_2) | instskip(SKIP_1) | instid1(VALU_DEP_2)
	v_fma_f64 v[156:157], v[140:141], v[52:53], -v[156:157]
	v_mul_f64 v[140:141], v[140:141], v[148:149]
	v_add_f64 v[40:41], v[40:41], -v[156:157]
	s_delay_alu instid0(VALU_DEP_2) | instskip(SKIP_2) | instid1(VALU_DEP_2)
	v_fma_f64 v[158:159], v[142:143], v[52:53], v[140:141]
	s_waitcnt lgkmcnt(0)
	v_mul_f64 v[140:141], v[146:147], v[148:149]
	v_add_f64 v[42:43], v[42:43], -v[158:159]
	s_delay_alu instid0(VALU_DEP_2) | instskip(SKIP_1) | instid1(VALU_DEP_2)
	v_fma_f64 v[160:161], v[144:145], v[52:53], -v[140:141]
	v_mul_f64 v[140:141], v[144:145], v[148:149]
	v_add_f64 v[36:37], v[36:37], -v[160:161]
	s_delay_alu instid0(VALU_DEP_2)
	v_fma_f64 v[162:163], v[146:147], v[52:53], v[140:141]
	ds_load_2addr_b64 v[140:143], v246 offset0:30 offset1:31
	ds_load_2addr_b64 v[144:147], v246 offset0:32 offset1:33
	s_waitcnt lgkmcnt(1)
	v_mul_f64 v[164:165], v[142:143], v[148:149]
	v_add_f64 v[38:39], v[38:39], -v[162:163]
	s_delay_alu instid0(VALU_DEP_2) | instskip(SKIP_1) | instid1(VALU_DEP_2)
	v_fma_f64 v[164:165], v[140:141], v[52:53], -v[164:165]
	v_mul_f64 v[140:141], v[140:141], v[148:149]
	v_add_f64 v[32:33], v[32:33], -v[164:165]
	s_delay_alu instid0(VALU_DEP_2) | instskip(SKIP_2) | instid1(VALU_DEP_2)
	v_fma_f64 v[166:167], v[142:143], v[52:53], v[140:141]
	s_waitcnt lgkmcnt(0)
	v_mul_f64 v[140:141], v[146:147], v[148:149]
	v_add_f64 v[34:35], v[34:35], -v[166:167]
	s_delay_alu instid0(VALU_DEP_2) | instskip(SKIP_1) | instid1(VALU_DEP_2)
	;; [unrolled: 20-line block ×5, first 2 shown]
	v_fma_f64 v[242:243], v[144:145], v[52:53], -v[140:141]
	v_mul_f64 v[140:141], v[144:145], v[148:149]
	v_add_f64 v[4:5], v[4:5], -v[242:243]
	s_delay_alu instid0(VALU_DEP_2) | instskip(SKIP_4) | instid1(VALU_DEP_2)
	v_fma_f64 v[144:145], v[146:147], v[52:53], v[140:141]
	ds_load_2addr_b64 v[140:143], v246 offset0:46 offset1:47
	s_waitcnt lgkmcnt(0)
	v_mul_f64 v[146:147], v[142:143], v[148:149]
	v_add_f64 v[6:7], v[6:7], -v[144:145]
	v_fma_f64 v[146:147], v[140:141], v[52:53], -v[146:147]
	v_mul_f64 v[140:141], v[140:141], v[148:149]
	s_delay_alu instid0(VALU_DEP_2) | instskip(NEXT) | instid1(VALU_DEP_2)
	v_add_f64 v[0:1], v[0:1], -v[146:147]
	v_fma_f64 v[140:141], v[142:143], v[52:53], v[140:141]
	s_delay_alu instid0(VALU_DEP_1)
	v_add_f64 v[2:3], v[2:3], -v[140:141]
.LBB47_100:
	s_or_b32 exec_lo, exec_lo, s3
	s_delay_alu instid0(SALU_CYCLE_1)
	s_mov_b32 s4, exec_lo
	s_waitcnt lgkmcnt(0)
	s_barrier
	buffer_gl0_inv
	v_cmpx_eq_u32_e32 11, v244
	s_cbranch_execz .LBB47_107
; %bb.101:
	ds_store_2addr_b64 v245, v[48:49], v[50:51] offset1:1
	ds_store_2addr_b64 v246, v[44:45], v[46:47] offset0:24 offset1:25
	ds_store_2addr_b64 v246, v[40:41], v[42:43] offset0:26 offset1:27
	;; [unrolled: 1-line block ×12, first 2 shown]
	ds_load_2addr_b64 v[140:143], v245 offset1:1
	s_waitcnt lgkmcnt(0)
	v_cmp_neq_f64_e32 vcc_lo, 0, v[140:141]
	v_cmp_neq_f64_e64 s3, 0, v[142:143]
	s_delay_alu instid0(VALU_DEP_1) | instskip(NEXT) | instid1(SALU_CYCLE_1)
	s_or_b32 s3, vcc_lo, s3
	s_and_b32 exec_lo, exec_lo, s3
	s_cbranch_execz .LBB47_107
; %bb.102:
	v_cmp_gt_f64_e32 vcc_lo, 0, v[140:141]
	v_cmp_gt_f64_e64 s3, 0, v[142:143]
	v_xor_b32_e32 v144, 0x80000000, v141
	v_xor_b32_e32 v146, 0x80000000, v143
                                        ; implicit-def: $vgpr148_vgpr149
	s_delay_alu instid0(VALU_DEP_2) | instskip(NEXT) | instid1(VALU_DEP_2)
	v_cndmask_b32_e32 v145, v141, v144, vcc_lo
	v_cndmask_b32_e64 v147, v143, v146, s3
	v_cndmask_b32_e32 v144, v140, v140, vcc_lo
	v_cndmask_b32_e64 v146, v142, v142, s3
	s_mov_b32 s3, exec_lo
	s_delay_alu instid0(VALU_DEP_1)
	v_cmpx_ngt_f64_e32 v[144:145], v[146:147]
	s_xor_b32 s3, exec_lo, s3
                                        ; implicit-def: $vgpr144_vgpr145_vgpr146_vgpr147
	s_cbranch_execz .LBB47_104
; %bb.103:
	v_div_scale_f64 v[144:145], null, v[142:143], v[142:143], v[140:141]
	v_div_scale_f64 v[150:151], vcc_lo, v[140:141], v[142:143], v[140:141]
	s_delay_alu instid0(VALU_DEP_2) | instskip(SKIP_2) | instid1(VALU_DEP_1)
	v_rcp_f64_e32 v[146:147], v[144:145]
	s_waitcnt_depctr 0xfff
	v_fma_f64 v[148:149], -v[144:145], v[146:147], 1.0
	v_fma_f64 v[146:147], v[146:147], v[148:149], v[146:147]
	s_delay_alu instid0(VALU_DEP_1) | instskip(NEXT) | instid1(VALU_DEP_1)
	v_fma_f64 v[148:149], -v[144:145], v[146:147], 1.0
	v_fma_f64 v[146:147], v[146:147], v[148:149], v[146:147]
	s_delay_alu instid0(VALU_DEP_1) | instskip(NEXT) | instid1(VALU_DEP_1)
	v_mul_f64 v[148:149], v[150:151], v[146:147]
	v_fma_f64 v[144:145], -v[144:145], v[148:149], v[150:151]
	s_delay_alu instid0(VALU_DEP_1) | instskip(NEXT) | instid1(VALU_DEP_1)
	v_div_fmas_f64 v[144:145], v[144:145], v[146:147], v[148:149]
	v_div_fixup_f64 v[144:145], v[144:145], v[142:143], v[140:141]
	s_delay_alu instid0(VALU_DEP_1) | instskip(NEXT) | instid1(VALU_DEP_1)
	v_fma_f64 v[140:141], v[140:141], v[144:145], v[142:143]
	v_div_scale_f64 v[142:143], null, v[140:141], v[140:141], 1.0
	s_delay_alu instid0(VALU_DEP_1) | instskip(SKIP_2) | instid1(VALU_DEP_1)
	v_rcp_f64_e32 v[146:147], v[142:143]
	s_waitcnt_depctr 0xfff
	v_fma_f64 v[148:149], -v[142:143], v[146:147], 1.0
	v_fma_f64 v[146:147], v[146:147], v[148:149], v[146:147]
	s_delay_alu instid0(VALU_DEP_1) | instskip(NEXT) | instid1(VALU_DEP_1)
	v_fma_f64 v[148:149], -v[142:143], v[146:147], 1.0
	v_fma_f64 v[146:147], v[146:147], v[148:149], v[146:147]
	v_div_scale_f64 v[148:149], vcc_lo, 1.0, v[140:141], 1.0
	s_delay_alu instid0(VALU_DEP_1) | instskip(NEXT) | instid1(VALU_DEP_1)
	v_mul_f64 v[150:151], v[148:149], v[146:147]
	v_fma_f64 v[142:143], -v[142:143], v[150:151], v[148:149]
	s_delay_alu instid0(VALU_DEP_1) | instskip(NEXT) | instid1(VALU_DEP_1)
	v_div_fmas_f64 v[142:143], v[142:143], v[146:147], v[150:151]
	v_div_fixup_f64 v[146:147], v[142:143], v[140:141], 1.0
                                        ; implicit-def: $vgpr140_vgpr141
	s_delay_alu instid0(VALU_DEP_1)
	v_mul_f64 v[148:149], v[144:145], v[146:147]
	v_xor_b32_e32 v147, 0x80000000, v147
.LBB47_104:
	s_and_not1_saveexec_b32 s3, s3
	s_cbranch_execz .LBB47_106
; %bb.105:
	v_div_scale_f64 v[144:145], null, v[140:141], v[140:141], v[142:143]
	v_div_scale_f64 v[150:151], vcc_lo, v[142:143], v[140:141], v[142:143]
	s_delay_alu instid0(VALU_DEP_2) | instskip(SKIP_2) | instid1(VALU_DEP_1)
	v_rcp_f64_e32 v[146:147], v[144:145]
	s_waitcnt_depctr 0xfff
	v_fma_f64 v[148:149], -v[144:145], v[146:147], 1.0
	v_fma_f64 v[146:147], v[146:147], v[148:149], v[146:147]
	s_delay_alu instid0(VALU_DEP_1) | instskip(NEXT) | instid1(VALU_DEP_1)
	v_fma_f64 v[148:149], -v[144:145], v[146:147], 1.0
	v_fma_f64 v[146:147], v[146:147], v[148:149], v[146:147]
	s_delay_alu instid0(VALU_DEP_1) | instskip(NEXT) | instid1(VALU_DEP_1)
	v_mul_f64 v[148:149], v[150:151], v[146:147]
	v_fma_f64 v[144:145], -v[144:145], v[148:149], v[150:151]
	s_delay_alu instid0(VALU_DEP_1) | instskip(NEXT) | instid1(VALU_DEP_1)
	v_div_fmas_f64 v[144:145], v[144:145], v[146:147], v[148:149]
	v_div_fixup_f64 v[144:145], v[144:145], v[140:141], v[142:143]
	s_delay_alu instid0(VALU_DEP_1) | instskip(NEXT) | instid1(VALU_DEP_1)
	v_fma_f64 v[140:141], v[142:143], v[144:145], v[140:141]
	v_div_scale_f64 v[142:143], null, v[140:141], v[140:141], 1.0
	s_delay_alu instid0(VALU_DEP_1) | instskip(SKIP_2) | instid1(VALU_DEP_1)
	v_rcp_f64_e32 v[146:147], v[142:143]
	s_waitcnt_depctr 0xfff
	v_fma_f64 v[148:149], -v[142:143], v[146:147], 1.0
	v_fma_f64 v[146:147], v[146:147], v[148:149], v[146:147]
	s_delay_alu instid0(VALU_DEP_1) | instskip(NEXT) | instid1(VALU_DEP_1)
	v_fma_f64 v[148:149], -v[142:143], v[146:147], 1.0
	v_fma_f64 v[146:147], v[146:147], v[148:149], v[146:147]
	v_div_scale_f64 v[148:149], vcc_lo, 1.0, v[140:141], 1.0
	s_delay_alu instid0(VALU_DEP_1) | instskip(NEXT) | instid1(VALU_DEP_1)
	v_mul_f64 v[150:151], v[148:149], v[146:147]
	v_fma_f64 v[142:143], -v[142:143], v[150:151], v[148:149]
	s_delay_alu instid0(VALU_DEP_1) | instskip(NEXT) | instid1(VALU_DEP_1)
	v_div_fmas_f64 v[142:143], v[142:143], v[146:147], v[150:151]
	v_div_fixup_f64 v[148:149], v[142:143], v[140:141], 1.0
	s_delay_alu instid0(VALU_DEP_1)
	v_mul_f64 v[146:147], v[144:145], -v[148:149]
.LBB47_106:
	s_or_b32 exec_lo, exec_lo, s3
	ds_store_2addr_b64 v245, v[148:149], v[146:147] offset1:1
.LBB47_107:
	s_or_b32 exec_lo, exec_lo, s4
	s_waitcnt lgkmcnt(0)
	s_barrier
	buffer_gl0_inv
	ds_load_2addr_b64 v[140:143], v245 offset1:1
	s_mov_b32 s3, exec_lo
	v_cmpx_lt_u32_e32 11, v244
	s_cbranch_execz .LBB47_109
; %bb.108:
	s_waitcnt lgkmcnt(0)
	v_mul_f64 v[144:145], v[140:141], v[50:51]
	v_mul_f64 v[50:51], v[142:143], v[50:51]
	s_delay_alu instid0(VALU_DEP_2)
	v_fma_f64 v[152:153], v[142:143], v[48:49], v[144:145]
	ds_load_2addr_b64 v[144:147], v246 offset0:24 offset1:25
	ds_load_2addr_b64 v[148:151], v246 offset0:26 offset1:27
	v_fma_f64 v[48:49], v[140:141], v[48:49], -v[50:51]
	s_waitcnt lgkmcnt(1)
	v_mul_f64 v[50:51], v[146:147], v[152:153]
	s_delay_alu instid0(VALU_DEP_1) | instskip(SKIP_1) | instid1(VALU_DEP_2)
	v_fma_f64 v[50:51], v[144:145], v[48:49], -v[50:51]
	v_mul_f64 v[144:145], v[144:145], v[152:153]
	v_add_f64 v[44:45], v[44:45], -v[50:51]
	s_delay_alu instid0(VALU_DEP_2) | instskip(SKIP_3) | instid1(VALU_DEP_3)
	v_fma_f64 v[154:155], v[146:147], v[48:49], v[144:145]
	s_waitcnt lgkmcnt(0)
	v_mul_f64 v[144:145], v[150:151], v[152:153]
	v_dual_mov_b32 v50, v152 :: v_dual_mov_b32 v51, v153
	v_add_f64 v[46:47], v[46:47], -v[154:155]
	s_delay_alu instid0(VALU_DEP_3) | instskip(SKIP_1) | instid1(VALU_DEP_2)
	v_fma_f64 v[156:157], v[148:149], v[48:49], -v[144:145]
	v_mul_f64 v[144:145], v[148:149], v[152:153]
	v_add_f64 v[40:41], v[40:41], -v[156:157]
	s_delay_alu instid0(VALU_DEP_2)
	v_fma_f64 v[158:159], v[150:151], v[48:49], v[144:145]
	ds_load_2addr_b64 v[144:147], v246 offset0:28 offset1:29
	ds_load_2addr_b64 v[148:151], v246 offset0:30 offset1:31
	s_waitcnt lgkmcnt(1)
	v_mul_f64 v[160:161], v[146:147], v[152:153]
	v_add_f64 v[42:43], v[42:43], -v[158:159]
	s_delay_alu instid0(VALU_DEP_2) | instskip(SKIP_1) | instid1(VALU_DEP_2)
	v_fma_f64 v[160:161], v[144:145], v[48:49], -v[160:161]
	v_mul_f64 v[144:145], v[144:145], v[152:153]
	v_add_f64 v[36:37], v[36:37], -v[160:161]
	s_delay_alu instid0(VALU_DEP_2) | instskip(SKIP_2) | instid1(VALU_DEP_2)
	v_fma_f64 v[162:163], v[146:147], v[48:49], v[144:145]
	s_waitcnt lgkmcnt(0)
	v_mul_f64 v[144:145], v[150:151], v[152:153]
	v_add_f64 v[38:39], v[38:39], -v[162:163]
	s_delay_alu instid0(VALU_DEP_2) | instskip(SKIP_1) | instid1(VALU_DEP_2)
	v_fma_f64 v[164:165], v[148:149], v[48:49], -v[144:145]
	v_mul_f64 v[144:145], v[148:149], v[152:153]
	v_add_f64 v[32:33], v[32:33], -v[164:165]
	s_delay_alu instid0(VALU_DEP_2)
	v_fma_f64 v[166:167], v[150:151], v[48:49], v[144:145]
	ds_load_2addr_b64 v[144:147], v246 offset0:32 offset1:33
	ds_load_2addr_b64 v[148:151], v246 offset0:34 offset1:35
	s_waitcnt lgkmcnt(1)
	v_mul_f64 v[168:169], v[146:147], v[152:153]
	v_add_f64 v[34:35], v[34:35], -v[166:167]
	s_delay_alu instid0(VALU_DEP_2) | instskip(SKIP_1) | instid1(VALU_DEP_2)
	v_fma_f64 v[168:169], v[144:145], v[48:49], -v[168:169]
	v_mul_f64 v[144:145], v[144:145], v[152:153]
	v_add_f64 v[28:29], v[28:29], -v[168:169]
	s_delay_alu instid0(VALU_DEP_2) | instskip(SKIP_2) | instid1(VALU_DEP_2)
	v_fma_f64 v[170:171], v[146:147], v[48:49], v[144:145]
	s_waitcnt lgkmcnt(0)
	v_mul_f64 v[144:145], v[150:151], v[152:153]
	v_add_f64 v[30:31], v[30:31], -v[170:171]
	s_delay_alu instid0(VALU_DEP_2) | instskip(SKIP_1) | instid1(VALU_DEP_2)
	;; [unrolled: 20-line block ×5, first 2 shown]
	v_fma_f64 v[146:147], v[148:149], v[48:49], -v[146:147]
	v_mul_f64 v[148:149], v[148:149], v[152:153]
	v_add_f64 v[0:1], v[0:1], -v[146:147]
	s_delay_alu instid0(VALU_DEP_2) | instskip(NEXT) | instid1(VALU_DEP_1)
	v_fma_f64 v[148:149], v[150:151], v[48:49], v[148:149]
	v_add_f64 v[2:3], v[2:3], -v[148:149]
.LBB47_109:
	s_or_b32 exec_lo, exec_lo, s3
	s_delay_alu instid0(SALU_CYCLE_1)
	s_mov_b32 s4, exec_lo
	s_waitcnt lgkmcnt(0)
	s_barrier
	buffer_gl0_inv
	v_cmpx_eq_u32_e32 12, v244
	s_cbranch_execz .LBB47_116
; %bb.110:
	ds_store_2addr_b64 v245, v[44:45], v[46:47] offset1:1
	ds_store_2addr_b64 v246, v[40:41], v[42:43] offset0:26 offset1:27
	ds_store_2addr_b64 v246, v[36:37], v[38:39] offset0:28 offset1:29
	;; [unrolled: 1-line block ×11, first 2 shown]
	ds_load_2addr_b64 v[144:147], v245 offset1:1
	s_waitcnt lgkmcnt(0)
	v_cmp_neq_f64_e32 vcc_lo, 0, v[144:145]
	v_cmp_neq_f64_e64 s3, 0, v[146:147]
	s_delay_alu instid0(VALU_DEP_1) | instskip(NEXT) | instid1(SALU_CYCLE_1)
	s_or_b32 s3, vcc_lo, s3
	s_and_b32 exec_lo, exec_lo, s3
	s_cbranch_execz .LBB47_116
; %bb.111:
	v_cmp_gt_f64_e32 vcc_lo, 0, v[144:145]
	v_cmp_gt_f64_e64 s3, 0, v[146:147]
	v_xor_b32_e32 v148, 0x80000000, v145
	v_xor_b32_e32 v150, 0x80000000, v147
                                        ; implicit-def: $vgpr152_vgpr153
	s_delay_alu instid0(VALU_DEP_2) | instskip(NEXT) | instid1(VALU_DEP_2)
	v_cndmask_b32_e32 v149, v145, v148, vcc_lo
	v_cndmask_b32_e64 v151, v147, v150, s3
	v_cndmask_b32_e32 v148, v144, v144, vcc_lo
	v_cndmask_b32_e64 v150, v146, v146, s3
	s_mov_b32 s3, exec_lo
	s_delay_alu instid0(VALU_DEP_1)
	v_cmpx_ngt_f64_e32 v[148:149], v[150:151]
	s_xor_b32 s3, exec_lo, s3
                                        ; implicit-def: $vgpr148_vgpr149_vgpr150_vgpr151
	s_cbranch_execz .LBB47_113
; %bb.112:
	v_div_scale_f64 v[148:149], null, v[146:147], v[146:147], v[144:145]
	v_div_scale_f64 v[154:155], vcc_lo, v[144:145], v[146:147], v[144:145]
	s_delay_alu instid0(VALU_DEP_2) | instskip(SKIP_2) | instid1(VALU_DEP_1)
	v_rcp_f64_e32 v[150:151], v[148:149]
	s_waitcnt_depctr 0xfff
	v_fma_f64 v[152:153], -v[148:149], v[150:151], 1.0
	v_fma_f64 v[150:151], v[150:151], v[152:153], v[150:151]
	s_delay_alu instid0(VALU_DEP_1) | instskip(NEXT) | instid1(VALU_DEP_1)
	v_fma_f64 v[152:153], -v[148:149], v[150:151], 1.0
	v_fma_f64 v[150:151], v[150:151], v[152:153], v[150:151]
	s_delay_alu instid0(VALU_DEP_1) | instskip(NEXT) | instid1(VALU_DEP_1)
	v_mul_f64 v[152:153], v[154:155], v[150:151]
	v_fma_f64 v[148:149], -v[148:149], v[152:153], v[154:155]
	s_delay_alu instid0(VALU_DEP_1) | instskip(NEXT) | instid1(VALU_DEP_1)
	v_div_fmas_f64 v[148:149], v[148:149], v[150:151], v[152:153]
	v_div_fixup_f64 v[148:149], v[148:149], v[146:147], v[144:145]
	s_delay_alu instid0(VALU_DEP_1) | instskip(NEXT) | instid1(VALU_DEP_1)
	v_fma_f64 v[144:145], v[144:145], v[148:149], v[146:147]
	v_div_scale_f64 v[146:147], null, v[144:145], v[144:145], 1.0
	s_delay_alu instid0(VALU_DEP_1) | instskip(SKIP_2) | instid1(VALU_DEP_1)
	v_rcp_f64_e32 v[150:151], v[146:147]
	s_waitcnt_depctr 0xfff
	v_fma_f64 v[152:153], -v[146:147], v[150:151], 1.0
	v_fma_f64 v[150:151], v[150:151], v[152:153], v[150:151]
	s_delay_alu instid0(VALU_DEP_1) | instskip(NEXT) | instid1(VALU_DEP_1)
	v_fma_f64 v[152:153], -v[146:147], v[150:151], 1.0
	v_fma_f64 v[150:151], v[150:151], v[152:153], v[150:151]
	v_div_scale_f64 v[152:153], vcc_lo, 1.0, v[144:145], 1.0
	s_delay_alu instid0(VALU_DEP_1) | instskip(NEXT) | instid1(VALU_DEP_1)
	v_mul_f64 v[154:155], v[152:153], v[150:151]
	v_fma_f64 v[146:147], -v[146:147], v[154:155], v[152:153]
	s_delay_alu instid0(VALU_DEP_1) | instskip(NEXT) | instid1(VALU_DEP_1)
	v_div_fmas_f64 v[146:147], v[146:147], v[150:151], v[154:155]
	v_div_fixup_f64 v[150:151], v[146:147], v[144:145], 1.0
                                        ; implicit-def: $vgpr144_vgpr145
	s_delay_alu instid0(VALU_DEP_1)
	v_mul_f64 v[152:153], v[148:149], v[150:151]
	v_xor_b32_e32 v151, 0x80000000, v151
.LBB47_113:
	s_and_not1_saveexec_b32 s3, s3
	s_cbranch_execz .LBB47_115
; %bb.114:
	v_div_scale_f64 v[148:149], null, v[144:145], v[144:145], v[146:147]
	v_div_scale_f64 v[154:155], vcc_lo, v[146:147], v[144:145], v[146:147]
	s_delay_alu instid0(VALU_DEP_2) | instskip(SKIP_2) | instid1(VALU_DEP_1)
	v_rcp_f64_e32 v[150:151], v[148:149]
	s_waitcnt_depctr 0xfff
	v_fma_f64 v[152:153], -v[148:149], v[150:151], 1.0
	v_fma_f64 v[150:151], v[150:151], v[152:153], v[150:151]
	s_delay_alu instid0(VALU_DEP_1) | instskip(NEXT) | instid1(VALU_DEP_1)
	v_fma_f64 v[152:153], -v[148:149], v[150:151], 1.0
	v_fma_f64 v[150:151], v[150:151], v[152:153], v[150:151]
	s_delay_alu instid0(VALU_DEP_1) | instskip(NEXT) | instid1(VALU_DEP_1)
	v_mul_f64 v[152:153], v[154:155], v[150:151]
	v_fma_f64 v[148:149], -v[148:149], v[152:153], v[154:155]
	s_delay_alu instid0(VALU_DEP_1) | instskip(NEXT) | instid1(VALU_DEP_1)
	v_div_fmas_f64 v[148:149], v[148:149], v[150:151], v[152:153]
	v_div_fixup_f64 v[148:149], v[148:149], v[144:145], v[146:147]
	s_delay_alu instid0(VALU_DEP_1) | instskip(NEXT) | instid1(VALU_DEP_1)
	v_fma_f64 v[144:145], v[146:147], v[148:149], v[144:145]
	v_div_scale_f64 v[146:147], null, v[144:145], v[144:145], 1.0
	s_delay_alu instid0(VALU_DEP_1) | instskip(SKIP_2) | instid1(VALU_DEP_1)
	v_rcp_f64_e32 v[150:151], v[146:147]
	s_waitcnt_depctr 0xfff
	v_fma_f64 v[152:153], -v[146:147], v[150:151], 1.0
	v_fma_f64 v[150:151], v[150:151], v[152:153], v[150:151]
	s_delay_alu instid0(VALU_DEP_1) | instskip(NEXT) | instid1(VALU_DEP_1)
	v_fma_f64 v[152:153], -v[146:147], v[150:151], 1.0
	v_fma_f64 v[150:151], v[150:151], v[152:153], v[150:151]
	v_div_scale_f64 v[152:153], vcc_lo, 1.0, v[144:145], 1.0
	s_delay_alu instid0(VALU_DEP_1) | instskip(NEXT) | instid1(VALU_DEP_1)
	v_mul_f64 v[154:155], v[152:153], v[150:151]
	v_fma_f64 v[146:147], -v[146:147], v[154:155], v[152:153]
	s_delay_alu instid0(VALU_DEP_1) | instskip(NEXT) | instid1(VALU_DEP_1)
	v_div_fmas_f64 v[146:147], v[146:147], v[150:151], v[154:155]
	v_div_fixup_f64 v[152:153], v[146:147], v[144:145], 1.0
	s_delay_alu instid0(VALU_DEP_1)
	v_mul_f64 v[150:151], v[148:149], -v[152:153]
.LBB47_115:
	s_or_b32 exec_lo, exec_lo, s3
	ds_store_2addr_b64 v245, v[152:153], v[150:151] offset1:1
.LBB47_116:
	s_or_b32 exec_lo, exec_lo, s4
	s_waitcnt lgkmcnt(0)
	s_barrier
	buffer_gl0_inv
	ds_load_2addr_b64 v[144:147], v245 offset1:1
	s_mov_b32 s3, exec_lo
	v_cmpx_lt_u32_e32 12, v244
	s_cbranch_execz .LBB47_118
; %bb.117:
	s_waitcnt lgkmcnt(0)
	v_mul_f64 v[148:149], v[144:145], v[46:47]
	v_mul_f64 v[46:47], v[146:147], v[46:47]
	s_delay_alu instid0(VALU_DEP_2)
	v_fma_f64 v[156:157], v[146:147], v[44:45], v[148:149]
	ds_load_2addr_b64 v[148:151], v246 offset0:26 offset1:27
	ds_load_2addr_b64 v[152:155], v246 offset0:28 offset1:29
	v_fma_f64 v[44:45], v[144:145], v[44:45], -v[46:47]
	s_waitcnt lgkmcnt(1)
	v_mul_f64 v[46:47], v[150:151], v[156:157]
	s_delay_alu instid0(VALU_DEP_1) | instskip(SKIP_1) | instid1(VALU_DEP_2)
	v_fma_f64 v[46:47], v[148:149], v[44:45], -v[46:47]
	v_mul_f64 v[148:149], v[148:149], v[156:157]
	v_add_f64 v[40:41], v[40:41], -v[46:47]
	s_delay_alu instid0(VALU_DEP_2) | instskip(SKIP_3) | instid1(VALU_DEP_3)
	v_fma_f64 v[158:159], v[150:151], v[44:45], v[148:149]
	s_waitcnt lgkmcnt(0)
	v_mul_f64 v[148:149], v[154:155], v[156:157]
	v_dual_mov_b32 v46, v156 :: v_dual_mov_b32 v47, v157
	v_add_f64 v[42:43], v[42:43], -v[158:159]
	s_delay_alu instid0(VALU_DEP_3) | instskip(SKIP_1) | instid1(VALU_DEP_2)
	v_fma_f64 v[160:161], v[152:153], v[44:45], -v[148:149]
	v_mul_f64 v[148:149], v[152:153], v[156:157]
	v_add_f64 v[36:37], v[36:37], -v[160:161]
	s_delay_alu instid0(VALU_DEP_2)
	v_fma_f64 v[162:163], v[154:155], v[44:45], v[148:149]
	ds_load_2addr_b64 v[148:151], v246 offset0:30 offset1:31
	ds_load_2addr_b64 v[152:155], v246 offset0:32 offset1:33
	s_waitcnt lgkmcnt(1)
	v_mul_f64 v[164:165], v[150:151], v[156:157]
	v_add_f64 v[38:39], v[38:39], -v[162:163]
	s_delay_alu instid0(VALU_DEP_2) | instskip(SKIP_1) | instid1(VALU_DEP_2)
	v_fma_f64 v[164:165], v[148:149], v[44:45], -v[164:165]
	v_mul_f64 v[148:149], v[148:149], v[156:157]
	v_add_f64 v[32:33], v[32:33], -v[164:165]
	s_delay_alu instid0(VALU_DEP_2) | instskip(SKIP_2) | instid1(VALU_DEP_2)
	v_fma_f64 v[166:167], v[150:151], v[44:45], v[148:149]
	s_waitcnt lgkmcnt(0)
	v_mul_f64 v[148:149], v[154:155], v[156:157]
	v_add_f64 v[34:35], v[34:35], -v[166:167]
	s_delay_alu instid0(VALU_DEP_2) | instskip(SKIP_1) | instid1(VALU_DEP_2)
	v_fma_f64 v[168:169], v[152:153], v[44:45], -v[148:149]
	v_mul_f64 v[148:149], v[152:153], v[156:157]
	v_add_f64 v[28:29], v[28:29], -v[168:169]
	s_delay_alu instid0(VALU_DEP_2)
	v_fma_f64 v[170:171], v[154:155], v[44:45], v[148:149]
	ds_load_2addr_b64 v[148:151], v246 offset0:34 offset1:35
	ds_load_2addr_b64 v[152:155], v246 offset0:36 offset1:37
	s_waitcnt lgkmcnt(1)
	v_mul_f64 v[172:173], v[150:151], v[156:157]
	v_add_f64 v[30:31], v[30:31], -v[170:171]
	s_delay_alu instid0(VALU_DEP_2) | instskip(SKIP_1) | instid1(VALU_DEP_2)
	v_fma_f64 v[172:173], v[148:149], v[44:45], -v[172:173]
	v_mul_f64 v[148:149], v[148:149], v[156:157]
	v_add_f64 v[24:25], v[24:25], -v[172:173]
	s_delay_alu instid0(VALU_DEP_2) | instskip(SKIP_2) | instid1(VALU_DEP_2)
	v_fma_f64 v[174:175], v[150:151], v[44:45], v[148:149]
	s_waitcnt lgkmcnt(0)
	v_mul_f64 v[148:149], v[154:155], v[156:157]
	v_add_f64 v[26:27], v[26:27], -v[174:175]
	s_delay_alu instid0(VALU_DEP_2) | instskip(SKIP_1) | instid1(VALU_DEP_2)
	;; [unrolled: 20-line block ×4, first 2 shown]
	v_fma_f64 v[242:243], v[152:153], v[44:45], -v[148:149]
	v_mul_f64 v[148:149], v[152:153], v[156:157]
	v_add_f64 v[4:5], v[4:5], -v[242:243]
	s_delay_alu instid0(VALU_DEP_2) | instskip(SKIP_4) | instid1(VALU_DEP_2)
	v_fma_f64 v[152:153], v[154:155], v[44:45], v[148:149]
	ds_load_2addr_b64 v[148:151], v246 offset0:46 offset1:47
	s_waitcnt lgkmcnt(0)
	v_mul_f64 v[154:155], v[150:151], v[156:157]
	v_add_f64 v[6:7], v[6:7], -v[152:153]
	v_fma_f64 v[154:155], v[148:149], v[44:45], -v[154:155]
	v_mul_f64 v[148:149], v[148:149], v[156:157]
	s_delay_alu instid0(VALU_DEP_2) | instskip(NEXT) | instid1(VALU_DEP_2)
	v_add_f64 v[0:1], v[0:1], -v[154:155]
	v_fma_f64 v[148:149], v[150:151], v[44:45], v[148:149]
	s_delay_alu instid0(VALU_DEP_1)
	v_add_f64 v[2:3], v[2:3], -v[148:149]
.LBB47_118:
	s_or_b32 exec_lo, exec_lo, s3
	s_delay_alu instid0(SALU_CYCLE_1)
	s_mov_b32 s4, exec_lo
	s_waitcnt lgkmcnt(0)
	s_barrier
	buffer_gl0_inv
	v_cmpx_eq_u32_e32 13, v244
	s_cbranch_execz .LBB47_125
; %bb.119:
	ds_store_2addr_b64 v245, v[40:41], v[42:43] offset1:1
	ds_store_2addr_b64 v246, v[36:37], v[38:39] offset0:28 offset1:29
	ds_store_2addr_b64 v246, v[32:33], v[34:35] offset0:30 offset1:31
	ds_store_2addr_b64 v246, v[28:29], v[30:31] offset0:32 offset1:33
	ds_store_2addr_b64 v246, v[24:25], v[26:27] offset0:34 offset1:35
	ds_store_2addr_b64 v246, v[20:21], v[22:23] offset0:36 offset1:37
	ds_store_2addr_b64 v246, v[16:17], v[18:19] offset0:38 offset1:39
	ds_store_2addr_b64 v246, v[12:13], v[14:15] offset0:40 offset1:41
	ds_store_2addr_b64 v246, v[8:9], v[10:11] offset0:42 offset1:43
	ds_store_2addr_b64 v246, v[4:5], v[6:7] offset0:44 offset1:45
	ds_store_2addr_b64 v246, v[0:1], v[2:3] offset0:46 offset1:47
	ds_load_2addr_b64 v[148:151], v245 offset1:1
	s_waitcnt lgkmcnt(0)
	v_cmp_neq_f64_e32 vcc_lo, 0, v[148:149]
	v_cmp_neq_f64_e64 s3, 0, v[150:151]
	s_delay_alu instid0(VALU_DEP_1) | instskip(NEXT) | instid1(SALU_CYCLE_1)
	s_or_b32 s3, vcc_lo, s3
	s_and_b32 exec_lo, exec_lo, s3
	s_cbranch_execz .LBB47_125
; %bb.120:
	v_cmp_gt_f64_e32 vcc_lo, 0, v[148:149]
	v_cmp_gt_f64_e64 s3, 0, v[150:151]
	v_xor_b32_e32 v152, 0x80000000, v149
	v_xor_b32_e32 v154, 0x80000000, v151
                                        ; implicit-def: $vgpr156_vgpr157
	s_delay_alu instid0(VALU_DEP_2) | instskip(NEXT) | instid1(VALU_DEP_2)
	v_cndmask_b32_e32 v153, v149, v152, vcc_lo
	v_cndmask_b32_e64 v155, v151, v154, s3
	v_cndmask_b32_e32 v152, v148, v148, vcc_lo
	v_cndmask_b32_e64 v154, v150, v150, s3
	s_mov_b32 s3, exec_lo
	s_delay_alu instid0(VALU_DEP_1)
	v_cmpx_ngt_f64_e32 v[152:153], v[154:155]
	s_xor_b32 s3, exec_lo, s3
                                        ; implicit-def: $vgpr152_vgpr153_vgpr154_vgpr155
	s_cbranch_execz .LBB47_122
; %bb.121:
	v_div_scale_f64 v[152:153], null, v[150:151], v[150:151], v[148:149]
	v_div_scale_f64 v[158:159], vcc_lo, v[148:149], v[150:151], v[148:149]
	s_delay_alu instid0(VALU_DEP_2) | instskip(SKIP_2) | instid1(VALU_DEP_1)
	v_rcp_f64_e32 v[154:155], v[152:153]
	s_waitcnt_depctr 0xfff
	v_fma_f64 v[156:157], -v[152:153], v[154:155], 1.0
	v_fma_f64 v[154:155], v[154:155], v[156:157], v[154:155]
	s_delay_alu instid0(VALU_DEP_1) | instskip(NEXT) | instid1(VALU_DEP_1)
	v_fma_f64 v[156:157], -v[152:153], v[154:155], 1.0
	v_fma_f64 v[154:155], v[154:155], v[156:157], v[154:155]
	s_delay_alu instid0(VALU_DEP_1) | instskip(NEXT) | instid1(VALU_DEP_1)
	v_mul_f64 v[156:157], v[158:159], v[154:155]
	v_fma_f64 v[152:153], -v[152:153], v[156:157], v[158:159]
	s_delay_alu instid0(VALU_DEP_1) | instskip(NEXT) | instid1(VALU_DEP_1)
	v_div_fmas_f64 v[152:153], v[152:153], v[154:155], v[156:157]
	v_div_fixup_f64 v[152:153], v[152:153], v[150:151], v[148:149]
	s_delay_alu instid0(VALU_DEP_1) | instskip(NEXT) | instid1(VALU_DEP_1)
	v_fma_f64 v[148:149], v[148:149], v[152:153], v[150:151]
	v_div_scale_f64 v[150:151], null, v[148:149], v[148:149], 1.0
	s_delay_alu instid0(VALU_DEP_1) | instskip(SKIP_2) | instid1(VALU_DEP_1)
	v_rcp_f64_e32 v[154:155], v[150:151]
	s_waitcnt_depctr 0xfff
	v_fma_f64 v[156:157], -v[150:151], v[154:155], 1.0
	v_fma_f64 v[154:155], v[154:155], v[156:157], v[154:155]
	s_delay_alu instid0(VALU_DEP_1) | instskip(NEXT) | instid1(VALU_DEP_1)
	v_fma_f64 v[156:157], -v[150:151], v[154:155], 1.0
	v_fma_f64 v[154:155], v[154:155], v[156:157], v[154:155]
	v_div_scale_f64 v[156:157], vcc_lo, 1.0, v[148:149], 1.0
	s_delay_alu instid0(VALU_DEP_1) | instskip(NEXT) | instid1(VALU_DEP_1)
	v_mul_f64 v[158:159], v[156:157], v[154:155]
	v_fma_f64 v[150:151], -v[150:151], v[158:159], v[156:157]
	s_delay_alu instid0(VALU_DEP_1) | instskip(NEXT) | instid1(VALU_DEP_1)
	v_div_fmas_f64 v[150:151], v[150:151], v[154:155], v[158:159]
	v_div_fixup_f64 v[154:155], v[150:151], v[148:149], 1.0
                                        ; implicit-def: $vgpr148_vgpr149
	s_delay_alu instid0(VALU_DEP_1)
	v_mul_f64 v[156:157], v[152:153], v[154:155]
	v_xor_b32_e32 v155, 0x80000000, v155
.LBB47_122:
	s_and_not1_saveexec_b32 s3, s3
	s_cbranch_execz .LBB47_124
; %bb.123:
	v_div_scale_f64 v[152:153], null, v[148:149], v[148:149], v[150:151]
	v_div_scale_f64 v[158:159], vcc_lo, v[150:151], v[148:149], v[150:151]
	s_delay_alu instid0(VALU_DEP_2) | instskip(SKIP_2) | instid1(VALU_DEP_1)
	v_rcp_f64_e32 v[154:155], v[152:153]
	s_waitcnt_depctr 0xfff
	v_fma_f64 v[156:157], -v[152:153], v[154:155], 1.0
	v_fma_f64 v[154:155], v[154:155], v[156:157], v[154:155]
	s_delay_alu instid0(VALU_DEP_1) | instskip(NEXT) | instid1(VALU_DEP_1)
	v_fma_f64 v[156:157], -v[152:153], v[154:155], 1.0
	v_fma_f64 v[154:155], v[154:155], v[156:157], v[154:155]
	s_delay_alu instid0(VALU_DEP_1) | instskip(NEXT) | instid1(VALU_DEP_1)
	v_mul_f64 v[156:157], v[158:159], v[154:155]
	v_fma_f64 v[152:153], -v[152:153], v[156:157], v[158:159]
	s_delay_alu instid0(VALU_DEP_1) | instskip(NEXT) | instid1(VALU_DEP_1)
	v_div_fmas_f64 v[152:153], v[152:153], v[154:155], v[156:157]
	v_div_fixup_f64 v[152:153], v[152:153], v[148:149], v[150:151]
	s_delay_alu instid0(VALU_DEP_1) | instskip(NEXT) | instid1(VALU_DEP_1)
	v_fma_f64 v[148:149], v[150:151], v[152:153], v[148:149]
	v_div_scale_f64 v[150:151], null, v[148:149], v[148:149], 1.0
	s_delay_alu instid0(VALU_DEP_1) | instskip(SKIP_2) | instid1(VALU_DEP_1)
	v_rcp_f64_e32 v[154:155], v[150:151]
	s_waitcnt_depctr 0xfff
	v_fma_f64 v[156:157], -v[150:151], v[154:155], 1.0
	v_fma_f64 v[154:155], v[154:155], v[156:157], v[154:155]
	s_delay_alu instid0(VALU_DEP_1) | instskip(NEXT) | instid1(VALU_DEP_1)
	v_fma_f64 v[156:157], -v[150:151], v[154:155], 1.0
	v_fma_f64 v[154:155], v[154:155], v[156:157], v[154:155]
	v_div_scale_f64 v[156:157], vcc_lo, 1.0, v[148:149], 1.0
	s_delay_alu instid0(VALU_DEP_1) | instskip(NEXT) | instid1(VALU_DEP_1)
	v_mul_f64 v[158:159], v[156:157], v[154:155]
	v_fma_f64 v[150:151], -v[150:151], v[158:159], v[156:157]
	s_delay_alu instid0(VALU_DEP_1) | instskip(NEXT) | instid1(VALU_DEP_1)
	v_div_fmas_f64 v[150:151], v[150:151], v[154:155], v[158:159]
	v_div_fixup_f64 v[156:157], v[150:151], v[148:149], 1.0
	s_delay_alu instid0(VALU_DEP_1)
	v_mul_f64 v[154:155], v[152:153], -v[156:157]
.LBB47_124:
	s_or_b32 exec_lo, exec_lo, s3
	ds_store_2addr_b64 v245, v[156:157], v[154:155] offset1:1
.LBB47_125:
	s_or_b32 exec_lo, exec_lo, s4
	s_waitcnt lgkmcnt(0)
	s_barrier
	buffer_gl0_inv
	ds_load_2addr_b64 v[148:151], v245 offset1:1
	s_mov_b32 s3, exec_lo
	v_cmpx_lt_u32_e32 13, v244
	s_cbranch_execz .LBB47_127
; %bb.126:
	s_waitcnt lgkmcnt(0)
	v_mul_f64 v[152:153], v[148:149], v[42:43]
	v_mul_f64 v[42:43], v[150:151], v[42:43]
	s_delay_alu instid0(VALU_DEP_2)
	v_fma_f64 v[160:161], v[150:151], v[40:41], v[152:153]
	ds_load_2addr_b64 v[152:155], v246 offset0:28 offset1:29
	ds_load_2addr_b64 v[156:159], v246 offset0:30 offset1:31
	v_fma_f64 v[40:41], v[148:149], v[40:41], -v[42:43]
	s_waitcnt lgkmcnt(1)
	v_mul_f64 v[42:43], v[154:155], v[160:161]
	s_delay_alu instid0(VALU_DEP_1) | instskip(SKIP_1) | instid1(VALU_DEP_2)
	v_fma_f64 v[42:43], v[152:153], v[40:41], -v[42:43]
	v_mul_f64 v[152:153], v[152:153], v[160:161]
	v_add_f64 v[36:37], v[36:37], -v[42:43]
	s_delay_alu instid0(VALU_DEP_2) | instskip(SKIP_3) | instid1(VALU_DEP_3)
	v_fma_f64 v[162:163], v[154:155], v[40:41], v[152:153]
	s_waitcnt lgkmcnt(0)
	v_mul_f64 v[152:153], v[158:159], v[160:161]
	v_dual_mov_b32 v42, v160 :: v_dual_mov_b32 v43, v161
	v_add_f64 v[38:39], v[38:39], -v[162:163]
	s_delay_alu instid0(VALU_DEP_3) | instskip(SKIP_1) | instid1(VALU_DEP_2)
	v_fma_f64 v[164:165], v[156:157], v[40:41], -v[152:153]
	v_mul_f64 v[152:153], v[156:157], v[160:161]
	v_add_f64 v[32:33], v[32:33], -v[164:165]
	s_delay_alu instid0(VALU_DEP_2)
	v_fma_f64 v[166:167], v[158:159], v[40:41], v[152:153]
	ds_load_2addr_b64 v[152:155], v246 offset0:32 offset1:33
	ds_load_2addr_b64 v[156:159], v246 offset0:34 offset1:35
	s_waitcnt lgkmcnt(1)
	v_mul_f64 v[168:169], v[154:155], v[160:161]
	v_add_f64 v[34:35], v[34:35], -v[166:167]
	s_delay_alu instid0(VALU_DEP_2) | instskip(SKIP_1) | instid1(VALU_DEP_2)
	v_fma_f64 v[168:169], v[152:153], v[40:41], -v[168:169]
	v_mul_f64 v[152:153], v[152:153], v[160:161]
	v_add_f64 v[28:29], v[28:29], -v[168:169]
	s_delay_alu instid0(VALU_DEP_2) | instskip(SKIP_2) | instid1(VALU_DEP_2)
	v_fma_f64 v[170:171], v[154:155], v[40:41], v[152:153]
	s_waitcnt lgkmcnt(0)
	v_mul_f64 v[152:153], v[158:159], v[160:161]
	v_add_f64 v[30:31], v[30:31], -v[170:171]
	s_delay_alu instid0(VALU_DEP_2) | instskip(SKIP_1) | instid1(VALU_DEP_2)
	v_fma_f64 v[172:173], v[156:157], v[40:41], -v[152:153]
	v_mul_f64 v[152:153], v[156:157], v[160:161]
	v_add_f64 v[24:25], v[24:25], -v[172:173]
	s_delay_alu instid0(VALU_DEP_2)
	v_fma_f64 v[174:175], v[158:159], v[40:41], v[152:153]
	ds_load_2addr_b64 v[152:155], v246 offset0:36 offset1:37
	ds_load_2addr_b64 v[156:159], v246 offset0:38 offset1:39
	s_waitcnt lgkmcnt(1)
	v_mul_f64 v[176:177], v[154:155], v[160:161]
	v_add_f64 v[26:27], v[26:27], -v[174:175]
	s_delay_alu instid0(VALU_DEP_2) | instskip(SKIP_1) | instid1(VALU_DEP_2)
	v_fma_f64 v[176:177], v[152:153], v[40:41], -v[176:177]
	v_mul_f64 v[152:153], v[152:153], v[160:161]
	v_add_f64 v[20:21], v[20:21], -v[176:177]
	s_delay_alu instid0(VALU_DEP_2) | instskip(SKIP_2) | instid1(VALU_DEP_2)
	v_fma_f64 v[178:179], v[154:155], v[40:41], v[152:153]
	s_waitcnt lgkmcnt(0)
	v_mul_f64 v[152:153], v[158:159], v[160:161]
	v_add_f64 v[22:23], v[22:23], -v[178:179]
	s_delay_alu instid0(VALU_DEP_2) | instskip(SKIP_1) | instid1(VALU_DEP_2)
	;; [unrolled: 20-line block ×4, first 2 shown]
	v_fma_f64 v[154:155], v[156:157], v[40:41], -v[154:155]
	v_mul_f64 v[156:157], v[156:157], v[160:161]
	v_add_f64 v[0:1], v[0:1], -v[154:155]
	s_delay_alu instid0(VALU_DEP_2) | instskip(NEXT) | instid1(VALU_DEP_1)
	v_fma_f64 v[156:157], v[158:159], v[40:41], v[156:157]
	v_add_f64 v[2:3], v[2:3], -v[156:157]
.LBB47_127:
	s_or_b32 exec_lo, exec_lo, s3
	s_delay_alu instid0(SALU_CYCLE_1)
	s_mov_b32 s4, exec_lo
	s_waitcnt lgkmcnt(0)
	s_barrier
	buffer_gl0_inv
	v_cmpx_eq_u32_e32 14, v244
	s_cbranch_execz .LBB47_134
; %bb.128:
	ds_store_2addr_b64 v245, v[36:37], v[38:39] offset1:1
	ds_store_2addr_b64 v246, v[32:33], v[34:35] offset0:30 offset1:31
	ds_store_2addr_b64 v246, v[28:29], v[30:31] offset0:32 offset1:33
	;; [unrolled: 1-line block ×9, first 2 shown]
	ds_load_2addr_b64 v[152:155], v245 offset1:1
	s_waitcnt lgkmcnt(0)
	v_cmp_neq_f64_e32 vcc_lo, 0, v[152:153]
	v_cmp_neq_f64_e64 s3, 0, v[154:155]
	s_delay_alu instid0(VALU_DEP_1) | instskip(NEXT) | instid1(SALU_CYCLE_1)
	s_or_b32 s3, vcc_lo, s3
	s_and_b32 exec_lo, exec_lo, s3
	s_cbranch_execz .LBB47_134
; %bb.129:
	v_cmp_gt_f64_e32 vcc_lo, 0, v[152:153]
	v_cmp_gt_f64_e64 s3, 0, v[154:155]
	v_xor_b32_e32 v156, 0x80000000, v153
	v_xor_b32_e32 v158, 0x80000000, v155
                                        ; implicit-def: $vgpr160_vgpr161
	s_delay_alu instid0(VALU_DEP_2) | instskip(NEXT) | instid1(VALU_DEP_2)
	v_cndmask_b32_e32 v157, v153, v156, vcc_lo
	v_cndmask_b32_e64 v159, v155, v158, s3
	v_cndmask_b32_e32 v156, v152, v152, vcc_lo
	v_cndmask_b32_e64 v158, v154, v154, s3
	s_mov_b32 s3, exec_lo
	s_delay_alu instid0(VALU_DEP_1)
	v_cmpx_ngt_f64_e32 v[156:157], v[158:159]
	s_xor_b32 s3, exec_lo, s3
                                        ; implicit-def: $vgpr156_vgpr157_vgpr158_vgpr159
	s_cbranch_execz .LBB47_131
; %bb.130:
	v_div_scale_f64 v[156:157], null, v[154:155], v[154:155], v[152:153]
	v_div_scale_f64 v[162:163], vcc_lo, v[152:153], v[154:155], v[152:153]
	s_delay_alu instid0(VALU_DEP_2) | instskip(SKIP_2) | instid1(VALU_DEP_1)
	v_rcp_f64_e32 v[158:159], v[156:157]
	s_waitcnt_depctr 0xfff
	v_fma_f64 v[160:161], -v[156:157], v[158:159], 1.0
	v_fma_f64 v[158:159], v[158:159], v[160:161], v[158:159]
	s_delay_alu instid0(VALU_DEP_1) | instskip(NEXT) | instid1(VALU_DEP_1)
	v_fma_f64 v[160:161], -v[156:157], v[158:159], 1.0
	v_fma_f64 v[158:159], v[158:159], v[160:161], v[158:159]
	s_delay_alu instid0(VALU_DEP_1) | instskip(NEXT) | instid1(VALU_DEP_1)
	v_mul_f64 v[160:161], v[162:163], v[158:159]
	v_fma_f64 v[156:157], -v[156:157], v[160:161], v[162:163]
	s_delay_alu instid0(VALU_DEP_1) | instskip(NEXT) | instid1(VALU_DEP_1)
	v_div_fmas_f64 v[156:157], v[156:157], v[158:159], v[160:161]
	v_div_fixup_f64 v[156:157], v[156:157], v[154:155], v[152:153]
	s_delay_alu instid0(VALU_DEP_1) | instskip(NEXT) | instid1(VALU_DEP_1)
	v_fma_f64 v[152:153], v[152:153], v[156:157], v[154:155]
	v_div_scale_f64 v[154:155], null, v[152:153], v[152:153], 1.0
	s_delay_alu instid0(VALU_DEP_1) | instskip(SKIP_2) | instid1(VALU_DEP_1)
	v_rcp_f64_e32 v[158:159], v[154:155]
	s_waitcnt_depctr 0xfff
	v_fma_f64 v[160:161], -v[154:155], v[158:159], 1.0
	v_fma_f64 v[158:159], v[158:159], v[160:161], v[158:159]
	s_delay_alu instid0(VALU_DEP_1) | instskip(NEXT) | instid1(VALU_DEP_1)
	v_fma_f64 v[160:161], -v[154:155], v[158:159], 1.0
	v_fma_f64 v[158:159], v[158:159], v[160:161], v[158:159]
	v_div_scale_f64 v[160:161], vcc_lo, 1.0, v[152:153], 1.0
	s_delay_alu instid0(VALU_DEP_1) | instskip(NEXT) | instid1(VALU_DEP_1)
	v_mul_f64 v[162:163], v[160:161], v[158:159]
	v_fma_f64 v[154:155], -v[154:155], v[162:163], v[160:161]
	s_delay_alu instid0(VALU_DEP_1) | instskip(NEXT) | instid1(VALU_DEP_1)
	v_div_fmas_f64 v[154:155], v[154:155], v[158:159], v[162:163]
	v_div_fixup_f64 v[158:159], v[154:155], v[152:153], 1.0
                                        ; implicit-def: $vgpr152_vgpr153
	s_delay_alu instid0(VALU_DEP_1)
	v_mul_f64 v[160:161], v[156:157], v[158:159]
	v_xor_b32_e32 v159, 0x80000000, v159
.LBB47_131:
	s_and_not1_saveexec_b32 s3, s3
	s_cbranch_execz .LBB47_133
; %bb.132:
	v_div_scale_f64 v[156:157], null, v[152:153], v[152:153], v[154:155]
	v_div_scale_f64 v[162:163], vcc_lo, v[154:155], v[152:153], v[154:155]
	s_delay_alu instid0(VALU_DEP_2) | instskip(SKIP_2) | instid1(VALU_DEP_1)
	v_rcp_f64_e32 v[158:159], v[156:157]
	s_waitcnt_depctr 0xfff
	v_fma_f64 v[160:161], -v[156:157], v[158:159], 1.0
	v_fma_f64 v[158:159], v[158:159], v[160:161], v[158:159]
	s_delay_alu instid0(VALU_DEP_1) | instskip(NEXT) | instid1(VALU_DEP_1)
	v_fma_f64 v[160:161], -v[156:157], v[158:159], 1.0
	v_fma_f64 v[158:159], v[158:159], v[160:161], v[158:159]
	s_delay_alu instid0(VALU_DEP_1) | instskip(NEXT) | instid1(VALU_DEP_1)
	v_mul_f64 v[160:161], v[162:163], v[158:159]
	v_fma_f64 v[156:157], -v[156:157], v[160:161], v[162:163]
	s_delay_alu instid0(VALU_DEP_1) | instskip(NEXT) | instid1(VALU_DEP_1)
	v_div_fmas_f64 v[156:157], v[156:157], v[158:159], v[160:161]
	v_div_fixup_f64 v[156:157], v[156:157], v[152:153], v[154:155]
	s_delay_alu instid0(VALU_DEP_1) | instskip(NEXT) | instid1(VALU_DEP_1)
	v_fma_f64 v[152:153], v[154:155], v[156:157], v[152:153]
	v_div_scale_f64 v[154:155], null, v[152:153], v[152:153], 1.0
	s_delay_alu instid0(VALU_DEP_1) | instskip(SKIP_2) | instid1(VALU_DEP_1)
	v_rcp_f64_e32 v[158:159], v[154:155]
	s_waitcnt_depctr 0xfff
	v_fma_f64 v[160:161], -v[154:155], v[158:159], 1.0
	v_fma_f64 v[158:159], v[158:159], v[160:161], v[158:159]
	s_delay_alu instid0(VALU_DEP_1) | instskip(NEXT) | instid1(VALU_DEP_1)
	v_fma_f64 v[160:161], -v[154:155], v[158:159], 1.0
	v_fma_f64 v[158:159], v[158:159], v[160:161], v[158:159]
	v_div_scale_f64 v[160:161], vcc_lo, 1.0, v[152:153], 1.0
	s_delay_alu instid0(VALU_DEP_1) | instskip(NEXT) | instid1(VALU_DEP_1)
	v_mul_f64 v[162:163], v[160:161], v[158:159]
	v_fma_f64 v[154:155], -v[154:155], v[162:163], v[160:161]
	s_delay_alu instid0(VALU_DEP_1) | instskip(NEXT) | instid1(VALU_DEP_1)
	v_div_fmas_f64 v[154:155], v[154:155], v[158:159], v[162:163]
	v_div_fixup_f64 v[160:161], v[154:155], v[152:153], 1.0
	s_delay_alu instid0(VALU_DEP_1)
	v_mul_f64 v[158:159], v[156:157], -v[160:161]
.LBB47_133:
	s_or_b32 exec_lo, exec_lo, s3
	ds_store_2addr_b64 v245, v[160:161], v[158:159] offset1:1
.LBB47_134:
	s_or_b32 exec_lo, exec_lo, s4
	s_waitcnt lgkmcnt(0)
	s_barrier
	buffer_gl0_inv
	ds_load_2addr_b64 v[152:155], v245 offset1:1
	s_mov_b32 s3, exec_lo
	v_cmpx_lt_u32_e32 14, v244
	s_cbranch_execz .LBB47_136
; %bb.135:
	s_waitcnt lgkmcnt(0)
	v_mul_f64 v[156:157], v[152:153], v[38:39]
	v_mul_f64 v[38:39], v[154:155], v[38:39]
	s_delay_alu instid0(VALU_DEP_2)
	v_fma_f64 v[164:165], v[154:155], v[36:37], v[156:157]
	ds_load_2addr_b64 v[156:159], v246 offset0:30 offset1:31
	ds_load_2addr_b64 v[160:163], v246 offset0:32 offset1:33
	v_fma_f64 v[36:37], v[152:153], v[36:37], -v[38:39]
	s_waitcnt lgkmcnt(1)
	v_mul_f64 v[38:39], v[158:159], v[164:165]
	s_delay_alu instid0(VALU_DEP_1) | instskip(SKIP_1) | instid1(VALU_DEP_2)
	v_fma_f64 v[38:39], v[156:157], v[36:37], -v[38:39]
	v_mul_f64 v[156:157], v[156:157], v[164:165]
	v_add_f64 v[32:33], v[32:33], -v[38:39]
	s_delay_alu instid0(VALU_DEP_2) | instskip(SKIP_3) | instid1(VALU_DEP_3)
	v_fma_f64 v[166:167], v[158:159], v[36:37], v[156:157]
	s_waitcnt lgkmcnt(0)
	v_mul_f64 v[156:157], v[162:163], v[164:165]
	v_dual_mov_b32 v38, v164 :: v_dual_mov_b32 v39, v165
	v_add_f64 v[34:35], v[34:35], -v[166:167]
	s_delay_alu instid0(VALU_DEP_3) | instskip(SKIP_1) | instid1(VALU_DEP_2)
	v_fma_f64 v[168:169], v[160:161], v[36:37], -v[156:157]
	v_mul_f64 v[156:157], v[160:161], v[164:165]
	v_add_f64 v[28:29], v[28:29], -v[168:169]
	s_delay_alu instid0(VALU_DEP_2)
	v_fma_f64 v[170:171], v[162:163], v[36:37], v[156:157]
	ds_load_2addr_b64 v[156:159], v246 offset0:34 offset1:35
	ds_load_2addr_b64 v[160:163], v246 offset0:36 offset1:37
	s_waitcnt lgkmcnt(1)
	v_mul_f64 v[172:173], v[158:159], v[164:165]
	v_add_f64 v[30:31], v[30:31], -v[170:171]
	s_delay_alu instid0(VALU_DEP_2) | instskip(SKIP_1) | instid1(VALU_DEP_2)
	v_fma_f64 v[172:173], v[156:157], v[36:37], -v[172:173]
	v_mul_f64 v[156:157], v[156:157], v[164:165]
	v_add_f64 v[24:25], v[24:25], -v[172:173]
	s_delay_alu instid0(VALU_DEP_2) | instskip(SKIP_2) | instid1(VALU_DEP_2)
	v_fma_f64 v[174:175], v[158:159], v[36:37], v[156:157]
	s_waitcnt lgkmcnt(0)
	v_mul_f64 v[156:157], v[162:163], v[164:165]
	v_add_f64 v[26:27], v[26:27], -v[174:175]
	s_delay_alu instid0(VALU_DEP_2) | instskip(SKIP_1) | instid1(VALU_DEP_2)
	v_fma_f64 v[176:177], v[160:161], v[36:37], -v[156:157]
	v_mul_f64 v[156:157], v[160:161], v[164:165]
	v_add_f64 v[20:21], v[20:21], -v[176:177]
	s_delay_alu instid0(VALU_DEP_2)
	v_fma_f64 v[178:179], v[162:163], v[36:37], v[156:157]
	ds_load_2addr_b64 v[156:159], v246 offset0:38 offset1:39
	ds_load_2addr_b64 v[160:163], v246 offset0:40 offset1:41
	s_waitcnt lgkmcnt(1)
	v_mul_f64 v[180:181], v[158:159], v[164:165]
	v_add_f64 v[22:23], v[22:23], -v[178:179]
	s_delay_alu instid0(VALU_DEP_2) | instskip(SKIP_1) | instid1(VALU_DEP_2)
	v_fma_f64 v[180:181], v[156:157], v[36:37], -v[180:181]
	v_mul_f64 v[156:157], v[156:157], v[164:165]
	v_add_f64 v[16:17], v[16:17], -v[180:181]
	s_delay_alu instid0(VALU_DEP_2) | instskip(SKIP_2) | instid1(VALU_DEP_2)
	v_fma_f64 v[182:183], v[158:159], v[36:37], v[156:157]
	s_waitcnt lgkmcnt(0)
	v_mul_f64 v[156:157], v[162:163], v[164:165]
	v_add_f64 v[18:19], v[18:19], -v[182:183]
	s_delay_alu instid0(VALU_DEP_2) | instskip(SKIP_1) | instid1(VALU_DEP_2)
	v_fma_f64 v[184:185], v[160:161], v[36:37], -v[156:157]
	v_mul_f64 v[156:157], v[160:161], v[164:165]
	v_add_f64 v[12:13], v[12:13], -v[184:185]
	s_delay_alu instid0(VALU_DEP_2)
	v_fma_f64 v[186:187], v[162:163], v[36:37], v[156:157]
	ds_load_2addr_b64 v[156:159], v246 offset0:42 offset1:43
	ds_load_2addr_b64 v[160:163], v246 offset0:44 offset1:45
	s_waitcnt lgkmcnt(1)
	v_mul_f64 v[188:189], v[158:159], v[164:165]
	v_add_f64 v[14:15], v[14:15], -v[186:187]
	s_delay_alu instid0(VALU_DEP_2) | instskip(SKIP_1) | instid1(VALU_DEP_2)
	v_fma_f64 v[188:189], v[156:157], v[36:37], -v[188:189]
	v_mul_f64 v[156:157], v[156:157], v[164:165]
	v_add_f64 v[8:9], v[8:9], -v[188:189]
	s_delay_alu instid0(VALU_DEP_2) | instskip(SKIP_2) | instid1(VALU_DEP_2)
	v_fma_f64 v[190:191], v[158:159], v[36:37], v[156:157]
	s_waitcnt lgkmcnt(0)
	v_mul_f64 v[156:157], v[162:163], v[164:165]
	v_add_f64 v[10:11], v[10:11], -v[190:191]
	s_delay_alu instid0(VALU_DEP_2) | instskip(SKIP_1) | instid1(VALU_DEP_2)
	v_fma_f64 v[242:243], v[160:161], v[36:37], -v[156:157]
	v_mul_f64 v[156:157], v[160:161], v[164:165]
	v_add_f64 v[4:5], v[4:5], -v[242:243]
	s_delay_alu instid0(VALU_DEP_2) | instskip(SKIP_4) | instid1(VALU_DEP_2)
	v_fma_f64 v[160:161], v[162:163], v[36:37], v[156:157]
	ds_load_2addr_b64 v[156:159], v246 offset0:46 offset1:47
	s_waitcnt lgkmcnt(0)
	v_mul_f64 v[162:163], v[158:159], v[164:165]
	v_add_f64 v[6:7], v[6:7], -v[160:161]
	v_fma_f64 v[162:163], v[156:157], v[36:37], -v[162:163]
	v_mul_f64 v[156:157], v[156:157], v[164:165]
	s_delay_alu instid0(VALU_DEP_2) | instskip(NEXT) | instid1(VALU_DEP_2)
	v_add_f64 v[0:1], v[0:1], -v[162:163]
	v_fma_f64 v[156:157], v[158:159], v[36:37], v[156:157]
	s_delay_alu instid0(VALU_DEP_1)
	v_add_f64 v[2:3], v[2:3], -v[156:157]
.LBB47_136:
	s_or_b32 exec_lo, exec_lo, s3
	s_delay_alu instid0(SALU_CYCLE_1)
	s_mov_b32 s4, exec_lo
	s_waitcnt lgkmcnt(0)
	s_barrier
	buffer_gl0_inv
	v_cmpx_eq_u32_e32 15, v244
	s_cbranch_execz .LBB47_143
; %bb.137:
	ds_store_2addr_b64 v245, v[32:33], v[34:35] offset1:1
	ds_store_2addr_b64 v246, v[28:29], v[30:31] offset0:32 offset1:33
	ds_store_2addr_b64 v246, v[24:25], v[26:27] offset0:34 offset1:35
	;; [unrolled: 1-line block ×8, first 2 shown]
	ds_load_2addr_b64 v[156:159], v245 offset1:1
	s_waitcnt lgkmcnt(0)
	v_cmp_neq_f64_e32 vcc_lo, 0, v[156:157]
	v_cmp_neq_f64_e64 s3, 0, v[158:159]
	s_delay_alu instid0(VALU_DEP_1) | instskip(NEXT) | instid1(SALU_CYCLE_1)
	s_or_b32 s3, vcc_lo, s3
	s_and_b32 exec_lo, exec_lo, s3
	s_cbranch_execz .LBB47_143
; %bb.138:
	v_cmp_gt_f64_e32 vcc_lo, 0, v[156:157]
	v_cmp_gt_f64_e64 s3, 0, v[158:159]
	v_xor_b32_e32 v160, 0x80000000, v157
	v_xor_b32_e32 v162, 0x80000000, v159
                                        ; implicit-def: $vgpr164_vgpr165
	s_delay_alu instid0(VALU_DEP_2) | instskip(NEXT) | instid1(VALU_DEP_2)
	v_cndmask_b32_e32 v161, v157, v160, vcc_lo
	v_cndmask_b32_e64 v163, v159, v162, s3
	v_cndmask_b32_e32 v160, v156, v156, vcc_lo
	v_cndmask_b32_e64 v162, v158, v158, s3
	s_mov_b32 s3, exec_lo
	s_delay_alu instid0(VALU_DEP_1)
	v_cmpx_ngt_f64_e32 v[160:161], v[162:163]
	s_xor_b32 s3, exec_lo, s3
                                        ; implicit-def: $vgpr160_vgpr161_vgpr162_vgpr163
	s_cbranch_execz .LBB47_140
; %bb.139:
	v_div_scale_f64 v[160:161], null, v[158:159], v[158:159], v[156:157]
	v_div_scale_f64 v[166:167], vcc_lo, v[156:157], v[158:159], v[156:157]
	s_delay_alu instid0(VALU_DEP_2) | instskip(SKIP_2) | instid1(VALU_DEP_1)
	v_rcp_f64_e32 v[162:163], v[160:161]
	s_waitcnt_depctr 0xfff
	v_fma_f64 v[164:165], -v[160:161], v[162:163], 1.0
	v_fma_f64 v[162:163], v[162:163], v[164:165], v[162:163]
	s_delay_alu instid0(VALU_DEP_1) | instskip(NEXT) | instid1(VALU_DEP_1)
	v_fma_f64 v[164:165], -v[160:161], v[162:163], 1.0
	v_fma_f64 v[162:163], v[162:163], v[164:165], v[162:163]
	s_delay_alu instid0(VALU_DEP_1) | instskip(NEXT) | instid1(VALU_DEP_1)
	v_mul_f64 v[164:165], v[166:167], v[162:163]
	v_fma_f64 v[160:161], -v[160:161], v[164:165], v[166:167]
	s_delay_alu instid0(VALU_DEP_1) | instskip(NEXT) | instid1(VALU_DEP_1)
	v_div_fmas_f64 v[160:161], v[160:161], v[162:163], v[164:165]
	v_div_fixup_f64 v[160:161], v[160:161], v[158:159], v[156:157]
	s_delay_alu instid0(VALU_DEP_1) | instskip(NEXT) | instid1(VALU_DEP_1)
	v_fma_f64 v[156:157], v[156:157], v[160:161], v[158:159]
	v_div_scale_f64 v[158:159], null, v[156:157], v[156:157], 1.0
	s_delay_alu instid0(VALU_DEP_1) | instskip(SKIP_2) | instid1(VALU_DEP_1)
	v_rcp_f64_e32 v[162:163], v[158:159]
	s_waitcnt_depctr 0xfff
	v_fma_f64 v[164:165], -v[158:159], v[162:163], 1.0
	v_fma_f64 v[162:163], v[162:163], v[164:165], v[162:163]
	s_delay_alu instid0(VALU_DEP_1) | instskip(NEXT) | instid1(VALU_DEP_1)
	v_fma_f64 v[164:165], -v[158:159], v[162:163], 1.0
	v_fma_f64 v[162:163], v[162:163], v[164:165], v[162:163]
	v_div_scale_f64 v[164:165], vcc_lo, 1.0, v[156:157], 1.0
	s_delay_alu instid0(VALU_DEP_1) | instskip(NEXT) | instid1(VALU_DEP_1)
	v_mul_f64 v[166:167], v[164:165], v[162:163]
	v_fma_f64 v[158:159], -v[158:159], v[166:167], v[164:165]
	s_delay_alu instid0(VALU_DEP_1) | instskip(NEXT) | instid1(VALU_DEP_1)
	v_div_fmas_f64 v[158:159], v[158:159], v[162:163], v[166:167]
	v_div_fixup_f64 v[162:163], v[158:159], v[156:157], 1.0
                                        ; implicit-def: $vgpr156_vgpr157
	s_delay_alu instid0(VALU_DEP_1)
	v_mul_f64 v[164:165], v[160:161], v[162:163]
	v_xor_b32_e32 v163, 0x80000000, v163
.LBB47_140:
	s_and_not1_saveexec_b32 s3, s3
	s_cbranch_execz .LBB47_142
; %bb.141:
	v_div_scale_f64 v[160:161], null, v[156:157], v[156:157], v[158:159]
	v_div_scale_f64 v[166:167], vcc_lo, v[158:159], v[156:157], v[158:159]
	s_delay_alu instid0(VALU_DEP_2) | instskip(SKIP_2) | instid1(VALU_DEP_1)
	v_rcp_f64_e32 v[162:163], v[160:161]
	s_waitcnt_depctr 0xfff
	v_fma_f64 v[164:165], -v[160:161], v[162:163], 1.0
	v_fma_f64 v[162:163], v[162:163], v[164:165], v[162:163]
	s_delay_alu instid0(VALU_DEP_1) | instskip(NEXT) | instid1(VALU_DEP_1)
	v_fma_f64 v[164:165], -v[160:161], v[162:163], 1.0
	v_fma_f64 v[162:163], v[162:163], v[164:165], v[162:163]
	s_delay_alu instid0(VALU_DEP_1) | instskip(NEXT) | instid1(VALU_DEP_1)
	v_mul_f64 v[164:165], v[166:167], v[162:163]
	v_fma_f64 v[160:161], -v[160:161], v[164:165], v[166:167]
	s_delay_alu instid0(VALU_DEP_1) | instskip(NEXT) | instid1(VALU_DEP_1)
	v_div_fmas_f64 v[160:161], v[160:161], v[162:163], v[164:165]
	v_div_fixup_f64 v[160:161], v[160:161], v[156:157], v[158:159]
	s_delay_alu instid0(VALU_DEP_1) | instskip(NEXT) | instid1(VALU_DEP_1)
	v_fma_f64 v[156:157], v[158:159], v[160:161], v[156:157]
	v_div_scale_f64 v[158:159], null, v[156:157], v[156:157], 1.0
	s_delay_alu instid0(VALU_DEP_1) | instskip(SKIP_2) | instid1(VALU_DEP_1)
	v_rcp_f64_e32 v[162:163], v[158:159]
	s_waitcnt_depctr 0xfff
	v_fma_f64 v[164:165], -v[158:159], v[162:163], 1.0
	v_fma_f64 v[162:163], v[162:163], v[164:165], v[162:163]
	s_delay_alu instid0(VALU_DEP_1) | instskip(NEXT) | instid1(VALU_DEP_1)
	v_fma_f64 v[164:165], -v[158:159], v[162:163], 1.0
	v_fma_f64 v[162:163], v[162:163], v[164:165], v[162:163]
	v_div_scale_f64 v[164:165], vcc_lo, 1.0, v[156:157], 1.0
	s_delay_alu instid0(VALU_DEP_1) | instskip(NEXT) | instid1(VALU_DEP_1)
	v_mul_f64 v[166:167], v[164:165], v[162:163]
	v_fma_f64 v[158:159], -v[158:159], v[166:167], v[164:165]
	s_delay_alu instid0(VALU_DEP_1) | instskip(NEXT) | instid1(VALU_DEP_1)
	v_div_fmas_f64 v[158:159], v[158:159], v[162:163], v[166:167]
	v_div_fixup_f64 v[164:165], v[158:159], v[156:157], 1.0
	s_delay_alu instid0(VALU_DEP_1)
	v_mul_f64 v[162:163], v[160:161], -v[164:165]
.LBB47_142:
	s_or_b32 exec_lo, exec_lo, s3
	ds_store_2addr_b64 v245, v[164:165], v[162:163] offset1:1
.LBB47_143:
	s_or_b32 exec_lo, exec_lo, s4
	s_waitcnt lgkmcnt(0)
	s_barrier
	buffer_gl0_inv
	ds_load_2addr_b64 v[156:159], v245 offset1:1
	s_mov_b32 s3, exec_lo
	v_cmpx_lt_u32_e32 15, v244
	s_cbranch_execz .LBB47_145
; %bb.144:
	s_waitcnt lgkmcnt(0)
	v_mul_f64 v[160:161], v[156:157], v[34:35]
	v_mul_f64 v[34:35], v[158:159], v[34:35]
	s_delay_alu instid0(VALU_DEP_2)
	v_fma_f64 v[168:169], v[158:159], v[32:33], v[160:161]
	ds_load_2addr_b64 v[160:163], v246 offset0:32 offset1:33
	ds_load_2addr_b64 v[164:167], v246 offset0:34 offset1:35
	v_fma_f64 v[32:33], v[156:157], v[32:33], -v[34:35]
	s_waitcnt lgkmcnt(1)
	v_mul_f64 v[34:35], v[162:163], v[168:169]
	s_delay_alu instid0(VALU_DEP_1) | instskip(SKIP_1) | instid1(VALU_DEP_2)
	v_fma_f64 v[34:35], v[160:161], v[32:33], -v[34:35]
	v_mul_f64 v[160:161], v[160:161], v[168:169]
	v_add_f64 v[28:29], v[28:29], -v[34:35]
	s_delay_alu instid0(VALU_DEP_2) | instskip(SKIP_3) | instid1(VALU_DEP_3)
	v_fma_f64 v[170:171], v[162:163], v[32:33], v[160:161]
	s_waitcnt lgkmcnt(0)
	v_mul_f64 v[160:161], v[166:167], v[168:169]
	v_dual_mov_b32 v34, v168 :: v_dual_mov_b32 v35, v169
	v_add_f64 v[30:31], v[30:31], -v[170:171]
	s_delay_alu instid0(VALU_DEP_3) | instskip(SKIP_1) | instid1(VALU_DEP_2)
	v_fma_f64 v[172:173], v[164:165], v[32:33], -v[160:161]
	v_mul_f64 v[160:161], v[164:165], v[168:169]
	v_add_f64 v[24:25], v[24:25], -v[172:173]
	s_delay_alu instid0(VALU_DEP_2)
	v_fma_f64 v[174:175], v[166:167], v[32:33], v[160:161]
	ds_load_2addr_b64 v[160:163], v246 offset0:36 offset1:37
	ds_load_2addr_b64 v[164:167], v246 offset0:38 offset1:39
	s_waitcnt lgkmcnt(1)
	v_mul_f64 v[176:177], v[162:163], v[168:169]
	v_add_f64 v[26:27], v[26:27], -v[174:175]
	s_delay_alu instid0(VALU_DEP_2) | instskip(SKIP_1) | instid1(VALU_DEP_2)
	v_fma_f64 v[176:177], v[160:161], v[32:33], -v[176:177]
	v_mul_f64 v[160:161], v[160:161], v[168:169]
	v_add_f64 v[20:21], v[20:21], -v[176:177]
	s_delay_alu instid0(VALU_DEP_2) | instskip(SKIP_2) | instid1(VALU_DEP_2)
	v_fma_f64 v[178:179], v[162:163], v[32:33], v[160:161]
	s_waitcnt lgkmcnt(0)
	v_mul_f64 v[160:161], v[166:167], v[168:169]
	v_add_f64 v[22:23], v[22:23], -v[178:179]
	s_delay_alu instid0(VALU_DEP_2) | instskip(SKIP_1) | instid1(VALU_DEP_2)
	v_fma_f64 v[180:181], v[164:165], v[32:33], -v[160:161]
	v_mul_f64 v[160:161], v[164:165], v[168:169]
	v_add_f64 v[16:17], v[16:17], -v[180:181]
	s_delay_alu instid0(VALU_DEP_2)
	v_fma_f64 v[182:183], v[166:167], v[32:33], v[160:161]
	ds_load_2addr_b64 v[160:163], v246 offset0:40 offset1:41
	ds_load_2addr_b64 v[164:167], v246 offset0:42 offset1:43
	s_waitcnt lgkmcnt(1)
	v_mul_f64 v[184:185], v[162:163], v[168:169]
	v_add_f64 v[18:19], v[18:19], -v[182:183]
	s_delay_alu instid0(VALU_DEP_2) | instskip(SKIP_1) | instid1(VALU_DEP_2)
	v_fma_f64 v[184:185], v[160:161], v[32:33], -v[184:185]
	v_mul_f64 v[160:161], v[160:161], v[168:169]
	v_add_f64 v[12:13], v[12:13], -v[184:185]
	s_delay_alu instid0(VALU_DEP_2) | instskip(SKIP_2) | instid1(VALU_DEP_2)
	v_fma_f64 v[186:187], v[162:163], v[32:33], v[160:161]
	s_waitcnt lgkmcnt(0)
	v_mul_f64 v[160:161], v[166:167], v[168:169]
	v_add_f64 v[14:15], v[14:15], -v[186:187]
	s_delay_alu instid0(VALU_DEP_2) | instskip(SKIP_1) | instid1(VALU_DEP_2)
	;; [unrolled: 20-line block ×3, first 2 shown]
	v_fma_f64 v[162:163], v[164:165], v[32:33], -v[162:163]
	v_mul_f64 v[164:165], v[164:165], v[168:169]
	v_add_f64 v[0:1], v[0:1], -v[162:163]
	s_delay_alu instid0(VALU_DEP_2) | instskip(NEXT) | instid1(VALU_DEP_1)
	v_fma_f64 v[164:165], v[166:167], v[32:33], v[164:165]
	v_add_f64 v[2:3], v[2:3], -v[164:165]
.LBB47_145:
	s_or_b32 exec_lo, exec_lo, s3
	s_delay_alu instid0(SALU_CYCLE_1)
	s_mov_b32 s4, exec_lo
	s_waitcnt lgkmcnt(0)
	s_barrier
	buffer_gl0_inv
	v_cmpx_eq_u32_e32 16, v244
	s_cbranch_execz .LBB47_152
; %bb.146:
	ds_store_2addr_b64 v245, v[28:29], v[30:31] offset1:1
	ds_store_2addr_b64 v246, v[24:25], v[26:27] offset0:34 offset1:35
	ds_store_2addr_b64 v246, v[20:21], v[22:23] offset0:36 offset1:37
	;; [unrolled: 1-line block ×7, first 2 shown]
	ds_load_2addr_b64 v[160:163], v245 offset1:1
	s_waitcnt lgkmcnt(0)
	v_cmp_neq_f64_e32 vcc_lo, 0, v[160:161]
	v_cmp_neq_f64_e64 s3, 0, v[162:163]
	s_delay_alu instid0(VALU_DEP_1) | instskip(NEXT) | instid1(SALU_CYCLE_1)
	s_or_b32 s3, vcc_lo, s3
	s_and_b32 exec_lo, exec_lo, s3
	s_cbranch_execz .LBB47_152
; %bb.147:
	v_cmp_gt_f64_e32 vcc_lo, 0, v[160:161]
	v_cmp_gt_f64_e64 s3, 0, v[162:163]
	v_xor_b32_e32 v164, 0x80000000, v161
	v_xor_b32_e32 v166, 0x80000000, v163
                                        ; implicit-def: $vgpr168_vgpr169
	s_delay_alu instid0(VALU_DEP_2) | instskip(NEXT) | instid1(VALU_DEP_2)
	v_cndmask_b32_e32 v165, v161, v164, vcc_lo
	v_cndmask_b32_e64 v167, v163, v166, s3
	v_cndmask_b32_e32 v164, v160, v160, vcc_lo
	v_cndmask_b32_e64 v166, v162, v162, s3
	s_mov_b32 s3, exec_lo
	s_delay_alu instid0(VALU_DEP_1)
	v_cmpx_ngt_f64_e32 v[164:165], v[166:167]
	s_xor_b32 s3, exec_lo, s3
                                        ; implicit-def: $vgpr164_vgpr165_vgpr166_vgpr167
	s_cbranch_execz .LBB47_149
; %bb.148:
	v_div_scale_f64 v[164:165], null, v[162:163], v[162:163], v[160:161]
	v_div_scale_f64 v[170:171], vcc_lo, v[160:161], v[162:163], v[160:161]
	s_delay_alu instid0(VALU_DEP_2) | instskip(SKIP_2) | instid1(VALU_DEP_1)
	v_rcp_f64_e32 v[166:167], v[164:165]
	s_waitcnt_depctr 0xfff
	v_fma_f64 v[168:169], -v[164:165], v[166:167], 1.0
	v_fma_f64 v[166:167], v[166:167], v[168:169], v[166:167]
	s_delay_alu instid0(VALU_DEP_1) | instskip(NEXT) | instid1(VALU_DEP_1)
	v_fma_f64 v[168:169], -v[164:165], v[166:167], 1.0
	v_fma_f64 v[166:167], v[166:167], v[168:169], v[166:167]
	s_delay_alu instid0(VALU_DEP_1) | instskip(NEXT) | instid1(VALU_DEP_1)
	v_mul_f64 v[168:169], v[170:171], v[166:167]
	v_fma_f64 v[164:165], -v[164:165], v[168:169], v[170:171]
	s_delay_alu instid0(VALU_DEP_1) | instskip(NEXT) | instid1(VALU_DEP_1)
	v_div_fmas_f64 v[164:165], v[164:165], v[166:167], v[168:169]
	v_div_fixup_f64 v[164:165], v[164:165], v[162:163], v[160:161]
	s_delay_alu instid0(VALU_DEP_1) | instskip(NEXT) | instid1(VALU_DEP_1)
	v_fma_f64 v[160:161], v[160:161], v[164:165], v[162:163]
	v_div_scale_f64 v[162:163], null, v[160:161], v[160:161], 1.0
	s_delay_alu instid0(VALU_DEP_1) | instskip(SKIP_2) | instid1(VALU_DEP_1)
	v_rcp_f64_e32 v[166:167], v[162:163]
	s_waitcnt_depctr 0xfff
	v_fma_f64 v[168:169], -v[162:163], v[166:167], 1.0
	v_fma_f64 v[166:167], v[166:167], v[168:169], v[166:167]
	s_delay_alu instid0(VALU_DEP_1) | instskip(NEXT) | instid1(VALU_DEP_1)
	v_fma_f64 v[168:169], -v[162:163], v[166:167], 1.0
	v_fma_f64 v[166:167], v[166:167], v[168:169], v[166:167]
	v_div_scale_f64 v[168:169], vcc_lo, 1.0, v[160:161], 1.0
	s_delay_alu instid0(VALU_DEP_1) | instskip(NEXT) | instid1(VALU_DEP_1)
	v_mul_f64 v[170:171], v[168:169], v[166:167]
	v_fma_f64 v[162:163], -v[162:163], v[170:171], v[168:169]
	s_delay_alu instid0(VALU_DEP_1) | instskip(NEXT) | instid1(VALU_DEP_1)
	v_div_fmas_f64 v[162:163], v[162:163], v[166:167], v[170:171]
	v_div_fixup_f64 v[166:167], v[162:163], v[160:161], 1.0
                                        ; implicit-def: $vgpr160_vgpr161
	s_delay_alu instid0(VALU_DEP_1)
	v_mul_f64 v[168:169], v[164:165], v[166:167]
	v_xor_b32_e32 v167, 0x80000000, v167
.LBB47_149:
	s_and_not1_saveexec_b32 s3, s3
	s_cbranch_execz .LBB47_151
; %bb.150:
	v_div_scale_f64 v[164:165], null, v[160:161], v[160:161], v[162:163]
	v_div_scale_f64 v[170:171], vcc_lo, v[162:163], v[160:161], v[162:163]
	s_delay_alu instid0(VALU_DEP_2) | instskip(SKIP_2) | instid1(VALU_DEP_1)
	v_rcp_f64_e32 v[166:167], v[164:165]
	s_waitcnt_depctr 0xfff
	v_fma_f64 v[168:169], -v[164:165], v[166:167], 1.0
	v_fma_f64 v[166:167], v[166:167], v[168:169], v[166:167]
	s_delay_alu instid0(VALU_DEP_1) | instskip(NEXT) | instid1(VALU_DEP_1)
	v_fma_f64 v[168:169], -v[164:165], v[166:167], 1.0
	v_fma_f64 v[166:167], v[166:167], v[168:169], v[166:167]
	s_delay_alu instid0(VALU_DEP_1) | instskip(NEXT) | instid1(VALU_DEP_1)
	v_mul_f64 v[168:169], v[170:171], v[166:167]
	v_fma_f64 v[164:165], -v[164:165], v[168:169], v[170:171]
	s_delay_alu instid0(VALU_DEP_1) | instskip(NEXT) | instid1(VALU_DEP_1)
	v_div_fmas_f64 v[164:165], v[164:165], v[166:167], v[168:169]
	v_div_fixup_f64 v[164:165], v[164:165], v[160:161], v[162:163]
	s_delay_alu instid0(VALU_DEP_1) | instskip(NEXT) | instid1(VALU_DEP_1)
	v_fma_f64 v[160:161], v[162:163], v[164:165], v[160:161]
	v_div_scale_f64 v[162:163], null, v[160:161], v[160:161], 1.0
	s_delay_alu instid0(VALU_DEP_1) | instskip(SKIP_2) | instid1(VALU_DEP_1)
	v_rcp_f64_e32 v[166:167], v[162:163]
	s_waitcnt_depctr 0xfff
	v_fma_f64 v[168:169], -v[162:163], v[166:167], 1.0
	v_fma_f64 v[166:167], v[166:167], v[168:169], v[166:167]
	s_delay_alu instid0(VALU_DEP_1) | instskip(NEXT) | instid1(VALU_DEP_1)
	v_fma_f64 v[168:169], -v[162:163], v[166:167], 1.0
	v_fma_f64 v[166:167], v[166:167], v[168:169], v[166:167]
	v_div_scale_f64 v[168:169], vcc_lo, 1.0, v[160:161], 1.0
	s_delay_alu instid0(VALU_DEP_1) | instskip(NEXT) | instid1(VALU_DEP_1)
	v_mul_f64 v[170:171], v[168:169], v[166:167]
	v_fma_f64 v[162:163], -v[162:163], v[170:171], v[168:169]
	s_delay_alu instid0(VALU_DEP_1) | instskip(NEXT) | instid1(VALU_DEP_1)
	v_div_fmas_f64 v[162:163], v[162:163], v[166:167], v[170:171]
	v_div_fixup_f64 v[168:169], v[162:163], v[160:161], 1.0
	s_delay_alu instid0(VALU_DEP_1)
	v_mul_f64 v[166:167], v[164:165], -v[168:169]
.LBB47_151:
	s_or_b32 exec_lo, exec_lo, s3
	ds_store_2addr_b64 v245, v[168:169], v[166:167] offset1:1
.LBB47_152:
	s_or_b32 exec_lo, exec_lo, s4
	s_waitcnt lgkmcnt(0)
	s_barrier
	buffer_gl0_inv
	ds_load_2addr_b64 v[160:163], v245 offset1:1
	s_mov_b32 s3, exec_lo
	v_cmpx_lt_u32_e32 16, v244
	s_cbranch_execz .LBB47_154
; %bb.153:
	s_waitcnt lgkmcnt(0)
	v_mul_f64 v[164:165], v[160:161], v[30:31]
	v_mul_f64 v[30:31], v[162:163], v[30:31]
	s_delay_alu instid0(VALU_DEP_2)
	v_fma_f64 v[172:173], v[162:163], v[28:29], v[164:165]
	ds_load_2addr_b64 v[164:167], v246 offset0:34 offset1:35
	ds_load_2addr_b64 v[168:171], v246 offset0:36 offset1:37
	v_fma_f64 v[28:29], v[160:161], v[28:29], -v[30:31]
	s_waitcnt lgkmcnt(1)
	v_mul_f64 v[30:31], v[166:167], v[172:173]
	s_delay_alu instid0(VALU_DEP_1) | instskip(SKIP_1) | instid1(VALU_DEP_2)
	v_fma_f64 v[30:31], v[164:165], v[28:29], -v[30:31]
	v_mul_f64 v[164:165], v[164:165], v[172:173]
	v_add_f64 v[24:25], v[24:25], -v[30:31]
	s_delay_alu instid0(VALU_DEP_2) | instskip(SKIP_3) | instid1(VALU_DEP_3)
	v_fma_f64 v[174:175], v[166:167], v[28:29], v[164:165]
	s_waitcnt lgkmcnt(0)
	v_mul_f64 v[164:165], v[170:171], v[172:173]
	v_dual_mov_b32 v30, v172 :: v_dual_mov_b32 v31, v173
	v_add_f64 v[26:27], v[26:27], -v[174:175]
	s_delay_alu instid0(VALU_DEP_3) | instskip(SKIP_1) | instid1(VALU_DEP_2)
	v_fma_f64 v[176:177], v[168:169], v[28:29], -v[164:165]
	v_mul_f64 v[164:165], v[168:169], v[172:173]
	v_add_f64 v[20:21], v[20:21], -v[176:177]
	s_delay_alu instid0(VALU_DEP_2)
	v_fma_f64 v[178:179], v[170:171], v[28:29], v[164:165]
	ds_load_2addr_b64 v[164:167], v246 offset0:38 offset1:39
	ds_load_2addr_b64 v[168:171], v246 offset0:40 offset1:41
	s_waitcnt lgkmcnt(1)
	v_mul_f64 v[180:181], v[166:167], v[172:173]
	v_add_f64 v[22:23], v[22:23], -v[178:179]
	s_delay_alu instid0(VALU_DEP_2) | instskip(SKIP_1) | instid1(VALU_DEP_2)
	v_fma_f64 v[180:181], v[164:165], v[28:29], -v[180:181]
	v_mul_f64 v[164:165], v[164:165], v[172:173]
	v_add_f64 v[16:17], v[16:17], -v[180:181]
	s_delay_alu instid0(VALU_DEP_2) | instskip(SKIP_2) | instid1(VALU_DEP_2)
	v_fma_f64 v[182:183], v[166:167], v[28:29], v[164:165]
	s_waitcnt lgkmcnt(0)
	v_mul_f64 v[164:165], v[170:171], v[172:173]
	v_add_f64 v[18:19], v[18:19], -v[182:183]
	s_delay_alu instid0(VALU_DEP_2) | instskip(SKIP_1) | instid1(VALU_DEP_2)
	v_fma_f64 v[184:185], v[168:169], v[28:29], -v[164:165]
	v_mul_f64 v[164:165], v[168:169], v[172:173]
	v_add_f64 v[12:13], v[12:13], -v[184:185]
	s_delay_alu instid0(VALU_DEP_2)
	v_fma_f64 v[186:187], v[170:171], v[28:29], v[164:165]
	ds_load_2addr_b64 v[164:167], v246 offset0:42 offset1:43
	ds_load_2addr_b64 v[168:171], v246 offset0:44 offset1:45
	s_waitcnt lgkmcnt(1)
	v_mul_f64 v[188:189], v[166:167], v[172:173]
	v_add_f64 v[14:15], v[14:15], -v[186:187]
	s_delay_alu instid0(VALU_DEP_2) | instskip(SKIP_1) | instid1(VALU_DEP_2)
	v_fma_f64 v[188:189], v[164:165], v[28:29], -v[188:189]
	v_mul_f64 v[164:165], v[164:165], v[172:173]
	v_add_f64 v[8:9], v[8:9], -v[188:189]
	s_delay_alu instid0(VALU_DEP_2) | instskip(SKIP_2) | instid1(VALU_DEP_2)
	v_fma_f64 v[190:191], v[166:167], v[28:29], v[164:165]
	s_waitcnt lgkmcnt(0)
	v_mul_f64 v[164:165], v[170:171], v[172:173]
	v_add_f64 v[10:11], v[10:11], -v[190:191]
	s_delay_alu instid0(VALU_DEP_2) | instskip(SKIP_1) | instid1(VALU_DEP_2)
	v_fma_f64 v[242:243], v[168:169], v[28:29], -v[164:165]
	v_mul_f64 v[164:165], v[168:169], v[172:173]
	v_add_f64 v[4:5], v[4:5], -v[242:243]
	s_delay_alu instid0(VALU_DEP_2) | instskip(SKIP_4) | instid1(VALU_DEP_2)
	v_fma_f64 v[168:169], v[170:171], v[28:29], v[164:165]
	ds_load_2addr_b64 v[164:167], v246 offset0:46 offset1:47
	s_waitcnt lgkmcnt(0)
	v_mul_f64 v[170:171], v[166:167], v[172:173]
	v_add_f64 v[6:7], v[6:7], -v[168:169]
	v_fma_f64 v[170:171], v[164:165], v[28:29], -v[170:171]
	v_mul_f64 v[164:165], v[164:165], v[172:173]
	s_delay_alu instid0(VALU_DEP_2) | instskip(NEXT) | instid1(VALU_DEP_2)
	v_add_f64 v[0:1], v[0:1], -v[170:171]
	v_fma_f64 v[164:165], v[166:167], v[28:29], v[164:165]
	s_delay_alu instid0(VALU_DEP_1)
	v_add_f64 v[2:3], v[2:3], -v[164:165]
.LBB47_154:
	s_or_b32 exec_lo, exec_lo, s3
	s_delay_alu instid0(SALU_CYCLE_1)
	s_mov_b32 s4, exec_lo
	s_waitcnt lgkmcnt(0)
	s_barrier
	buffer_gl0_inv
	v_cmpx_eq_u32_e32 17, v244
	s_cbranch_execz .LBB47_161
; %bb.155:
	ds_store_2addr_b64 v245, v[24:25], v[26:27] offset1:1
	ds_store_2addr_b64 v246, v[20:21], v[22:23] offset0:36 offset1:37
	ds_store_2addr_b64 v246, v[16:17], v[18:19] offset0:38 offset1:39
	;; [unrolled: 1-line block ×6, first 2 shown]
	ds_load_2addr_b64 v[164:167], v245 offset1:1
	s_waitcnt lgkmcnt(0)
	v_cmp_neq_f64_e32 vcc_lo, 0, v[164:165]
	v_cmp_neq_f64_e64 s3, 0, v[166:167]
	s_delay_alu instid0(VALU_DEP_1) | instskip(NEXT) | instid1(SALU_CYCLE_1)
	s_or_b32 s3, vcc_lo, s3
	s_and_b32 exec_lo, exec_lo, s3
	s_cbranch_execz .LBB47_161
; %bb.156:
	v_cmp_gt_f64_e32 vcc_lo, 0, v[164:165]
	v_cmp_gt_f64_e64 s3, 0, v[166:167]
	v_xor_b32_e32 v168, 0x80000000, v165
	v_xor_b32_e32 v170, 0x80000000, v167
                                        ; implicit-def: $vgpr172_vgpr173
	s_delay_alu instid0(VALU_DEP_2) | instskip(NEXT) | instid1(VALU_DEP_2)
	v_cndmask_b32_e32 v169, v165, v168, vcc_lo
	v_cndmask_b32_e64 v171, v167, v170, s3
	v_cndmask_b32_e32 v168, v164, v164, vcc_lo
	v_cndmask_b32_e64 v170, v166, v166, s3
	s_mov_b32 s3, exec_lo
	s_delay_alu instid0(VALU_DEP_1)
	v_cmpx_ngt_f64_e32 v[168:169], v[170:171]
	s_xor_b32 s3, exec_lo, s3
                                        ; implicit-def: $vgpr168_vgpr169_vgpr170_vgpr171
	s_cbranch_execz .LBB47_158
; %bb.157:
	v_div_scale_f64 v[168:169], null, v[166:167], v[166:167], v[164:165]
	v_div_scale_f64 v[174:175], vcc_lo, v[164:165], v[166:167], v[164:165]
	s_delay_alu instid0(VALU_DEP_2) | instskip(SKIP_2) | instid1(VALU_DEP_1)
	v_rcp_f64_e32 v[170:171], v[168:169]
	s_waitcnt_depctr 0xfff
	v_fma_f64 v[172:173], -v[168:169], v[170:171], 1.0
	v_fma_f64 v[170:171], v[170:171], v[172:173], v[170:171]
	s_delay_alu instid0(VALU_DEP_1) | instskip(NEXT) | instid1(VALU_DEP_1)
	v_fma_f64 v[172:173], -v[168:169], v[170:171], 1.0
	v_fma_f64 v[170:171], v[170:171], v[172:173], v[170:171]
	s_delay_alu instid0(VALU_DEP_1) | instskip(NEXT) | instid1(VALU_DEP_1)
	v_mul_f64 v[172:173], v[174:175], v[170:171]
	v_fma_f64 v[168:169], -v[168:169], v[172:173], v[174:175]
	s_delay_alu instid0(VALU_DEP_1) | instskip(NEXT) | instid1(VALU_DEP_1)
	v_div_fmas_f64 v[168:169], v[168:169], v[170:171], v[172:173]
	v_div_fixup_f64 v[168:169], v[168:169], v[166:167], v[164:165]
	s_delay_alu instid0(VALU_DEP_1) | instskip(NEXT) | instid1(VALU_DEP_1)
	v_fma_f64 v[164:165], v[164:165], v[168:169], v[166:167]
	v_div_scale_f64 v[166:167], null, v[164:165], v[164:165], 1.0
	s_delay_alu instid0(VALU_DEP_1) | instskip(SKIP_2) | instid1(VALU_DEP_1)
	v_rcp_f64_e32 v[170:171], v[166:167]
	s_waitcnt_depctr 0xfff
	v_fma_f64 v[172:173], -v[166:167], v[170:171], 1.0
	v_fma_f64 v[170:171], v[170:171], v[172:173], v[170:171]
	s_delay_alu instid0(VALU_DEP_1) | instskip(NEXT) | instid1(VALU_DEP_1)
	v_fma_f64 v[172:173], -v[166:167], v[170:171], 1.0
	v_fma_f64 v[170:171], v[170:171], v[172:173], v[170:171]
	v_div_scale_f64 v[172:173], vcc_lo, 1.0, v[164:165], 1.0
	s_delay_alu instid0(VALU_DEP_1) | instskip(NEXT) | instid1(VALU_DEP_1)
	v_mul_f64 v[174:175], v[172:173], v[170:171]
	v_fma_f64 v[166:167], -v[166:167], v[174:175], v[172:173]
	s_delay_alu instid0(VALU_DEP_1) | instskip(NEXT) | instid1(VALU_DEP_1)
	v_div_fmas_f64 v[166:167], v[166:167], v[170:171], v[174:175]
	v_div_fixup_f64 v[170:171], v[166:167], v[164:165], 1.0
                                        ; implicit-def: $vgpr164_vgpr165
	s_delay_alu instid0(VALU_DEP_1)
	v_mul_f64 v[172:173], v[168:169], v[170:171]
	v_xor_b32_e32 v171, 0x80000000, v171
.LBB47_158:
	s_and_not1_saveexec_b32 s3, s3
	s_cbranch_execz .LBB47_160
; %bb.159:
	v_div_scale_f64 v[168:169], null, v[164:165], v[164:165], v[166:167]
	v_div_scale_f64 v[174:175], vcc_lo, v[166:167], v[164:165], v[166:167]
	s_delay_alu instid0(VALU_DEP_2) | instskip(SKIP_2) | instid1(VALU_DEP_1)
	v_rcp_f64_e32 v[170:171], v[168:169]
	s_waitcnt_depctr 0xfff
	v_fma_f64 v[172:173], -v[168:169], v[170:171], 1.0
	v_fma_f64 v[170:171], v[170:171], v[172:173], v[170:171]
	s_delay_alu instid0(VALU_DEP_1) | instskip(NEXT) | instid1(VALU_DEP_1)
	v_fma_f64 v[172:173], -v[168:169], v[170:171], 1.0
	v_fma_f64 v[170:171], v[170:171], v[172:173], v[170:171]
	s_delay_alu instid0(VALU_DEP_1) | instskip(NEXT) | instid1(VALU_DEP_1)
	v_mul_f64 v[172:173], v[174:175], v[170:171]
	v_fma_f64 v[168:169], -v[168:169], v[172:173], v[174:175]
	s_delay_alu instid0(VALU_DEP_1) | instskip(NEXT) | instid1(VALU_DEP_1)
	v_div_fmas_f64 v[168:169], v[168:169], v[170:171], v[172:173]
	v_div_fixup_f64 v[168:169], v[168:169], v[164:165], v[166:167]
	s_delay_alu instid0(VALU_DEP_1) | instskip(NEXT) | instid1(VALU_DEP_1)
	v_fma_f64 v[164:165], v[166:167], v[168:169], v[164:165]
	v_div_scale_f64 v[166:167], null, v[164:165], v[164:165], 1.0
	s_delay_alu instid0(VALU_DEP_1) | instskip(SKIP_2) | instid1(VALU_DEP_1)
	v_rcp_f64_e32 v[170:171], v[166:167]
	s_waitcnt_depctr 0xfff
	v_fma_f64 v[172:173], -v[166:167], v[170:171], 1.0
	v_fma_f64 v[170:171], v[170:171], v[172:173], v[170:171]
	s_delay_alu instid0(VALU_DEP_1) | instskip(NEXT) | instid1(VALU_DEP_1)
	v_fma_f64 v[172:173], -v[166:167], v[170:171], 1.0
	v_fma_f64 v[170:171], v[170:171], v[172:173], v[170:171]
	v_div_scale_f64 v[172:173], vcc_lo, 1.0, v[164:165], 1.0
	s_delay_alu instid0(VALU_DEP_1) | instskip(NEXT) | instid1(VALU_DEP_1)
	v_mul_f64 v[174:175], v[172:173], v[170:171]
	v_fma_f64 v[166:167], -v[166:167], v[174:175], v[172:173]
	s_delay_alu instid0(VALU_DEP_1) | instskip(NEXT) | instid1(VALU_DEP_1)
	v_div_fmas_f64 v[166:167], v[166:167], v[170:171], v[174:175]
	v_div_fixup_f64 v[172:173], v[166:167], v[164:165], 1.0
	s_delay_alu instid0(VALU_DEP_1)
	v_mul_f64 v[170:171], v[168:169], -v[172:173]
.LBB47_160:
	s_or_b32 exec_lo, exec_lo, s3
	ds_store_2addr_b64 v245, v[172:173], v[170:171] offset1:1
.LBB47_161:
	s_or_b32 exec_lo, exec_lo, s4
	s_waitcnt lgkmcnt(0)
	s_barrier
	buffer_gl0_inv
	ds_load_2addr_b64 v[164:167], v245 offset1:1
	s_mov_b32 s3, exec_lo
	v_cmpx_lt_u32_e32 17, v244
	s_cbranch_execz .LBB47_163
; %bb.162:
	s_waitcnt lgkmcnt(0)
	v_mul_f64 v[168:169], v[164:165], v[26:27]
	v_mul_f64 v[26:27], v[166:167], v[26:27]
	ds_load_2addr_b64 v[172:175], v246 offset0:38 offset1:39
	v_fma_f64 v[176:177], v[166:167], v[24:25], v[168:169]
	ds_load_2addr_b64 v[168:171], v246 offset0:36 offset1:37
	v_fma_f64 v[24:25], v[164:165], v[24:25], -v[26:27]
	s_waitcnt lgkmcnt(0)
	v_mul_f64 v[26:27], v[170:171], v[176:177]
	s_delay_alu instid0(VALU_DEP_1) | instskip(SKIP_1) | instid1(VALU_DEP_2)
	v_fma_f64 v[26:27], v[168:169], v[24:25], -v[26:27]
	v_mul_f64 v[168:169], v[168:169], v[176:177]
	v_add_f64 v[20:21], v[20:21], -v[26:27]
	s_delay_alu instid0(VALU_DEP_2) | instskip(SKIP_2) | instid1(VALU_DEP_3)
	v_fma_f64 v[178:179], v[170:171], v[24:25], v[168:169]
	v_mul_f64 v[168:169], v[174:175], v[176:177]
	v_dual_mov_b32 v26, v176 :: v_dual_mov_b32 v27, v177
	v_add_f64 v[22:23], v[22:23], -v[178:179]
	s_delay_alu instid0(VALU_DEP_3) | instskip(SKIP_1) | instid1(VALU_DEP_2)
	v_fma_f64 v[180:181], v[172:173], v[24:25], -v[168:169]
	v_mul_f64 v[168:169], v[172:173], v[176:177]
	v_add_f64 v[16:17], v[16:17], -v[180:181]
	s_delay_alu instid0(VALU_DEP_2)
	v_fma_f64 v[182:183], v[174:175], v[24:25], v[168:169]
	ds_load_2addr_b64 v[168:171], v246 offset0:40 offset1:41
	ds_load_2addr_b64 v[172:175], v246 offset0:42 offset1:43
	s_waitcnt lgkmcnt(1)
	v_mul_f64 v[184:185], v[170:171], v[176:177]
	v_add_f64 v[18:19], v[18:19], -v[182:183]
	s_delay_alu instid0(VALU_DEP_2) | instskip(SKIP_1) | instid1(VALU_DEP_2)
	v_fma_f64 v[184:185], v[168:169], v[24:25], -v[184:185]
	v_mul_f64 v[168:169], v[168:169], v[176:177]
	v_add_f64 v[12:13], v[12:13], -v[184:185]
	s_delay_alu instid0(VALU_DEP_2) | instskip(SKIP_2) | instid1(VALU_DEP_2)
	v_fma_f64 v[186:187], v[170:171], v[24:25], v[168:169]
	s_waitcnt lgkmcnt(0)
	v_mul_f64 v[168:169], v[174:175], v[176:177]
	v_add_f64 v[14:15], v[14:15], -v[186:187]
	s_delay_alu instid0(VALU_DEP_2) | instskip(SKIP_1) | instid1(VALU_DEP_2)
	v_fma_f64 v[188:189], v[172:173], v[24:25], -v[168:169]
	v_mul_f64 v[168:169], v[172:173], v[176:177]
	v_add_f64 v[8:9], v[8:9], -v[188:189]
	s_delay_alu instid0(VALU_DEP_2)
	v_fma_f64 v[190:191], v[174:175], v[24:25], v[168:169]
	ds_load_2addr_b64 v[168:171], v246 offset0:44 offset1:45
	ds_load_2addr_b64 v[172:175], v246 offset0:46 offset1:47
	s_waitcnt lgkmcnt(1)
	v_mul_f64 v[242:243], v[170:171], v[176:177]
	v_add_f64 v[10:11], v[10:11], -v[190:191]
	s_delay_alu instid0(VALU_DEP_2) | instskip(SKIP_1) | instid1(VALU_DEP_2)
	v_fma_f64 v[242:243], v[168:169], v[24:25], -v[242:243]
	v_mul_f64 v[168:169], v[168:169], v[176:177]
	v_add_f64 v[4:5], v[4:5], -v[242:243]
	s_delay_alu instid0(VALU_DEP_2) | instskip(SKIP_2) | instid1(VALU_DEP_2)
	v_fma_f64 v[168:169], v[170:171], v[24:25], v[168:169]
	s_waitcnt lgkmcnt(0)
	v_mul_f64 v[170:171], v[174:175], v[176:177]
	v_add_f64 v[6:7], v[6:7], -v[168:169]
	s_delay_alu instid0(VALU_DEP_2) | instskip(SKIP_1) | instid1(VALU_DEP_2)
	v_fma_f64 v[170:171], v[172:173], v[24:25], -v[170:171]
	v_mul_f64 v[172:173], v[172:173], v[176:177]
	v_add_f64 v[0:1], v[0:1], -v[170:171]
	s_delay_alu instid0(VALU_DEP_2) | instskip(NEXT) | instid1(VALU_DEP_1)
	v_fma_f64 v[172:173], v[174:175], v[24:25], v[172:173]
	v_add_f64 v[2:3], v[2:3], -v[172:173]
.LBB47_163:
	s_or_b32 exec_lo, exec_lo, s3
	s_delay_alu instid0(SALU_CYCLE_1)
	s_mov_b32 s4, exec_lo
	s_waitcnt lgkmcnt(0)
	s_barrier
	buffer_gl0_inv
	v_cmpx_eq_u32_e32 18, v244
	s_cbranch_execz .LBB47_170
; %bb.164:
	ds_store_2addr_b64 v245, v[20:21], v[22:23] offset1:1
	ds_store_2addr_b64 v246, v[16:17], v[18:19] offset0:38 offset1:39
	ds_store_2addr_b64 v246, v[12:13], v[14:15] offset0:40 offset1:41
	;; [unrolled: 1-line block ×5, first 2 shown]
	ds_load_2addr_b64 v[168:171], v245 offset1:1
	s_waitcnt lgkmcnt(0)
	v_cmp_neq_f64_e32 vcc_lo, 0, v[168:169]
	v_cmp_neq_f64_e64 s3, 0, v[170:171]
	s_delay_alu instid0(VALU_DEP_1) | instskip(NEXT) | instid1(SALU_CYCLE_1)
	s_or_b32 s3, vcc_lo, s3
	s_and_b32 exec_lo, exec_lo, s3
	s_cbranch_execz .LBB47_170
; %bb.165:
	v_cmp_gt_f64_e32 vcc_lo, 0, v[168:169]
	v_cmp_gt_f64_e64 s3, 0, v[170:171]
	v_xor_b32_e32 v172, 0x80000000, v169
	v_xor_b32_e32 v174, 0x80000000, v171
                                        ; implicit-def: $vgpr176_vgpr177
	s_delay_alu instid0(VALU_DEP_2) | instskip(NEXT) | instid1(VALU_DEP_2)
	v_cndmask_b32_e32 v173, v169, v172, vcc_lo
	v_cndmask_b32_e64 v175, v171, v174, s3
	v_cndmask_b32_e32 v172, v168, v168, vcc_lo
	v_cndmask_b32_e64 v174, v170, v170, s3
	s_mov_b32 s3, exec_lo
	s_delay_alu instid0(VALU_DEP_1)
	v_cmpx_ngt_f64_e32 v[172:173], v[174:175]
	s_xor_b32 s3, exec_lo, s3
                                        ; implicit-def: $vgpr172_vgpr173_vgpr174_vgpr175
	s_cbranch_execz .LBB47_167
; %bb.166:
	v_div_scale_f64 v[172:173], null, v[170:171], v[170:171], v[168:169]
	v_div_scale_f64 v[178:179], vcc_lo, v[168:169], v[170:171], v[168:169]
	s_delay_alu instid0(VALU_DEP_2) | instskip(SKIP_2) | instid1(VALU_DEP_1)
	v_rcp_f64_e32 v[174:175], v[172:173]
	s_waitcnt_depctr 0xfff
	v_fma_f64 v[176:177], -v[172:173], v[174:175], 1.0
	v_fma_f64 v[174:175], v[174:175], v[176:177], v[174:175]
	s_delay_alu instid0(VALU_DEP_1) | instskip(NEXT) | instid1(VALU_DEP_1)
	v_fma_f64 v[176:177], -v[172:173], v[174:175], 1.0
	v_fma_f64 v[174:175], v[174:175], v[176:177], v[174:175]
	s_delay_alu instid0(VALU_DEP_1) | instskip(NEXT) | instid1(VALU_DEP_1)
	v_mul_f64 v[176:177], v[178:179], v[174:175]
	v_fma_f64 v[172:173], -v[172:173], v[176:177], v[178:179]
	s_delay_alu instid0(VALU_DEP_1) | instskip(NEXT) | instid1(VALU_DEP_1)
	v_div_fmas_f64 v[172:173], v[172:173], v[174:175], v[176:177]
	v_div_fixup_f64 v[172:173], v[172:173], v[170:171], v[168:169]
	s_delay_alu instid0(VALU_DEP_1) | instskip(NEXT) | instid1(VALU_DEP_1)
	v_fma_f64 v[168:169], v[168:169], v[172:173], v[170:171]
	v_div_scale_f64 v[170:171], null, v[168:169], v[168:169], 1.0
	s_delay_alu instid0(VALU_DEP_1) | instskip(SKIP_2) | instid1(VALU_DEP_1)
	v_rcp_f64_e32 v[174:175], v[170:171]
	s_waitcnt_depctr 0xfff
	v_fma_f64 v[176:177], -v[170:171], v[174:175], 1.0
	v_fma_f64 v[174:175], v[174:175], v[176:177], v[174:175]
	s_delay_alu instid0(VALU_DEP_1) | instskip(NEXT) | instid1(VALU_DEP_1)
	v_fma_f64 v[176:177], -v[170:171], v[174:175], 1.0
	v_fma_f64 v[174:175], v[174:175], v[176:177], v[174:175]
	v_div_scale_f64 v[176:177], vcc_lo, 1.0, v[168:169], 1.0
	s_delay_alu instid0(VALU_DEP_1) | instskip(NEXT) | instid1(VALU_DEP_1)
	v_mul_f64 v[178:179], v[176:177], v[174:175]
	v_fma_f64 v[170:171], -v[170:171], v[178:179], v[176:177]
	s_delay_alu instid0(VALU_DEP_1) | instskip(NEXT) | instid1(VALU_DEP_1)
	v_div_fmas_f64 v[170:171], v[170:171], v[174:175], v[178:179]
	v_div_fixup_f64 v[174:175], v[170:171], v[168:169], 1.0
                                        ; implicit-def: $vgpr168_vgpr169
	s_delay_alu instid0(VALU_DEP_1)
	v_mul_f64 v[176:177], v[172:173], v[174:175]
	v_xor_b32_e32 v175, 0x80000000, v175
.LBB47_167:
	s_and_not1_saveexec_b32 s3, s3
	s_cbranch_execz .LBB47_169
; %bb.168:
	v_div_scale_f64 v[172:173], null, v[168:169], v[168:169], v[170:171]
	v_div_scale_f64 v[178:179], vcc_lo, v[170:171], v[168:169], v[170:171]
	s_delay_alu instid0(VALU_DEP_2) | instskip(SKIP_2) | instid1(VALU_DEP_1)
	v_rcp_f64_e32 v[174:175], v[172:173]
	s_waitcnt_depctr 0xfff
	v_fma_f64 v[176:177], -v[172:173], v[174:175], 1.0
	v_fma_f64 v[174:175], v[174:175], v[176:177], v[174:175]
	s_delay_alu instid0(VALU_DEP_1) | instskip(NEXT) | instid1(VALU_DEP_1)
	v_fma_f64 v[176:177], -v[172:173], v[174:175], 1.0
	v_fma_f64 v[174:175], v[174:175], v[176:177], v[174:175]
	s_delay_alu instid0(VALU_DEP_1) | instskip(NEXT) | instid1(VALU_DEP_1)
	v_mul_f64 v[176:177], v[178:179], v[174:175]
	v_fma_f64 v[172:173], -v[172:173], v[176:177], v[178:179]
	s_delay_alu instid0(VALU_DEP_1) | instskip(NEXT) | instid1(VALU_DEP_1)
	v_div_fmas_f64 v[172:173], v[172:173], v[174:175], v[176:177]
	v_div_fixup_f64 v[172:173], v[172:173], v[168:169], v[170:171]
	s_delay_alu instid0(VALU_DEP_1) | instskip(NEXT) | instid1(VALU_DEP_1)
	v_fma_f64 v[168:169], v[170:171], v[172:173], v[168:169]
	v_div_scale_f64 v[170:171], null, v[168:169], v[168:169], 1.0
	s_delay_alu instid0(VALU_DEP_1) | instskip(SKIP_2) | instid1(VALU_DEP_1)
	v_rcp_f64_e32 v[174:175], v[170:171]
	s_waitcnt_depctr 0xfff
	v_fma_f64 v[176:177], -v[170:171], v[174:175], 1.0
	v_fma_f64 v[174:175], v[174:175], v[176:177], v[174:175]
	s_delay_alu instid0(VALU_DEP_1) | instskip(NEXT) | instid1(VALU_DEP_1)
	v_fma_f64 v[176:177], -v[170:171], v[174:175], 1.0
	v_fma_f64 v[174:175], v[174:175], v[176:177], v[174:175]
	v_div_scale_f64 v[176:177], vcc_lo, 1.0, v[168:169], 1.0
	s_delay_alu instid0(VALU_DEP_1) | instskip(NEXT) | instid1(VALU_DEP_1)
	v_mul_f64 v[178:179], v[176:177], v[174:175]
	v_fma_f64 v[170:171], -v[170:171], v[178:179], v[176:177]
	s_delay_alu instid0(VALU_DEP_1) | instskip(NEXT) | instid1(VALU_DEP_1)
	v_div_fmas_f64 v[170:171], v[170:171], v[174:175], v[178:179]
	v_div_fixup_f64 v[176:177], v[170:171], v[168:169], 1.0
	s_delay_alu instid0(VALU_DEP_1)
	v_mul_f64 v[174:175], v[172:173], -v[176:177]
.LBB47_169:
	s_or_b32 exec_lo, exec_lo, s3
	ds_store_2addr_b64 v245, v[176:177], v[174:175] offset1:1
.LBB47_170:
	s_or_b32 exec_lo, exec_lo, s4
	s_waitcnt lgkmcnt(0)
	s_barrier
	buffer_gl0_inv
	ds_load_2addr_b64 v[168:171], v245 offset1:1
	s_mov_b32 s3, exec_lo
	v_cmpx_lt_u32_e32 18, v244
	s_cbranch_execz .LBB47_172
; %bb.171:
	s_waitcnt lgkmcnt(0)
	v_mul_f64 v[172:173], v[168:169], v[22:23]
	v_mul_f64 v[22:23], v[170:171], v[22:23]
	s_delay_alu instid0(VALU_DEP_2)
	v_fma_f64 v[180:181], v[170:171], v[20:21], v[172:173]
	ds_load_2addr_b64 v[172:175], v246 offset0:38 offset1:39
	ds_load_2addr_b64 v[176:179], v246 offset0:40 offset1:41
	v_fma_f64 v[20:21], v[168:169], v[20:21], -v[22:23]
	s_waitcnt lgkmcnt(1)
	v_mul_f64 v[22:23], v[174:175], v[180:181]
	v_mul_f64 v[182:183], v[172:173], v[180:181]
	s_delay_alu instid0(VALU_DEP_2) | instskip(NEXT) | instid1(VALU_DEP_2)
	v_fma_f64 v[22:23], v[172:173], v[20:21], -v[22:23]
	v_fma_f64 v[182:183], v[174:175], v[20:21], v[182:183]
	s_waitcnt lgkmcnt(0)
	v_mul_f64 v[172:173], v[178:179], v[180:181]
	v_mul_f64 v[174:175], v[176:177], v[180:181]
	s_delay_alu instid0(VALU_DEP_4) | instskip(NEXT) | instid1(VALU_DEP_4)
	v_add_f64 v[16:17], v[16:17], -v[22:23]
	v_add_f64 v[18:19], v[18:19], -v[182:183]
	s_delay_alu instid0(VALU_DEP_4) | instskip(NEXT) | instid1(VALU_DEP_4)
	v_fma_f64 v[184:185], v[176:177], v[20:21], -v[172:173]
	v_fma_f64 v[186:187], v[178:179], v[20:21], v[174:175]
	ds_load_2addr_b64 v[172:175], v246 offset0:42 offset1:43
	ds_load_2addr_b64 v[176:179], v246 offset0:44 offset1:45
	v_dual_mov_b32 v22, v180 :: v_dual_mov_b32 v23, v181
	s_waitcnt lgkmcnt(1)
	v_mul_f64 v[188:189], v[174:175], v[180:181]
	v_add_f64 v[12:13], v[12:13], -v[184:185]
	v_add_f64 v[14:15], v[14:15], -v[186:187]
	s_delay_alu instid0(VALU_DEP_3) | instskip(SKIP_1) | instid1(VALU_DEP_2)
	v_fma_f64 v[188:189], v[172:173], v[20:21], -v[188:189]
	v_mul_f64 v[172:173], v[172:173], v[180:181]
	v_add_f64 v[8:9], v[8:9], -v[188:189]
	s_delay_alu instid0(VALU_DEP_2) | instskip(SKIP_2) | instid1(VALU_DEP_2)
	v_fma_f64 v[190:191], v[174:175], v[20:21], v[172:173]
	s_waitcnt lgkmcnt(0)
	v_mul_f64 v[172:173], v[178:179], v[180:181]
	v_add_f64 v[10:11], v[10:11], -v[190:191]
	s_delay_alu instid0(VALU_DEP_2) | instskip(SKIP_1) | instid1(VALU_DEP_2)
	v_fma_f64 v[242:243], v[176:177], v[20:21], -v[172:173]
	v_mul_f64 v[172:173], v[176:177], v[180:181]
	v_add_f64 v[4:5], v[4:5], -v[242:243]
	s_delay_alu instid0(VALU_DEP_2) | instskip(SKIP_4) | instid1(VALU_DEP_2)
	v_fma_f64 v[176:177], v[178:179], v[20:21], v[172:173]
	ds_load_2addr_b64 v[172:175], v246 offset0:46 offset1:47
	s_waitcnt lgkmcnt(0)
	v_mul_f64 v[178:179], v[174:175], v[180:181]
	v_add_f64 v[6:7], v[6:7], -v[176:177]
	v_fma_f64 v[178:179], v[172:173], v[20:21], -v[178:179]
	v_mul_f64 v[172:173], v[172:173], v[180:181]
	s_delay_alu instid0(VALU_DEP_2) | instskip(NEXT) | instid1(VALU_DEP_2)
	v_add_f64 v[0:1], v[0:1], -v[178:179]
	v_fma_f64 v[172:173], v[174:175], v[20:21], v[172:173]
	s_delay_alu instid0(VALU_DEP_1)
	v_add_f64 v[2:3], v[2:3], -v[172:173]
.LBB47_172:
	s_or_b32 exec_lo, exec_lo, s3
	s_delay_alu instid0(SALU_CYCLE_1)
	s_mov_b32 s4, exec_lo
	s_waitcnt lgkmcnt(0)
	s_barrier
	buffer_gl0_inv
	v_cmpx_eq_u32_e32 19, v244
	s_cbranch_execz .LBB47_179
; %bb.173:
	ds_store_2addr_b64 v245, v[16:17], v[18:19] offset1:1
	ds_store_2addr_b64 v246, v[12:13], v[14:15] offset0:40 offset1:41
	ds_store_2addr_b64 v246, v[8:9], v[10:11] offset0:42 offset1:43
	ds_store_2addr_b64 v246, v[4:5], v[6:7] offset0:44 offset1:45
	ds_store_2addr_b64 v246, v[0:1], v[2:3] offset0:46 offset1:47
	ds_load_2addr_b64 v[172:175], v245 offset1:1
	s_waitcnt lgkmcnt(0)
	v_cmp_neq_f64_e32 vcc_lo, 0, v[172:173]
	v_cmp_neq_f64_e64 s3, 0, v[174:175]
	s_delay_alu instid0(VALU_DEP_1) | instskip(NEXT) | instid1(SALU_CYCLE_1)
	s_or_b32 s3, vcc_lo, s3
	s_and_b32 exec_lo, exec_lo, s3
	s_cbranch_execz .LBB47_179
; %bb.174:
	v_cmp_gt_f64_e32 vcc_lo, 0, v[172:173]
	v_cmp_gt_f64_e64 s3, 0, v[174:175]
	v_xor_b32_e32 v176, 0x80000000, v173
	v_xor_b32_e32 v178, 0x80000000, v175
                                        ; implicit-def: $vgpr180_vgpr181
	s_delay_alu instid0(VALU_DEP_2) | instskip(NEXT) | instid1(VALU_DEP_2)
	v_cndmask_b32_e32 v177, v173, v176, vcc_lo
	v_cndmask_b32_e64 v179, v175, v178, s3
	v_cndmask_b32_e32 v176, v172, v172, vcc_lo
	v_cndmask_b32_e64 v178, v174, v174, s3
	s_mov_b32 s3, exec_lo
	s_delay_alu instid0(VALU_DEP_1)
	v_cmpx_ngt_f64_e32 v[176:177], v[178:179]
	s_xor_b32 s3, exec_lo, s3
                                        ; implicit-def: $vgpr176_vgpr177_vgpr178_vgpr179
	s_cbranch_execz .LBB47_176
; %bb.175:
	v_div_scale_f64 v[176:177], null, v[174:175], v[174:175], v[172:173]
	v_div_scale_f64 v[182:183], vcc_lo, v[172:173], v[174:175], v[172:173]
	s_delay_alu instid0(VALU_DEP_2) | instskip(SKIP_2) | instid1(VALU_DEP_1)
	v_rcp_f64_e32 v[178:179], v[176:177]
	s_waitcnt_depctr 0xfff
	v_fma_f64 v[180:181], -v[176:177], v[178:179], 1.0
	v_fma_f64 v[178:179], v[178:179], v[180:181], v[178:179]
	s_delay_alu instid0(VALU_DEP_1) | instskip(NEXT) | instid1(VALU_DEP_1)
	v_fma_f64 v[180:181], -v[176:177], v[178:179], 1.0
	v_fma_f64 v[178:179], v[178:179], v[180:181], v[178:179]
	s_delay_alu instid0(VALU_DEP_1) | instskip(NEXT) | instid1(VALU_DEP_1)
	v_mul_f64 v[180:181], v[182:183], v[178:179]
	v_fma_f64 v[176:177], -v[176:177], v[180:181], v[182:183]
	s_delay_alu instid0(VALU_DEP_1) | instskip(NEXT) | instid1(VALU_DEP_1)
	v_div_fmas_f64 v[176:177], v[176:177], v[178:179], v[180:181]
	v_div_fixup_f64 v[176:177], v[176:177], v[174:175], v[172:173]
	s_delay_alu instid0(VALU_DEP_1) | instskip(NEXT) | instid1(VALU_DEP_1)
	v_fma_f64 v[172:173], v[172:173], v[176:177], v[174:175]
	v_div_scale_f64 v[174:175], null, v[172:173], v[172:173], 1.0
	s_delay_alu instid0(VALU_DEP_1) | instskip(SKIP_2) | instid1(VALU_DEP_1)
	v_rcp_f64_e32 v[178:179], v[174:175]
	s_waitcnt_depctr 0xfff
	v_fma_f64 v[180:181], -v[174:175], v[178:179], 1.0
	v_fma_f64 v[178:179], v[178:179], v[180:181], v[178:179]
	s_delay_alu instid0(VALU_DEP_1) | instskip(NEXT) | instid1(VALU_DEP_1)
	v_fma_f64 v[180:181], -v[174:175], v[178:179], 1.0
	v_fma_f64 v[178:179], v[178:179], v[180:181], v[178:179]
	v_div_scale_f64 v[180:181], vcc_lo, 1.0, v[172:173], 1.0
	s_delay_alu instid0(VALU_DEP_1) | instskip(NEXT) | instid1(VALU_DEP_1)
	v_mul_f64 v[182:183], v[180:181], v[178:179]
	v_fma_f64 v[174:175], -v[174:175], v[182:183], v[180:181]
	s_delay_alu instid0(VALU_DEP_1) | instskip(NEXT) | instid1(VALU_DEP_1)
	v_div_fmas_f64 v[174:175], v[174:175], v[178:179], v[182:183]
	v_div_fixup_f64 v[178:179], v[174:175], v[172:173], 1.0
                                        ; implicit-def: $vgpr172_vgpr173
	s_delay_alu instid0(VALU_DEP_1)
	v_mul_f64 v[180:181], v[176:177], v[178:179]
	v_xor_b32_e32 v179, 0x80000000, v179
.LBB47_176:
	s_and_not1_saveexec_b32 s3, s3
	s_cbranch_execz .LBB47_178
; %bb.177:
	v_div_scale_f64 v[176:177], null, v[172:173], v[172:173], v[174:175]
	v_div_scale_f64 v[182:183], vcc_lo, v[174:175], v[172:173], v[174:175]
	s_delay_alu instid0(VALU_DEP_2) | instskip(SKIP_2) | instid1(VALU_DEP_1)
	v_rcp_f64_e32 v[178:179], v[176:177]
	s_waitcnt_depctr 0xfff
	v_fma_f64 v[180:181], -v[176:177], v[178:179], 1.0
	v_fma_f64 v[178:179], v[178:179], v[180:181], v[178:179]
	s_delay_alu instid0(VALU_DEP_1) | instskip(NEXT) | instid1(VALU_DEP_1)
	v_fma_f64 v[180:181], -v[176:177], v[178:179], 1.0
	v_fma_f64 v[178:179], v[178:179], v[180:181], v[178:179]
	s_delay_alu instid0(VALU_DEP_1) | instskip(NEXT) | instid1(VALU_DEP_1)
	v_mul_f64 v[180:181], v[182:183], v[178:179]
	v_fma_f64 v[176:177], -v[176:177], v[180:181], v[182:183]
	s_delay_alu instid0(VALU_DEP_1) | instskip(NEXT) | instid1(VALU_DEP_1)
	v_div_fmas_f64 v[176:177], v[176:177], v[178:179], v[180:181]
	v_div_fixup_f64 v[176:177], v[176:177], v[172:173], v[174:175]
	s_delay_alu instid0(VALU_DEP_1) | instskip(NEXT) | instid1(VALU_DEP_1)
	v_fma_f64 v[172:173], v[174:175], v[176:177], v[172:173]
	v_div_scale_f64 v[174:175], null, v[172:173], v[172:173], 1.0
	s_delay_alu instid0(VALU_DEP_1) | instskip(SKIP_2) | instid1(VALU_DEP_1)
	v_rcp_f64_e32 v[178:179], v[174:175]
	s_waitcnt_depctr 0xfff
	v_fma_f64 v[180:181], -v[174:175], v[178:179], 1.0
	v_fma_f64 v[178:179], v[178:179], v[180:181], v[178:179]
	s_delay_alu instid0(VALU_DEP_1) | instskip(NEXT) | instid1(VALU_DEP_1)
	v_fma_f64 v[180:181], -v[174:175], v[178:179], 1.0
	v_fma_f64 v[178:179], v[178:179], v[180:181], v[178:179]
	v_div_scale_f64 v[180:181], vcc_lo, 1.0, v[172:173], 1.0
	s_delay_alu instid0(VALU_DEP_1) | instskip(NEXT) | instid1(VALU_DEP_1)
	v_mul_f64 v[182:183], v[180:181], v[178:179]
	v_fma_f64 v[174:175], -v[174:175], v[182:183], v[180:181]
	s_delay_alu instid0(VALU_DEP_1) | instskip(NEXT) | instid1(VALU_DEP_1)
	v_div_fmas_f64 v[174:175], v[174:175], v[178:179], v[182:183]
	v_div_fixup_f64 v[180:181], v[174:175], v[172:173], 1.0
	s_delay_alu instid0(VALU_DEP_1)
	v_mul_f64 v[178:179], v[176:177], -v[180:181]
.LBB47_178:
	s_or_b32 exec_lo, exec_lo, s3
	ds_store_2addr_b64 v245, v[180:181], v[178:179] offset1:1
.LBB47_179:
	s_or_b32 exec_lo, exec_lo, s4
	s_waitcnt lgkmcnt(0)
	s_barrier
	buffer_gl0_inv
	ds_load_2addr_b64 v[172:175], v245 offset1:1
	s_mov_b32 s3, exec_lo
	v_cmpx_lt_u32_e32 19, v244
	s_cbranch_execz .LBB47_181
; %bb.180:
	s_waitcnt lgkmcnt(0)
	v_mul_f64 v[176:177], v[172:173], v[18:19]
	v_mul_f64 v[18:19], v[174:175], v[18:19]
	s_delay_alu instid0(VALU_DEP_2)
	v_fma_f64 v[184:185], v[174:175], v[16:17], v[176:177]
	ds_load_2addr_b64 v[176:179], v246 offset0:40 offset1:41
	ds_load_2addr_b64 v[180:183], v246 offset0:42 offset1:43
	v_fma_f64 v[16:17], v[172:173], v[16:17], -v[18:19]
	s_waitcnt lgkmcnt(1)
	v_mul_f64 v[18:19], v[178:179], v[184:185]
	v_mul_f64 v[186:187], v[176:177], v[184:185]
	s_waitcnt lgkmcnt(0)
	v_mul_f64 v[188:189], v[182:183], v[184:185]
	v_mul_f64 v[190:191], v[180:181], v[184:185]
	s_delay_alu instid0(VALU_DEP_4) | instskip(NEXT) | instid1(VALU_DEP_4)
	v_fma_f64 v[18:19], v[176:177], v[16:17], -v[18:19]
	v_fma_f64 v[186:187], v[178:179], v[16:17], v[186:187]
	ds_load_2addr_b64 v[176:179], v246 offset0:44 offset1:45
	v_fma_f64 v[188:189], v[180:181], v[16:17], -v[188:189]
	v_fma_f64 v[190:191], v[182:183], v[16:17], v[190:191]
	ds_load_2addr_b64 v[180:183], v246 offset0:46 offset1:47
	s_waitcnt lgkmcnt(1)
	v_mul_f64 v[242:243], v[178:179], v[184:185]
	v_add_f64 v[12:13], v[12:13], -v[18:19]
	v_add_f64 v[14:15], v[14:15], -v[186:187]
	v_dual_mov_b32 v18, v184 :: v_dual_mov_b32 v19, v185
	v_add_f64 v[8:9], v[8:9], -v[188:189]
	v_add_f64 v[10:11], v[10:11], -v[190:191]
	v_fma_f64 v[242:243], v[176:177], v[16:17], -v[242:243]
	v_mul_f64 v[176:177], v[176:177], v[184:185]
	s_delay_alu instid0(VALU_DEP_2) | instskip(NEXT) | instid1(VALU_DEP_2)
	v_add_f64 v[4:5], v[4:5], -v[242:243]
	v_fma_f64 v[176:177], v[178:179], v[16:17], v[176:177]
	s_waitcnt lgkmcnt(0)
	v_mul_f64 v[178:179], v[182:183], v[184:185]
	s_delay_alu instid0(VALU_DEP_2) | instskip(NEXT) | instid1(VALU_DEP_2)
	v_add_f64 v[6:7], v[6:7], -v[176:177]
	v_fma_f64 v[178:179], v[180:181], v[16:17], -v[178:179]
	v_mul_f64 v[180:181], v[180:181], v[184:185]
	s_delay_alu instid0(VALU_DEP_2) | instskip(NEXT) | instid1(VALU_DEP_2)
	v_add_f64 v[0:1], v[0:1], -v[178:179]
	v_fma_f64 v[180:181], v[182:183], v[16:17], v[180:181]
	s_delay_alu instid0(VALU_DEP_1)
	v_add_f64 v[2:3], v[2:3], -v[180:181]
.LBB47_181:
	s_or_b32 exec_lo, exec_lo, s3
	s_delay_alu instid0(SALU_CYCLE_1)
	s_mov_b32 s4, exec_lo
	s_waitcnt lgkmcnt(0)
	s_barrier
	buffer_gl0_inv
	v_cmpx_eq_u32_e32 20, v244
	s_cbranch_execz .LBB47_188
; %bb.182:
	ds_store_2addr_b64 v245, v[12:13], v[14:15] offset1:1
	ds_store_2addr_b64 v246, v[8:9], v[10:11] offset0:42 offset1:43
	ds_store_2addr_b64 v246, v[4:5], v[6:7] offset0:44 offset1:45
	;; [unrolled: 1-line block ×3, first 2 shown]
	ds_load_2addr_b64 v[176:179], v245 offset1:1
	s_waitcnt lgkmcnt(0)
	v_cmp_neq_f64_e32 vcc_lo, 0, v[176:177]
	v_cmp_neq_f64_e64 s3, 0, v[178:179]
	s_delay_alu instid0(VALU_DEP_1) | instskip(NEXT) | instid1(SALU_CYCLE_1)
	s_or_b32 s3, vcc_lo, s3
	s_and_b32 exec_lo, exec_lo, s3
	s_cbranch_execz .LBB47_188
; %bb.183:
	v_cmp_gt_f64_e32 vcc_lo, 0, v[176:177]
	v_cmp_gt_f64_e64 s3, 0, v[178:179]
	v_xor_b32_e32 v180, 0x80000000, v177
	v_xor_b32_e32 v182, 0x80000000, v179
                                        ; implicit-def: $vgpr184_vgpr185
	s_delay_alu instid0(VALU_DEP_2) | instskip(NEXT) | instid1(VALU_DEP_2)
	v_cndmask_b32_e32 v181, v177, v180, vcc_lo
	v_cndmask_b32_e64 v183, v179, v182, s3
	v_cndmask_b32_e32 v180, v176, v176, vcc_lo
	v_cndmask_b32_e64 v182, v178, v178, s3
	s_mov_b32 s3, exec_lo
	s_delay_alu instid0(VALU_DEP_1)
	v_cmpx_ngt_f64_e32 v[180:181], v[182:183]
	s_xor_b32 s3, exec_lo, s3
                                        ; implicit-def: $vgpr180_vgpr181_vgpr182_vgpr183
	s_cbranch_execz .LBB47_185
; %bb.184:
	v_div_scale_f64 v[180:181], null, v[178:179], v[178:179], v[176:177]
	v_div_scale_f64 v[186:187], vcc_lo, v[176:177], v[178:179], v[176:177]
	s_delay_alu instid0(VALU_DEP_2) | instskip(SKIP_2) | instid1(VALU_DEP_1)
	v_rcp_f64_e32 v[182:183], v[180:181]
	s_waitcnt_depctr 0xfff
	v_fma_f64 v[184:185], -v[180:181], v[182:183], 1.0
	v_fma_f64 v[182:183], v[182:183], v[184:185], v[182:183]
	s_delay_alu instid0(VALU_DEP_1) | instskip(NEXT) | instid1(VALU_DEP_1)
	v_fma_f64 v[184:185], -v[180:181], v[182:183], 1.0
	v_fma_f64 v[182:183], v[182:183], v[184:185], v[182:183]
	s_delay_alu instid0(VALU_DEP_1) | instskip(NEXT) | instid1(VALU_DEP_1)
	v_mul_f64 v[184:185], v[186:187], v[182:183]
	v_fma_f64 v[180:181], -v[180:181], v[184:185], v[186:187]
	s_delay_alu instid0(VALU_DEP_1) | instskip(NEXT) | instid1(VALU_DEP_1)
	v_div_fmas_f64 v[180:181], v[180:181], v[182:183], v[184:185]
	v_div_fixup_f64 v[180:181], v[180:181], v[178:179], v[176:177]
	s_delay_alu instid0(VALU_DEP_1) | instskip(NEXT) | instid1(VALU_DEP_1)
	v_fma_f64 v[176:177], v[176:177], v[180:181], v[178:179]
	v_div_scale_f64 v[178:179], null, v[176:177], v[176:177], 1.0
	s_delay_alu instid0(VALU_DEP_1) | instskip(SKIP_2) | instid1(VALU_DEP_1)
	v_rcp_f64_e32 v[182:183], v[178:179]
	s_waitcnt_depctr 0xfff
	v_fma_f64 v[184:185], -v[178:179], v[182:183], 1.0
	v_fma_f64 v[182:183], v[182:183], v[184:185], v[182:183]
	s_delay_alu instid0(VALU_DEP_1) | instskip(NEXT) | instid1(VALU_DEP_1)
	v_fma_f64 v[184:185], -v[178:179], v[182:183], 1.0
	v_fma_f64 v[182:183], v[182:183], v[184:185], v[182:183]
	v_div_scale_f64 v[184:185], vcc_lo, 1.0, v[176:177], 1.0
	s_delay_alu instid0(VALU_DEP_1) | instskip(NEXT) | instid1(VALU_DEP_1)
	v_mul_f64 v[186:187], v[184:185], v[182:183]
	v_fma_f64 v[178:179], -v[178:179], v[186:187], v[184:185]
	s_delay_alu instid0(VALU_DEP_1) | instskip(NEXT) | instid1(VALU_DEP_1)
	v_div_fmas_f64 v[178:179], v[178:179], v[182:183], v[186:187]
	v_div_fixup_f64 v[182:183], v[178:179], v[176:177], 1.0
                                        ; implicit-def: $vgpr176_vgpr177
	s_delay_alu instid0(VALU_DEP_1)
	v_mul_f64 v[184:185], v[180:181], v[182:183]
	v_xor_b32_e32 v183, 0x80000000, v183
.LBB47_185:
	s_and_not1_saveexec_b32 s3, s3
	s_cbranch_execz .LBB47_187
; %bb.186:
	v_div_scale_f64 v[180:181], null, v[176:177], v[176:177], v[178:179]
	v_div_scale_f64 v[186:187], vcc_lo, v[178:179], v[176:177], v[178:179]
	s_delay_alu instid0(VALU_DEP_2) | instskip(SKIP_2) | instid1(VALU_DEP_1)
	v_rcp_f64_e32 v[182:183], v[180:181]
	s_waitcnt_depctr 0xfff
	v_fma_f64 v[184:185], -v[180:181], v[182:183], 1.0
	v_fma_f64 v[182:183], v[182:183], v[184:185], v[182:183]
	s_delay_alu instid0(VALU_DEP_1) | instskip(NEXT) | instid1(VALU_DEP_1)
	v_fma_f64 v[184:185], -v[180:181], v[182:183], 1.0
	v_fma_f64 v[182:183], v[182:183], v[184:185], v[182:183]
	s_delay_alu instid0(VALU_DEP_1) | instskip(NEXT) | instid1(VALU_DEP_1)
	v_mul_f64 v[184:185], v[186:187], v[182:183]
	v_fma_f64 v[180:181], -v[180:181], v[184:185], v[186:187]
	s_delay_alu instid0(VALU_DEP_1) | instskip(NEXT) | instid1(VALU_DEP_1)
	v_div_fmas_f64 v[180:181], v[180:181], v[182:183], v[184:185]
	v_div_fixup_f64 v[180:181], v[180:181], v[176:177], v[178:179]
	s_delay_alu instid0(VALU_DEP_1) | instskip(NEXT) | instid1(VALU_DEP_1)
	v_fma_f64 v[176:177], v[178:179], v[180:181], v[176:177]
	v_div_scale_f64 v[178:179], null, v[176:177], v[176:177], 1.0
	s_delay_alu instid0(VALU_DEP_1) | instskip(SKIP_2) | instid1(VALU_DEP_1)
	v_rcp_f64_e32 v[182:183], v[178:179]
	s_waitcnt_depctr 0xfff
	v_fma_f64 v[184:185], -v[178:179], v[182:183], 1.0
	v_fma_f64 v[182:183], v[182:183], v[184:185], v[182:183]
	s_delay_alu instid0(VALU_DEP_1) | instskip(NEXT) | instid1(VALU_DEP_1)
	v_fma_f64 v[184:185], -v[178:179], v[182:183], 1.0
	v_fma_f64 v[182:183], v[182:183], v[184:185], v[182:183]
	v_div_scale_f64 v[184:185], vcc_lo, 1.0, v[176:177], 1.0
	s_delay_alu instid0(VALU_DEP_1) | instskip(NEXT) | instid1(VALU_DEP_1)
	v_mul_f64 v[186:187], v[184:185], v[182:183]
	v_fma_f64 v[178:179], -v[178:179], v[186:187], v[184:185]
	s_delay_alu instid0(VALU_DEP_1) | instskip(NEXT) | instid1(VALU_DEP_1)
	v_div_fmas_f64 v[178:179], v[178:179], v[182:183], v[186:187]
	v_div_fixup_f64 v[184:185], v[178:179], v[176:177], 1.0
	s_delay_alu instid0(VALU_DEP_1)
	v_mul_f64 v[182:183], v[180:181], -v[184:185]
.LBB47_187:
	s_or_b32 exec_lo, exec_lo, s3
	ds_store_2addr_b64 v245, v[184:185], v[182:183] offset1:1
.LBB47_188:
	s_or_b32 exec_lo, exec_lo, s4
	s_waitcnt lgkmcnt(0)
	s_barrier
	buffer_gl0_inv
	ds_load_2addr_b64 v[176:179], v245 offset1:1
	s_mov_b32 s3, exec_lo
	v_cmpx_lt_u32_e32 20, v244
	s_cbranch_execz .LBB47_190
; %bb.189:
	s_waitcnt lgkmcnt(0)
	v_mul_f64 v[180:181], v[176:177], v[14:15]
	v_mul_f64 v[14:15], v[178:179], v[14:15]
	ds_load_2addr_b64 v[184:187], v246 offset0:44 offset1:45
	v_fma_f64 v[188:189], v[178:179], v[12:13], v[180:181]
	ds_load_2addr_b64 v[180:183], v246 offset0:42 offset1:43
	v_fma_f64 v[12:13], v[176:177], v[12:13], -v[14:15]
	s_waitcnt lgkmcnt(0)
	v_mul_f64 v[14:15], v[182:183], v[188:189]
	v_mul_f64 v[190:191], v[180:181], v[188:189]
	;; [unrolled: 1-line block ×3, first 2 shown]
	s_delay_alu instid0(VALU_DEP_3) | instskip(SKIP_1) | instid1(VALU_DEP_4)
	v_fma_f64 v[14:15], v[180:181], v[12:13], -v[14:15]
	v_mul_f64 v[180:181], v[184:185], v[188:189]
	v_fma_f64 v[190:191], v[182:183], v[12:13], v[190:191]
	s_delay_alu instid0(VALU_DEP_4) | instskip(NEXT) | instid1(VALU_DEP_4)
	v_fma_f64 v[184:185], v[184:185], v[12:13], -v[242:243]
	v_add_f64 v[8:9], v[8:9], -v[14:15]
	s_delay_alu instid0(VALU_DEP_4)
	v_fma_f64 v[186:187], v[186:187], v[12:13], v[180:181]
	ds_load_2addr_b64 v[180:183], v246 offset0:46 offset1:47
	v_add_f64 v[10:11], v[10:11], -v[190:191]
	v_add_f64 v[4:5], v[4:5], -v[184:185]
	v_dual_mov_b32 v14, v188 :: v_dual_mov_b32 v15, v189
	s_waitcnt lgkmcnt(0)
	v_mul_f64 v[242:243], v[182:183], v[188:189]
	v_add_f64 v[6:7], v[6:7], -v[186:187]
	s_delay_alu instid0(VALU_DEP_2) | instskip(SKIP_1) | instid1(VALU_DEP_2)
	v_fma_f64 v[242:243], v[180:181], v[12:13], -v[242:243]
	v_mul_f64 v[180:181], v[180:181], v[188:189]
	v_add_f64 v[0:1], v[0:1], -v[242:243]
	s_delay_alu instid0(VALU_DEP_2) | instskip(NEXT) | instid1(VALU_DEP_1)
	v_fma_f64 v[180:181], v[182:183], v[12:13], v[180:181]
	v_add_f64 v[2:3], v[2:3], -v[180:181]
.LBB47_190:
	s_or_b32 exec_lo, exec_lo, s3
	s_delay_alu instid0(SALU_CYCLE_1)
	s_mov_b32 s4, exec_lo
	s_waitcnt lgkmcnt(0)
	s_barrier
	buffer_gl0_inv
	v_cmpx_eq_u32_e32 21, v244
	s_cbranch_execz .LBB47_197
; %bb.191:
	ds_store_2addr_b64 v245, v[8:9], v[10:11] offset1:1
	ds_store_2addr_b64 v246, v[4:5], v[6:7] offset0:44 offset1:45
	ds_store_2addr_b64 v246, v[0:1], v[2:3] offset0:46 offset1:47
	ds_load_2addr_b64 v[180:183], v245 offset1:1
	s_waitcnt lgkmcnt(0)
	v_cmp_neq_f64_e32 vcc_lo, 0, v[180:181]
	v_cmp_neq_f64_e64 s3, 0, v[182:183]
	s_delay_alu instid0(VALU_DEP_1) | instskip(NEXT) | instid1(SALU_CYCLE_1)
	s_or_b32 s3, vcc_lo, s3
	s_and_b32 exec_lo, exec_lo, s3
	s_cbranch_execz .LBB47_197
; %bb.192:
	v_cmp_gt_f64_e32 vcc_lo, 0, v[180:181]
	v_cmp_gt_f64_e64 s3, 0, v[182:183]
	v_xor_b32_e32 v184, 0x80000000, v181
	v_xor_b32_e32 v186, 0x80000000, v183
                                        ; implicit-def: $vgpr188_vgpr189
	s_delay_alu instid0(VALU_DEP_2) | instskip(NEXT) | instid1(VALU_DEP_2)
	v_cndmask_b32_e32 v185, v181, v184, vcc_lo
	v_cndmask_b32_e64 v187, v183, v186, s3
	v_cndmask_b32_e32 v184, v180, v180, vcc_lo
	v_cndmask_b32_e64 v186, v182, v182, s3
	s_mov_b32 s3, exec_lo
	s_delay_alu instid0(VALU_DEP_1)
	v_cmpx_ngt_f64_e32 v[184:185], v[186:187]
	s_xor_b32 s3, exec_lo, s3
                                        ; implicit-def: $vgpr184_vgpr185_vgpr186_vgpr187
	s_cbranch_execz .LBB47_194
; %bb.193:
	v_div_scale_f64 v[184:185], null, v[182:183], v[182:183], v[180:181]
	v_div_scale_f64 v[190:191], vcc_lo, v[180:181], v[182:183], v[180:181]
	s_delay_alu instid0(VALU_DEP_2) | instskip(SKIP_2) | instid1(VALU_DEP_1)
	v_rcp_f64_e32 v[186:187], v[184:185]
	s_waitcnt_depctr 0xfff
	v_fma_f64 v[188:189], -v[184:185], v[186:187], 1.0
	v_fma_f64 v[186:187], v[186:187], v[188:189], v[186:187]
	s_delay_alu instid0(VALU_DEP_1) | instskip(NEXT) | instid1(VALU_DEP_1)
	v_fma_f64 v[188:189], -v[184:185], v[186:187], 1.0
	v_fma_f64 v[186:187], v[186:187], v[188:189], v[186:187]
	s_delay_alu instid0(VALU_DEP_1) | instskip(NEXT) | instid1(VALU_DEP_1)
	v_mul_f64 v[188:189], v[190:191], v[186:187]
	v_fma_f64 v[184:185], -v[184:185], v[188:189], v[190:191]
	s_delay_alu instid0(VALU_DEP_1) | instskip(NEXT) | instid1(VALU_DEP_1)
	v_div_fmas_f64 v[184:185], v[184:185], v[186:187], v[188:189]
	v_div_fixup_f64 v[184:185], v[184:185], v[182:183], v[180:181]
	s_delay_alu instid0(VALU_DEP_1) | instskip(NEXT) | instid1(VALU_DEP_1)
	v_fma_f64 v[180:181], v[180:181], v[184:185], v[182:183]
	v_div_scale_f64 v[182:183], null, v[180:181], v[180:181], 1.0
	s_delay_alu instid0(VALU_DEP_1) | instskip(SKIP_2) | instid1(VALU_DEP_1)
	v_rcp_f64_e32 v[186:187], v[182:183]
	s_waitcnt_depctr 0xfff
	v_fma_f64 v[188:189], -v[182:183], v[186:187], 1.0
	v_fma_f64 v[186:187], v[186:187], v[188:189], v[186:187]
	s_delay_alu instid0(VALU_DEP_1) | instskip(NEXT) | instid1(VALU_DEP_1)
	v_fma_f64 v[188:189], -v[182:183], v[186:187], 1.0
	v_fma_f64 v[186:187], v[186:187], v[188:189], v[186:187]
	v_div_scale_f64 v[188:189], vcc_lo, 1.0, v[180:181], 1.0
	s_delay_alu instid0(VALU_DEP_1) | instskip(NEXT) | instid1(VALU_DEP_1)
	v_mul_f64 v[190:191], v[188:189], v[186:187]
	v_fma_f64 v[182:183], -v[182:183], v[190:191], v[188:189]
	s_delay_alu instid0(VALU_DEP_1) | instskip(NEXT) | instid1(VALU_DEP_1)
	v_div_fmas_f64 v[182:183], v[182:183], v[186:187], v[190:191]
	v_div_fixup_f64 v[186:187], v[182:183], v[180:181], 1.0
                                        ; implicit-def: $vgpr180_vgpr181
	s_delay_alu instid0(VALU_DEP_1)
	v_mul_f64 v[188:189], v[184:185], v[186:187]
	v_xor_b32_e32 v187, 0x80000000, v187
.LBB47_194:
	s_and_not1_saveexec_b32 s3, s3
	s_cbranch_execz .LBB47_196
; %bb.195:
	v_div_scale_f64 v[184:185], null, v[180:181], v[180:181], v[182:183]
	v_div_scale_f64 v[190:191], vcc_lo, v[182:183], v[180:181], v[182:183]
	s_delay_alu instid0(VALU_DEP_2) | instskip(SKIP_2) | instid1(VALU_DEP_1)
	v_rcp_f64_e32 v[186:187], v[184:185]
	s_waitcnt_depctr 0xfff
	v_fma_f64 v[188:189], -v[184:185], v[186:187], 1.0
	v_fma_f64 v[186:187], v[186:187], v[188:189], v[186:187]
	s_delay_alu instid0(VALU_DEP_1) | instskip(NEXT) | instid1(VALU_DEP_1)
	v_fma_f64 v[188:189], -v[184:185], v[186:187], 1.0
	v_fma_f64 v[186:187], v[186:187], v[188:189], v[186:187]
	s_delay_alu instid0(VALU_DEP_1) | instskip(NEXT) | instid1(VALU_DEP_1)
	v_mul_f64 v[188:189], v[190:191], v[186:187]
	v_fma_f64 v[184:185], -v[184:185], v[188:189], v[190:191]
	s_delay_alu instid0(VALU_DEP_1) | instskip(NEXT) | instid1(VALU_DEP_1)
	v_div_fmas_f64 v[184:185], v[184:185], v[186:187], v[188:189]
	v_div_fixup_f64 v[184:185], v[184:185], v[180:181], v[182:183]
	s_delay_alu instid0(VALU_DEP_1) | instskip(NEXT) | instid1(VALU_DEP_1)
	v_fma_f64 v[180:181], v[182:183], v[184:185], v[180:181]
	v_div_scale_f64 v[182:183], null, v[180:181], v[180:181], 1.0
	s_delay_alu instid0(VALU_DEP_1) | instskip(SKIP_2) | instid1(VALU_DEP_1)
	v_rcp_f64_e32 v[186:187], v[182:183]
	s_waitcnt_depctr 0xfff
	v_fma_f64 v[188:189], -v[182:183], v[186:187], 1.0
	v_fma_f64 v[186:187], v[186:187], v[188:189], v[186:187]
	s_delay_alu instid0(VALU_DEP_1) | instskip(NEXT) | instid1(VALU_DEP_1)
	v_fma_f64 v[188:189], -v[182:183], v[186:187], 1.0
	v_fma_f64 v[186:187], v[186:187], v[188:189], v[186:187]
	v_div_scale_f64 v[188:189], vcc_lo, 1.0, v[180:181], 1.0
	s_delay_alu instid0(VALU_DEP_1) | instskip(NEXT) | instid1(VALU_DEP_1)
	v_mul_f64 v[190:191], v[188:189], v[186:187]
	v_fma_f64 v[182:183], -v[182:183], v[190:191], v[188:189]
	s_delay_alu instid0(VALU_DEP_1) | instskip(NEXT) | instid1(VALU_DEP_1)
	v_div_fmas_f64 v[182:183], v[182:183], v[186:187], v[190:191]
	v_div_fixup_f64 v[188:189], v[182:183], v[180:181], 1.0
	s_delay_alu instid0(VALU_DEP_1)
	v_mul_f64 v[186:187], v[184:185], -v[188:189]
.LBB47_196:
	s_or_b32 exec_lo, exec_lo, s3
	ds_store_2addr_b64 v245, v[188:189], v[186:187] offset1:1
.LBB47_197:
	s_or_b32 exec_lo, exec_lo, s4
	s_waitcnt lgkmcnt(0)
	s_barrier
	buffer_gl0_inv
	ds_load_2addr_b64 v[180:183], v245 offset1:1
	s_mov_b32 s3, exec_lo
	v_cmpx_lt_u32_e32 21, v244
	s_cbranch_execz .LBB47_199
; %bb.198:
	s_waitcnt lgkmcnt(0)
	v_mul_f64 v[184:185], v[180:181], v[10:11]
	v_mul_f64 v[10:11], v[182:183], v[10:11]
	s_delay_alu instid0(VALU_DEP_2)
	v_fma_f64 v[242:243], v[182:183], v[8:9], v[184:185]
	ds_load_2addr_b64 v[184:187], v246 offset0:44 offset1:45
	ds_load_2addr_b64 v[188:191], v246 offset0:46 offset1:47
	v_fma_f64 v[8:9], v[180:181], v[8:9], -v[10:11]
	s_waitcnt lgkmcnt(1)
	v_mul_f64 v[10:11], v[186:187], v[242:243]
	v_mul_f64 v[247:248], v[184:185], v[242:243]
	s_waitcnt lgkmcnt(0)
	v_mul_f64 v[249:250], v[190:191], v[242:243]
	v_mul_f64 v[251:252], v[188:189], v[242:243]
	s_delay_alu instid0(VALU_DEP_4) | instskip(NEXT) | instid1(VALU_DEP_4)
	v_fma_f64 v[10:11], v[184:185], v[8:9], -v[10:11]
	v_fma_f64 v[184:185], v[186:187], v[8:9], v[247:248]
	s_delay_alu instid0(VALU_DEP_4) | instskip(NEXT) | instid1(VALU_DEP_4)
	v_fma_f64 v[186:187], v[188:189], v[8:9], -v[249:250]
	v_fma_f64 v[188:189], v[190:191], v[8:9], v[251:252]
	s_delay_alu instid0(VALU_DEP_4) | instskip(NEXT) | instid1(VALU_DEP_4)
	v_add_f64 v[4:5], v[4:5], -v[10:11]
	v_add_f64 v[6:7], v[6:7], -v[184:185]
	s_delay_alu instid0(VALU_DEP_4) | instskip(NEXT) | instid1(VALU_DEP_4)
	v_add_f64 v[0:1], v[0:1], -v[186:187]
	v_add_f64 v[2:3], v[2:3], -v[188:189]
	v_dual_mov_b32 v10, v242 :: v_dual_mov_b32 v11, v243
.LBB47_199:
	s_or_b32 exec_lo, exec_lo, s3
	s_delay_alu instid0(SALU_CYCLE_1)
	s_mov_b32 s4, exec_lo
	s_waitcnt lgkmcnt(0)
	s_barrier
	buffer_gl0_inv
	v_cmpx_eq_u32_e32 22, v244
	s_cbranch_execz .LBB47_206
; %bb.200:
	ds_store_2addr_b64 v245, v[4:5], v[6:7] offset1:1
	ds_store_2addr_b64 v246, v[0:1], v[2:3] offset0:46 offset1:47
	ds_load_2addr_b64 v[184:187], v245 offset1:1
	s_waitcnt lgkmcnt(0)
	v_cmp_neq_f64_e32 vcc_lo, 0, v[184:185]
	v_cmp_neq_f64_e64 s3, 0, v[186:187]
	s_delay_alu instid0(VALU_DEP_1) | instskip(NEXT) | instid1(SALU_CYCLE_1)
	s_or_b32 s3, vcc_lo, s3
	s_and_b32 exec_lo, exec_lo, s3
	s_cbranch_execz .LBB47_206
; %bb.201:
	v_cmp_gt_f64_e32 vcc_lo, 0, v[184:185]
	v_cmp_gt_f64_e64 s3, 0, v[186:187]
	v_xor_b32_e32 v188, 0x80000000, v185
	v_xor_b32_e32 v190, 0x80000000, v187
                                        ; implicit-def: $vgpr242_vgpr243
	s_delay_alu instid0(VALU_DEP_2) | instskip(NEXT) | instid1(VALU_DEP_2)
	v_cndmask_b32_e32 v189, v185, v188, vcc_lo
	v_cndmask_b32_e64 v191, v187, v190, s3
	v_cndmask_b32_e32 v188, v184, v184, vcc_lo
	v_cndmask_b32_e64 v190, v186, v186, s3
	s_mov_b32 s3, exec_lo
	s_delay_alu instid0(VALU_DEP_1)
	v_cmpx_ngt_f64_e32 v[188:189], v[190:191]
	s_xor_b32 s3, exec_lo, s3
                                        ; implicit-def: $vgpr188_vgpr189_vgpr190_vgpr191
	s_cbranch_execz .LBB47_203
; %bb.202:
	v_div_scale_f64 v[188:189], null, v[186:187], v[186:187], v[184:185]
	v_div_scale_f64 v[247:248], vcc_lo, v[184:185], v[186:187], v[184:185]
	s_delay_alu instid0(VALU_DEP_2) | instskip(SKIP_2) | instid1(VALU_DEP_1)
	v_rcp_f64_e32 v[190:191], v[188:189]
	s_waitcnt_depctr 0xfff
	v_fma_f64 v[242:243], -v[188:189], v[190:191], 1.0
	v_fma_f64 v[190:191], v[190:191], v[242:243], v[190:191]
	s_delay_alu instid0(VALU_DEP_1) | instskip(NEXT) | instid1(VALU_DEP_1)
	v_fma_f64 v[242:243], -v[188:189], v[190:191], 1.0
	v_fma_f64 v[190:191], v[190:191], v[242:243], v[190:191]
	s_delay_alu instid0(VALU_DEP_1) | instskip(NEXT) | instid1(VALU_DEP_1)
	v_mul_f64 v[242:243], v[247:248], v[190:191]
	v_fma_f64 v[188:189], -v[188:189], v[242:243], v[247:248]
	s_delay_alu instid0(VALU_DEP_1) | instskip(NEXT) | instid1(VALU_DEP_1)
	v_div_fmas_f64 v[188:189], v[188:189], v[190:191], v[242:243]
	v_div_fixup_f64 v[188:189], v[188:189], v[186:187], v[184:185]
	s_delay_alu instid0(VALU_DEP_1) | instskip(NEXT) | instid1(VALU_DEP_1)
	v_fma_f64 v[184:185], v[184:185], v[188:189], v[186:187]
	v_div_scale_f64 v[186:187], null, v[184:185], v[184:185], 1.0
	s_delay_alu instid0(VALU_DEP_1) | instskip(SKIP_2) | instid1(VALU_DEP_1)
	v_rcp_f64_e32 v[190:191], v[186:187]
	s_waitcnt_depctr 0xfff
	v_fma_f64 v[242:243], -v[186:187], v[190:191], 1.0
	v_fma_f64 v[190:191], v[190:191], v[242:243], v[190:191]
	s_delay_alu instid0(VALU_DEP_1) | instskip(NEXT) | instid1(VALU_DEP_1)
	v_fma_f64 v[242:243], -v[186:187], v[190:191], 1.0
	v_fma_f64 v[190:191], v[190:191], v[242:243], v[190:191]
	v_div_scale_f64 v[242:243], vcc_lo, 1.0, v[184:185], 1.0
	s_delay_alu instid0(VALU_DEP_1) | instskip(NEXT) | instid1(VALU_DEP_1)
	v_mul_f64 v[247:248], v[242:243], v[190:191]
	v_fma_f64 v[186:187], -v[186:187], v[247:248], v[242:243]
	s_delay_alu instid0(VALU_DEP_1) | instskip(NEXT) | instid1(VALU_DEP_1)
	v_div_fmas_f64 v[186:187], v[186:187], v[190:191], v[247:248]
	v_div_fixup_f64 v[190:191], v[186:187], v[184:185], 1.0
                                        ; implicit-def: $vgpr184_vgpr185
	s_delay_alu instid0(VALU_DEP_1)
	v_mul_f64 v[242:243], v[188:189], v[190:191]
	v_xor_b32_e32 v191, 0x80000000, v191
.LBB47_203:
	s_and_not1_saveexec_b32 s3, s3
	s_cbranch_execz .LBB47_205
; %bb.204:
	v_div_scale_f64 v[188:189], null, v[184:185], v[184:185], v[186:187]
	v_div_scale_f64 v[247:248], vcc_lo, v[186:187], v[184:185], v[186:187]
	s_delay_alu instid0(VALU_DEP_2) | instskip(SKIP_2) | instid1(VALU_DEP_1)
	v_rcp_f64_e32 v[190:191], v[188:189]
	s_waitcnt_depctr 0xfff
	v_fma_f64 v[242:243], -v[188:189], v[190:191], 1.0
	v_fma_f64 v[190:191], v[190:191], v[242:243], v[190:191]
	s_delay_alu instid0(VALU_DEP_1) | instskip(NEXT) | instid1(VALU_DEP_1)
	v_fma_f64 v[242:243], -v[188:189], v[190:191], 1.0
	v_fma_f64 v[190:191], v[190:191], v[242:243], v[190:191]
	s_delay_alu instid0(VALU_DEP_1) | instskip(NEXT) | instid1(VALU_DEP_1)
	v_mul_f64 v[242:243], v[247:248], v[190:191]
	v_fma_f64 v[188:189], -v[188:189], v[242:243], v[247:248]
	s_delay_alu instid0(VALU_DEP_1) | instskip(NEXT) | instid1(VALU_DEP_1)
	v_div_fmas_f64 v[188:189], v[188:189], v[190:191], v[242:243]
	v_div_fixup_f64 v[188:189], v[188:189], v[184:185], v[186:187]
	s_delay_alu instid0(VALU_DEP_1) | instskip(NEXT) | instid1(VALU_DEP_1)
	v_fma_f64 v[184:185], v[186:187], v[188:189], v[184:185]
	v_div_scale_f64 v[186:187], null, v[184:185], v[184:185], 1.0
	s_delay_alu instid0(VALU_DEP_1) | instskip(SKIP_2) | instid1(VALU_DEP_1)
	v_rcp_f64_e32 v[190:191], v[186:187]
	s_waitcnt_depctr 0xfff
	v_fma_f64 v[242:243], -v[186:187], v[190:191], 1.0
	v_fma_f64 v[190:191], v[190:191], v[242:243], v[190:191]
	s_delay_alu instid0(VALU_DEP_1) | instskip(NEXT) | instid1(VALU_DEP_1)
	v_fma_f64 v[242:243], -v[186:187], v[190:191], 1.0
	v_fma_f64 v[190:191], v[190:191], v[242:243], v[190:191]
	v_div_scale_f64 v[242:243], vcc_lo, 1.0, v[184:185], 1.0
	s_delay_alu instid0(VALU_DEP_1) | instskip(NEXT) | instid1(VALU_DEP_1)
	v_mul_f64 v[247:248], v[242:243], v[190:191]
	v_fma_f64 v[186:187], -v[186:187], v[247:248], v[242:243]
	s_delay_alu instid0(VALU_DEP_1) | instskip(NEXT) | instid1(VALU_DEP_1)
	v_div_fmas_f64 v[186:187], v[186:187], v[190:191], v[247:248]
	v_div_fixup_f64 v[242:243], v[186:187], v[184:185], 1.0
	s_delay_alu instid0(VALU_DEP_1)
	v_mul_f64 v[190:191], v[188:189], -v[242:243]
.LBB47_205:
	s_or_b32 exec_lo, exec_lo, s3
	ds_store_2addr_b64 v245, v[242:243], v[190:191] offset1:1
.LBB47_206:
	s_or_b32 exec_lo, exec_lo, s4
	s_waitcnt lgkmcnt(0)
	s_barrier
	buffer_gl0_inv
	ds_load_2addr_b64 v[184:187], v245 offset1:1
	s_mov_b32 s3, exec_lo
	v_cmpx_lt_u32_e32 22, v244
	s_cbranch_execz .LBB47_208
; %bb.207:
	s_waitcnt lgkmcnt(0)
	v_mul_f64 v[188:189], v[184:185], v[6:7]
	v_mul_f64 v[6:7], v[186:187], v[6:7]
	s_delay_alu instid0(VALU_DEP_2)
	v_fma_f64 v[242:243], v[186:187], v[4:5], v[188:189]
	ds_load_2addr_b64 v[188:191], v246 offset0:46 offset1:47
	v_fma_f64 v[4:5], v[184:185], v[4:5], -v[6:7]
	s_waitcnt lgkmcnt(0)
	v_mul_f64 v[6:7], v[190:191], v[242:243]
	v_mul_f64 v[246:247], v[188:189], v[242:243]
	s_delay_alu instid0(VALU_DEP_2) | instskip(NEXT) | instid1(VALU_DEP_2)
	v_fma_f64 v[6:7], v[188:189], v[4:5], -v[6:7]
	v_fma_f64 v[188:189], v[190:191], v[4:5], v[246:247]
	s_delay_alu instid0(VALU_DEP_2) | instskip(NEXT) | instid1(VALU_DEP_2)
	v_add_f64 v[0:1], v[0:1], -v[6:7]
	v_add_f64 v[2:3], v[2:3], -v[188:189]
	v_dual_mov_b32 v6, v242 :: v_dual_mov_b32 v7, v243
.LBB47_208:
	s_or_b32 exec_lo, exec_lo, s3
	s_delay_alu instid0(SALU_CYCLE_1)
	s_mov_b32 s4, exec_lo
	s_waitcnt lgkmcnt(0)
	s_barrier
	buffer_gl0_inv
	v_cmpx_eq_u32_e32 23, v244
	s_cbranch_execz .LBB47_215
; %bb.209:
	v_cmp_neq_f64_e32 vcc_lo, 0, v[0:1]
	v_cmp_neq_f64_e64 s3, 0, v[2:3]
	ds_store_2addr_b64 v245, v[0:1], v[2:3] offset1:1
	s_or_b32 s3, vcc_lo, s3
	s_delay_alu instid0(SALU_CYCLE_1)
	s_and_b32 exec_lo, exec_lo, s3
	s_cbranch_execz .LBB47_215
; %bb.210:
	v_cmp_gt_f64_e32 vcc_lo, 0, v[0:1]
	v_cmp_gt_f64_e64 s3, 0, v[2:3]
	v_xor_b32_e32 v188, 0x80000000, v1
	v_xor_b32_e32 v190, 0x80000000, v3
                                        ; implicit-def: $vgpr242_vgpr243
	s_delay_alu instid0(VALU_DEP_2) | instskip(NEXT) | instid1(VALU_DEP_2)
	v_cndmask_b32_e32 v189, v1, v188, vcc_lo
	v_cndmask_b32_e64 v191, v3, v190, s3
	v_cndmask_b32_e32 v188, v0, v0, vcc_lo
	v_cndmask_b32_e64 v190, v2, v2, s3
	s_mov_b32 s3, exec_lo
	s_delay_alu instid0(VALU_DEP_1)
	v_cmpx_ngt_f64_e32 v[188:189], v[190:191]
	s_xor_b32 s3, exec_lo, s3
                                        ; implicit-def: $vgpr188_vgpr189_vgpr190_vgpr191
	s_cbranch_execz .LBB47_212
; %bb.211:
	v_div_scale_f64 v[188:189], null, v[2:3], v[2:3], v[0:1]
	v_div_scale_f64 v[246:247], vcc_lo, v[0:1], v[2:3], v[0:1]
	s_delay_alu instid0(VALU_DEP_2) | instskip(SKIP_2) | instid1(VALU_DEP_1)
	v_rcp_f64_e32 v[190:191], v[188:189]
	s_waitcnt_depctr 0xfff
	v_fma_f64 v[242:243], -v[188:189], v[190:191], 1.0
	v_fma_f64 v[190:191], v[190:191], v[242:243], v[190:191]
	s_delay_alu instid0(VALU_DEP_1) | instskip(NEXT) | instid1(VALU_DEP_1)
	v_fma_f64 v[242:243], -v[188:189], v[190:191], 1.0
	v_fma_f64 v[190:191], v[190:191], v[242:243], v[190:191]
	s_delay_alu instid0(VALU_DEP_1) | instskip(NEXT) | instid1(VALU_DEP_1)
	v_mul_f64 v[242:243], v[246:247], v[190:191]
	v_fma_f64 v[188:189], -v[188:189], v[242:243], v[246:247]
	s_delay_alu instid0(VALU_DEP_1) | instskip(NEXT) | instid1(VALU_DEP_1)
	v_div_fmas_f64 v[188:189], v[188:189], v[190:191], v[242:243]
	v_div_fixup_f64 v[188:189], v[188:189], v[2:3], v[0:1]
	s_delay_alu instid0(VALU_DEP_1) | instskip(NEXT) | instid1(VALU_DEP_1)
	v_fma_f64 v[190:191], v[0:1], v[188:189], v[2:3]
	v_div_scale_f64 v[242:243], null, v[190:191], v[190:191], 1.0
	s_delay_alu instid0(VALU_DEP_1) | instskip(SKIP_2) | instid1(VALU_DEP_1)
	v_rcp_f64_e32 v[246:247], v[242:243]
	s_waitcnt_depctr 0xfff
	v_fma_f64 v[248:249], -v[242:243], v[246:247], 1.0
	v_fma_f64 v[246:247], v[246:247], v[248:249], v[246:247]
	s_delay_alu instid0(VALU_DEP_1) | instskip(NEXT) | instid1(VALU_DEP_1)
	v_fma_f64 v[248:249], -v[242:243], v[246:247], 1.0
	v_fma_f64 v[246:247], v[246:247], v[248:249], v[246:247]
	v_div_scale_f64 v[248:249], vcc_lo, 1.0, v[190:191], 1.0
	s_delay_alu instid0(VALU_DEP_1) | instskip(NEXT) | instid1(VALU_DEP_1)
	v_mul_f64 v[250:251], v[248:249], v[246:247]
	v_fma_f64 v[242:243], -v[242:243], v[250:251], v[248:249]
	s_delay_alu instid0(VALU_DEP_1) | instskip(NEXT) | instid1(VALU_DEP_1)
	v_div_fmas_f64 v[242:243], v[242:243], v[246:247], v[250:251]
	v_div_fixup_f64 v[190:191], v[242:243], v[190:191], 1.0
	s_delay_alu instid0(VALU_DEP_1)
	v_mul_f64 v[242:243], v[188:189], v[190:191]
	v_xor_b32_e32 v191, 0x80000000, v191
.LBB47_212:
	s_and_not1_saveexec_b32 s3, s3
	s_cbranch_execz .LBB47_214
; %bb.213:
	v_div_scale_f64 v[188:189], null, v[0:1], v[0:1], v[2:3]
	v_div_scale_f64 v[246:247], vcc_lo, v[2:3], v[0:1], v[2:3]
	s_delay_alu instid0(VALU_DEP_2) | instskip(SKIP_2) | instid1(VALU_DEP_1)
	v_rcp_f64_e32 v[190:191], v[188:189]
	s_waitcnt_depctr 0xfff
	v_fma_f64 v[242:243], -v[188:189], v[190:191], 1.0
	v_fma_f64 v[190:191], v[190:191], v[242:243], v[190:191]
	s_delay_alu instid0(VALU_DEP_1) | instskip(NEXT) | instid1(VALU_DEP_1)
	v_fma_f64 v[242:243], -v[188:189], v[190:191], 1.0
	v_fma_f64 v[190:191], v[190:191], v[242:243], v[190:191]
	s_delay_alu instid0(VALU_DEP_1) | instskip(NEXT) | instid1(VALU_DEP_1)
	v_mul_f64 v[242:243], v[246:247], v[190:191]
	v_fma_f64 v[188:189], -v[188:189], v[242:243], v[246:247]
	s_delay_alu instid0(VALU_DEP_1) | instskip(NEXT) | instid1(VALU_DEP_1)
	v_div_fmas_f64 v[188:189], v[188:189], v[190:191], v[242:243]
	v_div_fixup_f64 v[188:189], v[188:189], v[0:1], v[2:3]
	s_delay_alu instid0(VALU_DEP_1) | instskip(NEXT) | instid1(VALU_DEP_1)
	v_fma_f64 v[190:191], v[2:3], v[188:189], v[0:1]
	v_div_scale_f64 v[242:243], null, v[190:191], v[190:191], 1.0
	s_delay_alu instid0(VALU_DEP_1) | instskip(SKIP_2) | instid1(VALU_DEP_1)
	v_rcp_f64_e32 v[246:247], v[242:243]
	s_waitcnt_depctr 0xfff
	v_fma_f64 v[248:249], -v[242:243], v[246:247], 1.0
	v_fma_f64 v[246:247], v[246:247], v[248:249], v[246:247]
	s_delay_alu instid0(VALU_DEP_1) | instskip(NEXT) | instid1(VALU_DEP_1)
	v_fma_f64 v[248:249], -v[242:243], v[246:247], 1.0
	v_fma_f64 v[246:247], v[246:247], v[248:249], v[246:247]
	v_div_scale_f64 v[248:249], vcc_lo, 1.0, v[190:191], 1.0
	s_delay_alu instid0(VALU_DEP_1) | instskip(NEXT) | instid1(VALU_DEP_1)
	v_mul_f64 v[250:251], v[248:249], v[246:247]
	v_fma_f64 v[242:243], -v[242:243], v[250:251], v[248:249]
	s_delay_alu instid0(VALU_DEP_1) | instskip(NEXT) | instid1(VALU_DEP_1)
	v_div_fmas_f64 v[242:243], v[242:243], v[246:247], v[250:251]
	v_div_fixup_f64 v[242:243], v[242:243], v[190:191], 1.0
	s_delay_alu instid0(VALU_DEP_1)
	v_mul_f64 v[190:191], v[188:189], -v[242:243]
.LBB47_214:
	s_or_b32 exec_lo, exec_lo, s3
	ds_store_2addr_b64 v245, v[242:243], v[190:191] offset1:1
.LBB47_215:
	s_or_b32 exec_lo, exec_lo, s4
	s_waitcnt lgkmcnt(0)
	s_barrier
	buffer_gl0_inv
	ds_load_2addr_b64 v[188:191], v245 offset1:1
	s_mov_b32 s3, exec_lo
	v_cmpx_lt_u32_e32 23, v244
	s_cbranch_execz .LBB47_217
; %bb.216:
	s_waitcnt lgkmcnt(0)
	v_mul_f64 v[242:243], v[190:191], v[2:3]
	v_mul_f64 v[2:3], v[188:189], v[2:3]
	s_delay_alu instid0(VALU_DEP_2) | instskip(NEXT) | instid1(VALU_DEP_2)
	v_fma_f64 v[242:243], v[188:189], v[0:1], -v[242:243]
	v_fma_f64 v[2:3], v[190:191], v[0:1], v[2:3]
	s_delay_alu instid0(VALU_DEP_2)
	v_dual_mov_b32 v0, v242 :: v_dual_mov_b32 v1, v243
.LBB47_217:
	s_or_b32 exec_lo, exec_lo, s3
	s_waitcnt lgkmcnt(0)
	s_barrier
	buffer_gl0_inv
	s_and_saveexec_b32 s10, s2
	s_cbranch_execz .LBB47_220
; %bb.218:
	s_load_b64 s[0:1], s[0:1], 0x28
	v_lshlrev_b64 v[192:193], 2, v[192:193]
	v_cmp_neq_f64_e64 s2, 0, v[102:103]
	v_cmp_eq_f64_e64 s3, 0, v[104:105]
	v_cmp_eq_f64_e64 s4, 0, v[106:107]
	;; [unrolled: 1-line block ×6, first 2 shown]
	s_waitcnt lgkmcnt(0)
	v_add_co_u32 v192, vcc_lo, s0, v192
	v_add_co_ci_u32_e32 v193, vcc_lo, s1, v193, vcc_lo
	v_cmp_eq_f64_e32 vcc_lo, 0, v[96:97]
	v_cmp_eq_f64_e64 s0, 0, v[98:99]
	v_cmp_neq_f64_e64 s1, 0, v[100:101]
	global_load_b32 v242, v[192:193], off
	s_and_b32 s0, vcc_lo, s0
	s_or_b32 s1, s1, s2
	v_cndmask_b32_e64 v96, 0, 1, s0
	s_or_b32 vcc_lo, s1, s0
	v_cmp_eq_f64_e64 s0, 0, v[118:119]
	s_and_b32 s2, s3, s4
	s_and_b32 s4, s5, s6
	v_cndmask_b32_e32 v96, 2, v96, vcc_lo
	v_cmp_eq_f64_e32 vcc_lo, 0, v[116:117]
	s_and_b32 s6, s7, s8
	s_delay_alu instid0(VALU_DEP_2) | instskip(NEXT) | instid1(VALU_DEP_1)
	v_cmp_eq_u32_e64 s1, 0, v96
	s_and_b32 s1, s2, s1
	v_cmp_eq_f64_e64 s2, 0, v[122:123]
	v_cndmask_b32_e64 v96, v96, 3, s1
	v_cmp_eq_f64_e64 s1, 0, v[120:121]
	s_delay_alu instid0(VALU_DEP_2) | instskip(NEXT) | instid1(VALU_DEP_1)
	v_cmp_eq_u32_e64 s3, 0, v96
	s_and_b32 s3, s4, s3
	v_cmp_eq_f64_e64 s4, 0, v[126:127]
	v_cndmask_b32_e64 v96, v96, 4, s3
	v_cmp_eq_f64_e64 s3, 0, v[124:125]
	;; [unrolled: 6-line block ×3, first 2 shown]
	s_and_b32 s0, vcc_lo, s0
	v_cmp_eq_f64_e32 vcc_lo, 0, v[132:133]
	s_delay_alu instid0(VALU_DEP_3) | instskip(NEXT) | instid1(VALU_DEP_1)
	v_cmp_eq_u32_e64 s7, 0, v96
	s_and_b32 s0, s0, s7
	s_delay_alu instid0(SALU_CYCLE_1) | instskip(SKIP_3) | instid1(VALU_DEP_3)
	v_cndmask_b32_e64 v96, v96, 6, s0
	v_cmp_eq_f64_e64 s0, 0, v[134:135]
	s_and_b32 s1, s1, s2
	v_cmp_eq_f64_e64 s2, 0, v[138:139]
	v_cmp_eq_u32_e64 s7, 0, v96
	s_delay_alu instid0(VALU_DEP_1) | instskip(NEXT) | instid1(SALU_CYCLE_1)
	s_and_b32 s1, s1, s7
	v_cndmask_b32_e64 v96, v96, 7, s1
	v_cmp_eq_f64_e64 s1, 0, v[136:137]
	s_and_b32 s3, s3, s4
	v_cmp_eq_f64_e64 s4, 0, v[142:143]
	s_delay_alu instid0(VALU_DEP_3) | instskip(NEXT) | instid1(VALU_DEP_1)
	v_cmp_eq_u32_e64 s7, 0, v96
	s_and_b32 s3, s3, s7
	s_delay_alu instid0(SALU_CYCLE_1) | instskip(SKIP_3) | instid1(VALU_DEP_3)
	v_cndmask_b32_e64 v96, v96, 8, s3
	v_cmp_eq_f64_e64 s3, 0, v[140:141]
	s_and_b32 s5, s5, s6
	v_cmp_eq_f64_e64 s6, 0, v[146:147]
	v_cmp_eq_u32_e64 s7, 0, v96
	s_delay_alu instid0(VALU_DEP_1) | instskip(NEXT) | instid1(SALU_CYCLE_1)
	s_and_b32 s5, s5, s7
	v_cndmask_b32_e64 v96, v96, 9, s5
	v_cmp_eq_f64_e64 s5, 0, v[144:145]
	s_and_b32 s0, vcc_lo, s0
	v_cmp_eq_f64_e32 vcc_lo, 0, v[148:149]
	s_delay_alu instid0(VALU_DEP_3) | instskip(NEXT) | instid1(VALU_DEP_1)
	v_cmp_eq_u32_e64 s7, 0, v96
	s_and_b32 s0, s0, s7
	s_delay_alu instid0(SALU_CYCLE_1) | instskip(SKIP_3) | instid1(VALU_DEP_3)
	v_cndmask_b32_e64 v96, v96, 10, s0
	v_cmp_eq_f64_e64 s0, 0, v[150:151]
	s_and_b32 s1, s1, s2
	v_cmp_eq_f64_e64 s2, 0, v[154:155]
	v_cmp_eq_u32_e64 s7, 0, v96
	s_delay_alu instid0(VALU_DEP_1) | instskip(NEXT) | instid1(SALU_CYCLE_1)
	s_and_b32 s1, s1, s7
	v_cndmask_b32_e64 v96, v96, 11, s1
	v_cmp_eq_f64_e64 s1, 0, v[152:153]
	s_and_b32 s3, s3, s4
	v_cmp_eq_f64_e64 s4, 0, v[158:159]
	s_delay_alu instid0(VALU_DEP_3) | instskip(NEXT) | instid1(VALU_DEP_1)
	v_cmp_eq_u32_e64 s7, 0, v96
	s_and_b32 s3, s3, s7
	s_delay_alu instid0(SALU_CYCLE_1) | instskip(SKIP_3) | instid1(VALU_DEP_3)
	v_cndmask_b32_e64 v96, v96, 12, s3
	v_cmp_eq_f64_e64 s3, 0, v[156:157]
	s_and_b32 s5, s5, s6
	v_cmp_eq_f64_e64 s6, 0, v[162:163]
	v_cmp_eq_u32_e64 s7, 0, v96
	s_delay_alu instid0(VALU_DEP_1) | instskip(NEXT) | instid1(SALU_CYCLE_1)
	s_and_b32 s5, s5, s7
	v_cndmask_b32_e64 v96, v96, 13, s5
	v_cmp_eq_f64_e64 s5, 0, v[160:161]
	;; [unrolled: 30-line block ×3, first 2 shown]
	s_and_b32 s0, vcc_lo, s0
	v_cmp_eq_f64_e32 vcc_lo, 0, v[180:181]
	s_delay_alu instid0(VALU_DEP_3) | instskip(NEXT) | instid1(VALU_DEP_1)
	v_cmp_eq_u32_e64 s7, 0, v96
	s_and_b32 s0, s0, s7
	s_delay_alu instid0(SALU_CYCLE_1) | instskip(SKIP_3) | instid1(VALU_DEP_3)
	v_cndmask_b32_e64 v96, v96, 18, s0
	v_cmp_eq_f64_e64 s0, 0, v[182:183]
	s_and_b32 s1, s1, s2
	v_cmp_eq_f64_e64 s2, 0, v[186:187]
	v_cmp_eq_u32_e64 s7, 0, v96
	s_delay_alu instid0(VALU_DEP_1) | instskip(NEXT) | instid1(SALU_CYCLE_1)
	s_and_b32 s1, s1, s7
	v_cndmask_b32_e64 v96, v96, 19, s1
	v_cmp_eq_f64_e64 s1, 0, v[184:185]
	s_and_b32 s3, s3, s4
	v_cmp_eq_f64_e64 s4, 0, v[190:191]
	s_delay_alu instid0(VALU_DEP_3) | instskip(NEXT) | instid1(VALU_DEP_1)
	v_cmp_eq_u32_e64 s7, 0, v96
	s_and_b32 s3, s3, s7
	s_delay_alu instid0(SALU_CYCLE_1) | instskip(SKIP_2) | instid1(VALU_DEP_2)
	v_cndmask_b32_e64 v96, v96, 20, s3
	v_cmp_eq_f64_e64 s3, 0, v[188:189]
	s_and_b32 s5, s5, s6
	v_cmp_eq_u32_e64 s7, 0, v96
	s_delay_alu instid0(VALU_DEP_1) | instskip(NEXT) | instid1(SALU_CYCLE_1)
	s_and_b32 s5, s5, s7
	v_cndmask_b32_e64 v96, v96, 21, s5
	s_and_b32 s0, vcc_lo, s0
	s_delay_alu instid0(VALU_DEP_1) | instskip(NEXT) | instid1(VALU_DEP_1)
	v_cmp_eq_u32_e64 s5, 0, v96
	s_and_b32 s0, s0, s5
	s_delay_alu instid0(SALU_CYCLE_1) | instskip(SKIP_1) | instid1(VALU_DEP_1)
	v_cndmask_b32_e64 v96, v96, 22, s0
	s_and_b32 s0, s1, s2
	v_cmp_eq_u32_e32 vcc_lo, 0, v96
	s_and_b32 s0, s0, vcc_lo
	s_delay_alu instid0(SALU_CYCLE_1) | instskip(SKIP_1) | instid1(VALU_DEP_1)
	v_cndmask_b32_e64 v96, v96, 23, s0
	s_and_b32 s0, s3, s4
	v_cmp_eq_u32_e32 vcc_lo, 0, v96
	s_and_b32 s0, s0, vcc_lo
	s_delay_alu instid0(SALU_CYCLE_1) | instskip(NEXT) | instid1(VALU_DEP_1)
	v_cndmask_b32_e64 v96, v96, 24, s0
	v_cmp_ne_u32_e64 s0, 0, v96
	s_waitcnt vmcnt(0)
	v_cmp_eq_u32_e32 vcc_lo, 0, v242
	s_delay_alu instid0(VALU_DEP_2) | instskip(NEXT) | instid1(SALU_CYCLE_1)
	s_and_b32 s0, vcc_lo, s0
	s_and_b32 exec_lo, exec_lo, s0
	s_cbranch_execz .LBB47_220
; %bb.219:
	v_add_nc_u32_e32 v96, s9, v96
	global_store_b32 v[192:193], v96, off
.LBB47_220:
	s_or_b32 exec_lo, exec_lo, s10
	s_clause 0x17
	global_store_b128 v[238:239], v[92:95], off
	global_store_b128 v[240:241], v[88:91], off
	global_store_b128 v[236:237], v[84:87], off
	global_store_b128 v[234:235], v[80:83], off
	global_store_b128 v[232:233], v[76:79], off
	global_store_b128 v[230:231], v[72:75], off
	global_store_b128 v[228:229], v[68:71], off
	global_store_b128 v[226:227], v[64:67], off
	global_store_b128 v[224:225], v[60:63], off
	global_store_b128 v[222:223], v[56:59], off
	global_store_b128 v[220:221], v[52:55], off
	global_store_b128 v[218:219], v[48:51], off
	global_store_b128 v[216:217], v[44:47], off
	global_store_b128 v[214:215], v[40:43], off
	global_store_b128 v[212:213], v[36:39], off
	global_store_b128 v[210:211], v[32:35], off
	global_store_b128 v[208:209], v[28:31], off
	global_store_b128 v[206:207], v[24:27], off
	global_store_b128 v[204:205], v[20:23], off
	global_store_b128 v[202:203], v[16:19], off
	global_store_b128 v[200:201], v[12:15], off
	global_store_b128 v[198:199], v[8:11], off
	global_store_b128 v[196:197], v[4:7], off
	global_store_b128 v[194:195], v[0:3], off
.LBB47_221:
	s_nop 0
	s_sendmsg sendmsg(MSG_DEALLOC_VGPRS)
	s_endpgm
	.section	.rodata,"a",@progbits
	.p2align	6, 0x0
	.amdhsa_kernel _ZN9rocsolver6v33100L23getf2_npvt_small_kernelILi24E19rocblas_complex_numIdEiiPKPS3_EEvT1_T3_lS7_lPT2_S7_S7_
		.amdhsa_group_segment_fixed_size 0
		.amdhsa_private_segment_fixed_size 0
		.amdhsa_kernarg_size 312
		.amdhsa_user_sgpr_count 14
		.amdhsa_user_sgpr_dispatch_ptr 0
		.amdhsa_user_sgpr_queue_ptr 0
		.amdhsa_user_sgpr_kernarg_segment_ptr 1
		.amdhsa_user_sgpr_dispatch_id 0
		.amdhsa_user_sgpr_private_segment_size 0
		.amdhsa_wavefront_size32 1
		.amdhsa_uses_dynamic_stack 0
		.amdhsa_enable_private_segment 0
		.amdhsa_system_sgpr_workgroup_id_x 1
		.amdhsa_system_sgpr_workgroup_id_y 1
		.amdhsa_system_sgpr_workgroup_id_z 0
		.amdhsa_system_sgpr_workgroup_info 0
		.amdhsa_system_vgpr_workitem_id 1
		.amdhsa_next_free_vgpr 253
		.amdhsa_next_free_sgpr 16
		.amdhsa_reserve_vcc 1
		.amdhsa_float_round_mode_32 0
		.amdhsa_float_round_mode_16_64 0
		.amdhsa_float_denorm_mode_32 3
		.amdhsa_float_denorm_mode_16_64 3
		.amdhsa_dx10_clamp 1
		.amdhsa_ieee_mode 1
		.amdhsa_fp16_overflow 0
		.amdhsa_workgroup_processor_mode 1
		.amdhsa_memory_ordered 1
		.amdhsa_forward_progress 0
		.amdhsa_shared_vgpr_count 0
		.amdhsa_exception_fp_ieee_invalid_op 0
		.amdhsa_exception_fp_denorm_src 0
		.amdhsa_exception_fp_ieee_div_zero 0
		.amdhsa_exception_fp_ieee_overflow 0
		.amdhsa_exception_fp_ieee_underflow 0
		.amdhsa_exception_fp_ieee_inexact 0
		.amdhsa_exception_int_div_zero 0
	.end_amdhsa_kernel
	.section	.text._ZN9rocsolver6v33100L23getf2_npvt_small_kernelILi24E19rocblas_complex_numIdEiiPKPS3_EEvT1_T3_lS7_lPT2_S7_S7_,"axG",@progbits,_ZN9rocsolver6v33100L23getf2_npvt_small_kernelILi24E19rocblas_complex_numIdEiiPKPS3_EEvT1_T3_lS7_lPT2_S7_S7_,comdat
.Lfunc_end47:
	.size	_ZN9rocsolver6v33100L23getf2_npvt_small_kernelILi24E19rocblas_complex_numIdEiiPKPS3_EEvT1_T3_lS7_lPT2_S7_S7_, .Lfunc_end47-_ZN9rocsolver6v33100L23getf2_npvt_small_kernelILi24E19rocblas_complex_numIdEiiPKPS3_EEvT1_T3_lS7_lPT2_S7_S7_
                                        ; -- End function
	.section	.AMDGPU.csdata,"",@progbits
; Kernel info:
; codeLenInByte = 41024
; NumSgprs: 18
; NumVgprs: 253
; ScratchSize: 0
; MemoryBound: 1
; FloatMode: 240
; IeeeMode: 1
; LDSByteSize: 0 bytes/workgroup (compile time only)
; SGPRBlocks: 2
; VGPRBlocks: 31
; NumSGPRsForWavesPerEU: 18
; NumVGPRsForWavesPerEU: 253
; Occupancy: 5
; WaveLimiterHint : 1
; COMPUTE_PGM_RSRC2:SCRATCH_EN: 0
; COMPUTE_PGM_RSRC2:USER_SGPR: 14
; COMPUTE_PGM_RSRC2:TRAP_HANDLER: 0
; COMPUTE_PGM_RSRC2:TGID_X_EN: 1
; COMPUTE_PGM_RSRC2:TGID_Y_EN: 1
; COMPUTE_PGM_RSRC2:TGID_Z_EN: 0
; COMPUTE_PGM_RSRC2:TIDIG_COMP_CNT: 1
	.section	.text._ZN9rocsolver6v33100L18getf2_small_kernelILi25E19rocblas_complex_numIdEiiPKPS3_EEvT1_T3_lS7_lPS7_llPT2_S7_S7_S9_l,"axG",@progbits,_ZN9rocsolver6v33100L18getf2_small_kernelILi25E19rocblas_complex_numIdEiiPKPS3_EEvT1_T3_lS7_lPS7_llPT2_S7_S7_S9_l,comdat
	.globl	_ZN9rocsolver6v33100L18getf2_small_kernelILi25E19rocblas_complex_numIdEiiPKPS3_EEvT1_T3_lS7_lPS7_llPT2_S7_S7_S9_l ; -- Begin function _ZN9rocsolver6v33100L18getf2_small_kernelILi25E19rocblas_complex_numIdEiiPKPS3_EEvT1_T3_lS7_lPS7_llPT2_S7_S7_S9_l
	.p2align	8
	.type	_ZN9rocsolver6v33100L18getf2_small_kernelILi25E19rocblas_complex_numIdEiiPKPS3_EEvT1_T3_lS7_lPS7_llPT2_S7_S7_S9_l,@function
_ZN9rocsolver6v33100L18getf2_small_kernelILi25E19rocblas_complex_numIdEiiPKPS3_EEvT1_T3_lS7_lPS7_llPT2_S7_S7_S9_l: ; @_ZN9rocsolver6v33100L18getf2_small_kernelILi25E19rocblas_complex_numIdEiiPKPS3_EEvT1_T3_lS7_lPS7_llPT2_S7_S7_S9_l
; %bb.0:
	s_clause 0x1
	s_load_b32 s2, s[0:1], 0x6c
	s_load_b64 s[12:13], s[0:1], 0x48
	v_bfe_u32 v100, v0, 10, 10
	s_waitcnt lgkmcnt(0)
	s_lshr_b32 s2, s2, 16
	s_delay_alu instid0(VALU_DEP_1) | instid1(SALU_CYCLE_1)
	v_mad_u64_u32 v[7:8], null, s15, s2, v[100:101]
	s_mov_b32 s2, exec_lo
	s_delay_alu instid0(VALU_DEP_1)
	v_cmpx_gt_i32_e64 s12, v7
	s_cbranch_execz .LBB48_528
; %bb.1:
	s_clause 0x1
	s_load_b128 s[4:7], s[0:1], 0x8
	s_load_b128 s[8:11], s[0:1], 0x50
	v_ashrrev_i32_e32 v8, 31, v7
	v_mov_b32_e32 v78, 0
	v_mov_b32_e32 v79, 0
	s_delay_alu instid0(VALU_DEP_3) | instskip(SKIP_1) | instid1(VALU_DEP_1)
	v_lshlrev_b64 v[1:2], 3, v[7:8]
	s_waitcnt lgkmcnt(0)
	v_add_co_u32 v1, vcc_lo, s4, v1
	s_delay_alu instid0(VALU_DEP_2)
	v_add_co_ci_u32_e32 v2, vcc_lo, s5, v2, vcc_lo
	s_cmp_eq_u64 s[8:9], 0
	s_cselect_b32 s4, -1, 0
	global_load_b64 v[1:2], v[1:2], off
	s_and_b32 vcc_lo, exec_lo, s4
	s_cbranch_vccnz .LBB48_3
; %bb.2:
	v_mul_lo_u32 v5, v8, s10
	v_mul_lo_u32 v6, v7, s11
	v_mad_u64_u32 v[3:4], null, v7, s10, 0
	s_delay_alu instid0(VALU_DEP_1) | instskip(NEXT) | instid1(VALU_DEP_1)
	v_add3_u32 v4, v4, v6, v5
	v_lshlrev_b64 v[3:4], 2, v[3:4]
	s_delay_alu instid0(VALU_DEP_1) | instskip(NEXT) | instid1(VALU_DEP_2)
	v_add_co_u32 v78, vcc_lo, s8, v3
	v_add_co_ci_u32_e32 v79, vcc_lo, s9, v4, vcc_lo
.LBB48_3:
	s_clause 0x1
	s_load_b32 s8, s[0:1], 0x18
	s_load_b32 s5, s[0:1], 0x0
	v_and_b32_e32 v247, 0x3ff, v0
	s_lshl_b64 s[2:3], s[6:7], 4
	scratch_store_b64 off, v[7:8], off offset:20 ; 8-byte Folded Spill
	s_waitcnt vmcnt(0)
	v_add_co_u32 v112, vcc_lo, v1, s2
	v_lshlrev_b32_e32 v32, 4, v247
	v_add_co_ci_u32_e32 v18, vcc_lo, s3, v2, vcc_lo
	s_delay_alu instid0(VALU_DEP_2) | instskip(NEXT) | instid1(VALU_DEP_2)
	v_add_co_u32 v2, vcc_lo, v112, v32
	v_add_co_ci_u32_e32 v3, vcc_lo, 0, v18, vcc_lo
	s_waitcnt lgkmcnt(0)
	v_add3_u32 v0, s8, s8, v247
	s_ashr_i32 s9, s8, 31
	s_max_i32 s2, s5, 25
	s_lshl_b64 s[10:11], s[8:9], 4
	v_mul_lo_u32 v33, s2, v100
	v_add_nc_u32_e32 v4, s8, v0
	v_ashrrev_i32_e32 v1, 31, v0
	v_add_co_u32 v6, vcc_lo, v2, s10
	v_add_co_ci_u32_e32 v7, vcc_lo, s11, v3, vcc_lo
	s_delay_alu instid0(VALU_DEP_4) | instskip(NEXT) | instid1(VALU_DEP_4)
	v_ashrrev_i32_e32 v5, 31, v4
	v_lshlrev_b64 v[0:1], 4, v[0:1]
	s_clause 0x1
	global_load_b128 v[96:99], v[2:3], off
	global_load_b128 v[235:238], v[6:7], off
	v_add_nc_u32_e32 v8, s8, v4
	v_lshl_add_u32 v110, v33, 4, 0
	v_lshlrev_b64 v[2:3], 4, v[4:5]
	v_lshlrev_b32_e32 v255, 4, v33
	v_add_co_u32 v0, vcc_lo, v112, v0
	v_add_co_ci_u32_e32 v1, vcc_lo, v18, v1, vcc_lo
	s_delay_alu instid0(VALU_DEP_4)
	v_add_co_u32 v2, vcc_lo, v112, v2
	v_add_co_ci_u32_e32 v3, vcc_lo, v18, v3, vcc_lo
	v_ashrrev_i32_e32 v9, 31, v8
	s_clause 0x1
	global_load_b128 v[243:246], v[0:1], off
	global_load_b128 v[0:3], v[2:3], off
	v_add_nc_u32_e32 v4, s8, v8
	v_add_nc_u32_e32 v32, v110, v32
	v_lshlrev_b64 v[6:7], 4, v[8:9]
	s_cmp_lt_i32 s5, 2
	s_delay_alu instid0(VALU_DEP_3) | instskip(SKIP_1) | instid1(VALU_DEP_2)
	v_add_nc_u32_e32 v8, s8, v4
	v_ashrrev_i32_e32 v5, 31, v4
	v_add_nc_u32_e32 v10, s8, v8
	s_delay_alu instid0(VALU_DEP_2) | instskip(SKIP_1) | instid1(VALU_DEP_3)
	v_lshlrev_b64 v[4:5], 4, v[4:5]
	v_ashrrev_i32_e32 v9, 31, v8
	v_ashrrev_i32_e32 v11, 31, v10
	s_waitcnt vmcnt(0)
	scratch_store_b128 off, v[0:3], off offset:4 ; 16-byte Folded Spill
	v_add_co_u32 v0, vcc_lo, v112, v6
	v_add_nc_u32_e32 v6, s8, v10
	v_add_co_ci_u32_e32 v1, vcc_lo, v18, v7, vcc_lo
	v_lshlrev_b64 v[2:3], 4, v[8:9]
	v_add_co_u32 v4, vcc_lo, v112, v4
	v_add_co_ci_u32_e32 v5, vcc_lo, v18, v5, vcc_lo
	v_lshlrev_b64 v[8:9], 4, v[10:11]
	v_add_nc_u32_e32 v10, s8, v6
	v_ashrrev_i32_e32 v7, 31, v6
	s_clause 0x1
	global_load_b128 v[239:242], v[0:1], off
	global_load_b128 v[92:95], v[4:5], off
	v_add_co_u32 v0, vcc_lo, v112, v2
	v_ashrrev_i32_e32 v11, 31, v10
	v_add_nc_u32_e32 v4, s8, v10
	v_add_co_ci_u32_e32 v1, vcc_lo, v18, v3, vcc_lo
	v_lshlrev_b64 v[2:3], 4, v[6:7]
	v_add_co_u32 v6, vcc_lo, v112, v8
	v_add_co_ci_u32_e32 v7, vcc_lo, v18, v9, vcc_lo
	v_lshlrev_b64 v[8:9], 4, v[10:11]
	v_ashrrev_i32_e32 v5, 31, v4
	v_add_nc_u32_e32 v10, s8, v4
	s_clause 0x1
	global_load_b128 v[84:87], v[0:1], off
	global_load_b128 v[80:83], v[6:7], off
	v_add_co_u32 v0, vcc_lo, v112, v2
	v_add_co_ci_u32_e32 v1, vcc_lo, v18, v3, vcc_lo
	v_lshlrev_b64 v[2:3], 4, v[4:5]
	v_ashrrev_i32_e32 v11, 31, v10
	v_add_nc_u32_e32 v4, s8, v10
	v_add_co_u32 v6, vcc_lo, v112, v8
	v_add_co_ci_u32_e32 v7, vcc_lo, v18, v9, vcc_lo
	s_delay_alu instid0(VALU_DEP_4) | instskip(NEXT) | instid1(VALU_DEP_4)
	v_lshlrev_b64 v[8:9], 4, v[10:11]
	v_ashrrev_i32_e32 v5, 31, v4
	v_add_nc_u32_e32 v10, s8, v4
	s_clause 0x1
	global_load_b128 v[72:75], v[0:1], off
	global_load_b128 v[68:71], v[6:7], off
	v_add_co_u32 v0, vcc_lo, v112, v2
	v_add_co_ci_u32_e32 v1, vcc_lo, v18, v3, vcc_lo
	v_lshlrev_b64 v[2:3], 4, v[4:5]
	v_ashrrev_i32_e32 v11, 31, v10
	v_add_nc_u32_e32 v4, s8, v10
	v_add_co_u32 v6, vcc_lo, v112, v8
	v_add_co_ci_u32_e32 v7, vcc_lo, v18, v9, vcc_lo
	s_delay_alu instid0(VALU_DEP_4) | instskip(NEXT) | instid1(VALU_DEP_4)
	;; [unrolled: 14-line block ×5, first 2 shown]
	v_lshlrev_b64 v[8:9], 4, v[10:11]
	v_add_nc_u32_e32 v10, s8, v4
	v_ashrrev_i32_e32 v5, 31, v4
	v_add_co_u32 v2, vcc_lo, v112, v2
	v_add_co_ci_u32_e32 v3, vcc_lo, v18, v3, vcc_lo
	s_delay_alu instid0(VALU_DEP_4) | instskip(SKIP_3) | instid1(VALU_DEP_4)
	v_add_nc_u32_e32 v12, s8, v10
	v_ashrrev_i32_e32 v11, 31, v10
	v_lshlrev_b64 v[4:5], 4, v[4:5]
	v_add_co_u32 v8, vcc_lo, v112, v8
	v_add_nc_u32_e32 v14, s8, v12
	v_ashrrev_i32_e32 v13, 31, v12
	v_lshlrev_b64 v[10:11], 4, v[10:11]
	v_add_co_ci_u32_e32 v9, vcc_lo, v18, v9, vcc_lo
	s_delay_alu instid0(VALU_DEP_4)
	v_add_nc_u32_e32 v16, s8, v14
	v_add_co_u32 v4, vcc_lo, v112, v4
	v_lshlrev_b64 v[12:13], 4, v[12:13]
	v_ashrrev_i32_e32 v15, 31, v14
	v_add_co_ci_u32_e32 v5, vcc_lo, v18, v5, vcc_lo
	v_add_co_u32 v10, vcc_lo, v112, v10
	v_ashrrev_i32_e32 v17, 31, v16
	v_add_co_ci_u32_e32 v11, vcc_lo, v18, v11, vcc_lo
	v_lshlrev_b64 v[14:15], 4, v[14:15]
	v_add_co_u32 v101, vcc_lo, v112, v12
	v_add_co_ci_u32_e32 v102, vcc_lo, v18, v13, vcc_lo
	v_lshlrev_b64 v[12:13], 4, v[16:17]
	s_delay_alu instid0(VALU_DEP_4)
	v_add_co_u32 v108, vcc_lo, v112, v14
	v_add_co_ci_u32_e32 v109, vcc_lo, v18, v15, vcc_lo
	scratch_store_b32 off, v18, off offset:28 ; 4-byte Folded Spill
	v_add_co_u32 v114, vcc_lo, v112, v12
	v_add_co_ci_u32_e32 v115, vcc_lo, v18, v13, vcc_lo
	s_clause 0x8
	global_load_b128 v[48:51], v[0:1], off
	global_load_b128 v[44:47], v[6:7], off
	;; [unrolled: 1-line block ×9, first 2 shown]
	v_mov_b32_e32 v108, 0
	ds_store_2addr_b64 v32, v[96:97], v[98:99] offset1:1
	s_waitcnt vmcnt(0) lgkmcnt(0)
	s_waitcnt_vscnt null, 0x0
	s_barrier
	buffer_gl0_inv
	ds_load_2addr_b64 v[100:103], v110 offset1:1
	s_cbranch_scc1 .LBB48_6
; %bb.4:
	v_add3_u32 v109, v255, 0, 16
	v_mov_b32_e32 v108, 0
	s_mov_b32 s6, 1
	s_set_inst_prefetch_distance 0x1
	.p2align	6
.LBB48_5:                               ; =>This Inner Loop Header: Depth=1
	ds_load_2addr_b64 v[116:119], v109 offset1:1
	s_waitcnt lgkmcnt(1)
	v_cmp_gt_f64_e32 vcc_lo, 0, v[100:101]
	v_xor_b32_e32 v32, 0x80000000, v101
	v_cmp_gt_f64_e64 s2, 0, v[102:103]
	v_xor_b32_e32 v33, 0x80000000, v103
	v_add_nc_u32_e32 v109, 16, v109
	s_waitcnt lgkmcnt(0)
	v_cmp_gt_f64_e64 s3, 0, v[116:117]
	v_mov_b32_e32 v124, v116
	v_dual_mov_b32 v126, v118 :: v_dual_cndmask_b32 v121, v101, v32
	v_xor_b32_e32 v32, 0x80000000, v117
	v_cndmask_b32_e64 v123, v103, v33, s2
	v_xor_b32_e32 v33, 0x80000000, v119
	v_cndmask_b32_e32 v120, v100, v100, vcc_lo
	v_cndmask_b32_e64 v122, v102, v102, s2
	s_delay_alu instid0(VALU_DEP_1) | instskip(SKIP_2) | instid1(VALU_DEP_1)
	v_add_f64 v[120:121], v[120:121], v[122:123]
	v_cndmask_b32_e64 v125, v117, v32, s3
	v_cmp_gt_f64_e64 s3, 0, v[118:119]
	v_cndmask_b32_e64 v127, v119, v33, s3
	s_delay_alu instid0(VALU_DEP_1) | instskip(NEXT) | instid1(VALU_DEP_1)
	v_add_f64 v[124:125], v[124:125], v[126:127]
	v_cmp_lt_f64_e32 vcc_lo, v[120:121], v[124:125]
	v_cndmask_b32_e32 v103, v103, v119, vcc_lo
	v_dual_cndmask_b32 v101, v101, v117 :: v_dual_cndmask_b32 v100, v100, v116
	v_cndmask_b32_e32 v102, v102, v118, vcc_lo
	v_cndmask_b32_e64 v108, v108, s6, vcc_lo
	s_add_i32 s6, s6, 1
	s_delay_alu instid0(SALU_CYCLE_1)
	s_cmp_eq_u32 s5, s6
	s_cbranch_scc0 .LBB48_5
.LBB48_6:
	s_set_inst_prefetch_distance 0x2
	s_waitcnt lgkmcnt(0)
	v_cmp_neq_f64_e32 vcc_lo, 0, v[100:101]
	v_cmp_neq_f64_e64 s2, 0, v[102:103]
	v_dual_mov_b32 v32, 1 :: v_dual_mov_b32 v117, 1
	scratch_store_b32 off, v32, off         ; 4-byte Folded Spill
	s_or_b32 s2, vcc_lo, s2
	s_delay_alu instid0(SALU_CYCLE_1)
	s_and_saveexec_b32 s3, s2
	s_cbranch_execz .LBB48_12
; %bb.7:
	v_cmp_gt_f64_e32 vcc_lo, 0, v[100:101]
	v_cmp_gt_f64_e64 s2, 0, v[102:103]
	v_xor_b32_e32 v32, 0x80000000, v101
	v_xor_b32_e32 v33, 0x80000000, v103
                                        ; implicit-def: $sgpr6
                                        ; implicit-def: $sgpr7
	s_delay_alu instid0(VALU_DEP_2) | instskip(NEXT) | instid1(VALU_DEP_2)
	v_cndmask_b32_e32 v117, v101, v32, vcc_lo
	v_cndmask_b32_e64 v119, v103, v33, s2
	v_cndmask_b32_e32 v116, v100, v100, vcc_lo
	v_cndmask_b32_e64 v118, v102, v102, s2
	s_mov_b32 s2, exec_lo
	s_delay_alu instid0(VALU_DEP_1)
	v_cmpx_ngt_f64_e32 v[116:117], v[118:119]
	s_xor_b32 s2, exec_lo, s2
	s_cbranch_execz .LBB48_9
; %bb.8:
	v_div_scale_f64 v[116:117], null, v[102:103], v[102:103], v[100:101]
	v_div_scale_f64 v[122:123], vcc_lo, v[100:101], v[102:103], v[100:101]
	s_mov_b32 s7, 2
	s_mov_b32 s6, 0
	s_delay_alu instid0(VALU_DEP_2) | instskip(SKIP_2) | instid1(VALU_DEP_1)
	v_rcp_f64_e32 v[118:119], v[116:117]
	s_waitcnt_depctr 0xfff
	v_fma_f64 v[120:121], -v[116:117], v[118:119], 1.0
	v_fma_f64 v[118:119], v[118:119], v[120:121], v[118:119]
	s_delay_alu instid0(VALU_DEP_1) | instskip(NEXT) | instid1(VALU_DEP_1)
	v_fma_f64 v[120:121], -v[116:117], v[118:119], 1.0
	v_fma_f64 v[118:119], v[118:119], v[120:121], v[118:119]
	s_delay_alu instid0(VALU_DEP_1) | instskip(NEXT) | instid1(VALU_DEP_1)
	v_mul_f64 v[120:121], v[122:123], v[118:119]
	v_fma_f64 v[116:117], -v[116:117], v[120:121], v[122:123]
	s_delay_alu instid0(VALU_DEP_1) | instskip(NEXT) | instid1(VALU_DEP_1)
	v_div_fmas_f64 v[116:117], v[116:117], v[118:119], v[120:121]
	v_div_fixup_f64 v[116:117], v[116:117], v[102:103], v[100:101]
	s_delay_alu instid0(VALU_DEP_1) | instskip(NEXT) | instid1(VALU_DEP_1)
	v_fma_f64 v[100:101], v[100:101], v[116:117], v[102:103]
	v_div_scale_f64 v[102:103], null, v[100:101], v[100:101], 1.0
	s_delay_alu instid0(VALU_DEP_1) | instskip(SKIP_2) | instid1(VALU_DEP_1)
	v_rcp_f64_e32 v[118:119], v[102:103]
	s_waitcnt_depctr 0xfff
	v_fma_f64 v[120:121], -v[102:103], v[118:119], 1.0
	v_fma_f64 v[118:119], v[118:119], v[120:121], v[118:119]
	s_delay_alu instid0(VALU_DEP_1) | instskip(NEXT) | instid1(VALU_DEP_1)
	v_fma_f64 v[120:121], -v[102:103], v[118:119], 1.0
	v_fma_f64 v[118:119], v[118:119], v[120:121], v[118:119]
	v_div_scale_f64 v[120:121], vcc_lo, 1.0, v[100:101], 1.0
	s_delay_alu instid0(VALU_DEP_1) | instskip(NEXT) | instid1(VALU_DEP_1)
	v_mul_f64 v[122:123], v[120:121], v[118:119]
	v_fma_f64 v[102:103], -v[102:103], v[122:123], v[120:121]
	s_delay_alu instid0(VALU_DEP_1) | instskip(NEXT) | instid1(VALU_DEP_1)
	v_div_fmas_f64 v[102:103], v[102:103], v[118:119], v[122:123]
	v_div_fixup_f64 v[102:103], v[102:103], v[100:101], 1.0
	s_delay_alu instid0(VALU_DEP_1)
	v_mul_f64 v[100:101], v[116:117], v[102:103]
	v_xor_b32_e32 v103, 0x80000000, v103
.LBB48_9:
	s_or_saveexec_b32 s2, s2
	v_dual_mov_b32 v117, s6 :: v_dual_mov_b32 v32, s7
	scratch_store_b32 off, v32, off         ; 4-byte Folded Spill
	s_xor_b32 exec_lo, exec_lo, s2
	s_cbranch_execz .LBB48_11
; %bb.10:
	v_div_scale_f64 v[116:117], null, v[100:101], v[100:101], v[102:103]
	v_div_scale_f64 v[122:123], vcc_lo, v[102:103], v[100:101], v[102:103]
	v_mov_b32_e32 v32, 2
	scratch_store_b32 off, v32, off         ; 4-byte Folded Spill
	v_rcp_f64_e32 v[118:119], v[116:117]
	s_waitcnt_depctr 0xfff
	v_fma_f64 v[120:121], -v[116:117], v[118:119], 1.0
	s_delay_alu instid0(VALU_DEP_1) | instskip(NEXT) | instid1(VALU_DEP_1)
	v_fma_f64 v[118:119], v[118:119], v[120:121], v[118:119]
	v_fma_f64 v[120:121], -v[116:117], v[118:119], 1.0
	s_delay_alu instid0(VALU_DEP_1) | instskip(NEXT) | instid1(VALU_DEP_1)
	v_fma_f64 v[118:119], v[118:119], v[120:121], v[118:119]
	v_mul_f64 v[120:121], v[122:123], v[118:119]
	s_delay_alu instid0(VALU_DEP_1) | instskip(NEXT) | instid1(VALU_DEP_1)
	v_fma_f64 v[116:117], -v[116:117], v[120:121], v[122:123]
	v_div_fmas_f64 v[116:117], v[116:117], v[118:119], v[120:121]
	s_delay_alu instid0(VALU_DEP_1) | instskip(NEXT) | instid1(VALU_DEP_1)
	v_div_fixup_f64 v[116:117], v[116:117], v[100:101], v[102:103]
	v_fma_f64 v[100:101], v[102:103], v[116:117], v[100:101]
	s_delay_alu instid0(VALU_DEP_1) | instskip(NEXT) | instid1(VALU_DEP_1)
	v_div_scale_f64 v[102:103], null, v[100:101], v[100:101], 1.0
	v_rcp_f64_e32 v[118:119], v[102:103]
	s_waitcnt_depctr 0xfff
	v_fma_f64 v[120:121], -v[102:103], v[118:119], 1.0
	s_delay_alu instid0(VALU_DEP_1) | instskip(NEXT) | instid1(VALU_DEP_1)
	v_fma_f64 v[118:119], v[118:119], v[120:121], v[118:119]
	v_fma_f64 v[120:121], -v[102:103], v[118:119], 1.0
	s_delay_alu instid0(VALU_DEP_1) | instskip(SKIP_1) | instid1(VALU_DEP_1)
	v_fma_f64 v[118:119], v[118:119], v[120:121], v[118:119]
	v_div_scale_f64 v[120:121], vcc_lo, 1.0, v[100:101], 1.0
	v_mul_f64 v[122:123], v[120:121], v[118:119]
	s_delay_alu instid0(VALU_DEP_1) | instskip(NEXT) | instid1(VALU_DEP_1)
	v_fma_f64 v[102:103], -v[102:103], v[122:123], v[120:121]
	v_div_fmas_f64 v[102:103], v[102:103], v[118:119], v[122:123]
	s_delay_alu instid0(VALU_DEP_1) | instskip(NEXT) | instid1(VALU_DEP_1)
	v_div_fixup_f64 v[100:101], v[102:103], v[100:101], 1.0
	v_mul_f64 v[102:103], v[116:117], -v[100:101]
	v_mov_b32_e32 v117, 0
.LBB48_11:
	s_or_b32 exec_lo, exec_lo, s2
.LBB48_12:
	s_delay_alu instid0(SALU_CYCLE_1) | instskip(NEXT) | instid1(SALU_CYCLE_1)
	s_or_b32 exec_lo, exec_lo, s3
	s_mov_b32 s2, exec_lo
	v_cmpx_ne_u32_e64 v247, v108
	s_xor_b32 s2, exec_lo, s2
	s_cbranch_execz .LBB48_18
; %bb.13:
	s_mov_b32 s3, exec_lo
	v_cmpx_eq_u32_e32 0, v247
	s_cbranch_execz .LBB48_17
; %bb.14:
	v_cmp_ne_u32_e32 vcc_lo, 0, v108
	s_xor_b32 s6, s4, -1
	s_delay_alu instid0(SALU_CYCLE_1) | instskip(NEXT) | instid1(SALU_CYCLE_1)
	s_and_b32 s7, s6, vcc_lo
	s_and_saveexec_b32 s6, s7
	s_cbranch_execz .LBB48_16
; %bb.15:
	v_ashrrev_i32_e32 v109, 31, v108
	s_delay_alu instid0(VALU_DEP_1) | instskip(NEXT) | instid1(VALU_DEP_1)
	v_lshlrev_b64 v[118:119], 2, v[108:109]
	v_add_co_u32 v118, vcc_lo, v78, v118
	s_delay_alu instid0(VALU_DEP_2)
	v_add_co_ci_u32_e32 v119, vcc_lo, v79, v119, vcc_lo
	s_clause 0x1
	flat_load_b32 v32, v[118:119]
	flat_load_b32 v33, v[78:79]
	s_waitcnt vmcnt(1) lgkmcnt(1)
	flat_store_b32 v[78:79], v32
	s_waitcnt vmcnt(0) lgkmcnt(1)
	flat_store_b32 v[118:119], v33
.LBB48_16:
	s_or_b32 exec_lo, exec_lo, s6
	v_mov_b32_e32 v247, v108
.LBB48_17:
	s_or_b32 exec_lo, exec_lo, s3
.LBB48_18:
	s_or_saveexec_b32 s2, s2
	s_delay_alu instid0(VALU_DEP_1)
	v_mov_b32_e32 v111, v247
	s_xor_b32 exec_lo, exec_lo, s2
	s_cbranch_execz .LBB48_20
; %bb.19:
	ds_store_2addr_b64 v110, v[235:236], v[237:238] offset0:2 offset1:3
	ds_store_2addr_b64 v110, v[243:244], v[245:246] offset0:4 offset1:5
	scratch_load_b128 v[32:35], off, off offset:4 ; 16-byte Folded Reload
	v_mov_b32_e32 v111, 0
	s_waitcnt vmcnt(0)
	ds_store_2addr_b64 v110, v[32:33], v[34:35] offset0:6 offset1:7
	ds_store_2addr_b64 v110, v[239:240], v[241:242] offset0:8 offset1:9
	;; [unrolled: 1-line block ×22, first 2 shown]
.LBB48_20:
	s_or_b32 exec_lo, exec_lo, s2
	s_delay_alu instid0(SALU_CYCLE_1)
	s_mov_b32 s2, exec_lo
	s_waitcnt lgkmcnt(0)
	s_waitcnt_vscnt null, 0x0
	s_barrier
	buffer_gl0_inv
	v_cmpx_lt_i32_e32 0, v111
	s_cbranch_execz .LBB48_22
; %bb.21:
	v_mul_f64 v[108:109], v[100:101], v[98:99]
	v_mul_f64 v[166:167], v[102:103], v[98:99]
	ds_load_2addr_b64 v[118:121], v110 offset0:2 offset1:3
	ds_load_2addr_b64 v[122:125], v110 offset0:4 offset1:5
	;; [unrolled: 1-line block ×12, first 2 shown]
	v_dual_mov_b32 v32, v235 :: v_dual_mov_b32 v33, v236
	v_dual_mov_b32 v34, v237 :: v_dual_mov_b32 v35, v238
	v_mov_b32_e32 v88, v255
	v_fma_f64 v[98:99], v[102:103], v[96:97], v[108:109]
	v_fma_f64 v[36:37], v[100:101], v[96:97], -v[166:167]
	ds_load_2addr_b64 v[100:103], v110 offset0:26 offset1:27
	ds_load_2addr_b64 v[166:169], v110 offset0:28 offset1:29
	;; [unrolled: 1-line block ×12, first 2 shown]
	s_waitcnt lgkmcnt(23)
	v_mul_f64 v[108:109], v[120:121], v[98:99]
	v_mul_f64 v[210:211], v[118:119], v[98:99]
	s_waitcnt lgkmcnt(22)
	v_mul_f64 v[212:213], v[124:125], v[98:99]
	s_waitcnt lgkmcnt(21)
	v_mul_f64 v[216:217], v[128:129], v[98:99]
	v_mul_f64 v[218:219], v[126:127], v[98:99]
	s_waitcnt lgkmcnt(20)
	v_mul_f64 v[222:223], v[130:131], v[98:99]
	s_waitcnt lgkmcnt(19)
	;; [unrolled: 2-line block ×3, first 2 shown]
	v_mul_f64 v[228:229], v[140:141], v[98:99]
	v_mul_f64 v[230:231], v[138:139], v[98:99]
	s_waitcnt lgkmcnt(17)
	v_mul_f64 v[234:235], v[142:143], v[98:99]
	s_waitcnt lgkmcnt(16)
	v_mul_f64 v[236:237], v[148:149], v[98:99]
	v_mul_f64 v[214:215], v[122:123], v[98:99]
	;; [unrolled: 1-line block ×6, first 2 shown]
	s_waitcnt lgkmcnt(11)
	v_mul_f64 v[104:105], v[102:103], v[98:99]
	v_mul_f64 v[106:107], v[100:101], v[98:99]
	;; [unrolled: 1-line block ×10, first 2 shown]
	v_fma_f64 v[108:109], v[118:119], v[36:37], -v[108:109]
	v_fma_f64 v[118:119], v[120:121], v[36:37], v[210:211]
	s_waitcnt lgkmcnt(10)
	v_mul_f64 v[120:121], v[168:169], v[98:99]
	v_mul_f64 v[210:211], v[166:167], v[98:99]
	v_fma_f64 v[122:123], v[122:123], v[36:37], -v[212:213]
	s_waitcnt lgkmcnt(9)
	v_mul_f64 v[212:213], v[172:173], v[98:99]
	v_fma_f64 v[126:127], v[126:127], v[36:37], -v[216:217]
	v_fma_f64 v[128:129], v[128:129], v[36:37], v[218:219]
	s_waitcnt lgkmcnt(8)
	v_mul_f64 v[216:217], v[176:177], v[98:99]
	v_mul_f64 v[218:219], v[174:175], v[98:99]
	v_fma_f64 v[132:133], v[132:133], v[36:37], v[222:223]
	s_waitcnt lgkmcnt(7)
	v_mul_f64 v[222:223], v[178:179], v[98:99]
	v_fma_f64 v[134:135], v[134:135], v[36:37], -v[224:225]
	s_waitcnt lgkmcnt(6)
	v_mul_f64 v[224:225], v[184:185], v[98:99]
	v_fma_f64 v[138:139], v[138:139], v[36:37], -v[228:229]
	v_fma_f64 v[140:141], v[140:141], v[36:37], v[230:231]
	s_waitcnt lgkmcnt(5)
	v_mul_f64 v[228:229], v[188:189], v[98:99]
	v_mul_f64 v[230:231], v[186:187], v[98:99]
	v_fma_f64 v[144:145], v[144:145], v[36:37], v[234:235]
	s_waitcnt lgkmcnt(4)
	v_mul_f64 v[234:235], v[190:191], v[98:99]
	v_fma_f64 v[146:147], v[146:147], v[36:37], -v[236:237]
	s_waitcnt lgkmcnt(3)
	v_mul_f64 v[236:237], v[196:197], v[98:99]
	v_fma_f64 v[124:125], v[124:125], v[36:37], v[214:215]
	v_mul_f64 v[214:215], v[170:171], v[98:99]
	v_fma_f64 v[130:131], v[130:131], v[36:37], -v[220:221]
	v_mul_f64 v[220:221], v[180:181], v[98:99]
	v_fma_f64 v[136:137], v[136:137], v[36:37], v[226:227]
	v_mul_f64 v[226:227], v[182:183], v[98:99]
	v_fma_f64 v[100:101], v[100:101], v[36:37], -v[104:105]
	v_fma_f64 v[102:103], v[102:103], v[36:37], v[106:107]
	v_fma_f64 v[164:165], v[164:165], v[36:37], v[254:255]
	v_fma_f64 v[142:143], v[142:143], v[36:37], -v[232:233]
	v_mul_f64 v[232:233], v[192:193], v[98:99]
	v_fma_f64 v[148:149], v[148:149], v[36:37], v[38:39]
	v_mul_f64 v[38:39], v[194:195], v[98:99]
	v_fma_f64 v[150:151], v[150:151], v[36:37], -v[76:77]
	v_fma_f64 v[152:153], v[152:153], v[36:37], v[96:97]
	s_waitcnt lgkmcnt(2)
	v_mul_f64 v[76:77], v[200:201], v[98:99]
	v_mul_f64 v[96:97], v[198:199], v[98:99]
	v_fma_f64 v[154:155], v[154:155], v[36:37], -v[113:114]
	v_fma_f64 v[104:105], v[166:167], v[36:37], -v[120:121]
	v_fma_f64 v[106:107], v[168:169], v[36:37], v[210:211]
	v_fma_f64 v[156:157], v[156:157], v[36:37], v[115:116]
	v_fma_f64 v[120:121], v[170:171], v[36:37], -v[212:213]
	s_waitcnt lgkmcnt(1)
	v_mul_f64 v[113:114], v[204:205], v[98:99]
	v_mul_f64 v[115:116], v[202:203], v[98:99]
	v_fma_f64 v[168:169], v[174:175], v[36:37], -v[216:217]
	v_fma_f64 v[170:171], v[176:177], v[36:37], v[218:219]
	v_fma_f64 v[158:159], v[158:159], v[36:37], -v[248:249]
	v_fma_f64 v[174:175], v[180:181], v[36:37], v[222:223]
	v_fma_f64 v[160:161], v[160:161], v[36:37], v[250:251]
	v_fma_f64 v[176:177], v[182:183], v[36:37], -v[224:225]
	s_waitcnt lgkmcnt(0)
	v_mul_f64 v[248:249], v[208:209], v[98:99]
	v_mul_f64 v[250:251], v[206:207], v[98:99]
	v_fma_f64 v[180:181], v[186:187], v[36:37], -v[228:229]
	v_fma_f64 v[182:183], v[188:189], v[36:37], v[230:231]
	v_fma_f64 v[162:163], v[162:163], v[36:37], -v[252:253]
	v_fma_f64 v[186:187], v[192:193], v[36:37], v[234:235]
	v_add_f64 v[243:244], v[243:244], -v[122:123]
	v_fma_f64 v[188:189], v[194:195], v[36:37], -v[236:237]
	v_dual_mov_b32 v238, v35 :: v_dual_mov_b32 v235, v32
	v_mov_b32_e32 v237, v34
	v_dual_mov_b32 v255, v88 :: v_dual_mov_b32 v236, v33
	scratch_load_b128 v[32:35], off, off offset:4 ; 16-byte Folded Reload
	v_fma_f64 v[166:167], v[172:173], v[36:37], v[214:215]
	v_fma_f64 v[172:173], v[178:179], v[36:37], -v[220:221]
	v_fma_f64 v[178:179], v[184:185], v[36:37], v[226:227]
	v_add_f64 v[235:236], v[235:236], -v[108:109]
	v_fma_f64 v[184:185], v[190:191], v[36:37], -v[232:233]
	v_add_f64 v[237:238], v[237:238], -v[118:119]
	v_fma_f64 v[190:191], v[196:197], v[36:37], v[38:39]
	v_add_f64 v[245:246], v[245:246], -v[124:125]
	v_add_f64 v[239:240], v[239:240], -v[130:131]
	v_fma_f64 v[192:193], v[198:199], v[36:37], -v[76:77]
	v_fma_f64 v[194:195], v[200:201], v[36:37], v[96:97]
	v_add_f64 v[241:242], v[241:242], -v[132:133]
	v_add_f64 v[92:93], v[92:93], -v[134:135]
	;; [unrolled: 1-line block ×5, first 2 shown]
	v_fma_f64 v[196:197], v[202:203], v[36:37], -v[113:114]
	v_fma_f64 v[198:199], v[204:205], v[36:37], v[115:116]
	v_add_f64 v[80:81], v[80:81], -v[142:143]
	v_add_f64 v[82:83], v[82:83], -v[144:145]
	;; [unrolled: 1-line block ×6, first 2 shown]
	v_fma_f64 v[200:201], v[206:207], v[36:37], -v[248:249]
	v_fma_f64 v[202:203], v[208:209], v[36:37], v[250:251]
	v_add_f64 v[60:61], v[60:61], -v[154:155]
	v_add_f64 v[62:63], v[62:63], -v[156:157]
	;; [unrolled: 1-line block ×26, first 2 shown]
	v_dual_mov_b32 v97, v37 :: v_dual_mov_b32 v96, v36
	v_add_f64 v[4:5], v[4:5], -v[196:197]
	v_add_f64 v[6:7], v[6:7], -v[198:199]
	v_add_f64 v[0:1], v[0:1], -v[200:201]
	v_add_f64 v[2:3], v[2:3], -v[202:203]
	s_waitcnt vmcnt(0)
	v_add_f64 v[32:33], v[32:33], -v[126:127]
	v_add_f64 v[34:35], v[34:35], -v[128:129]
	scratch_store_b128 off, v[32:35], off offset:4 ; 16-byte Folded Spill
.LBB48_22:
	s_or_b32 exec_lo, exec_lo, s2
	v_lshl_add_u32 v32, v111, 4, v110
	s_waitcnt_vscnt null, 0x0
	s_barrier
	buffer_gl0_inv
	v_mov_b32_e32 v108, 1
	ds_store_2addr_b64 v32, v[235:236], v[237:238] offset1:1
	s_waitcnt lgkmcnt(0)
	s_barrier
	buffer_gl0_inv
	ds_load_2addr_b64 v[100:103], v110 offset0:2 offset1:3
	s_cmp_lt_i32 s5, 3
	s_cbranch_scc1 .LBB48_25
; %bb.23:
	v_add3_u32 v109, v255, 0, 32
	v_mov_b32_e32 v108, 1
	s_mov_b32 s6, 2
	s_set_inst_prefetch_distance 0x1
	.p2align	6
.LBB48_24:                              ; =>This Inner Loop Header: Depth=1
	ds_load_2addr_b64 v[118:121], v109 offset1:1
	s_waitcnt lgkmcnt(1)
	v_cmp_gt_f64_e32 vcc_lo, 0, v[100:101]
	v_xor_b32_e32 v32, 0x80000000, v101
	v_cmp_gt_f64_e64 s2, 0, v[102:103]
	v_xor_b32_e32 v33, 0x80000000, v103
	v_add_nc_u32_e32 v109, 16, v109
	s_waitcnt lgkmcnt(0)
	v_cmp_gt_f64_e64 s3, 0, v[118:119]
	v_mov_b32_e32 v122, v118
	v_dual_mov_b32 v124, v120 :: v_dual_cndmask_b32 v105, v101, v32
	v_xor_b32_e32 v32, 0x80000000, v119
	v_cndmask_b32_e64 v107, v103, v33, s2
	v_xor_b32_e32 v33, 0x80000000, v121
	v_cndmask_b32_e32 v104, v100, v100, vcc_lo
	v_cndmask_b32_e64 v106, v102, v102, s2
	s_delay_alu instid0(VALU_DEP_1) | instskip(SKIP_2) | instid1(VALU_DEP_1)
	v_add_f64 v[104:105], v[104:105], v[106:107]
	v_cndmask_b32_e64 v123, v119, v32, s3
	v_cmp_gt_f64_e64 s3, 0, v[120:121]
	v_cndmask_b32_e64 v125, v121, v33, s3
	s_delay_alu instid0(VALU_DEP_1) | instskip(NEXT) | instid1(VALU_DEP_1)
	v_add_f64 v[122:123], v[122:123], v[124:125]
	v_cmp_lt_f64_e32 vcc_lo, v[104:105], v[122:123]
	v_cndmask_b32_e32 v103, v103, v121, vcc_lo
	v_dual_cndmask_b32 v101, v101, v119 :: v_dual_cndmask_b32 v100, v100, v118
	v_cndmask_b32_e32 v102, v102, v120, vcc_lo
	v_cndmask_b32_e64 v108, v108, s6, vcc_lo
	s_add_i32 s6, s6, 1
	s_delay_alu instid0(SALU_CYCLE_1)
	s_cmp_lg_u32 s5, s6
	s_cbranch_scc1 .LBB48_24
.LBB48_25:
	s_set_inst_prefetch_distance 0x2
	s_waitcnt lgkmcnt(0)
	v_cmp_neq_f64_e32 vcc_lo, 0, v[100:101]
	v_cmp_neq_f64_e64 s2, 0, v[102:103]
	s_delay_alu instid0(VALU_DEP_1) | instskip(NEXT) | instid1(SALU_CYCLE_1)
	s_or_b32 s2, vcc_lo, s2
	s_and_saveexec_b32 s3, s2
	s_cbranch_execz .LBB48_31
; %bb.26:
	v_cmp_gt_f64_e32 vcc_lo, 0, v[100:101]
	v_cmp_gt_f64_e64 s2, 0, v[102:103]
	v_xor_b32_e32 v32, 0x80000000, v101
	v_xor_b32_e32 v33, 0x80000000, v103
	s_delay_alu instid0(VALU_DEP_2) | instskip(NEXT) | instid1(VALU_DEP_2)
	v_cndmask_b32_e32 v105, v101, v32, vcc_lo
	v_cndmask_b32_e64 v107, v103, v33, s2
	v_cndmask_b32_e32 v104, v100, v100, vcc_lo
	v_cndmask_b32_e64 v106, v102, v102, s2
	s_mov_b32 s2, exec_lo
	s_delay_alu instid0(VALU_DEP_1)
	v_cmpx_ngt_f64_e32 v[104:105], v[106:107]
	s_xor_b32 s2, exec_lo, s2
	s_cbranch_execz .LBB48_28
; %bb.27:
	v_div_scale_f64 v[104:105], null, v[102:103], v[102:103], v[100:101]
	v_div_scale_f64 v[120:121], vcc_lo, v[100:101], v[102:103], v[100:101]
	s_delay_alu instid0(VALU_DEP_2) | instskip(SKIP_2) | instid1(VALU_DEP_1)
	v_rcp_f64_e32 v[106:107], v[104:105]
	s_waitcnt_depctr 0xfff
	v_fma_f64 v[118:119], -v[104:105], v[106:107], 1.0
	v_fma_f64 v[106:107], v[106:107], v[118:119], v[106:107]
	s_delay_alu instid0(VALU_DEP_1) | instskip(NEXT) | instid1(VALU_DEP_1)
	v_fma_f64 v[118:119], -v[104:105], v[106:107], 1.0
	v_fma_f64 v[106:107], v[106:107], v[118:119], v[106:107]
	s_delay_alu instid0(VALU_DEP_1) | instskip(NEXT) | instid1(VALU_DEP_1)
	v_mul_f64 v[118:119], v[120:121], v[106:107]
	v_fma_f64 v[104:105], -v[104:105], v[118:119], v[120:121]
	s_delay_alu instid0(VALU_DEP_1) | instskip(NEXT) | instid1(VALU_DEP_1)
	v_div_fmas_f64 v[104:105], v[104:105], v[106:107], v[118:119]
	v_div_fixup_f64 v[104:105], v[104:105], v[102:103], v[100:101]
	s_delay_alu instid0(VALU_DEP_1) | instskip(NEXT) | instid1(VALU_DEP_1)
	v_fma_f64 v[100:101], v[100:101], v[104:105], v[102:103]
	v_div_scale_f64 v[102:103], null, v[100:101], v[100:101], 1.0
	s_delay_alu instid0(VALU_DEP_1) | instskip(SKIP_2) | instid1(VALU_DEP_1)
	v_rcp_f64_e32 v[106:107], v[102:103]
	s_waitcnt_depctr 0xfff
	v_fma_f64 v[118:119], -v[102:103], v[106:107], 1.0
	v_fma_f64 v[106:107], v[106:107], v[118:119], v[106:107]
	s_delay_alu instid0(VALU_DEP_1) | instskip(NEXT) | instid1(VALU_DEP_1)
	v_fma_f64 v[118:119], -v[102:103], v[106:107], 1.0
	v_fma_f64 v[106:107], v[106:107], v[118:119], v[106:107]
	v_div_scale_f64 v[118:119], vcc_lo, 1.0, v[100:101], 1.0
	s_delay_alu instid0(VALU_DEP_1) | instskip(NEXT) | instid1(VALU_DEP_1)
	v_mul_f64 v[120:121], v[118:119], v[106:107]
	v_fma_f64 v[102:103], -v[102:103], v[120:121], v[118:119]
	s_delay_alu instid0(VALU_DEP_1) | instskip(NEXT) | instid1(VALU_DEP_1)
	v_div_fmas_f64 v[102:103], v[102:103], v[106:107], v[120:121]
	v_div_fixup_f64 v[102:103], v[102:103], v[100:101], 1.0
	s_delay_alu instid0(VALU_DEP_1)
	v_mul_f64 v[100:101], v[104:105], v[102:103]
	v_xor_b32_e32 v103, 0x80000000, v103
.LBB48_28:
	s_and_not1_saveexec_b32 s2, s2
	s_cbranch_execz .LBB48_30
; %bb.29:
	s_delay_alu instid0(VALU_DEP_1) | instskip(SKIP_1) | instid1(VALU_DEP_2)
	v_div_scale_f64 v[104:105], null, v[100:101], v[100:101], v[102:103]
	v_div_scale_f64 v[120:121], vcc_lo, v[102:103], v[100:101], v[102:103]
	v_rcp_f64_e32 v[106:107], v[104:105]
	s_waitcnt_depctr 0xfff
	v_fma_f64 v[118:119], -v[104:105], v[106:107], 1.0
	s_delay_alu instid0(VALU_DEP_1) | instskip(NEXT) | instid1(VALU_DEP_1)
	v_fma_f64 v[106:107], v[106:107], v[118:119], v[106:107]
	v_fma_f64 v[118:119], -v[104:105], v[106:107], 1.0
	s_delay_alu instid0(VALU_DEP_1) | instskip(NEXT) | instid1(VALU_DEP_1)
	v_fma_f64 v[106:107], v[106:107], v[118:119], v[106:107]
	v_mul_f64 v[118:119], v[120:121], v[106:107]
	s_delay_alu instid0(VALU_DEP_1) | instskip(NEXT) | instid1(VALU_DEP_1)
	v_fma_f64 v[104:105], -v[104:105], v[118:119], v[120:121]
	v_div_fmas_f64 v[104:105], v[104:105], v[106:107], v[118:119]
	s_delay_alu instid0(VALU_DEP_1) | instskip(NEXT) | instid1(VALU_DEP_1)
	v_div_fixup_f64 v[104:105], v[104:105], v[100:101], v[102:103]
	v_fma_f64 v[100:101], v[102:103], v[104:105], v[100:101]
	s_delay_alu instid0(VALU_DEP_1) | instskip(NEXT) | instid1(VALU_DEP_1)
	v_div_scale_f64 v[102:103], null, v[100:101], v[100:101], 1.0
	v_rcp_f64_e32 v[106:107], v[102:103]
	s_waitcnt_depctr 0xfff
	v_fma_f64 v[118:119], -v[102:103], v[106:107], 1.0
	s_delay_alu instid0(VALU_DEP_1) | instskip(NEXT) | instid1(VALU_DEP_1)
	v_fma_f64 v[106:107], v[106:107], v[118:119], v[106:107]
	v_fma_f64 v[118:119], -v[102:103], v[106:107], 1.0
	s_delay_alu instid0(VALU_DEP_1) | instskip(SKIP_1) | instid1(VALU_DEP_1)
	v_fma_f64 v[106:107], v[106:107], v[118:119], v[106:107]
	v_div_scale_f64 v[118:119], vcc_lo, 1.0, v[100:101], 1.0
	v_mul_f64 v[120:121], v[118:119], v[106:107]
	s_delay_alu instid0(VALU_DEP_1) | instskip(NEXT) | instid1(VALU_DEP_1)
	v_fma_f64 v[102:103], -v[102:103], v[120:121], v[118:119]
	v_div_fmas_f64 v[102:103], v[102:103], v[106:107], v[120:121]
	s_delay_alu instid0(VALU_DEP_1) | instskip(NEXT) | instid1(VALU_DEP_1)
	v_div_fixup_f64 v[100:101], v[102:103], v[100:101], 1.0
	v_mul_f64 v[102:103], v[104:105], -v[100:101]
.LBB48_30:
	s_or_b32 exec_lo, exec_lo, s2
	scratch_store_b32 off, v117, off        ; 4-byte Folded Spill
.LBB48_31:
	s_or_b32 exec_lo, exec_lo, s3
	s_delay_alu instid0(SALU_CYCLE_1)
	s_mov_b32 s2, exec_lo
	v_cmpx_ne_u32_e64 v111, v108
	s_xor_b32 s2, exec_lo, s2
	s_cbranch_execz .LBB48_37
; %bb.32:
	s_mov_b32 s3, exec_lo
	v_cmpx_eq_u32_e32 1, v111
	s_cbranch_execz .LBB48_36
; %bb.33:
	v_cmp_ne_u32_e32 vcc_lo, 1, v108
	s_xor_b32 s6, s4, -1
	s_delay_alu instid0(SALU_CYCLE_1) | instskip(NEXT) | instid1(SALU_CYCLE_1)
	s_and_b32 s7, s6, vcc_lo
	s_and_saveexec_b32 s6, s7
	s_cbranch_execz .LBB48_35
; %bb.34:
	v_ashrrev_i32_e32 v109, 31, v108
	s_delay_alu instid0(VALU_DEP_1) | instskip(NEXT) | instid1(VALU_DEP_1)
	v_lshlrev_b64 v[104:105], 2, v[108:109]
	v_add_co_u32 v104, vcc_lo, v78, v104
	s_delay_alu instid0(VALU_DEP_2)
	v_add_co_ci_u32_e32 v105, vcc_lo, v79, v105, vcc_lo
	s_clause 0x1
	flat_load_b32 v32, v[104:105]
	flat_load_b32 v33, v[78:79] offset:4
	s_waitcnt vmcnt(1) lgkmcnt(1)
	flat_store_b32 v[78:79], v32 offset:4
	s_waitcnt vmcnt(0) lgkmcnt(1)
	flat_store_b32 v[104:105], v33
.LBB48_35:
	s_or_b32 exec_lo, exec_lo, s6
	v_mov_b32_e32 v111, v108
	v_mov_b32_e32 v247, v108
.LBB48_36:
	s_or_b32 exec_lo, exec_lo, s3
.LBB48_37:
	s_and_not1_saveexec_b32 s2, s2
	s_cbranch_execz .LBB48_39
; %bb.38:
	scratch_load_b128 v[32:35], off, off offset:4 ; 16-byte Folded Reload
	v_mov_b32_e32 v111, 1
	ds_store_2addr_b64 v110, v[243:244], v[245:246] offset0:4 offset1:5
	s_waitcnt vmcnt(0)
	ds_store_2addr_b64 v110, v[32:33], v[34:35] offset0:6 offset1:7
	ds_store_2addr_b64 v110, v[239:240], v[241:242] offset0:8 offset1:9
	;; [unrolled: 1-line block ×22, first 2 shown]
.LBB48_39:
	s_or_b32 exec_lo, exec_lo, s2
	s_delay_alu instid0(SALU_CYCLE_1)
	s_mov_b32 s2, exec_lo
	s_waitcnt lgkmcnt(0)
	s_waitcnt_vscnt null, 0x0
	s_barrier
	buffer_gl0_inv
	v_cmpx_lt_i32_e32 1, v111
	s_cbranch_execz .LBB48_41
; %bb.40:
	v_mul_f64 v[104:105], v[100:101], v[237:238]
	v_mul_f64 v[106:107], v[102:103], v[237:238]
	ds_load_2addr_b64 v[117:120], v110 offset0:4 offset1:5
	ds_load_2addr_b64 v[121:124], v110 offset0:6 offset1:7
	;; [unrolled: 1-line block ×14, first 2 shown]
	v_fma_f64 v[237:238], v[102:103], v[235:236], v[104:105]
	v_fma_f64 v[32:33], v[100:101], v[235:236], -v[106:107]
	ds_load_2addr_b64 v[100:103], v110 offset0:32 offset1:33
	ds_load_2addr_b64 v[173:176], v110 offset0:34 offset1:35
	ds_load_2addr_b64 v[177:180], v110 offset0:36 offset1:37
	ds_load_2addr_b64 v[181:184], v110 offset0:38 offset1:39
	ds_load_2addr_b64 v[185:188], v110 offset0:40 offset1:41
	ds_load_2addr_b64 v[189:192], v110 offset0:42 offset1:43
	ds_load_2addr_b64 v[193:196], v110 offset0:44 offset1:45
	ds_load_2addr_b64 v[197:200], v110 offset0:46 offset1:47
	ds_load_2addr_b64 v[201:204], v110 offset0:48 offset1:49
	v_dual_mov_b32 v34, v237 :: v_dual_mov_b32 v35, v238
	s_waitcnt lgkmcnt(22)
	v_mul_f64 v[104:105], v[119:120], v[237:238]
	v_mul_f64 v[106:107], v[117:118], v[237:238]
	s_waitcnt lgkmcnt(21)
	v_mul_f64 v[108:109], v[123:124], v[237:238]
	v_mul_f64 v[205:206], v[121:122], v[237:238]
	;; [unrolled: 3-line block ×9, first 2 shown]
	s_waitcnt lgkmcnt(13)
	v_mul_f64 v[237:238], v[153:154], v[34:35]
	s_waitcnt lgkmcnt(11)
	v_mul_f64 v[88:89], v[161:162], v[34:35]
	v_mov_b32_e32 v90, v247
	s_waitcnt lgkmcnt(10)
	v_mul_f64 v[247:248], v[167:168], v[34:35]
	v_mul_f64 v[235:236], v[155:156], v[34:35]
	;; [unrolled: 1-line block ×6, first 2 shown]
	s_waitcnt lgkmcnt(9)
	v_mul_f64 v[251:252], v[171:172], v[34:35]
	v_mul_f64 v[253:254], v[169:170], v[34:35]
	s_waitcnt lgkmcnt(8)
	v_mul_f64 v[36:37], v[102:103], v[34:35]
	v_mul_f64 v[38:39], v[100:101], v[34:35]
	v_fma_f64 v[104:105], v[117:118], v[32:33], -v[104:105]
	v_fma_f64 v[106:107], v[119:120], v[32:33], v[106:107]
	s_waitcnt lgkmcnt(7)
	v_mul_f64 v[117:118], v[175:176], v[34:35]
	v_mul_f64 v[119:120], v[173:174], v[34:35]
	v_fma_f64 v[108:109], v[121:122], v[32:33], -v[108:109]
	v_fma_f64 v[121:122], v[123:124], v[32:33], v[205:206]
	;; [unrolled: 5-line block ×5, first 2 shown]
	v_fma_f64 v[155:156], v[155:156], v[32:33], v[237:238]
	v_dual_mov_b32 v238, v35 :: v_dual_mov_b32 v237, v34
	v_fma_f64 v[163:164], v[163:164], v[32:33], v[88:89]
	v_fma_f64 v[165:166], v[165:166], v[32:33], -v[247:248]
	v_mov_b32_e32 v247, v90
	scratch_load_b128 v[88:91], off, off offset:4 ; 16-byte Folded Reload
	s_waitcnt lgkmcnt(3)
	v_mul_f64 v[215:216], v[191:192], v[34:35]
	v_mul_f64 v[217:218], v[189:190], v[34:35]
	v_fma_f64 v[137:138], v[137:138], v[32:33], -v[219:220]
	v_fma_f64 v[139:140], v[139:140], v[32:33], v[221:222]
	s_waitcnt lgkmcnt(2)
	v_mul_f64 v[219:220], v[195:196], v[34:35]
	v_mul_f64 v[221:222], v[193:194], v[34:35]
	v_fma_f64 v[141:142], v[141:142], v[32:33], -v[223:224]
	v_fma_f64 v[143:144], v[143:144], v[32:33], v[225:226]
	;; [unrolled: 5-line block ×4, first 2 shown]
	v_fma_f64 v[153:154], v[153:154], v[32:33], -v[235:236]
	v_fma_f64 v[157:158], v[157:158], v[32:33], -v[76:77]
	v_fma_f64 v[159:160], v[159:160], v[32:33], v[113:114]
	v_fma_f64 v[161:162], v[161:162], v[32:33], -v[115:116]
	v_fma_f64 v[167:168], v[167:168], v[32:33], v[249:250]
	;; [unrolled: 2-line block ×8, first 2 shown]
	v_add_f64 v[243:244], v[243:244], -v[104:105]
	v_add_f64 v[245:246], v[245:246], -v[106:107]
	;; [unrolled: 1-line block ×5, first 2 shown]
	v_fma_f64 v[179:180], v[189:190], v[32:33], -v[215:216]
	v_fma_f64 v[181:182], v[191:192], v[32:33], v[217:218]
	v_add_f64 v[94:95], v[94:95], -v[131:132]
	v_add_f64 v[84:85], v[84:85], -v[133:134]
	v_fma_f64 v[183:184], v[193:194], v[32:33], -v[219:220]
	v_fma_f64 v[185:186], v[195:196], v[32:33], v[221:222]
	v_add_f64 v[86:87], v[86:87], -v[135:136]
	v_add_f64 v[80:81], v[80:81], -v[137:138]
	;; [unrolled: 4-line block ×4, first 2 shown]
	v_add_f64 v[70:71], v[70:71], -v[147:148]
	v_add_f64 v[60:61], v[60:61], -v[149:150]
	;; [unrolled: 1-line block ×25, first 2 shown]
	v_dual_mov_b32 v236, v33 :: v_dual_mov_b32 v235, v32
	v_add_f64 v[8:9], v[8:9], -v[183:184]
	v_add_f64 v[10:11], v[10:11], -v[185:186]
	v_add_f64 v[4:5], v[4:5], -v[187:188]
	v_add_f64 v[6:7], v[6:7], -v[189:190]
	v_add_f64 v[0:1], v[0:1], -v[191:192]
	v_add_f64 v[2:3], v[2:3], -v[193:194]
	s_waitcnt vmcnt(0)
	v_add_f64 v[88:89], v[88:89], -v[108:109]
	v_add_f64 v[90:91], v[90:91], -v[121:122]
	scratch_store_b128 off, v[88:91], off offset:4 ; 16-byte Folded Spill
.LBB48_41:
	s_or_b32 exec_lo, exec_lo, s2
	v_lshl_add_u32 v32, v111, 4, v110
	s_waitcnt_vscnt null, 0x0
	s_barrier
	buffer_gl0_inv
	v_mov_b32_e32 v108, 2
	ds_store_2addr_b64 v32, v[243:244], v[245:246] offset1:1
	s_waitcnt lgkmcnt(0)
	s_barrier
	buffer_gl0_inv
	ds_load_2addr_b64 v[100:103], v110 offset0:4 offset1:5
	s_cmp_lt_i32 s5, 4
	s_cbranch_scc1 .LBB48_44
; %bb.42:
	v_add3_u32 v109, v255, 0, 48
	v_mov_b32_e32 v108, 2
	s_mov_b32 s6, 3
	s_set_inst_prefetch_distance 0x1
	.p2align	6
.LBB48_43:                              ; =>This Inner Loop Header: Depth=1
	ds_load_2addr_b64 v[117:120], v109 offset1:1
	s_waitcnt lgkmcnt(1)
	v_cmp_gt_f64_e32 vcc_lo, 0, v[100:101]
	v_xor_b32_e32 v32, 0x80000000, v101
	v_cmp_gt_f64_e64 s2, 0, v[102:103]
	v_xor_b32_e32 v33, 0x80000000, v103
	v_add_nc_u32_e32 v109, 16, v109
	s_waitcnt lgkmcnt(0)
	v_cmp_gt_f64_e64 s3, 0, v[117:118]
	v_mov_b32_e32 v104, v117
	v_dual_mov_b32 v106, v119 :: v_dual_cndmask_b32 v37, v101, v32
	v_xor_b32_e32 v32, 0x80000000, v118
	v_cndmask_b32_e64 v39, v103, v33, s2
	v_xor_b32_e32 v33, 0x80000000, v120
	v_cndmask_b32_e32 v36, v100, v100, vcc_lo
	v_cndmask_b32_e64 v38, v102, v102, s2
	s_delay_alu instid0(VALU_DEP_1) | instskip(SKIP_2) | instid1(VALU_DEP_1)
	v_add_f64 v[36:37], v[36:37], v[38:39]
	v_cndmask_b32_e64 v105, v118, v32, s3
	v_cmp_gt_f64_e64 s3, 0, v[119:120]
	v_cndmask_b32_e64 v107, v120, v33, s3
	s_delay_alu instid0(VALU_DEP_1) | instskip(NEXT) | instid1(VALU_DEP_1)
	v_add_f64 v[104:105], v[104:105], v[106:107]
	v_cmp_lt_f64_e32 vcc_lo, v[36:37], v[104:105]
	v_dual_cndmask_b32 v101, v101, v118 :: v_dual_cndmask_b32 v100, v100, v117
	v_dual_cndmask_b32 v103, v103, v120 :: v_dual_cndmask_b32 v102, v102, v119
	v_cndmask_b32_e64 v108, v108, s6, vcc_lo
	s_add_i32 s6, s6, 1
	s_delay_alu instid0(SALU_CYCLE_1)
	s_cmp_lg_u32 s5, s6
	s_cbranch_scc1 .LBB48_43
.LBB48_44:
	s_set_inst_prefetch_distance 0x2
	s_waitcnt lgkmcnt(0)
	v_cmp_eq_f64_e32 vcc_lo, 0, v[100:101]
	v_cmp_eq_f64_e64 s2, 0, v[102:103]
	s_delay_alu instid0(VALU_DEP_1) | instskip(NEXT) | instid1(SALU_CYCLE_1)
	s_and_b32 s2, vcc_lo, s2
	s_and_saveexec_b32 s3, s2
	s_delay_alu instid0(SALU_CYCLE_1)
	s_xor_b32 s2, exec_lo, s3
	s_cbranch_execz .LBB48_46
; %bb.45:
	scratch_load_b32 v32, off, off          ; 4-byte Folded Reload
	s_waitcnt vmcnt(0)
	v_cmp_ne_u32_e32 vcc_lo, 0, v32
	v_cndmask_b32_e32 v32, 3, v32, vcc_lo
	scratch_store_b32 off, v32, off         ; 4-byte Folded Spill
.LBB48_46:
	s_and_not1_saveexec_b32 s3, s2
	s_cbranch_execz .LBB48_52
; %bb.47:
	v_cmp_gt_f64_e32 vcc_lo, 0, v[100:101]
	v_cmp_gt_f64_e64 s2, 0, v[102:103]
	v_xor_b32_e32 v32, 0x80000000, v101
	v_xor_b32_e32 v33, 0x80000000, v103
	s_delay_alu instid0(VALU_DEP_2) | instskip(NEXT) | instid1(VALU_DEP_2)
	v_cndmask_b32_e32 v37, v101, v32, vcc_lo
	v_cndmask_b32_e64 v39, v103, v33, s2
	v_cndmask_b32_e32 v36, v100, v100, vcc_lo
	v_cndmask_b32_e64 v38, v102, v102, s2
	s_mov_b32 s2, exec_lo
	s_delay_alu instid0(VALU_DEP_1)
	v_cmpx_ngt_f64_e32 v[36:37], v[38:39]
	s_xor_b32 s2, exec_lo, s2
	s_cbranch_execz .LBB48_49
; %bb.48:
	v_div_scale_f64 v[36:37], null, v[102:103], v[102:103], v[100:101]
	v_div_scale_f64 v[106:107], vcc_lo, v[100:101], v[102:103], v[100:101]
	s_delay_alu instid0(VALU_DEP_2) | instskip(SKIP_2) | instid1(VALU_DEP_1)
	v_rcp_f64_e32 v[38:39], v[36:37]
	s_waitcnt_depctr 0xfff
	v_fma_f64 v[104:105], -v[36:37], v[38:39], 1.0
	v_fma_f64 v[38:39], v[38:39], v[104:105], v[38:39]
	s_delay_alu instid0(VALU_DEP_1) | instskip(NEXT) | instid1(VALU_DEP_1)
	v_fma_f64 v[104:105], -v[36:37], v[38:39], 1.0
	v_fma_f64 v[38:39], v[38:39], v[104:105], v[38:39]
	s_delay_alu instid0(VALU_DEP_1) | instskip(NEXT) | instid1(VALU_DEP_1)
	v_mul_f64 v[104:105], v[106:107], v[38:39]
	v_fma_f64 v[36:37], -v[36:37], v[104:105], v[106:107]
	s_delay_alu instid0(VALU_DEP_1) | instskip(NEXT) | instid1(VALU_DEP_1)
	v_div_fmas_f64 v[36:37], v[36:37], v[38:39], v[104:105]
	v_div_fixup_f64 v[36:37], v[36:37], v[102:103], v[100:101]
	s_delay_alu instid0(VALU_DEP_1) | instskip(NEXT) | instid1(VALU_DEP_1)
	v_fma_f64 v[38:39], v[100:101], v[36:37], v[102:103]
	v_div_scale_f64 v[100:101], null, v[38:39], v[38:39], 1.0
	s_delay_alu instid0(VALU_DEP_1) | instskip(SKIP_2) | instid1(VALU_DEP_1)
	v_rcp_f64_e32 v[102:103], v[100:101]
	s_waitcnt_depctr 0xfff
	v_fma_f64 v[104:105], -v[100:101], v[102:103], 1.0
	v_fma_f64 v[102:103], v[102:103], v[104:105], v[102:103]
	s_delay_alu instid0(VALU_DEP_1) | instskip(NEXT) | instid1(VALU_DEP_1)
	v_fma_f64 v[104:105], -v[100:101], v[102:103], 1.0
	v_fma_f64 v[102:103], v[102:103], v[104:105], v[102:103]
	v_div_scale_f64 v[104:105], vcc_lo, 1.0, v[38:39], 1.0
	s_delay_alu instid0(VALU_DEP_1) | instskip(NEXT) | instid1(VALU_DEP_1)
	v_mul_f64 v[106:107], v[104:105], v[102:103]
	v_fma_f64 v[100:101], -v[100:101], v[106:107], v[104:105]
	s_delay_alu instid0(VALU_DEP_1) | instskip(NEXT) | instid1(VALU_DEP_1)
	v_div_fmas_f64 v[100:101], v[100:101], v[102:103], v[106:107]
	v_div_fixup_f64 v[102:103], v[100:101], v[38:39], 1.0
	s_delay_alu instid0(VALU_DEP_1)
	v_mul_f64 v[100:101], v[36:37], v[102:103]
	v_xor_b32_e32 v103, 0x80000000, v103
.LBB48_49:
	s_and_not1_saveexec_b32 s2, s2
	s_cbranch_execz .LBB48_51
; %bb.50:
	s_delay_alu instid0(VALU_DEP_1) | instskip(SKIP_1) | instid1(VALU_DEP_2)
	v_div_scale_f64 v[36:37], null, v[100:101], v[100:101], v[102:103]
	v_div_scale_f64 v[106:107], vcc_lo, v[102:103], v[100:101], v[102:103]
	v_rcp_f64_e32 v[38:39], v[36:37]
	s_waitcnt_depctr 0xfff
	v_fma_f64 v[104:105], -v[36:37], v[38:39], 1.0
	s_delay_alu instid0(VALU_DEP_1) | instskip(NEXT) | instid1(VALU_DEP_1)
	v_fma_f64 v[38:39], v[38:39], v[104:105], v[38:39]
	v_fma_f64 v[104:105], -v[36:37], v[38:39], 1.0
	s_delay_alu instid0(VALU_DEP_1) | instskip(NEXT) | instid1(VALU_DEP_1)
	v_fma_f64 v[38:39], v[38:39], v[104:105], v[38:39]
	v_mul_f64 v[104:105], v[106:107], v[38:39]
	s_delay_alu instid0(VALU_DEP_1) | instskip(NEXT) | instid1(VALU_DEP_1)
	v_fma_f64 v[36:37], -v[36:37], v[104:105], v[106:107]
	v_div_fmas_f64 v[36:37], v[36:37], v[38:39], v[104:105]
	s_delay_alu instid0(VALU_DEP_1) | instskip(NEXT) | instid1(VALU_DEP_1)
	v_div_fixup_f64 v[36:37], v[36:37], v[100:101], v[102:103]
	v_fma_f64 v[38:39], v[102:103], v[36:37], v[100:101]
	s_delay_alu instid0(VALU_DEP_1) | instskip(NEXT) | instid1(VALU_DEP_1)
	v_div_scale_f64 v[100:101], null, v[38:39], v[38:39], 1.0
	v_rcp_f64_e32 v[102:103], v[100:101]
	s_waitcnt_depctr 0xfff
	v_fma_f64 v[104:105], -v[100:101], v[102:103], 1.0
	s_delay_alu instid0(VALU_DEP_1) | instskip(NEXT) | instid1(VALU_DEP_1)
	v_fma_f64 v[102:103], v[102:103], v[104:105], v[102:103]
	v_fma_f64 v[104:105], -v[100:101], v[102:103], 1.0
	s_delay_alu instid0(VALU_DEP_1) | instskip(SKIP_1) | instid1(VALU_DEP_1)
	v_fma_f64 v[102:103], v[102:103], v[104:105], v[102:103]
	v_div_scale_f64 v[104:105], vcc_lo, 1.0, v[38:39], 1.0
	v_mul_f64 v[106:107], v[104:105], v[102:103]
	s_delay_alu instid0(VALU_DEP_1) | instskip(NEXT) | instid1(VALU_DEP_1)
	v_fma_f64 v[100:101], -v[100:101], v[106:107], v[104:105]
	v_div_fmas_f64 v[100:101], v[100:101], v[102:103], v[106:107]
	s_delay_alu instid0(VALU_DEP_1) | instskip(NEXT) | instid1(VALU_DEP_1)
	v_div_fixup_f64 v[100:101], v[100:101], v[38:39], 1.0
	v_mul_f64 v[102:103], v[36:37], -v[100:101]
.LBB48_51:
	s_or_b32 exec_lo, exec_lo, s2
.LBB48_52:
	s_delay_alu instid0(SALU_CYCLE_1) | instskip(NEXT) | instid1(SALU_CYCLE_1)
	s_or_b32 exec_lo, exec_lo, s3
	s_mov_b32 s2, exec_lo
	v_cmpx_ne_u32_e64 v111, v108
	s_xor_b32 s2, exec_lo, s2
	s_cbranch_execz .LBB48_58
; %bb.53:
	s_mov_b32 s3, exec_lo
	v_cmpx_eq_u32_e32 2, v111
	s_cbranch_execz .LBB48_57
; %bb.54:
	v_cmp_ne_u32_e32 vcc_lo, 2, v108
	s_xor_b32 s6, s4, -1
	s_delay_alu instid0(SALU_CYCLE_1) | instskip(NEXT) | instid1(SALU_CYCLE_1)
	s_and_b32 s7, s6, vcc_lo
	s_and_saveexec_b32 s6, s7
	s_cbranch_execz .LBB48_56
; %bb.55:
	v_ashrrev_i32_e32 v109, 31, v108
	s_delay_alu instid0(VALU_DEP_1) | instskip(NEXT) | instid1(VALU_DEP_1)
	v_lshlrev_b64 v[36:37], 2, v[108:109]
	v_add_co_u32 v36, vcc_lo, v78, v36
	s_delay_alu instid0(VALU_DEP_2)
	v_add_co_ci_u32_e32 v37, vcc_lo, v79, v37, vcc_lo
	s_clause 0x1
	flat_load_b32 v32, v[36:37]
	flat_load_b32 v33, v[78:79] offset:8
	s_waitcnt vmcnt(1) lgkmcnt(1)
	flat_store_b32 v[78:79], v32 offset:8
	s_waitcnt vmcnt(0) lgkmcnt(1)
	flat_store_b32 v[36:37], v33
.LBB48_56:
	s_or_b32 exec_lo, exec_lo, s6
	v_mov_b32_e32 v111, v108
	v_mov_b32_e32 v247, v108
.LBB48_57:
	s_or_b32 exec_lo, exec_lo, s3
.LBB48_58:
	s_and_not1_saveexec_b32 s2, s2
	s_cbranch_execz .LBB48_60
; %bb.59:
	scratch_load_b128 v[32:35], off, off offset:4 ; 16-byte Folded Reload
	v_mov_b32_e32 v111, 2
	s_waitcnt vmcnt(0)
	ds_store_2addr_b64 v110, v[32:33], v[34:35] offset0:6 offset1:7
	ds_store_2addr_b64 v110, v[239:240], v[241:242] offset0:8 offset1:9
	;; [unrolled: 1-line block ×22, first 2 shown]
.LBB48_60:
	s_or_b32 exec_lo, exec_lo, s2
	s_delay_alu instid0(SALU_CYCLE_1)
	s_mov_b32 s2, exec_lo
	s_waitcnt lgkmcnt(0)
	s_waitcnt_vscnt null, 0x0
	s_barrier
	buffer_gl0_inv
	v_cmpx_lt_i32_e32 2, v111
	s_cbranch_execz .LBB48_62
; %bb.61:
	ds_load_2addr_b64 v[117:120], v110 offset0:6 offset1:7
	ds_load_2addr_b64 v[121:124], v110 offset0:8 offset1:9
	;; [unrolled: 1-line block ×18, first 2 shown]
	scratch_load_b128 v[88:91], off, off offset:4 ; 16-byte Folded Reload
	v_mul_f64 v[36:37], v[100:101], v[245:246]
	v_mul_f64 v[38:39], v[102:103], v[245:246]
	s_delay_alu instid0(VALU_DEP_2) | instskip(NEXT) | instid1(VALU_DEP_2)
	v_fma_f64 v[245:246], v[102:103], v[243:244], v[36:37]
	v_fma_f64 v[36:37], v[100:101], v[243:244], -v[38:39]
	ds_load_2addr_b64 v[100:103], v110 offset0:42 offset1:43
	ds_load_2addr_b64 v[189:192], v110 offset0:44 offset1:45
	;; [unrolled: 1-line block ×4, first 2 shown]
	s_waitcnt lgkmcnt(21)
	v_mul_f64 v[38:39], v[119:120], v[245:246]
	v_mul_f64 v[113:114], v[117:118], v[245:246]
	s_waitcnt lgkmcnt(16)
	v_mul_f64 v[32:33], v[139:140], v[245:246]
	v_mul_f64 v[104:105], v[123:124], v[245:246]
	;; [unrolled: 1-line block ×9, first 2 shown]
	s_waitcnt lgkmcnt(14)
	v_mul_f64 v[219:220], v[147:148], v[245:246]
	v_mul_f64 v[221:222], v[145:146], v[245:246]
	s_waitcnt lgkmcnt(13)
	v_mul_f64 v[223:224], v[151:152], v[245:246]
	v_mul_f64 v[225:226], v[149:150], v[245:246]
	;; [unrolled: 3-line block ×4, first 2 shown]
	s_waitcnt lgkmcnt(10)
	v_mul_f64 v[213:214], v[161:162], v[245:246]
	s_waitcnt lgkmcnt(9)
	v_mul_f64 v[215:216], v[167:168], v[245:246]
	v_mul_f64 v[211:212], v[165:166], v[245:246]
	s_waitcnt lgkmcnt(8)
	v_mul_f64 v[115:116], v[171:172], v[245:246]
	;; [unrolled: 3-line block ×5, first 2 shown]
	v_fma_f64 v[38:39], v[117:118], v[36:37], -v[38:39]
	v_fma_f64 v[113:114], v[119:120], v[36:37], v[113:114]
	s_waitcnt lgkmcnt(4)
	v_mul_f64 v[117:118], v[187:188], v[245:246]
	v_mul_f64 v[119:120], v[185:186], v[245:246]
	v_fma_f64 v[104:105], v[121:122], v[36:37], -v[104:105]
	v_fma_f64 v[106:107], v[123:124], v[36:37], v[106:107]
	s_waitcnt lgkmcnt(3)
	v_mul_f64 v[121:122], v[102:103], v[245:246]
	v_mul_f64 v[123:124], v[100:101], v[245:246]
	;; [unrolled: 5-line block ×5, first 2 shown]
	v_fma_f64 v[145:146], v[145:146], v[36:37], -v[219:220]
	v_fma_f64 v[147:148], v[147:148], v[36:37], v[221:222]
	v_fma_f64 v[149:150], v[149:150], v[36:37], -v[223:224]
	v_fma_f64 v[151:152], v[151:152], v[36:37], v[225:226]
	;; [unrolled: 2-line block ×8, first 2 shown]
	v_fma_f64 v[34:35], v[183:184], v[36:37], v[34:35]
	v_dual_mov_b32 v244, v37 :: v_dual_mov_b32 v243, v36
	v_fma_f64 v[117:118], v[185:186], v[36:37], -v[117:118]
	v_fma_f64 v[119:120], v[187:188], v[36:37], v[119:120]
	v_add_f64 v[239:240], v[239:240], -v[104:105]
	v_add_f64 v[241:242], v[241:242], -v[106:107]
	v_fma_f64 v[100:101], v[100:101], v[36:37], -v[121:122]
	v_fma_f64 v[102:103], v[102:103], v[36:37], v[123:124]
	v_add_f64 v[92:93], v[92:93], -v[108:109]
	v_add_f64 v[94:95], v[94:95], -v[125:126]
	;; [unrolled: 4-line block ×3, first 2 shown]
	v_fma_f64 v[127:128], v[193:194], v[36:37], -v[203:204]
	v_add_f64 v[80:81], v[80:81], -v[133:134]
	v_add_f64 v[82:83], v[82:83], -v[135:136]
	v_fma_f64 v[185:186], v[199:200], v[36:37], v[209:210]
	v_add_f64 v[60:61], v[60:61], -v[145:146]
	v_add_f64 v[62:63], v[62:63], -v[147:148]
	v_add_f64 v[56:57], v[56:57], -v[149:150]
	v_add_f64 v[58:59], v[58:59], -v[151:152]
	v_add_f64 v[64:65], v[64:65], -v[153:154]
	v_add_f64 v[66:67], v[66:67], -v[155:156]
	v_add_f64 v[40:41], v[40:41], -v[157:158]
	v_add_f64 v[42:43], v[42:43], -v[159:160]
	v_add_f64 v[28:29], v[28:29], -v[165:166]
	v_add_f64 v[30:31], v[30:31], -v[167:168]
	v_add_f64 v[48:49], v[48:49], -v[169:170]
	v_add_f64 v[50:51], v[50:51], -v[171:172]
	v_add_f64 v[44:45], v[44:45], -v[173:174]
	v_add_f64 v[46:47], v[46:47], -v[175:176]
	v_add_f64 v[24:25], v[24:25], -v[177:178]
	v_add_f64 v[26:27], v[26:27], -v[179:180]
	v_add_f64 v[22:23], v[22:23], -v[34:35]
	v_add_f64 v[16:17], v[16:17], -v[117:118]
	v_add_f64 v[18:19], v[18:19], -v[119:120]
	v_add_f64 v[12:13], v[12:13], -v[100:101]
	v_add_f64 v[14:15], v[14:15], -v[102:103]
	v_add_f64 v[8:9], v[8:9], -v[121:122]
	v_add_f64 v[10:11], v[10:11], -v[123:124]
	v_add_f64 v[4:5], v[4:5], -v[127:128]
	v_add_f64 v[2:3], v[2:3], -v[185:186]
	s_waitcnt vmcnt(0)
	v_add_f64 v[88:89], v[88:89], -v[38:39]
	v_add_f64 v[90:91], v[90:91], -v[113:114]
	scratch_store_b64 off, v[32:33], off offset:32 ; 8-byte Folded Spill
	scratch_load_b64 v[217:218], off, off offset:32 ; 8-byte Folded Reload
	v_mul_f64 v[32:33], v[137:138], v[245:246]
	s_clause 0x1
	scratch_store_b128 off, v[88:91], off offset:4
	scratch_store_b64 off, v[32:33], off offset:40
	v_mul_f64 v[32:33], v[143:144], v[245:246]
	scratch_store_b64 off, v[32:33], off offset:48 ; 8-byte Folded Spill
	v_mul_f64 v[32:33], v[141:142], v[245:246]
	scratch_store_b64 off, v[32:33], off offset:56 ; 8-byte Folded Spill
	v_mul_f64 v[32:33], v[163:164], v[245:246]
	v_fma_f64 v[163:164], v[163:164], v[36:37], v[213:214]
	scratch_store_b64 off, v[32:33], off offset:64 ; 8-byte Folded Spill
	v_mul_f64 v[32:33], v[183:184], v[245:246]
	v_fma_f64 v[183:184], v[197:198], v[36:37], -v[207:208]
	v_add_f64 v[54:55], v[54:55], -v[163:164]
	s_delay_alu instid0(VALU_DEP_3) | instskip(SKIP_1) | instid1(VALU_DEP_4)
	v_fma_f64 v[32:33], v[181:182], v[36:37], -v[32:33]
	v_fma_f64 v[181:182], v[195:196], v[36:37], v[205:206]
	v_add_f64 v[0:1], v[0:1], -v[183:184]
	s_delay_alu instid0(VALU_DEP_3) | instskip(NEXT) | instid1(VALU_DEP_3)
	v_add_f64 v[20:21], v[20:21], -v[32:33]
	v_add_f64 v[6:7], v[6:7], -v[181:182]
	s_waitcnt vmcnt(0)
	v_fma_f64 v[137:138], v[137:138], v[36:37], -v[217:218]
	scratch_load_b64 v[217:218], off, off offset:40 ; 8-byte Folded Reload
	v_add_f64 v[72:73], v[72:73], -v[137:138]
	s_waitcnt vmcnt(0)
	v_fma_f64 v[139:140], v[139:140], v[36:37], v[217:218]
	scratch_load_b64 v[217:218], off, off offset:48 ; 8-byte Folded Reload
	v_add_f64 v[74:75], v[74:75], -v[139:140]
	s_waitcnt vmcnt(0)
	v_fma_f64 v[141:142], v[141:142], v[36:37], -v[217:218]
	scratch_load_b64 v[217:218], off, off offset:56 ; 8-byte Folded Reload
	v_add_f64 v[68:69], v[68:69], -v[141:142]
	s_waitcnt vmcnt(0)
	v_fma_f64 v[143:144], v[143:144], v[36:37], v[217:218]
	scratch_load_b64 v[217:218], off, off offset:64 ; 8-byte Folded Reload
	v_add_f64 v[70:71], v[70:71], -v[143:144]
	s_waitcnt vmcnt(0)
	v_fma_f64 v[161:162], v[161:162], v[36:37], -v[217:218]
	s_delay_alu instid0(VALU_DEP_1)
	v_add_f64 v[52:53], v[52:53], -v[161:162]
.LBB48_62:
	s_or_b32 exec_lo, exec_lo, s2
	s_waitcnt_vscnt null, 0x0
	s_barrier
	buffer_gl0_inv
	scratch_load_b128 v[33:36], off, off offset:4 ; 16-byte Folded Reload
	v_lshl_add_u32 v32, v111, 4, v110
	v_mov_b32_e32 v108, 3
	s_cmp_lt_i32 s5, 5
	s_mov_b32 s6, 4
	s_waitcnt vmcnt(0)
	ds_store_2addr_b64 v32, v[33:34], v[35:36] offset1:1
	s_waitcnt lgkmcnt(0)
	s_barrier
	buffer_gl0_inv
	ds_load_2addr_b64 v[100:103], v110 offset0:6 offset1:7
	s_cbranch_scc1 .LBB48_65
; %bb.63:
	v_add3_u32 v109, v255, 0, 64
	v_mov_b32_e32 v108, 3
	s_set_inst_prefetch_distance 0x1
	.p2align	6
.LBB48_64:                              ; =>This Inner Loop Header: Depth=1
	ds_load_2addr_b64 v[117:120], v109 offset1:1
	s_waitcnt lgkmcnt(1)
	v_cmp_gt_f64_e32 vcc_lo, 0, v[100:101]
	v_xor_b32_e32 v32, 0x80000000, v101
	v_cmp_gt_f64_e64 s2, 0, v[102:103]
	v_xor_b32_e32 v34, 0x80000000, v103
	v_add_nc_u32_e32 v109, 16, v109
	s_waitcnt lgkmcnt(0)
	v_cmp_gt_f64_e64 s3, 0, v[117:118]
	v_mov_b32_e32 v36, v117
	v_dual_mov_b32 v38, v119 :: v_dual_cndmask_b32 v33, v101, v32
	v_xor_b32_e32 v32, 0x80000000, v118
	v_cndmask_b32_e64 v35, v103, v34, s2
	v_xor_b32_e32 v34, 0x80000000, v120
	s_delay_alu instid0(VALU_DEP_3) | instskip(SKIP_2) | instid1(VALU_DEP_2)
	v_cndmask_b32_e64 v37, v118, v32, s3
	v_cmp_gt_f64_e64 s3, 0, v[119:120]
	v_cndmask_b32_e32 v32, v100, v100, vcc_lo
	v_cndmask_b32_e64 v39, v120, v34, s3
	v_cndmask_b32_e64 v34, v102, v102, s2
	s_delay_alu instid0(VALU_DEP_2) | instskip(NEXT) | instid1(VALU_DEP_2)
	v_add_f64 v[36:37], v[36:37], v[38:39]
	v_add_f64 v[32:33], v[32:33], v[34:35]
	s_delay_alu instid0(VALU_DEP_1) | instskip(SKIP_4) | instid1(SALU_CYCLE_1)
	v_cmp_lt_f64_e32 vcc_lo, v[32:33], v[36:37]
	v_dual_cndmask_b32 v101, v101, v118 :: v_dual_cndmask_b32 v100, v100, v117
	v_dual_cndmask_b32 v103, v103, v120 :: v_dual_cndmask_b32 v102, v102, v119
	v_cndmask_b32_e64 v108, v108, s6, vcc_lo
	s_add_i32 s6, s6, 1
	s_cmp_lg_u32 s5, s6
	s_cbranch_scc1 .LBB48_64
.LBB48_65:
	s_set_inst_prefetch_distance 0x2
	s_waitcnt lgkmcnt(0)
	v_cmp_eq_f64_e32 vcc_lo, 0, v[100:101]
	v_cmp_eq_f64_e64 s2, 0, v[102:103]
	s_delay_alu instid0(VALU_DEP_1) | instskip(NEXT) | instid1(SALU_CYCLE_1)
	s_and_b32 s2, vcc_lo, s2
	s_and_saveexec_b32 s3, s2
	s_delay_alu instid0(SALU_CYCLE_1)
	s_xor_b32 s2, exec_lo, s3
	s_cbranch_execz .LBB48_67
; %bb.66:
	scratch_load_b32 v32, off, off          ; 4-byte Folded Reload
	s_waitcnt vmcnt(0)
	v_cmp_ne_u32_e32 vcc_lo, 0, v32
	v_cndmask_b32_e32 v32, 4, v32, vcc_lo
	scratch_store_b32 off, v32, off         ; 4-byte Folded Spill
.LBB48_67:
	s_and_not1_saveexec_b32 s3, s2
	s_cbranch_execz .LBB48_73
; %bb.68:
	v_cmp_gt_f64_e32 vcc_lo, 0, v[100:101]
	v_cmp_gt_f64_e64 s2, 0, v[102:103]
	v_xor_b32_e32 v32, 0x80000000, v101
	v_xor_b32_e32 v34, 0x80000000, v103
	s_delay_alu instid0(VALU_DEP_2) | instskip(NEXT) | instid1(VALU_DEP_2)
	v_cndmask_b32_e32 v33, v101, v32, vcc_lo
	v_cndmask_b32_e64 v35, v103, v34, s2
	v_cndmask_b32_e32 v32, v100, v100, vcc_lo
	v_cndmask_b32_e64 v34, v102, v102, s2
	s_mov_b32 s2, exec_lo
	s_delay_alu instid0(VALU_DEP_1)
	v_cmpx_ngt_f64_e32 v[32:33], v[34:35]
	s_xor_b32 s2, exec_lo, s2
	s_cbranch_execz .LBB48_70
; %bb.69:
	v_div_scale_f64 v[32:33], null, v[102:103], v[102:103], v[100:101]
	v_div_scale_f64 v[38:39], vcc_lo, v[100:101], v[102:103], v[100:101]
	s_delay_alu instid0(VALU_DEP_2) | instskip(SKIP_2) | instid1(VALU_DEP_1)
	v_rcp_f64_e32 v[34:35], v[32:33]
	s_waitcnt_depctr 0xfff
	v_fma_f64 v[36:37], -v[32:33], v[34:35], 1.0
	v_fma_f64 v[34:35], v[34:35], v[36:37], v[34:35]
	s_delay_alu instid0(VALU_DEP_1) | instskip(NEXT) | instid1(VALU_DEP_1)
	v_fma_f64 v[36:37], -v[32:33], v[34:35], 1.0
	v_fma_f64 v[34:35], v[34:35], v[36:37], v[34:35]
	s_delay_alu instid0(VALU_DEP_1) | instskip(NEXT) | instid1(VALU_DEP_1)
	v_mul_f64 v[36:37], v[38:39], v[34:35]
	v_fma_f64 v[32:33], -v[32:33], v[36:37], v[38:39]
	s_delay_alu instid0(VALU_DEP_1) | instskip(NEXT) | instid1(VALU_DEP_1)
	v_div_fmas_f64 v[32:33], v[32:33], v[34:35], v[36:37]
	v_div_fixup_f64 v[32:33], v[32:33], v[102:103], v[100:101]
	s_delay_alu instid0(VALU_DEP_1) | instskip(NEXT) | instid1(VALU_DEP_1)
	v_fma_f64 v[34:35], v[100:101], v[32:33], v[102:103]
	v_div_scale_f64 v[36:37], null, v[34:35], v[34:35], 1.0
	s_delay_alu instid0(VALU_DEP_1) | instskip(SKIP_2) | instid1(VALU_DEP_1)
	v_rcp_f64_e32 v[38:39], v[36:37]
	s_waitcnt_depctr 0xfff
	v_fma_f64 v[100:101], -v[36:37], v[38:39], 1.0
	v_fma_f64 v[38:39], v[38:39], v[100:101], v[38:39]
	s_delay_alu instid0(VALU_DEP_1) | instskip(NEXT) | instid1(VALU_DEP_1)
	v_fma_f64 v[100:101], -v[36:37], v[38:39], 1.0
	v_fma_f64 v[38:39], v[38:39], v[100:101], v[38:39]
	v_div_scale_f64 v[100:101], vcc_lo, 1.0, v[34:35], 1.0
	s_delay_alu instid0(VALU_DEP_1) | instskip(NEXT) | instid1(VALU_DEP_1)
	v_mul_f64 v[102:103], v[100:101], v[38:39]
	v_fma_f64 v[36:37], -v[36:37], v[102:103], v[100:101]
	s_delay_alu instid0(VALU_DEP_1) | instskip(NEXT) | instid1(VALU_DEP_1)
	v_div_fmas_f64 v[36:37], v[36:37], v[38:39], v[102:103]
	v_div_fixup_f64 v[102:103], v[36:37], v[34:35], 1.0
	s_delay_alu instid0(VALU_DEP_1)
	v_mul_f64 v[100:101], v[32:33], v[102:103]
	v_xor_b32_e32 v103, 0x80000000, v103
.LBB48_70:
	s_and_not1_saveexec_b32 s2, s2
	s_cbranch_execz .LBB48_72
; %bb.71:
	s_delay_alu instid0(VALU_DEP_1) | instskip(SKIP_1) | instid1(VALU_DEP_2)
	v_div_scale_f64 v[32:33], null, v[100:101], v[100:101], v[102:103]
	v_div_scale_f64 v[38:39], vcc_lo, v[102:103], v[100:101], v[102:103]
	v_rcp_f64_e32 v[34:35], v[32:33]
	s_waitcnt_depctr 0xfff
	v_fma_f64 v[36:37], -v[32:33], v[34:35], 1.0
	s_delay_alu instid0(VALU_DEP_1) | instskip(NEXT) | instid1(VALU_DEP_1)
	v_fma_f64 v[34:35], v[34:35], v[36:37], v[34:35]
	v_fma_f64 v[36:37], -v[32:33], v[34:35], 1.0
	s_delay_alu instid0(VALU_DEP_1) | instskip(NEXT) | instid1(VALU_DEP_1)
	v_fma_f64 v[34:35], v[34:35], v[36:37], v[34:35]
	v_mul_f64 v[36:37], v[38:39], v[34:35]
	s_delay_alu instid0(VALU_DEP_1) | instskip(NEXT) | instid1(VALU_DEP_1)
	v_fma_f64 v[32:33], -v[32:33], v[36:37], v[38:39]
	v_div_fmas_f64 v[32:33], v[32:33], v[34:35], v[36:37]
	s_delay_alu instid0(VALU_DEP_1) | instskip(NEXT) | instid1(VALU_DEP_1)
	v_div_fixup_f64 v[32:33], v[32:33], v[100:101], v[102:103]
	v_fma_f64 v[34:35], v[102:103], v[32:33], v[100:101]
	s_delay_alu instid0(VALU_DEP_1) | instskip(NEXT) | instid1(VALU_DEP_1)
	v_div_scale_f64 v[36:37], null, v[34:35], v[34:35], 1.0
	v_rcp_f64_e32 v[38:39], v[36:37]
	s_waitcnt_depctr 0xfff
	v_fma_f64 v[100:101], -v[36:37], v[38:39], 1.0
	s_delay_alu instid0(VALU_DEP_1) | instskip(NEXT) | instid1(VALU_DEP_1)
	v_fma_f64 v[38:39], v[38:39], v[100:101], v[38:39]
	v_fma_f64 v[100:101], -v[36:37], v[38:39], 1.0
	s_delay_alu instid0(VALU_DEP_1) | instskip(SKIP_1) | instid1(VALU_DEP_1)
	v_fma_f64 v[38:39], v[38:39], v[100:101], v[38:39]
	v_div_scale_f64 v[100:101], vcc_lo, 1.0, v[34:35], 1.0
	v_mul_f64 v[102:103], v[100:101], v[38:39]
	s_delay_alu instid0(VALU_DEP_1) | instskip(NEXT) | instid1(VALU_DEP_1)
	v_fma_f64 v[36:37], -v[36:37], v[102:103], v[100:101]
	v_div_fmas_f64 v[36:37], v[36:37], v[38:39], v[102:103]
	s_delay_alu instid0(VALU_DEP_1) | instskip(NEXT) | instid1(VALU_DEP_1)
	v_div_fixup_f64 v[100:101], v[36:37], v[34:35], 1.0
	v_mul_f64 v[102:103], v[32:33], -v[100:101]
.LBB48_72:
	s_or_b32 exec_lo, exec_lo, s2
.LBB48_73:
	s_delay_alu instid0(SALU_CYCLE_1) | instskip(NEXT) | instid1(SALU_CYCLE_1)
	s_or_b32 exec_lo, exec_lo, s3
	s_mov_b32 s2, exec_lo
	v_cmpx_ne_u32_e64 v111, v108
	s_xor_b32 s2, exec_lo, s2
	s_cbranch_execz .LBB48_79
; %bb.74:
	s_mov_b32 s3, exec_lo
	v_cmpx_eq_u32_e32 3, v111
	s_cbranch_execz .LBB48_78
; %bb.75:
	v_cmp_ne_u32_e32 vcc_lo, 3, v108
	s_xor_b32 s6, s4, -1
	s_delay_alu instid0(SALU_CYCLE_1) | instskip(NEXT) | instid1(SALU_CYCLE_1)
	s_and_b32 s7, s6, vcc_lo
	s_and_saveexec_b32 s6, s7
	s_cbranch_execz .LBB48_77
; %bb.76:
	v_ashrrev_i32_e32 v109, 31, v108
	s_delay_alu instid0(VALU_DEP_1) | instskip(NEXT) | instid1(VALU_DEP_1)
	v_lshlrev_b64 v[32:33], 2, v[108:109]
	v_add_co_u32 v32, vcc_lo, v78, v32
	s_delay_alu instid0(VALU_DEP_2)
	v_add_co_ci_u32_e32 v33, vcc_lo, v79, v33, vcc_lo
	s_clause 0x1
	flat_load_b32 v34, v[32:33]
	flat_load_b32 v35, v[78:79] offset:12
	s_waitcnt vmcnt(1) lgkmcnt(1)
	flat_store_b32 v[78:79], v34 offset:12
	s_waitcnt vmcnt(0) lgkmcnt(1)
	flat_store_b32 v[32:33], v35
.LBB48_77:
	s_or_b32 exec_lo, exec_lo, s6
	v_mov_b32_e32 v111, v108
	v_mov_b32_e32 v247, v108
.LBB48_78:
	s_or_b32 exec_lo, exec_lo, s3
.LBB48_79:
	s_and_not1_saveexec_b32 s2, s2
	s_cbranch_execz .LBB48_81
; %bb.80:
	v_mov_b32_e32 v111, 3
	ds_store_2addr_b64 v110, v[239:240], v[241:242] offset0:8 offset1:9
	ds_store_2addr_b64 v110, v[92:93], v[94:95] offset0:10 offset1:11
	ds_store_2addr_b64 v110, v[84:85], v[86:87] offset0:12 offset1:13
	ds_store_2addr_b64 v110, v[80:81], v[82:83] offset0:14 offset1:15
	ds_store_2addr_b64 v110, v[72:73], v[74:75] offset0:16 offset1:17
	ds_store_2addr_b64 v110, v[68:69], v[70:71] offset0:18 offset1:19
	ds_store_2addr_b64 v110, v[60:61], v[62:63] offset0:20 offset1:21
	ds_store_2addr_b64 v110, v[56:57], v[58:59] offset0:22 offset1:23
	ds_store_2addr_b64 v110, v[64:65], v[66:67] offset0:24 offset1:25
	ds_store_2addr_b64 v110, v[40:41], v[42:43] offset0:26 offset1:27
	ds_store_2addr_b64 v110, v[52:53], v[54:55] offset0:28 offset1:29
	ds_store_2addr_b64 v110, v[28:29], v[30:31] offset0:30 offset1:31
	ds_store_2addr_b64 v110, v[48:49], v[50:51] offset0:32 offset1:33
	ds_store_2addr_b64 v110, v[44:45], v[46:47] offset0:34 offset1:35
	ds_store_2addr_b64 v110, v[24:25], v[26:27] offset0:36 offset1:37
	ds_store_2addr_b64 v110, v[20:21], v[22:23] offset0:38 offset1:39
	ds_store_2addr_b64 v110, v[16:17], v[18:19] offset0:40 offset1:41
	ds_store_2addr_b64 v110, v[12:13], v[14:15] offset0:42 offset1:43
	ds_store_2addr_b64 v110, v[8:9], v[10:11] offset0:44 offset1:45
	ds_store_2addr_b64 v110, v[4:5], v[6:7] offset0:46 offset1:47
	ds_store_2addr_b64 v110, v[0:1], v[2:3] offset0:48 offset1:49
.LBB48_81:
	s_or_b32 exec_lo, exec_lo, s2
	s_delay_alu instid0(SALU_CYCLE_1)
	s_mov_b32 s2, exec_lo
	s_waitcnt lgkmcnt(0)
	s_waitcnt_vscnt null, 0x0
	s_barrier
	buffer_gl0_inv
	v_cmpx_lt_i32_e32 3, v111
	s_cbranch_execz .LBB48_83
; %bb.82:
	scratch_load_b128 v[88:91], off, off offset:4 ; 16-byte Folded Reload
	s_waitcnt vmcnt(0)
	v_mul_f64 v[34:35], v[100:101], v[90:91]
	v_mul_f64 v[32:33], v[102:103], v[90:91]
	s_delay_alu instid0(VALU_DEP_2) | instskip(NEXT) | instid1(VALU_DEP_2)
	v_fma_f64 v[90:91], v[102:103], v[88:89], v[34:35]
	v_fma_f64 v[32:33], v[100:101], v[88:89], -v[32:33]
	ds_load_2addr_b64 v[100:103], v110 offset0:8 offset1:9
	ds_load_2addr_b64 v[117:120], v110 offset0:10 offset1:11
	s_waitcnt lgkmcnt(1)
	v_mul_f64 v[34:35], v[102:103], v[90:91]
	v_mul_f64 v[36:37], v[100:101], v[90:91]
	s_waitcnt lgkmcnt(0)
	v_mul_f64 v[38:39], v[119:120], v[90:91]
	v_mul_f64 v[88:89], v[117:118], v[90:91]
	s_delay_alu instid0(VALU_DEP_4) | instskip(NEXT) | instid1(VALU_DEP_4)
	v_fma_f64 v[34:35], v[100:101], v[32:33], -v[34:35]
	v_fma_f64 v[36:37], v[102:103], v[32:33], v[36:37]
	s_delay_alu instid0(VALU_DEP_4) | instskip(NEXT) | instid1(VALU_DEP_4)
	v_fma_f64 v[38:39], v[117:118], v[32:33], -v[38:39]
	v_fma_f64 v[88:89], v[119:120], v[32:33], v[88:89]
	ds_load_2addr_b64 v[100:103], v110 offset0:12 offset1:13
	ds_load_2addr_b64 v[117:120], v110 offset0:14 offset1:15
	s_waitcnt lgkmcnt(1)
	v_mul_f64 v[104:105], v[102:103], v[90:91]
	v_add_f64 v[239:240], v[239:240], -v[34:35]
	v_add_f64 v[241:242], v[241:242], -v[36:37]
	;; [unrolled: 1-line block ×4, first 2 shown]
	v_dual_mov_b32 v89, v33 :: v_dual_mov_b32 v88, v32
	v_fma_f64 v[104:105], v[100:101], v[32:33], -v[104:105]
	v_mul_f64 v[100:101], v[100:101], v[90:91]
	s_delay_alu instid0(VALU_DEP_2) | instskip(NEXT) | instid1(VALU_DEP_2)
	v_add_f64 v[84:85], v[84:85], -v[104:105]
	v_fma_f64 v[106:107], v[102:103], v[32:33], v[100:101]
	s_waitcnt lgkmcnt(0)
	v_mul_f64 v[100:101], v[119:120], v[90:91]
	s_delay_alu instid0(VALU_DEP_2) | instskip(NEXT) | instid1(VALU_DEP_2)
	v_add_f64 v[86:87], v[86:87], -v[106:107]
	v_fma_f64 v[108:109], v[117:118], v[32:33], -v[100:101]
	v_mul_f64 v[100:101], v[117:118], v[90:91]
	s_delay_alu instid0(VALU_DEP_2) | instskip(NEXT) | instid1(VALU_DEP_2)
	v_add_f64 v[80:81], v[80:81], -v[108:109]
	v_fma_f64 v[121:122], v[119:120], v[32:33], v[100:101]
	ds_load_2addr_b64 v[100:103], v110 offset0:16 offset1:17
	ds_load_2addr_b64 v[117:120], v110 offset0:18 offset1:19
	s_waitcnt lgkmcnt(1)
	v_mul_f64 v[123:124], v[102:103], v[90:91]
	v_add_f64 v[82:83], v[82:83], -v[121:122]
	s_delay_alu instid0(VALU_DEP_2) | instskip(SKIP_1) | instid1(VALU_DEP_2)
	v_fma_f64 v[123:124], v[100:101], v[32:33], -v[123:124]
	v_mul_f64 v[100:101], v[100:101], v[90:91]
	v_add_f64 v[72:73], v[72:73], -v[123:124]
	s_delay_alu instid0(VALU_DEP_2) | instskip(SKIP_2) | instid1(VALU_DEP_2)
	v_fma_f64 v[125:126], v[102:103], v[32:33], v[100:101]
	s_waitcnt lgkmcnt(0)
	v_mul_f64 v[100:101], v[119:120], v[90:91]
	v_add_f64 v[74:75], v[74:75], -v[125:126]
	s_delay_alu instid0(VALU_DEP_2) | instskip(SKIP_1) | instid1(VALU_DEP_2)
	v_fma_f64 v[127:128], v[117:118], v[32:33], -v[100:101]
	v_mul_f64 v[100:101], v[117:118], v[90:91]
	v_add_f64 v[68:69], v[68:69], -v[127:128]
	s_delay_alu instid0(VALU_DEP_2)
	v_fma_f64 v[129:130], v[119:120], v[32:33], v[100:101]
	ds_load_2addr_b64 v[100:103], v110 offset0:20 offset1:21
	ds_load_2addr_b64 v[117:120], v110 offset0:22 offset1:23
	s_waitcnt lgkmcnt(1)
	v_mul_f64 v[131:132], v[102:103], v[90:91]
	v_add_f64 v[70:71], v[70:71], -v[129:130]
	s_delay_alu instid0(VALU_DEP_2) | instskip(SKIP_1) | instid1(VALU_DEP_2)
	v_fma_f64 v[131:132], v[100:101], v[32:33], -v[131:132]
	v_mul_f64 v[100:101], v[100:101], v[90:91]
	v_add_f64 v[60:61], v[60:61], -v[131:132]
	s_delay_alu instid0(VALU_DEP_2) | instskip(SKIP_2) | instid1(VALU_DEP_2)
	v_fma_f64 v[133:134], v[102:103], v[32:33], v[100:101]
	s_waitcnt lgkmcnt(0)
	v_mul_f64 v[100:101], v[119:120], v[90:91]
	v_add_f64 v[62:63], v[62:63], -v[133:134]
	s_delay_alu instid0(VALU_DEP_2) | instskip(SKIP_1) | instid1(VALU_DEP_2)
	v_fma_f64 v[135:136], v[117:118], v[32:33], -v[100:101]
	v_mul_f64 v[100:101], v[117:118], v[90:91]
	v_add_f64 v[56:57], v[56:57], -v[135:136]
	s_delay_alu instid0(VALU_DEP_2)
	;; [unrolled: 20-line block ×7, first 2 shown]
	v_fma_f64 v[177:178], v[119:120], v[32:33], v[100:101]
	ds_load_2addr_b64 v[100:103], v110 offset0:44 offset1:45
	ds_load_2addr_b64 v[117:120], v110 offset0:46 offset1:47
	scratch_store_b128 off, v[88:91], off offset:4 ; 16-byte Folded Spill
	s_waitcnt lgkmcnt(1)
	v_mul_f64 v[179:180], v[102:103], v[90:91]
	v_add_f64 v[14:15], v[14:15], -v[177:178]
	s_delay_alu instid0(VALU_DEP_2) | instskip(SKIP_1) | instid1(VALU_DEP_2)
	v_fma_f64 v[179:180], v[100:101], v[32:33], -v[179:180]
	v_mul_f64 v[100:101], v[100:101], v[90:91]
	v_add_f64 v[8:9], v[8:9], -v[179:180]
	s_delay_alu instid0(VALU_DEP_2) | instskip(SKIP_2) | instid1(VALU_DEP_2)
	v_fma_f64 v[181:182], v[102:103], v[32:33], v[100:101]
	s_waitcnt lgkmcnt(0)
	v_mul_f64 v[100:101], v[119:120], v[90:91]
	v_add_f64 v[10:11], v[10:11], -v[181:182]
	s_delay_alu instid0(VALU_DEP_2) | instskip(SKIP_1) | instid1(VALU_DEP_2)
	v_fma_f64 v[183:184], v[117:118], v[32:33], -v[100:101]
	v_mul_f64 v[100:101], v[117:118], v[90:91]
	v_add_f64 v[4:5], v[4:5], -v[183:184]
	s_delay_alu instid0(VALU_DEP_2) | instskip(SKIP_4) | instid1(VALU_DEP_2)
	v_fma_f64 v[117:118], v[119:120], v[32:33], v[100:101]
	ds_load_2addr_b64 v[100:103], v110 offset0:48 offset1:49
	s_waitcnt lgkmcnt(0)
	v_mul_f64 v[119:120], v[102:103], v[90:91]
	v_add_f64 v[6:7], v[6:7], -v[117:118]
	v_fma_f64 v[119:120], v[100:101], v[32:33], -v[119:120]
	v_mul_f64 v[100:101], v[100:101], v[90:91]
	s_delay_alu instid0(VALU_DEP_2) | instskip(NEXT) | instid1(VALU_DEP_2)
	v_add_f64 v[0:1], v[0:1], -v[119:120]
	v_fma_f64 v[100:101], v[102:103], v[32:33], v[100:101]
	s_delay_alu instid0(VALU_DEP_1)
	v_add_f64 v[2:3], v[2:3], -v[100:101]
.LBB48_83:
	s_or_b32 exec_lo, exec_lo, s2
	v_lshl_add_u32 v32, v111, 4, v110
	s_waitcnt_vscnt null, 0x0
	s_barrier
	buffer_gl0_inv
	v_mov_b32_e32 v108, 4
	ds_store_2addr_b64 v32, v[239:240], v[241:242] offset1:1
	s_waitcnt lgkmcnt(0)
	s_barrier
	buffer_gl0_inv
	ds_load_2addr_b64 v[100:103], v110 offset0:8 offset1:9
	s_cmp_lt_i32 s5, 6
	s_cbranch_scc1 .LBB48_86
; %bb.84:
	v_add3_u32 v109, v255, 0, 0x50
	v_mov_b32_e32 v108, 4
	s_mov_b32 s6, 5
	s_set_inst_prefetch_distance 0x1
	.p2align	6
.LBB48_85:                              ; =>This Inner Loop Header: Depth=1
	ds_load_2addr_b64 v[117:120], v109 offset1:1
	s_waitcnt lgkmcnt(1)
	v_cmp_gt_f64_e32 vcc_lo, 0, v[100:101]
	v_xor_b32_e32 v32, 0x80000000, v101
	v_cmp_gt_f64_e64 s2, 0, v[102:103]
	v_xor_b32_e32 v34, 0x80000000, v103
	v_add_nc_u32_e32 v109, 16, v109
	s_waitcnt lgkmcnt(0)
	v_cmp_gt_f64_e64 s3, 0, v[117:118]
	v_mov_b32_e32 v36, v117
	v_dual_mov_b32 v38, v119 :: v_dual_cndmask_b32 v33, v101, v32
	v_xor_b32_e32 v32, 0x80000000, v118
	v_cndmask_b32_e64 v35, v103, v34, s2
	v_xor_b32_e32 v34, 0x80000000, v120
	s_delay_alu instid0(VALU_DEP_3) | instskip(SKIP_2) | instid1(VALU_DEP_2)
	v_cndmask_b32_e64 v37, v118, v32, s3
	v_cmp_gt_f64_e64 s3, 0, v[119:120]
	v_cndmask_b32_e32 v32, v100, v100, vcc_lo
	v_cndmask_b32_e64 v39, v120, v34, s3
	v_cndmask_b32_e64 v34, v102, v102, s2
	s_delay_alu instid0(VALU_DEP_2) | instskip(NEXT) | instid1(VALU_DEP_2)
	v_add_f64 v[36:37], v[36:37], v[38:39]
	v_add_f64 v[32:33], v[32:33], v[34:35]
	s_delay_alu instid0(VALU_DEP_1) | instskip(SKIP_4) | instid1(SALU_CYCLE_1)
	v_cmp_lt_f64_e32 vcc_lo, v[32:33], v[36:37]
	v_dual_cndmask_b32 v101, v101, v118 :: v_dual_cndmask_b32 v100, v100, v117
	v_dual_cndmask_b32 v103, v103, v120 :: v_dual_cndmask_b32 v102, v102, v119
	v_cndmask_b32_e64 v108, v108, s6, vcc_lo
	s_add_i32 s6, s6, 1
	s_cmp_lg_u32 s5, s6
	s_cbranch_scc1 .LBB48_85
.LBB48_86:
	s_set_inst_prefetch_distance 0x2
	s_waitcnt lgkmcnt(0)
	v_cmp_eq_f64_e32 vcc_lo, 0, v[100:101]
	v_cmp_eq_f64_e64 s2, 0, v[102:103]
	s_delay_alu instid0(VALU_DEP_1) | instskip(NEXT) | instid1(SALU_CYCLE_1)
	s_and_b32 s2, vcc_lo, s2
	s_and_saveexec_b32 s3, s2
	s_delay_alu instid0(SALU_CYCLE_1)
	s_xor_b32 s2, exec_lo, s3
	s_cbranch_execz .LBB48_88
; %bb.87:
	scratch_load_b32 v32, off, off          ; 4-byte Folded Reload
	s_waitcnt vmcnt(0)
	v_cmp_ne_u32_e32 vcc_lo, 0, v32
	v_cndmask_b32_e32 v32, 5, v32, vcc_lo
	scratch_store_b32 off, v32, off         ; 4-byte Folded Spill
.LBB48_88:
	s_and_not1_saveexec_b32 s3, s2
	s_cbranch_execz .LBB48_94
; %bb.89:
	v_cmp_gt_f64_e32 vcc_lo, 0, v[100:101]
	v_cmp_gt_f64_e64 s2, 0, v[102:103]
	v_xor_b32_e32 v32, 0x80000000, v101
	v_xor_b32_e32 v34, 0x80000000, v103
	s_delay_alu instid0(VALU_DEP_2) | instskip(NEXT) | instid1(VALU_DEP_2)
	v_cndmask_b32_e32 v33, v101, v32, vcc_lo
	v_cndmask_b32_e64 v35, v103, v34, s2
	v_cndmask_b32_e32 v32, v100, v100, vcc_lo
	v_cndmask_b32_e64 v34, v102, v102, s2
	s_mov_b32 s2, exec_lo
	s_delay_alu instid0(VALU_DEP_1)
	v_cmpx_ngt_f64_e32 v[32:33], v[34:35]
	s_xor_b32 s2, exec_lo, s2
	s_cbranch_execz .LBB48_91
; %bb.90:
	v_div_scale_f64 v[32:33], null, v[102:103], v[102:103], v[100:101]
	v_div_scale_f64 v[38:39], vcc_lo, v[100:101], v[102:103], v[100:101]
	s_delay_alu instid0(VALU_DEP_2) | instskip(SKIP_2) | instid1(VALU_DEP_1)
	v_rcp_f64_e32 v[34:35], v[32:33]
	s_waitcnt_depctr 0xfff
	v_fma_f64 v[36:37], -v[32:33], v[34:35], 1.0
	v_fma_f64 v[34:35], v[34:35], v[36:37], v[34:35]
	s_delay_alu instid0(VALU_DEP_1) | instskip(NEXT) | instid1(VALU_DEP_1)
	v_fma_f64 v[36:37], -v[32:33], v[34:35], 1.0
	v_fma_f64 v[34:35], v[34:35], v[36:37], v[34:35]
	s_delay_alu instid0(VALU_DEP_1) | instskip(NEXT) | instid1(VALU_DEP_1)
	v_mul_f64 v[36:37], v[38:39], v[34:35]
	v_fma_f64 v[32:33], -v[32:33], v[36:37], v[38:39]
	s_delay_alu instid0(VALU_DEP_1) | instskip(NEXT) | instid1(VALU_DEP_1)
	v_div_fmas_f64 v[32:33], v[32:33], v[34:35], v[36:37]
	v_div_fixup_f64 v[32:33], v[32:33], v[102:103], v[100:101]
	s_delay_alu instid0(VALU_DEP_1) | instskip(NEXT) | instid1(VALU_DEP_1)
	v_fma_f64 v[34:35], v[100:101], v[32:33], v[102:103]
	v_div_scale_f64 v[36:37], null, v[34:35], v[34:35], 1.0
	s_delay_alu instid0(VALU_DEP_1) | instskip(SKIP_2) | instid1(VALU_DEP_1)
	v_rcp_f64_e32 v[38:39], v[36:37]
	s_waitcnt_depctr 0xfff
	v_fma_f64 v[100:101], -v[36:37], v[38:39], 1.0
	v_fma_f64 v[38:39], v[38:39], v[100:101], v[38:39]
	s_delay_alu instid0(VALU_DEP_1) | instskip(NEXT) | instid1(VALU_DEP_1)
	v_fma_f64 v[100:101], -v[36:37], v[38:39], 1.0
	v_fma_f64 v[38:39], v[38:39], v[100:101], v[38:39]
	v_div_scale_f64 v[100:101], vcc_lo, 1.0, v[34:35], 1.0
	s_delay_alu instid0(VALU_DEP_1) | instskip(NEXT) | instid1(VALU_DEP_1)
	v_mul_f64 v[102:103], v[100:101], v[38:39]
	v_fma_f64 v[36:37], -v[36:37], v[102:103], v[100:101]
	s_delay_alu instid0(VALU_DEP_1) | instskip(NEXT) | instid1(VALU_DEP_1)
	v_div_fmas_f64 v[36:37], v[36:37], v[38:39], v[102:103]
	v_div_fixup_f64 v[102:103], v[36:37], v[34:35], 1.0
	s_delay_alu instid0(VALU_DEP_1)
	v_mul_f64 v[100:101], v[32:33], v[102:103]
	v_xor_b32_e32 v103, 0x80000000, v103
.LBB48_91:
	s_and_not1_saveexec_b32 s2, s2
	s_cbranch_execz .LBB48_93
; %bb.92:
	s_delay_alu instid0(VALU_DEP_1) | instskip(SKIP_1) | instid1(VALU_DEP_2)
	v_div_scale_f64 v[32:33], null, v[100:101], v[100:101], v[102:103]
	v_div_scale_f64 v[38:39], vcc_lo, v[102:103], v[100:101], v[102:103]
	v_rcp_f64_e32 v[34:35], v[32:33]
	s_waitcnt_depctr 0xfff
	v_fma_f64 v[36:37], -v[32:33], v[34:35], 1.0
	s_delay_alu instid0(VALU_DEP_1) | instskip(NEXT) | instid1(VALU_DEP_1)
	v_fma_f64 v[34:35], v[34:35], v[36:37], v[34:35]
	v_fma_f64 v[36:37], -v[32:33], v[34:35], 1.0
	s_delay_alu instid0(VALU_DEP_1) | instskip(NEXT) | instid1(VALU_DEP_1)
	v_fma_f64 v[34:35], v[34:35], v[36:37], v[34:35]
	v_mul_f64 v[36:37], v[38:39], v[34:35]
	s_delay_alu instid0(VALU_DEP_1) | instskip(NEXT) | instid1(VALU_DEP_1)
	v_fma_f64 v[32:33], -v[32:33], v[36:37], v[38:39]
	v_div_fmas_f64 v[32:33], v[32:33], v[34:35], v[36:37]
	s_delay_alu instid0(VALU_DEP_1) | instskip(NEXT) | instid1(VALU_DEP_1)
	v_div_fixup_f64 v[32:33], v[32:33], v[100:101], v[102:103]
	v_fma_f64 v[34:35], v[102:103], v[32:33], v[100:101]
	s_delay_alu instid0(VALU_DEP_1) | instskip(NEXT) | instid1(VALU_DEP_1)
	v_div_scale_f64 v[36:37], null, v[34:35], v[34:35], 1.0
	v_rcp_f64_e32 v[38:39], v[36:37]
	s_waitcnt_depctr 0xfff
	v_fma_f64 v[100:101], -v[36:37], v[38:39], 1.0
	s_delay_alu instid0(VALU_DEP_1) | instskip(NEXT) | instid1(VALU_DEP_1)
	v_fma_f64 v[38:39], v[38:39], v[100:101], v[38:39]
	v_fma_f64 v[100:101], -v[36:37], v[38:39], 1.0
	s_delay_alu instid0(VALU_DEP_1) | instskip(SKIP_1) | instid1(VALU_DEP_1)
	v_fma_f64 v[38:39], v[38:39], v[100:101], v[38:39]
	v_div_scale_f64 v[100:101], vcc_lo, 1.0, v[34:35], 1.0
	v_mul_f64 v[102:103], v[100:101], v[38:39]
	s_delay_alu instid0(VALU_DEP_1) | instskip(NEXT) | instid1(VALU_DEP_1)
	v_fma_f64 v[36:37], -v[36:37], v[102:103], v[100:101]
	v_div_fmas_f64 v[36:37], v[36:37], v[38:39], v[102:103]
	s_delay_alu instid0(VALU_DEP_1) | instskip(NEXT) | instid1(VALU_DEP_1)
	v_div_fixup_f64 v[100:101], v[36:37], v[34:35], 1.0
	v_mul_f64 v[102:103], v[32:33], -v[100:101]
.LBB48_93:
	s_or_b32 exec_lo, exec_lo, s2
.LBB48_94:
	s_delay_alu instid0(SALU_CYCLE_1) | instskip(NEXT) | instid1(SALU_CYCLE_1)
	s_or_b32 exec_lo, exec_lo, s3
	s_mov_b32 s2, exec_lo
	v_cmpx_ne_u32_e64 v111, v108
	s_xor_b32 s2, exec_lo, s2
	s_cbranch_execz .LBB48_100
; %bb.95:
	s_mov_b32 s3, exec_lo
	v_cmpx_eq_u32_e32 4, v111
	s_cbranch_execz .LBB48_99
; %bb.96:
	v_cmp_ne_u32_e32 vcc_lo, 4, v108
	s_xor_b32 s6, s4, -1
	s_delay_alu instid0(SALU_CYCLE_1) | instskip(NEXT) | instid1(SALU_CYCLE_1)
	s_and_b32 s7, s6, vcc_lo
	s_and_saveexec_b32 s6, s7
	s_cbranch_execz .LBB48_98
; %bb.97:
	v_ashrrev_i32_e32 v109, 31, v108
	s_delay_alu instid0(VALU_DEP_1) | instskip(NEXT) | instid1(VALU_DEP_1)
	v_lshlrev_b64 v[32:33], 2, v[108:109]
	v_add_co_u32 v32, vcc_lo, v78, v32
	s_delay_alu instid0(VALU_DEP_2)
	v_add_co_ci_u32_e32 v33, vcc_lo, v79, v33, vcc_lo
	s_clause 0x1
	flat_load_b32 v34, v[32:33]
	flat_load_b32 v35, v[78:79] offset:16
	s_waitcnt vmcnt(1) lgkmcnt(1)
	flat_store_b32 v[78:79], v34 offset:16
	s_waitcnt vmcnt(0) lgkmcnt(1)
	flat_store_b32 v[32:33], v35
.LBB48_98:
	s_or_b32 exec_lo, exec_lo, s6
	v_mov_b32_e32 v111, v108
	v_mov_b32_e32 v247, v108
.LBB48_99:
	s_or_b32 exec_lo, exec_lo, s3
.LBB48_100:
	s_and_not1_saveexec_b32 s2, s2
	s_cbranch_execz .LBB48_102
; %bb.101:
	v_mov_b32_e32 v111, 4
	ds_store_2addr_b64 v110, v[92:93], v[94:95] offset0:10 offset1:11
	ds_store_2addr_b64 v110, v[84:85], v[86:87] offset0:12 offset1:13
	;; [unrolled: 1-line block ×20, first 2 shown]
.LBB48_102:
	s_or_b32 exec_lo, exec_lo, s2
	s_delay_alu instid0(SALU_CYCLE_1)
	s_mov_b32 s2, exec_lo
	s_waitcnt lgkmcnt(0)
	s_waitcnt_vscnt null, 0x0
	s_barrier
	buffer_gl0_inv
	v_cmpx_lt_i32_e32 4, v111
	s_cbranch_execz .LBB48_104
; %bb.103:
	v_mul_f64 v[34:35], v[100:101], v[241:242]
	v_mul_f64 v[32:33], v[102:103], v[241:242]
	v_dual_mov_b32 v184, v95 :: v_dual_mov_b32 v183, v94
	v_dual_mov_b32 v182, v93 :: v_dual_mov_b32 v181, v92
	s_delay_alu instid0(VALU_DEP_4) | instskip(NEXT) | instid1(VALU_DEP_4)
	v_fma_f64 v[241:242], v[102:103], v[239:240], v[34:35]
	v_fma_f64 v[32:33], v[100:101], v[239:240], -v[32:33]
	ds_load_2addr_b64 v[100:103], v110 offset0:10 offset1:11
	ds_load_2addr_b64 v[117:120], v110 offset0:12 offset1:13
	s_waitcnt lgkmcnt(1)
	v_mul_f64 v[34:35], v[102:103], v[241:242]
	v_mul_f64 v[36:37], v[100:101], v[241:242]
	s_waitcnt lgkmcnt(0)
	v_mul_f64 v[38:39], v[119:120], v[241:242]
	v_mul_f64 v[92:93], v[117:118], v[241:242]
	v_dual_mov_b32 v240, v33 :: v_dual_mov_b32 v239, v32
	v_fma_f64 v[34:35], v[100:101], v[32:33], -v[34:35]
	v_fma_f64 v[36:37], v[102:103], v[32:33], v[36:37]
	v_fma_f64 v[38:39], v[117:118], v[32:33], -v[38:39]
	v_fma_f64 v[92:93], v[119:120], v[32:33], v[92:93]
	ds_load_2addr_b64 v[100:103], v110 offset0:14 offset1:15
	ds_load_2addr_b64 v[117:120], v110 offset0:16 offset1:17
	s_waitcnt lgkmcnt(1)
	v_mul_f64 v[104:105], v[102:103], v[241:242]
	v_add_f64 v[181:182], v[181:182], -v[34:35]
	v_add_f64 v[183:184], v[183:184], -v[36:37]
	;; [unrolled: 1-line block ×4, first 2 shown]
	v_fma_f64 v[104:105], v[100:101], v[32:33], -v[104:105]
	v_mul_f64 v[100:101], v[100:101], v[241:242]
	v_dual_mov_b32 v92, v181 :: v_dual_mov_b32 v93, v182
	v_dual_mov_b32 v94, v183 :: v_dual_mov_b32 v95, v184
	s_delay_alu instid0(VALU_DEP_4) | instskip(NEXT) | instid1(VALU_DEP_4)
	v_add_f64 v[80:81], v[80:81], -v[104:105]
	v_fma_f64 v[106:107], v[102:103], v[32:33], v[100:101]
	s_waitcnt lgkmcnt(0)
	v_mul_f64 v[100:101], v[119:120], v[241:242]
	s_delay_alu instid0(VALU_DEP_2) | instskip(NEXT) | instid1(VALU_DEP_2)
	v_add_f64 v[82:83], v[82:83], -v[106:107]
	v_fma_f64 v[108:109], v[117:118], v[32:33], -v[100:101]
	v_mul_f64 v[100:101], v[117:118], v[241:242]
	s_delay_alu instid0(VALU_DEP_2) | instskip(NEXT) | instid1(VALU_DEP_2)
	v_add_f64 v[72:73], v[72:73], -v[108:109]
	v_fma_f64 v[121:122], v[119:120], v[32:33], v[100:101]
	ds_load_2addr_b64 v[100:103], v110 offset0:18 offset1:19
	ds_load_2addr_b64 v[117:120], v110 offset0:20 offset1:21
	s_waitcnt lgkmcnt(1)
	v_mul_f64 v[123:124], v[102:103], v[241:242]
	v_add_f64 v[74:75], v[74:75], -v[121:122]
	s_delay_alu instid0(VALU_DEP_2) | instskip(SKIP_1) | instid1(VALU_DEP_2)
	v_fma_f64 v[123:124], v[100:101], v[32:33], -v[123:124]
	v_mul_f64 v[100:101], v[100:101], v[241:242]
	v_add_f64 v[68:69], v[68:69], -v[123:124]
	s_delay_alu instid0(VALU_DEP_2) | instskip(SKIP_2) | instid1(VALU_DEP_2)
	v_fma_f64 v[125:126], v[102:103], v[32:33], v[100:101]
	s_waitcnt lgkmcnt(0)
	v_mul_f64 v[100:101], v[119:120], v[241:242]
	v_add_f64 v[70:71], v[70:71], -v[125:126]
	s_delay_alu instid0(VALU_DEP_2) | instskip(SKIP_1) | instid1(VALU_DEP_2)
	v_fma_f64 v[127:128], v[117:118], v[32:33], -v[100:101]
	v_mul_f64 v[100:101], v[117:118], v[241:242]
	v_add_f64 v[60:61], v[60:61], -v[127:128]
	s_delay_alu instid0(VALU_DEP_2)
	v_fma_f64 v[129:130], v[119:120], v[32:33], v[100:101]
	ds_load_2addr_b64 v[100:103], v110 offset0:22 offset1:23
	ds_load_2addr_b64 v[117:120], v110 offset0:24 offset1:25
	s_waitcnt lgkmcnt(1)
	v_mul_f64 v[131:132], v[102:103], v[241:242]
	v_add_f64 v[62:63], v[62:63], -v[129:130]
	s_delay_alu instid0(VALU_DEP_2) | instskip(SKIP_1) | instid1(VALU_DEP_2)
	v_fma_f64 v[131:132], v[100:101], v[32:33], -v[131:132]
	v_mul_f64 v[100:101], v[100:101], v[241:242]
	v_add_f64 v[56:57], v[56:57], -v[131:132]
	s_delay_alu instid0(VALU_DEP_2) | instskip(SKIP_2) | instid1(VALU_DEP_2)
	v_fma_f64 v[133:134], v[102:103], v[32:33], v[100:101]
	s_waitcnt lgkmcnt(0)
	v_mul_f64 v[100:101], v[119:120], v[241:242]
	v_add_f64 v[58:59], v[58:59], -v[133:134]
	s_delay_alu instid0(VALU_DEP_2) | instskip(SKIP_1) | instid1(VALU_DEP_2)
	v_fma_f64 v[135:136], v[117:118], v[32:33], -v[100:101]
	v_mul_f64 v[100:101], v[117:118], v[241:242]
	v_add_f64 v[64:65], v[64:65], -v[135:136]
	s_delay_alu instid0(VALU_DEP_2)
	;; [unrolled: 20-line block ×7, first 2 shown]
	v_fma_f64 v[177:178], v[119:120], v[32:33], v[100:101]
	ds_load_2addr_b64 v[100:103], v110 offset0:46 offset1:47
	ds_load_2addr_b64 v[117:120], v110 offset0:48 offset1:49
	s_waitcnt lgkmcnt(1)
	v_mul_f64 v[179:180], v[102:103], v[241:242]
	v_add_f64 v[10:11], v[10:11], -v[177:178]
	s_delay_alu instid0(VALU_DEP_2) | instskip(SKIP_1) | instid1(VALU_DEP_2)
	v_fma_f64 v[179:180], v[100:101], v[32:33], -v[179:180]
	v_mul_f64 v[100:101], v[100:101], v[241:242]
	v_add_f64 v[4:5], v[4:5], -v[179:180]
	s_delay_alu instid0(VALU_DEP_2) | instskip(SKIP_2) | instid1(VALU_DEP_2)
	v_fma_f64 v[100:101], v[102:103], v[32:33], v[100:101]
	s_waitcnt lgkmcnt(0)
	v_mul_f64 v[102:103], v[119:120], v[241:242]
	v_add_f64 v[6:7], v[6:7], -v[100:101]
	s_delay_alu instid0(VALU_DEP_2) | instskip(SKIP_1) | instid1(VALU_DEP_2)
	v_fma_f64 v[102:103], v[117:118], v[32:33], -v[102:103]
	v_mul_f64 v[117:118], v[117:118], v[241:242]
	v_add_f64 v[0:1], v[0:1], -v[102:103]
	s_delay_alu instid0(VALU_DEP_2) | instskip(NEXT) | instid1(VALU_DEP_1)
	v_fma_f64 v[117:118], v[119:120], v[32:33], v[117:118]
	v_add_f64 v[2:3], v[2:3], -v[117:118]
.LBB48_104:
	s_or_b32 exec_lo, exec_lo, s2
	v_lshl_add_u32 v32, v111, 4, v110
	s_barrier
	buffer_gl0_inv
	v_mov_b32_e32 v108, 5
	ds_store_2addr_b64 v32, v[92:93], v[94:95] offset1:1
	s_waitcnt lgkmcnt(0)
	s_barrier
	buffer_gl0_inv
	ds_load_2addr_b64 v[100:103], v110 offset0:10 offset1:11
	s_cmp_lt_i32 s5, 7
	s_cbranch_scc1 .LBB48_107
; %bb.105:
	v_add3_u32 v109, v255, 0, 0x60
	v_mov_b32_e32 v108, 5
	s_mov_b32 s6, 6
	s_set_inst_prefetch_distance 0x1
	.p2align	6
.LBB48_106:                             ; =>This Inner Loop Header: Depth=1
	ds_load_2addr_b64 v[117:120], v109 offset1:1
	s_waitcnt lgkmcnt(1)
	v_cmp_gt_f64_e32 vcc_lo, 0, v[100:101]
	v_xor_b32_e32 v32, 0x80000000, v101
	v_cmp_gt_f64_e64 s2, 0, v[102:103]
	v_xor_b32_e32 v34, 0x80000000, v103
	v_add_nc_u32_e32 v109, 16, v109
	s_waitcnt lgkmcnt(0)
	v_cmp_gt_f64_e64 s3, 0, v[117:118]
	v_mov_b32_e32 v36, v117
	v_dual_mov_b32 v38, v119 :: v_dual_cndmask_b32 v33, v101, v32
	v_xor_b32_e32 v32, 0x80000000, v118
	v_cndmask_b32_e64 v35, v103, v34, s2
	v_xor_b32_e32 v34, 0x80000000, v120
	s_delay_alu instid0(VALU_DEP_3) | instskip(SKIP_2) | instid1(VALU_DEP_2)
	v_cndmask_b32_e64 v37, v118, v32, s3
	v_cmp_gt_f64_e64 s3, 0, v[119:120]
	v_cndmask_b32_e32 v32, v100, v100, vcc_lo
	v_cndmask_b32_e64 v39, v120, v34, s3
	v_cndmask_b32_e64 v34, v102, v102, s2
	s_delay_alu instid0(VALU_DEP_2) | instskip(NEXT) | instid1(VALU_DEP_2)
	v_add_f64 v[36:37], v[36:37], v[38:39]
	v_add_f64 v[32:33], v[32:33], v[34:35]
	s_delay_alu instid0(VALU_DEP_1) | instskip(SKIP_4) | instid1(SALU_CYCLE_1)
	v_cmp_lt_f64_e32 vcc_lo, v[32:33], v[36:37]
	v_dual_cndmask_b32 v101, v101, v118 :: v_dual_cndmask_b32 v100, v100, v117
	v_dual_cndmask_b32 v103, v103, v120 :: v_dual_cndmask_b32 v102, v102, v119
	v_cndmask_b32_e64 v108, v108, s6, vcc_lo
	s_add_i32 s6, s6, 1
	s_cmp_lg_u32 s5, s6
	s_cbranch_scc1 .LBB48_106
.LBB48_107:
	s_set_inst_prefetch_distance 0x2
	s_waitcnt lgkmcnt(0)
	v_cmp_eq_f64_e32 vcc_lo, 0, v[100:101]
	v_cmp_eq_f64_e64 s2, 0, v[102:103]
	s_delay_alu instid0(VALU_DEP_1) | instskip(NEXT) | instid1(SALU_CYCLE_1)
	s_and_b32 s2, vcc_lo, s2
	s_and_saveexec_b32 s3, s2
	s_delay_alu instid0(SALU_CYCLE_1)
	s_xor_b32 s2, exec_lo, s3
	s_cbranch_execz .LBB48_109
; %bb.108:
	scratch_load_b32 v32, off, off          ; 4-byte Folded Reload
	s_waitcnt vmcnt(0)
	v_cmp_ne_u32_e32 vcc_lo, 0, v32
	v_cndmask_b32_e32 v32, 6, v32, vcc_lo
	scratch_store_b32 off, v32, off         ; 4-byte Folded Spill
.LBB48_109:
	s_and_not1_saveexec_b32 s3, s2
	s_cbranch_execz .LBB48_115
; %bb.110:
	v_cmp_gt_f64_e32 vcc_lo, 0, v[100:101]
	v_cmp_gt_f64_e64 s2, 0, v[102:103]
	v_xor_b32_e32 v32, 0x80000000, v101
	v_xor_b32_e32 v34, 0x80000000, v103
	s_delay_alu instid0(VALU_DEP_2) | instskip(NEXT) | instid1(VALU_DEP_2)
	v_cndmask_b32_e32 v33, v101, v32, vcc_lo
	v_cndmask_b32_e64 v35, v103, v34, s2
	v_cndmask_b32_e32 v32, v100, v100, vcc_lo
	v_cndmask_b32_e64 v34, v102, v102, s2
	s_mov_b32 s2, exec_lo
	s_delay_alu instid0(VALU_DEP_1)
	v_cmpx_ngt_f64_e32 v[32:33], v[34:35]
	s_xor_b32 s2, exec_lo, s2
	s_cbranch_execz .LBB48_112
; %bb.111:
	v_div_scale_f64 v[32:33], null, v[102:103], v[102:103], v[100:101]
	v_div_scale_f64 v[38:39], vcc_lo, v[100:101], v[102:103], v[100:101]
	s_delay_alu instid0(VALU_DEP_2) | instskip(SKIP_2) | instid1(VALU_DEP_1)
	v_rcp_f64_e32 v[34:35], v[32:33]
	s_waitcnt_depctr 0xfff
	v_fma_f64 v[36:37], -v[32:33], v[34:35], 1.0
	v_fma_f64 v[34:35], v[34:35], v[36:37], v[34:35]
	s_delay_alu instid0(VALU_DEP_1) | instskip(NEXT) | instid1(VALU_DEP_1)
	v_fma_f64 v[36:37], -v[32:33], v[34:35], 1.0
	v_fma_f64 v[34:35], v[34:35], v[36:37], v[34:35]
	s_delay_alu instid0(VALU_DEP_1) | instskip(NEXT) | instid1(VALU_DEP_1)
	v_mul_f64 v[36:37], v[38:39], v[34:35]
	v_fma_f64 v[32:33], -v[32:33], v[36:37], v[38:39]
	s_delay_alu instid0(VALU_DEP_1) | instskip(NEXT) | instid1(VALU_DEP_1)
	v_div_fmas_f64 v[32:33], v[32:33], v[34:35], v[36:37]
	v_div_fixup_f64 v[32:33], v[32:33], v[102:103], v[100:101]
	s_delay_alu instid0(VALU_DEP_1) | instskip(NEXT) | instid1(VALU_DEP_1)
	v_fma_f64 v[34:35], v[100:101], v[32:33], v[102:103]
	v_div_scale_f64 v[36:37], null, v[34:35], v[34:35], 1.0
	s_delay_alu instid0(VALU_DEP_1) | instskip(SKIP_2) | instid1(VALU_DEP_1)
	v_rcp_f64_e32 v[38:39], v[36:37]
	s_waitcnt_depctr 0xfff
	v_fma_f64 v[100:101], -v[36:37], v[38:39], 1.0
	v_fma_f64 v[38:39], v[38:39], v[100:101], v[38:39]
	s_delay_alu instid0(VALU_DEP_1) | instskip(NEXT) | instid1(VALU_DEP_1)
	v_fma_f64 v[100:101], -v[36:37], v[38:39], 1.0
	v_fma_f64 v[38:39], v[38:39], v[100:101], v[38:39]
	v_div_scale_f64 v[100:101], vcc_lo, 1.0, v[34:35], 1.0
	s_delay_alu instid0(VALU_DEP_1) | instskip(NEXT) | instid1(VALU_DEP_1)
	v_mul_f64 v[102:103], v[100:101], v[38:39]
	v_fma_f64 v[36:37], -v[36:37], v[102:103], v[100:101]
	s_delay_alu instid0(VALU_DEP_1) | instskip(NEXT) | instid1(VALU_DEP_1)
	v_div_fmas_f64 v[36:37], v[36:37], v[38:39], v[102:103]
	v_div_fixup_f64 v[102:103], v[36:37], v[34:35], 1.0
	s_delay_alu instid0(VALU_DEP_1)
	v_mul_f64 v[100:101], v[32:33], v[102:103]
	v_xor_b32_e32 v103, 0x80000000, v103
.LBB48_112:
	s_and_not1_saveexec_b32 s2, s2
	s_cbranch_execz .LBB48_114
; %bb.113:
	s_delay_alu instid0(VALU_DEP_1) | instskip(SKIP_1) | instid1(VALU_DEP_2)
	v_div_scale_f64 v[32:33], null, v[100:101], v[100:101], v[102:103]
	v_div_scale_f64 v[38:39], vcc_lo, v[102:103], v[100:101], v[102:103]
	v_rcp_f64_e32 v[34:35], v[32:33]
	s_waitcnt_depctr 0xfff
	v_fma_f64 v[36:37], -v[32:33], v[34:35], 1.0
	s_delay_alu instid0(VALU_DEP_1) | instskip(NEXT) | instid1(VALU_DEP_1)
	v_fma_f64 v[34:35], v[34:35], v[36:37], v[34:35]
	v_fma_f64 v[36:37], -v[32:33], v[34:35], 1.0
	s_delay_alu instid0(VALU_DEP_1) | instskip(NEXT) | instid1(VALU_DEP_1)
	v_fma_f64 v[34:35], v[34:35], v[36:37], v[34:35]
	v_mul_f64 v[36:37], v[38:39], v[34:35]
	s_delay_alu instid0(VALU_DEP_1) | instskip(NEXT) | instid1(VALU_DEP_1)
	v_fma_f64 v[32:33], -v[32:33], v[36:37], v[38:39]
	v_div_fmas_f64 v[32:33], v[32:33], v[34:35], v[36:37]
	s_delay_alu instid0(VALU_DEP_1) | instskip(NEXT) | instid1(VALU_DEP_1)
	v_div_fixup_f64 v[32:33], v[32:33], v[100:101], v[102:103]
	v_fma_f64 v[34:35], v[102:103], v[32:33], v[100:101]
	s_delay_alu instid0(VALU_DEP_1) | instskip(NEXT) | instid1(VALU_DEP_1)
	v_div_scale_f64 v[36:37], null, v[34:35], v[34:35], 1.0
	v_rcp_f64_e32 v[38:39], v[36:37]
	s_waitcnt_depctr 0xfff
	v_fma_f64 v[100:101], -v[36:37], v[38:39], 1.0
	s_delay_alu instid0(VALU_DEP_1) | instskip(NEXT) | instid1(VALU_DEP_1)
	v_fma_f64 v[38:39], v[38:39], v[100:101], v[38:39]
	v_fma_f64 v[100:101], -v[36:37], v[38:39], 1.0
	s_delay_alu instid0(VALU_DEP_1) | instskip(SKIP_1) | instid1(VALU_DEP_1)
	v_fma_f64 v[38:39], v[38:39], v[100:101], v[38:39]
	v_div_scale_f64 v[100:101], vcc_lo, 1.0, v[34:35], 1.0
	v_mul_f64 v[102:103], v[100:101], v[38:39]
	s_delay_alu instid0(VALU_DEP_1) | instskip(NEXT) | instid1(VALU_DEP_1)
	v_fma_f64 v[36:37], -v[36:37], v[102:103], v[100:101]
	v_div_fmas_f64 v[36:37], v[36:37], v[38:39], v[102:103]
	s_delay_alu instid0(VALU_DEP_1) | instskip(NEXT) | instid1(VALU_DEP_1)
	v_div_fixup_f64 v[100:101], v[36:37], v[34:35], 1.0
	v_mul_f64 v[102:103], v[32:33], -v[100:101]
.LBB48_114:
	s_or_b32 exec_lo, exec_lo, s2
.LBB48_115:
	s_delay_alu instid0(SALU_CYCLE_1) | instskip(NEXT) | instid1(SALU_CYCLE_1)
	s_or_b32 exec_lo, exec_lo, s3
	s_mov_b32 s2, exec_lo
	v_cmpx_ne_u32_e64 v111, v108
	s_xor_b32 s2, exec_lo, s2
	s_cbranch_execz .LBB48_121
; %bb.116:
	s_mov_b32 s3, exec_lo
	v_cmpx_eq_u32_e32 5, v111
	s_cbranch_execz .LBB48_120
; %bb.117:
	v_cmp_ne_u32_e32 vcc_lo, 5, v108
	s_xor_b32 s6, s4, -1
	s_delay_alu instid0(SALU_CYCLE_1) | instskip(NEXT) | instid1(SALU_CYCLE_1)
	s_and_b32 s7, s6, vcc_lo
	s_and_saveexec_b32 s6, s7
	s_cbranch_execz .LBB48_119
; %bb.118:
	v_ashrrev_i32_e32 v109, 31, v108
	s_delay_alu instid0(VALU_DEP_1) | instskip(NEXT) | instid1(VALU_DEP_1)
	v_lshlrev_b64 v[32:33], 2, v[108:109]
	v_add_co_u32 v32, vcc_lo, v78, v32
	s_delay_alu instid0(VALU_DEP_2)
	v_add_co_ci_u32_e32 v33, vcc_lo, v79, v33, vcc_lo
	s_clause 0x1
	flat_load_b32 v34, v[32:33]
	flat_load_b32 v35, v[78:79] offset:20
	s_waitcnt vmcnt(1) lgkmcnt(1)
	flat_store_b32 v[78:79], v34 offset:20
	s_waitcnt vmcnt(0) lgkmcnt(1)
	flat_store_b32 v[32:33], v35
.LBB48_119:
	s_or_b32 exec_lo, exec_lo, s6
	v_mov_b32_e32 v111, v108
	v_mov_b32_e32 v247, v108
.LBB48_120:
	s_or_b32 exec_lo, exec_lo, s3
.LBB48_121:
	s_and_not1_saveexec_b32 s2, s2
	s_cbranch_execz .LBB48_123
; %bb.122:
	v_mov_b32_e32 v111, 5
	ds_store_2addr_b64 v110, v[84:85], v[86:87] offset0:12 offset1:13
	ds_store_2addr_b64 v110, v[80:81], v[82:83] offset0:14 offset1:15
	;; [unrolled: 1-line block ×19, first 2 shown]
.LBB48_123:
	s_or_b32 exec_lo, exec_lo, s2
	s_delay_alu instid0(SALU_CYCLE_1)
	s_mov_b32 s2, exec_lo
	s_waitcnt lgkmcnt(0)
	s_waitcnt_vscnt null, 0x0
	s_barrier
	buffer_gl0_inv
	v_cmpx_lt_i32_e32 5, v111
	s_cbranch_execz .LBB48_125
; %bb.124:
	v_mul_f64 v[34:35], v[100:101], v[94:95]
	v_mul_f64 v[32:33], v[102:103], v[94:95]
	s_delay_alu instid0(VALU_DEP_2) | instskip(NEXT) | instid1(VALU_DEP_2)
	v_fma_f64 v[94:95], v[102:103], v[92:93], v[34:35]
	v_fma_f64 v[32:33], v[100:101], v[92:93], -v[32:33]
	ds_load_2addr_b64 v[100:103], v110 offset0:12 offset1:13
	ds_load_2addr_b64 v[117:120], v110 offset0:14 offset1:15
	s_waitcnt lgkmcnt(1)
	v_mul_f64 v[34:35], v[102:103], v[94:95]
	v_mul_f64 v[36:37], v[100:101], v[94:95]
	s_waitcnt lgkmcnt(0)
	v_mul_f64 v[38:39], v[119:120], v[94:95]
	v_mul_f64 v[76:77], v[117:118], v[94:95]
	v_dual_mov_b32 v93, v33 :: v_dual_mov_b32 v92, v32
	v_fma_f64 v[34:35], v[100:101], v[32:33], -v[34:35]
	v_fma_f64 v[36:37], v[102:103], v[32:33], v[36:37]
	v_fma_f64 v[38:39], v[117:118], v[32:33], -v[38:39]
	v_fma_f64 v[76:77], v[119:120], v[32:33], v[76:77]
	ds_load_2addr_b64 v[100:103], v110 offset0:16 offset1:17
	ds_load_2addr_b64 v[117:120], v110 offset0:18 offset1:19
	s_waitcnt lgkmcnt(1)
	v_mul_f64 v[104:105], v[102:103], v[94:95]
	v_add_f64 v[84:85], v[84:85], -v[34:35]
	v_add_f64 v[86:87], v[86:87], -v[36:37]
	;; [unrolled: 1-line block ×4, first 2 shown]
	v_fma_f64 v[104:105], v[100:101], v[32:33], -v[104:105]
	v_mul_f64 v[100:101], v[100:101], v[94:95]
	s_delay_alu instid0(VALU_DEP_2) | instskip(NEXT) | instid1(VALU_DEP_2)
	v_add_f64 v[72:73], v[72:73], -v[104:105]
	v_fma_f64 v[106:107], v[102:103], v[32:33], v[100:101]
	s_waitcnt lgkmcnt(0)
	v_mul_f64 v[100:101], v[119:120], v[94:95]
	s_delay_alu instid0(VALU_DEP_2) | instskip(NEXT) | instid1(VALU_DEP_2)
	v_add_f64 v[74:75], v[74:75], -v[106:107]
	v_fma_f64 v[108:109], v[117:118], v[32:33], -v[100:101]
	v_mul_f64 v[100:101], v[117:118], v[94:95]
	s_delay_alu instid0(VALU_DEP_2) | instskip(NEXT) | instid1(VALU_DEP_2)
	v_add_f64 v[68:69], v[68:69], -v[108:109]
	v_fma_f64 v[121:122], v[119:120], v[32:33], v[100:101]
	ds_load_2addr_b64 v[100:103], v110 offset0:20 offset1:21
	ds_load_2addr_b64 v[117:120], v110 offset0:22 offset1:23
	s_waitcnt lgkmcnt(1)
	v_mul_f64 v[123:124], v[102:103], v[94:95]
	v_add_f64 v[70:71], v[70:71], -v[121:122]
	s_delay_alu instid0(VALU_DEP_2) | instskip(SKIP_1) | instid1(VALU_DEP_2)
	v_fma_f64 v[123:124], v[100:101], v[32:33], -v[123:124]
	v_mul_f64 v[100:101], v[100:101], v[94:95]
	v_add_f64 v[60:61], v[60:61], -v[123:124]
	s_delay_alu instid0(VALU_DEP_2) | instskip(SKIP_2) | instid1(VALU_DEP_2)
	v_fma_f64 v[125:126], v[102:103], v[32:33], v[100:101]
	s_waitcnt lgkmcnt(0)
	v_mul_f64 v[100:101], v[119:120], v[94:95]
	v_add_f64 v[62:63], v[62:63], -v[125:126]
	s_delay_alu instid0(VALU_DEP_2) | instskip(SKIP_1) | instid1(VALU_DEP_2)
	v_fma_f64 v[127:128], v[117:118], v[32:33], -v[100:101]
	v_mul_f64 v[100:101], v[117:118], v[94:95]
	v_add_f64 v[56:57], v[56:57], -v[127:128]
	s_delay_alu instid0(VALU_DEP_2)
	v_fma_f64 v[129:130], v[119:120], v[32:33], v[100:101]
	ds_load_2addr_b64 v[100:103], v110 offset0:24 offset1:25
	ds_load_2addr_b64 v[117:120], v110 offset0:26 offset1:27
	s_waitcnt lgkmcnt(1)
	v_mul_f64 v[131:132], v[102:103], v[94:95]
	v_add_f64 v[58:59], v[58:59], -v[129:130]
	s_delay_alu instid0(VALU_DEP_2) | instskip(SKIP_1) | instid1(VALU_DEP_2)
	v_fma_f64 v[131:132], v[100:101], v[32:33], -v[131:132]
	v_mul_f64 v[100:101], v[100:101], v[94:95]
	v_add_f64 v[64:65], v[64:65], -v[131:132]
	s_delay_alu instid0(VALU_DEP_2) | instskip(SKIP_2) | instid1(VALU_DEP_2)
	v_fma_f64 v[133:134], v[102:103], v[32:33], v[100:101]
	s_waitcnt lgkmcnt(0)
	v_mul_f64 v[100:101], v[119:120], v[94:95]
	v_add_f64 v[66:67], v[66:67], -v[133:134]
	s_delay_alu instid0(VALU_DEP_2) | instskip(SKIP_1) | instid1(VALU_DEP_2)
	v_fma_f64 v[135:136], v[117:118], v[32:33], -v[100:101]
	v_mul_f64 v[100:101], v[117:118], v[94:95]
	v_add_f64 v[40:41], v[40:41], -v[135:136]
	s_delay_alu instid0(VALU_DEP_2)
	;; [unrolled: 20-line block ×6, first 2 shown]
	v_fma_f64 v[169:170], v[119:120], v[32:33], v[100:101]
	ds_load_2addr_b64 v[100:103], v110 offset0:44 offset1:45
	ds_load_2addr_b64 v[117:120], v110 offset0:46 offset1:47
	s_waitcnt lgkmcnt(1)
	v_mul_f64 v[171:172], v[102:103], v[94:95]
	v_add_f64 v[14:15], v[14:15], -v[169:170]
	s_delay_alu instid0(VALU_DEP_2) | instskip(SKIP_1) | instid1(VALU_DEP_2)
	v_fma_f64 v[171:172], v[100:101], v[32:33], -v[171:172]
	v_mul_f64 v[100:101], v[100:101], v[94:95]
	v_add_f64 v[8:9], v[8:9], -v[171:172]
	s_delay_alu instid0(VALU_DEP_2) | instskip(SKIP_2) | instid1(VALU_DEP_2)
	v_fma_f64 v[173:174], v[102:103], v[32:33], v[100:101]
	s_waitcnt lgkmcnt(0)
	v_mul_f64 v[100:101], v[119:120], v[94:95]
	v_add_f64 v[10:11], v[10:11], -v[173:174]
	s_delay_alu instid0(VALU_DEP_2) | instskip(SKIP_1) | instid1(VALU_DEP_2)
	v_fma_f64 v[175:176], v[117:118], v[32:33], -v[100:101]
	v_mul_f64 v[100:101], v[117:118], v[94:95]
	v_add_f64 v[4:5], v[4:5], -v[175:176]
	s_delay_alu instid0(VALU_DEP_2) | instskip(SKIP_4) | instid1(VALU_DEP_2)
	v_fma_f64 v[117:118], v[119:120], v[32:33], v[100:101]
	ds_load_2addr_b64 v[100:103], v110 offset0:48 offset1:49
	s_waitcnt lgkmcnt(0)
	v_mul_f64 v[119:120], v[102:103], v[94:95]
	v_add_f64 v[6:7], v[6:7], -v[117:118]
	v_fma_f64 v[119:120], v[100:101], v[32:33], -v[119:120]
	v_mul_f64 v[100:101], v[100:101], v[94:95]
	s_delay_alu instid0(VALU_DEP_2) | instskip(NEXT) | instid1(VALU_DEP_2)
	v_add_f64 v[0:1], v[0:1], -v[119:120]
	v_fma_f64 v[100:101], v[102:103], v[32:33], v[100:101]
	s_delay_alu instid0(VALU_DEP_1)
	v_add_f64 v[2:3], v[2:3], -v[100:101]
.LBB48_125:
	s_or_b32 exec_lo, exec_lo, s2
	v_lshl_add_u32 v32, v111, 4, v110
	s_barrier
	buffer_gl0_inv
	v_mov_b32_e32 v108, 6
	ds_store_2addr_b64 v32, v[84:85], v[86:87] offset1:1
	s_waitcnt lgkmcnt(0)
	s_barrier
	buffer_gl0_inv
	ds_load_2addr_b64 v[100:103], v110 offset0:12 offset1:13
	s_cmp_lt_i32 s5, 8
	s_cbranch_scc1 .LBB48_128
; %bb.126:
	v_add3_u32 v109, v255, 0, 0x70
	v_mov_b32_e32 v108, 6
	s_mov_b32 s6, 7
	s_set_inst_prefetch_distance 0x1
	.p2align	6
.LBB48_127:                             ; =>This Inner Loop Header: Depth=1
	ds_load_2addr_b64 v[117:120], v109 offset1:1
	s_waitcnt lgkmcnt(1)
	v_cmp_gt_f64_e32 vcc_lo, 0, v[100:101]
	v_xor_b32_e32 v32, 0x80000000, v101
	v_cmp_gt_f64_e64 s2, 0, v[102:103]
	v_xor_b32_e32 v34, 0x80000000, v103
	v_add_nc_u32_e32 v109, 16, v109
	s_waitcnt lgkmcnt(0)
	v_cmp_gt_f64_e64 s3, 0, v[117:118]
	v_mov_b32_e32 v36, v117
	v_dual_mov_b32 v38, v119 :: v_dual_cndmask_b32 v33, v101, v32
	v_xor_b32_e32 v32, 0x80000000, v118
	v_cndmask_b32_e64 v35, v103, v34, s2
	v_xor_b32_e32 v34, 0x80000000, v120
	s_delay_alu instid0(VALU_DEP_3) | instskip(SKIP_2) | instid1(VALU_DEP_2)
	v_cndmask_b32_e64 v37, v118, v32, s3
	v_cmp_gt_f64_e64 s3, 0, v[119:120]
	v_cndmask_b32_e32 v32, v100, v100, vcc_lo
	v_cndmask_b32_e64 v39, v120, v34, s3
	v_cndmask_b32_e64 v34, v102, v102, s2
	s_delay_alu instid0(VALU_DEP_2) | instskip(NEXT) | instid1(VALU_DEP_2)
	v_add_f64 v[36:37], v[36:37], v[38:39]
	v_add_f64 v[32:33], v[32:33], v[34:35]
	s_delay_alu instid0(VALU_DEP_1) | instskip(SKIP_4) | instid1(SALU_CYCLE_1)
	v_cmp_lt_f64_e32 vcc_lo, v[32:33], v[36:37]
	v_dual_cndmask_b32 v101, v101, v118 :: v_dual_cndmask_b32 v100, v100, v117
	v_dual_cndmask_b32 v103, v103, v120 :: v_dual_cndmask_b32 v102, v102, v119
	v_cndmask_b32_e64 v108, v108, s6, vcc_lo
	s_add_i32 s6, s6, 1
	s_cmp_lg_u32 s5, s6
	s_cbranch_scc1 .LBB48_127
.LBB48_128:
	s_set_inst_prefetch_distance 0x2
	s_waitcnt lgkmcnt(0)
	v_cmp_eq_f64_e32 vcc_lo, 0, v[100:101]
	v_cmp_eq_f64_e64 s2, 0, v[102:103]
	s_delay_alu instid0(VALU_DEP_1) | instskip(NEXT) | instid1(SALU_CYCLE_1)
	s_and_b32 s2, vcc_lo, s2
	s_and_saveexec_b32 s3, s2
	s_delay_alu instid0(SALU_CYCLE_1)
	s_xor_b32 s2, exec_lo, s3
	s_cbranch_execz .LBB48_130
; %bb.129:
	scratch_load_b32 v32, off, off          ; 4-byte Folded Reload
	s_waitcnt vmcnt(0)
	v_cmp_ne_u32_e32 vcc_lo, 0, v32
	v_cndmask_b32_e32 v32, 7, v32, vcc_lo
	scratch_store_b32 off, v32, off         ; 4-byte Folded Spill
.LBB48_130:
	s_and_not1_saveexec_b32 s3, s2
	s_cbranch_execz .LBB48_136
; %bb.131:
	v_cmp_gt_f64_e32 vcc_lo, 0, v[100:101]
	v_cmp_gt_f64_e64 s2, 0, v[102:103]
	v_xor_b32_e32 v32, 0x80000000, v101
	v_xor_b32_e32 v34, 0x80000000, v103
	s_delay_alu instid0(VALU_DEP_2) | instskip(NEXT) | instid1(VALU_DEP_2)
	v_cndmask_b32_e32 v33, v101, v32, vcc_lo
	v_cndmask_b32_e64 v35, v103, v34, s2
	v_cndmask_b32_e32 v32, v100, v100, vcc_lo
	v_cndmask_b32_e64 v34, v102, v102, s2
	s_mov_b32 s2, exec_lo
	s_delay_alu instid0(VALU_DEP_1)
	v_cmpx_ngt_f64_e32 v[32:33], v[34:35]
	s_xor_b32 s2, exec_lo, s2
	s_cbranch_execz .LBB48_133
; %bb.132:
	v_div_scale_f64 v[32:33], null, v[102:103], v[102:103], v[100:101]
	v_div_scale_f64 v[38:39], vcc_lo, v[100:101], v[102:103], v[100:101]
	s_delay_alu instid0(VALU_DEP_2) | instskip(SKIP_2) | instid1(VALU_DEP_1)
	v_rcp_f64_e32 v[34:35], v[32:33]
	s_waitcnt_depctr 0xfff
	v_fma_f64 v[36:37], -v[32:33], v[34:35], 1.0
	v_fma_f64 v[34:35], v[34:35], v[36:37], v[34:35]
	s_delay_alu instid0(VALU_DEP_1) | instskip(NEXT) | instid1(VALU_DEP_1)
	v_fma_f64 v[36:37], -v[32:33], v[34:35], 1.0
	v_fma_f64 v[34:35], v[34:35], v[36:37], v[34:35]
	s_delay_alu instid0(VALU_DEP_1) | instskip(NEXT) | instid1(VALU_DEP_1)
	v_mul_f64 v[36:37], v[38:39], v[34:35]
	v_fma_f64 v[32:33], -v[32:33], v[36:37], v[38:39]
	s_delay_alu instid0(VALU_DEP_1) | instskip(NEXT) | instid1(VALU_DEP_1)
	v_div_fmas_f64 v[32:33], v[32:33], v[34:35], v[36:37]
	v_div_fixup_f64 v[32:33], v[32:33], v[102:103], v[100:101]
	s_delay_alu instid0(VALU_DEP_1) | instskip(NEXT) | instid1(VALU_DEP_1)
	v_fma_f64 v[34:35], v[100:101], v[32:33], v[102:103]
	v_div_scale_f64 v[36:37], null, v[34:35], v[34:35], 1.0
	s_delay_alu instid0(VALU_DEP_1) | instskip(SKIP_2) | instid1(VALU_DEP_1)
	v_rcp_f64_e32 v[38:39], v[36:37]
	s_waitcnt_depctr 0xfff
	v_fma_f64 v[100:101], -v[36:37], v[38:39], 1.0
	v_fma_f64 v[38:39], v[38:39], v[100:101], v[38:39]
	s_delay_alu instid0(VALU_DEP_1) | instskip(NEXT) | instid1(VALU_DEP_1)
	v_fma_f64 v[100:101], -v[36:37], v[38:39], 1.0
	v_fma_f64 v[38:39], v[38:39], v[100:101], v[38:39]
	v_div_scale_f64 v[100:101], vcc_lo, 1.0, v[34:35], 1.0
	s_delay_alu instid0(VALU_DEP_1) | instskip(NEXT) | instid1(VALU_DEP_1)
	v_mul_f64 v[102:103], v[100:101], v[38:39]
	v_fma_f64 v[36:37], -v[36:37], v[102:103], v[100:101]
	s_delay_alu instid0(VALU_DEP_1) | instskip(NEXT) | instid1(VALU_DEP_1)
	v_div_fmas_f64 v[36:37], v[36:37], v[38:39], v[102:103]
	v_div_fixup_f64 v[102:103], v[36:37], v[34:35], 1.0
	s_delay_alu instid0(VALU_DEP_1)
	v_mul_f64 v[100:101], v[32:33], v[102:103]
	v_xor_b32_e32 v103, 0x80000000, v103
.LBB48_133:
	s_and_not1_saveexec_b32 s2, s2
	s_cbranch_execz .LBB48_135
; %bb.134:
	s_delay_alu instid0(VALU_DEP_1) | instskip(SKIP_1) | instid1(VALU_DEP_2)
	v_div_scale_f64 v[32:33], null, v[100:101], v[100:101], v[102:103]
	v_div_scale_f64 v[38:39], vcc_lo, v[102:103], v[100:101], v[102:103]
	v_rcp_f64_e32 v[34:35], v[32:33]
	s_waitcnt_depctr 0xfff
	v_fma_f64 v[36:37], -v[32:33], v[34:35], 1.0
	s_delay_alu instid0(VALU_DEP_1) | instskip(NEXT) | instid1(VALU_DEP_1)
	v_fma_f64 v[34:35], v[34:35], v[36:37], v[34:35]
	v_fma_f64 v[36:37], -v[32:33], v[34:35], 1.0
	s_delay_alu instid0(VALU_DEP_1) | instskip(NEXT) | instid1(VALU_DEP_1)
	v_fma_f64 v[34:35], v[34:35], v[36:37], v[34:35]
	v_mul_f64 v[36:37], v[38:39], v[34:35]
	s_delay_alu instid0(VALU_DEP_1) | instskip(NEXT) | instid1(VALU_DEP_1)
	v_fma_f64 v[32:33], -v[32:33], v[36:37], v[38:39]
	v_div_fmas_f64 v[32:33], v[32:33], v[34:35], v[36:37]
	s_delay_alu instid0(VALU_DEP_1) | instskip(NEXT) | instid1(VALU_DEP_1)
	v_div_fixup_f64 v[32:33], v[32:33], v[100:101], v[102:103]
	v_fma_f64 v[34:35], v[102:103], v[32:33], v[100:101]
	s_delay_alu instid0(VALU_DEP_1) | instskip(NEXT) | instid1(VALU_DEP_1)
	v_div_scale_f64 v[36:37], null, v[34:35], v[34:35], 1.0
	v_rcp_f64_e32 v[38:39], v[36:37]
	s_waitcnt_depctr 0xfff
	v_fma_f64 v[100:101], -v[36:37], v[38:39], 1.0
	s_delay_alu instid0(VALU_DEP_1) | instskip(NEXT) | instid1(VALU_DEP_1)
	v_fma_f64 v[38:39], v[38:39], v[100:101], v[38:39]
	v_fma_f64 v[100:101], -v[36:37], v[38:39], 1.0
	s_delay_alu instid0(VALU_DEP_1) | instskip(SKIP_1) | instid1(VALU_DEP_1)
	v_fma_f64 v[38:39], v[38:39], v[100:101], v[38:39]
	v_div_scale_f64 v[100:101], vcc_lo, 1.0, v[34:35], 1.0
	v_mul_f64 v[102:103], v[100:101], v[38:39]
	s_delay_alu instid0(VALU_DEP_1) | instskip(NEXT) | instid1(VALU_DEP_1)
	v_fma_f64 v[36:37], -v[36:37], v[102:103], v[100:101]
	v_div_fmas_f64 v[36:37], v[36:37], v[38:39], v[102:103]
	s_delay_alu instid0(VALU_DEP_1) | instskip(NEXT) | instid1(VALU_DEP_1)
	v_div_fixup_f64 v[100:101], v[36:37], v[34:35], 1.0
	v_mul_f64 v[102:103], v[32:33], -v[100:101]
.LBB48_135:
	s_or_b32 exec_lo, exec_lo, s2
.LBB48_136:
	s_delay_alu instid0(SALU_CYCLE_1) | instskip(NEXT) | instid1(SALU_CYCLE_1)
	s_or_b32 exec_lo, exec_lo, s3
	s_mov_b32 s2, exec_lo
	v_cmpx_ne_u32_e64 v111, v108
	s_xor_b32 s2, exec_lo, s2
	s_cbranch_execz .LBB48_142
; %bb.137:
	s_mov_b32 s3, exec_lo
	v_cmpx_eq_u32_e32 6, v111
	s_cbranch_execz .LBB48_141
; %bb.138:
	v_cmp_ne_u32_e32 vcc_lo, 6, v108
	s_xor_b32 s6, s4, -1
	s_delay_alu instid0(SALU_CYCLE_1) | instskip(NEXT) | instid1(SALU_CYCLE_1)
	s_and_b32 s7, s6, vcc_lo
	s_and_saveexec_b32 s6, s7
	s_cbranch_execz .LBB48_140
; %bb.139:
	v_ashrrev_i32_e32 v109, 31, v108
	s_delay_alu instid0(VALU_DEP_1) | instskip(NEXT) | instid1(VALU_DEP_1)
	v_lshlrev_b64 v[32:33], 2, v[108:109]
	v_add_co_u32 v32, vcc_lo, v78, v32
	s_delay_alu instid0(VALU_DEP_2)
	v_add_co_ci_u32_e32 v33, vcc_lo, v79, v33, vcc_lo
	s_clause 0x1
	flat_load_b32 v34, v[32:33]
	flat_load_b32 v35, v[78:79] offset:24
	s_waitcnt vmcnt(1) lgkmcnt(1)
	flat_store_b32 v[78:79], v34 offset:24
	s_waitcnt vmcnt(0) lgkmcnt(1)
	flat_store_b32 v[32:33], v35
.LBB48_140:
	s_or_b32 exec_lo, exec_lo, s6
	v_mov_b32_e32 v111, v108
	v_mov_b32_e32 v247, v108
.LBB48_141:
	s_or_b32 exec_lo, exec_lo, s3
.LBB48_142:
	s_and_not1_saveexec_b32 s2, s2
	s_cbranch_execz .LBB48_144
; %bb.143:
	v_mov_b32_e32 v111, 6
	ds_store_2addr_b64 v110, v[80:81], v[82:83] offset0:14 offset1:15
	ds_store_2addr_b64 v110, v[72:73], v[74:75] offset0:16 offset1:17
	;; [unrolled: 1-line block ×18, first 2 shown]
.LBB48_144:
	s_or_b32 exec_lo, exec_lo, s2
	s_delay_alu instid0(SALU_CYCLE_1)
	s_mov_b32 s2, exec_lo
	s_waitcnt lgkmcnt(0)
	s_waitcnt_vscnt null, 0x0
	s_barrier
	buffer_gl0_inv
	v_cmpx_lt_i32_e32 6, v111
	s_cbranch_execz .LBB48_146
; %bb.145:
	v_mul_f64 v[34:35], v[100:101], v[86:87]
	v_mul_f64 v[32:33], v[102:103], v[86:87]
	s_delay_alu instid0(VALU_DEP_2) | instskip(NEXT) | instid1(VALU_DEP_2)
	v_fma_f64 v[86:87], v[102:103], v[84:85], v[34:35]
	v_fma_f64 v[32:33], v[100:101], v[84:85], -v[32:33]
	ds_load_2addr_b64 v[100:103], v110 offset0:14 offset1:15
	ds_load_2addr_b64 v[117:120], v110 offset0:16 offset1:17
	s_waitcnt lgkmcnt(1)
	v_mul_f64 v[34:35], v[102:103], v[86:87]
	v_mul_f64 v[36:37], v[100:101], v[86:87]
	s_waitcnt lgkmcnt(0)
	v_mul_f64 v[38:39], v[119:120], v[86:87]
	v_mul_f64 v[84:85], v[117:118], v[86:87]
	s_delay_alu instid0(VALU_DEP_4) | instskip(NEXT) | instid1(VALU_DEP_4)
	v_fma_f64 v[34:35], v[100:101], v[32:33], -v[34:35]
	v_fma_f64 v[36:37], v[102:103], v[32:33], v[36:37]
	s_delay_alu instid0(VALU_DEP_4) | instskip(NEXT) | instid1(VALU_DEP_4)
	v_fma_f64 v[38:39], v[117:118], v[32:33], -v[38:39]
	v_fma_f64 v[84:85], v[119:120], v[32:33], v[84:85]
	ds_load_2addr_b64 v[100:103], v110 offset0:18 offset1:19
	ds_load_2addr_b64 v[117:120], v110 offset0:20 offset1:21
	s_waitcnt lgkmcnt(1)
	v_mul_f64 v[104:105], v[102:103], v[86:87]
	v_add_f64 v[80:81], v[80:81], -v[34:35]
	v_add_f64 v[82:83], v[82:83], -v[36:37]
	;; [unrolled: 1-line block ×4, first 2 shown]
	v_dual_mov_b32 v85, v33 :: v_dual_mov_b32 v84, v32
	v_fma_f64 v[104:105], v[100:101], v[32:33], -v[104:105]
	v_mul_f64 v[100:101], v[100:101], v[86:87]
	s_delay_alu instid0(VALU_DEP_2) | instskip(NEXT) | instid1(VALU_DEP_2)
	v_add_f64 v[68:69], v[68:69], -v[104:105]
	v_fma_f64 v[106:107], v[102:103], v[32:33], v[100:101]
	s_waitcnt lgkmcnt(0)
	v_mul_f64 v[100:101], v[119:120], v[86:87]
	s_delay_alu instid0(VALU_DEP_2) | instskip(NEXT) | instid1(VALU_DEP_2)
	v_add_f64 v[70:71], v[70:71], -v[106:107]
	v_fma_f64 v[108:109], v[117:118], v[32:33], -v[100:101]
	v_mul_f64 v[100:101], v[117:118], v[86:87]
	s_delay_alu instid0(VALU_DEP_2) | instskip(NEXT) | instid1(VALU_DEP_2)
	v_add_f64 v[60:61], v[60:61], -v[108:109]
	v_fma_f64 v[121:122], v[119:120], v[32:33], v[100:101]
	ds_load_2addr_b64 v[100:103], v110 offset0:22 offset1:23
	ds_load_2addr_b64 v[117:120], v110 offset0:24 offset1:25
	s_waitcnt lgkmcnt(1)
	v_mul_f64 v[123:124], v[102:103], v[86:87]
	v_add_f64 v[62:63], v[62:63], -v[121:122]
	s_delay_alu instid0(VALU_DEP_2) | instskip(SKIP_1) | instid1(VALU_DEP_2)
	v_fma_f64 v[123:124], v[100:101], v[32:33], -v[123:124]
	v_mul_f64 v[100:101], v[100:101], v[86:87]
	v_add_f64 v[56:57], v[56:57], -v[123:124]
	s_delay_alu instid0(VALU_DEP_2) | instskip(SKIP_2) | instid1(VALU_DEP_2)
	v_fma_f64 v[125:126], v[102:103], v[32:33], v[100:101]
	s_waitcnt lgkmcnt(0)
	v_mul_f64 v[100:101], v[119:120], v[86:87]
	v_add_f64 v[58:59], v[58:59], -v[125:126]
	s_delay_alu instid0(VALU_DEP_2) | instskip(SKIP_1) | instid1(VALU_DEP_2)
	v_fma_f64 v[127:128], v[117:118], v[32:33], -v[100:101]
	v_mul_f64 v[100:101], v[117:118], v[86:87]
	v_add_f64 v[64:65], v[64:65], -v[127:128]
	s_delay_alu instid0(VALU_DEP_2)
	v_fma_f64 v[129:130], v[119:120], v[32:33], v[100:101]
	ds_load_2addr_b64 v[100:103], v110 offset0:26 offset1:27
	ds_load_2addr_b64 v[117:120], v110 offset0:28 offset1:29
	s_waitcnt lgkmcnt(1)
	v_mul_f64 v[131:132], v[102:103], v[86:87]
	v_add_f64 v[66:67], v[66:67], -v[129:130]
	s_delay_alu instid0(VALU_DEP_2) | instskip(SKIP_1) | instid1(VALU_DEP_2)
	v_fma_f64 v[131:132], v[100:101], v[32:33], -v[131:132]
	v_mul_f64 v[100:101], v[100:101], v[86:87]
	v_add_f64 v[40:41], v[40:41], -v[131:132]
	s_delay_alu instid0(VALU_DEP_2) | instskip(SKIP_2) | instid1(VALU_DEP_2)
	v_fma_f64 v[133:134], v[102:103], v[32:33], v[100:101]
	s_waitcnt lgkmcnt(0)
	v_mul_f64 v[100:101], v[119:120], v[86:87]
	v_add_f64 v[42:43], v[42:43], -v[133:134]
	s_delay_alu instid0(VALU_DEP_2) | instskip(SKIP_1) | instid1(VALU_DEP_2)
	v_fma_f64 v[135:136], v[117:118], v[32:33], -v[100:101]
	v_mul_f64 v[100:101], v[117:118], v[86:87]
	v_add_f64 v[52:53], v[52:53], -v[135:136]
	s_delay_alu instid0(VALU_DEP_2)
	;; [unrolled: 20-line block ×6, first 2 shown]
	v_fma_f64 v[169:170], v[119:120], v[32:33], v[100:101]
	ds_load_2addr_b64 v[100:103], v110 offset0:46 offset1:47
	ds_load_2addr_b64 v[117:120], v110 offset0:48 offset1:49
	s_waitcnt lgkmcnt(1)
	v_mul_f64 v[171:172], v[102:103], v[86:87]
	v_add_f64 v[10:11], v[10:11], -v[169:170]
	s_delay_alu instid0(VALU_DEP_2) | instskip(SKIP_1) | instid1(VALU_DEP_2)
	v_fma_f64 v[171:172], v[100:101], v[32:33], -v[171:172]
	v_mul_f64 v[100:101], v[100:101], v[86:87]
	v_add_f64 v[4:5], v[4:5], -v[171:172]
	s_delay_alu instid0(VALU_DEP_2) | instskip(SKIP_2) | instid1(VALU_DEP_2)
	v_fma_f64 v[100:101], v[102:103], v[32:33], v[100:101]
	s_waitcnt lgkmcnt(0)
	v_mul_f64 v[102:103], v[119:120], v[86:87]
	v_add_f64 v[6:7], v[6:7], -v[100:101]
	s_delay_alu instid0(VALU_DEP_2) | instskip(SKIP_1) | instid1(VALU_DEP_2)
	v_fma_f64 v[102:103], v[117:118], v[32:33], -v[102:103]
	v_mul_f64 v[117:118], v[117:118], v[86:87]
	v_add_f64 v[0:1], v[0:1], -v[102:103]
	s_delay_alu instid0(VALU_DEP_2) | instskip(NEXT) | instid1(VALU_DEP_1)
	v_fma_f64 v[117:118], v[119:120], v[32:33], v[117:118]
	v_add_f64 v[2:3], v[2:3], -v[117:118]
.LBB48_146:
	s_or_b32 exec_lo, exec_lo, s2
	v_lshl_add_u32 v32, v111, 4, v110
	s_barrier
	buffer_gl0_inv
	v_mov_b32_e32 v108, 7
	ds_store_2addr_b64 v32, v[80:81], v[82:83] offset1:1
	s_waitcnt lgkmcnt(0)
	s_barrier
	buffer_gl0_inv
	ds_load_2addr_b64 v[100:103], v110 offset0:14 offset1:15
	s_cmp_lt_i32 s5, 9
	s_cbranch_scc1 .LBB48_149
; %bb.147:
	v_add3_u32 v109, v255, 0, 0x80
	v_mov_b32_e32 v108, 7
	s_mov_b32 s6, 8
	s_set_inst_prefetch_distance 0x1
	.p2align	6
.LBB48_148:                             ; =>This Inner Loop Header: Depth=1
	ds_load_2addr_b64 v[117:120], v109 offset1:1
	s_waitcnt lgkmcnt(1)
	v_cmp_gt_f64_e32 vcc_lo, 0, v[100:101]
	v_xor_b32_e32 v32, 0x80000000, v101
	v_cmp_gt_f64_e64 s2, 0, v[102:103]
	v_xor_b32_e32 v34, 0x80000000, v103
	v_add_nc_u32_e32 v109, 16, v109
	s_waitcnt lgkmcnt(0)
	v_cmp_gt_f64_e64 s3, 0, v[117:118]
	v_mov_b32_e32 v36, v117
	v_dual_mov_b32 v38, v119 :: v_dual_cndmask_b32 v33, v101, v32
	v_xor_b32_e32 v32, 0x80000000, v118
	v_cndmask_b32_e64 v35, v103, v34, s2
	v_xor_b32_e32 v34, 0x80000000, v120
	s_delay_alu instid0(VALU_DEP_3) | instskip(SKIP_2) | instid1(VALU_DEP_2)
	v_cndmask_b32_e64 v37, v118, v32, s3
	v_cmp_gt_f64_e64 s3, 0, v[119:120]
	v_cndmask_b32_e32 v32, v100, v100, vcc_lo
	v_cndmask_b32_e64 v39, v120, v34, s3
	v_cndmask_b32_e64 v34, v102, v102, s2
	s_delay_alu instid0(VALU_DEP_2) | instskip(NEXT) | instid1(VALU_DEP_2)
	v_add_f64 v[36:37], v[36:37], v[38:39]
	v_add_f64 v[32:33], v[32:33], v[34:35]
	s_delay_alu instid0(VALU_DEP_1) | instskip(SKIP_4) | instid1(SALU_CYCLE_1)
	v_cmp_lt_f64_e32 vcc_lo, v[32:33], v[36:37]
	v_dual_cndmask_b32 v101, v101, v118 :: v_dual_cndmask_b32 v100, v100, v117
	v_dual_cndmask_b32 v103, v103, v120 :: v_dual_cndmask_b32 v102, v102, v119
	v_cndmask_b32_e64 v108, v108, s6, vcc_lo
	s_add_i32 s6, s6, 1
	s_cmp_lg_u32 s5, s6
	s_cbranch_scc1 .LBB48_148
.LBB48_149:
	s_set_inst_prefetch_distance 0x2
	s_waitcnt lgkmcnt(0)
	v_cmp_eq_f64_e32 vcc_lo, 0, v[100:101]
	v_cmp_eq_f64_e64 s2, 0, v[102:103]
	s_delay_alu instid0(VALU_DEP_1) | instskip(NEXT) | instid1(SALU_CYCLE_1)
	s_and_b32 s2, vcc_lo, s2
	s_and_saveexec_b32 s3, s2
	s_delay_alu instid0(SALU_CYCLE_1)
	s_xor_b32 s2, exec_lo, s3
	s_cbranch_execz .LBB48_151
; %bb.150:
	scratch_load_b32 v32, off, off          ; 4-byte Folded Reload
	s_waitcnt vmcnt(0)
	v_cmp_ne_u32_e32 vcc_lo, 0, v32
	v_cndmask_b32_e32 v32, 8, v32, vcc_lo
	scratch_store_b32 off, v32, off         ; 4-byte Folded Spill
.LBB48_151:
	s_and_not1_saveexec_b32 s3, s2
	s_cbranch_execz .LBB48_157
; %bb.152:
	v_cmp_gt_f64_e32 vcc_lo, 0, v[100:101]
	v_cmp_gt_f64_e64 s2, 0, v[102:103]
	v_xor_b32_e32 v32, 0x80000000, v101
	v_xor_b32_e32 v34, 0x80000000, v103
	s_delay_alu instid0(VALU_DEP_2) | instskip(NEXT) | instid1(VALU_DEP_2)
	v_cndmask_b32_e32 v33, v101, v32, vcc_lo
	v_cndmask_b32_e64 v35, v103, v34, s2
	v_cndmask_b32_e32 v32, v100, v100, vcc_lo
	v_cndmask_b32_e64 v34, v102, v102, s2
	s_mov_b32 s2, exec_lo
	s_delay_alu instid0(VALU_DEP_1)
	v_cmpx_ngt_f64_e32 v[32:33], v[34:35]
	s_xor_b32 s2, exec_lo, s2
	s_cbranch_execz .LBB48_154
; %bb.153:
	v_div_scale_f64 v[32:33], null, v[102:103], v[102:103], v[100:101]
	v_div_scale_f64 v[38:39], vcc_lo, v[100:101], v[102:103], v[100:101]
	s_delay_alu instid0(VALU_DEP_2) | instskip(SKIP_2) | instid1(VALU_DEP_1)
	v_rcp_f64_e32 v[34:35], v[32:33]
	s_waitcnt_depctr 0xfff
	v_fma_f64 v[36:37], -v[32:33], v[34:35], 1.0
	v_fma_f64 v[34:35], v[34:35], v[36:37], v[34:35]
	s_delay_alu instid0(VALU_DEP_1) | instskip(NEXT) | instid1(VALU_DEP_1)
	v_fma_f64 v[36:37], -v[32:33], v[34:35], 1.0
	v_fma_f64 v[34:35], v[34:35], v[36:37], v[34:35]
	s_delay_alu instid0(VALU_DEP_1) | instskip(NEXT) | instid1(VALU_DEP_1)
	v_mul_f64 v[36:37], v[38:39], v[34:35]
	v_fma_f64 v[32:33], -v[32:33], v[36:37], v[38:39]
	s_delay_alu instid0(VALU_DEP_1) | instskip(NEXT) | instid1(VALU_DEP_1)
	v_div_fmas_f64 v[32:33], v[32:33], v[34:35], v[36:37]
	v_div_fixup_f64 v[32:33], v[32:33], v[102:103], v[100:101]
	s_delay_alu instid0(VALU_DEP_1) | instskip(NEXT) | instid1(VALU_DEP_1)
	v_fma_f64 v[34:35], v[100:101], v[32:33], v[102:103]
	v_div_scale_f64 v[36:37], null, v[34:35], v[34:35], 1.0
	s_delay_alu instid0(VALU_DEP_1) | instskip(SKIP_2) | instid1(VALU_DEP_1)
	v_rcp_f64_e32 v[38:39], v[36:37]
	s_waitcnt_depctr 0xfff
	v_fma_f64 v[100:101], -v[36:37], v[38:39], 1.0
	v_fma_f64 v[38:39], v[38:39], v[100:101], v[38:39]
	s_delay_alu instid0(VALU_DEP_1) | instskip(NEXT) | instid1(VALU_DEP_1)
	v_fma_f64 v[100:101], -v[36:37], v[38:39], 1.0
	v_fma_f64 v[38:39], v[38:39], v[100:101], v[38:39]
	v_div_scale_f64 v[100:101], vcc_lo, 1.0, v[34:35], 1.0
	s_delay_alu instid0(VALU_DEP_1) | instskip(NEXT) | instid1(VALU_DEP_1)
	v_mul_f64 v[102:103], v[100:101], v[38:39]
	v_fma_f64 v[36:37], -v[36:37], v[102:103], v[100:101]
	s_delay_alu instid0(VALU_DEP_1) | instskip(NEXT) | instid1(VALU_DEP_1)
	v_div_fmas_f64 v[36:37], v[36:37], v[38:39], v[102:103]
	v_div_fixup_f64 v[102:103], v[36:37], v[34:35], 1.0
	s_delay_alu instid0(VALU_DEP_1)
	v_mul_f64 v[100:101], v[32:33], v[102:103]
	v_xor_b32_e32 v103, 0x80000000, v103
.LBB48_154:
	s_and_not1_saveexec_b32 s2, s2
	s_cbranch_execz .LBB48_156
; %bb.155:
	s_delay_alu instid0(VALU_DEP_1) | instskip(SKIP_1) | instid1(VALU_DEP_2)
	v_div_scale_f64 v[32:33], null, v[100:101], v[100:101], v[102:103]
	v_div_scale_f64 v[38:39], vcc_lo, v[102:103], v[100:101], v[102:103]
	v_rcp_f64_e32 v[34:35], v[32:33]
	s_waitcnt_depctr 0xfff
	v_fma_f64 v[36:37], -v[32:33], v[34:35], 1.0
	s_delay_alu instid0(VALU_DEP_1) | instskip(NEXT) | instid1(VALU_DEP_1)
	v_fma_f64 v[34:35], v[34:35], v[36:37], v[34:35]
	v_fma_f64 v[36:37], -v[32:33], v[34:35], 1.0
	s_delay_alu instid0(VALU_DEP_1) | instskip(NEXT) | instid1(VALU_DEP_1)
	v_fma_f64 v[34:35], v[34:35], v[36:37], v[34:35]
	v_mul_f64 v[36:37], v[38:39], v[34:35]
	s_delay_alu instid0(VALU_DEP_1) | instskip(NEXT) | instid1(VALU_DEP_1)
	v_fma_f64 v[32:33], -v[32:33], v[36:37], v[38:39]
	v_div_fmas_f64 v[32:33], v[32:33], v[34:35], v[36:37]
	s_delay_alu instid0(VALU_DEP_1) | instskip(NEXT) | instid1(VALU_DEP_1)
	v_div_fixup_f64 v[32:33], v[32:33], v[100:101], v[102:103]
	v_fma_f64 v[34:35], v[102:103], v[32:33], v[100:101]
	s_delay_alu instid0(VALU_DEP_1) | instskip(NEXT) | instid1(VALU_DEP_1)
	v_div_scale_f64 v[36:37], null, v[34:35], v[34:35], 1.0
	v_rcp_f64_e32 v[38:39], v[36:37]
	s_waitcnt_depctr 0xfff
	v_fma_f64 v[100:101], -v[36:37], v[38:39], 1.0
	s_delay_alu instid0(VALU_DEP_1) | instskip(NEXT) | instid1(VALU_DEP_1)
	v_fma_f64 v[38:39], v[38:39], v[100:101], v[38:39]
	v_fma_f64 v[100:101], -v[36:37], v[38:39], 1.0
	s_delay_alu instid0(VALU_DEP_1) | instskip(SKIP_1) | instid1(VALU_DEP_1)
	v_fma_f64 v[38:39], v[38:39], v[100:101], v[38:39]
	v_div_scale_f64 v[100:101], vcc_lo, 1.0, v[34:35], 1.0
	v_mul_f64 v[102:103], v[100:101], v[38:39]
	s_delay_alu instid0(VALU_DEP_1) | instskip(NEXT) | instid1(VALU_DEP_1)
	v_fma_f64 v[36:37], -v[36:37], v[102:103], v[100:101]
	v_div_fmas_f64 v[36:37], v[36:37], v[38:39], v[102:103]
	s_delay_alu instid0(VALU_DEP_1) | instskip(NEXT) | instid1(VALU_DEP_1)
	v_div_fixup_f64 v[100:101], v[36:37], v[34:35], 1.0
	v_mul_f64 v[102:103], v[32:33], -v[100:101]
.LBB48_156:
	s_or_b32 exec_lo, exec_lo, s2
.LBB48_157:
	s_delay_alu instid0(SALU_CYCLE_1) | instskip(NEXT) | instid1(SALU_CYCLE_1)
	s_or_b32 exec_lo, exec_lo, s3
	s_mov_b32 s2, exec_lo
	v_cmpx_ne_u32_e64 v111, v108
	s_xor_b32 s2, exec_lo, s2
	s_cbranch_execz .LBB48_163
; %bb.158:
	s_mov_b32 s3, exec_lo
	v_cmpx_eq_u32_e32 7, v111
	s_cbranch_execz .LBB48_162
; %bb.159:
	v_cmp_ne_u32_e32 vcc_lo, 7, v108
	s_xor_b32 s6, s4, -1
	s_delay_alu instid0(SALU_CYCLE_1) | instskip(NEXT) | instid1(SALU_CYCLE_1)
	s_and_b32 s7, s6, vcc_lo
	s_and_saveexec_b32 s6, s7
	s_cbranch_execz .LBB48_161
; %bb.160:
	v_ashrrev_i32_e32 v109, 31, v108
	s_delay_alu instid0(VALU_DEP_1) | instskip(NEXT) | instid1(VALU_DEP_1)
	v_lshlrev_b64 v[32:33], 2, v[108:109]
	v_add_co_u32 v32, vcc_lo, v78, v32
	s_delay_alu instid0(VALU_DEP_2)
	v_add_co_ci_u32_e32 v33, vcc_lo, v79, v33, vcc_lo
	s_clause 0x1
	flat_load_b32 v34, v[32:33]
	flat_load_b32 v35, v[78:79] offset:28
	s_waitcnt vmcnt(1) lgkmcnt(1)
	flat_store_b32 v[78:79], v34 offset:28
	s_waitcnt vmcnt(0) lgkmcnt(1)
	flat_store_b32 v[32:33], v35
.LBB48_161:
	s_or_b32 exec_lo, exec_lo, s6
	v_mov_b32_e32 v111, v108
	v_mov_b32_e32 v247, v108
.LBB48_162:
	s_or_b32 exec_lo, exec_lo, s3
.LBB48_163:
	s_and_not1_saveexec_b32 s2, s2
	s_cbranch_execz .LBB48_165
; %bb.164:
	v_mov_b32_e32 v111, 7
	ds_store_2addr_b64 v110, v[72:73], v[74:75] offset0:16 offset1:17
	ds_store_2addr_b64 v110, v[68:69], v[70:71] offset0:18 offset1:19
	;; [unrolled: 1-line block ×17, first 2 shown]
.LBB48_165:
	s_or_b32 exec_lo, exec_lo, s2
	s_delay_alu instid0(SALU_CYCLE_1)
	s_mov_b32 s2, exec_lo
	s_waitcnt lgkmcnt(0)
	s_waitcnt_vscnt null, 0x0
	s_barrier
	buffer_gl0_inv
	v_cmpx_lt_i32_e32 7, v111
	s_cbranch_execz .LBB48_167
; %bb.166:
	v_mul_f64 v[32:33], v[100:101], v[82:83]
	v_mul_f64 v[34:35], v[102:103], v[82:83]
	ds_load_2addr_b64 v[117:120], v110 offset0:16 offset1:17
	ds_load_2addr_b64 v[121:124], v110 offset0:18 offset1:19
	ds_load_2addr_b64 v[125:128], v110 offset0:20 offset1:21
	ds_load_2addr_b64 v[129:132], v110 offset0:22 offset1:23
	ds_load_2addr_b64 v[133:136], v110 offset0:24 offset1:25
	ds_load_2addr_b64 v[137:140], v110 offset0:26 offset1:27
	ds_load_2addr_b64 v[141:144], v110 offset0:28 offset1:29
	ds_load_2addr_b64 v[145:148], v110 offset0:30 offset1:31
	ds_load_2addr_b64 v[149:152], v110 offset0:32 offset1:33
	ds_load_2addr_b64 v[153:156], v110 offset0:34 offset1:35
	ds_load_2addr_b64 v[157:160], v110 offset0:36 offset1:37
	ds_load_2addr_b64 v[161:164], v110 offset0:38 offset1:39
	ds_load_2addr_b64 v[165:168], v110 offset0:40 offset1:41
	ds_load_2addr_b64 v[169:172], v110 offset0:42 offset1:43
	ds_load_2addr_b64 v[173:176], v110 offset0:44 offset1:45
	ds_load_2addr_b64 v[177:180], v110 offset0:46 offset1:47
	ds_load_2addr_b64 v[181:184], v110 offset0:48 offset1:49
	v_fma_f64 v[82:83], v[102:103], v[80:81], v[32:33]
	v_fma_f64 v[32:33], v[100:101], v[80:81], -v[34:35]
	s_waitcnt lgkmcnt(16)
	s_delay_alu instid0(VALU_DEP_2)
	v_mul_f64 v[34:35], v[119:120], v[82:83]
	v_mul_f64 v[36:37], v[117:118], v[82:83]
	s_waitcnt lgkmcnt(15)
	v_mul_f64 v[38:39], v[123:124], v[82:83]
	v_mul_f64 v[80:81], v[121:122], v[82:83]
	s_waitcnt lgkmcnt(14)
	;; [unrolled: 3-line block ×16, first 2 shown]
	v_mul_f64 v[231:232], v[183:184], v[82:83]
	v_mul_f64 v[233:234], v[181:182], v[82:83]
	v_fma_f64 v[34:35], v[117:118], v[32:33], -v[34:35]
	v_fma_f64 v[36:37], v[119:120], v[32:33], v[36:37]
	v_fma_f64 v[38:39], v[121:122], v[32:33], -v[38:39]
	v_fma_f64 v[80:81], v[123:124], v[32:33], v[80:81]
	;; [unrolled: 2-line block ×17, first 2 shown]
	v_add_f64 v[72:73], v[72:73], -v[34:35]
	v_add_f64 v[74:75], v[74:75], -v[36:37]
	;; [unrolled: 1-line block ×34, first 2 shown]
	v_dual_mov_b32 v81, v33 :: v_dual_mov_b32 v80, v32
.LBB48_167:
	s_or_b32 exec_lo, exec_lo, s2
	v_lshl_add_u32 v32, v111, 4, v110
	s_barrier
	buffer_gl0_inv
	v_mov_b32_e32 v108, 8
	ds_store_2addr_b64 v32, v[72:73], v[74:75] offset1:1
	s_waitcnt lgkmcnt(0)
	s_barrier
	buffer_gl0_inv
	ds_load_2addr_b64 v[100:103], v110 offset0:16 offset1:17
	s_cmp_lt_i32 s5, 10
	s_cbranch_scc1 .LBB48_170
; %bb.168:
	v_add3_u32 v109, v255, 0, 0x90
	v_mov_b32_e32 v108, 8
	s_mov_b32 s6, 9
	s_set_inst_prefetch_distance 0x1
	.p2align	6
.LBB48_169:                             ; =>This Inner Loop Header: Depth=1
	ds_load_2addr_b64 v[117:120], v109 offset1:1
	s_waitcnt lgkmcnt(1)
	v_cmp_gt_f64_e32 vcc_lo, 0, v[100:101]
	v_xor_b32_e32 v32, 0x80000000, v101
	v_cmp_gt_f64_e64 s2, 0, v[102:103]
	v_xor_b32_e32 v34, 0x80000000, v103
	v_add_nc_u32_e32 v109, 16, v109
	s_waitcnt lgkmcnt(0)
	v_cmp_gt_f64_e64 s3, 0, v[117:118]
	v_mov_b32_e32 v36, v117
	v_dual_mov_b32 v38, v119 :: v_dual_cndmask_b32 v33, v101, v32
	v_xor_b32_e32 v32, 0x80000000, v118
	v_cndmask_b32_e64 v35, v103, v34, s2
	v_xor_b32_e32 v34, 0x80000000, v120
	s_delay_alu instid0(VALU_DEP_3) | instskip(SKIP_2) | instid1(VALU_DEP_2)
	v_cndmask_b32_e64 v37, v118, v32, s3
	v_cmp_gt_f64_e64 s3, 0, v[119:120]
	v_cndmask_b32_e32 v32, v100, v100, vcc_lo
	v_cndmask_b32_e64 v39, v120, v34, s3
	v_cndmask_b32_e64 v34, v102, v102, s2
	s_delay_alu instid0(VALU_DEP_2) | instskip(NEXT) | instid1(VALU_DEP_2)
	v_add_f64 v[36:37], v[36:37], v[38:39]
	v_add_f64 v[32:33], v[32:33], v[34:35]
	s_delay_alu instid0(VALU_DEP_1) | instskip(SKIP_4) | instid1(SALU_CYCLE_1)
	v_cmp_lt_f64_e32 vcc_lo, v[32:33], v[36:37]
	v_dual_cndmask_b32 v101, v101, v118 :: v_dual_cndmask_b32 v100, v100, v117
	v_dual_cndmask_b32 v103, v103, v120 :: v_dual_cndmask_b32 v102, v102, v119
	v_cndmask_b32_e64 v108, v108, s6, vcc_lo
	s_add_i32 s6, s6, 1
	s_cmp_lg_u32 s5, s6
	s_cbranch_scc1 .LBB48_169
.LBB48_170:
	s_set_inst_prefetch_distance 0x2
	s_waitcnt lgkmcnt(0)
	v_cmp_eq_f64_e32 vcc_lo, 0, v[100:101]
	v_cmp_eq_f64_e64 s2, 0, v[102:103]
	s_delay_alu instid0(VALU_DEP_1) | instskip(NEXT) | instid1(SALU_CYCLE_1)
	s_and_b32 s2, vcc_lo, s2
	s_and_saveexec_b32 s3, s2
	s_delay_alu instid0(SALU_CYCLE_1)
	s_xor_b32 s2, exec_lo, s3
	s_cbranch_execz .LBB48_172
; %bb.171:
	scratch_load_b32 v32, off, off          ; 4-byte Folded Reload
	s_waitcnt vmcnt(0)
	v_cmp_ne_u32_e32 vcc_lo, 0, v32
	v_cndmask_b32_e32 v32, 9, v32, vcc_lo
	scratch_store_b32 off, v32, off         ; 4-byte Folded Spill
.LBB48_172:
	s_and_not1_saveexec_b32 s3, s2
	s_cbranch_execz .LBB48_178
; %bb.173:
	v_cmp_gt_f64_e32 vcc_lo, 0, v[100:101]
	v_cmp_gt_f64_e64 s2, 0, v[102:103]
	v_xor_b32_e32 v32, 0x80000000, v101
	v_xor_b32_e32 v34, 0x80000000, v103
	s_delay_alu instid0(VALU_DEP_2) | instskip(NEXT) | instid1(VALU_DEP_2)
	v_cndmask_b32_e32 v33, v101, v32, vcc_lo
	v_cndmask_b32_e64 v35, v103, v34, s2
	v_cndmask_b32_e32 v32, v100, v100, vcc_lo
	v_cndmask_b32_e64 v34, v102, v102, s2
	s_mov_b32 s2, exec_lo
	s_delay_alu instid0(VALU_DEP_1)
	v_cmpx_ngt_f64_e32 v[32:33], v[34:35]
	s_xor_b32 s2, exec_lo, s2
	s_cbranch_execz .LBB48_175
; %bb.174:
	v_div_scale_f64 v[32:33], null, v[102:103], v[102:103], v[100:101]
	v_div_scale_f64 v[38:39], vcc_lo, v[100:101], v[102:103], v[100:101]
	s_delay_alu instid0(VALU_DEP_2) | instskip(SKIP_2) | instid1(VALU_DEP_1)
	v_rcp_f64_e32 v[34:35], v[32:33]
	s_waitcnt_depctr 0xfff
	v_fma_f64 v[36:37], -v[32:33], v[34:35], 1.0
	v_fma_f64 v[34:35], v[34:35], v[36:37], v[34:35]
	s_delay_alu instid0(VALU_DEP_1) | instskip(NEXT) | instid1(VALU_DEP_1)
	v_fma_f64 v[36:37], -v[32:33], v[34:35], 1.0
	v_fma_f64 v[34:35], v[34:35], v[36:37], v[34:35]
	s_delay_alu instid0(VALU_DEP_1) | instskip(NEXT) | instid1(VALU_DEP_1)
	v_mul_f64 v[36:37], v[38:39], v[34:35]
	v_fma_f64 v[32:33], -v[32:33], v[36:37], v[38:39]
	s_delay_alu instid0(VALU_DEP_1) | instskip(NEXT) | instid1(VALU_DEP_1)
	v_div_fmas_f64 v[32:33], v[32:33], v[34:35], v[36:37]
	v_div_fixup_f64 v[32:33], v[32:33], v[102:103], v[100:101]
	s_delay_alu instid0(VALU_DEP_1) | instskip(NEXT) | instid1(VALU_DEP_1)
	v_fma_f64 v[34:35], v[100:101], v[32:33], v[102:103]
	v_div_scale_f64 v[36:37], null, v[34:35], v[34:35], 1.0
	s_delay_alu instid0(VALU_DEP_1) | instskip(SKIP_2) | instid1(VALU_DEP_1)
	v_rcp_f64_e32 v[38:39], v[36:37]
	s_waitcnt_depctr 0xfff
	v_fma_f64 v[100:101], -v[36:37], v[38:39], 1.0
	v_fma_f64 v[38:39], v[38:39], v[100:101], v[38:39]
	s_delay_alu instid0(VALU_DEP_1) | instskip(NEXT) | instid1(VALU_DEP_1)
	v_fma_f64 v[100:101], -v[36:37], v[38:39], 1.0
	v_fma_f64 v[38:39], v[38:39], v[100:101], v[38:39]
	v_div_scale_f64 v[100:101], vcc_lo, 1.0, v[34:35], 1.0
	s_delay_alu instid0(VALU_DEP_1) | instskip(NEXT) | instid1(VALU_DEP_1)
	v_mul_f64 v[102:103], v[100:101], v[38:39]
	v_fma_f64 v[36:37], -v[36:37], v[102:103], v[100:101]
	s_delay_alu instid0(VALU_DEP_1) | instskip(NEXT) | instid1(VALU_DEP_1)
	v_div_fmas_f64 v[36:37], v[36:37], v[38:39], v[102:103]
	v_div_fixup_f64 v[102:103], v[36:37], v[34:35], 1.0
	s_delay_alu instid0(VALU_DEP_1)
	v_mul_f64 v[100:101], v[32:33], v[102:103]
	v_xor_b32_e32 v103, 0x80000000, v103
.LBB48_175:
	s_and_not1_saveexec_b32 s2, s2
	s_cbranch_execz .LBB48_177
; %bb.176:
	s_delay_alu instid0(VALU_DEP_1) | instskip(SKIP_1) | instid1(VALU_DEP_2)
	v_div_scale_f64 v[32:33], null, v[100:101], v[100:101], v[102:103]
	v_div_scale_f64 v[38:39], vcc_lo, v[102:103], v[100:101], v[102:103]
	v_rcp_f64_e32 v[34:35], v[32:33]
	s_waitcnt_depctr 0xfff
	v_fma_f64 v[36:37], -v[32:33], v[34:35], 1.0
	s_delay_alu instid0(VALU_DEP_1) | instskip(NEXT) | instid1(VALU_DEP_1)
	v_fma_f64 v[34:35], v[34:35], v[36:37], v[34:35]
	v_fma_f64 v[36:37], -v[32:33], v[34:35], 1.0
	s_delay_alu instid0(VALU_DEP_1) | instskip(NEXT) | instid1(VALU_DEP_1)
	v_fma_f64 v[34:35], v[34:35], v[36:37], v[34:35]
	v_mul_f64 v[36:37], v[38:39], v[34:35]
	s_delay_alu instid0(VALU_DEP_1) | instskip(NEXT) | instid1(VALU_DEP_1)
	v_fma_f64 v[32:33], -v[32:33], v[36:37], v[38:39]
	v_div_fmas_f64 v[32:33], v[32:33], v[34:35], v[36:37]
	s_delay_alu instid0(VALU_DEP_1) | instskip(NEXT) | instid1(VALU_DEP_1)
	v_div_fixup_f64 v[32:33], v[32:33], v[100:101], v[102:103]
	v_fma_f64 v[34:35], v[102:103], v[32:33], v[100:101]
	s_delay_alu instid0(VALU_DEP_1) | instskip(NEXT) | instid1(VALU_DEP_1)
	v_div_scale_f64 v[36:37], null, v[34:35], v[34:35], 1.0
	v_rcp_f64_e32 v[38:39], v[36:37]
	s_waitcnt_depctr 0xfff
	v_fma_f64 v[100:101], -v[36:37], v[38:39], 1.0
	s_delay_alu instid0(VALU_DEP_1) | instskip(NEXT) | instid1(VALU_DEP_1)
	v_fma_f64 v[38:39], v[38:39], v[100:101], v[38:39]
	v_fma_f64 v[100:101], -v[36:37], v[38:39], 1.0
	s_delay_alu instid0(VALU_DEP_1) | instskip(SKIP_1) | instid1(VALU_DEP_1)
	v_fma_f64 v[38:39], v[38:39], v[100:101], v[38:39]
	v_div_scale_f64 v[100:101], vcc_lo, 1.0, v[34:35], 1.0
	v_mul_f64 v[102:103], v[100:101], v[38:39]
	s_delay_alu instid0(VALU_DEP_1) | instskip(NEXT) | instid1(VALU_DEP_1)
	v_fma_f64 v[36:37], -v[36:37], v[102:103], v[100:101]
	v_div_fmas_f64 v[36:37], v[36:37], v[38:39], v[102:103]
	s_delay_alu instid0(VALU_DEP_1) | instskip(NEXT) | instid1(VALU_DEP_1)
	v_div_fixup_f64 v[100:101], v[36:37], v[34:35], 1.0
	v_mul_f64 v[102:103], v[32:33], -v[100:101]
.LBB48_177:
	s_or_b32 exec_lo, exec_lo, s2
.LBB48_178:
	s_delay_alu instid0(SALU_CYCLE_1) | instskip(NEXT) | instid1(SALU_CYCLE_1)
	s_or_b32 exec_lo, exec_lo, s3
	s_mov_b32 s2, exec_lo
	v_cmpx_ne_u32_e64 v111, v108
	s_xor_b32 s2, exec_lo, s2
	s_cbranch_execz .LBB48_184
; %bb.179:
	s_mov_b32 s3, exec_lo
	v_cmpx_eq_u32_e32 8, v111
	s_cbranch_execz .LBB48_183
; %bb.180:
	v_cmp_ne_u32_e32 vcc_lo, 8, v108
	s_xor_b32 s6, s4, -1
	s_delay_alu instid0(SALU_CYCLE_1) | instskip(NEXT) | instid1(SALU_CYCLE_1)
	s_and_b32 s7, s6, vcc_lo
	s_and_saveexec_b32 s6, s7
	s_cbranch_execz .LBB48_182
; %bb.181:
	v_ashrrev_i32_e32 v109, 31, v108
	s_delay_alu instid0(VALU_DEP_1) | instskip(NEXT) | instid1(VALU_DEP_1)
	v_lshlrev_b64 v[32:33], 2, v[108:109]
	v_add_co_u32 v32, vcc_lo, v78, v32
	s_delay_alu instid0(VALU_DEP_2)
	v_add_co_ci_u32_e32 v33, vcc_lo, v79, v33, vcc_lo
	s_clause 0x1
	flat_load_b32 v34, v[32:33]
	flat_load_b32 v35, v[78:79] offset:32
	s_waitcnt vmcnt(1) lgkmcnt(1)
	flat_store_b32 v[78:79], v34 offset:32
	s_waitcnt vmcnt(0) lgkmcnt(1)
	flat_store_b32 v[32:33], v35
.LBB48_182:
	s_or_b32 exec_lo, exec_lo, s6
	v_mov_b32_e32 v111, v108
	v_mov_b32_e32 v247, v108
.LBB48_183:
	s_or_b32 exec_lo, exec_lo, s3
.LBB48_184:
	s_and_not1_saveexec_b32 s2, s2
	s_cbranch_execz .LBB48_186
; %bb.185:
	v_mov_b32_e32 v111, 8
	ds_store_2addr_b64 v110, v[68:69], v[70:71] offset0:18 offset1:19
	ds_store_2addr_b64 v110, v[60:61], v[62:63] offset0:20 offset1:21
	;; [unrolled: 1-line block ×16, first 2 shown]
.LBB48_186:
	s_or_b32 exec_lo, exec_lo, s2
	s_delay_alu instid0(SALU_CYCLE_1)
	s_mov_b32 s2, exec_lo
	s_waitcnt lgkmcnt(0)
	s_waitcnt_vscnt null, 0x0
	s_barrier
	buffer_gl0_inv
	v_cmpx_lt_i32_e32 8, v111
	s_cbranch_execz .LBB48_188
; %bb.187:
	v_mul_f64 v[32:33], v[100:101], v[74:75]
	v_mul_f64 v[34:35], v[102:103], v[74:75]
	ds_load_2addr_b64 v[117:120], v110 offset0:18 offset1:19
	ds_load_2addr_b64 v[121:124], v110 offset0:20 offset1:21
	;; [unrolled: 1-line block ×16, first 2 shown]
	v_fma_f64 v[32:33], v[102:103], v[72:73], v[32:33]
	v_fma_f64 v[72:73], v[100:101], v[72:73], -v[34:35]
	s_waitcnt lgkmcnt(15)
	s_delay_alu instid0(VALU_DEP_2)
	v_mul_f64 v[34:35], v[119:120], v[32:33]
	v_mul_f64 v[36:37], v[117:118], v[32:33]
	s_waitcnt lgkmcnt(14)
	v_mul_f64 v[38:39], v[123:124], v[32:33]
	v_mul_f64 v[74:75], v[121:122], v[32:33]
	s_waitcnt lgkmcnt(13)
	;; [unrolled: 3-line block ×15, first 2 shown]
	v_mul_f64 v[223:224], v[179:180], v[32:33]
	v_mul_f64 v[225:226], v[177:178], v[32:33]
	v_fma_f64 v[34:35], v[117:118], v[72:73], -v[34:35]
	v_fma_f64 v[36:37], v[119:120], v[72:73], v[36:37]
	v_fma_f64 v[38:39], v[121:122], v[72:73], -v[38:39]
	v_fma_f64 v[74:75], v[123:124], v[72:73], v[74:75]
	;; [unrolled: 2-line block ×16, first 2 shown]
	v_add_f64 v[68:69], v[68:69], -v[34:35]
	v_add_f64 v[70:71], v[70:71], -v[36:37]
	;; [unrolled: 1-line block ×32, first 2 shown]
	v_dual_mov_b32 v75, v33 :: v_dual_mov_b32 v74, v32
.LBB48_188:
	s_or_b32 exec_lo, exec_lo, s2
	v_lshl_add_u32 v32, v111, 4, v110
	s_barrier
	buffer_gl0_inv
	v_mov_b32_e32 v108, 9
	ds_store_2addr_b64 v32, v[68:69], v[70:71] offset1:1
	s_waitcnt lgkmcnt(0)
	s_barrier
	buffer_gl0_inv
	ds_load_2addr_b64 v[100:103], v110 offset0:18 offset1:19
	s_cmp_lt_i32 s5, 11
	s_cbranch_scc1 .LBB48_191
; %bb.189:
	v_add3_u32 v109, v255, 0, 0xa0
	v_mov_b32_e32 v108, 9
	s_mov_b32 s6, 10
	s_set_inst_prefetch_distance 0x1
	.p2align	6
.LBB48_190:                             ; =>This Inner Loop Header: Depth=1
	ds_load_2addr_b64 v[117:120], v109 offset1:1
	s_waitcnt lgkmcnt(1)
	v_cmp_gt_f64_e32 vcc_lo, 0, v[100:101]
	v_xor_b32_e32 v32, 0x80000000, v101
	v_cmp_gt_f64_e64 s2, 0, v[102:103]
	v_xor_b32_e32 v34, 0x80000000, v103
	v_add_nc_u32_e32 v109, 16, v109
	s_waitcnt lgkmcnt(0)
	v_cmp_gt_f64_e64 s3, 0, v[117:118]
	v_mov_b32_e32 v36, v117
	v_dual_mov_b32 v38, v119 :: v_dual_cndmask_b32 v33, v101, v32
	v_xor_b32_e32 v32, 0x80000000, v118
	v_cndmask_b32_e64 v35, v103, v34, s2
	v_xor_b32_e32 v34, 0x80000000, v120
	s_delay_alu instid0(VALU_DEP_3) | instskip(SKIP_2) | instid1(VALU_DEP_2)
	v_cndmask_b32_e64 v37, v118, v32, s3
	v_cmp_gt_f64_e64 s3, 0, v[119:120]
	v_cndmask_b32_e32 v32, v100, v100, vcc_lo
	v_cndmask_b32_e64 v39, v120, v34, s3
	v_cndmask_b32_e64 v34, v102, v102, s2
	s_delay_alu instid0(VALU_DEP_2) | instskip(NEXT) | instid1(VALU_DEP_2)
	v_add_f64 v[36:37], v[36:37], v[38:39]
	v_add_f64 v[32:33], v[32:33], v[34:35]
	s_delay_alu instid0(VALU_DEP_1) | instskip(SKIP_4) | instid1(SALU_CYCLE_1)
	v_cmp_lt_f64_e32 vcc_lo, v[32:33], v[36:37]
	v_dual_cndmask_b32 v101, v101, v118 :: v_dual_cndmask_b32 v100, v100, v117
	v_dual_cndmask_b32 v103, v103, v120 :: v_dual_cndmask_b32 v102, v102, v119
	v_cndmask_b32_e64 v108, v108, s6, vcc_lo
	s_add_i32 s6, s6, 1
	s_cmp_lg_u32 s5, s6
	s_cbranch_scc1 .LBB48_190
.LBB48_191:
	s_set_inst_prefetch_distance 0x2
	s_waitcnt lgkmcnt(0)
	v_cmp_eq_f64_e32 vcc_lo, 0, v[100:101]
	v_cmp_eq_f64_e64 s2, 0, v[102:103]
	s_delay_alu instid0(VALU_DEP_1) | instskip(NEXT) | instid1(SALU_CYCLE_1)
	s_and_b32 s2, vcc_lo, s2
	s_and_saveexec_b32 s3, s2
	s_delay_alu instid0(SALU_CYCLE_1)
	s_xor_b32 s2, exec_lo, s3
	s_cbranch_execz .LBB48_193
; %bb.192:
	scratch_load_b32 v32, off, off          ; 4-byte Folded Reload
	s_waitcnt vmcnt(0)
	v_cmp_ne_u32_e32 vcc_lo, 0, v32
	v_cndmask_b32_e32 v32, 10, v32, vcc_lo
	scratch_store_b32 off, v32, off         ; 4-byte Folded Spill
.LBB48_193:
	s_and_not1_saveexec_b32 s3, s2
	s_cbranch_execz .LBB48_199
; %bb.194:
	v_cmp_gt_f64_e32 vcc_lo, 0, v[100:101]
	v_cmp_gt_f64_e64 s2, 0, v[102:103]
	v_xor_b32_e32 v32, 0x80000000, v101
	v_xor_b32_e32 v34, 0x80000000, v103
	s_delay_alu instid0(VALU_DEP_2) | instskip(NEXT) | instid1(VALU_DEP_2)
	v_cndmask_b32_e32 v33, v101, v32, vcc_lo
	v_cndmask_b32_e64 v35, v103, v34, s2
	v_cndmask_b32_e32 v32, v100, v100, vcc_lo
	v_cndmask_b32_e64 v34, v102, v102, s2
	s_mov_b32 s2, exec_lo
	s_delay_alu instid0(VALU_DEP_1)
	v_cmpx_ngt_f64_e32 v[32:33], v[34:35]
	s_xor_b32 s2, exec_lo, s2
	s_cbranch_execz .LBB48_196
; %bb.195:
	v_div_scale_f64 v[32:33], null, v[102:103], v[102:103], v[100:101]
	v_div_scale_f64 v[38:39], vcc_lo, v[100:101], v[102:103], v[100:101]
	s_delay_alu instid0(VALU_DEP_2) | instskip(SKIP_2) | instid1(VALU_DEP_1)
	v_rcp_f64_e32 v[34:35], v[32:33]
	s_waitcnt_depctr 0xfff
	v_fma_f64 v[36:37], -v[32:33], v[34:35], 1.0
	v_fma_f64 v[34:35], v[34:35], v[36:37], v[34:35]
	s_delay_alu instid0(VALU_DEP_1) | instskip(NEXT) | instid1(VALU_DEP_1)
	v_fma_f64 v[36:37], -v[32:33], v[34:35], 1.0
	v_fma_f64 v[34:35], v[34:35], v[36:37], v[34:35]
	s_delay_alu instid0(VALU_DEP_1) | instskip(NEXT) | instid1(VALU_DEP_1)
	v_mul_f64 v[36:37], v[38:39], v[34:35]
	v_fma_f64 v[32:33], -v[32:33], v[36:37], v[38:39]
	s_delay_alu instid0(VALU_DEP_1) | instskip(NEXT) | instid1(VALU_DEP_1)
	v_div_fmas_f64 v[32:33], v[32:33], v[34:35], v[36:37]
	v_div_fixup_f64 v[32:33], v[32:33], v[102:103], v[100:101]
	s_delay_alu instid0(VALU_DEP_1) | instskip(NEXT) | instid1(VALU_DEP_1)
	v_fma_f64 v[34:35], v[100:101], v[32:33], v[102:103]
	v_div_scale_f64 v[36:37], null, v[34:35], v[34:35], 1.0
	s_delay_alu instid0(VALU_DEP_1) | instskip(SKIP_2) | instid1(VALU_DEP_1)
	v_rcp_f64_e32 v[38:39], v[36:37]
	s_waitcnt_depctr 0xfff
	v_fma_f64 v[100:101], -v[36:37], v[38:39], 1.0
	v_fma_f64 v[38:39], v[38:39], v[100:101], v[38:39]
	s_delay_alu instid0(VALU_DEP_1) | instskip(NEXT) | instid1(VALU_DEP_1)
	v_fma_f64 v[100:101], -v[36:37], v[38:39], 1.0
	v_fma_f64 v[38:39], v[38:39], v[100:101], v[38:39]
	v_div_scale_f64 v[100:101], vcc_lo, 1.0, v[34:35], 1.0
	s_delay_alu instid0(VALU_DEP_1) | instskip(NEXT) | instid1(VALU_DEP_1)
	v_mul_f64 v[102:103], v[100:101], v[38:39]
	v_fma_f64 v[36:37], -v[36:37], v[102:103], v[100:101]
	s_delay_alu instid0(VALU_DEP_1) | instskip(NEXT) | instid1(VALU_DEP_1)
	v_div_fmas_f64 v[36:37], v[36:37], v[38:39], v[102:103]
	v_div_fixup_f64 v[102:103], v[36:37], v[34:35], 1.0
	s_delay_alu instid0(VALU_DEP_1)
	v_mul_f64 v[100:101], v[32:33], v[102:103]
	v_xor_b32_e32 v103, 0x80000000, v103
.LBB48_196:
	s_and_not1_saveexec_b32 s2, s2
	s_cbranch_execz .LBB48_198
; %bb.197:
	s_delay_alu instid0(VALU_DEP_1) | instskip(SKIP_1) | instid1(VALU_DEP_2)
	v_div_scale_f64 v[32:33], null, v[100:101], v[100:101], v[102:103]
	v_div_scale_f64 v[38:39], vcc_lo, v[102:103], v[100:101], v[102:103]
	v_rcp_f64_e32 v[34:35], v[32:33]
	s_waitcnt_depctr 0xfff
	v_fma_f64 v[36:37], -v[32:33], v[34:35], 1.0
	s_delay_alu instid0(VALU_DEP_1) | instskip(NEXT) | instid1(VALU_DEP_1)
	v_fma_f64 v[34:35], v[34:35], v[36:37], v[34:35]
	v_fma_f64 v[36:37], -v[32:33], v[34:35], 1.0
	s_delay_alu instid0(VALU_DEP_1) | instskip(NEXT) | instid1(VALU_DEP_1)
	v_fma_f64 v[34:35], v[34:35], v[36:37], v[34:35]
	v_mul_f64 v[36:37], v[38:39], v[34:35]
	s_delay_alu instid0(VALU_DEP_1) | instskip(NEXT) | instid1(VALU_DEP_1)
	v_fma_f64 v[32:33], -v[32:33], v[36:37], v[38:39]
	v_div_fmas_f64 v[32:33], v[32:33], v[34:35], v[36:37]
	s_delay_alu instid0(VALU_DEP_1) | instskip(NEXT) | instid1(VALU_DEP_1)
	v_div_fixup_f64 v[32:33], v[32:33], v[100:101], v[102:103]
	v_fma_f64 v[34:35], v[102:103], v[32:33], v[100:101]
	s_delay_alu instid0(VALU_DEP_1) | instskip(NEXT) | instid1(VALU_DEP_1)
	v_div_scale_f64 v[36:37], null, v[34:35], v[34:35], 1.0
	v_rcp_f64_e32 v[38:39], v[36:37]
	s_waitcnt_depctr 0xfff
	v_fma_f64 v[100:101], -v[36:37], v[38:39], 1.0
	s_delay_alu instid0(VALU_DEP_1) | instskip(NEXT) | instid1(VALU_DEP_1)
	v_fma_f64 v[38:39], v[38:39], v[100:101], v[38:39]
	v_fma_f64 v[100:101], -v[36:37], v[38:39], 1.0
	s_delay_alu instid0(VALU_DEP_1) | instskip(SKIP_1) | instid1(VALU_DEP_1)
	v_fma_f64 v[38:39], v[38:39], v[100:101], v[38:39]
	v_div_scale_f64 v[100:101], vcc_lo, 1.0, v[34:35], 1.0
	v_mul_f64 v[102:103], v[100:101], v[38:39]
	s_delay_alu instid0(VALU_DEP_1) | instskip(NEXT) | instid1(VALU_DEP_1)
	v_fma_f64 v[36:37], -v[36:37], v[102:103], v[100:101]
	v_div_fmas_f64 v[36:37], v[36:37], v[38:39], v[102:103]
	s_delay_alu instid0(VALU_DEP_1) | instskip(NEXT) | instid1(VALU_DEP_1)
	v_div_fixup_f64 v[100:101], v[36:37], v[34:35], 1.0
	v_mul_f64 v[102:103], v[32:33], -v[100:101]
.LBB48_198:
	s_or_b32 exec_lo, exec_lo, s2
.LBB48_199:
	s_delay_alu instid0(SALU_CYCLE_1) | instskip(NEXT) | instid1(SALU_CYCLE_1)
	s_or_b32 exec_lo, exec_lo, s3
	s_mov_b32 s2, exec_lo
	v_cmpx_ne_u32_e64 v111, v108
	s_xor_b32 s2, exec_lo, s2
	s_cbranch_execz .LBB48_205
; %bb.200:
	s_mov_b32 s3, exec_lo
	v_cmpx_eq_u32_e32 9, v111
	s_cbranch_execz .LBB48_204
; %bb.201:
	v_cmp_ne_u32_e32 vcc_lo, 9, v108
	s_xor_b32 s6, s4, -1
	s_delay_alu instid0(SALU_CYCLE_1) | instskip(NEXT) | instid1(SALU_CYCLE_1)
	s_and_b32 s7, s6, vcc_lo
	s_and_saveexec_b32 s6, s7
	s_cbranch_execz .LBB48_203
; %bb.202:
	v_ashrrev_i32_e32 v109, 31, v108
	s_delay_alu instid0(VALU_DEP_1) | instskip(NEXT) | instid1(VALU_DEP_1)
	v_lshlrev_b64 v[32:33], 2, v[108:109]
	v_add_co_u32 v32, vcc_lo, v78, v32
	s_delay_alu instid0(VALU_DEP_2)
	v_add_co_ci_u32_e32 v33, vcc_lo, v79, v33, vcc_lo
	s_clause 0x1
	flat_load_b32 v34, v[32:33]
	flat_load_b32 v35, v[78:79] offset:36
	s_waitcnt vmcnt(1) lgkmcnt(1)
	flat_store_b32 v[78:79], v34 offset:36
	s_waitcnt vmcnt(0) lgkmcnt(1)
	flat_store_b32 v[32:33], v35
.LBB48_203:
	s_or_b32 exec_lo, exec_lo, s6
	v_mov_b32_e32 v111, v108
	v_mov_b32_e32 v247, v108
.LBB48_204:
	s_or_b32 exec_lo, exec_lo, s3
.LBB48_205:
	s_and_not1_saveexec_b32 s2, s2
	s_cbranch_execz .LBB48_207
; %bb.206:
	v_mov_b32_e32 v111, 9
	ds_store_2addr_b64 v110, v[60:61], v[62:63] offset0:20 offset1:21
	ds_store_2addr_b64 v110, v[56:57], v[58:59] offset0:22 offset1:23
	;; [unrolled: 1-line block ×15, first 2 shown]
.LBB48_207:
	s_or_b32 exec_lo, exec_lo, s2
	s_delay_alu instid0(SALU_CYCLE_1)
	s_mov_b32 s2, exec_lo
	s_waitcnt lgkmcnt(0)
	s_waitcnt_vscnt null, 0x0
	s_barrier
	buffer_gl0_inv
	v_cmpx_lt_i32_e32 9, v111
	s_cbranch_execz .LBB48_209
; %bb.208:
	v_mul_f64 v[32:33], v[100:101], v[70:71]
	v_mul_f64 v[34:35], v[102:103], v[70:71]
	ds_load_2addr_b64 v[117:120], v110 offset0:20 offset1:21
	ds_load_2addr_b64 v[121:124], v110 offset0:22 offset1:23
	;; [unrolled: 1-line block ×15, first 2 shown]
	v_fma_f64 v[32:33], v[102:103], v[68:69], v[32:33]
	v_fma_f64 v[68:69], v[100:101], v[68:69], -v[34:35]
	s_waitcnt lgkmcnt(14)
	s_delay_alu instid0(VALU_DEP_2)
	v_mul_f64 v[34:35], v[119:120], v[32:33]
	v_mul_f64 v[36:37], v[117:118], v[32:33]
	s_waitcnt lgkmcnt(13)
	v_mul_f64 v[38:39], v[123:124], v[32:33]
	v_mul_f64 v[70:71], v[121:122], v[32:33]
	s_waitcnt lgkmcnt(12)
	v_mul_f64 v[100:101], v[127:128], v[32:33]
	v_mul_f64 v[102:103], v[125:126], v[32:33]
	s_waitcnt lgkmcnt(11)
	v_mul_f64 v[104:105], v[131:132], v[32:33]
	v_mul_f64 v[106:107], v[129:130], v[32:33]
	s_waitcnt lgkmcnt(10)
	v_mul_f64 v[108:109], v[135:136], v[32:33]
	v_mul_f64 v[177:178], v[133:134], v[32:33]
	s_waitcnt lgkmcnt(9)
	v_mul_f64 v[179:180], v[139:140], v[32:33]
	v_mul_f64 v[181:182], v[137:138], v[32:33]
	s_waitcnt lgkmcnt(8)
	v_mul_f64 v[183:184], v[143:144], v[32:33]
	v_mul_f64 v[185:186], v[141:142], v[32:33]
	s_waitcnt lgkmcnt(7)
	v_mul_f64 v[187:188], v[147:148], v[32:33]
	v_mul_f64 v[189:190], v[145:146], v[32:33]
	s_waitcnt lgkmcnt(6)
	v_mul_f64 v[191:192], v[151:152], v[32:33]
	v_mul_f64 v[193:194], v[149:150], v[32:33]
	s_waitcnt lgkmcnt(5)
	v_mul_f64 v[195:196], v[155:156], v[32:33]
	v_mul_f64 v[197:198], v[153:154], v[32:33]
	s_waitcnt lgkmcnt(4)
	v_mul_f64 v[199:200], v[159:160], v[32:33]
	v_mul_f64 v[201:202], v[157:158], v[32:33]
	s_waitcnt lgkmcnt(3)
	v_mul_f64 v[203:204], v[163:164], v[32:33]
	v_mul_f64 v[205:206], v[161:162], v[32:33]
	s_waitcnt lgkmcnt(2)
	v_mul_f64 v[207:208], v[167:168], v[32:33]
	v_mul_f64 v[209:210], v[165:166], v[32:33]
	s_waitcnt lgkmcnt(1)
	v_mul_f64 v[211:212], v[171:172], v[32:33]
	v_mul_f64 v[213:214], v[169:170], v[32:33]
	s_waitcnt lgkmcnt(0)
	v_mul_f64 v[215:216], v[175:176], v[32:33]
	v_mul_f64 v[217:218], v[173:174], v[32:33]
	v_fma_f64 v[34:35], v[117:118], v[68:69], -v[34:35]
	v_fma_f64 v[36:37], v[119:120], v[68:69], v[36:37]
	v_fma_f64 v[38:39], v[121:122], v[68:69], -v[38:39]
	v_fma_f64 v[70:71], v[123:124], v[68:69], v[70:71]
	;; [unrolled: 2-line block ×15, first 2 shown]
	v_add_f64 v[60:61], v[60:61], -v[34:35]
	v_add_f64 v[62:63], v[62:63], -v[36:37]
	v_add_f64 v[56:57], v[56:57], -v[38:39]
	v_add_f64 v[58:59], v[58:59], -v[70:71]
	v_add_f64 v[64:65], v[64:65], -v[100:101]
	v_add_f64 v[66:67], v[66:67], -v[102:103]
	v_add_f64 v[40:41], v[40:41], -v[104:105]
	v_add_f64 v[42:43], v[42:43], -v[106:107]
	v_add_f64 v[52:53], v[52:53], -v[108:109]
	v_add_f64 v[54:55], v[54:55], -v[117:118]
	v_add_f64 v[28:29], v[28:29], -v[119:120]
	v_add_f64 v[30:31], v[30:31], -v[121:122]
	v_add_f64 v[48:49], v[48:49], -v[123:124]
	v_add_f64 v[50:51], v[50:51], -v[125:126]
	v_add_f64 v[44:45], v[44:45], -v[127:128]
	v_add_f64 v[46:47], v[46:47], -v[129:130]
	v_add_f64 v[24:25], v[24:25], -v[131:132]
	v_add_f64 v[26:27], v[26:27], -v[133:134]
	v_add_f64 v[20:21], v[20:21], -v[135:136]
	v_add_f64 v[22:23], v[22:23], -v[137:138]
	v_add_f64 v[16:17], v[16:17], -v[139:140]
	v_add_f64 v[18:19], v[18:19], -v[141:142]
	v_add_f64 v[12:13], v[12:13], -v[143:144]
	v_add_f64 v[14:15], v[14:15], -v[145:146]
	v_add_f64 v[8:9], v[8:9], -v[147:148]
	v_add_f64 v[10:11], v[10:11], -v[149:150]
	v_add_f64 v[4:5], v[4:5], -v[151:152]
	v_add_f64 v[6:7], v[6:7], -v[153:154]
	v_add_f64 v[0:1], v[0:1], -v[155:156]
	v_add_f64 v[2:3], v[2:3], -v[157:158]
	v_dual_mov_b32 v71, v33 :: v_dual_mov_b32 v70, v32
.LBB48_209:
	s_or_b32 exec_lo, exec_lo, s2
	v_lshl_add_u32 v32, v111, 4, v110
	s_barrier
	buffer_gl0_inv
	v_mov_b32_e32 v108, 10
	ds_store_2addr_b64 v32, v[60:61], v[62:63] offset1:1
	s_waitcnt lgkmcnt(0)
	s_barrier
	buffer_gl0_inv
	ds_load_2addr_b64 v[100:103], v110 offset0:20 offset1:21
	s_cmp_lt_i32 s5, 12
	s_cbranch_scc1 .LBB48_212
; %bb.210:
	v_add3_u32 v109, v255, 0, 0xb0
	v_mov_b32_e32 v108, 10
	s_mov_b32 s6, 11
	s_set_inst_prefetch_distance 0x1
	.p2align	6
.LBB48_211:                             ; =>This Inner Loop Header: Depth=1
	ds_load_2addr_b64 v[117:120], v109 offset1:1
	s_waitcnt lgkmcnt(1)
	v_cmp_gt_f64_e32 vcc_lo, 0, v[100:101]
	v_xor_b32_e32 v32, 0x80000000, v101
	v_cmp_gt_f64_e64 s2, 0, v[102:103]
	v_xor_b32_e32 v34, 0x80000000, v103
	v_add_nc_u32_e32 v109, 16, v109
	s_waitcnt lgkmcnt(0)
	v_cmp_gt_f64_e64 s3, 0, v[117:118]
	v_mov_b32_e32 v36, v117
	v_dual_mov_b32 v38, v119 :: v_dual_cndmask_b32 v33, v101, v32
	v_xor_b32_e32 v32, 0x80000000, v118
	v_cndmask_b32_e64 v35, v103, v34, s2
	v_xor_b32_e32 v34, 0x80000000, v120
	s_delay_alu instid0(VALU_DEP_3) | instskip(SKIP_2) | instid1(VALU_DEP_2)
	v_cndmask_b32_e64 v37, v118, v32, s3
	v_cmp_gt_f64_e64 s3, 0, v[119:120]
	v_cndmask_b32_e32 v32, v100, v100, vcc_lo
	v_cndmask_b32_e64 v39, v120, v34, s3
	v_cndmask_b32_e64 v34, v102, v102, s2
	s_delay_alu instid0(VALU_DEP_2) | instskip(NEXT) | instid1(VALU_DEP_2)
	v_add_f64 v[36:37], v[36:37], v[38:39]
	v_add_f64 v[32:33], v[32:33], v[34:35]
	s_delay_alu instid0(VALU_DEP_1) | instskip(SKIP_4) | instid1(SALU_CYCLE_1)
	v_cmp_lt_f64_e32 vcc_lo, v[32:33], v[36:37]
	v_dual_cndmask_b32 v101, v101, v118 :: v_dual_cndmask_b32 v100, v100, v117
	v_dual_cndmask_b32 v103, v103, v120 :: v_dual_cndmask_b32 v102, v102, v119
	v_cndmask_b32_e64 v108, v108, s6, vcc_lo
	s_add_i32 s6, s6, 1
	s_cmp_lg_u32 s5, s6
	s_cbranch_scc1 .LBB48_211
.LBB48_212:
	s_set_inst_prefetch_distance 0x2
	s_waitcnt lgkmcnt(0)
	v_cmp_eq_f64_e32 vcc_lo, 0, v[100:101]
	v_cmp_eq_f64_e64 s2, 0, v[102:103]
	s_delay_alu instid0(VALU_DEP_1) | instskip(NEXT) | instid1(SALU_CYCLE_1)
	s_and_b32 s2, vcc_lo, s2
	s_and_saveexec_b32 s3, s2
	s_delay_alu instid0(SALU_CYCLE_1)
	s_xor_b32 s2, exec_lo, s3
	s_cbranch_execz .LBB48_214
; %bb.213:
	scratch_load_b32 v32, off, off          ; 4-byte Folded Reload
	s_waitcnt vmcnt(0)
	v_cmp_ne_u32_e32 vcc_lo, 0, v32
	v_cndmask_b32_e32 v32, 11, v32, vcc_lo
	scratch_store_b32 off, v32, off         ; 4-byte Folded Spill
.LBB48_214:
	s_and_not1_saveexec_b32 s3, s2
	s_cbranch_execz .LBB48_220
; %bb.215:
	v_cmp_gt_f64_e32 vcc_lo, 0, v[100:101]
	v_cmp_gt_f64_e64 s2, 0, v[102:103]
	v_xor_b32_e32 v32, 0x80000000, v101
	v_xor_b32_e32 v34, 0x80000000, v103
	s_delay_alu instid0(VALU_DEP_2) | instskip(NEXT) | instid1(VALU_DEP_2)
	v_cndmask_b32_e32 v33, v101, v32, vcc_lo
	v_cndmask_b32_e64 v35, v103, v34, s2
	v_cndmask_b32_e32 v32, v100, v100, vcc_lo
	v_cndmask_b32_e64 v34, v102, v102, s2
	s_mov_b32 s2, exec_lo
	s_delay_alu instid0(VALU_DEP_1)
	v_cmpx_ngt_f64_e32 v[32:33], v[34:35]
	s_xor_b32 s2, exec_lo, s2
	s_cbranch_execz .LBB48_217
; %bb.216:
	v_div_scale_f64 v[32:33], null, v[102:103], v[102:103], v[100:101]
	v_div_scale_f64 v[38:39], vcc_lo, v[100:101], v[102:103], v[100:101]
	s_delay_alu instid0(VALU_DEP_2) | instskip(SKIP_2) | instid1(VALU_DEP_1)
	v_rcp_f64_e32 v[34:35], v[32:33]
	s_waitcnt_depctr 0xfff
	v_fma_f64 v[36:37], -v[32:33], v[34:35], 1.0
	v_fma_f64 v[34:35], v[34:35], v[36:37], v[34:35]
	s_delay_alu instid0(VALU_DEP_1) | instskip(NEXT) | instid1(VALU_DEP_1)
	v_fma_f64 v[36:37], -v[32:33], v[34:35], 1.0
	v_fma_f64 v[34:35], v[34:35], v[36:37], v[34:35]
	s_delay_alu instid0(VALU_DEP_1) | instskip(NEXT) | instid1(VALU_DEP_1)
	v_mul_f64 v[36:37], v[38:39], v[34:35]
	v_fma_f64 v[32:33], -v[32:33], v[36:37], v[38:39]
	s_delay_alu instid0(VALU_DEP_1) | instskip(NEXT) | instid1(VALU_DEP_1)
	v_div_fmas_f64 v[32:33], v[32:33], v[34:35], v[36:37]
	v_div_fixup_f64 v[32:33], v[32:33], v[102:103], v[100:101]
	s_delay_alu instid0(VALU_DEP_1) | instskip(NEXT) | instid1(VALU_DEP_1)
	v_fma_f64 v[34:35], v[100:101], v[32:33], v[102:103]
	v_div_scale_f64 v[36:37], null, v[34:35], v[34:35], 1.0
	s_delay_alu instid0(VALU_DEP_1) | instskip(SKIP_2) | instid1(VALU_DEP_1)
	v_rcp_f64_e32 v[38:39], v[36:37]
	s_waitcnt_depctr 0xfff
	v_fma_f64 v[100:101], -v[36:37], v[38:39], 1.0
	v_fma_f64 v[38:39], v[38:39], v[100:101], v[38:39]
	s_delay_alu instid0(VALU_DEP_1) | instskip(NEXT) | instid1(VALU_DEP_1)
	v_fma_f64 v[100:101], -v[36:37], v[38:39], 1.0
	v_fma_f64 v[38:39], v[38:39], v[100:101], v[38:39]
	v_div_scale_f64 v[100:101], vcc_lo, 1.0, v[34:35], 1.0
	s_delay_alu instid0(VALU_DEP_1) | instskip(NEXT) | instid1(VALU_DEP_1)
	v_mul_f64 v[102:103], v[100:101], v[38:39]
	v_fma_f64 v[36:37], -v[36:37], v[102:103], v[100:101]
	s_delay_alu instid0(VALU_DEP_1) | instskip(NEXT) | instid1(VALU_DEP_1)
	v_div_fmas_f64 v[36:37], v[36:37], v[38:39], v[102:103]
	v_div_fixup_f64 v[102:103], v[36:37], v[34:35], 1.0
	s_delay_alu instid0(VALU_DEP_1)
	v_mul_f64 v[100:101], v[32:33], v[102:103]
	v_xor_b32_e32 v103, 0x80000000, v103
.LBB48_217:
	s_and_not1_saveexec_b32 s2, s2
	s_cbranch_execz .LBB48_219
; %bb.218:
	s_delay_alu instid0(VALU_DEP_1) | instskip(SKIP_1) | instid1(VALU_DEP_2)
	v_div_scale_f64 v[32:33], null, v[100:101], v[100:101], v[102:103]
	v_div_scale_f64 v[38:39], vcc_lo, v[102:103], v[100:101], v[102:103]
	v_rcp_f64_e32 v[34:35], v[32:33]
	s_waitcnt_depctr 0xfff
	v_fma_f64 v[36:37], -v[32:33], v[34:35], 1.0
	s_delay_alu instid0(VALU_DEP_1) | instskip(NEXT) | instid1(VALU_DEP_1)
	v_fma_f64 v[34:35], v[34:35], v[36:37], v[34:35]
	v_fma_f64 v[36:37], -v[32:33], v[34:35], 1.0
	s_delay_alu instid0(VALU_DEP_1) | instskip(NEXT) | instid1(VALU_DEP_1)
	v_fma_f64 v[34:35], v[34:35], v[36:37], v[34:35]
	v_mul_f64 v[36:37], v[38:39], v[34:35]
	s_delay_alu instid0(VALU_DEP_1) | instskip(NEXT) | instid1(VALU_DEP_1)
	v_fma_f64 v[32:33], -v[32:33], v[36:37], v[38:39]
	v_div_fmas_f64 v[32:33], v[32:33], v[34:35], v[36:37]
	s_delay_alu instid0(VALU_DEP_1) | instskip(NEXT) | instid1(VALU_DEP_1)
	v_div_fixup_f64 v[32:33], v[32:33], v[100:101], v[102:103]
	v_fma_f64 v[34:35], v[102:103], v[32:33], v[100:101]
	s_delay_alu instid0(VALU_DEP_1) | instskip(NEXT) | instid1(VALU_DEP_1)
	v_div_scale_f64 v[36:37], null, v[34:35], v[34:35], 1.0
	v_rcp_f64_e32 v[38:39], v[36:37]
	s_waitcnt_depctr 0xfff
	v_fma_f64 v[100:101], -v[36:37], v[38:39], 1.0
	s_delay_alu instid0(VALU_DEP_1) | instskip(NEXT) | instid1(VALU_DEP_1)
	v_fma_f64 v[38:39], v[38:39], v[100:101], v[38:39]
	v_fma_f64 v[100:101], -v[36:37], v[38:39], 1.0
	s_delay_alu instid0(VALU_DEP_1) | instskip(SKIP_1) | instid1(VALU_DEP_1)
	v_fma_f64 v[38:39], v[38:39], v[100:101], v[38:39]
	v_div_scale_f64 v[100:101], vcc_lo, 1.0, v[34:35], 1.0
	v_mul_f64 v[102:103], v[100:101], v[38:39]
	s_delay_alu instid0(VALU_DEP_1) | instskip(NEXT) | instid1(VALU_DEP_1)
	v_fma_f64 v[36:37], -v[36:37], v[102:103], v[100:101]
	v_div_fmas_f64 v[36:37], v[36:37], v[38:39], v[102:103]
	s_delay_alu instid0(VALU_DEP_1) | instskip(NEXT) | instid1(VALU_DEP_1)
	v_div_fixup_f64 v[100:101], v[36:37], v[34:35], 1.0
	v_mul_f64 v[102:103], v[32:33], -v[100:101]
.LBB48_219:
	s_or_b32 exec_lo, exec_lo, s2
.LBB48_220:
	s_delay_alu instid0(SALU_CYCLE_1) | instskip(NEXT) | instid1(SALU_CYCLE_1)
	s_or_b32 exec_lo, exec_lo, s3
	s_mov_b32 s2, exec_lo
	v_cmpx_ne_u32_e64 v111, v108
	s_xor_b32 s2, exec_lo, s2
	s_cbranch_execz .LBB48_226
; %bb.221:
	s_mov_b32 s3, exec_lo
	v_cmpx_eq_u32_e32 10, v111
	s_cbranch_execz .LBB48_225
; %bb.222:
	v_cmp_ne_u32_e32 vcc_lo, 10, v108
	s_xor_b32 s6, s4, -1
	s_delay_alu instid0(SALU_CYCLE_1) | instskip(NEXT) | instid1(SALU_CYCLE_1)
	s_and_b32 s7, s6, vcc_lo
	s_and_saveexec_b32 s6, s7
	s_cbranch_execz .LBB48_224
; %bb.223:
	v_ashrrev_i32_e32 v109, 31, v108
	s_delay_alu instid0(VALU_DEP_1) | instskip(NEXT) | instid1(VALU_DEP_1)
	v_lshlrev_b64 v[32:33], 2, v[108:109]
	v_add_co_u32 v32, vcc_lo, v78, v32
	s_delay_alu instid0(VALU_DEP_2)
	v_add_co_ci_u32_e32 v33, vcc_lo, v79, v33, vcc_lo
	s_clause 0x1
	flat_load_b32 v34, v[32:33]
	flat_load_b32 v35, v[78:79] offset:40
	s_waitcnt vmcnt(1) lgkmcnt(1)
	flat_store_b32 v[78:79], v34 offset:40
	s_waitcnt vmcnt(0) lgkmcnt(1)
	flat_store_b32 v[32:33], v35
.LBB48_224:
	s_or_b32 exec_lo, exec_lo, s6
	v_mov_b32_e32 v111, v108
	v_mov_b32_e32 v247, v108
.LBB48_225:
	s_or_b32 exec_lo, exec_lo, s3
.LBB48_226:
	s_and_not1_saveexec_b32 s2, s2
	s_cbranch_execz .LBB48_228
; %bb.227:
	v_mov_b32_e32 v111, 10
	ds_store_2addr_b64 v110, v[56:57], v[58:59] offset0:22 offset1:23
	ds_store_2addr_b64 v110, v[64:65], v[66:67] offset0:24 offset1:25
	;; [unrolled: 1-line block ×14, first 2 shown]
.LBB48_228:
	s_or_b32 exec_lo, exec_lo, s2
	s_delay_alu instid0(SALU_CYCLE_1)
	s_mov_b32 s2, exec_lo
	s_waitcnt lgkmcnt(0)
	s_waitcnt_vscnt null, 0x0
	s_barrier
	buffer_gl0_inv
	v_cmpx_lt_i32_e32 10, v111
	s_cbranch_execz .LBB48_230
; %bb.229:
	v_mul_f64 v[32:33], v[100:101], v[62:63]
	v_mul_f64 v[34:35], v[102:103], v[62:63]
	ds_load_2addr_b64 v[117:120], v110 offset0:22 offset1:23
	ds_load_2addr_b64 v[121:124], v110 offset0:24 offset1:25
	;; [unrolled: 1-line block ×14, first 2 shown]
	v_fma_f64 v[32:33], v[102:103], v[60:61], v[32:33]
	v_fma_f64 v[60:61], v[100:101], v[60:61], -v[34:35]
	s_waitcnt lgkmcnt(13)
	s_delay_alu instid0(VALU_DEP_2)
	v_mul_f64 v[34:35], v[119:120], v[32:33]
	v_mul_f64 v[36:37], v[117:118], v[32:33]
	s_waitcnt lgkmcnt(12)
	v_mul_f64 v[38:39], v[123:124], v[32:33]
	v_mul_f64 v[62:63], v[121:122], v[32:33]
	s_waitcnt lgkmcnt(11)
	;; [unrolled: 3-line block ×13, first 2 shown]
	v_mul_f64 v[207:208], v[171:172], v[32:33]
	v_mul_f64 v[209:210], v[169:170], v[32:33]
	v_fma_f64 v[34:35], v[117:118], v[60:61], -v[34:35]
	v_fma_f64 v[36:37], v[119:120], v[60:61], v[36:37]
	v_fma_f64 v[38:39], v[121:122], v[60:61], -v[38:39]
	v_fma_f64 v[62:63], v[123:124], v[60:61], v[62:63]
	;; [unrolled: 2-line block ×14, first 2 shown]
	v_add_f64 v[56:57], v[56:57], -v[34:35]
	v_add_f64 v[58:59], v[58:59], -v[36:37]
	;; [unrolled: 1-line block ×28, first 2 shown]
	v_dual_mov_b32 v63, v33 :: v_dual_mov_b32 v62, v32
.LBB48_230:
	s_or_b32 exec_lo, exec_lo, s2
	v_lshl_add_u32 v32, v111, 4, v110
	s_barrier
	buffer_gl0_inv
	v_mov_b32_e32 v108, 11
	ds_store_2addr_b64 v32, v[56:57], v[58:59] offset1:1
	s_waitcnt lgkmcnt(0)
	s_barrier
	buffer_gl0_inv
	ds_load_2addr_b64 v[100:103], v110 offset0:22 offset1:23
	s_cmp_lt_i32 s5, 13
	s_cbranch_scc1 .LBB48_233
; %bb.231:
	v_add3_u32 v109, v255, 0, 0xc0
	v_mov_b32_e32 v108, 11
	s_mov_b32 s6, 12
	s_set_inst_prefetch_distance 0x1
	.p2align	6
.LBB48_232:                             ; =>This Inner Loop Header: Depth=1
	ds_load_2addr_b64 v[117:120], v109 offset1:1
	s_waitcnt lgkmcnt(1)
	v_cmp_gt_f64_e32 vcc_lo, 0, v[100:101]
	v_xor_b32_e32 v32, 0x80000000, v101
	v_cmp_gt_f64_e64 s2, 0, v[102:103]
	v_xor_b32_e32 v34, 0x80000000, v103
	v_add_nc_u32_e32 v109, 16, v109
	s_waitcnt lgkmcnt(0)
	v_cmp_gt_f64_e64 s3, 0, v[117:118]
	v_mov_b32_e32 v36, v117
	v_dual_mov_b32 v38, v119 :: v_dual_cndmask_b32 v33, v101, v32
	v_xor_b32_e32 v32, 0x80000000, v118
	v_cndmask_b32_e64 v35, v103, v34, s2
	v_xor_b32_e32 v34, 0x80000000, v120
	s_delay_alu instid0(VALU_DEP_3) | instskip(SKIP_2) | instid1(VALU_DEP_2)
	v_cndmask_b32_e64 v37, v118, v32, s3
	v_cmp_gt_f64_e64 s3, 0, v[119:120]
	v_cndmask_b32_e32 v32, v100, v100, vcc_lo
	v_cndmask_b32_e64 v39, v120, v34, s3
	v_cndmask_b32_e64 v34, v102, v102, s2
	s_delay_alu instid0(VALU_DEP_2) | instskip(NEXT) | instid1(VALU_DEP_2)
	v_add_f64 v[36:37], v[36:37], v[38:39]
	v_add_f64 v[32:33], v[32:33], v[34:35]
	s_delay_alu instid0(VALU_DEP_1) | instskip(SKIP_4) | instid1(SALU_CYCLE_1)
	v_cmp_lt_f64_e32 vcc_lo, v[32:33], v[36:37]
	v_dual_cndmask_b32 v101, v101, v118 :: v_dual_cndmask_b32 v100, v100, v117
	v_dual_cndmask_b32 v103, v103, v120 :: v_dual_cndmask_b32 v102, v102, v119
	v_cndmask_b32_e64 v108, v108, s6, vcc_lo
	s_add_i32 s6, s6, 1
	s_cmp_lg_u32 s5, s6
	s_cbranch_scc1 .LBB48_232
.LBB48_233:
	s_set_inst_prefetch_distance 0x2
	s_waitcnt lgkmcnt(0)
	v_cmp_eq_f64_e32 vcc_lo, 0, v[100:101]
	v_cmp_eq_f64_e64 s2, 0, v[102:103]
	s_delay_alu instid0(VALU_DEP_1) | instskip(NEXT) | instid1(SALU_CYCLE_1)
	s_and_b32 s2, vcc_lo, s2
	s_and_saveexec_b32 s3, s2
	s_delay_alu instid0(SALU_CYCLE_1)
	s_xor_b32 s2, exec_lo, s3
	s_cbranch_execz .LBB48_235
; %bb.234:
	scratch_load_b32 v32, off, off          ; 4-byte Folded Reload
	s_waitcnt vmcnt(0)
	v_cmp_ne_u32_e32 vcc_lo, 0, v32
	v_cndmask_b32_e32 v32, 12, v32, vcc_lo
	scratch_store_b32 off, v32, off         ; 4-byte Folded Spill
.LBB48_235:
	s_and_not1_saveexec_b32 s3, s2
	s_cbranch_execz .LBB48_241
; %bb.236:
	v_cmp_gt_f64_e32 vcc_lo, 0, v[100:101]
	v_cmp_gt_f64_e64 s2, 0, v[102:103]
	v_xor_b32_e32 v32, 0x80000000, v101
	v_xor_b32_e32 v34, 0x80000000, v103
	s_delay_alu instid0(VALU_DEP_2) | instskip(NEXT) | instid1(VALU_DEP_2)
	v_cndmask_b32_e32 v33, v101, v32, vcc_lo
	v_cndmask_b32_e64 v35, v103, v34, s2
	v_cndmask_b32_e32 v32, v100, v100, vcc_lo
	v_cndmask_b32_e64 v34, v102, v102, s2
	s_mov_b32 s2, exec_lo
	s_delay_alu instid0(VALU_DEP_1)
	v_cmpx_ngt_f64_e32 v[32:33], v[34:35]
	s_xor_b32 s2, exec_lo, s2
	s_cbranch_execz .LBB48_238
; %bb.237:
	v_div_scale_f64 v[32:33], null, v[102:103], v[102:103], v[100:101]
	v_div_scale_f64 v[38:39], vcc_lo, v[100:101], v[102:103], v[100:101]
	s_delay_alu instid0(VALU_DEP_2) | instskip(SKIP_2) | instid1(VALU_DEP_1)
	v_rcp_f64_e32 v[34:35], v[32:33]
	s_waitcnt_depctr 0xfff
	v_fma_f64 v[36:37], -v[32:33], v[34:35], 1.0
	v_fma_f64 v[34:35], v[34:35], v[36:37], v[34:35]
	s_delay_alu instid0(VALU_DEP_1) | instskip(NEXT) | instid1(VALU_DEP_1)
	v_fma_f64 v[36:37], -v[32:33], v[34:35], 1.0
	v_fma_f64 v[34:35], v[34:35], v[36:37], v[34:35]
	s_delay_alu instid0(VALU_DEP_1) | instskip(NEXT) | instid1(VALU_DEP_1)
	v_mul_f64 v[36:37], v[38:39], v[34:35]
	v_fma_f64 v[32:33], -v[32:33], v[36:37], v[38:39]
	s_delay_alu instid0(VALU_DEP_1) | instskip(NEXT) | instid1(VALU_DEP_1)
	v_div_fmas_f64 v[32:33], v[32:33], v[34:35], v[36:37]
	v_div_fixup_f64 v[32:33], v[32:33], v[102:103], v[100:101]
	s_delay_alu instid0(VALU_DEP_1) | instskip(NEXT) | instid1(VALU_DEP_1)
	v_fma_f64 v[34:35], v[100:101], v[32:33], v[102:103]
	v_div_scale_f64 v[36:37], null, v[34:35], v[34:35], 1.0
	s_delay_alu instid0(VALU_DEP_1) | instskip(SKIP_2) | instid1(VALU_DEP_1)
	v_rcp_f64_e32 v[38:39], v[36:37]
	s_waitcnt_depctr 0xfff
	v_fma_f64 v[100:101], -v[36:37], v[38:39], 1.0
	v_fma_f64 v[38:39], v[38:39], v[100:101], v[38:39]
	s_delay_alu instid0(VALU_DEP_1) | instskip(NEXT) | instid1(VALU_DEP_1)
	v_fma_f64 v[100:101], -v[36:37], v[38:39], 1.0
	v_fma_f64 v[38:39], v[38:39], v[100:101], v[38:39]
	v_div_scale_f64 v[100:101], vcc_lo, 1.0, v[34:35], 1.0
	s_delay_alu instid0(VALU_DEP_1) | instskip(NEXT) | instid1(VALU_DEP_1)
	v_mul_f64 v[102:103], v[100:101], v[38:39]
	v_fma_f64 v[36:37], -v[36:37], v[102:103], v[100:101]
	s_delay_alu instid0(VALU_DEP_1) | instskip(NEXT) | instid1(VALU_DEP_1)
	v_div_fmas_f64 v[36:37], v[36:37], v[38:39], v[102:103]
	v_div_fixup_f64 v[102:103], v[36:37], v[34:35], 1.0
	s_delay_alu instid0(VALU_DEP_1)
	v_mul_f64 v[100:101], v[32:33], v[102:103]
	v_xor_b32_e32 v103, 0x80000000, v103
.LBB48_238:
	s_and_not1_saveexec_b32 s2, s2
	s_cbranch_execz .LBB48_240
; %bb.239:
	s_delay_alu instid0(VALU_DEP_1) | instskip(SKIP_1) | instid1(VALU_DEP_2)
	v_div_scale_f64 v[32:33], null, v[100:101], v[100:101], v[102:103]
	v_div_scale_f64 v[38:39], vcc_lo, v[102:103], v[100:101], v[102:103]
	v_rcp_f64_e32 v[34:35], v[32:33]
	s_waitcnt_depctr 0xfff
	v_fma_f64 v[36:37], -v[32:33], v[34:35], 1.0
	s_delay_alu instid0(VALU_DEP_1) | instskip(NEXT) | instid1(VALU_DEP_1)
	v_fma_f64 v[34:35], v[34:35], v[36:37], v[34:35]
	v_fma_f64 v[36:37], -v[32:33], v[34:35], 1.0
	s_delay_alu instid0(VALU_DEP_1) | instskip(NEXT) | instid1(VALU_DEP_1)
	v_fma_f64 v[34:35], v[34:35], v[36:37], v[34:35]
	v_mul_f64 v[36:37], v[38:39], v[34:35]
	s_delay_alu instid0(VALU_DEP_1) | instskip(NEXT) | instid1(VALU_DEP_1)
	v_fma_f64 v[32:33], -v[32:33], v[36:37], v[38:39]
	v_div_fmas_f64 v[32:33], v[32:33], v[34:35], v[36:37]
	s_delay_alu instid0(VALU_DEP_1) | instskip(NEXT) | instid1(VALU_DEP_1)
	v_div_fixup_f64 v[32:33], v[32:33], v[100:101], v[102:103]
	v_fma_f64 v[34:35], v[102:103], v[32:33], v[100:101]
	s_delay_alu instid0(VALU_DEP_1) | instskip(NEXT) | instid1(VALU_DEP_1)
	v_div_scale_f64 v[36:37], null, v[34:35], v[34:35], 1.0
	v_rcp_f64_e32 v[38:39], v[36:37]
	s_waitcnt_depctr 0xfff
	v_fma_f64 v[100:101], -v[36:37], v[38:39], 1.0
	s_delay_alu instid0(VALU_DEP_1) | instskip(NEXT) | instid1(VALU_DEP_1)
	v_fma_f64 v[38:39], v[38:39], v[100:101], v[38:39]
	v_fma_f64 v[100:101], -v[36:37], v[38:39], 1.0
	s_delay_alu instid0(VALU_DEP_1) | instskip(SKIP_1) | instid1(VALU_DEP_1)
	v_fma_f64 v[38:39], v[38:39], v[100:101], v[38:39]
	v_div_scale_f64 v[100:101], vcc_lo, 1.0, v[34:35], 1.0
	v_mul_f64 v[102:103], v[100:101], v[38:39]
	s_delay_alu instid0(VALU_DEP_1) | instskip(NEXT) | instid1(VALU_DEP_1)
	v_fma_f64 v[36:37], -v[36:37], v[102:103], v[100:101]
	v_div_fmas_f64 v[36:37], v[36:37], v[38:39], v[102:103]
	s_delay_alu instid0(VALU_DEP_1) | instskip(NEXT) | instid1(VALU_DEP_1)
	v_div_fixup_f64 v[100:101], v[36:37], v[34:35], 1.0
	v_mul_f64 v[102:103], v[32:33], -v[100:101]
.LBB48_240:
	s_or_b32 exec_lo, exec_lo, s2
.LBB48_241:
	s_delay_alu instid0(SALU_CYCLE_1) | instskip(NEXT) | instid1(SALU_CYCLE_1)
	s_or_b32 exec_lo, exec_lo, s3
	s_mov_b32 s2, exec_lo
	v_cmpx_ne_u32_e64 v111, v108
	s_xor_b32 s2, exec_lo, s2
	s_cbranch_execz .LBB48_247
; %bb.242:
	s_mov_b32 s3, exec_lo
	v_cmpx_eq_u32_e32 11, v111
	s_cbranch_execz .LBB48_246
; %bb.243:
	v_cmp_ne_u32_e32 vcc_lo, 11, v108
	s_xor_b32 s6, s4, -1
	s_delay_alu instid0(SALU_CYCLE_1) | instskip(NEXT) | instid1(SALU_CYCLE_1)
	s_and_b32 s7, s6, vcc_lo
	s_and_saveexec_b32 s6, s7
	s_cbranch_execz .LBB48_245
; %bb.244:
	v_ashrrev_i32_e32 v109, 31, v108
	s_delay_alu instid0(VALU_DEP_1) | instskip(NEXT) | instid1(VALU_DEP_1)
	v_lshlrev_b64 v[32:33], 2, v[108:109]
	v_add_co_u32 v32, vcc_lo, v78, v32
	s_delay_alu instid0(VALU_DEP_2)
	v_add_co_ci_u32_e32 v33, vcc_lo, v79, v33, vcc_lo
	s_clause 0x1
	flat_load_b32 v34, v[32:33]
	flat_load_b32 v35, v[78:79] offset:44
	s_waitcnt vmcnt(1) lgkmcnt(1)
	flat_store_b32 v[78:79], v34 offset:44
	s_waitcnt vmcnt(0) lgkmcnt(1)
	flat_store_b32 v[32:33], v35
.LBB48_245:
	s_or_b32 exec_lo, exec_lo, s6
	v_mov_b32_e32 v111, v108
	v_mov_b32_e32 v247, v108
.LBB48_246:
	s_or_b32 exec_lo, exec_lo, s3
.LBB48_247:
	s_and_not1_saveexec_b32 s2, s2
	s_cbranch_execz .LBB48_249
; %bb.248:
	v_mov_b32_e32 v111, 11
	ds_store_2addr_b64 v110, v[64:65], v[66:67] offset0:24 offset1:25
	ds_store_2addr_b64 v110, v[40:41], v[42:43] offset0:26 offset1:27
	;; [unrolled: 1-line block ×13, first 2 shown]
.LBB48_249:
	s_or_b32 exec_lo, exec_lo, s2
	s_delay_alu instid0(SALU_CYCLE_1)
	s_mov_b32 s2, exec_lo
	s_waitcnt lgkmcnt(0)
	s_waitcnt_vscnt null, 0x0
	s_barrier
	buffer_gl0_inv
	v_cmpx_lt_i32_e32 11, v111
	s_cbranch_execz .LBB48_251
; %bb.250:
	v_mul_f64 v[32:33], v[100:101], v[58:59]
	v_mul_f64 v[34:35], v[102:103], v[58:59]
	ds_load_2addr_b64 v[117:120], v110 offset0:24 offset1:25
	ds_load_2addr_b64 v[121:124], v110 offset0:26 offset1:27
	;; [unrolled: 1-line block ×13, first 2 shown]
	v_fma_f64 v[32:33], v[102:103], v[56:57], v[32:33]
	v_fma_f64 v[56:57], v[100:101], v[56:57], -v[34:35]
	s_waitcnt lgkmcnt(12)
	s_delay_alu instid0(VALU_DEP_2)
	v_mul_f64 v[34:35], v[119:120], v[32:33]
	v_mul_f64 v[36:37], v[117:118], v[32:33]
	s_waitcnt lgkmcnt(11)
	v_mul_f64 v[38:39], v[123:124], v[32:33]
	v_mul_f64 v[58:59], v[121:122], v[32:33]
	s_waitcnt lgkmcnt(10)
	;; [unrolled: 3-line block ×12, first 2 shown]
	v_mul_f64 v[199:200], v[167:168], v[32:33]
	v_mul_f64 v[201:202], v[165:166], v[32:33]
	v_fma_f64 v[34:35], v[117:118], v[56:57], -v[34:35]
	v_fma_f64 v[36:37], v[119:120], v[56:57], v[36:37]
	v_fma_f64 v[38:39], v[121:122], v[56:57], -v[38:39]
	v_fma_f64 v[58:59], v[123:124], v[56:57], v[58:59]
	;; [unrolled: 2-line block ×13, first 2 shown]
	v_add_f64 v[64:65], v[64:65], -v[34:35]
	v_add_f64 v[66:67], v[66:67], -v[36:37]
	;; [unrolled: 1-line block ×26, first 2 shown]
	v_dual_mov_b32 v59, v33 :: v_dual_mov_b32 v58, v32
.LBB48_251:
	s_or_b32 exec_lo, exec_lo, s2
	v_lshl_add_u32 v32, v111, 4, v110
	s_barrier
	buffer_gl0_inv
	v_mov_b32_e32 v108, 12
	ds_store_2addr_b64 v32, v[64:65], v[66:67] offset1:1
	s_waitcnt lgkmcnt(0)
	s_barrier
	buffer_gl0_inv
	ds_load_2addr_b64 v[100:103], v110 offset0:24 offset1:25
	s_cmp_lt_i32 s5, 14
	s_cbranch_scc1 .LBB48_254
; %bb.252:
	v_add3_u32 v109, v255, 0, 0xd0
	v_mov_b32_e32 v108, 12
	s_mov_b32 s6, 13
	s_set_inst_prefetch_distance 0x1
	.p2align	6
.LBB48_253:                             ; =>This Inner Loop Header: Depth=1
	ds_load_2addr_b64 v[117:120], v109 offset1:1
	s_waitcnt lgkmcnt(1)
	v_cmp_gt_f64_e32 vcc_lo, 0, v[100:101]
	v_xor_b32_e32 v32, 0x80000000, v101
	v_cmp_gt_f64_e64 s2, 0, v[102:103]
	v_xor_b32_e32 v34, 0x80000000, v103
	v_add_nc_u32_e32 v109, 16, v109
	s_waitcnt lgkmcnt(0)
	v_cmp_gt_f64_e64 s3, 0, v[117:118]
	v_mov_b32_e32 v36, v117
	v_dual_mov_b32 v38, v119 :: v_dual_cndmask_b32 v33, v101, v32
	v_xor_b32_e32 v32, 0x80000000, v118
	v_cndmask_b32_e64 v35, v103, v34, s2
	v_xor_b32_e32 v34, 0x80000000, v120
	s_delay_alu instid0(VALU_DEP_3) | instskip(SKIP_2) | instid1(VALU_DEP_2)
	v_cndmask_b32_e64 v37, v118, v32, s3
	v_cmp_gt_f64_e64 s3, 0, v[119:120]
	v_cndmask_b32_e32 v32, v100, v100, vcc_lo
	v_cndmask_b32_e64 v39, v120, v34, s3
	v_cndmask_b32_e64 v34, v102, v102, s2
	s_delay_alu instid0(VALU_DEP_2) | instskip(NEXT) | instid1(VALU_DEP_2)
	v_add_f64 v[36:37], v[36:37], v[38:39]
	v_add_f64 v[32:33], v[32:33], v[34:35]
	s_delay_alu instid0(VALU_DEP_1) | instskip(SKIP_4) | instid1(SALU_CYCLE_1)
	v_cmp_lt_f64_e32 vcc_lo, v[32:33], v[36:37]
	v_dual_cndmask_b32 v101, v101, v118 :: v_dual_cndmask_b32 v100, v100, v117
	v_dual_cndmask_b32 v103, v103, v120 :: v_dual_cndmask_b32 v102, v102, v119
	v_cndmask_b32_e64 v108, v108, s6, vcc_lo
	s_add_i32 s6, s6, 1
	s_cmp_lg_u32 s5, s6
	s_cbranch_scc1 .LBB48_253
.LBB48_254:
	s_set_inst_prefetch_distance 0x2
	s_waitcnt lgkmcnt(0)
	v_cmp_eq_f64_e32 vcc_lo, 0, v[100:101]
	v_cmp_eq_f64_e64 s2, 0, v[102:103]
	s_delay_alu instid0(VALU_DEP_1) | instskip(NEXT) | instid1(SALU_CYCLE_1)
	s_and_b32 s2, vcc_lo, s2
	s_and_saveexec_b32 s3, s2
	s_delay_alu instid0(SALU_CYCLE_1)
	s_xor_b32 s2, exec_lo, s3
	s_cbranch_execz .LBB48_256
; %bb.255:
	scratch_load_b32 v32, off, off          ; 4-byte Folded Reload
	s_waitcnt vmcnt(0)
	v_cmp_ne_u32_e32 vcc_lo, 0, v32
	v_cndmask_b32_e32 v32, 13, v32, vcc_lo
	scratch_store_b32 off, v32, off         ; 4-byte Folded Spill
.LBB48_256:
	s_and_not1_saveexec_b32 s3, s2
	s_cbranch_execz .LBB48_262
; %bb.257:
	v_cmp_gt_f64_e32 vcc_lo, 0, v[100:101]
	v_cmp_gt_f64_e64 s2, 0, v[102:103]
	v_xor_b32_e32 v32, 0x80000000, v101
	v_xor_b32_e32 v34, 0x80000000, v103
	s_delay_alu instid0(VALU_DEP_2) | instskip(NEXT) | instid1(VALU_DEP_2)
	v_cndmask_b32_e32 v33, v101, v32, vcc_lo
	v_cndmask_b32_e64 v35, v103, v34, s2
	v_cndmask_b32_e32 v32, v100, v100, vcc_lo
	v_cndmask_b32_e64 v34, v102, v102, s2
	s_mov_b32 s2, exec_lo
	s_delay_alu instid0(VALU_DEP_1)
	v_cmpx_ngt_f64_e32 v[32:33], v[34:35]
	s_xor_b32 s2, exec_lo, s2
	s_cbranch_execz .LBB48_259
; %bb.258:
	v_div_scale_f64 v[32:33], null, v[102:103], v[102:103], v[100:101]
	v_div_scale_f64 v[38:39], vcc_lo, v[100:101], v[102:103], v[100:101]
	s_delay_alu instid0(VALU_DEP_2) | instskip(SKIP_2) | instid1(VALU_DEP_1)
	v_rcp_f64_e32 v[34:35], v[32:33]
	s_waitcnt_depctr 0xfff
	v_fma_f64 v[36:37], -v[32:33], v[34:35], 1.0
	v_fma_f64 v[34:35], v[34:35], v[36:37], v[34:35]
	s_delay_alu instid0(VALU_DEP_1) | instskip(NEXT) | instid1(VALU_DEP_1)
	v_fma_f64 v[36:37], -v[32:33], v[34:35], 1.0
	v_fma_f64 v[34:35], v[34:35], v[36:37], v[34:35]
	s_delay_alu instid0(VALU_DEP_1) | instskip(NEXT) | instid1(VALU_DEP_1)
	v_mul_f64 v[36:37], v[38:39], v[34:35]
	v_fma_f64 v[32:33], -v[32:33], v[36:37], v[38:39]
	s_delay_alu instid0(VALU_DEP_1) | instskip(NEXT) | instid1(VALU_DEP_1)
	v_div_fmas_f64 v[32:33], v[32:33], v[34:35], v[36:37]
	v_div_fixup_f64 v[32:33], v[32:33], v[102:103], v[100:101]
	s_delay_alu instid0(VALU_DEP_1) | instskip(NEXT) | instid1(VALU_DEP_1)
	v_fma_f64 v[34:35], v[100:101], v[32:33], v[102:103]
	v_div_scale_f64 v[36:37], null, v[34:35], v[34:35], 1.0
	s_delay_alu instid0(VALU_DEP_1) | instskip(SKIP_2) | instid1(VALU_DEP_1)
	v_rcp_f64_e32 v[38:39], v[36:37]
	s_waitcnt_depctr 0xfff
	v_fma_f64 v[100:101], -v[36:37], v[38:39], 1.0
	v_fma_f64 v[38:39], v[38:39], v[100:101], v[38:39]
	s_delay_alu instid0(VALU_DEP_1) | instskip(NEXT) | instid1(VALU_DEP_1)
	v_fma_f64 v[100:101], -v[36:37], v[38:39], 1.0
	v_fma_f64 v[38:39], v[38:39], v[100:101], v[38:39]
	v_div_scale_f64 v[100:101], vcc_lo, 1.0, v[34:35], 1.0
	s_delay_alu instid0(VALU_DEP_1) | instskip(NEXT) | instid1(VALU_DEP_1)
	v_mul_f64 v[102:103], v[100:101], v[38:39]
	v_fma_f64 v[36:37], -v[36:37], v[102:103], v[100:101]
	s_delay_alu instid0(VALU_DEP_1) | instskip(NEXT) | instid1(VALU_DEP_1)
	v_div_fmas_f64 v[36:37], v[36:37], v[38:39], v[102:103]
	v_div_fixup_f64 v[102:103], v[36:37], v[34:35], 1.0
	s_delay_alu instid0(VALU_DEP_1)
	v_mul_f64 v[100:101], v[32:33], v[102:103]
	v_xor_b32_e32 v103, 0x80000000, v103
.LBB48_259:
	s_and_not1_saveexec_b32 s2, s2
	s_cbranch_execz .LBB48_261
; %bb.260:
	s_delay_alu instid0(VALU_DEP_1) | instskip(SKIP_1) | instid1(VALU_DEP_2)
	v_div_scale_f64 v[32:33], null, v[100:101], v[100:101], v[102:103]
	v_div_scale_f64 v[38:39], vcc_lo, v[102:103], v[100:101], v[102:103]
	v_rcp_f64_e32 v[34:35], v[32:33]
	s_waitcnt_depctr 0xfff
	v_fma_f64 v[36:37], -v[32:33], v[34:35], 1.0
	s_delay_alu instid0(VALU_DEP_1) | instskip(NEXT) | instid1(VALU_DEP_1)
	v_fma_f64 v[34:35], v[34:35], v[36:37], v[34:35]
	v_fma_f64 v[36:37], -v[32:33], v[34:35], 1.0
	s_delay_alu instid0(VALU_DEP_1) | instskip(NEXT) | instid1(VALU_DEP_1)
	v_fma_f64 v[34:35], v[34:35], v[36:37], v[34:35]
	v_mul_f64 v[36:37], v[38:39], v[34:35]
	s_delay_alu instid0(VALU_DEP_1) | instskip(NEXT) | instid1(VALU_DEP_1)
	v_fma_f64 v[32:33], -v[32:33], v[36:37], v[38:39]
	v_div_fmas_f64 v[32:33], v[32:33], v[34:35], v[36:37]
	s_delay_alu instid0(VALU_DEP_1) | instskip(NEXT) | instid1(VALU_DEP_1)
	v_div_fixup_f64 v[32:33], v[32:33], v[100:101], v[102:103]
	v_fma_f64 v[34:35], v[102:103], v[32:33], v[100:101]
	s_delay_alu instid0(VALU_DEP_1) | instskip(NEXT) | instid1(VALU_DEP_1)
	v_div_scale_f64 v[36:37], null, v[34:35], v[34:35], 1.0
	v_rcp_f64_e32 v[38:39], v[36:37]
	s_waitcnt_depctr 0xfff
	v_fma_f64 v[100:101], -v[36:37], v[38:39], 1.0
	s_delay_alu instid0(VALU_DEP_1) | instskip(NEXT) | instid1(VALU_DEP_1)
	v_fma_f64 v[38:39], v[38:39], v[100:101], v[38:39]
	v_fma_f64 v[100:101], -v[36:37], v[38:39], 1.0
	s_delay_alu instid0(VALU_DEP_1) | instskip(SKIP_1) | instid1(VALU_DEP_1)
	v_fma_f64 v[38:39], v[38:39], v[100:101], v[38:39]
	v_div_scale_f64 v[100:101], vcc_lo, 1.0, v[34:35], 1.0
	v_mul_f64 v[102:103], v[100:101], v[38:39]
	s_delay_alu instid0(VALU_DEP_1) | instskip(NEXT) | instid1(VALU_DEP_1)
	v_fma_f64 v[36:37], -v[36:37], v[102:103], v[100:101]
	v_div_fmas_f64 v[36:37], v[36:37], v[38:39], v[102:103]
	s_delay_alu instid0(VALU_DEP_1) | instskip(NEXT) | instid1(VALU_DEP_1)
	v_div_fixup_f64 v[100:101], v[36:37], v[34:35], 1.0
	v_mul_f64 v[102:103], v[32:33], -v[100:101]
.LBB48_261:
	s_or_b32 exec_lo, exec_lo, s2
.LBB48_262:
	s_delay_alu instid0(SALU_CYCLE_1) | instskip(NEXT) | instid1(SALU_CYCLE_1)
	s_or_b32 exec_lo, exec_lo, s3
	s_mov_b32 s2, exec_lo
	v_cmpx_ne_u32_e64 v111, v108
	s_xor_b32 s2, exec_lo, s2
	s_cbranch_execz .LBB48_268
; %bb.263:
	s_mov_b32 s3, exec_lo
	v_cmpx_eq_u32_e32 12, v111
	s_cbranch_execz .LBB48_267
; %bb.264:
	v_cmp_ne_u32_e32 vcc_lo, 12, v108
	s_xor_b32 s6, s4, -1
	s_delay_alu instid0(SALU_CYCLE_1) | instskip(NEXT) | instid1(SALU_CYCLE_1)
	s_and_b32 s7, s6, vcc_lo
	s_and_saveexec_b32 s6, s7
	s_cbranch_execz .LBB48_266
; %bb.265:
	v_ashrrev_i32_e32 v109, 31, v108
	s_delay_alu instid0(VALU_DEP_1) | instskip(NEXT) | instid1(VALU_DEP_1)
	v_lshlrev_b64 v[32:33], 2, v[108:109]
	v_add_co_u32 v32, vcc_lo, v78, v32
	s_delay_alu instid0(VALU_DEP_2)
	v_add_co_ci_u32_e32 v33, vcc_lo, v79, v33, vcc_lo
	s_clause 0x1
	flat_load_b32 v34, v[32:33]
	flat_load_b32 v35, v[78:79] offset:48
	s_waitcnt vmcnt(1) lgkmcnt(1)
	flat_store_b32 v[78:79], v34 offset:48
	s_waitcnt vmcnt(0) lgkmcnt(1)
	flat_store_b32 v[32:33], v35
.LBB48_266:
	s_or_b32 exec_lo, exec_lo, s6
	v_mov_b32_e32 v111, v108
	v_mov_b32_e32 v247, v108
.LBB48_267:
	s_or_b32 exec_lo, exec_lo, s3
.LBB48_268:
	s_and_not1_saveexec_b32 s2, s2
	s_cbranch_execz .LBB48_270
; %bb.269:
	v_mov_b32_e32 v111, 12
	ds_store_2addr_b64 v110, v[40:41], v[42:43] offset0:26 offset1:27
	ds_store_2addr_b64 v110, v[52:53], v[54:55] offset0:28 offset1:29
	;; [unrolled: 1-line block ×12, first 2 shown]
.LBB48_270:
	s_or_b32 exec_lo, exec_lo, s2
	s_delay_alu instid0(SALU_CYCLE_1)
	s_mov_b32 s2, exec_lo
	s_waitcnt lgkmcnt(0)
	s_waitcnt_vscnt null, 0x0
	s_barrier
	buffer_gl0_inv
	v_cmpx_lt_i32_e32 12, v111
	s_cbranch_execz .LBB48_272
; %bb.271:
	v_mul_f64 v[32:33], v[100:101], v[66:67]
	v_mul_f64 v[34:35], v[102:103], v[66:67]
	ds_load_2addr_b64 v[117:120], v110 offset0:26 offset1:27
	ds_load_2addr_b64 v[121:124], v110 offset0:28 offset1:29
	;; [unrolled: 1-line block ×12, first 2 shown]
	v_fma_f64 v[32:33], v[102:103], v[64:65], v[32:33]
	v_fma_f64 v[64:65], v[100:101], v[64:65], -v[34:35]
	s_waitcnt lgkmcnt(11)
	s_delay_alu instid0(VALU_DEP_2)
	v_mul_f64 v[34:35], v[119:120], v[32:33]
	v_mul_f64 v[36:37], v[117:118], v[32:33]
	s_waitcnt lgkmcnt(10)
	v_mul_f64 v[38:39], v[123:124], v[32:33]
	v_mul_f64 v[66:67], v[121:122], v[32:33]
	s_waitcnt lgkmcnt(9)
	;; [unrolled: 3-line block ×11, first 2 shown]
	v_mul_f64 v[191:192], v[163:164], v[32:33]
	v_mul_f64 v[193:194], v[161:162], v[32:33]
	v_fma_f64 v[34:35], v[117:118], v[64:65], -v[34:35]
	v_fma_f64 v[36:37], v[119:120], v[64:65], v[36:37]
	v_fma_f64 v[38:39], v[121:122], v[64:65], -v[38:39]
	v_fma_f64 v[66:67], v[123:124], v[64:65], v[66:67]
	;; [unrolled: 2-line block ×12, first 2 shown]
	v_add_f64 v[40:41], v[40:41], -v[34:35]
	v_add_f64 v[42:43], v[42:43], -v[36:37]
	;; [unrolled: 1-line block ×24, first 2 shown]
	v_dual_mov_b32 v67, v33 :: v_dual_mov_b32 v66, v32
.LBB48_272:
	s_or_b32 exec_lo, exec_lo, s2
	v_lshl_add_u32 v32, v111, 4, v110
	s_barrier
	buffer_gl0_inv
	v_mov_b32_e32 v108, 13
	ds_store_2addr_b64 v32, v[40:41], v[42:43] offset1:1
	s_waitcnt lgkmcnt(0)
	s_barrier
	buffer_gl0_inv
	ds_load_2addr_b64 v[100:103], v110 offset0:26 offset1:27
	s_cmp_lt_i32 s5, 15
	s_cbranch_scc1 .LBB48_275
; %bb.273:
	v_add3_u32 v109, v255, 0, 0xe0
	v_mov_b32_e32 v108, 13
	s_mov_b32 s6, 14
	s_set_inst_prefetch_distance 0x1
	.p2align	6
.LBB48_274:                             ; =>This Inner Loop Header: Depth=1
	ds_load_2addr_b64 v[117:120], v109 offset1:1
	s_waitcnt lgkmcnt(1)
	v_cmp_gt_f64_e32 vcc_lo, 0, v[100:101]
	v_xor_b32_e32 v32, 0x80000000, v101
	v_cmp_gt_f64_e64 s2, 0, v[102:103]
	v_xor_b32_e32 v34, 0x80000000, v103
	v_add_nc_u32_e32 v109, 16, v109
	s_waitcnt lgkmcnt(0)
	v_cmp_gt_f64_e64 s3, 0, v[117:118]
	v_mov_b32_e32 v36, v117
	v_dual_mov_b32 v38, v119 :: v_dual_cndmask_b32 v33, v101, v32
	v_xor_b32_e32 v32, 0x80000000, v118
	v_cndmask_b32_e64 v35, v103, v34, s2
	v_xor_b32_e32 v34, 0x80000000, v120
	s_delay_alu instid0(VALU_DEP_3) | instskip(SKIP_2) | instid1(VALU_DEP_2)
	v_cndmask_b32_e64 v37, v118, v32, s3
	v_cmp_gt_f64_e64 s3, 0, v[119:120]
	v_cndmask_b32_e32 v32, v100, v100, vcc_lo
	v_cndmask_b32_e64 v39, v120, v34, s3
	v_cndmask_b32_e64 v34, v102, v102, s2
	s_delay_alu instid0(VALU_DEP_2) | instskip(NEXT) | instid1(VALU_DEP_2)
	v_add_f64 v[36:37], v[36:37], v[38:39]
	v_add_f64 v[32:33], v[32:33], v[34:35]
	s_delay_alu instid0(VALU_DEP_1) | instskip(SKIP_4) | instid1(SALU_CYCLE_1)
	v_cmp_lt_f64_e32 vcc_lo, v[32:33], v[36:37]
	v_dual_cndmask_b32 v101, v101, v118 :: v_dual_cndmask_b32 v100, v100, v117
	v_dual_cndmask_b32 v103, v103, v120 :: v_dual_cndmask_b32 v102, v102, v119
	v_cndmask_b32_e64 v108, v108, s6, vcc_lo
	s_add_i32 s6, s6, 1
	s_cmp_lg_u32 s5, s6
	s_cbranch_scc1 .LBB48_274
.LBB48_275:
	s_set_inst_prefetch_distance 0x2
	s_waitcnt lgkmcnt(0)
	v_cmp_eq_f64_e32 vcc_lo, 0, v[100:101]
	v_cmp_eq_f64_e64 s2, 0, v[102:103]
	s_delay_alu instid0(VALU_DEP_1) | instskip(NEXT) | instid1(SALU_CYCLE_1)
	s_and_b32 s2, vcc_lo, s2
	s_and_saveexec_b32 s3, s2
	s_delay_alu instid0(SALU_CYCLE_1)
	s_xor_b32 s2, exec_lo, s3
	s_cbranch_execz .LBB48_277
; %bb.276:
	scratch_load_b32 v32, off, off          ; 4-byte Folded Reload
	s_waitcnt vmcnt(0)
	v_cmp_ne_u32_e32 vcc_lo, 0, v32
	v_cndmask_b32_e32 v32, 14, v32, vcc_lo
	scratch_store_b32 off, v32, off         ; 4-byte Folded Spill
.LBB48_277:
	s_and_not1_saveexec_b32 s3, s2
	s_cbranch_execz .LBB48_283
; %bb.278:
	v_cmp_gt_f64_e32 vcc_lo, 0, v[100:101]
	v_cmp_gt_f64_e64 s2, 0, v[102:103]
	v_xor_b32_e32 v32, 0x80000000, v101
	v_xor_b32_e32 v34, 0x80000000, v103
	s_delay_alu instid0(VALU_DEP_2) | instskip(NEXT) | instid1(VALU_DEP_2)
	v_cndmask_b32_e32 v33, v101, v32, vcc_lo
	v_cndmask_b32_e64 v35, v103, v34, s2
	v_cndmask_b32_e32 v32, v100, v100, vcc_lo
	v_cndmask_b32_e64 v34, v102, v102, s2
	s_mov_b32 s2, exec_lo
	s_delay_alu instid0(VALU_DEP_1)
	v_cmpx_ngt_f64_e32 v[32:33], v[34:35]
	s_xor_b32 s2, exec_lo, s2
	s_cbranch_execz .LBB48_280
; %bb.279:
	v_div_scale_f64 v[32:33], null, v[102:103], v[102:103], v[100:101]
	v_div_scale_f64 v[38:39], vcc_lo, v[100:101], v[102:103], v[100:101]
	s_delay_alu instid0(VALU_DEP_2) | instskip(SKIP_2) | instid1(VALU_DEP_1)
	v_rcp_f64_e32 v[34:35], v[32:33]
	s_waitcnt_depctr 0xfff
	v_fma_f64 v[36:37], -v[32:33], v[34:35], 1.0
	v_fma_f64 v[34:35], v[34:35], v[36:37], v[34:35]
	s_delay_alu instid0(VALU_DEP_1) | instskip(NEXT) | instid1(VALU_DEP_1)
	v_fma_f64 v[36:37], -v[32:33], v[34:35], 1.0
	v_fma_f64 v[34:35], v[34:35], v[36:37], v[34:35]
	s_delay_alu instid0(VALU_DEP_1) | instskip(NEXT) | instid1(VALU_DEP_1)
	v_mul_f64 v[36:37], v[38:39], v[34:35]
	v_fma_f64 v[32:33], -v[32:33], v[36:37], v[38:39]
	s_delay_alu instid0(VALU_DEP_1) | instskip(NEXT) | instid1(VALU_DEP_1)
	v_div_fmas_f64 v[32:33], v[32:33], v[34:35], v[36:37]
	v_div_fixup_f64 v[32:33], v[32:33], v[102:103], v[100:101]
	s_delay_alu instid0(VALU_DEP_1) | instskip(NEXT) | instid1(VALU_DEP_1)
	v_fma_f64 v[34:35], v[100:101], v[32:33], v[102:103]
	v_div_scale_f64 v[36:37], null, v[34:35], v[34:35], 1.0
	s_delay_alu instid0(VALU_DEP_1) | instskip(SKIP_2) | instid1(VALU_DEP_1)
	v_rcp_f64_e32 v[38:39], v[36:37]
	s_waitcnt_depctr 0xfff
	v_fma_f64 v[100:101], -v[36:37], v[38:39], 1.0
	v_fma_f64 v[38:39], v[38:39], v[100:101], v[38:39]
	s_delay_alu instid0(VALU_DEP_1) | instskip(NEXT) | instid1(VALU_DEP_1)
	v_fma_f64 v[100:101], -v[36:37], v[38:39], 1.0
	v_fma_f64 v[38:39], v[38:39], v[100:101], v[38:39]
	v_div_scale_f64 v[100:101], vcc_lo, 1.0, v[34:35], 1.0
	s_delay_alu instid0(VALU_DEP_1) | instskip(NEXT) | instid1(VALU_DEP_1)
	v_mul_f64 v[102:103], v[100:101], v[38:39]
	v_fma_f64 v[36:37], -v[36:37], v[102:103], v[100:101]
	s_delay_alu instid0(VALU_DEP_1) | instskip(NEXT) | instid1(VALU_DEP_1)
	v_div_fmas_f64 v[36:37], v[36:37], v[38:39], v[102:103]
	v_div_fixup_f64 v[102:103], v[36:37], v[34:35], 1.0
	s_delay_alu instid0(VALU_DEP_1)
	v_mul_f64 v[100:101], v[32:33], v[102:103]
	v_xor_b32_e32 v103, 0x80000000, v103
.LBB48_280:
	s_and_not1_saveexec_b32 s2, s2
	s_cbranch_execz .LBB48_282
; %bb.281:
	s_delay_alu instid0(VALU_DEP_1) | instskip(SKIP_1) | instid1(VALU_DEP_2)
	v_div_scale_f64 v[32:33], null, v[100:101], v[100:101], v[102:103]
	v_div_scale_f64 v[38:39], vcc_lo, v[102:103], v[100:101], v[102:103]
	v_rcp_f64_e32 v[34:35], v[32:33]
	s_waitcnt_depctr 0xfff
	v_fma_f64 v[36:37], -v[32:33], v[34:35], 1.0
	s_delay_alu instid0(VALU_DEP_1) | instskip(NEXT) | instid1(VALU_DEP_1)
	v_fma_f64 v[34:35], v[34:35], v[36:37], v[34:35]
	v_fma_f64 v[36:37], -v[32:33], v[34:35], 1.0
	s_delay_alu instid0(VALU_DEP_1) | instskip(NEXT) | instid1(VALU_DEP_1)
	v_fma_f64 v[34:35], v[34:35], v[36:37], v[34:35]
	v_mul_f64 v[36:37], v[38:39], v[34:35]
	s_delay_alu instid0(VALU_DEP_1) | instskip(NEXT) | instid1(VALU_DEP_1)
	v_fma_f64 v[32:33], -v[32:33], v[36:37], v[38:39]
	v_div_fmas_f64 v[32:33], v[32:33], v[34:35], v[36:37]
	s_delay_alu instid0(VALU_DEP_1) | instskip(NEXT) | instid1(VALU_DEP_1)
	v_div_fixup_f64 v[32:33], v[32:33], v[100:101], v[102:103]
	v_fma_f64 v[34:35], v[102:103], v[32:33], v[100:101]
	s_delay_alu instid0(VALU_DEP_1) | instskip(NEXT) | instid1(VALU_DEP_1)
	v_div_scale_f64 v[36:37], null, v[34:35], v[34:35], 1.0
	v_rcp_f64_e32 v[38:39], v[36:37]
	s_waitcnt_depctr 0xfff
	v_fma_f64 v[100:101], -v[36:37], v[38:39], 1.0
	s_delay_alu instid0(VALU_DEP_1) | instskip(NEXT) | instid1(VALU_DEP_1)
	v_fma_f64 v[38:39], v[38:39], v[100:101], v[38:39]
	v_fma_f64 v[100:101], -v[36:37], v[38:39], 1.0
	s_delay_alu instid0(VALU_DEP_1) | instskip(SKIP_1) | instid1(VALU_DEP_1)
	v_fma_f64 v[38:39], v[38:39], v[100:101], v[38:39]
	v_div_scale_f64 v[100:101], vcc_lo, 1.0, v[34:35], 1.0
	v_mul_f64 v[102:103], v[100:101], v[38:39]
	s_delay_alu instid0(VALU_DEP_1) | instskip(NEXT) | instid1(VALU_DEP_1)
	v_fma_f64 v[36:37], -v[36:37], v[102:103], v[100:101]
	v_div_fmas_f64 v[36:37], v[36:37], v[38:39], v[102:103]
	s_delay_alu instid0(VALU_DEP_1) | instskip(NEXT) | instid1(VALU_DEP_1)
	v_div_fixup_f64 v[100:101], v[36:37], v[34:35], 1.0
	v_mul_f64 v[102:103], v[32:33], -v[100:101]
.LBB48_282:
	s_or_b32 exec_lo, exec_lo, s2
.LBB48_283:
	s_delay_alu instid0(SALU_CYCLE_1) | instskip(NEXT) | instid1(SALU_CYCLE_1)
	s_or_b32 exec_lo, exec_lo, s3
	s_mov_b32 s2, exec_lo
	v_cmpx_ne_u32_e64 v111, v108
	s_xor_b32 s2, exec_lo, s2
	s_cbranch_execz .LBB48_289
; %bb.284:
	s_mov_b32 s3, exec_lo
	v_cmpx_eq_u32_e32 13, v111
	s_cbranch_execz .LBB48_288
; %bb.285:
	v_cmp_ne_u32_e32 vcc_lo, 13, v108
	s_xor_b32 s6, s4, -1
	s_delay_alu instid0(SALU_CYCLE_1) | instskip(NEXT) | instid1(SALU_CYCLE_1)
	s_and_b32 s7, s6, vcc_lo
	s_and_saveexec_b32 s6, s7
	s_cbranch_execz .LBB48_287
; %bb.286:
	v_ashrrev_i32_e32 v109, 31, v108
	s_delay_alu instid0(VALU_DEP_1) | instskip(NEXT) | instid1(VALU_DEP_1)
	v_lshlrev_b64 v[32:33], 2, v[108:109]
	v_add_co_u32 v32, vcc_lo, v78, v32
	s_delay_alu instid0(VALU_DEP_2)
	v_add_co_ci_u32_e32 v33, vcc_lo, v79, v33, vcc_lo
	s_clause 0x1
	flat_load_b32 v34, v[32:33]
	flat_load_b32 v35, v[78:79] offset:52
	s_waitcnt vmcnt(1) lgkmcnt(1)
	flat_store_b32 v[78:79], v34 offset:52
	s_waitcnt vmcnt(0) lgkmcnt(1)
	flat_store_b32 v[32:33], v35
.LBB48_287:
	s_or_b32 exec_lo, exec_lo, s6
	v_mov_b32_e32 v111, v108
	v_mov_b32_e32 v247, v108
.LBB48_288:
	s_or_b32 exec_lo, exec_lo, s3
.LBB48_289:
	s_and_not1_saveexec_b32 s2, s2
	s_cbranch_execz .LBB48_291
; %bb.290:
	v_mov_b32_e32 v111, 13
	ds_store_2addr_b64 v110, v[52:53], v[54:55] offset0:28 offset1:29
	ds_store_2addr_b64 v110, v[28:29], v[30:31] offset0:30 offset1:31
	;; [unrolled: 1-line block ×11, first 2 shown]
.LBB48_291:
	s_or_b32 exec_lo, exec_lo, s2
	s_delay_alu instid0(SALU_CYCLE_1)
	s_mov_b32 s2, exec_lo
	s_waitcnt lgkmcnt(0)
	s_waitcnt_vscnt null, 0x0
	s_barrier
	buffer_gl0_inv
	v_cmpx_lt_i32_e32 13, v111
	s_cbranch_execz .LBB48_293
; %bb.292:
	v_mul_f64 v[32:33], v[100:101], v[42:43]
	v_mul_f64 v[34:35], v[102:103], v[42:43]
	ds_load_2addr_b64 v[117:120], v110 offset0:28 offset1:29
	ds_load_2addr_b64 v[121:124], v110 offset0:30 offset1:31
	;; [unrolled: 1-line block ×11, first 2 shown]
	v_fma_f64 v[32:33], v[102:103], v[40:41], v[32:33]
	v_fma_f64 v[40:41], v[100:101], v[40:41], -v[34:35]
	s_waitcnt lgkmcnt(10)
	s_delay_alu instid0(VALU_DEP_2)
	v_mul_f64 v[34:35], v[119:120], v[32:33]
	v_mul_f64 v[36:37], v[117:118], v[32:33]
	s_waitcnt lgkmcnt(9)
	v_mul_f64 v[38:39], v[123:124], v[32:33]
	v_mul_f64 v[42:43], v[121:122], v[32:33]
	s_waitcnt lgkmcnt(8)
	;; [unrolled: 3-line block ×10, first 2 shown]
	v_mul_f64 v[183:184], v[159:160], v[32:33]
	v_mul_f64 v[185:186], v[157:158], v[32:33]
	v_fma_f64 v[34:35], v[117:118], v[40:41], -v[34:35]
	v_fma_f64 v[36:37], v[119:120], v[40:41], v[36:37]
	v_fma_f64 v[38:39], v[121:122], v[40:41], -v[38:39]
	v_fma_f64 v[42:43], v[123:124], v[40:41], v[42:43]
	;; [unrolled: 2-line block ×11, first 2 shown]
	v_add_f64 v[52:53], v[52:53], -v[34:35]
	v_add_f64 v[54:55], v[54:55], -v[36:37]
	;; [unrolled: 1-line block ×22, first 2 shown]
	v_dual_mov_b32 v43, v33 :: v_dual_mov_b32 v42, v32
.LBB48_293:
	s_or_b32 exec_lo, exec_lo, s2
	v_lshl_add_u32 v32, v111, 4, v110
	s_barrier
	buffer_gl0_inv
	v_mov_b32_e32 v108, 14
	ds_store_2addr_b64 v32, v[52:53], v[54:55] offset1:1
	s_waitcnt lgkmcnt(0)
	s_barrier
	buffer_gl0_inv
	ds_load_2addr_b64 v[100:103], v110 offset0:28 offset1:29
	s_cmp_lt_i32 s5, 16
	s_cbranch_scc1 .LBB48_296
; %bb.294:
	v_add3_u32 v109, v255, 0, 0xf0
	v_mov_b32_e32 v108, 14
	s_mov_b32 s6, 15
	s_set_inst_prefetch_distance 0x1
	.p2align	6
.LBB48_295:                             ; =>This Inner Loop Header: Depth=1
	ds_load_2addr_b64 v[117:120], v109 offset1:1
	s_waitcnt lgkmcnt(1)
	v_cmp_gt_f64_e32 vcc_lo, 0, v[100:101]
	v_xor_b32_e32 v32, 0x80000000, v101
	v_cmp_gt_f64_e64 s2, 0, v[102:103]
	v_xor_b32_e32 v34, 0x80000000, v103
	v_add_nc_u32_e32 v109, 16, v109
	s_waitcnt lgkmcnt(0)
	v_cmp_gt_f64_e64 s3, 0, v[117:118]
	v_mov_b32_e32 v36, v117
	v_dual_mov_b32 v38, v119 :: v_dual_cndmask_b32 v33, v101, v32
	v_xor_b32_e32 v32, 0x80000000, v118
	v_cndmask_b32_e64 v35, v103, v34, s2
	v_xor_b32_e32 v34, 0x80000000, v120
	s_delay_alu instid0(VALU_DEP_3) | instskip(SKIP_2) | instid1(VALU_DEP_2)
	v_cndmask_b32_e64 v37, v118, v32, s3
	v_cmp_gt_f64_e64 s3, 0, v[119:120]
	v_cndmask_b32_e32 v32, v100, v100, vcc_lo
	v_cndmask_b32_e64 v39, v120, v34, s3
	v_cndmask_b32_e64 v34, v102, v102, s2
	s_delay_alu instid0(VALU_DEP_2) | instskip(NEXT) | instid1(VALU_DEP_2)
	v_add_f64 v[36:37], v[36:37], v[38:39]
	v_add_f64 v[32:33], v[32:33], v[34:35]
	s_delay_alu instid0(VALU_DEP_1) | instskip(SKIP_4) | instid1(SALU_CYCLE_1)
	v_cmp_lt_f64_e32 vcc_lo, v[32:33], v[36:37]
	v_dual_cndmask_b32 v101, v101, v118 :: v_dual_cndmask_b32 v100, v100, v117
	v_dual_cndmask_b32 v103, v103, v120 :: v_dual_cndmask_b32 v102, v102, v119
	v_cndmask_b32_e64 v108, v108, s6, vcc_lo
	s_add_i32 s6, s6, 1
	s_cmp_lg_u32 s5, s6
	s_cbranch_scc1 .LBB48_295
.LBB48_296:
	s_set_inst_prefetch_distance 0x2
	s_waitcnt lgkmcnt(0)
	v_cmp_eq_f64_e32 vcc_lo, 0, v[100:101]
	v_cmp_eq_f64_e64 s2, 0, v[102:103]
	s_delay_alu instid0(VALU_DEP_1) | instskip(NEXT) | instid1(SALU_CYCLE_1)
	s_and_b32 s2, vcc_lo, s2
	s_and_saveexec_b32 s3, s2
	s_delay_alu instid0(SALU_CYCLE_1)
	s_xor_b32 s2, exec_lo, s3
	s_cbranch_execz .LBB48_298
; %bb.297:
	scratch_load_b32 v32, off, off          ; 4-byte Folded Reload
	s_waitcnt vmcnt(0)
	v_cmp_ne_u32_e32 vcc_lo, 0, v32
	v_cndmask_b32_e32 v32, 15, v32, vcc_lo
	scratch_store_b32 off, v32, off         ; 4-byte Folded Spill
.LBB48_298:
	s_and_not1_saveexec_b32 s3, s2
	s_cbranch_execz .LBB48_304
; %bb.299:
	v_cmp_gt_f64_e32 vcc_lo, 0, v[100:101]
	v_cmp_gt_f64_e64 s2, 0, v[102:103]
	v_xor_b32_e32 v32, 0x80000000, v101
	v_xor_b32_e32 v34, 0x80000000, v103
	s_delay_alu instid0(VALU_DEP_2) | instskip(NEXT) | instid1(VALU_DEP_2)
	v_cndmask_b32_e32 v33, v101, v32, vcc_lo
	v_cndmask_b32_e64 v35, v103, v34, s2
	v_cndmask_b32_e32 v32, v100, v100, vcc_lo
	v_cndmask_b32_e64 v34, v102, v102, s2
	s_mov_b32 s2, exec_lo
	s_delay_alu instid0(VALU_DEP_1)
	v_cmpx_ngt_f64_e32 v[32:33], v[34:35]
	s_xor_b32 s2, exec_lo, s2
	s_cbranch_execz .LBB48_301
; %bb.300:
	v_div_scale_f64 v[32:33], null, v[102:103], v[102:103], v[100:101]
	v_div_scale_f64 v[38:39], vcc_lo, v[100:101], v[102:103], v[100:101]
	s_delay_alu instid0(VALU_DEP_2) | instskip(SKIP_2) | instid1(VALU_DEP_1)
	v_rcp_f64_e32 v[34:35], v[32:33]
	s_waitcnt_depctr 0xfff
	v_fma_f64 v[36:37], -v[32:33], v[34:35], 1.0
	v_fma_f64 v[34:35], v[34:35], v[36:37], v[34:35]
	s_delay_alu instid0(VALU_DEP_1) | instskip(NEXT) | instid1(VALU_DEP_1)
	v_fma_f64 v[36:37], -v[32:33], v[34:35], 1.0
	v_fma_f64 v[34:35], v[34:35], v[36:37], v[34:35]
	s_delay_alu instid0(VALU_DEP_1) | instskip(NEXT) | instid1(VALU_DEP_1)
	v_mul_f64 v[36:37], v[38:39], v[34:35]
	v_fma_f64 v[32:33], -v[32:33], v[36:37], v[38:39]
	s_delay_alu instid0(VALU_DEP_1) | instskip(NEXT) | instid1(VALU_DEP_1)
	v_div_fmas_f64 v[32:33], v[32:33], v[34:35], v[36:37]
	v_div_fixup_f64 v[32:33], v[32:33], v[102:103], v[100:101]
	s_delay_alu instid0(VALU_DEP_1) | instskip(NEXT) | instid1(VALU_DEP_1)
	v_fma_f64 v[34:35], v[100:101], v[32:33], v[102:103]
	v_div_scale_f64 v[36:37], null, v[34:35], v[34:35], 1.0
	s_delay_alu instid0(VALU_DEP_1) | instskip(SKIP_2) | instid1(VALU_DEP_1)
	v_rcp_f64_e32 v[38:39], v[36:37]
	s_waitcnt_depctr 0xfff
	v_fma_f64 v[100:101], -v[36:37], v[38:39], 1.0
	v_fma_f64 v[38:39], v[38:39], v[100:101], v[38:39]
	s_delay_alu instid0(VALU_DEP_1) | instskip(NEXT) | instid1(VALU_DEP_1)
	v_fma_f64 v[100:101], -v[36:37], v[38:39], 1.0
	v_fma_f64 v[38:39], v[38:39], v[100:101], v[38:39]
	v_div_scale_f64 v[100:101], vcc_lo, 1.0, v[34:35], 1.0
	s_delay_alu instid0(VALU_DEP_1) | instskip(NEXT) | instid1(VALU_DEP_1)
	v_mul_f64 v[102:103], v[100:101], v[38:39]
	v_fma_f64 v[36:37], -v[36:37], v[102:103], v[100:101]
	s_delay_alu instid0(VALU_DEP_1) | instskip(NEXT) | instid1(VALU_DEP_1)
	v_div_fmas_f64 v[36:37], v[36:37], v[38:39], v[102:103]
	v_div_fixup_f64 v[102:103], v[36:37], v[34:35], 1.0
	s_delay_alu instid0(VALU_DEP_1)
	v_mul_f64 v[100:101], v[32:33], v[102:103]
	v_xor_b32_e32 v103, 0x80000000, v103
.LBB48_301:
	s_and_not1_saveexec_b32 s2, s2
	s_cbranch_execz .LBB48_303
; %bb.302:
	s_delay_alu instid0(VALU_DEP_1) | instskip(SKIP_1) | instid1(VALU_DEP_2)
	v_div_scale_f64 v[32:33], null, v[100:101], v[100:101], v[102:103]
	v_div_scale_f64 v[38:39], vcc_lo, v[102:103], v[100:101], v[102:103]
	v_rcp_f64_e32 v[34:35], v[32:33]
	s_waitcnt_depctr 0xfff
	v_fma_f64 v[36:37], -v[32:33], v[34:35], 1.0
	s_delay_alu instid0(VALU_DEP_1) | instskip(NEXT) | instid1(VALU_DEP_1)
	v_fma_f64 v[34:35], v[34:35], v[36:37], v[34:35]
	v_fma_f64 v[36:37], -v[32:33], v[34:35], 1.0
	s_delay_alu instid0(VALU_DEP_1) | instskip(NEXT) | instid1(VALU_DEP_1)
	v_fma_f64 v[34:35], v[34:35], v[36:37], v[34:35]
	v_mul_f64 v[36:37], v[38:39], v[34:35]
	s_delay_alu instid0(VALU_DEP_1) | instskip(NEXT) | instid1(VALU_DEP_1)
	v_fma_f64 v[32:33], -v[32:33], v[36:37], v[38:39]
	v_div_fmas_f64 v[32:33], v[32:33], v[34:35], v[36:37]
	s_delay_alu instid0(VALU_DEP_1) | instskip(NEXT) | instid1(VALU_DEP_1)
	v_div_fixup_f64 v[32:33], v[32:33], v[100:101], v[102:103]
	v_fma_f64 v[34:35], v[102:103], v[32:33], v[100:101]
	s_delay_alu instid0(VALU_DEP_1) | instskip(NEXT) | instid1(VALU_DEP_1)
	v_div_scale_f64 v[36:37], null, v[34:35], v[34:35], 1.0
	v_rcp_f64_e32 v[38:39], v[36:37]
	s_waitcnt_depctr 0xfff
	v_fma_f64 v[100:101], -v[36:37], v[38:39], 1.0
	s_delay_alu instid0(VALU_DEP_1) | instskip(NEXT) | instid1(VALU_DEP_1)
	v_fma_f64 v[38:39], v[38:39], v[100:101], v[38:39]
	v_fma_f64 v[100:101], -v[36:37], v[38:39], 1.0
	s_delay_alu instid0(VALU_DEP_1) | instskip(SKIP_1) | instid1(VALU_DEP_1)
	v_fma_f64 v[38:39], v[38:39], v[100:101], v[38:39]
	v_div_scale_f64 v[100:101], vcc_lo, 1.0, v[34:35], 1.0
	v_mul_f64 v[102:103], v[100:101], v[38:39]
	s_delay_alu instid0(VALU_DEP_1) | instskip(NEXT) | instid1(VALU_DEP_1)
	v_fma_f64 v[36:37], -v[36:37], v[102:103], v[100:101]
	v_div_fmas_f64 v[36:37], v[36:37], v[38:39], v[102:103]
	s_delay_alu instid0(VALU_DEP_1) | instskip(NEXT) | instid1(VALU_DEP_1)
	v_div_fixup_f64 v[100:101], v[36:37], v[34:35], 1.0
	v_mul_f64 v[102:103], v[32:33], -v[100:101]
.LBB48_303:
	s_or_b32 exec_lo, exec_lo, s2
.LBB48_304:
	s_delay_alu instid0(SALU_CYCLE_1) | instskip(NEXT) | instid1(SALU_CYCLE_1)
	s_or_b32 exec_lo, exec_lo, s3
	s_mov_b32 s2, exec_lo
	v_cmpx_ne_u32_e64 v111, v108
	s_xor_b32 s2, exec_lo, s2
	s_cbranch_execz .LBB48_310
; %bb.305:
	s_mov_b32 s3, exec_lo
	v_cmpx_eq_u32_e32 14, v111
	s_cbranch_execz .LBB48_309
; %bb.306:
	v_cmp_ne_u32_e32 vcc_lo, 14, v108
	s_xor_b32 s6, s4, -1
	s_delay_alu instid0(SALU_CYCLE_1) | instskip(NEXT) | instid1(SALU_CYCLE_1)
	s_and_b32 s7, s6, vcc_lo
	s_and_saveexec_b32 s6, s7
	s_cbranch_execz .LBB48_308
; %bb.307:
	v_ashrrev_i32_e32 v109, 31, v108
	s_delay_alu instid0(VALU_DEP_1) | instskip(NEXT) | instid1(VALU_DEP_1)
	v_lshlrev_b64 v[32:33], 2, v[108:109]
	v_add_co_u32 v32, vcc_lo, v78, v32
	s_delay_alu instid0(VALU_DEP_2)
	v_add_co_ci_u32_e32 v33, vcc_lo, v79, v33, vcc_lo
	s_clause 0x1
	flat_load_b32 v34, v[32:33]
	flat_load_b32 v35, v[78:79] offset:56
	s_waitcnt vmcnt(1) lgkmcnt(1)
	flat_store_b32 v[78:79], v34 offset:56
	s_waitcnt vmcnt(0) lgkmcnt(1)
	flat_store_b32 v[32:33], v35
.LBB48_308:
	s_or_b32 exec_lo, exec_lo, s6
	v_mov_b32_e32 v111, v108
	v_mov_b32_e32 v247, v108
.LBB48_309:
	s_or_b32 exec_lo, exec_lo, s3
.LBB48_310:
	s_and_not1_saveexec_b32 s2, s2
	s_cbranch_execz .LBB48_312
; %bb.311:
	v_mov_b32_e32 v111, 14
	ds_store_2addr_b64 v110, v[28:29], v[30:31] offset0:30 offset1:31
	ds_store_2addr_b64 v110, v[48:49], v[50:51] offset0:32 offset1:33
	;; [unrolled: 1-line block ×10, first 2 shown]
.LBB48_312:
	s_or_b32 exec_lo, exec_lo, s2
	s_delay_alu instid0(SALU_CYCLE_1)
	s_mov_b32 s2, exec_lo
	s_waitcnt lgkmcnt(0)
	s_waitcnt_vscnt null, 0x0
	s_barrier
	buffer_gl0_inv
	v_cmpx_lt_i32_e32 14, v111
	s_cbranch_execz .LBB48_314
; %bb.313:
	v_mul_f64 v[32:33], v[100:101], v[54:55]
	v_mul_f64 v[34:35], v[102:103], v[54:55]
	ds_load_2addr_b64 v[117:120], v110 offset0:30 offset1:31
	ds_load_2addr_b64 v[121:124], v110 offset0:32 offset1:33
	;; [unrolled: 1-line block ×10, first 2 shown]
	v_fma_f64 v[32:33], v[102:103], v[52:53], v[32:33]
	v_fma_f64 v[52:53], v[100:101], v[52:53], -v[34:35]
	s_waitcnt lgkmcnt(9)
	s_delay_alu instid0(VALU_DEP_2)
	v_mul_f64 v[34:35], v[119:120], v[32:33]
	v_mul_f64 v[36:37], v[117:118], v[32:33]
	s_waitcnt lgkmcnt(8)
	v_mul_f64 v[38:39], v[123:124], v[32:33]
	v_mul_f64 v[54:55], v[121:122], v[32:33]
	s_waitcnt lgkmcnt(7)
	;; [unrolled: 3-line block ×9, first 2 shown]
	v_mul_f64 v[175:176], v[155:156], v[32:33]
	v_mul_f64 v[177:178], v[153:154], v[32:33]
	v_fma_f64 v[34:35], v[117:118], v[52:53], -v[34:35]
	v_fma_f64 v[36:37], v[119:120], v[52:53], v[36:37]
	v_fma_f64 v[38:39], v[121:122], v[52:53], -v[38:39]
	v_fma_f64 v[54:55], v[123:124], v[52:53], v[54:55]
	;; [unrolled: 2-line block ×10, first 2 shown]
	v_add_f64 v[28:29], v[28:29], -v[34:35]
	v_add_f64 v[30:31], v[30:31], -v[36:37]
	;; [unrolled: 1-line block ×20, first 2 shown]
	v_dual_mov_b32 v55, v33 :: v_dual_mov_b32 v54, v32
.LBB48_314:
	s_or_b32 exec_lo, exec_lo, s2
	v_lshl_add_u32 v32, v111, 4, v110
	s_barrier
	buffer_gl0_inv
	v_mov_b32_e32 v108, 15
	ds_store_2addr_b64 v32, v[28:29], v[30:31] offset1:1
	s_waitcnt lgkmcnt(0)
	s_barrier
	buffer_gl0_inv
	ds_load_2addr_b64 v[100:103], v110 offset0:30 offset1:31
	s_cmp_lt_i32 s5, 17
	s_cbranch_scc1 .LBB48_317
; %bb.315:
	v_add3_u32 v109, v255, 0, 0x100
	v_mov_b32_e32 v108, 15
	s_mov_b32 s6, 16
	s_set_inst_prefetch_distance 0x1
	.p2align	6
.LBB48_316:                             ; =>This Inner Loop Header: Depth=1
	ds_load_2addr_b64 v[117:120], v109 offset1:1
	s_waitcnt lgkmcnt(1)
	v_cmp_gt_f64_e32 vcc_lo, 0, v[100:101]
	v_xor_b32_e32 v32, 0x80000000, v101
	v_cmp_gt_f64_e64 s2, 0, v[102:103]
	v_xor_b32_e32 v34, 0x80000000, v103
	v_add_nc_u32_e32 v109, 16, v109
	s_waitcnt lgkmcnt(0)
	v_cmp_gt_f64_e64 s3, 0, v[117:118]
	v_mov_b32_e32 v36, v117
	v_dual_mov_b32 v38, v119 :: v_dual_cndmask_b32 v33, v101, v32
	v_xor_b32_e32 v32, 0x80000000, v118
	v_cndmask_b32_e64 v35, v103, v34, s2
	v_xor_b32_e32 v34, 0x80000000, v120
	s_delay_alu instid0(VALU_DEP_3) | instskip(SKIP_2) | instid1(VALU_DEP_2)
	v_cndmask_b32_e64 v37, v118, v32, s3
	v_cmp_gt_f64_e64 s3, 0, v[119:120]
	v_cndmask_b32_e32 v32, v100, v100, vcc_lo
	v_cndmask_b32_e64 v39, v120, v34, s3
	v_cndmask_b32_e64 v34, v102, v102, s2
	s_delay_alu instid0(VALU_DEP_2) | instskip(NEXT) | instid1(VALU_DEP_2)
	v_add_f64 v[36:37], v[36:37], v[38:39]
	v_add_f64 v[32:33], v[32:33], v[34:35]
	s_delay_alu instid0(VALU_DEP_1) | instskip(SKIP_4) | instid1(SALU_CYCLE_1)
	v_cmp_lt_f64_e32 vcc_lo, v[32:33], v[36:37]
	v_dual_cndmask_b32 v101, v101, v118 :: v_dual_cndmask_b32 v100, v100, v117
	v_dual_cndmask_b32 v103, v103, v120 :: v_dual_cndmask_b32 v102, v102, v119
	v_cndmask_b32_e64 v108, v108, s6, vcc_lo
	s_add_i32 s6, s6, 1
	s_cmp_lg_u32 s5, s6
	s_cbranch_scc1 .LBB48_316
.LBB48_317:
	s_set_inst_prefetch_distance 0x2
	s_waitcnt lgkmcnt(0)
	v_cmp_eq_f64_e32 vcc_lo, 0, v[100:101]
	v_cmp_eq_f64_e64 s2, 0, v[102:103]
	s_delay_alu instid0(VALU_DEP_1) | instskip(NEXT) | instid1(SALU_CYCLE_1)
	s_and_b32 s2, vcc_lo, s2
	s_and_saveexec_b32 s3, s2
	s_delay_alu instid0(SALU_CYCLE_1)
	s_xor_b32 s2, exec_lo, s3
	s_cbranch_execz .LBB48_319
; %bb.318:
	scratch_load_b32 v32, off, off          ; 4-byte Folded Reload
	s_waitcnt vmcnt(0)
	v_cmp_ne_u32_e32 vcc_lo, 0, v32
	v_cndmask_b32_e32 v32, 16, v32, vcc_lo
	scratch_store_b32 off, v32, off         ; 4-byte Folded Spill
.LBB48_319:
	s_and_not1_saveexec_b32 s3, s2
	s_cbranch_execz .LBB48_325
; %bb.320:
	v_cmp_gt_f64_e32 vcc_lo, 0, v[100:101]
	v_cmp_gt_f64_e64 s2, 0, v[102:103]
	v_xor_b32_e32 v32, 0x80000000, v101
	v_xor_b32_e32 v34, 0x80000000, v103
	s_delay_alu instid0(VALU_DEP_2) | instskip(NEXT) | instid1(VALU_DEP_2)
	v_cndmask_b32_e32 v33, v101, v32, vcc_lo
	v_cndmask_b32_e64 v35, v103, v34, s2
	v_cndmask_b32_e32 v32, v100, v100, vcc_lo
	v_cndmask_b32_e64 v34, v102, v102, s2
	s_mov_b32 s2, exec_lo
	s_delay_alu instid0(VALU_DEP_1)
	v_cmpx_ngt_f64_e32 v[32:33], v[34:35]
	s_xor_b32 s2, exec_lo, s2
	s_cbranch_execz .LBB48_322
; %bb.321:
	v_div_scale_f64 v[32:33], null, v[102:103], v[102:103], v[100:101]
	v_div_scale_f64 v[38:39], vcc_lo, v[100:101], v[102:103], v[100:101]
	s_delay_alu instid0(VALU_DEP_2) | instskip(SKIP_2) | instid1(VALU_DEP_1)
	v_rcp_f64_e32 v[34:35], v[32:33]
	s_waitcnt_depctr 0xfff
	v_fma_f64 v[36:37], -v[32:33], v[34:35], 1.0
	v_fma_f64 v[34:35], v[34:35], v[36:37], v[34:35]
	s_delay_alu instid0(VALU_DEP_1) | instskip(NEXT) | instid1(VALU_DEP_1)
	v_fma_f64 v[36:37], -v[32:33], v[34:35], 1.0
	v_fma_f64 v[34:35], v[34:35], v[36:37], v[34:35]
	s_delay_alu instid0(VALU_DEP_1) | instskip(NEXT) | instid1(VALU_DEP_1)
	v_mul_f64 v[36:37], v[38:39], v[34:35]
	v_fma_f64 v[32:33], -v[32:33], v[36:37], v[38:39]
	s_delay_alu instid0(VALU_DEP_1) | instskip(NEXT) | instid1(VALU_DEP_1)
	v_div_fmas_f64 v[32:33], v[32:33], v[34:35], v[36:37]
	v_div_fixup_f64 v[32:33], v[32:33], v[102:103], v[100:101]
	s_delay_alu instid0(VALU_DEP_1) | instskip(NEXT) | instid1(VALU_DEP_1)
	v_fma_f64 v[34:35], v[100:101], v[32:33], v[102:103]
	v_div_scale_f64 v[36:37], null, v[34:35], v[34:35], 1.0
	s_delay_alu instid0(VALU_DEP_1) | instskip(SKIP_2) | instid1(VALU_DEP_1)
	v_rcp_f64_e32 v[38:39], v[36:37]
	s_waitcnt_depctr 0xfff
	v_fma_f64 v[100:101], -v[36:37], v[38:39], 1.0
	v_fma_f64 v[38:39], v[38:39], v[100:101], v[38:39]
	s_delay_alu instid0(VALU_DEP_1) | instskip(NEXT) | instid1(VALU_DEP_1)
	v_fma_f64 v[100:101], -v[36:37], v[38:39], 1.0
	v_fma_f64 v[38:39], v[38:39], v[100:101], v[38:39]
	v_div_scale_f64 v[100:101], vcc_lo, 1.0, v[34:35], 1.0
	s_delay_alu instid0(VALU_DEP_1) | instskip(NEXT) | instid1(VALU_DEP_1)
	v_mul_f64 v[102:103], v[100:101], v[38:39]
	v_fma_f64 v[36:37], -v[36:37], v[102:103], v[100:101]
	s_delay_alu instid0(VALU_DEP_1) | instskip(NEXT) | instid1(VALU_DEP_1)
	v_div_fmas_f64 v[36:37], v[36:37], v[38:39], v[102:103]
	v_div_fixup_f64 v[102:103], v[36:37], v[34:35], 1.0
	s_delay_alu instid0(VALU_DEP_1)
	v_mul_f64 v[100:101], v[32:33], v[102:103]
	v_xor_b32_e32 v103, 0x80000000, v103
.LBB48_322:
	s_and_not1_saveexec_b32 s2, s2
	s_cbranch_execz .LBB48_324
; %bb.323:
	s_delay_alu instid0(VALU_DEP_1) | instskip(SKIP_1) | instid1(VALU_DEP_2)
	v_div_scale_f64 v[32:33], null, v[100:101], v[100:101], v[102:103]
	v_div_scale_f64 v[38:39], vcc_lo, v[102:103], v[100:101], v[102:103]
	v_rcp_f64_e32 v[34:35], v[32:33]
	s_waitcnt_depctr 0xfff
	v_fma_f64 v[36:37], -v[32:33], v[34:35], 1.0
	s_delay_alu instid0(VALU_DEP_1) | instskip(NEXT) | instid1(VALU_DEP_1)
	v_fma_f64 v[34:35], v[34:35], v[36:37], v[34:35]
	v_fma_f64 v[36:37], -v[32:33], v[34:35], 1.0
	s_delay_alu instid0(VALU_DEP_1) | instskip(NEXT) | instid1(VALU_DEP_1)
	v_fma_f64 v[34:35], v[34:35], v[36:37], v[34:35]
	v_mul_f64 v[36:37], v[38:39], v[34:35]
	s_delay_alu instid0(VALU_DEP_1) | instskip(NEXT) | instid1(VALU_DEP_1)
	v_fma_f64 v[32:33], -v[32:33], v[36:37], v[38:39]
	v_div_fmas_f64 v[32:33], v[32:33], v[34:35], v[36:37]
	s_delay_alu instid0(VALU_DEP_1) | instskip(NEXT) | instid1(VALU_DEP_1)
	v_div_fixup_f64 v[32:33], v[32:33], v[100:101], v[102:103]
	v_fma_f64 v[34:35], v[102:103], v[32:33], v[100:101]
	s_delay_alu instid0(VALU_DEP_1) | instskip(NEXT) | instid1(VALU_DEP_1)
	v_div_scale_f64 v[36:37], null, v[34:35], v[34:35], 1.0
	v_rcp_f64_e32 v[38:39], v[36:37]
	s_waitcnt_depctr 0xfff
	v_fma_f64 v[100:101], -v[36:37], v[38:39], 1.0
	s_delay_alu instid0(VALU_DEP_1) | instskip(NEXT) | instid1(VALU_DEP_1)
	v_fma_f64 v[38:39], v[38:39], v[100:101], v[38:39]
	v_fma_f64 v[100:101], -v[36:37], v[38:39], 1.0
	s_delay_alu instid0(VALU_DEP_1) | instskip(SKIP_1) | instid1(VALU_DEP_1)
	v_fma_f64 v[38:39], v[38:39], v[100:101], v[38:39]
	v_div_scale_f64 v[100:101], vcc_lo, 1.0, v[34:35], 1.0
	v_mul_f64 v[102:103], v[100:101], v[38:39]
	s_delay_alu instid0(VALU_DEP_1) | instskip(NEXT) | instid1(VALU_DEP_1)
	v_fma_f64 v[36:37], -v[36:37], v[102:103], v[100:101]
	v_div_fmas_f64 v[36:37], v[36:37], v[38:39], v[102:103]
	s_delay_alu instid0(VALU_DEP_1) | instskip(NEXT) | instid1(VALU_DEP_1)
	v_div_fixup_f64 v[100:101], v[36:37], v[34:35], 1.0
	v_mul_f64 v[102:103], v[32:33], -v[100:101]
.LBB48_324:
	s_or_b32 exec_lo, exec_lo, s2
.LBB48_325:
	s_delay_alu instid0(SALU_CYCLE_1) | instskip(NEXT) | instid1(SALU_CYCLE_1)
	s_or_b32 exec_lo, exec_lo, s3
	s_mov_b32 s2, exec_lo
	v_cmpx_ne_u32_e64 v111, v108
	s_xor_b32 s2, exec_lo, s2
	s_cbranch_execz .LBB48_331
; %bb.326:
	s_mov_b32 s3, exec_lo
	v_cmpx_eq_u32_e32 15, v111
	s_cbranch_execz .LBB48_330
; %bb.327:
	v_cmp_ne_u32_e32 vcc_lo, 15, v108
	s_xor_b32 s6, s4, -1
	s_delay_alu instid0(SALU_CYCLE_1) | instskip(NEXT) | instid1(SALU_CYCLE_1)
	s_and_b32 s7, s6, vcc_lo
	s_and_saveexec_b32 s6, s7
	s_cbranch_execz .LBB48_329
; %bb.328:
	v_ashrrev_i32_e32 v109, 31, v108
	s_delay_alu instid0(VALU_DEP_1) | instskip(NEXT) | instid1(VALU_DEP_1)
	v_lshlrev_b64 v[32:33], 2, v[108:109]
	v_add_co_u32 v32, vcc_lo, v78, v32
	s_delay_alu instid0(VALU_DEP_2)
	v_add_co_ci_u32_e32 v33, vcc_lo, v79, v33, vcc_lo
	s_clause 0x1
	flat_load_b32 v34, v[32:33]
	flat_load_b32 v35, v[78:79] offset:60
	s_waitcnt vmcnt(1) lgkmcnt(1)
	flat_store_b32 v[78:79], v34 offset:60
	s_waitcnt vmcnt(0) lgkmcnt(1)
	flat_store_b32 v[32:33], v35
.LBB48_329:
	s_or_b32 exec_lo, exec_lo, s6
	v_mov_b32_e32 v111, v108
	v_mov_b32_e32 v247, v108
.LBB48_330:
	s_or_b32 exec_lo, exec_lo, s3
.LBB48_331:
	s_and_not1_saveexec_b32 s2, s2
	s_cbranch_execz .LBB48_333
; %bb.332:
	v_mov_b32_e32 v111, 15
	ds_store_2addr_b64 v110, v[48:49], v[50:51] offset0:32 offset1:33
	ds_store_2addr_b64 v110, v[44:45], v[46:47] offset0:34 offset1:35
	;; [unrolled: 1-line block ×9, first 2 shown]
.LBB48_333:
	s_or_b32 exec_lo, exec_lo, s2
	s_delay_alu instid0(SALU_CYCLE_1)
	s_mov_b32 s2, exec_lo
	s_waitcnt lgkmcnt(0)
	s_waitcnt_vscnt null, 0x0
	s_barrier
	buffer_gl0_inv
	v_cmpx_lt_i32_e32 15, v111
	s_cbranch_execz .LBB48_335
; %bb.334:
	v_mul_f64 v[32:33], v[100:101], v[30:31]
	v_mul_f64 v[30:31], v[102:103], v[30:31]
	ds_load_2addr_b64 v[117:120], v110 offset0:32 offset1:33
	ds_load_2addr_b64 v[121:124], v110 offset0:34 offset1:35
	;; [unrolled: 1-line block ×9, first 2 shown]
	v_fma_f64 v[32:33], v[102:103], v[28:29], v[32:33]
	v_fma_f64 v[28:29], v[100:101], v[28:29], -v[30:31]
	s_waitcnt lgkmcnt(8)
	s_delay_alu instid0(VALU_DEP_2)
	v_mul_f64 v[30:31], v[119:120], v[32:33]
	v_mul_f64 v[34:35], v[117:118], v[32:33]
	s_waitcnt lgkmcnt(7)
	v_mul_f64 v[36:37], v[123:124], v[32:33]
	v_mul_f64 v[38:39], v[121:122], v[32:33]
	s_waitcnt lgkmcnt(6)
	;; [unrolled: 3-line block ×8, first 2 shown]
	v_mul_f64 v[167:168], v[151:152], v[32:33]
	v_mul_f64 v[169:170], v[149:150], v[32:33]
	v_fma_f64 v[30:31], v[117:118], v[28:29], -v[30:31]
	v_fma_f64 v[34:35], v[119:120], v[28:29], v[34:35]
	v_fma_f64 v[36:37], v[121:122], v[28:29], -v[36:37]
	v_fma_f64 v[38:39], v[123:124], v[28:29], v[38:39]
	;; [unrolled: 2-line block ×9, first 2 shown]
	v_add_f64 v[48:49], v[48:49], -v[30:31]
	v_add_f64 v[50:51], v[50:51], -v[34:35]
	;; [unrolled: 1-line block ×18, first 2 shown]
	v_dual_mov_b32 v30, v32 :: v_dual_mov_b32 v31, v33
.LBB48_335:
	s_or_b32 exec_lo, exec_lo, s2
	v_lshl_add_u32 v32, v111, 4, v110
	s_barrier
	buffer_gl0_inv
	v_mov_b32_e32 v108, 16
	ds_store_2addr_b64 v32, v[48:49], v[50:51] offset1:1
	s_waitcnt lgkmcnt(0)
	s_barrier
	buffer_gl0_inv
	ds_load_2addr_b64 v[100:103], v110 offset0:32 offset1:33
	s_cmp_lt_i32 s5, 18
	s_cbranch_scc1 .LBB48_338
; %bb.336:
	v_add3_u32 v109, v255, 0, 0x110
	v_mov_b32_e32 v108, 16
	s_mov_b32 s6, 17
	s_set_inst_prefetch_distance 0x1
	.p2align	6
.LBB48_337:                             ; =>This Inner Loop Header: Depth=1
	ds_load_2addr_b64 v[117:120], v109 offset1:1
	s_waitcnt lgkmcnt(1)
	v_cmp_gt_f64_e32 vcc_lo, 0, v[100:101]
	v_xor_b32_e32 v32, 0x80000000, v101
	v_cmp_gt_f64_e64 s2, 0, v[102:103]
	v_xor_b32_e32 v34, 0x80000000, v103
	v_add_nc_u32_e32 v109, 16, v109
	s_waitcnt lgkmcnt(0)
	v_cmp_gt_f64_e64 s3, 0, v[117:118]
	v_mov_b32_e32 v36, v117
	v_dual_mov_b32 v38, v119 :: v_dual_cndmask_b32 v33, v101, v32
	v_xor_b32_e32 v32, 0x80000000, v118
	v_cndmask_b32_e64 v35, v103, v34, s2
	v_xor_b32_e32 v34, 0x80000000, v120
	s_delay_alu instid0(VALU_DEP_3) | instskip(SKIP_2) | instid1(VALU_DEP_2)
	v_cndmask_b32_e64 v37, v118, v32, s3
	v_cmp_gt_f64_e64 s3, 0, v[119:120]
	v_cndmask_b32_e32 v32, v100, v100, vcc_lo
	v_cndmask_b32_e64 v39, v120, v34, s3
	v_cndmask_b32_e64 v34, v102, v102, s2
	s_delay_alu instid0(VALU_DEP_2) | instskip(NEXT) | instid1(VALU_DEP_2)
	v_add_f64 v[36:37], v[36:37], v[38:39]
	v_add_f64 v[32:33], v[32:33], v[34:35]
	s_delay_alu instid0(VALU_DEP_1) | instskip(SKIP_4) | instid1(SALU_CYCLE_1)
	v_cmp_lt_f64_e32 vcc_lo, v[32:33], v[36:37]
	v_dual_cndmask_b32 v101, v101, v118 :: v_dual_cndmask_b32 v100, v100, v117
	v_dual_cndmask_b32 v103, v103, v120 :: v_dual_cndmask_b32 v102, v102, v119
	v_cndmask_b32_e64 v108, v108, s6, vcc_lo
	s_add_i32 s6, s6, 1
	s_cmp_lg_u32 s5, s6
	s_cbranch_scc1 .LBB48_337
.LBB48_338:
	s_set_inst_prefetch_distance 0x2
	s_waitcnt lgkmcnt(0)
	v_cmp_eq_f64_e32 vcc_lo, 0, v[100:101]
	v_cmp_eq_f64_e64 s2, 0, v[102:103]
	s_delay_alu instid0(VALU_DEP_1) | instskip(NEXT) | instid1(SALU_CYCLE_1)
	s_and_b32 s2, vcc_lo, s2
	s_and_saveexec_b32 s3, s2
	s_delay_alu instid0(SALU_CYCLE_1)
	s_xor_b32 s2, exec_lo, s3
	s_cbranch_execz .LBB48_340
; %bb.339:
	scratch_load_b32 v32, off, off          ; 4-byte Folded Reload
	s_waitcnt vmcnt(0)
	v_cmp_ne_u32_e32 vcc_lo, 0, v32
	v_cndmask_b32_e32 v32, 17, v32, vcc_lo
	scratch_store_b32 off, v32, off         ; 4-byte Folded Spill
.LBB48_340:
	s_and_not1_saveexec_b32 s3, s2
	s_cbranch_execz .LBB48_346
; %bb.341:
	v_cmp_gt_f64_e32 vcc_lo, 0, v[100:101]
	v_cmp_gt_f64_e64 s2, 0, v[102:103]
	v_xor_b32_e32 v32, 0x80000000, v101
	v_xor_b32_e32 v34, 0x80000000, v103
	s_delay_alu instid0(VALU_DEP_2) | instskip(NEXT) | instid1(VALU_DEP_2)
	v_cndmask_b32_e32 v33, v101, v32, vcc_lo
	v_cndmask_b32_e64 v35, v103, v34, s2
	v_cndmask_b32_e32 v32, v100, v100, vcc_lo
	v_cndmask_b32_e64 v34, v102, v102, s2
	s_mov_b32 s2, exec_lo
	s_delay_alu instid0(VALU_DEP_1)
	v_cmpx_ngt_f64_e32 v[32:33], v[34:35]
	s_xor_b32 s2, exec_lo, s2
	s_cbranch_execz .LBB48_343
; %bb.342:
	v_div_scale_f64 v[32:33], null, v[102:103], v[102:103], v[100:101]
	v_div_scale_f64 v[38:39], vcc_lo, v[100:101], v[102:103], v[100:101]
	s_delay_alu instid0(VALU_DEP_2) | instskip(SKIP_2) | instid1(VALU_DEP_1)
	v_rcp_f64_e32 v[34:35], v[32:33]
	s_waitcnt_depctr 0xfff
	v_fma_f64 v[36:37], -v[32:33], v[34:35], 1.0
	v_fma_f64 v[34:35], v[34:35], v[36:37], v[34:35]
	s_delay_alu instid0(VALU_DEP_1) | instskip(NEXT) | instid1(VALU_DEP_1)
	v_fma_f64 v[36:37], -v[32:33], v[34:35], 1.0
	v_fma_f64 v[34:35], v[34:35], v[36:37], v[34:35]
	s_delay_alu instid0(VALU_DEP_1) | instskip(NEXT) | instid1(VALU_DEP_1)
	v_mul_f64 v[36:37], v[38:39], v[34:35]
	v_fma_f64 v[32:33], -v[32:33], v[36:37], v[38:39]
	s_delay_alu instid0(VALU_DEP_1) | instskip(NEXT) | instid1(VALU_DEP_1)
	v_div_fmas_f64 v[32:33], v[32:33], v[34:35], v[36:37]
	v_div_fixup_f64 v[32:33], v[32:33], v[102:103], v[100:101]
	s_delay_alu instid0(VALU_DEP_1) | instskip(NEXT) | instid1(VALU_DEP_1)
	v_fma_f64 v[34:35], v[100:101], v[32:33], v[102:103]
	v_div_scale_f64 v[36:37], null, v[34:35], v[34:35], 1.0
	s_delay_alu instid0(VALU_DEP_1) | instskip(SKIP_2) | instid1(VALU_DEP_1)
	v_rcp_f64_e32 v[38:39], v[36:37]
	s_waitcnt_depctr 0xfff
	v_fma_f64 v[100:101], -v[36:37], v[38:39], 1.0
	v_fma_f64 v[38:39], v[38:39], v[100:101], v[38:39]
	s_delay_alu instid0(VALU_DEP_1) | instskip(NEXT) | instid1(VALU_DEP_1)
	v_fma_f64 v[100:101], -v[36:37], v[38:39], 1.0
	v_fma_f64 v[38:39], v[38:39], v[100:101], v[38:39]
	v_div_scale_f64 v[100:101], vcc_lo, 1.0, v[34:35], 1.0
	s_delay_alu instid0(VALU_DEP_1) | instskip(NEXT) | instid1(VALU_DEP_1)
	v_mul_f64 v[102:103], v[100:101], v[38:39]
	v_fma_f64 v[36:37], -v[36:37], v[102:103], v[100:101]
	s_delay_alu instid0(VALU_DEP_1) | instskip(NEXT) | instid1(VALU_DEP_1)
	v_div_fmas_f64 v[36:37], v[36:37], v[38:39], v[102:103]
	v_div_fixup_f64 v[102:103], v[36:37], v[34:35], 1.0
	s_delay_alu instid0(VALU_DEP_1)
	v_mul_f64 v[100:101], v[32:33], v[102:103]
	v_xor_b32_e32 v103, 0x80000000, v103
.LBB48_343:
	s_and_not1_saveexec_b32 s2, s2
	s_cbranch_execz .LBB48_345
; %bb.344:
	s_delay_alu instid0(VALU_DEP_1) | instskip(SKIP_1) | instid1(VALU_DEP_2)
	v_div_scale_f64 v[32:33], null, v[100:101], v[100:101], v[102:103]
	v_div_scale_f64 v[38:39], vcc_lo, v[102:103], v[100:101], v[102:103]
	v_rcp_f64_e32 v[34:35], v[32:33]
	s_waitcnt_depctr 0xfff
	v_fma_f64 v[36:37], -v[32:33], v[34:35], 1.0
	s_delay_alu instid0(VALU_DEP_1) | instskip(NEXT) | instid1(VALU_DEP_1)
	v_fma_f64 v[34:35], v[34:35], v[36:37], v[34:35]
	v_fma_f64 v[36:37], -v[32:33], v[34:35], 1.0
	s_delay_alu instid0(VALU_DEP_1) | instskip(NEXT) | instid1(VALU_DEP_1)
	v_fma_f64 v[34:35], v[34:35], v[36:37], v[34:35]
	v_mul_f64 v[36:37], v[38:39], v[34:35]
	s_delay_alu instid0(VALU_DEP_1) | instskip(NEXT) | instid1(VALU_DEP_1)
	v_fma_f64 v[32:33], -v[32:33], v[36:37], v[38:39]
	v_div_fmas_f64 v[32:33], v[32:33], v[34:35], v[36:37]
	s_delay_alu instid0(VALU_DEP_1) | instskip(NEXT) | instid1(VALU_DEP_1)
	v_div_fixup_f64 v[32:33], v[32:33], v[100:101], v[102:103]
	v_fma_f64 v[34:35], v[102:103], v[32:33], v[100:101]
	s_delay_alu instid0(VALU_DEP_1) | instskip(NEXT) | instid1(VALU_DEP_1)
	v_div_scale_f64 v[36:37], null, v[34:35], v[34:35], 1.0
	v_rcp_f64_e32 v[38:39], v[36:37]
	s_waitcnt_depctr 0xfff
	v_fma_f64 v[100:101], -v[36:37], v[38:39], 1.0
	s_delay_alu instid0(VALU_DEP_1) | instskip(NEXT) | instid1(VALU_DEP_1)
	v_fma_f64 v[38:39], v[38:39], v[100:101], v[38:39]
	v_fma_f64 v[100:101], -v[36:37], v[38:39], 1.0
	s_delay_alu instid0(VALU_DEP_1) | instskip(SKIP_1) | instid1(VALU_DEP_1)
	v_fma_f64 v[38:39], v[38:39], v[100:101], v[38:39]
	v_div_scale_f64 v[100:101], vcc_lo, 1.0, v[34:35], 1.0
	v_mul_f64 v[102:103], v[100:101], v[38:39]
	s_delay_alu instid0(VALU_DEP_1) | instskip(NEXT) | instid1(VALU_DEP_1)
	v_fma_f64 v[36:37], -v[36:37], v[102:103], v[100:101]
	v_div_fmas_f64 v[36:37], v[36:37], v[38:39], v[102:103]
	s_delay_alu instid0(VALU_DEP_1) | instskip(NEXT) | instid1(VALU_DEP_1)
	v_div_fixup_f64 v[100:101], v[36:37], v[34:35], 1.0
	v_mul_f64 v[102:103], v[32:33], -v[100:101]
.LBB48_345:
	s_or_b32 exec_lo, exec_lo, s2
.LBB48_346:
	s_delay_alu instid0(SALU_CYCLE_1) | instskip(NEXT) | instid1(SALU_CYCLE_1)
	s_or_b32 exec_lo, exec_lo, s3
	s_mov_b32 s2, exec_lo
	v_cmpx_ne_u32_e64 v111, v108
	s_xor_b32 s2, exec_lo, s2
	s_cbranch_execz .LBB48_352
; %bb.347:
	s_mov_b32 s3, exec_lo
	v_cmpx_eq_u32_e32 16, v111
	s_cbranch_execz .LBB48_351
; %bb.348:
	v_cmp_ne_u32_e32 vcc_lo, 16, v108
	s_xor_b32 s6, s4, -1
	s_delay_alu instid0(SALU_CYCLE_1) | instskip(NEXT) | instid1(SALU_CYCLE_1)
	s_and_b32 s7, s6, vcc_lo
	s_and_saveexec_b32 s6, s7
	s_cbranch_execz .LBB48_350
; %bb.349:
	v_ashrrev_i32_e32 v109, 31, v108
	s_delay_alu instid0(VALU_DEP_1) | instskip(NEXT) | instid1(VALU_DEP_1)
	v_lshlrev_b64 v[32:33], 2, v[108:109]
	v_add_co_u32 v32, vcc_lo, v78, v32
	s_delay_alu instid0(VALU_DEP_2)
	v_add_co_ci_u32_e32 v33, vcc_lo, v79, v33, vcc_lo
	s_clause 0x1
	flat_load_b32 v34, v[32:33]
	flat_load_b32 v35, v[78:79] offset:64
	s_waitcnt vmcnt(1) lgkmcnt(1)
	flat_store_b32 v[78:79], v34 offset:64
	s_waitcnt vmcnt(0) lgkmcnt(1)
	flat_store_b32 v[32:33], v35
.LBB48_350:
	s_or_b32 exec_lo, exec_lo, s6
	v_mov_b32_e32 v111, v108
	v_mov_b32_e32 v247, v108
.LBB48_351:
	s_or_b32 exec_lo, exec_lo, s3
.LBB48_352:
	s_and_not1_saveexec_b32 s2, s2
	s_cbranch_execz .LBB48_354
; %bb.353:
	v_mov_b32_e32 v111, 16
	ds_store_2addr_b64 v110, v[44:45], v[46:47] offset0:34 offset1:35
	ds_store_2addr_b64 v110, v[24:25], v[26:27] offset0:36 offset1:37
	;; [unrolled: 1-line block ×8, first 2 shown]
.LBB48_354:
	s_or_b32 exec_lo, exec_lo, s2
	s_delay_alu instid0(SALU_CYCLE_1)
	s_mov_b32 s2, exec_lo
	s_waitcnt lgkmcnt(0)
	s_waitcnt_vscnt null, 0x0
	s_barrier
	buffer_gl0_inv
	v_cmpx_lt_i32_e32 16, v111
	s_cbranch_execz .LBB48_356
; %bb.355:
	v_mul_f64 v[32:33], v[100:101], v[50:51]
	v_mul_f64 v[34:35], v[102:103], v[50:51]
	ds_load_2addr_b64 v[117:120], v110 offset0:34 offset1:35
	ds_load_2addr_b64 v[121:124], v110 offset0:36 offset1:37
	;; [unrolled: 1-line block ×8, first 2 shown]
	v_fma_f64 v[32:33], v[102:103], v[48:49], v[32:33]
	v_fma_f64 v[48:49], v[100:101], v[48:49], -v[34:35]
	s_waitcnt lgkmcnt(7)
	s_delay_alu instid0(VALU_DEP_2)
	v_mul_f64 v[34:35], v[119:120], v[32:33]
	v_mul_f64 v[36:37], v[117:118], v[32:33]
	s_waitcnt lgkmcnt(6)
	v_mul_f64 v[38:39], v[123:124], v[32:33]
	v_mul_f64 v[50:51], v[121:122], v[32:33]
	s_waitcnt lgkmcnt(5)
	v_mul_f64 v[100:101], v[127:128], v[32:33]
	v_mul_f64 v[102:103], v[125:126], v[32:33]
	s_waitcnt lgkmcnt(4)
	v_mul_f64 v[104:105], v[131:132], v[32:33]
	v_mul_f64 v[106:107], v[129:130], v[32:33]
	s_waitcnt lgkmcnt(3)
	v_mul_f64 v[108:109], v[135:136], v[32:33]
	v_mul_f64 v[149:150], v[133:134], v[32:33]
	s_waitcnt lgkmcnt(2)
	v_mul_f64 v[151:152], v[139:140], v[32:33]
	v_mul_f64 v[153:154], v[137:138], v[32:33]
	s_waitcnt lgkmcnt(1)
	v_mul_f64 v[155:156], v[143:144], v[32:33]
	v_mul_f64 v[157:158], v[141:142], v[32:33]
	s_waitcnt lgkmcnt(0)
	v_mul_f64 v[159:160], v[147:148], v[32:33]
	v_mul_f64 v[161:162], v[145:146], v[32:33]
	v_fma_f64 v[34:35], v[117:118], v[48:49], -v[34:35]
	v_fma_f64 v[36:37], v[119:120], v[48:49], v[36:37]
	v_fma_f64 v[38:39], v[121:122], v[48:49], -v[38:39]
	v_fma_f64 v[50:51], v[123:124], v[48:49], v[50:51]
	;; [unrolled: 2-line block ×8, first 2 shown]
	v_add_f64 v[44:45], v[44:45], -v[34:35]
	v_add_f64 v[46:47], v[46:47], -v[36:37]
	;; [unrolled: 1-line block ×16, first 2 shown]
	v_dual_mov_b32 v51, v33 :: v_dual_mov_b32 v50, v32
.LBB48_356:
	s_or_b32 exec_lo, exec_lo, s2
	v_lshl_add_u32 v32, v111, 4, v110
	s_barrier
	buffer_gl0_inv
	v_mov_b32_e32 v108, 17
	ds_store_2addr_b64 v32, v[44:45], v[46:47] offset1:1
	s_waitcnt lgkmcnt(0)
	s_barrier
	buffer_gl0_inv
	ds_load_2addr_b64 v[100:103], v110 offset0:34 offset1:35
	s_cmp_lt_i32 s5, 19
	s_cbranch_scc1 .LBB48_359
; %bb.357:
	v_add3_u32 v109, v255, 0, 0x120
	v_mov_b32_e32 v108, 17
	s_mov_b32 s6, 18
	s_set_inst_prefetch_distance 0x1
	.p2align	6
.LBB48_358:                             ; =>This Inner Loop Header: Depth=1
	ds_load_2addr_b64 v[117:120], v109 offset1:1
	s_waitcnt lgkmcnt(1)
	v_cmp_gt_f64_e32 vcc_lo, 0, v[100:101]
	v_xor_b32_e32 v32, 0x80000000, v101
	v_cmp_gt_f64_e64 s2, 0, v[102:103]
	v_xor_b32_e32 v34, 0x80000000, v103
	v_add_nc_u32_e32 v109, 16, v109
	s_waitcnt lgkmcnt(0)
	v_cmp_gt_f64_e64 s3, 0, v[117:118]
	v_mov_b32_e32 v36, v117
	v_dual_mov_b32 v38, v119 :: v_dual_cndmask_b32 v33, v101, v32
	v_xor_b32_e32 v32, 0x80000000, v118
	v_cndmask_b32_e64 v35, v103, v34, s2
	v_xor_b32_e32 v34, 0x80000000, v120
	s_delay_alu instid0(VALU_DEP_3) | instskip(SKIP_2) | instid1(VALU_DEP_2)
	v_cndmask_b32_e64 v37, v118, v32, s3
	v_cmp_gt_f64_e64 s3, 0, v[119:120]
	v_cndmask_b32_e32 v32, v100, v100, vcc_lo
	v_cndmask_b32_e64 v39, v120, v34, s3
	v_cndmask_b32_e64 v34, v102, v102, s2
	s_delay_alu instid0(VALU_DEP_2) | instskip(NEXT) | instid1(VALU_DEP_2)
	v_add_f64 v[36:37], v[36:37], v[38:39]
	v_add_f64 v[32:33], v[32:33], v[34:35]
	s_delay_alu instid0(VALU_DEP_1) | instskip(SKIP_4) | instid1(SALU_CYCLE_1)
	v_cmp_lt_f64_e32 vcc_lo, v[32:33], v[36:37]
	v_dual_cndmask_b32 v101, v101, v118 :: v_dual_cndmask_b32 v100, v100, v117
	v_dual_cndmask_b32 v103, v103, v120 :: v_dual_cndmask_b32 v102, v102, v119
	v_cndmask_b32_e64 v108, v108, s6, vcc_lo
	s_add_i32 s6, s6, 1
	s_cmp_lg_u32 s5, s6
	s_cbranch_scc1 .LBB48_358
.LBB48_359:
	s_set_inst_prefetch_distance 0x2
	s_waitcnt lgkmcnt(0)
	v_cmp_eq_f64_e32 vcc_lo, 0, v[100:101]
	v_cmp_eq_f64_e64 s2, 0, v[102:103]
	s_delay_alu instid0(VALU_DEP_1) | instskip(NEXT) | instid1(SALU_CYCLE_1)
	s_and_b32 s2, vcc_lo, s2
	s_and_saveexec_b32 s3, s2
	s_delay_alu instid0(SALU_CYCLE_1)
	s_xor_b32 s2, exec_lo, s3
	s_cbranch_execz .LBB48_361
; %bb.360:
	scratch_load_b32 v32, off, off          ; 4-byte Folded Reload
	s_waitcnt vmcnt(0)
	v_cmp_ne_u32_e32 vcc_lo, 0, v32
	v_cndmask_b32_e32 v32, 18, v32, vcc_lo
	scratch_store_b32 off, v32, off         ; 4-byte Folded Spill
.LBB48_361:
	s_and_not1_saveexec_b32 s3, s2
	s_cbranch_execz .LBB48_367
; %bb.362:
	v_cmp_gt_f64_e32 vcc_lo, 0, v[100:101]
	v_cmp_gt_f64_e64 s2, 0, v[102:103]
	v_xor_b32_e32 v32, 0x80000000, v101
	v_xor_b32_e32 v34, 0x80000000, v103
	s_delay_alu instid0(VALU_DEP_2) | instskip(NEXT) | instid1(VALU_DEP_2)
	v_cndmask_b32_e32 v33, v101, v32, vcc_lo
	v_cndmask_b32_e64 v35, v103, v34, s2
	v_cndmask_b32_e32 v32, v100, v100, vcc_lo
	v_cndmask_b32_e64 v34, v102, v102, s2
	s_mov_b32 s2, exec_lo
	s_delay_alu instid0(VALU_DEP_1)
	v_cmpx_ngt_f64_e32 v[32:33], v[34:35]
	s_xor_b32 s2, exec_lo, s2
	s_cbranch_execz .LBB48_364
; %bb.363:
	v_div_scale_f64 v[32:33], null, v[102:103], v[102:103], v[100:101]
	v_div_scale_f64 v[38:39], vcc_lo, v[100:101], v[102:103], v[100:101]
	s_delay_alu instid0(VALU_DEP_2) | instskip(SKIP_2) | instid1(VALU_DEP_1)
	v_rcp_f64_e32 v[34:35], v[32:33]
	s_waitcnt_depctr 0xfff
	v_fma_f64 v[36:37], -v[32:33], v[34:35], 1.0
	v_fma_f64 v[34:35], v[34:35], v[36:37], v[34:35]
	s_delay_alu instid0(VALU_DEP_1) | instskip(NEXT) | instid1(VALU_DEP_1)
	v_fma_f64 v[36:37], -v[32:33], v[34:35], 1.0
	v_fma_f64 v[34:35], v[34:35], v[36:37], v[34:35]
	s_delay_alu instid0(VALU_DEP_1) | instskip(NEXT) | instid1(VALU_DEP_1)
	v_mul_f64 v[36:37], v[38:39], v[34:35]
	v_fma_f64 v[32:33], -v[32:33], v[36:37], v[38:39]
	s_delay_alu instid0(VALU_DEP_1) | instskip(NEXT) | instid1(VALU_DEP_1)
	v_div_fmas_f64 v[32:33], v[32:33], v[34:35], v[36:37]
	v_div_fixup_f64 v[32:33], v[32:33], v[102:103], v[100:101]
	s_delay_alu instid0(VALU_DEP_1) | instskip(NEXT) | instid1(VALU_DEP_1)
	v_fma_f64 v[34:35], v[100:101], v[32:33], v[102:103]
	v_div_scale_f64 v[36:37], null, v[34:35], v[34:35], 1.0
	s_delay_alu instid0(VALU_DEP_1) | instskip(SKIP_2) | instid1(VALU_DEP_1)
	v_rcp_f64_e32 v[38:39], v[36:37]
	s_waitcnt_depctr 0xfff
	v_fma_f64 v[100:101], -v[36:37], v[38:39], 1.0
	v_fma_f64 v[38:39], v[38:39], v[100:101], v[38:39]
	s_delay_alu instid0(VALU_DEP_1) | instskip(NEXT) | instid1(VALU_DEP_1)
	v_fma_f64 v[100:101], -v[36:37], v[38:39], 1.0
	v_fma_f64 v[38:39], v[38:39], v[100:101], v[38:39]
	v_div_scale_f64 v[100:101], vcc_lo, 1.0, v[34:35], 1.0
	s_delay_alu instid0(VALU_DEP_1) | instskip(NEXT) | instid1(VALU_DEP_1)
	v_mul_f64 v[102:103], v[100:101], v[38:39]
	v_fma_f64 v[36:37], -v[36:37], v[102:103], v[100:101]
	s_delay_alu instid0(VALU_DEP_1) | instskip(NEXT) | instid1(VALU_DEP_1)
	v_div_fmas_f64 v[36:37], v[36:37], v[38:39], v[102:103]
	v_div_fixup_f64 v[102:103], v[36:37], v[34:35], 1.0
	s_delay_alu instid0(VALU_DEP_1)
	v_mul_f64 v[100:101], v[32:33], v[102:103]
	v_xor_b32_e32 v103, 0x80000000, v103
.LBB48_364:
	s_and_not1_saveexec_b32 s2, s2
	s_cbranch_execz .LBB48_366
; %bb.365:
	s_delay_alu instid0(VALU_DEP_1) | instskip(SKIP_1) | instid1(VALU_DEP_2)
	v_div_scale_f64 v[32:33], null, v[100:101], v[100:101], v[102:103]
	v_div_scale_f64 v[38:39], vcc_lo, v[102:103], v[100:101], v[102:103]
	v_rcp_f64_e32 v[34:35], v[32:33]
	s_waitcnt_depctr 0xfff
	v_fma_f64 v[36:37], -v[32:33], v[34:35], 1.0
	s_delay_alu instid0(VALU_DEP_1) | instskip(NEXT) | instid1(VALU_DEP_1)
	v_fma_f64 v[34:35], v[34:35], v[36:37], v[34:35]
	v_fma_f64 v[36:37], -v[32:33], v[34:35], 1.0
	s_delay_alu instid0(VALU_DEP_1) | instskip(NEXT) | instid1(VALU_DEP_1)
	v_fma_f64 v[34:35], v[34:35], v[36:37], v[34:35]
	v_mul_f64 v[36:37], v[38:39], v[34:35]
	s_delay_alu instid0(VALU_DEP_1) | instskip(NEXT) | instid1(VALU_DEP_1)
	v_fma_f64 v[32:33], -v[32:33], v[36:37], v[38:39]
	v_div_fmas_f64 v[32:33], v[32:33], v[34:35], v[36:37]
	s_delay_alu instid0(VALU_DEP_1) | instskip(NEXT) | instid1(VALU_DEP_1)
	v_div_fixup_f64 v[32:33], v[32:33], v[100:101], v[102:103]
	v_fma_f64 v[34:35], v[102:103], v[32:33], v[100:101]
	s_delay_alu instid0(VALU_DEP_1) | instskip(NEXT) | instid1(VALU_DEP_1)
	v_div_scale_f64 v[36:37], null, v[34:35], v[34:35], 1.0
	v_rcp_f64_e32 v[38:39], v[36:37]
	s_waitcnt_depctr 0xfff
	v_fma_f64 v[100:101], -v[36:37], v[38:39], 1.0
	s_delay_alu instid0(VALU_DEP_1) | instskip(NEXT) | instid1(VALU_DEP_1)
	v_fma_f64 v[38:39], v[38:39], v[100:101], v[38:39]
	v_fma_f64 v[100:101], -v[36:37], v[38:39], 1.0
	s_delay_alu instid0(VALU_DEP_1) | instskip(SKIP_1) | instid1(VALU_DEP_1)
	v_fma_f64 v[38:39], v[38:39], v[100:101], v[38:39]
	v_div_scale_f64 v[100:101], vcc_lo, 1.0, v[34:35], 1.0
	v_mul_f64 v[102:103], v[100:101], v[38:39]
	s_delay_alu instid0(VALU_DEP_1) | instskip(NEXT) | instid1(VALU_DEP_1)
	v_fma_f64 v[36:37], -v[36:37], v[102:103], v[100:101]
	v_div_fmas_f64 v[36:37], v[36:37], v[38:39], v[102:103]
	s_delay_alu instid0(VALU_DEP_1) | instskip(NEXT) | instid1(VALU_DEP_1)
	v_div_fixup_f64 v[100:101], v[36:37], v[34:35], 1.0
	v_mul_f64 v[102:103], v[32:33], -v[100:101]
.LBB48_366:
	s_or_b32 exec_lo, exec_lo, s2
.LBB48_367:
	s_delay_alu instid0(SALU_CYCLE_1) | instskip(NEXT) | instid1(SALU_CYCLE_1)
	s_or_b32 exec_lo, exec_lo, s3
	s_mov_b32 s2, exec_lo
	v_cmpx_ne_u32_e64 v111, v108
	s_xor_b32 s2, exec_lo, s2
	s_cbranch_execz .LBB48_373
; %bb.368:
	s_mov_b32 s3, exec_lo
	v_cmpx_eq_u32_e32 17, v111
	s_cbranch_execz .LBB48_372
; %bb.369:
	v_cmp_ne_u32_e32 vcc_lo, 17, v108
	s_xor_b32 s6, s4, -1
	s_delay_alu instid0(SALU_CYCLE_1) | instskip(NEXT) | instid1(SALU_CYCLE_1)
	s_and_b32 s7, s6, vcc_lo
	s_and_saveexec_b32 s6, s7
	s_cbranch_execz .LBB48_371
; %bb.370:
	v_ashrrev_i32_e32 v109, 31, v108
	s_delay_alu instid0(VALU_DEP_1) | instskip(NEXT) | instid1(VALU_DEP_1)
	v_lshlrev_b64 v[32:33], 2, v[108:109]
	v_add_co_u32 v32, vcc_lo, v78, v32
	s_delay_alu instid0(VALU_DEP_2)
	v_add_co_ci_u32_e32 v33, vcc_lo, v79, v33, vcc_lo
	s_clause 0x1
	flat_load_b32 v34, v[32:33]
	flat_load_b32 v35, v[78:79] offset:68
	s_waitcnt vmcnt(1) lgkmcnt(1)
	flat_store_b32 v[78:79], v34 offset:68
	s_waitcnt vmcnt(0) lgkmcnt(1)
	flat_store_b32 v[32:33], v35
.LBB48_371:
	s_or_b32 exec_lo, exec_lo, s6
	v_mov_b32_e32 v111, v108
	v_mov_b32_e32 v247, v108
.LBB48_372:
	s_or_b32 exec_lo, exec_lo, s3
.LBB48_373:
	s_and_not1_saveexec_b32 s2, s2
	s_cbranch_execz .LBB48_375
; %bb.374:
	v_mov_b32_e32 v111, 17
	ds_store_2addr_b64 v110, v[24:25], v[26:27] offset0:36 offset1:37
	ds_store_2addr_b64 v110, v[20:21], v[22:23] offset0:38 offset1:39
	ds_store_2addr_b64 v110, v[16:17], v[18:19] offset0:40 offset1:41
	ds_store_2addr_b64 v110, v[12:13], v[14:15] offset0:42 offset1:43
	ds_store_2addr_b64 v110, v[8:9], v[10:11] offset0:44 offset1:45
	ds_store_2addr_b64 v110, v[4:5], v[6:7] offset0:46 offset1:47
	ds_store_2addr_b64 v110, v[0:1], v[2:3] offset0:48 offset1:49
.LBB48_375:
	s_or_b32 exec_lo, exec_lo, s2
	s_delay_alu instid0(SALU_CYCLE_1)
	s_mov_b32 s2, exec_lo
	s_waitcnt lgkmcnt(0)
	s_waitcnt_vscnt null, 0x0
	s_barrier
	buffer_gl0_inv
	v_cmpx_lt_i32_e32 17, v111
	s_cbranch_execz .LBB48_377
; %bb.376:
	v_mul_f64 v[32:33], v[100:101], v[46:47]
	v_mul_f64 v[34:35], v[102:103], v[46:47]
	ds_load_2addr_b64 v[117:120], v110 offset0:36 offset1:37
	ds_load_2addr_b64 v[121:124], v110 offset0:38 offset1:39
	ds_load_2addr_b64 v[125:128], v110 offset0:40 offset1:41
	ds_load_2addr_b64 v[129:132], v110 offset0:42 offset1:43
	ds_load_2addr_b64 v[133:136], v110 offset0:44 offset1:45
	ds_load_2addr_b64 v[137:140], v110 offset0:46 offset1:47
	ds_load_2addr_b64 v[141:144], v110 offset0:48 offset1:49
	v_fma_f64 v[32:33], v[102:103], v[44:45], v[32:33]
	v_fma_f64 v[44:45], v[100:101], v[44:45], -v[34:35]
	s_waitcnt lgkmcnt(6)
	s_delay_alu instid0(VALU_DEP_2)
	v_mul_f64 v[34:35], v[119:120], v[32:33]
	v_mul_f64 v[36:37], v[117:118], v[32:33]
	s_waitcnt lgkmcnt(5)
	v_mul_f64 v[38:39], v[123:124], v[32:33]
	v_mul_f64 v[46:47], v[121:122], v[32:33]
	s_waitcnt lgkmcnt(4)
	;; [unrolled: 3-line block ×6, first 2 shown]
	v_mul_f64 v[151:152], v[143:144], v[32:33]
	v_mul_f64 v[153:154], v[141:142], v[32:33]
	v_fma_f64 v[34:35], v[117:118], v[44:45], -v[34:35]
	v_fma_f64 v[36:37], v[119:120], v[44:45], v[36:37]
	v_fma_f64 v[38:39], v[121:122], v[44:45], -v[38:39]
	v_fma_f64 v[46:47], v[123:124], v[44:45], v[46:47]
	;; [unrolled: 2-line block ×7, first 2 shown]
	v_add_f64 v[24:25], v[24:25], -v[34:35]
	v_add_f64 v[26:27], v[26:27], -v[36:37]
	v_add_f64 v[20:21], v[20:21], -v[38:39]
	v_add_f64 v[22:23], v[22:23], -v[46:47]
	v_add_f64 v[16:17], v[16:17], -v[100:101]
	v_add_f64 v[18:19], v[18:19], -v[102:103]
	v_add_f64 v[12:13], v[12:13], -v[104:105]
	v_add_f64 v[14:15], v[14:15], -v[106:107]
	v_add_f64 v[8:9], v[8:9], -v[108:109]
	v_add_f64 v[10:11], v[10:11], -v[117:118]
	v_add_f64 v[4:5], v[4:5], -v[119:120]
	v_add_f64 v[6:7], v[6:7], -v[121:122]
	v_add_f64 v[0:1], v[0:1], -v[123:124]
	v_add_f64 v[2:3], v[2:3], -v[125:126]
	v_dual_mov_b32 v47, v33 :: v_dual_mov_b32 v46, v32
.LBB48_377:
	s_or_b32 exec_lo, exec_lo, s2
	v_lshl_add_u32 v32, v111, 4, v110
	s_barrier
	buffer_gl0_inv
	v_mov_b32_e32 v108, 18
	ds_store_2addr_b64 v32, v[24:25], v[26:27] offset1:1
	s_waitcnt lgkmcnt(0)
	s_barrier
	buffer_gl0_inv
	ds_load_2addr_b64 v[100:103], v110 offset0:36 offset1:37
	s_cmp_lt_i32 s5, 20
	s_cbranch_scc1 .LBB48_380
; %bb.378:
	v_add3_u32 v109, v255, 0, 0x130
	v_mov_b32_e32 v108, 18
	s_mov_b32 s6, 19
	s_set_inst_prefetch_distance 0x1
	.p2align	6
.LBB48_379:                             ; =>This Inner Loop Header: Depth=1
	ds_load_2addr_b64 v[117:120], v109 offset1:1
	s_waitcnt lgkmcnt(1)
	v_cmp_gt_f64_e32 vcc_lo, 0, v[100:101]
	v_xor_b32_e32 v32, 0x80000000, v101
	v_cmp_gt_f64_e64 s2, 0, v[102:103]
	v_xor_b32_e32 v34, 0x80000000, v103
	v_add_nc_u32_e32 v109, 16, v109
	s_waitcnt lgkmcnt(0)
	v_cmp_gt_f64_e64 s3, 0, v[117:118]
	v_mov_b32_e32 v36, v117
	v_dual_mov_b32 v38, v119 :: v_dual_cndmask_b32 v33, v101, v32
	v_xor_b32_e32 v32, 0x80000000, v118
	v_cndmask_b32_e64 v35, v103, v34, s2
	v_xor_b32_e32 v34, 0x80000000, v120
	s_delay_alu instid0(VALU_DEP_3) | instskip(SKIP_2) | instid1(VALU_DEP_2)
	v_cndmask_b32_e64 v37, v118, v32, s3
	v_cmp_gt_f64_e64 s3, 0, v[119:120]
	v_cndmask_b32_e32 v32, v100, v100, vcc_lo
	v_cndmask_b32_e64 v39, v120, v34, s3
	v_cndmask_b32_e64 v34, v102, v102, s2
	s_delay_alu instid0(VALU_DEP_2) | instskip(NEXT) | instid1(VALU_DEP_2)
	v_add_f64 v[36:37], v[36:37], v[38:39]
	v_add_f64 v[32:33], v[32:33], v[34:35]
	s_delay_alu instid0(VALU_DEP_1) | instskip(SKIP_4) | instid1(SALU_CYCLE_1)
	v_cmp_lt_f64_e32 vcc_lo, v[32:33], v[36:37]
	v_dual_cndmask_b32 v101, v101, v118 :: v_dual_cndmask_b32 v100, v100, v117
	v_dual_cndmask_b32 v103, v103, v120 :: v_dual_cndmask_b32 v102, v102, v119
	v_cndmask_b32_e64 v108, v108, s6, vcc_lo
	s_add_i32 s6, s6, 1
	s_cmp_lg_u32 s5, s6
	s_cbranch_scc1 .LBB48_379
.LBB48_380:
	s_set_inst_prefetch_distance 0x2
	s_waitcnt lgkmcnt(0)
	v_cmp_eq_f64_e32 vcc_lo, 0, v[100:101]
	v_cmp_eq_f64_e64 s2, 0, v[102:103]
	s_delay_alu instid0(VALU_DEP_1) | instskip(NEXT) | instid1(SALU_CYCLE_1)
	s_and_b32 s2, vcc_lo, s2
	s_and_saveexec_b32 s3, s2
	s_delay_alu instid0(SALU_CYCLE_1)
	s_xor_b32 s2, exec_lo, s3
	s_cbranch_execz .LBB48_382
; %bb.381:
	scratch_load_b32 v32, off, off          ; 4-byte Folded Reload
	s_waitcnt vmcnt(0)
	v_cmp_ne_u32_e32 vcc_lo, 0, v32
	v_cndmask_b32_e32 v32, 19, v32, vcc_lo
	scratch_store_b32 off, v32, off         ; 4-byte Folded Spill
.LBB48_382:
	s_and_not1_saveexec_b32 s3, s2
	s_cbranch_execz .LBB48_388
; %bb.383:
	v_cmp_gt_f64_e32 vcc_lo, 0, v[100:101]
	v_cmp_gt_f64_e64 s2, 0, v[102:103]
	v_xor_b32_e32 v32, 0x80000000, v101
	v_xor_b32_e32 v34, 0x80000000, v103
	s_delay_alu instid0(VALU_DEP_2) | instskip(NEXT) | instid1(VALU_DEP_2)
	v_cndmask_b32_e32 v33, v101, v32, vcc_lo
	v_cndmask_b32_e64 v35, v103, v34, s2
	v_cndmask_b32_e32 v32, v100, v100, vcc_lo
	v_cndmask_b32_e64 v34, v102, v102, s2
	s_mov_b32 s2, exec_lo
	s_delay_alu instid0(VALU_DEP_1)
	v_cmpx_ngt_f64_e32 v[32:33], v[34:35]
	s_xor_b32 s2, exec_lo, s2
	s_cbranch_execz .LBB48_385
; %bb.384:
	v_div_scale_f64 v[32:33], null, v[102:103], v[102:103], v[100:101]
	v_div_scale_f64 v[38:39], vcc_lo, v[100:101], v[102:103], v[100:101]
	s_delay_alu instid0(VALU_DEP_2) | instskip(SKIP_2) | instid1(VALU_DEP_1)
	v_rcp_f64_e32 v[34:35], v[32:33]
	s_waitcnt_depctr 0xfff
	v_fma_f64 v[36:37], -v[32:33], v[34:35], 1.0
	v_fma_f64 v[34:35], v[34:35], v[36:37], v[34:35]
	s_delay_alu instid0(VALU_DEP_1) | instskip(NEXT) | instid1(VALU_DEP_1)
	v_fma_f64 v[36:37], -v[32:33], v[34:35], 1.0
	v_fma_f64 v[34:35], v[34:35], v[36:37], v[34:35]
	s_delay_alu instid0(VALU_DEP_1) | instskip(NEXT) | instid1(VALU_DEP_1)
	v_mul_f64 v[36:37], v[38:39], v[34:35]
	v_fma_f64 v[32:33], -v[32:33], v[36:37], v[38:39]
	s_delay_alu instid0(VALU_DEP_1) | instskip(NEXT) | instid1(VALU_DEP_1)
	v_div_fmas_f64 v[32:33], v[32:33], v[34:35], v[36:37]
	v_div_fixup_f64 v[32:33], v[32:33], v[102:103], v[100:101]
	s_delay_alu instid0(VALU_DEP_1) | instskip(NEXT) | instid1(VALU_DEP_1)
	v_fma_f64 v[34:35], v[100:101], v[32:33], v[102:103]
	v_div_scale_f64 v[36:37], null, v[34:35], v[34:35], 1.0
	s_delay_alu instid0(VALU_DEP_1) | instskip(SKIP_2) | instid1(VALU_DEP_1)
	v_rcp_f64_e32 v[38:39], v[36:37]
	s_waitcnt_depctr 0xfff
	v_fma_f64 v[100:101], -v[36:37], v[38:39], 1.0
	v_fma_f64 v[38:39], v[38:39], v[100:101], v[38:39]
	s_delay_alu instid0(VALU_DEP_1) | instskip(NEXT) | instid1(VALU_DEP_1)
	v_fma_f64 v[100:101], -v[36:37], v[38:39], 1.0
	v_fma_f64 v[38:39], v[38:39], v[100:101], v[38:39]
	v_div_scale_f64 v[100:101], vcc_lo, 1.0, v[34:35], 1.0
	s_delay_alu instid0(VALU_DEP_1) | instskip(NEXT) | instid1(VALU_DEP_1)
	v_mul_f64 v[102:103], v[100:101], v[38:39]
	v_fma_f64 v[36:37], -v[36:37], v[102:103], v[100:101]
	s_delay_alu instid0(VALU_DEP_1) | instskip(NEXT) | instid1(VALU_DEP_1)
	v_div_fmas_f64 v[36:37], v[36:37], v[38:39], v[102:103]
	v_div_fixup_f64 v[102:103], v[36:37], v[34:35], 1.0
	s_delay_alu instid0(VALU_DEP_1)
	v_mul_f64 v[100:101], v[32:33], v[102:103]
	v_xor_b32_e32 v103, 0x80000000, v103
.LBB48_385:
	s_and_not1_saveexec_b32 s2, s2
	s_cbranch_execz .LBB48_387
; %bb.386:
	s_delay_alu instid0(VALU_DEP_1) | instskip(SKIP_1) | instid1(VALU_DEP_2)
	v_div_scale_f64 v[32:33], null, v[100:101], v[100:101], v[102:103]
	v_div_scale_f64 v[38:39], vcc_lo, v[102:103], v[100:101], v[102:103]
	v_rcp_f64_e32 v[34:35], v[32:33]
	s_waitcnt_depctr 0xfff
	v_fma_f64 v[36:37], -v[32:33], v[34:35], 1.0
	s_delay_alu instid0(VALU_DEP_1) | instskip(NEXT) | instid1(VALU_DEP_1)
	v_fma_f64 v[34:35], v[34:35], v[36:37], v[34:35]
	v_fma_f64 v[36:37], -v[32:33], v[34:35], 1.0
	s_delay_alu instid0(VALU_DEP_1) | instskip(NEXT) | instid1(VALU_DEP_1)
	v_fma_f64 v[34:35], v[34:35], v[36:37], v[34:35]
	v_mul_f64 v[36:37], v[38:39], v[34:35]
	s_delay_alu instid0(VALU_DEP_1) | instskip(NEXT) | instid1(VALU_DEP_1)
	v_fma_f64 v[32:33], -v[32:33], v[36:37], v[38:39]
	v_div_fmas_f64 v[32:33], v[32:33], v[34:35], v[36:37]
	s_delay_alu instid0(VALU_DEP_1) | instskip(NEXT) | instid1(VALU_DEP_1)
	v_div_fixup_f64 v[32:33], v[32:33], v[100:101], v[102:103]
	v_fma_f64 v[34:35], v[102:103], v[32:33], v[100:101]
	s_delay_alu instid0(VALU_DEP_1) | instskip(NEXT) | instid1(VALU_DEP_1)
	v_div_scale_f64 v[36:37], null, v[34:35], v[34:35], 1.0
	v_rcp_f64_e32 v[38:39], v[36:37]
	s_waitcnt_depctr 0xfff
	v_fma_f64 v[100:101], -v[36:37], v[38:39], 1.0
	s_delay_alu instid0(VALU_DEP_1) | instskip(NEXT) | instid1(VALU_DEP_1)
	v_fma_f64 v[38:39], v[38:39], v[100:101], v[38:39]
	v_fma_f64 v[100:101], -v[36:37], v[38:39], 1.0
	s_delay_alu instid0(VALU_DEP_1) | instskip(SKIP_1) | instid1(VALU_DEP_1)
	v_fma_f64 v[38:39], v[38:39], v[100:101], v[38:39]
	v_div_scale_f64 v[100:101], vcc_lo, 1.0, v[34:35], 1.0
	v_mul_f64 v[102:103], v[100:101], v[38:39]
	s_delay_alu instid0(VALU_DEP_1) | instskip(NEXT) | instid1(VALU_DEP_1)
	v_fma_f64 v[36:37], -v[36:37], v[102:103], v[100:101]
	v_div_fmas_f64 v[36:37], v[36:37], v[38:39], v[102:103]
	s_delay_alu instid0(VALU_DEP_1) | instskip(NEXT) | instid1(VALU_DEP_1)
	v_div_fixup_f64 v[100:101], v[36:37], v[34:35], 1.0
	v_mul_f64 v[102:103], v[32:33], -v[100:101]
.LBB48_387:
	s_or_b32 exec_lo, exec_lo, s2
.LBB48_388:
	s_delay_alu instid0(SALU_CYCLE_1) | instskip(NEXT) | instid1(SALU_CYCLE_1)
	s_or_b32 exec_lo, exec_lo, s3
	s_mov_b32 s2, exec_lo
	v_cmpx_ne_u32_e64 v111, v108
	s_xor_b32 s2, exec_lo, s2
	s_cbranch_execz .LBB48_394
; %bb.389:
	s_mov_b32 s3, exec_lo
	v_cmpx_eq_u32_e32 18, v111
	s_cbranch_execz .LBB48_393
; %bb.390:
	v_cmp_ne_u32_e32 vcc_lo, 18, v108
	s_xor_b32 s6, s4, -1
	s_delay_alu instid0(SALU_CYCLE_1) | instskip(NEXT) | instid1(SALU_CYCLE_1)
	s_and_b32 s7, s6, vcc_lo
	s_and_saveexec_b32 s6, s7
	s_cbranch_execz .LBB48_392
; %bb.391:
	v_ashrrev_i32_e32 v109, 31, v108
	s_delay_alu instid0(VALU_DEP_1) | instskip(NEXT) | instid1(VALU_DEP_1)
	v_lshlrev_b64 v[32:33], 2, v[108:109]
	v_add_co_u32 v32, vcc_lo, v78, v32
	s_delay_alu instid0(VALU_DEP_2)
	v_add_co_ci_u32_e32 v33, vcc_lo, v79, v33, vcc_lo
	s_clause 0x1
	flat_load_b32 v34, v[32:33]
	flat_load_b32 v35, v[78:79] offset:72
	s_waitcnt vmcnt(1) lgkmcnt(1)
	flat_store_b32 v[78:79], v34 offset:72
	s_waitcnt vmcnt(0) lgkmcnt(1)
	flat_store_b32 v[32:33], v35
.LBB48_392:
	s_or_b32 exec_lo, exec_lo, s6
	v_mov_b32_e32 v111, v108
	v_mov_b32_e32 v247, v108
.LBB48_393:
	s_or_b32 exec_lo, exec_lo, s3
.LBB48_394:
	s_and_not1_saveexec_b32 s2, s2
	s_cbranch_execz .LBB48_396
; %bb.395:
	v_mov_b32_e32 v111, 18
	ds_store_2addr_b64 v110, v[20:21], v[22:23] offset0:38 offset1:39
	ds_store_2addr_b64 v110, v[16:17], v[18:19] offset0:40 offset1:41
	;; [unrolled: 1-line block ×6, first 2 shown]
.LBB48_396:
	s_or_b32 exec_lo, exec_lo, s2
	s_delay_alu instid0(SALU_CYCLE_1)
	s_mov_b32 s2, exec_lo
	s_waitcnt lgkmcnt(0)
	s_waitcnt_vscnt null, 0x0
	s_barrier
	buffer_gl0_inv
	v_cmpx_lt_i32_e32 18, v111
	s_cbranch_execz .LBB48_398
; %bb.397:
	v_mul_f64 v[32:33], v[100:101], v[26:27]
	v_mul_f64 v[26:27], v[102:103], v[26:27]
	ds_load_2addr_b64 v[117:120], v110 offset0:38 offset1:39
	ds_load_2addr_b64 v[121:124], v110 offset0:40 offset1:41
	;; [unrolled: 1-line block ×6, first 2 shown]
	v_fma_f64 v[32:33], v[102:103], v[24:25], v[32:33]
	v_fma_f64 v[24:25], v[100:101], v[24:25], -v[26:27]
	s_waitcnt lgkmcnt(5)
	s_delay_alu instid0(VALU_DEP_2)
	v_mul_f64 v[26:27], v[119:120], v[32:33]
	v_mul_f64 v[34:35], v[117:118], v[32:33]
	s_waitcnt lgkmcnt(4)
	v_mul_f64 v[36:37], v[123:124], v[32:33]
	v_mul_f64 v[38:39], v[121:122], v[32:33]
	s_waitcnt lgkmcnt(3)
	;; [unrolled: 3-line block ×5, first 2 shown]
	v_mul_f64 v[143:144], v[139:140], v[32:33]
	v_mul_f64 v[145:146], v[137:138], v[32:33]
	v_fma_f64 v[26:27], v[117:118], v[24:25], -v[26:27]
	v_fma_f64 v[34:35], v[119:120], v[24:25], v[34:35]
	v_fma_f64 v[36:37], v[121:122], v[24:25], -v[36:37]
	v_fma_f64 v[38:39], v[123:124], v[24:25], v[38:39]
	v_fma_f64 v[100:101], v[125:126], v[24:25], -v[100:101]
	v_fma_f64 v[102:103], v[127:128], v[24:25], v[102:103]
	v_fma_f64 v[104:105], v[129:130], v[24:25], -v[104:105]
	v_fma_f64 v[106:107], v[131:132], v[24:25], v[106:107]
	v_fma_f64 v[108:109], v[133:134], v[24:25], -v[108:109]
	v_fma_f64 v[117:118], v[135:136], v[24:25], v[141:142]
	v_fma_f64 v[119:120], v[137:138], v[24:25], -v[143:144]
	v_fma_f64 v[121:122], v[139:140], v[24:25], v[145:146]
	v_add_f64 v[20:21], v[20:21], -v[26:27]
	v_add_f64 v[22:23], v[22:23], -v[34:35]
	;; [unrolled: 1-line block ×12, first 2 shown]
	v_dual_mov_b32 v26, v32 :: v_dual_mov_b32 v27, v33
.LBB48_398:
	s_or_b32 exec_lo, exec_lo, s2
	v_lshl_add_u32 v32, v111, 4, v110
	s_barrier
	buffer_gl0_inv
	v_mov_b32_e32 v108, 19
	ds_store_2addr_b64 v32, v[20:21], v[22:23] offset1:1
	s_waitcnt lgkmcnt(0)
	s_barrier
	buffer_gl0_inv
	ds_load_2addr_b64 v[100:103], v110 offset0:38 offset1:39
	s_cmp_lt_i32 s5, 21
	s_cbranch_scc1 .LBB48_401
; %bb.399:
	v_add3_u32 v109, v255, 0, 0x140
	v_mov_b32_e32 v108, 19
	s_mov_b32 s6, 20
	s_set_inst_prefetch_distance 0x1
	.p2align	6
.LBB48_400:                             ; =>This Inner Loop Header: Depth=1
	ds_load_2addr_b64 v[117:120], v109 offset1:1
	s_waitcnt lgkmcnt(1)
	v_cmp_gt_f64_e32 vcc_lo, 0, v[100:101]
	v_xor_b32_e32 v32, 0x80000000, v101
	v_cmp_gt_f64_e64 s2, 0, v[102:103]
	v_xor_b32_e32 v34, 0x80000000, v103
	v_add_nc_u32_e32 v109, 16, v109
	s_waitcnt lgkmcnt(0)
	v_cmp_gt_f64_e64 s3, 0, v[117:118]
	v_mov_b32_e32 v36, v117
	v_dual_mov_b32 v38, v119 :: v_dual_cndmask_b32 v33, v101, v32
	v_xor_b32_e32 v32, 0x80000000, v118
	v_cndmask_b32_e64 v35, v103, v34, s2
	v_xor_b32_e32 v34, 0x80000000, v120
	s_delay_alu instid0(VALU_DEP_3) | instskip(SKIP_2) | instid1(VALU_DEP_2)
	v_cndmask_b32_e64 v37, v118, v32, s3
	v_cmp_gt_f64_e64 s3, 0, v[119:120]
	v_cndmask_b32_e32 v32, v100, v100, vcc_lo
	v_cndmask_b32_e64 v39, v120, v34, s3
	v_cndmask_b32_e64 v34, v102, v102, s2
	s_delay_alu instid0(VALU_DEP_2) | instskip(NEXT) | instid1(VALU_DEP_2)
	v_add_f64 v[36:37], v[36:37], v[38:39]
	v_add_f64 v[32:33], v[32:33], v[34:35]
	s_delay_alu instid0(VALU_DEP_1) | instskip(SKIP_4) | instid1(SALU_CYCLE_1)
	v_cmp_lt_f64_e32 vcc_lo, v[32:33], v[36:37]
	v_dual_cndmask_b32 v101, v101, v118 :: v_dual_cndmask_b32 v100, v100, v117
	v_dual_cndmask_b32 v103, v103, v120 :: v_dual_cndmask_b32 v102, v102, v119
	v_cndmask_b32_e64 v108, v108, s6, vcc_lo
	s_add_i32 s6, s6, 1
	s_cmp_lg_u32 s5, s6
	s_cbranch_scc1 .LBB48_400
.LBB48_401:
	s_set_inst_prefetch_distance 0x2
	s_waitcnt lgkmcnt(0)
	v_cmp_eq_f64_e32 vcc_lo, 0, v[100:101]
	v_cmp_eq_f64_e64 s2, 0, v[102:103]
	s_delay_alu instid0(VALU_DEP_1) | instskip(NEXT) | instid1(SALU_CYCLE_1)
	s_and_b32 s2, vcc_lo, s2
	s_and_saveexec_b32 s3, s2
	s_delay_alu instid0(SALU_CYCLE_1)
	s_xor_b32 s2, exec_lo, s3
	s_cbranch_execz .LBB48_403
; %bb.402:
	scratch_load_b32 v32, off, off          ; 4-byte Folded Reload
	s_waitcnt vmcnt(0)
	v_cmp_ne_u32_e32 vcc_lo, 0, v32
	v_cndmask_b32_e32 v32, 20, v32, vcc_lo
	scratch_store_b32 off, v32, off         ; 4-byte Folded Spill
.LBB48_403:
	s_and_not1_saveexec_b32 s3, s2
	s_cbranch_execz .LBB48_409
; %bb.404:
	v_cmp_gt_f64_e32 vcc_lo, 0, v[100:101]
	v_cmp_gt_f64_e64 s2, 0, v[102:103]
	v_xor_b32_e32 v32, 0x80000000, v101
	v_xor_b32_e32 v34, 0x80000000, v103
	s_delay_alu instid0(VALU_DEP_2) | instskip(NEXT) | instid1(VALU_DEP_2)
	v_cndmask_b32_e32 v33, v101, v32, vcc_lo
	v_cndmask_b32_e64 v35, v103, v34, s2
	v_cndmask_b32_e32 v32, v100, v100, vcc_lo
	v_cndmask_b32_e64 v34, v102, v102, s2
	s_mov_b32 s2, exec_lo
	s_delay_alu instid0(VALU_DEP_1)
	v_cmpx_ngt_f64_e32 v[32:33], v[34:35]
	s_xor_b32 s2, exec_lo, s2
	s_cbranch_execz .LBB48_406
; %bb.405:
	v_div_scale_f64 v[32:33], null, v[102:103], v[102:103], v[100:101]
	v_div_scale_f64 v[38:39], vcc_lo, v[100:101], v[102:103], v[100:101]
	s_delay_alu instid0(VALU_DEP_2) | instskip(SKIP_2) | instid1(VALU_DEP_1)
	v_rcp_f64_e32 v[34:35], v[32:33]
	s_waitcnt_depctr 0xfff
	v_fma_f64 v[36:37], -v[32:33], v[34:35], 1.0
	v_fma_f64 v[34:35], v[34:35], v[36:37], v[34:35]
	s_delay_alu instid0(VALU_DEP_1) | instskip(NEXT) | instid1(VALU_DEP_1)
	v_fma_f64 v[36:37], -v[32:33], v[34:35], 1.0
	v_fma_f64 v[34:35], v[34:35], v[36:37], v[34:35]
	s_delay_alu instid0(VALU_DEP_1) | instskip(NEXT) | instid1(VALU_DEP_1)
	v_mul_f64 v[36:37], v[38:39], v[34:35]
	v_fma_f64 v[32:33], -v[32:33], v[36:37], v[38:39]
	s_delay_alu instid0(VALU_DEP_1) | instskip(NEXT) | instid1(VALU_DEP_1)
	v_div_fmas_f64 v[32:33], v[32:33], v[34:35], v[36:37]
	v_div_fixup_f64 v[32:33], v[32:33], v[102:103], v[100:101]
	s_delay_alu instid0(VALU_DEP_1) | instskip(NEXT) | instid1(VALU_DEP_1)
	v_fma_f64 v[34:35], v[100:101], v[32:33], v[102:103]
	v_div_scale_f64 v[36:37], null, v[34:35], v[34:35], 1.0
	s_delay_alu instid0(VALU_DEP_1) | instskip(SKIP_2) | instid1(VALU_DEP_1)
	v_rcp_f64_e32 v[38:39], v[36:37]
	s_waitcnt_depctr 0xfff
	v_fma_f64 v[100:101], -v[36:37], v[38:39], 1.0
	v_fma_f64 v[38:39], v[38:39], v[100:101], v[38:39]
	s_delay_alu instid0(VALU_DEP_1) | instskip(NEXT) | instid1(VALU_DEP_1)
	v_fma_f64 v[100:101], -v[36:37], v[38:39], 1.0
	v_fma_f64 v[38:39], v[38:39], v[100:101], v[38:39]
	v_div_scale_f64 v[100:101], vcc_lo, 1.0, v[34:35], 1.0
	s_delay_alu instid0(VALU_DEP_1) | instskip(NEXT) | instid1(VALU_DEP_1)
	v_mul_f64 v[102:103], v[100:101], v[38:39]
	v_fma_f64 v[36:37], -v[36:37], v[102:103], v[100:101]
	s_delay_alu instid0(VALU_DEP_1) | instskip(NEXT) | instid1(VALU_DEP_1)
	v_div_fmas_f64 v[36:37], v[36:37], v[38:39], v[102:103]
	v_div_fixup_f64 v[102:103], v[36:37], v[34:35], 1.0
	s_delay_alu instid0(VALU_DEP_1)
	v_mul_f64 v[100:101], v[32:33], v[102:103]
	v_xor_b32_e32 v103, 0x80000000, v103
.LBB48_406:
	s_and_not1_saveexec_b32 s2, s2
	s_cbranch_execz .LBB48_408
; %bb.407:
	s_delay_alu instid0(VALU_DEP_1) | instskip(SKIP_1) | instid1(VALU_DEP_2)
	v_div_scale_f64 v[32:33], null, v[100:101], v[100:101], v[102:103]
	v_div_scale_f64 v[38:39], vcc_lo, v[102:103], v[100:101], v[102:103]
	v_rcp_f64_e32 v[34:35], v[32:33]
	s_waitcnt_depctr 0xfff
	v_fma_f64 v[36:37], -v[32:33], v[34:35], 1.0
	s_delay_alu instid0(VALU_DEP_1) | instskip(NEXT) | instid1(VALU_DEP_1)
	v_fma_f64 v[34:35], v[34:35], v[36:37], v[34:35]
	v_fma_f64 v[36:37], -v[32:33], v[34:35], 1.0
	s_delay_alu instid0(VALU_DEP_1) | instskip(NEXT) | instid1(VALU_DEP_1)
	v_fma_f64 v[34:35], v[34:35], v[36:37], v[34:35]
	v_mul_f64 v[36:37], v[38:39], v[34:35]
	s_delay_alu instid0(VALU_DEP_1) | instskip(NEXT) | instid1(VALU_DEP_1)
	v_fma_f64 v[32:33], -v[32:33], v[36:37], v[38:39]
	v_div_fmas_f64 v[32:33], v[32:33], v[34:35], v[36:37]
	s_delay_alu instid0(VALU_DEP_1) | instskip(NEXT) | instid1(VALU_DEP_1)
	v_div_fixup_f64 v[32:33], v[32:33], v[100:101], v[102:103]
	v_fma_f64 v[34:35], v[102:103], v[32:33], v[100:101]
	s_delay_alu instid0(VALU_DEP_1) | instskip(NEXT) | instid1(VALU_DEP_1)
	v_div_scale_f64 v[36:37], null, v[34:35], v[34:35], 1.0
	v_rcp_f64_e32 v[38:39], v[36:37]
	s_waitcnt_depctr 0xfff
	v_fma_f64 v[100:101], -v[36:37], v[38:39], 1.0
	s_delay_alu instid0(VALU_DEP_1) | instskip(NEXT) | instid1(VALU_DEP_1)
	v_fma_f64 v[38:39], v[38:39], v[100:101], v[38:39]
	v_fma_f64 v[100:101], -v[36:37], v[38:39], 1.0
	s_delay_alu instid0(VALU_DEP_1) | instskip(SKIP_1) | instid1(VALU_DEP_1)
	v_fma_f64 v[38:39], v[38:39], v[100:101], v[38:39]
	v_div_scale_f64 v[100:101], vcc_lo, 1.0, v[34:35], 1.0
	v_mul_f64 v[102:103], v[100:101], v[38:39]
	s_delay_alu instid0(VALU_DEP_1) | instskip(NEXT) | instid1(VALU_DEP_1)
	v_fma_f64 v[36:37], -v[36:37], v[102:103], v[100:101]
	v_div_fmas_f64 v[36:37], v[36:37], v[38:39], v[102:103]
	s_delay_alu instid0(VALU_DEP_1) | instskip(NEXT) | instid1(VALU_DEP_1)
	v_div_fixup_f64 v[100:101], v[36:37], v[34:35], 1.0
	v_mul_f64 v[102:103], v[32:33], -v[100:101]
.LBB48_408:
	s_or_b32 exec_lo, exec_lo, s2
.LBB48_409:
	s_delay_alu instid0(SALU_CYCLE_1) | instskip(NEXT) | instid1(SALU_CYCLE_1)
	s_or_b32 exec_lo, exec_lo, s3
	s_mov_b32 s2, exec_lo
	v_cmpx_ne_u32_e64 v111, v108
	s_xor_b32 s2, exec_lo, s2
	s_cbranch_execz .LBB48_415
; %bb.410:
	s_mov_b32 s3, exec_lo
	v_cmpx_eq_u32_e32 19, v111
	s_cbranch_execz .LBB48_414
; %bb.411:
	v_cmp_ne_u32_e32 vcc_lo, 19, v108
	s_xor_b32 s6, s4, -1
	s_delay_alu instid0(SALU_CYCLE_1) | instskip(NEXT) | instid1(SALU_CYCLE_1)
	s_and_b32 s7, s6, vcc_lo
	s_and_saveexec_b32 s6, s7
	s_cbranch_execz .LBB48_413
; %bb.412:
	v_ashrrev_i32_e32 v109, 31, v108
	s_delay_alu instid0(VALU_DEP_1) | instskip(NEXT) | instid1(VALU_DEP_1)
	v_lshlrev_b64 v[32:33], 2, v[108:109]
	v_add_co_u32 v32, vcc_lo, v78, v32
	s_delay_alu instid0(VALU_DEP_2)
	v_add_co_ci_u32_e32 v33, vcc_lo, v79, v33, vcc_lo
	s_clause 0x1
	flat_load_b32 v34, v[32:33]
	flat_load_b32 v35, v[78:79] offset:76
	s_waitcnt vmcnt(1) lgkmcnt(1)
	flat_store_b32 v[78:79], v34 offset:76
	s_waitcnt vmcnt(0) lgkmcnt(1)
	flat_store_b32 v[32:33], v35
.LBB48_413:
	s_or_b32 exec_lo, exec_lo, s6
	v_mov_b32_e32 v111, v108
	v_mov_b32_e32 v247, v108
.LBB48_414:
	s_or_b32 exec_lo, exec_lo, s3
.LBB48_415:
	s_and_not1_saveexec_b32 s2, s2
	s_cbranch_execz .LBB48_417
; %bb.416:
	v_mov_b32_e32 v111, 19
	ds_store_2addr_b64 v110, v[16:17], v[18:19] offset0:40 offset1:41
	ds_store_2addr_b64 v110, v[12:13], v[14:15] offset0:42 offset1:43
	ds_store_2addr_b64 v110, v[8:9], v[10:11] offset0:44 offset1:45
	ds_store_2addr_b64 v110, v[4:5], v[6:7] offset0:46 offset1:47
	ds_store_2addr_b64 v110, v[0:1], v[2:3] offset0:48 offset1:49
.LBB48_417:
	s_or_b32 exec_lo, exec_lo, s2
	s_delay_alu instid0(SALU_CYCLE_1)
	s_mov_b32 s2, exec_lo
	s_waitcnt lgkmcnt(0)
	s_waitcnt_vscnt null, 0x0
	s_barrier
	buffer_gl0_inv
	v_cmpx_lt_i32_e32 19, v111
	s_cbranch_execz .LBB48_419
; %bb.418:
	v_mul_f64 v[32:33], v[100:101], v[22:23]
	v_mul_f64 v[22:23], v[102:103], v[22:23]
	ds_load_2addr_b64 v[117:120], v110 offset0:40 offset1:41
	ds_load_2addr_b64 v[121:124], v110 offset0:42 offset1:43
	;; [unrolled: 1-line block ×5, first 2 shown]
	v_fma_f64 v[32:33], v[102:103], v[20:21], v[32:33]
	v_fma_f64 v[20:21], v[100:101], v[20:21], -v[22:23]
	s_waitcnt lgkmcnt(4)
	s_delay_alu instid0(VALU_DEP_2)
	v_mul_f64 v[22:23], v[119:120], v[32:33]
	v_mul_f64 v[34:35], v[117:118], v[32:33]
	s_waitcnt lgkmcnt(3)
	v_mul_f64 v[36:37], v[123:124], v[32:33]
	v_mul_f64 v[38:39], v[121:122], v[32:33]
	s_waitcnt lgkmcnt(2)
	;; [unrolled: 3-line block ×4, first 2 shown]
	v_mul_f64 v[108:109], v[135:136], v[32:33]
	v_mul_f64 v[137:138], v[133:134], v[32:33]
	v_fma_f64 v[22:23], v[117:118], v[20:21], -v[22:23]
	v_fma_f64 v[34:35], v[119:120], v[20:21], v[34:35]
	v_fma_f64 v[36:37], v[121:122], v[20:21], -v[36:37]
	v_fma_f64 v[38:39], v[123:124], v[20:21], v[38:39]
	;; [unrolled: 2-line block ×5, first 2 shown]
	v_add_f64 v[16:17], v[16:17], -v[22:23]
	v_add_f64 v[18:19], v[18:19], -v[34:35]
	;; [unrolled: 1-line block ×10, first 2 shown]
	v_dual_mov_b32 v22, v32 :: v_dual_mov_b32 v23, v33
.LBB48_419:
	s_or_b32 exec_lo, exec_lo, s2
	v_lshl_add_u32 v32, v111, 4, v110
	s_barrier
	buffer_gl0_inv
	v_mov_b32_e32 v108, 20
	ds_store_2addr_b64 v32, v[16:17], v[18:19] offset1:1
	s_waitcnt lgkmcnt(0)
	s_barrier
	buffer_gl0_inv
	ds_load_2addr_b64 v[100:103], v110 offset0:40 offset1:41
	s_cmp_lt_i32 s5, 22
	s_cbranch_scc1 .LBB48_422
; %bb.420:
	v_add3_u32 v109, v255, 0, 0x150
	v_mov_b32_e32 v108, 20
	s_mov_b32 s6, 21
	s_set_inst_prefetch_distance 0x1
	.p2align	6
.LBB48_421:                             ; =>This Inner Loop Header: Depth=1
	ds_load_2addr_b64 v[117:120], v109 offset1:1
	s_waitcnt lgkmcnt(1)
	v_cmp_gt_f64_e32 vcc_lo, 0, v[100:101]
	v_xor_b32_e32 v32, 0x80000000, v101
	v_cmp_gt_f64_e64 s2, 0, v[102:103]
	v_xor_b32_e32 v34, 0x80000000, v103
	v_add_nc_u32_e32 v109, 16, v109
	s_waitcnt lgkmcnt(0)
	v_cmp_gt_f64_e64 s3, 0, v[117:118]
	v_mov_b32_e32 v36, v117
	v_dual_mov_b32 v38, v119 :: v_dual_cndmask_b32 v33, v101, v32
	v_xor_b32_e32 v32, 0x80000000, v118
	v_cndmask_b32_e64 v35, v103, v34, s2
	v_xor_b32_e32 v34, 0x80000000, v120
	s_delay_alu instid0(VALU_DEP_3) | instskip(SKIP_2) | instid1(VALU_DEP_2)
	v_cndmask_b32_e64 v37, v118, v32, s3
	v_cmp_gt_f64_e64 s3, 0, v[119:120]
	v_cndmask_b32_e32 v32, v100, v100, vcc_lo
	v_cndmask_b32_e64 v39, v120, v34, s3
	v_cndmask_b32_e64 v34, v102, v102, s2
	s_delay_alu instid0(VALU_DEP_2) | instskip(NEXT) | instid1(VALU_DEP_2)
	v_add_f64 v[36:37], v[36:37], v[38:39]
	v_add_f64 v[32:33], v[32:33], v[34:35]
	s_delay_alu instid0(VALU_DEP_1) | instskip(SKIP_4) | instid1(SALU_CYCLE_1)
	v_cmp_lt_f64_e32 vcc_lo, v[32:33], v[36:37]
	v_dual_cndmask_b32 v101, v101, v118 :: v_dual_cndmask_b32 v100, v100, v117
	v_dual_cndmask_b32 v103, v103, v120 :: v_dual_cndmask_b32 v102, v102, v119
	v_cndmask_b32_e64 v108, v108, s6, vcc_lo
	s_add_i32 s6, s6, 1
	s_cmp_lg_u32 s5, s6
	s_cbranch_scc1 .LBB48_421
.LBB48_422:
	s_set_inst_prefetch_distance 0x2
	s_waitcnt lgkmcnt(0)
	v_cmp_eq_f64_e32 vcc_lo, 0, v[100:101]
	v_cmp_eq_f64_e64 s2, 0, v[102:103]
	s_delay_alu instid0(VALU_DEP_1) | instskip(NEXT) | instid1(SALU_CYCLE_1)
	s_and_b32 s2, vcc_lo, s2
	s_and_saveexec_b32 s3, s2
	s_delay_alu instid0(SALU_CYCLE_1)
	s_xor_b32 s2, exec_lo, s3
	s_cbranch_execz .LBB48_424
; %bb.423:
	scratch_load_b32 v32, off, off          ; 4-byte Folded Reload
	s_waitcnt vmcnt(0)
	v_cmp_ne_u32_e32 vcc_lo, 0, v32
	v_cndmask_b32_e32 v32, 21, v32, vcc_lo
	scratch_store_b32 off, v32, off         ; 4-byte Folded Spill
.LBB48_424:
	s_and_not1_saveexec_b32 s3, s2
	s_cbranch_execz .LBB48_430
; %bb.425:
	v_cmp_gt_f64_e32 vcc_lo, 0, v[100:101]
	v_cmp_gt_f64_e64 s2, 0, v[102:103]
	v_xor_b32_e32 v32, 0x80000000, v101
	v_xor_b32_e32 v34, 0x80000000, v103
	s_delay_alu instid0(VALU_DEP_2) | instskip(NEXT) | instid1(VALU_DEP_2)
	v_cndmask_b32_e32 v33, v101, v32, vcc_lo
	v_cndmask_b32_e64 v35, v103, v34, s2
	v_cndmask_b32_e32 v32, v100, v100, vcc_lo
	v_cndmask_b32_e64 v34, v102, v102, s2
	s_mov_b32 s2, exec_lo
	s_delay_alu instid0(VALU_DEP_1)
	v_cmpx_ngt_f64_e32 v[32:33], v[34:35]
	s_xor_b32 s2, exec_lo, s2
	s_cbranch_execz .LBB48_427
; %bb.426:
	v_div_scale_f64 v[32:33], null, v[102:103], v[102:103], v[100:101]
	v_div_scale_f64 v[38:39], vcc_lo, v[100:101], v[102:103], v[100:101]
	s_delay_alu instid0(VALU_DEP_2) | instskip(SKIP_2) | instid1(VALU_DEP_1)
	v_rcp_f64_e32 v[34:35], v[32:33]
	s_waitcnt_depctr 0xfff
	v_fma_f64 v[36:37], -v[32:33], v[34:35], 1.0
	v_fma_f64 v[34:35], v[34:35], v[36:37], v[34:35]
	s_delay_alu instid0(VALU_DEP_1) | instskip(NEXT) | instid1(VALU_DEP_1)
	v_fma_f64 v[36:37], -v[32:33], v[34:35], 1.0
	v_fma_f64 v[34:35], v[34:35], v[36:37], v[34:35]
	s_delay_alu instid0(VALU_DEP_1) | instskip(NEXT) | instid1(VALU_DEP_1)
	v_mul_f64 v[36:37], v[38:39], v[34:35]
	v_fma_f64 v[32:33], -v[32:33], v[36:37], v[38:39]
	s_delay_alu instid0(VALU_DEP_1) | instskip(NEXT) | instid1(VALU_DEP_1)
	v_div_fmas_f64 v[32:33], v[32:33], v[34:35], v[36:37]
	v_div_fixup_f64 v[32:33], v[32:33], v[102:103], v[100:101]
	s_delay_alu instid0(VALU_DEP_1) | instskip(NEXT) | instid1(VALU_DEP_1)
	v_fma_f64 v[34:35], v[100:101], v[32:33], v[102:103]
	v_div_scale_f64 v[36:37], null, v[34:35], v[34:35], 1.0
	s_delay_alu instid0(VALU_DEP_1) | instskip(SKIP_2) | instid1(VALU_DEP_1)
	v_rcp_f64_e32 v[38:39], v[36:37]
	s_waitcnt_depctr 0xfff
	v_fma_f64 v[100:101], -v[36:37], v[38:39], 1.0
	v_fma_f64 v[38:39], v[38:39], v[100:101], v[38:39]
	s_delay_alu instid0(VALU_DEP_1) | instskip(NEXT) | instid1(VALU_DEP_1)
	v_fma_f64 v[100:101], -v[36:37], v[38:39], 1.0
	v_fma_f64 v[38:39], v[38:39], v[100:101], v[38:39]
	v_div_scale_f64 v[100:101], vcc_lo, 1.0, v[34:35], 1.0
	s_delay_alu instid0(VALU_DEP_1) | instskip(NEXT) | instid1(VALU_DEP_1)
	v_mul_f64 v[102:103], v[100:101], v[38:39]
	v_fma_f64 v[36:37], -v[36:37], v[102:103], v[100:101]
	s_delay_alu instid0(VALU_DEP_1) | instskip(NEXT) | instid1(VALU_DEP_1)
	v_div_fmas_f64 v[36:37], v[36:37], v[38:39], v[102:103]
	v_div_fixup_f64 v[102:103], v[36:37], v[34:35], 1.0
	s_delay_alu instid0(VALU_DEP_1)
	v_mul_f64 v[100:101], v[32:33], v[102:103]
	v_xor_b32_e32 v103, 0x80000000, v103
.LBB48_427:
	s_and_not1_saveexec_b32 s2, s2
	s_cbranch_execz .LBB48_429
; %bb.428:
	s_delay_alu instid0(VALU_DEP_1) | instskip(SKIP_1) | instid1(VALU_DEP_2)
	v_div_scale_f64 v[32:33], null, v[100:101], v[100:101], v[102:103]
	v_div_scale_f64 v[38:39], vcc_lo, v[102:103], v[100:101], v[102:103]
	v_rcp_f64_e32 v[34:35], v[32:33]
	s_waitcnt_depctr 0xfff
	v_fma_f64 v[36:37], -v[32:33], v[34:35], 1.0
	s_delay_alu instid0(VALU_DEP_1) | instskip(NEXT) | instid1(VALU_DEP_1)
	v_fma_f64 v[34:35], v[34:35], v[36:37], v[34:35]
	v_fma_f64 v[36:37], -v[32:33], v[34:35], 1.0
	s_delay_alu instid0(VALU_DEP_1) | instskip(NEXT) | instid1(VALU_DEP_1)
	v_fma_f64 v[34:35], v[34:35], v[36:37], v[34:35]
	v_mul_f64 v[36:37], v[38:39], v[34:35]
	s_delay_alu instid0(VALU_DEP_1) | instskip(NEXT) | instid1(VALU_DEP_1)
	v_fma_f64 v[32:33], -v[32:33], v[36:37], v[38:39]
	v_div_fmas_f64 v[32:33], v[32:33], v[34:35], v[36:37]
	s_delay_alu instid0(VALU_DEP_1) | instskip(NEXT) | instid1(VALU_DEP_1)
	v_div_fixup_f64 v[32:33], v[32:33], v[100:101], v[102:103]
	v_fma_f64 v[34:35], v[102:103], v[32:33], v[100:101]
	s_delay_alu instid0(VALU_DEP_1) | instskip(NEXT) | instid1(VALU_DEP_1)
	v_div_scale_f64 v[36:37], null, v[34:35], v[34:35], 1.0
	v_rcp_f64_e32 v[38:39], v[36:37]
	s_waitcnt_depctr 0xfff
	v_fma_f64 v[100:101], -v[36:37], v[38:39], 1.0
	s_delay_alu instid0(VALU_DEP_1) | instskip(NEXT) | instid1(VALU_DEP_1)
	v_fma_f64 v[38:39], v[38:39], v[100:101], v[38:39]
	v_fma_f64 v[100:101], -v[36:37], v[38:39], 1.0
	s_delay_alu instid0(VALU_DEP_1) | instskip(SKIP_1) | instid1(VALU_DEP_1)
	v_fma_f64 v[38:39], v[38:39], v[100:101], v[38:39]
	v_div_scale_f64 v[100:101], vcc_lo, 1.0, v[34:35], 1.0
	v_mul_f64 v[102:103], v[100:101], v[38:39]
	s_delay_alu instid0(VALU_DEP_1) | instskip(NEXT) | instid1(VALU_DEP_1)
	v_fma_f64 v[36:37], -v[36:37], v[102:103], v[100:101]
	v_div_fmas_f64 v[36:37], v[36:37], v[38:39], v[102:103]
	s_delay_alu instid0(VALU_DEP_1) | instskip(NEXT) | instid1(VALU_DEP_1)
	v_div_fixup_f64 v[100:101], v[36:37], v[34:35], 1.0
	v_mul_f64 v[102:103], v[32:33], -v[100:101]
.LBB48_429:
	s_or_b32 exec_lo, exec_lo, s2
.LBB48_430:
	s_delay_alu instid0(SALU_CYCLE_1) | instskip(NEXT) | instid1(SALU_CYCLE_1)
	s_or_b32 exec_lo, exec_lo, s3
	s_mov_b32 s2, exec_lo
	v_cmpx_ne_u32_e64 v111, v108
	s_xor_b32 s2, exec_lo, s2
	s_cbranch_execz .LBB48_436
; %bb.431:
	s_mov_b32 s3, exec_lo
	v_cmpx_eq_u32_e32 20, v111
	s_cbranch_execz .LBB48_435
; %bb.432:
	v_cmp_ne_u32_e32 vcc_lo, 20, v108
	s_xor_b32 s6, s4, -1
	s_delay_alu instid0(SALU_CYCLE_1) | instskip(NEXT) | instid1(SALU_CYCLE_1)
	s_and_b32 s7, s6, vcc_lo
	s_and_saveexec_b32 s6, s7
	s_cbranch_execz .LBB48_434
; %bb.433:
	v_ashrrev_i32_e32 v109, 31, v108
	s_delay_alu instid0(VALU_DEP_1) | instskip(NEXT) | instid1(VALU_DEP_1)
	v_lshlrev_b64 v[32:33], 2, v[108:109]
	v_add_co_u32 v32, vcc_lo, v78, v32
	s_delay_alu instid0(VALU_DEP_2)
	v_add_co_ci_u32_e32 v33, vcc_lo, v79, v33, vcc_lo
	s_clause 0x1
	flat_load_b32 v34, v[32:33]
	flat_load_b32 v35, v[78:79] offset:80
	s_waitcnt vmcnt(1) lgkmcnt(1)
	flat_store_b32 v[78:79], v34 offset:80
	s_waitcnt vmcnt(0) lgkmcnt(1)
	flat_store_b32 v[32:33], v35
.LBB48_434:
	s_or_b32 exec_lo, exec_lo, s6
	v_mov_b32_e32 v111, v108
	v_mov_b32_e32 v247, v108
.LBB48_435:
	s_or_b32 exec_lo, exec_lo, s3
.LBB48_436:
	s_and_not1_saveexec_b32 s2, s2
	s_cbranch_execz .LBB48_438
; %bb.437:
	v_mov_b32_e32 v111, 20
	ds_store_2addr_b64 v110, v[12:13], v[14:15] offset0:42 offset1:43
	ds_store_2addr_b64 v110, v[8:9], v[10:11] offset0:44 offset1:45
	;; [unrolled: 1-line block ×4, first 2 shown]
.LBB48_438:
	s_or_b32 exec_lo, exec_lo, s2
	s_delay_alu instid0(SALU_CYCLE_1)
	s_mov_b32 s2, exec_lo
	s_waitcnt lgkmcnt(0)
	s_waitcnt_vscnt null, 0x0
	s_barrier
	buffer_gl0_inv
	v_cmpx_lt_i32_e32 20, v111
	s_cbranch_execz .LBB48_440
; %bb.439:
	v_mul_f64 v[32:33], v[100:101], v[18:19]
	v_mul_f64 v[18:19], v[102:103], v[18:19]
	ds_load_2addr_b64 v[117:120], v110 offset0:42 offset1:43
	ds_load_2addr_b64 v[121:124], v110 offset0:44 offset1:45
	;; [unrolled: 1-line block ×4, first 2 shown]
	v_fma_f64 v[32:33], v[102:103], v[16:17], v[32:33]
	v_fma_f64 v[16:17], v[100:101], v[16:17], -v[18:19]
	s_waitcnt lgkmcnt(3)
	s_delay_alu instid0(VALU_DEP_2)
	v_mul_f64 v[18:19], v[119:120], v[32:33]
	v_mul_f64 v[34:35], v[117:118], v[32:33]
	s_waitcnt lgkmcnt(2)
	v_mul_f64 v[36:37], v[123:124], v[32:33]
	v_mul_f64 v[38:39], v[121:122], v[32:33]
	s_waitcnt lgkmcnt(1)
	v_mul_f64 v[100:101], v[127:128], v[32:33]
	v_mul_f64 v[102:103], v[125:126], v[32:33]
	s_waitcnt lgkmcnt(0)
	v_mul_f64 v[104:105], v[131:132], v[32:33]
	v_mul_f64 v[106:107], v[129:130], v[32:33]
	v_fma_f64 v[18:19], v[117:118], v[16:17], -v[18:19]
	v_fma_f64 v[34:35], v[119:120], v[16:17], v[34:35]
	v_fma_f64 v[36:37], v[121:122], v[16:17], -v[36:37]
	v_fma_f64 v[38:39], v[123:124], v[16:17], v[38:39]
	;; [unrolled: 2-line block ×4, first 2 shown]
	v_add_f64 v[12:13], v[12:13], -v[18:19]
	v_add_f64 v[14:15], v[14:15], -v[34:35]
	;; [unrolled: 1-line block ×8, first 2 shown]
	v_dual_mov_b32 v18, v32 :: v_dual_mov_b32 v19, v33
.LBB48_440:
	s_or_b32 exec_lo, exec_lo, s2
	v_lshl_add_u32 v32, v111, 4, v110
	s_barrier
	buffer_gl0_inv
	v_mov_b32_e32 v108, 21
	ds_store_2addr_b64 v32, v[12:13], v[14:15] offset1:1
	s_waitcnt lgkmcnt(0)
	s_barrier
	buffer_gl0_inv
	ds_load_2addr_b64 v[100:103], v110 offset0:42 offset1:43
	s_cmp_lt_i32 s5, 23
	s_cbranch_scc1 .LBB48_443
; %bb.441:
	v_add3_u32 v109, v255, 0, 0x160
	v_mov_b32_e32 v108, 21
	s_mov_b32 s6, 22
	s_set_inst_prefetch_distance 0x1
	.p2align	6
.LBB48_442:                             ; =>This Inner Loop Header: Depth=1
	ds_load_2addr_b64 v[117:120], v109 offset1:1
	s_waitcnt lgkmcnt(1)
	v_cmp_gt_f64_e32 vcc_lo, 0, v[100:101]
	v_xor_b32_e32 v32, 0x80000000, v101
	v_cmp_gt_f64_e64 s2, 0, v[102:103]
	v_xor_b32_e32 v34, 0x80000000, v103
	v_add_nc_u32_e32 v109, 16, v109
	s_waitcnt lgkmcnt(0)
	v_cmp_gt_f64_e64 s3, 0, v[117:118]
	v_mov_b32_e32 v36, v117
	v_dual_mov_b32 v38, v119 :: v_dual_cndmask_b32 v33, v101, v32
	v_xor_b32_e32 v32, 0x80000000, v118
	v_cndmask_b32_e64 v35, v103, v34, s2
	v_xor_b32_e32 v34, 0x80000000, v120
	s_delay_alu instid0(VALU_DEP_3) | instskip(SKIP_2) | instid1(VALU_DEP_2)
	v_cndmask_b32_e64 v37, v118, v32, s3
	v_cmp_gt_f64_e64 s3, 0, v[119:120]
	v_cndmask_b32_e32 v32, v100, v100, vcc_lo
	v_cndmask_b32_e64 v39, v120, v34, s3
	v_cndmask_b32_e64 v34, v102, v102, s2
	s_delay_alu instid0(VALU_DEP_2) | instskip(NEXT) | instid1(VALU_DEP_2)
	v_add_f64 v[36:37], v[36:37], v[38:39]
	v_add_f64 v[32:33], v[32:33], v[34:35]
	s_delay_alu instid0(VALU_DEP_1) | instskip(SKIP_4) | instid1(SALU_CYCLE_1)
	v_cmp_lt_f64_e32 vcc_lo, v[32:33], v[36:37]
	v_dual_cndmask_b32 v101, v101, v118 :: v_dual_cndmask_b32 v100, v100, v117
	v_dual_cndmask_b32 v103, v103, v120 :: v_dual_cndmask_b32 v102, v102, v119
	v_cndmask_b32_e64 v108, v108, s6, vcc_lo
	s_add_i32 s6, s6, 1
	s_cmp_lg_u32 s5, s6
	s_cbranch_scc1 .LBB48_442
.LBB48_443:
	s_set_inst_prefetch_distance 0x2
	s_waitcnt lgkmcnt(0)
	v_cmp_eq_f64_e32 vcc_lo, 0, v[100:101]
	v_cmp_eq_f64_e64 s2, 0, v[102:103]
	s_delay_alu instid0(VALU_DEP_1) | instskip(NEXT) | instid1(SALU_CYCLE_1)
	s_and_b32 s2, vcc_lo, s2
	s_and_saveexec_b32 s3, s2
	s_delay_alu instid0(SALU_CYCLE_1)
	s_xor_b32 s2, exec_lo, s3
	s_cbranch_execz .LBB48_445
; %bb.444:
	scratch_load_b32 v32, off, off          ; 4-byte Folded Reload
	s_waitcnt vmcnt(0)
	v_cmp_ne_u32_e32 vcc_lo, 0, v32
	v_cndmask_b32_e32 v32, 22, v32, vcc_lo
	scratch_store_b32 off, v32, off         ; 4-byte Folded Spill
.LBB48_445:
	s_and_not1_saveexec_b32 s3, s2
	s_cbranch_execz .LBB48_451
; %bb.446:
	v_cmp_gt_f64_e32 vcc_lo, 0, v[100:101]
	v_cmp_gt_f64_e64 s2, 0, v[102:103]
	v_xor_b32_e32 v32, 0x80000000, v101
	v_xor_b32_e32 v34, 0x80000000, v103
	s_delay_alu instid0(VALU_DEP_2) | instskip(NEXT) | instid1(VALU_DEP_2)
	v_cndmask_b32_e32 v33, v101, v32, vcc_lo
	v_cndmask_b32_e64 v35, v103, v34, s2
	v_cndmask_b32_e32 v32, v100, v100, vcc_lo
	v_cndmask_b32_e64 v34, v102, v102, s2
	s_mov_b32 s2, exec_lo
	s_delay_alu instid0(VALU_DEP_1)
	v_cmpx_ngt_f64_e32 v[32:33], v[34:35]
	s_xor_b32 s2, exec_lo, s2
	s_cbranch_execz .LBB48_448
; %bb.447:
	v_div_scale_f64 v[32:33], null, v[102:103], v[102:103], v[100:101]
	v_div_scale_f64 v[38:39], vcc_lo, v[100:101], v[102:103], v[100:101]
	s_delay_alu instid0(VALU_DEP_2) | instskip(SKIP_2) | instid1(VALU_DEP_1)
	v_rcp_f64_e32 v[34:35], v[32:33]
	s_waitcnt_depctr 0xfff
	v_fma_f64 v[36:37], -v[32:33], v[34:35], 1.0
	v_fma_f64 v[34:35], v[34:35], v[36:37], v[34:35]
	s_delay_alu instid0(VALU_DEP_1) | instskip(NEXT) | instid1(VALU_DEP_1)
	v_fma_f64 v[36:37], -v[32:33], v[34:35], 1.0
	v_fma_f64 v[34:35], v[34:35], v[36:37], v[34:35]
	s_delay_alu instid0(VALU_DEP_1) | instskip(NEXT) | instid1(VALU_DEP_1)
	v_mul_f64 v[36:37], v[38:39], v[34:35]
	v_fma_f64 v[32:33], -v[32:33], v[36:37], v[38:39]
	s_delay_alu instid0(VALU_DEP_1) | instskip(NEXT) | instid1(VALU_DEP_1)
	v_div_fmas_f64 v[32:33], v[32:33], v[34:35], v[36:37]
	v_div_fixup_f64 v[32:33], v[32:33], v[102:103], v[100:101]
	s_delay_alu instid0(VALU_DEP_1) | instskip(NEXT) | instid1(VALU_DEP_1)
	v_fma_f64 v[34:35], v[100:101], v[32:33], v[102:103]
	v_div_scale_f64 v[36:37], null, v[34:35], v[34:35], 1.0
	s_delay_alu instid0(VALU_DEP_1) | instskip(SKIP_2) | instid1(VALU_DEP_1)
	v_rcp_f64_e32 v[38:39], v[36:37]
	s_waitcnt_depctr 0xfff
	v_fma_f64 v[100:101], -v[36:37], v[38:39], 1.0
	v_fma_f64 v[38:39], v[38:39], v[100:101], v[38:39]
	s_delay_alu instid0(VALU_DEP_1) | instskip(NEXT) | instid1(VALU_DEP_1)
	v_fma_f64 v[100:101], -v[36:37], v[38:39], 1.0
	v_fma_f64 v[38:39], v[38:39], v[100:101], v[38:39]
	v_div_scale_f64 v[100:101], vcc_lo, 1.0, v[34:35], 1.0
	s_delay_alu instid0(VALU_DEP_1) | instskip(NEXT) | instid1(VALU_DEP_1)
	v_mul_f64 v[102:103], v[100:101], v[38:39]
	v_fma_f64 v[36:37], -v[36:37], v[102:103], v[100:101]
	s_delay_alu instid0(VALU_DEP_1) | instskip(NEXT) | instid1(VALU_DEP_1)
	v_div_fmas_f64 v[36:37], v[36:37], v[38:39], v[102:103]
	v_div_fixup_f64 v[102:103], v[36:37], v[34:35], 1.0
	s_delay_alu instid0(VALU_DEP_1)
	v_mul_f64 v[100:101], v[32:33], v[102:103]
	v_xor_b32_e32 v103, 0x80000000, v103
.LBB48_448:
	s_and_not1_saveexec_b32 s2, s2
	s_cbranch_execz .LBB48_450
; %bb.449:
	s_delay_alu instid0(VALU_DEP_1) | instskip(SKIP_1) | instid1(VALU_DEP_2)
	v_div_scale_f64 v[32:33], null, v[100:101], v[100:101], v[102:103]
	v_div_scale_f64 v[38:39], vcc_lo, v[102:103], v[100:101], v[102:103]
	v_rcp_f64_e32 v[34:35], v[32:33]
	s_waitcnt_depctr 0xfff
	v_fma_f64 v[36:37], -v[32:33], v[34:35], 1.0
	s_delay_alu instid0(VALU_DEP_1) | instskip(NEXT) | instid1(VALU_DEP_1)
	v_fma_f64 v[34:35], v[34:35], v[36:37], v[34:35]
	v_fma_f64 v[36:37], -v[32:33], v[34:35], 1.0
	s_delay_alu instid0(VALU_DEP_1) | instskip(NEXT) | instid1(VALU_DEP_1)
	v_fma_f64 v[34:35], v[34:35], v[36:37], v[34:35]
	v_mul_f64 v[36:37], v[38:39], v[34:35]
	s_delay_alu instid0(VALU_DEP_1) | instskip(NEXT) | instid1(VALU_DEP_1)
	v_fma_f64 v[32:33], -v[32:33], v[36:37], v[38:39]
	v_div_fmas_f64 v[32:33], v[32:33], v[34:35], v[36:37]
	s_delay_alu instid0(VALU_DEP_1) | instskip(NEXT) | instid1(VALU_DEP_1)
	v_div_fixup_f64 v[32:33], v[32:33], v[100:101], v[102:103]
	v_fma_f64 v[34:35], v[102:103], v[32:33], v[100:101]
	s_delay_alu instid0(VALU_DEP_1) | instskip(NEXT) | instid1(VALU_DEP_1)
	v_div_scale_f64 v[36:37], null, v[34:35], v[34:35], 1.0
	v_rcp_f64_e32 v[38:39], v[36:37]
	s_waitcnt_depctr 0xfff
	v_fma_f64 v[100:101], -v[36:37], v[38:39], 1.0
	s_delay_alu instid0(VALU_DEP_1) | instskip(NEXT) | instid1(VALU_DEP_1)
	v_fma_f64 v[38:39], v[38:39], v[100:101], v[38:39]
	v_fma_f64 v[100:101], -v[36:37], v[38:39], 1.0
	s_delay_alu instid0(VALU_DEP_1) | instskip(SKIP_1) | instid1(VALU_DEP_1)
	v_fma_f64 v[38:39], v[38:39], v[100:101], v[38:39]
	v_div_scale_f64 v[100:101], vcc_lo, 1.0, v[34:35], 1.0
	v_mul_f64 v[102:103], v[100:101], v[38:39]
	s_delay_alu instid0(VALU_DEP_1) | instskip(NEXT) | instid1(VALU_DEP_1)
	v_fma_f64 v[36:37], -v[36:37], v[102:103], v[100:101]
	v_div_fmas_f64 v[36:37], v[36:37], v[38:39], v[102:103]
	s_delay_alu instid0(VALU_DEP_1) | instskip(NEXT) | instid1(VALU_DEP_1)
	v_div_fixup_f64 v[100:101], v[36:37], v[34:35], 1.0
	v_mul_f64 v[102:103], v[32:33], -v[100:101]
.LBB48_450:
	s_or_b32 exec_lo, exec_lo, s2
.LBB48_451:
	s_delay_alu instid0(SALU_CYCLE_1) | instskip(NEXT) | instid1(SALU_CYCLE_1)
	s_or_b32 exec_lo, exec_lo, s3
	s_mov_b32 s2, exec_lo
	v_cmpx_ne_u32_e64 v111, v108
	s_xor_b32 s2, exec_lo, s2
	s_cbranch_execz .LBB48_457
; %bb.452:
	s_mov_b32 s3, exec_lo
	v_cmpx_eq_u32_e32 21, v111
	s_cbranch_execz .LBB48_456
; %bb.453:
	v_cmp_ne_u32_e32 vcc_lo, 21, v108
	s_xor_b32 s6, s4, -1
	s_delay_alu instid0(SALU_CYCLE_1) | instskip(NEXT) | instid1(SALU_CYCLE_1)
	s_and_b32 s7, s6, vcc_lo
	s_and_saveexec_b32 s6, s7
	s_cbranch_execz .LBB48_455
; %bb.454:
	v_ashrrev_i32_e32 v109, 31, v108
	s_delay_alu instid0(VALU_DEP_1) | instskip(NEXT) | instid1(VALU_DEP_1)
	v_lshlrev_b64 v[32:33], 2, v[108:109]
	v_add_co_u32 v32, vcc_lo, v78, v32
	s_delay_alu instid0(VALU_DEP_2)
	v_add_co_ci_u32_e32 v33, vcc_lo, v79, v33, vcc_lo
	s_clause 0x1
	flat_load_b32 v34, v[32:33]
	flat_load_b32 v35, v[78:79] offset:84
	s_waitcnt vmcnt(1) lgkmcnt(1)
	flat_store_b32 v[78:79], v34 offset:84
	s_waitcnt vmcnt(0) lgkmcnt(1)
	flat_store_b32 v[32:33], v35
.LBB48_455:
	s_or_b32 exec_lo, exec_lo, s6
	v_mov_b32_e32 v111, v108
	v_mov_b32_e32 v247, v108
.LBB48_456:
	s_or_b32 exec_lo, exec_lo, s3
.LBB48_457:
	s_and_not1_saveexec_b32 s2, s2
	s_cbranch_execz .LBB48_459
; %bb.458:
	v_mov_b32_e32 v111, 21
	ds_store_2addr_b64 v110, v[8:9], v[10:11] offset0:44 offset1:45
	ds_store_2addr_b64 v110, v[4:5], v[6:7] offset0:46 offset1:47
	;; [unrolled: 1-line block ×3, first 2 shown]
.LBB48_459:
	s_or_b32 exec_lo, exec_lo, s2
	s_delay_alu instid0(SALU_CYCLE_1)
	s_mov_b32 s2, exec_lo
	s_waitcnt lgkmcnt(0)
	s_waitcnt_vscnt null, 0x0
	s_barrier
	buffer_gl0_inv
	v_cmpx_lt_i32_e32 21, v111
	s_cbranch_execz .LBB48_461
; %bb.460:
	v_mul_f64 v[32:33], v[100:101], v[14:15]
	v_mul_f64 v[14:15], v[102:103], v[14:15]
	ds_load_2addr_b64 v[117:120], v110 offset0:44 offset1:45
	ds_load_2addr_b64 v[121:124], v110 offset0:46 offset1:47
	;; [unrolled: 1-line block ×3, first 2 shown]
	v_fma_f64 v[32:33], v[102:103], v[12:13], v[32:33]
	v_fma_f64 v[12:13], v[100:101], v[12:13], -v[14:15]
	s_waitcnt lgkmcnt(2)
	s_delay_alu instid0(VALU_DEP_2)
	v_mul_f64 v[14:15], v[119:120], v[32:33]
	v_mul_f64 v[34:35], v[117:118], v[32:33]
	s_waitcnt lgkmcnt(1)
	v_mul_f64 v[36:37], v[123:124], v[32:33]
	v_mul_f64 v[38:39], v[121:122], v[32:33]
	s_waitcnt lgkmcnt(0)
	v_mul_f64 v[100:101], v[127:128], v[32:33]
	v_mul_f64 v[102:103], v[125:126], v[32:33]
	v_fma_f64 v[14:15], v[117:118], v[12:13], -v[14:15]
	v_fma_f64 v[34:35], v[119:120], v[12:13], v[34:35]
	v_fma_f64 v[36:37], v[121:122], v[12:13], -v[36:37]
	v_fma_f64 v[38:39], v[123:124], v[12:13], v[38:39]
	;; [unrolled: 2-line block ×3, first 2 shown]
	v_add_f64 v[8:9], v[8:9], -v[14:15]
	v_add_f64 v[10:11], v[10:11], -v[34:35]
	;; [unrolled: 1-line block ×6, first 2 shown]
	v_dual_mov_b32 v14, v32 :: v_dual_mov_b32 v15, v33
.LBB48_461:
	s_or_b32 exec_lo, exec_lo, s2
	v_lshl_add_u32 v32, v111, 4, v110
	s_barrier
	buffer_gl0_inv
	v_mov_b32_e32 v108, 22
	ds_store_2addr_b64 v32, v[8:9], v[10:11] offset1:1
	s_waitcnt lgkmcnt(0)
	s_barrier
	buffer_gl0_inv
	ds_load_2addr_b64 v[100:103], v110 offset0:44 offset1:45
	s_cmp_lt_i32 s5, 24
	s_cbranch_scc1 .LBB48_464
; %bb.462:
	v_add3_u32 v109, v255, 0, 0x170
	v_mov_b32_e32 v108, 22
	s_mov_b32 s6, 23
	s_set_inst_prefetch_distance 0x1
	.p2align	6
.LBB48_463:                             ; =>This Inner Loop Header: Depth=1
	ds_load_2addr_b64 v[117:120], v109 offset1:1
	s_waitcnt lgkmcnt(1)
	v_cmp_gt_f64_e32 vcc_lo, 0, v[100:101]
	v_xor_b32_e32 v32, 0x80000000, v101
	v_cmp_gt_f64_e64 s2, 0, v[102:103]
	v_xor_b32_e32 v34, 0x80000000, v103
	v_add_nc_u32_e32 v109, 16, v109
	s_waitcnt lgkmcnt(0)
	v_cmp_gt_f64_e64 s3, 0, v[117:118]
	v_mov_b32_e32 v36, v117
	v_dual_mov_b32 v38, v119 :: v_dual_cndmask_b32 v33, v101, v32
	v_xor_b32_e32 v32, 0x80000000, v118
	v_cndmask_b32_e64 v35, v103, v34, s2
	v_xor_b32_e32 v34, 0x80000000, v120
	s_delay_alu instid0(VALU_DEP_3) | instskip(SKIP_2) | instid1(VALU_DEP_2)
	v_cndmask_b32_e64 v37, v118, v32, s3
	v_cmp_gt_f64_e64 s3, 0, v[119:120]
	v_cndmask_b32_e32 v32, v100, v100, vcc_lo
	v_cndmask_b32_e64 v39, v120, v34, s3
	v_cndmask_b32_e64 v34, v102, v102, s2
	s_delay_alu instid0(VALU_DEP_2) | instskip(NEXT) | instid1(VALU_DEP_2)
	v_add_f64 v[36:37], v[36:37], v[38:39]
	v_add_f64 v[32:33], v[32:33], v[34:35]
	s_delay_alu instid0(VALU_DEP_1) | instskip(SKIP_4) | instid1(SALU_CYCLE_1)
	v_cmp_lt_f64_e32 vcc_lo, v[32:33], v[36:37]
	v_dual_cndmask_b32 v101, v101, v118 :: v_dual_cndmask_b32 v100, v100, v117
	v_dual_cndmask_b32 v103, v103, v120 :: v_dual_cndmask_b32 v102, v102, v119
	v_cndmask_b32_e64 v108, v108, s6, vcc_lo
	s_add_i32 s6, s6, 1
	s_cmp_lg_u32 s5, s6
	s_cbranch_scc1 .LBB48_463
.LBB48_464:
	s_set_inst_prefetch_distance 0x2
	s_waitcnt lgkmcnt(0)
	v_cmp_eq_f64_e32 vcc_lo, 0, v[100:101]
	v_cmp_eq_f64_e64 s2, 0, v[102:103]
	s_delay_alu instid0(VALU_DEP_1) | instskip(NEXT) | instid1(SALU_CYCLE_1)
	s_and_b32 s2, vcc_lo, s2
	s_and_saveexec_b32 s3, s2
	s_delay_alu instid0(SALU_CYCLE_1)
	s_xor_b32 s2, exec_lo, s3
	s_cbranch_execz .LBB48_466
; %bb.465:
	scratch_load_b32 v32, off, off          ; 4-byte Folded Reload
	s_waitcnt vmcnt(0)
	v_cmp_ne_u32_e32 vcc_lo, 0, v32
	v_cndmask_b32_e32 v32, 23, v32, vcc_lo
	scratch_store_b32 off, v32, off         ; 4-byte Folded Spill
.LBB48_466:
	s_and_not1_saveexec_b32 s3, s2
	s_cbranch_execz .LBB48_472
; %bb.467:
	v_cmp_gt_f64_e32 vcc_lo, 0, v[100:101]
	v_cmp_gt_f64_e64 s2, 0, v[102:103]
	v_xor_b32_e32 v32, 0x80000000, v101
	v_xor_b32_e32 v34, 0x80000000, v103
	s_delay_alu instid0(VALU_DEP_2) | instskip(NEXT) | instid1(VALU_DEP_2)
	v_cndmask_b32_e32 v33, v101, v32, vcc_lo
	v_cndmask_b32_e64 v35, v103, v34, s2
	v_cndmask_b32_e32 v32, v100, v100, vcc_lo
	v_cndmask_b32_e64 v34, v102, v102, s2
	s_mov_b32 s2, exec_lo
	s_delay_alu instid0(VALU_DEP_1)
	v_cmpx_ngt_f64_e32 v[32:33], v[34:35]
	s_xor_b32 s2, exec_lo, s2
	s_cbranch_execz .LBB48_469
; %bb.468:
	v_div_scale_f64 v[32:33], null, v[102:103], v[102:103], v[100:101]
	v_div_scale_f64 v[38:39], vcc_lo, v[100:101], v[102:103], v[100:101]
	s_delay_alu instid0(VALU_DEP_2) | instskip(SKIP_2) | instid1(VALU_DEP_1)
	v_rcp_f64_e32 v[34:35], v[32:33]
	s_waitcnt_depctr 0xfff
	v_fma_f64 v[36:37], -v[32:33], v[34:35], 1.0
	v_fma_f64 v[34:35], v[34:35], v[36:37], v[34:35]
	s_delay_alu instid0(VALU_DEP_1) | instskip(NEXT) | instid1(VALU_DEP_1)
	v_fma_f64 v[36:37], -v[32:33], v[34:35], 1.0
	v_fma_f64 v[34:35], v[34:35], v[36:37], v[34:35]
	s_delay_alu instid0(VALU_DEP_1) | instskip(NEXT) | instid1(VALU_DEP_1)
	v_mul_f64 v[36:37], v[38:39], v[34:35]
	v_fma_f64 v[32:33], -v[32:33], v[36:37], v[38:39]
	s_delay_alu instid0(VALU_DEP_1) | instskip(NEXT) | instid1(VALU_DEP_1)
	v_div_fmas_f64 v[32:33], v[32:33], v[34:35], v[36:37]
	v_div_fixup_f64 v[32:33], v[32:33], v[102:103], v[100:101]
	s_delay_alu instid0(VALU_DEP_1) | instskip(NEXT) | instid1(VALU_DEP_1)
	v_fma_f64 v[34:35], v[100:101], v[32:33], v[102:103]
	v_div_scale_f64 v[36:37], null, v[34:35], v[34:35], 1.0
	s_delay_alu instid0(VALU_DEP_1) | instskip(SKIP_2) | instid1(VALU_DEP_1)
	v_rcp_f64_e32 v[38:39], v[36:37]
	s_waitcnt_depctr 0xfff
	v_fma_f64 v[100:101], -v[36:37], v[38:39], 1.0
	v_fma_f64 v[38:39], v[38:39], v[100:101], v[38:39]
	s_delay_alu instid0(VALU_DEP_1) | instskip(NEXT) | instid1(VALU_DEP_1)
	v_fma_f64 v[100:101], -v[36:37], v[38:39], 1.0
	v_fma_f64 v[38:39], v[38:39], v[100:101], v[38:39]
	v_div_scale_f64 v[100:101], vcc_lo, 1.0, v[34:35], 1.0
	s_delay_alu instid0(VALU_DEP_1) | instskip(NEXT) | instid1(VALU_DEP_1)
	v_mul_f64 v[102:103], v[100:101], v[38:39]
	v_fma_f64 v[36:37], -v[36:37], v[102:103], v[100:101]
	s_delay_alu instid0(VALU_DEP_1) | instskip(NEXT) | instid1(VALU_DEP_1)
	v_div_fmas_f64 v[36:37], v[36:37], v[38:39], v[102:103]
	v_div_fixup_f64 v[102:103], v[36:37], v[34:35], 1.0
	s_delay_alu instid0(VALU_DEP_1)
	v_mul_f64 v[100:101], v[32:33], v[102:103]
	v_xor_b32_e32 v103, 0x80000000, v103
.LBB48_469:
	s_and_not1_saveexec_b32 s2, s2
	s_cbranch_execz .LBB48_471
; %bb.470:
	s_delay_alu instid0(VALU_DEP_1) | instskip(SKIP_1) | instid1(VALU_DEP_2)
	v_div_scale_f64 v[32:33], null, v[100:101], v[100:101], v[102:103]
	v_div_scale_f64 v[38:39], vcc_lo, v[102:103], v[100:101], v[102:103]
	v_rcp_f64_e32 v[34:35], v[32:33]
	s_waitcnt_depctr 0xfff
	v_fma_f64 v[36:37], -v[32:33], v[34:35], 1.0
	s_delay_alu instid0(VALU_DEP_1) | instskip(NEXT) | instid1(VALU_DEP_1)
	v_fma_f64 v[34:35], v[34:35], v[36:37], v[34:35]
	v_fma_f64 v[36:37], -v[32:33], v[34:35], 1.0
	s_delay_alu instid0(VALU_DEP_1) | instskip(NEXT) | instid1(VALU_DEP_1)
	v_fma_f64 v[34:35], v[34:35], v[36:37], v[34:35]
	v_mul_f64 v[36:37], v[38:39], v[34:35]
	s_delay_alu instid0(VALU_DEP_1) | instskip(NEXT) | instid1(VALU_DEP_1)
	v_fma_f64 v[32:33], -v[32:33], v[36:37], v[38:39]
	v_div_fmas_f64 v[32:33], v[32:33], v[34:35], v[36:37]
	s_delay_alu instid0(VALU_DEP_1) | instskip(NEXT) | instid1(VALU_DEP_1)
	v_div_fixup_f64 v[32:33], v[32:33], v[100:101], v[102:103]
	v_fma_f64 v[34:35], v[102:103], v[32:33], v[100:101]
	s_delay_alu instid0(VALU_DEP_1) | instskip(NEXT) | instid1(VALU_DEP_1)
	v_div_scale_f64 v[36:37], null, v[34:35], v[34:35], 1.0
	v_rcp_f64_e32 v[38:39], v[36:37]
	s_waitcnt_depctr 0xfff
	v_fma_f64 v[100:101], -v[36:37], v[38:39], 1.0
	s_delay_alu instid0(VALU_DEP_1) | instskip(NEXT) | instid1(VALU_DEP_1)
	v_fma_f64 v[38:39], v[38:39], v[100:101], v[38:39]
	v_fma_f64 v[100:101], -v[36:37], v[38:39], 1.0
	s_delay_alu instid0(VALU_DEP_1) | instskip(SKIP_1) | instid1(VALU_DEP_1)
	v_fma_f64 v[38:39], v[38:39], v[100:101], v[38:39]
	v_div_scale_f64 v[100:101], vcc_lo, 1.0, v[34:35], 1.0
	v_mul_f64 v[102:103], v[100:101], v[38:39]
	s_delay_alu instid0(VALU_DEP_1) | instskip(NEXT) | instid1(VALU_DEP_1)
	v_fma_f64 v[36:37], -v[36:37], v[102:103], v[100:101]
	v_div_fmas_f64 v[36:37], v[36:37], v[38:39], v[102:103]
	s_delay_alu instid0(VALU_DEP_1) | instskip(NEXT) | instid1(VALU_DEP_1)
	v_div_fixup_f64 v[100:101], v[36:37], v[34:35], 1.0
	v_mul_f64 v[102:103], v[32:33], -v[100:101]
.LBB48_471:
	s_or_b32 exec_lo, exec_lo, s2
.LBB48_472:
	s_delay_alu instid0(SALU_CYCLE_1) | instskip(NEXT) | instid1(SALU_CYCLE_1)
	s_or_b32 exec_lo, exec_lo, s3
	s_mov_b32 s2, exec_lo
	v_cmpx_ne_u32_e64 v111, v108
	s_xor_b32 s2, exec_lo, s2
	s_cbranch_execz .LBB48_478
; %bb.473:
	s_mov_b32 s3, exec_lo
	v_cmpx_eq_u32_e32 22, v111
	s_cbranch_execz .LBB48_477
; %bb.474:
	v_cmp_ne_u32_e32 vcc_lo, 22, v108
	s_xor_b32 s6, s4, -1
	s_delay_alu instid0(SALU_CYCLE_1) | instskip(NEXT) | instid1(SALU_CYCLE_1)
	s_and_b32 s7, s6, vcc_lo
	s_and_saveexec_b32 s6, s7
	s_cbranch_execz .LBB48_476
; %bb.475:
	v_ashrrev_i32_e32 v109, 31, v108
	s_delay_alu instid0(VALU_DEP_1) | instskip(NEXT) | instid1(VALU_DEP_1)
	v_lshlrev_b64 v[32:33], 2, v[108:109]
	v_add_co_u32 v32, vcc_lo, v78, v32
	s_delay_alu instid0(VALU_DEP_2)
	v_add_co_ci_u32_e32 v33, vcc_lo, v79, v33, vcc_lo
	s_clause 0x1
	flat_load_b32 v34, v[32:33]
	flat_load_b32 v35, v[78:79] offset:88
	s_waitcnt vmcnt(1) lgkmcnt(1)
	flat_store_b32 v[78:79], v34 offset:88
	s_waitcnt vmcnt(0) lgkmcnt(1)
	flat_store_b32 v[32:33], v35
.LBB48_476:
	s_or_b32 exec_lo, exec_lo, s6
	v_mov_b32_e32 v111, v108
	v_mov_b32_e32 v247, v108
.LBB48_477:
	s_or_b32 exec_lo, exec_lo, s3
.LBB48_478:
	s_and_not1_saveexec_b32 s2, s2
	s_cbranch_execz .LBB48_480
; %bb.479:
	v_mov_b32_e32 v111, 22
	ds_store_2addr_b64 v110, v[4:5], v[6:7] offset0:46 offset1:47
	ds_store_2addr_b64 v110, v[0:1], v[2:3] offset0:48 offset1:49
.LBB48_480:
	s_or_b32 exec_lo, exec_lo, s2
	s_delay_alu instid0(SALU_CYCLE_1)
	s_mov_b32 s2, exec_lo
	s_waitcnt lgkmcnt(0)
	s_waitcnt_vscnt null, 0x0
	s_barrier
	buffer_gl0_inv
	v_cmpx_lt_i32_e32 22, v111
	s_cbranch_execz .LBB48_482
; %bb.481:
	v_mul_f64 v[32:33], v[100:101], v[10:11]
	v_mul_f64 v[10:11], v[102:103], v[10:11]
	ds_load_2addr_b64 v[117:120], v110 offset0:46 offset1:47
	ds_load_2addr_b64 v[121:124], v110 offset0:48 offset1:49
	v_fma_f64 v[32:33], v[102:103], v[8:9], v[32:33]
	v_fma_f64 v[8:9], v[100:101], v[8:9], -v[10:11]
	s_waitcnt lgkmcnt(1)
	s_delay_alu instid0(VALU_DEP_2) | instskip(SKIP_4) | instid1(VALU_DEP_4)
	v_mul_f64 v[10:11], v[119:120], v[32:33]
	v_mul_f64 v[34:35], v[117:118], v[32:33]
	s_waitcnt lgkmcnt(0)
	v_mul_f64 v[36:37], v[123:124], v[32:33]
	v_mul_f64 v[38:39], v[121:122], v[32:33]
	v_fma_f64 v[10:11], v[117:118], v[8:9], -v[10:11]
	s_delay_alu instid0(VALU_DEP_4) | instskip(NEXT) | instid1(VALU_DEP_4)
	v_fma_f64 v[34:35], v[119:120], v[8:9], v[34:35]
	v_fma_f64 v[36:37], v[121:122], v[8:9], -v[36:37]
	s_delay_alu instid0(VALU_DEP_4) | instskip(NEXT) | instid1(VALU_DEP_4)
	v_fma_f64 v[38:39], v[123:124], v[8:9], v[38:39]
	v_add_f64 v[4:5], v[4:5], -v[10:11]
	s_delay_alu instid0(VALU_DEP_4) | instskip(NEXT) | instid1(VALU_DEP_4)
	v_add_f64 v[6:7], v[6:7], -v[34:35]
	v_add_f64 v[0:1], v[0:1], -v[36:37]
	s_delay_alu instid0(VALU_DEP_4)
	v_add_f64 v[2:3], v[2:3], -v[38:39]
	v_dual_mov_b32 v10, v32 :: v_dual_mov_b32 v11, v33
.LBB48_482:
	s_or_b32 exec_lo, exec_lo, s2
	v_lshl_add_u32 v32, v111, 4, v110
	s_barrier
	buffer_gl0_inv
	v_mov_b32_e32 v108, 23
	ds_store_2addr_b64 v32, v[4:5], v[6:7] offset1:1
	s_waitcnt lgkmcnt(0)
	s_barrier
	buffer_gl0_inv
	ds_load_2addr_b64 v[100:103], v110 offset0:46 offset1:47
	s_cmp_lt_i32 s5, 25
	s_cbranch_scc1 .LBB48_485
; %bb.483:
	v_add3_u32 v109, v255, 0, 0x180
	v_mov_b32_e32 v108, 23
	s_mov_b32 s6, 24
	s_set_inst_prefetch_distance 0x1
	.p2align	6
.LBB48_484:                             ; =>This Inner Loop Header: Depth=1
	ds_load_2addr_b64 v[117:120], v109 offset1:1
	s_waitcnt lgkmcnt(1)
	v_cmp_gt_f64_e32 vcc_lo, 0, v[100:101]
	v_xor_b32_e32 v32, 0x80000000, v101
	v_cmp_gt_f64_e64 s2, 0, v[102:103]
	v_xor_b32_e32 v34, 0x80000000, v103
	v_add_nc_u32_e32 v109, 16, v109
	s_waitcnt lgkmcnt(0)
	v_cmp_gt_f64_e64 s3, 0, v[117:118]
	v_mov_b32_e32 v36, v117
	v_dual_mov_b32 v38, v119 :: v_dual_cndmask_b32 v33, v101, v32
	v_xor_b32_e32 v32, 0x80000000, v118
	v_cndmask_b32_e64 v35, v103, v34, s2
	v_xor_b32_e32 v34, 0x80000000, v120
	s_delay_alu instid0(VALU_DEP_3) | instskip(SKIP_2) | instid1(VALU_DEP_2)
	v_cndmask_b32_e64 v37, v118, v32, s3
	v_cmp_gt_f64_e64 s3, 0, v[119:120]
	v_cndmask_b32_e32 v32, v100, v100, vcc_lo
	v_cndmask_b32_e64 v39, v120, v34, s3
	v_cndmask_b32_e64 v34, v102, v102, s2
	s_delay_alu instid0(VALU_DEP_2) | instskip(NEXT) | instid1(VALU_DEP_2)
	v_add_f64 v[36:37], v[36:37], v[38:39]
	v_add_f64 v[32:33], v[32:33], v[34:35]
	s_delay_alu instid0(VALU_DEP_1) | instskip(SKIP_4) | instid1(SALU_CYCLE_1)
	v_cmp_lt_f64_e32 vcc_lo, v[32:33], v[36:37]
	v_dual_cndmask_b32 v101, v101, v118 :: v_dual_cndmask_b32 v100, v100, v117
	v_dual_cndmask_b32 v103, v103, v120 :: v_dual_cndmask_b32 v102, v102, v119
	v_cndmask_b32_e64 v108, v108, s6, vcc_lo
	s_add_i32 s6, s6, 1
	s_cmp_lg_u32 s5, s6
	s_cbranch_scc1 .LBB48_484
.LBB48_485:
	s_set_inst_prefetch_distance 0x2
	s_waitcnt lgkmcnt(0)
	v_cmp_eq_f64_e32 vcc_lo, 0, v[100:101]
	v_cmp_eq_f64_e64 s2, 0, v[102:103]
	s_delay_alu instid0(VALU_DEP_1) | instskip(NEXT) | instid1(SALU_CYCLE_1)
	s_and_b32 s2, vcc_lo, s2
	s_and_saveexec_b32 s3, s2
	s_delay_alu instid0(SALU_CYCLE_1)
	s_xor_b32 s2, exec_lo, s3
	s_cbranch_execz .LBB48_487
; %bb.486:
	scratch_load_b32 v32, off, off          ; 4-byte Folded Reload
	s_waitcnt vmcnt(0)
	v_cmp_ne_u32_e32 vcc_lo, 0, v32
	v_cndmask_b32_e32 v32, 24, v32, vcc_lo
	scratch_store_b32 off, v32, off         ; 4-byte Folded Spill
.LBB48_487:
	s_and_not1_saveexec_b32 s3, s2
	s_cbranch_execz .LBB48_493
; %bb.488:
	v_cmp_gt_f64_e32 vcc_lo, 0, v[100:101]
	v_cmp_gt_f64_e64 s2, 0, v[102:103]
	v_xor_b32_e32 v32, 0x80000000, v101
	v_xor_b32_e32 v34, 0x80000000, v103
	s_delay_alu instid0(VALU_DEP_2) | instskip(NEXT) | instid1(VALU_DEP_2)
	v_cndmask_b32_e32 v33, v101, v32, vcc_lo
	v_cndmask_b32_e64 v35, v103, v34, s2
	v_cndmask_b32_e32 v32, v100, v100, vcc_lo
	v_cndmask_b32_e64 v34, v102, v102, s2
	s_mov_b32 s2, exec_lo
	s_delay_alu instid0(VALU_DEP_1)
	v_cmpx_ngt_f64_e32 v[32:33], v[34:35]
	s_xor_b32 s2, exec_lo, s2
	s_cbranch_execz .LBB48_490
; %bb.489:
	v_div_scale_f64 v[32:33], null, v[102:103], v[102:103], v[100:101]
	v_div_scale_f64 v[38:39], vcc_lo, v[100:101], v[102:103], v[100:101]
	s_delay_alu instid0(VALU_DEP_2) | instskip(SKIP_2) | instid1(VALU_DEP_1)
	v_rcp_f64_e32 v[34:35], v[32:33]
	s_waitcnt_depctr 0xfff
	v_fma_f64 v[36:37], -v[32:33], v[34:35], 1.0
	v_fma_f64 v[34:35], v[34:35], v[36:37], v[34:35]
	s_delay_alu instid0(VALU_DEP_1) | instskip(NEXT) | instid1(VALU_DEP_1)
	v_fma_f64 v[36:37], -v[32:33], v[34:35], 1.0
	v_fma_f64 v[34:35], v[34:35], v[36:37], v[34:35]
	s_delay_alu instid0(VALU_DEP_1) | instskip(NEXT) | instid1(VALU_DEP_1)
	v_mul_f64 v[36:37], v[38:39], v[34:35]
	v_fma_f64 v[32:33], -v[32:33], v[36:37], v[38:39]
	s_delay_alu instid0(VALU_DEP_1) | instskip(NEXT) | instid1(VALU_DEP_1)
	v_div_fmas_f64 v[32:33], v[32:33], v[34:35], v[36:37]
	v_div_fixup_f64 v[32:33], v[32:33], v[102:103], v[100:101]
	s_delay_alu instid0(VALU_DEP_1) | instskip(NEXT) | instid1(VALU_DEP_1)
	v_fma_f64 v[34:35], v[100:101], v[32:33], v[102:103]
	v_div_scale_f64 v[36:37], null, v[34:35], v[34:35], 1.0
	s_delay_alu instid0(VALU_DEP_1) | instskip(SKIP_2) | instid1(VALU_DEP_1)
	v_rcp_f64_e32 v[38:39], v[36:37]
	s_waitcnt_depctr 0xfff
	v_fma_f64 v[100:101], -v[36:37], v[38:39], 1.0
	v_fma_f64 v[38:39], v[38:39], v[100:101], v[38:39]
	s_delay_alu instid0(VALU_DEP_1) | instskip(NEXT) | instid1(VALU_DEP_1)
	v_fma_f64 v[100:101], -v[36:37], v[38:39], 1.0
	v_fma_f64 v[38:39], v[38:39], v[100:101], v[38:39]
	v_div_scale_f64 v[100:101], vcc_lo, 1.0, v[34:35], 1.0
	s_delay_alu instid0(VALU_DEP_1) | instskip(NEXT) | instid1(VALU_DEP_1)
	v_mul_f64 v[102:103], v[100:101], v[38:39]
	v_fma_f64 v[36:37], -v[36:37], v[102:103], v[100:101]
	s_delay_alu instid0(VALU_DEP_1) | instskip(NEXT) | instid1(VALU_DEP_1)
	v_div_fmas_f64 v[36:37], v[36:37], v[38:39], v[102:103]
	v_div_fixup_f64 v[102:103], v[36:37], v[34:35], 1.0
	s_delay_alu instid0(VALU_DEP_1)
	v_mul_f64 v[100:101], v[32:33], v[102:103]
	v_xor_b32_e32 v103, 0x80000000, v103
.LBB48_490:
	s_and_not1_saveexec_b32 s2, s2
	s_cbranch_execz .LBB48_492
; %bb.491:
	s_delay_alu instid0(VALU_DEP_1) | instskip(SKIP_1) | instid1(VALU_DEP_2)
	v_div_scale_f64 v[32:33], null, v[100:101], v[100:101], v[102:103]
	v_div_scale_f64 v[38:39], vcc_lo, v[102:103], v[100:101], v[102:103]
	v_rcp_f64_e32 v[34:35], v[32:33]
	s_waitcnt_depctr 0xfff
	v_fma_f64 v[36:37], -v[32:33], v[34:35], 1.0
	s_delay_alu instid0(VALU_DEP_1) | instskip(NEXT) | instid1(VALU_DEP_1)
	v_fma_f64 v[34:35], v[34:35], v[36:37], v[34:35]
	v_fma_f64 v[36:37], -v[32:33], v[34:35], 1.0
	s_delay_alu instid0(VALU_DEP_1) | instskip(NEXT) | instid1(VALU_DEP_1)
	v_fma_f64 v[34:35], v[34:35], v[36:37], v[34:35]
	v_mul_f64 v[36:37], v[38:39], v[34:35]
	s_delay_alu instid0(VALU_DEP_1) | instskip(NEXT) | instid1(VALU_DEP_1)
	v_fma_f64 v[32:33], -v[32:33], v[36:37], v[38:39]
	v_div_fmas_f64 v[32:33], v[32:33], v[34:35], v[36:37]
	s_delay_alu instid0(VALU_DEP_1) | instskip(NEXT) | instid1(VALU_DEP_1)
	v_div_fixup_f64 v[32:33], v[32:33], v[100:101], v[102:103]
	v_fma_f64 v[34:35], v[102:103], v[32:33], v[100:101]
	s_delay_alu instid0(VALU_DEP_1) | instskip(NEXT) | instid1(VALU_DEP_1)
	v_div_scale_f64 v[36:37], null, v[34:35], v[34:35], 1.0
	v_rcp_f64_e32 v[38:39], v[36:37]
	s_waitcnt_depctr 0xfff
	v_fma_f64 v[100:101], -v[36:37], v[38:39], 1.0
	s_delay_alu instid0(VALU_DEP_1) | instskip(NEXT) | instid1(VALU_DEP_1)
	v_fma_f64 v[38:39], v[38:39], v[100:101], v[38:39]
	v_fma_f64 v[100:101], -v[36:37], v[38:39], 1.0
	s_delay_alu instid0(VALU_DEP_1) | instskip(SKIP_1) | instid1(VALU_DEP_1)
	v_fma_f64 v[38:39], v[38:39], v[100:101], v[38:39]
	v_div_scale_f64 v[100:101], vcc_lo, 1.0, v[34:35], 1.0
	v_mul_f64 v[102:103], v[100:101], v[38:39]
	s_delay_alu instid0(VALU_DEP_1) | instskip(NEXT) | instid1(VALU_DEP_1)
	v_fma_f64 v[36:37], -v[36:37], v[102:103], v[100:101]
	v_div_fmas_f64 v[36:37], v[36:37], v[38:39], v[102:103]
	s_delay_alu instid0(VALU_DEP_1) | instskip(NEXT) | instid1(VALU_DEP_1)
	v_div_fixup_f64 v[100:101], v[36:37], v[34:35], 1.0
	v_mul_f64 v[102:103], v[32:33], -v[100:101]
.LBB48_492:
	s_or_b32 exec_lo, exec_lo, s2
.LBB48_493:
	s_delay_alu instid0(SALU_CYCLE_1) | instskip(NEXT) | instid1(SALU_CYCLE_1)
	s_or_b32 exec_lo, exec_lo, s3
	s_mov_b32 s2, exec_lo
	v_cmpx_ne_u32_e64 v111, v108
	s_xor_b32 s2, exec_lo, s2
	s_cbranch_execz .LBB48_499
; %bb.494:
	s_mov_b32 s3, exec_lo
	v_cmpx_eq_u32_e32 23, v111
	s_cbranch_execz .LBB48_498
; %bb.495:
	v_cmp_ne_u32_e32 vcc_lo, 23, v108
	s_xor_b32 s6, s4, -1
	s_delay_alu instid0(SALU_CYCLE_1) | instskip(NEXT) | instid1(SALU_CYCLE_1)
	s_and_b32 s7, s6, vcc_lo
	s_and_saveexec_b32 s6, s7
	s_cbranch_execz .LBB48_497
; %bb.496:
	v_ashrrev_i32_e32 v109, 31, v108
	s_delay_alu instid0(VALU_DEP_1) | instskip(NEXT) | instid1(VALU_DEP_1)
	v_lshlrev_b64 v[32:33], 2, v[108:109]
	v_add_co_u32 v32, vcc_lo, v78, v32
	s_delay_alu instid0(VALU_DEP_2)
	v_add_co_ci_u32_e32 v33, vcc_lo, v79, v33, vcc_lo
	s_clause 0x1
	flat_load_b32 v34, v[32:33]
	flat_load_b32 v35, v[78:79] offset:92
	s_waitcnt vmcnt(1) lgkmcnt(1)
	flat_store_b32 v[78:79], v34 offset:92
	s_waitcnt vmcnt(0) lgkmcnt(1)
	flat_store_b32 v[32:33], v35
.LBB48_497:
	s_or_b32 exec_lo, exec_lo, s6
	v_mov_b32_e32 v111, v108
	v_mov_b32_e32 v247, v108
.LBB48_498:
	s_or_b32 exec_lo, exec_lo, s3
.LBB48_499:
	s_and_not1_saveexec_b32 s2, s2
	s_cbranch_execz .LBB48_501
; %bb.500:
	v_mov_b32_e32 v111, 23
	ds_store_2addr_b64 v110, v[0:1], v[2:3] offset0:48 offset1:49
.LBB48_501:
	s_or_b32 exec_lo, exec_lo, s2
	s_delay_alu instid0(SALU_CYCLE_1)
	s_mov_b32 s2, exec_lo
	s_waitcnt lgkmcnt(0)
	s_waitcnt_vscnt null, 0x0
	s_barrier
	buffer_gl0_inv
	v_cmpx_lt_i32_e32 23, v111
	s_cbranch_execz .LBB48_503
; %bb.502:
	v_mul_f64 v[32:33], v[100:101], v[6:7]
	v_mul_f64 v[6:7], v[102:103], v[6:7]
	ds_load_2addr_b64 v[117:120], v110 offset0:48 offset1:49
	v_fma_f64 v[32:33], v[102:103], v[4:5], v[32:33]
	v_fma_f64 v[4:5], v[100:101], v[4:5], -v[6:7]
	s_waitcnt lgkmcnt(0)
	s_delay_alu instid0(VALU_DEP_2) | instskip(SKIP_1) | instid1(VALU_DEP_2)
	v_mul_f64 v[6:7], v[119:120], v[32:33]
	v_mul_f64 v[34:35], v[117:118], v[32:33]
	v_fma_f64 v[6:7], v[117:118], v[4:5], -v[6:7]
	s_delay_alu instid0(VALU_DEP_2) | instskip(NEXT) | instid1(VALU_DEP_2)
	v_fma_f64 v[34:35], v[119:120], v[4:5], v[34:35]
	v_add_f64 v[0:1], v[0:1], -v[6:7]
	s_delay_alu instid0(VALU_DEP_2)
	v_add_f64 v[2:3], v[2:3], -v[34:35]
	v_dual_mov_b32 v6, v32 :: v_dual_mov_b32 v7, v33
.LBB48_503:
	s_or_b32 exec_lo, exec_lo, s2
	v_lshl_add_u32 v32, v111, 4, v110
	s_barrier
	buffer_gl0_inv
	v_mov_b32_e32 v108, 24
	ds_store_2addr_b64 v32, v[0:1], v[2:3] offset1:1
	s_waitcnt lgkmcnt(0)
	s_barrier
	buffer_gl0_inv
	ds_load_2addr_b64 v[100:103], v110 offset0:48 offset1:49
	s_cmp_lt_i32 s5, 26
	s_cbranch_scc1 .LBB48_506
; %bb.504:
	v_add3_u32 v109, v255, 0, 0x190
	v_mov_b32_e32 v108, 24
	s_mov_b32 s6, 25
	s_set_inst_prefetch_distance 0x1
	.p2align	6
.LBB48_505:                             ; =>This Inner Loop Header: Depth=1
	ds_load_2addr_b64 v[117:120], v109 offset1:1
	s_waitcnt lgkmcnt(1)
	v_cmp_gt_f64_e32 vcc_lo, 0, v[100:101]
	v_xor_b32_e32 v32, 0x80000000, v101
	v_cmp_gt_f64_e64 s2, 0, v[102:103]
	v_xor_b32_e32 v34, 0x80000000, v103
	v_add_nc_u32_e32 v109, 16, v109
	s_waitcnt lgkmcnt(0)
	v_cmp_gt_f64_e64 s3, 0, v[117:118]
	v_mov_b32_e32 v36, v117
	v_dual_mov_b32 v38, v119 :: v_dual_cndmask_b32 v33, v101, v32
	v_xor_b32_e32 v32, 0x80000000, v118
	v_cndmask_b32_e64 v35, v103, v34, s2
	v_xor_b32_e32 v34, 0x80000000, v120
	s_delay_alu instid0(VALU_DEP_3) | instskip(SKIP_2) | instid1(VALU_DEP_2)
	v_cndmask_b32_e64 v37, v118, v32, s3
	v_cmp_gt_f64_e64 s3, 0, v[119:120]
	v_cndmask_b32_e32 v32, v100, v100, vcc_lo
	v_cndmask_b32_e64 v39, v120, v34, s3
	v_cndmask_b32_e64 v34, v102, v102, s2
	s_delay_alu instid0(VALU_DEP_2) | instskip(NEXT) | instid1(VALU_DEP_2)
	v_add_f64 v[36:37], v[36:37], v[38:39]
	v_add_f64 v[32:33], v[32:33], v[34:35]
	s_delay_alu instid0(VALU_DEP_1) | instskip(SKIP_4) | instid1(SALU_CYCLE_1)
	v_cmp_lt_f64_e32 vcc_lo, v[32:33], v[36:37]
	v_dual_cndmask_b32 v101, v101, v118 :: v_dual_cndmask_b32 v100, v100, v117
	v_dual_cndmask_b32 v103, v103, v120 :: v_dual_cndmask_b32 v102, v102, v119
	v_cndmask_b32_e64 v108, v108, s6, vcc_lo
	s_add_i32 s6, s6, 1
	s_cmp_lg_u32 s5, s6
	s_cbranch_scc1 .LBB48_505
.LBB48_506:
	s_set_inst_prefetch_distance 0x2
	s_waitcnt lgkmcnt(0)
	v_cmp_eq_f64_e32 vcc_lo, 0, v[100:101]
	v_cmp_eq_f64_e64 s2, 0, v[102:103]
	s_delay_alu instid0(VALU_DEP_1) | instskip(NEXT) | instid1(SALU_CYCLE_1)
	s_and_b32 s2, vcc_lo, s2
	s_and_saveexec_b32 s3, s2
	s_delay_alu instid0(SALU_CYCLE_1)
	s_xor_b32 s2, exec_lo, s3
	s_cbranch_execz .LBB48_508
; %bb.507:
	scratch_load_b32 v32, off, off          ; 4-byte Folded Reload
	s_waitcnt vmcnt(0)
	v_cmp_ne_u32_e32 vcc_lo, 0, v32
	v_cndmask_b32_e32 v32, 25, v32, vcc_lo
	scratch_store_b32 off, v32, off         ; 4-byte Folded Spill
.LBB48_508:
	s_and_not1_saveexec_b32 s3, s2
	s_cbranch_execz .LBB48_514
; %bb.509:
	v_cmp_gt_f64_e32 vcc_lo, 0, v[100:101]
	v_cmp_gt_f64_e64 s2, 0, v[102:103]
	v_xor_b32_e32 v32, 0x80000000, v101
	v_xor_b32_e32 v34, 0x80000000, v103
	s_delay_alu instid0(VALU_DEP_2) | instskip(NEXT) | instid1(VALU_DEP_2)
	v_cndmask_b32_e32 v33, v101, v32, vcc_lo
	v_cndmask_b32_e64 v35, v103, v34, s2
	v_cndmask_b32_e32 v32, v100, v100, vcc_lo
	v_cndmask_b32_e64 v34, v102, v102, s2
	s_mov_b32 s2, exec_lo
	s_delay_alu instid0(VALU_DEP_1)
	v_cmpx_ngt_f64_e32 v[32:33], v[34:35]
	s_xor_b32 s2, exec_lo, s2
	s_cbranch_execz .LBB48_511
; %bb.510:
	v_div_scale_f64 v[32:33], null, v[102:103], v[102:103], v[100:101]
	v_div_scale_f64 v[38:39], vcc_lo, v[100:101], v[102:103], v[100:101]
	s_delay_alu instid0(VALU_DEP_2) | instskip(SKIP_2) | instid1(VALU_DEP_1)
	v_rcp_f64_e32 v[34:35], v[32:33]
	s_waitcnt_depctr 0xfff
	v_fma_f64 v[36:37], -v[32:33], v[34:35], 1.0
	v_fma_f64 v[34:35], v[34:35], v[36:37], v[34:35]
	s_delay_alu instid0(VALU_DEP_1) | instskip(NEXT) | instid1(VALU_DEP_1)
	v_fma_f64 v[36:37], -v[32:33], v[34:35], 1.0
	v_fma_f64 v[34:35], v[34:35], v[36:37], v[34:35]
	s_delay_alu instid0(VALU_DEP_1) | instskip(NEXT) | instid1(VALU_DEP_1)
	v_mul_f64 v[36:37], v[38:39], v[34:35]
	v_fma_f64 v[32:33], -v[32:33], v[36:37], v[38:39]
	s_delay_alu instid0(VALU_DEP_1) | instskip(NEXT) | instid1(VALU_DEP_1)
	v_div_fmas_f64 v[32:33], v[32:33], v[34:35], v[36:37]
	v_div_fixup_f64 v[32:33], v[32:33], v[102:103], v[100:101]
	s_delay_alu instid0(VALU_DEP_1) | instskip(NEXT) | instid1(VALU_DEP_1)
	v_fma_f64 v[34:35], v[100:101], v[32:33], v[102:103]
	v_div_scale_f64 v[36:37], null, v[34:35], v[34:35], 1.0
	s_delay_alu instid0(VALU_DEP_1) | instskip(SKIP_2) | instid1(VALU_DEP_1)
	v_rcp_f64_e32 v[38:39], v[36:37]
	s_waitcnt_depctr 0xfff
	v_fma_f64 v[100:101], -v[36:37], v[38:39], 1.0
	v_fma_f64 v[38:39], v[38:39], v[100:101], v[38:39]
	s_delay_alu instid0(VALU_DEP_1) | instskip(NEXT) | instid1(VALU_DEP_1)
	v_fma_f64 v[100:101], -v[36:37], v[38:39], 1.0
	v_fma_f64 v[38:39], v[38:39], v[100:101], v[38:39]
	v_div_scale_f64 v[100:101], vcc_lo, 1.0, v[34:35], 1.0
	s_delay_alu instid0(VALU_DEP_1) | instskip(NEXT) | instid1(VALU_DEP_1)
	v_mul_f64 v[102:103], v[100:101], v[38:39]
	v_fma_f64 v[36:37], -v[36:37], v[102:103], v[100:101]
	s_delay_alu instid0(VALU_DEP_1) | instskip(NEXT) | instid1(VALU_DEP_1)
	v_div_fmas_f64 v[36:37], v[36:37], v[38:39], v[102:103]
	v_div_fixup_f64 v[102:103], v[36:37], v[34:35], 1.0
	s_delay_alu instid0(VALU_DEP_1)
	v_mul_f64 v[100:101], v[32:33], v[102:103]
	v_xor_b32_e32 v103, 0x80000000, v103
.LBB48_511:
	s_and_not1_saveexec_b32 s2, s2
	s_cbranch_execz .LBB48_513
; %bb.512:
	s_delay_alu instid0(VALU_DEP_1) | instskip(SKIP_1) | instid1(VALU_DEP_2)
	v_div_scale_f64 v[32:33], null, v[100:101], v[100:101], v[102:103]
	v_div_scale_f64 v[38:39], vcc_lo, v[102:103], v[100:101], v[102:103]
	v_rcp_f64_e32 v[34:35], v[32:33]
	s_waitcnt_depctr 0xfff
	v_fma_f64 v[36:37], -v[32:33], v[34:35], 1.0
	s_delay_alu instid0(VALU_DEP_1) | instskip(NEXT) | instid1(VALU_DEP_1)
	v_fma_f64 v[34:35], v[34:35], v[36:37], v[34:35]
	v_fma_f64 v[36:37], -v[32:33], v[34:35], 1.0
	s_delay_alu instid0(VALU_DEP_1) | instskip(NEXT) | instid1(VALU_DEP_1)
	v_fma_f64 v[34:35], v[34:35], v[36:37], v[34:35]
	v_mul_f64 v[36:37], v[38:39], v[34:35]
	s_delay_alu instid0(VALU_DEP_1) | instskip(NEXT) | instid1(VALU_DEP_1)
	v_fma_f64 v[32:33], -v[32:33], v[36:37], v[38:39]
	v_div_fmas_f64 v[32:33], v[32:33], v[34:35], v[36:37]
	s_delay_alu instid0(VALU_DEP_1) | instskip(NEXT) | instid1(VALU_DEP_1)
	v_div_fixup_f64 v[32:33], v[32:33], v[100:101], v[102:103]
	v_fma_f64 v[34:35], v[102:103], v[32:33], v[100:101]
	s_delay_alu instid0(VALU_DEP_1) | instskip(NEXT) | instid1(VALU_DEP_1)
	v_div_scale_f64 v[36:37], null, v[34:35], v[34:35], 1.0
	v_rcp_f64_e32 v[38:39], v[36:37]
	s_waitcnt_depctr 0xfff
	v_fma_f64 v[100:101], -v[36:37], v[38:39], 1.0
	s_delay_alu instid0(VALU_DEP_1) | instskip(NEXT) | instid1(VALU_DEP_1)
	v_fma_f64 v[38:39], v[38:39], v[100:101], v[38:39]
	v_fma_f64 v[100:101], -v[36:37], v[38:39], 1.0
	s_delay_alu instid0(VALU_DEP_1) | instskip(SKIP_1) | instid1(VALU_DEP_1)
	v_fma_f64 v[38:39], v[38:39], v[100:101], v[38:39]
	v_div_scale_f64 v[100:101], vcc_lo, 1.0, v[34:35], 1.0
	v_mul_f64 v[102:103], v[100:101], v[38:39]
	s_delay_alu instid0(VALU_DEP_1) | instskip(NEXT) | instid1(VALU_DEP_1)
	v_fma_f64 v[36:37], -v[36:37], v[102:103], v[100:101]
	v_div_fmas_f64 v[36:37], v[36:37], v[38:39], v[102:103]
	s_delay_alu instid0(VALU_DEP_1) | instskip(NEXT) | instid1(VALU_DEP_1)
	v_div_fixup_f64 v[100:101], v[36:37], v[34:35], 1.0
	v_mul_f64 v[102:103], v[32:33], -v[100:101]
.LBB48_513:
	s_or_b32 exec_lo, exec_lo, s2
.LBB48_514:
	s_delay_alu instid0(SALU_CYCLE_1)
	s_or_b32 exec_lo, exec_lo, s3
	v_mov_b32_e32 v109, 24
	s_mov_b32 s2, exec_lo
	v_cmpx_ne_u32_e64 v111, v108
	s_cbranch_execz .LBB48_520
; %bb.515:
	s_mov_b32 s3, exec_lo
	v_cmpx_eq_u32_e32 24, v111
	s_cbranch_execz .LBB48_519
; %bb.516:
	v_cmp_ne_u32_e32 vcc_lo, 24, v108
	s_xor_b32 s4, s4, -1
	s_delay_alu instid0(SALU_CYCLE_1) | instskip(NEXT) | instid1(SALU_CYCLE_1)
	s_and_b32 s5, s4, vcc_lo
	s_and_saveexec_b32 s4, s5
	s_cbranch_execz .LBB48_518
; %bb.517:
	v_ashrrev_i32_e32 v109, 31, v108
	s_delay_alu instid0(VALU_DEP_1) | instskip(NEXT) | instid1(VALU_DEP_1)
	v_lshlrev_b64 v[32:33], 2, v[108:109]
	v_add_co_u32 v32, vcc_lo, v78, v32
	s_delay_alu instid0(VALU_DEP_2)
	v_add_co_ci_u32_e32 v33, vcc_lo, v79, v33, vcc_lo
	s_clause 0x1
	flat_load_b32 v34, v[32:33]
	flat_load_b32 v35, v[78:79] offset:96
	s_waitcnt vmcnt(1) lgkmcnt(1)
	flat_store_b32 v[78:79], v34 offset:96
	s_waitcnt vmcnt(0) lgkmcnt(1)
	flat_store_b32 v[32:33], v35
.LBB48_518:
	s_or_b32 exec_lo, exec_lo, s4
	v_mov_b32_e32 v111, v108
	v_mov_b32_e32 v247, v108
.LBB48_519:
	s_or_b32 exec_lo, exec_lo, s3
	s_delay_alu instid0(VALU_DEP_2)
	v_mov_b32_e32 v109, v111
.LBB48_520:
	s_or_b32 exec_lo, exec_lo, s2
	s_delay_alu instid0(SALU_CYCLE_1)
	s_mov_b32 s2, exec_lo
	s_waitcnt lgkmcnt(0)
	s_waitcnt_vscnt null, 0x0
	s_barrier
	buffer_gl0_inv
	v_cmpx_lt_i32_e32 24, v109
; %bb.521:
	v_mul_f64 v[32:33], v[102:103], v[2:3]
	v_mul_f64 v[2:3], v[100:101], v[2:3]
	s_delay_alu instid0(VALU_DEP_2) | instskip(NEXT) | instid1(VALU_DEP_2)
	v_fma_f64 v[32:33], v[100:101], v[0:1], -v[32:33]
	v_fma_f64 v[2:3], v[102:103], v[0:1], v[2:3]
	s_delay_alu instid0(VALU_DEP_2)
	v_dual_mov_b32 v0, v32 :: v_dual_mov_b32 v1, v33
; %bb.522:
	s_or_b32 exec_lo, exec_lo, s2
	s_load_b256 s[0:7], s[0:1], 0x28
	v_ashrrev_i32_e32 v110, 31, v109
	s_mov_b32 s9, exec_lo
	s_waitcnt lgkmcnt(0)
	s_barrier
	buffer_gl0_inv
	v_cmpx_gt_i32_e32 25, v109
	s_cbranch_execz .LBB48_524
; %bb.523:
	scratch_load_b64 v[36:37], off, off offset:20 ; 8-byte Folded Reload
	s_lshl_b64 s[2:3], s[2:3], 2
	s_delay_alu instid0(SALU_CYCLE_1)
	s_add_u32 s0, s2, s0
	s_addc_u32 s1, s3, s1
	s_waitcnt vmcnt(0)
	v_mul_lo_u32 v34, v37, s4
	v_mul_lo_u32 v35, v36, s5
	v_mad_u64_u32 v[32:33], null, v36, s4, 0
	s_delay_alu instid0(VALU_DEP_1) | instskip(SKIP_1) | instid1(VALU_DEP_2)
	v_add3_u32 v33, v33, v35, v34
	v_lshlrev_b64 v[34:35], 2, v[109:110]
	v_lshlrev_b64 v[32:33], 2, v[32:33]
	s_delay_alu instid0(VALU_DEP_1) | instskip(NEXT) | instid1(VALU_DEP_2)
	v_add_co_u32 v32, vcc_lo, s0, v32
	v_add_co_ci_u32_e32 v33, vcc_lo, s1, v33, vcc_lo
	s_delay_alu instid0(VALU_DEP_2) | instskip(NEXT) | instid1(VALU_DEP_2)
	v_add_co_u32 v32, vcc_lo, v32, v34
	v_add_co_ci_u32_e32 v33, vcc_lo, v33, v35, vcc_lo
	v_add3_u32 v34, v247, s13, 1
	global_store_b32 v[32:33], v34, off
.LBB48_524:
	s_or_b32 exec_lo, exec_lo, s9
	s_delay_alu instid0(SALU_CYCLE_1)
	s_mov_b32 s1, exec_lo
	v_cmpx_eq_u32_e32 0, v109
	s_cbranch_execz .LBB48_527
; %bb.525:
	scratch_load_b64 v[32:33], off, off offset:20 ; 8-byte Folded Reload
	s_waitcnt vmcnt(0)
	v_lshlrev_b64 v[32:33], 2, v[32:33]
	s_delay_alu instid0(VALU_DEP_1) | instskip(NEXT) | instid1(VALU_DEP_2)
	v_add_co_u32 v100, vcc_lo, s6, v32
	v_add_co_ci_u32_e32 v101, vcc_lo, s7, v33, vcc_lo
	global_load_b32 v32, v[100:101], off
	s_waitcnt vmcnt(0)
	v_cmp_eq_u32_e32 vcc_lo, 0, v32
	scratch_load_b32 v32, off, off          ; 4-byte Folded Reload
	s_waitcnt vmcnt(0)
	v_cmp_lt_i32_e64 s0, 0, v32
	s_delay_alu instid0(VALU_DEP_1) | instskip(NEXT) | instid1(SALU_CYCLE_1)
	s_and_b32 s0, vcc_lo, s0
	s_and_b32 exec_lo, exec_lo, s0
	s_cbranch_execz .LBB48_527
; %bb.526:
	scratch_load_b32 v32, off, off          ; 4-byte Folded Reload
	s_waitcnt vmcnt(0)
	v_add_nc_u32_e32 v32, s13, v32
	global_store_b32 v[100:101], v32, off
.LBB48_527:
	s_or_b32 exec_lo, exec_lo, s1
	scratch_load_b32 v90, off, off offset:28 ; 4-byte Folded Reload
	v_add3_u32 v32, s8, s8, v109
	v_lshlrev_b64 v[34:35], 4, v[109:110]
	s_delay_alu instid0(VALU_DEP_2) | instskip(SKIP_1) | instid1(VALU_DEP_3)
	v_ashrrev_i32_e32 v33, 31, v32
	v_add_nc_u32_e32 v36, s8, v32
	v_add_co_u32 v34, vcc_lo, v112, v34
	s_delay_alu instid0(VALU_DEP_3) | instskip(NEXT) | instid1(VALU_DEP_3)
	v_lshlrev_b64 v[32:33], 4, v[32:33]
	v_ashrrev_i32_e32 v37, 31, v36
	v_add_nc_u32_e32 v38, s8, v36
	s_delay_alu instid0(VALU_DEP_1) | instskip(SKIP_3) | instid1(VALU_DEP_2)
	v_ashrrev_i32_e32 v39, 31, v38
	s_waitcnt vmcnt(0)
	v_add_co_ci_u32_e32 v35, vcc_lo, v90, v35, vcc_lo
	v_add_co_u32 v100, vcc_lo, v34, s10
	v_add_co_ci_u32_e32 v101, vcc_lo, s11, v35, vcc_lo
	v_add_co_u32 v32, vcc_lo, v112, v32
	v_add_co_ci_u32_e32 v33, vcc_lo, v90, v33, vcc_lo
	s_clause 0x2
	global_store_b128 v[34:35], v[96:99], off
	global_store_b128 v[100:101], v[235:238], off
	;; [unrolled: 1-line block ×3, first 2 shown]
	scratch_load_b128 v[76:79], off, off offset:4 ; 16-byte Folded Reload
	v_lshlrev_b64 v[34:35], 4, v[36:37]
	v_add_nc_u32_e32 v36, s8, v38
	v_lshlrev_b64 v[32:33], 4, v[38:39]
	s_delay_alu instid0(VALU_DEP_2) | instskip(SKIP_3) | instid1(VALU_DEP_4)
	v_add_nc_u32_e32 v38, s8, v36
	v_ashrrev_i32_e32 v37, 31, v36
	v_add_co_u32 v34, vcc_lo, v112, v34
	v_add_co_ci_u32_e32 v35, vcc_lo, v90, v35, vcc_lo
	v_add_nc_u32_e32 v96, s8, v38
	v_add_co_u32 v32, vcc_lo, v112, v32
	v_ashrrev_i32_e32 v39, 31, v38
	v_lshlrev_b64 v[36:37], 4, v[36:37]
	v_add_co_ci_u32_e32 v33, vcc_lo, v90, v33, vcc_lo
	v_ashrrev_i32_e32 v97, 31, v96
	s_waitcnt vmcnt(0)
	s_clause 0x1
	global_store_b128 v[34:35], v[76:79], off
	global_store_b128 v[32:33], v[239:242], off
	v_lshlrev_b64 v[32:33], 4, v[38:39]
	v_add_co_u32 v34, vcc_lo, v112, v36
	v_add_co_ci_u32_e32 v35, vcc_lo, v90, v37, vcc_lo
	v_lshlrev_b64 v[36:37], 4, v[96:97]
	v_add_nc_u32_e32 v38, s8, v96
	v_add_co_u32 v32, vcc_lo, v112, v32
	v_add_co_ci_u32_e32 v33, vcc_lo, v90, v33, vcc_lo
	s_delay_alu instid0(VALU_DEP_4) | instskip(NEXT) | instid1(VALU_DEP_4)
	v_add_co_u32 v36, vcc_lo, v112, v36
	v_add_nc_u32_e32 v88, s8, v38
	v_add_co_ci_u32_e32 v37, vcc_lo, v90, v37, vcc_lo
	v_ashrrev_i32_e32 v39, 31, v38
	global_store_b128 v[34:35], v[92:95], off
	v_ashrrev_i32_e32 v89, 31, v88
	s_clause 0x1
	global_store_b128 v[32:33], v[84:87], off
	global_store_b128 v[36:37], v[80:83], off
	v_add_nc_u32_e32 v36, s8, v88
	v_lshlrev_b64 v[34:35], 4, v[38:39]
	v_lshlrev_b64 v[32:33], 4, v[88:89]
	s_delay_alu instid0(VALU_DEP_3) | instskip(SKIP_1) | instid1(VALU_DEP_4)
	v_add_nc_u32_e32 v38, s8, v36
	v_ashrrev_i32_e32 v37, 31, v36
	v_add_co_u32 v34, vcc_lo, v112, v34
	v_add_co_ci_u32_e32 v35, vcc_lo, v90, v35, vcc_lo
	s_delay_alu instid0(VALU_DEP_4)
	v_add_nc_u32_e32 v76, s8, v38
	v_add_co_u32 v32, vcc_lo, v112, v32
	v_ashrrev_i32_e32 v39, 31, v38
	v_lshlrev_b64 v[36:37], 4, v[36:37]
	v_add_co_ci_u32_e32 v33, vcc_lo, v90, v33, vcc_lo
	v_ashrrev_i32_e32 v77, 31, v76
	s_clause 0x1
	global_store_b128 v[34:35], v[72:75], off
	global_store_b128 v[32:33], v[68:71], off
	v_lshlrev_b64 v[32:33], 4, v[38:39]
	v_add_co_u32 v34, vcc_lo, v112, v36
	v_add_co_ci_u32_e32 v35, vcc_lo, v90, v37, vcc_lo
	v_lshlrev_b64 v[36:37], 4, v[76:77]
	v_add_nc_u32_e32 v38, s8, v76
	v_add_co_u32 v32, vcc_lo, v112, v32
	v_add_co_ci_u32_e32 v33, vcc_lo, v90, v33, vcc_lo
	s_delay_alu instid0(VALU_DEP_4) | instskip(NEXT) | instid1(VALU_DEP_4)
	v_add_co_u32 v36, vcc_lo, v112, v36
	v_add_nc_u32_e32 v68, s8, v38
	v_add_co_ci_u32_e32 v37, vcc_lo, v90, v37, vcc_lo
	v_ashrrev_i32_e32 v39, 31, v38
	global_store_b128 v[34:35], v[60:63], off
	v_ashrrev_i32_e32 v69, 31, v68
	s_clause 0x1
	global_store_b128 v[32:33], v[56:59], off
	global_store_b128 v[36:37], v[64:67], off
	v_add_nc_u32_e32 v36, s8, v68
	v_lshlrev_b64 v[34:35], 4, v[38:39]
	v_lshlrev_b64 v[32:33], 4, v[68:69]
	s_delay_alu instid0(VALU_DEP_3) | instskip(SKIP_1) | instid1(VALU_DEP_4)
	v_add_nc_u32_e32 v38, s8, v36
	v_ashrrev_i32_e32 v37, 31, v36
	v_add_co_u32 v34, vcc_lo, v112, v34
	v_add_co_ci_u32_e32 v35, vcc_lo, v90, v35, vcc_lo
	s_delay_alu instid0(VALU_DEP_4)
	v_add_nc_u32_e32 v56, s8, v38
	v_add_co_u32 v32, vcc_lo, v112, v32
	v_ashrrev_i32_e32 v39, 31, v38
	v_lshlrev_b64 v[36:37], 4, v[36:37]
	v_add_co_ci_u32_e32 v33, vcc_lo, v90, v33, vcc_lo
	v_ashrrev_i32_e32 v57, 31, v56
	s_clause 0x1
	global_store_b128 v[34:35], v[40:43], off
	global_store_b128 v[32:33], v[52:55], off
	v_lshlrev_b64 v[32:33], 4, v[38:39]
	v_add_co_u32 v34, vcc_lo, v112, v36
	v_add_nc_u32_e32 v38, s8, v56
	v_add_co_ci_u32_e32 v35, vcc_lo, v90, v37, vcc_lo
	v_lshlrev_b64 v[36:37], 4, v[56:57]
	v_add_co_u32 v32, vcc_lo, v112, v32
	s_delay_alu instid0(VALU_DEP_4)
	v_add_nc_u32_e32 v40, s8, v38
	v_add_co_ci_u32_e32 v33, vcc_lo, v90, v33, vcc_lo
	v_ashrrev_i32_e32 v39, 31, v38
	v_add_co_u32 v36, vcc_lo, v112, v36
	v_add_co_ci_u32_e32 v37, vcc_lo, v90, v37, vcc_lo
	v_ashrrev_i32_e32 v41, 31, v40
	global_store_b128 v[34:35], v[28:31], off
	v_lshlrev_b64 v[28:29], 4, v[38:39]
	s_clause 0x1
	global_store_b128 v[32:33], v[48:51], off
	global_store_b128 v[36:37], v[44:47], off
	v_add_nc_u32_e32 v32, s8, v40
	v_lshlrev_b64 v[30:31], 4, v[40:41]
	v_add_co_u32 v28, vcc_lo, v112, v28
	s_delay_alu instid0(VALU_DEP_3) | instskip(SKIP_1) | instid1(VALU_DEP_4)
	v_add_nc_u32_e32 v34, s8, v32
	v_add_co_ci_u32_e32 v29, vcc_lo, v90, v29, vcc_lo
	v_add_co_u32 v30, vcc_lo, v112, v30
	v_add_co_ci_u32_e32 v31, vcc_lo, v90, v31, vcc_lo
	s_delay_alu instid0(VALU_DEP_4)
	v_add_nc_u32_e32 v36, s8, v34
	v_ashrrev_i32_e32 v33, 31, v32
	s_clause 0x1
	global_store_b128 v[28:29], v[24:27], off
	global_store_b128 v[30:31], v[20:23], off
	v_ashrrev_i32_e32 v35, 31, v34
	v_add_nc_u32_e32 v22, s8, v36
	v_lshlrev_b64 v[24:25], 4, v[32:33]
	v_ashrrev_i32_e32 v37, 31, v36
	s_delay_alu instid0(VALU_DEP_4) | instskip(NEXT) | instid1(VALU_DEP_4)
	v_lshlrev_b64 v[20:21], 4, v[34:35]
	v_add_nc_u32_e32 v28, s8, v22
	v_ashrrev_i32_e32 v23, 31, v22
	v_add_co_u32 v24, vcc_lo, v112, v24
	v_lshlrev_b64 v[26:27], 4, v[36:37]
	s_delay_alu instid0(VALU_DEP_4)
	v_ashrrev_i32_e32 v29, 31, v28
	v_add_co_ci_u32_e32 v25, vcc_lo, v90, v25, vcc_lo
	v_add_co_u32 v20, vcc_lo, v112, v20
	v_lshlrev_b64 v[22:23], 4, v[22:23]
	v_add_co_ci_u32_e32 v21, vcc_lo, v90, v21, vcc_lo
	v_add_co_u32 v26, vcc_lo, v112, v26
	v_lshlrev_b64 v[28:29], 4, v[28:29]
	v_add_co_ci_u32_e32 v27, vcc_lo, v90, v27, vcc_lo
	v_add_co_u32 v22, vcc_lo, v112, v22
	v_add_co_ci_u32_e32 v23, vcc_lo, v90, v23, vcc_lo
	s_delay_alu instid0(VALU_DEP_4)
	v_add_co_u32 v28, vcc_lo, v112, v28
	v_add_co_ci_u32_e32 v29, vcc_lo, v90, v29, vcc_lo
	s_clause 0x4
	global_store_b128 v[24:25], v[16:19], off
	global_store_b128 v[20:21], v[12:15], off
	;; [unrolled: 1-line block ×5, first 2 shown]
.LBB48_528:
	s_nop 0
	s_sendmsg sendmsg(MSG_DEALLOC_VGPRS)
	s_endpgm
	.section	.rodata,"a",@progbits
	.p2align	6, 0x0
	.amdhsa_kernel _ZN9rocsolver6v33100L18getf2_small_kernelILi25E19rocblas_complex_numIdEiiPKPS3_EEvT1_T3_lS7_lPS7_llPT2_S7_S7_S9_l
		.amdhsa_group_segment_fixed_size 0
		.amdhsa_private_segment_fixed_size 76
		.amdhsa_kernarg_size 352
		.amdhsa_user_sgpr_count 14
		.amdhsa_user_sgpr_dispatch_ptr 0
		.amdhsa_user_sgpr_queue_ptr 0
		.amdhsa_user_sgpr_kernarg_segment_ptr 1
		.amdhsa_user_sgpr_dispatch_id 0
		.amdhsa_user_sgpr_private_segment_size 0
		.amdhsa_wavefront_size32 1
		.amdhsa_uses_dynamic_stack 0
		.amdhsa_enable_private_segment 1
		.amdhsa_system_sgpr_workgroup_id_x 1
		.amdhsa_system_sgpr_workgroup_id_y 1
		.amdhsa_system_sgpr_workgroup_id_z 0
		.amdhsa_system_sgpr_workgroup_info 0
		.amdhsa_system_vgpr_workitem_id 1
		.amdhsa_next_free_vgpr 256
		.amdhsa_next_free_sgpr 16
		.amdhsa_reserve_vcc 1
		.amdhsa_float_round_mode_32 0
		.amdhsa_float_round_mode_16_64 0
		.amdhsa_float_denorm_mode_32 3
		.amdhsa_float_denorm_mode_16_64 3
		.amdhsa_dx10_clamp 1
		.amdhsa_ieee_mode 1
		.amdhsa_fp16_overflow 0
		.amdhsa_workgroup_processor_mode 1
		.amdhsa_memory_ordered 1
		.amdhsa_forward_progress 0
		.amdhsa_shared_vgpr_count 0
		.amdhsa_exception_fp_ieee_invalid_op 0
		.amdhsa_exception_fp_denorm_src 0
		.amdhsa_exception_fp_ieee_div_zero 0
		.amdhsa_exception_fp_ieee_overflow 0
		.amdhsa_exception_fp_ieee_underflow 0
		.amdhsa_exception_fp_ieee_inexact 0
		.amdhsa_exception_int_div_zero 0
	.end_amdhsa_kernel
	.section	.text._ZN9rocsolver6v33100L18getf2_small_kernelILi25E19rocblas_complex_numIdEiiPKPS3_EEvT1_T3_lS7_lPS7_llPT2_S7_S7_S9_l,"axG",@progbits,_ZN9rocsolver6v33100L18getf2_small_kernelILi25E19rocblas_complex_numIdEiiPKPS3_EEvT1_T3_lS7_lPS7_llPT2_S7_S7_S9_l,comdat
.Lfunc_end48:
	.size	_ZN9rocsolver6v33100L18getf2_small_kernelILi25E19rocblas_complex_numIdEiiPKPS3_EEvT1_T3_lS7_lPS7_llPT2_S7_S7_S9_l, .Lfunc_end48-_ZN9rocsolver6v33100L18getf2_small_kernelILi25E19rocblas_complex_numIdEiiPKPS3_EEvT1_T3_lS7_lPS7_llPT2_S7_S7_S9_l
                                        ; -- End function
	.section	.AMDGPU.csdata,"",@progbits
; Kernel info:
; codeLenInByte = 53356
; NumSgprs: 18
; NumVgprs: 256
; ScratchSize: 76
; MemoryBound: 0
; FloatMode: 240
; IeeeMode: 1
; LDSByteSize: 0 bytes/workgroup (compile time only)
; SGPRBlocks: 2
; VGPRBlocks: 31
; NumSGPRsForWavesPerEU: 18
; NumVGPRsForWavesPerEU: 256
; Occupancy: 5
; WaveLimiterHint : 1
; COMPUTE_PGM_RSRC2:SCRATCH_EN: 1
; COMPUTE_PGM_RSRC2:USER_SGPR: 14
; COMPUTE_PGM_RSRC2:TRAP_HANDLER: 0
; COMPUTE_PGM_RSRC2:TGID_X_EN: 1
; COMPUTE_PGM_RSRC2:TGID_Y_EN: 1
; COMPUTE_PGM_RSRC2:TGID_Z_EN: 0
; COMPUTE_PGM_RSRC2:TIDIG_COMP_CNT: 1
	.section	.text._ZN9rocsolver6v33100L23getf2_npvt_small_kernelILi25E19rocblas_complex_numIdEiiPKPS3_EEvT1_T3_lS7_lPT2_S7_S7_,"axG",@progbits,_ZN9rocsolver6v33100L23getf2_npvt_small_kernelILi25E19rocblas_complex_numIdEiiPKPS3_EEvT1_T3_lS7_lPT2_S7_S7_,comdat
	.globl	_ZN9rocsolver6v33100L23getf2_npvt_small_kernelILi25E19rocblas_complex_numIdEiiPKPS3_EEvT1_T3_lS7_lPT2_S7_S7_ ; -- Begin function _ZN9rocsolver6v33100L23getf2_npvt_small_kernelILi25E19rocblas_complex_numIdEiiPKPS3_EEvT1_T3_lS7_lPT2_S7_S7_
	.p2align	8
	.type	_ZN9rocsolver6v33100L23getf2_npvt_small_kernelILi25E19rocblas_complex_numIdEiiPKPS3_EEvT1_T3_lS7_lPT2_S7_S7_,@function
_ZN9rocsolver6v33100L23getf2_npvt_small_kernelILi25E19rocblas_complex_numIdEiiPKPS3_EEvT1_T3_lS7_lPT2_S7_S7_: ; @_ZN9rocsolver6v33100L23getf2_npvt_small_kernelILi25E19rocblas_complex_numIdEiiPKPS3_EEvT1_T3_lS7_lPT2_S7_S7_
; %bb.0:
	s_clause 0x1
	s_load_b32 s2, s[0:1], 0x44
	s_load_b64 s[8:9], s[0:1], 0x30
	v_bfe_u32 v100, v0, 10, 10
	s_waitcnt lgkmcnt(0)
	s_lshr_b32 s10, s2, 16
	s_mov_b32 s2, exec_lo
	s_delay_alu instid0(VALU_DEP_1) | instskip(NEXT) | instid1(VALU_DEP_1)
	v_mad_u64_u32 v[200:201], null, s15, s10, v[100:101]
	v_cmpx_gt_i32_e64 s8, v200
	s_cbranch_execz .LBB49_230
; %bb.1:
	s_clause 0x1
	s_load_b128 s[4:7], s[0:1], 0x8
	s_load_b32 s2, s[0:1], 0x18
	v_ashrrev_i32_e32 v201, 31, v200
	v_and_b32_e32 v254, 0x3ff, v0
	v_lshlrev_b32_e32 v101, 4, v100
	s_mulk_i32 s10, 0x190
	v_mad_u32_u24 v202, 0x190, v100, 0
	v_lshlrev_b64 v[1:2], 3, v[200:201]
	v_lshlrev_b32_e32 v49, 4, v254
	v_add3_u32 v255, 0, s10, v101
	s_waitcnt lgkmcnt(0)
	s_delay_alu instid0(VALU_DEP_3) | instskip(NEXT) | instid1(VALU_DEP_4)
	v_add_co_u32 v1, vcc_lo, s4, v1
	v_add_co_ci_u32_e32 v2, vcc_lo, s5, v2, vcc_lo
	v_add3_u32 v3, s2, s2, v254
	s_lshl_b64 s[6:7], s[6:7], 4
	s_ashr_i32 s3, s2, 31
	global_load_b64 v[1:2], v[1:2], off
	s_lshl_b64 s[4:5], s[2:3], 4
	v_add_nc_u32_e32 v5, s2, v3
	v_ashrrev_i32_e32 v4, 31, v3
	v_cmp_ne_u32_e64 s3, 0, v254
	s_delay_alu instid0(VALU_DEP_3) | instskip(SKIP_1) | instid1(VALU_DEP_4)
	v_add_nc_u32_e32 v7, s2, v5
	v_ashrrev_i32_e32 v6, 31, v5
	v_lshlrev_b64 v[3:4], 4, v[3:4]
	s_delay_alu instid0(VALU_DEP_3) | instskip(SKIP_1) | instid1(VALU_DEP_4)
	v_add_nc_u32_e32 v9, s2, v7
	v_ashrrev_i32_e32 v8, 31, v7
	v_lshlrev_b64 v[5:6], 4, v[5:6]
	s_delay_alu instid0(VALU_DEP_3) | instskip(SKIP_1) | instid1(VALU_DEP_4)
	v_add_nc_u32_e32 v11, s2, v9
	v_ashrrev_i32_e32 v10, 31, v9
	v_lshlrev_b64 v[7:8], 4, v[7:8]
	s_delay_alu instid0(VALU_DEP_3) | instskip(SKIP_1) | instid1(VALU_DEP_4)
	v_add_nc_u32_e32 v13, s2, v11
	v_ashrrev_i32_e32 v12, 31, v11
	v_lshlrev_b64 v[9:10], 4, v[9:10]
	s_delay_alu instid0(VALU_DEP_3) | instskip(SKIP_1) | instid1(VALU_DEP_4)
	v_add_nc_u32_e32 v15, s2, v13
	v_ashrrev_i32_e32 v14, 31, v13
	v_lshlrev_b64 v[11:12], 4, v[11:12]
	s_delay_alu instid0(VALU_DEP_3) | instskip(SKIP_1) | instid1(VALU_DEP_4)
	v_add_nc_u32_e32 v17, s2, v15
	v_ashrrev_i32_e32 v16, 31, v15
	v_lshlrev_b64 v[13:14], 4, v[13:14]
	s_delay_alu instid0(VALU_DEP_3) | instskip(SKIP_1) | instid1(VALU_DEP_4)
	v_add_nc_u32_e32 v19, s2, v17
	v_ashrrev_i32_e32 v18, 31, v17
	v_lshlrev_b64 v[15:16], 4, v[15:16]
	s_delay_alu instid0(VALU_DEP_3) | instskip(SKIP_1) | instid1(VALU_DEP_4)
	v_add_nc_u32_e32 v21, s2, v19
	v_ashrrev_i32_e32 v20, 31, v19
	v_lshlrev_b64 v[17:18], 4, v[17:18]
	s_delay_alu instid0(VALU_DEP_3) | instskip(SKIP_1) | instid1(VALU_DEP_4)
	v_add_nc_u32_e32 v23, s2, v21
	v_ashrrev_i32_e32 v22, 31, v21
	v_lshlrev_b64 v[19:20], 4, v[19:20]
	s_delay_alu instid0(VALU_DEP_3) | instskip(SKIP_1) | instid1(VALU_DEP_4)
	v_add_nc_u32_e32 v25, s2, v23
	v_ashrrev_i32_e32 v24, 31, v23
	v_lshlrev_b64 v[21:22], 4, v[21:22]
	s_delay_alu instid0(VALU_DEP_3) | instskip(SKIP_1) | instid1(VALU_DEP_4)
	v_add_nc_u32_e32 v27, s2, v25
	v_ashrrev_i32_e32 v26, 31, v25
	v_lshlrev_b64 v[23:24], 4, v[23:24]
	s_delay_alu instid0(VALU_DEP_3) | instskip(SKIP_1) | instid1(VALU_DEP_4)
	v_add_nc_u32_e32 v29, s2, v27
	v_ashrrev_i32_e32 v28, 31, v27
	v_lshlrev_b64 v[25:26], 4, v[25:26]
	s_delay_alu instid0(VALU_DEP_3) | instskip(SKIP_1) | instid1(VALU_DEP_4)
	v_add_nc_u32_e32 v31, s2, v29
	v_ashrrev_i32_e32 v30, 31, v29
	v_lshlrev_b64 v[27:28], 4, v[27:28]
	s_delay_alu instid0(VALU_DEP_3) | instskip(SKIP_1) | instid1(VALU_DEP_4)
	v_add_nc_u32_e32 v33, s2, v31
	v_ashrrev_i32_e32 v32, 31, v31
	v_lshlrev_b64 v[29:30], 4, v[29:30]
	s_delay_alu instid0(VALU_DEP_3) | instskip(SKIP_1) | instid1(VALU_DEP_4)
	v_add_nc_u32_e32 v35, s2, v33
	v_ashrrev_i32_e32 v34, 31, v33
	v_lshlrev_b64 v[31:32], 4, v[31:32]
	s_delay_alu instid0(VALU_DEP_3) | instskip(SKIP_1) | instid1(VALU_DEP_4)
	v_add_nc_u32_e32 v37, s2, v35
	v_ashrrev_i32_e32 v36, 31, v35
	v_lshlrev_b64 v[33:34], 4, v[33:34]
	s_delay_alu instid0(VALU_DEP_3) | instskip(SKIP_1) | instid1(VALU_DEP_4)
	v_add_nc_u32_e32 v39, s2, v37
	v_ashrrev_i32_e32 v38, 31, v37
	v_lshlrev_b64 v[35:36], 4, v[35:36]
	s_delay_alu instid0(VALU_DEP_3) | instskip(SKIP_1) | instid1(VALU_DEP_4)
	v_add_nc_u32_e32 v41, s2, v39
	v_ashrrev_i32_e32 v40, 31, v39
	v_lshlrev_b64 v[37:38], 4, v[37:38]
	s_delay_alu instid0(VALU_DEP_3) | instskip(SKIP_1) | instid1(VALU_DEP_4)
	v_add_nc_u32_e32 v43, s2, v41
	v_ashrrev_i32_e32 v42, 31, v41
	v_lshlrev_b64 v[39:40], 4, v[39:40]
	s_delay_alu instid0(VALU_DEP_3) | instskip(SKIP_1) | instid1(VALU_DEP_4)
	v_add_nc_u32_e32 v45, s2, v43
	v_ashrrev_i32_e32 v44, 31, v43
	v_lshlrev_b64 v[41:42], 4, v[41:42]
	s_delay_alu instid0(VALU_DEP_3) | instskip(SKIP_1) | instid1(VALU_DEP_4)
	v_add_nc_u32_e32 v47, s2, v45
	v_ashrrev_i32_e32 v46, 31, v45
	v_lshlrev_b64 v[43:44], 4, v[43:44]
	v_cmp_eq_u32_e64 s2, 0, v254
	s_delay_alu instid0(VALU_DEP_4) | instskip(NEXT) | instid1(VALU_DEP_4)
	v_ashrrev_i32_e32 v48, 31, v47
	v_lshlrev_b64 v[45:46], 4, v[45:46]
	s_waitcnt vmcnt(0)
	v_add_co_u32 v50, vcc_lo, v1, s6
	v_add_co_ci_u32_e32 v2, vcc_lo, s7, v2, vcc_lo
	v_lshlrev_b64 v[0:1], 4, v[47:48]
	s_delay_alu instid0(VALU_DEP_3) | instskip(NEXT) | instid1(VALU_DEP_3)
	v_add_co_u32 v248, vcc_lo, v50, v49
	v_add_co_ci_u32_e32 v249, vcc_lo, 0, v2, vcc_lo
	v_add_co_u32 v246, vcc_lo, v50, v3
	v_add_co_ci_u32_e32 v247, vcc_lo, v2, v4, vcc_lo
	;; [unrolled: 2-line block ×25, first 2 shown]
	s_clause 0x17
	global_load_b128 v[88:91], v[246:247], off
	global_load_b128 v[84:87], v[244:245], off
	global_load_b128 v[80:83], v[242:243], off
	global_load_b128 v[76:79], v[240:241], off
	global_load_b128 v[72:75], v[238:239], off
	global_load_b128 v[68:71], v[236:237], off
	global_load_b128 v[64:67], v[234:235], off
	global_load_b128 v[60:63], v[232:233], off
	global_load_b128 v[56:59], v[230:231], off
	global_load_b128 v[52:55], v[228:229], off
	global_load_b128 v[48:51], v[226:227], off
	global_load_b128 v[44:47], v[224:225], off
	global_load_b128 v[40:43], v[222:223], off
	global_load_b128 v[36:39], v[220:221], off
	global_load_b128 v[32:35], v[218:219], off
	global_load_b128 v[28:31], v[216:217], off
	global_load_b128 v[24:27], v[214:215], off
	global_load_b128 v[20:23], v[212:213], off
	global_load_b128 v[16:19], v[210:211], off
	global_load_b128 v[12:15], v[208:209], off
	global_load_b128 v[8:11], v[206:207], off
	global_load_b128 v[4:7], v[204:205], off
	global_load_b128 v[96:99], v[248:249], off
	global_load_b128 v[92:95], v[250:251], off
	scratch_store_b64 off, v[0:1], off      ; 8-byte Folded Spill
	global_load_b128 v[0:3], v[0:1], off
	s_and_saveexec_b32 s5, s2
	s_cbranch_execz .LBB49_8
; %bb.2:
	s_waitcnt vmcnt(2)
	ds_store_2addr_b64 v255, v[96:97], v[98:99] offset1:1
	s_waitcnt vmcnt(1)
	ds_store_2addr_b64 v202, v[92:93], v[94:95] offset0:2 offset1:3
	ds_store_2addr_b64 v202, v[88:89], v[90:91] offset0:4 offset1:5
	;; [unrolled: 1-line block ×23, first 2 shown]
	s_waitcnt vmcnt(0)
	ds_store_2addr_b64 v202, v[0:1], v[2:3] offset0:48 offset1:49
	ds_load_2addr_b64 v[100:103], v255 offset1:1
	s_waitcnt lgkmcnt(0)
	v_cmp_neq_f64_e32 vcc_lo, 0, v[100:101]
	v_cmp_neq_f64_e64 s4, 0, v[102:103]
	s_delay_alu instid0(VALU_DEP_1) | instskip(NEXT) | instid1(SALU_CYCLE_1)
	s_or_b32 s4, vcc_lo, s4
	s_and_b32 exec_lo, exec_lo, s4
	s_cbranch_execz .LBB49_8
; %bb.3:
	v_cmp_gt_f64_e32 vcc_lo, 0, v[100:101]
	v_cmp_gt_f64_e64 s4, 0, v[102:103]
	v_xor_b32_e32 v104, 0x80000000, v101
	v_xor_b32_e32 v106, 0x80000000, v103
                                        ; implicit-def: $vgpr108_vgpr109
	s_delay_alu instid0(VALU_DEP_2) | instskip(NEXT) | instid1(VALU_DEP_2)
	v_cndmask_b32_e32 v105, v101, v104, vcc_lo
	v_cndmask_b32_e64 v107, v103, v106, s4
	v_cndmask_b32_e32 v104, v100, v100, vcc_lo
	v_cndmask_b32_e64 v106, v102, v102, s4
	s_mov_b32 s4, exec_lo
	s_delay_alu instid0(VALU_DEP_1)
	v_cmpx_ngt_f64_e32 v[104:105], v[106:107]
	s_xor_b32 s4, exec_lo, s4
                                        ; implicit-def: $vgpr104_vgpr105_vgpr106_vgpr107
	s_cbranch_execz .LBB49_5
; %bb.4:
	v_div_scale_f64 v[104:105], null, v[102:103], v[102:103], v[100:101]
	v_div_scale_f64 v[110:111], vcc_lo, v[100:101], v[102:103], v[100:101]
	s_delay_alu instid0(VALU_DEP_2) | instskip(SKIP_2) | instid1(VALU_DEP_1)
	v_rcp_f64_e32 v[106:107], v[104:105]
	s_waitcnt_depctr 0xfff
	v_fma_f64 v[108:109], -v[104:105], v[106:107], 1.0
	v_fma_f64 v[106:107], v[106:107], v[108:109], v[106:107]
	s_delay_alu instid0(VALU_DEP_1) | instskip(NEXT) | instid1(VALU_DEP_1)
	v_fma_f64 v[108:109], -v[104:105], v[106:107], 1.0
	v_fma_f64 v[106:107], v[106:107], v[108:109], v[106:107]
	s_delay_alu instid0(VALU_DEP_1) | instskip(NEXT) | instid1(VALU_DEP_1)
	v_mul_f64 v[108:109], v[110:111], v[106:107]
	v_fma_f64 v[104:105], -v[104:105], v[108:109], v[110:111]
	s_delay_alu instid0(VALU_DEP_1) | instskip(NEXT) | instid1(VALU_DEP_1)
	v_div_fmas_f64 v[104:105], v[104:105], v[106:107], v[108:109]
	v_div_fixup_f64 v[104:105], v[104:105], v[102:103], v[100:101]
	s_delay_alu instid0(VALU_DEP_1) | instskip(NEXT) | instid1(VALU_DEP_1)
	v_fma_f64 v[100:101], v[100:101], v[104:105], v[102:103]
	v_div_scale_f64 v[102:103], null, v[100:101], v[100:101], 1.0
	s_delay_alu instid0(VALU_DEP_1) | instskip(SKIP_2) | instid1(VALU_DEP_1)
	v_rcp_f64_e32 v[106:107], v[102:103]
	s_waitcnt_depctr 0xfff
	v_fma_f64 v[108:109], -v[102:103], v[106:107], 1.0
	v_fma_f64 v[106:107], v[106:107], v[108:109], v[106:107]
	s_delay_alu instid0(VALU_DEP_1) | instskip(NEXT) | instid1(VALU_DEP_1)
	v_fma_f64 v[108:109], -v[102:103], v[106:107], 1.0
	v_fma_f64 v[106:107], v[106:107], v[108:109], v[106:107]
	v_div_scale_f64 v[108:109], vcc_lo, 1.0, v[100:101], 1.0
	s_delay_alu instid0(VALU_DEP_1) | instskip(NEXT) | instid1(VALU_DEP_1)
	v_mul_f64 v[110:111], v[108:109], v[106:107]
	v_fma_f64 v[102:103], -v[102:103], v[110:111], v[108:109]
	s_delay_alu instid0(VALU_DEP_1) | instskip(NEXT) | instid1(VALU_DEP_1)
	v_div_fmas_f64 v[102:103], v[102:103], v[106:107], v[110:111]
	v_div_fixup_f64 v[106:107], v[102:103], v[100:101], 1.0
                                        ; implicit-def: $vgpr100_vgpr101
	s_delay_alu instid0(VALU_DEP_1)
	v_mul_f64 v[108:109], v[104:105], v[106:107]
	v_xor_b32_e32 v107, 0x80000000, v107
.LBB49_5:
	s_and_not1_saveexec_b32 s4, s4
	s_cbranch_execz .LBB49_7
; %bb.6:
	v_div_scale_f64 v[104:105], null, v[100:101], v[100:101], v[102:103]
	v_div_scale_f64 v[110:111], vcc_lo, v[102:103], v[100:101], v[102:103]
	s_delay_alu instid0(VALU_DEP_2) | instskip(SKIP_2) | instid1(VALU_DEP_1)
	v_rcp_f64_e32 v[106:107], v[104:105]
	s_waitcnt_depctr 0xfff
	v_fma_f64 v[108:109], -v[104:105], v[106:107], 1.0
	v_fma_f64 v[106:107], v[106:107], v[108:109], v[106:107]
	s_delay_alu instid0(VALU_DEP_1) | instskip(NEXT) | instid1(VALU_DEP_1)
	v_fma_f64 v[108:109], -v[104:105], v[106:107], 1.0
	v_fma_f64 v[106:107], v[106:107], v[108:109], v[106:107]
	s_delay_alu instid0(VALU_DEP_1) | instskip(NEXT) | instid1(VALU_DEP_1)
	v_mul_f64 v[108:109], v[110:111], v[106:107]
	v_fma_f64 v[104:105], -v[104:105], v[108:109], v[110:111]
	s_delay_alu instid0(VALU_DEP_1) | instskip(NEXT) | instid1(VALU_DEP_1)
	v_div_fmas_f64 v[104:105], v[104:105], v[106:107], v[108:109]
	v_div_fixup_f64 v[104:105], v[104:105], v[100:101], v[102:103]
	s_delay_alu instid0(VALU_DEP_1) | instskip(NEXT) | instid1(VALU_DEP_1)
	v_fma_f64 v[100:101], v[102:103], v[104:105], v[100:101]
	v_div_scale_f64 v[102:103], null, v[100:101], v[100:101], 1.0
	s_delay_alu instid0(VALU_DEP_1) | instskip(SKIP_2) | instid1(VALU_DEP_1)
	v_rcp_f64_e32 v[106:107], v[102:103]
	s_waitcnt_depctr 0xfff
	v_fma_f64 v[108:109], -v[102:103], v[106:107], 1.0
	v_fma_f64 v[106:107], v[106:107], v[108:109], v[106:107]
	s_delay_alu instid0(VALU_DEP_1) | instskip(NEXT) | instid1(VALU_DEP_1)
	v_fma_f64 v[108:109], -v[102:103], v[106:107], 1.0
	v_fma_f64 v[106:107], v[106:107], v[108:109], v[106:107]
	v_div_scale_f64 v[108:109], vcc_lo, 1.0, v[100:101], 1.0
	s_delay_alu instid0(VALU_DEP_1) | instskip(NEXT) | instid1(VALU_DEP_1)
	v_mul_f64 v[110:111], v[108:109], v[106:107]
	v_fma_f64 v[102:103], -v[102:103], v[110:111], v[108:109]
	s_delay_alu instid0(VALU_DEP_1) | instskip(NEXT) | instid1(VALU_DEP_1)
	v_div_fmas_f64 v[102:103], v[102:103], v[106:107], v[110:111]
	v_div_fixup_f64 v[108:109], v[102:103], v[100:101], 1.0
	s_delay_alu instid0(VALU_DEP_1)
	v_mul_f64 v[106:107], v[104:105], -v[108:109]
.LBB49_7:
	s_or_b32 exec_lo, exec_lo, s4
	ds_store_2addr_b64 v255, v[108:109], v[106:107] offset1:1
.LBB49_8:
	s_or_b32 exec_lo, exec_lo, s5
	s_waitcnt vmcnt(0) lgkmcnt(0)
	s_waitcnt_vscnt null, 0x0
	s_barrier
	buffer_gl0_inv
	ds_load_2addr_b64 v[100:103], v255 offset1:1
	s_waitcnt lgkmcnt(0)
	scratch_store_b128 off, v[100:103], off offset:8 ; 16-byte Folded Spill
	s_and_saveexec_b32 s4, s3
	s_cbranch_execz .LBB49_10
; %bb.9:
	scratch_load_b128 v[100:103], off, off offset:8 ; 16-byte Folded Reload
	ds_load_2addr_b64 v[106:109], v202 offset0:2 offset1:3
	ds_load_2addr_b64 v[110:113], v202 offset0:4 offset1:5
	s_waitcnt vmcnt(0)
	v_mul_f64 v[104:105], v[102:103], v[98:99]
	v_mul_f64 v[98:99], v[100:101], v[98:99]
	s_delay_alu instid0(VALU_DEP_2) | instskip(NEXT) | instid1(VALU_DEP_2)
	v_fma_f64 v[104:105], v[100:101], v[96:97], -v[104:105]
	v_fma_f64 v[98:99], v[102:103], v[96:97], v[98:99]
	s_waitcnt lgkmcnt(1)
	s_delay_alu instid0(VALU_DEP_1) | instskip(NEXT) | instid1(VALU_DEP_1)
	v_mul_f64 v[96:97], v[108:109], v[98:99]
	v_fma_f64 v[96:97], v[106:107], v[104:105], -v[96:97]
	v_mul_f64 v[106:107], v[106:107], v[98:99]
	s_delay_alu instid0(VALU_DEP_2) | instskip(NEXT) | instid1(VALU_DEP_2)
	v_add_f64 v[92:93], v[92:93], -v[96:97]
	v_fma_f64 v[114:115], v[108:109], v[104:105], v[106:107]
	s_waitcnt lgkmcnt(0)
	v_mul_f64 v[106:107], v[112:113], v[98:99]
	v_dual_mov_b32 v96, v104 :: v_dual_mov_b32 v97, v105
	s_delay_alu instid0(VALU_DEP_3) | instskip(NEXT) | instid1(VALU_DEP_3)
	v_add_f64 v[94:95], v[94:95], -v[114:115]
	v_fma_f64 v[116:117], v[110:111], v[104:105], -v[106:107]
	v_mul_f64 v[106:107], v[110:111], v[98:99]
	s_delay_alu instid0(VALU_DEP_2) | instskip(NEXT) | instid1(VALU_DEP_2)
	v_add_f64 v[88:89], v[88:89], -v[116:117]
	v_fma_f64 v[118:119], v[112:113], v[104:105], v[106:107]
	ds_load_2addr_b64 v[106:109], v202 offset0:6 offset1:7
	ds_load_2addr_b64 v[110:113], v202 offset0:8 offset1:9
	s_waitcnt lgkmcnt(1)
	v_mul_f64 v[120:121], v[108:109], v[98:99]
	v_add_f64 v[90:91], v[90:91], -v[118:119]
	s_delay_alu instid0(VALU_DEP_2) | instskip(SKIP_1) | instid1(VALU_DEP_2)
	v_fma_f64 v[120:121], v[106:107], v[104:105], -v[120:121]
	v_mul_f64 v[106:107], v[106:107], v[98:99]
	v_add_f64 v[84:85], v[84:85], -v[120:121]
	s_delay_alu instid0(VALU_DEP_2) | instskip(SKIP_2) | instid1(VALU_DEP_2)
	v_fma_f64 v[122:123], v[108:109], v[104:105], v[106:107]
	s_waitcnt lgkmcnt(0)
	v_mul_f64 v[106:107], v[112:113], v[98:99]
	v_add_f64 v[86:87], v[86:87], -v[122:123]
	s_delay_alu instid0(VALU_DEP_2) | instskip(SKIP_1) | instid1(VALU_DEP_2)
	v_fma_f64 v[124:125], v[110:111], v[104:105], -v[106:107]
	v_mul_f64 v[106:107], v[110:111], v[98:99]
	v_add_f64 v[80:81], v[80:81], -v[124:125]
	s_delay_alu instid0(VALU_DEP_2)
	v_fma_f64 v[126:127], v[112:113], v[104:105], v[106:107]
	ds_load_2addr_b64 v[106:109], v202 offset0:10 offset1:11
	ds_load_2addr_b64 v[110:113], v202 offset0:12 offset1:13
	s_waitcnt lgkmcnt(1)
	v_mul_f64 v[128:129], v[108:109], v[98:99]
	v_add_f64 v[82:83], v[82:83], -v[126:127]
	s_delay_alu instid0(VALU_DEP_2) | instskip(SKIP_1) | instid1(VALU_DEP_2)
	v_fma_f64 v[128:129], v[106:107], v[104:105], -v[128:129]
	v_mul_f64 v[106:107], v[106:107], v[98:99]
	v_add_f64 v[76:77], v[76:77], -v[128:129]
	s_delay_alu instid0(VALU_DEP_2) | instskip(SKIP_2) | instid1(VALU_DEP_2)
	v_fma_f64 v[130:131], v[108:109], v[104:105], v[106:107]
	s_waitcnt lgkmcnt(0)
	v_mul_f64 v[106:107], v[112:113], v[98:99]
	v_add_f64 v[78:79], v[78:79], -v[130:131]
	s_delay_alu instid0(VALU_DEP_2) | instskip(SKIP_1) | instid1(VALU_DEP_2)
	v_fma_f64 v[132:133], v[110:111], v[104:105], -v[106:107]
	v_mul_f64 v[106:107], v[110:111], v[98:99]
	v_add_f64 v[72:73], v[72:73], -v[132:133]
	s_delay_alu instid0(VALU_DEP_2)
	;; [unrolled: 20-line block ×10, first 2 shown]
	v_fma_f64 v[198:199], v[112:113], v[104:105], v[106:107]
	ds_load_2addr_b64 v[106:109], v202 offset0:46 offset1:47
	ds_load_2addr_b64 v[110:113], v202 offset0:48 offset1:49
	s_waitcnt lgkmcnt(1)
	v_mul_f64 v[252:253], v[108:109], v[98:99]
	v_add_f64 v[10:11], v[10:11], -v[198:199]
	s_delay_alu instid0(VALU_DEP_2) | instskip(SKIP_1) | instid1(VALU_DEP_2)
	v_fma_f64 v[252:253], v[106:107], v[104:105], -v[252:253]
	v_mul_f64 v[106:107], v[106:107], v[98:99]
	v_add_f64 v[4:5], v[4:5], -v[252:253]
	s_delay_alu instid0(VALU_DEP_2) | instskip(SKIP_2) | instid1(VALU_DEP_2)
	v_fma_f64 v[106:107], v[108:109], v[104:105], v[106:107]
	s_waitcnt lgkmcnt(0)
	v_mul_f64 v[108:109], v[112:113], v[98:99]
	v_add_f64 v[6:7], v[6:7], -v[106:107]
	s_delay_alu instid0(VALU_DEP_2) | instskip(SKIP_1) | instid1(VALU_DEP_2)
	v_fma_f64 v[108:109], v[110:111], v[104:105], -v[108:109]
	v_mul_f64 v[110:111], v[110:111], v[98:99]
	v_add_f64 v[0:1], v[0:1], -v[108:109]
	s_delay_alu instid0(VALU_DEP_2) | instskip(NEXT) | instid1(VALU_DEP_1)
	v_fma_f64 v[110:111], v[112:113], v[104:105], v[110:111]
	v_add_f64 v[2:3], v[2:3], -v[110:111]
.LBB49_10:
	s_or_b32 exec_lo, exec_lo, s4
	s_delay_alu instid0(SALU_CYCLE_1)
	s_mov_b32 s4, exec_lo
	s_waitcnt_vscnt null, 0x0
	s_barrier
	buffer_gl0_inv
	v_cmpx_eq_u32_e32 1, v254
	s_cbranch_execz .LBB49_17
; %bb.11:
	ds_store_2addr_b64 v255, v[92:93], v[94:95] offset1:1
	ds_store_2addr_b64 v202, v[88:89], v[90:91] offset0:4 offset1:5
	ds_store_2addr_b64 v202, v[84:85], v[86:87] offset0:6 offset1:7
	;; [unrolled: 1-line block ×23, first 2 shown]
	ds_load_2addr_b64 v[104:107], v255 offset1:1
	s_waitcnt lgkmcnt(0)
	v_cmp_neq_f64_e32 vcc_lo, 0, v[104:105]
	v_cmp_neq_f64_e64 s3, 0, v[106:107]
	s_delay_alu instid0(VALU_DEP_1) | instskip(NEXT) | instid1(SALU_CYCLE_1)
	s_or_b32 s3, vcc_lo, s3
	s_and_b32 exec_lo, exec_lo, s3
	s_cbranch_execz .LBB49_17
; %bb.12:
	v_cmp_gt_f64_e32 vcc_lo, 0, v[104:105]
	v_cmp_gt_f64_e64 s3, 0, v[106:107]
	v_xor_b32_e32 v100, 0x80000000, v105
	v_xor_b32_e32 v101, 0x80000000, v107
                                        ; implicit-def: $vgpr112_vgpr113
	s_delay_alu instid0(VALU_DEP_2) | instskip(NEXT) | instid1(VALU_DEP_2)
	v_cndmask_b32_e32 v109, v105, v100, vcc_lo
	v_cndmask_b32_e64 v111, v107, v101, s3
	v_cndmask_b32_e32 v108, v104, v104, vcc_lo
	v_cndmask_b32_e64 v110, v106, v106, s3
	s_mov_b32 s3, exec_lo
	s_delay_alu instid0(VALU_DEP_1)
	v_cmpx_ngt_f64_e32 v[108:109], v[110:111]
	s_xor_b32 s3, exec_lo, s3
                                        ; implicit-def: $vgpr108_vgpr109_vgpr110_vgpr111
	s_cbranch_execz .LBB49_14
; %bb.13:
	v_div_scale_f64 v[108:109], null, v[106:107], v[106:107], v[104:105]
	v_div_scale_f64 v[114:115], vcc_lo, v[104:105], v[106:107], v[104:105]
	s_delay_alu instid0(VALU_DEP_2) | instskip(SKIP_2) | instid1(VALU_DEP_1)
	v_rcp_f64_e32 v[110:111], v[108:109]
	s_waitcnt_depctr 0xfff
	v_fma_f64 v[112:113], -v[108:109], v[110:111], 1.0
	v_fma_f64 v[110:111], v[110:111], v[112:113], v[110:111]
	s_delay_alu instid0(VALU_DEP_1) | instskip(NEXT) | instid1(VALU_DEP_1)
	v_fma_f64 v[112:113], -v[108:109], v[110:111], 1.0
	v_fma_f64 v[110:111], v[110:111], v[112:113], v[110:111]
	s_delay_alu instid0(VALU_DEP_1) | instskip(NEXT) | instid1(VALU_DEP_1)
	v_mul_f64 v[112:113], v[114:115], v[110:111]
	v_fma_f64 v[108:109], -v[108:109], v[112:113], v[114:115]
	s_delay_alu instid0(VALU_DEP_1) | instskip(NEXT) | instid1(VALU_DEP_1)
	v_div_fmas_f64 v[108:109], v[108:109], v[110:111], v[112:113]
	v_div_fixup_f64 v[108:109], v[108:109], v[106:107], v[104:105]
	s_delay_alu instid0(VALU_DEP_1) | instskip(NEXT) | instid1(VALU_DEP_1)
	v_fma_f64 v[104:105], v[104:105], v[108:109], v[106:107]
	v_div_scale_f64 v[106:107], null, v[104:105], v[104:105], 1.0
	s_delay_alu instid0(VALU_DEP_1) | instskip(SKIP_2) | instid1(VALU_DEP_1)
	v_rcp_f64_e32 v[110:111], v[106:107]
	s_waitcnt_depctr 0xfff
	v_fma_f64 v[112:113], -v[106:107], v[110:111], 1.0
	v_fma_f64 v[110:111], v[110:111], v[112:113], v[110:111]
	s_delay_alu instid0(VALU_DEP_1) | instskip(NEXT) | instid1(VALU_DEP_1)
	v_fma_f64 v[112:113], -v[106:107], v[110:111], 1.0
	v_fma_f64 v[110:111], v[110:111], v[112:113], v[110:111]
	v_div_scale_f64 v[112:113], vcc_lo, 1.0, v[104:105], 1.0
	s_delay_alu instid0(VALU_DEP_1) | instskip(NEXT) | instid1(VALU_DEP_1)
	v_mul_f64 v[114:115], v[112:113], v[110:111]
	v_fma_f64 v[106:107], -v[106:107], v[114:115], v[112:113]
	s_delay_alu instid0(VALU_DEP_1) | instskip(NEXT) | instid1(VALU_DEP_1)
	v_div_fmas_f64 v[106:107], v[106:107], v[110:111], v[114:115]
	v_div_fixup_f64 v[110:111], v[106:107], v[104:105], 1.0
                                        ; implicit-def: $vgpr104_vgpr105
	s_delay_alu instid0(VALU_DEP_1)
	v_mul_f64 v[112:113], v[108:109], v[110:111]
	v_xor_b32_e32 v111, 0x80000000, v111
.LBB49_14:
	s_and_not1_saveexec_b32 s3, s3
	s_cbranch_execz .LBB49_16
; %bb.15:
	v_div_scale_f64 v[108:109], null, v[104:105], v[104:105], v[106:107]
	v_div_scale_f64 v[114:115], vcc_lo, v[106:107], v[104:105], v[106:107]
	s_delay_alu instid0(VALU_DEP_2) | instskip(SKIP_2) | instid1(VALU_DEP_1)
	v_rcp_f64_e32 v[110:111], v[108:109]
	s_waitcnt_depctr 0xfff
	v_fma_f64 v[112:113], -v[108:109], v[110:111], 1.0
	v_fma_f64 v[110:111], v[110:111], v[112:113], v[110:111]
	s_delay_alu instid0(VALU_DEP_1) | instskip(NEXT) | instid1(VALU_DEP_1)
	v_fma_f64 v[112:113], -v[108:109], v[110:111], 1.0
	v_fma_f64 v[110:111], v[110:111], v[112:113], v[110:111]
	s_delay_alu instid0(VALU_DEP_1) | instskip(NEXT) | instid1(VALU_DEP_1)
	v_mul_f64 v[112:113], v[114:115], v[110:111]
	v_fma_f64 v[108:109], -v[108:109], v[112:113], v[114:115]
	s_delay_alu instid0(VALU_DEP_1) | instskip(NEXT) | instid1(VALU_DEP_1)
	v_div_fmas_f64 v[108:109], v[108:109], v[110:111], v[112:113]
	v_div_fixup_f64 v[108:109], v[108:109], v[104:105], v[106:107]
	s_delay_alu instid0(VALU_DEP_1) | instskip(NEXT) | instid1(VALU_DEP_1)
	v_fma_f64 v[104:105], v[106:107], v[108:109], v[104:105]
	v_div_scale_f64 v[106:107], null, v[104:105], v[104:105], 1.0
	s_delay_alu instid0(VALU_DEP_1) | instskip(SKIP_2) | instid1(VALU_DEP_1)
	v_rcp_f64_e32 v[110:111], v[106:107]
	s_waitcnt_depctr 0xfff
	v_fma_f64 v[112:113], -v[106:107], v[110:111], 1.0
	v_fma_f64 v[110:111], v[110:111], v[112:113], v[110:111]
	s_delay_alu instid0(VALU_DEP_1) | instskip(NEXT) | instid1(VALU_DEP_1)
	v_fma_f64 v[112:113], -v[106:107], v[110:111], 1.0
	v_fma_f64 v[110:111], v[110:111], v[112:113], v[110:111]
	v_div_scale_f64 v[112:113], vcc_lo, 1.0, v[104:105], 1.0
	s_delay_alu instid0(VALU_DEP_1) | instskip(NEXT) | instid1(VALU_DEP_1)
	v_mul_f64 v[114:115], v[112:113], v[110:111]
	v_fma_f64 v[106:107], -v[106:107], v[114:115], v[112:113]
	s_delay_alu instid0(VALU_DEP_1) | instskip(NEXT) | instid1(VALU_DEP_1)
	v_div_fmas_f64 v[106:107], v[106:107], v[110:111], v[114:115]
	v_div_fixup_f64 v[112:113], v[106:107], v[104:105], 1.0
	s_delay_alu instid0(VALU_DEP_1)
	v_mul_f64 v[110:111], v[108:109], -v[112:113]
.LBB49_16:
	s_or_b32 exec_lo, exec_lo, s3
	ds_store_2addr_b64 v255, v[112:113], v[110:111] offset1:1
.LBB49_17:
	s_or_b32 exec_lo, exec_lo, s4
	s_waitcnt lgkmcnt(0)
	s_barrier
	buffer_gl0_inv
	ds_load_2addr_b64 v[100:103], v255 offset1:1
	s_mov_b32 s3, exec_lo
	s_waitcnt lgkmcnt(0)
	scratch_store_b128 off, v[100:103], off offset:24 ; 16-byte Folded Spill
	v_cmpx_lt_u32_e32 1, v254
	s_cbranch_execz .LBB49_19
; %bb.18:
	scratch_load_b128 v[100:103], off, off offset:24 ; 16-byte Folded Reload
	ds_load_2addr_b64 v[110:113], v202 offset0:4 offset1:5
	ds_load_2addr_b64 v[114:117], v202 offset0:6 offset1:7
	;; [unrolled: 1-line block ×4, first 2 shown]
	s_waitcnt vmcnt(0)
	v_mul_f64 v[108:109], v[102:103], v[94:95]
	v_mul_f64 v[94:95], v[100:101], v[94:95]
	s_delay_alu instid0(VALU_DEP_2) | instskip(NEXT) | instid1(VALU_DEP_2)
	v_fma_f64 v[108:109], v[100:101], v[92:93], -v[108:109]
	v_fma_f64 v[94:95], v[102:103], v[92:93], v[94:95]
	s_waitcnt lgkmcnt(3)
	s_delay_alu instid0(VALU_DEP_1) | instskip(NEXT) | instid1(VALU_DEP_1)
	v_mul_f64 v[92:93], v[112:113], v[94:95]
	v_fma_f64 v[92:93], v[110:111], v[108:109], -v[92:93]
	v_mul_f64 v[110:111], v[110:111], v[94:95]
	s_delay_alu instid0(VALU_DEP_2) | instskip(NEXT) | instid1(VALU_DEP_2)
	v_add_f64 v[88:89], v[88:89], -v[92:93]
	v_fma_f64 v[110:111], v[112:113], v[108:109], v[110:111]
	s_waitcnt lgkmcnt(2)
	v_mul_f64 v[112:113], v[116:117], v[94:95]
	v_dual_mov_b32 v92, v108 :: v_dual_mov_b32 v93, v109
	s_delay_alu instid0(VALU_DEP_3) | instskip(NEXT) | instid1(VALU_DEP_3)
	v_add_f64 v[90:91], v[90:91], -v[110:111]
	v_fma_f64 v[112:113], v[114:115], v[108:109], -v[112:113]
	v_mul_f64 v[114:115], v[114:115], v[94:95]
	s_delay_alu instid0(VALU_DEP_2) | instskip(NEXT) | instid1(VALU_DEP_2)
	v_add_f64 v[84:85], v[84:85], -v[112:113]
	v_fma_f64 v[114:115], v[116:117], v[108:109], v[114:115]
	s_waitcnt lgkmcnt(1)
	v_mul_f64 v[116:117], v[120:121], v[94:95]
	s_delay_alu instid0(VALU_DEP_2) | instskip(NEXT) | instid1(VALU_DEP_2)
	v_add_f64 v[86:87], v[86:87], -v[114:115]
	v_fma_f64 v[116:117], v[118:119], v[108:109], -v[116:117]
	v_mul_f64 v[118:119], v[118:119], v[94:95]
	s_delay_alu instid0(VALU_DEP_2) | instskip(NEXT) | instid1(VALU_DEP_2)
	v_add_f64 v[80:81], v[80:81], -v[116:117]
	v_fma_f64 v[118:119], v[120:121], v[108:109], v[118:119]
	s_waitcnt lgkmcnt(0)
	v_mul_f64 v[120:121], v[124:125], v[94:95]
	s_delay_alu instid0(VALU_DEP_2) | instskip(NEXT) | instid1(VALU_DEP_2)
	v_add_f64 v[82:83], v[82:83], -v[118:119]
	v_fma_f64 v[120:121], v[122:123], v[108:109], -v[120:121]
	v_mul_f64 v[122:123], v[122:123], v[94:95]
	s_delay_alu instid0(VALU_DEP_2) | instskip(NEXT) | instid1(VALU_DEP_2)
	v_add_f64 v[76:77], v[76:77], -v[120:121]
	v_fma_f64 v[122:123], v[124:125], v[108:109], v[122:123]
	ds_load_2addr_b64 v[124:127], v202 offset0:12 offset1:13
	ds_load_2addr_b64 v[128:131], v202 offset0:14 offset1:15
	s_waitcnt lgkmcnt(1)
	v_mul_f64 v[132:133], v[126:127], v[94:95]
	v_add_f64 v[78:79], v[78:79], -v[122:123]
	s_delay_alu instid0(VALU_DEP_2) | instskip(SKIP_1) | instid1(VALU_DEP_2)
	v_fma_f64 v[132:133], v[124:125], v[108:109], -v[132:133]
	v_mul_f64 v[124:125], v[124:125], v[94:95]
	v_add_f64 v[72:73], v[72:73], -v[132:133]
	s_delay_alu instid0(VALU_DEP_2) | instskip(SKIP_2) | instid1(VALU_DEP_2)
	v_fma_f64 v[134:135], v[126:127], v[108:109], v[124:125]
	s_waitcnt lgkmcnt(0)
	v_mul_f64 v[124:125], v[130:131], v[94:95]
	v_add_f64 v[74:75], v[74:75], -v[134:135]
	s_delay_alu instid0(VALU_DEP_2) | instskip(SKIP_1) | instid1(VALU_DEP_2)
	v_fma_f64 v[136:137], v[128:129], v[108:109], -v[124:125]
	v_mul_f64 v[124:125], v[128:129], v[94:95]
	v_add_f64 v[68:69], v[68:69], -v[136:137]
	s_delay_alu instid0(VALU_DEP_2)
	v_fma_f64 v[138:139], v[130:131], v[108:109], v[124:125]
	ds_load_2addr_b64 v[124:127], v202 offset0:16 offset1:17
	ds_load_2addr_b64 v[128:131], v202 offset0:18 offset1:19
	s_waitcnt lgkmcnt(1)
	v_mul_f64 v[140:141], v[126:127], v[94:95]
	v_add_f64 v[70:71], v[70:71], -v[138:139]
	s_delay_alu instid0(VALU_DEP_2) | instskip(SKIP_1) | instid1(VALU_DEP_2)
	v_fma_f64 v[140:141], v[124:125], v[108:109], -v[140:141]
	v_mul_f64 v[124:125], v[124:125], v[94:95]
	v_add_f64 v[64:65], v[64:65], -v[140:141]
	s_delay_alu instid0(VALU_DEP_2) | instskip(SKIP_2) | instid1(VALU_DEP_2)
	v_fma_f64 v[142:143], v[126:127], v[108:109], v[124:125]
	s_waitcnt lgkmcnt(0)
	v_mul_f64 v[124:125], v[130:131], v[94:95]
	v_add_f64 v[66:67], v[66:67], -v[142:143]
	s_delay_alu instid0(VALU_DEP_2) | instskip(SKIP_1) | instid1(VALU_DEP_2)
	v_fma_f64 v[144:145], v[128:129], v[108:109], -v[124:125]
	v_mul_f64 v[124:125], v[128:129], v[94:95]
	v_add_f64 v[60:61], v[60:61], -v[144:145]
	s_delay_alu instid0(VALU_DEP_2)
	;; [unrolled: 20-line block ×8, first 2 shown]
	v_fma_f64 v[194:195], v[130:131], v[108:109], v[124:125]
	ds_load_2addr_b64 v[124:127], v202 offset0:44 offset1:45
	ds_load_2addr_b64 v[128:131], v202 offset0:46 offset1:47
	s_waitcnt lgkmcnt(1)
	v_mul_f64 v[196:197], v[126:127], v[94:95]
	v_add_f64 v[14:15], v[14:15], -v[194:195]
	s_delay_alu instid0(VALU_DEP_2) | instskip(SKIP_1) | instid1(VALU_DEP_2)
	v_fma_f64 v[196:197], v[124:125], v[108:109], -v[196:197]
	v_mul_f64 v[124:125], v[124:125], v[94:95]
	v_add_f64 v[8:9], v[8:9], -v[196:197]
	s_delay_alu instid0(VALU_DEP_2) | instskip(SKIP_2) | instid1(VALU_DEP_2)
	v_fma_f64 v[198:199], v[126:127], v[108:109], v[124:125]
	s_waitcnt lgkmcnt(0)
	v_mul_f64 v[124:125], v[130:131], v[94:95]
	v_add_f64 v[10:11], v[10:11], -v[198:199]
	s_delay_alu instid0(VALU_DEP_2) | instskip(SKIP_1) | instid1(VALU_DEP_2)
	v_fma_f64 v[252:253], v[128:129], v[108:109], -v[124:125]
	v_mul_f64 v[124:125], v[128:129], v[94:95]
	v_add_f64 v[4:5], v[4:5], -v[252:253]
	s_delay_alu instid0(VALU_DEP_2) | instskip(SKIP_4) | instid1(VALU_DEP_2)
	v_fma_f64 v[128:129], v[130:131], v[108:109], v[124:125]
	ds_load_2addr_b64 v[124:127], v202 offset0:48 offset1:49
	s_waitcnt lgkmcnt(0)
	v_mul_f64 v[130:131], v[126:127], v[94:95]
	v_add_f64 v[6:7], v[6:7], -v[128:129]
	v_fma_f64 v[130:131], v[124:125], v[108:109], -v[130:131]
	v_mul_f64 v[124:125], v[124:125], v[94:95]
	s_delay_alu instid0(VALU_DEP_2) | instskip(NEXT) | instid1(VALU_DEP_2)
	v_add_f64 v[0:1], v[0:1], -v[130:131]
	v_fma_f64 v[124:125], v[126:127], v[108:109], v[124:125]
	s_delay_alu instid0(VALU_DEP_1)
	v_add_f64 v[2:3], v[2:3], -v[124:125]
.LBB49_19:
	s_or_b32 exec_lo, exec_lo, s3
	s_delay_alu instid0(SALU_CYCLE_1)
	s_mov_b32 s4, exec_lo
	s_waitcnt_vscnt null, 0x0
	s_barrier
	buffer_gl0_inv
	v_cmpx_eq_u32_e32 2, v254
	s_cbranch_execz .LBB49_26
; %bb.20:
	ds_store_2addr_b64 v255, v[88:89], v[90:91] offset1:1
	ds_store_2addr_b64 v202, v[84:85], v[86:87] offset0:6 offset1:7
	ds_store_2addr_b64 v202, v[80:81], v[82:83] offset0:8 offset1:9
	ds_store_2addr_b64 v202, v[76:77], v[78:79] offset0:10 offset1:11
	ds_store_2addr_b64 v202, v[72:73], v[74:75] offset0:12 offset1:13
	ds_store_2addr_b64 v202, v[68:69], v[70:71] offset0:14 offset1:15
	ds_store_2addr_b64 v202, v[64:65], v[66:67] offset0:16 offset1:17
	ds_store_2addr_b64 v202, v[60:61], v[62:63] offset0:18 offset1:19
	ds_store_2addr_b64 v202, v[56:57], v[58:59] offset0:20 offset1:21
	ds_store_2addr_b64 v202, v[52:53], v[54:55] offset0:22 offset1:23
	ds_store_2addr_b64 v202, v[48:49], v[50:51] offset0:24 offset1:25
	ds_store_2addr_b64 v202, v[44:45], v[46:47] offset0:26 offset1:27
	ds_store_2addr_b64 v202, v[40:41], v[42:43] offset0:28 offset1:29
	ds_store_2addr_b64 v202, v[36:37], v[38:39] offset0:30 offset1:31
	ds_store_2addr_b64 v202, v[32:33], v[34:35] offset0:32 offset1:33
	ds_store_2addr_b64 v202, v[28:29], v[30:31] offset0:34 offset1:35
	ds_store_2addr_b64 v202, v[24:25], v[26:27] offset0:36 offset1:37
	ds_store_2addr_b64 v202, v[20:21], v[22:23] offset0:38 offset1:39
	ds_store_2addr_b64 v202, v[16:17], v[18:19] offset0:40 offset1:41
	ds_store_2addr_b64 v202, v[12:13], v[14:15] offset0:42 offset1:43
	ds_store_2addr_b64 v202, v[8:9], v[10:11] offset0:44 offset1:45
	ds_store_2addr_b64 v202, v[4:5], v[6:7] offset0:46 offset1:47
	ds_store_2addr_b64 v202, v[0:1], v[2:3] offset0:48 offset1:49
	ds_load_2addr_b64 v[108:111], v255 offset1:1
	s_waitcnt lgkmcnt(0)
	v_cmp_neq_f64_e32 vcc_lo, 0, v[108:109]
	v_cmp_neq_f64_e64 s3, 0, v[110:111]
	s_delay_alu instid0(VALU_DEP_1) | instskip(NEXT) | instid1(SALU_CYCLE_1)
	s_or_b32 s3, vcc_lo, s3
	s_and_b32 exec_lo, exec_lo, s3
	s_cbranch_execz .LBB49_26
; %bb.21:
	v_cmp_gt_f64_e32 vcc_lo, 0, v[108:109]
	v_cmp_gt_f64_e64 s3, 0, v[110:111]
	v_xor_b32_e32 v100, 0x80000000, v109
	v_xor_b32_e32 v101, 0x80000000, v111
                                        ; implicit-def: $vgpr116_vgpr117
	s_delay_alu instid0(VALU_DEP_2) | instskip(NEXT) | instid1(VALU_DEP_2)
	v_cndmask_b32_e32 v113, v109, v100, vcc_lo
	v_cndmask_b32_e64 v115, v111, v101, s3
	v_cndmask_b32_e32 v112, v108, v108, vcc_lo
	v_cndmask_b32_e64 v114, v110, v110, s3
	s_mov_b32 s3, exec_lo
	s_delay_alu instid0(VALU_DEP_1)
	v_cmpx_ngt_f64_e32 v[112:113], v[114:115]
	s_xor_b32 s3, exec_lo, s3
                                        ; implicit-def: $vgpr112_vgpr113_vgpr114_vgpr115
	s_cbranch_execz .LBB49_23
; %bb.22:
	v_div_scale_f64 v[112:113], null, v[110:111], v[110:111], v[108:109]
	v_div_scale_f64 v[118:119], vcc_lo, v[108:109], v[110:111], v[108:109]
	s_delay_alu instid0(VALU_DEP_2) | instskip(SKIP_2) | instid1(VALU_DEP_1)
	v_rcp_f64_e32 v[114:115], v[112:113]
	s_waitcnt_depctr 0xfff
	v_fma_f64 v[116:117], -v[112:113], v[114:115], 1.0
	v_fma_f64 v[114:115], v[114:115], v[116:117], v[114:115]
	s_delay_alu instid0(VALU_DEP_1) | instskip(NEXT) | instid1(VALU_DEP_1)
	v_fma_f64 v[116:117], -v[112:113], v[114:115], 1.0
	v_fma_f64 v[114:115], v[114:115], v[116:117], v[114:115]
	s_delay_alu instid0(VALU_DEP_1) | instskip(NEXT) | instid1(VALU_DEP_1)
	v_mul_f64 v[116:117], v[118:119], v[114:115]
	v_fma_f64 v[112:113], -v[112:113], v[116:117], v[118:119]
	s_delay_alu instid0(VALU_DEP_1) | instskip(NEXT) | instid1(VALU_DEP_1)
	v_div_fmas_f64 v[112:113], v[112:113], v[114:115], v[116:117]
	v_div_fixup_f64 v[112:113], v[112:113], v[110:111], v[108:109]
	s_delay_alu instid0(VALU_DEP_1) | instskip(NEXT) | instid1(VALU_DEP_1)
	v_fma_f64 v[108:109], v[108:109], v[112:113], v[110:111]
	v_div_scale_f64 v[110:111], null, v[108:109], v[108:109], 1.0
	s_delay_alu instid0(VALU_DEP_1) | instskip(SKIP_2) | instid1(VALU_DEP_1)
	v_rcp_f64_e32 v[114:115], v[110:111]
	s_waitcnt_depctr 0xfff
	v_fma_f64 v[116:117], -v[110:111], v[114:115], 1.0
	v_fma_f64 v[114:115], v[114:115], v[116:117], v[114:115]
	s_delay_alu instid0(VALU_DEP_1) | instskip(NEXT) | instid1(VALU_DEP_1)
	v_fma_f64 v[116:117], -v[110:111], v[114:115], 1.0
	v_fma_f64 v[114:115], v[114:115], v[116:117], v[114:115]
	v_div_scale_f64 v[116:117], vcc_lo, 1.0, v[108:109], 1.0
	s_delay_alu instid0(VALU_DEP_1) | instskip(NEXT) | instid1(VALU_DEP_1)
	v_mul_f64 v[118:119], v[116:117], v[114:115]
	v_fma_f64 v[110:111], -v[110:111], v[118:119], v[116:117]
	s_delay_alu instid0(VALU_DEP_1) | instskip(NEXT) | instid1(VALU_DEP_1)
	v_div_fmas_f64 v[110:111], v[110:111], v[114:115], v[118:119]
	v_div_fixup_f64 v[114:115], v[110:111], v[108:109], 1.0
                                        ; implicit-def: $vgpr108_vgpr109
	s_delay_alu instid0(VALU_DEP_1)
	v_mul_f64 v[116:117], v[112:113], v[114:115]
	v_xor_b32_e32 v115, 0x80000000, v115
.LBB49_23:
	s_and_not1_saveexec_b32 s3, s3
	s_cbranch_execz .LBB49_25
; %bb.24:
	v_div_scale_f64 v[112:113], null, v[108:109], v[108:109], v[110:111]
	v_div_scale_f64 v[118:119], vcc_lo, v[110:111], v[108:109], v[110:111]
	s_delay_alu instid0(VALU_DEP_2) | instskip(SKIP_2) | instid1(VALU_DEP_1)
	v_rcp_f64_e32 v[114:115], v[112:113]
	s_waitcnt_depctr 0xfff
	v_fma_f64 v[116:117], -v[112:113], v[114:115], 1.0
	v_fma_f64 v[114:115], v[114:115], v[116:117], v[114:115]
	s_delay_alu instid0(VALU_DEP_1) | instskip(NEXT) | instid1(VALU_DEP_1)
	v_fma_f64 v[116:117], -v[112:113], v[114:115], 1.0
	v_fma_f64 v[114:115], v[114:115], v[116:117], v[114:115]
	s_delay_alu instid0(VALU_DEP_1) | instskip(NEXT) | instid1(VALU_DEP_1)
	v_mul_f64 v[116:117], v[118:119], v[114:115]
	v_fma_f64 v[112:113], -v[112:113], v[116:117], v[118:119]
	s_delay_alu instid0(VALU_DEP_1) | instskip(NEXT) | instid1(VALU_DEP_1)
	v_div_fmas_f64 v[112:113], v[112:113], v[114:115], v[116:117]
	v_div_fixup_f64 v[112:113], v[112:113], v[108:109], v[110:111]
	s_delay_alu instid0(VALU_DEP_1) | instskip(NEXT) | instid1(VALU_DEP_1)
	v_fma_f64 v[108:109], v[110:111], v[112:113], v[108:109]
	v_div_scale_f64 v[110:111], null, v[108:109], v[108:109], 1.0
	s_delay_alu instid0(VALU_DEP_1) | instskip(SKIP_2) | instid1(VALU_DEP_1)
	v_rcp_f64_e32 v[114:115], v[110:111]
	s_waitcnt_depctr 0xfff
	v_fma_f64 v[116:117], -v[110:111], v[114:115], 1.0
	v_fma_f64 v[114:115], v[114:115], v[116:117], v[114:115]
	s_delay_alu instid0(VALU_DEP_1) | instskip(NEXT) | instid1(VALU_DEP_1)
	v_fma_f64 v[116:117], -v[110:111], v[114:115], 1.0
	v_fma_f64 v[114:115], v[114:115], v[116:117], v[114:115]
	v_div_scale_f64 v[116:117], vcc_lo, 1.0, v[108:109], 1.0
	s_delay_alu instid0(VALU_DEP_1) | instskip(NEXT) | instid1(VALU_DEP_1)
	v_mul_f64 v[118:119], v[116:117], v[114:115]
	v_fma_f64 v[110:111], -v[110:111], v[118:119], v[116:117]
	s_delay_alu instid0(VALU_DEP_1) | instskip(NEXT) | instid1(VALU_DEP_1)
	v_div_fmas_f64 v[110:111], v[110:111], v[114:115], v[118:119]
	v_div_fixup_f64 v[116:117], v[110:111], v[108:109], 1.0
	s_delay_alu instid0(VALU_DEP_1)
	v_mul_f64 v[114:115], v[112:113], -v[116:117]
.LBB49_25:
	s_or_b32 exec_lo, exec_lo, s3
	ds_store_2addr_b64 v255, v[116:117], v[114:115] offset1:1
.LBB49_26:
	s_or_b32 exec_lo, exec_lo, s4
	s_waitcnt lgkmcnt(0)
	s_barrier
	buffer_gl0_inv
	ds_load_2addr_b64 v[108:111], v255 offset1:1
	s_mov_b32 s3, exec_lo
	v_cmpx_lt_u32_e32 2, v254
	s_cbranch_execz .LBB49_28
; %bb.27:
	s_waitcnt lgkmcnt(0)
	v_mul_f64 v[112:113], v[110:111], v[90:91]
	v_mul_f64 v[90:91], v[108:109], v[90:91]
	ds_load_2addr_b64 v[114:117], v202 offset0:6 offset1:7
	ds_load_2addr_b64 v[118:121], v202 offset0:8 offset1:9
	;; [unrolled: 1-line block ×4, first 2 shown]
	v_fma_f64 v[112:113], v[108:109], v[88:89], -v[112:113]
	v_fma_f64 v[90:91], v[110:111], v[88:89], v[90:91]
	s_waitcnt lgkmcnt(3)
	s_delay_alu instid0(VALU_DEP_1) | instskip(NEXT) | instid1(VALU_DEP_1)
	v_mul_f64 v[88:89], v[116:117], v[90:91]
	v_fma_f64 v[88:89], v[114:115], v[112:113], -v[88:89]
	v_mul_f64 v[114:115], v[114:115], v[90:91]
	s_delay_alu instid0(VALU_DEP_2) | instskip(NEXT) | instid1(VALU_DEP_2)
	v_add_f64 v[84:85], v[84:85], -v[88:89]
	v_fma_f64 v[114:115], v[116:117], v[112:113], v[114:115]
	s_waitcnt lgkmcnt(2)
	v_mul_f64 v[116:117], v[120:121], v[90:91]
	v_dual_mov_b32 v88, v112 :: v_dual_mov_b32 v89, v113
	s_delay_alu instid0(VALU_DEP_3) | instskip(NEXT) | instid1(VALU_DEP_3)
	v_add_f64 v[86:87], v[86:87], -v[114:115]
	v_fma_f64 v[116:117], v[118:119], v[112:113], -v[116:117]
	v_mul_f64 v[118:119], v[118:119], v[90:91]
	s_delay_alu instid0(VALU_DEP_2) | instskip(NEXT) | instid1(VALU_DEP_2)
	v_add_f64 v[80:81], v[80:81], -v[116:117]
	v_fma_f64 v[118:119], v[120:121], v[112:113], v[118:119]
	s_waitcnt lgkmcnt(1)
	v_mul_f64 v[120:121], v[124:125], v[90:91]
	s_delay_alu instid0(VALU_DEP_2) | instskip(NEXT) | instid1(VALU_DEP_2)
	v_add_f64 v[82:83], v[82:83], -v[118:119]
	v_fma_f64 v[120:121], v[122:123], v[112:113], -v[120:121]
	v_mul_f64 v[122:123], v[122:123], v[90:91]
	s_delay_alu instid0(VALU_DEP_2) | instskip(NEXT) | instid1(VALU_DEP_2)
	v_add_f64 v[76:77], v[76:77], -v[120:121]
	v_fma_f64 v[122:123], v[124:125], v[112:113], v[122:123]
	s_waitcnt lgkmcnt(0)
	v_mul_f64 v[124:125], v[128:129], v[90:91]
	s_delay_alu instid0(VALU_DEP_2) | instskip(NEXT) | instid1(VALU_DEP_2)
	v_add_f64 v[78:79], v[78:79], -v[122:123]
	v_fma_f64 v[124:125], v[126:127], v[112:113], -v[124:125]
	v_mul_f64 v[126:127], v[126:127], v[90:91]
	s_delay_alu instid0(VALU_DEP_2) | instskip(NEXT) | instid1(VALU_DEP_2)
	v_add_f64 v[72:73], v[72:73], -v[124:125]
	v_fma_f64 v[126:127], v[128:129], v[112:113], v[126:127]
	ds_load_2addr_b64 v[128:131], v202 offset0:14 offset1:15
	ds_load_2addr_b64 v[132:135], v202 offset0:16 offset1:17
	s_waitcnt lgkmcnt(1)
	v_mul_f64 v[136:137], v[130:131], v[90:91]
	v_add_f64 v[74:75], v[74:75], -v[126:127]
	s_delay_alu instid0(VALU_DEP_2) | instskip(SKIP_1) | instid1(VALU_DEP_2)
	v_fma_f64 v[136:137], v[128:129], v[112:113], -v[136:137]
	v_mul_f64 v[128:129], v[128:129], v[90:91]
	v_add_f64 v[68:69], v[68:69], -v[136:137]
	s_delay_alu instid0(VALU_DEP_2) | instskip(SKIP_2) | instid1(VALU_DEP_2)
	v_fma_f64 v[138:139], v[130:131], v[112:113], v[128:129]
	s_waitcnt lgkmcnt(0)
	v_mul_f64 v[128:129], v[134:135], v[90:91]
	v_add_f64 v[70:71], v[70:71], -v[138:139]
	s_delay_alu instid0(VALU_DEP_2) | instskip(SKIP_1) | instid1(VALU_DEP_2)
	v_fma_f64 v[140:141], v[132:133], v[112:113], -v[128:129]
	v_mul_f64 v[128:129], v[132:133], v[90:91]
	v_add_f64 v[64:65], v[64:65], -v[140:141]
	s_delay_alu instid0(VALU_DEP_2)
	v_fma_f64 v[142:143], v[134:135], v[112:113], v[128:129]
	ds_load_2addr_b64 v[128:131], v202 offset0:18 offset1:19
	ds_load_2addr_b64 v[132:135], v202 offset0:20 offset1:21
	s_waitcnt lgkmcnt(1)
	v_mul_f64 v[144:145], v[130:131], v[90:91]
	v_add_f64 v[66:67], v[66:67], -v[142:143]
	s_delay_alu instid0(VALU_DEP_2) | instskip(SKIP_1) | instid1(VALU_DEP_2)
	v_fma_f64 v[144:145], v[128:129], v[112:113], -v[144:145]
	v_mul_f64 v[128:129], v[128:129], v[90:91]
	v_add_f64 v[60:61], v[60:61], -v[144:145]
	s_delay_alu instid0(VALU_DEP_2) | instskip(SKIP_2) | instid1(VALU_DEP_2)
	v_fma_f64 v[146:147], v[130:131], v[112:113], v[128:129]
	s_waitcnt lgkmcnt(0)
	v_mul_f64 v[128:129], v[134:135], v[90:91]
	v_add_f64 v[62:63], v[62:63], -v[146:147]
	s_delay_alu instid0(VALU_DEP_2) | instskip(SKIP_1) | instid1(VALU_DEP_2)
	v_fma_f64 v[148:149], v[132:133], v[112:113], -v[128:129]
	v_mul_f64 v[128:129], v[132:133], v[90:91]
	v_add_f64 v[56:57], v[56:57], -v[148:149]
	s_delay_alu instid0(VALU_DEP_2)
	v_fma_f64 v[150:151], v[134:135], v[112:113], v[128:129]
	ds_load_2addr_b64 v[128:131], v202 offset0:22 offset1:23
	ds_load_2addr_b64 v[132:135], v202 offset0:24 offset1:25
	s_waitcnt lgkmcnt(1)
	v_mul_f64 v[152:153], v[130:131], v[90:91]
	v_add_f64 v[58:59], v[58:59], -v[150:151]
	s_delay_alu instid0(VALU_DEP_2) | instskip(SKIP_1) | instid1(VALU_DEP_2)
	v_fma_f64 v[152:153], v[128:129], v[112:113], -v[152:153]
	v_mul_f64 v[128:129], v[128:129], v[90:91]
	v_add_f64 v[52:53], v[52:53], -v[152:153]
	s_delay_alu instid0(VALU_DEP_2) | instskip(SKIP_2) | instid1(VALU_DEP_2)
	v_fma_f64 v[154:155], v[130:131], v[112:113], v[128:129]
	s_waitcnt lgkmcnt(0)
	v_mul_f64 v[128:129], v[134:135], v[90:91]
	v_add_f64 v[54:55], v[54:55], -v[154:155]
	s_delay_alu instid0(VALU_DEP_2) | instskip(SKIP_1) | instid1(VALU_DEP_2)
	v_fma_f64 v[156:157], v[132:133], v[112:113], -v[128:129]
	v_mul_f64 v[128:129], v[132:133], v[90:91]
	v_add_f64 v[48:49], v[48:49], -v[156:157]
	s_delay_alu instid0(VALU_DEP_2)
	v_fma_f64 v[158:159], v[134:135], v[112:113], v[128:129]
	ds_load_2addr_b64 v[128:131], v202 offset0:26 offset1:27
	ds_load_2addr_b64 v[132:135], v202 offset0:28 offset1:29
	s_waitcnt lgkmcnt(1)
	v_mul_f64 v[160:161], v[130:131], v[90:91]
	v_add_f64 v[50:51], v[50:51], -v[158:159]
	s_delay_alu instid0(VALU_DEP_2) | instskip(SKIP_1) | instid1(VALU_DEP_2)
	v_fma_f64 v[160:161], v[128:129], v[112:113], -v[160:161]
	v_mul_f64 v[128:129], v[128:129], v[90:91]
	v_add_f64 v[44:45], v[44:45], -v[160:161]
	s_delay_alu instid0(VALU_DEP_2) | instskip(SKIP_2) | instid1(VALU_DEP_2)
	v_fma_f64 v[162:163], v[130:131], v[112:113], v[128:129]
	s_waitcnt lgkmcnt(0)
	v_mul_f64 v[128:129], v[134:135], v[90:91]
	v_add_f64 v[46:47], v[46:47], -v[162:163]
	s_delay_alu instid0(VALU_DEP_2) | instskip(SKIP_1) | instid1(VALU_DEP_2)
	v_fma_f64 v[164:165], v[132:133], v[112:113], -v[128:129]
	v_mul_f64 v[128:129], v[132:133], v[90:91]
	v_add_f64 v[40:41], v[40:41], -v[164:165]
	s_delay_alu instid0(VALU_DEP_2)
	v_fma_f64 v[166:167], v[134:135], v[112:113], v[128:129]
	ds_load_2addr_b64 v[128:131], v202 offset0:30 offset1:31
	ds_load_2addr_b64 v[132:135], v202 offset0:32 offset1:33
	s_waitcnt lgkmcnt(1)
	v_mul_f64 v[168:169], v[130:131], v[90:91]
	v_add_f64 v[42:43], v[42:43], -v[166:167]
	s_delay_alu instid0(VALU_DEP_2) | instskip(SKIP_1) | instid1(VALU_DEP_2)
	v_fma_f64 v[168:169], v[128:129], v[112:113], -v[168:169]
	v_mul_f64 v[128:129], v[128:129], v[90:91]
	v_add_f64 v[36:37], v[36:37], -v[168:169]
	s_delay_alu instid0(VALU_DEP_2) | instskip(SKIP_2) | instid1(VALU_DEP_2)
	v_fma_f64 v[170:171], v[130:131], v[112:113], v[128:129]
	s_waitcnt lgkmcnt(0)
	v_mul_f64 v[128:129], v[134:135], v[90:91]
	v_add_f64 v[38:39], v[38:39], -v[170:171]
	s_delay_alu instid0(VALU_DEP_2) | instskip(SKIP_1) | instid1(VALU_DEP_2)
	v_fma_f64 v[172:173], v[132:133], v[112:113], -v[128:129]
	v_mul_f64 v[128:129], v[132:133], v[90:91]
	v_add_f64 v[32:33], v[32:33], -v[172:173]
	s_delay_alu instid0(VALU_DEP_2)
	v_fma_f64 v[174:175], v[134:135], v[112:113], v[128:129]
	ds_load_2addr_b64 v[128:131], v202 offset0:34 offset1:35
	ds_load_2addr_b64 v[132:135], v202 offset0:36 offset1:37
	s_waitcnt lgkmcnt(1)
	v_mul_f64 v[176:177], v[130:131], v[90:91]
	v_add_f64 v[34:35], v[34:35], -v[174:175]
	s_delay_alu instid0(VALU_DEP_2) | instskip(SKIP_1) | instid1(VALU_DEP_2)
	v_fma_f64 v[176:177], v[128:129], v[112:113], -v[176:177]
	v_mul_f64 v[128:129], v[128:129], v[90:91]
	v_add_f64 v[28:29], v[28:29], -v[176:177]
	s_delay_alu instid0(VALU_DEP_2) | instskip(SKIP_2) | instid1(VALU_DEP_2)
	v_fma_f64 v[178:179], v[130:131], v[112:113], v[128:129]
	s_waitcnt lgkmcnt(0)
	v_mul_f64 v[128:129], v[134:135], v[90:91]
	v_add_f64 v[30:31], v[30:31], -v[178:179]
	s_delay_alu instid0(VALU_DEP_2) | instskip(SKIP_1) | instid1(VALU_DEP_2)
	v_fma_f64 v[180:181], v[132:133], v[112:113], -v[128:129]
	v_mul_f64 v[128:129], v[132:133], v[90:91]
	v_add_f64 v[24:25], v[24:25], -v[180:181]
	s_delay_alu instid0(VALU_DEP_2)
	v_fma_f64 v[182:183], v[134:135], v[112:113], v[128:129]
	ds_load_2addr_b64 v[128:131], v202 offset0:38 offset1:39
	ds_load_2addr_b64 v[132:135], v202 offset0:40 offset1:41
	s_waitcnt lgkmcnt(1)
	v_mul_f64 v[184:185], v[130:131], v[90:91]
	v_add_f64 v[26:27], v[26:27], -v[182:183]
	s_delay_alu instid0(VALU_DEP_2) | instskip(SKIP_1) | instid1(VALU_DEP_2)
	v_fma_f64 v[184:185], v[128:129], v[112:113], -v[184:185]
	v_mul_f64 v[128:129], v[128:129], v[90:91]
	v_add_f64 v[20:21], v[20:21], -v[184:185]
	s_delay_alu instid0(VALU_DEP_2) | instskip(SKIP_2) | instid1(VALU_DEP_2)
	v_fma_f64 v[186:187], v[130:131], v[112:113], v[128:129]
	s_waitcnt lgkmcnt(0)
	v_mul_f64 v[128:129], v[134:135], v[90:91]
	v_add_f64 v[22:23], v[22:23], -v[186:187]
	s_delay_alu instid0(VALU_DEP_2) | instskip(SKIP_1) | instid1(VALU_DEP_2)
	v_fma_f64 v[188:189], v[132:133], v[112:113], -v[128:129]
	v_mul_f64 v[128:129], v[132:133], v[90:91]
	v_add_f64 v[16:17], v[16:17], -v[188:189]
	s_delay_alu instid0(VALU_DEP_2)
	v_fma_f64 v[190:191], v[134:135], v[112:113], v[128:129]
	ds_load_2addr_b64 v[128:131], v202 offset0:42 offset1:43
	ds_load_2addr_b64 v[132:135], v202 offset0:44 offset1:45
	s_waitcnt lgkmcnt(1)
	v_mul_f64 v[192:193], v[130:131], v[90:91]
	v_add_f64 v[18:19], v[18:19], -v[190:191]
	s_delay_alu instid0(VALU_DEP_2) | instskip(SKIP_1) | instid1(VALU_DEP_2)
	v_fma_f64 v[192:193], v[128:129], v[112:113], -v[192:193]
	v_mul_f64 v[128:129], v[128:129], v[90:91]
	v_add_f64 v[12:13], v[12:13], -v[192:193]
	s_delay_alu instid0(VALU_DEP_2) | instskip(SKIP_2) | instid1(VALU_DEP_2)
	v_fma_f64 v[194:195], v[130:131], v[112:113], v[128:129]
	s_waitcnt lgkmcnt(0)
	v_mul_f64 v[128:129], v[134:135], v[90:91]
	v_add_f64 v[14:15], v[14:15], -v[194:195]
	s_delay_alu instid0(VALU_DEP_2) | instskip(SKIP_1) | instid1(VALU_DEP_2)
	v_fma_f64 v[196:197], v[132:133], v[112:113], -v[128:129]
	v_mul_f64 v[128:129], v[132:133], v[90:91]
	v_add_f64 v[8:9], v[8:9], -v[196:197]
	s_delay_alu instid0(VALU_DEP_2)
	v_fma_f64 v[198:199], v[134:135], v[112:113], v[128:129]
	ds_load_2addr_b64 v[128:131], v202 offset0:46 offset1:47
	ds_load_2addr_b64 v[132:135], v202 offset0:48 offset1:49
	s_waitcnt lgkmcnt(1)
	v_mul_f64 v[252:253], v[130:131], v[90:91]
	v_add_f64 v[10:11], v[10:11], -v[198:199]
	s_delay_alu instid0(VALU_DEP_2) | instskip(SKIP_1) | instid1(VALU_DEP_2)
	v_fma_f64 v[252:253], v[128:129], v[112:113], -v[252:253]
	v_mul_f64 v[128:129], v[128:129], v[90:91]
	v_add_f64 v[4:5], v[4:5], -v[252:253]
	s_delay_alu instid0(VALU_DEP_2) | instskip(SKIP_2) | instid1(VALU_DEP_2)
	v_fma_f64 v[128:129], v[130:131], v[112:113], v[128:129]
	s_waitcnt lgkmcnt(0)
	v_mul_f64 v[130:131], v[134:135], v[90:91]
	v_add_f64 v[6:7], v[6:7], -v[128:129]
	s_delay_alu instid0(VALU_DEP_2) | instskip(SKIP_1) | instid1(VALU_DEP_2)
	v_fma_f64 v[130:131], v[132:133], v[112:113], -v[130:131]
	v_mul_f64 v[132:133], v[132:133], v[90:91]
	v_add_f64 v[0:1], v[0:1], -v[130:131]
	s_delay_alu instid0(VALU_DEP_2) | instskip(NEXT) | instid1(VALU_DEP_1)
	v_fma_f64 v[132:133], v[134:135], v[112:113], v[132:133]
	v_add_f64 v[2:3], v[2:3], -v[132:133]
.LBB49_28:
	s_or_b32 exec_lo, exec_lo, s3
	s_delay_alu instid0(SALU_CYCLE_1)
	s_mov_b32 s4, exec_lo
	s_waitcnt lgkmcnt(0)
	s_barrier
	buffer_gl0_inv
	v_cmpx_eq_u32_e32 3, v254
	s_cbranch_execz .LBB49_35
; %bb.29:
	ds_store_2addr_b64 v255, v[84:85], v[86:87] offset1:1
	ds_store_2addr_b64 v202, v[80:81], v[82:83] offset0:8 offset1:9
	ds_store_2addr_b64 v202, v[76:77], v[78:79] offset0:10 offset1:11
	;; [unrolled: 1-line block ×21, first 2 shown]
	ds_load_2addr_b64 v[112:115], v255 offset1:1
	s_waitcnt lgkmcnt(0)
	v_cmp_neq_f64_e32 vcc_lo, 0, v[112:113]
	v_cmp_neq_f64_e64 s3, 0, v[114:115]
	s_delay_alu instid0(VALU_DEP_1) | instskip(NEXT) | instid1(SALU_CYCLE_1)
	s_or_b32 s3, vcc_lo, s3
	s_and_b32 exec_lo, exec_lo, s3
	s_cbranch_execz .LBB49_35
; %bb.30:
	v_cmp_gt_f64_e32 vcc_lo, 0, v[112:113]
	v_cmp_gt_f64_e64 s3, 0, v[114:115]
	v_xor_b32_e32 v100, 0x80000000, v113
	v_xor_b32_e32 v101, 0x80000000, v115
                                        ; implicit-def: $vgpr120_vgpr121
	s_delay_alu instid0(VALU_DEP_2) | instskip(NEXT) | instid1(VALU_DEP_2)
	v_cndmask_b32_e32 v117, v113, v100, vcc_lo
	v_cndmask_b32_e64 v119, v115, v101, s3
	v_cndmask_b32_e32 v116, v112, v112, vcc_lo
	v_cndmask_b32_e64 v118, v114, v114, s3
	s_mov_b32 s3, exec_lo
	s_delay_alu instid0(VALU_DEP_1)
	v_cmpx_ngt_f64_e32 v[116:117], v[118:119]
	s_xor_b32 s3, exec_lo, s3
                                        ; implicit-def: $vgpr116_vgpr117_vgpr118_vgpr119
	s_cbranch_execz .LBB49_32
; %bb.31:
	v_div_scale_f64 v[116:117], null, v[114:115], v[114:115], v[112:113]
	v_div_scale_f64 v[122:123], vcc_lo, v[112:113], v[114:115], v[112:113]
	s_delay_alu instid0(VALU_DEP_2) | instskip(SKIP_2) | instid1(VALU_DEP_1)
	v_rcp_f64_e32 v[118:119], v[116:117]
	s_waitcnt_depctr 0xfff
	v_fma_f64 v[120:121], -v[116:117], v[118:119], 1.0
	v_fma_f64 v[118:119], v[118:119], v[120:121], v[118:119]
	s_delay_alu instid0(VALU_DEP_1) | instskip(NEXT) | instid1(VALU_DEP_1)
	v_fma_f64 v[120:121], -v[116:117], v[118:119], 1.0
	v_fma_f64 v[118:119], v[118:119], v[120:121], v[118:119]
	s_delay_alu instid0(VALU_DEP_1) | instskip(NEXT) | instid1(VALU_DEP_1)
	v_mul_f64 v[120:121], v[122:123], v[118:119]
	v_fma_f64 v[116:117], -v[116:117], v[120:121], v[122:123]
	s_delay_alu instid0(VALU_DEP_1) | instskip(NEXT) | instid1(VALU_DEP_1)
	v_div_fmas_f64 v[116:117], v[116:117], v[118:119], v[120:121]
	v_div_fixup_f64 v[116:117], v[116:117], v[114:115], v[112:113]
	s_delay_alu instid0(VALU_DEP_1) | instskip(NEXT) | instid1(VALU_DEP_1)
	v_fma_f64 v[112:113], v[112:113], v[116:117], v[114:115]
	v_div_scale_f64 v[114:115], null, v[112:113], v[112:113], 1.0
	s_delay_alu instid0(VALU_DEP_1) | instskip(SKIP_2) | instid1(VALU_DEP_1)
	v_rcp_f64_e32 v[118:119], v[114:115]
	s_waitcnt_depctr 0xfff
	v_fma_f64 v[120:121], -v[114:115], v[118:119], 1.0
	v_fma_f64 v[118:119], v[118:119], v[120:121], v[118:119]
	s_delay_alu instid0(VALU_DEP_1) | instskip(NEXT) | instid1(VALU_DEP_1)
	v_fma_f64 v[120:121], -v[114:115], v[118:119], 1.0
	v_fma_f64 v[118:119], v[118:119], v[120:121], v[118:119]
	v_div_scale_f64 v[120:121], vcc_lo, 1.0, v[112:113], 1.0
	s_delay_alu instid0(VALU_DEP_1) | instskip(NEXT) | instid1(VALU_DEP_1)
	v_mul_f64 v[122:123], v[120:121], v[118:119]
	v_fma_f64 v[114:115], -v[114:115], v[122:123], v[120:121]
	s_delay_alu instid0(VALU_DEP_1) | instskip(NEXT) | instid1(VALU_DEP_1)
	v_div_fmas_f64 v[114:115], v[114:115], v[118:119], v[122:123]
	v_div_fixup_f64 v[118:119], v[114:115], v[112:113], 1.0
                                        ; implicit-def: $vgpr112_vgpr113
	s_delay_alu instid0(VALU_DEP_1)
	v_mul_f64 v[120:121], v[116:117], v[118:119]
	v_xor_b32_e32 v119, 0x80000000, v119
.LBB49_32:
	s_and_not1_saveexec_b32 s3, s3
	s_cbranch_execz .LBB49_34
; %bb.33:
	v_div_scale_f64 v[116:117], null, v[112:113], v[112:113], v[114:115]
	v_div_scale_f64 v[122:123], vcc_lo, v[114:115], v[112:113], v[114:115]
	s_delay_alu instid0(VALU_DEP_2) | instskip(SKIP_2) | instid1(VALU_DEP_1)
	v_rcp_f64_e32 v[118:119], v[116:117]
	s_waitcnt_depctr 0xfff
	v_fma_f64 v[120:121], -v[116:117], v[118:119], 1.0
	v_fma_f64 v[118:119], v[118:119], v[120:121], v[118:119]
	s_delay_alu instid0(VALU_DEP_1) | instskip(NEXT) | instid1(VALU_DEP_1)
	v_fma_f64 v[120:121], -v[116:117], v[118:119], 1.0
	v_fma_f64 v[118:119], v[118:119], v[120:121], v[118:119]
	s_delay_alu instid0(VALU_DEP_1) | instskip(NEXT) | instid1(VALU_DEP_1)
	v_mul_f64 v[120:121], v[122:123], v[118:119]
	v_fma_f64 v[116:117], -v[116:117], v[120:121], v[122:123]
	s_delay_alu instid0(VALU_DEP_1) | instskip(NEXT) | instid1(VALU_DEP_1)
	v_div_fmas_f64 v[116:117], v[116:117], v[118:119], v[120:121]
	v_div_fixup_f64 v[116:117], v[116:117], v[112:113], v[114:115]
	s_delay_alu instid0(VALU_DEP_1) | instskip(NEXT) | instid1(VALU_DEP_1)
	v_fma_f64 v[112:113], v[114:115], v[116:117], v[112:113]
	v_div_scale_f64 v[114:115], null, v[112:113], v[112:113], 1.0
	s_delay_alu instid0(VALU_DEP_1) | instskip(SKIP_2) | instid1(VALU_DEP_1)
	v_rcp_f64_e32 v[118:119], v[114:115]
	s_waitcnt_depctr 0xfff
	v_fma_f64 v[120:121], -v[114:115], v[118:119], 1.0
	v_fma_f64 v[118:119], v[118:119], v[120:121], v[118:119]
	s_delay_alu instid0(VALU_DEP_1) | instskip(NEXT) | instid1(VALU_DEP_1)
	v_fma_f64 v[120:121], -v[114:115], v[118:119], 1.0
	v_fma_f64 v[118:119], v[118:119], v[120:121], v[118:119]
	v_div_scale_f64 v[120:121], vcc_lo, 1.0, v[112:113], 1.0
	s_delay_alu instid0(VALU_DEP_1) | instskip(NEXT) | instid1(VALU_DEP_1)
	v_mul_f64 v[122:123], v[120:121], v[118:119]
	v_fma_f64 v[114:115], -v[114:115], v[122:123], v[120:121]
	s_delay_alu instid0(VALU_DEP_1) | instskip(NEXT) | instid1(VALU_DEP_1)
	v_div_fmas_f64 v[114:115], v[114:115], v[118:119], v[122:123]
	v_div_fixup_f64 v[120:121], v[114:115], v[112:113], 1.0
	s_delay_alu instid0(VALU_DEP_1)
	v_mul_f64 v[118:119], v[116:117], -v[120:121]
.LBB49_34:
	s_or_b32 exec_lo, exec_lo, s3
	ds_store_2addr_b64 v255, v[120:121], v[118:119] offset1:1
.LBB49_35:
	s_or_b32 exec_lo, exec_lo, s4
	s_waitcnt lgkmcnt(0)
	s_barrier
	buffer_gl0_inv
	ds_load_2addr_b64 v[112:115], v255 offset1:1
	s_mov_b32 s3, exec_lo
	v_cmpx_lt_u32_e32 3, v254
	s_cbranch_execz .LBB49_37
; %bb.36:
	s_waitcnt lgkmcnt(0)
	v_mul_f64 v[116:117], v[114:115], v[86:87]
	v_mul_f64 v[86:87], v[112:113], v[86:87]
	ds_load_2addr_b64 v[118:121], v202 offset0:8 offset1:9
	ds_load_2addr_b64 v[122:125], v202 offset0:10 offset1:11
	v_fma_f64 v[116:117], v[112:113], v[84:85], -v[116:117]
	v_fma_f64 v[86:87], v[114:115], v[84:85], v[86:87]
	s_waitcnt lgkmcnt(1)
	s_delay_alu instid0(VALU_DEP_1) | instskip(NEXT) | instid1(VALU_DEP_1)
	v_mul_f64 v[84:85], v[120:121], v[86:87]
	v_fma_f64 v[84:85], v[118:119], v[116:117], -v[84:85]
	v_mul_f64 v[118:119], v[118:119], v[86:87]
	s_delay_alu instid0(VALU_DEP_2) | instskip(NEXT) | instid1(VALU_DEP_2)
	v_add_f64 v[80:81], v[80:81], -v[84:85]
	v_fma_f64 v[118:119], v[120:121], v[116:117], v[118:119]
	s_waitcnt lgkmcnt(0)
	v_mul_f64 v[120:121], v[124:125], v[86:87]
	v_dual_mov_b32 v84, v116 :: v_dual_mov_b32 v85, v117
	s_delay_alu instid0(VALU_DEP_3) | instskip(NEXT) | instid1(VALU_DEP_3)
	v_add_f64 v[82:83], v[82:83], -v[118:119]
	v_fma_f64 v[120:121], v[122:123], v[116:117], -v[120:121]
	v_mul_f64 v[122:123], v[122:123], v[86:87]
	s_delay_alu instid0(VALU_DEP_2) | instskip(NEXT) | instid1(VALU_DEP_2)
	v_add_f64 v[76:77], v[76:77], -v[120:121]
	v_fma_f64 v[122:123], v[124:125], v[116:117], v[122:123]
	ds_load_2addr_b64 v[124:127], v202 offset0:12 offset1:13
	ds_load_2addr_b64 v[128:131], v202 offset0:14 offset1:15
	s_waitcnt lgkmcnt(1)
	v_mul_f64 v[132:133], v[126:127], v[86:87]
	v_add_f64 v[78:79], v[78:79], -v[122:123]
	s_delay_alu instid0(VALU_DEP_2) | instskip(SKIP_1) | instid1(VALU_DEP_2)
	v_fma_f64 v[132:133], v[124:125], v[116:117], -v[132:133]
	v_mul_f64 v[124:125], v[124:125], v[86:87]
	v_add_f64 v[72:73], v[72:73], -v[132:133]
	s_delay_alu instid0(VALU_DEP_2) | instskip(SKIP_2) | instid1(VALU_DEP_2)
	v_fma_f64 v[134:135], v[126:127], v[116:117], v[124:125]
	s_waitcnt lgkmcnt(0)
	v_mul_f64 v[124:125], v[130:131], v[86:87]
	v_add_f64 v[74:75], v[74:75], -v[134:135]
	s_delay_alu instid0(VALU_DEP_2) | instskip(SKIP_1) | instid1(VALU_DEP_2)
	v_fma_f64 v[136:137], v[128:129], v[116:117], -v[124:125]
	v_mul_f64 v[124:125], v[128:129], v[86:87]
	v_add_f64 v[68:69], v[68:69], -v[136:137]
	s_delay_alu instid0(VALU_DEP_2)
	v_fma_f64 v[138:139], v[130:131], v[116:117], v[124:125]
	ds_load_2addr_b64 v[124:127], v202 offset0:16 offset1:17
	ds_load_2addr_b64 v[128:131], v202 offset0:18 offset1:19
	s_waitcnt lgkmcnt(1)
	v_mul_f64 v[140:141], v[126:127], v[86:87]
	v_add_f64 v[70:71], v[70:71], -v[138:139]
	s_delay_alu instid0(VALU_DEP_2) | instskip(SKIP_1) | instid1(VALU_DEP_2)
	v_fma_f64 v[140:141], v[124:125], v[116:117], -v[140:141]
	v_mul_f64 v[124:125], v[124:125], v[86:87]
	v_add_f64 v[64:65], v[64:65], -v[140:141]
	s_delay_alu instid0(VALU_DEP_2) | instskip(SKIP_2) | instid1(VALU_DEP_2)
	v_fma_f64 v[142:143], v[126:127], v[116:117], v[124:125]
	s_waitcnt lgkmcnt(0)
	v_mul_f64 v[124:125], v[130:131], v[86:87]
	v_add_f64 v[66:67], v[66:67], -v[142:143]
	s_delay_alu instid0(VALU_DEP_2) | instskip(SKIP_1) | instid1(VALU_DEP_2)
	v_fma_f64 v[144:145], v[128:129], v[116:117], -v[124:125]
	v_mul_f64 v[124:125], v[128:129], v[86:87]
	v_add_f64 v[60:61], v[60:61], -v[144:145]
	s_delay_alu instid0(VALU_DEP_2)
	;; [unrolled: 20-line block ×8, first 2 shown]
	v_fma_f64 v[194:195], v[130:131], v[116:117], v[124:125]
	ds_load_2addr_b64 v[124:127], v202 offset0:44 offset1:45
	ds_load_2addr_b64 v[128:131], v202 offset0:46 offset1:47
	s_waitcnt lgkmcnt(1)
	v_mul_f64 v[196:197], v[126:127], v[86:87]
	v_add_f64 v[14:15], v[14:15], -v[194:195]
	s_delay_alu instid0(VALU_DEP_2) | instskip(SKIP_1) | instid1(VALU_DEP_2)
	v_fma_f64 v[196:197], v[124:125], v[116:117], -v[196:197]
	v_mul_f64 v[124:125], v[124:125], v[86:87]
	v_add_f64 v[8:9], v[8:9], -v[196:197]
	s_delay_alu instid0(VALU_DEP_2) | instskip(SKIP_2) | instid1(VALU_DEP_2)
	v_fma_f64 v[198:199], v[126:127], v[116:117], v[124:125]
	s_waitcnt lgkmcnt(0)
	v_mul_f64 v[124:125], v[130:131], v[86:87]
	v_add_f64 v[10:11], v[10:11], -v[198:199]
	s_delay_alu instid0(VALU_DEP_2) | instskip(SKIP_1) | instid1(VALU_DEP_2)
	v_fma_f64 v[252:253], v[128:129], v[116:117], -v[124:125]
	v_mul_f64 v[124:125], v[128:129], v[86:87]
	v_add_f64 v[4:5], v[4:5], -v[252:253]
	s_delay_alu instid0(VALU_DEP_2) | instskip(SKIP_4) | instid1(VALU_DEP_2)
	v_fma_f64 v[128:129], v[130:131], v[116:117], v[124:125]
	ds_load_2addr_b64 v[124:127], v202 offset0:48 offset1:49
	s_waitcnt lgkmcnt(0)
	v_mul_f64 v[130:131], v[126:127], v[86:87]
	v_add_f64 v[6:7], v[6:7], -v[128:129]
	v_fma_f64 v[130:131], v[124:125], v[116:117], -v[130:131]
	v_mul_f64 v[124:125], v[124:125], v[86:87]
	s_delay_alu instid0(VALU_DEP_2) | instskip(NEXT) | instid1(VALU_DEP_2)
	v_add_f64 v[0:1], v[0:1], -v[130:131]
	v_fma_f64 v[124:125], v[126:127], v[116:117], v[124:125]
	s_delay_alu instid0(VALU_DEP_1)
	v_add_f64 v[2:3], v[2:3], -v[124:125]
.LBB49_37:
	s_or_b32 exec_lo, exec_lo, s3
	s_delay_alu instid0(SALU_CYCLE_1)
	s_mov_b32 s4, exec_lo
	s_waitcnt lgkmcnt(0)
	s_barrier
	buffer_gl0_inv
	v_cmpx_eq_u32_e32 4, v254
	s_cbranch_execz .LBB49_44
; %bb.38:
	ds_store_2addr_b64 v255, v[80:81], v[82:83] offset1:1
	ds_store_2addr_b64 v202, v[76:77], v[78:79] offset0:10 offset1:11
	ds_store_2addr_b64 v202, v[72:73], v[74:75] offset0:12 offset1:13
	;; [unrolled: 1-line block ×20, first 2 shown]
	ds_load_2addr_b64 v[116:119], v255 offset1:1
	s_waitcnt lgkmcnt(0)
	v_cmp_neq_f64_e32 vcc_lo, 0, v[116:117]
	v_cmp_neq_f64_e64 s3, 0, v[118:119]
	s_delay_alu instid0(VALU_DEP_1) | instskip(NEXT) | instid1(SALU_CYCLE_1)
	s_or_b32 s3, vcc_lo, s3
	s_and_b32 exec_lo, exec_lo, s3
	s_cbranch_execz .LBB49_44
; %bb.39:
	v_cmp_gt_f64_e32 vcc_lo, 0, v[116:117]
	v_cmp_gt_f64_e64 s3, 0, v[118:119]
	v_xor_b32_e32 v100, 0x80000000, v117
	v_xor_b32_e32 v101, 0x80000000, v119
                                        ; implicit-def: $vgpr124_vgpr125
	s_delay_alu instid0(VALU_DEP_2) | instskip(NEXT) | instid1(VALU_DEP_2)
	v_cndmask_b32_e32 v121, v117, v100, vcc_lo
	v_cndmask_b32_e64 v123, v119, v101, s3
	v_cndmask_b32_e32 v120, v116, v116, vcc_lo
	v_cndmask_b32_e64 v122, v118, v118, s3
	s_mov_b32 s3, exec_lo
	s_delay_alu instid0(VALU_DEP_1)
	v_cmpx_ngt_f64_e32 v[120:121], v[122:123]
	s_xor_b32 s3, exec_lo, s3
                                        ; implicit-def: $vgpr120_vgpr121_vgpr122_vgpr123
	s_cbranch_execz .LBB49_41
; %bb.40:
	v_div_scale_f64 v[120:121], null, v[118:119], v[118:119], v[116:117]
	v_div_scale_f64 v[126:127], vcc_lo, v[116:117], v[118:119], v[116:117]
	s_delay_alu instid0(VALU_DEP_2) | instskip(SKIP_2) | instid1(VALU_DEP_1)
	v_rcp_f64_e32 v[122:123], v[120:121]
	s_waitcnt_depctr 0xfff
	v_fma_f64 v[124:125], -v[120:121], v[122:123], 1.0
	v_fma_f64 v[122:123], v[122:123], v[124:125], v[122:123]
	s_delay_alu instid0(VALU_DEP_1) | instskip(NEXT) | instid1(VALU_DEP_1)
	v_fma_f64 v[124:125], -v[120:121], v[122:123], 1.0
	v_fma_f64 v[122:123], v[122:123], v[124:125], v[122:123]
	s_delay_alu instid0(VALU_DEP_1) | instskip(NEXT) | instid1(VALU_DEP_1)
	v_mul_f64 v[124:125], v[126:127], v[122:123]
	v_fma_f64 v[120:121], -v[120:121], v[124:125], v[126:127]
	s_delay_alu instid0(VALU_DEP_1) | instskip(NEXT) | instid1(VALU_DEP_1)
	v_div_fmas_f64 v[120:121], v[120:121], v[122:123], v[124:125]
	v_div_fixup_f64 v[120:121], v[120:121], v[118:119], v[116:117]
	s_delay_alu instid0(VALU_DEP_1) | instskip(NEXT) | instid1(VALU_DEP_1)
	v_fma_f64 v[116:117], v[116:117], v[120:121], v[118:119]
	v_div_scale_f64 v[118:119], null, v[116:117], v[116:117], 1.0
	s_delay_alu instid0(VALU_DEP_1) | instskip(SKIP_2) | instid1(VALU_DEP_1)
	v_rcp_f64_e32 v[122:123], v[118:119]
	s_waitcnt_depctr 0xfff
	v_fma_f64 v[124:125], -v[118:119], v[122:123], 1.0
	v_fma_f64 v[122:123], v[122:123], v[124:125], v[122:123]
	s_delay_alu instid0(VALU_DEP_1) | instskip(NEXT) | instid1(VALU_DEP_1)
	v_fma_f64 v[124:125], -v[118:119], v[122:123], 1.0
	v_fma_f64 v[122:123], v[122:123], v[124:125], v[122:123]
	v_div_scale_f64 v[124:125], vcc_lo, 1.0, v[116:117], 1.0
	s_delay_alu instid0(VALU_DEP_1) | instskip(NEXT) | instid1(VALU_DEP_1)
	v_mul_f64 v[126:127], v[124:125], v[122:123]
	v_fma_f64 v[118:119], -v[118:119], v[126:127], v[124:125]
	s_delay_alu instid0(VALU_DEP_1) | instskip(NEXT) | instid1(VALU_DEP_1)
	v_div_fmas_f64 v[118:119], v[118:119], v[122:123], v[126:127]
	v_div_fixup_f64 v[122:123], v[118:119], v[116:117], 1.0
                                        ; implicit-def: $vgpr116_vgpr117
	s_delay_alu instid0(VALU_DEP_1)
	v_mul_f64 v[124:125], v[120:121], v[122:123]
	v_xor_b32_e32 v123, 0x80000000, v123
.LBB49_41:
	s_and_not1_saveexec_b32 s3, s3
	s_cbranch_execz .LBB49_43
; %bb.42:
	v_div_scale_f64 v[120:121], null, v[116:117], v[116:117], v[118:119]
	v_div_scale_f64 v[126:127], vcc_lo, v[118:119], v[116:117], v[118:119]
	s_delay_alu instid0(VALU_DEP_2) | instskip(SKIP_2) | instid1(VALU_DEP_1)
	v_rcp_f64_e32 v[122:123], v[120:121]
	s_waitcnt_depctr 0xfff
	v_fma_f64 v[124:125], -v[120:121], v[122:123], 1.0
	v_fma_f64 v[122:123], v[122:123], v[124:125], v[122:123]
	s_delay_alu instid0(VALU_DEP_1) | instskip(NEXT) | instid1(VALU_DEP_1)
	v_fma_f64 v[124:125], -v[120:121], v[122:123], 1.0
	v_fma_f64 v[122:123], v[122:123], v[124:125], v[122:123]
	s_delay_alu instid0(VALU_DEP_1) | instskip(NEXT) | instid1(VALU_DEP_1)
	v_mul_f64 v[124:125], v[126:127], v[122:123]
	v_fma_f64 v[120:121], -v[120:121], v[124:125], v[126:127]
	s_delay_alu instid0(VALU_DEP_1) | instskip(NEXT) | instid1(VALU_DEP_1)
	v_div_fmas_f64 v[120:121], v[120:121], v[122:123], v[124:125]
	v_div_fixup_f64 v[120:121], v[120:121], v[116:117], v[118:119]
	s_delay_alu instid0(VALU_DEP_1) | instskip(NEXT) | instid1(VALU_DEP_1)
	v_fma_f64 v[116:117], v[118:119], v[120:121], v[116:117]
	v_div_scale_f64 v[118:119], null, v[116:117], v[116:117], 1.0
	s_delay_alu instid0(VALU_DEP_1) | instskip(SKIP_2) | instid1(VALU_DEP_1)
	v_rcp_f64_e32 v[122:123], v[118:119]
	s_waitcnt_depctr 0xfff
	v_fma_f64 v[124:125], -v[118:119], v[122:123], 1.0
	v_fma_f64 v[122:123], v[122:123], v[124:125], v[122:123]
	s_delay_alu instid0(VALU_DEP_1) | instskip(NEXT) | instid1(VALU_DEP_1)
	v_fma_f64 v[124:125], -v[118:119], v[122:123], 1.0
	v_fma_f64 v[122:123], v[122:123], v[124:125], v[122:123]
	v_div_scale_f64 v[124:125], vcc_lo, 1.0, v[116:117], 1.0
	s_delay_alu instid0(VALU_DEP_1) | instskip(NEXT) | instid1(VALU_DEP_1)
	v_mul_f64 v[126:127], v[124:125], v[122:123]
	v_fma_f64 v[118:119], -v[118:119], v[126:127], v[124:125]
	s_delay_alu instid0(VALU_DEP_1) | instskip(NEXT) | instid1(VALU_DEP_1)
	v_div_fmas_f64 v[118:119], v[118:119], v[122:123], v[126:127]
	v_div_fixup_f64 v[124:125], v[118:119], v[116:117], 1.0
	s_delay_alu instid0(VALU_DEP_1)
	v_mul_f64 v[122:123], v[120:121], -v[124:125]
.LBB49_43:
	s_or_b32 exec_lo, exec_lo, s3
	ds_store_2addr_b64 v255, v[124:125], v[122:123] offset1:1
.LBB49_44:
	s_or_b32 exec_lo, exec_lo, s4
	s_waitcnt lgkmcnt(0)
	s_barrier
	buffer_gl0_inv
	ds_load_2addr_b64 v[116:119], v255 offset1:1
	s_mov_b32 s3, exec_lo
	v_cmpx_lt_u32_e32 4, v254
	s_cbranch_execz .LBB49_46
; %bb.45:
	s_waitcnt lgkmcnt(0)
	v_mul_f64 v[120:121], v[118:119], v[82:83]
	v_mul_f64 v[82:83], v[116:117], v[82:83]
	ds_load_2addr_b64 v[122:125], v202 offset0:10 offset1:11
	ds_load_2addr_b64 v[126:129], v202 offset0:12 offset1:13
	v_fma_f64 v[120:121], v[116:117], v[80:81], -v[120:121]
	v_fma_f64 v[82:83], v[118:119], v[80:81], v[82:83]
	s_waitcnt lgkmcnt(1)
	s_delay_alu instid0(VALU_DEP_1) | instskip(NEXT) | instid1(VALU_DEP_1)
	v_mul_f64 v[80:81], v[124:125], v[82:83]
	v_fma_f64 v[80:81], v[122:123], v[120:121], -v[80:81]
	v_mul_f64 v[122:123], v[122:123], v[82:83]
	s_delay_alu instid0(VALU_DEP_2) | instskip(NEXT) | instid1(VALU_DEP_2)
	v_add_f64 v[76:77], v[76:77], -v[80:81]
	v_fma_f64 v[130:131], v[124:125], v[120:121], v[122:123]
	s_waitcnt lgkmcnt(0)
	v_mul_f64 v[122:123], v[128:129], v[82:83]
	v_dual_mov_b32 v80, v120 :: v_dual_mov_b32 v81, v121
	s_delay_alu instid0(VALU_DEP_3) | instskip(NEXT) | instid1(VALU_DEP_3)
	v_add_f64 v[78:79], v[78:79], -v[130:131]
	v_fma_f64 v[132:133], v[126:127], v[120:121], -v[122:123]
	v_mul_f64 v[122:123], v[126:127], v[82:83]
	s_delay_alu instid0(VALU_DEP_2) | instskip(NEXT) | instid1(VALU_DEP_2)
	v_add_f64 v[72:73], v[72:73], -v[132:133]
	v_fma_f64 v[134:135], v[128:129], v[120:121], v[122:123]
	ds_load_2addr_b64 v[122:125], v202 offset0:14 offset1:15
	ds_load_2addr_b64 v[126:129], v202 offset0:16 offset1:17
	s_waitcnt lgkmcnt(1)
	v_mul_f64 v[136:137], v[124:125], v[82:83]
	v_add_f64 v[74:75], v[74:75], -v[134:135]
	s_delay_alu instid0(VALU_DEP_2) | instskip(SKIP_1) | instid1(VALU_DEP_2)
	v_fma_f64 v[136:137], v[122:123], v[120:121], -v[136:137]
	v_mul_f64 v[122:123], v[122:123], v[82:83]
	v_add_f64 v[68:69], v[68:69], -v[136:137]
	s_delay_alu instid0(VALU_DEP_2) | instskip(SKIP_2) | instid1(VALU_DEP_2)
	v_fma_f64 v[138:139], v[124:125], v[120:121], v[122:123]
	s_waitcnt lgkmcnt(0)
	v_mul_f64 v[122:123], v[128:129], v[82:83]
	v_add_f64 v[70:71], v[70:71], -v[138:139]
	s_delay_alu instid0(VALU_DEP_2) | instskip(SKIP_1) | instid1(VALU_DEP_2)
	v_fma_f64 v[140:141], v[126:127], v[120:121], -v[122:123]
	v_mul_f64 v[122:123], v[126:127], v[82:83]
	v_add_f64 v[64:65], v[64:65], -v[140:141]
	s_delay_alu instid0(VALU_DEP_2)
	v_fma_f64 v[142:143], v[128:129], v[120:121], v[122:123]
	ds_load_2addr_b64 v[122:125], v202 offset0:18 offset1:19
	ds_load_2addr_b64 v[126:129], v202 offset0:20 offset1:21
	s_waitcnt lgkmcnt(1)
	v_mul_f64 v[144:145], v[124:125], v[82:83]
	v_add_f64 v[66:67], v[66:67], -v[142:143]
	s_delay_alu instid0(VALU_DEP_2) | instskip(SKIP_1) | instid1(VALU_DEP_2)
	v_fma_f64 v[144:145], v[122:123], v[120:121], -v[144:145]
	v_mul_f64 v[122:123], v[122:123], v[82:83]
	v_add_f64 v[60:61], v[60:61], -v[144:145]
	s_delay_alu instid0(VALU_DEP_2) | instskip(SKIP_2) | instid1(VALU_DEP_2)
	v_fma_f64 v[146:147], v[124:125], v[120:121], v[122:123]
	s_waitcnt lgkmcnt(0)
	v_mul_f64 v[122:123], v[128:129], v[82:83]
	v_add_f64 v[62:63], v[62:63], -v[146:147]
	s_delay_alu instid0(VALU_DEP_2) | instskip(SKIP_1) | instid1(VALU_DEP_2)
	v_fma_f64 v[148:149], v[126:127], v[120:121], -v[122:123]
	v_mul_f64 v[122:123], v[126:127], v[82:83]
	v_add_f64 v[56:57], v[56:57], -v[148:149]
	s_delay_alu instid0(VALU_DEP_2)
	;; [unrolled: 20-line block ×8, first 2 shown]
	v_fma_f64 v[198:199], v[128:129], v[120:121], v[122:123]
	ds_load_2addr_b64 v[122:125], v202 offset0:46 offset1:47
	ds_load_2addr_b64 v[126:129], v202 offset0:48 offset1:49
	s_waitcnt lgkmcnt(1)
	v_mul_f64 v[252:253], v[124:125], v[82:83]
	v_add_f64 v[10:11], v[10:11], -v[198:199]
	s_delay_alu instid0(VALU_DEP_2) | instskip(SKIP_1) | instid1(VALU_DEP_2)
	v_fma_f64 v[252:253], v[122:123], v[120:121], -v[252:253]
	v_mul_f64 v[122:123], v[122:123], v[82:83]
	v_add_f64 v[4:5], v[4:5], -v[252:253]
	s_delay_alu instid0(VALU_DEP_2) | instskip(SKIP_2) | instid1(VALU_DEP_2)
	v_fma_f64 v[122:123], v[124:125], v[120:121], v[122:123]
	s_waitcnt lgkmcnt(0)
	v_mul_f64 v[124:125], v[128:129], v[82:83]
	v_add_f64 v[6:7], v[6:7], -v[122:123]
	s_delay_alu instid0(VALU_DEP_2) | instskip(SKIP_1) | instid1(VALU_DEP_2)
	v_fma_f64 v[124:125], v[126:127], v[120:121], -v[124:125]
	v_mul_f64 v[126:127], v[126:127], v[82:83]
	v_add_f64 v[0:1], v[0:1], -v[124:125]
	s_delay_alu instid0(VALU_DEP_2) | instskip(NEXT) | instid1(VALU_DEP_1)
	v_fma_f64 v[126:127], v[128:129], v[120:121], v[126:127]
	v_add_f64 v[2:3], v[2:3], -v[126:127]
.LBB49_46:
	s_or_b32 exec_lo, exec_lo, s3
	s_delay_alu instid0(SALU_CYCLE_1)
	s_mov_b32 s4, exec_lo
	s_waitcnt lgkmcnt(0)
	s_barrier
	buffer_gl0_inv
	v_cmpx_eq_u32_e32 5, v254
	s_cbranch_execz .LBB49_53
; %bb.47:
	ds_store_2addr_b64 v255, v[76:77], v[78:79] offset1:1
	ds_store_2addr_b64 v202, v[72:73], v[74:75] offset0:12 offset1:13
	ds_store_2addr_b64 v202, v[68:69], v[70:71] offset0:14 offset1:15
	;; [unrolled: 1-line block ×19, first 2 shown]
	ds_load_2addr_b64 v[120:123], v255 offset1:1
	s_waitcnt lgkmcnt(0)
	v_cmp_neq_f64_e32 vcc_lo, 0, v[120:121]
	v_cmp_neq_f64_e64 s3, 0, v[122:123]
	s_delay_alu instid0(VALU_DEP_1) | instskip(NEXT) | instid1(SALU_CYCLE_1)
	s_or_b32 s3, vcc_lo, s3
	s_and_b32 exec_lo, exec_lo, s3
	s_cbranch_execz .LBB49_53
; %bb.48:
	v_cmp_gt_f64_e32 vcc_lo, 0, v[120:121]
	v_cmp_gt_f64_e64 s3, 0, v[122:123]
	v_xor_b32_e32 v100, 0x80000000, v121
	v_xor_b32_e32 v101, 0x80000000, v123
                                        ; implicit-def: $vgpr128_vgpr129
	s_delay_alu instid0(VALU_DEP_2) | instskip(NEXT) | instid1(VALU_DEP_2)
	v_cndmask_b32_e32 v125, v121, v100, vcc_lo
	v_cndmask_b32_e64 v127, v123, v101, s3
	v_cndmask_b32_e32 v124, v120, v120, vcc_lo
	v_cndmask_b32_e64 v126, v122, v122, s3
	s_mov_b32 s3, exec_lo
	s_delay_alu instid0(VALU_DEP_1)
	v_cmpx_ngt_f64_e32 v[124:125], v[126:127]
	s_xor_b32 s3, exec_lo, s3
                                        ; implicit-def: $vgpr124_vgpr125_vgpr126_vgpr127
	s_cbranch_execz .LBB49_50
; %bb.49:
	v_div_scale_f64 v[124:125], null, v[122:123], v[122:123], v[120:121]
	v_div_scale_f64 v[130:131], vcc_lo, v[120:121], v[122:123], v[120:121]
	s_delay_alu instid0(VALU_DEP_2) | instskip(SKIP_2) | instid1(VALU_DEP_1)
	v_rcp_f64_e32 v[126:127], v[124:125]
	s_waitcnt_depctr 0xfff
	v_fma_f64 v[128:129], -v[124:125], v[126:127], 1.0
	v_fma_f64 v[126:127], v[126:127], v[128:129], v[126:127]
	s_delay_alu instid0(VALU_DEP_1) | instskip(NEXT) | instid1(VALU_DEP_1)
	v_fma_f64 v[128:129], -v[124:125], v[126:127], 1.0
	v_fma_f64 v[126:127], v[126:127], v[128:129], v[126:127]
	s_delay_alu instid0(VALU_DEP_1) | instskip(NEXT) | instid1(VALU_DEP_1)
	v_mul_f64 v[128:129], v[130:131], v[126:127]
	v_fma_f64 v[124:125], -v[124:125], v[128:129], v[130:131]
	s_delay_alu instid0(VALU_DEP_1) | instskip(NEXT) | instid1(VALU_DEP_1)
	v_div_fmas_f64 v[124:125], v[124:125], v[126:127], v[128:129]
	v_div_fixup_f64 v[124:125], v[124:125], v[122:123], v[120:121]
	s_delay_alu instid0(VALU_DEP_1) | instskip(NEXT) | instid1(VALU_DEP_1)
	v_fma_f64 v[120:121], v[120:121], v[124:125], v[122:123]
	v_div_scale_f64 v[122:123], null, v[120:121], v[120:121], 1.0
	s_delay_alu instid0(VALU_DEP_1) | instskip(SKIP_2) | instid1(VALU_DEP_1)
	v_rcp_f64_e32 v[126:127], v[122:123]
	s_waitcnt_depctr 0xfff
	v_fma_f64 v[128:129], -v[122:123], v[126:127], 1.0
	v_fma_f64 v[126:127], v[126:127], v[128:129], v[126:127]
	s_delay_alu instid0(VALU_DEP_1) | instskip(NEXT) | instid1(VALU_DEP_1)
	v_fma_f64 v[128:129], -v[122:123], v[126:127], 1.0
	v_fma_f64 v[126:127], v[126:127], v[128:129], v[126:127]
	v_div_scale_f64 v[128:129], vcc_lo, 1.0, v[120:121], 1.0
	s_delay_alu instid0(VALU_DEP_1) | instskip(NEXT) | instid1(VALU_DEP_1)
	v_mul_f64 v[130:131], v[128:129], v[126:127]
	v_fma_f64 v[122:123], -v[122:123], v[130:131], v[128:129]
	s_delay_alu instid0(VALU_DEP_1) | instskip(NEXT) | instid1(VALU_DEP_1)
	v_div_fmas_f64 v[122:123], v[122:123], v[126:127], v[130:131]
	v_div_fixup_f64 v[126:127], v[122:123], v[120:121], 1.0
                                        ; implicit-def: $vgpr120_vgpr121
	s_delay_alu instid0(VALU_DEP_1)
	v_mul_f64 v[128:129], v[124:125], v[126:127]
	v_xor_b32_e32 v127, 0x80000000, v127
.LBB49_50:
	s_and_not1_saveexec_b32 s3, s3
	s_cbranch_execz .LBB49_52
; %bb.51:
	v_div_scale_f64 v[124:125], null, v[120:121], v[120:121], v[122:123]
	v_div_scale_f64 v[130:131], vcc_lo, v[122:123], v[120:121], v[122:123]
	s_delay_alu instid0(VALU_DEP_2) | instskip(SKIP_2) | instid1(VALU_DEP_1)
	v_rcp_f64_e32 v[126:127], v[124:125]
	s_waitcnt_depctr 0xfff
	v_fma_f64 v[128:129], -v[124:125], v[126:127], 1.0
	v_fma_f64 v[126:127], v[126:127], v[128:129], v[126:127]
	s_delay_alu instid0(VALU_DEP_1) | instskip(NEXT) | instid1(VALU_DEP_1)
	v_fma_f64 v[128:129], -v[124:125], v[126:127], 1.0
	v_fma_f64 v[126:127], v[126:127], v[128:129], v[126:127]
	s_delay_alu instid0(VALU_DEP_1) | instskip(NEXT) | instid1(VALU_DEP_1)
	v_mul_f64 v[128:129], v[130:131], v[126:127]
	v_fma_f64 v[124:125], -v[124:125], v[128:129], v[130:131]
	s_delay_alu instid0(VALU_DEP_1) | instskip(NEXT) | instid1(VALU_DEP_1)
	v_div_fmas_f64 v[124:125], v[124:125], v[126:127], v[128:129]
	v_div_fixup_f64 v[124:125], v[124:125], v[120:121], v[122:123]
	s_delay_alu instid0(VALU_DEP_1) | instskip(NEXT) | instid1(VALU_DEP_1)
	v_fma_f64 v[120:121], v[122:123], v[124:125], v[120:121]
	v_div_scale_f64 v[122:123], null, v[120:121], v[120:121], 1.0
	s_delay_alu instid0(VALU_DEP_1) | instskip(SKIP_2) | instid1(VALU_DEP_1)
	v_rcp_f64_e32 v[126:127], v[122:123]
	s_waitcnt_depctr 0xfff
	v_fma_f64 v[128:129], -v[122:123], v[126:127], 1.0
	v_fma_f64 v[126:127], v[126:127], v[128:129], v[126:127]
	s_delay_alu instid0(VALU_DEP_1) | instskip(NEXT) | instid1(VALU_DEP_1)
	v_fma_f64 v[128:129], -v[122:123], v[126:127], 1.0
	v_fma_f64 v[126:127], v[126:127], v[128:129], v[126:127]
	v_div_scale_f64 v[128:129], vcc_lo, 1.0, v[120:121], 1.0
	s_delay_alu instid0(VALU_DEP_1) | instskip(NEXT) | instid1(VALU_DEP_1)
	v_mul_f64 v[130:131], v[128:129], v[126:127]
	v_fma_f64 v[122:123], -v[122:123], v[130:131], v[128:129]
	s_delay_alu instid0(VALU_DEP_1) | instskip(NEXT) | instid1(VALU_DEP_1)
	v_div_fmas_f64 v[122:123], v[122:123], v[126:127], v[130:131]
	v_div_fixup_f64 v[128:129], v[122:123], v[120:121], 1.0
	s_delay_alu instid0(VALU_DEP_1)
	v_mul_f64 v[126:127], v[124:125], -v[128:129]
.LBB49_52:
	s_or_b32 exec_lo, exec_lo, s3
	ds_store_2addr_b64 v255, v[128:129], v[126:127] offset1:1
.LBB49_53:
	s_or_b32 exec_lo, exec_lo, s4
	s_waitcnt lgkmcnt(0)
	s_barrier
	buffer_gl0_inv
	ds_load_2addr_b64 v[120:123], v255 offset1:1
	s_mov_b32 s3, exec_lo
	v_cmpx_lt_u32_e32 5, v254
	s_cbranch_execz .LBB49_55
; %bb.54:
	s_waitcnt lgkmcnt(0)
	v_mul_f64 v[124:125], v[122:123], v[78:79]
	v_mul_f64 v[78:79], v[120:121], v[78:79]
	ds_load_2addr_b64 v[126:129], v202 offset0:12 offset1:13
	ds_load_2addr_b64 v[130:133], v202 offset0:14 offset1:15
	v_fma_f64 v[124:125], v[120:121], v[76:77], -v[124:125]
	v_fma_f64 v[78:79], v[122:123], v[76:77], v[78:79]
	s_waitcnt lgkmcnt(1)
	s_delay_alu instid0(VALU_DEP_1) | instskip(NEXT) | instid1(VALU_DEP_1)
	v_mul_f64 v[76:77], v[128:129], v[78:79]
	v_fma_f64 v[76:77], v[126:127], v[124:125], -v[76:77]
	v_mul_f64 v[126:127], v[126:127], v[78:79]
	s_delay_alu instid0(VALU_DEP_2) | instskip(NEXT) | instid1(VALU_DEP_2)
	v_add_f64 v[72:73], v[72:73], -v[76:77]
	v_fma_f64 v[134:135], v[128:129], v[124:125], v[126:127]
	s_waitcnt lgkmcnt(0)
	v_mul_f64 v[126:127], v[132:133], v[78:79]
	v_dual_mov_b32 v76, v124 :: v_dual_mov_b32 v77, v125
	s_delay_alu instid0(VALU_DEP_3) | instskip(NEXT) | instid1(VALU_DEP_3)
	v_add_f64 v[74:75], v[74:75], -v[134:135]
	v_fma_f64 v[136:137], v[130:131], v[124:125], -v[126:127]
	v_mul_f64 v[126:127], v[130:131], v[78:79]
	s_delay_alu instid0(VALU_DEP_2) | instskip(NEXT) | instid1(VALU_DEP_2)
	v_add_f64 v[68:69], v[68:69], -v[136:137]
	v_fma_f64 v[138:139], v[132:133], v[124:125], v[126:127]
	ds_load_2addr_b64 v[126:129], v202 offset0:16 offset1:17
	ds_load_2addr_b64 v[130:133], v202 offset0:18 offset1:19
	s_waitcnt lgkmcnt(1)
	v_mul_f64 v[140:141], v[128:129], v[78:79]
	v_add_f64 v[70:71], v[70:71], -v[138:139]
	s_delay_alu instid0(VALU_DEP_2) | instskip(SKIP_1) | instid1(VALU_DEP_2)
	v_fma_f64 v[140:141], v[126:127], v[124:125], -v[140:141]
	v_mul_f64 v[126:127], v[126:127], v[78:79]
	v_add_f64 v[64:65], v[64:65], -v[140:141]
	s_delay_alu instid0(VALU_DEP_2) | instskip(SKIP_2) | instid1(VALU_DEP_2)
	v_fma_f64 v[142:143], v[128:129], v[124:125], v[126:127]
	s_waitcnt lgkmcnt(0)
	v_mul_f64 v[126:127], v[132:133], v[78:79]
	v_add_f64 v[66:67], v[66:67], -v[142:143]
	s_delay_alu instid0(VALU_DEP_2) | instskip(SKIP_1) | instid1(VALU_DEP_2)
	v_fma_f64 v[144:145], v[130:131], v[124:125], -v[126:127]
	v_mul_f64 v[126:127], v[130:131], v[78:79]
	v_add_f64 v[60:61], v[60:61], -v[144:145]
	s_delay_alu instid0(VALU_DEP_2)
	v_fma_f64 v[146:147], v[132:133], v[124:125], v[126:127]
	ds_load_2addr_b64 v[126:129], v202 offset0:20 offset1:21
	ds_load_2addr_b64 v[130:133], v202 offset0:22 offset1:23
	s_waitcnt lgkmcnt(1)
	v_mul_f64 v[148:149], v[128:129], v[78:79]
	v_add_f64 v[62:63], v[62:63], -v[146:147]
	s_delay_alu instid0(VALU_DEP_2) | instskip(SKIP_1) | instid1(VALU_DEP_2)
	v_fma_f64 v[148:149], v[126:127], v[124:125], -v[148:149]
	v_mul_f64 v[126:127], v[126:127], v[78:79]
	v_add_f64 v[56:57], v[56:57], -v[148:149]
	s_delay_alu instid0(VALU_DEP_2) | instskip(SKIP_2) | instid1(VALU_DEP_2)
	v_fma_f64 v[150:151], v[128:129], v[124:125], v[126:127]
	s_waitcnt lgkmcnt(0)
	v_mul_f64 v[126:127], v[132:133], v[78:79]
	v_add_f64 v[58:59], v[58:59], -v[150:151]
	s_delay_alu instid0(VALU_DEP_2) | instskip(SKIP_1) | instid1(VALU_DEP_2)
	v_fma_f64 v[152:153], v[130:131], v[124:125], -v[126:127]
	v_mul_f64 v[126:127], v[130:131], v[78:79]
	v_add_f64 v[52:53], v[52:53], -v[152:153]
	s_delay_alu instid0(VALU_DEP_2)
	;; [unrolled: 20-line block ×7, first 2 shown]
	v_fma_f64 v[194:195], v[132:133], v[124:125], v[126:127]
	ds_load_2addr_b64 v[126:129], v202 offset0:44 offset1:45
	ds_load_2addr_b64 v[130:133], v202 offset0:46 offset1:47
	s_waitcnt lgkmcnt(1)
	v_mul_f64 v[196:197], v[128:129], v[78:79]
	v_add_f64 v[14:15], v[14:15], -v[194:195]
	s_delay_alu instid0(VALU_DEP_2) | instskip(SKIP_1) | instid1(VALU_DEP_2)
	v_fma_f64 v[196:197], v[126:127], v[124:125], -v[196:197]
	v_mul_f64 v[126:127], v[126:127], v[78:79]
	v_add_f64 v[8:9], v[8:9], -v[196:197]
	s_delay_alu instid0(VALU_DEP_2) | instskip(SKIP_2) | instid1(VALU_DEP_2)
	v_fma_f64 v[198:199], v[128:129], v[124:125], v[126:127]
	s_waitcnt lgkmcnt(0)
	v_mul_f64 v[126:127], v[132:133], v[78:79]
	v_add_f64 v[10:11], v[10:11], -v[198:199]
	s_delay_alu instid0(VALU_DEP_2) | instskip(SKIP_1) | instid1(VALU_DEP_2)
	v_fma_f64 v[252:253], v[130:131], v[124:125], -v[126:127]
	v_mul_f64 v[126:127], v[130:131], v[78:79]
	v_add_f64 v[4:5], v[4:5], -v[252:253]
	s_delay_alu instid0(VALU_DEP_2) | instskip(SKIP_4) | instid1(VALU_DEP_2)
	v_fma_f64 v[130:131], v[132:133], v[124:125], v[126:127]
	ds_load_2addr_b64 v[126:129], v202 offset0:48 offset1:49
	s_waitcnt lgkmcnt(0)
	v_mul_f64 v[132:133], v[128:129], v[78:79]
	v_add_f64 v[6:7], v[6:7], -v[130:131]
	v_fma_f64 v[132:133], v[126:127], v[124:125], -v[132:133]
	v_mul_f64 v[126:127], v[126:127], v[78:79]
	s_delay_alu instid0(VALU_DEP_2) | instskip(NEXT) | instid1(VALU_DEP_2)
	v_add_f64 v[0:1], v[0:1], -v[132:133]
	v_fma_f64 v[126:127], v[128:129], v[124:125], v[126:127]
	s_delay_alu instid0(VALU_DEP_1)
	v_add_f64 v[2:3], v[2:3], -v[126:127]
.LBB49_55:
	s_or_b32 exec_lo, exec_lo, s3
	s_delay_alu instid0(SALU_CYCLE_1)
	s_mov_b32 s4, exec_lo
	s_waitcnt lgkmcnt(0)
	s_barrier
	buffer_gl0_inv
	v_cmpx_eq_u32_e32 6, v254
	s_cbranch_execz .LBB49_62
; %bb.56:
	ds_store_2addr_b64 v255, v[72:73], v[74:75] offset1:1
	ds_store_2addr_b64 v202, v[68:69], v[70:71] offset0:14 offset1:15
	ds_store_2addr_b64 v202, v[64:65], v[66:67] offset0:16 offset1:17
	;; [unrolled: 1-line block ×18, first 2 shown]
	ds_load_2addr_b64 v[124:127], v255 offset1:1
	s_waitcnt lgkmcnt(0)
	v_cmp_neq_f64_e32 vcc_lo, 0, v[124:125]
	v_cmp_neq_f64_e64 s3, 0, v[126:127]
	s_delay_alu instid0(VALU_DEP_1) | instskip(NEXT) | instid1(SALU_CYCLE_1)
	s_or_b32 s3, vcc_lo, s3
	s_and_b32 exec_lo, exec_lo, s3
	s_cbranch_execz .LBB49_62
; %bb.57:
	v_cmp_gt_f64_e32 vcc_lo, 0, v[124:125]
	v_cmp_gt_f64_e64 s3, 0, v[126:127]
	v_xor_b32_e32 v100, 0x80000000, v125
	v_xor_b32_e32 v101, 0x80000000, v127
                                        ; implicit-def: $vgpr132_vgpr133
	s_delay_alu instid0(VALU_DEP_2) | instskip(NEXT) | instid1(VALU_DEP_2)
	v_cndmask_b32_e32 v129, v125, v100, vcc_lo
	v_cndmask_b32_e64 v131, v127, v101, s3
	v_cndmask_b32_e32 v128, v124, v124, vcc_lo
	v_cndmask_b32_e64 v130, v126, v126, s3
	s_mov_b32 s3, exec_lo
	s_delay_alu instid0(VALU_DEP_1)
	v_cmpx_ngt_f64_e32 v[128:129], v[130:131]
	s_xor_b32 s3, exec_lo, s3
                                        ; implicit-def: $vgpr128_vgpr129_vgpr130_vgpr131
	s_cbranch_execz .LBB49_59
; %bb.58:
	v_div_scale_f64 v[128:129], null, v[126:127], v[126:127], v[124:125]
	v_div_scale_f64 v[134:135], vcc_lo, v[124:125], v[126:127], v[124:125]
	s_delay_alu instid0(VALU_DEP_2) | instskip(SKIP_2) | instid1(VALU_DEP_1)
	v_rcp_f64_e32 v[130:131], v[128:129]
	s_waitcnt_depctr 0xfff
	v_fma_f64 v[132:133], -v[128:129], v[130:131], 1.0
	v_fma_f64 v[130:131], v[130:131], v[132:133], v[130:131]
	s_delay_alu instid0(VALU_DEP_1) | instskip(NEXT) | instid1(VALU_DEP_1)
	v_fma_f64 v[132:133], -v[128:129], v[130:131], 1.0
	v_fma_f64 v[130:131], v[130:131], v[132:133], v[130:131]
	s_delay_alu instid0(VALU_DEP_1) | instskip(NEXT) | instid1(VALU_DEP_1)
	v_mul_f64 v[132:133], v[134:135], v[130:131]
	v_fma_f64 v[128:129], -v[128:129], v[132:133], v[134:135]
	s_delay_alu instid0(VALU_DEP_1) | instskip(NEXT) | instid1(VALU_DEP_1)
	v_div_fmas_f64 v[128:129], v[128:129], v[130:131], v[132:133]
	v_div_fixup_f64 v[128:129], v[128:129], v[126:127], v[124:125]
	s_delay_alu instid0(VALU_DEP_1) | instskip(NEXT) | instid1(VALU_DEP_1)
	v_fma_f64 v[124:125], v[124:125], v[128:129], v[126:127]
	v_div_scale_f64 v[126:127], null, v[124:125], v[124:125], 1.0
	s_delay_alu instid0(VALU_DEP_1) | instskip(SKIP_2) | instid1(VALU_DEP_1)
	v_rcp_f64_e32 v[130:131], v[126:127]
	s_waitcnt_depctr 0xfff
	v_fma_f64 v[132:133], -v[126:127], v[130:131], 1.0
	v_fma_f64 v[130:131], v[130:131], v[132:133], v[130:131]
	s_delay_alu instid0(VALU_DEP_1) | instskip(NEXT) | instid1(VALU_DEP_1)
	v_fma_f64 v[132:133], -v[126:127], v[130:131], 1.0
	v_fma_f64 v[130:131], v[130:131], v[132:133], v[130:131]
	v_div_scale_f64 v[132:133], vcc_lo, 1.0, v[124:125], 1.0
	s_delay_alu instid0(VALU_DEP_1) | instskip(NEXT) | instid1(VALU_DEP_1)
	v_mul_f64 v[134:135], v[132:133], v[130:131]
	v_fma_f64 v[126:127], -v[126:127], v[134:135], v[132:133]
	s_delay_alu instid0(VALU_DEP_1) | instskip(NEXT) | instid1(VALU_DEP_1)
	v_div_fmas_f64 v[126:127], v[126:127], v[130:131], v[134:135]
	v_div_fixup_f64 v[130:131], v[126:127], v[124:125], 1.0
                                        ; implicit-def: $vgpr124_vgpr125
	s_delay_alu instid0(VALU_DEP_1)
	v_mul_f64 v[132:133], v[128:129], v[130:131]
	v_xor_b32_e32 v131, 0x80000000, v131
.LBB49_59:
	s_and_not1_saveexec_b32 s3, s3
	s_cbranch_execz .LBB49_61
; %bb.60:
	v_div_scale_f64 v[128:129], null, v[124:125], v[124:125], v[126:127]
	v_div_scale_f64 v[134:135], vcc_lo, v[126:127], v[124:125], v[126:127]
	s_delay_alu instid0(VALU_DEP_2) | instskip(SKIP_2) | instid1(VALU_DEP_1)
	v_rcp_f64_e32 v[130:131], v[128:129]
	s_waitcnt_depctr 0xfff
	v_fma_f64 v[132:133], -v[128:129], v[130:131], 1.0
	v_fma_f64 v[130:131], v[130:131], v[132:133], v[130:131]
	s_delay_alu instid0(VALU_DEP_1) | instskip(NEXT) | instid1(VALU_DEP_1)
	v_fma_f64 v[132:133], -v[128:129], v[130:131], 1.0
	v_fma_f64 v[130:131], v[130:131], v[132:133], v[130:131]
	s_delay_alu instid0(VALU_DEP_1) | instskip(NEXT) | instid1(VALU_DEP_1)
	v_mul_f64 v[132:133], v[134:135], v[130:131]
	v_fma_f64 v[128:129], -v[128:129], v[132:133], v[134:135]
	s_delay_alu instid0(VALU_DEP_1) | instskip(NEXT) | instid1(VALU_DEP_1)
	v_div_fmas_f64 v[128:129], v[128:129], v[130:131], v[132:133]
	v_div_fixup_f64 v[128:129], v[128:129], v[124:125], v[126:127]
	s_delay_alu instid0(VALU_DEP_1) | instskip(NEXT) | instid1(VALU_DEP_1)
	v_fma_f64 v[124:125], v[126:127], v[128:129], v[124:125]
	v_div_scale_f64 v[126:127], null, v[124:125], v[124:125], 1.0
	s_delay_alu instid0(VALU_DEP_1) | instskip(SKIP_2) | instid1(VALU_DEP_1)
	v_rcp_f64_e32 v[130:131], v[126:127]
	s_waitcnt_depctr 0xfff
	v_fma_f64 v[132:133], -v[126:127], v[130:131], 1.0
	v_fma_f64 v[130:131], v[130:131], v[132:133], v[130:131]
	s_delay_alu instid0(VALU_DEP_1) | instskip(NEXT) | instid1(VALU_DEP_1)
	v_fma_f64 v[132:133], -v[126:127], v[130:131], 1.0
	v_fma_f64 v[130:131], v[130:131], v[132:133], v[130:131]
	v_div_scale_f64 v[132:133], vcc_lo, 1.0, v[124:125], 1.0
	s_delay_alu instid0(VALU_DEP_1) | instskip(NEXT) | instid1(VALU_DEP_1)
	v_mul_f64 v[134:135], v[132:133], v[130:131]
	v_fma_f64 v[126:127], -v[126:127], v[134:135], v[132:133]
	s_delay_alu instid0(VALU_DEP_1) | instskip(NEXT) | instid1(VALU_DEP_1)
	v_div_fmas_f64 v[126:127], v[126:127], v[130:131], v[134:135]
	v_div_fixup_f64 v[132:133], v[126:127], v[124:125], 1.0
	s_delay_alu instid0(VALU_DEP_1)
	v_mul_f64 v[130:131], v[128:129], -v[132:133]
.LBB49_61:
	s_or_b32 exec_lo, exec_lo, s3
	ds_store_2addr_b64 v255, v[132:133], v[130:131] offset1:1
.LBB49_62:
	s_or_b32 exec_lo, exec_lo, s4
	s_waitcnt lgkmcnt(0)
	s_barrier
	buffer_gl0_inv
	ds_load_2addr_b64 v[124:127], v255 offset1:1
	s_mov_b32 s3, exec_lo
	v_cmpx_lt_u32_e32 6, v254
	s_cbranch_execz .LBB49_64
; %bb.63:
	s_waitcnt lgkmcnt(0)
	v_mul_f64 v[128:129], v[126:127], v[74:75]
	v_mul_f64 v[74:75], v[124:125], v[74:75]
	ds_load_2addr_b64 v[130:133], v202 offset0:14 offset1:15
	ds_load_2addr_b64 v[134:137], v202 offset0:16 offset1:17
	v_fma_f64 v[128:129], v[124:125], v[72:73], -v[128:129]
	v_fma_f64 v[74:75], v[126:127], v[72:73], v[74:75]
	s_waitcnt lgkmcnt(1)
	s_delay_alu instid0(VALU_DEP_1) | instskip(NEXT) | instid1(VALU_DEP_1)
	v_mul_f64 v[72:73], v[132:133], v[74:75]
	v_fma_f64 v[72:73], v[130:131], v[128:129], -v[72:73]
	v_mul_f64 v[130:131], v[130:131], v[74:75]
	s_delay_alu instid0(VALU_DEP_2) | instskip(NEXT) | instid1(VALU_DEP_2)
	v_add_f64 v[68:69], v[68:69], -v[72:73]
	v_fma_f64 v[138:139], v[132:133], v[128:129], v[130:131]
	s_waitcnt lgkmcnt(0)
	v_mul_f64 v[130:131], v[136:137], v[74:75]
	v_dual_mov_b32 v72, v128 :: v_dual_mov_b32 v73, v129
	s_delay_alu instid0(VALU_DEP_3) | instskip(NEXT) | instid1(VALU_DEP_3)
	v_add_f64 v[70:71], v[70:71], -v[138:139]
	v_fma_f64 v[140:141], v[134:135], v[128:129], -v[130:131]
	v_mul_f64 v[130:131], v[134:135], v[74:75]
	s_delay_alu instid0(VALU_DEP_2) | instskip(NEXT) | instid1(VALU_DEP_2)
	v_add_f64 v[64:65], v[64:65], -v[140:141]
	v_fma_f64 v[142:143], v[136:137], v[128:129], v[130:131]
	ds_load_2addr_b64 v[130:133], v202 offset0:18 offset1:19
	ds_load_2addr_b64 v[134:137], v202 offset0:20 offset1:21
	s_waitcnt lgkmcnt(1)
	v_mul_f64 v[144:145], v[132:133], v[74:75]
	v_add_f64 v[66:67], v[66:67], -v[142:143]
	s_delay_alu instid0(VALU_DEP_2) | instskip(SKIP_1) | instid1(VALU_DEP_2)
	v_fma_f64 v[144:145], v[130:131], v[128:129], -v[144:145]
	v_mul_f64 v[130:131], v[130:131], v[74:75]
	v_add_f64 v[60:61], v[60:61], -v[144:145]
	s_delay_alu instid0(VALU_DEP_2) | instskip(SKIP_2) | instid1(VALU_DEP_2)
	v_fma_f64 v[146:147], v[132:133], v[128:129], v[130:131]
	s_waitcnt lgkmcnt(0)
	v_mul_f64 v[130:131], v[136:137], v[74:75]
	v_add_f64 v[62:63], v[62:63], -v[146:147]
	s_delay_alu instid0(VALU_DEP_2) | instskip(SKIP_1) | instid1(VALU_DEP_2)
	v_fma_f64 v[148:149], v[134:135], v[128:129], -v[130:131]
	v_mul_f64 v[130:131], v[134:135], v[74:75]
	v_add_f64 v[56:57], v[56:57], -v[148:149]
	s_delay_alu instid0(VALU_DEP_2)
	v_fma_f64 v[150:151], v[136:137], v[128:129], v[130:131]
	ds_load_2addr_b64 v[130:133], v202 offset0:22 offset1:23
	ds_load_2addr_b64 v[134:137], v202 offset0:24 offset1:25
	s_waitcnt lgkmcnt(1)
	v_mul_f64 v[152:153], v[132:133], v[74:75]
	v_add_f64 v[58:59], v[58:59], -v[150:151]
	s_delay_alu instid0(VALU_DEP_2) | instskip(SKIP_1) | instid1(VALU_DEP_2)
	v_fma_f64 v[152:153], v[130:131], v[128:129], -v[152:153]
	v_mul_f64 v[130:131], v[130:131], v[74:75]
	v_add_f64 v[52:53], v[52:53], -v[152:153]
	s_delay_alu instid0(VALU_DEP_2) | instskip(SKIP_2) | instid1(VALU_DEP_2)
	v_fma_f64 v[154:155], v[132:133], v[128:129], v[130:131]
	s_waitcnt lgkmcnt(0)
	v_mul_f64 v[130:131], v[136:137], v[74:75]
	v_add_f64 v[54:55], v[54:55], -v[154:155]
	s_delay_alu instid0(VALU_DEP_2) | instskip(SKIP_1) | instid1(VALU_DEP_2)
	v_fma_f64 v[156:157], v[134:135], v[128:129], -v[130:131]
	v_mul_f64 v[130:131], v[134:135], v[74:75]
	v_add_f64 v[48:49], v[48:49], -v[156:157]
	s_delay_alu instid0(VALU_DEP_2)
	;; [unrolled: 20-line block ×7, first 2 shown]
	v_fma_f64 v[198:199], v[136:137], v[128:129], v[130:131]
	ds_load_2addr_b64 v[130:133], v202 offset0:46 offset1:47
	ds_load_2addr_b64 v[134:137], v202 offset0:48 offset1:49
	s_waitcnt lgkmcnt(1)
	v_mul_f64 v[252:253], v[132:133], v[74:75]
	v_add_f64 v[10:11], v[10:11], -v[198:199]
	s_delay_alu instid0(VALU_DEP_2) | instskip(SKIP_1) | instid1(VALU_DEP_2)
	v_fma_f64 v[252:253], v[130:131], v[128:129], -v[252:253]
	v_mul_f64 v[130:131], v[130:131], v[74:75]
	v_add_f64 v[4:5], v[4:5], -v[252:253]
	s_delay_alu instid0(VALU_DEP_2) | instskip(SKIP_2) | instid1(VALU_DEP_2)
	v_fma_f64 v[130:131], v[132:133], v[128:129], v[130:131]
	s_waitcnt lgkmcnt(0)
	v_mul_f64 v[132:133], v[136:137], v[74:75]
	v_add_f64 v[6:7], v[6:7], -v[130:131]
	s_delay_alu instid0(VALU_DEP_2) | instskip(SKIP_1) | instid1(VALU_DEP_2)
	v_fma_f64 v[132:133], v[134:135], v[128:129], -v[132:133]
	v_mul_f64 v[134:135], v[134:135], v[74:75]
	v_add_f64 v[0:1], v[0:1], -v[132:133]
	s_delay_alu instid0(VALU_DEP_2) | instskip(NEXT) | instid1(VALU_DEP_1)
	v_fma_f64 v[134:135], v[136:137], v[128:129], v[134:135]
	v_add_f64 v[2:3], v[2:3], -v[134:135]
.LBB49_64:
	s_or_b32 exec_lo, exec_lo, s3
	s_delay_alu instid0(SALU_CYCLE_1)
	s_mov_b32 s4, exec_lo
	s_waitcnt lgkmcnt(0)
	s_barrier
	buffer_gl0_inv
	v_cmpx_eq_u32_e32 7, v254
	s_cbranch_execz .LBB49_71
; %bb.65:
	ds_store_2addr_b64 v255, v[68:69], v[70:71] offset1:1
	ds_store_2addr_b64 v202, v[64:65], v[66:67] offset0:16 offset1:17
	ds_store_2addr_b64 v202, v[60:61], v[62:63] offset0:18 offset1:19
	;; [unrolled: 1-line block ×17, first 2 shown]
	ds_load_2addr_b64 v[128:131], v255 offset1:1
	s_waitcnt lgkmcnt(0)
	v_cmp_neq_f64_e32 vcc_lo, 0, v[128:129]
	v_cmp_neq_f64_e64 s3, 0, v[130:131]
	s_delay_alu instid0(VALU_DEP_1) | instskip(NEXT) | instid1(SALU_CYCLE_1)
	s_or_b32 s3, vcc_lo, s3
	s_and_b32 exec_lo, exec_lo, s3
	s_cbranch_execz .LBB49_71
; %bb.66:
	v_cmp_gt_f64_e32 vcc_lo, 0, v[128:129]
	v_cmp_gt_f64_e64 s3, 0, v[130:131]
	v_xor_b32_e32 v100, 0x80000000, v129
	v_xor_b32_e32 v101, 0x80000000, v131
                                        ; implicit-def: $vgpr136_vgpr137
	s_delay_alu instid0(VALU_DEP_2) | instskip(NEXT) | instid1(VALU_DEP_2)
	v_cndmask_b32_e32 v133, v129, v100, vcc_lo
	v_cndmask_b32_e64 v135, v131, v101, s3
	v_cndmask_b32_e32 v132, v128, v128, vcc_lo
	v_cndmask_b32_e64 v134, v130, v130, s3
	s_mov_b32 s3, exec_lo
	s_delay_alu instid0(VALU_DEP_1)
	v_cmpx_ngt_f64_e32 v[132:133], v[134:135]
	s_xor_b32 s3, exec_lo, s3
                                        ; implicit-def: $vgpr132_vgpr133_vgpr134_vgpr135
	s_cbranch_execz .LBB49_68
; %bb.67:
	v_div_scale_f64 v[132:133], null, v[130:131], v[130:131], v[128:129]
	v_div_scale_f64 v[138:139], vcc_lo, v[128:129], v[130:131], v[128:129]
	s_delay_alu instid0(VALU_DEP_2) | instskip(SKIP_2) | instid1(VALU_DEP_1)
	v_rcp_f64_e32 v[134:135], v[132:133]
	s_waitcnt_depctr 0xfff
	v_fma_f64 v[136:137], -v[132:133], v[134:135], 1.0
	v_fma_f64 v[134:135], v[134:135], v[136:137], v[134:135]
	s_delay_alu instid0(VALU_DEP_1) | instskip(NEXT) | instid1(VALU_DEP_1)
	v_fma_f64 v[136:137], -v[132:133], v[134:135], 1.0
	v_fma_f64 v[134:135], v[134:135], v[136:137], v[134:135]
	s_delay_alu instid0(VALU_DEP_1) | instskip(NEXT) | instid1(VALU_DEP_1)
	v_mul_f64 v[136:137], v[138:139], v[134:135]
	v_fma_f64 v[132:133], -v[132:133], v[136:137], v[138:139]
	s_delay_alu instid0(VALU_DEP_1) | instskip(NEXT) | instid1(VALU_DEP_1)
	v_div_fmas_f64 v[132:133], v[132:133], v[134:135], v[136:137]
	v_div_fixup_f64 v[132:133], v[132:133], v[130:131], v[128:129]
	s_delay_alu instid0(VALU_DEP_1) | instskip(NEXT) | instid1(VALU_DEP_1)
	v_fma_f64 v[128:129], v[128:129], v[132:133], v[130:131]
	v_div_scale_f64 v[130:131], null, v[128:129], v[128:129], 1.0
	s_delay_alu instid0(VALU_DEP_1) | instskip(SKIP_2) | instid1(VALU_DEP_1)
	v_rcp_f64_e32 v[134:135], v[130:131]
	s_waitcnt_depctr 0xfff
	v_fma_f64 v[136:137], -v[130:131], v[134:135], 1.0
	v_fma_f64 v[134:135], v[134:135], v[136:137], v[134:135]
	s_delay_alu instid0(VALU_DEP_1) | instskip(NEXT) | instid1(VALU_DEP_1)
	v_fma_f64 v[136:137], -v[130:131], v[134:135], 1.0
	v_fma_f64 v[134:135], v[134:135], v[136:137], v[134:135]
	v_div_scale_f64 v[136:137], vcc_lo, 1.0, v[128:129], 1.0
	s_delay_alu instid0(VALU_DEP_1) | instskip(NEXT) | instid1(VALU_DEP_1)
	v_mul_f64 v[138:139], v[136:137], v[134:135]
	v_fma_f64 v[130:131], -v[130:131], v[138:139], v[136:137]
	s_delay_alu instid0(VALU_DEP_1) | instskip(NEXT) | instid1(VALU_DEP_1)
	v_div_fmas_f64 v[130:131], v[130:131], v[134:135], v[138:139]
	v_div_fixup_f64 v[134:135], v[130:131], v[128:129], 1.0
                                        ; implicit-def: $vgpr128_vgpr129
	s_delay_alu instid0(VALU_DEP_1)
	v_mul_f64 v[136:137], v[132:133], v[134:135]
	v_xor_b32_e32 v135, 0x80000000, v135
.LBB49_68:
	s_and_not1_saveexec_b32 s3, s3
	s_cbranch_execz .LBB49_70
; %bb.69:
	v_div_scale_f64 v[132:133], null, v[128:129], v[128:129], v[130:131]
	v_div_scale_f64 v[138:139], vcc_lo, v[130:131], v[128:129], v[130:131]
	s_delay_alu instid0(VALU_DEP_2) | instskip(SKIP_2) | instid1(VALU_DEP_1)
	v_rcp_f64_e32 v[134:135], v[132:133]
	s_waitcnt_depctr 0xfff
	v_fma_f64 v[136:137], -v[132:133], v[134:135], 1.0
	v_fma_f64 v[134:135], v[134:135], v[136:137], v[134:135]
	s_delay_alu instid0(VALU_DEP_1) | instskip(NEXT) | instid1(VALU_DEP_1)
	v_fma_f64 v[136:137], -v[132:133], v[134:135], 1.0
	v_fma_f64 v[134:135], v[134:135], v[136:137], v[134:135]
	s_delay_alu instid0(VALU_DEP_1) | instskip(NEXT) | instid1(VALU_DEP_1)
	v_mul_f64 v[136:137], v[138:139], v[134:135]
	v_fma_f64 v[132:133], -v[132:133], v[136:137], v[138:139]
	s_delay_alu instid0(VALU_DEP_1) | instskip(NEXT) | instid1(VALU_DEP_1)
	v_div_fmas_f64 v[132:133], v[132:133], v[134:135], v[136:137]
	v_div_fixup_f64 v[132:133], v[132:133], v[128:129], v[130:131]
	s_delay_alu instid0(VALU_DEP_1) | instskip(NEXT) | instid1(VALU_DEP_1)
	v_fma_f64 v[128:129], v[130:131], v[132:133], v[128:129]
	v_div_scale_f64 v[130:131], null, v[128:129], v[128:129], 1.0
	s_delay_alu instid0(VALU_DEP_1) | instskip(SKIP_2) | instid1(VALU_DEP_1)
	v_rcp_f64_e32 v[134:135], v[130:131]
	s_waitcnt_depctr 0xfff
	v_fma_f64 v[136:137], -v[130:131], v[134:135], 1.0
	v_fma_f64 v[134:135], v[134:135], v[136:137], v[134:135]
	s_delay_alu instid0(VALU_DEP_1) | instskip(NEXT) | instid1(VALU_DEP_1)
	v_fma_f64 v[136:137], -v[130:131], v[134:135], 1.0
	v_fma_f64 v[134:135], v[134:135], v[136:137], v[134:135]
	v_div_scale_f64 v[136:137], vcc_lo, 1.0, v[128:129], 1.0
	s_delay_alu instid0(VALU_DEP_1) | instskip(NEXT) | instid1(VALU_DEP_1)
	v_mul_f64 v[138:139], v[136:137], v[134:135]
	v_fma_f64 v[130:131], -v[130:131], v[138:139], v[136:137]
	s_delay_alu instid0(VALU_DEP_1) | instskip(NEXT) | instid1(VALU_DEP_1)
	v_div_fmas_f64 v[130:131], v[130:131], v[134:135], v[138:139]
	v_div_fixup_f64 v[136:137], v[130:131], v[128:129], 1.0
	s_delay_alu instid0(VALU_DEP_1)
	v_mul_f64 v[134:135], v[132:133], -v[136:137]
.LBB49_70:
	s_or_b32 exec_lo, exec_lo, s3
	ds_store_2addr_b64 v255, v[136:137], v[134:135] offset1:1
.LBB49_71:
	s_or_b32 exec_lo, exec_lo, s4
	s_waitcnt lgkmcnt(0)
	s_barrier
	buffer_gl0_inv
	ds_load_2addr_b64 v[128:131], v255 offset1:1
	s_mov_b32 s3, exec_lo
	v_cmpx_lt_u32_e32 7, v254
	s_cbranch_execz .LBB49_73
; %bb.72:
	s_waitcnt lgkmcnt(0)
	v_mul_f64 v[132:133], v[130:131], v[70:71]
	v_mul_f64 v[70:71], v[128:129], v[70:71]
	ds_load_2addr_b64 v[134:137], v202 offset0:16 offset1:17
	ds_load_2addr_b64 v[138:141], v202 offset0:18 offset1:19
	v_fma_f64 v[132:133], v[128:129], v[68:69], -v[132:133]
	v_fma_f64 v[70:71], v[130:131], v[68:69], v[70:71]
	s_waitcnt lgkmcnt(1)
	s_delay_alu instid0(VALU_DEP_1) | instskip(NEXT) | instid1(VALU_DEP_1)
	v_mul_f64 v[68:69], v[136:137], v[70:71]
	v_fma_f64 v[68:69], v[134:135], v[132:133], -v[68:69]
	v_mul_f64 v[134:135], v[134:135], v[70:71]
	s_delay_alu instid0(VALU_DEP_2) | instskip(NEXT) | instid1(VALU_DEP_2)
	v_add_f64 v[64:65], v[64:65], -v[68:69]
	v_fma_f64 v[142:143], v[136:137], v[132:133], v[134:135]
	s_waitcnt lgkmcnt(0)
	v_mul_f64 v[134:135], v[140:141], v[70:71]
	v_dual_mov_b32 v68, v132 :: v_dual_mov_b32 v69, v133
	s_delay_alu instid0(VALU_DEP_3) | instskip(NEXT) | instid1(VALU_DEP_3)
	v_add_f64 v[66:67], v[66:67], -v[142:143]
	v_fma_f64 v[144:145], v[138:139], v[132:133], -v[134:135]
	v_mul_f64 v[134:135], v[138:139], v[70:71]
	s_delay_alu instid0(VALU_DEP_2) | instskip(NEXT) | instid1(VALU_DEP_2)
	v_add_f64 v[60:61], v[60:61], -v[144:145]
	v_fma_f64 v[146:147], v[140:141], v[132:133], v[134:135]
	ds_load_2addr_b64 v[134:137], v202 offset0:20 offset1:21
	ds_load_2addr_b64 v[138:141], v202 offset0:22 offset1:23
	s_waitcnt lgkmcnt(1)
	v_mul_f64 v[148:149], v[136:137], v[70:71]
	v_add_f64 v[62:63], v[62:63], -v[146:147]
	s_delay_alu instid0(VALU_DEP_2) | instskip(SKIP_1) | instid1(VALU_DEP_2)
	v_fma_f64 v[148:149], v[134:135], v[132:133], -v[148:149]
	v_mul_f64 v[134:135], v[134:135], v[70:71]
	v_add_f64 v[56:57], v[56:57], -v[148:149]
	s_delay_alu instid0(VALU_DEP_2) | instskip(SKIP_2) | instid1(VALU_DEP_2)
	v_fma_f64 v[150:151], v[136:137], v[132:133], v[134:135]
	s_waitcnt lgkmcnt(0)
	v_mul_f64 v[134:135], v[140:141], v[70:71]
	v_add_f64 v[58:59], v[58:59], -v[150:151]
	s_delay_alu instid0(VALU_DEP_2) | instskip(SKIP_1) | instid1(VALU_DEP_2)
	v_fma_f64 v[152:153], v[138:139], v[132:133], -v[134:135]
	v_mul_f64 v[134:135], v[138:139], v[70:71]
	v_add_f64 v[52:53], v[52:53], -v[152:153]
	s_delay_alu instid0(VALU_DEP_2)
	v_fma_f64 v[154:155], v[140:141], v[132:133], v[134:135]
	ds_load_2addr_b64 v[134:137], v202 offset0:24 offset1:25
	ds_load_2addr_b64 v[138:141], v202 offset0:26 offset1:27
	s_waitcnt lgkmcnt(1)
	v_mul_f64 v[156:157], v[136:137], v[70:71]
	v_add_f64 v[54:55], v[54:55], -v[154:155]
	s_delay_alu instid0(VALU_DEP_2) | instskip(SKIP_1) | instid1(VALU_DEP_2)
	v_fma_f64 v[156:157], v[134:135], v[132:133], -v[156:157]
	v_mul_f64 v[134:135], v[134:135], v[70:71]
	v_add_f64 v[48:49], v[48:49], -v[156:157]
	s_delay_alu instid0(VALU_DEP_2) | instskip(SKIP_2) | instid1(VALU_DEP_2)
	v_fma_f64 v[158:159], v[136:137], v[132:133], v[134:135]
	s_waitcnt lgkmcnt(0)
	v_mul_f64 v[134:135], v[140:141], v[70:71]
	v_add_f64 v[50:51], v[50:51], -v[158:159]
	s_delay_alu instid0(VALU_DEP_2) | instskip(SKIP_1) | instid1(VALU_DEP_2)
	v_fma_f64 v[160:161], v[138:139], v[132:133], -v[134:135]
	v_mul_f64 v[134:135], v[138:139], v[70:71]
	v_add_f64 v[44:45], v[44:45], -v[160:161]
	s_delay_alu instid0(VALU_DEP_2)
	;; [unrolled: 20-line block ×6, first 2 shown]
	v_fma_f64 v[194:195], v[140:141], v[132:133], v[134:135]
	ds_load_2addr_b64 v[134:137], v202 offset0:44 offset1:45
	ds_load_2addr_b64 v[138:141], v202 offset0:46 offset1:47
	s_waitcnt lgkmcnt(1)
	v_mul_f64 v[196:197], v[136:137], v[70:71]
	v_add_f64 v[14:15], v[14:15], -v[194:195]
	s_delay_alu instid0(VALU_DEP_2) | instskip(SKIP_1) | instid1(VALU_DEP_2)
	v_fma_f64 v[196:197], v[134:135], v[132:133], -v[196:197]
	v_mul_f64 v[134:135], v[134:135], v[70:71]
	v_add_f64 v[8:9], v[8:9], -v[196:197]
	s_delay_alu instid0(VALU_DEP_2) | instskip(SKIP_2) | instid1(VALU_DEP_2)
	v_fma_f64 v[198:199], v[136:137], v[132:133], v[134:135]
	s_waitcnt lgkmcnt(0)
	v_mul_f64 v[134:135], v[140:141], v[70:71]
	v_add_f64 v[10:11], v[10:11], -v[198:199]
	s_delay_alu instid0(VALU_DEP_2) | instskip(SKIP_1) | instid1(VALU_DEP_2)
	v_fma_f64 v[252:253], v[138:139], v[132:133], -v[134:135]
	v_mul_f64 v[134:135], v[138:139], v[70:71]
	v_add_f64 v[4:5], v[4:5], -v[252:253]
	s_delay_alu instid0(VALU_DEP_2) | instskip(SKIP_4) | instid1(VALU_DEP_2)
	v_fma_f64 v[138:139], v[140:141], v[132:133], v[134:135]
	ds_load_2addr_b64 v[134:137], v202 offset0:48 offset1:49
	s_waitcnt lgkmcnt(0)
	v_mul_f64 v[140:141], v[136:137], v[70:71]
	v_add_f64 v[6:7], v[6:7], -v[138:139]
	v_fma_f64 v[140:141], v[134:135], v[132:133], -v[140:141]
	v_mul_f64 v[134:135], v[134:135], v[70:71]
	s_delay_alu instid0(VALU_DEP_2) | instskip(NEXT) | instid1(VALU_DEP_2)
	v_add_f64 v[0:1], v[0:1], -v[140:141]
	v_fma_f64 v[134:135], v[136:137], v[132:133], v[134:135]
	s_delay_alu instid0(VALU_DEP_1)
	v_add_f64 v[2:3], v[2:3], -v[134:135]
.LBB49_73:
	s_or_b32 exec_lo, exec_lo, s3
	s_delay_alu instid0(SALU_CYCLE_1)
	s_mov_b32 s4, exec_lo
	s_waitcnt lgkmcnt(0)
	s_barrier
	buffer_gl0_inv
	v_cmpx_eq_u32_e32 8, v254
	s_cbranch_execz .LBB49_80
; %bb.74:
	ds_store_2addr_b64 v255, v[64:65], v[66:67] offset1:1
	ds_store_2addr_b64 v202, v[60:61], v[62:63] offset0:18 offset1:19
	ds_store_2addr_b64 v202, v[56:57], v[58:59] offset0:20 offset1:21
	;; [unrolled: 1-line block ×16, first 2 shown]
	ds_load_2addr_b64 v[132:135], v255 offset1:1
	s_waitcnt lgkmcnt(0)
	v_cmp_neq_f64_e32 vcc_lo, 0, v[132:133]
	v_cmp_neq_f64_e64 s3, 0, v[134:135]
	s_delay_alu instid0(VALU_DEP_1) | instskip(NEXT) | instid1(SALU_CYCLE_1)
	s_or_b32 s3, vcc_lo, s3
	s_and_b32 exec_lo, exec_lo, s3
	s_cbranch_execz .LBB49_80
; %bb.75:
	v_cmp_gt_f64_e32 vcc_lo, 0, v[132:133]
	v_cmp_gt_f64_e64 s3, 0, v[134:135]
	v_xor_b32_e32 v100, 0x80000000, v133
	v_xor_b32_e32 v101, 0x80000000, v135
                                        ; implicit-def: $vgpr140_vgpr141
	s_delay_alu instid0(VALU_DEP_2) | instskip(NEXT) | instid1(VALU_DEP_2)
	v_cndmask_b32_e32 v137, v133, v100, vcc_lo
	v_cndmask_b32_e64 v139, v135, v101, s3
	v_cndmask_b32_e32 v136, v132, v132, vcc_lo
	v_cndmask_b32_e64 v138, v134, v134, s3
	s_mov_b32 s3, exec_lo
	s_delay_alu instid0(VALU_DEP_1)
	v_cmpx_ngt_f64_e32 v[136:137], v[138:139]
	s_xor_b32 s3, exec_lo, s3
                                        ; implicit-def: $vgpr136_vgpr137_vgpr138_vgpr139
	s_cbranch_execz .LBB49_77
; %bb.76:
	v_div_scale_f64 v[136:137], null, v[134:135], v[134:135], v[132:133]
	v_div_scale_f64 v[142:143], vcc_lo, v[132:133], v[134:135], v[132:133]
	s_delay_alu instid0(VALU_DEP_2) | instskip(SKIP_2) | instid1(VALU_DEP_1)
	v_rcp_f64_e32 v[138:139], v[136:137]
	s_waitcnt_depctr 0xfff
	v_fma_f64 v[140:141], -v[136:137], v[138:139], 1.0
	v_fma_f64 v[138:139], v[138:139], v[140:141], v[138:139]
	s_delay_alu instid0(VALU_DEP_1) | instskip(NEXT) | instid1(VALU_DEP_1)
	v_fma_f64 v[140:141], -v[136:137], v[138:139], 1.0
	v_fma_f64 v[138:139], v[138:139], v[140:141], v[138:139]
	s_delay_alu instid0(VALU_DEP_1) | instskip(NEXT) | instid1(VALU_DEP_1)
	v_mul_f64 v[140:141], v[142:143], v[138:139]
	v_fma_f64 v[136:137], -v[136:137], v[140:141], v[142:143]
	s_delay_alu instid0(VALU_DEP_1) | instskip(NEXT) | instid1(VALU_DEP_1)
	v_div_fmas_f64 v[136:137], v[136:137], v[138:139], v[140:141]
	v_div_fixup_f64 v[136:137], v[136:137], v[134:135], v[132:133]
	s_delay_alu instid0(VALU_DEP_1) | instskip(NEXT) | instid1(VALU_DEP_1)
	v_fma_f64 v[132:133], v[132:133], v[136:137], v[134:135]
	v_div_scale_f64 v[134:135], null, v[132:133], v[132:133], 1.0
	s_delay_alu instid0(VALU_DEP_1) | instskip(SKIP_2) | instid1(VALU_DEP_1)
	v_rcp_f64_e32 v[138:139], v[134:135]
	s_waitcnt_depctr 0xfff
	v_fma_f64 v[140:141], -v[134:135], v[138:139], 1.0
	v_fma_f64 v[138:139], v[138:139], v[140:141], v[138:139]
	s_delay_alu instid0(VALU_DEP_1) | instskip(NEXT) | instid1(VALU_DEP_1)
	v_fma_f64 v[140:141], -v[134:135], v[138:139], 1.0
	v_fma_f64 v[138:139], v[138:139], v[140:141], v[138:139]
	v_div_scale_f64 v[140:141], vcc_lo, 1.0, v[132:133], 1.0
	s_delay_alu instid0(VALU_DEP_1) | instskip(NEXT) | instid1(VALU_DEP_1)
	v_mul_f64 v[142:143], v[140:141], v[138:139]
	v_fma_f64 v[134:135], -v[134:135], v[142:143], v[140:141]
	s_delay_alu instid0(VALU_DEP_1) | instskip(NEXT) | instid1(VALU_DEP_1)
	v_div_fmas_f64 v[134:135], v[134:135], v[138:139], v[142:143]
	v_div_fixup_f64 v[138:139], v[134:135], v[132:133], 1.0
                                        ; implicit-def: $vgpr132_vgpr133
	s_delay_alu instid0(VALU_DEP_1)
	v_mul_f64 v[140:141], v[136:137], v[138:139]
	v_xor_b32_e32 v139, 0x80000000, v139
.LBB49_77:
	s_and_not1_saveexec_b32 s3, s3
	s_cbranch_execz .LBB49_79
; %bb.78:
	v_div_scale_f64 v[136:137], null, v[132:133], v[132:133], v[134:135]
	v_div_scale_f64 v[142:143], vcc_lo, v[134:135], v[132:133], v[134:135]
	s_delay_alu instid0(VALU_DEP_2) | instskip(SKIP_2) | instid1(VALU_DEP_1)
	v_rcp_f64_e32 v[138:139], v[136:137]
	s_waitcnt_depctr 0xfff
	v_fma_f64 v[140:141], -v[136:137], v[138:139], 1.0
	v_fma_f64 v[138:139], v[138:139], v[140:141], v[138:139]
	s_delay_alu instid0(VALU_DEP_1) | instskip(NEXT) | instid1(VALU_DEP_1)
	v_fma_f64 v[140:141], -v[136:137], v[138:139], 1.0
	v_fma_f64 v[138:139], v[138:139], v[140:141], v[138:139]
	s_delay_alu instid0(VALU_DEP_1) | instskip(NEXT) | instid1(VALU_DEP_1)
	v_mul_f64 v[140:141], v[142:143], v[138:139]
	v_fma_f64 v[136:137], -v[136:137], v[140:141], v[142:143]
	s_delay_alu instid0(VALU_DEP_1) | instskip(NEXT) | instid1(VALU_DEP_1)
	v_div_fmas_f64 v[136:137], v[136:137], v[138:139], v[140:141]
	v_div_fixup_f64 v[136:137], v[136:137], v[132:133], v[134:135]
	s_delay_alu instid0(VALU_DEP_1) | instskip(NEXT) | instid1(VALU_DEP_1)
	v_fma_f64 v[132:133], v[134:135], v[136:137], v[132:133]
	v_div_scale_f64 v[134:135], null, v[132:133], v[132:133], 1.0
	s_delay_alu instid0(VALU_DEP_1) | instskip(SKIP_2) | instid1(VALU_DEP_1)
	v_rcp_f64_e32 v[138:139], v[134:135]
	s_waitcnt_depctr 0xfff
	v_fma_f64 v[140:141], -v[134:135], v[138:139], 1.0
	v_fma_f64 v[138:139], v[138:139], v[140:141], v[138:139]
	s_delay_alu instid0(VALU_DEP_1) | instskip(NEXT) | instid1(VALU_DEP_1)
	v_fma_f64 v[140:141], -v[134:135], v[138:139], 1.0
	v_fma_f64 v[138:139], v[138:139], v[140:141], v[138:139]
	v_div_scale_f64 v[140:141], vcc_lo, 1.0, v[132:133], 1.0
	s_delay_alu instid0(VALU_DEP_1) | instskip(NEXT) | instid1(VALU_DEP_1)
	v_mul_f64 v[142:143], v[140:141], v[138:139]
	v_fma_f64 v[134:135], -v[134:135], v[142:143], v[140:141]
	s_delay_alu instid0(VALU_DEP_1) | instskip(NEXT) | instid1(VALU_DEP_1)
	v_div_fmas_f64 v[134:135], v[134:135], v[138:139], v[142:143]
	v_div_fixup_f64 v[140:141], v[134:135], v[132:133], 1.0
	s_delay_alu instid0(VALU_DEP_1)
	v_mul_f64 v[138:139], v[136:137], -v[140:141]
.LBB49_79:
	s_or_b32 exec_lo, exec_lo, s3
	ds_store_2addr_b64 v255, v[140:141], v[138:139] offset1:1
.LBB49_80:
	s_or_b32 exec_lo, exec_lo, s4
	s_waitcnt lgkmcnt(0)
	s_barrier
	buffer_gl0_inv
	ds_load_2addr_b64 v[132:135], v255 offset1:1
	s_mov_b32 s3, exec_lo
	v_cmpx_lt_u32_e32 8, v254
	s_cbranch_execz .LBB49_82
; %bb.81:
	s_waitcnt lgkmcnt(0)
	v_mul_f64 v[136:137], v[132:133], v[66:67]
	v_mul_f64 v[66:67], v[134:135], v[66:67]
	ds_load_2addr_b64 v[138:141], v202 offset0:18 offset1:19
	ds_load_2addr_b64 v[142:145], v202 offset0:20 offset1:21
	v_fma_f64 v[136:137], v[134:135], v[64:65], v[136:137]
	v_fma_f64 v[64:65], v[132:133], v[64:65], -v[66:67]
	s_waitcnt lgkmcnt(1)
	s_delay_alu instid0(VALU_DEP_2) | instskip(NEXT) | instid1(VALU_DEP_1)
	v_mul_f64 v[66:67], v[140:141], v[136:137]
	v_fma_f64 v[66:67], v[138:139], v[64:65], -v[66:67]
	v_mul_f64 v[138:139], v[138:139], v[136:137]
	s_delay_alu instid0(VALU_DEP_2) | instskip(NEXT) | instid1(VALU_DEP_2)
	v_add_f64 v[60:61], v[60:61], -v[66:67]
	v_fma_f64 v[146:147], v[140:141], v[64:65], v[138:139]
	s_waitcnt lgkmcnt(0)
	v_mul_f64 v[138:139], v[144:145], v[136:137]
	v_dual_mov_b32 v66, v136 :: v_dual_mov_b32 v67, v137
	s_delay_alu instid0(VALU_DEP_3) | instskip(NEXT) | instid1(VALU_DEP_3)
	v_add_f64 v[62:63], v[62:63], -v[146:147]
	v_fma_f64 v[148:149], v[142:143], v[64:65], -v[138:139]
	v_mul_f64 v[138:139], v[142:143], v[136:137]
	s_delay_alu instid0(VALU_DEP_2) | instskip(NEXT) | instid1(VALU_DEP_2)
	v_add_f64 v[56:57], v[56:57], -v[148:149]
	v_fma_f64 v[150:151], v[144:145], v[64:65], v[138:139]
	ds_load_2addr_b64 v[138:141], v202 offset0:22 offset1:23
	ds_load_2addr_b64 v[142:145], v202 offset0:24 offset1:25
	s_waitcnt lgkmcnt(1)
	v_mul_f64 v[152:153], v[140:141], v[136:137]
	v_add_f64 v[58:59], v[58:59], -v[150:151]
	s_delay_alu instid0(VALU_DEP_2) | instskip(SKIP_1) | instid1(VALU_DEP_2)
	v_fma_f64 v[152:153], v[138:139], v[64:65], -v[152:153]
	v_mul_f64 v[138:139], v[138:139], v[136:137]
	v_add_f64 v[52:53], v[52:53], -v[152:153]
	s_delay_alu instid0(VALU_DEP_2) | instskip(SKIP_2) | instid1(VALU_DEP_2)
	v_fma_f64 v[154:155], v[140:141], v[64:65], v[138:139]
	s_waitcnt lgkmcnt(0)
	v_mul_f64 v[138:139], v[144:145], v[136:137]
	v_add_f64 v[54:55], v[54:55], -v[154:155]
	s_delay_alu instid0(VALU_DEP_2) | instskip(SKIP_1) | instid1(VALU_DEP_2)
	v_fma_f64 v[156:157], v[142:143], v[64:65], -v[138:139]
	v_mul_f64 v[138:139], v[142:143], v[136:137]
	v_add_f64 v[48:49], v[48:49], -v[156:157]
	s_delay_alu instid0(VALU_DEP_2)
	v_fma_f64 v[158:159], v[144:145], v[64:65], v[138:139]
	ds_load_2addr_b64 v[138:141], v202 offset0:26 offset1:27
	ds_load_2addr_b64 v[142:145], v202 offset0:28 offset1:29
	s_waitcnt lgkmcnt(1)
	v_mul_f64 v[160:161], v[140:141], v[136:137]
	v_add_f64 v[50:51], v[50:51], -v[158:159]
	s_delay_alu instid0(VALU_DEP_2) | instskip(SKIP_1) | instid1(VALU_DEP_2)
	v_fma_f64 v[160:161], v[138:139], v[64:65], -v[160:161]
	v_mul_f64 v[138:139], v[138:139], v[136:137]
	v_add_f64 v[44:45], v[44:45], -v[160:161]
	s_delay_alu instid0(VALU_DEP_2) | instskip(SKIP_2) | instid1(VALU_DEP_2)
	v_fma_f64 v[162:163], v[140:141], v[64:65], v[138:139]
	s_waitcnt lgkmcnt(0)
	v_mul_f64 v[138:139], v[144:145], v[136:137]
	v_add_f64 v[46:47], v[46:47], -v[162:163]
	s_delay_alu instid0(VALU_DEP_2) | instskip(SKIP_1) | instid1(VALU_DEP_2)
	v_fma_f64 v[164:165], v[142:143], v[64:65], -v[138:139]
	v_mul_f64 v[138:139], v[142:143], v[136:137]
	v_add_f64 v[40:41], v[40:41], -v[164:165]
	s_delay_alu instid0(VALU_DEP_2)
	;; [unrolled: 20-line block ×6, first 2 shown]
	v_fma_f64 v[198:199], v[144:145], v[64:65], v[138:139]
	ds_load_2addr_b64 v[138:141], v202 offset0:46 offset1:47
	ds_load_2addr_b64 v[142:145], v202 offset0:48 offset1:49
	s_waitcnt lgkmcnt(1)
	v_mul_f64 v[252:253], v[140:141], v[136:137]
	v_add_f64 v[10:11], v[10:11], -v[198:199]
	s_delay_alu instid0(VALU_DEP_2) | instskip(SKIP_1) | instid1(VALU_DEP_2)
	v_fma_f64 v[252:253], v[138:139], v[64:65], -v[252:253]
	v_mul_f64 v[138:139], v[138:139], v[136:137]
	v_add_f64 v[4:5], v[4:5], -v[252:253]
	s_delay_alu instid0(VALU_DEP_2) | instskip(SKIP_2) | instid1(VALU_DEP_2)
	v_fma_f64 v[138:139], v[140:141], v[64:65], v[138:139]
	s_waitcnt lgkmcnt(0)
	v_mul_f64 v[140:141], v[144:145], v[136:137]
	v_add_f64 v[6:7], v[6:7], -v[138:139]
	s_delay_alu instid0(VALU_DEP_2) | instskip(SKIP_1) | instid1(VALU_DEP_2)
	v_fma_f64 v[140:141], v[142:143], v[64:65], -v[140:141]
	v_mul_f64 v[142:143], v[142:143], v[136:137]
	v_add_f64 v[0:1], v[0:1], -v[140:141]
	s_delay_alu instid0(VALU_DEP_2) | instskip(NEXT) | instid1(VALU_DEP_1)
	v_fma_f64 v[142:143], v[144:145], v[64:65], v[142:143]
	v_add_f64 v[2:3], v[2:3], -v[142:143]
.LBB49_82:
	s_or_b32 exec_lo, exec_lo, s3
	s_delay_alu instid0(SALU_CYCLE_1)
	s_mov_b32 s4, exec_lo
	s_waitcnt lgkmcnt(0)
	s_barrier
	buffer_gl0_inv
	v_cmpx_eq_u32_e32 9, v254
	s_cbranch_execz .LBB49_89
; %bb.83:
	ds_store_2addr_b64 v255, v[60:61], v[62:63] offset1:1
	ds_store_2addr_b64 v202, v[56:57], v[58:59] offset0:20 offset1:21
	ds_store_2addr_b64 v202, v[52:53], v[54:55] offset0:22 offset1:23
	;; [unrolled: 1-line block ×15, first 2 shown]
	ds_load_2addr_b64 v[136:139], v255 offset1:1
	s_waitcnt lgkmcnt(0)
	v_cmp_neq_f64_e32 vcc_lo, 0, v[136:137]
	v_cmp_neq_f64_e64 s3, 0, v[138:139]
	s_delay_alu instid0(VALU_DEP_1) | instskip(NEXT) | instid1(SALU_CYCLE_1)
	s_or_b32 s3, vcc_lo, s3
	s_and_b32 exec_lo, exec_lo, s3
	s_cbranch_execz .LBB49_89
; %bb.84:
	v_cmp_gt_f64_e32 vcc_lo, 0, v[136:137]
	v_cmp_gt_f64_e64 s3, 0, v[138:139]
	v_xor_b32_e32 v100, 0x80000000, v137
	v_xor_b32_e32 v101, 0x80000000, v139
                                        ; implicit-def: $vgpr144_vgpr145
	s_delay_alu instid0(VALU_DEP_2) | instskip(NEXT) | instid1(VALU_DEP_2)
	v_cndmask_b32_e32 v141, v137, v100, vcc_lo
	v_cndmask_b32_e64 v143, v139, v101, s3
	v_cndmask_b32_e32 v140, v136, v136, vcc_lo
	v_cndmask_b32_e64 v142, v138, v138, s3
	s_mov_b32 s3, exec_lo
	s_delay_alu instid0(VALU_DEP_1)
	v_cmpx_ngt_f64_e32 v[140:141], v[142:143]
	s_xor_b32 s3, exec_lo, s3
                                        ; implicit-def: $vgpr140_vgpr141_vgpr142_vgpr143
	s_cbranch_execz .LBB49_86
; %bb.85:
	v_div_scale_f64 v[140:141], null, v[138:139], v[138:139], v[136:137]
	v_div_scale_f64 v[146:147], vcc_lo, v[136:137], v[138:139], v[136:137]
	s_delay_alu instid0(VALU_DEP_2) | instskip(SKIP_2) | instid1(VALU_DEP_1)
	v_rcp_f64_e32 v[142:143], v[140:141]
	s_waitcnt_depctr 0xfff
	v_fma_f64 v[144:145], -v[140:141], v[142:143], 1.0
	v_fma_f64 v[142:143], v[142:143], v[144:145], v[142:143]
	s_delay_alu instid0(VALU_DEP_1) | instskip(NEXT) | instid1(VALU_DEP_1)
	v_fma_f64 v[144:145], -v[140:141], v[142:143], 1.0
	v_fma_f64 v[142:143], v[142:143], v[144:145], v[142:143]
	s_delay_alu instid0(VALU_DEP_1) | instskip(NEXT) | instid1(VALU_DEP_1)
	v_mul_f64 v[144:145], v[146:147], v[142:143]
	v_fma_f64 v[140:141], -v[140:141], v[144:145], v[146:147]
	s_delay_alu instid0(VALU_DEP_1) | instskip(NEXT) | instid1(VALU_DEP_1)
	v_div_fmas_f64 v[140:141], v[140:141], v[142:143], v[144:145]
	v_div_fixup_f64 v[140:141], v[140:141], v[138:139], v[136:137]
	s_delay_alu instid0(VALU_DEP_1) | instskip(NEXT) | instid1(VALU_DEP_1)
	v_fma_f64 v[136:137], v[136:137], v[140:141], v[138:139]
	v_div_scale_f64 v[138:139], null, v[136:137], v[136:137], 1.0
	s_delay_alu instid0(VALU_DEP_1) | instskip(SKIP_2) | instid1(VALU_DEP_1)
	v_rcp_f64_e32 v[142:143], v[138:139]
	s_waitcnt_depctr 0xfff
	v_fma_f64 v[144:145], -v[138:139], v[142:143], 1.0
	v_fma_f64 v[142:143], v[142:143], v[144:145], v[142:143]
	s_delay_alu instid0(VALU_DEP_1) | instskip(NEXT) | instid1(VALU_DEP_1)
	v_fma_f64 v[144:145], -v[138:139], v[142:143], 1.0
	v_fma_f64 v[142:143], v[142:143], v[144:145], v[142:143]
	v_div_scale_f64 v[144:145], vcc_lo, 1.0, v[136:137], 1.0
	s_delay_alu instid0(VALU_DEP_1) | instskip(NEXT) | instid1(VALU_DEP_1)
	v_mul_f64 v[146:147], v[144:145], v[142:143]
	v_fma_f64 v[138:139], -v[138:139], v[146:147], v[144:145]
	s_delay_alu instid0(VALU_DEP_1) | instskip(NEXT) | instid1(VALU_DEP_1)
	v_div_fmas_f64 v[138:139], v[138:139], v[142:143], v[146:147]
	v_div_fixup_f64 v[142:143], v[138:139], v[136:137], 1.0
                                        ; implicit-def: $vgpr136_vgpr137
	s_delay_alu instid0(VALU_DEP_1)
	v_mul_f64 v[144:145], v[140:141], v[142:143]
	v_xor_b32_e32 v143, 0x80000000, v143
.LBB49_86:
	s_and_not1_saveexec_b32 s3, s3
	s_cbranch_execz .LBB49_88
; %bb.87:
	v_div_scale_f64 v[140:141], null, v[136:137], v[136:137], v[138:139]
	v_div_scale_f64 v[146:147], vcc_lo, v[138:139], v[136:137], v[138:139]
	s_delay_alu instid0(VALU_DEP_2) | instskip(SKIP_2) | instid1(VALU_DEP_1)
	v_rcp_f64_e32 v[142:143], v[140:141]
	s_waitcnt_depctr 0xfff
	v_fma_f64 v[144:145], -v[140:141], v[142:143], 1.0
	v_fma_f64 v[142:143], v[142:143], v[144:145], v[142:143]
	s_delay_alu instid0(VALU_DEP_1) | instskip(NEXT) | instid1(VALU_DEP_1)
	v_fma_f64 v[144:145], -v[140:141], v[142:143], 1.0
	v_fma_f64 v[142:143], v[142:143], v[144:145], v[142:143]
	s_delay_alu instid0(VALU_DEP_1) | instskip(NEXT) | instid1(VALU_DEP_1)
	v_mul_f64 v[144:145], v[146:147], v[142:143]
	v_fma_f64 v[140:141], -v[140:141], v[144:145], v[146:147]
	s_delay_alu instid0(VALU_DEP_1) | instskip(NEXT) | instid1(VALU_DEP_1)
	v_div_fmas_f64 v[140:141], v[140:141], v[142:143], v[144:145]
	v_div_fixup_f64 v[140:141], v[140:141], v[136:137], v[138:139]
	s_delay_alu instid0(VALU_DEP_1) | instskip(NEXT) | instid1(VALU_DEP_1)
	v_fma_f64 v[136:137], v[138:139], v[140:141], v[136:137]
	v_div_scale_f64 v[138:139], null, v[136:137], v[136:137], 1.0
	s_delay_alu instid0(VALU_DEP_1) | instskip(SKIP_2) | instid1(VALU_DEP_1)
	v_rcp_f64_e32 v[142:143], v[138:139]
	s_waitcnt_depctr 0xfff
	v_fma_f64 v[144:145], -v[138:139], v[142:143], 1.0
	v_fma_f64 v[142:143], v[142:143], v[144:145], v[142:143]
	s_delay_alu instid0(VALU_DEP_1) | instskip(NEXT) | instid1(VALU_DEP_1)
	v_fma_f64 v[144:145], -v[138:139], v[142:143], 1.0
	v_fma_f64 v[142:143], v[142:143], v[144:145], v[142:143]
	v_div_scale_f64 v[144:145], vcc_lo, 1.0, v[136:137], 1.0
	s_delay_alu instid0(VALU_DEP_1) | instskip(NEXT) | instid1(VALU_DEP_1)
	v_mul_f64 v[146:147], v[144:145], v[142:143]
	v_fma_f64 v[138:139], -v[138:139], v[146:147], v[144:145]
	s_delay_alu instid0(VALU_DEP_1) | instskip(NEXT) | instid1(VALU_DEP_1)
	v_div_fmas_f64 v[138:139], v[138:139], v[142:143], v[146:147]
	v_div_fixup_f64 v[144:145], v[138:139], v[136:137], 1.0
	s_delay_alu instid0(VALU_DEP_1)
	v_mul_f64 v[142:143], v[140:141], -v[144:145]
.LBB49_88:
	s_or_b32 exec_lo, exec_lo, s3
	ds_store_2addr_b64 v255, v[144:145], v[142:143] offset1:1
.LBB49_89:
	s_or_b32 exec_lo, exec_lo, s4
	s_waitcnt lgkmcnt(0)
	s_barrier
	buffer_gl0_inv
	ds_load_2addr_b64 v[136:139], v255 offset1:1
	s_mov_b32 s3, exec_lo
	v_cmpx_lt_u32_e32 9, v254
	s_cbranch_execz .LBB49_91
; %bb.90:
	s_waitcnt lgkmcnt(0)
	v_mul_f64 v[140:141], v[136:137], v[62:63]
	v_mul_f64 v[62:63], v[138:139], v[62:63]
	s_delay_alu instid0(VALU_DEP_2)
	v_fma_f64 v[148:149], v[138:139], v[60:61], v[140:141]
	ds_load_2addr_b64 v[140:143], v202 offset0:20 offset1:21
	ds_load_2addr_b64 v[144:147], v202 offset0:22 offset1:23
	v_fma_f64 v[60:61], v[136:137], v[60:61], -v[62:63]
	s_waitcnt lgkmcnt(1)
	v_mul_f64 v[62:63], v[142:143], v[148:149]
	s_delay_alu instid0(VALU_DEP_1) | instskip(SKIP_1) | instid1(VALU_DEP_2)
	v_fma_f64 v[62:63], v[140:141], v[60:61], -v[62:63]
	v_mul_f64 v[140:141], v[140:141], v[148:149]
	v_add_f64 v[56:57], v[56:57], -v[62:63]
	s_delay_alu instid0(VALU_DEP_2) | instskip(SKIP_3) | instid1(VALU_DEP_3)
	v_fma_f64 v[150:151], v[142:143], v[60:61], v[140:141]
	s_waitcnt lgkmcnt(0)
	v_mul_f64 v[140:141], v[146:147], v[148:149]
	v_dual_mov_b32 v62, v148 :: v_dual_mov_b32 v63, v149
	v_add_f64 v[58:59], v[58:59], -v[150:151]
	s_delay_alu instid0(VALU_DEP_3) | instskip(SKIP_1) | instid1(VALU_DEP_2)
	v_fma_f64 v[152:153], v[144:145], v[60:61], -v[140:141]
	v_mul_f64 v[140:141], v[144:145], v[148:149]
	v_add_f64 v[52:53], v[52:53], -v[152:153]
	s_delay_alu instid0(VALU_DEP_2)
	v_fma_f64 v[154:155], v[146:147], v[60:61], v[140:141]
	ds_load_2addr_b64 v[140:143], v202 offset0:24 offset1:25
	ds_load_2addr_b64 v[144:147], v202 offset0:26 offset1:27
	s_waitcnt lgkmcnt(1)
	v_mul_f64 v[156:157], v[142:143], v[148:149]
	v_add_f64 v[54:55], v[54:55], -v[154:155]
	s_delay_alu instid0(VALU_DEP_2) | instskip(SKIP_1) | instid1(VALU_DEP_2)
	v_fma_f64 v[156:157], v[140:141], v[60:61], -v[156:157]
	v_mul_f64 v[140:141], v[140:141], v[148:149]
	v_add_f64 v[48:49], v[48:49], -v[156:157]
	s_delay_alu instid0(VALU_DEP_2) | instskip(SKIP_2) | instid1(VALU_DEP_2)
	v_fma_f64 v[158:159], v[142:143], v[60:61], v[140:141]
	s_waitcnt lgkmcnt(0)
	v_mul_f64 v[140:141], v[146:147], v[148:149]
	v_add_f64 v[50:51], v[50:51], -v[158:159]
	s_delay_alu instid0(VALU_DEP_2) | instskip(SKIP_1) | instid1(VALU_DEP_2)
	v_fma_f64 v[160:161], v[144:145], v[60:61], -v[140:141]
	v_mul_f64 v[140:141], v[144:145], v[148:149]
	v_add_f64 v[44:45], v[44:45], -v[160:161]
	s_delay_alu instid0(VALU_DEP_2)
	v_fma_f64 v[162:163], v[146:147], v[60:61], v[140:141]
	ds_load_2addr_b64 v[140:143], v202 offset0:28 offset1:29
	ds_load_2addr_b64 v[144:147], v202 offset0:30 offset1:31
	s_waitcnt lgkmcnt(1)
	v_mul_f64 v[164:165], v[142:143], v[148:149]
	v_add_f64 v[46:47], v[46:47], -v[162:163]
	s_delay_alu instid0(VALU_DEP_2) | instskip(SKIP_1) | instid1(VALU_DEP_2)
	v_fma_f64 v[164:165], v[140:141], v[60:61], -v[164:165]
	v_mul_f64 v[140:141], v[140:141], v[148:149]
	v_add_f64 v[40:41], v[40:41], -v[164:165]
	s_delay_alu instid0(VALU_DEP_2) | instskip(SKIP_2) | instid1(VALU_DEP_2)
	v_fma_f64 v[166:167], v[142:143], v[60:61], v[140:141]
	s_waitcnt lgkmcnt(0)
	v_mul_f64 v[140:141], v[146:147], v[148:149]
	v_add_f64 v[42:43], v[42:43], -v[166:167]
	s_delay_alu instid0(VALU_DEP_2) | instskip(SKIP_1) | instid1(VALU_DEP_2)
	;; [unrolled: 20-line block ×6, first 2 shown]
	v_fma_f64 v[252:253], v[144:145], v[60:61], -v[140:141]
	v_mul_f64 v[140:141], v[144:145], v[148:149]
	v_add_f64 v[4:5], v[4:5], -v[252:253]
	s_delay_alu instid0(VALU_DEP_2) | instskip(SKIP_4) | instid1(VALU_DEP_2)
	v_fma_f64 v[144:145], v[146:147], v[60:61], v[140:141]
	ds_load_2addr_b64 v[140:143], v202 offset0:48 offset1:49
	s_waitcnt lgkmcnt(0)
	v_mul_f64 v[146:147], v[142:143], v[148:149]
	v_add_f64 v[6:7], v[6:7], -v[144:145]
	v_fma_f64 v[146:147], v[140:141], v[60:61], -v[146:147]
	v_mul_f64 v[140:141], v[140:141], v[148:149]
	s_delay_alu instid0(VALU_DEP_2) | instskip(NEXT) | instid1(VALU_DEP_2)
	v_add_f64 v[0:1], v[0:1], -v[146:147]
	v_fma_f64 v[140:141], v[142:143], v[60:61], v[140:141]
	s_delay_alu instid0(VALU_DEP_1)
	v_add_f64 v[2:3], v[2:3], -v[140:141]
.LBB49_91:
	s_or_b32 exec_lo, exec_lo, s3
	s_delay_alu instid0(SALU_CYCLE_1)
	s_mov_b32 s4, exec_lo
	s_waitcnt lgkmcnt(0)
	s_barrier
	buffer_gl0_inv
	v_cmpx_eq_u32_e32 10, v254
	s_cbranch_execz .LBB49_98
; %bb.92:
	ds_store_2addr_b64 v255, v[56:57], v[58:59] offset1:1
	ds_store_2addr_b64 v202, v[52:53], v[54:55] offset0:22 offset1:23
	ds_store_2addr_b64 v202, v[48:49], v[50:51] offset0:24 offset1:25
	;; [unrolled: 1-line block ×14, first 2 shown]
	ds_load_2addr_b64 v[140:143], v255 offset1:1
	s_waitcnt lgkmcnt(0)
	v_cmp_neq_f64_e32 vcc_lo, 0, v[140:141]
	v_cmp_neq_f64_e64 s3, 0, v[142:143]
	s_delay_alu instid0(VALU_DEP_1) | instskip(NEXT) | instid1(SALU_CYCLE_1)
	s_or_b32 s3, vcc_lo, s3
	s_and_b32 exec_lo, exec_lo, s3
	s_cbranch_execz .LBB49_98
; %bb.93:
	v_cmp_gt_f64_e32 vcc_lo, 0, v[140:141]
	v_cmp_gt_f64_e64 s3, 0, v[142:143]
	v_xor_b32_e32 v100, 0x80000000, v141
	v_xor_b32_e32 v101, 0x80000000, v143
                                        ; implicit-def: $vgpr148_vgpr149
	s_delay_alu instid0(VALU_DEP_2) | instskip(NEXT) | instid1(VALU_DEP_2)
	v_cndmask_b32_e32 v145, v141, v100, vcc_lo
	v_cndmask_b32_e64 v147, v143, v101, s3
	v_cndmask_b32_e32 v144, v140, v140, vcc_lo
	v_cndmask_b32_e64 v146, v142, v142, s3
	s_mov_b32 s3, exec_lo
	s_delay_alu instid0(VALU_DEP_1)
	v_cmpx_ngt_f64_e32 v[144:145], v[146:147]
	s_xor_b32 s3, exec_lo, s3
                                        ; implicit-def: $vgpr144_vgpr145_vgpr146_vgpr147
	s_cbranch_execz .LBB49_95
; %bb.94:
	v_div_scale_f64 v[144:145], null, v[142:143], v[142:143], v[140:141]
	v_div_scale_f64 v[150:151], vcc_lo, v[140:141], v[142:143], v[140:141]
	s_delay_alu instid0(VALU_DEP_2) | instskip(SKIP_2) | instid1(VALU_DEP_1)
	v_rcp_f64_e32 v[146:147], v[144:145]
	s_waitcnt_depctr 0xfff
	v_fma_f64 v[148:149], -v[144:145], v[146:147], 1.0
	v_fma_f64 v[146:147], v[146:147], v[148:149], v[146:147]
	s_delay_alu instid0(VALU_DEP_1) | instskip(NEXT) | instid1(VALU_DEP_1)
	v_fma_f64 v[148:149], -v[144:145], v[146:147], 1.0
	v_fma_f64 v[146:147], v[146:147], v[148:149], v[146:147]
	s_delay_alu instid0(VALU_DEP_1) | instskip(NEXT) | instid1(VALU_DEP_1)
	v_mul_f64 v[148:149], v[150:151], v[146:147]
	v_fma_f64 v[144:145], -v[144:145], v[148:149], v[150:151]
	s_delay_alu instid0(VALU_DEP_1) | instskip(NEXT) | instid1(VALU_DEP_1)
	v_div_fmas_f64 v[144:145], v[144:145], v[146:147], v[148:149]
	v_div_fixup_f64 v[144:145], v[144:145], v[142:143], v[140:141]
	s_delay_alu instid0(VALU_DEP_1) | instskip(NEXT) | instid1(VALU_DEP_1)
	v_fma_f64 v[140:141], v[140:141], v[144:145], v[142:143]
	v_div_scale_f64 v[142:143], null, v[140:141], v[140:141], 1.0
	s_delay_alu instid0(VALU_DEP_1) | instskip(SKIP_2) | instid1(VALU_DEP_1)
	v_rcp_f64_e32 v[146:147], v[142:143]
	s_waitcnt_depctr 0xfff
	v_fma_f64 v[148:149], -v[142:143], v[146:147], 1.0
	v_fma_f64 v[146:147], v[146:147], v[148:149], v[146:147]
	s_delay_alu instid0(VALU_DEP_1) | instskip(NEXT) | instid1(VALU_DEP_1)
	v_fma_f64 v[148:149], -v[142:143], v[146:147], 1.0
	v_fma_f64 v[146:147], v[146:147], v[148:149], v[146:147]
	v_div_scale_f64 v[148:149], vcc_lo, 1.0, v[140:141], 1.0
	s_delay_alu instid0(VALU_DEP_1) | instskip(NEXT) | instid1(VALU_DEP_1)
	v_mul_f64 v[150:151], v[148:149], v[146:147]
	v_fma_f64 v[142:143], -v[142:143], v[150:151], v[148:149]
	s_delay_alu instid0(VALU_DEP_1) | instskip(NEXT) | instid1(VALU_DEP_1)
	v_div_fmas_f64 v[142:143], v[142:143], v[146:147], v[150:151]
	v_div_fixup_f64 v[146:147], v[142:143], v[140:141], 1.0
                                        ; implicit-def: $vgpr140_vgpr141
	s_delay_alu instid0(VALU_DEP_1)
	v_mul_f64 v[148:149], v[144:145], v[146:147]
	v_xor_b32_e32 v147, 0x80000000, v147
.LBB49_95:
	s_and_not1_saveexec_b32 s3, s3
	s_cbranch_execz .LBB49_97
; %bb.96:
	v_div_scale_f64 v[144:145], null, v[140:141], v[140:141], v[142:143]
	v_div_scale_f64 v[150:151], vcc_lo, v[142:143], v[140:141], v[142:143]
	s_delay_alu instid0(VALU_DEP_2) | instskip(SKIP_2) | instid1(VALU_DEP_1)
	v_rcp_f64_e32 v[146:147], v[144:145]
	s_waitcnt_depctr 0xfff
	v_fma_f64 v[148:149], -v[144:145], v[146:147], 1.0
	v_fma_f64 v[146:147], v[146:147], v[148:149], v[146:147]
	s_delay_alu instid0(VALU_DEP_1) | instskip(NEXT) | instid1(VALU_DEP_1)
	v_fma_f64 v[148:149], -v[144:145], v[146:147], 1.0
	v_fma_f64 v[146:147], v[146:147], v[148:149], v[146:147]
	s_delay_alu instid0(VALU_DEP_1) | instskip(NEXT) | instid1(VALU_DEP_1)
	v_mul_f64 v[148:149], v[150:151], v[146:147]
	v_fma_f64 v[144:145], -v[144:145], v[148:149], v[150:151]
	s_delay_alu instid0(VALU_DEP_1) | instskip(NEXT) | instid1(VALU_DEP_1)
	v_div_fmas_f64 v[144:145], v[144:145], v[146:147], v[148:149]
	v_div_fixup_f64 v[144:145], v[144:145], v[140:141], v[142:143]
	s_delay_alu instid0(VALU_DEP_1) | instskip(NEXT) | instid1(VALU_DEP_1)
	v_fma_f64 v[140:141], v[142:143], v[144:145], v[140:141]
	v_div_scale_f64 v[142:143], null, v[140:141], v[140:141], 1.0
	s_delay_alu instid0(VALU_DEP_1) | instskip(SKIP_2) | instid1(VALU_DEP_1)
	v_rcp_f64_e32 v[146:147], v[142:143]
	s_waitcnt_depctr 0xfff
	v_fma_f64 v[148:149], -v[142:143], v[146:147], 1.0
	v_fma_f64 v[146:147], v[146:147], v[148:149], v[146:147]
	s_delay_alu instid0(VALU_DEP_1) | instskip(NEXT) | instid1(VALU_DEP_1)
	v_fma_f64 v[148:149], -v[142:143], v[146:147], 1.0
	v_fma_f64 v[146:147], v[146:147], v[148:149], v[146:147]
	v_div_scale_f64 v[148:149], vcc_lo, 1.0, v[140:141], 1.0
	s_delay_alu instid0(VALU_DEP_1) | instskip(NEXT) | instid1(VALU_DEP_1)
	v_mul_f64 v[150:151], v[148:149], v[146:147]
	v_fma_f64 v[142:143], -v[142:143], v[150:151], v[148:149]
	s_delay_alu instid0(VALU_DEP_1) | instskip(NEXT) | instid1(VALU_DEP_1)
	v_div_fmas_f64 v[142:143], v[142:143], v[146:147], v[150:151]
	v_div_fixup_f64 v[148:149], v[142:143], v[140:141], 1.0
	s_delay_alu instid0(VALU_DEP_1)
	v_mul_f64 v[146:147], v[144:145], -v[148:149]
.LBB49_97:
	s_or_b32 exec_lo, exec_lo, s3
	ds_store_2addr_b64 v255, v[148:149], v[146:147] offset1:1
.LBB49_98:
	s_or_b32 exec_lo, exec_lo, s4
	s_waitcnt lgkmcnt(0)
	s_barrier
	buffer_gl0_inv
	ds_load_2addr_b64 v[140:143], v255 offset1:1
	s_mov_b32 s3, exec_lo
	v_cmpx_lt_u32_e32 10, v254
	s_cbranch_execz .LBB49_100
; %bb.99:
	s_waitcnt lgkmcnt(0)
	v_mul_f64 v[144:145], v[140:141], v[58:59]
	v_mul_f64 v[58:59], v[142:143], v[58:59]
	s_delay_alu instid0(VALU_DEP_2)
	v_fma_f64 v[152:153], v[142:143], v[56:57], v[144:145]
	ds_load_2addr_b64 v[144:147], v202 offset0:22 offset1:23
	ds_load_2addr_b64 v[148:151], v202 offset0:24 offset1:25
	v_fma_f64 v[56:57], v[140:141], v[56:57], -v[58:59]
	s_waitcnt lgkmcnt(1)
	v_mul_f64 v[58:59], v[146:147], v[152:153]
	s_delay_alu instid0(VALU_DEP_1) | instskip(SKIP_1) | instid1(VALU_DEP_2)
	v_fma_f64 v[58:59], v[144:145], v[56:57], -v[58:59]
	v_mul_f64 v[144:145], v[144:145], v[152:153]
	v_add_f64 v[52:53], v[52:53], -v[58:59]
	s_delay_alu instid0(VALU_DEP_2) | instskip(SKIP_3) | instid1(VALU_DEP_3)
	v_fma_f64 v[154:155], v[146:147], v[56:57], v[144:145]
	s_waitcnt lgkmcnt(0)
	v_mul_f64 v[144:145], v[150:151], v[152:153]
	v_dual_mov_b32 v58, v152 :: v_dual_mov_b32 v59, v153
	v_add_f64 v[54:55], v[54:55], -v[154:155]
	s_delay_alu instid0(VALU_DEP_3) | instskip(SKIP_1) | instid1(VALU_DEP_2)
	v_fma_f64 v[156:157], v[148:149], v[56:57], -v[144:145]
	v_mul_f64 v[144:145], v[148:149], v[152:153]
	v_add_f64 v[48:49], v[48:49], -v[156:157]
	s_delay_alu instid0(VALU_DEP_2)
	v_fma_f64 v[158:159], v[150:151], v[56:57], v[144:145]
	ds_load_2addr_b64 v[144:147], v202 offset0:26 offset1:27
	ds_load_2addr_b64 v[148:151], v202 offset0:28 offset1:29
	s_waitcnt lgkmcnt(1)
	v_mul_f64 v[160:161], v[146:147], v[152:153]
	v_add_f64 v[50:51], v[50:51], -v[158:159]
	s_delay_alu instid0(VALU_DEP_2) | instskip(SKIP_1) | instid1(VALU_DEP_2)
	v_fma_f64 v[160:161], v[144:145], v[56:57], -v[160:161]
	v_mul_f64 v[144:145], v[144:145], v[152:153]
	v_add_f64 v[44:45], v[44:45], -v[160:161]
	s_delay_alu instid0(VALU_DEP_2) | instskip(SKIP_2) | instid1(VALU_DEP_2)
	v_fma_f64 v[162:163], v[146:147], v[56:57], v[144:145]
	s_waitcnt lgkmcnt(0)
	v_mul_f64 v[144:145], v[150:151], v[152:153]
	v_add_f64 v[46:47], v[46:47], -v[162:163]
	s_delay_alu instid0(VALU_DEP_2) | instskip(SKIP_1) | instid1(VALU_DEP_2)
	v_fma_f64 v[164:165], v[148:149], v[56:57], -v[144:145]
	v_mul_f64 v[144:145], v[148:149], v[152:153]
	v_add_f64 v[40:41], v[40:41], -v[164:165]
	s_delay_alu instid0(VALU_DEP_2)
	v_fma_f64 v[166:167], v[150:151], v[56:57], v[144:145]
	ds_load_2addr_b64 v[144:147], v202 offset0:30 offset1:31
	ds_load_2addr_b64 v[148:151], v202 offset0:32 offset1:33
	s_waitcnt lgkmcnt(1)
	v_mul_f64 v[168:169], v[146:147], v[152:153]
	v_add_f64 v[42:43], v[42:43], -v[166:167]
	s_delay_alu instid0(VALU_DEP_2) | instskip(SKIP_1) | instid1(VALU_DEP_2)
	v_fma_f64 v[168:169], v[144:145], v[56:57], -v[168:169]
	v_mul_f64 v[144:145], v[144:145], v[152:153]
	v_add_f64 v[36:37], v[36:37], -v[168:169]
	s_delay_alu instid0(VALU_DEP_2) | instskip(SKIP_2) | instid1(VALU_DEP_2)
	v_fma_f64 v[170:171], v[146:147], v[56:57], v[144:145]
	s_waitcnt lgkmcnt(0)
	v_mul_f64 v[144:145], v[150:151], v[152:153]
	v_add_f64 v[38:39], v[38:39], -v[170:171]
	s_delay_alu instid0(VALU_DEP_2) | instskip(SKIP_1) | instid1(VALU_DEP_2)
	;; [unrolled: 20-line block ×6, first 2 shown]
	v_fma_f64 v[146:147], v[148:149], v[56:57], -v[146:147]
	v_mul_f64 v[148:149], v[148:149], v[152:153]
	v_add_f64 v[0:1], v[0:1], -v[146:147]
	s_delay_alu instid0(VALU_DEP_2) | instskip(NEXT) | instid1(VALU_DEP_1)
	v_fma_f64 v[148:149], v[150:151], v[56:57], v[148:149]
	v_add_f64 v[2:3], v[2:3], -v[148:149]
.LBB49_100:
	s_or_b32 exec_lo, exec_lo, s3
	s_delay_alu instid0(SALU_CYCLE_1)
	s_mov_b32 s4, exec_lo
	s_waitcnt lgkmcnt(0)
	s_barrier
	buffer_gl0_inv
	v_cmpx_eq_u32_e32 11, v254
	s_cbranch_execz .LBB49_107
; %bb.101:
	ds_store_2addr_b64 v255, v[52:53], v[54:55] offset1:1
	ds_store_2addr_b64 v202, v[48:49], v[50:51] offset0:24 offset1:25
	ds_store_2addr_b64 v202, v[44:45], v[46:47] offset0:26 offset1:27
	;; [unrolled: 1-line block ×13, first 2 shown]
	ds_load_2addr_b64 v[144:147], v255 offset1:1
	s_waitcnt lgkmcnt(0)
	v_cmp_neq_f64_e32 vcc_lo, 0, v[144:145]
	v_cmp_neq_f64_e64 s3, 0, v[146:147]
	s_delay_alu instid0(VALU_DEP_1) | instskip(NEXT) | instid1(SALU_CYCLE_1)
	s_or_b32 s3, vcc_lo, s3
	s_and_b32 exec_lo, exec_lo, s3
	s_cbranch_execz .LBB49_107
; %bb.102:
	v_cmp_gt_f64_e32 vcc_lo, 0, v[144:145]
	v_cmp_gt_f64_e64 s3, 0, v[146:147]
	v_xor_b32_e32 v100, 0x80000000, v145
	v_xor_b32_e32 v101, 0x80000000, v147
                                        ; implicit-def: $vgpr152_vgpr153
	s_delay_alu instid0(VALU_DEP_2) | instskip(NEXT) | instid1(VALU_DEP_2)
	v_cndmask_b32_e32 v149, v145, v100, vcc_lo
	v_cndmask_b32_e64 v151, v147, v101, s3
	v_cndmask_b32_e32 v148, v144, v144, vcc_lo
	v_cndmask_b32_e64 v150, v146, v146, s3
	s_mov_b32 s3, exec_lo
	s_delay_alu instid0(VALU_DEP_1)
	v_cmpx_ngt_f64_e32 v[148:149], v[150:151]
	s_xor_b32 s3, exec_lo, s3
                                        ; implicit-def: $vgpr148_vgpr149_vgpr150_vgpr151
	s_cbranch_execz .LBB49_104
; %bb.103:
	v_div_scale_f64 v[148:149], null, v[146:147], v[146:147], v[144:145]
	v_div_scale_f64 v[154:155], vcc_lo, v[144:145], v[146:147], v[144:145]
	s_delay_alu instid0(VALU_DEP_2) | instskip(SKIP_2) | instid1(VALU_DEP_1)
	v_rcp_f64_e32 v[150:151], v[148:149]
	s_waitcnt_depctr 0xfff
	v_fma_f64 v[152:153], -v[148:149], v[150:151], 1.0
	v_fma_f64 v[150:151], v[150:151], v[152:153], v[150:151]
	s_delay_alu instid0(VALU_DEP_1) | instskip(NEXT) | instid1(VALU_DEP_1)
	v_fma_f64 v[152:153], -v[148:149], v[150:151], 1.0
	v_fma_f64 v[150:151], v[150:151], v[152:153], v[150:151]
	s_delay_alu instid0(VALU_DEP_1) | instskip(NEXT) | instid1(VALU_DEP_1)
	v_mul_f64 v[152:153], v[154:155], v[150:151]
	v_fma_f64 v[148:149], -v[148:149], v[152:153], v[154:155]
	s_delay_alu instid0(VALU_DEP_1) | instskip(NEXT) | instid1(VALU_DEP_1)
	v_div_fmas_f64 v[148:149], v[148:149], v[150:151], v[152:153]
	v_div_fixup_f64 v[148:149], v[148:149], v[146:147], v[144:145]
	s_delay_alu instid0(VALU_DEP_1) | instskip(NEXT) | instid1(VALU_DEP_1)
	v_fma_f64 v[144:145], v[144:145], v[148:149], v[146:147]
	v_div_scale_f64 v[146:147], null, v[144:145], v[144:145], 1.0
	s_delay_alu instid0(VALU_DEP_1) | instskip(SKIP_2) | instid1(VALU_DEP_1)
	v_rcp_f64_e32 v[150:151], v[146:147]
	s_waitcnt_depctr 0xfff
	v_fma_f64 v[152:153], -v[146:147], v[150:151], 1.0
	v_fma_f64 v[150:151], v[150:151], v[152:153], v[150:151]
	s_delay_alu instid0(VALU_DEP_1) | instskip(NEXT) | instid1(VALU_DEP_1)
	v_fma_f64 v[152:153], -v[146:147], v[150:151], 1.0
	v_fma_f64 v[150:151], v[150:151], v[152:153], v[150:151]
	v_div_scale_f64 v[152:153], vcc_lo, 1.0, v[144:145], 1.0
	s_delay_alu instid0(VALU_DEP_1) | instskip(NEXT) | instid1(VALU_DEP_1)
	v_mul_f64 v[154:155], v[152:153], v[150:151]
	v_fma_f64 v[146:147], -v[146:147], v[154:155], v[152:153]
	s_delay_alu instid0(VALU_DEP_1) | instskip(NEXT) | instid1(VALU_DEP_1)
	v_div_fmas_f64 v[146:147], v[146:147], v[150:151], v[154:155]
	v_div_fixup_f64 v[150:151], v[146:147], v[144:145], 1.0
                                        ; implicit-def: $vgpr144_vgpr145
	s_delay_alu instid0(VALU_DEP_1)
	v_mul_f64 v[152:153], v[148:149], v[150:151]
	v_xor_b32_e32 v151, 0x80000000, v151
.LBB49_104:
	s_and_not1_saveexec_b32 s3, s3
	s_cbranch_execz .LBB49_106
; %bb.105:
	v_div_scale_f64 v[148:149], null, v[144:145], v[144:145], v[146:147]
	v_div_scale_f64 v[154:155], vcc_lo, v[146:147], v[144:145], v[146:147]
	s_delay_alu instid0(VALU_DEP_2) | instskip(SKIP_2) | instid1(VALU_DEP_1)
	v_rcp_f64_e32 v[150:151], v[148:149]
	s_waitcnt_depctr 0xfff
	v_fma_f64 v[152:153], -v[148:149], v[150:151], 1.0
	v_fma_f64 v[150:151], v[150:151], v[152:153], v[150:151]
	s_delay_alu instid0(VALU_DEP_1) | instskip(NEXT) | instid1(VALU_DEP_1)
	v_fma_f64 v[152:153], -v[148:149], v[150:151], 1.0
	v_fma_f64 v[150:151], v[150:151], v[152:153], v[150:151]
	s_delay_alu instid0(VALU_DEP_1) | instskip(NEXT) | instid1(VALU_DEP_1)
	v_mul_f64 v[152:153], v[154:155], v[150:151]
	v_fma_f64 v[148:149], -v[148:149], v[152:153], v[154:155]
	s_delay_alu instid0(VALU_DEP_1) | instskip(NEXT) | instid1(VALU_DEP_1)
	v_div_fmas_f64 v[148:149], v[148:149], v[150:151], v[152:153]
	v_div_fixup_f64 v[148:149], v[148:149], v[144:145], v[146:147]
	s_delay_alu instid0(VALU_DEP_1) | instskip(NEXT) | instid1(VALU_DEP_1)
	v_fma_f64 v[144:145], v[146:147], v[148:149], v[144:145]
	v_div_scale_f64 v[146:147], null, v[144:145], v[144:145], 1.0
	s_delay_alu instid0(VALU_DEP_1) | instskip(SKIP_2) | instid1(VALU_DEP_1)
	v_rcp_f64_e32 v[150:151], v[146:147]
	s_waitcnt_depctr 0xfff
	v_fma_f64 v[152:153], -v[146:147], v[150:151], 1.0
	v_fma_f64 v[150:151], v[150:151], v[152:153], v[150:151]
	s_delay_alu instid0(VALU_DEP_1) | instskip(NEXT) | instid1(VALU_DEP_1)
	v_fma_f64 v[152:153], -v[146:147], v[150:151], 1.0
	v_fma_f64 v[150:151], v[150:151], v[152:153], v[150:151]
	v_div_scale_f64 v[152:153], vcc_lo, 1.0, v[144:145], 1.0
	s_delay_alu instid0(VALU_DEP_1) | instskip(NEXT) | instid1(VALU_DEP_1)
	v_mul_f64 v[154:155], v[152:153], v[150:151]
	v_fma_f64 v[146:147], -v[146:147], v[154:155], v[152:153]
	s_delay_alu instid0(VALU_DEP_1) | instskip(NEXT) | instid1(VALU_DEP_1)
	v_div_fmas_f64 v[146:147], v[146:147], v[150:151], v[154:155]
	v_div_fixup_f64 v[152:153], v[146:147], v[144:145], 1.0
	s_delay_alu instid0(VALU_DEP_1)
	v_mul_f64 v[150:151], v[148:149], -v[152:153]
.LBB49_106:
	s_or_b32 exec_lo, exec_lo, s3
	ds_store_2addr_b64 v255, v[152:153], v[150:151] offset1:1
.LBB49_107:
	s_or_b32 exec_lo, exec_lo, s4
	s_waitcnt lgkmcnt(0)
	s_barrier
	buffer_gl0_inv
	ds_load_2addr_b64 v[144:147], v255 offset1:1
	s_mov_b32 s3, exec_lo
	v_cmpx_lt_u32_e32 11, v254
	s_cbranch_execz .LBB49_109
; %bb.108:
	s_waitcnt lgkmcnt(0)
	v_mul_f64 v[148:149], v[144:145], v[54:55]
	v_mul_f64 v[54:55], v[146:147], v[54:55]
	s_delay_alu instid0(VALU_DEP_2)
	v_fma_f64 v[156:157], v[146:147], v[52:53], v[148:149]
	ds_load_2addr_b64 v[148:151], v202 offset0:24 offset1:25
	ds_load_2addr_b64 v[152:155], v202 offset0:26 offset1:27
	v_fma_f64 v[52:53], v[144:145], v[52:53], -v[54:55]
	s_waitcnt lgkmcnt(1)
	v_mul_f64 v[54:55], v[150:151], v[156:157]
	s_delay_alu instid0(VALU_DEP_1) | instskip(SKIP_1) | instid1(VALU_DEP_2)
	v_fma_f64 v[54:55], v[148:149], v[52:53], -v[54:55]
	v_mul_f64 v[148:149], v[148:149], v[156:157]
	v_add_f64 v[48:49], v[48:49], -v[54:55]
	s_delay_alu instid0(VALU_DEP_2) | instskip(SKIP_3) | instid1(VALU_DEP_3)
	v_fma_f64 v[158:159], v[150:151], v[52:53], v[148:149]
	s_waitcnt lgkmcnt(0)
	v_mul_f64 v[148:149], v[154:155], v[156:157]
	v_dual_mov_b32 v54, v156 :: v_dual_mov_b32 v55, v157
	v_add_f64 v[50:51], v[50:51], -v[158:159]
	s_delay_alu instid0(VALU_DEP_3) | instskip(SKIP_1) | instid1(VALU_DEP_2)
	v_fma_f64 v[160:161], v[152:153], v[52:53], -v[148:149]
	v_mul_f64 v[148:149], v[152:153], v[156:157]
	v_add_f64 v[44:45], v[44:45], -v[160:161]
	s_delay_alu instid0(VALU_DEP_2)
	v_fma_f64 v[162:163], v[154:155], v[52:53], v[148:149]
	ds_load_2addr_b64 v[148:151], v202 offset0:28 offset1:29
	ds_load_2addr_b64 v[152:155], v202 offset0:30 offset1:31
	s_waitcnt lgkmcnt(1)
	v_mul_f64 v[164:165], v[150:151], v[156:157]
	v_add_f64 v[46:47], v[46:47], -v[162:163]
	s_delay_alu instid0(VALU_DEP_2) | instskip(SKIP_1) | instid1(VALU_DEP_2)
	v_fma_f64 v[164:165], v[148:149], v[52:53], -v[164:165]
	v_mul_f64 v[148:149], v[148:149], v[156:157]
	v_add_f64 v[40:41], v[40:41], -v[164:165]
	s_delay_alu instid0(VALU_DEP_2) | instskip(SKIP_2) | instid1(VALU_DEP_2)
	v_fma_f64 v[166:167], v[150:151], v[52:53], v[148:149]
	s_waitcnt lgkmcnt(0)
	v_mul_f64 v[148:149], v[154:155], v[156:157]
	v_add_f64 v[42:43], v[42:43], -v[166:167]
	s_delay_alu instid0(VALU_DEP_2) | instskip(SKIP_1) | instid1(VALU_DEP_2)
	v_fma_f64 v[168:169], v[152:153], v[52:53], -v[148:149]
	v_mul_f64 v[148:149], v[152:153], v[156:157]
	v_add_f64 v[36:37], v[36:37], -v[168:169]
	s_delay_alu instid0(VALU_DEP_2)
	v_fma_f64 v[170:171], v[154:155], v[52:53], v[148:149]
	ds_load_2addr_b64 v[148:151], v202 offset0:32 offset1:33
	ds_load_2addr_b64 v[152:155], v202 offset0:34 offset1:35
	s_waitcnt lgkmcnt(1)
	v_mul_f64 v[172:173], v[150:151], v[156:157]
	v_add_f64 v[38:39], v[38:39], -v[170:171]
	s_delay_alu instid0(VALU_DEP_2) | instskip(SKIP_1) | instid1(VALU_DEP_2)
	v_fma_f64 v[172:173], v[148:149], v[52:53], -v[172:173]
	v_mul_f64 v[148:149], v[148:149], v[156:157]
	v_add_f64 v[32:33], v[32:33], -v[172:173]
	s_delay_alu instid0(VALU_DEP_2) | instskip(SKIP_2) | instid1(VALU_DEP_2)
	v_fma_f64 v[174:175], v[150:151], v[52:53], v[148:149]
	s_waitcnt lgkmcnt(0)
	v_mul_f64 v[148:149], v[154:155], v[156:157]
	v_add_f64 v[34:35], v[34:35], -v[174:175]
	s_delay_alu instid0(VALU_DEP_2) | instskip(SKIP_1) | instid1(VALU_DEP_2)
	;; [unrolled: 20-line block ×5, first 2 shown]
	v_fma_f64 v[252:253], v[152:153], v[52:53], -v[148:149]
	v_mul_f64 v[148:149], v[152:153], v[156:157]
	v_add_f64 v[4:5], v[4:5], -v[252:253]
	s_delay_alu instid0(VALU_DEP_2) | instskip(SKIP_4) | instid1(VALU_DEP_2)
	v_fma_f64 v[152:153], v[154:155], v[52:53], v[148:149]
	ds_load_2addr_b64 v[148:151], v202 offset0:48 offset1:49
	s_waitcnt lgkmcnt(0)
	v_mul_f64 v[154:155], v[150:151], v[156:157]
	v_add_f64 v[6:7], v[6:7], -v[152:153]
	v_fma_f64 v[154:155], v[148:149], v[52:53], -v[154:155]
	v_mul_f64 v[148:149], v[148:149], v[156:157]
	s_delay_alu instid0(VALU_DEP_2) | instskip(NEXT) | instid1(VALU_DEP_2)
	v_add_f64 v[0:1], v[0:1], -v[154:155]
	v_fma_f64 v[148:149], v[150:151], v[52:53], v[148:149]
	s_delay_alu instid0(VALU_DEP_1)
	v_add_f64 v[2:3], v[2:3], -v[148:149]
.LBB49_109:
	s_or_b32 exec_lo, exec_lo, s3
	s_delay_alu instid0(SALU_CYCLE_1)
	s_mov_b32 s4, exec_lo
	s_waitcnt lgkmcnt(0)
	s_barrier
	buffer_gl0_inv
	v_cmpx_eq_u32_e32 12, v254
	s_cbranch_execz .LBB49_116
; %bb.110:
	ds_store_2addr_b64 v255, v[48:49], v[50:51] offset1:1
	ds_store_2addr_b64 v202, v[44:45], v[46:47] offset0:26 offset1:27
	ds_store_2addr_b64 v202, v[40:41], v[42:43] offset0:28 offset1:29
	;; [unrolled: 1-line block ×12, first 2 shown]
	ds_load_2addr_b64 v[148:151], v255 offset1:1
	s_waitcnt lgkmcnt(0)
	v_cmp_neq_f64_e32 vcc_lo, 0, v[148:149]
	v_cmp_neq_f64_e64 s3, 0, v[150:151]
	s_delay_alu instid0(VALU_DEP_1) | instskip(NEXT) | instid1(SALU_CYCLE_1)
	s_or_b32 s3, vcc_lo, s3
	s_and_b32 exec_lo, exec_lo, s3
	s_cbranch_execz .LBB49_116
; %bb.111:
	v_cmp_gt_f64_e32 vcc_lo, 0, v[148:149]
	v_cmp_gt_f64_e64 s3, 0, v[150:151]
	v_xor_b32_e32 v100, 0x80000000, v149
	v_xor_b32_e32 v101, 0x80000000, v151
                                        ; implicit-def: $vgpr156_vgpr157
	s_delay_alu instid0(VALU_DEP_2) | instskip(NEXT) | instid1(VALU_DEP_2)
	v_cndmask_b32_e32 v153, v149, v100, vcc_lo
	v_cndmask_b32_e64 v155, v151, v101, s3
	v_cndmask_b32_e32 v152, v148, v148, vcc_lo
	v_cndmask_b32_e64 v154, v150, v150, s3
	s_mov_b32 s3, exec_lo
	s_delay_alu instid0(VALU_DEP_1)
	v_cmpx_ngt_f64_e32 v[152:153], v[154:155]
	s_xor_b32 s3, exec_lo, s3
                                        ; implicit-def: $vgpr152_vgpr153_vgpr154_vgpr155
	s_cbranch_execz .LBB49_113
; %bb.112:
	v_div_scale_f64 v[152:153], null, v[150:151], v[150:151], v[148:149]
	v_div_scale_f64 v[158:159], vcc_lo, v[148:149], v[150:151], v[148:149]
	s_delay_alu instid0(VALU_DEP_2) | instskip(SKIP_2) | instid1(VALU_DEP_1)
	v_rcp_f64_e32 v[154:155], v[152:153]
	s_waitcnt_depctr 0xfff
	v_fma_f64 v[156:157], -v[152:153], v[154:155], 1.0
	v_fma_f64 v[154:155], v[154:155], v[156:157], v[154:155]
	s_delay_alu instid0(VALU_DEP_1) | instskip(NEXT) | instid1(VALU_DEP_1)
	v_fma_f64 v[156:157], -v[152:153], v[154:155], 1.0
	v_fma_f64 v[154:155], v[154:155], v[156:157], v[154:155]
	s_delay_alu instid0(VALU_DEP_1) | instskip(NEXT) | instid1(VALU_DEP_1)
	v_mul_f64 v[156:157], v[158:159], v[154:155]
	v_fma_f64 v[152:153], -v[152:153], v[156:157], v[158:159]
	s_delay_alu instid0(VALU_DEP_1) | instskip(NEXT) | instid1(VALU_DEP_1)
	v_div_fmas_f64 v[152:153], v[152:153], v[154:155], v[156:157]
	v_div_fixup_f64 v[152:153], v[152:153], v[150:151], v[148:149]
	s_delay_alu instid0(VALU_DEP_1) | instskip(NEXT) | instid1(VALU_DEP_1)
	v_fma_f64 v[148:149], v[148:149], v[152:153], v[150:151]
	v_div_scale_f64 v[150:151], null, v[148:149], v[148:149], 1.0
	s_delay_alu instid0(VALU_DEP_1) | instskip(SKIP_2) | instid1(VALU_DEP_1)
	v_rcp_f64_e32 v[154:155], v[150:151]
	s_waitcnt_depctr 0xfff
	v_fma_f64 v[156:157], -v[150:151], v[154:155], 1.0
	v_fma_f64 v[154:155], v[154:155], v[156:157], v[154:155]
	s_delay_alu instid0(VALU_DEP_1) | instskip(NEXT) | instid1(VALU_DEP_1)
	v_fma_f64 v[156:157], -v[150:151], v[154:155], 1.0
	v_fma_f64 v[154:155], v[154:155], v[156:157], v[154:155]
	v_div_scale_f64 v[156:157], vcc_lo, 1.0, v[148:149], 1.0
	s_delay_alu instid0(VALU_DEP_1) | instskip(NEXT) | instid1(VALU_DEP_1)
	v_mul_f64 v[158:159], v[156:157], v[154:155]
	v_fma_f64 v[150:151], -v[150:151], v[158:159], v[156:157]
	s_delay_alu instid0(VALU_DEP_1) | instskip(NEXT) | instid1(VALU_DEP_1)
	v_div_fmas_f64 v[150:151], v[150:151], v[154:155], v[158:159]
	v_div_fixup_f64 v[154:155], v[150:151], v[148:149], 1.0
                                        ; implicit-def: $vgpr148_vgpr149
	s_delay_alu instid0(VALU_DEP_1)
	v_mul_f64 v[156:157], v[152:153], v[154:155]
	v_xor_b32_e32 v155, 0x80000000, v155
.LBB49_113:
	s_and_not1_saveexec_b32 s3, s3
	s_cbranch_execz .LBB49_115
; %bb.114:
	v_div_scale_f64 v[152:153], null, v[148:149], v[148:149], v[150:151]
	v_div_scale_f64 v[158:159], vcc_lo, v[150:151], v[148:149], v[150:151]
	s_delay_alu instid0(VALU_DEP_2) | instskip(SKIP_2) | instid1(VALU_DEP_1)
	v_rcp_f64_e32 v[154:155], v[152:153]
	s_waitcnt_depctr 0xfff
	v_fma_f64 v[156:157], -v[152:153], v[154:155], 1.0
	v_fma_f64 v[154:155], v[154:155], v[156:157], v[154:155]
	s_delay_alu instid0(VALU_DEP_1) | instskip(NEXT) | instid1(VALU_DEP_1)
	v_fma_f64 v[156:157], -v[152:153], v[154:155], 1.0
	v_fma_f64 v[154:155], v[154:155], v[156:157], v[154:155]
	s_delay_alu instid0(VALU_DEP_1) | instskip(NEXT) | instid1(VALU_DEP_1)
	v_mul_f64 v[156:157], v[158:159], v[154:155]
	v_fma_f64 v[152:153], -v[152:153], v[156:157], v[158:159]
	s_delay_alu instid0(VALU_DEP_1) | instskip(NEXT) | instid1(VALU_DEP_1)
	v_div_fmas_f64 v[152:153], v[152:153], v[154:155], v[156:157]
	v_div_fixup_f64 v[152:153], v[152:153], v[148:149], v[150:151]
	s_delay_alu instid0(VALU_DEP_1) | instskip(NEXT) | instid1(VALU_DEP_1)
	v_fma_f64 v[148:149], v[150:151], v[152:153], v[148:149]
	v_div_scale_f64 v[150:151], null, v[148:149], v[148:149], 1.0
	s_delay_alu instid0(VALU_DEP_1) | instskip(SKIP_2) | instid1(VALU_DEP_1)
	v_rcp_f64_e32 v[154:155], v[150:151]
	s_waitcnt_depctr 0xfff
	v_fma_f64 v[156:157], -v[150:151], v[154:155], 1.0
	v_fma_f64 v[154:155], v[154:155], v[156:157], v[154:155]
	s_delay_alu instid0(VALU_DEP_1) | instskip(NEXT) | instid1(VALU_DEP_1)
	v_fma_f64 v[156:157], -v[150:151], v[154:155], 1.0
	v_fma_f64 v[154:155], v[154:155], v[156:157], v[154:155]
	v_div_scale_f64 v[156:157], vcc_lo, 1.0, v[148:149], 1.0
	s_delay_alu instid0(VALU_DEP_1) | instskip(NEXT) | instid1(VALU_DEP_1)
	v_mul_f64 v[158:159], v[156:157], v[154:155]
	v_fma_f64 v[150:151], -v[150:151], v[158:159], v[156:157]
	s_delay_alu instid0(VALU_DEP_1) | instskip(NEXT) | instid1(VALU_DEP_1)
	v_div_fmas_f64 v[150:151], v[150:151], v[154:155], v[158:159]
	v_div_fixup_f64 v[156:157], v[150:151], v[148:149], 1.0
	s_delay_alu instid0(VALU_DEP_1)
	v_mul_f64 v[154:155], v[152:153], -v[156:157]
.LBB49_115:
	s_or_b32 exec_lo, exec_lo, s3
	ds_store_2addr_b64 v255, v[156:157], v[154:155] offset1:1
.LBB49_116:
	s_or_b32 exec_lo, exec_lo, s4
	s_waitcnt lgkmcnt(0)
	s_barrier
	buffer_gl0_inv
	ds_load_2addr_b64 v[148:151], v255 offset1:1
	s_mov_b32 s3, exec_lo
	v_cmpx_lt_u32_e32 12, v254
	s_cbranch_execz .LBB49_118
; %bb.117:
	s_waitcnt lgkmcnt(0)
	v_mul_f64 v[152:153], v[148:149], v[50:51]
	v_mul_f64 v[50:51], v[150:151], v[50:51]
	s_delay_alu instid0(VALU_DEP_2)
	v_fma_f64 v[160:161], v[150:151], v[48:49], v[152:153]
	ds_load_2addr_b64 v[152:155], v202 offset0:26 offset1:27
	ds_load_2addr_b64 v[156:159], v202 offset0:28 offset1:29
	v_fma_f64 v[48:49], v[148:149], v[48:49], -v[50:51]
	s_waitcnt lgkmcnt(1)
	v_mul_f64 v[50:51], v[154:155], v[160:161]
	s_delay_alu instid0(VALU_DEP_1) | instskip(SKIP_1) | instid1(VALU_DEP_2)
	v_fma_f64 v[50:51], v[152:153], v[48:49], -v[50:51]
	v_mul_f64 v[152:153], v[152:153], v[160:161]
	v_add_f64 v[44:45], v[44:45], -v[50:51]
	s_delay_alu instid0(VALU_DEP_2) | instskip(SKIP_3) | instid1(VALU_DEP_3)
	v_fma_f64 v[162:163], v[154:155], v[48:49], v[152:153]
	s_waitcnt lgkmcnt(0)
	v_mul_f64 v[152:153], v[158:159], v[160:161]
	v_dual_mov_b32 v50, v160 :: v_dual_mov_b32 v51, v161
	v_add_f64 v[46:47], v[46:47], -v[162:163]
	s_delay_alu instid0(VALU_DEP_3) | instskip(SKIP_1) | instid1(VALU_DEP_2)
	v_fma_f64 v[164:165], v[156:157], v[48:49], -v[152:153]
	v_mul_f64 v[152:153], v[156:157], v[160:161]
	v_add_f64 v[40:41], v[40:41], -v[164:165]
	s_delay_alu instid0(VALU_DEP_2)
	v_fma_f64 v[166:167], v[158:159], v[48:49], v[152:153]
	ds_load_2addr_b64 v[152:155], v202 offset0:30 offset1:31
	ds_load_2addr_b64 v[156:159], v202 offset0:32 offset1:33
	s_waitcnt lgkmcnt(1)
	v_mul_f64 v[168:169], v[154:155], v[160:161]
	v_add_f64 v[42:43], v[42:43], -v[166:167]
	s_delay_alu instid0(VALU_DEP_2) | instskip(SKIP_1) | instid1(VALU_DEP_2)
	v_fma_f64 v[168:169], v[152:153], v[48:49], -v[168:169]
	v_mul_f64 v[152:153], v[152:153], v[160:161]
	v_add_f64 v[36:37], v[36:37], -v[168:169]
	s_delay_alu instid0(VALU_DEP_2) | instskip(SKIP_2) | instid1(VALU_DEP_2)
	v_fma_f64 v[170:171], v[154:155], v[48:49], v[152:153]
	s_waitcnt lgkmcnt(0)
	v_mul_f64 v[152:153], v[158:159], v[160:161]
	v_add_f64 v[38:39], v[38:39], -v[170:171]
	s_delay_alu instid0(VALU_DEP_2) | instskip(SKIP_1) | instid1(VALU_DEP_2)
	v_fma_f64 v[172:173], v[156:157], v[48:49], -v[152:153]
	v_mul_f64 v[152:153], v[156:157], v[160:161]
	v_add_f64 v[32:33], v[32:33], -v[172:173]
	s_delay_alu instid0(VALU_DEP_2)
	v_fma_f64 v[174:175], v[158:159], v[48:49], v[152:153]
	ds_load_2addr_b64 v[152:155], v202 offset0:34 offset1:35
	ds_load_2addr_b64 v[156:159], v202 offset0:36 offset1:37
	s_waitcnt lgkmcnt(1)
	v_mul_f64 v[176:177], v[154:155], v[160:161]
	v_add_f64 v[34:35], v[34:35], -v[174:175]
	s_delay_alu instid0(VALU_DEP_2) | instskip(SKIP_1) | instid1(VALU_DEP_2)
	v_fma_f64 v[176:177], v[152:153], v[48:49], -v[176:177]
	v_mul_f64 v[152:153], v[152:153], v[160:161]
	v_add_f64 v[28:29], v[28:29], -v[176:177]
	s_delay_alu instid0(VALU_DEP_2) | instskip(SKIP_2) | instid1(VALU_DEP_2)
	v_fma_f64 v[178:179], v[154:155], v[48:49], v[152:153]
	s_waitcnt lgkmcnt(0)
	v_mul_f64 v[152:153], v[158:159], v[160:161]
	v_add_f64 v[30:31], v[30:31], -v[178:179]
	s_delay_alu instid0(VALU_DEP_2) | instskip(SKIP_1) | instid1(VALU_DEP_2)
	;; [unrolled: 20-line block ×5, first 2 shown]
	v_fma_f64 v[154:155], v[156:157], v[48:49], -v[154:155]
	v_mul_f64 v[156:157], v[156:157], v[160:161]
	v_add_f64 v[0:1], v[0:1], -v[154:155]
	s_delay_alu instid0(VALU_DEP_2) | instskip(NEXT) | instid1(VALU_DEP_1)
	v_fma_f64 v[156:157], v[158:159], v[48:49], v[156:157]
	v_add_f64 v[2:3], v[2:3], -v[156:157]
.LBB49_118:
	s_or_b32 exec_lo, exec_lo, s3
	s_delay_alu instid0(SALU_CYCLE_1)
	s_mov_b32 s4, exec_lo
	s_waitcnt lgkmcnt(0)
	s_barrier
	buffer_gl0_inv
	v_cmpx_eq_u32_e32 13, v254
	s_cbranch_execz .LBB49_125
; %bb.119:
	ds_store_2addr_b64 v255, v[44:45], v[46:47] offset1:1
	ds_store_2addr_b64 v202, v[40:41], v[42:43] offset0:28 offset1:29
	ds_store_2addr_b64 v202, v[36:37], v[38:39] offset0:30 offset1:31
	;; [unrolled: 1-line block ×11, first 2 shown]
	ds_load_2addr_b64 v[152:155], v255 offset1:1
	s_waitcnt lgkmcnt(0)
	v_cmp_neq_f64_e32 vcc_lo, 0, v[152:153]
	v_cmp_neq_f64_e64 s3, 0, v[154:155]
	s_delay_alu instid0(VALU_DEP_1) | instskip(NEXT) | instid1(SALU_CYCLE_1)
	s_or_b32 s3, vcc_lo, s3
	s_and_b32 exec_lo, exec_lo, s3
	s_cbranch_execz .LBB49_125
; %bb.120:
	v_cmp_gt_f64_e32 vcc_lo, 0, v[152:153]
	v_cmp_gt_f64_e64 s3, 0, v[154:155]
	v_xor_b32_e32 v100, 0x80000000, v153
	v_xor_b32_e32 v101, 0x80000000, v155
                                        ; implicit-def: $vgpr160_vgpr161
	s_delay_alu instid0(VALU_DEP_2) | instskip(NEXT) | instid1(VALU_DEP_2)
	v_cndmask_b32_e32 v157, v153, v100, vcc_lo
	v_cndmask_b32_e64 v159, v155, v101, s3
	v_cndmask_b32_e32 v156, v152, v152, vcc_lo
	v_cndmask_b32_e64 v158, v154, v154, s3
	s_mov_b32 s3, exec_lo
	s_delay_alu instid0(VALU_DEP_1)
	v_cmpx_ngt_f64_e32 v[156:157], v[158:159]
	s_xor_b32 s3, exec_lo, s3
                                        ; implicit-def: $vgpr156_vgpr157_vgpr158_vgpr159
	s_cbranch_execz .LBB49_122
; %bb.121:
	v_div_scale_f64 v[156:157], null, v[154:155], v[154:155], v[152:153]
	v_div_scale_f64 v[162:163], vcc_lo, v[152:153], v[154:155], v[152:153]
	s_delay_alu instid0(VALU_DEP_2) | instskip(SKIP_2) | instid1(VALU_DEP_1)
	v_rcp_f64_e32 v[158:159], v[156:157]
	s_waitcnt_depctr 0xfff
	v_fma_f64 v[160:161], -v[156:157], v[158:159], 1.0
	v_fma_f64 v[158:159], v[158:159], v[160:161], v[158:159]
	s_delay_alu instid0(VALU_DEP_1) | instskip(NEXT) | instid1(VALU_DEP_1)
	v_fma_f64 v[160:161], -v[156:157], v[158:159], 1.0
	v_fma_f64 v[158:159], v[158:159], v[160:161], v[158:159]
	s_delay_alu instid0(VALU_DEP_1) | instskip(NEXT) | instid1(VALU_DEP_1)
	v_mul_f64 v[160:161], v[162:163], v[158:159]
	v_fma_f64 v[156:157], -v[156:157], v[160:161], v[162:163]
	s_delay_alu instid0(VALU_DEP_1) | instskip(NEXT) | instid1(VALU_DEP_1)
	v_div_fmas_f64 v[156:157], v[156:157], v[158:159], v[160:161]
	v_div_fixup_f64 v[156:157], v[156:157], v[154:155], v[152:153]
	s_delay_alu instid0(VALU_DEP_1) | instskip(NEXT) | instid1(VALU_DEP_1)
	v_fma_f64 v[152:153], v[152:153], v[156:157], v[154:155]
	v_div_scale_f64 v[154:155], null, v[152:153], v[152:153], 1.0
	s_delay_alu instid0(VALU_DEP_1) | instskip(SKIP_2) | instid1(VALU_DEP_1)
	v_rcp_f64_e32 v[158:159], v[154:155]
	s_waitcnt_depctr 0xfff
	v_fma_f64 v[160:161], -v[154:155], v[158:159], 1.0
	v_fma_f64 v[158:159], v[158:159], v[160:161], v[158:159]
	s_delay_alu instid0(VALU_DEP_1) | instskip(NEXT) | instid1(VALU_DEP_1)
	v_fma_f64 v[160:161], -v[154:155], v[158:159], 1.0
	v_fma_f64 v[158:159], v[158:159], v[160:161], v[158:159]
	v_div_scale_f64 v[160:161], vcc_lo, 1.0, v[152:153], 1.0
	s_delay_alu instid0(VALU_DEP_1) | instskip(NEXT) | instid1(VALU_DEP_1)
	v_mul_f64 v[162:163], v[160:161], v[158:159]
	v_fma_f64 v[154:155], -v[154:155], v[162:163], v[160:161]
	s_delay_alu instid0(VALU_DEP_1) | instskip(NEXT) | instid1(VALU_DEP_1)
	v_div_fmas_f64 v[154:155], v[154:155], v[158:159], v[162:163]
	v_div_fixup_f64 v[158:159], v[154:155], v[152:153], 1.0
                                        ; implicit-def: $vgpr152_vgpr153
	s_delay_alu instid0(VALU_DEP_1)
	v_mul_f64 v[160:161], v[156:157], v[158:159]
	v_xor_b32_e32 v159, 0x80000000, v159
.LBB49_122:
	s_and_not1_saveexec_b32 s3, s3
	s_cbranch_execz .LBB49_124
; %bb.123:
	v_div_scale_f64 v[156:157], null, v[152:153], v[152:153], v[154:155]
	v_div_scale_f64 v[162:163], vcc_lo, v[154:155], v[152:153], v[154:155]
	s_delay_alu instid0(VALU_DEP_2) | instskip(SKIP_2) | instid1(VALU_DEP_1)
	v_rcp_f64_e32 v[158:159], v[156:157]
	s_waitcnt_depctr 0xfff
	v_fma_f64 v[160:161], -v[156:157], v[158:159], 1.0
	v_fma_f64 v[158:159], v[158:159], v[160:161], v[158:159]
	s_delay_alu instid0(VALU_DEP_1) | instskip(NEXT) | instid1(VALU_DEP_1)
	v_fma_f64 v[160:161], -v[156:157], v[158:159], 1.0
	v_fma_f64 v[158:159], v[158:159], v[160:161], v[158:159]
	s_delay_alu instid0(VALU_DEP_1) | instskip(NEXT) | instid1(VALU_DEP_1)
	v_mul_f64 v[160:161], v[162:163], v[158:159]
	v_fma_f64 v[156:157], -v[156:157], v[160:161], v[162:163]
	s_delay_alu instid0(VALU_DEP_1) | instskip(NEXT) | instid1(VALU_DEP_1)
	v_div_fmas_f64 v[156:157], v[156:157], v[158:159], v[160:161]
	v_div_fixup_f64 v[156:157], v[156:157], v[152:153], v[154:155]
	s_delay_alu instid0(VALU_DEP_1) | instskip(NEXT) | instid1(VALU_DEP_1)
	v_fma_f64 v[152:153], v[154:155], v[156:157], v[152:153]
	v_div_scale_f64 v[154:155], null, v[152:153], v[152:153], 1.0
	s_delay_alu instid0(VALU_DEP_1) | instskip(SKIP_2) | instid1(VALU_DEP_1)
	v_rcp_f64_e32 v[158:159], v[154:155]
	s_waitcnt_depctr 0xfff
	v_fma_f64 v[160:161], -v[154:155], v[158:159], 1.0
	v_fma_f64 v[158:159], v[158:159], v[160:161], v[158:159]
	s_delay_alu instid0(VALU_DEP_1) | instskip(NEXT) | instid1(VALU_DEP_1)
	v_fma_f64 v[160:161], -v[154:155], v[158:159], 1.0
	v_fma_f64 v[158:159], v[158:159], v[160:161], v[158:159]
	v_div_scale_f64 v[160:161], vcc_lo, 1.0, v[152:153], 1.0
	s_delay_alu instid0(VALU_DEP_1) | instskip(NEXT) | instid1(VALU_DEP_1)
	v_mul_f64 v[162:163], v[160:161], v[158:159]
	v_fma_f64 v[154:155], -v[154:155], v[162:163], v[160:161]
	s_delay_alu instid0(VALU_DEP_1) | instskip(NEXT) | instid1(VALU_DEP_1)
	v_div_fmas_f64 v[154:155], v[154:155], v[158:159], v[162:163]
	v_div_fixup_f64 v[160:161], v[154:155], v[152:153], 1.0
	s_delay_alu instid0(VALU_DEP_1)
	v_mul_f64 v[158:159], v[156:157], -v[160:161]
.LBB49_124:
	s_or_b32 exec_lo, exec_lo, s3
	ds_store_2addr_b64 v255, v[160:161], v[158:159] offset1:1
.LBB49_125:
	s_or_b32 exec_lo, exec_lo, s4
	s_waitcnt lgkmcnt(0)
	s_barrier
	buffer_gl0_inv
	ds_load_2addr_b64 v[152:155], v255 offset1:1
	s_mov_b32 s3, exec_lo
	v_cmpx_lt_u32_e32 13, v254
	s_cbranch_execz .LBB49_127
; %bb.126:
	s_waitcnt lgkmcnt(0)
	v_mul_f64 v[156:157], v[152:153], v[46:47]
	v_mul_f64 v[46:47], v[154:155], v[46:47]
	s_delay_alu instid0(VALU_DEP_2)
	v_fma_f64 v[164:165], v[154:155], v[44:45], v[156:157]
	ds_load_2addr_b64 v[156:159], v202 offset0:28 offset1:29
	ds_load_2addr_b64 v[160:163], v202 offset0:30 offset1:31
	v_fma_f64 v[44:45], v[152:153], v[44:45], -v[46:47]
	s_waitcnt lgkmcnt(1)
	v_mul_f64 v[46:47], v[158:159], v[164:165]
	s_delay_alu instid0(VALU_DEP_1) | instskip(SKIP_1) | instid1(VALU_DEP_2)
	v_fma_f64 v[46:47], v[156:157], v[44:45], -v[46:47]
	v_mul_f64 v[156:157], v[156:157], v[164:165]
	v_add_f64 v[40:41], v[40:41], -v[46:47]
	s_delay_alu instid0(VALU_DEP_2) | instskip(SKIP_3) | instid1(VALU_DEP_3)
	v_fma_f64 v[166:167], v[158:159], v[44:45], v[156:157]
	s_waitcnt lgkmcnt(0)
	v_mul_f64 v[156:157], v[162:163], v[164:165]
	v_dual_mov_b32 v46, v164 :: v_dual_mov_b32 v47, v165
	v_add_f64 v[42:43], v[42:43], -v[166:167]
	s_delay_alu instid0(VALU_DEP_3) | instskip(SKIP_1) | instid1(VALU_DEP_2)
	v_fma_f64 v[168:169], v[160:161], v[44:45], -v[156:157]
	v_mul_f64 v[156:157], v[160:161], v[164:165]
	v_add_f64 v[36:37], v[36:37], -v[168:169]
	s_delay_alu instid0(VALU_DEP_2)
	v_fma_f64 v[170:171], v[162:163], v[44:45], v[156:157]
	ds_load_2addr_b64 v[156:159], v202 offset0:32 offset1:33
	ds_load_2addr_b64 v[160:163], v202 offset0:34 offset1:35
	s_waitcnt lgkmcnt(1)
	v_mul_f64 v[172:173], v[158:159], v[164:165]
	v_add_f64 v[38:39], v[38:39], -v[170:171]
	s_delay_alu instid0(VALU_DEP_2) | instskip(SKIP_1) | instid1(VALU_DEP_2)
	v_fma_f64 v[172:173], v[156:157], v[44:45], -v[172:173]
	v_mul_f64 v[156:157], v[156:157], v[164:165]
	v_add_f64 v[32:33], v[32:33], -v[172:173]
	s_delay_alu instid0(VALU_DEP_2) | instskip(SKIP_2) | instid1(VALU_DEP_2)
	v_fma_f64 v[174:175], v[158:159], v[44:45], v[156:157]
	s_waitcnt lgkmcnt(0)
	v_mul_f64 v[156:157], v[162:163], v[164:165]
	v_add_f64 v[34:35], v[34:35], -v[174:175]
	s_delay_alu instid0(VALU_DEP_2) | instskip(SKIP_1) | instid1(VALU_DEP_2)
	v_fma_f64 v[176:177], v[160:161], v[44:45], -v[156:157]
	v_mul_f64 v[156:157], v[160:161], v[164:165]
	v_add_f64 v[28:29], v[28:29], -v[176:177]
	s_delay_alu instid0(VALU_DEP_2)
	v_fma_f64 v[178:179], v[162:163], v[44:45], v[156:157]
	ds_load_2addr_b64 v[156:159], v202 offset0:36 offset1:37
	ds_load_2addr_b64 v[160:163], v202 offset0:38 offset1:39
	s_waitcnt lgkmcnt(1)
	v_mul_f64 v[180:181], v[158:159], v[164:165]
	v_add_f64 v[30:31], v[30:31], -v[178:179]
	s_delay_alu instid0(VALU_DEP_2) | instskip(SKIP_1) | instid1(VALU_DEP_2)
	v_fma_f64 v[180:181], v[156:157], v[44:45], -v[180:181]
	v_mul_f64 v[156:157], v[156:157], v[164:165]
	v_add_f64 v[24:25], v[24:25], -v[180:181]
	s_delay_alu instid0(VALU_DEP_2) | instskip(SKIP_2) | instid1(VALU_DEP_2)
	v_fma_f64 v[182:183], v[158:159], v[44:45], v[156:157]
	s_waitcnt lgkmcnt(0)
	v_mul_f64 v[156:157], v[162:163], v[164:165]
	v_add_f64 v[26:27], v[26:27], -v[182:183]
	s_delay_alu instid0(VALU_DEP_2) | instskip(SKIP_1) | instid1(VALU_DEP_2)
	;; [unrolled: 20-line block ×4, first 2 shown]
	v_fma_f64 v[252:253], v[160:161], v[44:45], -v[156:157]
	v_mul_f64 v[156:157], v[160:161], v[164:165]
	v_add_f64 v[4:5], v[4:5], -v[252:253]
	s_delay_alu instid0(VALU_DEP_2) | instskip(SKIP_4) | instid1(VALU_DEP_2)
	v_fma_f64 v[160:161], v[162:163], v[44:45], v[156:157]
	ds_load_2addr_b64 v[156:159], v202 offset0:48 offset1:49
	s_waitcnt lgkmcnt(0)
	v_mul_f64 v[162:163], v[158:159], v[164:165]
	v_add_f64 v[6:7], v[6:7], -v[160:161]
	v_fma_f64 v[162:163], v[156:157], v[44:45], -v[162:163]
	v_mul_f64 v[156:157], v[156:157], v[164:165]
	s_delay_alu instid0(VALU_DEP_2) | instskip(NEXT) | instid1(VALU_DEP_2)
	v_add_f64 v[0:1], v[0:1], -v[162:163]
	v_fma_f64 v[156:157], v[158:159], v[44:45], v[156:157]
	s_delay_alu instid0(VALU_DEP_1)
	v_add_f64 v[2:3], v[2:3], -v[156:157]
.LBB49_127:
	s_or_b32 exec_lo, exec_lo, s3
	s_delay_alu instid0(SALU_CYCLE_1)
	s_mov_b32 s4, exec_lo
	s_waitcnt lgkmcnt(0)
	s_barrier
	buffer_gl0_inv
	v_cmpx_eq_u32_e32 14, v254
	s_cbranch_execz .LBB49_134
; %bb.128:
	ds_store_2addr_b64 v255, v[40:41], v[42:43] offset1:1
	ds_store_2addr_b64 v202, v[36:37], v[38:39] offset0:30 offset1:31
	ds_store_2addr_b64 v202, v[32:33], v[34:35] offset0:32 offset1:33
	;; [unrolled: 1-line block ×10, first 2 shown]
	ds_load_2addr_b64 v[156:159], v255 offset1:1
	s_waitcnt lgkmcnt(0)
	v_cmp_neq_f64_e32 vcc_lo, 0, v[156:157]
	v_cmp_neq_f64_e64 s3, 0, v[158:159]
	s_delay_alu instid0(VALU_DEP_1) | instskip(NEXT) | instid1(SALU_CYCLE_1)
	s_or_b32 s3, vcc_lo, s3
	s_and_b32 exec_lo, exec_lo, s3
	s_cbranch_execz .LBB49_134
; %bb.129:
	v_cmp_gt_f64_e32 vcc_lo, 0, v[156:157]
	v_cmp_gt_f64_e64 s3, 0, v[158:159]
	v_xor_b32_e32 v100, 0x80000000, v157
	v_xor_b32_e32 v101, 0x80000000, v159
                                        ; implicit-def: $vgpr164_vgpr165
	s_delay_alu instid0(VALU_DEP_2) | instskip(NEXT) | instid1(VALU_DEP_2)
	v_cndmask_b32_e32 v161, v157, v100, vcc_lo
	v_cndmask_b32_e64 v163, v159, v101, s3
	v_cndmask_b32_e32 v160, v156, v156, vcc_lo
	v_cndmask_b32_e64 v162, v158, v158, s3
	s_mov_b32 s3, exec_lo
	s_delay_alu instid0(VALU_DEP_1)
	v_cmpx_ngt_f64_e32 v[160:161], v[162:163]
	s_xor_b32 s3, exec_lo, s3
                                        ; implicit-def: $vgpr160_vgpr161_vgpr162_vgpr163
	s_cbranch_execz .LBB49_131
; %bb.130:
	v_div_scale_f64 v[160:161], null, v[158:159], v[158:159], v[156:157]
	v_div_scale_f64 v[166:167], vcc_lo, v[156:157], v[158:159], v[156:157]
	s_delay_alu instid0(VALU_DEP_2) | instskip(SKIP_2) | instid1(VALU_DEP_1)
	v_rcp_f64_e32 v[162:163], v[160:161]
	s_waitcnt_depctr 0xfff
	v_fma_f64 v[164:165], -v[160:161], v[162:163], 1.0
	v_fma_f64 v[162:163], v[162:163], v[164:165], v[162:163]
	s_delay_alu instid0(VALU_DEP_1) | instskip(NEXT) | instid1(VALU_DEP_1)
	v_fma_f64 v[164:165], -v[160:161], v[162:163], 1.0
	v_fma_f64 v[162:163], v[162:163], v[164:165], v[162:163]
	s_delay_alu instid0(VALU_DEP_1) | instskip(NEXT) | instid1(VALU_DEP_1)
	v_mul_f64 v[164:165], v[166:167], v[162:163]
	v_fma_f64 v[160:161], -v[160:161], v[164:165], v[166:167]
	s_delay_alu instid0(VALU_DEP_1) | instskip(NEXT) | instid1(VALU_DEP_1)
	v_div_fmas_f64 v[160:161], v[160:161], v[162:163], v[164:165]
	v_div_fixup_f64 v[160:161], v[160:161], v[158:159], v[156:157]
	s_delay_alu instid0(VALU_DEP_1) | instskip(NEXT) | instid1(VALU_DEP_1)
	v_fma_f64 v[156:157], v[156:157], v[160:161], v[158:159]
	v_div_scale_f64 v[158:159], null, v[156:157], v[156:157], 1.0
	s_delay_alu instid0(VALU_DEP_1) | instskip(SKIP_2) | instid1(VALU_DEP_1)
	v_rcp_f64_e32 v[162:163], v[158:159]
	s_waitcnt_depctr 0xfff
	v_fma_f64 v[164:165], -v[158:159], v[162:163], 1.0
	v_fma_f64 v[162:163], v[162:163], v[164:165], v[162:163]
	s_delay_alu instid0(VALU_DEP_1) | instskip(NEXT) | instid1(VALU_DEP_1)
	v_fma_f64 v[164:165], -v[158:159], v[162:163], 1.0
	v_fma_f64 v[162:163], v[162:163], v[164:165], v[162:163]
	v_div_scale_f64 v[164:165], vcc_lo, 1.0, v[156:157], 1.0
	s_delay_alu instid0(VALU_DEP_1) | instskip(NEXT) | instid1(VALU_DEP_1)
	v_mul_f64 v[166:167], v[164:165], v[162:163]
	v_fma_f64 v[158:159], -v[158:159], v[166:167], v[164:165]
	s_delay_alu instid0(VALU_DEP_1) | instskip(NEXT) | instid1(VALU_DEP_1)
	v_div_fmas_f64 v[158:159], v[158:159], v[162:163], v[166:167]
	v_div_fixup_f64 v[162:163], v[158:159], v[156:157], 1.0
                                        ; implicit-def: $vgpr156_vgpr157
	s_delay_alu instid0(VALU_DEP_1)
	v_mul_f64 v[164:165], v[160:161], v[162:163]
	v_xor_b32_e32 v163, 0x80000000, v163
.LBB49_131:
	s_and_not1_saveexec_b32 s3, s3
	s_cbranch_execz .LBB49_133
; %bb.132:
	v_div_scale_f64 v[160:161], null, v[156:157], v[156:157], v[158:159]
	v_div_scale_f64 v[166:167], vcc_lo, v[158:159], v[156:157], v[158:159]
	s_delay_alu instid0(VALU_DEP_2) | instskip(SKIP_2) | instid1(VALU_DEP_1)
	v_rcp_f64_e32 v[162:163], v[160:161]
	s_waitcnt_depctr 0xfff
	v_fma_f64 v[164:165], -v[160:161], v[162:163], 1.0
	v_fma_f64 v[162:163], v[162:163], v[164:165], v[162:163]
	s_delay_alu instid0(VALU_DEP_1) | instskip(NEXT) | instid1(VALU_DEP_1)
	v_fma_f64 v[164:165], -v[160:161], v[162:163], 1.0
	v_fma_f64 v[162:163], v[162:163], v[164:165], v[162:163]
	s_delay_alu instid0(VALU_DEP_1) | instskip(NEXT) | instid1(VALU_DEP_1)
	v_mul_f64 v[164:165], v[166:167], v[162:163]
	v_fma_f64 v[160:161], -v[160:161], v[164:165], v[166:167]
	s_delay_alu instid0(VALU_DEP_1) | instskip(NEXT) | instid1(VALU_DEP_1)
	v_div_fmas_f64 v[160:161], v[160:161], v[162:163], v[164:165]
	v_div_fixup_f64 v[160:161], v[160:161], v[156:157], v[158:159]
	s_delay_alu instid0(VALU_DEP_1) | instskip(NEXT) | instid1(VALU_DEP_1)
	v_fma_f64 v[156:157], v[158:159], v[160:161], v[156:157]
	v_div_scale_f64 v[158:159], null, v[156:157], v[156:157], 1.0
	s_delay_alu instid0(VALU_DEP_1) | instskip(SKIP_2) | instid1(VALU_DEP_1)
	v_rcp_f64_e32 v[162:163], v[158:159]
	s_waitcnt_depctr 0xfff
	v_fma_f64 v[164:165], -v[158:159], v[162:163], 1.0
	v_fma_f64 v[162:163], v[162:163], v[164:165], v[162:163]
	s_delay_alu instid0(VALU_DEP_1) | instskip(NEXT) | instid1(VALU_DEP_1)
	v_fma_f64 v[164:165], -v[158:159], v[162:163], 1.0
	v_fma_f64 v[162:163], v[162:163], v[164:165], v[162:163]
	v_div_scale_f64 v[164:165], vcc_lo, 1.0, v[156:157], 1.0
	s_delay_alu instid0(VALU_DEP_1) | instskip(NEXT) | instid1(VALU_DEP_1)
	v_mul_f64 v[166:167], v[164:165], v[162:163]
	v_fma_f64 v[158:159], -v[158:159], v[166:167], v[164:165]
	s_delay_alu instid0(VALU_DEP_1) | instskip(NEXT) | instid1(VALU_DEP_1)
	v_div_fmas_f64 v[158:159], v[158:159], v[162:163], v[166:167]
	v_div_fixup_f64 v[164:165], v[158:159], v[156:157], 1.0
	s_delay_alu instid0(VALU_DEP_1)
	v_mul_f64 v[162:163], v[160:161], -v[164:165]
.LBB49_133:
	s_or_b32 exec_lo, exec_lo, s3
	ds_store_2addr_b64 v255, v[164:165], v[162:163] offset1:1
.LBB49_134:
	s_or_b32 exec_lo, exec_lo, s4
	s_waitcnt lgkmcnt(0)
	s_barrier
	buffer_gl0_inv
	ds_load_2addr_b64 v[156:159], v255 offset1:1
	s_mov_b32 s3, exec_lo
	v_cmpx_lt_u32_e32 14, v254
	s_cbranch_execz .LBB49_136
; %bb.135:
	s_waitcnt lgkmcnt(0)
	v_mul_f64 v[160:161], v[156:157], v[42:43]
	v_mul_f64 v[42:43], v[158:159], v[42:43]
	s_delay_alu instid0(VALU_DEP_2)
	v_fma_f64 v[168:169], v[158:159], v[40:41], v[160:161]
	ds_load_2addr_b64 v[160:163], v202 offset0:30 offset1:31
	ds_load_2addr_b64 v[164:167], v202 offset0:32 offset1:33
	v_fma_f64 v[40:41], v[156:157], v[40:41], -v[42:43]
	s_waitcnt lgkmcnt(1)
	v_mul_f64 v[42:43], v[162:163], v[168:169]
	s_delay_alu instid0(VALU_DEP_1) | instskip(SKIP_1) | instid1(VALU_DEP_2)
	v_fma_f64 v[42:43], v[160:161], v[40:41], -v[42:43]
	v_mul_f64 v[160:161], v[160:161], v[168:169]
	v_add_f64 v[36:37], v[36:37], -v[42:43]
	s_delay_alu instid0(VALU_DEP_2) | instskip(SKIP_3) | instid1(VALU_DEP_3)
	v_fma_f64 v[170:171], v[162:163], v[40:41], v[160:161]
	s_waitcnt lgkmcnt(0)
	v_mul_f64 v[160:161], v[166:167], v[168:169]
	v_dual_mov_b32 v42, v168 :: v_dual_mov_b32 v43, v169
	v_add_f64 v[38:39], v[38:39], -v[170:171]
	s_delay_alu instid0(VALU_DEP_3) | instskip(SKIP_1) | instid1(VALU_DEP_2)
	v_fma_f64 v[172:173], v[164:165], v[40:41], -v[160:161]
	v_mul_f64 v[160:161], v[164:165], v[168:169]
	v_add_f64 v[32:33], v[32:33], -v[172:173]
	s_delay_alu instid0(VALU_DEP_2)
	v_fma_f64 v[174:175], v[166:167], v[40:41], v[160:161]
	ds_load_2addr_b64 v[160:163], v202 offset0:34 offset1:35
	ds_load_2addr_b64 v[164:167], v202 offset0:36 offset1:37
	s_waitcnt lgkmcnt(1)
	v_mul_f64 v[176:177], v[162:163], v[168:169]
	v_add_f64 v[34:35], v[34:35], -v[174:175]
	s_delay_alu instid0(VALU_DEP_2) | instskip(SKIP_1) | instid1(VALU_DEP_2)
	v_fma_f64 v[176:177], v[160:161], v[40:41], -v[176:177]
	v_mul_f64 v[160:161], v[160:161], v[168:169]
	v_add_f64 v[28:29], v[28:29], -v[176:177]
	s_delay_alu instid0(VALU_DEP_2) | instskip(SKIP_2) | instid1(VALU_DEP_2)
	v_fma_f64 v[178:179], v[162:163], v[40:41], v[160:161]
	s_waitcnt lgkmcnt(0)
	v_mul_f64 v[160:161], v[166:167], v[168:169]
	v_add_f64 v[30:31], v[30:31], -v[178:179]
	s_delay_alu instid0(VALU_DEP_2) | instskip(SKIP_1) | instid1(VALU_DEP_2)
	v_fma_f64 v[180:181], v[164:165], v[40:41], -v[160:161]
	v_mul_f64 v[160:161], v[164:165], v[168:169]
	v_add_f64 v[24:25], v[24:25], -v[180:181]
	s_delay_alu instid0(VALU_DEP_2)
	v_fma_f64 v[182:183], v[166:167], v[40:41], v[160:161]
	ds_load_2addr_b64 v[160:163], v202 offset0:38 offset1:39
	ds_load_2addr_b64 v[164:167], v202 offset0:40 offset1:41
	s_waitcnt lgkmcnt(1)
	v_mul_f64 v[184:185], v[162:163], v[168:169]
	v_add_f64 v[26:27], v[26:27], -v[182:183]
	s_delay_alu instid0(VALU_DEP_2) | instskip(SKIP_1) | instid1(VALU_DEP_2)
	v_fma_f64 v[184:185], v[160:161], v[40:41], -v[184:185]
	v_mul_f64 v[160:161], v[160:161], v[168:169]
	v_add_f64 v[20:21], v[20:21], -v[184:185]
	s_delay_alu instid0(VALU_DEP_2) | instskip(SKIP_2) | instid1(VALU_DEP_2)
	v_fma_f64 v[186:187], v[162:163], v[40:41], v[160:161]
	s_waitcnt lgkmcnt(0)
	v_mul_f64 v[160:161], v[166:167], v[168:169]
	v_add_f64 v[22:23], v[22:23], -v[186:187]
	s_delay_alu instid0(VALU_DEP_2) | instskip(SKIP_1) | instid1(VALU_DEP_2)
	;; [unrolled: 20-line block ×4, first 2 shown]
	v_fma_f64 v[162:163], v[164:165], v[40:41], -v[162:163]
	v_mul_f64 v[164:165], v[164:165], v[168:169]
	v_add_f64 v[0:1], v[0:1], -v[162:163]
	s_delay_alu instid0(VALU_DEP_2) | instskip(NEXT) | instid1(VALU_DEP_1)
	v_fma_f64 v[164:165], v[166:167], v[40:41], v[164:165]
	v_add_f64 v[2:3], v[2:3], -v[164:165]
.LBB49_136:
	s_or_b32 exec_lo, exec_lo, s3
	s_delay_alu instid0(SALU_CYCLE_1)
	s_mov_b32 s4, exec_lo
	s_waitcnt lgkmcnt(0)
	s_barrier
	buffer_gl0_inv
	v_cmpx_eq_u32_e32 15, v254
	s_cbranch_execz .LBB49_143
; %bb.137:
	ds_store_2addr_b64 v255, v[36:37], v[38:39] offset1:1
	ds_store_2addr_b64 v202, v[32:33], v[34:35] offset0:32 offset1:33
	ds_store_2addr_b64 v202, v[28:29], v[30:31] offset0:34 offset1:35
	;; [unrolled: 1-line block ×9, first 2 shown]
	ds_load_2addr_b64 v[160:163], v255 offset1:1
	s_waitcnt lgkmcnt(0)
	v_cmp_neq_f64_e32 vcc_lo, 0, v[160:161]
	v_cmp_neq_f64_e64 s3, 0, v[162:163]
	s_delay_alu instid0(VALU_DEP_1) | instskip(NEXT) | instid1(SALU_CYCLE_1)
	s_or_b32 s3, vcc_lo, s3
	s_and_b32 exec_lo, exec_lo, s3
	s_cbranch_execz .LBB49_143
; %bb.138:
	v_cmp_gt_f64_e32 vcc_lo, 0, v[160:161]
	v_cmp_gt_f64_e64 s3, 0, v[162:163]
	v_xor_b32_e32 v100, 0x80000000, v161
	v_xor_b32_e32 v101, 0x80000000, v163
                                        ; implicit-def: $vgpr168_vgpr169
	s_delay_alu instid0(VALU_DEP_2) | instskip(NEXT) | instid1(VALU_DEP_2)
	v_cndmask_b32_e32 v165, v161, v100, vcc_lo
	v_cndmask_b32_e64 v167, v163, v101, s3
	v_cndmask_b32_e32 v164, v160, v160, vcc_lo
	v_cndmask_b32_e64 v166, v162, v162, s3
	s_mov_b32 s3, exec_lo
	s_delay_alu instid0(VALU_DEP_1)
	v_cmpx_ngt_f64_e32 v[164:165], v[166:167]
	s_xor_b32 s3, exec_lo, s3
                                        ; implicit-def: $vgpr164_vgpr165_vgpr166_vgpr167
	s_cbranch_execz .LBB49_140
; %bb.139:
	v_div_scale_f64 v[164:165], null, v[162:163], v[162:163], v[160:161]
	v_div_scale_f64 v[170:171], vcc_lo, v[160:161], v[162:163], v[160:161]
	s_delay_alu instid0(VALU_DEP_2) | instskip(SKIP_2) | instid1(VALU_DEP_1)
	v_rcp_f64_e32 v[166:167], v[164:165]
	s_waitcnt_depctr 0xfff
	v_fma_f64 v[168:169], -v[164:165], v[166:167], 1.0
	v_fma_f64 v[166:167], v[166:167], v[168:169], v[166:167]
	s_delay_alu instid0(VALU_DEP_1) | instskip(NEXT) | instid1(VALU_DEP_1)
	v_fma_f64 v[168:169], -v[164:165], v[166:167], 1.0
	v_fma_f64 v[166:167], v[166:167], v[168:169], v[166:167]
	s_delay_alu instid0(VALU_DEP_1) | instskip(NEXT) | instid1(VALU_DEP_1)
	v_mul_f64 v[168:169], v[170:171], v[166:167]
	v_fma_f64 v[164:165], -v[164:165], v[168:169], v[170:171]
	s_delay_alu instid0(VALU_DEP_1) | instskip(NEXT) | instid1(VALU_DEP_1)
	v_div_fmas_f64 v[164:165], v[164:165], v[166:167], v[168:169]
	v_div_fixup_f64 v[164:165], v[164:165], v[162:163], v[160:161]
	s_delay_alu instid0(VALU_DEP_1) | instskip(NEXT) | instid1(VALU_DEP_1)
	v_fma_f64 v[160:161], v[160:161], v[164:165], v[162:163]
	v_div_scale_f64 v[162:163], null, v[160:161], v[160:161], 1.0
	s_delay_alu instid0(VALU_DEP_1) | instskip(SKIP_2) | instid1(VALU_DEP_1)
	v_rcp_f64_e32 v[166:167], v[162:163]
	s_waitcnt_depctr 0xfff
	v_fma_f64 v[168:169], -v[162:163], v[166:167], 1.0
	v_fma_f64 v[166:167], v[166:167], v[168:169], v[166:167]
	s_delay_alu instid0(VALU_DEP_1) | instskip(NEXT) | instid1(VALU_DEP_1)
	v_fma_f64 v[168:169], -v[162:163], v[166:167], 1.0
	v_fma_f64 v[166:167], v[166:167], v[168:169], v[166:167]
	v_div_scale_f64 v[168:169], vcc_lo, 1.0, v[160:161], 1.0
	s_delay_alu instid0(VALU_DEP_1) | instskip(NEXT) | instid1(VALU_DEP_1)
	v_mul_f64 v[170:171], v[168:169], v[166:167]
	v_fma_f64 v[162:163], -v[162:163], v[170:171], v[168:169]
	s_delay_alu instid0(VALU_DEP_1) | instskip(NEXT) | instid1(VALU_DEP_1)
	v_div_fmas_f64 v[162:163], v[162:163], v[166:167], v[170:171]
	v_div_fixup_f64 v[166:167], v[162:163], v[160:161], 1.0
                                        ; implicit-def: $vgpr160_vgpr161
	s_delay_alu instid0(VALU_DEP_1)
	v_mul_f64 v[168:169], v[164:165], v[166:167]
	v_xor_b32_e32 v167, 0x80000000, v167
.LBB49_140:
	s_and_not1_saveexec_b32 s3, s3
	s_cbranch_execz .LBB49_142
; %bb.141:
	v_div_scale_f64 v[164:165], null, v[160:161], v[160:161], v[162:163]
	v_div_scale_f64 v[170:171], vcc_lo, v[162:163], v[160:161], v[162:163]
	s_delay_alu instid0(VALU_DEP_2) | instskip(SKIP_2) | instid1(VALU_DEP_1)
	v_rcp_f64_e32 v[166:167], v[164:165]
	s_waitcnt_depctr 0xfff
	v_fma_f64 v[168:169], -v[164:165], v[166:167], 1.0
	v_fma_f64 v[166:167], v[166:167], v[168:169], v[166:167]
	s_delay_alu instid0(VALU_DEP_1) | instskip(NEXT) | instid1(VALU_DEP_1)
	v_fma_f64 v[168:169], -v[164:165], v[166:167], 1.0
	v_fma_f64 v[166:167], v[166:167], v[168:169], v[166:167]
	s_delay_alu instid0(VALU_DEP_1) | instskip(NEXT) | instid1(VALU_DEP_1)
	v_mul_f64 v[168:169], v[170:171], v[166:167]
	v_fma_f64 v[164:165], -v[164:165], v[168:169], v[170:171]
	s_delay_alu instid0(VALU_DEP_1) | instskip(NEXT) | instid1(VALU_DEP_1)
	v_div_fmas_f64 v[164:165], v[164:165], v[166:167], v[168:169]
	v_div_fixup_f64 v[164:165], v[164:165], v[160:161], v[162:163]
	s_delay_alu instid0(VALU_DEP_1) | instskip(NEXT) | instid1(VALU_DEP_1)
	v_fma_f64 v[160:161], v[162:163], v[164:165], v[160:161]
	v_div_scale_f64 v[162:163], null, v[160:161], v[160:161], 1.0
	s_delay_alu instid0(VALU_DEP_1) | instskip(SKIP_2) | instid1(VALU_DEP_1)
	v_rcp_f64_e32 v[166:167], v[162:163]
	s_waitcnt_depctr 0xfff
	v_fma_f64 v[168:169], -v[162:163], v[166:167], 1.0
	v_fma_f64 v[166:167], v[166:167], v[168:169], v[166:167]
	s_delay_alu instid0(VALU_DEP_1) | instskip(NEXT) | instid1(VALU_DEP_1)
	v_fma_f64 v[168:169], -v[162:163], v[166:167], 1.0
	v_fma_f64 v[166:167], v[166:167], v[168:169], v[166:167]
	v_div_scale_f64 v[168:169], vcc_lo, 1.0, v[160:161], 1.0
	s_delay_alu instid0(VALU_DEP_1) | instskip(NEXT) | instid1(VALU_DEP_1)
	v_mul_f64 v[170:171], v[168:169], v[166:167]
	v_fma_f64 v[162:163], -v[162:163], v[170:171], v[168:169]
	s_delay_alu instid0(VALU_DEP_1) | instskip(NEXT) | instid1(VALU_DEP_1)
	v_div_fmas_f64 v[162:163], v[162:163], v[166:167], v[170:171]
	v_div_fixup_f64 v[168:169], v[162:163], v[160:161], 1.0
	s_delay_alu instid0(VALU_DEP_1)
	v_mul_f64 v[166:167], v[164:165], -v[168:169]
.LBB49_142:
	s_or_b32 exec_lo, exec_lo, s3
	ds_store_2addr_b64 v255, v[168:169], v[166:167] offset1:1
.LBB49_143:
	s_or_b32 exec_lo, exec_lo, s4
	s_waitcnt lgkmcnt(0)
	s_barrier
	buffer_gl0_inv
	ds_load_2addr_b64 v[160:163], v255 offset1:1
	s_mov_b32 s3, exec_lo
	v_cmpx_lt_u32_e32 15, v254
	s_cbranch_execz .LBB49_145
; %bb.144:
	s_waitcnt lgkmcnt(0)
	v_mul_f64 v[164:165], v[160:161], v[38:39]
	v_mul_f64 v[38:39], v[162:163], v[38:39]
	s_delay_alu instid0(VALU_DEP_2)
	v_fma_f64 v[172:173], v[162:163], v[36:37], v[164:165]
	ds_load_2addr_b64 v[164:167], v202 offset0:32 offset1:33
	ds_load_2addr_b64 v[168:171], v202 offset0:34 offset1:35
	v_fma_f64 v[36:37], v[160:161], v[36:37], -v[38:39]
	s_waitcnt lgkmcnt(1)
	v_mul_f64 v[38:39], v[166:167], v[172:173]
	s_delay_alu instid0(VALU_DEP_1) | instskip(SKIP_1) | instid1(VALU_DEP_2)
	v_fma_f64 v[38:39], v[164:165], v[36:37], -v[38:39]
	v_mul_f64 v[164:165], v[164:165], v[172:173]
	v_add_f64 v[32:33], v[32:33], -v[38:39]
	s_delay_alu instid0(VALU_DEP_2) | instskip(SKIP_3) | instid1(VALU_DEP_3)
	v_fma_f64 v[174:175], v[166:167], v[36:37], v[164:165]
	s_waitcnt lgkmcnt(0)
	v_mul_f64 v[164:165], v[170:171], v[172:173]
	v_dual_mov_b32 v38, v172 :: v_dual_mov_b32 v39, v173
	v_add_f64 v[34:35], v[34:35], -v[174:175]
	s_delay_alu instid0(VALU_DEP_3) | instskip(SKIP_1) | instid1(VALU_DEP_2)
	v_fma_f64 v[176:177], v[168:169], v[36:37], -v[164:165]
	v_mul_f64 v[164:165], v[168:169], v[172:173]
	v_add_f64 v[28:29], v[28:29], -v[176:177]
	s_delay_alu instid0(VALU_DEP_2)
	v_fma_f64 v[178:179], v[170:171], v[36:37], v[164:165]
	ds_load_2addr_b64 v[164:167], v202 offset0:36 offset1:37
	ds_load_2addr_b64 v[168:171], v202 offset0:38 offset1:39
	s_waitcnt lgkmcnt(1)
	v_mul_f64 v[180:181], v[166:167], v[172:173]
	v_add_f64 v[30:31], v[30:31], -v[178:179]
	s_delay_alu instid0(VALU_DEP_2) | instskip(SKIP_1) | instid1(VALU_DEP_2)
	v_fma_f64 v[180:181], v[164:165], v[36:37], -v[180:181]
	v_mul_f64 v[164:165], v[164:165], v[172:173]
	v_add_f64 v[24:25], v[24:25], -v[180:181]
	s_delay_alu instid0(VALU_DEP_2) | instskip(SKIP_2) | instid1(VALU_DEP_2)
	v_fma_f64 v[182:183], v[166:167], v[36:37], v[164:165]
	s_waitcnt lgkmcnt(0)
	v_mul_f64 v[164:165], v[170:171], v[172:173]
	v_add_f64 v[26:27], v[26:27], -v[182:183]
	s_delay_alu instid0(VALU_DEP_2) | instskip(SKIP_1) | instid1(VALU_DEP_2)
	v_fma_f64 v[184:185], v[168:169], v[36:37], -v[164:165]
	v_mul_f64 v[164:165], v[168:169], v[172:173]
	v_add_f64 v[20:21], v[20:21], -v[184:185]
	s_delay_alu instid0(VALU_DEP_2)
	v_fma_f64 v[186:187], v[170:171], v[36:37], v[164:165]
	ds_load_2addr_b64 v[164:167], v202 offset0:40 offset1:41
	ds_load_2addr_b64 v[168:171], v202 offset0:42 offset1:43
	s_waitcnt lgkmcnt(1)
	v_mul_f64 v[188:189], v[166:167], v[172:173]
	v_add_f64 v[22:23], v[22:23], -v[186:187]
	s_delay_alu instid0(VALU_DEP_2) | instskip(SKIP_1) | instid1(VALU_DEP_2)
	v_fma_f64 v[188:189], v[164:165], v[36:37], -v[188:189]
	v_mul_f64 v[164:165], v[164:165], v[172:173]
	v_add_f64 v[16:17], v[16:17], -v[188:189]
	s_delay_alu instid0(VALU_DEP_2) | instskip(SKIP_2) | instid1(VALU_DEP_2)
	v_fma_f64 v[190:191], v[166:167], v[36:37], v[164:165]
	s_waitcnt lgkmcnt(0)
	v_mul_f64 v[164:165], v[170:171], v[172:173]
	v_add_f64 v[18:19], v[18:19], -v[190:191]
	s_delay_alu instid0(VALU_DEP_2) | instskip(SKIP_1) | instid1(VALU_DEP_2)
	;; [unrolled: 20-line block ×3, first 2 shown]
	v_fma_f64 v[252:253], v[168:169], v[36:37], -v[164:165]
	v_mul_f64 v[164:165], v[168:169], v[172:173]
	v_add_f64 v[4:5], v[4:5], -v[252:253]
	s_delay_alu instid0(VALU_DEP_2) | instskip(SKIP_4) | instid1(VALU_DEP_2)
	v_fma_f64 v[168:169], v[170:171], v[36:37], v[164:165]
	ds_load_2addr_b64 v[164:167], v202 offset0:48 offset1:49
	s_waitcnt lgkmcnt(0)
	v_mul_f64 v[170:171], v[166:167], v[172:173]
	v_add_f64 v[6:7], v[6:7], -v[168:169]
	v_fma_f64 v[170:171], v[164:165], v[36:37], -v[170:171]
	v_mul_f64 v[164:165], v[164:165], v[172:173]
	s_delay_alu instid0(VALU_DEP_2) | instskip(NEXT) | instid1(VALU_DEP_2)
	v_add_f64 v[0:1], v[0:1], -v[170:171]
	v_fma_f64 v[164:165], v[166:167], v[36:37], v[164:165]
	s_delay_alu instid0(VALU_DEP_1)
	v_add_f64 v[2:3], v[2:3], -v[164:165]
.LBB49_145:
	s_or_b32 exec_lo, exec_lo, s3
	s_delay_alu instid0(SALU_CYCLE_1)
	s_mov_b32 s4, exec_lo
	s_waitcnt lgkmcnt(0)
	s_barrier
	buffer_gl0_inv
	v_cmpx_eq_u32_e32 16, v254
	s_cbranch_execz .LBB49_152
; %bb.146:
	ds_store_2addr_b64 v255, v[32:33], v[34:35] offset1:1
	ds_store_2addr_b64 v202, v[28:29], v[30:31] offset0:34 offset1:35
	ds_store_2addr_b64 v202, v[24:25], v[26:27] offset0:36 offset1:37
	;; [unrolled: 1-line block ×8, first 2 shown]
	ds_load_2addr_b64 v[164:167], v255 offset1:1
	s_waitcnt lgkmcnt(0)
	v_cmp_neq_f64_e32 vcc_lo, 0, v[164:165]
	v_cmp_neq_f64_e64 s3, 0, v[166:167]
	s_delay_alu instid0(VALU_DEP_1) | instskip(NEXT) | instid1(SALU_CYCLE_1)
	s_or_b32 s3, vcc_lo, s3
	s_and_b32 exec_lo, exec_lo, s3
	s_cbranch_execz .LBB49_152
; %bb.147:
	v_cmp_gt_f64_e32 vcc_lo, 0, v[164:165]
	v_cmp_gt_f64_e64 s3, 0, v[166:167]
	v_xor_b32_e32 v100, 0x80000000, v165
	v_xor_b32_e32 v101, 0x80000000, v167
                                        ; implicit-def: $vgpr172_vgpr173
	s_delay_alu instid0(VALU_DEP_2) | instskip(NEXT) | instid1(VALU_DEP_2)
	v_cndmask_b32_e32 v169, v165, v100, vcc_lo
	v_cndmask_b32_e64 v171, v167, v101, s3
	v_cndmask_b32_e32 v168, v164, v164, vcc_lo
	v_cndmask_b32_e64 v170, v166, v166, s3
	s_mov_b32 s3, exec_lo
	s_delay_alu instid0(VALU_DEP_1)
	v_cmpx_ngt_f64_e32 v[168:169], v[170:171]
	s_xor_b32 s3, exec_lo, s3
                                        ; implicit-def: $vgpr168_vgpr169_vgpr170_vgpr171
	s_cbranch_execz .LBB49_149
; %bb.148:
	v_div_scale_f64 v[168:169], null, v[166:167], v[166:167], v[164:165]
	v_div_scale_f64 v[174:175], vcc_lo, v[164:165], v[166:167], v[164:165]
	s_delay_alu instid0(VALU_DEP_2) | instskip(SKIP_2) | instid1(VALU_DEP_1)
	v_rcp_f64_e32 v[170:171], v[168:169]
	s_waitcnt_depctr 0xfff
	v_fma_f64 v[172:173], -v[168:169], v[170:171], 1.0
	v_fma_f64 v[170:171], v[170:171], v[172:173], v[170:171]
	s_delay_alu instid0(VALU_DEP_1) | instskip(NEXT) | instid1(VALU_DEP_1)
	v_fma_f64 v[172:173], -v[168:169], v[170:171], 1.0
	v_fma_f64 v[170:171], v[170:171], v[172:173], v[170:171]
	s_delay_alu instid0(VALU_DEP_1) | instskip(NEXT) | instid1(VALU_DEP_1)
	v_mul_f64 v[172:173], v[174:175], v[170:171]
	v_fma_f64 v[168:169], -v[168:169], v[172:173], v[174:175]
	s_delay_alu instid0(VALU_DEP_1) | instskip(NEXT) | instid1(VALU_DEP_1)
	v_div_fmas_f64 v[168:169], v[168:169], v[170:171], v[172:173]
	v_div_fixup_f64 v[168:169], v[168:169], v[166:167], v[164:165]
	s_delay_alu instid0(VALU_DEP_1) | instskip(NEXT) | instid1(VALU_DEP_1)
	v_fma_f64 v[164:165], v[164:165], v[168:169], v[166:167]
	v_div_scale_f64 v[166:167], null, v[164:165], v[164:165], 1.0
	s_delay_alu instid0(VALU_DEP_1) | instskip(SKIP_2) | instid1(VALU_DEP_1)
	v_rcp_f64_e32 v[170:171], v[166:167]
	s_waitcnt_depctr 0xfff
	v_fma_f64 v[172:173], -v[166:167], v[170:171], 1.0
	v_fma_f64 v[170:171], v[170:171], v[172:173], v[170:171]
	s_delay_alu instid0(VALU_DEP_1) | instskip(NEXT) | instid1(VALU_DEP_1)
	v_fma_f64 v[172:173], -v[166:167], v[170:171], 1.0
	v_fma_f64 v[170:171], v[170:171], v[172:173], v[170:171]
	v_div_scale_f64 v[172:173], vcc_lo, 1.0, v[164:165], 1.0
	s_delay_alu instid0(VALU_DEP_1) | instskip(NEXT) | instid1(VALU_DEP_1)
	v_mul_f64 v[174:175], v[172:173], v[170:171]
	v_fma_f64 v[166:167], -v[166:167], v[174:175], v[172:173]
	s_delay_alu instid0(VALU_DEP_1) | instskip(NEXT) | instid1(VALU_DEP_1)
	v_div_fmas_f64 v[166:167], v[166:167], v[170:171], v[174:175]
	v_div_fixup_f64 v[170:171], v[166:167], v[164:165], 1.0
                                        ; implicit-def: $vgpr164_vgpr165
	s_delay_alu instid0(VALU_DEP_1)
	v_mul_f64 v[172:173], v[168:169], v[170:171]
	v_xor_b32_e32 v171, 0x80000000, v171
.LBB49_149:
	s_and_not1_saveexec_b32 s3, s3
	s_cbranch_execz .LBB49_151
; %bb.150:
	v_div_scale_f64 v[168:169], null, v[164:165], v[164:165], v[166:167]
	v_div_scale_f64 v[174:175], vcc_lo, v[166:167], v[164:165], v[166:167]
	s_delay_alu instid0(VALU_DEP_2) | instskip(SKIP_2) | instid1(VALU_DEP_1)
	v_rcp_f64_e32 v[170:171], v[168:169]
	s_waitcnt_depctr 0xfff
	v_fma_f64 v[172:173], -v[168:169], v[170:171], 1.0
	v_fma_f64 v[170:171], v[170:171], v[172:173], v[170:171]
	s_delay_alu instid0(VALU_DEP_1) | instskip(NEXT) | instid1(VALU_DEP_1)
	v_fma_f64 v[172:173], -v[168:169], v[170:171], 1.0
	v_fma_f64 v[170:171], v[170:171], v[172:173], v[170:171]
	s_delay_alu instid0(VALU_DEP_1) | instskip(NEXT) | instid1(VALU_DEP_1)
	v_mul_f64 v[172:173], v[174:175], v[170:171]
	v_fma_f64 v[168:169], -v[168:169], v[172:173], v[174:175]
	s_delay_alu instid0(VALU_DEP_1) | instskip(NEXT) | instid1(VALU_DEP_1)
	v_div_fmas_f64 v[168:169], v[168:169], v[170:171], v[172:173]
	v_div_fixup_f64 v[168:169], v[168:169], v[164:165], v[166:167]
	s_delay_alu instid0(VALU_DEP_1) | instskip(NEXT) | instid1(VALU_DEP_1)
	v_fma_f64 v[164:165], v[166:167], v[168:169], v[164:165]
	v_div_scale_f64 v[166:167], null, v[164:165], v[164:165], 1.0
	s_delay_alu instid0(VALU_DEP_1) | instskip(SKIP_2) | instid1(VALU_DEP_1)
	v_rcp_f64_e32 v[170:171], v[166:167]
	s_waitcnt_depctr 0xfff
	v_fma_f64 v[172:173], -v[166:167], v[170:171], 1.0
	v_fma_f64 v[170:171], v[170:171], v[172:173], v[170:171]
	s_delay_alu instid0(VALU_DEP_1) | instskip(NEXT) | instid1(VALU_DEP_1)
	v_fma_f64 v[172:173], -v[166:167], v[170:171], 1.0
	v_fma_f64 v[170:171], v[170:171], v[172:173], v[170:171]
	v_div_scale_f64 v[172:173], vcc_lo, 1.0, v[164:165], 1.0
	s_delay_alu instid0(VALU_DEP_1) | instskip(NEXT) | instid1(VALU_DEP_1)
	v_mul_f64 v[174:175], v[172:173], v[170:171]
	v_fma_f64 v[166:167], -v[166:167], v[174:175], v[172:173]
	s_delay_alu instid0(VALU_DEP_1) | instskip(NEXT) | instid1(VALU_DEP_1)
	v_div_fmas_f64 v[166:167], v[166:167], v[170:171], v[174:175]
	v_div_fixup_f64 v[172:173], v[166:167], v[164:165], 1.0
	s_delay_alu instid0(VALU_DEP_1)
	v_mul_f64 v[170:171], v[168:169], -v[172:173]
.LBB49_151:
	s_or_b32 exec_lo, exec_lo, s3
	ds_store_2addr_b64 v255, v[172:173], v[170:171] offset1:1
.LBB49_152:
	s_or_b32 exec_lo, exec_lo, s4
	s_waitcnt lgkmcnt(0)
	s_barrier
	buffer_gl0_inv
	ds_load_2addr_b64 v[164:167], v255 offset1:1
	s_mov_b32 s3, exec_lo
	v_cmpx_lt_u32_e32 16, v254
	s_cbranch_execz .LBB49_154
; %bb.153:
	s_waitcnt lgkmcnt(0)
	v_mul_f64 v[168:169], v[164:165], v[34:35]
	v_mul_f64 v[34:35], v[166:167], v[34:35]
	s_delay_alu instid0(VALU_DEP_2)
	v_fma_f64 v[176:177], v[166:167], v[32:33], v[168:169]
	ds_load_2addr_b64 v[168:171], v202 offset0:34 offset1:35
	ds_load_2addr_b64 v[172:175], v202 offset0:36 offset1:37
	v_fma_f64 v[32:33], v[164:165], v[32:33], -v[34:35]
	s_waitcnt lgkmcnt(1)
	v_mul_f64 v[34:35], v[170:171], v[176:177]
	s_delay_alu instid0(VALU_DEP_1) | instskip(SKIP_1) | instid1(VALU_DEP_2)
	v_fma_f64 v[34:35], v[168:169], v[32:33], -v[34:35]
	v_mul_f64 v[168:169], v[168:169], v[176:177]
	v_add_f64 v[28:29], v[28:29], -v[34:35]
	s_delay_alu instid0(VALU_DEP_2) | instskip(SKIP_3) | instid1(VALU_DEP_3)
	v_fma_f64 v[178:179], v[170:171], v[32:33], v[168:169]
	s_waitcnt lgkmcnt(0)
	v_mul_f64 v[168:169], v[174:175], v[176:177]
	v_dual_mov_b32 v34, v176 :: v_dual_mov_b32 v35, v177
	v_add_f64 v[30:31], v[30:31], -v[178:179]
	s_delay_alu instid0(VALU_DEP_3) | instskip(SKIP_1) | instid1(VALU_DEP_2)
	v_fma_f64 v[180:181], v[172:173], v[32:33], -v[168:169]
	v_mul_f64 v[168:169], v[172:173], v[176:177]
	v_add_f64 v[24:25], v[24:25], -v[180:181]
	s_delay_alu instid0(VALU_DEP_2)
	v_fma_f64 v[182:183], v[174:175], v[32:33], v[168:169]
	ds_load_2addr_b64 v[168:171], v202 offset0:38 offset1:39
	ds_load_2addr_b64 v[172:175], v202 offset0:40 offset1:41
	s_waitcnt lgkmcnt(1)
	v_mul_f64 v[184:185], v[170:171], v[176:177]
	v_add_f64 v[26:27], v[26:27], -v[182:183]
	s_delay_alu instid0(VALU_DEP_2) | instskip(SKIP_1) | instid1(VALU_DEP_2)
	v_fma_f64 v[184:185], v[168:169], v[32:33], -v[184:185]
	v_mul_f64 v[168:169], v[168:169], v[176:177]
	v_add_f64 v[20:21], v[20:21], -v[184:185]
	s_delay_alu instid0(VALU_DEP_2) | instskip(SKIP_2) | instid1(VALU_DEP_2)
	v_fma_f64 v[186:187], v[170:171], v[32:33], v[168:169]
	s_waitcnt lgkmcnt(0)
	v_mul_f64 v[168:169], v[174:175], v[176:177]
	v_add_f64 v[22:23], v[22:23], -v[186:187]
	s_delay_alu instid0(VALU_DEP_2) | instskip(SKIP_1) | instid1(VALU_DEP_2)
	v_fma_f64 v[188:189], v[172:173], v[32:33], -v[168:169]
	v_mul_f64 v[168:169], v[172:173], v[176:177]
	v_add_f64 v[16:17], v[16:17], -v[188:189]
	s_delay_alu instid0(VALU_DEP_2)
	v_fma_f64 v[190:191], v[174:175], v[32:33], v[168:169]
	ds_load_2addr_b64 v[168:171], v202 offset0:42 offset1:43
	ds_load_2addr_b64 v[172:175], v202 offset0:44 offset1:45
	s_waitcnt lgkmcnt(1)
	v_mul_f64 v[192:193], v[170:171], v[176:177]
	v_add_f64 v[18:19], v[18:19], -v[190:191]
	s_delay_alu instid0(VALU_DEP_2) | instskip(SKIP_1) | instid1(VALU_DEP_2)
	v_fma_f64 v[192:193], v[168:169], v[32:33], -v[192:193]
	v_mul_f64 v[168:169], v[168:169], v[176:177]
	v_add_f64 v[12:13], v[12:13], -v[192:193]
	s_delay_alu instid0(VALU_DEP_2) | instskip(SKIP_2) | instid1(VALU_DEP_2)
	v_fma_f64 v[194:195], v[170:171], v[32:33], v[168:169]
	s_waitcnt lgkmcnt(0)
	v_mul_f64 v[168:169], v[174:175], v[176:177]
	v_add_f64 v[14:15], v[14:15], -v[194:195]
	s_delay_alu instid0(VALU_DEP_2) | instskip(SKIP_1) | instid1(VALU_DEP_2)
	;; [unrolled: 20-line block ×3, first 2 shown]
	v_fma_f64 v[170:171], v[172:173], v[32:33], -v[170:171]
	v_mul_f64 v[172:173], v[172:173], v[176:177]
	v_add_f64 v[0:1], v[0:1], -v[170:171]
	s_delay_alu instid0(VALU_DEP_2) | instskip(NEXT) | instid1(VALU_DEP_1)
	v_fma_f64 v[172:173], v[174:175], v[32:33], v[172:173]
	v_add_f64 v[2:3], v[2:3], -v[172:173]
.LBB49_154:
	s_or_b32 exec_lo, exec_lo, s3
	s_delay_alu instid0(SALU_CYCLE_1)
	s_mov_b32 s4, exec_lo
	s_waitcnt lgkmcnt(0)
	s_barrier
	buffer_gl0_inv
	v_cmpx_eq_u32_e32 17, v254
	s_cbranch_execz .LBB49_161
; %bb.155:
	ds_store_2addr_b64 v255, v[28:29], v[30:31] offset1:1
	ds_store_2addr_b64 v202, v[24:25], v[26:27] offset0:36 offset1:37
	ds_store_2addr_b64 v202, v[20:21], v[22:23] offset0:38 offset1:39
	;; [unrolled: 1-line block ×7, first 2 shown]
	ds_load_2addr_b64 v[168:171], v255 offset1:1
	s_waitcnt lgkmcnt(0)
	v_cmp_neq_f64_e32 vcc_lo, 0, v[168:169]
	v_cmp_neq_f64_e64 s3, 0, v[170:171]
	s_delay_alu instid0(VALU_DEP_1) | instskip(NEXT) | instid1(SALU_CYCLE_1)
	s_or_b32 s3, vcc_lo, s3
	s_and_b32 exec_lo, exec_lo, s3
	s_cbranch_execz .LBB49_161
; %bb.156:
	v_cmp_gt_f64_e32 vcc_lo, 0, v[168:169]
	v_cmp_gt_f64_e64 s3, 0, v[170:171]
	v_xor_b32_e32 v100, 0x80000000, v169
	v_xor_b32_e32 v101, 0x80000000, v171
                                        ; implicit-def: $vgpr176_vgpr177
	s_delay_alu instid0(VALU_DEP_2) | instskip(NEXT) | instid1(VALU_DEP_2)
	v_cndmask_b32_e32 v173, v169, v100, vcc_lo
	v_cndmask_b32_e64 v175, v171, v101, s3
	v_cndmask_b32_e32 v172, v168, v168, vcc_lo
	v_cndmask_b32_e64 v174, v170, v170, s3
	s_mov_b32 s3, exec_lo
	s_delay_alu instid0(VALU_DEP_1)
	v_cmpx_ngt_f64_e32 v[172:173], v[174:175]
	s_xor_b32 s3, exec_lo, s3
                                        ; implicit-def: $vgpr172_vgpr173_vgpr174_vgpr175
	s_cbranch_execz .LBB49_158
; %bb.157:
	v_div_scale_f64 v[172:173], null, v[170:171], v[170:171], v[168:169]
	v_div_scale_f64 v[178:179], vcc_lo, v[168:169], v[170:171], v[168:169]
	s_delay_alu instid0(VALU_DEP_2) | instskip(SKIP_2) | instid1(VALU_DEP_1)
	v_rcp_f64_e32 v[174:175], v[172:173]
	s_waitcnt_depctr 0xfff
	v_fma_f64 v[176:177], -v[172:173], v[174:175], 1.0
	v_fma_f64 v[174:175], v[174:175], v[176:177], v[174:175]
	s_delay_alu instid0(VALU_DEP_1) | instskip(NEXT) | instid1(VALU_DEP_1)
	v_fma_f64 v[176:177], -v[172:173], v[174:175], 1.0
	v_fma_f64 v[174:175], v[174:175], v[176:177], v[174:175]
	s_delay_alu instid0(VALU_DEP_1) | instskip(NEXT) | instid1(VALU_DEP_1)
	v_mul_f64 v[176:177], v[178:179], v[174:175]
	v_fma_f64 v[172:173], -v[172:173], v[176:177], v[178:179]
	s_delay_alu instid0(VALU_DEP_1) | instskip(NEXT) | instid1(VALU_DEP_1)
	v_div_fmas_f64 v[172:173], v[172:173], v[174:175], v[176:177]
	v_div_fixup_f64 v[172:173], v[172:173], v[170:171], v[168:169]
	s_delay_alu instid0(VALU_DEP_1) | instskip(NEXT) | instid1(VALU_DEP_1)
	v_fma_f64 v[168:169], v[168:169], v[172:173], v[170:171]
	v_div_scale_f64 v[170:171], null, v[168:169], v[168:169], 1.0
	s_delay_alu instid0(VALU_DEP_1) | instskip(SKIP_2) | instid1(VALU_DEP_1)
	v_rcp_f64_e32 v[174:175], v[170:171]
	s_waitcnt_depctr 0xfff
	v_fma_f64 v[176:177], -v[170:171], v[174:175], 1.0
	v_fma_f64 v[174:175], v[174:175], v[176:177], v[174:175]
	s_delay_alu instid0(VALU_DEP_1) | instskip(NEXT) | instid1(VALU_DEP_1)
	v_fma_f64 v[176:177], -v[170:171], v[174:175], 1.0
	v_fma_f64 v[174:175], v[174:175], v[176:177], v[174:175]
	v_div_scale_f64 v[176:177], vcc_lo, 1.0, v[168:169], 1.0
	s_delay_alu instid0(VALU_DEP_1) | instskip(NEXT) | instid1(VALU_DEP_1)
	v_mul_f64 v[178:179], v[176:177], v[174:175]
	v_fma_f64 v[170:171], -v[170:171], v[178:179], v[176:177]
	s_delay_alu instid0(VALU_DEP_1) | instskip(NEXT) | instid1(VALU_DEP_1)
	v_div_fmas_f64 v[170:171], v[170:171], v[174:175], v[178:179]
	v_div_fixup_f64 v[174:175], v[170:171], v[168:169], 1.0
                                        ; implicit-def: $vgpr168_vgpr169
	s_delay_alu instid0(VALU_DEP_1)
	v_mul_f64 v[176:177], v[172:173], v[174:175]
	v_xor_b32_e32 v175, 0x80000000, v175
.LBB49_158:
	s_and_not1_saveexec_b32 s3, s3
	s_cbranch_execz .LBB49_160
; %bb.159:
	v_div_scale_f64 v[172:173], null, v[168:169], v[168:169], v[170:171]
	v_div_scale_f64 v[178:179], vcc_lo, v[170:171], v[168:169], v[170:171]
	s_delay_alu instid0(VALU_DEP_2) | instskip(SKIP_2) | instid1(VALU_DEP_1)
	v_rcp_f64_e32 v[174:175], v[172:173]
	s_waitcnt_depctr 0xfff
	v_fma_f64 v[176:177], -v[172:173], v[174:175], 1.0
	v_fma_f64 v[174:175], v[174:175], v[176:177], v[174:175]
	s_delay_alu instid0(VALU_DEP_1) | instskip(NEXT) | instid1(VALU_DEP_1)
	v_fma_f64 v[176:177], -v[172:173], v[174:175], 1.0
	v_fma_f64 v[174:175], v[174:175], v[176:177], v[174:175]
	s_delay_alu instid0(VALU_DEP_1) | instskip(NEXT) | instid1(VALU_DEP_1)
	v_mul_f64 v[176:177], v[178:179], v[174:175]
	v_fma_f64 v[172:173], -v[172:173], v[176:177], v[178:179]
	s_delay_alu instid0(VALU_DEP_1) | instskip(NEXT) | instid1(VALU_DEP_1)
	v_div_fmas_f64 v[172:173], v[172:173], v[174:175], v[176:177]
	v_div_fixup_f64 v[172:173], v[172:173], v[168:169], v[170:171]
	s_delay_alu instid0(VALU_DEP_1) | instskip(NEXT) | instid1(VALU_DEP_1)
	v_fma_f64 v[168:169], v[170:171], v[172:173], v[168:169]
	v_div_scale_f64 v[170:171], null, v[168:169], v[168:169], 1.0
	s_delay_alu instid0(VALU_DEP_1) | instskip(SKIP_2) | instid1(VALU_DEP_1)
	v_rcp_f64_e32 v[174:175], v[170:171]
	s_waitcnt_depctr 0xfff
	v_fma_f64 v[176:177], -v[170:171], v[174:175], 1.0
	v_fma_f64 v[174:175], v[174:175], v[176:177], v[174:175]
	s_delay_alu instid0(VALU_DEP_1) | instskip(NEXT) | instid1(VALU_DEP_1)
	v_fma_f64 v[176:177], -v[170:171], v[174:175], 1.0
	v_fma_f64 v[174:175], v[174:175], v[176:177], v[174:175]
	v_div_scale_f64 v[176:177], vcc_lo, 1.0, v[168:169], 1.0
	s_delay_alu instid0(VALU_DEP_1) | instskip(NEXT) | instid1(VALU_DEP_1)
	v_mul_f64 v[178:179], v[176:177], v[174:175]
	v_fma_f64 v[170:171], -v[170:171], v[178:179], v[176:177]
	s_delay_alu instid0(VALU_DEP_1) | instskip(NEXT) | instid1(VALU_DEP_1)
	v_div_fmas_f64 v[170:171], v[170:171], v[174:175], v[178:179]
	v_div_fixup_f64 v[176:177], v[170:171], v[168:169], 1.0
	s_delay_alu instid0(VALU_DEP_1)
	v_mul_f64 v[174:175], v[172:173], -v[176:177]
.LBB49_160:
	s_or_b32 exec_lo, exec_lo, s3
	ds_store_2addr_b64 v255, v[176:177], v[174:175] offset1:1
.LBB49_161:
	s_or_b32 exec_lo, exec_lo, s4
	s_waitcnt lgkmcnt(0)
	s_barrier
	buffer_gl0_inv
	ds_load_2addr_b64 v[168:171], v255 offset1:1
	s_mov_b32 s3, exec_lo
	v_cmpx_lt_u32_e32 17, v254
	s_cbranch_execz .LBB49_163
; %bb.162:
	s_waitcnt lgkmcnt(0)
	v_mul_f64 v[172:173], v[168:169], v[30:31]
	v_mul_f64 v[30:31], v[170:171], v[30:31]
	s_delay_alu instid0(VALU_DEP_2)
	v_fma_f64 v[180:181], v[170:171], v[28:29], v[172:173]
	ds_load_2addr_b64 v[172:175], v202 offset0:36 offset1:37
	ds_load_2addr_b64 v[176:179], v202 offset0:38 offset1:39
	v_fma_f64 v[28:29], v[168:169], v[28:29], -v[30:31]
	s_waitcnt lgkmcnt(1)
	v_mul_f64 v[30:31], v[174:175], v[180:181]
	s_delay_alu instid0(VALU_DEP_1) | instskip(SKIP_1) | instid1(VALU_DEP_2)
	v_fma_f64 v[30:31], v[172:173], v[28:29], -v[30:31]
	v_mul_f64 v[172:173], v[172:173], v[180:181]
	v_add_f64 v[24:25], v[24:25], -v[30:31]
	s_delay_alu instid0(VALU_DEP_2) | instskip(SKIP_3) | instid1(VALU_DEP_3)
	v_fma_f64 v[182:183], v[174:175], v[28:29], v[172:173]
	s_waitcnt lgkmcnt(0)
	v_mul_f64 v[172:173], v[178:179], v[180:181]
	v_dual_mov_b32 v30, v180 :: v_dual_mov_b32 v31, v181
	v_add_f64 v[26:27], v[26:27], -v[182:183]
	s_delay_alu instid0(VALU_DEP_3) | instskip(SKIP_1) | instid1(VALU_DEP_2)
	v_fma_f64 v[184:185], v[176:177], v[28:29], -v[172:173]
	v_mul_f64 v[172:173], v[176:177], v[180:181]
	v_add_f64 v[20:21], v[20:21], -v[184:185]
	s_delay_alu instid0(VALU_DEP_2)
	v_fma_f64 v[186:187], v[178:179], v[28:29], v[172:173]
	ds_load_2addr_b64 v[172:175], v202 offset0:40 offset1:41
	ds_load_2addr_b64 v[176:179], v202 offset0:42 offset1:43
	s_waitcnt lgkmcnt(1)
	v_mul_f64 v[188:189], v[174:175], v[180:181]
	v_add_f64 v[22:23], v[22:23], -v[186:187]
	s_delay_alu instid0(VALU_DEP_2) | instskip(SKIP_1) | instid1(VALU_DEP_2)
	v_fma_f64 v[188:189], v[172:173], v[28:29], -v[188:189]
	v_mul_f64 v[172:173], v[172:173], v[180:181]
	v_add_f64 v[16:17], v[16:17], -v[188:189]
	s_delay_alu instid0(VALU_DEP_2) | instskip(SKIP_2) | instid1(VALU_DEP_2)
	v_fma_f64 v[190:191], v[174:175], v[28:29], v[172:173]
	s_waitcnt lgkmcnt(0)
	v_mul_f64 v[172:173], v[178:179], v[180:181]
	v_add_f64 v[18:19], v[18:19], -v[190:191]
	s_delay_alu instid0(VALU_DEP_2) | instskip(SKIP_1) | instid1(VALU_DEP_2)
	v_fma_f64 v[192:193], v[176:177], v[28:29], -v[172:173]
	v_mul_f64 v[172:173], v[176:177], v[180:181]
	v_add_f64 v[12:13], v[12:13], -v[192:193]
	s_delay_alu instid0(VALU_DEP_2)
	v_fma_f64 v[194:195], v[178:179], v[28:29], v[172:173]
	ds_load_2addr_b64 v[172:175], v202 offset0:44 offset1:45
	ds_load_2addr_b64 v[176:179], v202 offset0:46 offset1:47
	s_waitcnt lgkmcnt(1)
	v_mul_f64 v[196:197], v[174:175], v[180:181]
	v_add_f64 v[14:15], v[14:15], -v[194:195]
	s_delay_alu instid0(VALU_DEP_2) | instskip(SKIP_1) | instid1(VALU_DEP_2)
	v_fma_f64 v[196:197], v[172:173], v[28:29], -v[196:197]
	v_mul_f64 v[172:173], v[172:173], v[180:181]
	v_add_f64 v[8:9], v[8:9], -v[196:197]
	s_delay_alu instid0(VALU_DEP_2) | instskip(SKIP_2) | instid1(VALU_DEP_2)
	v_fma_f64 v[198:199], v[174:175], v[28:29], v[172:173]
	s_waitcnt lgkmcnt(0)
	v_mul_f64 v[172:173], v[178:179], v[180:181]
	v_add_f64 v[10:11], v[10:11], -v[198:199]
	s_delay_alu instid0(VALU_DEP_2) | instskip(SKIP_1) | instid1(VALU_DEP_2)
	v_fma_f64 v[252:253], v[176:177], v[28:29], -v[172:173]
	v_mul_f64 v[172:173], v[176:177], v[180:181]
	v_add_f64 v[4:5], v[4:5], -v[252:253]
	s_delay_alu instid0(VALU_DEP_2) | instskip(SKIP_4) | instid1(VALU_DEP_2)
	v_fma_f64 v[176:177], v[178:179], v[28:29], v[172:173]
	ds_load_2addr_b64 v[172:175], v202 offset0:48 offset1:49
	s_waitcnt lgkmcnt(0)
	v_mul_f64 v[178:179], v[174:175], v[180:181]
	v_add_f64 v[6:7], v[6:7], -v[176:177]
	v_fma_f64 v[178:179], v[172:173], v[28:29], -v[178:179]
	v_mul_f64 v[172:173], v[172:173], v[180:181]
	s_delay_alu instid0(VALU_DEP_2) | instskip(NEXT) | instid1(VALU_DEP_2)
	v_add_f64 v[0:1], v[0:1], -v[178:179]
	v_fma_f64 v[172:173], v[174:175], v[28:29], v[172:173]
	s_delay_alu instid0(VALU_DEP_1)
	v_add_f64 v[2:3], v[2:3], -v[172:173]
.LBB49_163:
	s_or_b32 exec_lo, exec_lo, s3
	s_delay_alu instid0(SALU_CYCLE_1)
	s_mov_b32 s4, exec_lo
	s_waitcnt lgkmcnt(0)
	s_barrier
	buffer_gl0_inv
	v_cmpx_eq_u32_e32 18, v254
	s_cbranch_execz .LBB49_170
; %bb.164:
	ds_store_2addr_b64 v255, v[24:25], v[26:27] offset1:1
	ds_store_2addr_b64 v202, v[20:21], v[22:23] offset0:38 offset1:39
	ds_store_2addr_b64 v202, v[16:17], v[18:19] offset0:40 offset1:41
	;; [unrolled: 1-line block ×6, first 2 shown]
	ds_load_2addr_b64 v[172:175], v255 offset1:1
	s_waitcnt lgkmcnt(0)
	v_cmp_neq_f64_e32 vcc_lo, 0, v[172:173]
	v_cmp_neq_f64_e64 s3, 0, v[174:175]
	s_delay_alu instid0(VALU_DEP_1) | instskip(NEXT) | instid1(SALU_CYCLE_1)
	s_or_b32 s3, vcc_lo, s3
	s_and_b32 exec_lo, exec_lo, s3
	s_cbranch_execz .LBB49_170
; %bb.165:
	v_cmp_gt_f64_e32 vcc_lo, 0, v[172:173]
	v_cmp_gt_f64_e64 s3, 0, v[174:175]
	v_xor_b32_e32 v100, 0x80000000, v173
	v_xor_b32_e32 v101, 0x80000000, v175
                                        ; implicit-def: $vgpr180_vgpr181
	s_delay_alu instid0(VALU_DEP_2) | instskip(NEXT) | instid1(VALU_DEP_2)
	v_cndmask_b32_e32 v177, v173, v100, vcc_lo
	v_cndmask_b32_e64 v179, v175, v101, s3
	v_cndmask_b32_e32 v176, v172, v172, vcc_lo
	v_cndmask_b32_e64 v178, v174, v174, s3
	s_mov_b32 s3, exec_lo
	s_delay_alu instid0(VALU_DEP_1)
	v_cmpx_ngt_f64_e32 v[176:177], v[178:179]
	s_xor_b32 s3, exec_lo, s3
                                        ; implicit-def: $vgpr176_vgpr177_vgpr178_vgpr179
	s_cbranch_execz .LBB49_167
; %bb.166:
	v_div_scale_f64 v[176:177], null, v[174:175], v[174:175], v[172:173]
	v_div_scale_f64 v[182:183], vcc_lo, v[172:173], v[174:175], v[172:173]
	s_delay_alu instid0(VALU_DEP_2) | instskip(SKIP_2) | instid1(VALU_DEP_1)
	v_rcp_f64_e32 v[178:179], v[176:177]
	s_waitcnt_depctr 0xfff
	v_fma_f64 v[180:181], -v[176:177], v[178:179], 1.0
	v_fma_f64 v[178:179], v[178:179], v[180:181], v[178:179]
	s_delay_alu instid0(VALU_DEP_1) | instskip(NEXT) | instid1(VALU_DEP_1)
	v_fma_f64 v[180:181], -v[176:177], v[178:179], 1.0
	v_fma_f64 v[178:179], v[178:179], v[180:181], v[178:179]
	s_delay_alu instid0(VALU_DEP_1) | instskip(NEXT) | instid1(VALU_DEP_1)
	v_mul_f64 v[180:181], v[182:183], v[178:179]
	v_fma_f64 v[176:177], -v[176:177], v[180:181], v[182:183]
	s_delay_alu instid0(VALU_DEP_1) | instskip(NEXT) | instid1(VALU_DEP_1)
	v_div_fmas_f64 v[176:177], v[176:177], v[178:179], v[180:181]
	v_div_fixup_f64 v[176:177], v[176:177], v[174:175], v[172:173]
	s_delay_alu instid0(VALU_DEP_1) | instskip(NEXT) | instid1(VALU_DEP_1)
	v_fma_f64 v[172:173], v[172:173], v[176:177], v[174:175]
	v_div_scale_f64 v[174:175], null, v[172:173], v[172:173], 1.0
	s_delay_alu instid0(VALU_DEP_1) | instskip(SKIP_2) | instid1(VALU_DEP_1)
	v_rcp_f64_e32 v[178:179], v[174:175]
	s_waitcnt_depctr 0xfff
	v_fma_f64 v[180:181], -v[174:175], v[178:179], 1.0
	v_fma_f64 v[178:179], v[178:179], v[180:181], v[178:179]
	s_delay_alu instid0(VALU_DEP_1) | instskip(NEXT) | instid1(VALU_DEP_1)
	v_fma_f64 v[180:181], -v[174:175], v[178:179], 1.0
	v_fma_f64 v[178:179], v[178:179], v[180:181], v[178:179]
	v_div_scale_f64 v[180:181], vcc_lo, 1.0, v[172:173], 1.0
	s_delay_alu instid0(VALU_DEP_1) | instskip(NEXT) | instid1(VALU_DEP_1)
	v_mul_f64 v[182:183], v[180:181], v[178:179]
	v_fma_f64 v[174:175], -v[174:175], v[182:183], v[180:181]
	s_delay_alu instid0(VALU_DEP_1) | instskip(NEXT) | instid1(VALU_DEP_1)
	v_div_fmas_f64 v[174:175], v[174:175], v[178:179], v[182:183]
	v_div_fixup_f64 v[178:179], v[174:175], v[172:173], 1.0
                                        ; implicit-def: $vgpr172_vgpr173
	s_delay_alu instid0(VALU_DEP_1)
	v_mul_f64 v[180:181], v[176:177], v[178:179]
	v_xor_b32_e32 v179, 0x80000000, v179
.LBB49_167:
	s_and_not1_saveexec_b32 s3, s3
	s_cbranch_execz .LBB49_169
; %bb.168:
	v_div_scale_f64 v[176:177], null, v[172:173], v[172:173], v[174:175]
	v_div_scale_f64 v[182:183], vcc_lo, v[174:175], v[172:173], v[174:175]
	s_delay_alu instid0(VALU_DEP_2) | instskip(SKIP_2) | instid1(VALU_DEP_1)
	v_rcp_f64_e32 v[178:179], v[176:177]
	s_waitcnt_depctr 0xfff
	v_fma_f64 v[180:181], -v[176:177], v[178:179], 1.0
	v_fma_f64 v[178:179], v[178:179], v[180:181], v[178:179]
	s_delay_alu instid0(VALU_DEP_1) | instskip(NEXT) | instid1(VALU_DEP_1)
	v_fma_f64 v[180:181], -v[176:177], v[178:179], 1.0
	v_fma_f64 v[178:179], v[178:179], v[180:181], v[178:179]
	s_delay_alu instid0(VALU_DEP_1) | instskip(NEXT) | instid1(VALU_DEP_1)
	v_mul_f64 v[180:181], v[182:183], v[178:179]
	v_fma_f64 v[176:177], -v[176:177], v[180:181], v[182:183]
	s_delay_alu instid0(VALU_DEP_1) | instskip(NEXT) | instid1(VALU_DEP_1)
	v_div_fmas_f64 v[176:177], v[176:177], v[178:179], v[180:181]
	v_div_fixup_f64 v[176:177], v[176:177], v[172:173], v[174:175]
	s_delay_alu instid0(VALU_DEP_1) | instskip(NEXT) | instid1(VALU_DEP_1)
	v_fma_f64 v[172:173], v[174:175], v[176:177], v[172:173]
	v_div_scale_f64 v[174:175], null, v[172:173], v[172:173], 1.0
	s_delay_alu instid0(VALU_DEP_1) | instskip(SKIP_2) | instid1(VALU_DEP_1)
	v_rcp_f64_e32 v[178:179], v[174:175]
	s_waitcnt_depctr 0xfff
	v_fma_f64 v[180:181], -v[174:175], v[178:179], 1.0
	v_fma_f64 v[178:179], v[178:179], v[180:181], v[178:179]
	s_delay_alu instid0(VALU_DEP_1) | instskip(NEXT) | instid1(VALU_DEP_1)
	v_fma_f64 v[180:181], -v[174:175], v[178:179], 1.0
	v_fma_f64 v[178:179], v[178:179], v[180:181], v[178:179]
	v_div_scale_f64 v[180:181], vcc_lo, 1.0, v[172:173], 1.0
	s_delay_alu instid0(VALU_DEP_1) | instskip(NEXT) | instid1(VALU_DEP_1)
	v_mul_f64 v[182:183], v[180:181], v[178:179]
	v_fma_f64 v[174:175], -v[174:175], v[182:183], v[180:181]
	s_delay_alu instid0(VALU_DEP_1) | instskip(NEXT) | instid1(VALU_DEP_1)
	v_div_fmas_f64 v[174:175], v[174:175], v[178:179], v[182:183]
	v_div_fixup_f64 v[180:181], v[174:175], v[172:173], 1.0
	s_delay_alu instid0(VALU_DEP_1)
	v_mul_f64 v[178:179], v[176:177], -v[180:181]
.LBB49_169:
	s_or_b32 exec_lo, exec_lo, s3
	ds_store_2addr_b64 v255, v[180:181], v[178:179] offset1:1
.LBB49_170:
	s_or_b32 exec_lo, exec_lo, s4
	s_waitcnt lgkmcnt(0)
	s_barrier
	buffer_gl0_inv
	ds_load_2addr_b64 v[172:175], v255 offset1:1
	s_mov_b32 s3, exec_lo
	v_cmpx_lt_u32_e32 18, v254
	s_cbranch_execz .LBB49_172
; %bb.171:
	s_waitcnt lgkmcnt(0)
	v_mul_f64 v[176:177], v[172:173], v[26:27]
	v_mul_f64 v[26:27], v[174:175], v[26:27]
	ds_load_2addr_b64 v[180:183], v202 offset0:40 offset1:41
	v_fma_f64 v[184:185], v[174:175], v[24:25], v[176:177]
	ds_load_2addr_b64 v[176:179], v202 offset0:38 offset1:39
	v_fma_f64 v[24:25], v[172:173], v[24:25], -v[26:27]
	s_waitcnt lgkmcnt(0)
	v_mul_f64 v[26:27], v[178:179], v[184:185]
	s_delay_alu instid0(VALU_DEP_1) | instskip(SKIP_1) | instid1(VALU_DEP_2)
	v_fma_f64 v[26:27], v[176:177], v[24:25], -v[26:27]
	v_mul_f64 v[176:177], v[176:177], v[184:185]
	v_add_f64 v[20:21], v[20:21], -v[26:27]
	s_delay_alu instid0(VALU_DEP_2) | instskip(SKIP_2) | instid1(VALU_DEP_3)
	v_fma_f64 v[186:187], v[178:179], v[24:25], v[176:177]
	v_mul_f64 v[176:177], v[182:183], v[184:185]
	v_dual_mov_b32 v26, v184 :: v_dual_mov_b32 v27, v185
	v_add_f64 v[22:23], v[22:23], -v[186:187]
	s_delay_alu instid0(VALU_DEP_3) | instskip(SKIP_1) | instid1(VALU_DEP_2)
	v_fma_f64 v[188:189], v[180:181], v[24:25], -v[176:177]
	v_mul_f64 v[176:177], v[180:181], v[184:185]
	v_add_f64 v[16:17], v[16:17], -v[188:189]
	s_delay_alu instid0(VALU_DEP_2)
	v_fma_f64 v[190:191], v[182:183], v[24:25], v[176:177]
	ds_load_2addr_b64 v[176:179], v202 offset0:42 offset1:43
	ds_load_2addr_b64 v[180:183], v202 offset0:44 offset1:45
	s_waitcnt lgkmcnt(1)
	v_mul_f64 v[192:193], v[178:179], v[184:185]
	v_add_f64 v[18:19], v[18:19], -v[190:191]
	s_delay_alu instid0(VALU_DEP_2) | instskip(SKIP_1) | instid1(VALU_DEP_2)
	v_fma_f64 v[192:193], v[176:177], v[24:25], -v[192:193]
	v_mul_f64 v[176:177], v[176:177], v[184:185]
	v_add_f64 v[12:13], v[12:13], -v[192:193]
	s_delay_alu instid0(VALU_DEP_2) | instskip(SKIP_2) | instid1(VALU_DEP_2)
	v_fma_f64 v[194:195], v[178:179], v[24:25], v[176:177]
	s_waitcnt lgkmcnt(0)
	v_mul_f64 v[176:177], v[182:183], v[184:185]
	v_add_f64 v[14:15], v[14:15], -v[194:195]
	s_delay_alu instid0(VALU_DEP_2) | instskip(SKIP_1) | instid1(VALU_DEP_2)
	v_fma_f64 v[196:197], v[180:181], v[24:25], -v[176:177]
	v_mul_f64 v[176:177], v[180:181], v[184:185]
	v_add_f64 v[8:9], v[8:9], -v[196:197]
	s_delay_alu instid0(VALU_DEP_2)
	v_fma_f64 v[198:199], v[182:183], v[24:25], v[176:177]
	ds_load_2addr_b64 v[176:179], v202 offset0:46 offset1:47
	ds_load_2addr_b64 v[180:183], v202 offset0:48 offset1:49
	s_waitcnt lgkmcnt(1)
	v_mul_f64 v[252:253], v[178:179], v[184:185]
	v_add_f64 v[10:11], v[10:11], -v[198:199]
	s_delay_alu instid0(VALU_DEP_2) | instskip(SKIP_1) | instid1(VALU_DEP_2)
	v_fma_f64 v[252:253], v[176:177], v[24:25], -v[252:253]
	v_mul_f64 v[176:177], v[176:177], v[184:185]
	v_add_f64 v[4:5], v[4:5], -v[252:253]
	s_delay_alu instid0(VALU_DEP_2) | instskip(SKIP_2) | instid1(VALU_DEP_2)
	v_fma_f64 v[176:177], v[178:179], v[24:25], v[176:177]
	s_waitcnt lgkmcnt(0)
	v_mul_f64 v[178:179], v[182:183], v[184:185]
	v_add_f64 v[6:7], v[6:7], -v[176:177]
	s_delay_alu instid0(VALU_DEP_2) | instskip(SKIP_1) | instid1(VALU_DEP_2)
	v_fma_f64 v[178:179], v[180:181], v[24:25], -v[178:179]
	v_mul_f64 v[180:181], v[180:181], v[184:185]
	v_add_f64 v[0:1], v[0:1], -v[178:179]
	s_delay_alu instid0(VALU_DEP_2) | instskip(NEXT) | instid1(VALU_DEP_1)
	v_fma_f64 v[180:181], v[182:183], v[24:25], v[180:181]
	v_add_f64 v[2:3], v[2:3], -v[180:181]
.LBB49_172:
	s_or_b32 exec_lo, exec_lo, s3
	s_delay_alu instid0(SALU_CYCLE_1)
	s_mov_b32 s4, exec_lo
	s_waitcnt lgkmcnt(0)
	s_barrier
	buffer_gl0_inv
	v_cmpx_eq_u32_e32 19, v254
	s_cbranch_execz .LBB49_179
; %bb.173:
	ds_store_2addr_b64 v255, v[20:21], v[22:23] offset1:1
	ds_store_2addr_b64 v202, v[16:17], v[18:19] offset0:40 offset1:41
	ds_store_2addr_b64 v202, v[12:13], v[14:15] offset0:42 offset1:43
	;; [unrolled: 1-line block ×5, first 2 shown]
	ds_load_2addr_b64 v[176:179], v255 offset1:1
	s_waitcnt lgkmcnt(0)
	v_cmp_neq_f64_e32 vcc_lo, 0, v[176:177]
	v_cmp_neq_f64_e64 s3, 0, v[178:179]
	s_delay_alu instid0(VALU_DEP_1) | instskip(NEXT) | instid1(SALU_CYCLE_1)
	s_or_b32 s3, vcc_lo, s3
	s_and_b32 exec_lo, exec_lo, s3
	s_cbranch_execz .LBB49_179
; %bb.174:
	v_cmp_gt_f64_e32 vcc_lo, 0, v[176:177]
	v_cmp_gt_f64_e64 s3, 0, v[178:179]
	v_xor_b32_e32 v100, 0x80000000, v177
	v_xor_b32_e32 v101, 0x80000000, v179
                                        ; implicit-def: $vgpr184_vgpr185
	s_delay_alu instid0(VALU_DEP_2) | instskip(NEXT) | instid1(VALU_DEP_2)
	v_cndmask_b32_e32 v181, v177, v100, vcc_lo
	v_cndmask_b32_e64 v183, v179, v101, s3
	v_cndmask_b32_e32 v180, v176, v176, vcc_lo
	v_cndmask_b32_e64 v182, v178, v178, s3
	s_mov_b32 s3, exec_lo
	s_delay_alu instid0(VALU_DEP_1)
	v_cmpx_ngt_f64_e32 v[180:181], v[182:183]
	s_xor_b32 s3, exec_lo, s3
                                        ; implicit-def: $vgpr180_vgpr181_vgpr182_vgpr183
	s_cbranch_execz .LBB49_176
; %bb.175:
	v_div_scale_f64 v[180:181], null, v[178:179], v[178:179], v[176:177]
	v_div_scale_f64 v[186:187], vcc_lo, v[176:177], v[178:179], v[176:177]
	s_delay_alu instid0(VALU_DEP_2) | instskip(SKIP_2) | instid1(VALU_DEP_1)
	v_rcp_f64_e32 v[182:183], v[180:181]
	s_waitcnt_depctr 0xfff
	v_fma_f64 v[184:185], -v[180:181], v[182:183], 1.0
	v_fma_f64 v[182:183], v[182:183], v[184:185], v[182:183]
	s_delay_alu instid0(VALU_DEP_1) | instskip(NEXT) | instid1(VALU_DEP_1)
	v_fma_f64 v[184:185], -v[180:181], v[182:183], 1.0
	v_fma_f64 v[182:183], v[182:183], v[184:185], v[182:183]
	s_delay_alu instid0(VALU_DEP_1) | instskip(NEXT) | instid1(VALU_DEP_1)
	v_mul_f64 v[184:185], v[186:187], v[182:183]
	v_fma_f64 v[180:181], -v[180:181], v[184:185], v[186:187]
	s_delay_alu instid0(VALU_DEP_1) | instskip(NEXT) | instid1(VALU_DEP_1)
	v_div_fmas_f64 v[180:181], v[180:181], v[182:183], v[184:185]
	v_div_fixup_f64 v[180:181], v[180:181], v[178:179], v[176:177]
	s_delay_alu instid0(VALU_DEP_1) | instskip(NEXT) | instid1(VALU_DEP_1)
	v_fma_f64 v[176:177], v[176:177], v[180:181], v[178:179]
	v_div_scale_f64 v[178:179], null, v[176:177], v[176:177], 1.0
	s_delay_alu instid0(VALU_DEP_1) | instskip(SKIP_2) | instid1(VALU_DEP_1)
	v_rcp_f64_e32 v[182:183], v[178:179]
	s_waitcnt_depctr 0xfff
	v_fma_f64 v[184:185], -v[178:179], v[182:183], 1.0
	v_fma_f64 v[182:183], v[182:183], v[184:185], v[182:183]
	s_delay_alu instid0(VALU_DEP_1) | instskip(NEXT) | instid1(VALU_DEP_1)
	v_fma_f64 v[184:185], -v[178:179], v[182:183], 1.0
	v_fma_f64 v[182:183], v[182:183], v[184:185], v[182:183]
	v_div_scale_f64 v[184:185], vcc_lo, 1.0, v[176:177], 1.0
	s_delay_alu instid0(VALU_DEP_1) | instskip(NEXT) | instid1(VALU_DEP_1)
	v_mul_f64 v[186:187], v[184:185], v[182:183]
	v_fma_f64 v[178:179], -v[178:179], v[186:187], v[184:185]
	s_delay_alu instid0(VALU_DEP_1) | instskip(NEXT) | instid1(VALU_DEP_1)
	v_div_fmas_f64 v[178:179], v[178:179], v[182:183], v[186:187]
	v_div_fixup_f64 v[182:183], v[178:179], v[176:177], 1.0
                                        ; implicit-def: $vgpr176_vgpr177
	s_delay_alu instid0(VALU_DEP_1)
	v_mul_f64 v[184:185], v[180:181], v[182:183]
	v_xor_b32_e32 v183, 0x80000000, v183
.LBB49_176:
	s_and_not1_saveexec_b32 s3, s3
	s_cbranch_execz .LBB49_178
; %bb.177:
	v_div_scale_f64 v[180:181], null, v[176:177], v[176:177], v[178:179]
	v_div_scale_f64 v[186:187], vcc_lo, v[178:179], v[176:177], v[178:179]
	s_delay_alu instid0(VALU_DEP_2) | instskip(SKIP_2) | instid1(VALU_DEP_1)
	v_rcp_f64_e32 v[182:183], v[180:181]
	s_waitcnt_depctr 0xfff
	v_fma_f64 v[184:185], -v[180:181], v[182:183], 1.0
	v_fma_f64 v[182:183], v[182:183], v[184:185], v[182:183]
	s_delay_alu instid0(VALU_DEP_1) | instskip(NEXT) | instid1(VALU_DEP_1)
	v_fma_f64 v[184:185], -v[180:181], v[182:183], 1.0
	v_fma_f64 v[182:183], v[182:183], v[184:185], v[182:183]
	s_delay_alu instid0(VALU_DEP_1) | instskip(NEXT) | instid1(VALU_DEP_1)
	v_mul_f64 v[184:185], v[186:187], v[182:183]
	v_fma_f64 v[180:181], -v[180:181], v[184:185], v[186:187]
	s_delay_alu instid0(VALU_DEP_1) | instskip(NEXT) | instid1(VALU_DEP_1)
	v_div_fmas_f64 v[180:181], v[180:181], v[182:183], v[184:185]
	v_div_fixup_f64 v[180:181], v[180:181], v[176:177], v[178:179]
	s_delay_alu instid0(VALU_DEP_1) | instskip(NEXT) | instid1(VALU_DEP_1)
	v_fma_f64 v[176:177], v[178:179], v[180:181], v[176:177]
	v_div_scale_f64 v[178:179], null, v[176:177], v[176:177], 1.0
	s_delay_alu instid0(VALU_DEP_1) | instskip(SKIP_2) | instid1(VALU_DEP_1)
	v_rcp_f64_e32 v[182:183], v[178:179]
	s_waitcnt_depctr 0xfff
	v_fma_f64 v[184:185], -v[178:179], v[182:183], 1.0
	v_fma_f64 v[182:183], v[182:183], v[184:185], v[182:183]
	s_delay_alu instid0(VALU_DEP_1) | instskip(NEXT) | instid1(VALU_DEP_1)
	v_fma_f64 v[184:185], -v[178:179], v[182:183], 1.0
	v_fma_f64 v[182:183], v[182:183], v[184:185], v[182:183]
	v_div_scale_f64 v[184:185], vcc_lo, 1.0, v[176:177], 1.0
	s_delay_alu instid0(VALU_DEP_1) | instskip(NEXT) | instid1(VALU_DEP_1)
	v_mul_f64 v[186:187], v[184:185], v[182:183]
	v_fma_f64 v[178:179], -v[178:179], v[186:187], v[184:185]
	s_delay_alu instid0(VALU_DEP_1) | instskip(NEXT) | instid1(VALU_DEP_1)
	v_div_fmas_f64 v[178:179], v[178:179], v[182:183], v[186:187]
	v_div_fixup_f64 v[184:185], v[178:179], v[176:177], 1.0
	s_delay_alu instid0(VALU_DEP_1)
	v_mul_f64 v[182:183], v[180:181], -v[184:185]
.LBB49_178:
	s_or_b32 exec_lo, exec_lo, s3
	ds_store_2addr_b64 v255, v[184:185], v[182:183] offset1:1
.LBB49_179:
	s_or_b32 exec_lo, exec_lo, s4
	s_waitcnt lgkmcnt(0)
	s_barrier
	buffer_gl0_inv
	ds_load_2addr_b64 v[176:179], v255 offset1:1
	s_mov_b32 s3, exec_lo
	v_cmpx_lt_u32_e32 19, v254
	s_cbranch_execz .LBB49_181
; %bb.180:
	s_waitcnt lgkmcnt(0)
	v_mul_f64 v[180:181], v[176:177], v[22:23]
	v_mul_f64 v[22:23], v[178:179], v[22:23]
	s_delay_alu instid0(VALU_DEP_2)
	v_fma_f64 v[188:189], v[178:179], v[20:21], v[180:181]
	ds_load_2addr_b64 v[180:183], v202 offset0:40 offset1:41
	ds_load_2addr_b64 v[184:187], v202 offset0:42 offset1:43
	v_fma_f64 v[20:21], v[176:177], v[20:21], -v[22:23]
	s_waitcnt lgkmcnt(1)
	v_mul_f64 v[22:23], v[182:183], v[188:189]
	v_mul_f64 v[190:191], v[180:181], v[188:189]
	s_delay_alu instid0(VALU_DEP_2) | instskip(NEXT) | instid1(VALU_DEP_2)
	v_fma_f64 v[22:23], v[180:181], v[20:21], -v[22:23]
	v_fma_f64 v[190:191], v[182:183], v[20:21], v[190:191]
	s_waitcnt lgkmcnt(0)
	v_mul_f64 v[180:181], v[186:187], v[188:189]
	v_mul_f64 v[182:183], v[184:185], v[188:189]
	s_delay_alu instid0(VALU_DEP_4) | instskip(NEXT) | instid1(VALU_DEP_4)
	v_add_f64 v[16:17], v[16:17], -v[22:23]
	v_add_f64 v[18:19], v[18:19], -v[190:191]
	s_delay_alu instid0(VALU_DEP_4) | instskip(NEXT) | instid1(VALU_DEP_4)
	v_fma_f64 v[192:193], v[184:185], v[20:21], -v[180:181]
	v_fma_f64 v[194:195], v[186:187], v[20:21], v[182:183]
	ds_load_2addr_b64 v[180:183], v202 offset0:44 offset1:45
	ds_load_2addr_b64 v[184:187], v202 offset0:46 offset1:47
	v_dual_mov_b32 v22, v188 :: v_dual_mov_b32 v23, v189
	s_waitcnt lgkmcnt(1)
	v_mul_f64 v[196:197], v[182:183], v[188:189]
	v_add_f64 v[12:13], v[12:13], -v[192:193]
	v_add_f64 v[14:15], v[14:15], -v[194:195]
	s_delay_alu instid0(VALU_DEP_3) | instskip(SKIP_1) | instid1(VALU_DEP_2)
	v_fma_f64 v[196:197], v[180:181], v[20:21], -v[196:197]
	v_mul_f64 v[180:181], v[180:181], v[188:189]
	v_add_f64 v[8:9], v[8:9], -v[196:197]
	s_delay_alu instid0(VALU_DEP_2) | instskip(SKIP_2) | instid1(VALU_DEP_2)
	v_fma_f64 v[198:199], v[182:183], v[20:21], v[180:181]
	s_waitcnt lgkmcnt(0)
	v_mul_f64 v[180:181], v[186:187], v[188:189]
	v_add_f64 v[10:11], v[10:11], -v[198:199]
	s_delay_alu instid0(VALU_DEP_2) | instskip(SKIP_1) | instid1(VALU_DEP_2)
	v_fma_f64 v[252:253], v[184:185], v[20:21], -v[180:181]
	v_mul_f64 v[180:181], v[184:185], v[188:189]
	v_add_f64 v[4:5], v[4:5], -v[252:253]
	s_delay_alu instid0(VALU_DEP_2) | instskip(SKIP_4) | instid1(VALU_DEP_2)
	v_fma_f64 v[184:185], v[186:187], v[20:21], v[180:181]
	ds_load_2addr_b64 v[180:183], v202 offset0:48 offset1:49
	s_waitcnt lgkmcnt(0)
	v_mul_f64 v[186:187], v[182:183], v[188:189]
	v_add_f64 v[6:7], v[6:7], -v[184:185]
	v_fma_f64 v[186:187], v[180:181], v[20:21], -v[186:187]
	v_mul_f64 v[180:181], v[180:181], v[188:189]
	s_delay_alu instid0(VALU_DEP_2) | instskip(NEXT) | instid1(VALU_DEP_2)
	v_add_f64 v[0:1], v[0:1], -v[186:187]
	v_fma_f64 v[180:181], v[182:183], v[20:21], v[180:181]
	s_delay_alu instid0(VALU_DEP_1)
	v_add_f64 v[2:3], v[2:3], -v[180:181]
.LBB49_181:
	s_or_b32 exec_lo, exec_lo, s3
	s_delay_alu instid0(SALU_CYCLE_1)
	s_mov_b32 s4, exec_lo
	s_waitcnt lgkmcnt(0)
	s_barrier
	buffer_gl0_inv
	v_cmpx_eq_u32_e32 20, v254
	s_cbranch_execz .LBB49_188
; %bb.182:
	ds_store_2addr_b64 v255, v[16:17], v[18:19] offset1:1
	ds_store_2addr_b64 v202, v[12:13], v[14:15] offset0:42 offset1:43
	ds_store_2addr_b64 v202, v[8:9], v[10:11] offset0:44 offset1:45
	;; [unrolled: 1-line block ×4, first 2 shown]
	ds_load_2addr_b64 v[180:183], v255 offset1:1
	s_waitcnt lgkmcnt(0)
	v_cmp_neq_f64_e32 vcc_lo, 0, v[180:181]
	v_cmp_neq_f64_e64 s3, 0, v[182:183]
	s_delay_alu instid0(VALU_DEP_1) | instskip(NEXT) | instid1(SALU_CYCLE_1)
	s_or_b32 s3, vcc_lo, s3
	s_and_b32 exec_lo, exec_lo, s3
	s_cbranch_execz .LBB49_188
; %bb.183:
	v_cmp_gt_f64_e32 vcc_lo, 0, v[180:181]
	v_cmp_gt_f64_e64 s3, 0, v[182:183]
	v_xor_b32_e32 v100, 0x80000000, v181
	v_xor_b32_e32 v101, 0x80000000, v183
                                        ; implicit-def: $vgpr188_vgpr189
	s_delay_alu instid0(VALU_DEP_2) | instskip(NEXT) | instid1(VALU_DEP_2)
	v_cndmask_b32_e32 v185, v181, v100, vcc_lo
	v_cndmask_b32_e64 v187, v183, v101, s3
	v_cndmask_b32_e32 v184, v180, v180, vcc_lo
	v_cndmask_b32_e64 v186, v182, v182, s3
	s_mov_b32 s3, exec_lo
	s_delay_alu instid0(VALU_DEP_1)
	v_cmpx_ngt_f64_e32 v[184:185], v[186:187]
	s_xor_b32 s3, exec_lo, s3
                                        ; implicit-def: $vgpr184_vgpr185_vgpr186_vgpr187
	s_cbranch_execz .LBB49_185
; %bb.184:
	v_div_scale_f64 v[184:185], null, v[182:183], v[182:183], v[180:181]
	v_div_scale_f64 v[190:191], vcc_lo, v[180:181], v[182:183], v[180:181]
	s_delay_alu instid0(VALU_DEP_2) | instskip(SKIP_2) | instid1(VALU_DEP_1)
	v_rcp_f64_e32 v[186:187], v[184:185]
	s_waitcnt_depctr 0xfff
	v_fma_f64 v[188:189], -v[184:185], v[186:187], 1.0
	v_fma_f64 v[186:187], v[186:187], v[188:189], v[186:187]
	s_delay_alu instid0(VALU_DEP_1) | instskip(NEXT) | instid1(VALU_DEP_1)
	v_fma_f64 v[188:189], -v[184:185], v[186:187], 1.0
	v_fma_f64 v[186:187], v[186:187], v[188:189], v[186:187]
	s_delay_alu instid0(VALU_DEP_1) | instskip(NEXT) | instid1(VALU_DEP_1)
	v_mul_f64 v[188:189], v[190:191], v[186:187]
	v_fma_f64 v[184:185], -v[184:185], v[188:189], v[190:191]
	s_delay_alu instid0(VALU_DEP_1) | instskip(NEXT) | instid1(VALU_DEP_1)
	v_div_fmas_f64 v[184:185], v[184:185], v[186:187], v[188:189]
	v_div_fixup_f64 v[184:185], v[184:185], v[182:183], v[180:181]
	s_delay_alu instid0(VALU_DEP_1) | instskip(NEXT) | instid1(VALU_DEP_1)
	v_fma_f64 v[180:181], v[180:181], v[184:185], v[182:183]
	v_div_scale_f64 v[182:183], null, v[180:181], v[180:181], 1.0
	s_delay_alu instid0(VALU_DEP_1) | instskip(SKIP_2) | instid1(VALU_DEP_1)
	v_rcp_f64_e32 v[186:187], v[182:183]
	s_waitcnt_depctr 0xfff
	v_fma_f64 v[188:189], -v[182:183], v[186:187], 1.0
	v_fma_f64 v[186:187], v[186:187], v[188:189], v[186:187]
	s_delay_alu instid0(VALU_DEP_1) | instskip(NEXT) | instid1(VALU_DEP_1)
	v_fma_f64 v[188:189], -v[182:183], v[186:187], 1.0
	v_fma_f64 v[186:187], v[186:187], v[188:189], v[186:187]
	v_div_scale_f64 v[188:189], vcc_lo, 1.0, v[180:181], 1.0
	s_delay_alu instid0(VALU_DEP_1) | instskip(NEXT) | instid1(VALU_DEP_1)
	v_mul_f64 v[190:191], v[188:189], v[186:187]
	v_fma_f64 v[182:183], -v[182:183], v[190:191], v[188:189]
	s_delay_alu instid0(VALU_DEP_1) | instskip(NEXT) | instid1(VALU_DEP_1)
	v_div_fmas_f64 v[182:183], v[182:183], v[186:187], v[190:191]
	v_div_fixup_f64 v[186:187], v[182:183], v[180:181], 1.0
                                        ; implicit-def: $vgpr180_vgpr181
	s_delay_alu instid0(VALU_DEP_1)
	v_mul_f64 v[188:189], v[184:185], v[186:187]
	v_xor_b32_e32 v187, 0x80000000, v187
.LBB49_185:
	s_and_not1_saveexec_b32 s3, s3
	s_cbranch_execz .LBB49_187
; %bb.186:
	v_div_scale_f64 v[184:185], null, v[180:181], v[180:181], v[182:183]
	v_div_scale_f64 v[190:191], vcc_lo, v[182:183], v[180:181], v[182:183]
	s_delay_alu instid0(VALU_DEP_2) | instskip(SKIP_2) | instid1(VALU_DEP_1)
	v_rcp_f64_e32 v[186:187], v[184:185]
	s_waitcnt_depctr 0xfff
	v_fma_f64 v[188:189], -v[184:185], v[186:187], 1.0
	v_fma_f64 v[186:187], v[186:187], v[188:189], v[186:187]
	s_delay_alu instid0(VALU_DEP_1) | instskip(NEXT) | instid1(VALU_DEP_1)
	v_fma_f64 v[188:189], -v[184:185], v[186:187], 1.0
	v_fma_f64 v[186:187], v[186:187], v[188:189], v[186:187]
	s_delay_alu instid0(VALU_DEP_1) | instskip(NEXT) | instid1(VALU_DEP_1)
	v_mul_f64 v[188:189], v[190:191], v[186:187]
	v_fma_f64 v[184:185], -v[184:185], v[188:189], v[190:191]
	s_delay_alu instid0(VALU_DEP_1) | instskip(NEXT) | instid1(VALU_DEP_1)
	v_div_fmas_f64 v[184:185], v[184:185], v[186:187], v[188:189]
	v_div_fixup_f64 v[184:185], v[184:185], v[180:181], v[182:183]
	s_delay_alu instid0(VALU_DEP_1) | instskip(NEXT) | instid1(VALU_DEP_1)
	v_fma_f64 v[180:181], v[182:183], v[184:185], v[180:181]
	v_div_scale_f64 v[182:183], null, v[180:181], v[180:181], 1.0
	s_delay_alu instid0(VALU_DEP_1) | instskip(SKIP_2) | instid1(VALU_DEP_1)
	v_rcp_f64_e32 v[186:187], v[182:183]
	s_waitcnt_depctr 0xfff
	v_fma_f64 v[188:189], -v[182:183], v[186:187], 1.0
	v_fma_f64 v[186:187], v[186:187], v[188:189], v[186:187]
	s_delay_alu instid0(VALU_DEP_1) | instskip(NEXT) | instid1(VALU_DEP_1)
	v_fma_f64 v[188:189], -v[182:183], v[186:187], 1.0
	v_fma_f64 v[186:187], v[186:187], v[188:189], v[186:187]
	v_div_scale_f64 v[188:189], vcc_lo, 1.0, v[180:181], 1.0
	s_delay_alu instid0(VALU_DEP_1) | instskip(NEXT) | instid1(VALU_DEP_1)
	v_mul_f64 v[190:191], v[188:189], v[186:187]
	v_fma_f64 v[182:183], -v[182:183], v[190:191], v[188:189]
	s_delay_alu instid0(VALU_DEP_1) | instskip(NEXT) | instid1(VALU_DEP_1)
	v_div_fmas_f64 v[182:183], v[182:183], v[186:187], v[190:191]
	v_div_fixup_f64 v[188:189], v[182:183], v[180:181], 1.0
	s_delay_alu instid0(VALU_DEP_1)
	v_mul_f64 v[186:187], v[184:185], -v[188:189]
.LBB49_187:
	s_or_b32 exec_lo, exec_lo, s3
	ds_store_2addr_b64 v255, v[188:189], v[186:187] offset1:1
.LBB49_188:
	s_or_b32 exec_lo, exec_lo, s4
	s_waitcnt lgkmcnt(0)
	s_barrier
	buffer_gl0_inv
	ds_load_2addr_b64 v[180:183], v255 offset1:1
	s_mov_b32 s3, exec_lo
	v_cmpx_lt_u32_e32 20, v254
	s_cbranch_execz .LBB49_190
; %bb.189:
	s_waitcnt lgkmcnt(0)
	v_mul_f64 v[184:185], v[180:181], v[18:19]
	v_mul_f64 v[18:19], v[182:183], v[18:19]
	s_delay_alu instid0(VALU_DEP_2)
	v_fma_f64 v[192:193], v[182:183], v[16:17], v[184:185]
	ds_load_2addr_b64 v[184:187], v202 offset0:42 offset1:43
	ds_load_2addr_b64 v[188:191], v202 offset0:44 offset1:45
	v_fma_f64 v[16:17], v[180:181], v[16:17], -v[18:19]
	s_waitcnt lgkmcnt(1)
	v_mul_f64 v[18:19], v[186:187], v[192:193]
	v_mul_f64 v[194:195], v[184:185], v[192:193]
	s_waitcnt lgkmcnt(0)
	v_mul_f64 v[196:197], v[190:191], v[192:193]
	v_mul_f64 v[198:199], v[188:189], v[192:193]
	s_delay_alu instid0(VALU_DEP_4) | instskip(NEXT) | instid1(VALU_DEP_4)
	v_fma_f64 v[18:19], v[184:185], v[16:17], -v[18:19]
	v_fma_f64 v[194:195], v[186:187], v[16:17], v[194:195]
	ds_load_2addr_b64 v[184:187], v202 offset0:46 offset1:47
	v_fma_f64 v[196:197], v[188:189], v[16:17], -v[196:197]
	v_fma_f64 v[198:199], v[190:191], v[16:17], v[198:199]
	ds_load_2addr_b64 v[188:191], v202 offset0:48 offset1:49
	s_waitcnt lgkmcnt(1)
	v_mul_f64 v[252:253], v[186:187], v[192:193]
	v_add_f64 v[12:13], v[12:13], -v[18:19]
	v_add_f64 v[14:15], v[14:15], -v[194:195]
	v_dual_mov_b32 v18, v192 :: v_dual_mov_b32 v19, v193
	v_add_f64 v[8:9], v[8:9], -v[196:197]
	v_add_f64 v[10:11], v[10:11], -v[198:199]
	v_fma_f64 v[252:253], v[184:185], v[16:17], -v[252:253]
	v_mul_f64 v[184:185], v[184:185], v[192:193]
	s_delay_alu instid0(VALU_DEP_2) | instskip(NEXT) | instid1(VALU_DEP_2)
	v_add_f64 v[4:5], v[4:5], -v[252:253]
	v_fma_f64 v[184:185], v[186:187], v[16:17], v[184:185]
	s_waitcnt lgkmcnt(0)
	v_mul_f64 v[186:187], v[190:191], v[192:193]
	s_delay_alu instid0(VALU_DEP_2) | instskip(NEXT) | instid1(VALU_DEP_2)
	v_add_f64 v[6:7], v[6:7], -v[184:185]
	v_fma_f64 v[186:187], v[188:189], v[16:17], -v[186:187]
	v_mul_f64 v[188:189], v[188:189], v[192:193]
	s_delay_alu instid0(VALU_DEP_2) | instskip(NEXT) | instid1(VALU_DEP_2)
	v_add_f64 v[0:1], v[0:1], -v[186:187]
	v_fma_f64 v[188:189], v[190:191], v[16:17], v[188:189]
	s_delay_alu instid0(VALU_DEP_1)
	v_add_f64 v[2:3], v[2:3], -v[188:189]
.LBB49_190:
	s_or_b32 exec_lo, exec_lo, s3
	s_delay_alu instid0(SALU_CYCLE_1)
	s_mov_b32 s4, exec_lo
	s_waitcnt lgkmcnt(0)
	s_barrier
	buffer_gl0_inv
	v_cmpx_eq_u32_e32 21, v254
	s_cbranch_execz .LBB49_197
; %bb.191:
	ds_store_2addr_b64 v255, v[12:13], v[14:15] offset1:1
	ds_store_2addr_b64 v202, v[8:9], v[10:11] offset0:44 offset1:45
	ds_store_2addr_b64 v202, v[4:5], v[6:7] offset0:46 offset1:47
	;; [unrolled: 1-line block ×3, first 2 shown]
	ds_load_2addr_b64 v[184:187], v255 offset1:1
	s_waitcnt lgkmcnt(0)
	v_cmp_neq_f64_e32 vcc_lo, 0, v[184:185]
	v_cmp_neq_f64_e64 s3, 0, v[186:187]
	s_delay_alu instid0(VALU_DEP_1) | instskip(NEXT) | instid1(SALU_CYCLE_1)
	s_or_b32 s3, vcc_lo, s3
	s_and_b32 exec_lo, exec_lo, s3
	s_cbranch_execz .LBB49_197
; %bb.192:
	v_cmp_gt_f64_e32 vcc_lo, 0, v[184:185]
	v_cmp_gt_f64_e64 s3, 0, v[186:187]
	v_xor_b32_e32 v100, 0x80000000, v185
	v_xor_b32_e32 v101, 0x80000000, v187
                                        ; implicit-def: $vgpr192_vgpr193
	s_delay_alu instid0(VALU_DEP_2) | instskip(NEXT) | instid1(VALU_DEP_2)
	v_cndmask_b32_e32 v189, v185, v100, vcc_lo
	v_cndmask_b32_e64 v191, v187, v101, s3
	v_cndmask_b32_e32 v188, v184, v184, vcc_lo
	v_cndmask_b32_e64 v190, v186, v186, s3
	s_mov_b32 s3, exec_lo
	s_delay_alu instid0(VALU_DEP_1)
	v_cmpx_ngt_f64_e32 v[188:189], v[190:191]
	s_xor_b32 s3, exec_lo, s3
                                        ; implicit-def: $vgpr188_vgpr189_vgpr190_vgpr191
	s_cbranch_execz .LBB49_194
; %bb.193:
	v_div_scale_f64 v[188:189], null, v[186:187], v[186:187], v[184:185]
	v_div_scale_f64 v[194:195], vcc_lo, v[184:185], v[186:187], v[184:185]
	s_delay_alu instid0(VALU_DEP_2) | instskip(SKIP_2) | instid1(VALU_DEP_1)
	v_rcp_f64_e32 v[190:191], v[188:189]
	s_waitcnt_depctr 0xfff
	v_fma_f64 v[192:193], -v[188:189], v[190:191], 1.0
	v_fma_f64 v[190:191], v[190:191], v[192:193], v[190:191]
	s_delay_alu instid0(VALU_DEP_1) | instskip(NEXT) | instid1(VALU_DEP_1)
	v_fma_f64 v[192:193], -v[188:189], v[190:191], 1.0
	v_fma_f64 v[190:191], v[190:191], v[192:193], v[190:191]
	s_delay_alu instid0(VALU_DEP_1) | instskip(NEXT) | instid1(VALU_DEP_1)
	v_mul_f64 v[192:193], v[194:195], v[190:191]
	v_fma_f64 v[188:189], -v[188:189], v[192:193], v[194:195]
	s_delay_alu instid0(VALU_DEP_1) | instskip(NEXT) | instid1(VALU_DEP_1)
	v_div_fmas_f64 v[188:189], v[188:189], v[190:191], v[192:193]
	v_div_fixup_f64 v[188:189], v[188:189], v[186:187], v[184:185]
	s_delay_alu instid0(VALU_DEP_1) | instskip(NEXT) | instid1(VALU_DEP_1)
	v_fma_f64 v[184:185], v[184:185], v[188:189], v[186:187]
	v_div_scale_f64 v[186:187], null, v[184:185], v[184:185], 1.0
	s_delay_alu instid0(VALU_DEP_1) | instskip(SKIP_2) | instid1(VALU_DEP_1)
	v_rcp_f64_e32 v[190:191], v[186:187]
	s_waitcnt_depctr 0xfff
	v_fma_f64 v[192:193], -v[186:187], v[190:191], 1.0
	v_fma_f64 v[190:191], v[190:191], v[192:193], v[190:191]
	s_delay_alu instid0(VALU_DEP_1) | instskip(NEXT) | instid1(VALU_DEP_1)
	v_fma_f64 v[192:193], -v[186:187], v[190:191], 1.0
	v_fma_f64 v[190:191], v[190:191], v[192:193], v[190:191]
	v_div_scale_f64 v[192:193], vcc_lo, 1.0, v[184:185], 1.0
	s_delay_alu instid0(VALU_DEP_1) | instskip(NEXT) | instid1(VALU_DEP_1)
	v_mul_f64 v[194:195], v[192:193], v[190:191]
	v_fma_f64 v[186:187], -v[186:187], v[194:195], v[192:193]
	s_delay_alu instid0(VALU_DEP_1) | instskip(NEXT) | instid1(VALU_DEP_1)
	v_div_fmas_f64 v[186:187], v[186:187], v[190:191], v[194:195]
	v_div_fixup_f64 v[190:191], v[186:187], v[184:185], 1.0
                                        ; implicit-def: $vgpr184_vgpr185
	s_delay_alu instid0(VALU_DEP_1)
	v_mul_f64 v[192:193], v[188:189], v[190:191]
	v_xor_b32_e32 v191, 0x80000000, v191
.LBB49_194:
	s_and_not1_saveexec_b32 s3, s3
	s_cbranch_execz .LBB49_196
; %bb.195:
	v_div_scale_f64 v[188:189], null, v[184:185], v[184:185], v[186:187]
	v_div_scale_f64 v[194:195], vcc_lo, v[186:187], v[184:185], v[186:187]
	s_delay_alu instid0(VALU_DEP_2) | instskip(SKIP_2) | instid1(VALU_DEP_1)
	v_rcp_f64_e32 v[190:191], v[188:189]
	s_waitcnt_depctr 0xfff
	v_fma_f64 v[192:193], -v[188:189], v[190:191], 1.0
	v_fma_f64 v[190:191], v[190:191], v[192:193], v[190:191]
	s_delay_alu instid0(VALU_DEP_1) | instskip(NEXT) | instid1(VALU_DEP_1)
	v_fma_f64 v[192:193], -v[188:189], v[190:191], 1.0
	v_fma_f64 v[190:191], v[190:191], v[192:193], v[190:191]
	s_delay_alu instid0(VALU_DEP_1) | instskip(NEXT) | instid1(VALU_DEP_1)
	v_mul_f64 v[192:193], v[194:195], v[190:191]
	v_fma_f64 v[188:189], -v[188:189], v[192:193], v[194:195]
	s_delay_alu instid0(VALU_DEP_1) | instskip(NEXT) | instid1(VALU_DEP_1)
	v_div_fmas_f64 v[188:189], v[188:189], v[190:191], v[192:193]
	v_div_fixup_f64 v[188:189], v[188:189], v[184:185], v[186:187]
	s_delay_alu instid0(VALU_DEP_1) | instskip(NEXT) | instid1(VALU_DEP_1)
	v_fma_f64 v[184:185], v[186:187], v[188:189], v[184:185]
	v_div_scale_f64 v[186:187], null, v[184:185], v[184:185], 1.0
	s_delay_alu instid0(VALU_DEP_1) | instskip(SKIP_2) | instid1(VALU_DEP_1)
	v_rcp_f64_e32 v[190:191], v[186:187]
	s_waitcnt_depctr 0xfff
	v_fma_f64 v[192:193], -v[186:187], v[190:191], 1.0
	v_fma_f64 v[190:191], v[190:191], v[192:193], v[190:191]
	s_delay_alu instid0(VALU_DEP_1) | instskip(NEXT) | instid1(VALU_DEP_1)
	v_fma_f64 v[192:193], -v[186:187], v[190:191], 1.0
	v_fma_f64 v[190:191], v[190:191], v[192:193], v[190:191]
	v_div_scale_f64 v[192:193], vcc_lo, 1.0, v[184:185], 1.0
	s_delay_alu instid0(VALU_DEP_1) | instskip(NEXT) | instid1(VALU_DEP_1)
	v_mul_f64 v[194:195], v[192:193], v[190:191]
	v_fma_f64 v[186:187], -v[186:187], v[194:195], v[192:193]
	s_delay_alu instid0(VALU_DEP_1) | instskip(NEXT) | instid1(VALU_DEP_1)
	v_div_fmas_f64 v[186:187], v[186:187], v[190:191], v[194:195]
	v_div_fixup_f64 v[192:193], v[186:187], v[184:185], 1.0
	s_delay_alu instid0(VALU_DEP_1)
	v_mul_f64 v[190:191], v[188:189], -v[192:193]
.LBB49_196:
	s_or_b32 exec_lo, exec_lo, s3
	ds_store_2addr_b64 v255, v[192:193], v[190:191] offset1:1
.LBB49_197:
	s_or_b32 exec_lo, exec_lo, s4
	s_waitcnt lgkmcnt(0)
	s_barrier
	buffer_gl0_inv
	ds_load_2addr_b64 v[184:187], v255 offset1:1
	s_mov_b32 s3, exec_lo
	v_cmpx_lt_u32_e32 21, v254
	s_cbranch_execz .LBB49_199
; %bb.198:
	s_waitcnt lgkmcnt(0)
	v_mul_f64 v[188:189], v[184:185], v[14:15]
	v_mul_f64 v[14:15], v[186:187], v[14:15]
	s_delay_alu instid0(VALU_DEP_2)
	v_fma_f64 v[252:253], v[186:187], v[12:13], v[188:189]
	ds_load_2addr_b64 v[188:191], v202 offset0:44 offset1:45
	ds_load_2addr_b64 v[192:195], v202 offset0:46 offset1:47
	v_fma_f64 v[12:13], v[184:185], v[12:13], -v[14:15]
	ds_load_2addr_b64 v[196:199], v202 offset0:48 offset1:49
	s_waitcnt lgkmcnt(2)
	v_mul_f64 v[14:15], v[190:191], v[252:253]
	v_mul_f64 v[100:101], v[188:189], v[252:253]
	s_waitcnt lgkmcnt(1)
	v_mul_f64 v[102:103], v[194:195], v[252:253]
	v_mul_f64 v[104:105], v[192:193], v[252:253]
	s_waitcnt lgkmcnt(0)
	v_mul_f64 v[106:107], v[198:199], v[252:253]
	v_fma_f64 v[14:15], v[188:189], v[12:13], -v[14:15]
	v_mul_f64 v[188:189], v[196:197], v[252:253]
	v_fma_f64 v[100:101], v[190:191], v[12:13], v[100:101]
	v_fma_f64 v[102:103], v[192:193], v[12:13], -v[102:103]
	v_fma_f64 v[104:105], v[194:195], v[12:13], v[104:105]
	v_fma_f64 v[106:107], v[196:197], v[12:13], -v[106:107]
	v_add_f64 v[8:9], v[8:9], -v[14:15]
	v_fma_f64 v[188:189], v[198:199], v[12:13], v[188:189]
	v_add_f64 v[10:11], v[10:11], -v[100:101]
	v_add_f64 v[4:5], v[4:5], -v[102:103]
	;; [unrolled: 1-line block ×4, first 2 shown]
	v_dual_mov_b32 v14, v252 :: v_dual_mov_b32 v15, v253
	v_add_f64 v[2:3], v[2:3], -v[188:189]
.LBB49_199:
	s_or_b32 exec_lo, exec_lo, s3
	s_delay_alu instid0(SALU_CYCLE_1)
	s_mov_b32 s4, exec_lo
	s_waitcnt lgkmcnt(0)
	s_barrier
	buffer_gl0_inv
	v_cmpx_eq_u32_e32 22, v254
	s_cbranch_execz .LBB49_206
; %bb.200:
	ds_store_2addr_b64 v255, v[8:9], v[10:11] offset1:1
	ds_store_2addr_b64 v202, v[4:5], v[6:7] offset0:46 offset1:47
	ds_store_2addr_b64 v202, v[0:1], v[2:3] offset0:48 offset1:49
	ds_load_2addr_b64 v[188:191], v255 offset1:1
	s_waitcnt lgkmcnt(0)
	v_cmp_neq_f64_e32 vcc_lo, 0, v[188:189]
	v_cmp_neq_f64_e64 s3, 0, v[190:191]
	s_delay_alu instid0(VALU_DEP_1) | instskip(NEXT) | instid1(SALU_CYCLE_1)
	s_or_b32 s3, vcc_lo, s3
	s_and_b32 exec_lo, exec_lo, s3
	s_cbranch_execz .LBB49_206
; %bb.201:
	v_cmp_gt_f64_e32 vcc_lo, 0, v[188:189]
	v_cmp_gt_f64_e64 s3, 0, v[190:191]
	v_xor_b32_e32 v100, 0x80000000, v189
	v_xor_b32_e32 v102, 0x80000000, v191
                                        ; implicit-def: $vgpr196_vgpr197
	s_delay_alu instid0(VALU_DEP_2) | instskip(NEXT) | instid1(VALU_DEP_2)
	v_cndmask_b32_e32 v101, v189, v100, vcc_lo
	v_cndmask_b32_e64 v103, v191, v102, s3
	v_cndmask_b32_e32 v100, v188, v188, vcc_lo
	v_cndmask_b32_e64 v102, v190, v190, s3
	s_mov_b32 s3, exec_lo
	s_delay_alu instid0(VALU_DEP_1)
	v_cmpx_ngt_f64_e32 v[100:101], v[102:103]
	s_xor_b32 s3, exec_lo, s3
                                        ; implicit-def: $vgpr192_vgpr193_vgpr194_vgpr195
	s_cbranch_execz .LBB49_203
; %bb.202:
	v_div_scale_f64 v[100:101], null, v[190:191], v[190:191], v[188:189]
	v_div_scale_f64 v[106:107], vcc_lo, v[188:189], v[190:191], v[188:189]
	s_delay_alu instid0(VALU_DEP_2) | instskip(SKIP_2) | instid1(VALU_DEP_1)
	v_rcp_f64_e32 v[102:103], v[100:101]
	s_waitcnt_depctr 0xfff
	v_fma_f64 v[104:105], -v[100:101], v[102:103], 1.0
	v_fma_f64 v[102:103], v[102:103], v[104:105], v[102:103]
	s_delay_alu instid0(VALU_DEP_1) | instskip(NEXT) | instid1(VALU_DEP_1)
	v_fma_f64 v[104:105], -v[100:101], v[102:103], 1.0
	v_fma_f64 v[102:103], v[102:103], v[104:105], v[102:103]
	s_delay_alu instid0(VALU_DEP_1) | instskip(NEXT) | instid1(VALU_DEP_1)
	v_mul_f64 v[104:105], v[106:107], v[102:103]
	v_fma_f64 v[100:101], -v[100:101], v[104:105], v[106:107]
	s_delay_alu instid0(VALU_DEP_1) | instskip(NEXT) | instid1(VALU_DEP_1)
	v_div_fmas_f64 v[100:101], v[100:101], v[102:103], v[104:105]
	v_div_fixup_f64 v[100:101], v[100:101], v[190:191], v[188:189]
	s_delay_alu instid0(VALU_DEP_1) | instskip(NEXT) | instid1(VALU_DEP_1)
	v_fma_f64 v[102:103], v[188:189], v[100:101], v[190:191]
	v_div_scale_f64 v[104:105], null, v[102:103], v[102:103], 1.0
	s_delay_alu instid0(VALU_DEP_1) | instskip(SKIP_2) | instid1(VALU_DEP_1)
	v_rcp_f64_e32 v[106:107], v[104:105]
	s_waitcnt_depctr 0xfff
	v_fma_f64 v[188:189], -v[104:105], v[106:107], 1.0
	v_fma_f64 v[106:107], v[106:107], v[188:189], v[106:107]
	s_delay_alu instid0(VALU_DEP_1) | instskip(NEXT) | instid1(VALU_DEP_1)
	v_fma_f64 v[188:189], -v[104:105], v[106:107], 1.0
	v_fma_f64 v[106:107], v[106:107], v[188:189], v[106:107]
	v_div_scale_f64 v[188:189], vcc_lo, 1.0, v[102:103], 1.0
	s_delay_alu instid0(VALU_DEP_1) | instskip(NEXT) | instid1(VALU_DEP_1)
	v_mul_f64 v[190:191], v[188:189], v[106:107]
	v_fma_f64 v[104:105], -v[104:105], v[190:191], v[188:189]
                                        ; implicit-def: $vgpr188_vgpr189
	s_delay_alu instid0(VALU_DEP_1) | instskip(NEXT) | instid1(VALU_DEP_1)
	v_div_fmas_f64 v[104:105], v[104:105], v[106:107], v[190:191]
	v_div_fixup_f64 v[194:195], v[104:105], v[102:103], 1.0
	s_delay_alu instid0(VALU_DEP_1)
	v_mul_f64 v[196:197], v[100:101], v[194:195]
	v_xor_b32_e32 v195, 0x80000000, v195
.LBB49_203:
	s_and_not1_saveexec_b32 s3, s3
	s_cbranch_execz .LBB49_205
; %bb.204:
	v_div_scale_f64 v[100:101], null, v[188:189], v[188:189], v[190:191]
	v_div_scale_f64 v[106:107], vcc_lo, v[190:191], v[188:189], v[190:191]
	s_delay_alu instid0(VALU_DEP_2) | instskip(SKIP_2) | instid1(VALU_DEP_1)
	v_rcp_f64_e32 v[102:103], v[100:101]
	s_waitcnt_depctr 0xfff
	v_fma_f64 v[104:105], -v[100:101], v[102:103], 1.0
	v_fma_f64 v[102:103], v[102:103], v[104:105], v[102:103]
	s_delay_alu instid0(VALU_DEP_1) | instskip(NEXT) | instid1(VALU_DEP_1)
	v_fma_f64 v[104:105], -v[100:101], v[102:103], 1.0
	v_fma_f64 v[102:103], v[102:103], v[104:105], v[102:103]
	s_delay_alu instid0(VALU_DEP_1) | instskip(NEXT) | instid1(VALU_DEP_1)
	v_mul_f64 v[104:105], v[106:107], v[102:103]
	v_fma_f64 v[100:101], -v[100:101], v[104:105], v[106:107]
	s_delay_alu instid0(VALU_DEP_1) | instskip(NEXT) | instid1(VALU_DEP_1)
	v_div_fmas_f64 v[100:101], v[100:101], v[102:103], v[104:105]
	v_div_fixup_f64 v[100:101], v[100:101], v[188:189], v[190:191]
	s_delay_alu instid0(VALU_DEP_1) | instskip(NEXT) | instid1(VALU_DEP_1)
	v_fma_f64 v[102:103], v[190:191], v[100:101], v[188:189]
	v_div_scale_f64 v[104:105], null, v[102:103], v[102:103], 1.0
	s_delay_alu instid0(VALU_DEP_1) | instskip(SKIP_2) | instid1(VALU_DEP_1)
	v_rcp_f64_e32 v[106:107], v[104:105]
	s_waitcnt_depctr 0xfff
	v_fma_f64 v[188:189], -v[104:105], v[106:107], 1.0
	v_fma_f64 v[106:107], v[106:107], v[188:189], v[106:107]
	s_delay_alu instid0(VALU_DEP_1) | instskip(NEXT) | instid1(VALU_DEP_1)
	v_fma_f64 v[188:189], -v[104:105], v[106:107], 1.0
	v_fma_f64 v[106:107], v[106:107], v[188:189], v[106:107]
	v_div_scale_f64 v[188:189], vcc_lo, 1.0, v[102:103], 1.0
	s_delay_alu instid0(VALU_DEP_1) | instskip(NEXT) | instid1(VALU_DEP_1)
	v_mul_f64 v[190:191], v[188:189], v[106:107]
	v_fma_f64 v[104:105], -v[104:105], v[190:191], v[188:189]
	s_delay_alu instid0(VALU_DEP_1) | instskip(NEXT) | instid1(VALU_DEP_1)
	v_div_fmas_f64 v[104:105], v[104:105], v[106:107], v[190:191]
	v_div_fixup_f64 v[196:197], v[104:105], v[102:103], 1.0
	s_delay_alu instid0(VALU_DEP_1)
	v_mul_f64 v[194:195], v[100:101], -v[196:197]
.LBB49_205:
	s_or_b32 exec_lo, exec_lo, s3
	ds_store_2addr_b64 v255, v[196:197], v[194:195] offset1:1
.LBB49_206:
	s_or_b32 exec_lo, exec_lo, s4
	s_waitcnt lgkmcnt(0)
	s_barrier
	buffer_gl0_inv
	ds_load_2addr_b64 v[188:191], v255 offset1:1
	s_mov_b32 s3, exec_lo
	v_cmpx_lt_u32_e32 22, v254
	s_cbranch_execz .LBB49_208
; %bb.207:
	s_waitcnt lgkmcnt(0)
	v_mul_f64 v[100:101], v[188:189], v[10:11]
	v_mul_f64 v[10:11], v[190:191], v[10:11]
	ds_load_2addr_b64 v[192:195], v202 offset0:46 offset1:47
	ds_load_2addr_b64 v[196:199], v202 offset0:48 offset1:49
	v_fma_f64 v[100:101], v[190:191], v[8:9], v[100:101]
	v_fma_f64 v[8:9], v[188:189], v[8:9], -v[10:11]
	s_waitcnt lgkmcnt(1)
	s_delay_alu instid0(VALU_DEP_2) | instskip(SKIP_4) | instid1(VALU_DEP_4)
	v_mul_f64 v[10:11], v[194:195], v[100:101]
	v_mul_f64 v[102:103], v[192:193], v[100:101]
	s_waitcnt lgkmcnt(0)
	v_mul_f64 v[104:105], v[198:199], v[100:101]
	v_mul_f64 v[106:107], v[196:197], v[100:101]
	v_fma_f64 v[10:11], v[192:193], v[8:9], -v[10:11]
	s_delay_alu instid0(VALU_DEP_4) | instskip(NEXT) | instid1(VALU_DEP_4)
	v_fma_f64 v[102:103], v[194:195], v[8:9], v[102:103]
	v_fma_f64 v[104:105], v[196:197], v[8:9], -v[104:105]
	s_delay_alu instid0(VALU_DEP_4) | instskip(NEXT) | instid1(VALU_DEP_4)
	v_fma_f64 v[106:107], v[198:199], v[8:9], v[106:107]
	v_add_f64 v[4:5], v[4:5], -v[10:11]
	s_delay_alu instid0(VALU_DEP_4) | instskip(NEXT) | instid1(VALU_DEP_4)
	v_add_f64 v[6:7], v[6:7], -v[102:103]
	v_add_f64 v[0:1], v[0:1], -v[104:105]
	s_delay_alu instid0(VALU_DEP_4)
	v_add_f64 v[2:3], v[2:3], -v[106:107]
	v_dual_mov_b32 v10, v100 :: v_dual_mov_b32 v11, v101
.LBB49_208:
	s_or_b32 exec_lo, exec_lo, s3
	s_delay_alu instid0(SALU_CYCLE_1)
	s_mov_b32 s4, exec_lo
	s_waitcnt lgkmcnt(0)
	s_barrier
	buffer_gl0_inv
	v_cmpx_eq_u32_e32 23, v254
	s_cbranch_execz .LBB49_215
; %bb.209:
	ds_store_2addr_b64 v255, v[4:5], v[6:7] offset1:1
	ds_store_2addr_b64 v202, v[0:1], v[2:3] offset0:48 offset1:49
	ds_load_2addr_b64 v[192:195], v255 offset1:1
	s_waitcnt lgkmcnt(0)
	v_cmp_neq_f64_e32 vcc_lo, 0, v[192:193]
	v_cmp_neq_f64_e64 s3, 0, v[194:195]
	s_delay_alu instid0(VALU_DEP_1) | instskip(NEXT) | instid1(SALU_CYCLE_1)
	s_or_b32 s3, vcc_lo, s3
	s_and_b32 exec_lo, exec_lo, s3
	s_cbranch_execz .LBB49_215
; %bb.210:
	v_cmp_gt_f64_e32 vcc_lo, 0, v[192:193]
	v_cmp_gt_f64_e64 s3, 0, v[194:195]
	v_xor_b32_e32 v100, 0x80000000, v193
	v_xor_b32_e32 v102, 0x80000000, v195
                                        ; implicit-def: $vgpr252_vgpr253
	s_delay_alu instid0(VALU_DEP_2) | instskip(NEXT) | instid1(VALU_DEP_2)
	v_cndmask_b32_e32 v101, v193, v100, vcc_lo
	v_cndmask_b32_e64 v103, v195, v102, s3
	v_cndmask_b32_e32 v100, v192, v192, vcc_lo
	v_cndmask_b32_e64 v102, v194, v194, s3
	s_mov_b32 s3, exec_lo
	s_delay_alu instid0(VALU_DEP_1)
	v_cmpx_ngt_f64_e32 v[100:101], v[102:103]
	s_xor_b32 s3, exec_lo, s3
                                        ; implicit-def: $vgpr196_vgpr197_vgpr198_vgpr199
	s_cbranch_execz .LBB49_212
; %bb.211:
	v_div_scale_f64 v[100:101], null, v[194:195], v[194:195], v[192:193]
	v_div_scale_f64 v[106:107], vcc_lo, v[192:193], v[194:195], v[192:193]
	s_delay_alu instid0(VALU_DEP_2) | instskip(SKIP_2) | instid1(VALU_DEP_1)
	v_rcp_f64_e32 v[102:103], v[100:101]
	s_waitcnt_depctr 0xfff
	v_fma_f64 v[104:105], -v[100:101], v[102:103], 1.0
	v_fma_f64 v[102:103], v[102:103], v[104:105], v[102:103]
	s_delay_alu instid0(VALU_DEP_1) | instskip(NEXT) | instid1(VALU_DEP_1)
	v_fma_f64 v[104:105], -v[100:101], v[102:103], 1.0
	v_fma_f64 v[102:103], v[102:103], v[104:105], v[102:103]
	s_delay_alu instid0(VALU_DEP_1) | instskip(NEXT) | instid1(VALU_DEP_1)
	v_mul_f64 v[104:105], v[106:107], v[102:103]
	v_fma_f64 v[100:101], -v[100:101], v[104:105], v[106:107]
	s_delay_alu instid0(VALU_DEP_1) | instskip(NEXT) | instid1(VALU_DEP_1)
	v_div_fmas_f64 v[100:101], v[100:101], v[102:103], v[104:105]
	v_div_fixup_f64 v[100:101], v[100:101], v[194:195], v[192:193]
	s_delay_alu instid0(VALU_DEP_1) | instskip(NEXT) | instid1(VALU_DEP_1)
	v_fma_f64 v[102:103], v[192:193], v[100:101], v[194:195]
	v_div_scale_f64 v[104:105], null, v[102:103], v[102:103], 1.0
	s_delay_alu instid0(VALU_DEP_1) | instskip(SKIP_2) | instid1(VALU_DEP_1)
	v_rcp_f64_e32 v[106:107], v[104:105]
	s_waitcnt_depctr 0xfff
	v_fma_f64 v[192:193], -v[104:105], v[106:107], 1.0
	v_fma_f64 v[106:107], v[106:107], v[192:193], v[106:107]
	s_delay_alu instid0(VALU_DEP_1) | instskip(NEXT) | instid1(VALU_DEP_1)
	v_fma_f64 v[192:193], -v[104:105], v[106:107], 1.0
	v_fma_f64 v[106:107], v[106:107], v[192:193], v[106:107]
	v_div_scale_f64 v[192:193], vcc_lo, 1.0, v[102:103], 1.0
	s_delay_alu instid0(VALU_DEP_1) | instskip(NEXT) | instid1(VALU_DEP_1)
	v_mul_f64 v[194:195], v[192:193], v[106:107]
	v_fma_f64 v[104:105], -v[104:105], v[194:195], v[192:193]
                                        ; implicit-def: $vgpr192_vgpr193
	s_delay_alu instid0(VALU_DEP_1) | instskip(NEXT) | instid1(VALU_DEP_1)
	v_div_fmas_f64 v[104:105], v[104:105], v[106:107], v[194:195]
	v_div_fixup_f64 v[198:199], v[104:105], v[102:103], 1.0
	s_delay_alu instid0(VALU_DEP_1)
	v_mul_f64 v[252:253], v[100:101], v[198:199]
	v_xor_b32_e32 v199, 0x80000000, v199
.LBB49_212:
	s_and_not1_saveexec_b32 s3, s3
	s_cbranch_execz .LBB49_214
; %bb.213:
	v_div_scale_f64 v[100:101], null, v[192:193], v[192:193], v[194:195]
	v_div_scale_f64 v[106:107], vcc_lo, v[194:195], v[192:193], v[194:195]
	s_delay_alu instid0(VALU_DEP_2) | instskip(SKIP_2) | instid1(VALU_DEP_1)
	v_rcp_f64_e32 v[102:103], v[100:101]
	s_waitcnt_depctr 0xfff
	v_fma_f64 v[104:105], -v[100:101], v[102:103], 1.0
	v_fma_f64 v[102:103], v[102:103], v[104:105], v[102:103]
	s_delay_alu instid0(VALU_DEP_1) | instskip(NEXT) | instid1(VALU_DEP_1)
	v_fma_f64 v[104:105], -v[100:101], v[102:103], 1.0
	v_fma_f64 v[102:103], v[102:103], v[104:105], v[102:103]
	s_delay_alu instid0(VALU_DEP_1) | instskip(NEXT) | instid1(VALU_DEP_1)
	v_mul_f64 v[104:105], v[106:107], v[102:103]
	v_fma_f64 v[100:101], -v[100:101], v[104:105], v[106:107]
	s_delay_alu instid0(VALU_DEP_1) | instskip(NEXT) | instid1(VALU_DEP_1)
	v_div_fmas_f64 v[100:101], v[100:101], v[102:103], v[104:105]
	v_div_fixup_f64 v[100:101], v[100:101], v[192:193], v[194:195]
	s_delay_alu instid0(VALU_DEP_1) | instskip(NEXT) | instid1(VALU_DEP_1)
	v_fma_f64 v[102:103], v[194:195], v[100:101], v[192:193]
	v_div_scale_f64 v[104:105], null, v[102:103], v[102:103], 1.0
	s_delay_alu instid0(VALU_DEP_1) | instskip(SKIP_2) | instid1(VALU_DEP_1)
	v_rcp_f64_e32 v[106:107], v[104:105]
	s_waitcnt_depctr 0xfff
	v_fma_f64 v[192:193], -v[104:105], v[106:107], 1.0
	v_fma_f64 v[106:107], v[106:107], v[192:193], v[106:107]
	s_delay_alu instid0(VALU_DEP_1) | instskip(NEXT) | instid1(VALU_DEP_1)
	v_fma_f64 v[192:193], -v[104:105], v[106:107], 1.0
	v_fma_f64 v[106:107], v[106:107], v[192:193], v[106:107]
	v_div_scale_f64 v[192:193], vcc_lo, 1.0, v[102:103], 1.0
	s_delay_alu instid0(VALU_DEP_1) | instskip(NEXT) | instid1(VALU_DEP_1)
	v_mul_f64 v[194:195], v[192:193], v[106:107]
	v_fma_f64 v[104:105], -v[104:105], v[194:195], v[192:193]
	s_delay_alu instid0(VALU_DEP_1) | instskip(NEXT) | instid1(VALU_DEP_1)
	v_div_fmas_f64 v[104:105], v[104:105], v[106:107], v[194:195]
	v_div_fixup_f64 v[252:253], v[104:105], v[102:103], 1.0
	s_delay_alu instid0(VALU_DEP_1)
	v_mul_f64 v[198:199], v[100:101], -v[252:253]
.LBB49_214:
	s_or_b32 exec_lo, exec_lo, s3
	ds_store_2addr_b64 v255, v[252:253], v[198:199] offset1:1
.LBB49_215:
	s_or_b32 exec_lo, exec_lo, s4
	s_waitcnt lgkmcnt(0)
	s_barrier
	buffer_gl0_inv
	ds_load_2addr_b64 v[192:195], v255 offset1:1
	s_mov_b32 s3, exec_lo
	v_cmpx_lt_u32_e32 23, v254
	s_cbranch_execz .LBB49_217
; %bb.216:
	s_waitcnt lgkmcnt(0)
	v_mul_f64 v[100:101], v[192:193], v[6:7]
	v_mul_f64 v[6:7], v[194:195], v[6:7]
	ds_load_2addr_b64 v[196:199], v202 offset0:48 offset1:49
	v_fma_f64 v[100:101], v[194:195], v[4:5], v[100:101]
	v_fma_f64 v[4:5], v[192:193], v[4:5], -v[6:7]
	s_waitcnt lgkmcnt(0)
	s_delay_alu instid0(VALU_DEP_2) | instskip(SKIP_1) | instid1(VALU_DEP_2)
	v_mul_f64 v[6:7], v[198:199], v[100:101]
	v_mul_f64 v[102:103], v[196:197], v[100:101]
	v_fma_f64 v[6:7], v[196:197], v[4:5], -v[6:7]
	s_delay_alu instid0(VALU_DEP_2) | instskip(NEXT) | instid1(VALU_DEP_2)
	v_fma_f64 v[102:103], v[198:199], v[4:5], v[102:103]
	v_add_f64 v[0:1], v[0:1], -v[6:7]
	s_delay_alu instid0(VALU_DEP_2)
	v_add_f64 v[2:3], v[2:3], -v[102:103]
	v_dual_mov_b32 v6, v100 :: v_dual_mov_b32 v7, v101
.LBB49_217:
	s_or_b32 exec_lo, exec_lo, s3
	s_delay_alu instid0(SALU_CYCLE_1)
	s_mov_b32 s4, exec_lo
	s_waitcnt lgkmcnt(0)
	s_barrier
	buffer_gl0_inv
	v_cmpx_eq_u32_e32 24, v254
	s_cbranch_execz .LBB49_224
; %bb.218:
	v_cmp_neq_f64_e32 vcc_lo, 0, v[0:1]
	v_cmp_neq_f64_e64 s3, 0, v[2:3]
	ds_store_2addr_b64 v255, v[0:1], v[2:3] offset1:1
	s_or_b32 s3, vcc_lo, s3
	s_delay_alu instid0(SALU_CYCLE_1)
	s_and_b32 exec_lo, exec_lo, s3
	s_cbranch_execz .LBB49_224
; %bb.219:
	v_cmp_gt_f64_e32 vcc_lo, 0, v[0:1]
	v_cmp_gt_f64_e64 s3, 0, v[2:3]
	v_xor_b32_e32 v100, 0x80000000, v1
	v_xor_b32_e32 v102, 0x80000000, v3
                                        ; implicit-def: $vgpr252_vgpr253
	s_delay_alu instid0(VALU_DEP_2) | instskip(NEXT) | instid1(VALU_DEP_2)
	v_cndmask_b32_e32 v101, v1, v100, vcc_lo
	v_cndmask_b32_e64 v103, v3, v102, s3
	v_cndmask_b32_e32 v100, v0, v0, vcc_lo
	v_cndmask_b32_e64 v102, v2, v2, s3
	s_mov_b32 s3, exec_lo
	s_delay_alu instid0(VALU_DEP_1)
	v_cmpx_ngt_f64_e32 v[100:101], v[102:103]
	s_xor_b32 s3, exec_lo, s3
                                        ; implicit-def: $vgpr196_vgpr197_vgpr198_vgpr199
	s_cbranch_execz .LBB49_221
; %bb.220:
	v_div_scale_f64 v[100:101], null, v[2:3], v[2:3], v[0:1]
	v_div_scale_f64 v[106:107], vcc_lo, v[0:1], v[2:3], v[0:1]
	s_delay_alu instid0(VALU_DEP_2) | instskip(SKIP_2) | instid1(VALU_DEP_1)
	v_rcp_f64_e32 v[102:103], v[100:101]
	s_waitcnt_depctr 0xfff
	v_fma_f64 v[104:105], -v[100:101], v[102:103], 1.0
	v_fma_f64 v[102:103], v[102:103], v[104:105], v[102:103]
	s_delay_alu instid0(VALU_DEP_1) | instskip(NEXT) | instid1(VALU_DEP_1)
	v_fma_f64 v[104:105], -v[100:101], v[102:103], 1.0
	v_fma_f64 v[102:103], v[102:103], v[104:105], v[102:103]
	s_delay_alu instid0(VALU_DEP_1) | instskip(NEXT) | instid1(VALU_DEP_1)
	v_mul_f64 v[104:105], v[106:107], v[102:103]
	v_fma_f64 v[100:101], -v[100:101], v[104:105], v[106:107]
	s_delay_alu instid0(VALU_DEP_1) | instskip(NEXT) | instid1(VALU_DEP_1)
	v_div_fmas_f64 v[100:101], v[100:101], v[102:103], v[104:105]
	v_div_fixup_f64 v[100:101], v[100:101], v[2:3], v[0:1]
	s_delay_alu instid0(VALU_DEP_1) | instskip(NEXT) | instid1(VALU_DEP_1)
	v_fma_f64 v[102:103], v[0:1], v[100:101], v[2:3]
	v_div_scale_f64 v[104:105], null, v[102:103], v[102:103], 1.0
	s_delay_alu instid0(VALU_DEP_1) | instskip(SKIP_2) | instid1(VALU_DEP_1)
	v_rcp_f64_e32 v[106:107], v[104:105]
	s_waitcnt_depctr 0xfff
	v_fma_f64 v[196:197], -v[104:105], v[106:107], 1.0
	v_fma_f64 v[106:107], v[106:107], v[196:197], v[106:107]
	s_delay_alu instid0(VALU_DEP_1) | instskip(NEXT) | instid1(VALU_DEP_1)
	v_fma_f64 v[196:197], -v[104:105], v[106:107], 1.0
	v_fma_f64 v[106:107], v[106:107], v[196:197], v[106:107]
	v_div_scale_f64 v[196:197], vcc_lo, 1.0, v[102:103], 1.0
	s_delay_alu instid0(VALU_DEP_1) | instskip(NEXT) | instid1(VALU_DEP_1)
	v_mul_f64 v[198:199], v[196:197], v[106:107]
	v_fma_f64 v[104:105], -v[104:105], v[198:199], v[196:197]
	s_delay_alu instid0(VALU_DEP_1) | instskip(NEXT) | instid1(VALU_DEP_1)
	v_div_fmas_f64 v[104:105], v[104:105], v[106:107], v[198:199]
	v_div_fixup_f64 v[198:199], v[104:105], v[102:103], 1.0
	s_delay_alu instid0(VALU_DEP_1)
	v_mul_f64 v[252:253], v[100:101], v[198:199]
	v_xor_b32_e32 v199, 0x80000000, v199
.LBB49_221:
	s_and_not1_saveexec_b32 s3, s3
	s_cbranch_execz .LBB49_223
; %bb.222:
	v_div_scale_f64 v[100:101], null, v[0:1], v[0:1], v[2:3]
	v_div_scale_f64 v[106:107], vcc_lo, v[2:3], v[0:1], v[2:3]
	s_delay_alu instid0(VALU_DEP_2) | instskip(SKIP_2) | instid1(VALU_DEP_1)
	v_rcp_f64_e32 v[102:103], v[100:101]
	s_waitcnt_depctr 0xfff
	v_fma_f64 v[104:105], -v[100:101], v[102:103], 1.0
	v_fma_f64 v[102:103], v[102:103], v[104:105], v[102:103]
	s_delay_alu instid0(VALU_DEP_1) | instskip(NEXT) | instid1(VALU_DEP_1)
	v_fma_f64 v[104:105], -v[100:101], v[102:103], 1.0
	v_fma_f64 v[102:103], v[102:103], v[104:105], v[102:103]
	s_delay_alu instid0(VALU_DEP_1) | instskip(NEXT) | instid1(VALU_DEP_1)
	v_mul_f64 v[104:105], v[106:107], v[102:103]
	v_fma_f64 v[100:101], -v[100:101], v[104:105], v[106:107]
	s_delay_alu instid0(VALU_DEP_1) | instskip(NEXT) | instid1(VALU_DEP_1)
	v_div_fmas_f64 v[100:101], v[100:101], v[102:103], v[104:105]
	v_div_fixup_f64 v[100:101], v[100:101], v[0:1], v[2:3]
	s_delay_alu instid0(VALU_DEP_1) | instskip(NEXT) | instid1(VALU_DEP_1)
	v_fma_f64 v[102:103], v[2:3], v[100:101], v[0:1]
	v_div_scale_f64 v[104:105], null, v[102:103], v[102:103], 1.0
	s_delay_alu instid0(VALU_DEP_1) | instskip(SKIP_2) | instid1(VALU_DEP_1)
	v_rcp_f64_e32 v[106:107], v[104:105]
	s_waitcnt_depctr 0xfff
	v_fma_f64 v[196:197], -v[104:105], v[106:107], 1.0
	v_fma_f64 v[106:107], v[106:107], v[196:197], v[106:107]
	s_delay_alu instid0(VALU_DEP_1) | instskip(NEXT) | instid1(VALU_DEP_1)
	v_fma_f64 v[196:197], -v[104:105], v[106:107], 1.0
	v_fma_f64 v[106:107], v[106:107], v[196:197], v[106:107]
	v_div_scale_f64 v[196:197], vcc_lo, 1.0, v[102:103], 1.0
	s_delay_alu instid0(VALU_DEP_1) | instskip(NEXT) | instid1(VALU_DEP_1)
	v_mul_f64 v[198:199], v[196:197], v[106:107]
	v_fma_f64 v[104:105], -v[104:105], v[198:199], v[196:197]
	s_delay_alu instid0(VALU_DEP_1) | instskip(NEXT) | instid1(VALU_DEP_1)
	v_div_fmas_f64 v[104:105], v[104:105], v[106:107], v[198:199]
	v_div_fixup_f64 v[252:253], v[104:105], v[102:103], 1.0
	s_delay_alu instid0(VALU_DEP_1)
	v_mul_f64 v[198:199], v[100:101], -v[252:253]
.LBB49_223:
	s_or_b32 exec_lo, exec_lo, s3
	ds_store_2addr_b64 v255, v[252:253], v[198:199] offset1:1
.LBB49_224:
	s_or_b32 exec_lo, exec_lo, s4
	s_waitcnt lgkmcnt(0)
	s_barrier
	buffer_gl0_inv
	ds_load_2addr_b64 v[196:199], v255 offset1:1
	s_mov_b32 s3, exec_lo
	v_cmpx_lt_u32_e32 24, v254
	s_cbranch_execz .LBB49_226
; %bb.225:
	s_waitcnt lgkmcnt(0)
	v_mul_f64 v[100:101], v[198:199], v[2:3]
	v_mul_f64 v[2:3], v[196:197], v[2:3]
	s_delay_alu instid0(VALU_DEP_2) | instskip(NEXT) | instid1(VALU_DEP_2)
	v_fma_f64 v[100:101], v[196:197], v[0:1], -v[100:101]
	v_fma_f64 v[2:3], v[198:199], v[0:1], v[2:3]
	s_delay_alu instid0(VALU_DEP_2)
	v_dual_mov_b32 v0, v100 :: v_dual_mov_b32 v1, v101
.LBB49_226:
	s_or_b32 exec_lo, exec_lo, s3
	s_waitcnt lgkmcnt(0)
	s_barrier
	buffer_gl0_inv
	s_and_saveexec_b32 s10, s2
	s_cbranch_execz .LBB49_229
; %bb.227:
	s_load_b64 s[0:1], s[0:1], 0x28
	v_lshlrev_b64 v[100:101], 2, v[200:201]
	v_cmp_eq_f64_e64 s3, 0, v[108:109]
	v_cmp_eq_f64_e64 s4, 0, v[110:111]
	;; [unrolled: 1-line block ×6, first 2 shown]
	s_waitcnt lgkmcnt(0)
	v_add_co_u32 v200, vcc_lo, s0, v100
	v_add_co_ci_u32_e32 v201, vcc_lo, s1, v101, vcc_lo
	global_load_b32 v101, v[200:201], off
	scratch_load_b128 v[102:105], off, off offset:8 ; 16-byte Folded Reload
	s_waitcnt vmcnt(0)
	v_cmp_eq_f64_e32 vcc_lo, 0, v[102:103]
	v_cmp_eq_f64_e64 s0, 0, v[104:105]
	scratch_load_b128 v[102:105], off, off offset:24 ; 16-byte Folded Reload
	s_and_b32 s0, vcc_lo, s0
	s_delay_alu instid0(SALU_CYCLE_1) | instskip(SKIP_3) | instid1(VALU_DEP_1)
	v_cndmask_b32_e64 v100, 0, 1, s0
	s_waitcnt vmcnt(0)
	v_cmp_neq_f64_e64 s1, 0, v[102:103]
	v_cmp_neq_f64_e64 s2, 0, v[104:105]
	s_or_b32 s1, s1, s2
	s_and_b32 s2, s3, s4
	s_or_b32 vcc_lo, s1, s0
	v_cmp_eq_f64_e64 s0, 0, v[122:123]
	v_cndmask_b32_e32 v100, 2, v100, vcc_lo
	v_cmp_eq_f64_e32 vcc_lo, 0, v[120:121]
	s_and_b32 s4, s5, s6
	s_and_b32 s6, s7, s8
	s_delay_alu instid0(VALU_DEP_2) | instskip(NEXT) | instid1(VALU_DEP_1)
	v_cmp_eq_u32_e64 s1, 0, v100
	s_and_b32 s1, s2, s1
	v_cmp_eq_f64_e64 s2, 0, v[126:127]
	v_cndmask_b32_e64 v100, v100, 3, s1
	v_cmp_eq_f64_e64 s1, 0, v[124:125]
	s_delay_alu instid0(VALU_DEP_2) | instskip(NEXT) | instid1(VALU_DEP_1)
	v_cmp_eq_u32_e64 s3, 0, v100
	s_and_b32 s3, s4, s3
	v_cmp_eq_f64_e64 s4, 0, v[130:131]
	v_cndmask_b32_e64 v100, v100, 4, s3
	v_cmp_eq_f64_e64 s3, 0, v[128:129]
	;; [unrolled: 6-line block ×3, first 2 shown]
	s_and_b32 s0, vcc_lo, s0
	v_cmp_eq_f64_e32 vcc_lo, 0, v[136:137]
	s_delay_alu instid0(VALU_DEP_3) | instskip(NEXT) | instid1(VALU_DEP_1)
	v_cmp_eq_u32_e64 s7, 0, v100
	s_and_b32 s0, s0, s7
	s_delay_alu instid0(SALU_CYCLE_1) | instskip(SKIP_3) | instid1(VALU_DEP_3)
	v_cndmask_b32_e64 v100, v100, 6, s0
	v_cmp_eq_f64_e64 s0, 0, v[138:139]
	s_and_b32 s1, s1, s2
	v_cmp_eq_f64_e64 s2, 0, v[142:143]
	v_cmp_eq_u32_e64 s7, 0, v100
	s_delay_alu instid0(VALU_DEP_1) | instskip(NEXT) | instid1(SALU_CYCLE_1)
	s_and_b32 s1, s1, s7
	v_cndmask_b32_e64 v100, v100, 7, s1
	v_cmp_eq_f64_e64 s1, 0, v[140:141]
	s_and_b32 s3, s3, s4
	v_cmp_eq_f64_e64 s4, 0, v[146:147]
	s_delay_alu instid0(VALU_DEP_3) | instskip(NEXT) | instid1(VALU_DEP_1)
	v_cmp_eq_u32_e64 s7, 0, v100
	s_and_b32 s3, s3, s7
	s_delay_alu instid0(SALU_CYCLE_1) | instskip(SKIP_3) | instid1(VALU_DEP_3)
	v_cndmask_b32_e64 v100, v100, 8, s3
	v_cmp_eq_f64_e64 s3, 0, v[144:145]
	s_and_b32 s5, s5, s6
	v_cmp_eq_f64_e64 s6, 0, v[150:151]
	v_cmp_eq_u32_e64 s7, 0, v100
	s_delay_alu instid0(VALU_DEP_1) | instskip(NEXT) | instid1(SALU_CYCLE_1)
	s_and_b32 s5, s5, s7
	v_cndmask_b32_e64 v100, v100, 9, s5
	v_cmp_eq_f64_e64 s5, 0, v[148:149]
	s_and_b32 s0, vcc_lo, s0
	v_cmp_eq_f64_e32 vcc_lo, 0, v[152:153]
	s_delay_alu instid0(VALU_DEP_3) | instskip(NEXT) | instid1(VALU_DEP_1)
	v_cmp_eq_u32_e64 s7, 0, v100
	s_and_b32 s0, s0, s7
	s_delay_alu instid0(SALU_CYCLE_1) | instskip(SKIP_3) | instid1(VALU_DEP_3)
	v_cndmask_b32_e64 v100, v100, 10, s0
	v_cmp_eq_f64_e64 s0, 0, v[154:155]
	s_and_b32 s1, s1, s2
	v_cmp_eq_f64_e64 s2, 0, v[158:159]
	v_cmp_eq_u32_e64 s7, 0, v100
	s_delay_alu instid0(VALU_DEP_1) | instskip(NEXT) | instid1(SALU_CYCLE_1)
	s_and_b32 s1, s1, s7
	v_cndmask_b32_e64 v100, v100, 11, s1
	v_cmp_eq_f64_e64 s1, 0, v[156:157]
	s_and_b32 s3, s3, s4
	v_cmp_eq_f64_e64 s4, 0, v[162:163]
	s_delay_alu instid0(VALU_DEP_3) | instskip(NEXT) | instid1(VALU_DEP_1)
	v_cmp_eq_u32_e64 s7, 0, v100
	s_and_b32 s3, s3, s7
	s_delay_alu instid0(SALU_CYCLE_1) | instskip(SKIP_3) | instid1(VALU_DEP_3)
	v_cndmask_b32_e64 v100, v100, 12, s3
	v_cmp_eq_f64_e64 s3, 0, v[160:161]
	s_and_b32 s5, s5, s6
	v_cmp_eq_f64_e64 s6, 0, v[166:167]
	v_cmp_eq_u32_e64 s7, 0, v100
	s_delay_alu instid0(VALU_DEP_1) | instskip(NEXT) | instid1(SALU_CYCLE_1)
	s_and_b32 s5, s5, s7
	v_cndmask_b32_e64 v100, v100, 13, s5
	v_cmp_eq_f64_e64 s5, 0, v[164:165]
	;; [unrolled: 30-line block ×4, first 2 shown]
	s_and_b32 s0, vcc_lo, s0
	s_delay_alu instid0(VALU_DEP_2) | instskip(NEXT) | instid1(VALU_DEP_1)
	v_cmp_eq_u32_e64 s7, 0, v100
	s_and_b32 s0, s0, s7
	s_delay_alu instid0(SALU_CYCLE_1) | instskip(SKIP_1) | instid1(VALU_DEP_1)
	v_cndmask_b32_e64 v100, v100, 22, s0
	s_and_b32 s0, s1, s2
	v_cmp_eq_u32_e32 vcc_lo, 0, v100
	s_and_b32 s0, s0, vcc_lo
	s_delay_alu instid0(SALU_CYCLE_1) | instskip(SKIP_1) | instid1(VALU_DEP_1)
	v_cndmask_b32_e64 v100, v100, 23, s0
	s_and_b32 s0, s3, s4
	v_cmp_eq_u32_e32 vcc_lo, 0, v100
	s_and_b32 s0, s0, vcc_lo
	;; [unrolled: 5-line block ×3, first 2 shown]
	v_cmp_eq_u32_e32 vcc_lo, 0, v101
	v_cndmask_b32_e64 v100, v100, 25, s0
	s_delay_alu instid0(VALU_DEP_1) | instskip(NEXT) | instid1(VALU_DEP_1)
	v_cmp_ne_u32_e64 s0, 0, v100
	s_and_b32 s0, vcc_lo, s0
	s_delay_alu instid0(SALU_CYCLE_1)
	s_and_b32 exec_lo, exec_lo, s0
	s_cbranch_execz .LBB49_229
; %bb.228:
	v_add_nc_u32_e32 v100, s9, v100
	global_store_b32 v[200:201], v100, off
.LBB49_229:
	s_or_b32 exec_lo, exec_lo, s10
	s_clause 0x17
	global_store_b128 v[248:249], v[96:99], off
	global_store_b128 v[250:251], v[92:95], off
	;; [unrolled: 1-line block ×24, first 2 shown]
	scratch_load_b64 v[4:5], off, off       ; 8-byte Folded Reload
	s_waitcnt vmcnt(0)
	global_store_b128 v[4:5], v[0:3], off
.LBB49_230:
	s_nop 0
	s_sendmsg sendmsg(MSG_DEALLOC_VGPRS)
	s_endpgm
	.section	.rodata,"a",@progbits
	.p2align	6, 0x0
	.amdhsa_kernel _ZN9rocsolver6v33100L23getf2_npvt_small_kernelILi25E19rocblas_complex_numIdEiiPKPS3_EEvT1_T3_lS7_lPT2_S7_S7_
		.amdhsa_group_segment_fixed_size 0
		.amdhsa_private_segment_fixed_size 44
		.amdhsa_kernarg_size 312
		.amdhsa_user_sgpr_count 14
		.amdhsa_user_sgpr_dispatch_ptr 0
		.amdhsa_user_sgpr_queue_ptr 0
		.amdhsa_user_sgpr_kernarg_segment_ptr 1
		.amdhsa_user_sgpr_dispatch_id 0
		.amdhsa_user_sgpr_private_segment_size 0
		.amdhsa_wavefront_size32 1
		.amdhsa_uses_dynamic_stack 0
		.amdhsa_enable_private_segment 1
		.amdhsa_system_sgpr_workgroup_id_x 1
		.amdhsa_system_sgpr_workgroup_id_y 1
		.amdhsa_system_sgpr_workgroup_id_z 0
		.amdhsa_system_sgpr_workgroup_info 0
		.amdhsa_system_vgpr_workitem_id 1
		.amdhsa_next_free_vgpr 256
		.amdhsa_next_free_sgpr 16
		.amdhsa_reserve_vcc 1
		.amdhsa_float_round_mode_32 0
		.amdhsa_float_round_mode_16_64 0
		.amdhsa_float_denorm_mode_32 3
		.amdhsa_float_denorm_mode_16_64 3
		.amdhsa_dx10_clamp 1
		.amdhsa_ieee_mode 1
		.amdhsa_fp16_overflow 0
		.amdhsa_workgroup_processor_mode 1
		.amdhsa_memory_ordered 1
		.amdhsa_forward_progress 0
		.amdhsa_shared_vgpr_count 0
		.amdhsa_exception_fp_ieee_invalid_op 0
		.amdhsa_exception_fp_denorm_src 0
		.amdhsa_exception_fp_ieee_div_zero 0
		.amdhsa_exception_fp_ieee_overflow 0
		.amdhsa_exception_fp_ieee_underflow 0
		.amdhsa_exception_fp_ieee_inexact 0
		.amdhsa_exception_int_div_zero 0
	.end_amdhsa_kernel
	.section	.text._ZN9rocsolver6v33100L23getf2_npvt_small_kernelILi25E19rocblas_complex_numIdEiiPKPS3_EEvT1_T3_lS7_lPT2_S7_S7_,"axG",@progbits,_ZN9rocsolver6v33100L23getf2_npvt_small_kernelILi25E19rocblas_complex_numIdEiiPKPS3_EEvT1_T3_lS7_lPT2_S7_S7_,comdat
.Lfunc_end49:
	.size	_ZN9rocsolver6v33100L23getf2_npvt_small_kernelILi25E19rocblas_complex_numIdEiiPKPS3_EEvT1_T3_lS7_lPT2_S7_S7_, .Lfunc_end49-_ZN9rocsolver6v33100L23getf2_npvt_small_kernelILi25E19rocblas_complex_numIdEiiPKPS3_EEvT1_T3_lS7_lPT2_S7_S7_
                                        ; -- End function
	.section	.AMDGPU.csdata,"",@progbits
; Kernel info:
; codeLenInByte = 43860
; NumSgprs: 18
; NumVgprs: 256
; ScratchSize: 44
; MemoryBound: 1
; FloatMode: 240
; IeeeMode: 1
; LDSByteSize: 0 bytes/workgroup (compile time only)
; SGPRBlocks: 2
; VGPRBlocks: 31
; NumSGPRsForWavesPerEU: 18
; NumVGPRsForWavesPerEU: 256
; Occupancy: 5
; WaveLimiterHint : 1
; COMPUTE_PGM_RSRC2:SCRATCH_EN: 1
; COMPUTE_PGM_RSRC2:USER_SGPR: 14
; COMPUTE_PGM_RSRC2:TRAP_HANDLER: 0
; COMPUTE_PGM_RSRC2:TGID_X_EN: 1
; COMPUTE_PGM_RSRC2:TGID_Y_EN: 1
; COMPUTE_PGM_RSRC2:TGID_Z_EN: 0
; COMPUTE_PGM_RSRC2:TIDIG_COMP_CNT: 1
	.section	.text._ZN9rocsolver6v33100L18getf2_small_kernelILi26E19rocblas_complex_numIdEiiPKPS3_EEvT1_T3_lS7_lPS7_llPT2_S7_S7_S9_l,"axG",@progbits,_ZN9rocsolver6v33100L18getf2_small_kernelILi26E19rocblas_complex_numIdEiiPKPS3_EEvT1_T3_lS7_lPS7_llPT2_S7_S7_S9_l,comdat
	.globl	_ZN9rocsolver6v33100L18getf2_small_kernelILi26E19rocblas_complex_numIdEiiPKPS3_EEvT1_T3_lS7_lPS7_llPT2_S7_S7_S9_l ; -- Begin function _ZN9rocsolver6v33100L18getf2_small_kernelILi26E19rocblas_complex_numIdEiiPKPS3_EEvT1_T3_lS7_lPS7_llPT2_S7_S7_S9_l
	.p2align	8
	.type	_ZN9rocsolver6v33100L18getf2_small_kernelILi26E19rocblas_complex_numIdEiiPKPS3_EEvT1_T3_lS7_lPS7_llPT2_S7_S7_S9_l,@function
_ZN9rocsolver6v33100L18getf2_small_kernelILi26E19rocblas_complex_numIdEiiPKPS3_EEvT1_T3_lS7_lPS7_llPT2_S7_S7_S9_l: ; @_ZN9rocsolver6v33100L18getf2_small_kernelILi26E19rocblas_complex_numIdEiiPKPS3_EEvT1_T3_lS7_lPS7_llPT2_S7_S7_S9_l
; %bb.0:
	s_clause 0x1
	s_load_b32 s2, s[0:1], 0x6c
	s_load_b64 s[12:13], s[0:1], 0x48
	v_bfe_u32 v104, v0, 10, 10
	s_waitcnt lgkmcnt(0)
	s_lshr_b32 s2, s2, 16
	s_delay_alu instid0(VALU_DEP_1) | instid1(SALU_CYCLE_1)
	v_mad_u64_u32 v[243:244], null, s15, s2, v[104:105]
	s_mov_b32 s2, exec_lo
	s_delay_alu instid0(VALU_DEP_1)
	v_cmpx_gt_i32_e64 s12, v243
	s_cbranch_execz .LBB50_549
; %bb.1:
	s_clause 0x1
	s_load_b128 s[4:7], s[0:1], 0x8
	s_load_b128 s[8:11], s[0:1], 0x50
	v_ashrrev_i32_e32 v244, 31, v243
	v_mov_b32_e32 v94, 0
	v_mov_b32_e32 v95, 0
	s_delay_alu instid0(VALU_DEP_3) | instskip(SKIP_1) | instid1(VALU_DEP_1)
	v_lshlrev_b64 v[1:2], 3, v[243:244]
	s_waitcnt lgkmcnt(0)
	v_add_co_u32 v1, vcc_lo, s4, v1
	s_delay_alu instid0(VALU_DEP_2)
	v_add_co_ci_u32_e32 v2, vcc_lo, s5, v2, vcc_lo
	s_cmp_eq_u64 s[8:9], 0
	s_cselect_b32 s4, -1, 0
	global_load_b64 v[1:2], v[1:2], off
	s_and_b32 vcc_lo, exec_lo, s4
	s_cbranch_vccnz .LBB50_3
; %bb.2:
	v_mul_lo_u32 v5, v244, s10
	v_mul_lo_u32 v6, v243, s11
	v_mad_u64_u32 v[3:4], null, v243, s10, 0
	s_delay_alu instid0(VALU_DEP_1) | instskip(NEXT) | instid1(VALU_DEP_1)
	v_add3_u32 v4, v4, v6, v5
	v_lshlrev_b64 v[3:4], 2, v[3:4]
	s_delay_alu instid0(VALU_DEP_1) | instskip(NEXT) | instid1(VALU_DEP_2)
	v_add_co_u32 v94, vcc_lo, s8, v3
	v_add_co_ci_u32_e32 v95, vcc_lo, s9, v4, vcc_lo
.LBB50_3:
	s_clause 0x1
	s_load_b32 s8, s[0:1], 0x18
	s_load_b32 s5, s[0:1], 0x0
	v_and_b32_e32 v93, 0x3ff, v0
	s_lshl_b64 s[2:3], s[6:7], 4
	s_waitcnt vmcnt(0)
	v_add_co_u32 v255, vcc_lo, v1, s2
	s_delay_alu instid0(VALU_DEP_2) | instskip(SKIP_1) | instid1(VALU_DEP_2)
	v_lshlrev_b32_e32 v52, 4, v93
	v_add_co_ci_u32_e32 v20, vcc_lo, s3, v2, vcc_lo
	v_add_co_u32 v2, vcc_lo, v255, v52
	s_delay_alu instid0(VALU_DEP_2)
	v_add_co_ci_u32_e32 v3, vcc_lo, 0, v20, vcc_lo
	s_waitcnt lgkmcnt(0)
	s_ashr_i32 s9, s8, 31
	s_max_i32 s2, s5, 26
	s_lshl_b64 s[10:11], s[8:9], 4
	v_mul_lo_u32 v53, s2, v104
	v_add_co_u32 v6, vcc_lo, v2, s10
	v_add_co_ci_u32_e32 v7, vcc_lo, s11, v3, vcc_lo
	s_cmp_lt_i32 s5, 2
	s_clause 0x1
	global_load_b128 v[28:31], v[2:3], off
	global_load_b128 v[9:12], v[6:7], off
	v_lshl_add_u32 v114, v53, 4, 0
	s_waitcnt vmcnt(1)
	v_dual_mov_b32 v103, v31 :: v_dual_lshlrev_b32 v92, 4, v53
	v_mov_b32_e32 v102, v30
	v_add3_u32 v0, s8, s8, v93
	s_waitcnt vmcnt(0)
	scratch_store_b128 off, v[9:12], off offset:16 ; 16-byte Folded Spill
	v_add_nc_u32_e32 v52, v114, v52
	v_dual_mov_b32 v100, v28 :: v_dual_mov_b32 v101, v29
	v_add_nc_u32_e32 v4, s8, v0
	v_ashrrev_i32_e32 v1, 31, v0
	s_delay_alu instid0(VALU_DEP_2) | instskip(SKIP_1) | instid1(VALU_DEP_3)
	v_ashrrev_i32_e32 v5, 31, v4
	v_add_nc_u32_e32 v8, s8, v4
	v_lshlrev_b64 v[0:1], 4, v[0:1]
	s_delay_alu instid0(VALU_DEP_3) | instskip(NEXT) | instid1(VALU_DEP_3)
	v_lshlrev_b64 v[2:3], 4, v[4:5]
	v_ashrrev_i32_e32 v9, 31, v8
	v_add_nc_u32_e32 v4, s8, v8
	s_delay_alu instid0(VALU_DEP_4) | instskip(SKIP_1) | instid1(VALU_DEP_4)
	v_add_co_u32 v0, vcc_lo, v255, v0
	v_add_co_ci_u32_e32 v1, vcc_lo, v20, v1, vcc_lo
	v_lshlrev_b64 v[6:7], 4, v[8:9]
	s_delay_alu instid0(VALU_DEP_4) | instskip(SKIP_2) | instid1(VALU_DEP_3)
	v_add_nc_u32_e32 v8, s8, v4
	v_add_co_u32 v2, vcc_lo, v255, v2
	v_add_co_ci_u32_e32 v3, vcc_lo, v20, v3, vcc_lo
	v_add_nc_u32_e32 v10, s8, v8
	s_clause 0x1
	global_load_b128 v[96:99], v[0:1], off
	global_load_b128 v[245:248], v[2:3], off
	v_add_co_u32 v0, vcc_lo, v255, v6
	v_ashrrev_i32_e32 v9, 31, v8
	v_add_co_ci_u32_e32 v1, vcc_lo, v20, v7, vcc_lo
	v_ashrrev_i32_e32 v11, 31, v10
	v_ashrrev_i32_e32 v5, 31, v4
	s_delay_alu instid0(VALU_DEP_4) | instskip(SKIP_1) | instid1(VALU_DEP_4)
	v_lshlrev_b64 v[2:3], 4, v[8:9]
	v_add_nc_u32_e32 v6, s8, v10
	v_lshlrev_b64 v[8:9], 4, v[10:11]
	global_load_b128 v[11:14], v[0:1], off
	v_lshlrev_b64 v[4:5], 4, v[4:5]
	v_add_nc_u32_e32 v10, s8, v6
	v_ashrrev_i32_e32 v7, 31, v6
	s_delay_alu instid0(VALU_DEP_3) | instskip(NEXT) | instid1(VALU_DEP_4)
	v_add_co_u32 v4, vcc_lo, v255, v4
	v_add_co_ci_u32_e32 v5, vcc_lo, v20, v5, vcc_lo
	global_load_b128 v[88:91], v[4:5], off
	v_add_co_u32 v0, vcc_lo, v255, v2
	v_add_nc_u32_e32 v4, s8, v10
	v_add_co_ci_u32_e32 v1, vcc_lo, v20, v3, vcc_lo
	v_lshlrev_b64 v[2:3], 4, v[6:7]
	v_add_co_u32 v6, vcc_lo, v255, v8
	v_add_co_ci_u32_e32 v7, vcc_lo, v20, v9, vcc_lo
	v_ashrrev_i32_e32 v5, 31, v4
	s_waitcnt vmcnt(1)
	scratch_store_b128 off, v[11:14], off   ; 16-byte Folded Spill
	v_ashrrev_i32_e32 v11, 31, v10
	s_clause 0x1
	global_load_b128 v[80:83], v[0:1], off
	global_load_b128 v[76:79], v[6:7], off
	v_add_co_u32 v0, vcc_lo, v255, v2
	v_add_co_ci_u32_e32 v1, vcc_lo, v20, v3, vcc_lo
	v_lshlrev_b64 v[8:9], 4, v[10:11]
	v_add_nc_u32_e32 v10, s8, v4
	v_lshlrev_b64 v[2:3], 4, v[4:5]
	s_delay_alu instid0(VALU_DEP_2) | instskip(SKIP_3) | instid1(VALU_DEP_4)
	v_ashrrev_i32_e32 v11, 31, v10
	v_add_nc_u32_e32 v4, s8, v10
	v_add_co_u32 v6, vcc_lo, v255, v8
	v_add_co_ci_u32_e32 v7, vcc_lo, v20, v9, vcc_lo
	v_lshlrev_b64 v[8:9], 4, v[10:11]
	s_delay_alu instid0(VALU_DEP_4)
	v_ashrrev_i32_e32 v5, 31, v4
	v_add_nc_u32_e32 v10, s8, v4
	s_clause 0x1
	global_load_b128 v[84:87], v[0:1], off
	global_load_b128 v[68:71], v[6:7], off
	v_add_co_u32 v0, vcc_lo, v255, v2
	v_add_co_ci_u32_e32 v1, vcc_lo, v20, v3, vcc_lo
	v_lshlrev_b64 v[2:3], 4, v[4:5]
	v_ashrrev_i32_e32 v11, 31, v10
	v_add_nc_u32_e32 v4, s8, v10
	v_add_co_u32 v6, vcc_lo, v255, v8
	v_add_co_ci_u32_e32 v7, vcc_lo, v20, v9, vcc_lo
	s_delay_alu instid0(VALU_DEP_4) | instskip(NEXT) | instid1(VALU_DEP_4)
	v_lshlrev_b64 v[8:9], 4, v[10:11]
	v_ashrrev_i32_e32 v5, 31, v4
	v_add_nc_u32_e32 v10, s8, v4
	s_clause 0x1
	global_load_b128 v[72:75], v[0:1], off
	global_load_b128 v[56:59], v[6:7], off
	v_add_co_u32 v0, vcc_lo, v255, v2
	v_add_co_ci_u32_e32 v1, vcc_lo, v20, v3, vcc_lo
	v_lshlrev_b64 v[2:3], 4, v[4:5]
	v_ashrrev_i32_e32 v11, 31, v10
	v_add_nc_u32_e32 v4, s8, v10
	v_add_co_u32 v6, vcc_lo, v255, v8
	v_add_co_ci_u32_e32 v7, vcc_lo, v20, v9, vcc_lo
	s_delay_alu instid0(VALU_DEP_4) | instskip(NEXT) | instid1(VALU_DEP_4)
	v_lshlrev_b64 v[8:9], 4, v[10:11]
	;; [unrolled: 14-line block ×4, first 2 shown]
	v_add_nc_u32_e32 v10, s8, v4
	v_ashrrev_i32_e32 v5, 31, v4
	v_add_co_u32 v2, vcc_lo, v255, v2
	v_add_co_ci_u32_e32 v3, vcc_lo, v20, v3, vcc_lo
	s_delay_alu instid0(VALU_DEP_4) | instskip(SKIP_3) | instid1(VALU_DEP_4)
	v_add_nc_u32_e32 v12, s8, v10
	v_ashrrev_i32_e32 v11, 31, v10
	v_lshlrev_b64 v[4:5], 4, v[4:5]
	v_add_co_u32 v8, vcc_lo, v255, v8
	v_add_nc_u32_e32 v14, s8, v12
	v_ashrrev_i32_e32 v13, 31, v12
	v_lshlrev_b64 v[10:11], 4, v[10:11]
	v_add_co_ci_u32_e32 v9, vcc_lo, v20, v9, vcc_lo
	s_delay_alu instid0(VALU_DEP_4) | instskip(SKIP_3) | instid1(VALU_DEP_4)
	v_add_nc_u32_e32 v16, s8, v14
	v_ashrrev_i32_e32 v15, 31, v14
	v_add_co_u32 v4, vcc_lo, v255, v4
	v_lshlrev_b64 v[12:13], 4, v[12:13]
	v_add_nc_u32_e32 v18, s8, v16
	v_add_co_ci_u32_e32 v5, vcc_lo, v20, v5, vcc_lo
	v_add_co_u32 v10, vcc_lo, v255, v10
	v_lshlrev_b64 v[14:15], 4, v[14:15]
	v_ashrrev_i32_e32 v17, 31, v16
	v_add_co_ci_u32_e32 v11, vcc_lo, v20, v11, vcc_lo
	v_add_co_u32 v12, vcc_lo, v255, v12
	v_ashrrev_i32_e32 v19, 31, v18
	v_add_co_ci_u32_e32 v13, vcc_lo, v20, v13, vcc_lo
	v_lshlrev_b64 v[16:17], 4, v[16:17]
	v_add_co_u32 v105, vcc_lo, v255, v14
	v_add_co_ci_u32_e32 v106, vcc_lo, v20, v15, vcc_lo
	v_lshlrev_b64 v[14:15], 4, v[18:19]
	s_delay_alu instid0(VALU_DEP_4)
	v_add_co_u32 v112, vcc_lo, v255, v16
	v_add_co_ci_u32_e32 v113, vcc_lo, v20, v17, vcc_lo
	scratch_store_b32 off, v20, off offset:32 ; 4-byte Folded Spill
	v_add_co_u32 v118, vcc_lo, v255, v14
	v_add_co_ci_u32_e32 v119, vcc_lo, v20, v15, vcc_lo
	s_clause 0x9
	global_load_b128 v[40:43], v[0:1], off
	global_load_b128 v[36:39], v[6:7], off
	global_load_b128 v[32:35], v[2:3], off
	global_load_b128 v[24:27], v[8:9], off
	global_load_b128 v[20:23], v[4:5], off
	global_load_b128 v[16:19], v[10:11], off
	global_load_b128 v[12:15], v[12:13], off
	global_load_b128 v[8:11], v[105:106], off
	global_load_b128 v[4:7], v[112:113], off
	global_load_b128 v[0:3], v[118:119], off
	ds_store_2addr_b64 v52, v[28:29], v[30:31] offset1:1
	s_waitcnt vmcnt(0) lgkmcnt(0)
	s_waitcnt_vscnt null, 0x0
	s_barrier
	buffer_gl0_inv
	ds_load_2addr_b64 v[104:107], v114 offset1:1
	v_mov_b32_e32 v112, 0
	s_cbranch_scc1 .LBB50_6
; %bb.4:
	v_add3_u32 v113, v92, 0, 16
	v_mov_b32_e32 v112, 0
	s_mov_b32 s6, 1
	s_set_inst_prefetch_distance 0x1
	.p2align	6
.LBB50_5:                               ; =>This Inner Loop Header: Depth=1
	ds_load_2addr_b64 v[120:123], v113 offset1:1
	s_waitcnt lgkmcnt(1)
	v_cmp_gt_f64_e32 vcc_lo, 0, v[104:105]
	v_xor_b32_e32 v52, 0x80000000, v105
	v_cmp_gt_f64_e64 s2, 0, v[106:107]
	v_xor_b32_e32 v53, 0x80000000, v107
	v_add_nc_u32_e32 v113, 16, v113
	s_waitcnt lgkmcnt(0)
	v_cmp_gt_f64_e64 s3, 0, v[120:121]
	v_mov_b32_e32 v128, v120
	v_dual_mov_b32 v130, v122 :: v_dual_cndmask_b32 v125, v105, v52
	v_xor_b32_e32 v52, 0x80000000, v121
	v_cndmask_b32_e64 v127, v107, v53, s2
	v_xor_b32_e32 v53, 0x80000000, v123
	v_cndmask_b32_e32 v124, v104, v104, vcc_lo
	v_cndmask_b32_e64 v126, v106, v106, s2
	s_delay_alu instid0(VALU_DEP_1) | instskip(SKIP_2) | instid1(VALU_DEP_1)
	v_add_f64 v[124:125], v[124:125], v[126:127]
	v_cndmask_b32_e64 v129, v121, v52, s3
	v_cmp_gt_f64_e64 s3, 0, v[122:123]
	v_cndmask_b32_e64 v131, v123, v53, s3
	s_delay_alu instid0(VALU_DEP_1) | instskip(NEXT) | instid1(VALU_DEP_1)
	v_add_f64 v[128:129], v[128:129], v[130:131]
	v_cmp_lt_f64_e32 vcc_lo, v[124:125], v[128:129]
	v_cndmask_b32_e32 v107, v107, v123, vcc_lo
	v_dual_cndmask_b32 v105, v105, v121 :: v_dual_cndmask_b32 v104, v104, v120
	v_cndmask_b32_e32 v106, v106, v122, vcc_lo
	v_cndmask_b32_e64 v112, v112, s6, vcc_lo
	s_add_i32 s6, s6, 1
	s_delay_alu instid0(SALU_CYCLE_1)
	s_cmp_eq_u32 s5, s6
	s_cbranch_scc0 .LBB50_5
.LBB50_6:
	s_set_inst_prefetch_distance 0x2
	s_waitcnt lgkmcnt(0)
	v_cmp_neq_f64_e32 vcc_lo, 0, v[104:105]
	v_cmp_neq_f64_e64 s2, 0, v[106:107]
	v_mov_b32_e32 v119, 1
	v_mov_b32_e32 v121, 1
	s_delay_alu instid0(VALU_DEP_3) | instskip(NEXT) | instid1(SALU_CYCLE_1)
	s_or_b32 s2, vcc_lo, s2
	s_and_saveexec_b32 s3, s2
	s_cbranch_execz .LBB50_12
; %bb.7:
	v_cmp_gt_f64_e32 vcc_lo, 0, v[104:105]
	v_cmp_gt_f64_e64 s2, 0, v[106:107]
	v_xor_b32_e32 v52, 0x80000000, v105
	v_xor_b32_e32 v53, 0x80000000, v107
                                        ; implicit-def: $sgpr6
                                        ; implicit-def: $sgpr7
	s_delay_alu instid0(VALU_DEP_2) | instskip(NEXT) | instid1(VALU_DEP_2)
	v_cndmask_b32_e32 v121, v105, v52, vcc_lo
	v_cndmask_b32_e64 v123, v107, v53, s2
	v_cndmask_b32_e32 v120, v104, v104, vcc_lo
	v_cndmask_b32_e64 v122, v106, v106, s2
	s_mov_b32 s2, exec_lo
	s_delay_alu instid0(VALU_DEP_1)
	v_cmpx_ngt_f64_e32 v[120:121], v[122:123]
	s_xor_b32 s2, exec_lo, s2
	s_cbranch_execz .LBB50_9
; %bb.8:
	v_div_scale_f64 v[120:121], null, v[106:107], v[106:107], v[104:105]
	v_div_scale_f64 v[126:127], vcc_lo, v[104:105], v[106:107], v[104:105]
	s_mov_b32 s7, 2
	s_mov_b32 s6, 0
	s_delay_alu instid0(VALU_DEP_2) | instskip(SKIP_2) | instid1(VALU_DEP_1)
	v_rcp_f64_e32 v[122:123], v[120:121]
	s_waitcnt_depctr 0xfff
	v_fma_f64 v[124:125], -v[120:121], v[122:123], 1.0
	v_fma_f64 v[122:123], v[122:123], v[124:125], v[122:123]
	s_delay_alu instid0(VALU_DEP_1) | instskip(NEXT) | instid1(VALU_DEP_1)
	v_fma_f64 v[124:125], -v[120:121], v[122:123], 1.0
	v_fma_f64 v[122:123], v[122:123], v[124:125], v[122:123]
	s_delay_alu instid0(VALU_DEP_1) | instskip(NEXT) | instid1(VALU_DEP_1)
	v_mul_f64 v[124:125], v[126:127], v[122:123]
	v_fma_f64 v[120:121], -v[120:121], v[124:125], v[126:127]
	s_delay_alu instid0(VALU_DEP_1) | instskip(NEXT) | instid1(VALU_DEP_1)
	v_div_fmas_f64 v[120:121], v[120:121], v[122:123], v[124:125]
	v_div_fixup_f64 v[120:121], v[120:121], v[106:107], v[104:105]
	s_delay_alu instid0(VALU_DEP_1) | instskip(NEXT) | instid1(VALU_DEP_1)
	v_fma_f64 v[104:105], v[104:105], v[120:121], v[106:107]
	v_div_scale_f64 v[106:107], null, v[104:105], v[104:105], 1.0
	s_delay_alu instid0(VALU_DEP_1) | instskip(SKIP_2) | instid1(VALU_DEP_1)
	v_rcp_f64_e32 v[122:123], v[106:107]
	s_waitcnt_depctr 0xfff
	v_fma_f64 v[124:125], -v[106:107], v[122:123], 1.0
	v_fma_f64 v[122:123], v[122:123], v[124:125], v[122:123]
	s_delay_alu instid0(VALU_DEP_1) | instskip(NEXT) | instid1(VALU_DEP_1)
	v_fma_f64 v[124:125], -v[106:107], v[122:123], 1.0
	v_fma_f64 v[122:123], v[122:123], v[124:125], v[122:123]
	v_div_scale_f64 v[124:125], vcc_lo, 1.0, v[104:105], 1.0
	s_delay_alu instid0(VALU_DEP_1) | instskip(NEXT) | instid1(VALU_DEP_1)
	v_mul_f64 v[126:127], v[124:125], v[122:123]
	v_fma_f64 v[106:107], -v[106:107], v[126:127], v[124:125]
	s_delay_alu instid0(VALU_DEP_1) | instskip(NEXT) | instid1(VALU_DEP_1)
	v_div_fmas_f64 v[106:107], v[106:107], v[122:123], v[126:127]
	v_div_fixup_f64 v[106:107], v[106:107], v[104:105], 1.0
	s_delay_alu instid0(VALU_DEP_1)
	v_mul_f64 v[104:105], v[120:121], v[106:107]
	v_xor_b32_e32 v107, 0x80000000, v107
.LBB50_9:
	s_or_saveexec_b32 s2, s2
	v_mov_b32_e32 v121, s6
	v_mov_b32_e32 v119, s7
	s_xor_b32 exec_lo, exec_lo, s2
	s_cbranch_execz .LBB50_11
; %bb.10:
	s_delay_alu instid0(VALU_DEP_4) | instskip(SKIP_2) | instid1(VALU_DEP_3)
	v_div_scale_f64 v[120:121], null, v[104:105], v[104:105], v[106:107]
	v_div_scale_f64 v[126:127], vcc_lo, v[106:107], v[104:105], v[106:107]
	v_mov_b32_e32 v119, 2
	v_rcp_f64_e32 v[122:123], v[120:121]
	s_waitcnt_depctr 0xfff
	v_fma_f64 v[124:125], -v[120:121], v[122:123], 1.0
	s_delay_alu instid0(VALU_DEP_1) | instskip(NEXT) | instid1(VALU_DEP_1)
	v_fma_f64 v[122:123], v[122:123], v[124:125], v[122:123]
	v_fma_f64 v[124:125], -v[120:121], v[122:123], 1.0
	s_delay_alu instid0(VALU_DEP_1) | instskip(NEXT) | instid1(VALU_DEP_1)
	v_fma_f64 v[122:123], v[122:123], v[124:125], v[122:123]
	v_mul_f64 v[124:125], v[126:127], v[122:123]
	s_delay_alu instid0(VALU_DEP_1) | instskip(NEXT) | instid1(VALU_DEP_1)
	v_fma_f64 v[120:121], -v[120:121], v[124:125], v[126:127]
	v_div_fmas_f64 v[120:121], v[120:121], v[122:123], v[124:125]
	s_delay_alu instid0(VALU_DEP_1) | instskip(NEXT) | instid1(VALU_DEP_1)
	v_div_fixup_f64 v[120:121], v[120:121], v[104:105], v[106:107]
	v_fma_f64 v[104:105], v[106:107], v[120:121], v[104:105]
	s_delay_alu instid0(VALU_DEP_1) | instskip(NEXT) | instid1(VALU_DEP_1)
	v_div_scale_f64 v[106:107], null, v[104:105], v[104:105], 1.0
	v_rcp_f64_e32 v[122:123], v[106:107]
	s_waitcnt_depctr 0xfff
	v_fma_f64 v[124:125], -v[106:107], v[122:123], 1.0
	s_delay_alu instid0(VALU_DEP_1) | instskip(NEXT) | instid1(VALU_DEP_1)
	v_fma_f64 v[122:123], v[122:123], v[124:125], v[122:123]
	v_fma_f64 v[124:125], -v[106:107], v[122:123], 1.0
	s_delay_alu instid0(VALU_DEP_1) | instskip(SKIP_1) | instid1(VALU_DEP_1)
	v_fma_f64 v[122:123], v[122:123], v[124:125], v[122:123]
	v_div_scale_f64 v[124:125], vcc_lo, 1.0, v[104:105], 1.0
	v_mul_f64 v[126:127], v[124:125], v[122:123]
	s_delay_alu instid0(VALU_DEP_1) | instskip(NEXT) | instid1(VALU_DEP_1)
	v_fma_f64 v[106:107], -v[106:107], v[126:127], v[124:125]
	v_div_fmas_f64 v[106:107], v[106:107], v[122:123], v[126:127]
	s_delay_alu instid0(VALU_DEP_1) | instskip(NEXT) | instid1(VALU_DEP_1)
	v_div_fixup_f64 v[104:105], v[106:107], v[104:105], 1.0
	v_mul_f64 v[106:107], v[120:121], -v[104:105]
	v_mov_b32_e32 v121, 0
.LBB50_11:
	s_or_b32 exec_lo, exec_lo, s2
.LBB50_12:
	s_delay_alu instid0(SALU_CYCLE_1) | instskip(NEXT) | instid1(SALU_CYCLE_1)
	s_or_b32 exec_lo, exec_lo, s3
	s_mov_b32 s2, exec_lo
	v_cmpx_ne_u32_e64 v93, v112
	s_xor_b32 s2, exec_lo, s2
	s_cbranch_execz .LBB50_18
; %bb.13:
	s_mov_b32 s3, exec_lo
	v_cmpx_eq_u32_e32 0, v93
	s_cbranch_execz .LBB50_17
; %bb.14:
	v_cmp_ne_u32_e32 vcc_lo, 0, v112
	s_xor_b32 s6, s4, -1
	s_delay_alu instid0(SALU_CYCLE_1) | instskip(NEXT) | instid1(SALU_CYCLE_1)
	s_and_b32 s7, s6, vcc_lo
	s_and_saveexec_b32 s6, s7
	s_cbranch_execz .LBB50_16
; %bb.15:
	v_ashrrev_i32_e32 v113, 31, v112
	s_delay_alu instid0(VALU_DEP_1) | instskip(NEXT) | instid1(VALU_DEP_1)
	v_lshlrev_b64 v[122:123], 2, v[112:113]
	v_add_co_u32 v122, vcc_lo, v94, v122
	s_delay_alu instid0(VALU_DEP_2)
	v_add_co_ci_u32_e32 v123, vcc_lo, v95, v123, vcc_lo
	s_clause 0x1
	flat_load_b32 v52, v[122:123]
	flat_load_b32 v53, v[94:95]
	s_waitcnt vmcnt(1) lgkmcnt(1)
	flat_store_b32 v[94:95], v52
	s_waitcnt vmcnt(0) lgkmcnt(1)
	flat_store_b32 v[122:123], v53
.LBB50_16:
	s_or_b32 exec_lo, exec_lo, s6
	v_mov_b32_e32 v93, v112
.LBB50_17:
	s_or_b32 exec_lo, exec_lo, s3
.LBB50_18:
	s_or_saveexec_b32 s2, s2
	s_delay_alu instid0(VALU_DEP_1)
	v_mov_b32_e32 v120, v93
	s_xor_b32 exec_lo, exec_lo, s2
	s_cbranch_execz .LBB50_20
; %bb.19:
	scratch_load_b128 v[28:31], off, off offset:16 ; 16-byte Folded Reload
	v_mov_b32_e32 v120, 0
	s_waitcnt vmcnt(0)
	ds_store_2addr_b64 v114, v[28:29], v[30:31] offset0:2 offset1:3
	ds_store_2addr_b64 v114, v[96:97], v[98:99] offset0:4 offset1:5
	ds_store_2addr_b64 v114, v[245:246], v[247:248] offset0:6 offset1:7
	scratch_load_b128 v[28:31], off, off    ; 16-byte Folded Reload
	s_waitcnt vmcnt(0)
	ds_store_2addr_b64 v114, v[28:29], v[30:31] offset0:8 offset1:9
	ds_store_2addr_b64 v114, v[88:89], v[90:91] offset0:10 offset1:11
	;; [unrolled: 1-line block ×22, first 2 shown]
.LBB50_20:
	s_or_b32 exec_lo, exec_lo, s2
	s_delay_alu instid0(SALU_CYCLE_1)
	s_mov_b32 s2, exec_lo
	s_waitcnt lgkmcnt(0)
	s_waitcnt_vscnt null, 0x0
	s_barrier
	buffer_gl0_inv
	v_cmpx_lt_i32_e32 0, v120
	s_cbranch_execz .LBB50_22
; %bb.21:
	v_mul_f64 v[112:113], v[104:105], v[102:103]
	v_mul_f64 v[154:155], v[106:107], v[102:103]
	ds_load_2addr_b64 v[122:125], v114 offset0:2 offset1:3
	ds_load_2addr_b64 v[126:129], v114 offset0:4 offset1:5
	;; [unrolled: 1-line block ×8, first 2 shown]
	v_dual_mov_b32 v31, v3 :: v_dual_mov_b32 v30, v2
	v_dual_mov_b32 v29, v1 :: v_dual_mov_b32 v28, v0
	;; [unrolled: 1-line block ×18, first 2 shown]
	v_fma_f64 v[102:103], v[106:107], v[100:101], v[112:113]
	v_fma_f64 v[52:53], v[104:105], v[100:101], -v[154:155]
	ds_load_2addr_b64 v[104:107], v114 offset0:18 offset1:19
	ds_load_2addr_b64 v[154:157], v114 offset0:20 offset1:21
	v_dual_mov_b32 v36, v40 :: v_dual_mov_b32 v37, v41
	v_dual_mov_b32 v38, v42 :: v_dual_mov_b32 v39, v43
	;; [unrolled: 1-line block ×13, first 2 shown]
	ds_load_2addr_b64 v[158:161], v114 offset0:22 offset1:23
	ds_load_2addr_b64 v[162:165], v114 offset0:24 offset1:25
	;; [unrolled: 1-line block ×10, first 2 shown]
	v_mov_b32_e32 v100, v92
	v_mov_b32_e32 v92, v255
	v_dual_mov_b32 v118, v67 :: v_dual_mov_b32 v117, v66
	s_waitcnt lgkmcnt(12)
	v_mul_f64 v[244:245], v[152:153], v[102:103]
	v_mul_f64 v[246:247], v[150:151], v[102:103]
	s_waitcnt lgkmcnt(11)
	v_mul_f64 v[248:249], v[106:107], v[102:103]
	v_mul_f64 v[242:243], v[146:147], v[102:103]
	;; [unrolled: 1-line block ×6, first 2 shown]
	v_dual_mov_b32 v116, v65 :: v_dual_mov_b32 v115, v64
	v_dual_mov_b32 v67, v59 :: v_dual_mov_b32 v66, v58
	;; [unrolled: 1-line block ×11, first 2 shown]
	ds_load_2addr_b64 v[198:201], v114 offset0:42 offset1:43
	ds_load_2addr_b64 v[202:205], v114 offset0:44 offset1:45
	;; [unrolled: 1-line block ×5, first 2 shown]
	v_mul_f64 v[112:113], v[124:125], v[102:103]
	v_mul_f64 v[218:219], v[122:123], v[102:103]
	;; [unrolled: 1-line block ×6, first 2 shown]
	v_fma_f64 v[150:151], v[150:151], v[52:53], -v[244:245]
	v_fma_f64 v[152:153], v[152:153], v[52:53], v[246:247]
	s_waitcnt lgkmcnt(6)
	v_mul_f64 v[244:245], v[192:193], v[102:103]
	v_mul_f64 v[246:247], v[190:191], v[102:103]
	v_fma_f64 v[104:105], v[104:105], v[52:53], -v[248:249]
	s_waitcnt lgkmcnt(5)
	v_mul_f64 v[248:249], v[196:197], v[102:103]
	v_fma_f64 v[148:149], v[148:149], v[52:53], v[242:243]
	v_mul_f64 v[242:243], v[186:187], v[102:103]
	v_fma_f64 v[134:135], v[134:135], v[52:53], -v[228:229]
	v_fma_f64 v[136:137], v[136:137], v[52:53], v[230:231]
	v_mul_f64 v[228:229], v[176:177], v[102:103]
	v_mul_f64 v[230:231], v[174:175], v[102:103]
	v_fma_f64 v[106:107], v[106:107], v[52:53], v[250:251]
	v_mul_f64 v[250:251], v[194:195], v[102:103]
	v_fma_f64 v[146:147], v[146:147], v[52:53], -v[240:241]
	v_mul_f64 v[240:241], v[188:189], v[102:103]
	v_mul_f64 v[232:233], v[140:141], v[102:103]
	;; [unrolled: 1-line block ×9, first 2 shown]
	v_mov_b32_e32 v76, v84
	v_dual_mov_b32 v78, v86 :: v_dual_mov_b32 v77, v85
	v_mov_b32_e32 v79, v87
	v_mov_b32_e32 v87, v71
	v_dual_mov_b32 v85, v69 :: v_dual_mov_b32 v86, v70
	v_mov_b32_e32 v84, v68
	v_fma_f64 v[112:113], v[122:123], v[52:53], -v[112:113]
	v_fma_f64 v[122:123], v[124:125], v[52:53], v[218:219]
	v_mul_f64 v[124:125], v[164:165], v[102:103]
	v_mul_f64 v[218:219], v[162:163], v[102:103]
	v_fma_f64 v[126:127], v[126:127], v[52:53], -v[220:221]
	v_fma_f64 v[128:129], v[128:129], v[52:53], v[222:223]
	v_mul_f64 v[220:221], v[168:169], v[102:103]
	v_mul_f64 v[222:223], v[166:167], v[102:103]
	v_fma_f64 v[190:191], v[190:191], v[52:53], -v[244:245]
	v_fma_f64 v[192:193], v[192:193], v[52:53], v[246:247]
	v_fma_f64 v[130:131], v[130:131], v[52:53], -v[224:225]
	v_fma_f64 v[194:195], v[194:195], v[52:53], -v[248:249]
	v_mov_b32_e32 v248, v99
	v_fma_f64 v[188:189], v[188:189], v[52:53], v[242:243]
	v_dual_mov_b32 v244, v55 :: v_dual_mov_b32 v245, v96
	v_dual_mov_b32 v247, v98 :: v_dual_mov_b32 v246, v97
	v_dual_mov_b32 v99, v63 :: v_dual_mov_b32 v98, v62
	v_dual_mov_b32 v97, v61 :: v_dual_mov_b32 v96, v60
	v_mov_b32_e32 v63, v51
	v_dual_mov_b32 v61, v49 :: v_dual_mov_b32 v62, v50
	v_dual_mov_b32 v60, v48 :: v_dual_mov_b32 v51, v47
	;; [unrolled: 1-line block ×23, first 2 shown]
	v_mov_b32_e32 v4, v0
	v_mov_b32_e32 v0, v28
	v_fma_f64 v[174:175], v[174:175], v[52:53], -v[228:229]
	v_fma_f64 v[176:177], v[176:177], v[52:53], v[230:231]
	v_dual_mov_b32 v1, v29 :: v_dual_mov_b32 v2, v30
	v_mov_b32_e32 v3, v31
	s_clause 0x1
	scratch_load_b128 v[228:231], off, off
	scratch_load_b128 v[28:31], off, off offset:16
	v_fma_f64 v[132:133], v[132:133], v[52:53], v[226:227]
	v_mul_f64 v[224:225], v[172:173], v[102:103]
	v_mul_f64 v[226:227], v[170:171], v[102:103]
	v_fma_f64 v[138:139], v[138:139], v[52:53], -v[232:233]
	v_fma_f64 v[140:141], v[140:141], v[52:53], v[234:235]
	v_mul_f64 v[232:233], v[180:181], v[102:103]
	v_mul_f64 v[234:235], v[178:179], v[102:103]
	v_fma_f64 v[142:143], v[142:143], v[52:53], -v[236:237]
	;; [unrolled: 4-line block ×3, first 2 shown]
	v_fma_f64 v[156:157], v[156:157], v[52:53], v[254:255]
	s_waitcnt lgkmcnt(4)
	v_mul_f64 v[252:253], v[200:201], v[102:103]
	v_mul_f64 v[254:255], v[198:199], v[102:103]
	v_fma_f64 v[108:109], v[158:159], v[52:53], -v[108:109]
	v_fma_f64 v[110:111], v[160:161], v[52:53], v[110:111]
	s_waitcnt lgkmcnt(3)
	v_mul_f64 v[158:159], v[204:205], v[102:103]
	v_mul_f64 v[160:161], v[202:203], v[102:103]
	v_fma_f64 v[124:125], v[162:163], v[52:53], -v[124:125]
	;; [unrolled: 5-line block ×4, first 2 shown]
	v_fma_f64 v[196:197], v[196:197], v[52:53], v[250:251]
	v_dual_mov_b32 v68, v72 :: v_dual_mov_b32 v69, v73
	v_dual_mov_b32 v70, v74 :: v_dual_mov_b32 v71, v75
	v_mov_b32_e32 v75, v59
	v_dual_mov_b32 v73, v57 :: v_dual_mov_b32 v74, v58
	v_mov_b32_e32 v72, v56
	v_dual_mov_b32 v56, v64 :: v_dual_mov_b32 v57, v65
	v_fma_f64 v[170:171], v[170:171], v[52:53], -v[224:225]
	v_fma_f64 v[172:173], v[172:173], v[52:53], v[226:227]
	s_waitcnt lgkmcnt(0)
	v_mul_f64 v[224:225], v[216:217], v[102:103]
	v_mul_f64 v[226:227], v[214:215], v[102:103]
	v_fma_f64 v[178:179], v[178:179], v[52:53], -v[232:233]
	v_fma_f64 v[180:181], v[180:181], v[52:53], v[234:235]
	v_dual_mov_b32 v58, v66 :: v_dual_mov_b32 v59, v67
	v_fma_f64 v[182:183], v[182:183], v[52:53], -v[236:237]
	v_fma_f64 v[184:185], v[184:185], v[52:53], v[238:239]
	v_dual_mov_b32 v64, v115 :: v_dual_mov_b32 v65, v116
	v_fma_f64 v[198:199], v[198:199], v[52:53], -v[252:253]
	v_fma_f64 v[200:201], v[200:201], v[52:53], v[254:255]
	v_dual_mov_b32 v255, v92 :: v_dual_mov_b32 v66, v117
	v_fma_f64 v[158:159], v[202:203], v[52:53], -v[158:159]
	v_fma_f64 v[160:161], v[204:205], v[52:53], v[160:161]
	v_mov_b32_e32 v67, v118
	v_add_f64 v[96:97], v[96:97], -v[126:127]
	v_fma_f64 v[164:165], v[206:207], v[52:53], -v[164:165]
	v_fma_f64 v[202:203], v[208:209], v[52:53], v[218:219]
	v_add_f64 v[98:99], v[98:99], -v[128:129]
	v_add_f64 v[245:246], v[245:246], -v[130:131]
	v_fma_f64 v[204:205], v[210:211], v[52:53], -v[220:221]
	v_fma_f64 v[206:207], v[212:213], v[52:53], v[222:223]
	v_add_f64 v[247:248], v[247:248], -v[132:133]
	v_add_f64 v[88:89], v[88:89], -v[138:139]
	;; [unrolled: 1-line block ×14, first 2 shown]
	v_fma_f64 v[208:209], v[214:215], v[52:53], -v[224:225]
	v_fma_f64 v[210:211], v[216:217], v[52:53], v[226:227]
	v_add_f64 v[58:59], v[58:59], -v[110:111]
	v_add_f64 v[64:65], v[64:65], -v[124:125]
	;; [unrolled: 1-line block ×27, first 2 shown]
	v_dual_mov_b32 v243, v54 :: v_dual_mov_b32 v92, v100
	v_dual_mov_b32 v101, v53 :: v_dual_mov_b32 v100, v52
	v_add_f64 v[0:1], v[0:1], -v[208:209]
	v_add_f64 v[2:3], v[2:3], -v[210:211]
	s_waitcnt vmcnt(1)
	v_add_f64 v[228:229], v[228:229], -v[134:135]
	s_waitcnt vmcnt(0)
	v_add_f64 v[28:29], v[28:29], -v[112:113]
	v_add_f64 v[30:31], v[30:31], -v[122:123]
	;; [unrolled: 1-line block ×3, first 2 shown]
	s_clause 0x1
	scratch_store_b128 off, v[28:31], off offset:16
	scratch_store_b128 off, v[228:231], off
.LBB50_22:
	s_or_b32 exec_lo, exec_lo, s2
	s_waitcnt_vscnt null, 0x0
	s_barrier
	buffer_gl0_inv
	scratch_load_b128 v[28:31], off, off offset:16 ; 16-byte Folded Reload
	v_lshl_add_u32 v52, v120, 4, v114
	v_mov_b32_e32 v112, 1
	s_cmp_lt_i32 s5, 3
	s_waitcnt vmcnt(0)
	ds_store_2addr_b64 v52, v[28:29], v[30:31] offset1:1
	s_waitcnt lgkmcnt(0)
	s_barrier
	buffer_gl0_inv
	ds_load_2addr_b64 v[104:107], v114 offset0:2 offset1:3
	s_cbranch_scc1 .LBB50_25
; %bb.23:
	v_add3_u32 v113, v92, 0, 32
	v_mov_b32_e32 v112, 1
	s_mov_b32 s6, 2
	s_set_inst_prefetch_distance 0x1
	.p2align	6
.LBB50_24:                              ; =>This Inner Loop Header: Depth=1
	ds_load_2addr_b64 v[122:125], v113 offset1:1
	s_waitcnt lgkmcnt(1)
	v_cmp_gt_f64_e32 vcc_lo, 0, v[104:105]
	v_xor_b32_e32 v52, 0x80000000, v105
	v_cmp_gt_f64_e64 s2, 0, v[106:107]
	v_xor_b32_e32 v53, 0x80000000, v107
	v_add_nc_u32_e32 v113, 16, v113
	s_waitcnt lgkmcnt(0)
	v_cmp_gt_f64_e64 s3, 0, v[122:123]
	v_mov_b32_e32 v126, v122
	v_dual_mov_b32 v128, v124 :: v_dual_cndmask_b32 v109, v105, v52
	v_xor_b32_e32 v52, 0x80000000, v123
	v_cndmask_b32_e64 v111, v107, v53, s2
	v_xor_b32_e32 v53, 0x80000000, v125
	v_cndmask_b32_e32 v108, v104, v104, vcc_lo
	v_cndmask_b32_e64 v110, v106, v106, s2
	s_delay_alu instid0(VALU_DEP_1) | instskip(SKIP_2) | instid1(VALU_DEP_1)
	v_add_f64 v[108:109], v[108:109], v[110:111]
	v_cndmask_b32_e64 v127, v123, v52, s3
	v_cmp_gt_f64_e64 s3, 0, v[124:125]
	v_cndmask_b32_e64 v129, v125, v53, s3
	s_delay_alu instid0(VALU_DEP_1) | instskip(NEXT) | instid1(VALU_DEP_1)
	v_add_f64 v[126:127], v[126:127], v[128:129]
	v_cmp_lt_f64_e32 vcc_lo, v[108:109], v[126:127]
	v_cndmask_b32_e32 v107, v107, v125, vcc_lo
	v_dual_cndmask_b32 v105, v105, v123 :: v_dual_cndmask_b32 v104, v104, v122
	v_cndmask_b32_e32 v106, v106, v124, vcc_lo
	v_cndmask_b32_e64 v112, v112, s6, vcc_lo
	s_add_i32 s6, s6, 1
	s_delay_alu instid0(SALU_CYCLE_1)
	s_cmp_lg_u32 s5, s6
	s_cbranch_scc1 .LBB50_24
.LBB50_25:
	s_set_inst_prefetch_distance 0x2
	s_waitcnt lgkmcnt(0)
	v_cmp_neq_f64_e32 vcc_lo, 0, v[104:105]
	v_cmp_neq_f64_e64 s2, 0, v[106:107]
	s_delay_alu instid0(VALU_DEP_1) | instskip(NEXT) | instid1(SALU_CYCLE_1)
	s_or_b32 s2, vcc_lo, s2
	s_and_saveexec_b32 s3, s2
	s_cbranch_execz .LBB50_31
; %bb.26:
	v_cmp_gt_f64_e32 vcc_lo, 0, v[104:105]
	v_cmp_gt_f64_e64 s2, 0, v[106:107]
	v_xor_b32_e32 v52, 0x80000000, v105
	v_xor_b32_e32 v53, 0x80000000, v107
	s_delay_alu instid0(VALU_DEP_2) | instskip(NEXT) | instid1(VALU_DEP_2)
	v_cndmask_b32_e32 v109, v105, v52, vcc_lo
	v_cndmask_b32_e64 v111, v107, v53, s2
	v_cndmask_b32_e32 v108, v104, v104, vcc_lo
	v_cndmask_b32_e64 v110, v106, v106, s2
	s_mov_b32 s2, exec_lo
	s_delay_alu instid0(VALU_DEP_1)
	v_cmpx_ngt_f64_e32 v[108:109], v[110:111]
	s_xor_b32 s2, exec_lo, s2
	s_cbranch_execz .LBB50_28
; %bb.27:
	v_div_scale_f64 v[108:109], null, v[106:107], v[106:107], v[104:105]
	v_div_scale_f64 v[124:125], vcc_lo, v[104:105], v[106:107], v[104:105]
	s_delay_alu instid0(VALU_DEP_2) | instskip(SKIP_2) | instid1(VALU_DEP_1)
	v_rcp_f64_e32 v[110:111], v[108:109]
	s_waitcnt_depctr 0xfff
	v_fma_f64 v[122:123], -v[108:109], v[110:111], 1.0
	v_fma_f64 v[110:111], v[110:111], v[122:123], v[110:111]
	s_delay_alu instid0(VALU_DEP_1) | instskip(NEXT) | instid1(VALU_DEP_1)
	v_fma_f64 v[122:123], -v[108:109], v[110:111], 1.0
	v_fma_f64 v[110:111], v[110:111], v[122:123], v[110:111]
	s_delay_alu instid0(VALU_DEP_1) | instskip(NEXT) | instid1(VALU_DEP_1)
	v_mul_f64 v[122:123], v[124:125], v[110:111]
	v_fma_f64 v[108:109], -v[108:109], v[122:123], v[124:125]
	s_delay_alu instid0(VALU_DEP_1) | instskip(NEXT) | instid1(VALU_DEP_1)
	v_div_fmas_f64 v[108:109], v[108:109], v[110:111], v[122:123]
	v_div_fixup_f64 v[108:109], v[108:109], v[106:107], v[104:105]
	s_delay_alu instid0(VALU_DEP_1) | instskip(NEXT) | instid1(VALU_DEP_1)
	v_fma_f64 v[104:105], v[104:105], v[108:109], v[106:107]
	v_div_scale_f64 v[106:107], null, v[104:105], v[104:105], 1.0
	s_delay_alu instid0(VALU_DEP_1) | instskip(SKIP_2) | instid1(VALU_DEP_1)
	v_rcp_f64_e32 v[110:111], v[106:107]
	s_waitcnt_depctr 0xfff
	v_fma_f64 v[122:123], -v[106:107], v[110:111], 1.0
	v_fma_f64 v[110:111], v[110:111], v[122:123], v[110:111]
	s_delay_alu instid0(VALU_DEP_1) | instskip(NEXT) | instid1(VALU_DEP_1)
	v_fma_f64 v[122:123], -v[106:107], v[110:111], 1.0
	v_fma_f64 v[110:111], v[110:111], v[122:123], v[110:111]
	v_div_scale_f64 v[122:123], vcc_lo, 1.0, v[104:105], 1.0
	s_delay_alu instid0(VALU_DEP_1) | instskip(NEXT) | instid1(VALU_DEP_1)
	v_mul_f64 v[124:125], v[122:123], v[110:111]
	v_fma_f64 v[106:107], -v[106:107], v[124:125], v[122:123]
	s_delay_alu instid0(VALU_DEP_1) | instskip(NEXT) | instid1(VALU_DEP_1)
	v_div_fmas_f64 v[106:107], v[106:107], v[110:111], v[124:125]
	v_div_fixup_f64 v[106:107], v[106:107], v[104:105], 1.0
	s_delay_alu instid0(VALU_DEP_1)
	v_mul_f64 v[104:105], v[108:109], v[106:107]
	v_xor_b32_e32 v107, 0x80000000, v107
.LBB50_28:
	s_and_not1_saveexec_b32 s2, s2
	s_cbranch_execz .LBB50_30
; %bb.29:
	s_delay_alu instid0(VALU_DEP_1) | instskip(SKIP_1) | instid1(VALU_DEP_2)
	v_div_scale_f64 v[108:109], null, v[104:105], v[104:105], v[106:107]
	v_div_scale_f64 v[124:125], vcc_lo, v[106:107], v[104:105], v[106:107]
	v_rcp_f64_e32 v[110:111], v[108:109]
	s_waitcnt_depctr 0xfff
	v_fma_f64 v[122:123], -v[108:109], v[110:111], 1.0
	s_delay_alu instid0(VALU_DEP_1) | instskip(NEXT) | instid1(VALU_DEP_1)
	v_fma_f64 v[110:111], v[110:111], v[122:123], v[110:111]
	v_fma_f64 v[122:123], -v[108:109], v[110:111], 1.0
	s_delay_alu instid0(VALU_DEP_1) | instskip(NEXT) | instid1(VALU_DEP_1)
	v_fma_f64 v[110:111], v[110:111], v[122:123], v[110:111]
	v_mul_f64 v[122:123], v[124:125], v[110:111]
	s_delay_alu instid0(VALU_DEP_1) | instskip(NEXT) | instid1(VALU_DEP_1)
	v_fma_f64 v[108:109], -v[108:109], v[122:123], v[124:125]
	v_div_fmas_f64 v[108:109], v[108:109], v[110:111], v[122:123]
	s_delay_alu instid0(VALU_DEP_1) | instskip(NEXT) | instid1(VALU_DEP_1)
	v_div_fixup_f64 v[108:109], v[108:109], v[104:105], v[106:107]
	v_fma_f64 v[104:105], v[106:107], v[108:109], v[104:105]
	s_delay_alu instid0(VALU_DEP_1) | instskip(NEXT) | instid1(VALU_DEP_1)
	v_div_scale_f64 v[106:107], null, v[104:105], v[104:105], 1.0
	v_rcp_f64_e32 v[110:111], v[106:107]
	s_waitcnt_depctr 0xfff
	v_fma_f64 v[122:123], -v[106:107], v[110:111], 1.0
	s_delay_alu instid0(VALU_DEP_1) | instskip(NEXT) | instid1(VALU_DEP_1)
	v_fma_f64 v[110:111], v[110:111], v[122:123], v[110:111]
	v_fma_f64 v[122:123], -v[106:107], v[110:111], 1.0
	s_delay_alu instid0(VALU_DEP_1) | instskip(SKIP_1) | instid1(VALU_DEP_1)
	v_fma_f64 v[110:111], v[110:111], v[122:123], v[110:111]
	v_div_scale_f64 v[122:123], vcc_lo, 1.0, v[104:105], 1.0
	v_mul_f64 v[124:125], v[122:123], v[110:111]
	s_delay_alu instid0(VALU_DEP_1) | instskip(NEXT) | instid1(VALU_DEP_1)
	v_fma_f64 v[106:107], -v[106:107], v[124:125], v[122:123]
	v_div_fmas_f64 v[106:107], v[106:107], v[110:111], v[124:125]
	s_delay_alu instid0(VALU_DEP_1) | instskip(NEXT) | instid1(VALU_DEP_1)
	v_div_fixup_f64 v[104:105], v[106:107], v[104:105], 1.0
	v_mul_f64 v[106:107], v[108:109], -v[104:105]
.LBB50_30:
	s_or_b32 exec_lo, exec_lo, s2
	v_mov_b32_e32 v119, v121
.LBB50_31:
	s_or_b32 exec_lo, exec_lo, s3
	s_delay_alu instid0(SALU_CYCLE_1)
	s_mov_b32 s2, exec_lo
	v_cmpx_ne_u32_e64 v120, v112
	s_xor_b32 s2, exec_lo, s2
	s_cbranch_execz .LBB50_37
; %bb.32:
	s_mov_b32 s3, exec_lo
	v_cmpx_eq_u32_e32 1, v120
	s_cbranch_execz .LBB50_36
; %bb.33:
	v_cmp_ne_u32_e32 vcc_lo, 1, v112
	s_xor_b32 s6, s4, -1
	s_delay_alu instid0(SALU_CYCLE_1) | instskip(NEXT) | instid1(SALU_CYCLE_1)
	s_and_b32 s7, s6, vcc_lo
	s_and_saveexec_b32 s6, s7
	s_cbranch_execz .LBB50_35
; %bb.34:
	v_ashrrev_i32_e32 v113, 31, v112
	s_delay_alu instid0(VALU_DEP_1) | instskip(NEXT) | instid1(VALU_DEP_1)
	v_lshlrev_b64 v[108:109], 2, v[112:113]
	v_add_co_u32 v108, vcc_lo, v94, v108
	s_delay_alu instid0(VALU_DEP_2)
	v_add_co_ci_u32_e32 v109, vcc_lo, v95, v109, vcc_lo
	s_clause 0x1
	flat_load_b32 v52, v[108:109]
	flat_load_b32 v53, v[94:95] offset:4
	s_waitcnt vmcnt(1) lgkmcnt(1)
	flat_store_b32 v[94:95], v52 offset:4
	s_waitcnt vmcnt(0) lgkmcnt(1)
	flat_store_b32 v[108:109], v53
.LBB50_35:
	s_or_b32 exec_lo, exec_lo, s6
	v_mov_b32_e32 v120, v112
	v_mov_b32_e32 v93, v112
.LBB50_36:
	s_or_b32 exec_lo, exec_lo, s3
.LBB50_37:
	s_and_not1_saveexec_b32 s2, s2
	s_cbranch_execz .LBB50_39
; %bb.38:
	ds_store_2addr_b64 v114, v[96:97], v[98:99] offset0:4 offset1:5
	ds_store_2addr_b64 v114, v[245:246], v[247:248] offset0:6 offset1:7
	scratch_load_b128 v[28:31], off, off    ; 16-byte Folded Reload
	v_mov_b32_e32 v120, 1
	s_waitcnt vmcnt(0)
	ds_store_2addr_b64 v114, v[28:29], v[30:31] offset0:8 offset1:9
	ds_store_2addr_b64 v114, v[88:89], v[90:91] offset0:10 offset1:11
	;; [unrolled: 1-line block ×22, first 2 shown]
.LBB50_39:
	s_or_b32 exec_lo, exec_lo, s2
	s_delay_alu instid0(SALU_CYCLE_1)
	s_mov_b32 s2, exec_lo
	s_waitcnt lgkmcnt(0)
	s_waitcnt_vscnt null, 0x0
	s_barrier
	buffer_gl0_inv
	v_cmpx_lt_i32_e32 1, v120
	s_cbranch_execz .LBB50_41
; %bb.40:
	scratch_load_b128 v[28:31], off, off offset:16 ; 16-byte Folded Reload
	ds_load_2addr_b64 v[121:124], v114 offset0:4 offset1:5
	ds_load_2addr_b64 v[125:128], v114 offset0:6 offset1:7
	;; [unrolled: 1-line block ×12, first 2 shown]
	v_dual_mov_b32 v118, v67 :: v_dual_mov_b32 v117, v66
	v_dual_mov_b32 v116, v65 :: v_dual_mov_b32 v115, v64
	;; [unrolled: 1-line block ×18, first 2 shown]
	s_waitcnt vmcnt(0)
	v_mul_f64 v[108:109], v[104:105], v[30:31]
	v_mul_f64 v[110:111], v[106:107], v[30:31]
	s_delay_alu instid0(VALU_DEP_2) | instskip(NEXT) | instid1(VALU_DEP_2)
	v_fma_f64 v[30:31], v[106:107], v[28:29], v[108:109]
	v_fma_f64 v[28:29], v[104:105], v[28:29], -v[110:111]
	s_waitcnt lgkmcnt(11)
	s_delay_alu instid0(VALU_DEP_2)
	v_mul_f64 v[52:53], v[121:122], v[30:31]
	s_waitcnt lgkmcnt(0)
	v_mul_f64 v[88:89], v[167:168], v[30:31]
	v_mul_f64 v[90:91], v[165:166], v[30:31]
	;; [unrolled: 1-line block ×21, first 2 shown]
	scratch_store_b64 off, v[52:53], off offset:16 ; 8-byte Folded Spill
	v_dual_mov_b32 v55, v3 :: v_dual_mov_b32 v54, v2
	v_dual_mov_b32 v53, v1 :: v_dual_mov_b32 v52, v0
	;; [unrolled: 1-line block ×29, first 2 shown]
	v_mul_f64 v[94:95], v[123:124], v[30:31]
	ds_load_2addr_b64 v[104:107], v114 offset0:28 offset1:29
	ds_load_2addr_b64 v[169:172], v114 offset0:30 offset1:31
	ds_load_2addr_b64 v[173:176], v114 offset0:32 offset1:33
	ds_load_2addr_b64 v[177:180], v114 offset0:34 offset1:35
	ds_load_2addr_b64 v[181:184], v114 offset0:36 offset1:37
	ds_load_2addr_b64 v[185:188], v114 offset0:38 offset1:39
	ds_load_2addr_b64 v[189:192], v114 offset0:40 offset1:41
	ds_load_2addr_b64 v[193:196], v114 offset0:42 offset1:43
	ds_load_2addr_b64 v[197:200], v114 offset0:44 offset1:45
	ds_load_2addr_b64 v[201:204], v114 offset0:46 offset1:47
	ds_load_2addr_b64 v[205:208], v114 offset0:48 offset1:49
	ds_load_2addr_b64 v[209:212], v114 offset0:50 offset1:51
	v_fma_f64 v[165:166], v[165:166], v[28:29], -v[88:89]
	v_fma_f64 v[167:168], v[167:168], v[28:29], v[90:91]
	v_dual_mov_b32 v91, v83 :: v_dual_mov_b32 v90, v82
	v_dual_mov_b32 v89, v81 :: v_dual_mov_b32 v88, v80
	;; [unrolled: 1-line block ×15, first 2 shown]
	v_fma_f64 v[94:95], v[121:122], v[28:29], -v[94:95]
	v_dual_mov_b32 v66, v117 :: v_dual_mov_b32 v67, v118
	v_mul_f64 v[96:97], v[159:160], v[30:31]
	s_waitcnt lgkmcnt(11)
	v_mul_f64 v[110:111], v[104:105], v[30:31]
	v_fma_f64 v[112:113], v[125:126], v[28:29], -v[112:113]
	v_fma_f64 v[125:126], v[127:128], v[28:29], v[213:214]
	s_waitcnt lgkmcnt(9)
	v_mul_f64 v[213:214], v[173:174], v[30:31]
	v_fma_f64 v[137:138], v[137:138], v[28:29], -v[223:224]
	s_waitcnt lgkmcnt(6)
	v_mul_f64 v[223:224], v[187:188], v[30:31]
	v_fma_f64 v[147:148], v[147:148], v[28:29], v[233:234]
	s_waitcnt lgkmcnt(4)
	v_mul_f64 v[233:234], v[193:194], v[30:31]
	v_mul_f64 v[108:109], v[106:107], v[30:31]
	;; [unrolled: 1-line block ×3, first 2 shown]
	v_fma_f64 v[139:140], v[139:140], v[28:29], v[225:226]
	v_mul_f64 v[225:226], v[185:186], v[30:31]
	v_fma_f64 v[145:146], v[145:146], v[28:29], -v[231:232]
	v_mul_f64 v[231:232], v[195:196], v[30:31]
	v_mul_f64 v[121:122], v[171:172], v[30:31]
	v_fma_f64 v[129:130], v[129:130], v[28:29], -v[215:216]
	v_fma_f64 v[131:132], v[131:132], v[28:29], v[217:218]
	v_mul_f64 v[215:216], v[179:180], v[30:31]
	v_mul_f64 v[217:218], v[177:178], v[30:31]
	v_fma_f64 v[133:134], v[133:134], v[28:29], -v[219:220]
	v_fma_f64 v[135:136], v[135:136], v[28:29], v[221:222]
	;; [unrolled: 4-line block ×4, first 2 shown]
	s_waitcnt lgkmcnt(3)
	v_mul_f64 v[235:236], v[199:200], v[30:31]
	v_mul_f64 v[237:238], v[197:198], v[30:31]
	v_fma_f64 v[153:154], v[153:154], v[28:29], -v[239:240]
	v_fma_f64 v[155:156], v[155:156], v[28:29], v[241:242]
	s_waitcnt lgkmcnt(2)
	v_mul_f64 v[239:240], v[203:204], v[30:31]
	scratch_store_b64 off, v[94:95], off offset:36 ; 8-byte Folded Spill
	s_clause 0x1
	scratch_load_b64 v[94:95], off, off offset:16
	scratch_load_b64 v[115:116], off, off offset:36
	v_fma_f64 v[157:158], v[157:158], v[28:29], -v[96:97]
	s_waitcnt lgkmcnt(1)
	v_mul_f64 v[96:97], v[207:208], v[30:31]
	v_fma_f64 v[110:111], v[106:107], v[28:29], v[110:111]
	v_mul_f64 v[241:242], v[201:202], v[30:31]
	v_fma_f64 v[159:160], v[159:160], v[28:29], v[245:246]
	v_mul_f64 v[245:246], v[205:206], v[30:31]
	v_fma_f64 v[161:162], v[161:162], v[28:29], -v[247:248]
	v_fma_f64 v[163:164], v[163:164], v[28:29], v[249:250]
	s_waitcnt lgkmcnt(0)
	v_mul_f64 v[247:248], v[211:212], v[30:31]
	v_mul_f64 v[249:250], v[209:210], v[30:31]
	v_fma_f64 v[108:109], v[104:105], v[28:29], -v[108:109]
	v_add_f64 v[80:81], v[80:81], -v[137:138]
	v_add_f64 v[82:83], v[82:83], -v[139:140]
	v_add_f64 v[84:85], v[84:85], -v[145:146]
	v_add_f64 v[86:87], v[86:87], -v[147:148]
	v_fma_f64 v[104:105], v[169:170], v[28:29], -v[121:122]
	v_fma_f64 v[121:122], v[173:174], v[28:29], -v[127:128]
	;; [unrolled: 1-line block ×3, first 2 shown]
	v_fma_f64 v[177:178], v[187:188], v[28:29], v[225:226]
	v_add_f64 v[88:89], v[88:89], -v[133:134]
	v_add_f64 v[90:91], v[90:91], -v[135:136]
	v_fma_f64 v[173:174], v[183:184], v[28:29], v[221:222]
	v_fma_f64 v[183:184], v[193:194], v[28:29], -v[231:232]
	v_add_f64 v[76:77], v[76:77], -v[141:142]
	v_add_f64 v[78:79], v[78:79], -v[143:144]
	;; [unrolled: 1-line block ×4, first 2 shown]
	v_fma_f64 v[187:188], v[197:198], v[28:29], -v[235:236]
	v_add_f64 v[72:73], v[72:73], -v[153:154]
	v_add_f64 v[74:75], v[74:75], -v[155:156]
	;; [unrolled: 1-line block ×3, first 2 shown]
	v_fma_f64 v[193:194], v[203:204], v[28:29], v[241:242]
	v_add_f64 v[58:59], v[58:59], -v[159:160]
	v_fma_f64 v[197:198], v[207:208], v[28:29], v[245:246]
	v_add_f64 v[64:65], v[64:65], -v[161:162]
	v_add_f64 v[66:67], v[66:67], -v[163:164]
	s_waitcnt vmcnt(1)
	v_fma_f64 v[94:95], v[123:124], v[28:29], v[94:95]
	v_mul_f64 v[123:124], v[169:170], v[30:31]
	v_fma_f64 v[169:170], v[179:180], v[28:29], v[217:218]
	v_fma_f64 v[179:180], v[189:190], v[28:29], -v[227:228]
	v_fma_f64 v[189:190], v[199:200], v[28:29], v[237:238]
	v_fma_f64 v[199:200], v[209:210], v[28:29], -v[247:248]
	v_dual_mov_b32 v245, v251 :: v_dual_mov_b32 v246, v252
	v_dual_mov_b32 v247, v253 :: v_dual_mov_b32 v248, v254
	s_delay_alu instid0(VALU_DEP_2) | instskip(NEXT) | instid1(VALU_DEP_2)
	v_add_f64 v[245:246], v[245:246], -v[112:113]
	v_add_f64 v[247:248], v[247:248], -v[125:126]
	scratch_store_b64 off, v[94:95], off offset:16 ; 8-byte Folded Spill
	v_fma_f64 v[106:107], v[171:172], v[28:29], v[123:124]
	v_fma_f64 v[123:124], v[175:176], v[28:29], v[213:214]
	v_fma_f64 v[175:176], v[185:186], v[28:29], -v[223:224]
	v_fma_f64 v[185:186], v[195:196], v[28:29], v[233:234]
	v_fma_f64 v[195:196], v[205:206], v[28:29], -v[96:97]
	v_dual_mov_b32 v94, v98 :: v_dual_mov_b32 v95, v99
	v_dual_mov_b32 v99, v63 :: v_dual_mov_b32 v98, v62
	v_dual_mov_b32 v97, v61 :: v_dual_mov_b32 v96, v60
	v_dual_mov_b32 v63, v51 :: v_dual_mov_b32 v62, v50
	v_dual_mov_b32 v61, v49 :: v_dual_mov_b32 v60, v48
	v_dual_mov_b32 v51, v47 :: v_dual_mov_b32 v50, v46
	v_dual_mov_b32 v49, v45 :: v_dual_mov_b32 v48, v44
	v_dual_mov_b32 v47, v43 :: v_dual_mov_b32 v46, v42
	v_dual_mov_b32 v45, v41 :: v_dual_mov_b32 v44, v40
	v_dual_mov_b32 v43, v39 :: v_dual_mov_b32 v42, v38
	v_dual_mov_b32 v41, v37 :: v_dual_mov_b32 v40, v36
	v_dual_mov_b32 v39, v35 :: v_dual_mov_b32 v38, v34
	v_dual_mov_b32 v37, v33 :: v_dual_mov_b32 v36, v32
	v_dual_mov_b32 v35, v27 :: v_dual_mov_b32 v34, v26
	v_dual_mov_b32 v33, v25 :: v_dual_mov_b32 v32, v24
	v_dual_mov_b32 v27, v23 :: v_dual_mov_b32 v26, v22
	v_dual_mov_b32 v25, v21 :: v_dual_mov_b32 v24, v20
	v_dual_mov_b32 v23, v19 :: v_dual_mov_b32 v22, v18
	v_dual_mov_b32 v21, v17 :: v_dual_mov_b32 v20, v16
	v_dual_mov_b32 v19, v15 :: v_dual_mov_b32 v18, v14
	v_dual_mov_b32 v17, v13 :: v_dual_mov_b32 v16, v12
	v_dual_mov_b32 v15, v11 :: v_dual_mov_b32 v14, v10
	v_dual_mov_b32 v13, v9 :: v_dual_mov_b32 v12, v8
	v_dual_mov_b32 v11, v7 :: v_dual_mov_b32 v10, v6
	v_dual_mov_b32 v9, v5 :: v_dual_mov_b32 v8, v4
	v_dual_mov_b32 v7, v3 :: v_dual_mov_b32 v6, v2
	v_dual_mov_b32 v5, v1 :: v_dual_mov_b32 v4, v0
	v_dual_mov_b32 v0, v52 :: v_dual_mov_b32 v1, v53
	v_dual_mov_b32 v2, v54 :: v_dual_mov_b32 v3, v55
	scratch_load_b128 v[52:55], off, off    ; 16-byte Folded Reload
	s_waitcnt vmcnt(1)
	v_add_f64 v[96:97], v[96:97], -v[115:116]
	scratch_load_b64 v[115:116], off, off offset:16 ; 8-byte Folded Reload
	v_fma_f64 v[171:172], v[181:182], v[28:29], -v[219:220]
	v_fma_f64 v[181:182], v[191:192], v[28:29], v[229:230]
	v_fma_f64 v[191:192], v[201:202], v[28:29], -v[239:240]
	v_fma_f64 v[201:202], v[211:212], v[28:29], v[249:250]
	v_add_f64 v[60:61], v[60:61], -v[165:166]
	v_add_f64 v[62:63], v[62:63], -v[167:168]
	;; [unrolled: 1-line block ×22, first 2 shown]
	scratch_store_b128 off, v[28:31], off offset:16 ; 16-byte Folded Spill
	v_add_f64 v[32:33], v[32:33], -v[171:172]
	v_add_f64 v[22:23], v[22:23], -v[181:182]
	;; [unrolled: 1-line block ×4, first 2 shown]
	s_waitcnt vmcnt(1)
	v_add_f64 v[52:53], v[52:53], -v[129:130]
	v_add_f64 v[54:55], v[54:55], -v[131:132]
	s_waitcnt vmcnt(0)
	v_add_f64 v[98:99], v[98:99], -v[115:116]
	scratch_store_b128 off, v[52:55], off   ; 16-byte Folded Spill
.LBB50_41:
	s_or_b32 exec_lo, exec_lo, s2
	v_lshl_add_u32 v52, v120, 4, v114
	s_waitcnt_vscnt null, 0x0
	s_barrier
	buffer_gl0_inv
	v_mov_b32_e32 v112, 2
	ds_store_2addr_b64 v52, v[96:97], v[98:99] offset1:1
	s_waitcnt lgkmcnt(0)
	s_barrier
	buffer_gl0_inv
	ds_load_2addr_b64 v[104:107], v114 offset0:4 offset1:5
	s_cmp_lt_i32 s5, 4
	s_cbranch_scc1 .LBB50_44
; %bb.42:
	v_add3_u32 v113, v92, 0, 48
	v_mov_b32_e32 v112, 2
	s_mov_b32 s6, 3
	s_set_inst_prefetch_distance 0x1
	.p2align	6
.LBB50_43:                              ; =>This Inner Loop Header: Depth=1
	ds_load_2addr_b64 v[121:124], v113 offset1:1
	s_waitcnt lgkmcnt(1)
	v_cmp_gt_f64_e32 vcc_lo, 0, v[104:105]
	v_xor_b32_e32 v52, 0x80000000, v105
	v_cmp_gt_f64_e64 s2, 0, v[106:107]
	v_xor_b32_e32 v54, 0x80000000, v107
	v_add_nc_u32_e32 v113, 16, v113
	s_waitcnt lgkmcnt(0)
	v_cmp_gt_f64_e64 s3, 0, v[121:122]
	v_mov_b32_e32 v108, v121
	v_dual_mov_b32 v110, v123 :: v_dual_cndmask_b32 v53, v105, v52
	v_xor_b32_e32 v52, 0x80000000, v122
	v_cndmask_b32_e64 v55, v107, v54, s2
	v_xor_b32_e32 v54, 0x80000000, v124
	s_delay_alu instid0(VALU_DEP_3) | instskip(SKIP_2) | instid1(VALU_DEP_2)
	v_cndmask_b32_e64 v109, v122, v52, s3
	v_cmp_gt_f64_e64 s3, 0, v[123:124]
	v_cndmask_b32_e32 v52, v104, v104, vcc_lo
	v_cndmask_b32_e64 v111, v124, v54, s3
	v_cndmask_b32_e64 v54, v106, v106, s2
	s_delay_alu instid0(VALU_DEP_2) | instskip(NEXT) | instid1(VALU_DEP_2)
	v_add_f64 v[108:109], v[108:109], v[110:111]
	v_add_f64 v[52:53], v[52:53], v[54:55]
	s_delay_alu instid0(VALU_DEP_1) | instskip(SKIP_4) | instid1(SALU_CYCLE_1)
	v_cmp_lt_f64_e32 vcc_lo, v[52:53], v[108:109]
	v_dual_cndmask_b32 v105, v105, v122 :: v_dual_cndmask_b32 v104, v104, v121
	v_dual_cndmask_b32 v107, v107, v124 :: v_dual_cndmask_b32 v106, v106, v123
	v_cndmask_b32_e64 v112, v112, s6, vcc_lo
	s_add_i32 s6, s6, 1
	s_cmp_lg_u32 s5, s6
	s_cbranch_scc1 .LBB50_43
.LBB50_44:
	s_set_inst_prefetch_distance 0x2
	s_waitcnt lgkmcnt(0)
	v_cmp_eq_f64_e32 vcc_lo, 0, v[104:105]
	v_cmp_eq_f64_e64 s2, 0, v[106:107]
	s_delay_alu instid0(VALU_DEP_1) | instskip(NEXT) | instid1(SALU_CYCLE_1)
	s_and_b32 s2, vcc_lo, s2
	s_and_saveexec_b32 s3, s2
	s_delay_alu instid0(SALU_CYCLE_1)
	s_xor_b32 s2, exec_lo, s3
; %bb.45:
	v_cmp_ne_u32_e32 vcc_lo, 0, v119
	v_cndmask_b32_e32 v119, 3, v119, vcc_lo
; %bb.46:
	s_and_not1_saveexec_b32 s3, s2
	s_cbranch_execz .LBB50_52
; %bb.47:
	v_cmp_gt_f64_e32 vcc_lo, 0, v[104:105]
	v_cmp_gt_f64_e64 s2, 0, v[106:107]
	v_xor_b32_e32 v52, 0x80000000, v105
	v_xor_b32_e32 v54, 0x80000000, v107
	s_delay_alu instid0(VALU_DEP_2) | instskip(NEXT) | instid1(VALU_DEP_2)
	v_cndmask_b32_e32 v53, v105, v52, vcc_lo
	v_cndmask_b32_e64 v55, v107, v54, s2
	v_cndmask_b32_e32 v52, v104, v104, vcc_lo
	v_cndmask_b32_e64 v54, v106, v106, s2
	s_mov_b32 s2, exec_lo
	s_delay_alu instid0(VALU_DEP_1)
	v_cmpx_ngt_f64_e32 v[52:53], v[54:55]
	s_xor_b32 s2, exec_lo, s2
	s_cbranch_execz .LBB50_49
; %bb.48:
	v_div_scale_f64 v[52:53], null, v[106:107], v[106:107], v[104:105]
	v_div_scale_f64 v[110:111], vcc_lo, v[104:105], v[106:107], v[104:105]
	s_delay_alu instid0(VALU_DEP_2) | instskip(SKIP_2) | instid1(VALU_DEP_1)
	v_rcp_f64_e32 v[54:55], v[52:53]
	s_waitcnt_depctr 0xfff
	v_fma_f64 v[108:109], -v[52:53], v[54:55], 1.0
	v_fma_f64 v[54:55], v[54:55], v[108:109], v[54:55]
	s_delay_alu instid0(VALU_DEP_1) | instskip(NEXT) | instid1(VALU_DEP_1)
	v_fma_f64 v[108:109], -v[52:53], v[54:55], 1.0
	v_fma_f64 v[54:55], v[54:55], v[108:109], v[54:55]
	s_delay_alu instid0(VALU_DEP_1) | instskip(NEXT) | instid1(VALU_DEP_1)
	v_mul_f64 v[108:109], v[110:111], v[54:55]
	v_fma_f64 v[52:53], -v[52:53], v[108:109], v[110:111]
	s_delay_alu instid0(VALU_DEP_1) | instskip(NEXT) | instid1(VALU_DEP_1)
	v_div_fmas_f64 v[52:53], v[52:53], v[54:55], v[108:109]
	v_div_fixup_f64 v[52:53], v[52:53], v[106:107], v[104:105]
	s_delay_alu instid0(VALU_DEP_1) | instskip(NEXT) | instid1(VALU_DEP_1)
	v_fma_f64 v[54:55], v[104:105], v[52:53], v[106:107]
	v_div_scale_f64 v[104:105], null, v[54:55], v[54:55], 1.0
	s_delay_alu instid0(VALU_DEP_1) | instskip(SKIP_2) | instid1(VALU_DEP_1)
	v_rcp_f64_e32 v[106:107], v[104:105]
	s_waitcnt_depctr 0xfff
	v_fma_f64 v[108:109], -v[104:105], v[106:107], 1.0
	v_fma_f64 v[106:107], v[106:107], v[108:109], v[106:107]
	s_delay_alu instid0(VALU_DEP_1) | instskip(NEXT) | instid1(VALU_DEP_1)
	v_fma_f64 v[108:109], -v[104:105], v[106:107], 1.0
	v_fma_f64 v[106:107], v[106:107], v[108:109], v[106:107]
	v_div_scale_f64 v[108:109], vcc_lo, 1.0, v[54:55], 1.0
	s_delay_alu instid0(VALU_DEP_1) | instskip(NEXT) | instid1(VALU_DEP_1)
	v_mul_f64 v[110:111], v[108:109], v[106:107]
	v_fma_f64 v[104:105], -v[104:105], v[110:111], v[108:109]
	s_delay_alu instid0(VALU_DEP_1) | instskip(NEXT) | instid1(VALU_DEP_1)
	v_div_fmas_f64 v[104:105], v[104:105], v[106:107], v[110:111]
	v_div_fixup_f64 v[106:107], v[104:105], v[54:55], 1.0
	s_delay_alu instid0(VALU_DEP_1)
	v_mul_f64 v[104:105], v[52:53], v[106:107]
	v_xor_b32_e32 v107, 0x80000000, v107
.LBB50_49:
	s_and_not1_saveexec_b32 s2, s2
	s_cbranch_execz .LBB50_51
; %bb.50:
	s_delay_alu instid0(VALU_DEP_1) | instskip(SKIP_1) | instid1(VALU_DEP_2)
	v_div_scale_f64 v[52:53], null, v[104:105], v[104:105], v[106:107]
	v_div_scale_f64 v[110:111], vcc_lo, v[106:107], v[104:105], v[106:107]
	v_rcp_f64_e32 v[54:55], v[52:53]
	s_waitcnt_depctr 0xfff
	v_fma_f64 v[108:109], -v[52:53], v[54:55], 1.0
	s_delay_alu instid0(VALU_DEP_1) | instskip(NEXT) | instid1(VALU_DEP_1)
	v_fma_f64 v[54:55], v[54:55], v[108:109], v[54:55]
	v_fma_f64 v[108:109], -v[52:53], v[54:55], 1.0
	s_delay_alu instid0(VALU_DEP_1) | instskip(NEXT) | instid1(VALU_DEP_1)
	v_fma_f64 v[54:55], v[54:55], v[108:109], v[54:55]
	v_mul_f64 v[108:109], v[110:111], v[54:55]
	s_delay_alu instid0(VALU_DEP_1) | instskip(NEXT) | instid1(VALU_DEP_1)
	v_fma_f64 v[52:53], -v[52:53], v[108:109], v[110:111]
	v_div_fmas_f64 v[52:53], v[52:53], v[54:55], v[108:109]
	s_delay_alu instid0(VALU_DEP_1) | instskip(NEXT) | instid1(VALU_DEP_1)
	v_div_fixup_f64 v[52:53], v[52:53], v[104:105], v[106:107]
	v_fma_f64 v[54:55], v[106:107], v[52:53], v[104:105]
	s_delay_alu instid0(VALU_DEP_1) | instskip(NEXT) | instid1(VALU_DEP_1)
	v_div_scale_f64 v[104:105], null, v[54:55], v[54:55], 1.0
	v_rcp_f64_e32 v[106:107], v[104:105]
	s_waitcnt_depctr 0xfff
	v_fma_f64 v[108:109], -v[104:105], v[106:107], 1.0
	s_delay_alu instid0(VALU_DEP_1) | instskip(NEXT) | instid1(VALU_DEP_1)
	v_fma_f64 v[106:107], v[106:107], v[108:109], v[106:107]
	v_fma_f64 v[108:109], -v[104:105], v[106:107], 1.0
	s_delay_alu instid0(VALU_DEP_1) | instskip(SKIP_1) | instid1(VALU_DEP_1)
	v_fma_f64 v[106:107], v[106:107], v[108:109], v[106:107]
	v_div_scale_f64 v[108:109], vcc_lo, 1.0, v[54:55], 1.0
	v_mul_f64 v[110:111], v[108:109], v[106:107]
	s_delay_alu instid0(VALU_DEP_1) | instskip(NEXT) | instid1(VALU_DEP_1)
	v_fma_f64 v[104:105], -v[104:105], v[110:111], v[108:109]
	v_div_fmas_f64 v[104:105], v[104:105], v[106:107], v[110:111]
	s_delay_alu instid0(VALU_DEP_1) | instskip(NEXT) | instid1(VALU_DEP_1)
	v_div_fixup_f64 v[104:105], v[104:105], v[54:55], 1.0
	v_mul_f64 v[106:107], v[52:53], -v[104:105]
.LBB50_51:
	s_or_b32 exec_lo, exec_lo, s2
.LBB50_52:
	s_delay_alu instid0(SALU_CYCLE_1) | instskip(NEXT) | instid1(SALU_CYCLE_1)
	s_or_b32 exec_lo, exec_lo, s3
	s_mov_b32 s2, exec_lo
	v_cmpx_ne_u32_e64 v120, v112
	s_xor_b32 s2, exec_lo, s2
	s_cbranch_execz .LBB50_58
; %bb.53:
	s_mov_b32 s3, exec_lo
	v_cmpx_eq_u32_e32 2, v120
	s_cbranch_execz .LBB50_57
; %bb.54:
	v_cmp_ne_u32_e32 vcc_lo, 2, v112
	s_xor_b32 s6, s4, -1
	s_delay_alu instid0(SALU_CYCLE_1) | instskip(NEXT) | instid1(SALU_CYCLE_1)
	s_and_b32 s7, s6, vcc_lo
	s_and_saveexec_b32 s6, s7
	s_cbranch_execz .LBB50_56
; %bb.55:
	v_ashrrev_i32_e32 v113, 31, v112
	s_delay_alu instid0(VALU_DEP_1) | instskip(NEXT) | instid1(VALU_DEP_1)
	v_lshlrev_b64 v[52:53], 2, v[112:113]
	v_add_co_u32 v52, vcc_lo, v94, v52
	s_delay_alu instid0(VALU_DEP_2)
	v_add_co_ci_u32_e32 v53, vcc_lo, v95, v53, vcc_lo
	s_clause 0x1
	flat_load_b32 v54, v[52:53]
	flat_load_b32 v55, v[94:95] offset:8
	s_waitcnt vmcnt(1) lgkmcnt(1)
	flat_store_b32 v[94:95], v54 offset:8
	s_waitcnt vmcnt(0) lgkmcnt(1)
	flat_store_b32 v[52:53], v55
.LBB50_56:
	s_or_b32 exec_lo, exec_lo, s6
	v_mov_b32_e32 v120, v112
	v_mov_b32_e32 v93, v112
.LBB50_57:
	s_or_b32 exec_lo, exec_lo, s3
.LBB50_58:
	s_and_not1_saveexec_b32 s2, s2
	s_cbranch_execz .LBB50_60
; %bb.59:
	scratch_load_b128 v[28:31], off, off    ; 16-byte Folded Reload
	v_mov_b32_e32 v120, 2
	ds_store_2addr_b64 v114, v[245:246], v[247:248] offset0:6 offset1:7
	s_waitcnt vmcnt(0)
	ds_store_2addr_b64 v114, v[28:29], v[30:31] offset0:8 offset1:9
	ds_store_2addr_b64 v114, v[88:89], v[90:91] offset0:10 offset1:11
	;; [unrolled: 1-line block ×22, first 2 shown]
.LBB50_60:
	s_or_b32 exec_lo, exec_lo, s2
	s_delay_alu instid0(SALU_CYCLE_1)
	s_mov_b32 s2, exec_lo
	s_waitcnt lgkmcnt(0)
	s_waitcnt_vscnt null, 0x0
	s_barrier
	buffer_gl0_inv
	v_cmpx_lt_i32_e32 2, v120
	s_cbranch_execz .LBB50_62
; %bb.61:
	v_mul_f64 v[54:55], v[104:105], v[98:99]
	v_mul_f64 v[52:53], v[106:107], v[98:99]
	v_dual_mov_b32 v204, v103 :: v_dual_mov_b32 v203, v102
	v_dual_mov_b32 v202, v101 :: v_dual_mov_b32 v201, v100
	s_delay_alu instid0(VALU_DEP_4) | instskip(NEXT) | instid1(VALU_DEP_4)
	v_fma_f64 v[98:99], v[106:107], v[96:97], v[54:55]
	v_fma_f64 v[52:53], v[104:105], v[96:97], -v[52:53]
	ds_load_2addr_b64 v[104:107], v114 offset0:6 offset1:7
	ds_load_2addr_b64 v[121:124], v114 offset0:8 offset1:9
	s_waitcnt lgkmcnt(1)
	v_mul_f64 v[54:55], v[106:107], v[98:99]
	v_mul_f64 v[100:101], v[104:105], v[98:99]
	v_dual_mov_b32 v97, v53 :: v_dual_mov_b32 v96, v52
	s_delay_alu instid0(VALU_DEP_3) | instskip(SKIP_2) | instid1(VALU_DEP_4)
	v_fma_f64 v[54:55], v[104:105], v[52:53], -v[54:55]
	s_waitcnt lgkmcnt(0)
	v_mul_f64 v[104:105], v[123:124], v[98:99]
	v_fma_f64 v[100:101], v[106:107], v[52:53], v[100:101]
	s_delay_alu instid0(VALU_DEP_3) | instskip(NEXT) | instid1(VALU_DEP_3)
	v_add_f64 v[245:246], v[245:246], -v[54:55]
	v_fma_f64 v[108:109], v[121:122], v[52:53], -v[104:105]
	v_mul_f64 v[104:105], v[121:122], v[98:99]
	s_delay_alu instid0(VALU_DEP_4) | instskip(SKIP_2) | instid1(VALU_DEP_4)
	v_add_f64 v[247:248], v[247:248], -v[100:101]
	v_dual_mov_b32 v100, v201 :: v_dual_mov_b32 v101, v202
	v_dual_mov_b32 v102, v203 :: v_dual_mov_b32 v103, v204
	v_fma_f64 v[110:111], v[123:124], v[52:53], v[104:105]
	ds_load_2addr_b64 v[104:107], v114 offset0:10 offset1:11
	ds_load_2addr_b64 v[121:124], v114 offset0:12 offset1:13
	s_waitcnt lgkmcnt(1)
	v_mul_f64 v[112:113], v[106:107], v[98:99]
	s_delay_alu instid0(VALU_DEP_1) | instskip(SKIP_1) | instid1(VALU_DEP_2)
	v_fma_f64 v[112:113], v[104:105], v[52:53], -v[112:113]
	v_mul_f64 v[104:105], v[104:105], v[98:99]
	v_add_f64 v[88:89], v[88:89], -v[112:113]
	s_delay_alu instid0(VALU_DEP_2) | instskip(SKIP_2) | instid1(VALU_DEP_2)
	v_fma_f64 v[125:126], v[106:107], v[52:53], v[104:105]
	s_waitcnt lgkmcnt(0)
	v_mul_f64 v[104:105], v[123:124], v[98:99]
	v_add_f64 v[90:91], v[90:91], -v[125:126]
	s_delay_alu instid0(VALU_DEP_2) | instskip(SKIP_1) | instid1(VALU_DEP_2)
	v_fma_f64 v[127:128], v[121:122], v[52:53], -v[104:105]
	v_mul_f64 v[104:105], v[121:122], v[98:99]
	v_add_f64 v[80:81], v[80:81], -v[127:128]
	s_delay_alu instid0(VALU_DEP_2)
	v_fma_f64 v[129:130], v[123:124], v[52:53], v[104:105]
	ds_load_2addr_b64 v[104:107], v114 offset0:14 offset1:15
	ds_load_2addr_b64 v[121:124], v114 offset0:16 offset1:17
	s_waitcnt lgkmcnt(1)
	v_mul_f64 v[131:132], v[106:107], v[98:99]
	v_add_f64 v[82:83], v[82:83], -v[129:130]
	s_delay_alu instid0(VALU_DEP_2) | instskip(SKIP_1) | instid1(VALU_DEP_2)
	v_fma_f64 v[131:132], v[104:105], v[52:53], -v[131:132]
	v_mul_f64 v[104:105], v[104:105], v[98:99]
	v_add_f64 v[76:77], v[76:77], -v[131:132]
	s_delay_alu instid0(VALU_DEP_2) | instskip(SKIP_2) | instid1(VALU_DEP_2)
	v_fma_f64 v[133:134], v[106:107], v[52:53], v[104:105]
	s_waitcnt lgkmcnt(0)
	v_mul_f64 v[104:105], v[123:124], v[98:99]
	v_add_f64 v[78:79], v[78:79], -v[133:134]
	s_delay_alu instid0(VALU_DEP_2) | instskip(SKIP_1) | instid1(VALU_DEP_2)
	v_fma_f64 v[135:136], v[121:122], v[52:53], -v[104:105]
	v_mul_f64 v[104:105], v[121:122], v[98:99]
	v_add_f64 v[84:85], v[84:85], -v[135:136]
	s_delay_alu instid0(VALU_DEP_2)
	v_fma_f64 v[137:138], v[123:124], v[52:53], v[104:105]
	ds_load_2addr_b64 v[104:107], v114 offset0:18 offset1:19
	ds_load_2addr_b64 v[121:124], v114 offset0:20 offset1:21
	s_waitcnt lgkmcnt(1)
	v_mul_f64 v[139:140], v[106:107], v[98:99]
	v_add_f64 v[86:87], v[86:87], -v[137:138]
	s_delay_alu instid0(VALU_DEP_2) | instskip(SKIP_1) | instid1(VALU_DEP_2)
	v_fma_f64 v[139:140], v[104:105], v[52:53], -v[139:140]
	v_mul_f64 v[104:105], v[104:105], v[98:99]
	v_add_f64 v[68:69], v[68:69], -v[139:140]
	s_delay_alu instid0(VALU_DEP_2) | instskip(SKIP_2) | instid1(VALU_DEP_2)
	v_fma_f64 v[141:142], v[106:107], v[52:53], v[104:105]
	s_waitcnt lgkmcnt(0)
	v_mul_f64 v[104:105], v[123:124], v[98:99]
	v_add_f64 v[70:71], v[70:71], -v[141:142]
	s_delay_alu instid0(VALU_DEP_2) | instskip(SKIP_1) | instid1(VALU_DEP_2)
	v_fma_f64 v[143:144], v[121:122], v[52:53], -v[104:105]
	v_mul_f64 v[104:105], v[121:122], v[98:99]
	v_add_f64 v[72:73], v[72:73], -v[143:144]
	s_delay_alu instid0(VALU_DEP_2)
	v_fma_f64 v[145:146], v[123:124], v[52:53], v[104:105]
	ds_load_2addr_b64 v[104:107], v114 offset0:22 offset1:23
	ds_load_2addr_b64 v[121:124], v114 offset0:24 offset1:25
	s_waitcnt lgkmcnt(1)
	v_mul_f64 v[147:148], v[106:107], v[98:99]
	v_add_f64 v[74:75], v[74:75], -v[145:146]
	s_delay_alu instid0(VALU_DEP_2) | instskip(SKIP_1) | instid1(VALU_DEP_2)
	v_fma_f64 v[147:148], v[104:105], v[52:53], -v[147:148]
	v_mul_f64 v[104:105], v[104:105], v[98:99]
	v_add_f64 v[56:57], v[56:57], -v[147:148]
	s_delay_alu instid0(VALU_DEP_2) | instskip(SKIP_2) | instid1(VALU_DEP_2)
	v_fma_f64 v[149:150], v[106:107], v[52:53], v[104:105]
	s_waitcnt lgkmcnt(0)
	v_mul_f64 v[104:105], v[123:124], v[98:99]
	v_add_f64 v[58:59], v[58:59], -v[149:150]
	s_delay_alu instid0(VALU_DEP_2) | instskip(SKIP_1) | instid1(VALU_DEP_2)
	v_fma_f64 v[151:152], v[121:122], v[52:53], -v[104:105]
	v_mul_f64 v[104:105], v[121:122], v[98:99]
	v_add_f64 v[64:65], v[64:65], -v[151:152]
	s_delay_alu instid0(VALU_DEP_2)
	v_fma_f64 v[153:154], v[123:124], v[52:53], v[104:105]
	ds_load_2addr_b64 v[104:107], v114 offset0:26 offset1:27
	ds_load_2addr_b64 v[121:124], v114 offset0:28 offset1:29
	s_waitcnt lgkmcnt(1)
	v_mul_f64 v[155:156], v[106:107], v[98:99]
	v_add_f64 v[66:67], v[66:67], -v[153:154]
	s_delay_alu instid0(VALU_DEP_2) | instskip(SKIP_1) | instid1(VALU_DEP_2)
	v_fma_f64 v[155:156], v[104:105], v[52:53], -v[155:156]
	v_mul_f64 v[104:105], v[104:105], v[98:99]
	v_add_f64 v[60:61], v[60:61], -v[155:156]
	s_delay_alu instid0(VALU_DEP_2) | instskip(SKIP_2) | instid1(VALU_DEP_2)
	v_fma_f64 v[157:158], v[106:107], v[52:53], v[104:105]
	s_waitcnt lgkmcnt(0)
	v_mul_f64 v[104:105], v[123:124], v[98:99]
	v_add_f64 v[62:63], v[62:63], -v[157:158]
	s_delay_alu instid0(VALU_DEP_2) | instskip(SKIP_1) | instid1(VALU_DEP_2)
	v_fma_f64 v[159:160], v[121:122], v[52:53], -v[104:105]
	v_mul_f64 v[104:105], v[121:122], v[98:99]
	v_add_f64 v[48:49], v[48:49], -v[159:160]
	s_delay_alu instid0(VALU_DEP_2)
	v_fma_f64 v[161:162], v[123:124], v[52:53], v[104:105]
	ds_load_2addr_b64 v[104:107], v114 offset0:30 offset1:31
	ds_load_2addr_b64 v[121:124], v114 offset0:32 offset1:33
	s_waitcnt lgkmcnt(1)
	v_mul_f64 v[163:164], v[106:107], v[98:99]
	v_add_f64 v[50:51], v[50:51], -v[161:162]
	s_delay_alu instid0(VALU_DEP_2) | instskip(SKIP_1) | instid1(VALU_DEP_2)
	v_fma_f64 v[163:164], v[104:105], v[52:53], -v[163:164]
	v_mul_f64 v[104:105], v[104:105], v[98:99]
	v_add_f64 v[44:45], v[44:45], -v[163:164]
	s_delay_alu instid0(VALU_DEP_2) | instskip(SKIP_2) | instid1(VALU_DEP_2)
	v_fma_f64 v[165:166], v[106:107], v[52:53], v[104:105]
	s_waitcnt lgkmcnt(0)
	v_mul_f64 v[104:105], v[123:124], v[98:99]
	v_add_f64 v[46:47], v[46:47], -v[165:166]
	s_delay_alu instid0(VALU_DEP_2) | instskip(SKIP_1) | instid1(VALU_DEP_2)
	v_fma_f64 v[167:168], v[121:122], v[52:53], -v[104:105]
	v_mul_f64 v[104:105], v[121:122], v[98:99]
	v_add_f64 v[40:41], v[40:41], -v[167:168]
	s_delay_alu instid0(VALU_DEP_2)
	v_fma_f64 v[169:170], v[123:124], v[52:53], v[104:105]
	ds_load_2addr_b64 v[104:107], v114 offset0:34 offset1:35
	ds_load_2addr_b64 v[121:124], v114 offset0:36 offset1:37
	s_waitcnt lgkmcnt(1)
	v_mul_f64 v[171:172], v[106:107], v[98:99]
	v_add_f64 v[42:43], v[42:43], -v[169:170]
	s_delay_alu instid0(VALU_DEP_2) | instskip(SKIP_1) | instid1(VALU_DEP_2)
	v_fma_f64 v[171:172], v[104:105], v[52:53], -v[171:172]
	v_mul_f64 v[104:105], v[104:105], v[98:99]
	v_add_f64 v[36:37], v[36:37], -v[171:172]
	s_delay_alu instid0(VALU_DEP_2) | instskip(SKIP_2) | instid1(VALU_DEP_2)
	v_fma_f64 v[173:174], v[106:107], v[52:53], v[104:105]
	s_waitcnt lgkmcnt(0)
	v_mul_f64 v[104:105], v[123:124], v[98:99]
	v_add_f64 v[38:39], v[38:39], -v[173:174]
	s_delay_alu instid0(VALU_DEP_2) | instskip(SKIP_1) | instid1(VALU_DEP_2)
	v_fma_f64 v[175:176], v[121:122], v[52:53], -v[104:105]
	v_mul_f64 v[104:105], v[121:122], v[98:99]
	v_add_f64 v[32:33], v[32:33], -v[175:176]
	s_delay_alu instid0(VALU_DEP_2)
	v_fma_f64 v[177:178], v[123:124], v[52:53], v[104:105]
	ds_load_2addr_b64 v[104:107], v114 offset0:38 offset1:39
	ds_load_2addr_b64 v[121:124], v114 offset0:40 offset1:41
	s_waitcnt lgkmcnt(1)
	v_mul_f64 v[179:180], v[106:107], v[98:99]
	v_add_f64 v[34:35], v[34:35], -v[177:178]
	s_delay_alu instid0(VALU_DEP_2) | instskip(SKIP_1) | instid1(VALU_DEP_2)
	v_fma_f64 v[179:180], v[104:105], v[52:53], -v[179:180]
	v_mul_f64 v[104:105], v[104:105], v[98:99]
	v_add_f64 v[24:25], v[24:25], -v[179:180]
	s_delay_alu instid0(VALU_DEP_2) | instskip(SKIP_2) | instid1(VALU_DEP_2)
	v_fma_f64 v[181:182], v[106:107], v[52:53], v[104:105]
	s_waitcnt lgkmcnt(0)
	v_mul_f64 v[104:105], v[123:124], v[98:99]
	v_add_f64 v[26:27], v[26:27], -v[181:182]
	s_delay_alu instid0(VALU_DEP_2) | instskip(SKIP_1) | instid1(VALU_DEP_2)
	v_fma_f64 v[183:184], v[121:122], v[52:53], -v[104:105]
	v_mul_f64 v[104:105], v[121:122], v[98:99]
	v_add_f64 v[20:21], v[20:21], -v[183:184]
	s_delay_alu instid0(VALU_DEP_2)
	v_fma_f64 v[185:186], v[123:124], v[52:53], v[104:105]
	ds_load_2addr_b64 v[104:107], v114 offset0:42 offset1:43
	ds_load_2addr_b64 v[121:124], v114 offset0:44 offset1:45
	s_waitcnt lgkmcnt(1)
	v_mul_f64 v[187:188], v[106:107], v[98:99]
	v_add_f64 v[22:23], v[22:23], -v[185:186]
	s_delay_alu instid0(VALU_DEP_2) | instskip(SKIP_1) | instid1(VALU_DEP_2)
	v_fma_f64 v[187:188], v[104:105], v[52:53], -v[187:188]
	v_mul_f64 v[104:105], v[104:105], v[98:99]
	v_add_f64 v[16:17], v[16:17], -v[187:188]
	s_delay_alu instid0(VALU_DEP_2) | instskip(SKIP_2) | instid1(VALU_DEP_2)
	v_fma_f64 v[189:190], v[106:107], v[52:53], v[104:105]
	s_waitcnt lgkmcnt(0)
	v_mul_f64 v[104:105], v[123:124], v[98:99]
	v_add_f64 v[18:19], v[18:19], -v[189:190]
	s_delay_alu instid0(VALU_DEP_2) | instskip(SKIP_1) | instid1(VALU_DEP_2)
	v_fma_f64 v[191:192], v[121:122], v[52:53], -v[104:105]
	v_mul_f64 v[104:105], v[121:122], v[98:99]
	v_add_f64 v[12:13], v[12:13], -v[191:192]
	s_delay_alu instid0(VALU_DEP_2)
	v_fma_f64 v[193:194], v[123:124], v[52:53], v[104:105]
	ds_load_2addr_b64 v[104:107], v114 offset0:46 offset1:47
	ds_load_2addr_b64 v[121:124], v114 offset0:48 offset1:49
	scratch_load_b128 v[28:31], off, off    ; 16-byte Folded Reload
	s_waitcnt lgkmcnt(1)
	v_mul_f64 v[195:196], v[106:107], v[98:99]
	v_add_f64 v[14:15], v[14:15], -v[193:194]
	s_delay_alu instid0(VALU_DEP_2) | instskip(SKIP_1) | instid1(VALU_DEP_2)
	v_fma_f64 v[195:196], v[104:105], v[52:53], -v[195:196]
	v_mul_f64 v[104:105], v[104:105], v[98:99]
	v_add_f64 v[8:9], v[8:9], -v[195:196]
	s_delay_alu instid0(VALU_DEP_2) | instskip(SKIP_2) | instid1(VALU_DEP_2)
	v_fma_f64 v[197:198], v[106:107], v[52:53], v[104:105]
	s_waitcnt lgkmcnt(0)
	v_mul_f64 v[104:105], v[123:124], v[98:99]
	v_add_f64 v[10:11], v[10:11], -v[197:198]
	s_delay_alu instid0(VALU_DEP_2) | instskip(SKIP_1) | instid1(VALU_DEP_2)
	v_fma_f64 v[199:200], v[121:122], v[52:53], -v[104:105]
	v_mul_f64 v[104:105], v[121:122], v[98:99]
	v_add_f64 v[4:5], v[4:5], -v[199:200]
	s_delay_alu instid0(VALU_DEP_2) | instskip(SKIP_4) | instid1(VALU_DEP_2)
	v_fma_f64 v[121:122], v[123:124], v[52:53], v[104:105]
	ds_load_2addr_b64 v[104:107], v114 offset0:50 offset1:51
	s_waitcnt lgkmcnt(0)
	v_mul_f64 v[123:124], v[106:107], v[98:99]
	v_add_f64 v[6:7], v[6:7], -v[121:122]
	v_fma_f64 v[123:124], v[104:105], v[52:53], -v[123:124]
	v_mul_f64 v[104:105], v[104:105], v[98:99]
	s_delay_alu instid0(VALU_DEP_2) | instskip(NEXT) | instid1(VALU_DEP_2)
	v_add_f64 v[0:1], v[0:1], -v[123:124]
	v_fma_f64 v[104:105], v[106:107], v[52:53], v[104:105]
	s_delay_alu instid0(VALU_DEP_1)
	v_add_f64 v[2:3], v[2:3], -v[104:105]
	s_waitcnt vmcnt(0)
	v_add_f64 v[28:29], v[28:29], -v[108:109]
	v_add_f64 v[30:31], v[30:31], -v[110:111]
	scratch_store_b128 off, v[28:31], off   ; 16-byte Folded Spill
.LBB50_62:
	s_or_b32 exec_lo, exec_lo, s2
	v_lshl_add_u32 v52, v120, 4, v114
	s_waitcnt_vscnt null, 0x0
	s_barrier
	buffer_gl0_inv
	v_mov_b32_e32 v112, 3
	ds_store_2addr_b64 v52, v[245:246], v[247:248] offset1:1
	s_waitcnt lgkmcnt(0)
	s_barrier
	buffer_gl0_inv
	ds_load_2addr_b64 v[104:107], v114 offset0:6 offset1:7
	s_cmp_lt_i32 s5, 5
	s_mov_b32 s6, 4
	s_cbranch_scc1 .LBB50_65
; %bb.63:
	v_add3_u32 v113, v92, 0, 64
	v_mov_b32_e32 v112, 3
	s_set_inst_prefetch_distance 0x1
	.p2align	6
.LBB50_64:                              ; =>This Inner Loop Header: Depth=1
	ds_load_2addr_b64 v[121:124], v113 offset1:1
	s_waitcnt lgkmcnt(1)
	v_cmp_gt_f64_e32 vcc_lo, 0, v[104:105]
	v_xor_b32_e32 v52, 0x80000000, v105
	v_cmp_gt_f64_e64 s2, 0, v[106:107]
	v_xor_b32_e32 v54, 0x80000000, v107
	v_add_nc_u32_e32 v113, 16, v113
	s_waitcnt lgkmcnt(0)
	v_cmp_gt_f64_e64 s3, 0, v[121:122]
	v_mov_b32_e32 v108, v121
	v_dual_mov_b32 v110, v123 :: v_dual_cndmask_b32 v53, v105, v52
	v_xor_b32_e32 v52, 0x80000000, v122
	v_cndmask_b32_e64 v55, v107, v54, s2
	v_xor_b32_e32 v54, 0x80000000, v124
	s_delay_alu instid0(VALU_DEP_3) | instskip(SKIP_2) | instid1(VALU_DEP_2)
	v_cndmask_b32_e64 v109, v122, v52, s3
	v_cmp_gt_f64_e64 s3, 0, v[123:124]
	v_cndmask_b32_e32 v52, v104, v104, vcc_lo
	v_cndmask_b32_e64 v111, v124, v54, s3
	v_cndmask_b32_e64 v54, v106, v106, s2
	s_delay_alu instid0(VALU_DEP_2) | instskip(NEXT) | instid1(VALU_DEP_2)
	v_add_f64 v[108:109], v[108:109], v[110:111]
	v_add_f64 v[52:53], v[52:53], v[54:55]
	s_delay_alu instid0(VALU_DEP_1) | instskip(SKIP_4) | instid1(SALU_CYCLE_1)
	v_cmp_lt_f64_e32 vcc_lo, v[52:53], v[108:109]
	v_dual_cndmask_b32 v105, v105, v122 :: v_dual_cndmask_b32 v104, v104, v121
	v_dual_cndmask_b32 v107, v107, v124 :: v_dual_cndmask_b32 v106, v106, v123
	v_cndmask_b32_e64 v112, v112, s6, vcc_lo
	s_add_i32 s6, s6, 1
	s_cmp_lg_u32 s5, s6
	s_cbranch_scc1 .LBB50_64
.LBB50_65:
	s_set_inst_prefetch_distance 0x2
	s_waitcnt lgkmcnt(0)
	v_cmp_eq_f64_e32 vcc_lo, 0, v[104:105]
	v_cmp_eq_f64_e64 s2, 0, v[106:107]
	s_delay_alu instid0(VALU_DEP_1) | instskip(NEXT) | instid1(SALU_CYCLE_1)
	s_and_b32 s2, vcc_lo, s2
	s_and_saveexec_b32 s3, s2
	s_delay_alu instid0(SALU_CYCLE_1)
	s_xor_b32 s2, exec_lo, s3
; %bb.66:
	v_cmp_ne_u32_e32 vcc_lo, 0, v119
	v_cndmask_b32_e32 v119, 4, v119, vcc_lo
; %bb.67:
	s_and_not1_saveexec_b32 s3, s2
	s_cbranch_execz .LBB50_73
; %bb.68:
	v_cmp_gt_f64_e32 vcc_lo, 0, v[104:105]
	v_cmp_gt_f64_e64 s2, 0, v[106:107]
	v_xor_b32_e32 v52, 0x80000000, v105
	v_xor_b32_e32 v54, 0x80000000, v107
	s_delay_alu instid0(VALU_DEP_2) | instskip(NEXT) | instid1(VALU_DEP_2)
	v_cndmask_b32_e32 v53, v105, v52, vcc_lo
	v_cndmask_b32_e64 v55, v107, v54, s2
	v_cndmask_b32_e32 v52, v104, v104, vcc_lo
	v_cndmask_b32_e64 v54, v106, v106, s2
	s_mov_b32 s2, exec_lo
	s_delay_alu instid0(VALU_DEP_1)
	v_cmpx_ngt_f64_e32 v[52:53], v[54:55]
	s_xor_b32 s2, exec_lo, s2
	s_cbranch_execz .LBB50_70
; %bb.69:
	v_div_scale_f64 v[52:53], null, v[106:107], v[106:107], v[104:105]
	v_div_scale_f64 v[110:111], vcc_lo, v[104:105], v[106:107], v[104:105]
	s_delay_alu instid0(VALU_DEP_2) | instskip(SKIP_2) | instid1(VALU_DEP_1)
	v_rcp_f64_e32 v[54:55], v[52:53]
	s_waitcnt_depctr 0xfff
	v_fma_f64 v[108:109], -v[52:53], v[54:55], 1.0
	v_fma_f64 v[54:55], v[54:55], v[108:109], v[54:55]
	s_delay_alu instid0(VALU_DEP_1) | instskip(NEXT) | instid1(VALU_DEP_1)
	v_fma_f64 v[108:109], -v[52:53], v[54:55], 1.0
	v_fma_f64 v[54:55], v[54:55], v[108:109], v[54:55]
	s_delay_alu instid0(VALU_DEP_1) | instskip(NEXT) | instid1(VALU_DEP_1)
	v_mul_f64 v[108:109], v[110:111], v[54:55]
	v_fma_f64 v[52:53], -v[52:53], v[108:109], v[110:111]
	s_delay_alu instid0(VALU_DEP_1) | instskip(NEXT) | instid1(VALU_DEP_1)
	v_div_fmas_f64 v[52:53], v[52:53], v[54:55], v[108:109]
	v_div_fixup_f64 v[52:53], v[52:53], v[106:107], v[104:105]
	s_delay_alu instid0(VALU_DEP_1) | instskip(NEXT) | instid1(VALU_DEP_1)
	v_fma_f64 v[54:55], v[104:105], v[52:53], v[106:107]
	v_div_scale_f64 v[104:105], null, v[54:55], v[54:55], 1.0
	s_delay_alu instid0(VALU_DEP_1) | instskip(SKIP_2) | instid1(VALU_DEP_1)
	v_rcp_f64_e32 v[106:107], v[104:105]
	s_waitcnt_depctr 0xfff
	v_fma_f64 v[108:109], -v[104:105], v[106:107], 1.0
	v_fma_f64 v[106:107], v[106:107], v[108:109], v[106:107]
	s_delay_alu instid0(VALU_DEP_1) | instskip(NEXT) | instid1(VALU_DEP_1)
	v_fma_f64 v[108:109], -v[104:105], v[106:107], 1.0
	v_fma_f64 v[106:107], v[106:107], v[108:109], v[106:107]
	v_div_scale_f64 v[108:109], vcc_lo, 1.0, v[54:55], 1.0
	s_delay_alu instid0(VALU_DEP_1) | instskip(NEXT) | instid1(VALU_DEP_1)
	v_mul_f64 v[110:111], v[108:109], v[106:107]
	v_fma_f64 v[104:105], -v[104:105], v[110:111], v[108:109]
	s_delay_alu instid0(VALU_DEP_1) | instskip(NEXT) | instid1(VALU_DEP_1)
	v_div_fmas_f64 v[104:105], v[104:105], v[106:107], v[110:111]
	v_div_fixup_f64 v[106:107], v[104:105], v[54:55], 1.0
	s_delay_alu instid0(VALU_DEP_1)
	v_mul_f64 v[104:105], v[52:53], v[106:107]
	v_xor_b32_e32 v107, 0x80000000, v107
.LBB50_70:
	s_and_not1_saveexec_b32 s2, s2
	s_cbranch_execz .LBB50_72
; %bb.71:
	s_delay_alu instid0(VALU_DEP_1) | instskip(SKIP_1) | instid1(VALU_DEP_2)
	v_div_scale_f64 v[52:53], null, v[104:105], v[104:105], v[106:107]
	v_div_scale_f64 v[110:111], vcc_lo, v[106:107], v[104:105], v[106:107]
	v_rcp_f64_e32 v[54:55], v[52:53]
	s_waitcnt_depctr 0xfff
	v_fma_f64 v[108:109], -v[52:53], v[54:55], 1.0
	s_delay_alu instid0(VALU_DEP_1) | instskip(NEXT) | instid1(VALU_DEP_1)
	v_fma_f64 v[54:55], v[54:55], v[108:109], v[54:55]
	v_fma_f64 v[108:109], -v[52:53], v[54:55], 1.0
	s_delay_alu instid0(VALU_DEP_1) | instskip(NEXT) | instid1(VALU_DEP_1)
	v_fma_f64 v[54:55], v[54:55], v[108:109], v[54:55]
	v_mul_f64 v[108:109], v[110:111], v[54:55]
	s_delay_alu instid0(VALU_DEP_1) | instskip(NEXT) | instid1(VALU_DEP_1)
	v_fma_f64 v[52:53], -v[52:53], v[108:109], v[110:111]
	v_div_fmas_f64 v[52:53], v[52:53], v[54:55], v[108:109]
	s_delay_alu instid0(VALU_DEP_1) | instskip(NEXT) | instid1(VALU_DEP_1)
	v_div_fixup_f64 v[52:53], v[52:53], v[104:105], v[106:107]
	v_fma_f64 v[54:55], v[106:107], v[52:53], v[104:105]
	s_delay_alu instid0(VALU_DEP_1) | instskip(NEXT) | instid1(VALU_DEP_1)
	v_div_scale_f64 v[104:105], null, v[54:55], v[54:55], 1.0
	v_rcp_f64_e32 v[106:107], v[104:105]
	s_waitcnt_depctr 0xfff
	v_fma_f64 v[108:109], -v[104:105], v[106:107], 1.0
	s_delay_alu instid0(VALU_DEP_1) | instskip(NEXT) | instid1(VALU_DEP_1)
	v_fma_f64 v[106:107], v[106:107], v[108:109], v[106:107]
	v_fma_f64 v[108:109], -v[104:105], v[106:107], 1.0
	s_delay_alu instid0(VALU_DEP_1) | instskip(SKIP_1) | instid1(VALU_DEP_1)
	v_fma_f64 v[106:107], v[106:107], v[108:109], v[106:107]
	v_div_scale_f64 v[108:109], vcc_lo, 1.0, v[54:55], 1.0
	v_mul_f64 v[110:111], v[108:109], v[106:107]
	s_delay_alu instid0(VALU_DEP_1) | instskip(NEXT) | instid1(VALU_DEP_1)
	v_fma_f64 v[104:105], -v[104:105], v[110:111], v[108:109]
	v_div_fmas_f64 v[104:105], v[104:105], v[106:107], v[110:111]
	s_delay_alu instid0(VALU_DEP_1) | instskip(NEXT) | instid1(VALU_DEP_1)
	v_div_fixup_f64 v[104:105], v[104:105], v[54:55], 1.0
	v_mul_f64 v[106:107], v[52:53], -v[104:105]
.LBB50_72:
	s_or_b32 exec_lo, exec_lo, s2
.LBB50_73:
	s_delay_alu instid0(SALU_CYCLE_1) | instskip(NEXT) | instid1(SALU_CYCLE_1)
	s_or_b32 exec_lo, exec_lo, s3
	s_mov_b32 s2, exec_lo
	v_cmpx_ne_u32_e64 v120, v112
	s_xor_b32 s2, exec_lo, s2
	s_cbranch_execz .LBB50_79
; %bb.74:
	s_mov_b32 s3, exec_lo
	v_cmpx_eq_u32_e32 3, v120
	s_cbranch_execz .LBB50_78
; %bb.75:
	v_cmp_ne_u32_e32 vcc_lo, 3, v112
	s_xor_b32 s6, s4, -1
	s_delay_alu instid0(SALU_CYCLE_1) | instskip(NEXT) | instid1(SALU_CYCLE_1)
	s_and_b32 s7, s6, vcc_lo
	s_and_saveexec_b32 s6, s7
	s_cbranch_execz .LBB50_77
; %bb.76:
	v_ashrrev_i32_e32 v113, 31, v112
	s_delay_alu instid0(VALU_DEP_1) | instskip(NEXT) | instid1(VALU_DEP_1)
	v_lshlrev_b64 v[52:53], 2, v[112:113]
	v_add_co_u32 v52, vcc_lo, v94, v52
	s_delay_alu instid0(VALU_DEP_2)
	v_add_co_ci_u32_e32 v53, vcc_lo, v95, v53, vcc_lo
	s_clause 0x1
	flat_load_b32 v54, v[52:53]
	flat_load_b32 v55, v[94:95] offset:12
	s_waitcnt vmcnt(1) lgkmcnt(1)
	flat_store_b32 v[94:95], v54 offset:12
	s_waitcnt vmcnt(0) lgkmcnt(1)
	flat_store_b32 v[52:53], v55
.LBB50_77:
	s_or_b32 exec_lo, exec_lo, s6
	v_mov_b32_e32 v120, v112
	v_mov_b32_e32 v93, v112
.LBB50_78:
	s_or_b32 exec_lo, exec_lo, s3
.LBB50_79:
	s_and_not1_saveexec_b32 s2, s2
	s_cbranch_execz .LBB50_81
; %bb.80:
	scratch_load_b128 v[28:31], off, off    ; 16-byte Folded Reload
	v_mov_b32_e32 v120, 3
	s_waitcnt vmcnt(0)
	ds_store_2addr_b64 v114, v[28:29], v[30:31] offset0:8 offset1:9
	ds_store_2addr_b64 v114, v[88:89], v[90:91] offset0:10 offset1:11
	ds_store_2addr_b64 v114, v[80:81], v[82:83] offset0:12 offset1:13
	ds_store_2addr_b64 v114, v[76:77], v[78:79] offset0:14 offset1:15
	ds_store_2addr_b64 v114, v[84:85], v[86:87] offset0:16 offset1:17
	ds_store_2addr_b64 v114, v[68:69], v[70:71] offset0:18 offset1:19
	ds_store_2addr_b64 v114, v[72:73], v[74:75] offset0:20 offset1:21
	ds_store_2addr_b64 v114, v[56:57], v[58:59] offset0:22 offset1:23
	ds_store_2addr_b64 v114, v[64:65], v[66:67] offset0:24 offset1:25
	ds_store_2addr_b64 v114, v[60:61], v[62:63] offset0:26 offset1:27
	ds_store_2addr_b64 v114, v[48:49], v[50:51] offset0:28 offset1:29
	ds_store_2addr_b64 v114, v[44:45], v[46:47] offset0:30 offset1:31
	ds_store_2addr_b64 v114, v[40:41], v[42:43] offset0:32 offset1:33
	ds_store_2addr_b64 v114, v[36:37], v[38:39] offset0:34 offset1:35
	ds_store_2addr_b64 v114, v[32:33], v[34:35] offset0:36 offset1:37
	ds_store_2addr_b64 v114, v[24:25], v[26:27] offset0:38 offset1:39
	ds_store_2addr_b64 v114, v[20:21], v[22:23] offset0:40 offset1:41
	ds_store_2addr_b64 v114, v[16:17], v[18:19] offset0:42 offset1:43
	ds_store_2addr_b64 v114, v[12:13], v[14:15] offset0:44 offset1:45
	ds_store_2addr_b64 v114, v[8:9], v[10:11] offset0:46 offset1:47
	ds_store_2addr_b64 v114, v[4:5], v[6:7] offset0:48 offset1:49
	ds_store_2addr_b64 v114, v[0:1], v[2:3] offset0:50 offset1:51
.LBB50_81:
	s_or_b32 exec_lo, exec_lo, s2
	s_delay_alu instid0(SALU_CYCLE_1)
	s_mov_b32 s2, exec_lo
	s_waitcnt lgkmcnt(0)
	s_waitcnt_vscnt null, 0x0
	s_barrier
	buffer_gl0_inv
	v_cmpx_lt_i32_e32 3, v120
	s_cbranch_execz .LBB50_83
; %bb.82:
	v_mul_f64 v[54:55], v[104:105], v[247:248]
	v_mul_f64 v[52:53], v[106:107], v[247:248]
	v_dual_mov_b32 v118, v99 :: v_dual_mov_b32 v117, v98
	v_dual_mov_b32 v116, v97 :: v_dual_mov_b32 v115, v96
	s_delay_alu instid0(VALU_DEP_4) | instskip(NEXT) | instid1(VALU_DEP_4)
	v_fma_f64 v[247:248], v[106:107], v[245:246], v[54:55]
	v_fma_f64 v[52:53], v[104:105], v[245:246], -v[52:53]
	ds_load_2addr_b64 v[104:107], v114 offset0:8 offset1:9
	ds_load_2addr_b64 v[121:124], v114 offset0:10 offset1:11
	s_waitcnt lgkmcnt(1)
	v_mul_f64 v[54:55], v[106:107], v[247:248]
	v_mul_f64 v[96:97], v[104:105], v[247:248]
	v_dual_mov_b32 v246, v53 :: v_dual_mov_b32 v245, v52
	s_delay_alu instid0(VALU_DEP_3) | instskip(SKIP_2) | instid1(VALU_DEP_4)
	v_fma_f64 v[54:55], v[104:105], v[52:53], -v[54:55]
	s_waitcnt lgkmcnt(0)
	v_mul_f64 v[104:105], v[123:124], v[247:248]
	v_fma_f64 v[96:97], v[106:107], v[52:53], v[96:97]
	s_delay_alu instid0(VALU_DEP_2) | instskip(SKIP_1) | instid1(VALU_DEP_2)
	v_fma_f64 v[108:109], v[121:122], v[52:53], -v[104:105]
	v_mul_f64 v[104:105], v[121:122], v[247:248]
	v_add_f64 v[88:89], v[88:89], -v[108:109]
	s_delay_alu instid0(VALU_DEP_2)
	v_fma_f64 v[110:111], v[123:124], v[52:53], v[104:105]
	ds_load_2addr_b64 v[104:107], v114 offset0:12 offset1:13
	ds_load_2addr_b64 v[121:124], v114 offset0:14 offset1:15
	s_waitcnt lgkmcnt(1)
	v_mul_f64 v[112:113], v[106:107], v[247:248]
	v_add_f64 v[90:91], v[90:91], -v[110:111]
	s_delay_alu instid0(VALU_DEP_2) | instskip(SKIP_1) | instid1(VALU_DEP_2)
	v_fma_f64 v[112:113], v[104:105], v[52:53], -v[112:113]
	v_mul_f64 v[104:105], v[104:105], v[247:248]
	v_add_f64 v[80:81], v[80:81], -v[112:113]
	s_delay_alu instid0(VALU_DEP_2) | instskip(SKIP_2) | instid1(VALU_DEP_2)
	v_fma_f64 v[125:126], v[106:107], v[52:53], v[104:105]
	s_waitcnt lgkmcnt(0)
	v_mul_f64 v[104:105], v[123:124], v[247:248]
	v_add_f64 v[82:83], v[82:83], -v[125:126]
	s_delay_alu instid0(VALU_DEP_2) | instskip(SKIP_1) | instid1(VALU_DEP_2)
	v_fma_f64 v[127:128], v[121:122], v[52:53], -v[104:105]
	v_mul_f64 v[104:105], v[121:122], v[247:248]
	v_add_f64 v[76:77], v[76:77], -v[127:128]
	s_delay_alu instid0(VALU_DEP_2)
	v_fma_f64 v[129:130], v[123:124], v[52:53], v[104:105]
	ds_load_2addr_b64 v[104:107], v114 offset0:16 offset1:17
	ds_load_2addr_b64 v[121:124], v114 offset0:18 offset1:19
	s_waitcnt lgkmcnt(1)
	v_mul_f64 v[131:132], v[106:107], v[247:248]
	v_add_f64 v[78:79], v[78:79], -v[129:130]
	s_delay_alu instid0(VALU_DEP_2) | instskip(SKIP_1) | instid1(VALU_DEP_2)
	v_fma_f64 v[131:132], v[104:105], v[52:53], -v[131:132]
	v_mul_f64 v[104:105], v[104:105], v[247:248]
	v_add_f64 v[84:85], v[84:85], -v[131:132]
	s_delay_alu instid0(VALU_DEP_2) | instskip(SKIP_2) | instid1(VALU_DEP_2)
	v_fma_f64 v[133:134], v[106:107], v[52:53], v[104:105]
	s_waitcnt lgkmcnt(0)
	v_mul_f64 v[104:105], v[123:124], v[247:248]
	v_add_f64 v[86:87], v[86:87], -v[133:134]
	;; [unrolled: 20-line block ×9, first 2 shown]
	s_delay_alu instid0(VALU_DEP_2) | instskip(SKIP_1) | instid1(VALU_DEP_2)
	v_fma_f64 v[191:192], v[121:122], v[52:53], -v[104:105]
	v_mul_f64 v[104:105], v[121:122], v[247:248]
	v_add_f64 v[8:9], v[8:9], -v[191:192]
	s_delay_alu instid0(VALU_DEP_2)
	v_fma_f64 v[193:194], v[123:124], v[52:53], v[104:105]
	ds_load_2addr_b64 v[104:107], v114 offset0:48 offset1:49
	ds_load_2addr_b64 v[121:124], v114 offset0:50 offset1:51
	scratch_load_b128 v[28:31], off, off    ; 16-byte Folded Reload
	s_waitcnt lgkmcnt(1)
	v_mul_f64 v[195:196], v[106:107], v[247:248]
	v_add_f64 v[10:11], v[10:11], -v[193:194]
	s_delay_alu instid0(VALU_DEP_2) | instskip(SKIP_1) | instid1(VALU_DEP_2)
	v_fma_f64 v[195:196], v[104:105], v[52:53], -v[195:196]
	v_mul_f64 v[104:105], v[104:105], v[247:248]
	v_add_f64 v[4:5], v[4:5], -v[195:196]
	s_delay_alu instid0(VALU_DEP_2) | instskip(SKIP_2) | instid1(VALU_DEP_2)
	v_fma_f64 v[104:105], v[106:107], v[52:53], v[104:105]
	s_waitcnt lgkmcnt(0)
	v_mul_f64 v[106:107], v[123:124], v[247:248]
	v_add_f64 v[6:7], v[6:7], -v[104:105]
	s_delay_alu instid0(VALU_DEP_2) | instskip(SKIP_1) | instid1(VALU_DEP_2)
	v_fma_f64 v[106:107], v[121:122], v[52:53], -v[106:107]
	v_mul_f64 v[121:122], v[121:122], v[247:248]
	v_add_f64 v[0:1], v[0:1], -v[106:107]
	s_delay_alu instid0(VALU_DEP_2) | instskip(NEXT) | instid1(VALU_DEP_1)
	v_fma_f64 v[121:122], v[123:124], v[52:53], v[121:122]
	v_add_f64 v[2:3], v[2:3], -v[121:122]
	s_waitcnt vmcnt(0)
	v_add_f64 v[28:29], v[28:29], -v[54:55]
	v_add_f64 v[30:31], v[30:31], -v[96:97]
	v_dual_mov_b32 v96, v115 :: v_dual_mov_b32 v97, v116
	v_dual_mov_b32 v98, v117 :: v_dual_mov_b32 v99, v118
	scratch_store_b128 off, v[28:31], off   ; 16-byte Folded Spill
.LBB50_83:
	s_or_b32 exec_lo, exec_lo, s2
	s_waitcnt_vscnt null, 0x0
	s_barrier
	buffer_gl0_inv
	scratch_load_b128 v[28:31], off, off    ; 16-byte Folded Reload
	v_lshl_add_u32 v52, v120, 4, v114
	v_mov_b32_e32 v112, 4
	s_cmp_lt_i32 s5, 6
	s_waitcnt vmcnt(0)
	ds_store_2addr_b64 v52, v[28:29], v[30:31] offset1:1
	s_waitcnt lgkmcnt(0)
	s_barrier
	buffer_gl0_inv
	ds_load_2addr_b64 v[104:107], v114 offset0:8 offset1:9
	s_cbranch_scc1 .LBB50_86
; %bb.84:
	v_add3_u32 v113, v92, 0, 0x50
	v_mov_b32_e32 v112, 4
	s_mov_b32 s6, 5
	s_set_inst_prefetch_distance 0x1
	.p2align	6
.LBB50_85:                              ; =>This Inner Loop Header: Depth=1
	ds_load_2addr_b64 v[121:124], v113 offset1:1
	s_waitcnt lgkmcnt(1)
	v_cmp_gt_f64_e32 vcc_lo, 0, v[104:105]
	v_xor_b32_e32 v52, 0x80000000, v105
	v_cmp_gt_f64_e64 s2, 0, v[106:107]
	v_xor_b32_e32 v54, 0x80000000, v107
	v_add_nc_u32_e32 v113, 16, v113
	s_waitcnt lgkmcnt(0)
	v_cmp_gt_f64_e64 s3, 0, v[121:122]
	v_mov_b32_e32 v108, v121
	v_dual_mov_b32 v110, v123 :: v_dual_cndmask_b32 v53, v105, v52
	v_xor_b32_e32 v52, 0x80000000, v122
	v_cndmask_b32_e64 v55, v107, v54, s2
	v_xor_b32_e32 v54, 0x80000000, v124
	s_delay_alu instid0(VALU_DEP_3) | instskip(SKIP_2) | instid1(VALU_DEP_2)
	v_cndmask_b32_e64 v109, v122, v52, s3
	v_cmp_gt_f64_e64 s3, 0, v[123:124]
	v_cndmask_b32_e32 v52, v104, v104, vcc_lo
	v_cndmask_b32_e64 v111, v124, v54, s3
	v_cndmask_b32_e64 v54, v106, v106, s2
	s_delay_alu instid0(VALU_DEP_2) | instskip(NEXT) | instid1(VALU_DEP_2)
	v_add_f64 v[108:109], v[108:109], v[110:111]
	v_add_f64 v[52:53], v[52:53], v[54:55]
	s_delay_alu instid0(VALU_DEP_1) | instskip(SKIP_4) | instid1(SALU_CYCLE_1)
	v_cmp_lt_f64_e32 vcc_lo, v[52:53], v[108:109]
	v_dual_cndmask_b32 v105, v105, v122 :: v_dual_cndmask_b32 v104, v104, v121
	v_dual_cndmask_b32 v107, v107, v124 :: v_dual_cndmask_b32 v106, v106, v123
	v_cndmask_b32_e64 v112, v112, s6, vcc_lo
	s_add_i32 s6, s6, 1
	s_cmp_lg_u32 s5, s6
	s_cbranch_scc1 .LBB50_85
.LBB50_86:
	s_set_inst_prefetch_distance 0x2
	s_waitcnt lgkmcnt(0)
	v_cmp_eq_f64_e32 vcc_lo, 0, v[104:105]
	v_cmp_eq_f64_e64 s2, 0, v[106:107]
	s_delay_alu instid0(VALU_DEP_1) | instskip(NEXT) | instid1(SALU_CYCLE_1)
	s_and_b32 s2, vcc_lo, s2
	s_and_saveexec_b32 s3, s2
	s_delay_alu instid0(SALU_CYCLE_1)
	s_xor_b32 s2, exec_lo, s3
; %bb.87:
	v_cmp_ne_u32_e32 vcc_lo, 0, v119
	v_cndmask_b32_e32 v119, 5, v119, vcc_lo
; %bb.88:
	s_and_not1_saveexec_b32 s3, s2
	s_cbranch_execz .LBB50_94
; %bb.89:
	v_cmp_gt_f64_e32 vcc_lo, 0, v[104:105]
	v_cmp_gt_f64_e64 s2, 0, v[106:107]
	v_xor_b32_e32 v52, 0x80000000, v105
	v_xor_b32_e32 v54, 0x80000000, v107
	s_delay_alu instid0(VALU_DEP_2) | instskip(NEXT) | instid1(VALU_DEP_2)
	v_cndmask_b32_e32 v53, v105, v52, vcc_lo
	v_cndmask_b32_e64 v55, v107, v54, s2
	v_cndmask_b32_e32 v52, v104, v104, vcc_lo
	v_cndmask_b32_e64 v54, v106, v106, s2
	s_mov_b32 s2, exec_lo
	s_delay_alu instid0(VALU_DEP_1)
	v_cmpx_ngt_f64_e32 v[52:53], v[54:55]
	s_xor_b32 s2, exec_lo, s2
	s_cbranch_execz .LBB50_91
; %bb.90:
	v_div_scale_f64 v[52:53], null, v[106:107], v[106:107], v[104:105]
	v_div_scale_f64 v[110:111], vcc_lo, v[104:105], v[106:107], v[104:105]
	s_delay_alu instid0(VALU_DEP_2) | instskip(SKIP_2) | instid1(VALU_DEP_1)
	v_rcp_f64_e32 v[54:55], v[52:53]
	s_waitcnt_depctr 0xfff
	v_fma_f64 v[108:109], -v[52:53], v[54:55], 1.0
	v_fma_f64 v[54:55], v[54:55], v[108:109], v[54:55]
	s_delay_alu instid0(VALU_DEP_1) | instskip(NEXT) | instid1(VALU_DEP_1)
	v_fma_f64 v[108:109], -v[52:53], v[54:55], 1.0
	v_fma_f64 v[54:55], v[54:55], v[108:109], v[54:55]
	s_delay_alu instid0(VALU_DEP_1) | instskip(NEXT) | instid1(VALU_DEP_1)
	v_mul_f64 v[108:109], v[110:111], v[54:55]
	v_fma_f64 v[52:53], -v[52:53], v[108:109], v[110:111]
	s_delay_alu instid0(VALU_DEP_1) | instskip(NEXT) | instid1(VALU_DEP_1)
	v_div_fmas_f64 v[52:53], v[52:53], v[54:55], v[108:109]
	v_div_fixup_f64 v[52:53], v[52:53], v[106:107], v[104:105]
	s_delay_alu instid0(VALU_DEP_1) | instskip(NEXT) | instid1(VALU_DEP_1)
	v_fma_f64 v[54:55], v[104:105], v[52:53], v[106:107]
	v_div_scale_f64 v[104:105], null, v[54:55], v[54:55], 1.0
	s_delay_alu instid0(VALU_DEP_1) | instskip(SKIP_2) | instid1(VALU_DEP_1)
	v_rcp_f64_e32 v[106:107], v[104:105]
	s_waitcnt_depctr 0xfff
	v_fma_f64 v[108:109], -v[104:105], v[106:107], 1.0
	v_fma_f64 v[106:107], v[106:107], v[108:109], v[106:107]
	s_delay_alu instid0(VALU_DEP_1) | instskip(NEXT) | instid1(VALU_DEP_1)
	v_fma_f64 v[108:109], -v[104:105], v[106:107], 1.0
	v_fma_f64 v[106:107], v[106:107], v[108:109], v[106:107]
	v_div_scale_f64 v[108:109], vcc_lo, 1.0, v[54:55], 1.0
	s_delay_alu instid0(VALU_DEP_1) | instskip(NEXT) | instid1(VALU_DEP_1)
	v_mul_f64 v[110:111], v[108:109], v[106:107]
	v_fma_f64 v[104:105], -v[104:105], v[110:111], v[108:109]
	s_delay_alu instid0(VALU_DEP_1) | instskip(NEXT) | instid1(VALU_DEP_1)
	v_div_fmas_f64 v[104:105], v[104:105], v[106:107], v[110:111]
	v_div_fixup_f64 v[106:107], v[104:105], v[54:55], 1.0
	s_delay_alu instid0(VALU_DEP_1)
	v_mul_f64 v[104:105], v[52:53], v[106:107]
	v_xor_b32_e32 v107, 0x80000000, v107
.LBB50_91:
	s_and_not1_saveexec_b32 s2, s2
	s_cbranch_execz .LBB50_93
; %bb.92:
	s_delay_alu instid0(VALU_DEP_1) | instskip(SKIP_1) | instid1(VALU_DEP_2)
	v_div_scale_f64 v[52:53], null, v[104:105], v[104:105], v[106:107]
	v_div_scale_f64 v[110:111], vcc_lo, v[106:107], v[104:105], v[106:107]
	v_rcp_f64_e32 v[54:55], v[52:53]
	s_waitcnt_depctr 0xfff
	v_fma_f64 v[108:109], -v[52:53], v[54:55], 1.0
	s_delay_alu instid0(VALU_DEP_1) | instskip(NEXT) | instid1(VALU_DEP_1)
	v_fma_f64 v[54:55], v[54:55], v[108:109], v[54:55]
	v_fma_f64 v[108:109], -v[52:53], v[54:55], 1.0
	s_delay_alu instid0(VALU_DEP_1) | instskip(NEXT) | instid1(VALU_DEP_1)
	v_fma_f64 v[54:55], v[54:55], v[108:109], v[54:55]
	v_mul_f64 v[108:109], v[110:111], v[54:55]
	s_delay_alu instid0(VALU_DEP_1) | instskip(NEXT) | instid1(VALU_DEP_1)
	v_fma_f64 v[52:53], -v[52:53], v[108:109], v[110:111]
	v_div_fmas_f64 v[52:53], v[52:53], v[54:55], v[108:109]
	s_delay_alu instid0(VALU_DEP_1) | instskip(NEXT) | instid1(VALU_DEP_1)
	v_div_fixup_f64 v[52:53], v[52:53], v[104:105], v[106:107]
	v_fma_f64 v[54:55], v[106:107], v[52:53], v[104:105]
	s_delay_alu instid0(VALU_DEP_1) | instskip(NEXT) | instid1(VALU_DEP_1)
	v_div_scale_f64 v[104:105], null, v[54:55], v[54:55], 1.0
	v_rcp_f64_e32 v[106:107], v[104:105]
	s_waitcnt_depctr 0xfff
	v_fma_f64 v[108:109], -v[104:105], v[106:107], 1.0
	s_delay_alu instid0(VALU_DEP_1) | instskip(NEXT) | instid1(VALU_DEP_1)
	v_fma_f64 v[106:107], v[106:107], v[108:109], v[106:107]
	v_fma_f64 v[108:109], -v[104:105], v[106:107], 1.0
	s_delay_alu instid0(VALU_DEP_1) | instskip(SKIP_1) | instid1(VALU_DEP_1)
	v_fma_f64 v[106:107], v[106:107], v[108:109], v[106:107]
	v_div_scale_f64 v[108:109], vcc_lo, 1.0, v[54:55], 1.0
	v_mul_f64 v[110:111], v[108:109], v[106:107]
	s_delay_alu instid0(VALU_DEP_1) | instskip(NEXT) | instid1(VALU_DEP_1)
	v_fma_f64 v[104:105], -v[104:105], v[110:111], v[108:109]
	v_div_fmas_f64 v[104:105], v[104:105], v[106:107], v[110:111]
	s_delay_alu instid0(VALU_DEP_1) | instskip(NEXT) | instid1(VALU_DEP_1)
	v_div_fixup_f64 v[104:105], v[104:105], v[54:55], 1.0
	v_mul_f64 v[106:107], v[52:53], -v[104:105]
.LBB50_93:
	s_or_b32 exec_lo, exec_lo, s2
.LBB50_94:
	s_delay_alu instid0(SALU_CYCLE_1) | instskip(NEXT) | instid1(SALU_CYCLE_1)
	s_or_b32 exec_lo, exec_lo, s3
	s_mov_b32 s2, exec_lo
	v_cmpx_ne_u32_e64 v120, v112
	s_xor_b32 s2, exec_lo, s2
	s_cbranch_execz .LBB50_100
; %bb.95:
	s_mov_b32 s3, exec_lo
	v_cmpx_eq_u32_e32 4, v120
	s_cbranch_execz .LBB50_99
; %bb.96:
	v_cmp_ne_u32_e32 vcc_lo, 4, v112
	s_xor_b32 s6, s4, -1
	s_delay_alu instid0(SALU_CYCLE_1) | instskip(NEXT) | instid1(SALU_CYCLE_1)
	s_and_b32 s7, s6, vcc_lo
	s_and_saveexec_b32 s6, s7
	s_cbranch_execz .LBB50_98
; %bb.97:
	v_ashrrev_i32_e32 v113, 31, v112
	s_delay_alu instid0(VALU_DEP_1) | instskip(NEXT) | instid1(VALU_DEP_1)
	v_lshlrev_b64 v[52:53], 2, v[112:113]
	v_add_co_u32 v52, vcc_lo, v94, v52
	s_delay_alu instid0(VALU_DEP_2)
	v_add_co_ci_u32_e32 v53, vcc_lo, v95, v53, vcc_lo
	s_clause 0x1
	flat_load_b32 v54, v[52:53]
	flat_load_b32 v55, v[94:95] offset:16
	s_waitcnt vmcnt(1) lgkmcnt(1)
	flat_store_b32 v[94:95], v54 offset:16
	s_waitcnt vmcnt(0) lgkmcnt(1)
	flat_store_b32 v[52:53], v55
.LBB50_98:
	s_or_b32 exec_lo, exec_lo, s6
	v_mov_b32_e32 v120, v112
	v_mov_b32_e32 v93, v112
.LBB50_99:
	s_or_b32 exec_lo, exec_lo, s3
.LBB50_100:
	s_and_not1_saveexec_b32 s2, s2
	s_cbranch_execz .LBB50_102
; %bb.101:
	v_mov_b32_e32 v120, 4
	ds_store_2addr_b64 v114, v[88:89], v[90:91] offset0:10 offset1:11
	ds_store_2addr_b64 v114, v[80:81], v[82:83] offset0:12 offset1:13
	;; [unrolled: 1-line block ×21, first 2 shown]
.LBB50_102:
	s_or_b32 exec_lo, exec_lo, s2
	s_delay_alu instid0(SALU_CYCLE_1)
	s_mov_b32 s2, exec_lo
	s_waitcnt lgkmcnt(0)
	s_waitcnt_vscnt null, 0x0
	s_barrier
	buffer_gl0_inv
	v_cmpx_lt_i32_e32 4, v120
	s_cbranch_execz .LBB50_104
; %bb.103:
	scratch_load_b128 v[28:31], off, off    ; 16-byte Folded Reload
	s_waitcnt vmcnt(0)
	v_mul_f64 v[54:55], v[104:105], v[30:31]
	v_mul_f64 v[52:53], v[106:107], v[30:31]
	s_delay_alu instid0(VALU_DEP_2) | instskip(NEXT) | instid1(VALU_DEP_2)
	v_fma_f64 v[30:31], v[106:107], v[28:29], v[54:55]
	v_fma_f64 v[52:53], v[104:105], v[28:29], -v[52:53]
	ds_load_2addr_b64 v[104:107], v114 offset0:10 offset1:11
	ds_load_2addr_b64 v[121:124], v114 offset0:12 offset1:13
	v_dual_mov_b32 v28, v93 :: v_dual_mov_b32 v29, v92
	s_waitcnt lgkmcnt(1)
	v_mul_f64 v[54:55], v[106:107], v[30:31]
	v_mul_f64 v[92:93], v[104:105], v[30:31]
	s_delay_alu instid0(VALU_DEP_2) | instskip(SKIP_2) | instid1(VALU_DEP_3)
	v_fma_f64 v[54:55], v[104:105], v[52:53], -v[54:55]
	s_waitcnt lgkmcnt(0)
	v_mul_f64 v[104:105], v[123:124], v[30:31]
	v_fma_f64 v[92:93], v[106:107], v[52:53], v[92:93]
	s_delay_alu instid0(VALU_DEP_3) | instskip(NEXT) | instid1(VALU_DEP_3)
	v_add_f64 v[88:89], v[88:89], -v[54:55]
	v_fma_f64 v[108:109], v[121:122], v[52:53], -v[104:105]
	v_mul_f64 v[104:105], v[121:122], v[30:31]
	s_delay_alu instid0(VALU_DEP_4)
	v_add_f64 v[90:91], v[90:91], -v[92:93]
	v_dual_mov_b32 v92, v29 :: v_dual_mov_b32 v93, v28
	v_dual_mov_b32 v28, v52 :: v_dual_mov_b32 v29, v53
	v_add_f64 v[80:81], v[80:81], -v[108:109]
	v_fma_f64 v[110:111], v[123:124], v[52:53], v[104:105]
	ds_load_2addr_b64 v[104:107], v114 offset0:14 offset1:15
	ds_load_2addr_b64 v[121:124], v114 offset0:16 offset1:17
	s_waitcnt lgkmcnt(1)
	v_mul_f64 v[112:113], v[106:107], v[30:31]
	v_add_f64 v[82:83], v[82:83], -v[110:111]
	s_delay_alu instid0(VALU_DEP_2) | instskip(SKIP_1) | instid1(VALU_DEP_2)
	v_fma_f64 v[112:113], v[104:105], v[52:53], -v[112:113]
	v_mul_f64 v[104:105], v[104:105], v[30:31]
	v_add_f64 v[76:77], v[76:77], -v[112:113]
	s_delay_alu instid0(VALU_DEP_2) | instskip(SKIP_2) | instid1(VALU_DEP_2)
	v_fma_f64 v[125:126], v[106:107], v[52:53], v[104:105]
	s_waitcnt lgkmcnt(0)
	v_mul_f64 v[104:105], v[123:124], v[30:31]
	v_add_f64 v[78:79], v[78:79], -v[125:126]
	s_delay_alu instid0(VALU_DEP_2) | instskip(SKIP_1) | instid1(VALU_DEP_2)
	v_fma_f64 v[127:128], v[121:122], v[52:53], -v[104:105]
	v_mul_f64 v[104:105], v[121:122], v[30:31]
	v_add_f64 v[84:85], v[84:85], -v[127:128]
	s_delay_alu instid0(VALU_DEP_2)
	v_fma_f64 v[129:130], v[123:124], v[52:53], v[104:105]
	ds_load_2addr_b64 v[104:107], v114 offset0:18 offset1:19
	ds_load_2addr_b64 v[121:124], v114 offset0:20 offset1:21
	s_waitcnt lgkmcnt(1)
	v_mul_f64 v[131:132], v[106:107], v[30:31]
	v_add_f64 v[86:87], v[86:87], -v[129:130]
	s_delay_alu instid0(VALU_DEP_2) | instskip(SKIP_1) | instid1(VALU_DEP_2)
	v_fma_f64 v[131:132], v[104:105], v[52:53], -v[131:132]
	v_mul_f64 v[104:105], v[104:105], v[30:31]
	v_add_f64 v[68:69], v[68:69], -v[131:132]
	s_delay_alu instid0(VALU_DEP_2) | instskip(SKIP_2) | instid1(VALU_DEP_2)
	v_fma_f64 v[133:134], v[106:107], v[52:53], v[104:105]
	s_waitcnt lgkmcnt(0)
	v_mul_f64 v[104:105], v[123:124], v[30:31]
	v_add_f64 v[70:71], v[70:71], -v[133:134]
	s_delay_alu instid0(VALU_DEP_2) | instskip(SKIP_1) | instid1(VALU_DEP_2)
	v_fma_f64 v[135:136], v[121:122], v[52:53], -v[104:105]
	v_mul_f64 v[104:105], v[121:122], v[30:31]
	v_add_f64 v[72:73], v[72:73], -v[135:136]
	s_delay_alu instid0(VALU_DEP_2)
	;; [unrolled: 20-line block ×8, first 2 shown]
	v_fma_f64 v[185:186], v[123:124], v[52:53], v[104:105]
	ds_load_2addr_b64 v[104:107], v114 offset0:46 offset1:47
	ds_load_2addr_b64 v[121:124], v114 offset0:48 offset1:49
	scratch_store_b128 off, v[28:31], off   ; 16-byte Folded Spill
	s_waitcnt lgkmcnt(1)
	v_mul_f64 v[187:188], v[106:107], v[30:31]
	v_add_f64 v[14:15], v[14:15], -v[185:186]
	s_delay_alu instid0(VALU_DEP_2) | instskip(SKIP_1) | instid1(VALU_DEP_2)
	v_fma_f64 v[187:188], v[104:105], v[52:53], -v[187:188]
	v_mul_f64 v[104:105], v[104:105], v[30:31]
	v_add_f64 v[8:9], v[8:9], -v[187:188]
	s_delay_alu instid0(VALU_DEP_2) | instskip(SKIP_2) | instid1(VALU_DEP_2)
	v_fma_f64 v[189:190], v[106:107], v[52:53], v[104:105]
	s_waitcnt lgkmcnt(0)
	v_mul_f64 v[104:105], v[123:124], v[30:31]
	v_add_f64 v[10:11], v[10:11], -v[189:190]
	s_delay_alu instid0(VALU_DEP_2) | instskip(SKIP_1) | instid1(VALU_DEP_2)
	v_fma_f64 v[191:192], v[121:122], v[52:53], -v[104:105]
	v_mul_f64 v[104:105], v[121:122], v[30:31]
	v_add_f64 v[4:5], v[4:5], -v[191:192]
	s_delay_alu instid0(VALU_DEP_2) | instskip(SKIP_4) | instid1(VALU_DEP_2)
	v_fma_f64 v[121:122], v[123:124], v[52:53], v[104:105]
	ds_load_2addr_b64 v[104:107], v114 offset0:50 offset1:51
	s_waitcnt lgkmcnt(0)
	v_mul_f64 v[123:124], v[106:107], v[30:31]
	v_add_f64 v[6:7], v[6:7], -v[121:122]
	v_fma_f64 v[123:124], v[104:105], v[52:53], -v[123:124]
	v_mul_f64 v[104:105], v[104:105], v[30:31]
	s_delay_alu instid0(VALU_DEP_2) | instskip(NEXT) | instid1(VALU_DEP_2)
	v_add_f64 v[0:1], v[0:1], -v[123:124]
	v_fma_f64 v[104:105], v[106:107], v[52:53], v[104:105]
	s_delay_alu instid0(VALU_DEP_1)
	v_add_f64 v[2:3], v[2:3], -v[104:105]
.LBB50_104:
	s_or_b32 exec_lo, exec_lo, s2
	v_lshl_add_u32 v52, v120, 4, v114
	s_waitcnt_vscnt null, 0x0
	s_barrier
	buffer_gl0_inv
	v_mov_b32_e32 v112, 5
	ds_store_2addr_b64 v52, v[88:89], v[90:91] offset1:1
	s_waitcnt lgkmcnt(0)
	s_barrier
	buffer_gl0_inv
	ds_load_2addr_b64 v[104:107], v114 offset0:10 offset1:11
	s_cmp_lt_i32 s5, 7
	s_cbranch_scc1 .LBB50_107
; %bb.105:
	v_add3_u32 v113, v92, 0, 0x60
	v_mov_b32_e32 v112, 5
	s_mov_b32 s6, 6
	s_set_inst_prefetch_distance 0x1
	.p2align	6
.LBB50_106:                             ; =>This Inner Loop Header: Depth=1
	ds_load_2addr_b64 v[121:124], v113 offset1:1
	s_waitcnt lgkmcnt(1)
	v_cmp_gt_f64_e32 vcc_lo, 0, v[104:105]
	v_xor_b32_e32 v52, 0x80000000, v105
	v_cmp_gt_f64_e64 s2, 0, v[106:107]
	v_xor_b32_e32 v54, 0x80000000, v107
	v_add_nc_u32_e32 v113, 16, v113
	s_waitcnt lgkmcnt(0)
	v_cmp_gt_f64_e64 s3, 0, v[121:122]
	v_mov_b32_e32 v108, v121
	v_dual_mov_b32 v110, v123 :: v_dual_cndmask_b32 v53, v105, v52
	v_xor_b32_e32 v52, 0x80000000, v122
	v_cndmask_b32_e64 v55, v107, v54, s2
	v_xor_b32_e32 v54, 0x80000000, v124
	s_delay_alu instid0(VALU_DEP_3) | instskip(SKIP_2) | instid1(VALU_DEP_2)
	v_cndmask_b32_e64 v109, v122, v52, s3
	v_cmp_gt_f64_e64 s3, 0, v[123:124]
	v_cndmask_b32_e32 v52, v104, v104, vcc_lo
	v_cndmask_b32_e64 v111, v124, v54, s3
	v_cndmask_b32_e64 v54, v106, v106, s2
	s_delay_alu instid0(VALU_DEP_2) | instskip(NEXT) | instid1(VALU_DEP_2)
	v_add_f64 v[108:109], v[108:109], v[110:111]
	v_add_f64 v[52:53], v[52:53], v[54:55]
	s_delay_alu instid0(VALU_DEP_1) | instskip(SKIP_4) | instid1(SALU_CYCLE_1)
	v_cmp_lt_f64_e32 vcc_lo, v[52:53], v[108:109]
	v_dual_cndmask_b32 v105, v105, v122 :: v_dual_cndmask_b32 v104, v104, v121
	v_dual_cndmask_b32 v107, v107, v124 :: v_dual_cndmask_b32 v106, v106, v123
	v_cndmask_b32_e64 v112, v112, s6, vcc_lo
	s_add_i32 s6, s6, 1
	s_cmp_lg_u32 s5, s6
	s_cbranch_scc1 .LBB50_106
.LBB50_107:
	s_set_inst_prefetch_distance 0x2
	s_waitcnt lgkmcnt(0)
	v_cmp_eq_f64_e32 vcc_lo, 0, v[104:105]
	v_cmp_eq_f64_e64 s2, 0, v[106:107]
	s_delay_alu instid0(VALU_DEP_1) | instskip(NEXT) | instid1(SALU_CYCLE_1)
	s_and_b32 s2, vcc_lo, s2
	s_and_saveexec_b32 s3, s2
	s_delay_alu instid0(SALU_CYCLE_1)
	s_xor_b32 s2, exec_lo, s3
; %bb.108:
	v_cmp_ne_u32_e32 vcc_lo, 0, v119
	v_cndmask_b32_e32 v119, 6, v119, vcc_lo
; %bb.109:
	s_and_not1_saveexec_b32 s3, s2
	s_cbranch_execz .LBB50_115
; %bb.110:
	v_cmp_gt_f64_e32 vcc_lo, 0, v[104:105]
	v_cmp_gt_f64_e64 s2, 0, v[106:107]
	v_xor_b32_e32 v52, 0x80000000, v105
	v_xor_b32_e32 v54, 0x80000000, v107
	s_delay_alu instid0(VALU_DEP_2) | instskip(NEXT) | instid1(VALU_DEP_2)
	v_cndmask_b32_e32 v53, v105, v52, vcc_lo
	v_cndmask_b32_e64 v55, v107, v54, s2
	v_cndmask_b32_e32 v52, v104, v104, vcc_lo
	v_cndmask_b32_e64 v54, v106, v106, s2
	s_mov_b32 s2, exec_lo
	s_delay_alu instid0(VALU_DEP_1)
	v_cmpx_ngt_f64_e32 v[52:53], v[54:55]
	s_xor_b32 s2, exec_lo, s2
	s_cbranch_execz .LBB50_112
; %bb.111:
	v_div_scale_f64 v[52:53], null, v[106:107], v[106:107], v[104:105]
	v_div_scale_f64 v[110:111], vcc_lo, v[104:105], v[106:107], v[104:105]
	s_delay_alu instid0(VALU_DEP_2) | instskip(SKIP_2) | instid1(VALU_DEP_1)
	v_rcp_f64_e32 v[54:55], v[52:53]
	s_waitcnt_depctr 0xfff
	v_fma_f64 v[108:109], -v[52:53], v[54:55], 1.0
	v_fma_f64 v[54:55], v[54:55], v[108:109], v[54:55]
	s_delay_alu instid0(VALU_DEP_1) | instskip(NEXT) | instid1(VALU_DEP_1)
	v_fma_f64 v[108:109], -v[52:53], v[54:55], 1.0
	v_fma_f64 v[54:55], v[54:55], v[108:109], v[54:55]
	s_delay_alu instid0(VALU_DEP_1) | instskip(NEXT) | instid1(VALU_DEP_1)
	v_mul_f64 v[108:109], v[110:111], v[54:55]
	v_fma_f64 v[52:53], -v[52:53], v[108:109], v[110:111]
	s_delay_alu instid0(VALU_DEP_1) | instskip(NEXT) | instid1(VALU_DEP_1)
	v_div_fmas_f64 v[52:53], v[52:53], v[54:55], v[108:109]
	v_div_fixup_f64 v[52:53], v[52:53], v[106:107], v[104:105]
	s_delay_alu instid0(VALU_DEP_1) | instskip(NEXT) | instid1(VALU_DEP_1)
	v_fma_f64 v[54:55], v[104:105], v[52:53], v[106:107]
	v_div_scale_f64 v[104:105], null, v[54:55], v[54:55], 1.0
	s_delay_alu instid0(VALU_DEP_1) | instskip(SKIP_2) | instid1(VALU_DEP_1)
	v_rcp_f64_e32 v[106:107], v[104:105]
	s_waitcnt_depctr 0xfff
	v_fma_f64 v[108:109], -v[104:105], v[106:107], 1.0
	v_fma_f64 v[106:107], v[106:107], v[108:109], v[106:107]
	s_delay_alu instid0(VALU_DEP_1) | instskip(NEXT) | instid1(VALU_DEP_1)
	v_fma_f64 v[108:109], -v[104:105], v[106:107], 1.0
	v_fma_f64 v[106:107], v[106:107], v[108:109], v[106:107]
	v_div_scale_f64 v[108:109], vcc_lo, 1.0, v[54:55], 1.0
	s_delay_alu instid0(VALU_DEP_1) | instskip(NEXT) | instid1(VALU_DEP_1)
	v_mul_f64 v[110:111], v[108:109], v[106:107]
	v_fma_f64 v[104:105], -v[104:105], v[110:111], v[108:109]
	s_delay_alu instid0(VALU_DEP_1) | instskip(NEXT) | instid1(VALU_DEP_1)
	v_div_fmas_f64 v[104:105], v[104:105], v[106:107], v[110:111]
	v_div_fixup_f64 v[106:107], v[104:105], v[54:55], 1.0
	s_delay_alu instid0(VALU_DEP_1)
	v_mul_f64 v[104:105], v[52:53], v[106:107]
	v_xor_b32_e32 v107, 0x80000000, v107
.LBB50_112:
	s_and_not1_saveexec_b32 s2, s2
	s_cbranch_execz .LBB50_114
; %bb.113:
	s_delay_alu instid0(VALU_DEP_1) | instskip(SKIP_1) | instid1(VALU_DEP_2)
	v_div_scale_f64 v[52:53], null, v[104:105], v[104:105], v[106:107]
	v_div_scale_f64 v[110:111], vcc_lo, v[106:107], v[104:105], v[106:107]
	v_rcp_f64_e32 v[54:55], v[52:53]
	s_waitcnt_depctr 0xfff
	v_fma_f64 v[108:109], -v[52:53], v[54:55], 1.0
	s_delay_alu instid0(VALU_DEP_1) | instskip(NEXT) | instid1(VALU_DEP_1)
	v_fma_f64 v[54:55], v[54:55], v[108:109], v[54:55]
	v_fma_f64 v[108:109], -v[52:53], v[54:55], 1.0
	s_delay_alu instid0(VALU_DEP_1) | instskip(NEXT) | instid1(VALU_DEP_1)
	v_fma_f64 v[54:55], v[54:55], v[108:109], v[54:55]
	v_mul_f64 v[108:109], v[110:111], v[54:55]
	s_delay_alu instid0(VALU_DEP_1) | instskip(NEXT) | instid1(VALU_DEP_1)
	v_fma_f64 v[52:53], -v[52:53], v[108:109], v[110:111]
	v_div_fmas_f64 v[52:53], v[52:53], v[54:55], v[108:109]
	s_delay_alu instid0(VALU_DEP_1) | instskip(NEXT) | instid1(VALU_DEP_1)
	v_div_fixup_f64 v[52:53], v[52:53], v[104:105], v[106:107]
	v_fma_f64 v[54:55], v[106:107], v[52:53], v[104:105]
	s_delay_alu instid0(VALU_DEP_1) | instskip(NEXT) | instid1(VALU_DEP_1)
	v_div_scale_f64 v[104:105], null, v[54:55], v[54:55], 1.0
	v_rcp_f64_e32 v[106:107], v[104:105]
	s_waitcnt_depctr 0xfff
	v_fma_f64 v[108:109], -v[104:105], v[106:107], 1.0
	s_delay_alu instid0(VALU_DEP_1) | instskip(NEXT) | instid1(VALU_DEP_1)
	v_fma_f64 v[106:107], v[106:107], v[108:109], v[106:107]
	v_fma_f64 v[108:109], -v[104:105], v[106:107], 1.0
	s_delay_alu instid0(VALU_DEP_1) | instskip(SKIP_1) | instid1(VALU_DEP_1)
	v_fma_f64 v[106:107], v[106:107], v[108:109], v[106:107]
	v_div_scale_f64 v[108:109], vcc_lo, 1.0, v[54:55], 1.0
	v_mul_f64 v[110:111], v[108:109], v[106:107]
	s_delay_alu instid0(VALU_DEP_1) | instskip(NEXT) | instid1(VALU_DEP_1)
	v_fma_f64 v[104:105], -v[104:105], v[110:111], v[108:109]
	v_div_fmas_f64 v[104:105], v[104:105], v[106:107], v[110:111]
	s_delay_alu instid0(VALU_DEP_1) | instskip(NEXT) | instid1(VALU_DEP_1)
	v_div_fixup_f64 v[104:105], v[104:105], v[54:55], 1.0
	v_mul_f64 v[106:107], v[52:53], -v[104:105]
.LBB50_114:
	s_or_b32 exec_lo, exec_lo, s2
.LBB50_115:
	s_delay_alu instid0(SALU_CYCLE_1) | instskip(NEXT) | instid1(SALU_CYCLE_1)
	s_or_b32 exec_lo, exec_lo, s3
	s_mov_b32 s2, exec_lo
	v_cmpx_ne_u32_e64 v120, v112
	s_xor_b32 s2, exec_lo, s2
	s_cbranch_execz .LBB50_121
; %bb.116:
	s_mov_b32 s3, exec_lo
	v_cmpx_eq_u32_e32 5, v120
	s_cbranch_execz .LBB50_120
; %bb.117:
	v_cmp_ne_u32_e32 vcc_lo, 5, v112
	s_xor_b32 s6, s4, -1
	s_delay_alu instid0(SALU_CYCLE_1) | instskip(NEXT) | instid1(SALU_CYCLE_1)
	s_and_b32 s7, s6, vcc_lo
	s_and_saveexec_b32 s6, s7
	s_cbranch_execz .LBB50_119
; %bb.118:
	v_ashrrev_i32_e32 v113, 31, v112
	s_delay_alu instid0(VALU_DEP_1) | instskip(NEXT) | instid1(VALU_DEP_1)
	v_lshlrev_b64 v[52:53], 2, v[112:113]
	v_add_co_u32 v52, vcc_lo, v94, v52
	s_delay_alu instid0(VALU_DEP_2)
	v_add_co_ci_u32_e32 v53, vcc_lo, v95, v53, vcc_lo
	s_clause 0x1
	flat_load_b32 v54, v[52:53]
	flat_load_b32 v55, v[94:95] offset:20
	s_waitcnt vmcnt(1) lgkmcnt(1)
	flat_store_b32 v[94:95], v54 offset:20
	s_waitcnt vmcnt(0) lgkmcnt(1)
	flat_store_b32 v[52:53], v55
.LBB50_119:
	s_or_b32 exec_lo, exec_lo, s6
	v_mov_b32_e32 v120, v112
	v_mov_b32_e32 v93, v112
.LBB50_120:
	s_or_b32 exec_lo, exec_lo, s3
.LBB50_121:
	s_and_not1_saveexec_b32 s2, s2
	s_cbranch_execz .LBB50_123
; %bb.122:
	v_mov_b32_e32 v120, 5
	ds_store_2addr_b64 v114, v[80:81], v[82:83] offset0:12 offset1:13
	ds_store_2addr_b64 v114, v[76:77], v[78:79] offset0:14 offset1:15
	ds_store_2addr_b64 v114, v[84:85], v[86:87] offset0:16 offset1:17
	ds_store_2addr_b64 v114, v[68:69], v[70:71] offset0:18 offset1:19
	ds_store_2addr_b64 v114, v[72:73], v[74:75] offset0:20 offset1:21
	ds_store_2addr_b64 v114, v[56:57], v[58:59] offset0:22 offset1:23
	ds_store_2addr_b64 v114, v[64:65], v[66:67] offset0:24 offset1:25
	ds_store_2addr_b64 v114, v[60:61], v[62:63] offset0:26 offset1:27
	ds_store_2addr_b64 v114, v[48:49], v[50:51] offset0:28 offset1:29
	ds_store_2addr_b64 v114, v[44:45], v[46:47] offset0:30 offset1:31
	ds_store_2addr_b64 v114, v[40:41], v[42:43] offset0:32 offset1:33
	ds_store_2addr_b64 v114, v[36:37], v[38:39] offset0:34 offset1:35
	ds_store_2addr_b64 v114, v[32:33], v[34:35] offset0:36 offset1:37
	ds_store_2addr_b64 v114, v[24:25], v[26:27] offset0:38 offset1:39
	ds_store_2addr_b64 v114, v[20:21], v[22:23] offset0:40 offset1:41
	ds_store_2addr_b64 v114, v[16:17], v[18:19] offset0:42 offset1:43
	ds_store_2addr_b64 v114, v[12:13], v[14:15] offset0:44 offset1:45
	ds_store_2addr_b64 v114, v[8:9], v[10:11] offset0:46 offset1:47
	ds_store_2addr_b64 v114, v[4:5], v[6:7] offset0:48 offset1:49
	ds_store_2addr_b64 v114, v[0:1], v[2:3] offset0:50 offset1:51
.LBB50_123:
	s_or_b32 exec_lo, exec_lo, s2
	s_delay_alu instid0(SALU_CYCLE_1)
	s_mov_b32 s2, exec_lo
	s_waitcnt lgkmcnt(0)
	s_waitcnt_vscnt null, 0x0
	s_barrier
	buffer_gl0_inv
	v_cmpx_lt_i32_e32 5, v120
	s_cbranch_execz .LBB50_125
; %bb.124:
	v_mul_f64 v[54:55], v[104:105], v[90:91]
	v_mul_f64 v[52:53], v[106:107], v[90:91]
	s_delay_alu instid0(VALU_DEP_2) | instskip(NEXT) | instid1(VALU_DEP_2)
	v_fma_f64 v[90:91], v[106:107], v[88:89], v[54:55]
	v_fma_f64 v[52:53], v[104:105], v[88:89], -v[52:53]
	ds_load_2addr_b64 v[104:107], v114 offset0:12 offset1:13
	ds_load_2addr_b64 v[121:124], v114 offset0:14 offset1:15
	s_waitcnt lgkmcnt(1)
	v_mul_f64 v[54:55], v[106:107], v[90:91]
	v_mul_f64 v[88:89], v[104:105], v[90:91]
	s_delay_alu instid0(VALU_DEP_2) | instskip(SKIP_2) | instid1(VALU_DEP_3)
	v_fma_f64 v[54:55], v[104:105], v[52:53], -v[54:55]
	s_waitcnt lgkmcnt(0)
	v_mul_f64 v[104:105], v[123:124], v[90:91]
	v_fma_f64 v[88:89], v[106:107], v[52:53], v[88:89]
	s_delay_alu instid0(VALU_DEP_3) | instskip(NEXT) | instid1(VALU_DEP_3)
	v_add_f64 v[80:81], v[80:81], -v[54:55]
	v_fma_f64 v[108:109], v[121:122], v[52:53], -v[104:105]
	v_mul_f64 v[104:105], v[121:122], v[90:91]
	s_delay_alu instid0(VALU_DEP_4) | instskip(SKIP_1) | instid1(VALU_DEP_4)
	v_add_f64 v[82:83], v[82:83], -v[88:89]
	v_dual_mov_b32 v89, v53 :: v_dual_mov_b32 v88, v52
	v_add_f64 v[76:77], v[76:77], -v[108:109]
	s_delay_alu instid0(VALU_DEP_4)
	v_fma_f64 v[110:111], v[123:124], v[52:53], v[104:105]
	ds_load_2addr_b64 v[104:107], v114 offset0:16 offset1:17
	ds_load_2addr_b64 v[121:124], v114 offset0:18 offset1:19
	s_waitcnt lgkmcnt(1)
	v_mul_f64 v[112:113], v[106:107], v[90:91]
	v_add_f64 v[78:79], v[78:79], -v[110:111]
	s_delay_alu instid0(VALU_DEP_2) | instskip(SKIP_1) | instid1(VALU_DEP_2)
	v_fma_f64 v[112:113], v[104:105], v[52:53], -v[112:113]
	v_mul_f64 v[104:105], v[104:105], v[90:91]
	v_add_f64 v[84:85], v[84:85], -v[112:113]
	s_delay_alu instid0(VALU_DEP_2) | instskip(SKIP_2) | instid1(VALU_DEP_2)
	v_fma_f64 v[125:126], v[106:107], v[52:53], v[104:105]
	s_waitcnt lgkmcnt(0)
	v_mul_f64 v[104:105], v[123:124], v[90:91]
	v_add_f64 v[86:87], v[86:87], -v[125:126]
	s_delay_alu instid0(VALU_DEP_2) | instskip(SKIP_1) | instid1(VALU_DEP_2)
	v_fma_f64 v[127:128], v[121:122], v[52:53], -v[104:105]
	v_mul_f64 v[104:105], v[121:122], v[90:91]
	v_add_f64 v[68:69], v[68:69], -v[127:128]
	s_delay_alu instid0(VALU_DEP_2)
	v_fma_f64 v[129:130], v[123:124], v[52:53], v[104:105]
	ds_load_2addr_b64 v[104:107], v114 offset0:20 offset1:21
	ds_load_2addr_b64 v[121:124], v114 offset0:22 offset1:23
	s_waitcnt lgkmcnt(1)
	v_mul_f64 v[131:132], v[106:107], v[90:91]
	v_add_f64 v[70:71], v[70:71], -v[129:130]
	s_delay_alu instid0(VALU_DEP_2) | instskip(SKIP_1) | instid1(VALU_DEP_2)
	v_fma_f64 v[131:132], v[104:105], v[52:53], -v[131:132]
	v_mul_f64 v[104:105], v[104:105], v[90:91]
	v_add_f64 v[72:73], v[72:73], -v[131:132]
	s_delay_alu instid0(VALU_DEP_2) | instskip(SKIP_2) | instid1(VALU_DEP_2)
	v_fma_f64 v[133:134], v[106:107], v[52:53], v[104:105]
	s_waitcnt lgkmcnt(0)
	v_mul_f64 v[104:105], v[123:124], v[90:91]
	v_add_f64 v[74:75], v[74:75], -v[133:134]
	s_delay_alu instid0(VALU_DEP_2) | instskip(SKIP_1) | instid1(VALU_DEP_2)
	v_fma_f64 v[135:136], v[121:122], v[52:53], -v[104:105]
	v_mul_f64 v[104:105], v[121:122], v[90:91]
	v_add_f64 v[56:57], v[56:57], -v[135:136]
	s_delay_alu instid0(VALU_DEP_2)
	;; [unrolled: 20-line block ×8, first 2 shown]
	v_fma_f64 v[185:186], v[123:124], v[52:53], v[104:105]
	ds_load_2addr_b64 v[104:107], v114 offset0:48 offset1:49
	ds_load_2addr_b64 v[121:124], v114 offset0:50 offset1:51
	s_waitcnt lgkmcnt(1)
	v_mul_f64 v[187:188], v[106:107], v[90:91]
	v_add_f64 v[10:11], v[10:11], -v[185:186]
	s_delay_alu instid0(VALU_DEP_2) | instskip(SKIP_1) | instid1(VALU_DEP_2)
	v_fma_f64 v[187:188], v[104:105], v[52:53], -v[187:188]
	v_mul_f64 v[104:105], v[104:105], v[90:91]
	v_add_f64 v[4:5], v[4:5], -v[187:188]
	s_delay_alu instid0(VALU_DEP_2) | instskip(SKIP_2) | instid1(VALU_DEP_2)
	v_fma_f64 v[104:105], v[106:107], v[52:53], v[104:105]
	s_waitcnt lgkmcnt(0)
	v_mul_f64 v[106:107], v[123:124], v[90:91]
	v_add_f64 v[6:7], v[6:7], -v[104:105]
	s_delay_alu instid0(VALU_DEP_2) | instskip(SKIP_1) | instid1(VALU_DEP_2)
	v_fma_f64 v[106:107], v[121:122], v[52:53], -v[106:107]
	v_mul_f64 v[121:122], v[121:122], v[90:91]
	v_add_f64 v[0:1], v[0:1], -v[106:107]
	s_delay_alu instid0(VALU_DEP_2) | instskip(NEXT) | instid1(VALU_DEP_1)
	v_fma_f64 v[121:122], v[123:124], v[52:53], v[121:122]
	v_add_f64 v[2:3], v[2:3], -v[121:122]
.LBB50_125:
	s_or_b32 exec_lo, exec_lo, s2
	v_lshl_add_u32 v52, v120, 4, v114
	s_barrier
	buffer_gl0_inv
	v_mov_b32_e32 v112, 6
	ds_store_2addr_b64 v52, v[80:81], v[82:83] offset1:1
	s_waitcnt lgkmcnt(0)
	s_barrier
	buffer_gl0_inv
	ds_load_2addr_b64 v[104:107], v114 offset0:12 offset1:13
	s_cmp_lt_i32 s5, 8
	s_cbranch_scc1 .LBB50_128
; %bb.126:
	v_add3_u32 v113, v92, 0, 0x70
	v_mov_b32_e32 v112, 6
	s_mov_b32 s6, 7
	s_set_inst_prefetch_distance 0x1
	.p2align	6
.LBB50_127:                             ; =>This Inner Loop Header: Depth=1
	ds_load_2addr_b64 v[121:124], v113 offset1:1
	s_waitcnt lgkmcnt(1)
	v_cmp_gt_f64_e32 vcc_lo, 0, v[104:105]
	v_xor_b32_e32 v52, 0x80000000, v105
	v_cmp_gt_f64_e64 s2, 0, v[106:107]
	v_xor_b32_e32 v54, 0x80000000, v107
	v_add_nc_u32_e32 v113, 16, v113
	s_waitcnt lgkmcnt(0)
	v_cmp_gt_f64_e64 s3, 0, v[121:122]
	v_mov_b32_e32 v108, v121
	v_dual_mov_b32 v110, v123 :: v_dual_cndmask_b32 v53, v105, v52
	v_xor_b32_e32 v52, 0x80000000, v122
	v_cndmask_b32_e64 v55, v107, v54, s2
	v_xor_b32_e32 v54, 0x80000000, v124
	s_delay_alu instid0(VALU_DEP_3) | instskip(SKIP_2) | instid1(VALU_DEP_2)
	v_cndmask_b32_e64 v109, v122, v52, s3
	v_cmp_gt_f64_e64 s3, 0, v[123:124]
	v_cndmask_b32_e32 v52, v104, v104, vcc_lo
	v_cndmask_b32_e64 v111, v124, v54, s3
	v_cndmask_b32_e64 v54, v106, v106, s2
	s_delay_alu instid0(VALU_DEP_2) | instskip(NEXT) | instid1(VALU_DEP_2)
	v_add_f64 v[108:109], v[108:109], v[110:111]
	v_add_f64 v[52:53], v[52:53], v[54:55]
	s_delay_alu instid0(VALU_DEP_1) | instskip(SKIP_4) | instid1(SALU_CYCLE_1)
	v_cmp_lt_f64_e32 vcc_lo, v[52:53], v[108:109]
	v_dual_cndmask_b32 v105, v105, v122 :: v_dual_cndmask_b32 v104, v104, v121
	v_dual_cndmask_b32 v107, v107, v124 :: v_dual_cndmask_b32 v106, v106, v123
	v_cndmask_b32_e64 v112, v112, s6, vcc_lo
	s_add_i32 s6, s6, 1
	s_cmp_lg_u32 s5, s6
	s_cbranch_scc1 .LBB50_127
.LBB50_128:
	s_set_inst_prefetch_distance 0x2
	s_waitcnt lgkmcnt(0)
	v_cmp_eq_f64_e32 vcc_lo, 0, v[104:105]
	v_cmp_eq_f64_e64 s2, 0, v[106:107]
	s_delay_alu instid0(VALU_DEP_1) | instskip(NEXT) | instid1(SALU_CYCLE_1)
	s_and_b32 s2, vcc_lo, s2
	s_and_saveexec_b32 s3, s2
	s_delay_alu instid0(SALU_CYCLE_1)
	s_xor_b32 s2, exec_lo, s3
; %bb.129:
	v_cmp_ne_u32_e32 vcc_lo, 0, v119
	v_cndmask_b32_e32 v119, 7, v119, vcc_lo
; %bb.130:
	s_and_not1_saveexec_b32 s3, s2
	s_cbranch_execz .LBB50_136
; %bb.131:
	v_cmp_gt_f64_e32 vcc_lo, 0, v[104:105]
	v_cmp_gt_f64_e64 s2, 0, v[106:107]
	v_xor_b32_e32 v52, 0x80000000, v105
	v_xor_b32_e32 v54, 0x80000000, v107
	s_delay_alu instid0(VALU_DEP_2) | instskip(NEXT) | instid1(VALU_DEP_2)
	v_cndmask_b32_e32 v53, v105, v52, vcc_lo
	v_cndmask_b32_e64 v55, v107, v54, s2
	v_cndmask_b32_e32 v52, v104, v104, vcc_lo
	v_cndmask_b32_e64 v54, v106, v106, s2
	s_mov_b32 s2, exec_lo
	s_delay_alu instid0(VALU_DEP_1)
	v_cmpx_ngt_f64_e32 v[52:53], v[54:55]
	s_xor_b32 s2, exec_lo, s2
	s_cbranch_execz .LBB50_133
; %bb.132:
	v_div_scale_f64 v[52:53], null, v[106:107], v[106:107], v[104:105]
	v_div_scale_f64 v[110:111], vcc_lo, v[104:105], v[106:107], v[104:105]
	s_delay_alu instid0(VALU_DEP_2) | instskip(SKIP_2) | instid1(VALU_DEP_1)
	v_rcp_f64_e32 v[54:55], v[52:53]
	s_waitcnt_depctr 0xfff
	v_fma_f64 v[108:109], -v[52:53], v[54:55], 1.0
	v_fma_f64 v[54:55], v[54:55], v[108:109], v[54:55]
	s_delay_alu instid0(VALU_DEP_1) | instskip(NEXT) | instid1(VALU_DEP_1)
	v_fma_f64 v[108:109], -v[52:53], v[54:55], 1.0
	v_fma_f64 v[54:55], v[54:55], v[108:109], v[54:55]
	s_delay_alu instid0(VALU_DEP_1) | instskip(NEXT) | instid1(VALU_DEP_1)
	v_mul_f64 v[108:109], v[110:111], v[54:55]
	v_fma_f64 v[52:53], -v[52:53], v[108:109], v[110:111]
	s_delay_alu instid0(VALU_DEP_1) | instskip(NEXT) | instid1(VALU_DEP_1)
	v_div_fmas_f64 v[52:53], v[52:53], v[54:55], v[108:109]
	v_div_fixup_f64 v[52:53], v[52:53], v[106:107], v[104:105]
	s_delay_alu instid0(VALU_DEP_1) | instskip(NEXT) | instid1(VALU_DEP_1)
	v_fma_f64 v[54:55], v[104:105], v[52:53], v[106:107]
	v_div_scale_f64 v[104:105], null, v[54:55], v[54:55], 1.0
	s_delay_alu instid0(VALU_DEP_1) | instskip(SKIP_2) | instid1(VALU_DEP_1)
	v_rcp_f64_e32 v[106:107], v[104:105]
	s_waitcnt_depctr 0xfff
	v_fma_f64 v[108:109], -v[104:105], v[106:107], 1.0
	v_fma_f64 v[106:107], v[106:107], v[108:109], v[106:107]
	s_delay_alu instid0(VALU_DEP_1) | instskip(NEXT) | instid1(VALU_DEP_1)
	v_fma_f64 v[108:109], -v[104:105], v[106:107], 1.0
	v_fma_f64 v[106:107], v[106:107], v[108:109], v[106:107]
	v_div_scale_f64 v[108:109], vcc_lo, 1.0, v[54:55], 1.0
	s_delay_alu instid0(VALU_DEP_1) | instskip(NEXT) | instid1(VALU_DEP_1)
	v_mul_f64 v[110:111], v[108:109], v[106:107]
	v_fma_f64 v[104:105], -v[104:105], v[110:111], v[108:109]
	s_delay_alu instid0(VALU_DEP_1) | instskip(NEXT) | instid1(VALU_DEP_1)
	v_div_fmas_f64 v[104:105], v[104:105], v[106:107], v[110:111]
	v_div_fixup_f64 v[106:107], v[104:105], v[54:55], 1.0
	s_delay_alu instid0(VALU_DEP_1)
	v_mul_f64 v[104:105], v[52:53], v[106:107]
	v_xor_b32_e32 v107, 0x80000000, v107
.LBB50_133:
	s_and_not1_saveexec_b32 s2, s2
	s_cbranch_execz .LBB50_135
; %bb.134:
	s_delay_alu instid0(VALU_DEP_1) | instskip(SKIP_1) | instid1(VALU_DEP_2)
	v_div_scale_f64 v[52:53], null, v[104:105], v[104:105], v[106:107]
	v_div_scale_f64 v[110:111], vcc_lo, v[106:107], v[104:105], v[106:107]
	v_rcp_f64_e32 v[54:55], v[52:53]
	s_waitcnt_depctr 0xfff
	v_fma_f64 v[108:109], -v[52:53], v[54:55], 1.0
	s_delay_alu instid0(VALU_DEP_1) | instskip(NEXT) | instid1(VALU_DEP_1)
	v_fma_f64 v[54:55], v[54:55], v[108:109], v[54:55]
	v_fma_f64 v[108:109], -v[52:53], v[54:55], 1.0
	s_delay_alu instid0(VALU_DEP_1) | instskip(NEXT) | instid1(VALU_DEP_1)
	v_fma_f64 v[54:55], v[54:55], v[108:109], v[54:55]
	v_mul_f64 v[108:109], v[110:111], v[54:55]
	s_delay_alu instid0(VALU_DEP_1) | instskip(NEXT) | instid1(VALU_DEP_1)
	v_fma_f64 v[52:53], -v[52:53], v[108:109], v[110:111]
	v_div_fmas_f64 v[52:53], v[52:53], v[54:55], v[108:109]
	s_delay_alu instid0(VALU_DEP_1) | instskip(NEXT) | instid1(VALU_DEP_1)
	v_div_fixup_f64 v[52:53], v[52:53], v[104:105], v[106:107]
	v_fma_f64 v[54:55], v[106:107], v[52:53], v[104:105]
	s_delay_alu instid0(VALU_DEP_1) | instskip(NEXT) | instid1(VALU_DEP_1)
	v_div_scale_f64 v[104:105], null, v[54:55], v[54:55], 1.0
	v_rcp_f64_e32 v[106:107], v[104:105]
	s_waitcnt_depctr 0xfff
	v_fma_f64 v[108:109], -v[104:105], v[106:107], 1.0
	s_delay_alu instid0(VALU_DEP_1) | instskip(NEXT) | instid1(VALU_DEP_1)
	v_fma_f64 v[106:107], v[106:107], v[108:109], v[106:107]
	v_fma_f64 v[108:109], -v[104:105], v[106:107], 1.0
	s_delay_alu instid0(VALU_DEP_1) | instskip(SKIP_1) | instid1(VALU_DEP_1)
	v_fma_f64 v[106:107], v[106:107], v[108:109], v[106:107]
	v_div_scale_f64 v[108:109], vcc_lo, 1.0, v[54:55], 1.0
	v_mul_f64 v[110:111], v[108:109], v[106:107]
	s_delay_alu instid0(VALU_DEP_1) | instskip(NEXT) | instid1(VALU_DEP_1)
	v_fma_f64 v[104:105], -v[104:105], v[110:111], v[108:109]
	v_div_fmas_f64 v[104:105], v[104:105], v[106:107], v[110:111]
	s_delay_alu instid0(VALU_DEP_1) | instskip(NEXT) | instid1(VALU_DEP_1)
	v_div_fixup_f64 v[104:105], v[104:105], v[54:55], 1.0
	v_mul_f64 v[106:107], v[52:53], -v[104:105]
.LBB50_135:
	s_or_b32 exec_lo, exec_lo, s2
.LBB50_136:
	s_delay_alu instid0(SALU_CYCLE_1) | instskip(NEXT) | instid1(SALU_CYCLE_1)
	s_or_b32 exec_lo, exec_lo, s3
	s_mov_b32 s2, exec_lo
	v_cmpx_ne_u32_e64 v120, v112
	s_xor_b32 s2, exec_lo, s2
	s_cbranch_execz .LBB50_142
; %bb.137:
	s_mov_b32 s3, exec_lo
	v_cmpx_eq_u32_e32 6, v120
	s_cbranch_execz .LBB50_141
; %bb.138:
	v_cmp_ne_u32_e32 vcc_lo, 6, v112
	s_xor_b32 s6, s4, -1
	s_delay_alu instid0(SALU_CYCLE_1) | instskip(NEXT) | instid1(SALU_CYCLE_1)
	s_and_b32 s7, s6, vcc_lo
	s_and_saveexec_b32 s6, s7
	s_cbranch_execz .LBB50_140
; %bb.139:
	v_ashrrev_i32_e32 v113, 31, v112
	s_delay_alu instid0(VALU_DEP_1) | instskip(NEXT) | instid1(VALU_DEP_1)
	v_lshlrev_b64 v[52:53], 2, v[112:113]
	v_add_co_u32 v52, vcc_lo, v94, v52
	s_delay_alu instid0(VALU_DEP_2)
	v_add_co_ci_u32_e32 v53, vcc_lo, v95, v53, vcc_lo
	s_clause 0x1
	flat_load_b32 v54, v[52:53]
	flat_load_b32 v55, v[94:95] offset:24
	s_waitcnt vmcnt(1) lgkmcnt(1)
	flat_store_b32 v[94:95], v54 offset:24
	s_waitcnt vmcnt(0) lgkmcnt(1)
	flat_store_b32 v[52:53], v55
.LBB50_140:
	s_or_b32 exec_lo, exec_lo, s6
	v_mov_b32_e32 v120, v112
	v_mov_b32_e32 v93, v112
.LBB50_141:
	s_or_b32 exec_lo, exec_lo, s3
.LBB50_142:
	s_and_not1_saveexec_b32 s2, s2
	s_cbranch_execz .LBB50_144
; %bb.143:
	v_mov_b32_e32 v120, 6
	ds_store_2addr_b64 v114, v[76:77], v[78:79] offset0:14 offset1:15
	ds_store_2addr_b64 v114, v[84:85], v[86:87] offset0:16 offset1:17
	;; [unrolled: 1-line block ×19, first 2 shown]
.LBB50_144:
	s_or_b32 exec_lo, exec_lo, s2
	s_delay_alu instid0(SALU_CYCLE_1)
	s_mov_b32 s2, exec_lo
	s_waitcnt lgkmcnt(0)
	s_waitcnt_vscnt null, 0x0
	s_barrier
	buffer_gl0_inv
	v_cmpx_lt_i32_e32 6, v120
	s_cbranch_execz .LBB50_146
; %bb.145:
	v_mul_f64 v[54:55], v[104:105], v[82:83]
	v_mul_f64 v[52:53], v[106:107], v[82:83]
	s_delay_alu instid0(VALU_DEP_2) | instskip(NEXT) | instid1(VALU_DEP_2)
	v_fma_f64 v[82:83], v[106:107], v[80:81], v[54:55]
	v_fma_f64 v[52:53], v[104:105], v[80:81], -v[52:53]
	ds_load_2addr_b64 v[104:107], v114 offset0:14 offset1:15
	ds_load_2addr_b64 v[121:124], v114 offset0:16 offset1:17
	s_waitcnt lgkmcnt(1)
	v_mul_f64 v[54:55], v[106:107], v[82:83]
	v_mul_f64 v[80:81], v[104:105], v[82:83]
	s_delay_alu instid0(VALU_DEP_2) | instskip(SKIP_2) | instid1(VALU_DEP_3)
	v_fma_f64 v[54:55], v[104:105], v[52:53], -v[54:55]
	s_waitcnt lgkmcnt(0)
	v_mul_f64 v[104:105], v[123:124], v[82:83]
	v_fma_f64 v[80:81], v[106:107], v[52:53], v[80:81]
	s_delay_alu instid0(VALU_DEP_3) | instskip(NEXT) | instid1(VALU_DEP_3)
	v_add_f64 v[76:77], v[76:77], -v[54:55]
	v_fma_f64 v[108:109], v[121:122], v[52:53], -v[104:105]
	v_mul_f64 v[104:105], v[121:122], v[82:83]
	s_delay_alu instid0(VALU_DEP_4) | instskip(SKIP_1) | instid1(VALU_DEP_4)
	v_add_f64 v[78:79], v[78:79], -v[80:81]
	v_dual_mov_b32 v81, v53 :: v_dual_mov_b32 v80, v52
	v_add_f64 v[84:85], v[84:85], -v[108:109]
	s_delay_alu instid0(VALU_DEP_4)
	v_fma_f64 v[110:111], v[123:124], v[52:53], v[104:105]
	ds_load_2addr_b64 v[104:107], v114 offset0:18 offset1:19
	ds_load_2addr_b64 v[121:124], v114 offset0:20 offset1:21
	s_waitcnt lgkmcnt(1)
	v_mul_f64 v[112:113], v[106:107], v[82:83]
	v_add_f64 v[86:87], v[86:87], -v[110:111]
	s_delay_alu instid0(VALU_DEP_2) | instskip(SKIP_1) | instid1(VALU_DEP_2)
	v_fma_f64 v[112:113], v[104:105], v[52:53], -v[112:113]
	v_mul_f64 v[104:105], v[104:105], v[82:83]
	v_add_f64 v[68:69], v[68:69], -v[112:113]
	s_delay_alu instid0(VALU_DEP_2) | instskip(SKIP_2) | instid1(VALU_DEP_2)
	v_fma_f64 v[125:126], v[106:107], v[52:53], v[104:105]
	s_waitcnt lgkmcnt(0)
	v_mul_f64 v[104:105], v[123:124], v[82:83]
	v_add_f64 v[70:71], v[70:71], -v[125:126]
	s_delay_alu instid0(VALU_DEP_2) | instskip(SKIP_1) | instid1(VALU_DEP_2)
	v_fma_f64 v[127:128], v[121:122], v[52:53], -v[104:105]
	v_mul_f64 v[104:105], v[121:122], v[82:83]
	v_add_f64 v[72:73], v[72:73], -v[127:128]
	s_delay_alu instid0(VALU_DEP_2)
	v_fma_f64 v[129:130], v[123:124], v[52:53], v[104:105]
	ds_load_2addr_b64 v[104:107], v114 offset0:22 offset1:23
	ds_load_2addr_b64 v[121:124], v114 offset0:24 offset1:25
	s_waitcnt lgkmcnt(1)
	v_mul_f64 v[131:132], v[106:107], v[82:83]
	v_add_f64 v[74:75], v[74:75], -v[129:130]
	s_delay_alu instid0(VALU_DEP_2) | instskip(SKIP_1) | instid1(VALU_DEP_2)
	v_fma_f64 v[131:132], v[104:105], v[52:53], -v[131:132]
	v_mul_f64 v[104:105], v[104:105], v[82:83]
	v_add_f64 v[56:57], v[56:57], -v[131:132]
	s_delay_alu instid0(VALU_DEP_2) | instskip(SKIP_2) | instid1(VALU_DEP_2)
	v_fma_f64 v[133:134], v[106:107], v[52:53], v[104:105]
	s_waitcnt lgkmcnt(0)
	v_mul_f64 v[104:105], v[123:124], v[82:83]
	v_add_f64 v[58:59], v[58:59], -v[133:134]
	s_delay_alu instid0(VALU_DEP_2) | instskip(SKIP_1) | instid1(VALU_DEP_2)
	v_fma_f64 v[135:136], v[121:122], v[52:53], -v[104:105]
	v_mul_f64 v[104:105], v[121:122], v[82:83]
	v_add_f64 v[64:65], v[64:65], -v[135:136]
	s_delay_alu instid0(VALU_DEP_2)
	;; [unrolled: 20-line block ×7, first 2 shown]
	v_fma_f64 v[177:178], v[123:124], v[52:53], v[104:105]
	ds_load_2addr_b64 v[104:107], v114 offset0:46 offset1:47
	ds_load_2addr_b64 v[121:124], v114 offset0:48 offset1:49
	s_waitcnt lgkmcnt(1)
	v_mul_f64 v[179:180], v[106:107], v[82:83]
	v_add_f64 v[14:15], v[14:15], -v[177:178]
	s_delay_alu instid0(VALU_DEP_2) | instskip(SKIP_1) | instid1(VALU_DEP_2)
	v_fma_f64 v[179:180], v[104:105], v[52:53], -v[179:180]
	v_mul_f64 v[104:105], v[104:105], v[82:83]
	v_add_f64 v[8:9], v[8:9], -v[179:180]
	s_delay_alu instid0(VALU_DEP_2) | instskip(SKIP_2) | instid1(VALU_DEP_2)
	v_fma_f64 v[181:182], v[106:107], v[52:53], v[104:105]
	s_waitcnt lgkmcnt(0)
	v_mul_f64 v[104:105], v[123:124], v[82:83]
	v_add_f64 v[10:11], v[10:11], -v[181:182]
	s_delay_alu instid0(VALU_DEP_2) | instskip(SKIP_1) | instid1(VALU_DEP_2)
	v_fma_f64 v[183:184], v[121:122], v[52:53], -v[104:105]
	v_mul_f64 v[104:105], v[121:122], v[82:83]
	v_add_f64 v[4:5], v[4:5], -v[183:184]
	s_delay_alu instid0(VALU_DEP_2) | instskip(SKIP_4) | instid1(VALU_DEP_2)
	v_fma_f64 v[121:122], v[123:124], v[52:53], v[104:105]
	ds_load_2addr_b64 v[104:107], v114 offset0:50 offset1:51
	s_waitcnt lgkmcnt(0)
	v_mul_f64 v[123:124], v[106:107], v[82:83]
	v_add_f64 v[6:7], v[6:7], -v[121:122]
	v_fma_f64 v[123:124], v[104:105], v[52:53], -v[123:124]
	v_mul_f64 v[104:105], v[104:105], v[82:83]
	s_delay_alu instid0(VALU_DEP_2) | instskip(NEXT) | instid1(VALU_DEP_2)
	v_add_f64 v[0:1], v[0:1], -v[123:124]
	v_fma_f64 v[104:105], v[106:107], v[52:53], v[104:105]
	s_delay_alu instid0(VALU_DEP_1)
	v_add_f64 v[2:3], v[2:3], -v[104:105]
.LBB50_146:
	s_or_b32 exec_lo, exec_lo, s2
	v_lshl_add_u32 v52, v120, 4, v114
	s_barrier
	buffer_gl0_inv
	v_mov_b32_e32 v112, 7
	ds_store_2addr_b64 v52, v[76:77], v[78:79] offset1:1
	s_waitcnt lgkmcnt(0)
	s_barrier
	buffer_gl0_inv
	ds_load_2addr_b64 v[104:107], v114 offset0:14 offset1:15
	s_cmp_lt_i32 s5, 9
	s_cbranch_scc1 .LBB50_149
; %bb.147:
	v_add3_u32 v113, v92, 0, 0x80
	v_mov_b32_e32 v112, 7
	s_mov_b32 s6, 8
	s_set_inst_prefetch_distance 0x1
	.p2align	6
.LBB50_148:                             ; =>This Inner Loop Header: Depth=1
	ds_load_2addr_b64 v[121:124], v113 offset1:1
	s_waitcnt lgkmcnt(1)
	v_cmp_gt_f64_e32 vcc_lo, 0, v[104:105]
	v_xor_b32_e32 v52, 0x80000000, v105
	v_cmp_gt_f64_e64 s2, 0, v[106:107]
	v_xor_b32_e32 v54, 0x80000000, v107
	v_add_nc_u32_e32 v113, 16, v113
	s_waitcnt lgkmcnt(0)
	v_cmp_gt_f64_e64 s3, 0, v[121:122]
	v_mov_b32_e32 v108, v121
	v_dual_mov_b32 v110, v123 :: v_dual_cndmask_b32 v53, v105, v52
	v_xor_b32_e32 v52, 0x80000000, v122
	v_cndmask_b32_e64 v55, v107, v54, s2
	v_xor_b32_e32 v54, 0x80000000, v124
	s_delay_alu instid0(VALU_DEP_3) | instskip(SKIP_2) | instid1(VALU_DEP_2)
	v_cndmask_b32_e64 v109, v122, v52, s3
	v_cmp_gt_f64_e64 s3, 0, v[123:124]
	v_cndmask_b32_e32 v52, v104, v104, vcc_lo
	v_cndmask_b32_e64 v111, v124, v54, s3
	v_cndmask_b32_e64 v54, v106, v106, s2
	s_delay_alu instid0(VALU_DEP_2) | instskip(NEXT) | instid1(VALU_DEP_2)
	v_add_f64 v[108:109], v[108:109], v[110:111]
	v_add_f64 v[52:53], v[52:53], v[54:55]
	s_delay_alu instid0(VALU_DEP_1) | instskip(SKIP_4) | instid1(SALU_CYCLE_1)
	v_cmp_lt_f64_e32 vcc_lo, v[52:53], v[108:109]
	v_dual_cndmask_b32 v105, v105, v122 :: v_dual_cndmask_b32 v104, v104, v121
	v_dual_cndmask_b32 v107, v107, v124 :: v_dual_cndmask_b32 v106, v106, v123
	v_cndmask_b32_e64 v112, v112, s6, vcc_lo
	s_add_i32 s6, s6, 1
	s_cmp_lg_u32 s5, s6
	s_cbranch_scc1 .LBB50_148
.LBB50_149:
	s_set_inst_prefetch_distance 0x2
	s_waitcnt lgkmcnt(0)
	v_cmp_eq_f64_e32 vcc_lo, 0, v[104:105]
	v_cmp_eq_f64_e64 s2, 0, v[106:107]
	s_delay_alu instid0(VALU_DEP_1) | instskip(NEXT) | instid1(SALU_CYCLE_1)
	s_and_b32 s2, vcc_lo, s2
	s_and_saveexec_b32 s3, s2
	s_delay_alu instid0(SALU_CYCLE_1)
	s_xor_b32 s2, exec_lo, s3
; %bb.150:
	v_cmp_ne_u32_e32 vcc_lo, 0, v119
	v_cndmask_b32_e32 v119, 8, v119, vcc_lo
; %bb.151:
	s_and_not1_saveexec_b32 s3, s2
	s_cbranch_execz .LBB50_157
; %bb.152:
	v_cmp_gt_f64_e32 vcc_lo, 0, v[104:105]
	v_cmp_gt_f64_e64 s2, 0, v[106:107]
	v_xor_b32_e32 v52, 0x80000000, v105
	v_xor_b32_e32 v54, 0x80000000, v107
	s_delay_alu instid0(VALU_DEP_2) | instskip(NEXT) | instid1(VALU_DEP_2)
	v_cndmask_b32_e32 v53, v105, v52, vcc_lo
	v_cndmask_b32_e64 v55, v107, v54, s2
	v_cndmask_b32_e32 v52, v104, v104, vcc_lo
	v_cndmask_b32_e64 v54, v106, v106, s2
	s_mov_b32 s2, exec_lo
	s_delay_alu instid0(VALU_DEP_1)
	v_cmpx_ngt_f64_e32 v[52:53], v[54:55]
	s_xor_b32 s2, exec_lo, s2
	s_cbranch_execz .LBB50_154
; %bb.153:
	v_div_scale_f64 v[52:53], null, v[106:107], v[106:107], v[104:105]
	v_div_scale_f64 v[110:111], vcc_lo, v[104:105], v[106:107], v[104:105]
	s_delay_alu instid0(VALU_DEP_2) | instskip(SKIP_2) | instid1(VALU_DEP_1)
	v_rcp_f64_e32 v[54:55], v[52:53]
	s_waitcnt_depctr 0xfff
	v_fma_f64 v[108:109], -v[52:53], v[54:55], 1.0
	v_fma_f64 v[54:55], v[54:55], v[108:109], v[54:55]
	s_delay_alu instid0(VALU_DEP_1) | instskip(NEXT) | instid1(VALU_DEP_1)
	v_fma_f64 v[108:109], -v[52:53], v[54:55], 1.0
	v_fma_f64 v[54:55], v[54:55], v[108:109], v[54:55]
	s_delay_alu instid0(VALU_DEP_1) | instskip(NEXT) | instid1(VALU_DEP_1)
	v_mul_f64 v[108:109], v[110:111], v[54:55]
	v_fma_f64 v[52:53], -v[52:53], v[108:109], v[110:111]
	s_delay_alu instid0(VALU_DEP_1) | instskip(NEXT) | instid1(VALU_DEP_1)
	v_div_fmas_f64 v[52:53], v[52:53], v[54:55], v[108:109]
	v_div_fixup_f64 v[52:53], v[52:53], v[106:107], v[104:105]
	s_delay_alu instid0(VALU_DEP_1) | instskip(NEXT) | instid1(VALU_DEP_1)
	v_fma_f64 v[54:55], v[104:105], v[52:53], v[106:107]
	v_div_scale_f64 v[104:105], null, v[54:55], v[54:55], 1.0
	s_delay_alu instid0(VALU_DEP_1) | instskip(SKIP_2) | instid1(VALU_DEP_1)
	v_rcp_f64_e32 v[106:107], v[104:105]
	s_waitcnt_depctr 0xfff
	v_fma_f64 v[108:109], -v[104:105], v[106:107], 1.0
	v_fma_f64 v[106:107], v[106:107], v[108:109], v[106:107]
	s_delay_alu instid0(VALU_DEP_1) | instskip(NEXT) | instid1(VALU_DEP_1)
	v_fma_f64 v[108:109], -v[104:105], v[106:107], 1.0
	v_fma_f64 v[106:107], v[106:107], v[108:109], v[106:107]
	v_div_scale_f64 v[108:109], vcc_lo, 1.0, v[54:55], 1.0
	s_delay_alu instid0(VALU_DEP_1) | instskip(NEXT) | instid1(VALU_DEP_1)
	v_mul_f64 v[110:111], v[108:109], v[106:107]
	v_fma_f64 v[104:105], -v[104:105], v[110:111], v[108:109]
	s_delay_alu instid0(VALU_DEP_1) | instskip(NEXT) | instid1(VALU_DEP_1)
	v_div_fmas_f64 v[104:105], v[104:105], v[106:107], v[110:111]
	v_div_fixup_f64 v[106:107], v[104:105], v[54:55], 1.0
	s_delay_alu instid0(VALU_DEP_1)
	v_mul_f64 v[104:105], v[52:53], v[106:107]
	v_xor_b32_e32 v107, 0x80000000, v107
.LBB50_154:
	s_and_not1_saveexec_b32 s2, s2
	s_cbranch_execz .LBB50_156
; %bb.155:
	s_delay_alu instid0(VALU_DEP_1) | instskip(SKIP_1) | instid1(VALU_DEP_2)
	v_div_scale_f64 v[52:53], null, v[104:105], v[104:105], v[106:107]
	v_div_scale_f64 v[110:111], vcc_lo, v[106:107], v[104:105], v[106:107]
	v_rcp_f64_e32 v[54:55], v[52:53]
	s_waitcnt_depctr 0xfff
	v_fma_f64 v[108:109], -v[52:53], v[54:55], 1.0
	s_delay_alu instid0(VALU_DEP_1) | instskip(NEXT) | instid1(VALU_DEP_1)
	v_fma_f64 v[54:55], v[54:55], v[108:109], v[54:55]
	v_fma_f64 v[108:109], -v[52:53], v[54:55], 1.0
	s_delay_alu instid0(VALU_DEP_1) | instskip(NEXT) | instid1(VALU_DEP_1)
	v_fma_f64 v[54:55], v[54:55], v[108:109], v[54:55]
	v_mul_f64 v[108:109], v[110:111], v[54:55]
	s_delay_alu instid0(VALU_DEP_1) | instskip(NEXT) | instid1(VALU_DEP_1)
	v_fma_f64 v[52:53], -v[52:53], v[108:109], v[110:111]
	v_div_fmas_f64 v[52:53], v[52:53], v[54:55], v[108:109]
	s_delay_alu instid0(VALU_DEP_1) | instskip(NEXT) | instid1(VALU_DEP_1)
	v_div_fixup_f64 v[52:53], v[52:53], v[104:105], v[106:107]
	v_fma_f64 v[54:55], v[106:107], v[52:53], v[104:105]
	s_delay_alu instid0(VALU_DEP_1) | instskip(NEXT) | instid1(VALU_DEP_1)
	v_div_scale_f64 v[104:105], null, v[54:55], v[54:55], 1.0
	v_rcp_f64_e32 v[106:107], v[104:105]
	s_waitcnt_depctr 0xfff
	v_fma_f64 v[108:109], -v[104:105], v[106:107], 1.0
	s_delay_alu instid0(VALU_DEP_1) | instskip(NEXT) | instid1(VALU_DEP_1)
	v_fma_f64 v[106:107], v[106:107], v[108:109], v[106:107]
	v_fma_f64 v[108:109], -v[104:105], v[106:107], 1.0
	s_delay_alu instid0(VALU_DEP_1) | instskip(SKIP_1) | instid1(VALU_DEP_1)
	v_fma_f64 v[106:107], v[106:107], v[108:109], v[106:107]
	v_div_scale_f64 v[108:109], vcc_lo, 1.0, v[54:55], 1.0
	v_mul_f64 v[110:111], v[108:109], v[106:107]
	s_delay_alu instid0(VALU_DEP_1) | instskip(NEXT) | instid1(VALU_DEP_1)
	v_fma_f64 v[104:105], -v[104:105], v[110:111], v[108:109]
	v_div_fmas_f64 v[104:105], v[104:105], v[106:107], v[110:111]
	s_delay_alu instid0(VALU_DEP_1) | instskip(NEXT) | instid1(VALU_DEP_1)
	v_div_fixup_f64 v[104:105], v[104:105], v[54:55], 1.0
	v_mul_f64 v[106:107], v[52:53], -v[104:105]
.LBB50_156:
	s_or_b32 exec_lo, exec_lo, s2
.LBB50_157:
	s_delay_alu instid0(SALU_CYCLE_1) | instskip(NEXT) | instid1(SALU_CYCLE_1)
	s_or_b32 exec_lo, exec_lo, s3
	s_mov_b32 s2, exec_lo
	v_cmpx_ne_u32_e64 v120, v112
	s_xor_b32 s2, exec_lo, s2
	s_cbranch_execz .LBB50_163
; %bb.158:
	s_mov_b32 s3, exec_lo
	v_cmpx_eq_u32_e32 7, v120
	s_cbranch_execz .LBB50_162
; %bb.159:
	v_cmp_ne_u32_e32 vcc_lo, 7, v112
	s_xor_b32 s6, s4, -1
	s_delay_alu instid0(SALU_CYCLE_1) | instskip(NEXT) | instid1(SALU_CYCLE_1)
	s_and_b32 s7, s6, vcc_lo
	s_and_saveexec_b32 s6, s7
	s_cbranch_execz .LBB50_161
; %bb.160:
	v_ashrrev_i32_e32 v113, 31, v112
	s_delay_alu instid0(VALU_DEP_1) | instskip(NEXT) | instid1(VALU_DEP_1)
	v_lshlrev_b64 v[52:53], 2, v[112:113]
	v_add_co_u32 v52, vcc_lo, v94, v52
	s_delay_alu instid0(VALU_DEP_2)
	v_add_co_ci_u32_e32 v53, vcc_lo, v95, v53, vcc_lo
	s_clause 0x1
	flat_load_b32 v54, v[52:53]
	flat_load_b32 v55, v[94:95] offset:28
	s_waitcnt vmcnt(1) lgkmcnt(1)
	flat_store_b32 v[94:95], v54 offset:28
	s_waitcnt vmcnt(0) lgkmcnt(1)
	flat_store_b32 v[52:53], v55
.LBB50_161:
	s_or_b32 exec_lo, exec_lo, s6
	v_mov_b32_e32 v120, v112
	v_mov_b32_e32 v93, v112
.LBB50_162:
	s_or_b32 exec_lo, exec_lo, s3
.LBB50_163:
	s_and_not1_saveexec_b32 s2, s2
	s_cbranch_execz .LBB50_165
; %bb.164:
	v_mov_b32_e32 v120, 7
	ds_store_2addr_b64 v114, v[84:85], v[86:87] offset0:16 offset1:17
	ds_store_2addr_b64 v114, v[68:69], v[70:71] offset0:18 offset1:19
	;; [unrolled: 1-line block ×18, first 2 shown]
.LBB50_165:
	s_or_b32 exec_lo, exec_lo, s2
	s_delay_alu instid0(SALU_CYCLE_1)
	s_mov_b32 s2, exec_lo
	s_waitcnt lgkmcnt(0)
	s_waitcnt_vscnt null, 0x0
	s_barrier
	buffer_gl0_inv
	v_cmpx_lt_i32_e32 7, v120
	s_cbranch_execz .LBB50_167
; %bb.166:
	v_mul_f64 v[54:55], v[104:105], v[78:79]
	v_mul_f64 v[52:53], v[106:107], v[78:79]
	s_delay_alu instid0(VALU_DEP_2) | instskip(NEXT) | instid1(VALU_DEP_2)
	v_fma_f64 v[78:79], v[106:107], v[76:77], v[54:55]
	v_fma_f64 v[52:53], v[104:105], v[76:77], -v[52:53]
	ds_load_2addr_b64 v[104:107], v114 offset0:16 offset1:17
	ds_load_2addr_b64 v[121:124], v114 offset0:18 offset1:19
	s_waitcnt lgkmcnt(1)
	v_mul_f64 v[54:55], v[106:107], v[78:79]
	v_mul_f64 v[76:77], v[104:105], v[78:79]
	s_delay_alu instid0(VALU_DEP_2) | instskip(SKIP_2) | instid1(VALU_DEP_3)
	v_fma_f64 v[54:55], v[104:105], v[52:53], -v[54:55]
	s_waitcnt lgkmcnt(0)
	v_mul_f64 v[104:105], v[123:124], v[78:79]
	v_fma_f64 v[76:77], v[106:107], v[52:53], v[76:77]
	s_delay_alu instid0(VALU_DEP_3) | instskip(NEXT) | instid1(VALU_DEP_3)
	v_add_f64 v[84:85], v[84:85], -v[54:55]
	v_fma_f64 v[108:109], v[121:122], v[52:53], -v[104:105]
	v_mul_f64 v[104:105], v[121:122], v[78:79]
	s_delay_alu instid0(VALU_DEP_4) | instskip(SKIP_1) | instid1(VALU_DEP_4)
	v_add_f64 v[86:87], v[86:87], -v[76:77]
	v_dual_mov_b32 v77, v53 :: v_dual_mov_b32 v76, v52
	v_add_f64 v[68:69], v[68:69], -v[108:109]
	s_delay_alu instid0(VALU_DEP_4)
	v_fma_f64 v[110:111], v[123:124], v[52:53], v[104:105]
	ds_load_2addr_b64 v[104:107], v114 offset0:20 offset1:21
	ds_load_2addr_b64 v[121:124], v114 offset0:22 offset1:23
	s_waitcnt lgkmcnt(1)
	v_mul_f64 v[112:113], v[106:107], v[78:79]
	v_add_f64 v[70:71], v[70:71], -v[110:111]
	s_delay_alu instid0(VALU_DEP_2) | instskip(SKIP_1) | instid1(VALU_DEP_2)
	v_fma_f64 v[112:113], v[104:105], v[52:53], -v[112:113]
	v_mul_f64 v[104:105], v[104:105], v[78:79]
	v_add_f64 v[72:73], v[72:73], -v[112:113]
	s_delay_alu instid0(VALU_DEP_2) | instskip(SKIP_2) | instid1(VALU_DEP_2)
	v_fma_f64 v[125:126], v[106:107], v[52:53], v[104:105]
	s_waitcnt lgkmcnt(0)
	v_mul_f64 v[104:105], v[123:124], v[78:79]
	v_add_f64 v[74:75], v[74:75], -v[125:126]
	s_delay_alu instid0(VALU_DEP_2) | instskip(SKIP_1) | instid1(VALU_DEP_2)
	v_fma_f64 v[127:128], v[121:122], v[52:53], -v[104:105]
	v_mul_f64 v[104:105], v[121:122], v[78:79]
	v_add_f64 v[56:57], v[56:57], -v[127:128]
	s_delay_alu instid0(VALU_DEP_2)
	v_fma_f64 v[129:130], v[123:124], v[52:53], v[104:105]
	ds_load_2addr_b64 v[104:107], v114 offset0:24 offset1:25
	ds_load_2addr_b64 v[121:124], v114 offset0:26 offset1:27
	s_waitcnt lgkmcnt(1)
	v_mul_f64 v[131:132], v[106:107], v[78:79]
	v_add_f64 v[58:59], v[58:59], -v[129:130]
	s_delay_alu instid0(VALU_DEP_2) | instskip(SKIP_1) | instid1(VALU_DEP_2)
	v_fma_f64 v[131:132], v[104:105], v[52:53], -v[131:132]
	v_mul_f64 v[104:105], v[104:105], v[78:79]
	v_add_f64 v[64:65], v[64:65], -v[131:132]
	s_delay_alu instid0(VALU_DEP_2) | instskip(SKIP_2) | instid1(VALU_DEP_2)
	v_fma_f64 v[133:134], v[106:107], v[52:53], v[104:105]
	s_waitcnt lgkmcnt(0)
	v_mul_f64 v[104:105], v[123:124], v[78:79]
	v_add_f64 v[66:67], v[66:67], -v[133:134]
	s_delay_alu instid0(VALU_DEP_2) | instskip(SKIP_1) | instid1(VALU_DEP_2)
	v_fma_f64 v[135:136], v[121:122], v[52:53], -v[104:105]
	v_mul_f64 v[104:105], v[121:122], v[78:79]
	v_add_f64 v[60:61], v[60:61], -v[135:136]
	s_delay_alu instid0(VALU_DEP_2)
	;; [unrolled: 20-line block ×7, first 2 shown]
	v_fma_f64 v[177:178], v[123:124], v[52:53], v[104:105]
	ds_load_2addr_b64 v[104:107], v114 offset0:48 offset1:49
	ds_load_2addr_b64 v[121:124], v114 offset0:50 offset1:51
	s_waitcnt lgkmcnt(1)
	v_mul_f64 v[179:180], v[106:107], v[78:79]
	v_add_f64 v[10:11], v[10:11], -v[177:178]
	s_delay_alu instid0(VALU_DEP_2) | instskip(SKIP_1) | instid1(VALU_DEP_2)
	v_fma_f64 v[179:180], v[104:105], v[52:53], -v[179:180]
	v_mul_f64 v[104:105], v[104:105], v[78:79]
	v_add_f64 v[4:5], v[4:5], -v[179:180]
	s_delay_alu instid0(VALU_DEP_2) | instskip(SKIP_2) | instid1(VALU_DEP_2)
	v_fma_f64 v[104:105], v[106:107], v[52:53], v[104:105]
	s_waitcnt lgkmcnt(0)
	v_mul_f64 v[106:107], v[123:124], v[78:79]
	v_add_f64 v[6:7], v[6:7], -v[104:105]
	s_delay_alu instid0(VALU_DEP_2) | instskip(SKIP_1) | instid1(VALU_DEP_2)
	v_fma_f64 v[106:107], v[121:122], v[52:53], -v[106:107]
	v_mul_f64 v[121:122], v[121:122], v[78:79]
	v_add_f64 v[0:1], v[0:1], -v[106:107]
	s_delay_alu instid0(VALU_DEP_2) | instskip(NEXT) | instid1(VALU_DEP_1)
	v_fma_f64 v[121:122], v[123:124], v[52:53], v[121:122]
	v_add_f64 v[2:3], v[2:3], -v[121:122]
.LBB50_167:
	s_or_b32 exec_lo, exec_lo, s2
	v_lshl_add_u32 v52, v120, 4, v114
	s_barrier
	buffer_gl0_inv
	v_mov_b32_e32 v112, 8
	ds_store_2addr_b64 v52, v[84:85], v[86:87] offset1:1
	s_waitcnt lgkmcnt(0)
	s_barrier
	buffer_gl0_inv
	ds_load_2addr_b64 v[104:107], v114 offset0:16 offset1:17
	s_cmp_lt_i32 s5, 10
	s_cbranch_scc1 .LBB50_170
; %bb.168:
	v_add3_u32 v113, v92, 0, 0x90
	v_mov_b32_e32 v112, 8
	s_mov_b32 s6, 9
	s_set_inst_prefetch_distance 0x1
	.p2align	6
.LBB50_169:                             ; =>This Inner Loop Header: Depth=1
	ds_load_2addr_b64 v[121:124], v113 offset1:1
	s_waitcnt lgkmcnt(1)
	v_cmp_gt_f64_e32 vcc_lo, 0, v[104:105]
	v_xor_b32_e32 v52, 0x80000000, v105
	v_cmp_gt_f64_e64 s2, 0, v[106:107]
	v_xor_b32_e32 v54, 0x80000000, v107
	v_add_nc_u32_e32 v113, 16, v113
	s_waitcnt lgkmcnt(0)
	v_cmp_gt_f64_e64 s3, 0, v[121:122]
	v_mov_b32_e32 v108, v121
	v_dual_mov_b32 v110, v123 :: v_dual_cndmask_b32 v53, v105, v52
	v_xor_b32_e32 v52, 0x80000000, v122
	v_cndmask_b32_e64 v55, v107, v54, s2
	v_xor_b32_e32 v54, 0x80000000, v124
	s_delay_alu instid0(VALU_DEP_3) | instskip(SKIP_2) | instid1(VALU_DEP_2)
	v_cndmask_b32_e64 v109, v122, v52, s3
	v_cmp_gt_f64_e64 s3, 0, v[123:124]
	v_cndmask_b32_e32 v52, v104, v104, vcc_lo
	v_cndmask_b32_e64 v111, v124, v54, s3
	v_cndmask_b32_e64 v54, v106, v106, s2
	s_delay_alu instid0(VALU_DEP_2) | instskip(NEXT) | instid1(VALU_DEP_2)
	v_add_f64 v[108:109], v[108:109], v[110:111]
	v_add_f64 v[52:53], v[52:53], v[54:55]
	s_delay_alu instid0(VALU_DEP_1) | instskip(SKIP_4) | instid1(SALU_CYCLE_1)
	v_cmp_lt_f64_e32 vcc_lo, v[52:53], v[108:109]
	v_dual_cndmask_b32 v105, v105, v122 :: v_dual_cndmask_b32 v104, v104, v121
	v_dual_cndmask_b32 v107, v107, v124 :: v_dual_cndmask_b32 v106, v106, v123
	v_cndmask_b32_e64 v112, v112, s6, vcc_lo
	s_add_i32 s6, s6, 1
	s_cmp_lg_u32 s5, s6
	s_cbranch_scc1 .LBB50_169
.LBB50_170:
	s_set_inst_prefetch_distance 0x2
	s_waitcnt lgkmcnt(0)
	v_cmp_eq_f64_e32 vcc_lo, 0, v[104:105]
	v_cmp_eq_f64_e64 s2, 0, v[106:107]
	s_delay_alu instid0(VALU_DEP_1) | instskip(NEXT) | instid1(SALU_CYCLE_1)
	s_and_b32 s2, vcc_lo, s2
	s_and_saveexec_b32 s3, s2
	s_delay_alu instid0(SALU_CYCLE_1)
	s_xor_b32 s2, exec_lo, s3
; %bb.171:
	v_cmp_ne_u32_e32 vcc_lo, 0, v119
	v_cndmask_b32_e32 v119, 9, v119, vcc_lo
; %bb.172:
	s_and_not1_saveexec_b32 s3, s2
	s_cbranch_execz .LBB50_178
; %bb.173:
	v_cmp_gt_f64_e32 vcc_lo, 0, v[104:105]
	v_cmp_gt_f64_e64 s2, 0, v[106:107]
	v_xor_b32_e32 v52, 0x80000000, v105
	v_xor_b32_e32 v54, 0x80000000, v107
	s_delay_alu instid0(VALU_DEP_2) | instskip(NEXT) | instid1(VALU_DEP_2)
	v_cndmask_b32_e32 v53, v105, v52, vcc_lo
	v_cndmask_b32_e64 v55, v107, v54, s2
	v_cndmask_b32_e32 v52, v104, v104, vcc_lo
	v_cndmask_b32_e64 v54, v106, v106, s2
	s_mov_b32 s2, exec_lo
	s_delay_alu instid0(VALU_DEP_1)
	v_cmpx_ngt_f64_e32 v[52:53], v[54:55]
	s_xor_b32 s2, exec_lo, s2
	s_cbranch_execz .LBB50_175
; %bb.174:
	v_div_scale_f64 v[52:53], null, v[106:107], v[106:107], v[104:105]
	v_div_scale_f64 v[110:111], vcc_lo, v[104:105], v[106:107], v[104:105]
	s_delay_alu instid0(VALU_DEP_2) | instskip(SKIP_2) | instid1(VALU_DEP_1)
	v_rcp_f64_e32 v[54:55], v[52:53]
	s_waitcnt_depctr 0xfff
	v_fma_f64 v[108:109], -v[52:53], v[54:55], 1.0
	v_fma_f64 v[54:55], v[54:55], v[108:109], v[54:55]
	s_delay_alu instid0(VALU_DEP_1) | instskip(NEXT) | instid1(VALU_DEP_1)
	v_fma_f64 v[108:109], -v[52:53], v[54:55], 1.0
	v_fma_f64 v[54:55], v[54:55], v[108:109], v[54:55]
	s_delay_alu instid0(VALU_DEP_1) | instskip(NEXT) | instid1(VALU_DEP_1)
	v_mul_f64 v[108:109], v[110:111], v[54:55]
	v_fma_f64 v[52:53], -v[52:53], v[108:109], v[110:111]
	s_delay_alu instid0(VALU_DEP_1) | instskip(NEXT) | instid1(VALU_DEP_1)
	v_div_fmas_f64 v[52:53], v[52:53], v[54:55], v[108:109]
	v_div_fixup_f64 v[52:53], v[52:53], v[106:107], v[104:105]
	s_delay_alu instid0(VALU_DEP_1) | instskip(NEXT) | instid1(VALU_DEP_1)
	v_fma_f64 v[54:55], v[104:105], v[52:53], v[106:107]
	v_div_scale_f64 v[104:105], null, v[54:55], v[54:55], 1.0
	s_delay_alu instid0(VALU_DEP_1) | instskip(SKIP_2) | instid1(VALU_DEP_1)
	v_rcp_f64_e32 v[106:107], v[104:105]
	s_waitcnt_depctr 0xfff
	v_fma_f64 v[108:109], -v[104:105], v[106:107], 1.0
	v_fma_f64 v[106:107], v[106:107], v[108:109], v[106:107]
	s_delay_alu instid0(VALU_DEP_1) | instskip(NEXT) | instid1(VALU_DEP_1)
	v_fma_f64 v[108:109], -v[104:105], v[106:107], 1.0
	v_fma_f64 v[106:107], v[106:107], v[108:109], v[106:107]
	v_div_scale_f64 v[108:109], vcc_lo, 1.0, v[54:55], 1.0
	s_delay_alu instid0(VALU_DEP_1) | instskip(NEXT) | instid1(VALU_DEP_1)
	v_mul_f64 v[110:111], v[108:109], v[106:107]
	v_fma_f64 v[104:105], -v[104:105], v[110:111], v[108:109]
	s_delay_alu instid0(VALU_DEP_1) | instskip(NEXT) | instid1(VALU_DEP_1)
	v_div_fmas_f64 v[104:105], v[104:105], v[106:107], v[110:111]
	v_div_fixup_f64 v[106:107], v[104:105], v[54:55], 1.0
	s_delay_alu instid0(VALU_DEP_1)
	v_mul_f64 v[104:105], v[52:53], v[106:107]
	v_xor_b32_e32 v107, 0x80000000, v107
.LBB50_175:
	s_and_not1_saveexec_b32 s2, s2
	s_cbranch_execz .LBB50_177
; %bb.176:
	s_delay_alu instid0(VALU_DEP_1) | instskip(SKIP_1) | instid1(VALU_DEP_2)
	v_div_scale_f64 v[52:53], null, v[104:105], v[104:105], v[106:107]
	v_div_scale_f64 v[110:111], vcc_lo, v[106:107], v[104:105], v[106:107]
	v_rcp_f64_e32 v[54:55], v[52:53]
	s_waitcnt_depctr 0xfff
	v_fma_f64 v[108:109], -v[52:53], v[54:55], 1.0
	s_delay_alu instid0(VALU_DEP_1) | instskip(NEXT) | instid1(VALU_DEP_1)
	v_fma_f64 v[54:55], v[54:55], v[108:109], v[54:55]
	v_fma_f64 v[108:109], -v[52:53], v[54:55], 1.0
	s_delay_alu instid0(VALU_DEP_1) | instskip(NEXT) | instid1(VALU_DEP_1)
	v_fma_f64 v[54:55], v[54:55], v[108:109], v[54:55]
	v_mul_f64 v[108:109], v[110:111], v[54:55]
	s_delay_alu instid0(VALU_DEP_1) | instskip(NEXT) | instid1(VALU_DEP_1)
	v_fma_f64 v[52:53], -v[52:53], v[108:109], v[110:111]
	v_div_fmas_f64 v[52:53], v[52:53], v[54:55], v[108:109]
	s_delay_alu instid0(VALU_DEP_1) | instskip(NEXT) | instid1(VALU_DEP_1)
	v_div_fixup_f64 v[52:53], v[52:53], v[104:105], v[106:107]
	v_fma_f64 v[54:55], v[106:107], v[52:53], v[104:105]
	s_delay_alu instid0(VALU_DEP_1) | instskip(NEXT) | instid1(VALU_DEP_1)
	v_div_scale_f64 v[104:105], null, v[54:55], v[54:55], 1.0
	v_rcp_f64_e32 v[106:107], v[104:105]
	s_waitcnt_depctr 0xfff
	v_fma_f64 v[108:109], -v[104:105], v[106:107], 1.0
	s_delay_alu instid0(VALU_DEP_1) | instskip(NEXT) | instid1(VALU_DEP_1)
	v_fma_f64 v[106:107], v[106:107], v[108:109], v[106:107]
	v_fma_f64 v[108:109], -v[104:105], v[106:107], 1.0
	s_delay_alu instid0(VALU_DEP_1) | instskip(SKIP_1) | instid1(VALU_DEP_1)
	v_fma_f64 v[106:107], v[106:107], v[108:109], v[106:107]
	v_div_scale_f64 v[108:109], vcc_lo, 1.0, v[54:55], 1.0
	v_mul_f64 v[110:111], v[108:109], v[106:107]
	s_delay_alu instid0(VALU_DEP_1) | instskip(NEXT) | instid1(VALU_DEP_1)
	v_fma_f64 v[104:105], -v[104:105], v[110:111], v[108:109]
	v_div_fmas_f64 v[104:105], v[104:105], v[106:107], v[110:111]
	s_delay_alu instid0(VALU_DEP_1) | instskip(NEXT) | instid1(VALU_DEP_1)
	v_div_fixup_f64 v[104:105], v[104:105], v[54:55], 1.0
	v_mul_f64 v[106:107], v[52:53], -v[104:105]
.LBB50_177:
	s_or_b32 exec_lo, exec_lo, s2
.LBB50_178:
	s_delay_alu instid0(SALU_CYCLE_1) | instskip(NEXT) | instid1(SALU_CYCLE_1)
	s_or_b32 exec_lo, exec_lo, s3
	s_mov_b32 s2, exec_lo
	v_cmpx_ne_u32_e64 v120, v112
	s_xor_b32 s2, exec_lo, s2
	s_cbranch_execz .LBB50_184
; %bb.179:
	s_mov_b32 s3, exec_lo
	v_cmpx_eq_u32_e32 8, v120
	s_cbranch_execz .LBB50_183
; %bb.180:
	v_cmp_ne_u32_e32 vcc_lo, 8, v112
	s_xor_b32 s6, s4, -1
	s_delay_alu instid0(SALU_CYCLE_1) | instskip(NEXT) | instid1(SALU_CYCLE_1)
	s_and_b32 s7, s6, vcc_lo
	s_and_saveexec_b32 s6, s7
	s_cbranch_execz .LBB50_182
; %bb.181:
	v_ashrrev_i32_e32 v113, 31, v112
	s_delay_alu instid0(VALU_DEP_1) | instskip(NEXT) | instid1(VALU_DEP_1)
	v_lshlrev_b64 v[52:53], 2, v[112:113]
	v_add_co_u32 v52, vcc_lo, v94, v52
	s_delay_alu instid0(VALU_DEP_2)
	v_add_co_ci_u32_e32 v53, vcc_lo, v95, v53, vcc_lo
	s_clause 0x1
	flat_load_b32 v54, v[52:53]
	flat_load_b32 v55, v[94:95] offset:32
	s_waitcnt vmcnt(1) lgkmcnt(1)
	flat_store_b32 v[94:95], v54 offset:32
	s_waitcnt vmcnt(0) lgkmcnt(1)
	flat_store_b32 v[52:53], v55
.LBB50_182:
	s_or_b32 exec_lo, exec_lo, s6
	v_mov_b32_e32 v120, v112
	v_mov_b32_e32 v93, v112
.LBB50_183:
	s_or_b32 exec_lo, exec_lo, s3
.LBB50_184:
	s_and_not1_saveexec_b32 s2, s2
	s_cbranch_execz .LBB50_186
; %bb.185:
	v_mov_b32_e32 v120, 8
	ds_store_2addr_b64 v114, v[68:69], v[70:71] offset0:18 offset1:19
	ds_store_2addr_b64 v114, v[72:73], v[74:75] offset0:20 offset1:21
	ds_store_2addr_b64 v114, v[56:57], v[58:59] offset0:22 offset1:23
	ds_store_2addr_b64 v114, v[64:65], v[66:67] offset0:24 offset1:25
	ds_store_2addr_b64 v114, v[60:61], v[62:63] offset0:26 offset1:27
	ds_store_2addr_b64 v114, v[48:49], v[50:51] offset0:28 offset1:29
	ds_store_2addr_b64 v114, v[44:45], v[46:47] offset0:30 offset1:31
	ds_store_2addr_b64 v114, v[40:41], v[42:43] offset0:32 offset1:33
	ds_store_2addr_b64 v114, v[36:37], v[38:39] offset0:34 offset1:35
	ds_store_2addr_b64 v114, v[32:33], v[34:35] offset0:36 offset1:37
	ds_store_2addr_b64 v114, v[24:25], v[26:27] offset0:38 offset1:39
	ds_store_2addr_b64 v114, v[20:21], v[22:23] offset0:40 offset1:41
	ds_store_2addr_b64 v114, v[16:17], v[18:19] offset0:42 offset1:43
	ds_store_2addr_b64 v114, v[12:13], v[14:15] offset0:44 offset1:45
	ds_store_2addr_b64 v114, v[8:9], v[10:11] offset0:46 offset1:47
	ds_store_2addr_b64 v114, v[4:5], v[6:7] offset0:48 offset1:49
	ds_store_2addr_b64 v114, v[0:1], v[2:3] offset0:50 offset1:51
.LBB50_186:
	s_or_b32 exec_lo, exec_lo, s2
	s_delay_alu instid0(SALU_CYCLE_1)
	s_mov_b32 s2, exec_lo
	s_waitcnt lgkmcnt(0)
	s_waitcnt_vscnt null, 0x0
	s_barrier
	buffer_gl0_inv
	v_cmpx_lt_i32_e32 8, v120
	s_cbranch_execz .LBB50_188
; %bb.187:
	v_mul_f64 v[52:53], v[104:105], v[86:87]
	v_mul_f64 v[54:55], v[106:107], v[86:87]
	ds_load_2addr_b64 v[121:124], v114 offset0:18 offset1:19
	ds_load_2addr_b64 v[125:128], v114 offset0:20 offset1:21
	;; [unrolled: 1-line block ×17, first 2 shown]
	v_fma_f64 v[86:87], v[106:107], v[84:85], v[52:53]
	v_fma_f64 v[52:53], v[104:105], v[84:85], -v[54:55]
	s_waitcnt lgkmcnt(16)
	s_delay_alu instid0(VALU_DEP_2)
	v_mul_f64 v[54:55], v[123:124], v[86:87]
	v_mul_f64 v[84:85], v[121:122], v[86:87]
	s_waitcnt lgkmcnt(15)
	v_mul_f64 v[104:105], v[127:128], v[86:87]
	v_mul_f64 v[106:107], v[125:126], v[86:87]
	s_waitcnt lgkmcnt(14)
	;; [unrolled: 3-line block ×16, first 2 shown]
	v_mul_f64 v[239:240], v[187:188], v[86:87]
	v_mul_f64 v[241:242], v[185:186], v[86:87]
	v_fma_f64 v[54:55], v[121:122], v[52:53], -v[54:55]
	v_fma_f64 v[84:85], v[123:124], v[52:53], v[84:85]
	v_fma_f64 v[104:105], v[125:126], v[52:53], -v[104:105]
	v_fma_f64 v[106:107], v[127:128], v[52:53], v[106:107]
	;; [unrolled: 2-line block ×17, first 2 shown]
	v_add_f64 v[68:69], v[68:69], -v[54:55]
	v_add_f64 v[70:71], v[70:71], -v[84:85]
	;; [unrolled: 1-line block ×34, first 2 shown]
	v_dual_mov_b32 v85, v53 :: v_dual_mov_b32 v84, v52
.LBB50_188:
	s_or_b32 exec_lo, exec_lo, s2
	v_lshl_add_u32 v52, v120, 4, v114
	s_barrier
	buffer_gl0_inv
	v_mov_b32_e32 v112, 9
	ds_store_2addr_b64 v52, v[68:69], v[70:71] offset1:1
	s_waitcnt lgkmcnt(0)
	s_barrier
	buffer_gl0_inv
	ds_load_2addr_b64 v[104:107], v114 offset0:18 offset1:19
	s_cmp_lt_i32 s5, 11
	s_cbranch_scc1 .LBB50_191
; %bb.189:
	v_add3_u32 v113, v92, 0, 0xa0
	v_mov_b32_e32 v112, 9
	s_mov_b32 s6, 10
	s_set_inst_prefetch_distance 0x1
	.p2align	6
.LBB50_190:                             ; =>This Inner Loop Header: Depth=1
	ds_load_2addr_b64 v[121:124], v113 offset1:1
	s_waitcnt lgkmcnt(1)
	v_cmp_gt_f64_e32 vcc_lo, 0, v[104:105]
	v_xor_b32_e32 v52, 0x80000000, v105
	v_cmp_gt_f64_e64 s2, 0, v[106:107]
	v_xor_b32_e32 v54, 0x80000000, v107
	v_add_nc_u32_e32 v113, 16, v113
	s_waitcnt lgkmcnt(0)
	v_cmp_gt_f64_e64 s3, 0, v[121:122]
	v_mov_b32_e32 v108, v121
	v_dual_mov_b32 v110, v123 :: v_dual_cndmask_b32 v53, v105, v52
	v_xor_b32_e32 v52, 0x80000000, v122
	v_cndmask_b32_e64 v55, v107, v54, s2
	v_xor_b32_e32 v54, 0x80000000, v124
	s_delay_alu instid0(VALU_DEP_3) | instskip(SKIP_2) | instid1(VALU_DEP_2)
	v_cndmask_b32_e64 v109, v122, v52, s3
	v_cmp_gt_f64_e64 s3, 0, v[123:124]
	v_cndmask_b32_e32 v52, v104, v104, vcc_lo
	v_cndmask_b32_e64 v111, v124, v54, s3
	v_cndmask_b32_e64 v54, v106, v106, s2
	s_delay_alu instid0(VALU_DEP_2) | instskip(NEXT) | instid1(VALU_DEP_2)
	v_add_f64 v[108:109], v[108:109], v[110:111]
	v_add_f64 v[52:53], v[52:53], v[54:55]
	s_delay_alu instid0(VALU_DEP_1) | instskip(SKIP_4) | instid1(SALU_CYCLE_1)
	v_cmp_lt_f64_e32 vcc_lo, v[52:53], v[108:109]
	v_dual_cndmask_b32 v105, v105, v122 :: v_dual_cndmask_b32 v104, v104, v121
	v_dual_cndmask_b32 v107, v107, v124 :: v_dual_cndmask_b32 v106, v106, v123
	v_cndmask_b32_e64 v112, v112, s6, vcc_lo
	s_add_i32 s6, s6, 1
	s_cmp_lg_u32 s5, s6
	s_cbranch_scc1 .LBB50_190
.LBB50_191:
	s_set_inst_prefetch_distance 0x2
	s_waitcnt lgkmcnt(0)
	v_cmp_eq_f64_e32 vcc_lo, 0, v[104:105]
	v_cmp_eq_f64_e64 s2, 0, v[106:107]
	s_delay_alu instid0(VALU_DEP_1) | instskip(NEXT) | instid1(SALU_CYCLE_1)
	s_and_b32 s2, vcc_lo, s2
	s_and_saveexec_b32 s3, s2
	s_delay_alu instid0(SALU_CYCLE_1)
	s_xor_b32 s2, exec_lo, s3
; %bb.192:
	v_cmp_ne_u32_e32 vcc_lo, 0, v119
	v_cndmask_b32_e32 v119, 10, v119, vcc_lo
; %bb.193:
	s_and_not1_saveexec_b32 s3, s2
	s_cbranch_execz .LBB50_199
; %bb.194:
	v_cmp_gt_f64_e32 vcc_lo, 0, v[104:105]
	v_cmp_gt_f64_e64 s2, 0, v[106:107]
	v_xor_b32_e32 v52, 0x80000000, v105
	v_xor_b32_e32 v54, 0x80000000, v107
	s_delay_alu instid0(VALU_DEP_2) | instskip(NEXT) | instid1(VALU_DEP_2)
	v_cndmask_b32_e32 v53, v105, v52, vcc_lo
	v_cndmask_b32_e64 v55, v107, v54, s2
	v_cndmask_b32_e32 v52, v104, v104, vcc_lo
	v_cndmask_b32_e64 v54, v106, v106, s2
	s_mov_b32 s2, exec_lo
	s_delay_alu instid0(VALU_DEP_1)
	v_cmpx_ngt_f64_e32 v[52:53], v[54:55]
	s_xor_b32 s2, exec_lo, s2
	s_cbranch_execz .LBB50_196
; %bb.195:
	v_div_scale_f64 v[52:53], null, v[106:107], v[106:107], v[104:105]
	v_div_scale_f64 v[110:111], vcc_lo, v[104:105], v[106:107], v[104:105]
	s_delay_alu instid0(VALU_DEP_2) | instskip(SKIP_2) | instid1(VALU_DEP_1)
	v_rcp_f64_e32 v[54:55], v[52:53]
	s_waitcnt_depctr 0xfff
	v_fma_f64 v[108:109], -v[52:53], v[54:55], 1.0
	v_fma_f64 v[54:55], v[54:55], v[108:109], v[54:55]
	s_delay_alu instid0(VALU_DEP_1) | instskip(NEXT) | instid1(VALU_DEP_1)
	v_fma_f64 v[108:109], -v[52:53], v[54:55], 1.0
	v_fma_f64 v[54:55], v[54:55], v[108:109], v[54:55]
	s_delay_alu instid0(VALU_DEP_1) | instskip(NEXT) | instid1(VALU_DEP_1)
	v_mul_f64 v[108:109], v[110:111], v[54:55]
	v_fma_f64 v[52:53], -v[52:53], v[108:109], v[110:111]
	s_delay_alu instid0(VALU_DEP_1) | instskip(NEXT) | instid1(VALU_DEP_1)
	v_div_fmas_f64 v[52:53], v[52:53], v[54:55], v[108:109]
	v_div_fixup_f64 v[52:53], v[52:53], v[106:107], v[104:105]
	s_delay_alu instid0(VALU_DEP_1) | instskip(NEXT) | instid1(VALU_DEP_1)
	v_fma_f64 v[54:55], v[104:105], v[52:53], v[106:107]
	v_div_scale_f64 v[104:105], null, v[54:55], v[54:55], 1.0
	s_delay_alu instid0(VALU_DEP_1) | instskip(SKIP_2) | instid1(VALU_DEP_1)
	v_rcp_f64_e32 v[106:107], v[104:105]
	s_waitcnt_depctr 0xfff
	v_fma_f64 v[108:109], -v[104:105], v[106:107], 1.0
	v_fma_f64 v[106:107], v[106:107], v[108:109], v[106:107]
	s_delay_alu instid0(VALU_DEP_1) | instskip(NEXT) | instid1(VALU_DEP_1)
	v_fma_f64 v[108:109], -v[104:105], v[106:107], 1.0
	v_fma_f64 v[106:107], v[106:107], v[108:109], v[106:107]
	v_div_scale_f64 v[108:109], vcc_lo, 1.0, v[54:55], 1.0
	s_delay_alu instid0(VALU_DEP_1) | instskip(NEXT) | instid1(VALU_DEP_1)
	v_mul_f64 v[110:111], v[108:109], v[106:107]
	v_fma_f64 v[104:105], -v[104:105], v[110:111], v[108:109]
	s_delay_alu instid0(VALU_DEP_1) | instskip(NEXT) | instid1(VALU_DEP_1)
	v_div_fmas_f64 v[104:105], v[104:105], v[106:107], v[110:111]
	v_div_fixup_f64 v[106:107], v[104:105], v[54:55], 1.0
	s_delay_alu instid0(VALU_DEP_1)
	v_mul_f64 v[104:105], v[52:53], v[106:107]
	v_xor_b32_e32 v107, 0x80000000, v107
.LBB50_196:
	s_and_not1_saveexec_b32 s2, s2
	s_cbranch_execz .LBB50_198
; %bb.197:
	s_delay_alu instid0(VALU_DEP_1) | instskip(SKIP_1) | instid1(VALU_DEP_2)
	v_div_scale_f64 v[52:53], null, v[104:105], v[104:105], v[106:107]
	v_div_scale_f64 v[110:111], vcc_lo, v[106:107], v[104:105], v[106:107]
	v_rcp_f64_e32 v[54:55], v[52:53]
	s_waitcnt_depctr 0xfff
	v_fma_f64 v[108:109], -v[52:53], v[54:55], 1.0
	s_delay_alu instid0(VALU_DEP_1) | instskip(NEXT) | instid1(VALU_DEP_1)
	v_fma_f64 v[54:55], v[54:55], v[108:109], v[54:55]
	v_fma_f64 v[108:109], -v[52:53], v[54:55], 1.0
	s_delay_alu instid0(VALU_DEP_1) | instskip(NEXT) | instid1(VALU_DEP_1)
	v_fma_f64 v[54:55], v[54:55], v[108:109], v[54:55]
	v_mul_f64 v[108:109], v[110:111], v[54:55]
	s_delay_alu instid0(VALU_DEP_1) | instskip(NEXT) | instid1(VALU_DEP_1)
	v_fma_f64 v[52:53], -v[52:53], v[108:109], v[110:111]
	v_div_fmas_f64 v[52:53], v[52:53], v[54:55], v[108:109]
	s_delay_alu instid0(VALU_DEP_1) | instskip(NEXT) | instid1(VALU_DEP_1)
	v_div_fixup_f64 v[52:53], v[52:53], v[104:105], v[106:107]
	v_fma_f64 v[54:55], v[106:107], v[52:53], v[104:105]
	s_delay_alu instid0(VALU_DEP_1) | instskip(NEXT) | instid1(VALU_DEP_1)
	v_div_scale_f64 v[104:105], null, v[54:55], v[54:55], 1.0
	v_rcp_f64_e32 v[106:107], v[104:105]
	s_waitcnt_depctr 0xfff
	v_fma_f64 v[108:109], -v[104:105], v[106:107], 1.0
	s_delay_alu instid0(VALU_DEP_1) | instskip(NEXT) | instid1(VALU_DEP_1)
	v_fma_f64 v[106:107], v[106:107], v[108:109], v[106:107]
	v_fma_f64 v[108:109], -v[104:105], v[106:107], 1.0
	s_delay_alu instid0(VALU_DEP_1) | instskip(SKIP_1) | instid1(VALU_DEP_1)
	v_fma_f64 v[106:107], v[106:107], v[108:109], v[106:107]
	v_div_scale_f64 v[108:109], vcc_lo, 1.0, v[54:55], 1.0
	v_mul_f64 v[110:111], v[108:109], v[106:107]
	s_delay_alu instid0(VALU_DEP_1) | instskip(NEXT) | instid1(VALU_DEP_1)
	v_fma_f64 v[104:105], -v[104:105], v[110:111], v[108:109]
	v_div_fmas_f64 v[104:105], v[104:105], v[106:107], v[110:111]
	s_delay_alu instid0(VALU_DEP_1) | instskip(NEXT) | instid1(VALU_DEP_1)
	v_div_fixup_f64 v[104:105], v[104:105], v[54:55], 1.0
	v_mul_f64 v[106:107], v[52:53], -v[104:105]
.LBB50_198:
	s_or_b32 exec_lo, exec_lo, s2
.LBB50_199:
	s_delay_alu instid0(SALU_CYCLE_1) | instskip(NEXT) | instid1(SALU_CYCLE_1)
	s_or_b32 exec_lo, exec_lo, s3
	s_mov_b32 s2, exec_lo
	v_cmpx_ne_u32_e64 v120, v112
	s_xor_b32 s2, exec_lo, s2
	s_cbranch_execz .LBB50_205
; %bb.200:
	s_mov_b32 s3, exec_lo
	v_cmpx_eq_u32_e32 9, v120
	s_cbranch_execz .LBB50_204
; %bb.201:
	v_cmp_ne_u32_e32 vcc_lo, 9, v112
	s_xor_b32 s6, s4, -1
	s_delay_alu instid0(SALU_CYCLE_1) | instskip(NEXT) | instid1(SALU_CYCLE_1)
	s_and_b32 s7, s6, vcc_lo
	s_and_saveexec_b32 s6, s7
	s_cbranch_execz .LBB50_203
; %bb.202:
	v_ashrrev_i32_e32 v113, 31, v112
	s_delay_alu instid0(VALU_DEP_1) | instskip(NEXT) | instid1(VALU_DEP_1)
	v_lshlrev_b64 v[52:53], 2, v[112:113]
	v_add_co_u32 v52, vcc_lo, v94, v52
	s_delay_alu instid0(VALU_DEP_2)
	v_add_co_ci_u32_e32 v53, vcc_lo, v95, v53, vcc_lo
	s_clause 0x1
	flat_load_b32 v54, v[52:53]
	flat_load_b32 v55, v[94:95] offset:36
	s_waitcnt vmcnt(1) lgkmcnt(1)
	flat_store_b32 v[94:95], v54 offset:36
	s_waitcnt vmcnt(0) lgkmcnt(1)
	flat_store_b32 v[52:53], v55
.LBB50_203:
	s_or_b32 exec_lo, exec_lo, s6
	v_mov_b32_e32 v120, v112
	v_mov_b32_e32 v93, v112
.LBB50_204:
	s_or_b32 exec_lo, exec_lo, s3
.LBB50_205:
	s_and_not1_saveexec_b32 s2, s2
	s_cbranch_execz .LBB50_207
; %bb.206:
	v_mov_b32_e32 v120, 9
	ds_store_2addr_b64 v114, v[72:73], v[74:75] offset0:20 offset1:21
	ds_store_2addr_b64 v114, v[56:57], v[58:59] offset0:22 offset1:23
	;; [unrolled: 1-line block ×16, first 2 shown]
.LBB50_207:
	s_or_b32 exec_lo, exec_lo, s2
	s_delay_alu instid0(SALU_CYCLE_1)
	s_mov_b32 s2, exec_lo
	s_waitcnt lgkmcnt(0)
	s_waitcnt_vscnt null, 0x0
	s_barrier
	buffer_gl0_inv
	v_cmpx_lt_i32_e32 9, v120
	s_cbranch_execz .LBB50_209
; %bb.208:
	v_mul_f64 v[52:53], v[104:105], v[70:71]
	v_mul_f64 v[54:55], v[106:107], v[70:71]
	ds_load_2addr_b64 v[121:124], v114 offset0:20 offset1:21
	ds_load_2addr_b64 v[125:128], v114 offset0:22 offset1:23
	;; [unrolled: 1-line block ×16, first 2 shown]
	v_fma_f64 v[52:53], v[106:107], v[68:69], v[52:53]
	v_fma_f64 v[68:69], v[104:105], v[68:69], -v[54:55]
	s_waitcnt lgkmcnt(15)
	s_delay_alu instid0(VALU_DEP_2)
	v_mul_f64 v[54:55], v[123:124], v[52:53]
	v_mul_f64 v[70:71], v[121:122], v[52:53]
	s_waitcnt lgkmcnt(14)
	v_mul_f64 v[104:105], v[127:128], v[52:53]
	v_mul_f64 v[106:107], v[125:126], v[52:53]
	s_waitcnt lgkmcnt(13)
	;; [unrolled: 3-line block ×15, first 2 shown]
	v_mul_f64 v[231:232], v[183:184], v[52:53]
	v_mul_f64 v[233:234], v[181:182], v[52:53]
	v_fma_f64 v[54:55], v[121:122], v[68:69], -v[54:55]
	v_fma_f64 v[70:71], v[123:124], v[68:69], v[70:71]
	v_fma_f64 v[104:105], v[125:126], v[68:69], -v[104:105]
	v_fma_f64 v[106:107], v[127:128], v[68:69], v[106:107]
	;; [unrolled: 2-line block ×16, first 2 shown]
	v_add_f64 v[72:73], v[72:73], -v[54:55]
	v_add_f64 v[74:75], v[74:75], -v[70:71]
	;; [unrolled: 1-line block ×32, first 2 shown]
	v_dual_mov_b32 v71, v53 :: v_dual_mov_b32 v70, v52
.LBB50_209:
	s_or_b32 exec_lo, exec_lo, s2
	v_lshl_add_u32 v52, v120, 4, v114
	s_barrier
	buffer_gl0_inv
	v_mov_b32_e32 v112, 10
	ds_store_2addr_b64 v52, v[72:73], v[74:75] offset1:1
	s_waitcnt lgkmcnt(0)
	s_barrier
	buffer_gl0_inv
	ds_load_2addr_b64 v[104:107], v114 offset0:20 offset1:21
	s_cmp_lt_i32 s5, 12
	s_cbranch_scc1 .LBB50_212
; %bb.210:
	v_add3_u32 v113, v92, 0, 0xb0
	v_mov_b32_e32 v112, 10
	s_mov_b32 s6, 11
	s_set_inst_prefetch_distance 0x1
	.p2align	6
.LBB50_211:                             ; =>This Inner Loop Header: Depth=1
	ds_load_2addr_b64 v[121:124], v113 offset1:1
	s_waitcnt lgkmcnt(1)
	v_cmp_gt_f64_e32 vcc_lo, 0, v[104:105]
	v_xor_b32_e32 v52, 0x80000000, v105
	v_cmp_gt_f64_e64 s2, 0, v[106:107]
	v_xor_b32_e32 v54, 0x80000000, v107
	v_add_nc_u32_e32 v113, 16, v113
	s_waitcnt lgkmcnt(0)
	v_cmp_gt_f64_e64 s3, 0, v[121:122]
	v_mov_b32_e32 v108, v121
	v_dual_mov_b32 v110, v123 :: v_dual_cndmask_b32 v53, v105, v52
	v_xor_b32_e32 v52, 0x80000000, v122
	v_cndmask_b32_e64 v55, v107, v54, s2
	v_xor_b32_e32 v54, 0x80000000, v124
	s_delay_alu instid0(VALU_DEP_3) | instskip(SKIP_2) | instid1(VALU_DEP_2)
	v_cndmask_b32_e64 v109, v122, v52, s3
	v_cmp_gt_f64_e64 s3, 0, v[123:124]
	v_cndmask_b32_e32 v52, v104, v104, vcc_lo
	v_cndmask_b32_e64 v111, v124, v54, s3
	v_cndmask_b32_e64 v54, v106, v106, s2
	s_delay_alu instid0(VALU_DEP_2) | instskip(NEXT) | instid1(VALU_DEP_2)
	v_add_f64 v[108:109], v[108:109], v[110:111]
	v_add_f64 v[52:53], v[52:53], v[54:55]
	s_delay_alu instid0(VALU_DEP_1) | instskip(SKIP_4) | instid1(SALU_CYCLE_1)
	v_cmp_lt_f64_e32 vcc_lo, v[52:53], v[108:109]
	v_dual_cndmask_b32 v105, v105, v122 :: v_dual_cndmask_b32 v104, v104, v121
	v_dual_cndmask_b32 v107, v107, v124 :: v_dual_cndmask_b32 v106, v106, v123
	v_cndmask_b32_e64 v112, v112, s6, vcc_lo
	s_add_i32 s6, s6, 1
	s_cmp_lg_u32 s5, s6
	s_cbranch_scc1 .LBB50_211
.LBB50_212:
	s_set_inst_prefetch_distance 0x2
	s_waitcnt lgkmcnt(0)
	v_cmp_eq_f64_e32 vcc_lo, 0, v[104:105]
	v_cmp_eq_f64_e64 s2, 0, v[106:107]
	s_delay_alu instid0(VALU_DEP_1) | instskip(NEXT) | instid1(SALU_CYCLE_1)
	s_and_b32 s2, vcc_lo, s2
	s_and_saveexec_b32 s3, s2
	s_delay_alu instid0(SALU_CYCLE_1)
	s_xor_b32 s2, exec_lo, s3
; %bb.213:
	v_cmp_ne_u32_e32 vcc_lo, 0, v119
	v_cndmask_b32_e32 v119, 11, v119, vcc_lo
; %bb.214:
	s_and_not1_saveexec_b32 s3, s2
	s_cbranch_execz .LBB50_220
; %bb.215:
	v_cmp_gt_f64_e32 vcc_lo, 0, v[104:105]
	v_cmp_gt_f64_e64 s2, 0, v[106:107]
	v_xor_b32_e32 v52, 0x80000000, v105
	v_xor_b32_e32 v54, 0x80000000, v107
	s_delay_alu instid0(VALU_DEP_2) | instskip(NEXT) | instid1(VALU_DEP_2)
	v_cndmask_b32_e32 v53, v105, v52, vcc_lo
	v_cndmask_b32_e64 v55, v107, v54, s2
	v_cndmask_b32_e32 v52, v104, v104, vcc_lo
	v_cndmask_b32_e64 v54, v106, v106, s2
	s_mov_b32 s2, exec_lo
	s_delay_alu instid0(VALU_DEP_1)
	v_cmpx_ngt_f64_e32 v[52:53], v[54:55]
	s_xor_b32 s2, exec_lo, s2
	s_cbranch_execz .LBB50_217
; %bb.216:
	v_div_scale_f64 v[52:53], null, v[106:107], v[106:107], v[104:105]
	v_div_scale_f64 v[110:111], vcc_lo, v[104:105], v[106:107], v[104:105]
	s_delay_alu instid0(VALU_DEP_2) | instskip(SKIP_2) | instid1(VALU_DEP_1)
	v_rcp_f64_e32 v[54:55], v[52:53]
	s_waitcnt_depctr 0xfff
	v_fma_f64 v[108:109], -v[52:53], v[54:55], 1.0
	v_fma_f64 v[54:55], v[54:55], v[108:109], v[54:55]
	s_delay_alu instid0(VALU_DEP_1) | instskip(NEXT) | instid1(VALU_DEP_1)
	v_fma_f64 v[108:109], -v[52:53], v[54:55], 1.0
	v_fma_f64 v[54:55], v[54:55], v[108:109], v[54:55]
	s_delay_alu instid0(VALU_DEP_1) | instskip(NEXT) | instid1(VALU_DEP_1)
	v_mul_f64 v[108:109], v[110:111], v[54:55]
	v_fma_f64 v[52:53], -v[52:53], v[108:109], v[110:111]
	s_delay_alu instid0(VALU_DEP_1) | instskip(NEXT) | instid1(VALU_DEP_1)
	v_div_fmas_f64 v[52:53], v[52:53], v[54:55], v[108:109]
	v_div_fixup_f64 v[52:53], v[52:53], v[106:107], v[104:105]
	s_delay_alu instid0(VALU_DEP_1) | instskip(NEXT) | instid1(VALU_DEP_1)
	v_fma_f64 v[54:55], v[104:105], v[52:53], v[106:107]
	v_div_scale_f64 v[104:105], null, v[54:55], v[54:55], 1.0
	s_delay_alu instid0(VALU_DEP_1) | instskip(SKIP_2) | instid1(VALU_DEP_1)
	v_rcp_f64_e32 v[106:107], v[104:105]
	s_waitcnt_depctr 0xfff
	v_fma_f64 v[108:109], -v[104:105], v[106:107], 1.0
	v_fma_f64 v[106:107], v[106:107], v[108:109], v[106:107]
	s_delay_alu instid0(VALU_DEP_1) | instskip(NEXT) | instid1(VALU_DEP_1)
	v_fma_f64 v[108:109], -v[104:105], v[106:107], 1.0
	v_fma_f64 v[106:107], v[106:107], v[108:109], v[106:107]
	v_div_scale_f64 v[108:109], vcc_lo, 1.0, v[54:55], 1.0
	s_delay_alu instid0(VALU_DEP_1) | instskip(NEXT) | instid1(VALU_DEP_1)
	v_mul_f64 v[110:111], v[108:109], v[106:107]
	v_fma_f64 v[104:105], -v[104:105], v[110:111], v[108:109]
	s_delay_alu instid0(VALU_DEP_1) | instskip(NEXT) | instid1(VALU_DEP_1)
	v_div_fmas_f64 v[104:105], v[104:105], v[106:107], v[110:111]
	v_div_fixup_f64 v[106:107], v[104:105], v[54:55], 1.0
	s_delay_alu instid0(VALU_DEP_1)
	v_mul_f64 v[104:105], v[52:53], v[106:107]
	v_xor_b32_e32 v107, 0x80000000, v107
.LBB50_217:
	s_and_not1_saveexec_b32 s2, s2
	s_cbranch_execz .LBB50_219
; %bb.218:
	s_delay_alu instid0(VALU_DEP_1) | instskip(SKIP_1) | instid1(VALU_DEP_2)
	v_div_scale_f64 v[52:53], null, v[104:105], v[104:105], v[106:107]
	v_div_scale_f64 v[110:111], vcc_lo, v[106:107], v[104:105], v[106:107]
	v_rcp_f64_e32 v[54:55], v[52:53]
	s_waitcnt_depctr 0xfff
	v_fma_f64 v[108:109], -v[52:53], v[54:55], 1.0
	s_delay_alu instid0(VALU_DEP_1) | instskip(NEXT) | instid1(VALU_DEP_1)
	v_fma_f64 v[54:55], v[54:55], v[108:109], v[54:55]
	v_fma_f64 v[108:109], -v[52:53], v[54:55], 1.0
	s_delay_alu instid0(VALU_DEP_1) | instskip(NEXT) | instid1(VALU_DEP_1)
	v_fma_f64 v[54:55], v[54:55], v[108:109], v[54:55]
	v_mul_f64 v[108:109], v[110:111], v[54:55]
	s_delay_alu instid0(VALU_DEP_1) | instskip(NEXT) | instid1(VALU_DEP_1)
	v_fma_f64 v[52:53], -v[52:53], v[108:109], v[110:111]
	v_div_fmas_f64 v[52:53], v[52:53], v[54:55], v[108:109]
	s_delay_alu instid0(VALU_DEP_1) | instskip(NEXT) | instid1(VALU_DEP_1)
	v_div_fixup_f64 v[52:53], v[52:53], v[104:105], v[106:107]
	v_fma_f64 v[54:55], v[106:107], v[52:53], v[104:105]
	s_delay_alu instid0(VALU_DEP_1) | instskip(NEXT) | instid1(VALU_DEP_1)
	v_div_scale_f64 v[104:105], null, v[54:55], v[54:55], 1.0
	v_rcp_f64_e32 v[106:107], v[104:105]
	s_waitcnt_depctr 0xfff
	v_fma_f64 v[108:109], -v[104:105], v[106:107], 1.0
	s_delay_alu instid0(VALU_DEP_1) | instskip(NEXT) | instid1(VALU_DEP_1)
	v_fma_f64 v[106:107], v[106:107], v[108:109], v[106:107]
	v_fma_f64 v[108:109], -v[104:105], v[106:107], 1.0
	s_delay_alu instid0(VALU_DEP_1) | instskip(SKIP_1) | instid1(VALU_DEP_1)
	v_fma_f64 v[106:107], v[106:107], v[108:109], v[106:107]
	v_div_scale_f64 v[108:109], vcc_lo, 1.0, v[54:55], 1.0
	v_mul_f64 v[110:111], v[108:109], v[106:107]
	s_delay_alu instid0(VALU_DEP_1) | instskip(NEXT) | instid1(VALU_DEP_1)
	v_fma_f64 v[104:105], -v[104:105], v[110:111], v[108:109]
	v_div_fmas_f64 v[104:105], v[104:105], v[106:107], v[110:111]
	s_delay_alu instid0(VALU_DEP_1) | instskip(NEXT) | instid1(VALU_DEP_1)
	v_div_fixup_f64 v[104:105], v[104:105], v[54:55], 1.0
	v_mul_f64 v[106:107], v[52:53], -v[104:105]
.LBB50_219:
	s_or_b32 exec_lo, exec_lo, s2
.LBB50_220:
	s_delay_alu instid0(SALU_CYCLE_1) | instskip(NEXT) | instid1(SALU_CYCLE_1)
	s_or_b32 exec_lo, exec_lo, s3
	s_mov_b32 s2, exec_lo
	v_cmpx_ne_u32_e64 v120, v112
	s_xor_b32 s2, exec_lo, s2
	s_cbranch_execz .LBB50_226
; %bb.221:
	s_mov_b32 s3, exec_lo
	v_cmpx_eq_u32_e32 10, v120
	s_cbranch_execz .LBB50_225
; %bb.222:
	v_cmp_ne_u32_e32 vcc_lo, 10, v112
	s_xor_b32 s6, s4, -1
	s_delay_alu instid0(SALU_CYCLE_1) | instskip(NEXT) | instid1(SALU_CYCLE_1)
	s_and_b32 s7, s6, vcc_lo
	s_and_saveexec_b32 s6, s7
	s_cbranch_execz .LBB50_224
; %bb.223:
	v_ashrrev_i32_e32 v113, 31, v112
	s_delay_alu instid0(VALU_DEP_1) | instskip(NEXT) | instid1(VALU_DEP_1)
	v_lshlrev_b64 v[52:53], 2, v[112:113]
	v_add_co_u32 v52, vcc_lo, v94, v52
	s_delay_alu instid0(VALU_DEP_2)
	v_add_co_ci_u32_e32 v53, vcc_lo, v95, v53, vcc_lo
	s_clause 0x1
	flat_load_b32 v54, v[52:53]
	flat_load_b32 v55, v[94:95] offset:40
	s_waitcnt vmcnt(1) lgkmcnt(1)
	flat_store_b32 v[94:95], v54 offset:40
	s_waitcnt vmcnt(0) lgkmcnt(1)
	flat_store_b32 v[52:53], v55
.LBB50_224:
	s_or_b32 exec_lo, exec_lo, s6
	v_mov_b32_e32 v120, v112
	v_mov_b32_e32 v93, v112
.LBB50_225:
	s_or_b32 exec_lo, exec_lo, s3
.LBB50_226:
	s_and_not1_saveexec_b32 s2, s2
	s_cbranch_execz .LBB50_228
; %bb.227:
	v_mov_b32_e32 v120, 10
	ds_store_2addr_b64 v114, v[56:57], v[58:59] offset0:22 offset1:23
	ds_store_2addr_b64 v114, v[64:65], v[66:67] offset0:24 offset1:25
	;; [unrolled: 1-line block ×15, first 2 shown]
.LBB50_228:
	s_or_b32 exec_lo, exec_lo, s2
	s_delay_alu instid0(SALU_CYCLE_1)
	s_mov_b32 s2, exec_lo
	s_waitcnt lgkmcnt(0)
	s_waitcnt_vscnt null, 0x0
	s_barrier
	buffer_gl0_inv
	v_cmpx_lt_i32_e32 10, v120
	s_cbranch_execz .LBB50_230
; %bb.229:
	v_mul_f64 v[52:53], v[104:105], v[74:75]
	v_mul_f64 v[54:55], v[106:107], v[74:75]
	ds_load_2addr_b64 v[121:124], v114 offset0:22 offset1:23
	ds_load_2addr_b64 v[125:128], v114 offset0:24 offset1:25
	ds_load_2addr_b64 v[129:132], v114 offset0:26 offset1:27
	ds_load_2addr_b64 v[133:136], v114 offset0:28 offset1:29
	ds_load_2addr_b64 v[137:140], v114 offset0:30 offset1:31
	ds_load_2addr_b64 v[141:144], v114 offset0:32 offset1:33
	ds_load_2addr_b64 v[145:148], v114 offset0:34 offset1:35
	ds_load_2addr_b64 v[149:152], v114 offset0:36 offset1:37
	ds_load_2addr_b64 v[153:156], v114 offset0:38 offset1:39
	ds_load_2addr_b64 v[157:160], v114 offset0:40 offset1:41
	ds_load_2addr_b64 v[161:164], v114 offset0:42 offset1:43
	ds_load_2addr_b64 v[165:168], v114 offset0:44 offset1:45
	ds_load_2addr_b64 v[169:172], v114 offset0:46 offset1:47
	ds_load_2addr_b64 v[173:176], v114 offset0:48 offset1:49
	ds_load_2addr_b64 v[177:180], v114 offset0:50 offset1:51
	v_fma_f64 v[52:53], v[106:107], v[72:73], v[52:53]
	v_fma_f64 v[72:73], v[104:105], v[72:73], -v[54:55]
	s_waitcnt lgkmcnt(14)
	s_delay_alu instid0(VALU_DEP_2)
	v_mul_f64 v[54:55], v[123:124], v[52:53]
	v_mul_f64 v[74:75], v[121:122], v[52:53]
	s_waitcnt lgkmcnt(13)
	v_mul_f64 v[104:105], v[127:128], v[52:53]
	v_mul_f64 v[106:107], v[125:126], v[52:53]
	s_waitcnt lgkmcnt(12)
	;; [unrolled: 3-line block ×14, first 2 shown]
	v_mul_f64 v[223:224], v[179:180], v[52:53]
	v_mul_f64 v[225:226], v[177:178], v[52:53]
	v_fma_f64 v[54:55], v[121:122], v[72:73], -v[54:55]
	v_fma_f64 v[74:75], v[123:124], v[72:73], v[74:75]
	v_fma_f64 v[104:105], v[125:126], v[72:73], -v[104:105]
	v_fma_f64 v[106:107], v[127:128], v[72:73], v[106:107]
	;; [unrolled: 2-line block ×15, first 2 shown]
	v_add_f64 v[56:57], v[56:57], -v[54:55]
	v_add_f64 v[58:59], v[58:59], -v[74:75]
	;; [unrolled: 1-line block ×30, first 2 shown]
	v_dual_mov_b32 v75, v53 :: v_dual_mov_b32 v74, v52
.LBB50_230:
	s_or_b32 exec_lo, exec_lo, s2
	v_lshl_add_u32 v52, v120, 4, v114
	s_barrier
	buffer_gl0_inv
	v_mov_b32_e32 v112, 11
	ds_store_2addr_b64 v52, v[56:57], v[58:59] offset1:1
	s_waitcnt lgkmcnt(0)
	s_barrier
	buffer_gl0_inv
	ds_load_2addr_b64 v[104:107], v114 offset0:22 offset1:23
	s_cmp_lt_i32 s5, 13
	s_cbranch_scc1 .LBB50_233
; %bb.231:
	v_add3_u32 v113, v92, 0, 0xc0
	v_mov_b32_e32 v112, 11
	s_mov_b32 s6, 12
	s_set_inst_prefetch_distance 0x1
	.p2align	6
.LBB50_232:                             ; =>This Inner Loop Header: Depth=1
	ds_load_2addr_b64 v[121:124], v113 offset1:1
	s_waitcnt lgkmcnt(1)
	v_cmp_gt_f64_e32 vcc_lo, 0, v[104:105]
	v_xor_b32_e32 v52, 0x80000000, v105
	v_cmp_gt_f64_e64 s2, 0, v[106:107]
	v_xor_b32_e32 v54, 0x80000000, v107
	v_add_nc_u32_e32 v113, 16, v113
	s_waitcnt lgkmcnt(0)
	v_cmp_gt_f64_e64 s3, 0, v[121:122]
	v_mov_b32_e32 v108, v121
	v_dual_mov_b32 v110, v123 :: v_dual_cndmask_b32 v53, v105, v52
	v_xor_b32_e32 v52, 0x80000000, v122
	v_cndmask_b32_e64 v55, v107, v54, s2
	v_xor_b32_e32 v54, 0x80000000, v124
	s_delay_alu instid0(VALU_DEP_3) | instskip(SKIP_2) | instid1(VALU_DEP_2)
	v_cndmask_b32_e64 v109, v122, v52, s3
	v_cmp_gt_f64_e64 s3, 0, v[123:124]
	v_cndmask_b32_e32 v52, v104, v104, vcc_lo
	v_cndmask_b32_e64 v111, v124, v54, s3
	v_cndmask_b32_e64 v54, v106, v106, s2
	s_delay_alu instid0(VALU_DEP_2) | instskip(NEXT) | instid1(VALU_DEP_2)
	v_add_f64 v[108:109], v[108:109], v[110:111]
	v_add_f64 v[52:53], v[52:53], v[54:55]
	s_delay_alu instid0(VALU_DEP_1) | instskip(SKIP_4) | instid1(SALU_CYCLE_1)
	v_cmp_lt_f64_e32 vcc_lo, v[52:53], v[108:109]
	v_dual_cndmask_b32 v105, v105, v122 :: v_dual_cndmask_b32 v104, v104, v121
	v_dual_cndmask_b32 v107, v107, v124 :: v_dual_cndmask_b32 v106, v106, v123
	v_cndmask_b32_e64 v112, v112, s6, vcc_lo
	s_add_i32 s6, s6, 1
	s_cmp_lg_u32 s5, s6
	s_cbranch_scc1 .LBB50_232
.LBB50_233:
	s_set_inst_prefetch_distance 0x2
	s_waitcnt lgkmcnt(0)
	v_cmp_eq_f64_e32 vcc_lo, 0, v[104:105]
	v_cmp_eq_f64_e64 s2, 0, v[106:107]
	s_delay_alu instid0(VALU_DEP_1) | instskip(NEXT) | instid1(SALU_CYCLE_1)
	s_and_b32 s2, vcc_lo, s2
	s_and_saveexec_b32 s3, s2
	s_delay_alu instid0(SALU_CYCLE_1)
	s_xor_b32 s2, exec_lo, s3
; %bb.234:
	v_cmp_ne_u32_e32 vcc_lo, 0, v119
	v_cndmask_b32_e32 v119, 12, v119, vcc_lo
; %bb.235:
	s_and_not1_saveexec_b32 s3, s2
	s_cbranch_execz .LBB50_241
; %bb.236:
	v_cmp_gt_f64_e32 vcc_lo, 0, v[104:105]
	v_cmp_gt_f64_e64 s2, 0, v[106:107]
	v_xor_b32_e32 v52, 0x80000000, v105
	v_xor_b32_e32 v54, 0x80000000, v107
	s_delay_alu instid0(VALU_DEP_2) | instskip(NEXT) | instid1(VALU_DEP_2)
	v_cndmask_b32_e32 v53, v105, v52, vcc_lo
	v_cndmask_b32_e64 v55, v107, v54, s2
	v_cndmask_b32_e32 v52, v104, v104, vcc_lo
	v_cndmask_b32_e64 v54, v106, v106, s2
	s_mov_b32 s2, exec_lo
	s_delay_alu instid0(VALU_DEP_1)
	v_cmpx_ngt_f64_e32 v[52:53], v[54:55]
	s_xor_b32 s2, exec_lo, s2
	s_cbranch_execz .LBB50_238
; %bb.237:
	v_div_scale_f64 v[52:53], null, v[106:107], v[106:107], v[104:105]
	v_div_scale_f64 v[110:111], vcc_lo, v[104:105], v[106:107], v[104:105]
	s_delay_alu instid0(VALU_DEP_2) | instskip(SKIP_2) | instid1(VALU_DEP_1)
	v_rcp_f64_e32 v[54:55], v[52:53]
	s_waitcnt_depctr 0xfff
	v_fma_f64 v[108:109], -v[52:53], v[54:55], 1.0
	v_fma_f64 v[54:55], v[54:55], v[108:109], v[54:55]
	s_delay_alu instid0(VALU_DEP_1) | instskip(NEXT) | instid1(VALU_DEP_1)
	v_fma_f64 v[108:109], -v[52:53], v[54:55], 1.0
	v_fma_f64 v[54:55], v[54:55], v[108:109], v[54:55]
	s_delay_alu instid0(VALU_DEP_1) | instskip(NEXT) | instid1(VALU_DEP_1)
	v_mul_f64 v[108:109], v[110:111], v[54:55]
	v_fma_f64 v[52:53], -v[52:53], v[108:109], v[110:111]
	s_delay_alu instid0(VALU_DEP_1) | instskip(NEXT) | instid1(VALU_DEP_1)
	v_div_fmas_f64 v[52:53], v[52:53], v[54:55], v[108:109]
	v_div_fixup_f64 v[52:53], v[52:53], v[106:107], v[104:105]
	s_delay_alu instid0(VALU_DEP_1) | instskip(NEXT) | instid1(VALU_DEP_1)
	v_fma_f64 v[54:55], v[104:105], v[52:53], v[106:107]
	v_div_scale_f64 v[104:105], null, v[54:55], v[54:55], 1.0
	s_delay_alu instid0(VALU_DEP_1) | instskip(SKIP_2) | instid1(VALU_DEP_1)
	v_rcp_f64_e32 v[106:107], v[104:105]
	s_waitcnt_depctr 0xfff
	v_fma_f64 v[108:109], -v[104:105], v[106:107], 1.0
	v_fma_f64 v[106:107], v[106:107], v[108:109], v[106:107]
	s_delay_alu instid0(VALU_DEP_1) | instskip(NEXT) | instid1(VALU_DEP_1)
	v_fma_f64 v[108:109], -v[104:105], v[106:107], 1.0
	v_fma_f64 v[106:107], v[106:107], v[108:109], v[106:107]
	v_div_scale_f64 v[108:109], vcc_lo, 1.0, v[54:55], 1.0
	s_delay_alu instid0(VALU_DEP_1) | instskip(NEXT) | instid1(VALU_DEP_1)
	v_mul_f64 v[110:111], v[108:109], v[106:107]
	v_fma_f64 v[104:105], -v[104:105], v[110:111], v[108:109]
	s_delay_alu instid0(VALU_DEP_1) | instskip(NEXT) | instid1(VALU_DEP_1)
	v_div_fmas_f64 v[104:105], v[104:105], v[106:107], v[110:111]
	v_div_fixup_f64 v[106:107], v[104:105], v[54:55], 1.0
	s_delay_alu instid0(VALU_DEP_1)
	v_mul_f64 v[104:105], v[52:53], v[106:107]
	v_xor_b32_e32 v107, 0x80000000, v107
.LBB50_238:
	s_and_not1_saveexec_b32 s2, s2
	s_cbranch_execz .LBB50_240
; %bb.239:
	s_delay_alu instid0(VALU_DEP_1) | instskip(SKIP_1) | instid1(VALU_DEP_2)
	v_div_scale_f64 v[52:53], null, v[104:105], v[104:105], v[106:107]
	v_div_scale_f64 v[110:111], vcc_lo, v[106:107], v[104:105], v[106:107]
	v_rcp_f64_e32 v[54:55], v[52:53]
	s_waitcnt_depctr 0xfff
	v_fma_f64 v[108:109], -v[52:53], v[54:55], 1.0
	s_delay_alu instid0(VALU_DEP_1) | instskip(NEXT) | instid1(VALU_DEP_1)
	v_fma_f64 v[54:55], v[54:55], v[108:109], v[54:55]
	v_fma_f64 v[108:109], -v[52:53], v[54:55], 1.0
	s_delay_alu instid0(VALU_DEP_1) | instskip(NEXT) | instid1(VALU_DEP_1)
	v_fma_f64 v[54:55], v[54:55], v[108:109], v[54:55]
	v_mul_f64 v[108:109], v[110:111], v[54:55]
	s_delay_alu instid0(VALU_DEP_1) | instskip(NEXT) | instid1(VALU_DEP_1)
	v_fma_f64 v[52:53], -v[52:53], v[108:109], v[110:111]
	v_div_fmas_f64 v[52:53], v[52:53], v[54:55], v[108:109]
	s_delay_alu instid0(VALU_DEP_1) | instskip(NEXT) | instid1(VALU_DEP_1)
	v_div_fixup_f64 v[52:53], v[52:53], v[104:105], v[106:107]
	v_fma_f64 v[54:55], v[106:107], v[52:53], v[104:105]
	s_delay_alu instid0(VALU_DEP_1) | instskip(NEXT) | instid1(VALU_DEP_1)
	v_div_scale_f64 v[104:105], null, v[54:55], v[54:55], 1.0
	v_rcp_f64_e32 v[106:107], v[104:105]
	s_waitcnt_depctr 0xfff
	v_fma_f64 v[108:109], -v[104:105], v[106:107], 1.0
	s_delay_alu instid0(VALU_DEP_1) | instskip(NEXT) | instid1(VALU_DEP_1)
	v_fma_f64 v[106:107], v[106:107], v[108:109], v[106:107]
	v_fma_f64 v[108:109], -v[104:105], v[106:107], 1.0
	s_delay_alu instid0(VALU_DEP_1) | instskip(SKIP_1) | instid1(VALU_DEP_1)
	v_fma_f64 v[106:107], v[106:107], v[108:109], v[106:107]
	v_div_scale_f64 v[108:109], vcc_lo, 1.0, v[54:55], 1.0
	v_mul_f64 v[110:111], v[108:109], v[106:107]
	s_delay_alu instid0(VALU_DEP_1) | instskip(NEXT) | instid1(VALU_DEP_1)
	v_fma_f64 v[104:105], -v[104:105], v[110:111], v[108:109]
	v_div_fmas_f64 v[104:105], v[104:105], v[106:107], v[110:111]
	s_delay_alu instid0(VALU_DEP_1) | instskip(NEXT) | instid1(VALU_DEP_1)
	v_div_fixup_f64 v[104:105], v[104:105], v[54:55], 1.0
	v_mul_f64 v[106:107], v[52:53], -v[104:105]
.LBB50_240:
	s_or_b32 exec_lo, exec_lo, s2
.LBB50_241:
	s_delay_alu instid0(SALU_CYCLE_1) | instskip(NEXT) | instid1(SALU_CYCLE_1)
	s_or_b32 exec_lo, exec_lo, s3
	s_mov_b32 s2, exec_lo
	v_cmpx_ne_u32_e64 v120, v112
	s_xor_b32 s2, exec_lo, s2
	s_cbranch_execz .LBB50_247
; %bb.242:
	s_mov_b32 s3, exec_lo
	v_cmpx_eq_u32_e32 11, v120
	s_cbranch_execz .LBB50_246
; %bb.243:
	v_cmp_ne_u32_e32 vcc_lo, 11, v112
	s_xor_b32 s6, s4, -1
	s_delay_alu instid0(SALU_CYCLE_1) | instskip(NEXT) | instid1(SALU_CYCLE_1)
	s_and_b32 s7, s6, vcc_lo
	s_and_saveexec_b32 s6, s7
	s_cbranch_execz .LBB50_245
; %bb.244:
	v_ashrrev_i32_e32 v113, 31, v112
	s_delay_alu instid0(VALU_DEP_1) | instskip(NEXT) | instid1(VALU_DEP_1)
	v_lshlrev_b64 v[52:53], 2, v[112:113]
	v_add_co_u32 v52, vcc_lo, v94, v52
	s_delay_alu instid0(VALU_DEP_2)
	v_add_co_ci_u32_e32 v53, vcc_lo, v95, v53, vcc_lo
	s_clause 0x1
	flat_load_b32 v54, v[52:53]
	flat_load_b32 v55, v[94:95] offset:44
	s_waitcnt vmcnt(1) lgkmcnt(1)
	flat_store_b32 v[94:95], v54 offset:44
	s_waitcnt vmcnt(0) lgkmcnt(1)
	flat_store_b32 v[52:53], v55
.LBB50_245:
	s_or_b32 exec_lo, exec_lo, s6
	v_mov_b32_e32 v120, v112
	v_mov_b32_e32 v93, v112
.LBB50_246:
	s_or_b32 exec_lo, exec_lo, s3
.LBB50_247:
	s_and_not1_saveexec_b32 s2, s2
	s_cbranch_execz .LBB50_249
; %bb.248:
	v_mov_b32_e32 v120, 11
	ds_store_2addr_b64 v114, v[64:65], v[66:67] offset0:24 offset1:25
	ds_store_2addr_b64 v114, v[60:61], v[62:63] offset0:26 offset1:27
	;; [unrolled: 1-line block ×14, first 2 shown]
.LBB50_249:
	s_or_b32 exec_lo, exec_lo, s2
	s_delay_alu instid0(SALU_CYCLE_1)
	s_mov_b32 s2, exec_lo
	s_waitcnt lgkmcnt(0)
	s_waitcnt_vscnt null, 0x0
	s_barrier
	buffer_gl0_inv
	v_cmpx_lt_i32_e32 11, v120
	s_cbranch_execz .LBB50_251
; %bb.250:
	v_mul_f64 v[52:53], v[104:105], v[58:59]
	v_mul_f64 v[54:55], v[106:107], v[58:59]
	ds_load_2addr_b64 v[121:124], v114 offset0:24 offset1:25
	ds_load_2addr_b64 v[125:128], v114 offset0:26 offset1:27
	;; [unrolled: 1-line block ×14, first 2 shown]
	v_fma_f64 v[52:53], v[106:107], v[56:57], v[52:53]
	v_fma_f64 v[56:57], v[104:105], v[56:57], -v[54:55]
	s_waitcnt lgkmcnt(13)
	s_delay_alu instid0(VALU_DEP_2)
	v_mul_f64 v[54:55], v[123:124], v[52:53]
	v_mul_f64 v[58:59], v[121:122], v[52:53]
	s_waitcnt lgkmcnt(12)
	v_mul_f64 v[104:105], v[127:128], v[52:53]
	v_mul_f64 v[106:107], v[125:126], v[52:53]
	s_waitcnt lgkmcnt(11)
	;; [unrolled: 3-line block ×13, first 2 shown]
	v_mul_f64 v[215:216], v[175:176], v[52:53]
	v_mul_f64 v[217:218], v[173:174], v[52:53]
	v_fma_f64 v[54:55], v[121:122], v[56:57], -v[54:55]
	v_fma_f64 v[58:59], v[123:124], v[56:57], v[58:59]
	v_fma_f64 v[104:105], v[125:126], v[56:57], -v[104:105]
	v_fma_f64 v[106:107], v[127:128], v[56:57], v[106:107]
	;; [unrolled: 2-line block ×14, first 2 shown]
	v_add_f64 v[64:65], v[64:65], -v[54:55]
	v_add_f64 v[66:67], v[66:67], -v[58:59]
	;; [unrolled: 1-line block ×28, first 2 shown]
	v_dual_mov_b32 v59, v53 :: v_dual_mov_b32 v58, v52
.LBB50_251:
	s_or_b32 exec_lo, exec_lo, s2
	v_lshl_add_u32 v52, v120, 4, v114
	s_barrier
	buffer_gl0_inv
	v_mov_b32_e32 v112, 12
	ds_store_2addr_b64 v52, v[64:65], v[66:67] offset1:1
	s_waitcnt lgkmcnt(0)
	s_barrier
	buffer_gl0_inv
	ds_load_2addr_b64 v[104:107], v114 offset0:24 offset1:25
	s_cmp_lt_i32 s5, 14
	s_cbranch_scc1 .LBB50_254
; %bb.252:
	v_add3_u32 v113, v92, 0, 0xd0
	v_mov_b32_e32 v112, 12
	s_mov_b32 s6, 13
	s_set_inst_prefetch_distance 0x1
	.p2align	6
.LBB50_253:                             ; =>This Inner Loop Header: Depth=1
	ds_load_2addr_b64 v[121:124], v113 offset1:1
	s_waitcnt lgkmcnt(1)
	v_cmp_gt_f64_e32 vcc_lo, 0, v[104:105]
	v_xor_b32_e32 v52, 0x80000000, v105
	v_cmp_gt_f64_e64 s2, 0, v[106:107]
	v_xor_b32_e32 v54, 0x80000000, v107
	v_add_nc_u32_e32 v113, 16, v113
	s_waitcnt lgkmcnt(0)
	v_cmp_gt_f64_e64 s3, 0, v[121:122]
	v_mov_b32_e32 v108, v121
	v_dual_mov_b32 v110, v123 :: v_dual_cndmask_b32 v53, v105, v52
	v_xor_b32_e32 v52, 0x80000000, v122
	v_cndmask_b32_e64 v55, v107, v54, s2
	v_xor_b32_e32 v54, 0x80000000, v124
	s_delay_alu instid0(VALU_DEP_3) | instskip(SKIP_2) | instid1(VALU_DEP_2)
	v_cndmask_b32_e64 v109, v122, v52, s3
	v_cmp_gt_f64_e64 s3, 0, v[123:124]
	v_cndmask_b32_e32 v52, v104, v104, vcc_lo
	v_cndmask_b32_e64 v111, v124, v54, s3
	v_cndmask_b32_e64 v54, v106, v106, s2
	s_delay_alu instid0(VALU_DEP_2) | instskip(NEXT) | instid1(VALU_DEP_2)
	v_add_f64 v[108:109], v[108:109], v[110:111]
	v_add_f64 v[52:53], v[52:53], v[54:55]
	s_delay_alu instid0(VALU_DEP_1) | instskip(SKIP_4) | instid1(SALU_CYCLE_1)
	v_cmp_lt_f64_e32 vcc_lo, v[52:53], v[108:109]
	v_dual_cndmask_b32 v105, v105, v122 :: v_dual_cndmask_b32 v104, v104, v121
	v_dual_cndmask_b32 v107, v107, v124 :: v_dual_cndmask_b32 v106, v106, v123
	v_cndmask_b32_e64 v112, v112, s6, vcc_lo
	s_add_i32 s6, s6, 1
	s_cmp_lg_u32 s5, s6
	s_cbranch_scc1 .LBB50_253
.LBB50_254:
	s_set_inst_prefetch_distance 0x2
	s_waitcnt lgkmcnt(0)
	v_cmp_eq_f64_e32 vcc_lo, 0, v[104:105]
	v_cmp_eq_f64_e64 s2, 0, v[106:107]
	s_delay_alu instid0(VALU_DEP_1) | instskip(NEXT) | instid1(SALU_CYCLE_1)
	s_and_b32 s2, vcc_lo, s2
	s_and_saveexec_b32 s3, s2
	s_delay_alu instid0(SALU_CYCLE_1)
	s_xor_b32 s2, exec_lo, s3
; %bb.255:
	v_cmp_ne_u32_e32 vcc_lo, 0, v119
	v_cndmask_b32_e32 v119, 13, v119, vcc_lo
; %bb.256:
	s_and_not1_saveexec_b32 s3, s2
	s_cbranch_execz .LBB50_262
; %bb.257:
	v_cmp_gt_f64_e32 vcc_lo, 0, v[104:105]
	v_cmp_gt_f64_e64 s2, 0, v[106:107]
	v_xor_b32_e32 v52, 0x80000000, v105
	v_xor_b32_e32 v54, 0x80000000, v107
	s_delay_alu instid0(VALU_DEP_2) | instskip(NEXT) | instid1(VALU_DEP_2)
	v_cndmask_b32_e32 v53, v105, v52, vcc_lo
	v_cndmask_b32_e64 v55, v107, v54, s2
	v_cndmask_b32_e32 v52, v104, v104, vcc_lo
	v_cndmask_b32_e64 v54, v106, v106, s2
	s_mov_b32 s2, exec_lo
	s_delay_alu instid0(VALU_DEP_1)
	v_cmpx_ngt_f64_e32 v[52:53], v[54:55]
	s_xor_b32 s2, exec_lo, s2
	s_cbranch_execz .LBB50_259
; %bb.258:
	v_div_scale_f64 v[52:53], null, v[106:107], v[106:107], v[104:105]
	v_div_scale_f64 v[110:111], vcc_lo, v[104:105], v[106:107], v[104:105]
	s_delay_alu instid0(VALU_DEP_2) | instskip(SKIP_2) | instid1(VALU_DEP_1)
	v_rcp_f64_e32 v[54:55], v[52:53]
	s_waitcnt_depctr 0xfff
	v_fma_f64 v[108:109], -v[52:53], v[54:55], 1.0
	v_fma_f64 v[54:55], v[54:55], v[108:109], v[54:55]
	s_delay_alu instid0(VALU_DEP_1) | instskip(NEXT) | instid1(VALU_DEP_1)
	v_fma_f64 v[108:109], -v[52:53], v[54:55], 1.0
	v_fma_f64 v[54:55], v[54:55], v[108:109], v[54:55]
	s_delay_alu instid0(VALU_DEP_1) | instskip(NEXT) | instid1(VALU_DEP_1)
	v_mul_f64 v[108:109], v[110:111], v[54:55]
	v_fma_f64 v[52:53], -v[52:53], v[108:109], v[110:111]
	s_delay_alu instid0(VALU_DEP_1) | instskip(NEXT) | instid1(VALU_DEP_1)
	v_div_fmas_f64 v[52:53], v[52:53], v[54:55], v[108:109]
	v_div_fixup_f64 v[52:53], v[52:53], v[106:107], v[104:105]
	s_delay_alu instid0(VALU_DEP_1) | instskip(NEXT) | instid1(VALU_DEP_1)
	v_fma_f64 v[54:55], v[104:105], v[52:53], v[106:107]
	v_div_scale_f64 v[104:105], null, v[54:55], v[54:55], 1.0
	s_delay_alu instid0(VALU_DEP_1) | instskip(SKIP_2) | instid1(VALU_DEP_1)
	v_rcp_f64_e32 v[106:107], v[104:105]
	s_waitcnt_depctr 0xfff
	v_fma_f64 v[108:109], -v[104:105], v[106:107], 1.0
	v_fma_f64 v[106:107], v[106:107], v[108:109], v[106:107]
	s_delay_alu instid0(VALU_DEP_1) | instskip(NEXT) | instid1(VALU_DEP_1)
	v_fma_f64 v[108:109], -v[104:105], v[106:107], 1.0
	v_fma_f64 v[106:107], v[106:107], v[108:109], v[106:107]
	v_div_scale_f64 v[108:109], vcc_lo, 1.0, v[54:55], 1.0
	s_delay_alu instid0(VALU_DEP_1) | instskip(NEXT) | instid1(VALU_DEP_1)
	v_mul_f64 v[110:111], v[108:109], v[106:107]
	v_fma_f64 v[104:105], -v[104:105], v[110:111], v[108:109]
	s_delay_alu instid0(VALU_DEP_1) | instskip(NEXT) | instid1(VALU_DEP_1)
	v_div_fmas_f64 v[104:105], v[104:105], v[106:107], v[110:111]
	v_div_fixup_f64 v[106:107], v[104:105], v[54:55], 1.0
	s_delay_alu instid0(VALU_DEP_1)
	v_mul_f64 v[104:105], v[52:53], v[106:107]
	v_xor_b32_e32 v107, 0x80000000, v107
.LBB50_259:
	s_and_not1_saveexec_b32 s2, s2
	s_cbranch_execz .LBB50_261
; %bb.260:
	s_delay_alu instid0(VALU_DEP_1) | instskip(SKIP_1) | instid1(VALU_DEP_2)
	v_div_scale_f64 v[52:53], null, v[104:105], v[104:105], v[106:107]
	v_div_scale_f64 v[110:111], vcc_lo, v[106:107], v[104:105], v[106:107]
	v_rcp_f64_e32 v[54:55], v[52:53]
	s_waitcnt_depctr 0xfff
	v_fma_f64 v[108:109], -v[52:53], v[54:55], 1.0
	s_delay_alu instid0(VALU_DEP_1) | instskip(NEXT) | instid1(VALU_DEP_1)
	v_fma_f64 v[54:55], v[54:55], v[108:109], v[54:55]
	v_fma_f64 v[108:109], -v[52:53], v[54:55], 1.0
	s_delay_alu instid0(VALU_DEP_1) | instskip(NEXT) | instid1(VALU_DEP_1)
	v_fma_f64 v[54:55], v[54:55], v[108:109], v[54:55]
	v_mul_f64 v[108:109], v[110:111], v[54:55]
	s_delay_alu instid0(VALU_DEP_1) | instskip(NEXT) | instid1(VALU_DEP_1)
	v_fma_f64 v[52:53], -v[52:53], v[108:109], v[110:111]
	v_div_fmas_f64 v[52:53], v[52:53], v[54:55], v[108:109]
	s_delay_alu instid0(VALU_DEP_1) | instskip(NEXT) | instid1(VALU_DEP_1)
	v_div_fixup_f64 v[52:53], v[52:53], v[104:105], v[106:107]
	v_fma_f64 v[54:55], v[106:107], v[52:53], v[104:105]
	s_delay_alu instid0(VALU_DEP_1) | instskip(NEXT) | instid1(VALU_DEP_1)
	v_div_scale_f64 v[104:105], null, v[54:55], v[54:55], 1.0
	v_rcp_f64_e32 v[106:107], v[104:105]
	s_waitcnt_depctr 0xfff
	v_fma_f64 v[108:109], -v[104:105], v[106:107], 1.0
	s_delay_alu instid0(VALU_DEP_1) | instskip(NEXT) | instid1(VALU_DEP_1)
	v_fma_f64 v[106:107], v[106:107], v[108:109], v[106:107]
	v_fma_f64 v[108:109], -v[104:105], v[106:107], 1.0
	s_delay_alu instid0(VALU_DEP_1) | instskip(SKIP_1) | instid1(VALU_DEP_1)
	v_fma_f64 v[106:107], v[106:107], v[108:109], v[106:107]
	v_div_scale_f64 v[108:109], vcc_lo, 1.0, v[54:55], 1.0
	v_mul_f64 v[110:111], v[108:109], v[106:107]
	s_delay_alu instid0(VALU_DEP_1) | instskip(NEXT) | instid1(VALU_DEP_1)
	v_fma_f64 v[104:105], -v[104:105], v[110:111], v[108:109]
	v_div_fmas_f64 v[104:105], v[104:105], v[106:107], v[110:111]
	s_delay_alu instid0(VALU_DEP_1) | instskip(NEXT) | instid1(VALU_DEP_1)
	v_div_fixup_f64 v[104:105], v[104:105], v[54:55], 1.0
	v_mul_f64 v[106:107], v[52:53], -v[104:105]
.LBB50_261:
	s_or_b32 exec_lo, exec_lo, s2
.LBB50_262:
	s_delay_alu instid0(SALU_CYCLE_1) | instskip(NEXT) | instid1(SALU_CYCLE_1)
	s_or_b32 exec_lo, exec_lo, s3
	s_mov_b32 s2, exec_lo
	v_cmpx_ne_u32_e64 v120, v112
	s_xor_b32 s2, exec_lo, s2
	s_cbranch_execz .LBB50_268
; %bb.263:
	s_mov_b32 s3, exec_lo
	v_cmpx_eq_u32_e32 12, v120
	s_cbranch_execz .LBB50_267
; %bb.264:
	v_cmp_ne_u32_e32 vcc_lo, 12, v112
	s_xor_b32 s6, s4, -1
	s_delay_alu instid0(SALU_CYCLE_1) | instskip(NEXT) | instid1(SALU_CYCLE_1)
	s_and_b32 s7, s6, vcc_lo
	s_and_saveexec_b32 s6, s7
	s_cbranch_execz .LBB50_266
; %bb.265:
	v_ashrrev_i32_e32 v113, 31, v112
	s_delay_alu instid0(VALU_DEP_1) | instskip(NEXT) | instid1(VALU_DEP_1)
	v_lshlrev_b64 v[52:53], 2, v[112:113]
	v_add_co_u32 v52, vcc_lo, v94, v52
	s_delay_alu instid0(VALU_DEP_2)
	v_add_co_ci_u32_e32 v53, vcc_lo, v95, v53, vcc_lo
	s_clause 0x1
	flat_load_b32 v54, v[52:53]
	flat_load_b32 v55, v[94:95] offset:48
	s_waitcnt vmcnt(1) lgkmcnt(1)
	flat_store_b32 v[94:95], v54 offset:48
	s_waitcnt vmcnt(0) lgkmcnt(1)
	flat_store_b32 v[52:53], v55
.LBB50_266:
	s_or_b32 exec_lo, exec_lo, s6
	v_mov_b32_e32 v120, v112
	v_mov_b32_e32 v93, v112
.LBB50_267:
	s_or_b32 exec_lo, exec_lo, s3
.LBB50_268:
	s_and_not1_saveexec_b32 s2, s2
	s_cbranch_execz .LBB50_270
; %bb.269:
	v_mov_b32_e32 v120, 12
	ds_store_2addr_b64 v114, v[60:61], v[62:63] offset0:26 offset1:27
	ds_store_2addr_b64 v114, v[48:49], v[50:51] offset0:28 offset1:29
	;; [unrolled: 1-line block ×13, first 2 shown]
.LBB50_270:
	s_or_b32 exec_lo, exec_lo, s2
	s_delay_alu instid0(SALU_CYCLE_1)
	s_mov_b32 s2, exec_lo
	s_waitcnt lgkmcnt(0)
	s_waitcnt_vscnt null, 0x0
	s_barrier
	buffer_gl0_inv
	v_cmpx_lt_i32_e32 12, v120
	s_cbranch_execz .LBB50_272
; %bb.271:
	v_mul_f64 v[52:53], v[104:105], v[66:67]
	v_mul_f64 v[54:55], v[106:107], v[66:67]
	ds_load_2addr_b64 v[121:124], v114 offset0:26 offset1:27
	ds_load_2addr_b64 v[125:128], v114 offset0:28 offset1:29
	;; [unrolled: 1-line block ×13, first 2 shown]
	v_fma_f64 v[52:53], v[106:107], v[64:65], v[52:53]
	v_fma_f64 v[64:65], v[104:105], v[64:65], -v[54:55]
	s_waitcnt lgkmcnt(12)
	s_delay_alu instid0(VALU_DEP_2)
	v_mul_f64 v[54:55], v[123:124], v[52:53]
	v_mul_f64 v[66:67], v[121:122], v[52:53]
	s_waitcnt lgkmcnt(11)
	v_mul_f64 v[104:105], v[127:128], v[52:53]
	v_mul_f64 v[106:107], v[125:126], v[52:53]
	s_waitcnt lgkmcnt(10)
	;; [unrolled: 3-line block ×12, first 2 shown]
	v_mul_f64 v[207:208], v[171:172], v[52:53]
	v_mul_f64 v[209:210], v[169:170], v[52:53]
	v_fma_f64 v[54:55], v[121:122], v[64:65], -v[54:55]
	v_fma_f64 v[66:67], v[123:124], v[64:65], v[66:67]
	v_fma_f64 v[104:105], v[125:126], v[64:65], -v[104:105]
	v_fma_f64 v[106:107], v[127:128], v[64:65], v[106:107]
	;; [unrolled: 2-line block ×13, first 2 shown]
	v_add_f64 v[60:61], v[60:61], -v[54:55]
	v_add_f64 v[62:63], v[62:63], -v[66:67]
	;; [unrolled: 1-line block ×26, first 2 shown]
	v_dual_mov_b32 v67, v53 :: v_dual_mov_b32 v66, v52
.LBB50_272:
	s_or_b32 exec_lo, exec_lo, s2
	v_lshl_add_u32 v52, v120, 4, v114
	s_barrier
	buffer_gl0_inv
	v_mov_b32_e32 v112, 13
	ds_store_2addr_b64 v52, v[60:61], v[62:63] offset1:1
	s_waitcnt lgkmcnt(0)
	s_barrier
	buffer_gl0_inv
	ds_load_2addr_b64 v[104:107], v114 offset0:26 offset1:27
	s_cmp_lt_i32 s5, 15
	s_cbranch_scc1 .LBB50_275
; %bb.273:
	v_add3_u32 v113, v92, 0, 0xe0
	v_mov_b32_e32 v112, 13
	s_mov_b32 s6, 14
	s_set_inst_prefetch_distance 0x1
	.p2align	6
.LBB50_274:                             ; =>This Inner Loop Header: Depth=1
	ds_load_2addr_b64 v[121:124], v113 offset1:1
	s_waitcnt lgkmcnt(1)
	v_cmp_gt_f64_e32 vcc_lo, 0, v[104:105]
	v_xor_b32_e32 v52, 0x80000000, v105
	v_cmp_gt_f64_e64 s2, 0, v[106:107]
	v_xor_b32_e32 v54, 0x80000000, v107
	v_add_nc_u32_e32 v113, 16, v113
	s_waitcnt lgkmcnt(0)
	v_cmp_gt_f64_e64 s3, 0, v[121:122]
	v_mov_b32_e32 v108, v121
	v_dual_mov_b32 v110, v123 :: v_dual_cndmask_b32 v53, v105, v52
	v_xor_b32_e32 v52, 0x80000000, v122
	v_cndmask_b32_e64 v55, v107, v54, s2
	v_xor_b32_e32 v54, 0x80000000, v124
	s_delay_alu instid0(VALU_DEP_3) | instskip(SKIP_2) | instid1(VALU_DEP_2)
	v_cndmask_b32_e64 v109, v122, v52, s3
	v_cmp_gt_f64_e64 s3, 0, v[123:124]
	v_cndmask_b32_e32 v52, v104, v104, vcc_lo
	v_cndmask_b32_e64 v111, v124, v54, s3
	v_cndmask_b32_e64 v54, v106, v106, s2
	s_delay_alu instid0(VALU_DEP_2) | instskip(NEXT) | instid1(VALU_DEP_2)
	v_add_f64 v[108:109], v[108:109], v[110:111]
	v_add_f64 v[52:53], v[52:53], v[54:55]
	s_delay_alu instid0(VALU_DEP_1) | instskip(SKIP_4) | instid1(SALU_CYCLE_1)
	v_cmp_lt_f64_e32 vcc_lo, v[52:53], v[108:109]
	v_dual_cndmask_b32 v105, v105, v122 :: v_dual_cndmask_b32 v104, v104, v121
	v_dual_cndmask_b32 v107, v107, v124 :: v_dual_cndmask_b32 v106, v106, v123
	v_cndmask_b32_e64 v112, v112, s6, vcc_lo
	s_add_i32 s6, s6, 1
	s_cmp_lg_u32 s5, s6
	s_cbranch_scc1 .LBB50_274
.LBB50_275:
	s_set_inst_prefetch_distance 0x2
	s_waitcnt lgkmcnt(0)
	v_cmp_eq_f64_e32 vcc_lo, 0, v[104:105]
	v_cmp_eq_f64_e64 s2, 0, v[106:107]
	s_delay_alu instid0(VALU_DEP_1) | instskip(NEXT) | instid1(SALU_CYCLE_1)
	s_and_b32 s2, vcc_lo, s2
	s_and_saveexec_b32 s3, s2
	s_delay_alu instid0(SALU_CYCLE_1)
	s_xor_b32 s2, exec_lo, s3
; %bb.276:
	v_cmp_ne_u32_e32 vcc_lo, 0, v119
	v_cndmask_b32_e32 v119, 14, v119, vcc_lo
; %bb.277:
	s_and_not1_saveexec_b32 s3, s2
	s_cbranch_execz .LBB50_283
; %bb.278:
	v_cmp_gt_f64_e32 vcc_lo, 0, v[104:105]
	v_cmp_gt_f64_e64 s2, 0, v[106:107]
	v_xor_b32_e32 v52, 0x80000000, v105
	v_xor_b32_e32 v54, 0x80000000, v107
	s_delay_alu instid0(VALU_DEP_2) | instskip(NEXT) | instid1(VALU_DEP_2)
	v_cndmask_b32_e32 v53, v105, v52, vcc_lo
	v_cndmask_b32_e64 v55, v107, v54, s2
	v_cndmask_b32_e32 v52, v104, v104, vcc_lo
	v_cndmask_b32_e64 v54, v106, v106, s2
	s_mov_b32 s2, exec_lo
	s_delay_alu instid0(VALU_DEP_1)
	v_cmpx_ngt_f64_e32 v[52:53], v[54:55]
	s_xor_b32 s2, exec_lo, s2
	s_cbranch_execz .LBB50_280
; %bb.279:
	v_div_scale_f64 v[52:53], null, v[106:107], v[106:107], v[104:105]
	v_div_scale_f64 v[110:111], vcc_lo, v[104:105], v[106:107], v[104:105]
	s_delay_alu instid0(VALU_DEP_2) | instskip(SKIP_2) | instid1(VALU_DEP_1)
	v_rcp_f64_e32 v[54:55], v[52:53]
	s_waitcnt_depctr 0xfff
	v_fma_f64 v[108:109], -v[52:53], v[54:55], 1.0
	v_fma_f64 v[54:55], v[54:55], v[108:109], v[54:55]
	s_delay_alu instid0(VALU_DEP_1) | instskip(NEXT) | instid1(VALU_DEP_1)
	v_fma_f64 v[108:109], -v[52:53], v[54:55], 1.0
	v_fma_f64 v[54:55], v[54:55], v[108:109], v[54:55]
	s_delay_alu instid0(VALU_DEP_1) | instskip(NEXT) | instid1(VALU_DEP_1)
	v_mul_f64 v[108:109], v[110:111], v[54:55]
	v_fma_f64 v[52:53], -v[52:53], v[108:109], v[110:111]
	s_delay_alu instid0(VALU_DEP_1) | instskip(NEXT) | instid1(VALU_DEP_1)
	v_div_fmas_f64 v[52:53], v[52:53], v[54:55], v[108:109]
	v_div_fixup_f64 v[52:53], v[52:53], v[106:107], v[104:105]
	s_delay_alu instid0(VALU_DEP_1) | instskip(NEXT) | instid1(VALU_DEP_1)
	v_fma_f64 v[54:55], v[104:105], v[52:53], v[106:107]
	v_div_scale_f64 v[104:105], null, v[54:55], v[54:55], 1.0
	s_delay_alu instid0(VALU_DEP_1) | instskip(SKIP_2) | instid1(VALU_DEP_1)
	v_rcp_f64_e32 v[106:107], v[104:105]
	s_waitcnt_depctr 0xfff
	v_fma_f64 v[108:109], -v[104:105], v[106:107], 1.0
	v_fma_f64 v[106:107], v[106:107], v[108:109], v[106:107]
	s_delay_alu instid0(VALU_DEP_1) | instskip(NEXT) | instid1(VALU_DEP_1)
	v_fma_f64 v[108:109], -v[104:105], v[106:107], 1.0
	v_fma_f64 v[106:107], v[106:107], v[108:109], v[106:107]
	v_div_scale_f64 v[108:109], vcc_lo, 1.0, v[54:55], 1.0
	s_delay_alu instid0(VALU_DEP_1) | instskip(NEXT) | instid1(VALU_DEP_1)
	v_mul_f64 v[110:111], v[108:109], v[106:107]
	v_fma_f64 v[104:105], -v[104:105], v[110:111], v[108:109]
	s_delay_alu instid0(VALU_DEP_1) | instskip(NEXT) | instid1(VALU_DEP_1)
	v_div_fmas_f64 v[104:105], v[104:105], v[106:107], v[110:111]
	v_div_fixup_f64 v[106:107], v[104:105], v[54:55], 1.0
	s_delay_alu instid0(VALU_DEP_1)
	v_mul_f64 v[104:105], v[52:53], v[106:107]
	v_xor_b32_e32 v107, 0x80000000, v107
.LBB50_280:
	s_and_not1_saveexec_b32 s2, s2
	s_cbranch_execz .LBB50_282
; %bb.281:
	s_delay_alu instid0(VALU_DEP_1) | instskip(SKIP_1) | instid1(VALU_DEP_2)
	v_div_scale_f64 v[52:53], null, v[104:105], v[104:105], v[106:107]
	v_div_scale_f64 v[110:111], vcc_lo, v[106:107], v[104:105], v[106:107]
	v_rcp_f64_e32 v[54:55], v[52:53]
	s_waitcnt_depctr 0xfff
	v_fma_f64 v[108:109], -v[52:53], v[54:55], 1.0
	s_delay_alu instid0(VALU_DEP_1) | instskip(NEXT) | instid1(VALU_DEP_1)
	v_fma_f64 v[54:55], v[54:55], v[108:109], v[54:55]
	v_fma_f64 v[108:109], -v[52:53], v[54:55], 1.0
	s_delay_alu instid0(VALU_DEP_1) | instskip(NEXT) | instid1(VALU_DEP_1)
	v_fma_f64 v[54:55], v[54:55], v[108:109], v[54:55]
	v_mul_f64 v[108:109], v[110:111], v[54:55]
	s_delay_alu instid0(VALU_DEP_1) | instskip(NEXT) | instid1(VALU_DEP_1)
	v_fma_f64 v[52:53], -v[52:53], v[108:109], v[110:111]
	v_div_fmas_f64 v[52:53], v[52:53], v[54:55], v[108:109]
	s_delay_alu instid0(VALU_DEP_1) | instskip(NEXT) | instid1(VALU_DEP_1)
	v_div_fixup_f64 v[52:53], v[52:53], v[104:105], v[106:107]
	v_fma_f64 v[54:55], v[106:107], v[52:53], v[104:105]
	s_delay_alu instid0(VALU_DEP_1) | instskip(NEXT) | instid1(VALU_DEP_1)
	v_div_scale_f64 v[104:105], null, v[54:55], v[54:55], 1.0
	v_rcp_f64_e32 v[106:107], v[104:105]
	s_waitcnt_depctr 0xfff
	v_fma_f64 v[108:109], -v[104:105], v[106:107], 1.0
	s_delay_alu instid0(VALU_DEP_1) | instskip(NEXT) | instid1(VALU_DEP_1)
	v_fma_f64 v[106:107], v[106:107], v[108:109], v[106:107]
	v_fma_f64 v[108:109], -v[104:105], v[106:107], 1.0
	s_delay_alu instid0(VALU_DEP_1) | instskip(SKIP_1) | instid1(VALU_DEP_1)
	v_fma_f64 v[106:107], v[106:107], v[108:109], v[106:107]
	v_div_scale_f64 v[108:109], vcc_lo, 1.0, v[54:55], 1.0
	v_mul_f64 v[110:111], v[108:109], v[106:107]
	s_delay_alu instid0(VALU_DEP_1) | instskip(NEXT) | instid1(VALU_DEP_1)
	v_fma_f64 v[104:105], -v[104:105], v[110:111], v[108:109]
	v_div_fmas_f64 v[104:105], v[104:105], v[106:107], v[110:111]
	s_delay_alu instid0(VALU_DEP_1) | instskip(NEXT) | instid1(VALU_DEP_1)
	v_div_fixup_f64 v[104:105], v[104:105], v[54:55], 1.0
	v_mul_f64 v[106:107], v[52:53], -v[104:105]
.LBB50_282:
	s_or_b32 exec_lo, exec_lo, s2
.LBB50_283:
	s_delay_alu instid0(SALU_CYCLE_1) | instskip(NEXT) | instid1(SALU_CYCLE_1)
	s_or_b32 exec_lo, exec_lo, s3
	s_mov_b32 s2, exec_lo
	v_cmpx_ne_u32_e64 v120, v112
	s_xor_b32 s2, exec_lo, s2
	s_cbranch_execz .LBB50_289
; %bb.284:
	s_mov_b32 s3, exec_lo
	v_cmpx_eq_u32_e32 13, v120
	s_cbranch_execz .LBB50_288
; %bb.285:
	v_cmp_ne_u32_e32 vcc_lo, 13, v112
	s_xor_b32 s6, s4, -1
	s_delay_alu instid0(SALU_CYCLE_1) | instskip(NEXT) | instid1(SALU_CYCLE_1)
	s_and_b32 s7, s6, vcc_lo
	s_and_saveexec_b32 s6, s7
	s_cbranch_execz .LBB50_287
; %bb.286:
	v_ashrrev_i32_e32 v113, 31, v112
	s_delay_alu instid0(VALU_DEP_1) | instskip(NEXT) | instid1(VALU_DEP_1)
	v_lshlrev_b64 v[52:53], 2, v[112:113]
	v_add_co_u32 v52, vcc_lo, v94, v52
	s_delay_alu instid0(VALU_DEP_2)
	v_add_co_ci_u32_e32 v53, vcc_lo, v95, v53, vcc_lo
	s_clause 0x1
	flat_load_b32 v54, v[52:53]
	flat_load_b32 v55, v[94:95] offset:52
	s_waitcnt vmcnt(1) lgkmcnt(1)
	flat_store_b32 v[94:95], v54 offset:52
	s_waitcnt vmcnt(0) lgkmcnt(1)
	flat_store_b32 v[52:53], v55
.LBB50_287:
	s_or_b32 exec_lo, exec_lo, s6
	v_mov_b32_e32 v120, v112
	v_mov_b32_e32 v93, v112
.LBB50_288:
	s_or_b32 exec_lo, exec_lo, s3
.LBB50_289:
	s_and_not1_saveexec_b32 s2, s2
	s_cbranch_execz .LBB50_291
; %bb.290:
	v_mov_b32_e32 v120, 13
	ds_store_2addr_b64 v114, v[48:49], v[50:51] offset0:28 offset1:29
	ds_store_2addr_b64 v114, v[44:45], v[46:47] offset0:30 offset1:31
	;; [unrolled: 1-line block ×12, first 2 shown]
.LBB50_291:
	s_or_b32 exec_lo, exec_lo, s2
	s_delay_alu instid0(SALU_CYCLE_1)
	s_mov_b32 s2, exec_lo
	s_waitcnt lgkmcnt(0)
	s_waitcnt_vscnt null, 0x0
	s_barrier
	buffer_gl0_inv
	v_cmpx_lt_i32_e32 13, v120
	s_cbranch_execz .LBB50_293
; %bb.292:
	v_mul_f64 v[52:53], v[104:105], v[62:63]
	v_mul_f64 v[54:55], v[106:107], v[62:63]
	ds_load_2addr_b64 v[121:124], v114 offset0:28 offset1:29
	ds_load_2addr_b64 v[125:128], v114 offset0:30 offset1:31
	ds_load_2addr_b64 v[129:132], v114 offset0:32 offset1:33
	ds_load_2addr_b64 v[133:136], v114 offset0:34 offset1:35
	ds_load_2addr_b64 v[137:140], v114 offset0:36 offset1:37
	ds_load_2addr_b64 v[141:144], v114 offset0:38 offset1:39
	ds_load_2addr_b64 v[145:148], v114 offset0:40 offset1:41
	ds_load_2addr_b64 v[149:152], v114 offset0:42 offset1:43
	ds_load_2addr_b64 v[153:156], v114 offset0:44 offset1:45
	ds_load_2addr_b64 v[157:160], v114 offset0:46 offset1:47
	ds_load_2addr_b64 v[161:164], v114 offset0:48 offset1:49
	ds_load_2addr_b64 v[165:168], v114 offset0:50 offset1:51
	v_fma_f64 v[52:53], v[106:107], v[60:61], v[52:53]
	v_fma_f64 v[60:61], v[104:105], v[60:61], -v[54:55]
	s_waitcnt lgkmcnt(11)
	s_delay_alu instid0(VALU_DEP_2)
	v_mul_f64 v[54:55], v[123:124], v[52:53]
	v_mul_f64 v[62:63], v[121:122], v[52:53]
	s_waitcnt lgkmcnt(10)
	v_mul_f64 v[104:105], v[127:128], v[52:53]
	v_mul_f64 v[106:107], v[125:126], v[52:53]
	s_waitcnt lgkmcnt(9)
	;; [unrolled: 3-line block ×11, first 2 shown]
	v_mul_f64 v[199:200], v[167:168], v[52:53]
	v_mul_f64 v[201:202], v[165:166], v[52:53]
	v_fma_f64 v[54:55], v[121:122], v[60:61], -v[54:55]
	v_fma_f64 v[62:63], v[123:124], v[60:61], v[62:63]
	v_fma_f64 v[104:105], v[125:126], v[60:61], -v[104:105]
	v_fma_f64 v[106:107], v[127:128], v[60:61], v[106:107]
	;; [unrolled: 2-line block ×12, first 2 shown]
	v_add_f64 v[48:49], v[48:49], -v[54:55]
	v_add_f64 v[50:51], v[50:51], -v[62:63]
	;; [unrolled: 1-line block ×24, first 2 shown]
	v_dual_mov_b32 v63, v53 :: v_dual_mov_b32 v62, v52
.LBB50_293:
	s_or_b32 exec_lo, exec_lo, s2
	v_lshl_add_u32 v52, v120, 4, v114
	s_barrier
	buffer_gl0_inv
	v_mov_b32_e32 v112, 14
	ds_store_2addr_b64 v52, v[48:49], v[50:51] offset1:1
	s_waitcnt lgkmcnt(0)
	s_barrier
	buffer_gl0_inv
	ds_load_2addr_b64 v[104:107], v114 offset0:28 offset1:29
	s_cmp_lt_i32 s5, 16
	s_cbranch_scc1 .LBB50_296
; %bb.294:
	v_add3_u32 v113, v92, 0, 0xf0
	v_mov_b32_e32 v112, 14
	s_mov_b32 s6, 15
	s_set_inst_prefetch_distance 0x1
	.p2align	6
.LBB50_295:                             ; =>This Inner Loop Header: Depth=1
	ds_load_2addr_b64 v[121:124], v113 offset1:1
	s_waitcnt lgkmcnt(1)
	v_cmp_gt_f64_e32 vcc_lo, 0, v[104:105]
	v_xor_b32_e32 v52, 0x80000000, v105
	v_cmp_gt_f64_e64 s2, 0, v[106:107]
	v_xor_b32_e32 v54, 0x80000000, v107
	v_add_nc_u32_e32 v113, 16, v113
	s_waitcnt lgkmcnt(0)
	v_cmp_gt_f64_e64 s3, 0, v[121:122]
	v_mov_b32_e32 v108, v121
	v_dual_mov_b32 v110, v123 :: v_dual_cndmask_b32 v53, v105, v52
	v_xor_b32_e32 v52, 0x80000000, v122
	v_cndmask_b32_e64 v55, v107, v54, s2
	v_xor_b32_e32 v54, 0x80000000, v124
	s_delay_alu instid0(VALU_DEP_3) | instskip(SKIP_2) | instid1(VALU_DEP_2)
	v_cndmask_b32_e64 v109, v122, v52, s3
	v_cmp_gt_f64_e64 s3, 0, v[123:124]
	v_cndmask_b32_e32 v52, v104, v104, vcc_lo
	v_cndmask_b32_e64 v111, v124, v54, s3
	v_cndmask_b32_e64 v54, v106, v106, s2
	s_delay_alu instid0(VALU_DEP_2) | instskip(NEXT) | instid1(VALU_DEP_2)
	v_add_f64 v[108:109], v[108:109], v[110:111]
	v_add_f64 v[52:53], v[52:53], v[54:55]
	s_delay_alu instid0(VALU_DEP_1) | instskip(SKIP_4) | instid1(SALU_CYCLE_1)
	v_cmp_lt_f64_e32 vcc_lo, v[52:53], v[108:109]
	v_dual_cndmask_b32 v105, v105, v122 :: v_dual_cndmask_b32 v104, v104, v121
	v_dual_cndmask_b32 v107, v107, v124 :: v_dual_cndmask_b32 v106, v106, v123
	v_cndmask_b32_e64 v112, v112, s6, vcc_lo
	s_add_i32 s6, s6, 1
	s_cmp_lg_u32 s5, s6
	s_cbranch_scc1 .LBB50_295
.LBB50_296:
	s_set_inst_prefetch_distance 0x2
	s_waitcnt lgkmcnt(0)
	v_cmp_eq_f64_e32 vcc_lo, 0, v[104:105]
	v_cmp_eq_f64_e64 s2, 0, v[106:107]
	s_delay_alu instid0(VALU_DEP_1) | instskip(NEXT) | instid1(SALU_CYCLE_1)
	s_and_b32 s2, vcc_lo, s2
	s_and_saveexec_b32 s3, s2
	s_delay_alu instid0(SALU_CYCLE_1)
	s_xor_b32 s2, exec_lo, s3
; %bb.297:
	v_cmp_ne_u32_e32 vcc_lo, 0, v119
	v_cndmask_b32_e32 v119, 15, v119, vcc_lo
; %bb.298:
	s_and_not1_saveexec_b32 s3, s2
	s_cbranch_execz .LBB50_304
; %bb.299:
	v_cmp_gt_f64_e32 vcc_lo, 0, v[104:105]
	v_cmp_gt_f64_e64 s2, 0, v[106:107]
	v_xor_b32_e32 v52, 0x80000000, v105
	v_xor_b32_e32 v54, 0x80000000, v107
	s_delay_alu instid0(VALU_DEP_2) | instskip(NEXT) | instid1(VALU_DEP_2)
	v_cndmask_b32_e32 v53, v105, v52, vcc_lo
	v_cndmask_b32_e64 v55, v107, v54, s2
	v_cndmask_b32_e32 v52, v104, v104, vcc_lo
	v_cndmask_b32_e64 v54, v106, v106, s2
	s_mov_b32 s2, exec_lo
	s_delay_alu instid0(VALU_DEP_1)
	v_cmpx_ngt_f64_e32 v[52:53], v[54:55]
	s_xor_b32 s2, exec_lo, s2
	s_cbranch_execz .LBB50_301
; %bb.300:
	v_div_scale_f64 v[52:53], null, v[106:107], v[106:107], v[104:105]
	v_div_scale_f64 v[110:111], vcc_lo, v[104:105], v[106:107], v[104:105]
	s_delay_alu instid0(VALU_DEP_2) | instskip(SKIP_2) | instid1(VALU_DEP_1)
	v_rcp_f64_e32 v[54:55], v[52:53]
	s_waitcnt_depctr 0xfff
	v_fma_f64 v[108:109], -v[52:53], v[54:55], 1.0
	v_fma_f64 v[54:55], v[54:55], v[108:109], v[54:55]
	s_delay_alu instid0(VALU_DEP_1) | instskip(NEXT) | instid1(VALU_DEP_1)
	v_fma_f64 v[108:109], -v[52:53], v[54:55], 1.0
	v_fma_f64 v[54:55], v[54:55], v[108:109], v[54:55]
	s_delay_alu instid0(VALU_DEP_1) | instskip(NEXT) | instid1(VALU_DEP_1)
	v_mul_f64 v[108:109], v[110:111], v[54:55]
	v_fma_f64 v[52:53], -v[52:53], v[108:109], v[110:111]
	s_delay_alu instid0(VALU_DEP_1) | instskip(NEXT) | instid1(VALU_DEP_1)
	v_div_fmas_f64 v[52:53], v[52:53], v[54:55], v[108:109]
	v_div_fixup_f64 v[52:53], v[52:53], v[106:107], v[104:105]
	s_delay_alu instid0(VALU_DEP_1) | instskip(NEXT) | instid1(VALU_DEP_1)
	v_fma_f64 v[54:55], v[104:105], v[52:53], v[106:107]
	v_div_scale_f64 v[104:105], null, v[54:55], v[54:55], 1.0
	s_delay_alu instid0(VALU_DEP_1) | instskip(SKIP_2) | instid1(VALU_DEP_1)
	v_rcp_f64_e32 v[106:107], v[104:105]
	s_waitcnt_depctr 0xfff
	v_fma_f64 v[108:109], -v[104:105], v[106:107], 1.0
	v_fma_f64 v[106:107], v[106:107], v[108:109], v[106:107]
	s_delay_alu instid0(VALU_DEP_1) | instskip(NEXT) | instid1(VALU_DEP_1)
	v_fma_f64 v[108:109], -v[104:105], v[106:107], 1.0
	v_fma_f64 v[106:107], v[106:107], v[108:109], v[106:107]
	v_div_scale_f64 v[108:109], vcc_lo, 1.0, v[54:55], 1.0
	s_delay_alu instid0(VALU_DEP_1) | instskip(NEXT) | instid1(VALU_DEP_1)
	v_mul_f64 v[110:111], v[108:109], v[106:107]
	v_fma_f64 v[104:105], -v[104:105], v[110:111], v[108:109]
	s_delay_alu instid0(VALU_DEP_1) | instskip(NEXT) | instid1(VALU_DEP_1)
	v_div_fmas_f64 v[104:105], v[104:105], v[106:107], v[110:111]
	v_div_fixup_f64 v[106:107], v[104:105], v[54:55], 1.0
	s_delay_alu instid0(VALU_DEP_1)
	v_mul_f64 v[104:105], v[52:53], v[106:107]
	v_xor_b32_e32 v107, 0x80000000, v107
.LBB50_301:
	s_and_not1_saveexec_b32 s2, s2
	s_cbranch_execz .LBB50_303
; %bb.302:
	s_delay_alu instid0(VALU_DEP_1) | instskip(SKIP_1) | instid1(VALU_DEP_2)
	v_div_scale_f64 v[52:53], null, v[104:105], v[104:105], v[106:107]
	v_div_scale_f64 v[110:111], vcc_lo, v[106:107], v[104:105], v[106:107]
	v_rcp_f64_e32 v[54:55], v[52:53]
	s_waitcnt_depctr 0xfff
	v_fma_f64 v[108:109], -v[52:53], v[54:55], 1.0
	s_delay_alu instid0(VALU_DEP_1) | instskip(NEXT) | instid1(VALU_DEP_1)
	v_fma_f64 v[54:55], v[54:55], v[108:109], v[54:55]
	v_fma_f64 v[108:109], -v[52:53], v[54:55], 1.0
	s_delay_alu instid0(VALU_DEP_1) | instskip(NEXT) | instid1(VALU_DEP_1)
	v_fma_f64 v[54:55], v[54:55], v[108:109], v[54:55]
	v_mul_f64 v[108:109], v[110:111], v[54:55]
	s_delay_alu instid0(VALU_DEP_1) | instskip(NEXT) | instid1(VALU_DEP_1)
	v_fma_f64 v[52:53], -v[52:53], v[108:109], v[110:111]
	v_div_fmas_f64 v[52:53], v[52:53], v[54:55], v[108:109]
	s_delay_alu instid0(VALU_DEP_1) | instskip(NEXT) | instid1(VALU_DEP_1)
	v_div_fixup_f64 v[52:53], v[52:53], v[104:105], v[106:107]
	v_fma_f64 v[54:55], v[106:107], v[52:53], v[104:105]
	s_delay_alu instid0(VALU_DEP_1) | instskip(NEXT) | instid1(VALU_DEP_1)
	v_div_scale_f64 v[104:105], null, v[54:55], v[54:55], 1.0
	v_rcp_f64_e32 v[106:107], v[104:105]
	s_waitcnt_depctr 0xfff
	v_fma_f64 v[108:109], -v[104:105], v[106:107], 1.0
	s_delay_alu instid0(VALU_DEP_1) | instskip(NEXT) | instid1(VALU_DEP_1)
	v_fma_f64 v[106:107], v[106:107], v[108:109], v[106:107]
	v_fma_f64 v[108:109], -v[104:105], v[106:107], 1.0
	s_delay_alu instid0(VALU_DEP_1) | instskip(SKIP_1) | instid1(VALU_DEP_1)
	v_fma_f64 v[106:107], v[106:107], v[108:109], v[106:107]
	v_div_scale_f64 v[108:109], vcc_lo, 1.0, v[54:55], 1.0
	v_mul_f64 v[110:111], v[108:109], v[106:107]
	s_delay_alu instid0(VALU_DEP_1) | instskip(NEXT) | instid1(VALU_DEP_1)
	v_fma_f64 v[104:105], -v[104:105], v[110:111], v[108:109]
	v_div_fmas_f64 v[104:105], v[104:105], v[106:107], v[110:111]
	s_delay_alu instid0(VALU_DEP_1) | instskip(NEXT) | instid1(VALU_DEP_1)
	v_div_fixup_f64 v[104:105], v[104:105], v[54:55], 1.0
	v_mul_f64 v[106:107], v[52:53], -v[104:105]
.LBB50_303:
	s_or_b32 exec_lo, exec_lo, s2
.LBB50_304:
	s_delay_alu instid0(SALU_CYCLE_1) | instskip(NEXT) | instid1(SALU_CYCLE_1)
	s_or_b32 exec_lo, exec_lo, s3
	s_mov_b32 s2, exec_lo
	v_cmpx_ne_u32_e64 v120, v112
	s_xor_b32 s2, exec_lo, s2
	s_cbranch_execz .LBB50_310
; %bb.305:
	s_mov_b32 s3, exec_lo
	v_cmpx_eq_u32_e32 14, v120
	s_cbranch_execz .LBB50_309
; %bb.306:
	v_cmp_ne_u32_e32 vcc_lo, 14, v112
	s_xor_b32 s6, s4, -1
	s_delay_alu instid0(SALU_CYCLE_1) | instskip(NEXT) | instid1(SALU_CYCLE_1)
	s_and_b32 s7, s6, vcc_lo
	s_and_saveexec_b32 s6, s7
	s_cbranch_execz .LBB50_308
; %bb.307:
	v_ashrrev_i32_e32 v113, 31, v112
	s_delay_alu instid0(VALU_DEP_1) | instskip(NEXT) | instid1(VALU_DEP_1)
	v_lshlrev_b64 v[52:53], 2, v[112:113]
	v_add_co_u32 v52, vcc_lo, v94, v52
	s_delay_alu instid0(VALU_DEP_2)
	v_add_co_ci_u32_e32 v53, vcc_lo, v95, v53, vcc_lo
	s_clause 0x1
	flat_load_b32 v54, v[52:53]
	flat_load_b32 v55, v[94:95] offset:56
	s_waitcnt vmcnt(1) lgkmcnt(1)
	flat_store_b32 v[94:95], v54 offset:56
	s_waitcnt vmcnt(0) lgkmcnt(1)
	flat_store_b32 v[52:53], v55
.LBB50_308:
	s_or_b32 exec_lo, exec_lo, s6
	v_mov_b32_e32 v120, v112
	v_mov_b32_e32 v93, v112
.LBB50_309:
	s_or_b32 exec_lo, exec_lo, s3
.LBB50_310:
	s_and_not1_saveexec_b32 s2, s2
	s_cbranch_execz .LBB50_312
; %bb.311:
	v_mov_b32_e32 v120, 14
	ds_store_2addr_b64 v114, v[44:45], v[46:47] offset0:30 offset1:31
	ds_store_2addr_b64 v114, v[40:41], v[42:43] offset0:32 offset1:33
	ds_store_2addr_b64 v114, v[36:37], v[38:39] offset0:34 offset1:35
	ds_store_2addr_b64 v114, v[32:33], v[34:35] offset0:36 offset1:37
	ds_store_2addr_b64 v114, v[24:25], v[26:27] offset0:38 offset1:39
	ds_store_2addr_b64 v114, v[20:21], v[22:23] offset0:40 offset1:41
	ds_store_2addr_b64 v114, v[16:17], v[18:19] offset0:42 offset1:43
	ds_store_2addr_b64 v114, v[12:13], v[14:15] offset0:44 offset1:45
	ds_store_2addr_b64 v114, v[8:9], v[10:11] offset0:46 offset1:47
	ds_store_2addr_b64 v114, v[4:5], v[6:7] offset0:48 offset1:49
	ds_store_2addr_b64 v114, v[0:1], v[2:3] offset0:50 offset1:51
.LBB50_312:
	s_or_b32 exec_lo, exec_lo, s2
	s_delay_alu instid0(SALU_CYCLE_1)
	s_mov_b32 s2, exec_lo
	s_waitcnt lgkmcnt(0)
	s_waitcnt_vscnt null, 0x0
	s_barrier
	buffer_gl0_inv
	v_cmpx_lt_i32_e32 14, v120
	s_cbranch_execz .LBB50_314
; %bb.313:
	v_mul_f64 v[52:53], v[104:105], v[50:51]
	v_mul_f64 v[50:51], v[106:107], v[50:51]
	ds_load_2addr_b64 v[121:124], v114 offset0:30 offset1:31
	ds_load_2addr_b64 v[125:128], v114 offset0:32 offset1:33
	;; [unrolled: 1-line block ×11, first 2 shown]
	v_fma_f64 v[52:53], v[106:107], v[48:49], v[52:53]
	v_fma_f64 v[48:49], v[104:105], v[48:49], -v[50:51]
	s_waitcnt lgkmcnt(10)
	s_delay_alu instid0(VALU_DEP_2)
	v_mul_f64 v[50:51], v[123:124], v[52:53]
	v_mul_f64 v[54:55], v[121:122], v[52:53]
	s_waitcnt lgkmcnt(9)
	v_mul_f64 v[104:105], v[127:128], v[52:53]
	v_mul_f64 v[106:107], v[125:126], v[52:53]
	s_waitcnt lgkmcnt(8)
	;; [unrolled: 3-line block ×10, first 2 shown]
	v_mul_f64 v[191:192], v[163:164], v[52:53]
	v_mul_f64 v[193:194], v[161:162], v[52:53]
	v_fma_f64 v[50:51], v[121:122], v[48:49], -v[50:51]
	v_fma_f64 v[54:55], v[123:124], v[48:49], v[54:55]
	v_fma_f64 v[104:105], v[125:126], v[48:49], -v[104:105]
	v_fma_f64 v[106:107], v[127:128], v[48:49], v[106:107]
	;; [unrolled: 2-line block ×11, first 2 shown]
	v_add_f64 v[44:45], v[44:45], -v[50:51]
	v_add_f64 v[46:47], v[46:47], -v[54:55]
	;; [unrolled: 1-line block ×22, first 2 shown]
	v_dual_mov_b32 v50, v52 :: v_dual_mov_b32 v51, v53
.LBB50_314:
	s_or_b32 exec_lo, exec_lo, s2
	v_lshl_add_u32 v52, v120, 4, v114
	s_barrier
	buffer_gl0_inv
	v_mov_b32_e32 v112, 15
	ds_store_2addr_b64 v52, v[44:45], v[46:47] offset1:1
	s_waitcnt lgkmcnt(0)
	s_barrier
	buffer_gl0_inv
	ds_load_2addr_b64 v[104:107], v114 offset0:30 offset1:31
	s_cmp_lt_i32 s5, 17
	s_cbranch_scc1 .LBB50_317
; %bb.315:
	v_add3_u32 v113, v92, 0, 0x100
	v_mov_b32_e32 v112, 15
	s_mov_b32 s6, 16
	s_set_inst_prefetch_distance 0x1
	.p2align	6
.LBB50_316:                             ; =>This Inner Loop Header: Depth=1
	ds_load_2addr_b64 v[121:124], v113 offset1:1
	s_waitcnt lgkmcnt(1)
	v_cmp_gt_f64_e32 vcc_lo, 0, v[104:105]
	v_xor_b32_e32 v52, 0x80000000, v105
	v_cmp_gt_f64_e64 s2, 0, v[106:107]
	v_xor_b32_e32 v54, 0x80000000, v107
	v_add_nc_u32_e32 v113, 16, v113
	s_waitcnt lgkmcnt(0)
	v_cmp_gt_f64_e64 s3, 0, v[121:122]
	v_mov_b32_e32 v108, v121
	v_dual_mov_b32 v110, v123 :: v_dual_cndmask_b32 v53, v105, v52
	v_xor_b32_e32 v52, 0x80000000, v122
	v_cndmask_b32_e64 v55, v107, v54, s2
	v_xor_b32_e32 v54, 0x80000000, v124
	s_delay_alu instid0(VALU_DEP_3) | instskip(SKIP_2) | instid1(VALU_DEP_2)
	v_cndmask_b32_e64 v109, v122, v52, s3
	v_cmp_gt_f64_e64 s3, 0, v[123:124]
	v_cndmask_b32_e32 v52, v104, v104, vcc_lo
	v_cndmask_b32_e64 v111, v124, v54, s3
	v_cndmask_b32_e64 v54, v106, v106, s2
	s_delay_alu instid0(VALU_DEP_2) | instskip(NEXT) | instid1(VALU_DEP_2)
	v_add_f64 v[108:109], v[108:109], v[110:111]
	v_add_f64 v[52:53], v[52:53], v[54:55]
	s_delay_alu instid0(VALU_DEP_1) | instskip(SKIP_4) | instid1(SALU_CYCLE_1)
	v_cmp_lt_f64_e32 vcc_lo, v[52:53], v[108:109]
	v_dual_cndmask_b32 v105, v105, v122 :: v_dual_cndmask_b32 v104, v104, v121
	v_dual_cndmask_b32 v107, v107, v124 :: v_dual_cndmask_b32 v106, v106, v123
	v_cndmask_b32_e64 v112, v112, s6, vcc_lo
	s_add_i32 s6, s6, 1
	s_cmp_lg_u32 s5, s6
	s_cbranch_scc1 .LBB50_316
.LBB50_317:
	s_set_inst_prefetch_distance 0x2
	s_waitcnt lgkmcnt(0)
	v_cmp_eq_f64_e32 vcc_lo, 0, v[104:105]
	v_cmp_eq_f64_e64 s2, 0, v[106:107]
	s_delay_alu instid0(VALU_DEP_1) | instskip(NEXT) | instid1(SALU_CYCLE_1)
	s_and_b32 s2, vcc_lo, s2
	s_and_saveexec_b32 s3, s2
	s_delay_alu instid0(SALU_CYCLE_1)
	s_xor_b32 s2, exec_lo, s3
; %bb.318:
	v_cmp_ne_u32_e32 vcc_lo, 0, v119
	v_cndmask_b32_e32 v119, 16, v119, vcc_lo
; %bb.319:
	s_and_not1_saveexec_b32 s3, s2
	s_cbranch_execz .LBB50_325
; %bb.320:
	v_cmp_gt_f64_e32 vcc_lo, 0, v[104:105]
	v_cmp_gt_f64_e64 s2, 0, v[106:107]
	v_xor_b32_e32 v52, 0x80000000, v105
	v_xor_b32_e32 v54, 0x80000000, v107
	s_delay_alu instid0(VALU_DEP_2) | instskip(NEXT) | instid1(VALU_DEP_2)
	v_cndmask_b32_e32 v53, v105, v52, vcc_lo
	v_cndmask_b32_e64 v55, v107, v54, s2
	v_cndmask_b32_e32 v52, v104, v104, vcc_lo
	v_cndmask_b32_e64 v54, v106, v106, s2
	s_mov_b32 s2, exec_lo
	s_delay_alu instid0(VALU_DEP_1)
	v_cmpx_ngt_f64_e32 v[52:53], v[54:55]
	s_xor_b32 s2, exec_lo, s2
	s_cbranch_execz .LBB50_322
; %bb.321:
	v_div_scale_f64 v[52:53], null, v[106:107], v[106:107], v[104:105]
	v_div_scale_f64 v[110:111], vcc_lo, v[104:105], v[106:107], v[104:105]
	s_delay_alu instid0(VALU_DEP_2) | instskip(SKIP_2) | instid1(VALU_DEP_1)
	v_rcp_f64_e32 v[54:55], v[52:53]
	s_waitcnt_depctr 0xfff
	v_fma_f64 v[108:109], -v[52:53], v[54:55], 1.0
	v_fma_f64 v[54:55], v[54:55], v[108:109], v[54:55]
	s_delay_alu instid0(VALU_DEP_1) | instskip(NEXT) | instid1(VALU_DEP_1)
	v_fma_f64 v[108:109], -v[52:53], v[54:55], 1.0
	v_fma_f64 v[54:55], v[54:55], v[108:109], v[54:55]
	s_delay_alu instid0(VALU_DEP_1) | instskip(NEXT) | instid1(VALU_DEP_1)
	v_mul_f64 v[108:109], v[110:111], v[54:55]
	v_fma_f64 v[52:53], -v[52:53], v[108:109], v[110:111]
	s_delay_alu instid0(VALU_DEP_1) | instskip(NEXT) | instid1(VALU_DEP_1)
	v_div_fmas_f64 v[52:53], v[52:53], v[54:55], v[108:109]
	v_div_fixup_f64 v[52:53], v[52:53], v[106:107], v[104:105]
	s_delay_alu instid0(VALU_DEP_1) | instskip(NEXT) | instid1(VALU_DEP_1)
	v_fma_f64 v[54:55], v[104:105], v[52:53], v[106:107]
	v_div_scale_f64 v[104:105], null, v[54:55], v[54:55], 1.0
	s_delay_alu instid0(VALU_DEP_1) | instskip(SKIP_2) | instid1(VALU_DEP_1)
	v_rcp_f64_e32 v[106:107], v[104:105]
	s_waitcnt_depctr 0xfff
	v_fma_f64 v[108:109], -v[104:105], v[106:107], 1.0
	v_fma_f64 v[106:107], v[106:107], v[108:109], v[106:107]
	s_delay_alu instid0(VALU_DEP_1) | instskip(NEXT) | instid1(VALU_DEP_1)
	v_fma_f64 v[108:109], -v[104:105], v[106:107], 1.0
	v_fma_f64 v[106:107], v[106:107], v[108:109], v[106:107]
	v_div_scale_f64 v[108:109], vcc_lo, 1.0, v[54:55], 1.0
	s_delay_alu instid0(VALU_DEP_1) | instskip(NEXT) | instid1(VALU_DEP_1)
	v_mul_f64 v[110:111], v[108:109], v[106:107]
	v_fma_f64 v[104:105], -v[104:105], v[110:111], v[108:109]
	s_delay_alu instid0(VALU_DEP_1) | instskip(NEXT) | instid1(VALU_DEP_1)
	v_div_fmas_f64 v[104:105], v[104:105], v[106:107], v[110:111]
	v_div_fixup_f64 v[106:107], v[104:105], v[54:55], 1.0
	s_delay_alu instid0(VALU_DEP_1)
	v_mul_f64 v[104:105], v[52:53], v[106:107]
	v_xor_b32_e32 v107, 0x80000000, v107
.LBB50_322:
	s_and_not1_saveexec_b32 s2, s2
	s_cbranch_execz .LBB50_324
; %bb.323:
	s_delay_alu instid0(VALU_DEP_1) | instskip(SKIP_1) | instid1(VALU_DEP_2)
	v_div_scale_f64 v[52:53], null, v[104:105], v[104:105], v[106:107]
	v_div_scale_f64 v[110:111], vcc_lo, v[106:107], v[104:105], v[106:107]
	v_rcp_f64_e32 v[54:55], v[52:53]
	s_waitcnt_depctr 0xfff
	v_fma_f64 v[108:109], -v[52:53], v[54:55], 1.0
	s_delay_alu instid0(VALU_DEP_1) | instskip(NEXT) | instid1(VALU_DEP_1)
	v_fma_f64 v[54:55], v[54:55], v[108:109], v[54:55]
	v_fma_f64 v[108:109], -v[52:53], v[54:55], 1.0
	s_delay_alu instid0(VALU_DEP_1) | instskip(NEXT) | instid1(VALU_DEP_1)
	v_fma_f64 v[54:55], v[54:55], v[108:109], v[54:55]
	v_mul_f64 v[108:109], v[110:111], v[54:55]
	s_delay_alu instid0(VALU_DEP_1) | instskip(NEXT) | instid1(VALU_DEP_1)
	v_fma_f64 v[52:53], -v[52:53], v[108:109], v[110:111]
	v_div_fmas_f64 v[52:53], v[52:53], v[54:55], v[108:109]
	s_delay_alu instid0(VALU_DEP_1) | instskip(NEXT) | instid1(VALU_DEP_1)
	v_div_fixup_f64 v[52:53], v[52:53], v[104:105], v[106:107]
	v_fma_f64 v[54:55], v[106:107], v[52:53], v[104:105]
	s_delay_alu instid0(VALU_DEP_1) | instskip(NEXT) | instid1(VALU_DEP_1)
	v_div_scale_f64 v[104:105], null, v[54:55], v[54:55], 1.0
	v_rcp_f64_e32 v[106:107], v[104:105]
	s_waitcnt_depctr 0xfff
	v_fma_f64 v[108:109], -v[104:105], v[106:107], 1.0
	s_delay_alu instid0(VALU_DEP_1) | instskip(NEXT) | instid1(VALU_DEP_1)
	v_fma_f64 v[106:107], v[106:107], v[108:109], v[106:107]
	v_fma_f64 v[108:109], -v[104:105], v[106:107], 1.0
	s_delay_alu instid0(VALU_DEP_1) | instskip(SKIP_1) | instid1(VALU_DEP_1)
	v_fma_f64 v[106:107], v[106:107], v[108:109], v[106:107]
	v_div_scale_f64 v[108:109], vcc_lo, 1.0, v[54:55], 1.0
	v_mul_f64 v[110:111], v[108:109], v[106:107]
	s_delay_alu instid0(VALU_DEP_1) | instskip(NEXT) | instid1(VALU_DEP_1)
	v_fma_f64 v[104:105], -v[104:105], v[110:111], v[108:109]
	v_div_fmas_f64 v[104:105], v[104:105], v[106:107], v[110:111]
	s_delay_alu instid0(VALU_DEP_1) | instskip(NEXT) | instid1(VALU_DEP_1)
	v_div_fixup_f64 v[104:105], v[104:105], v[54:55], 1.0
	v_mul_f64 v[106:107], v[52:53], -v[104:105]
.LBB50_324:
	s_or_b32 exec_lo, exec_lo, s2
.LBB50_325:
	s_delay_alu instid0(SALU_CYCLE_1) | instskip(NEXT) | instid1(SALU_CYCLE_1)
	s_or_b32 exec_lo, exec_lo, s3
	s_mov_b32 s2, exec_lo
	v_cmpx_ne_u32_e64 v120, v112
	s_xor_b32 s2, exec_lo, s2
	s_cbranch_execz .LBB50_331
; %bb.326:
	s_mov_b32 s3, exec_lo
	v_cmpx_eq_u32_e32 15, v120
	s_cbranch_execz .LBB50_330
; %bb.327:
	v_cmp_ne_u32_e32 vcc_lo, 15, v112
	s_xor_b32 s6, s4, -1
	s_delay_alu instid0(SALU_CYCLE_1) | instskip(NEXT) | instid1(SALU_CYCLE_1)
	s_and_b32 s7, s6, vcc_lo
	s_and_saveexec_b32 s6, s7
	s_cbranch_execz .LBB50_329
; %bb.328:
	v_ashrrev_i32_e32 v113, 31, v112
	s_delay_alu instid0(VALU_DEP_1) | instskip(NEXT) | instid1(VALU_DEP_1)
	v_lshlrev_b64 v[52:53], 2, v[112:113]
	v_add_co_u32 v52, vcc_lo, v94, v52
	s_delay_alu instid0(VALU_DEP_2)
	v_add_co_ci_u32_e32 v53, vcc_lo, v95, v53, vcc_lo
	s_clause 0x1
	flat_load_b32 v54, v[52:53]
	flat_load_b32 v55, v[94:95] offset:60
	s_waitcnt vmcnt(1) lgkmcnt(1)
	flat_store_b32 v[94:95], v54 offset:60
	s_waitcnt vmcnt(0) lgkmcnt(1)
	flat_store_b32 v[52:53], v55
.LBB50_329:
	s_or_b32 exec_lo, exec_lo, s6
	v_mov_b32_e32 v120, v112
	v_mov_b32_e32 v93, v112
.LBB50_330:
	s_or_b32 exec_lo, exec_lo, s3
.LBB50_331:
	s_and_not1_saveexec_b32 s2, s2
	s_cbranch_execz .LBB50_333
; %bb.332:
	v_mov_b32_e32 v120, 15
	ds_store_2addr_b64 v114, v[40:41], v[42:43] offset0:32 offset1:33
	ds_store_2addr_b64 v114, v[36:37], v[38:39] offset0:34 offset1:35
	;; [unrolled: 1-line block ×10, first 2 shown]
.LBB50_333:
	s_or_b32 exec_lo, exec_lo, s2
	s_delay_alu instid0(SALU_CYCLE_1)
	s_mov_b32 s2, exec_lo
	s_waitcnt lgkmcnt(0)
	s_waitcnt_vscnt null, 0x0
	s_barrier
	buffer_gl0_inv
	v_cmpx_lt_i32_e32 15, v120
	s_cbranch_execz .LBB50_335
; %bb.334:
	v_mul_f64 v[52:53], v[104:105], v[46:47]
	v_mul_f64 v[46:47], v[106:107], v[46:47]
	ds_load_2addr_b64 v[121:124], v114 offset0:32 offset1:33
	ds_load_2addr_b64 v[125:128], v114 offset0:34 offset1:35
	;; [unrolled: 1-line block ×10, first 2 shown]
	v_fma_f64 v[52:53], v[106:107], v[44:45], v[52:53]
	v_fma_f64 v[44:45], v[104:105], v[44:45], -v[46:47]
	s_waitcnt lgkmcnt(9)
	s_delay_alu instid0(VALU_DEP_2)
	v_mul_f64 v[46:47], v[123:124], v[52:53]
	v_mul_f64 v[54:55], v[121:122], v[52:53]
	s_waitcnt lgkmcnt(8)
	v_mul_f64 v[104:105], v[127:128], v[52:53]
	v_mul_f64 v[106:107], v[125:126], v[52:53]
	s_waitcnt lgkmcnt(7)
	;; [unrolled: 3-line block ×9, first 2 shown]
	v_mul_f64 v[183:184], v[159:160], v[52:53]
	v_mul_f64 v[185:186], v[157:158], v[52:53]
	v_fma_f64 v[46:47], v[121:122], v[44:45], -v[46:47]
	v_fma_f64 v[54:55], v[123:124], v[44:45], v[54:55]
	v_fma_f64 v[104:105], v[125:126], v[44:45], -v[104:105]
	v_fma_f64 v[106:107], v[127:128], v[44:45], v[106:107]
	;; [unrolled: 2-line block ×10, first 2 shown]
	v_add_f64 v[40:41], v[40:41], -v[46:47]
	v_add_f64 v[42:43], v[42:43], -v[54:55]
	;; [unrolled: 1-line block ×20, first 2 shown]
	v_dual_mov_b32 v46, v52 :: v_dual_mov_b32 v47, v53
.LBB50_335:
	s_or_b32 exec_lo, exec_lo, s2
	v_lshl_add_u32 v52, v120, 4, v114
	s_barrier
	buffer_gl0_inv
	v_mov_b32_e32 v112, 16
	ds_store_2addr_b64 v52, v[40:41], v[42:43] offset1:1
	s_waitcnt lgkmcnt(0)
	s_barrier
	buffer_gl0_inv
	ds_load_2addr_b64 v[104:107], v114 offset0:32 offset1:33
	s_cmp_lt_i32 s5, 18
	s_cbranch_scc1 .LBB50_338
; %bb.336:
	v_add3_u32 v113, v92, 0, 0x110
	v_mov_b32_e32 v112, 16
	s_mov_b32 s6, 17
	s_set_inst_prefetch_distance 0x1
	.p2align	6
.LBB50_337:                             ; =>This Inner Loop Header: Depth=1
	ds_load_2addr_b64 v[121:124], v113 offset1:1
	s_waitcnt lgkmcnt(1)
	v_cmp_gt_f64_e32 vcc_lo, 0, v[104:105]
	v_xor_b32_e32 v52, 0x80000000, v105
	v_cmp_gt_f64_e64 s2, 0, v[106:107]
	v_xor_b32_e32 v54, 0x80000000, v107
	v_add_nc_u32_e32 v113, 16, v113
	s_waitcnt lgkmcnt(0)
	v_cmp_gt_f64_e64 s3, 0, v[121:122]
	v_mov_b32_e32 v108, v121
	v_dual_mov_b32 v110, v123 :: v_dual_cndmask_b32 v53, v105, v52
	v_xor_b32_e32 v52, 0x80000000, v122
	v_cndmask_b32_e64 v55, v107, v54, s2
	v_xor_b32_e32 v54, 0x80000000, v124
	s_delay_alu instid0(VALU_DEP_3) | instskip(SKIP_2) | instid1(VALU_DEP_2)
	v_cndmask_b32_e64 v109, v122, v52, s3
	v_cmp_gt_f64_e64 s3, 0, v[123:124]
	v_cndmask_b32_e32 v52, v104, v104, vcc_lo
	v_cndmask_b32_e64 v111, v124, v54, s3
	v_cndmask_b32_e64 v54, v106, v106, s2
	s_delay_alu instid0(VALU_DEP_2) | instskip(NEXT) | instid1(VALU_DEP_2)
	v_add_f64 v[108:109], v[108:109], v[110:111]
	v_add_f64 v[52:53], v[52:53], v[54:55]
	s_delay_alu instid0(VALU_DEP_1) | instskip(SKIP_4) | instid1(SALU_CYCLE_1)
	v_cmp_lt_f64_e32 vcc_lo, v[52:53], v[108:109]
	v_dual_cndmask_b32 v105, v105, v122 :: v_dual_cndmask_b32 v104, v104, v121
	v_dual_cndmask_b32 v107, v107, v124 :: v_dual_cndmask_b32 v106, v106, v123
	v_cndmask_b32_e64 v112, v112, s6, vcc_lo
	s_add_i32 s6, s6, 1
	s_cmp_lg_u32 s5, s6
	s_cbranch_scc1 .LBB50_337
.LBB50_338:
	s_set_inst_prefetch_distance 0x2
	s_waitcnt lgkmcnt(0)
	v_cmp_eq_f64_e32 vcc_lo, 0, v[104:105]
	v_cmp_eq_f64_e64 s2, 0, v[106:107]
	s_delay_alu instid0(VALU_DEP_1) | instskip(NEXT) | instid1(SALU_CYCLE_1)
	s_and_b32 s2, vcc_lo, s2
	s_and_saveexec_b32 s3, s2
	s_delay_alu instid0(SALU_CYCLE_1)
	s_xor_b32 s2, exec_lo, s3
; %bb.339:
	v_cmp_ne_u32_e32 vcc_lo, 0, v119
	v_cndmask_b32_e32 v119, 17, v119, vcc_lo
; %bb.340:
	s_and_not1_saveexec_b32 s3, s2
	s_cbranch_execz .LBB50_346
; %bb.341:
	v_cmp_gt_f64_e32 vcc_lo, 0, v[104:105]
	v_cmp_gt_f64_e64 s2, 0, v[106:107]
	v_xor_b32_e32 v52, 0x80000000, v105
	v_xor_b32_e32 v54, 0x80000000, v107
	s_delay_alu instid0(VALU_DEP_2) | instskip(NEXT) | instid1(VALU_DEP_2)
	v_cndmask_b32_e32 v53, v105, v52, vcc_lo
	v_cndmask_b32_e64 v55, v107, v54, s2
	v_cndmask_b32_e32 v52, v104, v104, vcc_lo
	v_cndmask_b32_e64 v54, v106, v106, s2
	s_mov_b32 s2, exec_lo
	s_delay_alu instid0(VALU_DEP_1)
	v_cmpx_ngt_f64_e32 v[52:53], v[54:55]
	s_xor_b32 s2, exec_lo, s2
	s_cbranch_execz .LBB50_343
; %bb.342:
	v_div_scale_f64 v[52:53], null, v[106:107], v[106:107], v[104:105]
	v_div_scale_f64 v[110:111], vcc_lo, v[104:105], v[106:107], v[104:105]
	s_delay_alu instid0(VALU_DEP_2) | instskip(SKIP_2) | instid1(VALU_DEP_1)
	v_rcp_f64_e32 v[54:55], v[52:53]
	s_waitcnt_depctr 0xfff
	v_fma_f64 v[108:109], -v[52:53], v[54:55], 1.0
	v_fma_f64 v[54:55], v[54:55], v[108:109], v[54:55]
	s_delay_alu instid0(VALU_DEP_1) | instskip(NEXT) | instid1(VALU_DEP_1)
	v_fma_f64 v[108:109], -v[52:53], v[54:55], 1.0
	v_fma_f64 v[54:55], v[54:55], v[108:109], v[54:55]
	s_delay_alu instid0(VALU_DEP_1) | instskip(NEXT) | instid1(VALU_DEP_1)
	v_mul_f64 v[108:109], v[110:111], v[54:55]
	v_fma_f64 v[52:53], -v[52:53], v[108:109], v[110:111]
	s_delay_alu instid0(VALU_DEP_1) | instskip(NEXT) | instid1(VALU_DEP_1)
	v_div_fmas_f64 v[52:53], v[52:53], v[54:55], v[108:109]
	v_div_fixup_f64 v[52:53], v[52:53], v[106:107], v[104:105]
	s_delay_alu instid0(VALU_DEP_1) | instskip(NEXT) | instid1(VALU_DEP_1)
	v_fma_f64 v[54:55], v[104:105], v[52:53], v[106:107]
	v_div_scale_f64 v[104:105], null, v[54:55], v[54:55], 1.0
	s_delay_alu instid0(VALU_DEP_1) | instskip(SKIP_2) | instid1(VALU_DEP_1)
	v_rcp_f64_e32 v[106:107], v[104:105]
	s_waitcnt_depctr 0xfff
	v_fma_f64 v[108:109], -v[104:105], v[106:107], 1.0
	v_fma_f64 v[106:107], v[106:107], v[108:109], v[106:107]
	s_delay_alu instid0(VALU_DEP_1) | instskip(NEXT) | instid1(VALU_DEP_1)
	v_fma_f64 v[108:109], -v[104:105], v[106:107], 1.0
	v_fma_f64 v[106:107], v[106:107], v[108:109], v[106:107]
	v_div_scale_f64 v[108:109], vcc_lo, 1.0, v[54:55], 1.0
	s_delay_alu instid0(VALU_DEP_1) | instskip(NEXT) | instid1(VALU_DEP_1)
	v_mul_f64 v[110:111], v[108:109], v[106:107]
	v_fma_f64 v[104:105], -v[104:105], v[110:111], v[108:109]
	s_delay_alu instid0(VALU_DEP_1) | instskip(NEXT) | instid1(VALU_DEP_1)
	v_div_fmas_f64 v[104:105], v[104:105], v[106:107], v[110:111]
	v_div_fixup_f64 v[106:107], v[104:105], v[54:55], 1.0
	s_delay_alu instid0(VALU_DEP_1)
	v_mul_f64 v[104:105], v[52:53], v[106:107]
	v_xor_b32_e32 v107, 0x80000000, v107
.LBB50_343:
	s_and_not1_saveexec_b32 s2, s2
	s_cbranch_execz .LBB50_345
; %bb.344:
	s_delay_alu instid0(VALU_DEP_1) | instskip(SKIP_1) | instid1(VALU_DEP_2)
	v_div_scale_f64 v[52:53], null, v[104:105], v[104:105], v[106:107]
	v_div_scale_f64 v[110:111], vcc_lo, v[106:107], v[104:105], v[106:107]
	v_rcp_f64_e32 v[54:55], v[52:53]
	s_waitcnt_depctr 0xfff
	v_fma_f64 v[108:109], -v[52:53], v[54:55], 1.0
	s_delay_alu instid0(VALU_DEP_1) | instskip(NEXT) | instid1(VALU_DEP_1)
	v_fma_f64 v[54:55], v[54:55], v[108:109], v[54:55]
	v_fma_f64 v[108:109], -v[52:53], v[54:55], 1.0
	s_delay_alu instid0(VALU_DEP_1) | instskip(NEXT) | instid1(VALU_DEP_1)
	v_fma_f64 v[54:55], v[54:55], v[108:109], v[54:55]
	v_mul_f64 v[108:109], v[110:111], v[54:55]
	s_delay_alu instid0(VALU_DEP_1) | instskip(NEXT) | instid1(VALU_DEP_1)
	v_fma_f64 v[52:53], -v[52:53], v[108:109], v[110:111]
	v_div_fmas_f64 v[52:53], v[52:53], v[54:55], v[108:109]
	s_delay_alu instid0(VALU_DEP_1) | instskip(NEXT) | instid1(VALU_DEP_1)
	v_div_fixup_f64 v[52:53], v[52:53], v[104:105], v[106:107]
	v_fma_f64 v[54:55], v[106:107], v[52:53], v[104:105]
	s_delay_alu instid0(VALU_DEP_1) | instskip(NEXT) | instid1(VALU_DEP_1)
	v_div_scale_f64 v[104:105], null, v[54:55], v[54:55], 1.0
	v_rcp_f64_e32 v[106:107], v[104:105]
	s_waitcnt_depctr 0xfff
	v_fma_f64 v[108:109], -v[104:105], v[106:107], 1.0
	s_delay_alu instid0(VALU_DEP_1) | instskip(NEXT) | instid1(VALU_DEP_1)
	v_fma_f64 v[106:107], v[106:107], v[108:109], v[106:107]
	v_fma_f64 v[108:109], -v[104:105], v[106:107], 1.0
	s_delay_alu instid0(VALU_DEP_1) | instskip(SKIP_1) | instid1(VALU_DEP_1)
	v_fma_f64 v[106:107], v[106:107], v[108:109], v[106:107]
	v_div_scale_f64 v[108:109], vcc_lo, 1.0, v[54:55], 1.0
	v_mul_f64 v[110:111], v[108:109], v[106:107]
	s_delay_alu instid0(VALU_DEP_1) | instskip(NEXT) | instid1(VALU_DEP_1)
	v_fma_f64 v[104:105], -v[104:105], v[110:111], v[108:109]
	v_div_fmas_f64 v[104:105], v[104:105], v[106:107], v[110:111]
	s_delay_alu instid0(VALU_DEP_1) | instskip(NEXT) | instid1(VALU_DEP_1)
	v_div_fixup_f64 v[104:105], v[104:105], v[54:55], 1.0
	v_mul_f64 v[106:107], v[52:53], -v[104:105]
.LBB50_345:
	s_or_b32 exec_lo, exec_lo, s2
.LBB50_346:
	s_delay_alu instid0(SALU_CYCLE_1) | instskip(NEXT) | instid1(SALU_CYCLE_1)
	s_or_b32 exec_lo, exec_lo, s3
	s_mov_b32 s2, exec_lo
	v_cmpx_ne_u32_e64 v120, v112
	s_xor_b32 s2, exec_lo, s2
	s_cbranch_execz .LBB50_352
; %bb.347:
	s_mov_b32 s3, exec_lo
	v_cmpx_eq_u32_e32 16, v120
	s_cbranch_execz .LBB50_351
; %bb.348:
	v_cmp_ne_u32_e32 vcc_lo, 16, v112
	s_xor_b32 s6, s4, -1
	s_delay_alu instid0(SALU_CYCLE_1) | instskip(NEXT) | instid1(SALU_CYCLE_1)
	s_and_b32 s7, s6, vcc_lo
	s_and_saveexec_b32 s6, s7
	s_cbranch_execz .LBB50_350
; %bb.349:
	v_ashrrev_i32_e32 v113, 31, v112
	s_delay_alu instid0(VALU_DEP_1) | instskip(NEXT) | instid1(VALU_DEP_1)
	v_lshlrev_b64 v[52:53], 2, v[112:113]
	v_add_co_u32 v52, vcc_lo, v94, v52
	s_delay_alu instid0(VALU_DEP_2)
	v_add_co_ci_u32_e32 v53, vcc_lo, v95, v53, vcc_lo
	s_clause 0x1
	flat_load_b32 v54, v[52:53]
	flat_load_b32 v55, v[94:95] offset:64
	s_waitcnt vmcnt(1) lgkmcnt(1)
	flat_store_b32 v[94:95], v54 offset:64
	s_waitcnt vmcnt(0) lgkmcnt(1)
	flat_store_b32 v[52:53], v55
.LBB50_350:
	s_or_b32 exec_lo, exec_lo, s6
	v_mov_b32_e32 v120, v112
	v_mov_b32_e32 v93, v112
.LBB50_351:
	s_or_b32 exec_lo, exec_lo, s3
.LBB50_352:
	s_and_not1_saveexec_b32 s2, s2
	s_cbranch_execz .LBB50_354
; %bb.353:
	v_mov_b32_e32 v120, 16
	ds_store_2addr_b64 v114, v[36:37], v[38:39] offset0:34 offset1:35
	ds_store_2addr_b64 v114, v[32:33], v[34:35] offset0:36 offset1:37
	;; [unrolled: 1-line block ×9, first 2 shown]
.LBB50_354:
	s_or_b32 exec_lo, exec_lo, s2
	s_delay_alu instid0(SALU_CYCLE_1)
	s_mov_b32 s2, exec_lo
	s_waitcnt lgkmcnt(0)
	s_waitcnt_vscnt null, 0x0
	s_barrier
	buffer_gl0_inv
	v_cmpx_lt_i32_e32 16, v120
	s_cbranch_execz .LBB50_356
; %bb.355:
	v_mul_f64 v[52:53], v[104:105], v[42:43]
	v_mul_f64 v[42:43], v[106:107], v[42:43]
	ds_load_2addr_b64 v[121:124], v114 offset0:34 offset1:35
	ds_load_2addr_b64 v[125:128], v114 offset0:36 offset1:37
	;; [unrolled: 1-line block ×9, first 2 shown]
	v_fma_f64 v[52:53], v[106:107], v[40:41], v[52:53]
	v_fma_f64 v[40:41], v[104:105], v[40:41], -v[42:43]
	s_waitcnt lgkmcnt(8)
	s_delay_alu instid0(VALU_DEP_2)
	v_mul_f64 v[42:43], v[123:124], v[52:53]
	v_mul_f64 v[54:55], v[121:122], v[52:53]
	s_waitcnt lgkmcnt(7)
	v_mul_f64 v[104:105], v[127:128], v[52:53]
	v_mul_f64 v[106:107], v[125:126], v[52:53]
	s_waitcnt lgkmcnt(6)
	;; [unrolled: 3-line block ×8, first 2 shown]
	v_mul_f64 v[175:176], v[155:156], v[52:53]
	v_mul_f64 v[177:178], v[153:154], v[52:53]
	v_fma_f64 v[42:43], v[121:122], v[40:41], -v[42:43]
	v_fma_f64 v[54:55], v[123:124], v[40:41], v[54:55]
	v_fma_f64 v[104:105], v[125:126], v[40:41], -v[104:105]
	v_fma_f64 v[106:107], v[127:128], v[40:41], v[106:107]
	;; [unrolled: 2-line block ×9, first 2 shown]
	v_add_f64 v[36:37], v[36:37], -v[42:43]
	v_add_f64 v[38:39], v[38:39], -v[54:55]
	;; [unrolled: 1-line block ×18, first 2 shown]
	v_dual_mov_b32 v42, v52 :: v_dual_mov_b32 v43, v53
.LBB50_356:
	s_or_b32 exec_lo, exec_lo, s2
	v_lshl_add_u32 v52, v120, 4, v114
	s_barrier
	buffer_gl0_inv
	v_mov_b32_e32 v112, 17
	ds_store_2addr_b64 v52, v[36:37], v[38:39] offset1:1
	s_waitcnt lgkmcnt(0)
	s_barrier
	buffer_gl0_inv
	ds_load_2addr_b64 v[104:107], v114 offset0:34 offset1:35
	s_cmp_lt_i32 s5, 19
	s_cbranch_scc1 .LBB50_359
; %bb.357:
	v_add3_u32 v113, v92, 0, 0x120
	v_mov_b32_e32 v112, 17
	s_mov_b32 s6, 18
	s_set_inst_prefetch_distance 0x1
	.p2align	6
.LBB50_358:                             ; =>This Inner Loop Header: Depth=1
	ds_load_2addr_b64 v[121:124], v113 offset1:1
	s_waitcnt lgkmcnt(1)
	v_cmp_gt_f64_e32 vcc_lo, 0, v[104:105]
	v_xor_b32_e32 v52, 0x80000000, v105
	v_cmp_gt_f64_e64 s2, 0, v[106:107]
	v_xor_b32_e32 v54, 0x80000000, v107
	v_add_nc_u32_e32 v113, 16, v113
	s_waitcnt lgkmcnt(0)
	v_cmp_gt_f64_e64 s3, 0, v[121:122]
	v_mov_b32_e32 v108, v121
	v_dual_mov_b32 v110, v123 :: v_dual_cndmask_b32 v53, v105, v52
	v_xor_b32_e32 v52, 0x80000000, v122
	v_cndmask_b32_e64 v55, v107, v54, s2
	v_xor_b32_e32 v54, 0x80000000, v124
	s_delay_alu instid0(VALU_DEP_3) | instskip(SKIP_2) | instid1(VALU_DEP_2)
	v_cndmask_b32_e64 v109, v122, v52, s3
	v_cmp_gt_f64_e64 s3, 0, v[123:124]
	v_cndmask_b32_e32 v52, v104, v104, vcc_lo
	v_cndmask_b32_e64 v111, v124, v54, s3
	v_cndmask_b32_e64 v54, v106, v106, s2
	s_delay_alu instid0(VALU_DEP_2) | instskip(NEXT) | instid1(VALU_DEP_2)
	v_add_f64 v[108:109], v[108:109], v[110:111]
	v_add_f64 v[52:53], v[52:53], v[54:55]
	s_delay_alu instid0(VALU_DEP_1) | instskip(SKIP_4) | instid1(SALU_CYCLE_1)
	v_cmp_lt_f64_e32 vcc_lo, v[52:53], v[108:109]
	v_dual_cndmask_b32 v105, v105, v122 :: v_dual_cndmask_b32 v104, v104, v121
	v_dual_cndmask_b32 v107, v107, v124 :: v_dual_cndmask_b32 v106, v106, v123
	v_cndmask_b32_e64 v112, v112, s6, vcc_lo
	s_add_i32 s6, s6, 1
	s_cmp_lg_u32 s5, s6
	s_cbranch_scc1 .LBB50_358
.LBB50_359:
	s_set_inst_prefetch_distance 0x2
	s_waitcnt lgkmcnt(0)
	v_cmp_eq_f64_e32 vcc_lo, 0, v[104:105]
	v_cmp_eq_f64_e64 s2, 0, v[106:107]
	s_delay_alu instid0(VALU_DEP_1) | instskip(NEXT) | instid1(SALU_CYCLE_1)
	s_and_b32 s2, vcc_lo, s2
	s_and_saveexec_b32 s3, s2
	s_delay_alu instid0(SALU_CYCLE_1)
	s_xor_b32 s2, exec_lo, s3
; %bb.360:
	v_cmp_ne_u32_e32 vcc_lo, 0, v119
	v_cndmask_b32_e32 v119, 18, v119, vcc_lo
; %bb.361:
	s_and_not1_saveexec_b32 s3, s2
	s_cbranch_execz .LBB50_367
; %bb.362:
	v_cmp_gt_f64_e32 vcc_lo, 0, v[104:105]
	v_cmp_gt_f64_e64 s2, 0, v[106:107]
	v_xor_b32_e32 v52, 0x80000000, v105
	v_xor_b32_e32 v54, 0x80000000, v107
	s_delay_alu instid0(VALU_DEP_2) | instskip(NEXT) | instid1(VALU_DEP_2)
	v_cndmask_b32_e32 v53, v105, v52, vcc_lo
	v_cndmask_b32_e64 v55, v107, v54, s2
	v_cndmask_b32_e32 v52, v104, v104, vcc_lo
	v_cndmask_b32_e64 v54, v106, v106, s2
	s_mov_b32 s2, exec_lo
	s_delay_alu instid0(VALU_DEP_1)
	v_cmpx_ngt_f64_e32 v[52:53], v[54:55]
	s_xor_b32 s2, exec_lo, s2
	s_cbranch_execz .LBB50_364
; %bb.363:
	v_div_scale_f64 v[52:53], null, v[106:107], v[106:107], v[104:105]
	v_div_scale_f64 v[110:111], vcc_lo, v[104:105], v[106:107], v[104:105]
	s_delay_alu instid0(VALU_DEP_2) | instskip(SKIP_2) | instid1(VALU_DEP_1)
	v_rcp_f64_e32 v[54:55], v[52:53]
	s_waitcnt_depctr 0xfff
	v_fma_f64 v[108:109], -v[52:53], v[54:55], 1.0
	v_fma_f64 v[54:55], v[54:55], v[108:109], v[54:55]
	s_delay_alu instid0(VALU_DEP_1) | instskip(NEXT) | instid1(VALU_DEP_1)
	v_fma_f64 v[108:109], -v[52:53], v[54:55], 1.0
	v_fma_f64 v[54:55], v[54:55], v[108:109], v[54:55]
	s_delay_alu instid0(VALU_DEP_1) | instskip(NEXT) | instid1(VALU_DEP_1)
	v_mul_f64 v[108:109], v[110:111], v[54:55]
	v_fma_f64 v[52:53], -v[52:53], v[108:109], v[110:111]
	s_delay_alu instid0(VALU_DEP_1) | instskip(NEXT) | instid1(VALU_DEP_1)
	v_div_fmas_f64 v[52:53], v[52:53], v[54:55], v[108:109]
	v_div_fixup_f64 v[52:53], v[52:53], v[106:107], v[104:105]
	s_delay_alu instid0(VALU_DEP_1) | instskip(NEXT) | instid1(VALU_DEP_1)
	v_fma_f64 v[54:55], v[104:105], v[52:53], v[106:107]
	v_div_scale_f64 v[104:105], null, v[54:55], v[54:55], 1.0
	s_delay_alu instid0(VALU_DEP_1) | instskip(SKIP_2) | instid1(VALU_DEP_1)
	v_rcp_f64_e32 v[106:107], v[104:105]
	s_waitcnt_depctr 0xfff
	v_fma_f64 v[108:109], -v[104:105], v[106:107], 1.0
	v_fma_f64 v[106:107], v[106:107], v[108:109], v[106:107]
	s_delay_alu instid0(VALU_DEP_1) | instskip(NEXT) | instid1(VALU_DEP_1)
	v_fma_f64 v[108:109], -v[104:105], v[106:107], 1.0
	v_fma_f64 v[106:107], v[106:107], v[108:109], v[106:107]
	v_div_scale_f64 v[108:109], vcc_lo, 1.0, v[54:55], 1.0
	s_delay_alu instid0(VALU_DEP_1) | instskip(NEXT) | instid1(VALU_DEP_1)
	v_mul_f64 v[110:111], v[108:109], v[106:107]
	v_fma_f64 v[104:105], -v[104:105], v[110:111], v[108:109]
	s_delay_alu instid0(VALU_DEP_1) | instskip(NEXT) | instid1(VALU_DEP_1)
	v_div_fmas_f64 v[104:105], v[104:105], v[106:107], v[110:111]
	v_div_fixup_f64 v[106:107], v[104:105], v[54:55], 1.0
	s_delay_alu instid0(VALU_DEP_1)
	v_mul_f64 v[104:105], v[52:53], v[106:107]
	v_xor_b32_e32 v107, 0x80000000, v107
.LBB50_364:
	s_and_not1_saveexec_b32 s2, s2
	s_cbranch_execz .LBB50_366
; %bb.365:
	s_delay_alu instid0(VALU_DEP_1) | instskip(SKIP_1) | instid1(VALU_DEP_2)
	v_div_scale_f64 v[52:53], null, v[104:105], v[104:105], v[106:107]
	v_div_scale_f64 v[110:111], vcc_lo, v[106:107], v[104:105], v[106:107]
	v_rcp_f64_e32 v[54:55], v[52:53]
	s_waitcnt_depctr 0xfff
	v_fma_f64 v[108:109], -v[52:53], v[54:55], 1.0
	s_delay_alu instid0(VALU_DEP_1) | instskip(NEXT) | instid1(VALU_DEP_1)
	v_fma_f64 v[54:55], v[54:55], v[108:109], v[54:55]
	v_fma_f64 v[108:109], -v[52:53], v[54:55], 1.0
	s_delay_alu instid0(VALU_DEP_1) | instskip(NEXT) | instid1(VALU_DEP_1)
	v_fma_f64 v[54:55], v[54:55], v[108:109], v[54:55]
	v_mul_f64 v[108:109], v[110:111], v[54:55]
	s_delay_alu instid0(VALU_DEP_1) | instskip(NEXT) | instid1(VALU_DEP_1)
	v_fma_f64 v[52:53], -v[52:53], v[108:109], v[110:111]
	v_div_fmas_f64 v[52:53], v[52:53], v[54:55], v[108:109]
	s_delay_alu instid0(VALU_DEP_1) | instskip(NEXT) | instid1(VALU_DEP_1)
	v_div_fixup_f64 v[52:53], v[52:53], v[104:105], v[106:107]
	v_fma_f64 v[54:55], v[106:107], v[52:53], v[104:105]
	s_delay_alu instid0(VALU_DEP_1) | instskip(NEXT) | instid1(VALU_DEP_1)
	v_div_scale_f64 v[104:105], null, v[54:55], v[54:55], 1.0
	v_rcp_f64_e32 v[106:107], v[104:105]
	s_waitcnt_depctr 0xfff
	v_fma_f64 v[108:109], -v[104:105], v[106:107], 1.0
	s_delay_alu instid0(VALU_DEP_1) | instskip(NEXT) | instid1(VALU_DEP_1)
	v_fma_f64 v[106:107], v[106:107], v[108:109], v[106:107]
	v_fma_f64 v[108:109], -v[104:105], v[106:107], 1.0
	s_delay_alu instid0(VALU_DEP_1) | instskip(SKIP_1) | instid1(VALU_DEP_1)
	v_fma_f64 v[106:107], v[106:107], v[108:109], v[106:107]
	v_div_scale_f64 v[108:109], vcc_lo, 1.0, v[54:55], 1.0
	v_mul_f64 v[110:111], v[108:109], v[106:107]
	s_delay_alu instid0(VALU_DEP_1) | instskip(NEXT) | instid1(VALU_DEP_1)
	v_fma_f64 v[104:105], -v[104:105], v[110:111], v[108:109]
	v_div_fmas_f64 v[104:105], v[104:105], v[106:107], v[110:111]
	s_delay_alu instid0(VALU_DEP_1) | instskip(NEXT) | instid1(VALU_DEP_1)
	v_div_fixup_f64 v[104:105], v[104:105], v[54:55], 1.0
	v_mul_f64 v[106:107], v[52:53], -v[104:105]
.LBB50_366:
	s_or_b32 exec_lo, exec_lo, s2
.LBB50_367:
	s_delay_alu instid0(SALU_CYCLE_1) | instskip(NEXT) | instid1(SALU_CYCLE_1)
	s_or_b32 exec_lo, exec_lo, s3
	s_mov_b32 s2, exec_lo
	v_cmpx_ne_u32_e64 v120, v112
	s_xor_b32 s2, exec_lo, s2
	s_cbranch_execz .LBB50_373
; %bb.368:
	s_mov_b32 s3, exec_lo
	v_cmpx_eq_u32_e32 17, v120
	s_cbranch_execz .LBB50_372
; %bb.369:
	v_cmp_ne_u32_e32 vcc_lo, 17, v112
	s_xor_b32 s6, s4, -1
	s_delay_alu instid0(SALU_CYCLE_1) | instskip(NEXT) | instid1(SALU_CYCLE_1)
	s_and_b32 s7, s6, vcc_lo
	s_and_saveexec_b32 s6, s7
	s_cbranch_execz .LBB50_371
; %bb.370:
	v_ashrrev_i32_e32 v113, 31, v112
	s_delay_alu instid0(VALU_DEP_1) | instskip(NEXT) | instid1(VALU_DEP_1)
	v_lshlrev_b64 v[52:53], 2, v[112:113]
	v_add_co_u32 v52, vcc_lo, v94, v52
	s_delay_alu instid0(VALU_DEP_2)
	v_add_co_ci_u32_e32 v53, vcc_lo, v95, v53, vcc_lo
	s_clause 0x1
	flat_load_b32 v54, v[52:53]
	flat_load_b32 v55, v[94:95] offset:68
	s_waitcnt vmcnt(1) lgkmcnt(1)
	flat_store_b32 v[94:95], v54 offset:68
	s_waitcnt vmcnt(0) lgkmcnt(1)
	flat_store_b32 v[52:53], v55
.LBB50_371:
	s_or_b32 exec_lo, exec_lo, s6
	v_mov_b32_e32 v120, v112
	v_mov_b32_e32 v93, v112
.LBB50_372:
	s_or_b32 exec_lo, exec_lo, s3
.LBB50_373:
	s_and_not1_saveexec_b32 s2, s2
	s_cbranch_execz .LBB50_375
; %bb.374:
	v_mov_b32_e32 v120, 17
	ds_store_2addr_b64 v114, v[32:33], v[34:35] offset0:36 offset1:37
	ds_store_2addr_b64 v114, v[24:25], v[26:27] offset0:38 offset1:39
	;; [unrolled: 1-line block ×8, first 2 shown]
.LBB50_375:
	s_or_b32 exec_lo, exec_lo, s2
	s_delay_alu instid0(SALU_CYCLE_1)
	s_mov_b32 s2, exec_lo
	s_waitcnt lgkmcnt(0)
	s_waitcnt_vscnt null, 0x0
	s_barrier
	buffer_gl0_inv
	v_cmpx_lt_i32_e32 17, v120
	s_cbranch_execz .LBB50_377
; %bb.376:
	v_mul_f64 v[52:53], v[104:105], v[38:39]
	v_mul_f64 v[38:39], v[106:107], v[38:39]
	ds_load_2addr_b64 v[121:124], v114 offset0:36 offset1:37
	ds_load_2addr_b64 v[125:128], v114 offset0:38 offset1:39
	;; [unrolled: 1-line block ×8, first 2 shown]
	v_fma_f64 v[52:53], v[106:107], v[36:37], v[52:53]
	v_fma_f64 v[36:37], v[104:105], v[36:37], -v[38:39]
	s_waitcnt lgkmcnt(7)
	s_delay_alu instid0(VALU_DEP_2)
	v_mul_f64 v[38:39], v[123:124], v[52:53]
	v_mul_f64 v[54:55], v[121:122], v[52:53]
	s_waitcnt lgkmcnt(6)
	v_mul_f64 v[104:105], v[127:128], v[52:53]
	v_mul_f64 v[106:107], v[125:126], v[52:53]
	s_waitcnt lgkmcnt(5)
	;; [unrolled: 3-line block ×7, first 2 shown]
	v_mul_f64 v[167:168], v[151:152], v[52:53]
	v_mul_f64 v[169:170], v[149:150], v[52:53]
	v_fma_f64 v[38:39], v[121:122], v[36:37], -v[38:39]
	v_fma_f64 v[54:55], v[123:124], v[36:37], v[54:55]
	v_fma_f64 v[104:105], v[125:126], v[36:37], -v[104:105]
	v_fma_f64 v[106:107], v[127:128], v[36:37], v[106:107]
	;; [unrolled: 2-line block ×8, first 2 shown]
	v_add_f64 v[32:33], v[32:33], -v[38:39]
	v_add_f64 v[34:35], v[34:35], -v[54:55]
	;; [unrolled: 1-line block ×16, first 2 shown]
	v_dual_mov_b32 v38, v52 :: v_dual_mov_b32 v39, v53
.LBB50_377:
	s_or_b32 exec_lo, exec_lo, s2
	v_lshl_add_u32 v52, v120, 4, v114
	s_barrier
	buffer_gl0_inv
	v_mov_b32_e32 v112, 18
	ds_store_2addr_b64 v52, v[32:33], v[34:35] offset1:1
	s_waitcnt lgkmcnt(0)
	s_barrier
	buffer_gl0_inv
	ds_load_2addr_b64 v[104:107], v114 offset0:36 offset1:37
	s_cmp_lt_i32 s5, 20
	s_cbranch_scc1 .LBB50_380
; %bb.378:
	v_add3_u32 v113, v92, 0, 0x130
	v_mov_b32_e32 v112, 18
	s_mov_b32 s6, 19
	s_set_inst_prefetch_distance 0x1
	.p2align	6
.LBB50_379:                             ; =>This Inner Loop Header: Depth=1
	ds_load_2addr_b64 v[121:124], v113 offset1:1
	s_waitcnt lgkmcnt(1)
	v_cmp_gt_f64_e32 vcc_lo, 0, v[104:105]
	v_xor_b32_e32 v52, 0x80000000, v105
	v_cmp_gt_f64_e64 s2, 0, v[106:107]
	v_xor_b32_e32 v54, 0x80000000, v107
	v_add_nc_u32_e32 v113, 16, v113
	s_waitcnt lgkmcnt(0)
	v_cmp_gt_f64_e64 s3, 0, v[121:122]
	v_mov_b32_e32 v108, v121
	v_dual_mov_b32 v110, v123 :: v_dual_cndmask_b32 v53, v105, v52
	v_xor_b32_e32 v52, 0x80000000, v122
	v_cndmask_b32_e64 v55, v107, v54, s2
	v_xor_b32_e32 v54, 0x80000000, v124
	s_delay_alu instid0(VALU_DEP_3) | instskip(SKIP_2) | instid1(VALU_DEP_2)
	v_cndmask_b32_e64 v109, v122, v52, s3
	v_cmp_gt_f64_e64 s3, 0, v[123:124]
	v_cndmask_b32_e32 v52, v104, v104, vcc_lo
	v_cndmask_b32_e64 v111, v124, v54, s3
	v_cndmask_b32_e64 v54, v106, v106, s2
	s_delay_alu instid0(VALU_DEP_2) | instskip(NEXT) | instid1(VALU_DEP_2)
	v_add_f64 v[108:109], v[108:109], v[110:111]
	v_add_f64 v[52:53], v[52:53], v[54:55]
	s_delay_alu instid0(VALU_DEP_1) | instskip(SKIP_4) | instid1(SALU_CYCLE_1)
	v_cmp_lt_f64_e32 vcc_lo, v[52:53], v[108:109]
	v_dual_cndmask_b32 v105, v105, v122 :: v_dual_cndmask_b32 v104, v104, v121
	v_dual_cndmask_b32 v107, v107, v124 :: v_dual_cndmask_b32 v106, v106, v123
	v_cndmask_b32_e64 v112, v112, s6, vcc_lo
	s_add_i32 s6, s6, 1
	s_cmp_lg_u32 s5, s6
	s_cbranch_scc1 .LBB50_379
.LBB50_380:
	s_set_inst_prefetch_distance 0x2
	s_waitcnt lgkmcnt(0)
	v_cmp_eq_f64_e32 vcc_lo, 0, v[104:105]
	v_cmp_eq_f64_e64 s2, 0, v[106:107]
	s_delay_alu instid0(VALU_DEP_1) | instskip(NEXT) | instid1(SALU_CYCLE_1)
	s_and_b32 s2, vcc_lo, s2
	s_and_saveexec_b32 s3, s2
	s_delay_alu instid0(SALU_CYCLE_1)
	s_xor_b32 s2, exec_lo, s3
; %bb.381:
	v_cmp_ne_u32_e32 vcc_lo, 0, v119
	v_cndmask_b32_e32 v119, 19, v119, vcc_lo
; %bb.382:
	s_and_not1_saveexec_b32 s3, s2
	s_cbranch_execz .LBB50_388
; %bb.383:
	v_cmp_gt_f64_e32 vcc_lo, 0, v[104:105]
	v_cmp_gt_f64_e64 s2, 0, v[106:107]
	v_xor_b32_e32 v52, 0x80000000, v105
	v_xor_b32_e32 v54, 0x80000000, v107
	s_delay_alu instid0(VALU_DEP_2) | instskip(NEXT) | instid1(VALU_DEP_2)
	v_cndmask_b32_e32 v53, v105, v52, vcc_lo
	v_cndmask_b32_e64 v55, v107, v54, s2
	v_cndmask_b32_e32 v52, v104, v104, vcc_lo
	v_cndmask_b32_e64 v54, v106, v106, s2
	s_mov_b32 s2, exec_lo
	s_delay_alu instid0(VALU_DEP_1)
	v_cmpx_ngt_f64_e32 v[52:53], v[54:55]
	s_xor_b32 s2, exec_lo, s2
	s_cbranch_execz .LBB50_385
; %bb.384:
	v_div_scale_f64 v[52:53], null, v[106:107], v[106:107], v[104:105]
	v_div_scale_f64 v[110:111], vcc_lo, v[104:105], v[106:107], v[104:105]
	s_delay_alu instid0(VALU_DEP_2) | instskip(SKIP_2) | instid1(VALU_DEP_1)
	v_rcp_f64_e32 v[54:55], v[52:53]
	s_waitcnt_depctr 0xfff
	v_fma_f64 v[108:109], -v[52:53], v[54:55], 1.0
	v_fma_f64 v[54:55], v[54:55], v[108:109], v[54:55]
	s_delay_alu instid0(VALU_DEP_1) | instskip(NEXT) | instid1(VALU_DEP_1)
	v_fma_f64 v[108:109], -v[52:53], v[54:55], 1.0
	v_fma_f64 v[54:55], v[54:55], v[108:109], v[54:55]
	s_delay_alu instid0(VALU_DEP_1) | instskip(NEXT) | instid1(VALU_DEP_1)
	v_mul_f64 v[108:109], v[110:111], v[54:55]
	v_fma_f64 v[52:53], -v[52:53], v[108:109], v[110:111]
	s_delay_alu instid0(VALU_DEP_1) | instskip(NEXT) | instid1(VALU_DEP_1)
	v_div_fmas_f64 v[52:53], v[52:53], v[54:55], v[108:109]
	v_div_fixup_f64 v[52:53], v[52:53], v[106:107], v[104:105]
	s_delay_alu instid0(VALU_DEP_1) | instskip(NEXT) | instid1(VALU_DEP_1)
	v_fma_f64 v[54:55], v[104:105], v[52:53], v[106:107]
	v_div_scale_f64 v[104:105], null, v[54:55], v[54:55], 1.0
	s_delay_alu instid0(VALU_DEP_1) | instskip(SKIP_2) | instid1(VALU_DEP_1)
	v_rcp_f64_e32 v[106:107], v[104:105]
	s_waitcnt_depctr 0xfff
	v_fma_f64 v[108:109], -v[104:105], v[106:107], 1.0
	v_fma_f64 v[106:107], v[106:107], v[108:109], v[106:107]
	s_delay_alu instid0(VALU_DEP_1) | instskip(NEXT) | instid1(VALU_DEP_1)
	v_fma_f64 v[108:109], -v[104:105], v[106:107], 1.0
	v_fma_f64 v[106:107], v[106:107], v[108:109], v[106:107]
	v_div_scale_f64 v[108:109], vcc_lo, 1.0, v[54:55], 1.0
	s_delay_alu instid0(VALU_DEP_1) | instskip(NEXT) | instid1(VALU_DEP_1)
	v_mul_f64 v[110:111], v[108:109], v[106:107]
	v_fma_f64 v[104:105], -v[104:105], v[110:111], v[108:109]
	s_delay_alu instid0(VALU_DEP_1) | instskip(NEXT) | instid1(VALU_DEP_1)
	v_div_fmas_f64 v[104:105], v[104:105], v[106:107], v[110:111]
	v_div_fixup_f64 v[106:107], v[104:105], v[54:55], 1.0
	s_delay_alu instid0(VALU_DEP_1)
	v_mul_f64 v[104:105], v[52:53], v[106:107]
	v_xor_b32_e32 v107, 0x80000000, v107
.LBB50_385:
	s_and_not1_saveexec_b32 s2, s2
	s_cbranch_execz .LBB50_387
; %bb.386:
	s_delay_alu instid0(VALU_DEP_1) | instskip(SKIP_1) | instid1(VALU_DEP_2)
	v_div_scale_f64 v[52:53], null, v[104:105], v[104:105], v[106:107]
	v_div_scale_f64 v[110:111], vcc_lo, v[106:107], v[104:105], v[106:107]
	v_rcp_f64_e32 v[54:55], v[52:53]
	s_waitcnt_depctr 0xfff
	v_fma_f64 v[108:109], -v[52:53], v[54:55], 1.0
	s_delay_alu instid0(VALU_DEP_1) | instskip(NEXT) | instid1(VALU_DEP_1)
	v_fma_f64 v[54:55], v[54:55], v[108:109], v[54:55]
	v_fma_f64 v[108:109], -v[52:53], v[54:55], 1.0
	s_delay_alu instid0(VALU_DEP_1) | instskip(NEXT) | instid1(VALU_DEP_1)
	v_fma_f64 v[54:55], v[54:55], v[108:109], v[54:55]
	v_mul_f64 v[108:109], v[110:111], v[54:55]
	s_delay_alu instid0(VALU_DEP_1) | instskip(NEXT) | instid1(VALU_DEP_1)
	v_fma_f64 v[52:53], -v[52:53], v[108:109], v[110:111]
	v_div_fmas_f64 v[52:53], v[52:53], v[54:55], v[108:109]
	s_delay_alu instid0(VALU_DEP_1) | instskip(NEXT) | instid1(VALU_DEP_1)
	v_div_fixup_f64 v[52:53], v[52:53], v[104:105], v[106:107]
	v_fma_f64 v[54:55], v[106:107], v[52:53], v[104:105]
	s_delay_alu instid0(VALU_DEP_1) | instskip(NEXT) | instid1(VALU_DEP_1)
	v_div_scale_f64 v[104:105], null, v[54:55], v[54:55], 1.0
	v_rcp_f64_e32 v[106:107], v[104:105]
	s_waitcnt_depctr 0xfff
	v_fma_f64 v[108:109], -v[104:105], v[106:107], 1.0
	s_delay_alu instid0(VALU_DEP_1) | instskip(NEXT) | instid1(VALU_DEP_1)
	v_fma_f64 v[106:107], v[106:107], v[108:109], v[106:107]
	v_fma_f64 v[108:109], -v[104:105], v[106:107], 1.0
	s_delay_alu instid0(VALU_DEP_1) | instskip(SKIP_1) | instid1(VALU_DEP_1)
	v_fma_f64 v[106:107], v[106:107], v[108:109], v[106:107]
	v_div_scale_f64 v[108:109], vcc_lo, 1.0, v[54:55], 1.0
	v_mul_f64 v[110:111], v[108:109], v[106:107]
	s_delay_alu instid0(VALU_DEP_1) | instskip(NEXT) | instid1(VALU_DEP_1)
	v_fma_f64 v[104:105], -v[104:105], v[110:111], v[108:109]
	v_div_fmas_f64 v[104:105], v[104:105], v[106:107], v[110:111]
	s_delay_alu instid0(VALU_DEP_1) | instskip(NEXT) | instid1(VALU_DEP_1)
	v_div_fixup_f64 v[104:105], v[104:105], v[54:55], 1.0
	v_mul_f64 v[106:107], v[52:53], -v[104:105]
.LBB50_387:
	s_or_b32 exec_lo, exec_lo, s2
.LBB50_388:
	s_delay_alu instid0(SALU_CYCLE_1) | instskip(NEXT) | instid1(SALU_CYCLE_1)
	s_or_b32 exec_lo, exec_lo, s3
	s_mov_b32 s2, exec_lo
	v_cmpx_ne_u32_e64 v120, v112
	s_xor_b32 s2, exec_lo, s2
	s_cbranch_execz .LBB50_394
; %bb.389:
	s_mov_b32 s3, exec_lo
	v_cmpx_eq_u32_e32 18, v120
	s_cbranch_execz .LBB50_393
; %bb.390:
	v_cmp_ne_u32_e32 vcc_lo, 18, v112
	s_xor_b32 s6, s4, -1
	s_delay_alu instid0(SALU_CYCLE_1) | instskip(NEXT) | instid1(SALU_CYCLE_1)
	s_and_b32 s7, s6, vcc_lo
	s_and_saveexec_b32 s6, s7
	s_cbranch_execz .LBB50_392
; %bb.391:
	v_ashrrev_i32_e32 v113, 31, v112
	s_delay_alu instid0(VALU_DEP_1) | instskip(NEXT) | instid1(VALU_DEP_1)
	v_lshlrev_b64 v[52:53], 2, v[112:113]
	v_add_co_u32 v52, vcc_lo, v94, v52
	s_delay_alu instid0(VALU_DEP_2)
	v_add_co_ci_u32_e32 v53, vcc_lo, v95, v53, vcc_lo
	s_clause 0x1
	flat_load_b32 v54, v[52:53]
	flat_load_b32 v55, v[94:95] offset:72
	s_waitcnt vmcnt(1) lgkmcnt(1)
	flat_store_b32 v[94:95], v54 offset:72
	s_waitcnt vmcnt(0) lgkmcnt(1)
	flat_store_b32 v[52:53], v55
.LBB50_392:
	s_or_b32 exec_lo, exec_lo, s6
	v_mov_b32_e32 v120, v112
	v_mov_b32_e32 v93, v112
.LBB50_393:
	s_or_b32 exec_lo, exec_lo, s3
.LBB50_394:
	s_and_not1_saveexec_b32 s2, s2
	s_cbranch_execz .LBB50_396
; %bb.395:
	v_mov_b32_e32 v120, 18
	ds_store_2addr_b64 v114, v[24:25], v[26:27] offset0:38 offset1:39
	ds_store_2addr_b64 v114, v[20:21], v[22:23] offset0:40 offset1:41
	;; [unrolled: 1-line block ×7, first 2 shown]
.LBB50_396:
	s_or_b32 exec_lo, exec_lo, s2
	s_delay_alu instid0(SALU_CYCLE_1)
	s_mov_b32 s2, exec_lo
	s_waitcnt lgkmcnt(0)
	s_waitcnt_vscnt null, 0x0
	s_barrier
	buffer_gl0_inv
	v_cmpx_lt_i32_e32 18, v120
	s_cbranch_execz .LBB50_398
; %bb.397:
	v_mul_f64 v[52:53], v[104:105], v[34:35]
	v_mul_f64 v[34:35], v[106:107], v[34:35]
	ds_load_2addr_b64 v[121:124], v114 offset0:38 offset1:39
	ds_load_2addr_b64 v[125:128], v114 offset0:40 offset1:41
	;; [unrolled: 1-line block ×7, first 2 shown]
	v_fma_f64 v[52:53], v[106:107], v[32:33], v[52:53]
	v_fma_f64 v[32:33], v[104:105], v[32:33], -v[34:35]
	s_waitcnt lgkmcnt(6)
	s_delay_alu instid0(VALU_DEP_2)
	v_mul_f64 v[34:35], v[123:124], v[52:53]
	v_mul_f64 v[54:55], v[121:122], v[52:53]
	s_waitcnt lgkmcnt(5)
	v_mul_f64 v[104:105], v[127:128], v[52:53]
	v_mul_f64 v[106:107], v[125:126], v[52:53]
	s_waitcnt lgkmcnt(4)
	v_mul_f64 v[108:109], v[131:132], v[52:53]
	v_mul_f64 v[110:111], v[129:130], v[52:53]
	s_waitcnt lgkmcnt(3)
	v_mul_f64 v[112:113], v[135:136], v[52:53]
	v_mul_f64 v[149:150], v[133:134], v[52:53]
	s_waitcnt lgkmcnt(2)
	v_mul_f64 v[151:152], v[139:140], v[52:53]
	v_mul_f64 v[153:154], v[137:138], v[52:53]
	s_waitcnt lgkmcnt(1)
	v_mul_f64 v[155:156], v[143:144], v[52:53]
	v_mul_f64 v[157:158], v[141:142], v[52:53]
	s_waitcnt lgkmcnt(0)
	v_mul_f64 v[159:160], v[147:148], v[52:53]
	v_mul_f64 v[161:162], v[145:146], v[52:53]
	v_fma_f64 v[34:35], v[121:122], v[32:33], -v[34:35]
	v_fma_f64 v[54:55], v[123:124], v[32:33], v[54:55]
	v_fma_f64 v[104:105], v[125:126], v[32:33], -v[104:105]
	v_fma_f64 v[106:107], v[127:128], v[32:33], v[106:107]
	;; [unrolled: 2-line block ×7, first 2 shown]
	v_add_f64 v[24:25], v[24:25], -v[34:35]
	v_add_f64 v[26:27], v[26:27], -v[54:55]
	;; [unrolled: 1-line block ×14, first 2 shown]
	v_dual_mov_b32 v34, v52 :: v_dual_mov_b32 v35, v53
.LBB50_398:
	s_or_b32 exec_lo, exec_lo, s2
	v_lshl_add_u32 v52, v120, 4, v114
	s_barrier
	buffer_gl0_inv
	v_mov_b32_e32 v112, 19
	ds_store_2addr_b64 v52, v[24:25], v[26:27] offset1:1
	s_waitcnt lgkmcnt(0)
	s_barrier
	buffer_gl0_inv
	ds_load_2addr_b64 v[104:107], v114 offset0:38 offset1:39
	s_cmp_lt_i32 s5, 21
	s_cbranch_scc1 .LBB50_401
; %bb.399:
	v_add3_u32 v113, v92, 0, 0x140
	v_mov_b32_e32 v112, 19
	s_mov_b32 s6, 20
	s_set_inst_prefetch_distance 0x1
	.p2align	6
.LBB50_400:                             ; =>This Inner Loop Header: Depth=1
	ds_load_2addr_b64 v[121:124], v113 offset1:1
	s_waitcnt lgkmcnt(1)
	v_cmp_gt_f64_e32 vcc_lo, 0, v[104:105]
	v_xor_b32_e32 v52, 0x80000000, v105
	v_cmp_gt_f64_e64 s2, 0, v[106:107]
	v_xor_b32_e32 v54, 0x80000000, v107
	v_add_nc_u32_e32 v113, 16, v113
	s_waitcnt lgkmcnt(0)
	v_cmp_gt_f64_e64 s3, 0, v[121:122]
	v_mov_b32_e32 v108, v121
	v_dual_mov_b32 v110, v123 :: v_dual_cndmask_b32 v53, v105, v52
	v_xor_b32_e32 v52, 0x80000000, v122
	v_cndmask_b32_e64 v55, v107, v54, s2
	v_xor_b32_e32 v54, 0x80000000, v124
	s_delay_alu instid0(VALU_DEP_3) | instskip(SKIP_2) | instid1(VALU_DEP_2)
	v_cndmask_b32_e64 v109, v122, v52, s3
	v_cmp_gt_f64_e64 s3, 0, v[123:124]
	v_cndmask_b32_e32 v52, v104, v104, vcc_lo
	v_cndmask_b32_e64 v111, v124, v54, s3
	v_cndmask_b32_e64 v54, v106, v106, s2
	s_delay_alu instid0(VALU_DEP_2) | instskip(NEXT) | instid1(VALU_DEP_2)
	v_add_f64 v[108:109], v[108:109], v[110:111]
	v_add_f64 v[52:53], v[52:53], v[54:55]
	s_delay_alu instid0(VALU_DEP_1) | instskip(SKIP_4) | instid1(SALU_CYCLE_1)
	v_cmp_lt_f64_e32 vcc_lo, v[52:53], v[108:109]
	v_dual_cndmask_b32 v105, v105, v122 :: v_dual_cndmask_b32 v104, v104, v121
	v_dual_cndmask_b32 v107, v107, v124 :: v_dual_cndmask_b32 v106, v106, v123
	v_cndmask_b32_e64 v112, v112, s6, vcc_lo
	s_add_i32 s6, s6, 1
	s_cmp_lg_u32 s5, s6
	s_cbranch_scc1 .LBB50_400
.LBB50_401:
	s_set_inst_prefetch_distance 0x2
	s_waitcnt lgkmcnt(0)
	v_cmp_eq_f64_e32 vcc_lo, 0, v[104:105]
	v_cmp_eq_f64_e64 s2, 0, v[106:107]
	s_delay_alu instid0(VALU_DEP_1) | instskip(NEXT) | instid1(SALU_CYCLE_1)
	s_and_b32 s2, vcc_lo, s2
	s_and_saveexec_b32 s3, s2
	s_delay_alu instid0(SALU_CYCLE_1)
	s_xor_b32 s2, exec_lo, s3
; %bb.402:
	v_cmp_ne_u32_e32 vcc_lo, 0, v119
	v_cndmask_b32_e32 v119, 20, v119, vcc_lo
; %bb.403:
	s_and_not1_saveexec_b32 s3, s2
	s_cbranch_execz .LBB50_409
; %bb.404:
	v_cmp_gt_f64_e32 vcc_lo, 0, v[104:105]
	v_cmp_gt_f64_e64 s2, 0, v[106:107]
	v_xor_b32_e32 v52, 0x80000000, v105
	v_xor_b32_e32 v54, 0x80000000, v107
	s_delay_alu instid0(VALU_DEP_2) | instskip(NEXT) | instid1(VALU_DEP_2)
	v_cndmask_b32_e32 v53, v105, v52, vcc_lo
	v_cndmask_b32_e64 v55, v107, v54, s2
	v_cndmask_b32_e32 v52, v104, v104, vcc_lo
	v_cndmask_b32_e64 v54, v106, v106, s2
	s_mov_b32 s2, exec_lo
	s_delay_alu instid0(VALU_DEP_1)
	v_cmpx_ngt_f64_e32 v[52:53], v[54:55]
	s_xor_b32 s2, exec_lo, s2
	s_cbranch_execz .LBB50_406
; %bb.405:
	v_div_scale_f64 v[52:53], null, v[106:107], v[106:107], v[104:105]
	v_div_scale_f64 v[110:111], vcc_lo, v[104:105], v[106:107], v[104:105]
	s_delay_alu instid0(VALU_DEP_2) | instskip(SKIP_2) | instid1(VALU_DEP_1)
	v_rcp_f64_e32 v[54:55], v[52:53]
	s_waitcnt_depctr 0xfff
	v_fma_f64 v[108:109], -v[52:53], v[54:55], 1.0
	v_fma_f64 v[54:55], v[54:55], v[108:109], v[54:55]
	s_delay_alu instid0(VALU_DEP_1) | instskip(NEXT) | instid1(VALU_DEP_1)
	v_fma_f64 v[108:109], -v[52:53], v[54:55], 1.0
	v_fma_f64 v[54:55], v[54:55], v[108:109], v[54:55]
	s_delay_alu instid0(VALU_DEP_1) | instskip(NEXT) | instid1(VALU_DEP_1)
	v_mul_f64 v[108:109], v[110:111], v[54:55]
	v_fma_f64 v[52:53], -v[52:53], v[108:109], v[110:111]
	s_delay_alu instid0(VALU_DEP_1) | instskip(NEXT) | instid1(VALU_DEP_1)
	v_div_fmas_f64 v[52:53], v[52:53], v[54:55], v[108:109]
	v_div_fixup_f64 v[52:53], v[52:53], v[106:107], v[104:105]
	s_delay_alu instid0(VALU_DEP_1) | instskip(NEXT) | instid1(VALU_DEP_1)
	v_fma_f64 v[54:55], v[104:105], v[52:53], v[106:107]
	v_div_scale_f64 v[104:105], null, v[54:55], v[54:55], 1.0
	s_delay_alu instid0(VALU_DEP_1) | instskip(SKIP_2) | instid1(VALU_DEP_1)
	v_rcp_f64_e32 v[106:107], v[104:105]
	s_waitcnt_depctr 0xfff
	v_fma_f64 v[108:109], -v[104:105], v[106:107], 1.0
	v_fma_f64 v[106:107], v[106:107], v[108:109], v[106:107]
	s_delay_alu instid0(VALU_DEP_1) | instskip(NEXT) | instid1(VALU_DEP_1)
	v_fma_f64 v[108:109], -v[104:105], v[106:107], 1.0
	v_fma_f64 v[106:107], v[106:107], v[108:109], v[106:107]
	v_div_scale_f64 v[108:109], vcc_lo, 1.0, v[54:55], 1.0
	s_delay_alu instid0(VALU_DEP_1) | instskip(NEXT) | instid1(VALU_DEP_1)
	v_mul_f64 v[110:111], v[108:109], v[106:107]
	v_fma_f64 v[104:105], -v[104:105], v[110:111], v[108:109]
	s_delay_alu instid0(VALU_DEP_1) | instskip(NEXT) | instid1(VALU_DEP_1)
	v_div_fmas_f64 v[104:105], v[104:105], v[106:107], v[110:111]
	v_div_fixup_f64 v[106:107], v[104:105], v[54:55], 1.0
	s_delay_alu instid0(VALU_DEP_1)
	v_mul_f64 v[104:105], v[52:53], v[106:107]
	v_xor_b32_e32 v107, 0x80000000, v107
.LBB50_406:
	s_and_not1_saveexec_b32 s2, s2
	s_cbranch_execz .LBB50_408
; %bb.407:
	s_delay_alu instid0(VALU_DEP_1) | instskip(SKIP_1) | instid1(VALU_DEP_2)
	v_div_scale_f64 v[52:53], null, v[104:105], v[104:105], v[106:107]
	v_div_scale_f64 v[110:111], vcc_lo, v[106:107], v[104:105], v[106:107]
	v_rcp_f64_e32 v[54:55], v[52:53]
	s_waitcnt_depctr 0xfff
	v_fma_f64 v[108:109], -v[52:53], v[54:55], 1.0
	s_delay_alu instid0(VALU_DEP_1) | instskip(NEXT) | instid1(VALU_DEP_1)
	v_fma_f64 v[54:55], v[54:55], v[108:109], v[54:55]
	v_fma_f64 v[108:109], -v[52:53], v[54:55], 1.0
	s_delay_alu instid0(VALU_DEP_1) | instskip(NEXT) | instid1(VALU_DEP_1)
	v_fma_f64 v[54:55], v[54:55], v[108:109], v[54:55]
	v_mul_f64 v[108:109], v[110:111], v[54:55]
	s_delay_alu instid0(VALU_DEP_1) | instskip(NEXT) | instid1(VALU_DEP_1)
	v_fma_f64 v[52:53], -v[52:53], v[108:109], v[110:111]
	v_div_fmas_f64 v[52:53], v[52:53], v[54:55], v[108:109]
	s_delay_alu instid0(VALU_DEP_1) | instskip(NEXT) | instid1(VALU_DEP_1)
	v_div_fixup_f64 v[52:53], v[52:53], v[104:105], v[106:107]
	v_fma_f64 v[54:55], v[106:107], v[52:53], v[104:105]
	s_delay_alu instid0(VALU_DEP_1) | instskip(NEXT) | instid1(VALU_DEP_1)
	v_div_scale_f64 v[104:105], null, v[54:55], v[54:55], 1.0
	v_rcp_f64_e32 v[106:107], v[104:105]
	s_waitcnt_depctr 0xfff
	v_fma_f64 v[108:109], -v[104:105], v[106:107], 1.0
	s_delay_alu instid0(VALU_DEP_1) | instskip(NEXT) | instid1(VALU_DEP_1)
	v_fma_f64 v[106:107], v[106:107], v[108:109], v[106:107]
	v_fma_f64 v[108:109], -v[104:105], v[106:107], 1.0
	s_delay_alu instid0(VALU_DEP_1) | instskip(SKIP_1) | instid1(VALU_DEP_1)
	v_fma_f64 v[106:107], v[106:107], v[108:109], v[106:107]
	v_div_scale_f64 v[108:109], vcc_lo, 1.0, v[54:55], 1.0
	v_mul_f64 v[110:111], v[108:109], v[106:107]
	s_delay_alu instid0(VALU_DEP_1) | instskip(NEXT) | instid1(VALU_DEP_1)
	v_fma_f64 v[104:105], -v[104:105], v[110:111], v[108:109]
	v_div_fmas_f64 v[104:105], v[104:105], v[106:107], v[110:111]
	s_delay_alu instid0(VALU_DEP_1) | instskip(NEXT) | instid1(VALU_DEP_1)
	v_div_fixup_f64 v[104:105], v[104:105], v[54:55], 1.0
	v_mul_f64 v[106:107], v[52:53], -v[104:105]
.LBB50_408:
	s_or_b32 exec_lo, exec_lo, s2
.LBB50_409:
	s_delay_alu instid0(SALU_CYCLE_1) | instskip(NEXT) | instid1(SALU_CYCLE_1)
	s_or_b32 exec_lo, exec_lo, s3
	s_mov_b32 s2, exec_lo
	v_cmpx_ne_u32_e64 v120, v112
	s_xor_b32 s2, exec_lo, s2
	s_cbranch_execz .LBB50_415
; %bb.410:
	s_mov_b32 s3, exec_lo
	v_cmpx_eq_u32_e32 19, v120
	s_cbranch_execz .LBB50_414
; %bb.411:
	v_cmp_ne_u32_e32 vcc_lo, 19, v112
	s_xor_b32 s6, s4, -1
	s_delay_alu instid0(SALU_CYCLE_1) | instskip(NEXT) | instid1(SALU_CYCLE_1)
	s_and_b32 s7, s6, vcc_lo
	s_and_saveexec_b32 s6, s7
	s_cbranch_execz .LBB50_413
; %bb.412:
	v_ashrrev_i32_e32 v113, 31, v112
	s_delay_alu instid0(VALU_DEP_1) | instskip(NEXT) | instid1(VALU_DEP_1)
	v_lshlrev_b64 v[52:53], 2, v[112:113]
	v_add_co_u32 v52, vcc_lo, v94, v52
	s_delay_alu instid0(VALU_DEP_2)
	v_add_co_ci_u32_e32 v53, vcc_lo, v95, v53, vcc_lo
	s_clause 0x1
	flat_load_b32 v54, v[52:53]
	flat_load_b32 v55, v[94:95] offset:76
	s_waitcnt vmcnt(1) lgkmcnt(1)
	flat_store_b32 v[94:95], v54 offset:76
	s_waitcnt vmcnt(0) lgkmcnt(1)
	flat_store_b32 v[52:53], v55
.LBB50_413:
	s_or_b32 exec_lo, exec_lo, s6
	v_mov_b32_e32 v120, v112
	v_mov_b32_e32 v93, v112
.LBB50_414:
	s_or_b32 exec_lo, exec_lo, s3
.LBB50_415:
	s_and_not1_saveexec_b32 s2, s2
	s_cbranch_execz .LBB50_417
; %bb.416:
	v_mov_b32_e32 v120, 19
	ds_store_2addr_b64 v114, v[20:21], v[22:23] offset0:40 offset1:41
	ds_store_2addr_b64 v114, v[16:17], v[18:19] offset0:42 offset1:43
	;; [unrolled: 1-line block ×6, first 2 shown]
.LBB50_417:
	s_or_b32 exec_lo, exec_lo, s2
	s_delay_alu instid0(SALU_CYCLE_1)
	s_mov_b32 s2, exec_lo
	s_waitcnt lgkmcnt(0)
	s_waitcnt_vscnt null, 0x0
	s_barrier
	buffer_gl0_inv
	v_cmpx_lt_i32_e32 19, v120
	s_cbranch_execz .LBB50_419
; %bb.418:
	v_mul_f64 v[52:53], v[104:105], v[26:27]
	v_mul_f64 v[26:27], v[106:107], v[26:27]
	ds_load_2addr_b64 v[121:124], v114 offset0:40 offset1:41
	ds_load_2addr_b64 v[125:128], v114 offset0:42 offset1:43
	;; [unrolled: 1-line block ×6, first 2 shown]
	v_fma_f64 v[52:53], v[106:107], v[24:25], v[52:53]
	v_fma_f64 v[24:25], v[104:105], v[24:25], -v[26:27]
	s_waitcnt lgkmcnt(5)
	s_delay_alu instid0(VALU_DEP_2)
	v_mul_f64 v[26:27], v[123:124], v[52:53]
	v_mul_f64 v[54:55], v[121:122], v[52:53]
	s_waitcnt lgkmcnt(4)
	v_mul_f64 v[104:105], v[127:128], v[52:53]
	v_mul_f64 v[106:107], v[125:126], v[52:53]
	s_waitcnt lgkmcnt(3)
	;; [unrolled: 3-line block ×5, first 2 shown]
	v_mul_f64 v[151:152], v[143:144], v[52:53]
	v_mul_f64 v[153:154], v[141:142], v[52:53]
	v_fma_f64 v[26:27], v[121:122], v[24:25], -v[26:27]
	v_fma_f64 v[54:55], v[123:124], v[24:25], v[54:55]
	v_fma_f64 v[104:105], v[125:126], v[24:25], -v[104:105]
	v_fma_f64 v[106:107], v[127:128], v[24:25], v[106:107]
	;; [unrolled: 2-line block ×6, first 2 shown]
	v_add_f64 v[20:21], v[20:21], -v[26:27]
	v_add_f64 v[22:23], v[22:23], -v[54:55]
	;; [unrolled: 1-line block ×12, first 2 shown]
	v_dual_mov_b32 v26, v52 :: v_dual_mov_b32 v27, v53
.LBB50_419:
	s_or_b32 exec_lo, exec_lo, s2
	v_lshl_add_u32 v52, v120, 4, v114
	s_barrier
	buffer_gl0_inv
	v_mov_b32_e32 v112, 20
	ds_store_2addr_b64 v52, v[20:21], v[22:23] offset1:1
	s_waitcnt lgkmcnt(0)
	s_barrier
	buffer_gl0_inv
	ds_load_2addr_b64 v[104:107], v114 offset0:40 offset1:41
	s_cmp_lt_i32 s5, 22
	s_cbranch_scc1 .LBB50_422
; %bb.420:
	v_add3_u32 v113, v92, 0, 0x150
	v_mov_b32_e32 v112, 20
	s_mov_b32 s6, 21
	s_set_inst_prefetch_distance 0x1
	.p2align	6
.LBB50_421:                             ; =>This Inner Loop Header: Depth=1
	ds_load_2addr_b64 v[121:124], v113 offset1:1
	s_waitcnt lgkmcnt(1)
	v_cmp_gt_f64_e32 vcc_lo, 0, v[104:105]
	v_xor_b32_e32 v52, 0x80000000, v105
	v_cmp_gt_f64_e64 s2, 0, v[106:107]
	v_xor_b32_e32 v54, 0x80000000, v107
	v_add_nc_u32_e32 v113, 16, v113
	s_waitcnt lgkmcnt(0)
	v_cmp_gt_f64_e64 s3, 0, v[121:122]
	v_mov_b32_e32 v108, v121
	v_dual_mov_b32 v110, v123 :: v_dual_cndmask_b32 v53, v105, v52
	v_xor_b32_e32 v52, 0x80000000, v122
	v_cndmask_b32_e64 v55, v107, v54, s2
	v_xor_b32_e32 v54, 0x80000000, v124
	s_delay_alu instid0(VALU_DEP_3) | instskip(SKIP_2) | instid1(VALU_DEP_2)
	v_cndmask_b32_e64 v109, v122, v52, s3
	v_cmp_gt_f64_e64 s3, 0, v[123:124]
	v_cndmask_b32_e32 v52, v104, v104, vcc_lo
	v_cndmask_b32_e64 v111, v124, v54, s3
	v_cndmask_b32_e64 v54, v106, v106, s2
	s_delay_alu instid0(VALU_DEP_2) | instskip(NEXT) | instid1(VALU_DEP_2)
	v_add_f64 v[108:109], v[108:109], v[110:111]
	v_add_f64 v[52:53], v[52:53], v[54:55]
	s_delay_alu instid0(VALU_DEP_1) | instskip(SKIP_4) | instid1(SALU_CYCLE_1)
	v_cmp_lt_f64_e32 vcc_lo, v[52:53], v[108:109]
	v_dual_cndmask_b32 v105, v105, v122 :: v_dual_cndmask_b32 v104, v104, v121
	v_dual_cndmask_b32 v107, v107, v124 :: v_dual_cndmask_b32 v106, v106, v123
	v_cndmask_b32_e64 v112, v112, s6, vcc_lo
	s_add_i32 s6, s6, 1
	s_cmp_lg_u32 s5, s6
	s_cbranch_scc1 .LBB50_421
.LBB50_422:
	s_set_inst_prefetch_distance 0x2
	s_waitcnt lgkmcnt(0)
	v_cmp_eq_f64_e32 vcc_lo, 0, v[104:105]
	v_cmp_eq_f64_e64 s2, 0, v[106:107]
	s_delay_alu instid0(VALU_DEP_1) | instskip(NEXT) | instid1(SALU_CYCLE_1)
	s_and_b32 s2, vcc_lo, s2
	s_and_saveexec_b32 s3, s2
	s_delay_alu instid0(SALU_CYCLE_1)
	s_xor_b32 s2, exec_lo, s3
; %bb.423:
	v_cmp_ne_u32_e32 vcc_lo, 0, v119
	v_cndmask_b32_e32 v119, 21, v119, vcc_lo
; %bb.424:
	s_and_not1_saveexec_b32 s3, s2
	s_cbranch_execz .LBB50_430
; %bb.425:
	v_cmp_gt_f64_e32 vcc_lo, 0, v[104:105]
	v_cmp_gt_f64_e64 s2, 0, v[106:107]
	v_xor_b32_e32 v52, 0x80000000, v105
	v_xor_b32_e32 v54, 0x80000000, v107
	s_delay_alu instid0(VALU_DEP_2) | instskip(NEXT) | instid1(VALU_DEP_2)
	v_cndmask_b32_e32 v53, v105, v52, vcc_lo
	v_cndmask_b32_e64 v55, v107, v54, s2
	v_cndmask_b32_e32 v52, v104, v104, vcc_lo
	v_cndmask_b32_e64 v54, v106, v106, s2
	s_mov_b32 s2, exec_lo
	s_delay_alu instid0(VALU_DEP_1)
	v_cmpx_ngt_f64_e32 v[52:53], v[54:55]
	s_xor_b32 s2, exec_lo, s2
	s_cbranch_execz .LBB50_427
; %bb.426:
	v_div_scale_f64 v[52:53], null, v[106:107], v[106:107], v[104:105]
	v_div_scale_f64 v[110:111], vcc_lo, v[104:105], v[106:107], v[104:105]
	s_delay_alu instid0(VALU_DEP_2) | instskip(SKIP_2) | instid1(VALU_DEP_1)
	v_rcp_f64_e32 v[54:55], v[52:53]
	s_waitcnt_depctr 0xfff
	v_fma_f64 v[108:109], -v[52:53], v[54:55], 1.0
	v_fma_f64 v[54:55], v[54:55], v[108:109], v[54:55]
	s_delay_alu instid0(VALU_DEP_1) | instskip(NEXT) | instid1(VALU_DEP_1)
	v_fma_f64 v[108:109], -v[52:53], v[54:55], 1.0
	v_fma_f64 v[54:55], v[54:55], v[108:109], v[54:55]
	s_delay_alu instid0(VALU_DEP_1) | instskip(NEXT) | instid1(VALU_DEP_1)
	v_mul_f64 v[108:109], v[110:111], v[54:55]
	v_fma_f64 v[52:53], -v[52:53], v[108:109], v[110:111]
	s_delay_alu instid0(VALU_DEP_1) | instskip(NEXT) | instid1(VALU_DEP_1)
	v_div_fmas_f64 v[52:53], v[52:53], v[54:55], v[108:109]
	v_div_fixup_f64 v[52:53], v[52:53], v[106:107], v[104:105]
	s_delay_alu instid0(VALU_DEP_1) | instskip(NEXT) | instid1(VALU_DEP_1)
	v_fma_f64 v[54:55], v[104:105], v[52:53], v[106:107]
	v_div_scale_f64 v[104:105], null, v[54:55], v[54:55], 1.0
	s_delay_alu instid0(VALU_DEP_1) | instskip(SKIP_2) | instid1(VALU_DEP_1)
	v_rcp_f64_e32 v[106:107], v[104:105]
	s_waitcnt_depctr 0xfff
	v_fma_f64 v[108:109], -v[104:105], v[106:107], 1.0
	v_fma_f64 v[106:107], v[106:107], v[108:109], v[106:107]
	s_delay_alu instid0(VALU_DEP_1) | instskip(NEXT) | instid1(VALU_DEP_1)
	v_fma_f64 v[108:109], -v[104:105], v[106:107], 1.0
	v_fma_f64 v[106:107], v[106:107], v[108:109], v[106:107]
	v_div_scale_f64 v[108:109], vcc_lo, 1.0, v[54:55], 1.0
	s_delay_alu instid0(VALU_DEP_1) | instskip(NEXT) | instid1(VALU_DEP_1)
	v_mul_f64 v[110:111], v[108:109], v[106:107]
	v_fma_f64 v[104:105], -v[104:105], v[110:111], v[108:109]
	s_delay_alu instid0(VALU_DEP_1) | instskip(NEXT) | instid1(VALU_DEP_1)
	v_div_fmas_f64 v[104:105], v[104:105], v[106:107], v[110:111]
	v_div_fixup_f64 v[106:107], v[104:105], v[54:55], 1.0
	s_delay_alu instid0(VALU_DEP_1)
	v_mul_f64 v[104:105], v[52:53], v[106:107]
	v_xor_b32_e32 v107, 0x80000000, v107
.LBB50_427:
	s_and_not1_saveexec_b32 s2, s2
	s_cbranch_execz .LBB50_429
; %bb.428:
	s_delay_alu instid0(VALU_DEP_1) | instskip(SKIP_1) | instid1(VALU_DEP_2)
	v_div_scale_f64 v[52:53], null, v[104:105], v[104:105], v[106:107]
	v_div_scale_f64 v[110:111], vcc_lo, v[106:107], v[104:105], v[106:107]
	v_rcp_f64_e32 v[54:55], v[52:53]
	s_waitcnt_depctr 0xfff
	v_fma_f64 v[108:109], -v[52:53], v[54:55], 1.0
	s_delay_alu instid0(VALU_DEP_1) | instskip(NEXT) | instid1(VALU_DEP_1)
	v_fma_f64 v[54:55], v[54:55], v[108:109], v[54:55]
	v_fma_f64 v[108:109], -v[52:53], v[54:55], 1.0
	s_delay_alu instid0(VALU_DEP_1) | instskip(NEXT) | instid1(VALU_DEP_1)
	v_fma_f64 v[54:55], v[54:55], v[108:109], v[54:55]
	v_mul_f64 v[108:109], v[110:111], v[54:55]
	s_delay_alu instid0(VALU_DEP_1) | instskip(NEXT) | instid1(VALU_DEP_1)
	v_fma_f64 v[52:53], -v[52:53], v[108:109], v[110:111]
	v_div_fmas_f64 v[52:53], v[52:53], v[54:55], v[108:109]
	s_delay_alu instid0(VALU_DEP_1) | instskip(NEXT) | instid1(VALU_DEP_1)
	v_div_fixup_f64 v[52:53], v[52:53], v[104:105], v[106:107]
	v_fma_f64 v[54:55], v[106:107], v[52:53], v[104:105]
	s_delay_alu instid0(VALU_DEP_1) | instskip(NEXT) | instid1(VALU_DEP_1)
	v_div_scale_f64 v[104:105], null, v[54:55], v[54:55], 1.0
	v_rcp_f64_e32 v[106:107], v[104:105]
	s_waitcnt_depctr 0xfff
	v_fma_f64 v[108:109], -v[104:105], v[106:107], 1.0
	s_delay_alu instid0(VALU_DEP_1) | instskip(NEXT) | instid1(VALU_DEP_1)
	v_fma_f64 v[106:107], v[106:107], v[108:109], v[106:107]
	v_fma_f64 v[108:109], -v[104:105], v[106:107], 1.0
	s_delay_alu instid0(VALU_DEP_1) | instskip(SKIP_1) | instid1(VALU_DEP_1)
	v_fma_f64 v[106:107], v[106:107], v[108:109], v[106:107]
	v_div_scale_f64 v[108:109], vcc_lo, 1.0, v[54:55], 1.0
	v_mul_f64 v[110:111], v[108:109], v[106:107]
	s_delay_alu instid0(VALU_DEP_1) | instskip(NEXT) | instid1(VALU_DEP_1)
	v_fma_f64 v[104:105], -v[104:105], v[110:111], v[108:109]
	v_div_fmas_f64 v[104:105], v[104:105], v[106:107], v[110:111]
	s_delay_alu instid0(VALU_DEP_1) | instskip(NEXT) | instid1(VALU_DEP_1)
	v_div_fixup_f64 v[104:105], v[104:105], v[54:55], 1.0
	v_mul_f64 v[106:107], v[52:53], -v[104:105]
.LBB50_429:
	s_or_b32 exec_lo, exec_lo, s2
.LBB50_430:
	s_delay_alu instid0(SALU_CYCLE_1) | instskip(NEXT) | instid1(SALU_CYCLE_1)
	s_or_b32 exec_lo, exec_lo, s3
	s_mov_b32 s2, exec_lo
	v_cmpx_ne_u32_e64 v120, v112
	s_xor_b32 s2, exec_lo, s2
	s_cbranch_execz .LBB50_436
; %bb.431:
	s_mov_b32 s3, exec_lo
	v_cmpx_eq_u32_e32 20, v120
	s_cbranch_execz .LBB50_435
; %bb.432:
	v_cmp_ne_u32_e32 vcc_lo, 20, v112
	s_xor_b32 s6, s4, -1
	s_delay_alu instid0(SALU_CYCLE_1) | instskip(NEXT) | instid1(SALU_CYCLE_1)
	s_and_b32 s7, s6, vcc_lo
	s_and_saveexec_b32 s6, s7
	s_cbranch_execz .LBB50_434
; %bb.433:
	v_ashrrev_i32_e32 v113, 31, v112
	s_delay_alu instid0(VALU_DEP_1) | instskip(NEXT) | instid1(VALU_DEP_1)
	v_lshlrev_b64 v[52:53], 2, v[112:113]
	v_add_co_u32 v52, vcc_lo, v94, v52
	s_delay_alu instid0(VALU_DEP_2)
	v_add_co_ci_u32_e32 v53, vcc_lo, v95, v53, vcc_lo
	s_clause 0x1
	flat_load_b32 v54, v[52:53]
	flat_load_b32 v55, v[94:95] offset:80
	s_waitcnt vmcnt(1) lgkmcnt(1)
	flat_store_b32 v[94:95], v54 offset:80
	s_waitcnt vmcnt(0) lgkmcnt(1)
	flat_store_b32 v[52:53], v55
.LBB50_434:
	s_or_b32 exec_lo, exec_lo, s6
	v_mov_b32_e32 v120, v112
	v_mov_b32_e32 v93, v112
.LBB50_435:
	s_or_b32 exec_lo, exec_lo, s3
.LBB50_436:
	s_and_not1_saveexec_b32 s2, s2
	s_cbranch_execz .LBB50_438
; %bb.437:
	v_mov_b32_e32 v120, 20
	ds_store_2addr_b64 v114, v[16:17], v[18:19] offset0:42 offset1:43
	ds_store_2addr_b64 v114, v[12:13], v[14:15] offset0:44 offset1:45
	;; [unrolled: 1-line block ×5, first 2 shown]
.LBB50_438:
	s_or_b32 exec_lo, exec_lo, s2
	s_delay_alu instid0(SALU_CYCLE_1)
	s_mov_b32 s2, exec_lo
	s_waitcnt lgkmcnt(0)
	s_waitcnt_vscnt null, 0x0
	s_barrier
	buffer_gl0_inv
	v_cmpx_lt_i32_e32 20, v120
	s_cbranch_execz .LBB50_440
; %bb.439:
	v_mul_f64 v[52:53], v[104:105], v[22:23]
	v_mul_f64 v[22:23], v[106:107], v[22:23]
	ds_load_2addr_b64 v[121:124], v114 offset0:42 offset1:43
	ds_load_2addr_b64 v[125:128], v114 offset0:44 offset1:45
	;; [unrolled: 1-line block ×5, first 2 shown]
	v_fma_f64 v[52:53], v[106:107], v[20:21], v[52:53]
	v_fma_f64 v[20:21], v[104:105], v[20:21], -v[22:23]
	s_waitcnt lgkmcnt(4)
	s_delay_alu instid0(VALU_DEP_2)
	v_mul_f64 v[22:23], v[123:124], v[52:53]
	v_mul_f64 v[54:55], v[121:122], v[52:53]
	s_waitcnt lgkmcnt(3)
	v_mul_f64 v[104:105], v[127:128], v[52:53]
	v_mul_f64 v[106:107], v[125:126], v[52:53]
	s_waitcnt lgkmcnt(2)
	;; [unrolled: 3-line block ×4, first 2 shown]
	v_mul_f64 v[143:144], v[139:140], v[52:53]
	v_mul_f64 v[145:146], v[137:138], v[52:53]
	v_fma_f64 v[22:23], v[121:122], v[20:21], -v[22:23]
	v_fma_f64 v[54:55], v[123:124], v[20:21], v[54:55]
	v_fma_f64 v[104:105], v[125:126], v[20:21], -v[104:105]
	v_fma_f64 v[106:107], v[127:128], v[20:21], v[106:107]
	;; [unrolled: 2-line block ×5, first 2 shown]
	v_add_f64 v[16:17], v[16:17], -v[22:23]
	v_add_f64 v[18:19], v[18:19], -v[54:55]
	;; [unrolled: 1-line block ×10, first 2 shown]
	v_dual_mov_b32 v22, v52 :: v_dual_mov_b32 v23, v53
.LBB50_440:
	s_or_b32 exec_lo, exec_lo, s2
	v_lshl_add_u32 v52, v120, 4, v114
	s_barrier
	buffer_gl0_inv
	v_mov_b32_e32 v112, 21
	ds_store_2addr_b64 v52, v[16:17], v[18:19] offset1:1
	s_waitcnt lgkmcnt(0)
	s_barrier
	buffer_gl0_inv
	ds_load_2addr_b64 v[104:107], v114 offset0:42 offset1:43
	s_cmp_lt_i32 s5, 23
	s_cbranch_scc1 .LBB50_443
; %bb.441:
	v_add3_u32 v113, v92, 0, 0x160
	v_mov_b32_e32 v112, 21
	s_mov_b32 s6, 22
	s_set_inst_prefetch_distance 0x1
	.p2align	6
.LBB50_442:                             ; =>This Inner Loop Header: Depth=1
	ds_load_2addr_b64 v[121:124], v113 offset1:1
	s_waitcnt lgkmcnt(1)
	v_cmp_gt_f64_e32 vcc_lo, 0, v[104:105]
	v_xor_b32_e32 v52, 0x80000000, v105
	v_cmp_gt_f64_e64 s2, 0, v[106:107]
	v_xor_b32_e32 v54, 0x80000000, v107
	v_add_nc_u32_e32 v113, 16, v113
	s_waitcnt lgkmcnt(0)
	v_cmp_gt_f64_e64 s3, 0, v[121:122]
	v_mov_b32_e32 v108, v121
	v_dual_mov_b32 v110, v123 :: v_dual_cndmask_b32 v53, v105, v52
	v_xor_b32_e32 v52, 0x80000000, v122
	v_cndmask_b32_e64 v55, v107, v54, s2
	v_xor_b32_e32 v54, 0x80000000, v124
	s_delay_alu instid0(VALU_DEP_3) | instskip(SKIP_2) | instid1(VALU_DEP_2)
	v_cndmask_b32_e64 v109, v122, v52, s3
	v_cmp_gt_f64_e64 s3, 0, v[123:124]
	v_cndmask_b32_e32 v52, v104, v104, vcc_lo
	v_cndmask_b32_e64 v111, v124, v54, s3
	v_cndmask_b32_e64 v54, v106, v106, s2
	s_delay_alu instid0(VALU_DEP_2) | instskip(NEXT) | instid1(VALU_DEP_2)
	v_add_f64 v[108:109], v[108:109], v[110:111]
	v_add_f64 v[52:53], v[52:53], v[54:55]
	s_delay_alu instid0(VALU_DEP_1) | instskip(SKIP_4) | instid1(SALU_CYCLE_1)
	v_cmp_lt_f64_e32 vcc_lo, v[52:53], v[108:109]
	v_dual_cndmask_b32 v105, v105, v122 :: v_dual_cndmask_b32 v104, v104, v121
	v_dual_cndmask_b32 v107, v107, v124 :: v_dual_cndmask_b32 v106, v106, v123
	v_cndmask_b32_e64 v112, v112, s6, vcc_lo
	s_add_i32 s6, s6, 1
	s_cmp_lg_u32 s5, s6
	s_cbranch_scc1 .LBB50_442
.LBB50_443:
	s_set_inst_prefetch_distance 0x2
	s_waitcnt lgkmcnt(0)
	v_cmp_eq_f64_e32 vcc_lo, 0, v[104:105]
	v_cmp_eq_f64_e64 s2, 0, v[106:107]
	s_delay_alu instid0(VALU_DEP_1) | instskip(NEXT) | instid1(SALU_CYCLE_1)
	s_and_b32 s2, vcc_lo, s2
	s_and_saveexec_b32 s3, s2
	s_delay_alu instid0(SALU_CYCLE_1)
	s_xor_b32 s2, exec_lo, s3
; %bb.444:
	v_cmp_ne_u32_e32 vcc_lo, 0, v119
	v_cndmask_b32_e32 v119, 22, v119, vcc_lo
; %bb.445:
	s_and_not1_saveexec_b32 s3, s2
	s_cbranch_execz .LBB50_451
; %bb.446:
	v_cmp_gt_f64_e32 vcc_lo, 0, v[104:105]
	v_cmp_gt_f64_e64 s2, 0, v[106:107]
	v_xor_b32_e32 v52, 0x80000000, v105
	v_xor_b32_e32 v54, 0x80000000, v107
	s_delay_alu instid0(VALU_DEP_2) | instskip(NEXT) | instid1(VALU_DEP_2)
	v_cndmask_b32_e32 v53, v105, v52, vcc_lo
	v_cndmask_b32_e64 v55, v107, v54, s2
	v_cndmask_b32_e32 v52, v104, v104, vcc_lo
	v_cndmask_b32_e64 v54, v106, v106, s2
	s_mov_b32 s2, exec_lo
	s_delay_alu instid0(VALU_DEP_1)
	v_cmpx_ngt_f64_e32 v[52:53], v[54:55]
	s_xor_b32 s2, exec_lo, s2
	s_cbranch_execz .LBB50_448
; %bb.447:
	v_div_scale_f64 v[52:53], null, v[106:107], v[106:107], v[104:105]
	v_div_scale_f64 v[110:111], vcc_lo, v[104:105], v[106:107], v[104:105]
	s_delay_alu instid0(VALU_DEP_2) | instskip(SKIP_2) | instid1(VALU_DEP_1)
	v_rcp_f64_e32 v[54:55], v[52:53]
	s_waitcnt_depctr 0xfff
	v_fma_f64 v[108:109], -v[52:53], v[54:55], 1.0
	v_fma_f64 v[54:55], v[54:55], v[108:109], v[54:55]
	s_delay_alu instid0(VALU_DEP_1) | instskip(NEXT) | instid1(VALU_DEP_1)
	v_fma_f64 v[108:109], -v[52:53], v[54:55], 1.0
	v_fma_f64 v[54:55], v[54:55], v[108:109], v[54:55]
	s_delay_alu instid0(VALU_DEP_1) | instskip(NEXT) | instid1(VALU_DEP_1)
	v_mul_f64 v[108:109], v[110:111], v[54:55]
	v_fma_f64 v[52:53], -v[52:53], v[108:109], v[110:111]
	s_delay_alu instid0(VALU_DEP_1) | instskip(NEXT) | instid1(VALU_DEP_1)
	v_div_fmas_f64 v[52:53], v[52:53], v[54:55], v[108:109]
	v_div_fixup_f64 v[52:53], v[52:53], v[106:107], v[104:105]
	s_delay_alu instid0(VALU_DEP_1) | instskip(NEXT) | instid1(VALU_DEP_1)
	v_fma_f64 v[54:55], v[104:105], v[52:53], v[106:107]
	v_div_scale_f64 v[104:105], null, v[54:55], v[54:55], 1.0
	s_delay_alu instid0(VALU_DEP_1) | instskip(SKIP_2) | instid1(VALU_DEP_1)
	v_rcp_f64_e32 v[106:107], v[104:105]
	s_waitcnt_depctr 0xfff
	v_fma_f64 v[108:109], -v[104:105], v[106:107], 1.0
	v_fma_f64 v[106:107], v[106:107], v[108:109], v[106:107]
	s_delay_alu instid0(VALU_DEP_1) | instskip(NEXT) | instid1(VALU_DEP_1)
	v_fma_f64 v[108:109], -v[104:105], v[106:107], 1.0
	v_fma_f64 v[106:107], v[106:107], v[108:109], v[106:107]
	v_div_scale_f64 v[108:109], vcc_lo, 1.0, v[54:55], 1.0
	s_delay_alu instid0(VALU_DEP_1) | instskip(NEXT) | instid1(VALU_DEP_1)
	v_mul_f64 v[110:111], v[108:109], v[106:107]
	v_fma_f64 v[104:105], -v[104:105], v[110:111], v[108:109]
	s_delay_alu instid0(VALU_DEP_1) | instskip(NEXT) | instid1(VALU_DEP_1)
	v_div_fmas_f64 v[104:105], v[104:105], v[106:107], v[110:111]
	v_div_fixup_f64 v[106:107], v[104:105], v[54:55], 1.0
	s_delay_alu instid0(VALU_DEP_1)
	v_mul_f64 v[104:105], v[52:53], v[106:107]
	v_xor_b32_e32 v107, 0x80000000, v107
.LBB50_448:
	s_and_not1_saveexec_b32 s2, s2
	s_cbranch_execz .LBB50_450
; %bb.449:
	s_delay_alu instid0(VALU_DEP_1) | instskip(SKIP_1) | instid1(VALU_DEP_2)
	v_div_scale_f64 v[52:53], null, v[104:105], v[104:105], v[106:107]
	v_div_scale_f64 v[110:111], vcc_lo, v[106:107], v[104:105], v[106:107]
	v_rcp_f64_e32 v[54:55], v[52:53]
	s_waitcnt_depctr 0xfff
	v_fma_f64 v[108:109], -v[52:53], v[54:55], 1.0
	s_delay_alu instid0(VALU_DEP_1) | instskip(NEXT) | instid1(VALU_DEP_1)
	v_fma_f64 v[54:55], v[54:55], v[108:109], v[54:55]
	v_fma_f64 v[108:109], -v[52:53], v[54:55], 1.0
	s_delay_alu instid0(VALU_DEP_1) | instskip(NEXT) | instid1(VALU_DEP_1)
	v_fma_f64 v[54:55], v[54:55], v[108:109], v[54:55]
	v_mul_f64 v[108:109], v[110:111], v[54:55]
	s_delay_alu instid0(VALU_DEP_1) | instskip(NEXT) | instid1(VALU_DEP_1)
	v_fma_f64 v[52:53], -v[52:53], v[108:109], v[110:111]
	v_div_fmas_f64 v[52:53], v[52:53], v[54:55], v[108:109]
	s_delay_alu instid0(VALU_DEP_1) | instskip(NEXT) | instid1(VALU_DEP_1)
	v_div_fixup_f64 v[52:53], v[52:53], v[104:105], v[106:107]
	v_fma_f64 v[54:55], v[106:107], v[52:53], v[104:105]
	s_delay_alu instid0(VALU_DEP_1) | instskip(NEXT) | instid1(VALU_DEP_1)
	v_div_scale_f64 v[104:105], null, v[54:55], v[54:55], 1.0
	v_rcp_f64_e32 v[106:107], v[104:105]
	s_waitcnt_depctr 0xfff
	v_fma_f64 v[108:109], -v[104:105], v[106:107], 1.0
	s_delay_alu instid0(VALU_DEP_1) | instskip(NEXT) | instid1(VALU_DEP_1)
	v_fma_f64 v[106:107], v[106:107], v[108:109], v[106:107]
	v_fma_f64 v[108:109], -v[104:105], v[106:107], 1.0
	s_delay_alu instid0(VALU_DEP_1) | instskip(SKIP_1) | instid1(VALU_DEP_1)
	v_fma_f64 v[106:107], v[106:107], v[108:109], v[106:107]
	v_div_scale_f64 v[108:109], vcc_lo, 1.0, v[54:55], 1.0
	v_mul_f64 v[110:111], v[108:109], v[106:107]
	s_delay_alu instid0(VALU_DEP_1) | instskip(NEXT) | instid1(VALU_DEP_1)
	v_fma_f64 v[104:105], -v[104:105], v[110:111], v[108:109]
	v_div_fmas_f64 v[104:105], v[104:105], v[106:107], v[110:111]
	s_delay_alu instid0(VALU_DEP_1) | instskip(NEXT) | instid1(VALU_DEP_1)
	v_div_fixup_f64 v[104:105], v[104:105], v[54:55], 1.0
	v_mul_f64 v[106:107], v[52:53], -v[104:105]
.LBB50_450:
	s_or_b32 exec_lo, exec_lo, s2
.LBB50_451:
	s_delay_alu instid0(SALU_CYCLE_1) | instskip(NEXT) | instid1(SALU_CYCLE_1)
	s_or_b32 exec_lo, exec_lo, s3
	s_mov_b32 s2, exec_lo
	v_cmpx_ne_u32_e64 v120, v112
	s_xor_b32 s2, exec_lo, s2
	s_cbranch_execz .LBB50_457
; %bb.452:
	s_mov_b32 s3, exec_lo
	v_cmpx_eq_u32_e32 21, v120
	s_cbranch_execz .LBB50_456
; %bb.453:
	v_cmp_ne_u32_e32 vcc_lo, 21, v112
	s_xor_b32 s6, s4, -1
	s_delay_alu instid0(SALU_CYCLE_1) | instskip(NEXT) | instid1(SALU_CYCLE_1)
	s_and_b32 s7, s6, vcc_lo
	s_and_saveexec_b32 s6, s7
	s_cbranch_execz .LBB50_455
; %bb.454:
	v_ashrrev_i32_e32 v113, 31, v112
	s_delay_alu instid0(VALU_DEP_1) | instskip(NEXT) | instid1(VALU_DEP_1)
	v_lshlrev_b64 v[52:53], 2, v[112:113]
	v_add_co_u32 v52, vcc_lo, v94, v52
	s_delay_alu instid0(VALU_DEP_2)
	v_add_co_ci_u32_e32 v53, vcc_lo, v95, v53, vcc_lo
	s_clause 0x1
	flat_load_b32 v54, v[52:53]
	flat_load_b32 v55, v[94:95] offset:84
	s_waitcnt vmcnt(1) lgkmcnt(1)
	flat_store_b32 v[94:95], v54 offset:84
	s_waitcnt vmcnt(0) lgkmcnt(1)
	flat_store_b32 v[52:53], v55
.LBB50_455:
	s_or_b32 exec_lo, exec_lo, s6
	v_mov_b32_e32 v120, v112
	v_mov_b32_e32 v93, v112
.LBB50_456:
	s_or_b32 exec_lo, exec_lo, s3
.LBB50_457:
	s_and_not1_saveexec_b32 s2, s2
	s_cbranch_execz .LBB50_459
; %bb.458:
	v_mov_b32_e32 v120, 21
	ds_store_2addr_b64 v114, v[12:13], v[14:15] offset0:44 offset1:45
	ds_store_2addr_b64 v114, v[8:9], v[10:11] offset0:46 offset1:47
	;; [unrolled: 1-line block ×4, first 2 shown]
.LBB50_459:
	s_or_b32 exec_lo, exec_lo, s2
	s_delay_alu instid0(SALU_CYCLE_1)
	s_mov_b32 s2, exec_lo
	s_waitcnt lgkmcnt(0)
	s_waitcnt_vscnt null, 0x0
	s_barrier
	buffer_gl0_inv
	v_cmpx_lt_i32_e32 21, v120
	s_cbranch_execz .LBB50_461
; %bb.460:
	v_mul_f64 v[52:53], v[104:105], v[18:19]
	v_mul_f64 v[18:19], v[106:107], v[18:19]
	ds_load_2addr_b64 v[121:124], v114 offset0:44 offset1:45
	ds_load_2addr_b64 v[125:128], v114 offset0:46 offset1:47
	;; [unrolled: 1-line block ×4, first 2 shown]
	v_fma_f64 v[52:53], v[106:107], v[16:17], v[52:53]
	v_fma_f64 v[16:17], v[104:105], v[16:17], -v[18:19]
	s_waitcnt lgkmcnt(3)
	s_delay_alu instid0(VALU_DEP_2)
	v_mul_f64 v[18:19], v[123:124], v[52:53]
	v_mul_f64 v[54:55], v[121:122], v[52:53]
	s_waitcnt lgkmcnt(2)
	v_mul_f64 v[104:105], v[127:128], v[52:53]
	v_mul_f64 v[106:107], v[125:126], v[52:53]
	s_waitcnt lgkmcnt(1)
	;; [unrolled: 3-line block ×3, first 2 shown]
	v_mul_f64 v[112:113], v[135:136], v[52:53]
	v_mul_f64 v[137:138], v[133:134], v[52:53]
	v_fma_f64 v[18:19], v[121:122], v[16:17], -v[18:19]
	v_fma_f64 v[54:55], v[123:124], v[16:17], v[54:55]
	v_fma_f64 v[104:105], v[125:126], v[16:17], -v[104:105]
	v_fma_f64 v[106:107], v[127:128], v[16:17], v[106:107]
	;; [unrolled: 2-line block ×4, first 2 shown]
	v_add_f64 v[12:13], v[12:13], -v[18:19]
	v_add_f64 v[14:15], v[14:15], -v[54:55]
	;; [unrolled: 1-line block ×8, first 2 shown]
	v_dual_mov_b32 v18, v52 :: v_dual_mov_b32 v19, v53
.LBB50_461:
	s_or_b32 exec_lo, exec_lo, s2
	v_lshl_add_u32 v52, v120, 4, v114
	s_barrier
	buffer_gl0_inv
	v_mov_b32_e32 v112, 22
	ds_store_2addr_b64 v52, v[12:13], v[14:15] offset1:1
	s_waitcnt lgkmcnt(0)
	s_barrier
	buffer_gl0_inv
	ds_load_2addr_b64 v[104:107], v114 offset0:44 offset1:45
	s_cmp_lt_i32 s5, 24
	s_cbranch_scc1 .LBB50_464
; %bb.462:
	v_add3_u32 v113, v92, 0, 0x170
	v_mov_b32_e32 v112, 22
	s_mov_b32 s6, 23
	s_set_inst_prefetch_distance 0x1
	.p2align	6
.LBB50_463:                             ; =>This Inner Loop Header: Depth=1
	ds_load_2addr_b64 v[121:124], v113 offset1:1
	s_waitcnt lgkmcnt(1)
	v_cmp_gt_f64_e32 vcc_lo, 0, v[104:105]
	v_xor_b32_e32 v52, 0x80000000, v105
	v_cmp_gt_f64_e64 s2, 0, v[106:107]
	v_xor_b32_e32 v54, 0x80000000, v107
	v_add_nc_u32_e32 v113, 16, v113
	s_waitcnt lgkmcnt(0)
	v_cmp_gt_f64_e64 s3, 0, v[121:122]
	v_mov_b32_e32 v108, v121
	v_dual_mov_b32 v110, v123 :: v_dual_cndmask_b32 v53, v105, v52
	v_xor_b32_e32 v52, 0x80000000, v122
	v_cndmask_b32_e64 v55, v107, v54, s2
	v_xor_b32_e32 v54, 0x80000000, v124
	s_delay_alu instid0(VALU_DEP_3) | instskip(SKIP_2) | instid1(VALU_DEP_2)
	v_cndmask_b32_e64 v109, v122, v52, s3
	v_cmp_gt_f64_e64 s3, 0, v[123:124]
	v_cndmask_b32_e32 v52, v104, v104, vcc_lo
	v_cndmask_b32_e64 v111, v124, v54, s3
	v_cndmask_b32_e64 v54, v106, v106, s2
	s_delay_alu instid0(VALU_DEP_2) | instskip(NEXT) | instid1(VALU_DEP_2)
	v_add_f64 v[108:109], v[108:109], v[110:111]
	v_add_f64 v[52:53], v[52:53], v[54:55]
	s_delay_alu instid0(VALU_DEP_1) | instskip(SKIP_4) | instid1(SALU_CYCLE_1)
	v_cmp_lt_f64_e32 vcc_lo, v[52:53], v[108:109]
	v_dual_cndmask_b32 v105, v105, v122 :: v_dual_cndmask_b32 v104, v104, v121
	v_dual_cndmask_b32 v107, v107, v124 :: v_dual_cndmask_b32 v106, v106, v123
	v_cndmask_b32_e64 v112, v112, s6, vcc_lo
	s_add_i32 s6, s6, 1
	s_cmp_lg_u32 s5, s6
	s_cbranch_scc1 .LBB50_463
.LBB50_464:
	s_set_inst_prefetch_distance 0x2
	s_waitcnt lgkmcnt(0)
	v_cmp_eq_f64_e32 vcc_lo, 0, v[104:105]
	v_cmp_eq_f64_e64 s2, 0, v[106:107]
	s_delay_alu instid0(VALU_DEP_1) | instskip(NEXT) | instid1(SALU_CYCLE_1)
	s_and_b32 s2, vcc_lo, s2
	s_and_saveexec_b32 s3, s2
	s_delay_alu instid0(SALU_CYCLE_1)
	s_xor_b32 s2, exec_lo, s3
; %bb.465:
	v_cmp_ne_u32_e32 vcc_lo, 0, v119
	v_cndmask_b32_e32 v119, 23, v119, vcc_lo
; %bb.466:
	s_and_not1_saveexec_b32 s3, s2
	s_cbranch_execz .LBB50_472
; %bb.467:
	v_cmp_gt_f64_e32 vcc_lo, 0, v[104:105]
	v_cmp_gt_f64_e64 s2, 0, v[106:107]
	v_xor_b32_e32 v52, 0x80000000, v105
	v_xor_b32_e32 v54, 0x80000000, v107
	s_delay_alu instid0(VALU_DEP_2) | instskip(NEXT) | instid1(VALU_DEP_2)
	v_cndmask_b32_e32 v53, v105, v52, vcc_lo
	v_cndmask_b32_e64 v55, v107, v54, s2
	v_cndmask_b32_e32 v52, v104, v104, vcc_lo
	v_cndmask_b32_e64 v54, v106, v106, s2
	s_mov_b32 s2, exec_lo
	s_delay_alu instid0(VALU_DEP_1)
	v_cmpx_ngt_f64_e32 v[52:53], v[54:55]
	s_xor_b32 s2, exec_lo, s2
	s_cbranch_execz .LBB50_469
; %bb.468:
	v_div_scale_f64 v[52:53], null, v[106:107], v[106:107], v[104:105]
	v_div_scale_f64 v[110:111], vcc_lo, v[104:105], v[106:107], v[104:105]
	s_delay_alu instid0(VALU_DEP_2) | instskip(SKIP_2) | instid1(VALU_DEP_1)
	v_rcp_f64_e32 v[54:55], v[52:53]
	s_waitcnt_depctr 0xfff
	v_fma_f64 v[108:109], -v[52:53], v[54:55], 1.0
	v_fma_f64 v[54:55], v[54:55], v[108:109], v[54:55]
	s_delay_alu instid0(VALU_DEP_1) | instskip(NEXT) | instid1(VALU_DEP_1)
	v_fma_f64 v[108:109], -v[52:53], v[54:55], 1.0
	v_fma_f64 v[54:55], v[54:55], v[108:109], v[54:55]
	s_delay_alu instid0(VALU_DEP_1) | instskip(NEXT) | instid1(VALU_DEP_1)
	v_mul_f64 v[108:109], v[110:111], v[54:55]
	v_fma_f64 v[52:53], -v[52:53], v[108:109], v[110:111]
	s_delay_alu instid0(VALU_DEP_1) | instskip(NEXT) | instid1(VALU_DEP_1)
	v_div_fmas_f64 v[52:53], v[52:53], v[54:55], v[108:109]
	v_div_fixup_f64 v[52:53], v[52:53], v[106:107], v[104:105]
	s_delay_alu instid0(VALU_DEP_1) | instskip(NEXT) | instid1(VALU_DEP_1)
	v_fma_f64 v[54:55], v[104:105], v[52:53], v[106:107]
	v_div_scale_f64 v[104:105], null, v[54:55], v[54:55], 1.0
	s_delay_alu instid0(VALU_DEP_1) | instskip(SKIP_2) | instid1(VALU_DEP_1)
	v_rcp_f64_e32 v[106:107], v[104:105]
	s_waitcnt_depctr 0xfff
	v_fma_f64 v[108:109], -v[104:105], v[106:107], 1.0
	v_fma_f64 v[106:107], v[106:107], v[108:109], v[106:107]
	s_delay_alu instid0(VALU_DEP_1) | instskip(NEXT) | instid1(VALU_DEP_1)
	v_fma_f64 v[108:109], -v[104:105], v[106:107], 1.0
	v_fma_f64 v[106:107], v[106:107], v[108:109], v[106:107]
	v_div_scale_f64 v[108:109], vcc_lo, 1.0, v[54:55], 1.0
	s_delay_alu instid0(VALU_DEP_1) | instskip(NEXT) | instid1(VALU_DEP_1)
	v_mul_f64 v[110:111], v[108:109], v[106:107]
	v_fma_f64 v[104:105], -v[104:105], v[110:111], v[108:109]
	s_delay_alu instid0(VALU_DEP_1) | instskip(NEXT) | instid1(VALU_DEP_1)
	v_div_fmas_f64 v[104:105], v[104:105], v[106:107], v[110:111]
	v_div_fixup_f64 v[106:107], v[104:105], v[54:55], 1.0
	s_delay_alu instid0(VALU_DEP_1)
	v_mul_f64 v[104:105], v[52:53], v[106:107]
	v_xor_b32_e32 v107, 0x80000000, v107
.LBB50_469:
	s_and_not1_saveexec_b32 s2, s2
	s_cbranch_execz .LBB50_471
; %bb.470:
	s_delay_alu instid0(VALU_DEP_1) | instskip(SKIP_1) | instid1(VALU_DEP_2)
	v_div_scale_f64 v[52:53], null, v[104:105], v[104:105], v[106:107]
	v_div_scale_f64 v[110:111], vcc_lo, v[106:107], v[104:105], v[106:107]
	v_rcp_f64_e32 v[54:55], v[52:53]
	s_waitcnt_depctr 0xfff
	v_fma_f64 v[108:109], -v[52:53], v[54:55], 1.0
	s_delay_alu instid0(VALU_DEP_1) | instskip(NEXT) | instid1(VALU_DEP_1)
	v_fma_f64 v[54:55], v[54:55], v[108:109], v[54:55]
	v_fma_f64 v[108:109], -v[52:53], v[54:55], 1.0
	s_delay_alu instid0(VALU_DEP_1) | instskip(NEXT) | instid1(VALU_DEP_1)
	v_fma_f64 v[54:55], v[54:55], v[108:109], v[54:55]
	v_mul_f64 v[108:109], v[110:111], v[54:55]
	s_delay_alu instid0(VALU_DEP_1) | instskip(NEXT) | instid1(VALU_DEP_1)
	v_fma_f64 v[52:53], -v[52:53], v[108:109], v[110:111]
	v_div_fmas_f64 v[52:53], v[52:53], v[54:55], v[108:109]
	s_delay_alu instid0(VALU_DEP_1) | instskip(NEXT) | instid1(VALU_DEP_1)
	v_div_fixup_f64 v[52:53], v[52:53], v[104:105], v[106:107]
	v_fma_f64 v[54:55], v[106:107], v[52:53], v[104:105]
	s_delay_alu instid0(VALU_DEP_1) | instskip(NEXT) | instid1(VALU_DEP_1)
	v_div_scale_f64 v[104:105], null, v[54:55], v[54:55], 1.0
	v_rcp_f64_e32 v[106:107], v[104:105]
	s_waitcnt_depctr 0xfff
	v_fma_f64 v[108:109], -v[104:105], v[106:107], 1.0
	s_delay_alu instid0(VALU_DEP_1) | instskip(NEXT) | instid1(VALU_DEP_1)
	v_fma_f64 v[106:107], v[106:107], v[108:109], v[106:107]
	v_fma_f64 v[108:109], -v[104:105], v[106:107], 1.0
	s_delay_alu instid0(VALU_DEP_1) | instskip(SKIP_1) | instid1(VALU_DEP_1)
	v_fma_f64 v[106:107], v[106:107], v[108:109], v[106:107]
	v_div_scale_f64 v[108:109], vcc_lo, 1.0, v[54:55], 1.0
	v_mul_f64 v[110:111], v[108:109], v[106:107]
	s_delay_alu instid0(VALU_DEP_1) | instskip(NEXT) | instid1(VALU_DEP_1)
	v_fma_f64 v[104:105], -v[104:105], v[110:111], v[108:109]
	v_div_fmas_f64 v[104:105], v[104:105], v[106:107], v[110:111]
	s_delay_alu instid0(VALU_DEP_1) | instskip(NEXT) | instid1(VALU_DEP_1)
	v_div_fixup_f64 v[104:105], v[104:105], v[54:55], 1.0
	v_mul_f64 v[106:107], v[52:53], -v[104:105]
.LBB50_471:
	s_or_b32 exec_lo, exec_lo, s2
.LBB50_472:
	s_delay_alu instid0(SALU_CYCLE_1) | instskip(NEXT) | instid1(SALU_CYCLE_1)
	s_or_b32 exec_lo, exec_lo, s3
	s_mov_b32 s2, exec_lo
	v_cmpx_ne_u32_e64 v120, v112
	s_xor_b32 s2, exec_lo, s2
	s_cbranch_execz .LBB50_478
; %bb.473:
	s_mov_b32 s3, exec_lo
	v_cmpx_eq_u32_e32 22, v120
	s_cbranch_execz .LBB50_477
; %bb.474:
	v_cmp_ne_u32_e32 vcc_lo, 22, v112
	s_xor_b32 s6, s4, -1
	s_delay_alu instid0(SALU_CYCLE_1) | instskip(NEXT) | instid1(SALU_CYCLE_1)
	s_and_b32 s7, s6, vcc_lo
	s_and_saveexec_b32 s6, s7
	s_cbranch_execz .LBB50_476
; %bb.475:
	v_ashrrev_i32_e32 v113, 31, v112
	s_delay_alu instid0(VALU_DEP_1) | instskip(NEXT) | instid1(VALU_DEP_1)
	v_lshlrev_b64 v[52:53], 2, v[112:113]
	v_add_co_u32 v52, vcc_lo, v94, v52
	s_delay_alu instid0(VALU_DEP_2)
	v_add_co_ci_u32_e32 v53, vcc_lo, v95, v53, vcc_lo
	s_clause 0x1
	flat_load_b32 v54, v[52:53]
	flat_load_b32 v55, v[94:95] offset:88
	s_waitcnt vmcnt(1) lgkmcnt(1)
	flat_store_b32 v[94:95], v54 offset:88
	s_waitcnt vmcnt(0) lgkmcnt(1)
	flat_store_b32 v[52:53], v55
.LBB50_476:
	s_or_b32 exec_lo, exec_lo, s6
	v_mov_b32_e32 v120, v112
	v_mov_b32_e32 v93, v112
.LBB50_477:
	s_or_b32 exec_lo, exec_lo, s3
.LBB50_478:
	s_and_not1_saveexec_b32 s2, s2
	s_cbranch_execz .LBB50_480
; %bb.479:
	v_mov_b32_e32 v120, 22
	ds_store_2addr_b64 v114, v[8:9], v[10:11] offset0:46 offset1:47
	ds_store_2addr_b64 v114, v[4:5], v[6:7] offset0:48 offset1:49
	ds_store_2addr_b64 v114, v[0:1], v[2:3] offset0:50 offset1:51
.LBB50_480:
	s_or_b32 exec_lo, exec_lo, s2
	s_delay_alu instid0(SALU_CYCLE_1)
	s_mov_b32 s2, exec_lo
	s_waitcnt lgkmcnt(0)
	s_waitcnt_vscnt null, 0x0
	s_barrier
	buffer_gl0_inv
	v_cmpx_lt_i32_e32 22, v120
	s_cbranch_execz .LBB50_482
; %bb.481:
	v_mul_f64 v[52:53], v[104:105], v[14:15]
	v_mul_f64 v[14:15], v[106:107], v[14:15]
	ds_load_2addr_b64 v[121:124], v114 offset0:46 offset1:47
	ds_load_2addr_b64 v[125:128], v114 offset0:48 offset1:49
	;; [unrolled: 1-line block ×3, first 2 shown]
	v_fma_f64 v[52:53], v[106:107], v[12:13], v[52:53]
	v_fma_f64 v[12:13], v[104:105], v[12:13], -v[14:15]
	s_waitcnt lgkmcnt(2)
	s_delay_alu instid0(VALU_DEP_2)
	v_mul_f64 v[14:15], v[123:124], v[52:53]
	v_mul_f64 v[54:55], v[121:122], v[52:53]
	s_waitcnt lgkmcnt(1)
	v_mul_f64 v[104:105], v[127:128], v[52:53]
	v_mul_f64 v[106:107], v[125:126], v[52:53]
	s_waitcnt lgkmcnt(0)
	v_mul_f64 v[108:109], v[131:132], v[52:53]
	v_mul_f64 v[110:111], v[129:130], v[52:53]
	v_fma_f64 v[14:15], v[121:122], v[12:13], -v[14:15]
	v_fma_f64 v[54:55], v[123:124], v[12:13], v[54:55]
	v_fma_f64 v[104:105], v[125:126], v[12:13], -v[104:105]
	v_fma_f64 v[106:107], v[127:128], v[12:13], v[106:107]
	;; [unrolled: 2-line block ×3, first 2 shown]
	v_add_f64 v[8:9], v[8:9], -v[14:15]
	v_add_f64 v[10:11], v[10:11], -v[54:55]
	;; [unrolled: 1-line block ×6, first 2 shown]
	v_dual_mov_b32 v14, v52 :: v_dual_mov_b32 v15, v53
.LBB50_482:
	s_or_b32 exec_lo, exec_lo, s2
	v_lshl_add_u32 v52, v120, 4, v114
	s_barrier
	buffer_gl0_inv
	v_mov_b32_e32 v112, 23
	ds_store_2addr_b64 v52, v[8:9], v[10:11] offset1:1
	s_waitcnt lgkmcnt(0)
	s_barrier
	buffer_gl0_inv
	ds_load_2addr_b64 v[104:107], v114 offset0:46 offset1:47
	s_cmp_lt_i32 s5, 25
	s_cbranch_scc1 .LBB50_485
; %bb.483:
	v_add3_u32 v113, v92, 0, 0x180
	v_mov_b32_e32 v112, 23
	s_mov_b32 s6, 24
	s_set_inst_prefetch_distance 0x1
	.p2align	6
.LBB50_484:                             ; =>This Inner Loop Header: Depth=1
	ds_load_2addr_b64 v[121:124], v113 offset1:1
	s_waitcnt lgkmcnt(1)
	v_cmp_gt_f64_e32 vcc_lo, 0, v[104:105]
	v_xor_b32_e32 v52, 0x80000000, v105
	v_cmp_gt_f64_e64 s2, 0, v[106:107]
	v_xor_b32_e32 v54, 0x80000000, v107
	v_add_nc_u32_e32 v113, 16, v113
	s_waitcnt lgkmcnt(0)
	v_cmp_gt_f64_e64 s3, 0, v[121:122]
	v_mov_b32_e32 v108, v121
	v_dual_mov_b32 v110, v123 :: v_dual_cndmask_b32 v53, v105, v52
	v_xor_b32_e32 v52, 0x80000000, v122
	v_cndmask_b32_e64 v55, v107, v54, s2
	v_xor_b32_e32 v54, 0x80000000, v124
	s_delay_alu instid0(VALU_DEP_3) | instskip(SKIP_2) | instid1(VALU_DEP_2)
	v_cndmask_b32_e64 v109, v122, v52, s3
	v_cmp_gt_f64_e64 s3, 0, v[123:124]
	v_cndmask_b32_e32 v52, v104, v104, vcc_lo
	v_cndmask_b32_e64 v111, v124, v54, s3
	v_cndmask_b32_e64 v54, v106, v106, s2
	s_delay_alu instid0(VALU_DEP_2) | instskip(NEXT) | instid1(VALU_DEP_2)
	v_add_f64 v[108:109], v[108:109], v[110:111]
	v_add_f64 v[52:53], v[52:53], v[54:55]
	s_delay_alu instid0(VALU_DEP_1) | instskip(SKIP_4) | instid1(SALU_CYCLE_1)
	v_cmp_lt_f64_e32 vcc_lo, v[52:53], v[108:109]
	v_dual_cndmask_b32 v105, v105, v122 :: v_dual_cndmask_b32 v104, v104, v121
	v_dual_cndmask_b32 v107, v107, v124 :: v_dual_cndmask_b32 v106, v106, v123
	v_cndmask_b32_e64 v112, v112, s6, vcc_lo
	s_add_i32 s6, s6, 1
	s_cmp_lg_u32 s5, s6
	s_cbranch_scc1 .LBB50_484
.LBB50_485:
	s_set_inst_prefetch_distance 0x2
	s_waitcnt lgkmcnt(0)
	v_cmp_eq_f64_e32 vcc_lo, 0, v[104:105]
	v_cmp_eq_f64_e64 s2, 0, v[106:107]
	s_delay_alu instid0(VALU_DEP_1) | instskip(NEXT) | instid1(SALU_CYCLE_1)
	s_and_b32 s2, vcc_lo, s2
	s_and_saveexec_b32 s3, s2
	s_delay_alu instid0(SALU_CYCLE_1)
	s_xor_b32 s2, exec_lo, s3
; %bb.486:
	v_cmp_ne_u32_e32 vcc_lo, 0, v119
	v_cndmask_b32_e32 v119, 24, v119, vcc_lo
; %bb.487:
	s_and_not1_saveexec_b32 s3, s2
	s_cbranch_execz .LBB50_493
; %bb.488:
	v_cmp_gt_f64_e32 vcc_lo, 0, v[104:105]
	v_cmp_gt_f64_e64 s2, 0, v[106:107]
	v_xor_b32_e32 v52, 0x80000000, v105
	v_xor_b32_e32 v54, 0x80000000, v107
	s_delay_alu instid0(VALU_DEP_2) | instskip(NEXT) | instid1(VALU_DEP_2)
	v_cndmask_b32_e32 v53, v105, v52, vcc_lo
	v_cndmask_b32_e64 v55, v107, v54, s2
	v_cndmask_b32_e32 v52, v104, v104, vcc_lo
	v_cndmask_b32_e64 v54, v106, v106, s2
	s_mov_b32 s2, exec_lo
	s_delay_alu instid0(VALU_DEP_1)
	v_cmpx_ngt_f64_e32 v[52:53], v[54:55]
	s_xor_b32 s2, exec_lo, s2
	s_cbranch_execz .LBB50_490
; %bb.489:
	v_div_scale_f64 v[52:53], null, v[106:107], v[106:107], v[104:105]
	v_div_scale_f64 v[110:111], vcc_lo, v[104:105], v[106:107], v[104:105]
	s_delay_alu instid0(VALU_DEP_2) | instskip(SKIP_2) | instid1(VALU_DEP_1)
	v_rcp_f64_e32 v[54:55], v[52:53]
	s_waitcnt_depctr 0xfff
	v_fma_f64 v[108:109], -v[52:53], v[54:55], 1.0
	v_fma_f64 v[54:55], v[54:55], v[108:109], v[54:55]
	s_delay_alu instid0(VALU_DEP_1) | instskip(NEXT) | instid1(VALU_DEP_1)
	v_fma_f64 v[108:109], -v[52:53], v[54:55], 1.0
	v_fma_f64 v[54:55], v[54:55], v[108:109], v[54:55]
	s_delay_alu instid0(VALU_DEP_1) | instskip(NEXT) | instid1(VALU_DEP_1)
	v_mul_f64 v[108:109], v[110:111], v[54:55]
	v_fma_f64 v[52:53], -v[52:53], v[108:109], v[110:111]
	s_delay_alu instid0(VALU_DEP_1) | instskip(NEXT) | instid1(VALU_DEP_1)
	v_div_fmas_f64 v[52:53], v[52:53], v[54:55], v[108:109]
	v_div_fixup_f64 v[52:53], v[52:53], v[106:107], v[104:105]
	s_delay_alu instid0(VALU_DEP_1) | instskip(NEXT) | instid1(VALU_DEP_1)
	v_fma_f64 v[54:55], v[104:105], v[52:53], v[106:107]
	v_div_scale_f64 v[104:105], null, v[54:55], v[54:55], 1.0
	s_delay_alu instid0(VALU_DEP_1) | instskip(SKIP_2) | instid1(VALU_DEP_1)
	v_rcp_f64_e32 v[106:107], v[104:105]
	s_waitcnt_depctr 0xfff
	v_fma_f64 v[108:109], -v[104:105], v[106:107], 1.0
	v_fma_f64 v[106:107], v[106:107], v[108:109], v[106:107]
	s_delay_alu instid0(VALU_DEP_1) | instskip(NEXT) | instid1(VALU_DEP_1)
	v_fma_f64 v[108:109], -v[104:105], v[106:107], 1.0
	v_fma_f64 v[106:107], v[106:107], v[108:109], v[106:107]
	v_div_scale_f64 v[108:109], vcc_lo, 1.0, v[54:55], 1.0
	s_delay_alu instid0(VALU_DEP_1) | instskip(NEXT) | instid1(VALU_DEP_1)
	v_mul_f64 v[110:111], v[108:109], v[106:107]
	v_fma_f64 v[104:105], -v[104:105], v[110:111], v[108:109]
	s_delay_alu instid0(VALU_DEP_1) | instskip(NEXT) | instid1(VALU_DEP_1)
	v_div_fmas_f64 v[104:105], v[104:105], v[106:107], v[110:111]
	v_div_fixup_f64 v[106:107], v[104:105], v[54:55], 1.0
	s_delay_alu instid0(VALU_DEP_1)
	v_mul_f64 v[104:105], v[52:53], v[106:107]
	v_xor_b32_e32 v107, 0x80000000, v107
.LBB50_490:
	s_and_not1_saveexec_b32 s2, s2
	s_cbranch_execz .LBB50_492
; %bb.491:
	s_delay_alu instid0(VALU_DEP_1) | instskip(SKIP_1) | instid1(VALU_DEP_2)
	v_div_scale_f64 v[52:53], null, v[104:105], v[104:105], v[106:107]
	v_div_scale_f64 v[110:111], vcc_lo, v[106:107], v[104:105], v[106:107]
	v_rcp_f64_e32 v[54:55], v[52:53]
	s_waitcnt_depctr 0xfff
	v_fma_f64 v[108:109], -v[52:53], v[54:55], 1.0
	s_delay_alu instid0(VALU_DEP_1) | instskip(NEXT) | instid1(VALU_DEP_1)
	v_fma_f64 v[54:55], v[54:55], v[108:109], v[54:55]
	v_fma_f64 v[108:109], -v[52:53], v[54:55], 1.0
	s_delay_alu instid0(VALU_DEP_1) | instskip(NEXT) | instid1(VALU_DEP_1)
	v_fma_f64 v[54:55], v[54:55], v[108:109], v[54:55]
	v_mul_f64 v[108:109], v[110:111], v[54:55]
	s_delay_alu instid0(VALU_DEP_1) | instskip(NEXT) | instid1(VALU_DEP_1)
	v_fma_f64 v[52:53], -v[52:53], v[108:109], v[110:111]
	v_div_fmas_f64 v[52:53], v[52:53], v[54:55], v[108:109]
	s_delay_alu instid0(VALU_DEP_1) | instskip(NEXT) | instid1(VALU_DEP_1)
	v_div_fixup_f64 v[52:53], v[52:53], v[104:105], v[106:107]
	v_fma_f64 v[54:55], v[106:107], v[52:53], v[104:105]
	s_delay_alu instid0(VALU_DEP_1) | instskip(NEXT) | instid1(VALU_DEP_1)
	v_div_scale_f64 v[104:105], null, v[54:55], v[54:55], 1.0
	v_rcp_f64_e32 v[106:107], v[104:105]
	s_waitcnt_depctr 0xfff
	v_fma_f64 v[108:109], -v[104:105], v[106:107], 1.0
	s_delay_alu instid0(VALU_DEP_1) | instskip(NEXT) | instid1(VALU_DEP_1)
	v_fma_f64 v[106:107], v[106:107], v[108:109], v[106:107]
	v_fma_f64 v[108:109], -v[104:105], v[106:107], 1.0
	s_delay_alu instid0(VALU_DEP_1) | instskip(SKIP_1) | instid1(VALU_DEP_1)
	v_fma_f64 v[106:107], v[106:107], v[108:109], v[106:107]
	v_div_scale_f64 v[108:109], vcc_lo, 1.0, v[54:55], 1.0
	v_mul_f64 v[110:111], v[108:109], v[106:107]
	s_delay_alu instid0(VALU_DEP_1) | instskip(NEXT) | instid1(VALU_DEP_1)
	v_fma_f64 v[104:105], -v[104:105], v[110:111], v[108:109]
	v_div_fmas_f64 v[104:105], v[104:105], v[106:107], v[110:111]
	s_delay_alu instid0(VALU_DEP_1) | instskip(NEXT) | instid1(VALU_DEP_1)
	v_div_fixup_f64 v[104:105], v[104:105], v[54:55], 1.0
	v_mul_f64 v[106:107], v[52:53], -v[104:105]
.LBB50_492:
	s_or_b32 exec_lo, exec_lo, s2
.LBB50_493:
	s_delay_alu instid0(SALU_CYCLE_1) | instskip(NEXT) | instid1(SALU_CYCLE_1)
	s_or_b32 exec_lo, exec_lo, s3
	s_mov_b32 s2, exec_lo
	v_cmpx_ne_u32_e64 v120, v112
	s_xor_b32 s2, exec_lo, s2
	s_cbranch_execz .LBB50_499
; %bb.494:
	s_mov_b32 s3, exec_lo
	v_cmpx_eq_u32_e32 23, v120
	s_cbranch_execz .LBB50_498
; %bb.495:
	v_cmp_ne_u32_e32 vcc_lo, 23, v112
	s_xor_b32 s6, s4, -1
	s_delay_alu instid0(SALU_CYCLE_1) | instskip(NEXT) | instid1(SALU_CYCLE_1)
	s_and_b32 s7, s6, vcc_lo
	s_and_saveexec_b32 s6, s7
	s_cbranch_execz .LBB50_497
; %bb.496:
	v_ashrrev_i32_e32 v113, 31, v112
	s_delay_alu instid0(VALU_DEP_1) | instskip(NEXT) | instid1(VALU_DEP_1)
	v_lshlrev_b64 v[52:53], 2, v[112:113]
	v_add_co_u32 v52, vcc_lo, v94, v52
	s_delay_alu instid0(VALU_DEP_2)
	v_add_co_ci_u32_e32 v53, vcc_lo, v95, v53, vcc_lo
	s_clause 0x1
	flat_load_b32 v54, v[52:53]
	flat_load_b32 v55, v[94:95] offset:92
	s_waitcnt vmcnt(1) lgkmcnt(1)
	flat_store_b32 v[94:95], v54 offset:92
	s_waitcnt vmcnt(0) lgkmcnt(1)
	flat_store_b32 v[52:53], v55
.LBB50_497:
	s_or_b32 exec_lo, exec_lo, s6
	v_mov_b32_e32 v120, v112
	v_mov_b32_e32 v93, v112
.LBB50_498:
	s_or_b32 exec_lo, exec_lo, s3
.LBB50_499:
	s_and_not1_saveexec_b32 s2, s2
	s_cbranch_execz .LBB50_501
; %bb.500:
	v_mov_b32_e32 v120, 23
	ds_store_2addr_b64 v114, v[4:5], v[6:7] offset0:48 offset1:49
	ds_store_2addr_b64 v114, v[0:1], v[2:3] offset0:50 offset1:51
.LBB50_501:
	s_or_b32 exec_lo, exec_lo, s2
	s_delay_alu instid0(SALU_CYCLE_1)
	s_mov_b32 s2, exec_lo
	s_waitcnt lgkmcnt(0)
	s_waitcnt_vscnt null, 0x0
	s_barrier
	buffer_gl0_inv
	v_cmpx_lt_i32_e32 23, v120
	s_cbranch_execz .LBB50_503
; %bb.502:
	v_mul_f64 v[52:53], v[104:105], v[10:11]
	v_mul_f64 v[10:11], v[106:107], v[10:11]
	ds_load_2addr_b64 v[121:124], v114 offset0:48 offset1:49
	ds_load_2addr_b64 v[125:128], v114 offset0:50 offset1:51
	v_fma_f64 v[52:53], v[106:107], v[8:9], v[52:53]
	v_fma_f64 v[8:9], v[104:105], v[8:9], -v[10:11]
	s_waitcnt lgkmcnt(1)
	s_delay_alu instid0(VALU_DEP_2) | instskip(SKIP_4) | instid1(VALU_DEP_4)
	v_mul_f64 v[10:11], v[123:124], v[52:53]
	v_mul_f64 v[54:55], v[121:122], v[52:53]
	s_waitcnt lgkmcnt(0)
	v_mul_f64 v[104:105], v[127:128], v[52:53]
	v_mul_f64 v[106:107], v[125:126], v[52:53]
	v_fma_f64 v[10:11], v[121:122], v[8:9], -v[10:11]
	s_delay_alu instid0(VALU_DEP_4) | instskip(NEXT) | instid1(VALU_DEP_4)
	v_fma_f64 v[54:55], v[123:124], v[8:9], v[54:55]
	v_fma_f64 v[104:105], v[125:126], v[8:9], -v[104:105]
	s_delay_alu instid0(VALU_DEP_4) | instskip(NEXT) | instid1(VALU_DEP_4)
	v_fma_f64 v[106:107], v[127:128], v[8:9], v[106:107]
	v_add_f64 v[4:5], v[4:5], -v[10:11]
	s_delay_alu instid0(VALU_DEP_4) | instskip(NEXT) | instid1(VALU_DEP_4)
	v_add_f64 v[6:7], v[6:7], -v[54:55]
	v_add_f64 v[0:1], v[0:1], -v[104:105]
	s_delay_alu instid0(VALU_DEP_4)
	v_add_f64 v[2:3], v[2:3], -v[106:107]
	v_dual_mov_b32 v10, v52 :: v_dual_mov_b32 v11, v53
.LBB50_503:
	s_or_b32 exec_lo, exec_lo, s2
	v_lshl_add_u32 v52, v120, 4, v114
	s_barrier
	buffer_gl0_inv
	v_mov_b32_e32 v112, 24
	ds_store_2addr_b64 v52, v[4:5], v[6:7] offset1:1
	s_waitcnt lgkmcnt(0)
	s_barrier
	buffer_gl0_inv
	ds_load_2addr_b64 v[104:107], v114 offset0:48 offset1:49
	s_cmp_lt_i32 s5, 26
	s_cbranch_scc1 .LBB50_506
; %bb.504:
	v_add3_u32 v113, v92, 0, 0x190
	v_mov_b32_e32 v112, 24
	s_mov_b32 s6, 25
	s_set_inst_prefetch_distance 0x1
	.p2align	6
.LBB50_505:                             ; =>This Inner Loop Header: Depth=1
	ds_load_2addr_b64 v[121:124], v113 offset1:1
	s_waitcnt lgkmcnt(1)
	v_cmp_gt_f64_e32 vcc_lo, 0, v[104:105]
	v_xor_b32_e32 v52, 0x80000000, v105
	v_cmp_gt_f64_e64 s2, 0, v[106:107]
	v_xor_b32_e32 v54, 0x80000000, v107
	v_add_nc_u32_e32 v113, 16, v113
	s_waitcnt lgkmcnt(0)
	v_cmp_gt_f64_e64 s3, 0, v[121:122]
	v_mov_b32_e32 v108, v121
	v_dual_mov_b32 v110, v123 :: v_dual_cndmask_b32 v53, v105, v52
	v_xor_b32_e32 v52, 0x80000000, v122
	v_cndmask_b32_e64 v55, v107, v54, s2
	v_xor_b32_e32 v54, 0x80000000, v124
	s_delay_alu instid0(VALU_DEP_3) | instskip(SKIP_2) | instid1(VALU_DEP_2)
	v_cndmask_b32_e64 v109, v122, v52, s3
	v_cmp_gt_f64_e64 s3, 0, v[123:124]
	v_cndmask_b32_e32 v52, v104, v104, vcc_lo
	v_cndmask_b32_e64 v111, v124, v54, s3
	v_cndmask_b32_e64 v54, v106, v106, s2
	s_delay_alu instid0(VALU_DEP_2) | instskip(NEXT) | instid1(VALU_DEP_2)
	v_add_f64 v[108:109], v[108:109], v[110:111]
	v_add_f64 v[52:53], v[52:53], v[54:55]
	s_delay_alu instid0(VALU_DEP_1) | instskip(SKIP_4) | instid1(SALU_CYCLE_1)
	v_cmp_lt_f64_e32 vcc_lo, v[52:53], v[108:109]
	v_dual_cndmask_b32 v105, v105, v122 :: v_dual_cndmask_b32 v104, v104, v121
	v_dual_cndmask_b32 v107, v107, v124 :: v_dual_cndmask_b32 v106, v106, v123
	v_cndmask_b32_e64 v112, v112, s6, vcc_lo
	s_add_i32 s6, s6, 1
	s_cmp_lg_u32 s5, s6
	s_cbranch_scc1 .LBB50_505
.LBB50_506:
	s_set_inst_prefetch_distance 0x2
	s_waitcnt lgkmcnt(0)
	v_cmp_eq_f64_e32 vcc_lo, 0, v[104:105]
	v_cmp_eq_f64_e64 s2, 0, v[106:107]
	s_delay_alu instid0(VALU_DEP_1) | instskip(NEXT) | instid1(SALU_CYCLE_1)
	s_and_b32 s2, vcc_lo, s2
	s_and_saveexec_b32 s3, s2
	s_delay_alu instid0(SALU_CYCLE_1)
	s_xor_b32 s2, exec_lo, s3
; %bb.507:
	v_cmp_ne_u32_e32 vcc_lo, 0, v119
	v_cndmask_b32_e32 v119, 25, v119, vcc_lo
; %bb.508:
	s_and_not1_saveexec_b32 s3, s2
	s_cbranch_execz .LBB50_514
; %bb.509:
	v_cmp_gt_f64_e32 vcc_lo, 0, v[104:105]
	v_cmp_gt_f64_e64 s2, 0, v[106:107]
	v_xor_b32_e32 v52, 0x80000000, v105
	v_xor_b32_e32 v54, 0x80000000, v107
	s_delay_alu instid0(VALU_DEP_2) | instskip(NEXT) | instid1(VALU_DEP_2)
	v_cndmask_b32_e32 v53, v105, v52, vcc_lo
	v_cndmask_b32_e64 v55, v107, v54, s2
	v_cndmask_b32_e32 v52, v104, v104, vcc_lo
	v_cndmask_b32_e64 v54, v106, v106, s2
	s_mov_b32 s2, exec_lo
	s_delay_alu instid0(VALU_DEP_1)
	v_cmpx_ngt_f64_e32 v[52:53], v[54:55]
	s_xor_b32 s2, exec_lo, s2
	s_cbranch_execz .LBB50_511
; %bb.510:
	v_div_scale_f64 v[52:53], null, v[106:107], v[106:107], v[104:105]
	v_div_scale_f64 v[110:111], vcc_lo, v[104:105], v[106:107], v[104:105]
	s_delay_alu instid0(VALU_DEP_2) | instskip(SKIP_2) | instid1(VALU_DEP_1)
	v_rcp_f64_e32 v[54:55], v[52:53]
	s_waitcnt_depctr 0xfff
	v_fma_f64 v[108:109], -v[52:53], v[54:55], 1.0
	v_fma_f64 v[54:55], v[54:55], v[108:109], v[54:55]
	s_delay_alu instid0(VALU_DEP_1) | instskip(NEXT) | instid1(VALU_DEP_1)
	v_fma_f64 v[108:109], -v[52:53], v[54:55], 1.0
	v_fma_f64 v[54:55], v[54:55], v[108:109], v[54:55]
	s_delay_alu instid0(VALU_DEP_1) | instskip(NEXT) | instid1(VALU_DEP_1)
	v_mul_f64 v[108:109], v[110:111], v[54:55]
	v_fma_f64 v[52:53], -v[52:53], v[108:109], v[110:111]
	s_delay_alu instid0(VALU_DEP_1) | instskip(NEXT) | instid1(VALU_DEP_1)
	v_div_fmas_f64 v[52:53], v[52:53], v[54:55], v[108:109]
	v_div_fixup_f64 v[52:53], v[52:53], v[106:107], v[104:105]
	s_delay_alu instid0(VALU_DEP_1) | instskip(NEXT) | instid1(VALU_DEP_1)
	v_fma_f64 v[54:55], v[104:105], v[52:53], v[106:107]
	v_div_scale_f64 v[104:105], null, v[54:55], v[54:55], 1.0
	s_delay_alu instid0(VALU_DEP_1) | instskip(SKIP_2) | instid1(VALU_DEP_1)
	v_rcp_f64_e32 v[106:107], v[104:105]
	s_waitcnt_depctr 0xfff
	v_fma_f64 v[108:109], -v[104:105], v[106:107], 1.0
	v_fma_f64 v[106:107], v[106:107], v[108:109], v[106:107]
	s_delay_alu instid0(VALU_DEP_1) | instskip(NEXT) | instid1(VALU_DEP_1)
	v_fma_f64 v[108:109], -v[104:105], v[106:107], 1.0
	v_fma_f64 v[106:107], v[106:107], v[108:109], v[106:107]
	v_div_scale_f64 v[108:109], vcc_lo, 1.0, v[54:55], 1.0
	s_delay_alu instid0(VALU_DEP_1) | instskip(NEXT) | instid1(VALU_DEP_1)
	v_mul_f64 v[110:111], v[108:109], v[106:107]
	v_fma_f64 v[104:105], -v[104:105], v[110:111], v[108:109]
	s_delay_alu instid0(VALU_DEP_1) | instskip(NEXT) | instid1(VALU_DEP_1)
	v_div_fmas_f64 v[104:105], v[104:105], v[106:107], v[110:111]
	v_div_fixup_f64 v[106:107], v[104:105], v[54:55], 1.0
	s_delay_alu instid0(VALU_DEP_1)
	v_mul_f64 v[104:105], v[52:53], v[106:107]
	v_xor_b32_e32 v107, 0x80000000, v107
.LBB50_511:
	s_and_not1_saveexec_b32 s2, s2
	s_cbranch_execz .LBB50_513
; %bb.512:
	s_delay_alu instid0(VALU_DEP_1) | instskip(SKIP_1) | instid1(VALU_DEP_2)
	v_div_scale_f64 v[52:53], null, v[104:105], v[104:105], v[106:107]
	v_div_scale_f64 v[110:111], vcc_lo, v[106:107], v[104:105], v[106:107]
	v_rcp_f64_e32 v[54:55], v[52:53]
	s_waitcnt_depctr 0xfff
	v_fma_f64 v[108:109], -v[52:53], v[54:55], 1.0
	s_delay_alu instid0(VALU_DEP_1) | instskip(NEXT) | instid1(VALU_DEP_1)
	v_fma_f64 v[54:55], v[54:55], v[108:109], v[54:55]
	v_fma_f64 v[108:109], -v[52:53], v[54:55], 1.0
	s_delay_alu instid0(VALU_DEP_1) | instskip(NEXT) | instid1(VALU_DEP_1)
	v_fma_f64 v[54:55], v[54:55], v[108:109], v[54:55]
	v_mul_f64 v[108:109], v[110:111], v[54:55]
	s_delay_alu instid0(VALU_DEP_1) | instskip(NEXT) | instid1(VALU_DEP_1)
	v_fma_f64 v[52:53], -v[52:53], v[108:109], v[110:111]
	v_div_fmas_f64 v[52:53], v[52:53], v[54:55], v[108:109]
	s_delay_alu instid0(VALU_DEP_1) | instskip(NEXT) | instid1(VALU_DEP_1)
	v_div_fixup_f64 v[52:53], v[52:53], v[104:105], v[106:107]
	v_fma_f64 v[54:55], v[106:107], v[52:53], v[104:105]
	s_delay_alu instid0(VALU_DEP_1) | instskip(NEXT) | instid1(VALU_DEP_1)
	v_div_scale_f64 v[104:105], null, v[54:55], v[54:55], 1.0
	v_rcp_f64_e32 v[106:107], v[104:105]
	s_waitcnt_depctr 0xfff
	v_fma_f64 v[108:109], -v[104:105], v[106:107], 1.0
	s_delay_alu instid0(VALU_DEP_1) | instskip(NEXT) | instid1(VALU_DEP_1)
	v_fma_f64 v[106:107], v[106:107], v[108:109], v[106:107]
	v_fma_f64 v[108:109], -v[104:105], v[106:107], 1.0
	s_delay_alu instid0(VALU_DEP_1) | instskip(SKIP_1) | instid1(VALU_DEP_1)
	v_fma_f64 v[106:107], v[106:107], v[108:109], v[106:107]
	v_div_scale_f64 v[108:109], vcc_lo, 1.0, v[54:55], 1.0
	v_mul_f64 v[110:111], v[108:109], v[106:107]
	s_delay_alu instid0(VALU_DEP_1) | instskip(NEXT) | instid1(VALU_DEP_1)
	v_fma_f64 v[104:105], -v[104:105], v[110:111], v[108:109]
	v_div_fmas_f64 v[104:105], v[104:105], v[106:107], v[110:111]
	s_delay_alu instid0(VALU_DEP_1) | instskip(NEXT) | instid1(VALU_DEP_1)
	v_div_fixup_f64 v[104:105], v[104:105], v[54:55], 1.0
	v_mul_f64 v[106:107], v[52:53], -v[104:105]
.LBB50_513:
	s_or_b32 exec_lo, exec_lo, s2
.LBB50_514:
	s_delay_alu instid0(SALU_CYCLE_1) | instskip(NEXT) | instid1(SALU_CYCLE_1)
	s_or_b32 exec_lo, exec_lo, s3
	s_mov_b32 s2, exec_lo
	v_cmpx_ne_u32_e64 v120, v112
	s_xor_b32 s2, exec_lo, s2
	s_cbranch_execz .LBB50_520
; %bb.515:
	s_mov_b32 s3, exec_lo
	v_cmpx_eq_u32_e32 24, v120
	s_cbranch_execz .LBB50_519
; %bb.516:
	v_cmp_ne_u32_e32 vcc_lo, 24, v112
	s_xor_b32 s6, s4, -1
	s_delay_alu instid0(SALU_CYCLE_1) | instskip(NEXT) | instid1(SALU_CYCLE_1)
	s_and_b32 s7, s6, vcc_lo
	s_and_saveexec_b32 s6, s7
	s_cbranch_execz .LBB50_518
; %bb.517:
	v_ashrrev_i32_e32 v113, 31, v112
	s_delay_alu instid0(VALU_DEP_1) | instskip(NEXT) | instid1(VALU_DEP_1)
	v_lshlrev_b64 v[52:53], 2, v[112:113]
	v_add_co_u32 v52, vcc_lo, v94, v52
	s_delay_alu instid0(VALU_DEP_2)
	v_add_co_ci_u32_e32 v53, vcc_lo, v95, v53, vcc_lo
	s_clause 0x1
	flat_load_b32 v54, v[52:53]
	flat_load_b32 v55, v[94:95] offset:96
	s_waitcnt vmcnt(1) lgkmcnt(1)
	flat_store_b32 v[94:95], v54 offset:96
	s_waitcnt vmcnt(0) lgkmcnt(1)
	flat_store_b32 v[52:53], v55
.LBB50_518:
	s_or_b32 exec_lo, exec_lo, s6
	v_mov_b32_e32 v120, v112
	v_mov_b32_e32 v93, v112
.LBB50_519:
	s_or_b32 exec_lo, exec_lo, s3
.LBB50_520:
	s_and_not1_saveexec_b32 s2, s2
	s_cbranch_execz .LBB50_522
; %bb.521:
	v_mov_b32_e32 v120, 24
	ds_store_2addr_b64 v114, v[0:1], v[2:3] offset0:50 offset1:51
.LBB50_522:
	s_or_b32 exec_lo, exec_lo, s2
	s_delay_alu instid0(SALU_CYCLE_1)
	s_mov_b32 s2, exec_lo
	s_waitcnt lgkmcnt(0)
	s_waitcnt_vscnt null, 0x0
	s_barrier
	buffer_gl0_inv
	v_cmpx_lt_i32_e32 24, v120
	s_cbranch_execz .LBB50_524
; %bb.523:
	v_mul_f64 v[52:53], v[104:105], v[6:7]
	v_mul_f64 v[6:7], v[106:107], v[6:7]
	ds_load_2addr_b64 v[121:124], v114 offset0:50 offset1:51
	v_fma_f64 v[52:53], v[106:107], v[4:5], v[52:53]
	v_fma_f64 v[4:5], v[104:105], v[4:5], -v[6:7]
	s_waitcnt lgkmcnt(0)
	s_delay_alu instid0(VALU_DEP_2) | instskip(SKIP_1) | instid1(VALU_DEP_2)
	v_mul_f64 v[6:7], v[123:124], v[52:53]
	v_mul_f64 v[54:55], v[121:122], v[52:53]
	v_fma_f64 v[6:7], v[121:122], v[4:5], -v[6:7]
	s_delay_alu instid0(VALU_DEP_2) | instskip(NEXT) | instid1(VALU_DEP_2)
	v_fma_f64 v[54:55], v[123:124], v[4:5], v[54:55]
	v_add_f64 v[0:1], v[0:1], -v[6:7]
	s_delay_alu instid0(VALU_DEP_2)
	v_add_f64 v[2:3], v[2:3], -v[54:55]
	v_dual_mov_b32 v6, v52 :: v_dual_mov_b32 v7, v53
.LBB50_524:
	s_or_b32 exec_lo, exec_lo, s2
	v_lshl_add_u32 v52, v120, 4, v114
	s_barrier
	buffer_gl0_inv
	v_mov_b32_e32 v112, 25
	ds_store_2addr_b64 v52, v[0:1], v[2:3] offset1:1
	s_waitcnt lgkmcnt(0)
	s_barrier
	buffer_gl0_inv
	ds_load_2addr_b64 v[104:107], v114 offset0:50 offset1:51
	s_cmp_lt_i32 s5, 27
	s_cbranch_scc1 .LBB50_527
; %bb.525:
	v_add3_u32 v113, v92, 0, 0x1a0
	v_mov_b32_e32 v112, 25
	s_mov_b32 s6, 26
	s_set_inst_prefetch_distance 0x1
	.p2align	6
.LBB50_526:                             ; =>This Inner Loop Header: Depth=1
	ds_load_2addr_b64 v[121:124], v113 offset1:1
	s_waitcnt lgkmcnt(1)
	v_cmp_gt_f64_e32 vcc_lo, 0, v[104:105]
	v_xor_b32_e32 v52, 0x80000000, v105
	v_cmp_gt_f64_e64 s2, 0, v[106:107]
	v_xor_b32_e32 v54, 0x80000000, v107
	v_add_nc_u32_e32 v113, 16, v113
	s_waitcnt lgkmcnt(0)
	v_cmp_gt_f64_e64 s3, 0, v[121:122]
	v_mov_b32_e32 v108, v121
	v_dual_mov_b32 v110, v123 :: v_dual_cndmask_b32 v53, v105, v52
	v_xor_b32_e32 v52, 0x80000000, v122
	v_cndmask_b32_e64 v55, v107, v54, s2
	v_xor_b32_e32 v54, 0x80000000, v124
	s_delay_alu instid0(VALU_DEP_3) | instskip(SKIP_2) | instid1(VALU_DEP_2)
	v_cndmask_b32_e64 v109, v122, v52, s3
	v_cmp_gt_f64_e64 s3, 0, v[123:124]
	v_cndmask_b32_e32 v52, v104, v104, vcc_lo
	v_cndmask_b32_e64 v111, v124, v54, s3
	v_cndmask_b32_e64 v54, v106, v106, s2
	s_delay_alu instid0(VALU_DEP_2) | instskip(NEXT) | instid1(VALU_DEP_2)
	v_add_f64 v[108:109], v[108:109], v[110:111]
	v_add_f64 v[52:53], v[52:53], v[54:55]
	s_delay_alu instid0(VALU_DEP_1) | instskip(SKIP_4) | instid1(SALU_CYCLE_1)
	v_cmp_lt_f64_e32 vcc_lo, v[52:53], v[108:109]
	v_dual_cndmask_b32 v105, v105, v122 :: v_dual_cndmask_b32 v104, v104, v121
	v_dual_cndmask_b32 v107, v107, v124 :: v_dual_cndmask_b32 v106, v106, v123
	v_cndmask_b32_e64 v112, v112, s6, vcc_lo
	s_add_i32 s6, s6, 1
	s_cmp_lg_u32 s5, s6
	s_cbranch_scc1 .LBB50_526
.LBB50_527:
	s_set_inst_prefetch_distance 0x2
	s_waitcnt lgkmcnt(0)
	v_cmp_eq_f64_e32 vcc_lo, 0, v[104:105]
	v_cmp_eq_f64_e64 s2, 0, v[106:107]
	s_delay_alu instid0(VALU_DEP_1) | instskip(NEXT) | instid1(SALU_CYCLE_1)
	s_and_b32 s2, vcc_lo, s2
	s_and_saveexec_b32 s3, s2
	s_delay_alu instid0(SALU_CYCLE_1)
	s_xor_b32 s2, exec_lo, s3
; %bb.528:
	v_cmp_ne_u32_e32 vcc_lo, 0, v119
	v_cndmask_b32_e32 v119, 26, v119, vcc_lo
; %bb.529:
	s_and_not1_saveexec_b32 s3, s2
	s_cbranch_execz .LBB50_535
; %bb.530:
	v_cmp_gt_f64_e32 vcc_lo, 0, v[104:105]
	v_cmp_gt_f64_e64 s2, 0, v[106:107]
	v_xor_b32_e32 v52, 0x80000000, v105
	v_xor_b32_e32 v54, 0x80000000, v107
	s_delay_alu instid0(VALU_DEP_2) | instskip(NEXT) | instid1(VALU_DEP_2)
	v_cndmask_b32_e32 v53, v105, v52, vcc_lo
	v_cndmask_b32_e64 v55, v107, v54, s2
	v_cndmask_b32_e32 v52, v104, v104, vcc_lo
	v_cndmask_b32_e64 v54, v106, v106, s2
	s_mov_b32 s2, exec_lo
	s_delay_alu instid0(VALU_DEP_1)
	v_cmpx_ngt_f64_e32 v[52:53], v[54:55]
	s_xor_b32 s2, exec_lo, s2
	s_cbranch_execz .LBB50_532
; %bb.531:
	v_div_scale_f64 v[52:53], null, v[106:107], v[106:107], v[104:105]
	v_div_scale_f64 v[110:111], vcc_lo, v[104:105], v[106:107], v[104:105]
	s_delay_alu instid0(VALU_DEP_2) | instskip(SKIP_2) | instid1(VALU_DEP_1)
	v_rcp_f64_e32 v[54:55], v[52:53]
	s_waitcnt_depctr 0xfff
	v_fma_f64 v[108:109], -v[52:53], v[54:55], 1.0
	v_fma_f64 v[54:55], v[54:55], v[108:109], v[54:55]
	s_delay_alu instid0(VALU_DEP_1) | instskip(NEXT) | instid1(VALU_DEP_1)
	v_fma_f64 v[108:109], -v[52:53], v[54:55], 1.0
	v_fma_f64 v[54:55], v[54:55], v[108:109], v[54:55]
	s_delay_alu instid0(VALU_DEP_1) | instskip(NEXT) | instid1(VALU_DEP_1)
	v_mul_f64 v[108:109], v[110:111], v[54:55]
	v_fma_f64 v[52:53], -v[52:53], v[108:109], v[110:111]
	s_delay_alu instid0(VALU_DEP_1) | instskip(NEXT) | instid1(VALU_DEP_1)
	v_div_fmas_f64 v[52:53], v[52:53], v[54:55], v[108:109]
	v_div_fixup_f64 v[52:53], v[52:53], v[106:107], v[104:105]
	s_delay_alu instid0(VALU_DEP_1) | instskip(NEXT) | instid1(VALU_DEP_1)
	v_fma_f64 v[54:55], v[104:105], v[52:53], v[106:107]
	v_div_scale_f64 v[104:105], null, v[54:55], v[54:55], 1.0
	s_delay_alu instid0(VALU_DEP_1) | instskip(SKIP_2) | instid1(VALU_DEP_1)
	v_rcp_f64_e32 v[106:107], v[104:105]
	s_waitcnt_depctr 0xfff
	v_fma_f64 v[108:109], -v[104:105], v[106:107], 1.0
	v_fma_f64 v[106:107], v[106:107], v[108:109], v[106:107]
	s_delay_alu instid0(VALU_DEP_1) | instskip(NEXT) | instid1(VALU_DEP_1)
	v_fma_f64 v[108:109], -v[104:105], v[106:107], 1.0
	v_fma_f64 v[106:107], v[106:107], v[108:109], v[106:107]
	v_div_scale_f64 v[108:109], vcc_lo, 1.0, v[54:55], 1.0
	s_delay_alu instid0(VALU_DEP_1) | instskip(NEXT) | instid1(VALU_DEP_1)
	v_mul_f64 v[110:111], v[108:109], v[106:107]
	v_fma_f64 v[104:105], -v[104:105], v[110:111], v[108:109]
	s_delay_alu instid0(VALU_DEP_1) | instskip(NEXT) | instid1(VALU_DEP_1)
	v_div_fmas_f64 v[104:105], v[104:105], v[106:107], v[110:111]
	v_div_fixup_f64 v[106:107], v[104:105], v[54:55], 1.0
	s_delay_alu instid0(VALU_DEP_1)
	v_mul_f64 v[104:105], v[52:53], v[106:107]
	v_xor_b32_e32 v107, 0x80000000, v107
.LBB50_532:
	s_and_not1_saveexec_b32 s2, s2
	s_cbranch_execz .LBB50_534
; %bb.533:
	s_delay_alu instid0(VALU_DEP_1) | instskip(SKIP_1) | instid1(VALU_DEP_2)
	v_div_scale_f64 v[52:53], null, v[104:105], v[104:105], v[106:107]
	v_div_scale_f64 v[110:111], vcc_lo, v[106:107], v[104:105], v[106:107]
	v_rcp_f64_e32 v[54:55], v[52:53]
	s_waitcnt_depctr 0xfff
	v_fma_f64 v[108:109], -v[52:53], v[54:55], 1.0
	s_delay_alu instid0(VALU_DEP_1) | instskip(NEXT) | instid1(VALU_DEP_1)
	v_fma_f64 v[54:55], v[54:55], v[108:109], v[54:55]
	v_fma_f64 v[108:109], -v[52:53], v[54:55], 1.0
	s_delay_alu instid0(VALU_DEP_1) | instskip(NEXT) | instid1(VALU_DEP_1)
	v_fma_f64 v[54:55], v[54:55], v[108:109], v[54:55]
	v_mul_f64 v[108:109], v[110:111], v[54:55]
	s_delay_alu instid0(VALU_DEP_1) | instskip(NEXT) | instid1(VALU_DEP_1)
	v_fma_f64 v[52:53], -v[52:53], v[108:109], v[110:111]
	v_div_fmas_f64 v[52:53], v[52:53], v[54:55], v[108:109]
	s_delay_alu instid0(VALU_DEP_1) | instskip(NEXT) | instid1(VALU_DEP_1)
	v_div_fixup_f64 v[52:53], v[52:53], v[104:105], v[106:107]
	v_fma_f64 v[54:55], v[106:107], v[52:53], v[104:105]
	s_delay_alu instid0(VALU_DEP_1) | instskip(NEXT) | instid1(VALU_DEP_1)
	v_div_scale_f64 v[104:105], null, v[54:55], v[54:55], 1.0
	v_rcp_f64_e32 v[106:107], v[104:105]
	s_waitcnt_depctr 0xfff
	v_fma_f64 v[108:109], -v[104:105], v[106:107], 1.0
	s_delay_alu instid0(VALU_DEP_1) | instskip(NEXT) | instid1(VALU_DEP_1)
	v_fma_f64 v[106:107], v[106:107], v[108:109], v[106:107]
	v_fma_f64 v[108:109], -v[104:105], v[106:107], 1.0
	s_delay_alu instid0(VALU_DEP_1) | instskip(SKIP_1) | instid1(VALU_DEP_1)
	v_fma_f64 v[106:107], v[106:107], v[108:109], v[106:107]
	v_div_scale_f64 v[108:109], vcc_lo, 1.0, v[54:55], 1.0
	v_mul_f64 v[110:111], v[108:109], v[106:107]
	s_delay_alu instid0(VALU_DEP_1) | instskip(NEXT) | instid1(VALU_DEP_1)
	v_fma_f64 v[104:105], -v[104:105], v[110:111], v[108:109]
	v_div_fmas_f64 v[104:105], v[104:105], v[106:107], v[110:111]
	s_delay_alu instid0(VALU_DEP_1) | instskip(NEXT) | instid1(VALU_DEP_1)
	v_div_fixup_f64 v[104:105], v[104:105], v[54:55], 1.0
	v_mul_f64 v[106:107], v[52:53], -v[104:105]
.LBB50_534:
	s_or_b32 exec_lo, exec_lo, s2
.LBB50_535:
	s_delay_alu instid0(SALU_CYCLE_1)
	s_or_b32 exec_lo, exec_lo, s3
	v_mov_b32_e32 v113, 25
	s_mov_b32 s2, exec_lo
	v_cmpx_ne_u32_e64 v120, v112
	s_cbranch_execz .LBB50_541
; %bb.536:
	s_mov_b32 s3, exec_lo
	v_cmpx_eq_u32_e32 25, v120
	s_cbranch_execz .LBB50_540
; %bb.537:
	v_cmp_ne_u32_e32 vcc_lo, 25, v112
	s_xor_b32 s4, s4, -1
	s_delay_alu instid0(SALU_CYCLE_1) | instskip(NEXT) | instid1(SALU_CYCLE_1)
	s_and_b32 s5, s4, vcc_lo
	s_and_saveexec_b32 s4, s5
	s_cbranch_execz .LBB50_539
; %bb.538:
	v_ashrrev_i32_e32 v113, 31, v112
	s_delay_alu instid0(VALU_DEP_1) | instskip(NEXT) | instid1(VALU_DEP_1)
	v_lshlrev_b64 v[52:53], 2, v[112:113]
	v_add_co_u32 v52, vcc_lo, v94, v52
	s_delay_alu instid0(VALU_DEP_2)
	v_add_co_ci_u32_e32 v53, vcc_lo, v95, v53, vcc_lo
	s_clause 0x1
	flat_load_b32 v54, v[52:53]
	flat_load_b32 v55, v[94:95] offset:100
	s_waitcnt vmcnt(1) lgkmcnt(1)
	flat_store_b32 v[94:95], v54 offset:100
	s_waitcnt vmcnt(0) lgkmcnt(1)
	flat_store_b32 v[52:53], v55
.LBB50_539:
	s_or_b32 exec_lo, exec_lo, s4
	v_mov_b32_e32 v120, v112
	v_mov_b32_e32 v93, v112
.LBB50_540:
	s_or_b32 exec_lo, exec_lo, s3
	s_delay_alu instid0(VALU_DEP_2)
	v_mov_b32_e32 v113, v120
.LBB50_541:
	s_or_b32 exec_lo, exec_lo, s2
	s_delay_alu instid0(SALU_CYCLE_1)
	s_mov_b32 s2, exec_lo
	s_waitcnt lgkmcnt(0)
	s_waitcnt_vscnt null, 0x0
	s_barrier
	buffer_gl0_inv
	v_cmpx_lt_i32_e32 25, v113
; %bb.542:
	v_mul_f64 v[52:53], v[106:107], v[2:3]
	v_mul_f64 v[2:3], v[104:105], v[2:3]
	s_delay_alu instid0(VALU_DEP_2) | instskip(NEXT) | instid1(VALU_DEP_2)
	v_fma_f64 v[52:53], v[104:105], v[0:1], -v[52:53]
	v_fma_f64 v[2:3], v[106:107], v[0:1], v[2:3]
	s_delay_alu instid0(VALU_DEP_2)
	v_dual_mov_b32 v0, v52 :: v_dual_mov_b32 v1, v53
; %bb.543:
	s_or_b32 exec_lo, exec_lo, s2
	s_load_b256 s[0:7], s[0:1], 0x28
	v_ashrrev_i32_e32 v114, 31, v113
	s_mov_b32 s9, exec_lo
	s_waitcnt lgkmcnt(0)
	s_barrier
	buffer_gl0_inv
	v_cmpx_gt_i32_e32 26, v113
	s_cbranch_execz .LBB50_545
; %bb.544:
	v_mul_lo_u32 v54, v244, s4
	v_mul_lo_u32 v55, v243, s5
	v_mad_u64_u32 v[52:53], null, v243, s4, 0
	s_lshl_b64 s[2:3], s[2:3], 2
	s_delay_alu instid0(SALU_CYCLE_1) | instskip(SKIP_1) | instid1(VALU_DEP_1)
	s_add_u32 s0, s2, s0
	s_addc_u32 s1, s3, s1
	v_add3_u32 v53, v53, v55, v54
	v_lshlrev_b64 v[54:55], 2, v[113:114]
	s_delay_alu instid0(VALU_DEP_2) | instskip(NEXT) | instid1(VALU_DEP_1)
	v_lshlrev_b64 v[52:53], 2, v[52:53]
	v_add_co_u32 v52, vcc_lo, s0, v52
	s_delay_alu instid0(VALU_DEP_2) | instskip(NEXT) | instid1(VALU_DEP_2)
	v_add_co_ci_u32_e32 v53, vcc_lo, s1, v53, vcc_lo
	v_add_co_u32 v52, vcc_lo, v52, v54
	s_delay_alu instid0(VALU_DEP_2)
	v_add_co_ci_u32_e32 v53, vcc_lo, v53, v55, vcc_lo
	v_add3_u32 v54, v93, s13, 1
	global_store_b32 v[52:53], v54, off
.LBB50_545:
	s_or_b32 exec_lo, exec_lo, s9
	s_delay_alu instid0(SALU_CYCLE_1)
	s_mov_b32 s1, exec_lo
	v_cmpx_eq_u32_e32 0, v113
	s_cbranch_execz .LBB50_548
; %bb.546:
	v_lshlrev_b64 v[52:53], 2, v[243:244]
	v_cmp_lt_i32_e64 s0, 0, v119
	s_delay_alu instid0(VALU_DEP_2) | instskip(NEXT) | instid1(VALU_DEP_3)
	v_add_co_u32 v104, vcc_lo, s6, v52
	v_add_co_ci_u32_e32 v105, vcc_lo, s7, v53, vcc_lo
	global_load_b32 v52, v[104:105], off
	s_waitcnt vmcnt(0)
	v_cmp_eq_u32_e32 vcc_lo, 0, v52
	s_and_b32 s0, vcc_lo, s0
	s_delay_alu instid0(SALU_CYCLE_1)
	s_and_b32 exec_lo, exec_lo, s0
	s_cbranch_execz .LBB50_548
; %bb.547:
	v_add_nc_u32_e32 v52, s13, v119
	global_store_b32 v[104:105], v52, off
.LBB50_548:
	s_or_b32 exec_lo, exec_lo, s1
	s_clause 0x1
	scratch_load_b32 v92, off, off offset:32
	scratch_load_b128 v[28:31], off, off offset:16
	v_add3_u32 v52, s8, s8, v113
	v_lshlrev_b64 v[54:55], 4, v[113:114]
	s_delay_alu instid0(VALU_DEP_2) | instskip(SKIP_1) | instid1(VALU_DEP_3)
	v_add_nc_u32_e32 v104, s8, v52
	v_ashrrev_i32_e32 v53, 31, v52
	v_add_co_u32 v54, vcc_lo, v255, v54
	s_delay_alu instid0(VALU_DEP_3) | instskip(NEXT) | instid1(VALU_DEP_3)
	v_ashrrev_i32_e32 v105, 31, v104
	v_lshlrev_b64 v[52:53], 4, v[52:53]
	v_add_nc_u32_e32 v107, s8, v104
	s_delay_alu instid0(VALU_DEP_3) | instskip(NEXT) | instid1(VALU_DEP_2)
	v_lshlrev_b64 v[105:106], 4, v[104:105]
	v_add_nc_u32_e32 v104, s8, v107
	v_ashrrev_i32_e32 v108, 31, v107
	s_waitcnt vmcnt(1)
	v_add_co_ci_u32_e32 v55, vcc_lo, v92, v55, vcc_lo
	global_store_b128 v[54:55], v[100:103], off
	v_add_co_u32 v54, vcc_lo, v54, s10
	v_add_co_ci_u32_e32 v55, vcc_lo, s11, v55, vcc_lo
	v_add_co_u32 v52, vcc_lo, v255, v52
	v_add_co_ci_u32_e32 v53, vcc_lo, v92, v53, vcc_lo
	v_add_co_u32 v109, vcc_lo, v255, v105
	v_add_co_ci_u32_e32 v110, vcc_lo, v92, v106, vcc_lo
	s_waitcnt vmcnt(0)
	s_clause 0x2
	global_store_b128 v[54:55], v[28:31], off
	global_store_b128 v[52:53], v[96:99], off
	;; [unrolled: 1-line block ×3, first 2 shown]
	scratch_load_b128 v[97:100], off, off   ; 16-byte Folded Reload
	v_ashrrev_i32_e32 v105, 31, v104
	v_lshlrev_b64 v[28:29], 4, v[107:108]
	v_add_nc_u32_e32 v52, s8, v104
	s_delay_alu instid0(VALU_DEP_3) | instskip(NEXT) | instid1(VALU_DEP_2)
	v_lshlrev_b64 v[30:31], 4, v[104:105]
	v_add_nc_u32_e32 v54, s8, v52
	s_delay_alu instid0(VALU_DEP_4)
	v_add_co_u32 v28, vcc_lo, v255, v28
	v_ashrrev_i32_e32 v53, 31, v52
	v_add_co_ci_u32_e32 v29, vcc_lo, v92, v29, vcc_lo
	v_add_co_u32 v30, vcc_lo, v255, v30
	v_add_nc_u32_e32 v96, s8, v54
	v_add_co_ci_u32_e32 v31, vcc_lo, v92, v31, vcc_lo
	v_ashrrev_i32_e32 v55, 31, v54
	v_lshlrev_b64 v[52:53], 4, v[52:53]
	s_waitcnt vmcnt(0)
	s_clause 0x1
	global_store_b128 v[28:29], v[97:100], off
	global_store_b128 v[30:31], v[88:91], off
	v_ashrrev_i32_e32 v97, 31, v96
	v_lshlrev_b64 v[28:29], 4, v[54:55]
	v_add_co_u32 v30, vcc_lo, v255, v52
	v_add_co_ci_u32_e32 v31, vcc_lo, v92, v53, vcc_lo
	s_delay_alu instid0(VALU_DEP_4) | instskip(SKIP_3) | instid1(VALU_DEP_4)
	v_lshlrev_b64 v[52:53], 4, v[96:97]
	v_add_nc_u32_e32 v54, s8, v96
	v_add_co_u32 v28, vcc_lo, v255, v28
	v_add_co_ci_u32_e32 v29, vcc_lo, v92, v29, vcc_lo
	v_add_co_u32 v52, vcc_lo, v255, v52
	s_delay_alu instid0(VALU_DEP_4)
	v_add_nc_u32_e32 v88, s8, v54
	v_add_co_ci_u32_e32 v53, vcc_lo, v92, v53, vcc_lo
	v_ashrrev_i32_e32 v55, 31, v54
	global_store_b128 v[30:31], v[80:83], off
	v_ashrrev_i32_e32 v89, 31, v88
	s_clause 0x1
	global_store_b128 v[28:29], v[76:79], off
	global_store_b128 v[52:53], v[84:87], off
	v_add_nc_u32_e32 v52, s8, v88
	v_lshlrev_b64 v[30:31], 4, v[54:55]
	v_lshlrev_b64 v[28:29], 4, v[88:89]
	s_delay_alu instid0(VALU_DEP_3) | instskip(SKIP_1) | instid1(VALU_DEP_4)
	v_add_nc_u32_e32 v54, s8, v52
	v_ashrrev_i32_e32 v53, 31, v52
	v_add_co_u32 v30, vcc_lo, v255, v30
	v_add_co_ci_u32_e32 v31, vcc_lo, v92, v31, vcc_lo
	s_delay_alu instid0(VALU_DEP_4)
	v_add_nc_u32_e32 v76, s8, v54
	v_add_co_u32 v28, vcc_lo, v255, v28
	v_ashrrev_i32_e32 v55, 31, v54
	v_lshlrev_b64 v[52:53], 4, v[52:53]
	v_add_co_ci_u32_e32 v29, vcc_lo, v92, v29, vcc_lo
	v_ashrrev_i32_e32 v77, 31, v76
	s_clause 0x1
	global_store_b128 v[30:31], v[68:71], off
	global_store_b128 v[28:29], v[72:75], off
	v_lshlrev_b64 v[28:29], 4, v[54:55]
	v_add_co_u32 v30, vcc_lo, v255, v52
	v_add_co_ci_u32_e32 v31, vcc_lo, v92, v53, vcc_lo
	v_lshlrev_b64 v[52:53], 4, v[76:77]
	v_add_nc_u32_e32 v54, s8, v76
	v_add_co_u32 v28, vcc_lo, v255, v28
	v_add_co_ci_u32_e32 v29, vcc_lo, v92, v29, vcc_lo
	s_delay_alu instid0(VALU_DEP_4) | instskip(NEXT) | instid1(VALU_DEP_4)
	v_add_co_u32 v52, vcc_lo, v255, v52
	v_add_nc_u32_e32 v68, s8, v54
	v_add_co_ci_u32_e32 v53, vcc_lo, v92, v53, vcc_lo
	v_ashrrev_i32_e32 v55, 31, v54
	global_store_b128 v[30:31], v[56:59], off
	v_ashrrev_i32_e32 v69, 31, v68
	s_clause 0x1
	global_store_b128 v[28:29], v[64:67], off
	global_store_b128 v[52:53], v[60:63], off
	v_add_nc_u32_e32 v52, s8, v68
	v_lshlrev_b64 v[30:31], 4, v[54:55]
	v_lshlrev_b64 v[28:29], 4, v[68:69]
	s_delay_alu instid0(VALU_DEP_3) | instskip(SKIP_1) | instid1(VALU_DEP_4)
	v_add_nc_u32_e32 v54, s8, v52
	v_ashrrev_i32_e32 v53, 31, v52
	v_add_co_u32 v30, vcc_lo, v255, v30
	v_add_co_ci_u32_e32 v31, vcc_lo, v92, v31, vcc_lo
	s_delay_alu instid0(VALU_DEP_4)
	v_add_nc_u32_e32 v56, s8, v54
	v_add_co_u32 v28, vcc_lo, v255, v28
	v_ashrrev_i32_e32 v55, 31, v54
	v_add_co_ci_u32_e32 v29, vcc_lo, v92, v29, vcc_lo
	v_lshlrev_b64 v[52:53], 4, v[52:53]
	v_ashrrev_i32_e32 v57, 31, v56
	s_clause 0x1
	global_store_b128 v[30:31], v[48:51], off
	global_store_b128 v[28:29], v[44:47], off
	v_lshlrev_b64 v[28:29], 4, v[54:55]
	v_add_nc_u32_e32 v46, s8, v56
	v_add_co_u32 v30, vcc_lo, v255, v52
	v_lshlrev_b64 v[44:45], 4, v[56:57]
	v_add_co_ci_u32_e32 v31, vcc_lo, v92, v53, vcc_lo
	v_add_co_u32 v28, vcc_lo, v255, v28
	v_add_nc_u32_e32 v48, s8, v46
	v_add_co_ci_u32_e32 v29, vcc_lo, v92, v29, vcc_lo
	v_ashrrev_i32_e32 v47, 31, v46
	v_add_co_u32 v44, vcc_lo, v255, v44
	v_add_co_ci_u32_e32 v45, vcc_lo, v92, v45, vcc_lo
	v_ashrrev_i32_e32 v49, 31, v48
	global_store_b128 v[30:31], v[40:43], off
	v_lshlrev_b64 v[30:31], 4, v[46:47]
	s_clause 0x1
	global_store_b128 v[28:29], v[36:39], off
	global_store_b128 v[44:45], v[32:35], off
	v_add_nc_u32_e32 v32, s8, v48
	v_lshlrev_b64 v[28:29], 4, v[48:49]
	v_add_co_u32 v30, vcc_lo, v255, v30
	s_delay_alu instid0(VALU_DEP_3) | instskip(SKIP_1) | instid1(VALU_DEP_4)
	v_add_nc_u32_e32 v34, s8, v32
	v_add_co_ci_u32_e32 v31, vcc_lo, v92, v31, vcc_lo
	v_add_co_u32 v28, vcc_lo, v255, v28
	v_add_co_ci_u32_e32 v29, vcc_lo, v92, v29, vcc_lo
	s_delay_alu instid0(VALU_DEP_4)
	v_add_nc_u32_e32 v36, s8, v34
	v_ashrrev_i32_e32 v33, 31, v32
	s_clause 0x1
	global_store_b128 v[30:31], v[24:27], off
	global_store_b128 v[28:29], v[20:23], off
	v_ashrrev_i32_e32 v35, 31, v34
	v_add_nc_u32_e32 v22, s8, v36
	v_lshlrev_b64 v[24:25], 4, v[32:33]
	v_ashrrev_i32_e32 v37, 31, v36
	s_delay_alu instid0(VALU_DEP_4) | instskip(NEXT) | instid1(VALU_DEP_4)
	v_lshlrev_b64 v[20:21], 4, v[34:35]
	v_add_nc_u32_e32 v28, s8, v22
	v_ashrrev_i32_e32 v23, 31, v22
	v_add_co_u32 v24, vcc_lo, v255, v24
	v_lshlrev_b64 v[26:27], 4, v[36:37]
	s_delay_alu instid0(VALU_DEP_4)
	v_ashrrev_i32_e32 v29, 31, v28
	v_add_co_ci_u32_e32 v25, vcc_lo, v92, v25, vcc_lo
	v_add_co_u32 v20, vcc_lo, v255, v20
	v_lshlrev_b64 v[22:23], 4, v[22:23]
	v_add_co_ci_u32_e32 v21, vcc_lo, v92, v21, vcc_lo
	v_add_co_u32 v26, vcc_lo, v255, v26
	v_lshlrev_b64 v[28:29], 4, v[28:29]
	v_add_co_ci_u32_e32 v27, vcc_lo, v92, v27, vcc_lo
	v_add_co_u32 v22, vcc_lo, v255, v22
	v_add_co_ci_u32_e32 v23, vcc_lo, v92, v23, vcc_lo
	s_delay_alu instid0(VALU_DEP_4)
	v_add_co_u32 v28, vcc_lo, v255, v28
	v_add_co_ci_u32_e32 v29, vcc_lo, v92, v29, vcc_lo
	s_clause 0x4
	global_store_b128 v[24:25], v[16:19], off
	global_store_b128 v[20:21], v[12:15], off
	;; [unrolled: 1-line block ×5, first 2 shown]
.LBB50_549:
	s_nop 0
	s_sendmsg sendmsg(MSG_DEALLOC_VGPRS)
	s_endpgm
	.section	.rodata,"a",@progbits
	.p2align	6, 0x0
	.amdhsa_kernel _ZN9rocsolver6v33100L18getf2_small_kernelILi26E19rocblas_complex_numIdEiiPKPS3_EEvT1_T3_lS7_lPS7_llPT2_S7_S7_S9_l
		.amdhsa_group_segment_fixed_size 0
		.amdhsa_private_segment_fixed_size 48
		.amdhsa_kernarg_size 352
		.amdhsa_user_sgpr_count 14
		.amdhsa_user_sgpr_dispatch_ptr 0
		.amdhsa_user_sgpr_queue_ptr 0
		.amdhsa_user_sgpr_kernarg_segment_ptr 1
		.amdhsa_user_sgpr_dispatch_id 0
		.amdhsa_user_sgpr_private_segment_size 0
		.amdhsa_wavefront_size32 1
		.amdhsa_uses_dynamic_stack 0
		.amdhsa_enable_private_segment 1
		.amdhsa_system_sgpr_workgroup_id_x 1
		.amdhsa_system_sgpr_workgroup_id_y 1
		.amdhsa_system_sgpr_workgroup_id_z 0
		.amdhsa_system_sgpr_workgroup_info 0
		.amdhsa_system_vgpr_workitem_id 1
		.amdhsa_next_free_vgpr 256
		.amdhsa_next_free_sgpr 16
		.amdhsa_reserve_vcc 1
		.amdhsa_float_round_mode_32 0
		.amdhsa_float_round_mode_16_64 0
		.amdhsa_float_denorm_mode_32 3
		.amdhsa_float_denorm_mode_16_64 3
		.amdhsa_dx10_clamp 1
		.amdhsa_ieee_mode 1
		.amdhsa_fp16_overflow 0
		.amdhsa_workgroup_processor_mode 1
		.amdhsa_memory_ordered 1
		.amdhsa_forward_progress 0
		.amdhsa_shared_vgpr_count 0
		.amdhsa_exception_fp_ieee_invalid_op 0
		.amdhsa_exception_fp_denorm_src 0
		.amdhsa_exception_fp_ieee_div_zero 0
		.amdhsa_exception_fp_ieee_overflow 0
		.amdhsa_exception_fp_ieee_underflow 0
		.amdhsa_exception_fp_ieee_inexact 0
		.amdhsa_exception_int_div_zero 0
	.end_amdhsa_kernel
	.section	.text._ZN9rocsolver6v33100L18getf2_small_kernelILi26E19rocblas_complex_numIdEiiPKPS3_EEvT1_T3_lS7_lPS7_llPT2_S7_S7_S9_l,"axG",@progbits,_ZN9rocsolver6v33100L18getf2_small_kernelILi26E19rocblas_complex_numIdEiiPKPS3_EEvT1_T3_lS7_lPS7_llPT2_S7_S7_S9_l,comdat
.Lfunc_end50:
	.size	_ZN9rocsolver6v33100L18getf2_small_kernelILi26E19rocblas_complex_numIdEiiPKPS3_EEvT1_T3_lS7_lPS7_llPT2_S7_S7_S9_l, .Lfunc_end50-_ZN9rocsolver6v33100L18getf2_small_kernelILi26E19rocblas_complex_numIdEiiPKPS3_EEvT1_T3_lS7_lPS7_llPT2_S7_S7_S9_l
                                        ; -- End function
	.section	.AMDGPU.csdata,"",@progbits
; Kernel info:
; codeLenInByte = 57548
; NumSgprs: 18
; NumVgprs: 256
; ScratchSize: 48
; MemoryBound: 0
; FloatMode: 240
; IeeeMode: 1
; LDSByteSize: 0 bytes/workgroup (compile time only)
; SGPRBlocks: 2
; VGPRBlocks: 31
; NumSGPRsForWavesPerEU: 18
; NumVGPRsForWavesPerEU: 256
; Occupancy: 5
; WaveLimiterHint : 1
; COMPUTE_PGM_RSRC2:SCRATCH_EN: 1
; COMPUTE_PGM_RSRC2:USER_SGPR: 14
; COMPUTE_PGM_RSRC2:TRAP_HANDLER: 0
; COMPUTE_PGM_RSRC2:TGID_X_EN: 1
; COMPUTE_PGM_RSRC2:TGID_Y_EN: 1
; COMPUTE_PGM_RSRC2:TGID_Z_EN: 0
; COMPUTE_PGM_RSRC2:TIDIG_COMP_CNT: 1
	.section	.text._ZN9rocsolver6v33100L23getf2_npvt_small_kernelILi26E19rocblas_complex_numIdEiiPKPS3_EEvT1_T3_lS7_lPT2_S7_S7_,"axG",@progbits,_ZN9rocsolver6v33100L23getf2_npvt_small_kernelILi26E19rocblas_complex_numIdEiiPKPS3_EEvT1_T3_lS7_lPT2_S7_S7_,comdat
	.globl	_ZN9rocsolver6v33100L23getf2_npvt_small_kernelILi26E19rocblas_complex_numIdEiiPKPS3_EEvT1_T3_lS7_lPT2_S7_S7_ ; -- Begin function _ZN9rocsolver6v33100L23getf2_npvt_small_kernelILi26E19rocblas_complex_numIdEiiPKPS3_EEvT1_T3_lS7_lPT2_S7_S7_
	.p2align	8
	.type	_ZN9rocsolver6v33100L23getf2_npvt_small_kernelILi26E19rocblas_complex_numIdEiiPKPS3_EEvT1_T3_lS7_lPT2_S7_S7_,@function
_ZN9rocsolver6v33100L23getf2_npvt_small_kernelILi26E19rocblas_complex_numIdEiiPKPS3_EEvT1_T3_lS7_lPT2_S7_S7_: ; @_ZN9rocsolver6v33100L23getf2_npvt_small_kernelILi26E19rocblas_complex_numIdEiiPKPS3_EEvT1_T3_lS7_lPT2_S7_S7_
; %bb.0:
	s_clause 0x1
	s_load_b32 s2, s[0:1], 0x44
	s_load_b64 s[34:35], s[0:1], 0x30
	v_bfe_u32 v104, v0, 10, 10
	s_waitcnt lgkmcnt(0)
	s_lshr_b32 s8, s2, 16
	s_mov_b32 s2, exec_lo
	s_delay_alu instid0(VALU_DEP_1) | instskip(NEXT) | instid1(VALU_DEP_1)
	v_mad_u64_u32 v[230:231], null, s15, s8, v[104:105]
	v_cmpx_gt_i32_e64 s34, v230
	s_cbranch_execz .LBB51_239
; %bb.1:
	s_clause 0x1
	s_load_b128 s[4:7], s[0:1], 0x8
	s_load_b32 s2, s[0:1], 0x18
	v_ashrrev_i32_e32 v231, 31, v230
	v_and_b32_e32 v214, 0x3ff, v0
	v_lshlrev_b32_e32 v105, 4, v104
	s_mulk_i32 s8, 0x1a0
	v_mad_u32_u24 v216, 0x1a0, v104, 0
	v_lshlrev_b64 v[1:2], 3, v[230:231]
	v_lshlrev_b32_e32 v51, 4, v214
	v_add3_u32 v215, 0, s8, v105
	s_waitcnt lgkmcnt(0)
	s_delay_alu instid0(VALU_DEP_3) | instskip(NEXT) | instid1(VALU_DEP_4)
	v_add_co_u32 v1, vcc_lo, s4, v1
	v_add_co_ci_u32_e32 v2, vcc_lo, s5, v2, vcc_lo
	v_add3_u32 v3, s2, s2, v214
	s_lshl_b64 s[6:7], s[6:7], 4
	s_ashr_i32 s3, s2, 31
	global_load_b64 v[1:2], v[1:2], off
	s_lshl_b64 s[4:5], s[2:3], 4
	v_add_nc_u32_e32 v5, s2, v3
	v_ashrrev_i32_e32 v4, 31, v3
	v_cmp_ne_u32_e64 s3, 0, v214
	s_delay_alu instid0(VALU_DEP_3) | instskip(SKIP_1) | instid1(VALU_DEP_4)
	v_add_nc_u32_e32 v7, s2, v5
	v_ashrrev_i32_e32 v6, 31, v5
	v_lshlrev_b64 v[3:4], 4, v[3:4]
	s_delay_alu instid0(VALU_DEP_3) | instskip(SKIP_1) | instid1(VALU_DEP_4)
	v_add_nc_u32_e32 v9, s2, v7
	v_ashrrev_i32_e32 v8, 31, v7
	v_lshlrev_b64 v[5:6], 4, v[5:6]
	;; [unrolled: 4-line block ×22, first 2 shown]
	v_cmp_eq_u32_e64 s2, 0, v214
	s_delay_alu instid0(VALU_DEP_4) | instskip(NEXT) | instid1(VALU_DEP_4)
	v_ashrrev_i32_e32 v50, 31, v49
	v_lshlrev_b64 v[47:48], 4, v[47:48]
	s_waitcnt vmcnt(0)
	v_add_co_u32 v52, vcc_lo, v1, s6
	v_add_co_ci_u32_e32 v2, vcc_lo, s7, v2, vcc_lo
	v_lshlrev_b64 v[0:1], 4, v[49:50]
	s_delay_alu instid0(VALU_DEP_3) | instskip(NEXT) | instid1(VALU_DEP_3)
	v_add_co_u32 v210, vcc_lo, v52, v51
	v_add_co_ci_u32_e32 v211, vcc_lo, 0, v2, vcc_lo
	v_add_co_u32 v208, vcc_lo, v52, v3
	v_add_co_ci_u32_e32 v209, vcc_lo, v2, v4, vcc_lo
	;; [unrolled: 2-line block ×24, first 2 shown]
	v_add_co_u32 v0, vcc_lo, v52, v0
	s_clause 0x12
	global_load_b128 v[92:95], v[208:209], off
	global_load_b128 v[88:91], v[254:255], off
	global_load_b128 v[84:87], v[252:253], off
	global_load_b128 v[80:83], v[250:251], off
	global_load_b128 v[76:79], v[248:249], off
	global_load_b128 v[72:75], v[246:247], off
	global_load_b128 v[68:71], v[244:245], off
	global_load_b128 v[64:67], v[242:243], off
	global_load_b128 v[60:63], v[240:241], off
	global_load_b128 v[56:59], v[238:239], off
	global_load_b128 v[52:55], v[236:237], off
	global_load_b128 v[48:51], v[234:235], off
	global_load_b128 v[44:47], v[232:233], off
	global_load_b128 v[40:43], v[228:229], off
	global_load_b128 v[36:39], v[226:227], off
	global_load_b128 v[32:35], v[224:225], off
	global_load_b128 v[28:31], v[222:223], off
	global_load_b128 v[24:27], v[220:221], off
	global_load_b128 v[20:23], v[218:219], off
	v_add_co_ci_u32_e32 v1, vcc_lo, v2, v1, vcc_lo
	v_add_co_u32 v212, vcc_lo, v210, s4
	v_add_co_ci_u32_e32 v213, vcc_lo, s5, v211, vcc_lo
	s_clause 0x2
	scratch_store_b64 off, v[9:10], off offset:32
	scratch_store_b64 off, v[7:8], off offset:24
	;; [unrolled: 1-line block ×3, first 2 shown]
	s_clause 0x4
	global_load_b128 v[16:19], v[9:10], off
	global_load_b128 v[12:15], v[7:8], off
	;; [unrolled: 1-line block ×5, first 2 shown]
	s_clause 0x1
	scratch_store_b64 off, v[3:4], off offset:8
	scratch_store_b64 off, v[0:1], off
	s_clause 0x1
	global_load_b128 v[4:7], v[3:4], off
	global_load_b128 v[0:3], v[0:1], off
	s_and_saveexec_b32 s5, s2
	s_cbranch_execz .LBB51_8
; %bb.2:
	s_waitcnt vmcnt(3)
	ds_store_2addr_b64 v215, v[100:101], v[102:103] offset1:1
	s_waitcnt vmcnt(2)
	ds_store_2addr_b64 v216, v[96:97], v[98:99] offset0:2 offset1:3
	ds_store_2addr_b64 v216, v[92:93], v[94:95] offset0:4 offset1:5
	ds_store_2addr_b64 v216, v[88:89], v[90:91] offset0:6 offset1:7
	ds_store_2addr_b64 v216, v[84:85], v[86:87] offset0:8 offset1:9
	ds_store_2addr_b64 v216, v[80:81], v[82:83] offset0:10 offset1:11
	ds_store_2addr_b64 v216, v[76:77], v[78:79] offset0:12 offset1:13
	ds_store_2addr_b64 v216, v[72:73], v[74:75] offset0:14 offset1:15
	ds_store_2addr_b64 v216, v[68:69], v[70:71] offset0:16 offset1:17
	ds_store_2addr_b64 v216, v[64:65], v[66:67] offset0:18 offset1:19
	ds_store_2addr_b64 v216, v[60:61], v[62:63] offset0:20 offset1:21
	ds_store_2addr_b64 v216, v[56:57], v[58:59] offset0:22 offset1:23
	ds_store_2addr_b64 v216, v[52:53], v[54:55] offset0:24 offset1:25
	ds_store_2addr_b64 v216, v[48:49], v[50:51] offset0:26 offset1:27
	ds_store_2addr_b64 v216, v[44:45], v[46:47] offset0:28 offset1:29
	ds_store_2addr_b64 v216, v[40:41], v[42:43] offset0:30 offset1:31
	ds_store_2addr_b64 v216, v[36:37], v[38:39] offset0:32 offset1:33
	ds_store_2addr_b64 v216, v[32:33], v[34:35] offset0:34 offset1:35
	ds_store_2addr_b64 v216, v[28:29], v[30:31] offset0:36 offset1:37
	ds_store_2addr_b64 v216, v[24:25], v[26:27] offset0:38 offset1:39
	ds_store_2addr_b64 v216, v[20:21], v[22:23] offset0:40 offset1:41
	ds_store_2addr_b64 v216, v[16:17], v[18:19] offset0:42 offset1:43
	ds_store_2addr_b64 v216, v[12:13], v[14:15] offset0:44 offset1:45
	ds_store_2addr_b64 v216, v[8:9], v[10:11] offset0:46 offset1:47
	s_waitcnt vmcnt(1)
	ds_store_2addr_b64 v216, v[4:5], v[6:7] offset0:48 offset1:49
	s_waitcnt vmcnt(0)
	ds_store_2addr_b64 v216, v[0:1], v[2:3] offset0:50 offset1:51
	ds_load_2addr_b64 v[104:107], v215 offset1:1
	s_waitcnt lgkmcnt(0)
	v_cmp_neq_f64_e32 vcc_lo, 0, v[104:105]
	v_cmp_neq_f64_e64 s4, 0, v[106:107]
	s_delay_alu instid0(VALU_DEP_1) | instskip(NEXT) | instid1(SALU_CYCLE_1)
	s_or_b32 s4, vcc_lo, s4
	s_and_b32 exec_lo, exec_lo, s4
	s_cbranch_execz .LBB51_8
; %bb.3:
	v_cmp_gt_f64_e32 vcc_lo, 0, v[104:105]
	v_cmp_gt_f64_e64 s4, 0, v[106:107]
	v_xor_b32_e32 v108, 0x80000000, v105
	v_xor_b32_e32 v110, 0x80000000, v107
                                        ; implicit-def: $vgpr112_vgpr113
	s_delay_alu instid0(VALU_DEP_2) | instskip(NEXT) | instid1(VALU_DEP_2)
	v_cndmask_b32_e32 v109, v105, v108, vcc_lo
	v_cndmask_b32_e64 v111, v107, v110, s4
	v_cndmask_b32_e32 v108, v104, v104, vcc_lo
	v_cndmask_b32_e64 v110, v106, v106, s4
	s_mov_b32 s4, exec_lo
	s_delay_alu instid0(VALU_DEP_1)
	v_cmpx_ngt_f64_e32 v[108:109], v[110:111]
	s_xor_b32 s4, exec_lo, s4
                                        ; implicit-def: $vgpr108_vgpr109_vgpr110_vgpr111
	s_cbranch_execz .LBB51_5
; %bb.4:
	v_div_scale_f64 v[108:109], null, v[106:107], v[106:107], v[104:105]
	v_div_scale_f64 v[114:115], vcc_lo, v[104:105], v[106:107], v[104:105]
	s_delay_alu instid0(VALU_DEP_2) | instskip(SKIP_2) | instid1(VALU_DEP_1)
	v_rcp_f64_e32 v[110:111], v[108:109]
	s_waitcnt_depctr 0xfff
	v_fma_f64 v[112:113], -v[108:109], v[110:111], 1.0
	v_fma_f64 v[110:111], v[110:111], v[112:113], v[110:111]
	s_delay_alu instid0(VALU_DEP_1) | instskip(NEXT) | instid1(VALU_DEP_1)
	v_fma_f64 v[112:113], -v[108:109], v[110:111], 1.0
	v_fma_f64 v[110:111], v[110:111], v[112:113], v[110:111]
	s_delay_alu instid0(VALU_DEP_1) | instskip(NEXT) | instid1(VALU_DEP_1)
	v_mul_f64 v[112:113], v[114:115], v[110:111]
	v_fma_f64 v[108:109], -v[108:109], v[112:113], v[114:115]
	s_delay_alu instid0(VALU_DEP_1) | instskip(NEXT) | instid1(VALU_DEP_1)
	v_div_fmas_f64 v[108:109], v[108:109], v[110:111], v[112:113]
	v_div_fixup_f64 v[108:109], v[108:109], v[106:107], v[104:105]
	s_delay_alu instid0(VALU_DEP_1) | instskip(NEXT) | instid1(VALU_DEP_1)
	v_fma_f64 v[104:105], v[104:105], v[108:109], v[106:107]
	v_div_scale_f64 v[106:107], null, v[104:105], v[104:105], 1.0
	s_delay_alu instid0(VALU_DEP_1) | instskip(SKIP_2) | instid1(VALU_DEP_1)
	v_rcp_f64_e32 v[110:111], v[106:107]
	s_waitcnt_depctr 0xfff
	v_fma_f64 v[112:113], -v[106:107], v[110:111], 1.0
	v_fma_f64 v[110:111], v[110:111], v[112:113], v[110:111]
	s_delay_alu instid0(VALU_DEP_1) | instskip(NEXT) | instid1(VALU_DEP_1)
	v_fma_f64 v[112:113], -v[106:107], v[110:111], 1.0
	v_fma_f64 v[110:111], v[110:111], v[112:113], v[110:111]
	v_div_scale_f64 v[112:113], vcc_lo, 1.0, v[104:105], 1.0
	s_delay_alu instid0(VALU_DEP_1) | instskip(NEXT) | instid1(VALU_DEP_1)
	v_mul_f64 v[114:115], v[112:113], v[110:111]
	v_fma_f64 v[106:107], -v[106:107], v[114:115], v[112:113]
	s_delay_alu instid0(VALU_DEP_1) | instskip(NEXT) | instid1(VALU_DEP_1)
	v_div_fmas_f64 v[106:107], v[106:107], v[110:111], v[114:115]
	v_div_fixup_f64 v[110:111], v[106:107], v[104:105], 1.0
                                        ; implicit-def: $vgpr104_vgpr105
	s_delay_alu instid0(VALU_DEP_1)
	v_mul_f64 v[112:113], v[108:109], v[110:111]
	v_xor_b32_e32 v111, 0x80000000, v111
.LBB51_5:
	s_and_not1_saveexec_b32 s4, s4
	s_cbranch_execz .LBB51_7
; %bb.6:
	v_div_scale_f64 v[108:109], null, v[104:105], v[104:105], v[106:107]
	v_div_scale_f64 v[114:115], vcc_lo, v[106:107], v[104:105], v[106:107]
	s_delay_alu instid0(VALU_DEP_2) | instskip(SKIP_2) | instid1(VALU_DEP_1)
	v_rcp_f64_e32 v[110:111], v[108:109]
	s_waitcnt_depctr 0xfff
	v_fma_f64 v[112:113], -v[108:109], v[110:111], 1.0
	v_fma_f64 v[110:111], v[110:111], v[112:113], v[110:111]
	s_delay_alu instid0(VALU_DEP_1) | instskip(NEXT) | instid1(VALU_DEP_1)
	v_fma_f64 v[112:113], -v[108:109], v[110:111], 1.0
	v_fma_f64 v[110:111], v[110:111], v[112:113], v[110:111]
	s_delay_alu instid0(VALU_DEP_1) | instskip(NEXT) | instid1(VALU_DEP_1)
	v_mul_f64 v[112:113], v[114:115], v[110:111]
	v_fma_f64 v[108:109], -v[108:109], v[112:113], v[114:115]
	s_delay_alu instid0(VALU_DEP_1) | instskip(NEXT) | instid1(VALU_DEP_1)
	v_div_fmas_f64 v[108:109], v[108:109], v[110:111], v[112:113]
	v_div_fixup_f64 v[108:109], v[108:109], v[104:105], v[106:107]
	s_delay_alu instid0(VALU_DEP_1) | instskip(NEXT) | instid1(VALU_DEP_1)
	v_fma_f64 v[104:105], v[106:107], v[108:109], v[104:105]
	v_div_scale_f64 v[106:107], null, v[104:105], v[104:105], 1.0
	s_delay_alu instid0(VALU_DEP_1) | instskip(SKIP_2) | instid1(VALU_DEP_1)
	v_rcp_f64_e32 v[110:111], v[106:107]
	s_waitcnt_depctr 0xfff
	v_fma_f64 v[112:113], -v[106:107], v[110:111], 1.0
	v_fma_f64 v[110:111], v[110:111], v[112:113], v[110:111]
	s_delay_alu instid0(VALU_DEP_1) | instskip(NEXT) | instid1(VALU_DEP_1)
	v_fma_f64 v[112:113], -v[106:107], v[110:111], 1.0
	v_fma_f64 v[110:111], v[110:111], v[112:113], v[110:111]
	v_div_scale_f64 v[112:113], vcc_lo, 1.0, v[104:105], 1.0
	s_delay_alu instid0(VALU_DEP_1) | instskip(NEXT) | instid1(VALU_DEP_1)
	v_mul_f64 v[114:115], v[112:113], v[110:111]
	v_fma_f64 v[106:107], -v[106:107], v[114:115], v[112:113]
	s_delay_alu instid0(VALU_DEP_1) | instskip(NEXT) | instid1(VALU_DEP_1)
	v_div_fmas_f64 v[106:107], v[106:107], v[110:111], v[114:115]
	v_div_fixup_f64 v[112:113], v[106:107], v[104:105], 1.0
	s_delay_alu instid0(VALU_DEP_1)
	v_mul_f64 v[110:111], v[108:109], -v[112:113]
.LBB51_7:
	s_or_b32 exec_lo, exec_lo, s4
	ds_store_2addr_b64 v215, v[112:113], v[110:111] offset1:1
.LBB51_8:
	s_or_b32 exec_lo, exec_lo, s5
	s_waitcnt vmcnt(0) lgkmcnt(0)
	s_waitcnt_vscnt null, 0x0
	s_barrier
	buffer_gl0_inv
	ds_load_2addr_b64 v[104:107], v215 offset1:1
	s_waitcnt lgkmcnt(0)
	scratch_store_b128 off, v[104:107], off offset:40 ; 16-byte Folded Spill
	s_and_saveexec_b32 s4, s3
	s_cbranch_execz .LBB51_10
; %bb.9:
	scratch_load_b128 v[110:113], off, off offset:40 ; 16-byte Folded Reload
	s_waitcnt vmcnt(0)
	v_mul_f64 v[104:105], v[112:113], v[102:103]
	v_mul_f64 v[102:103], v[110:111], v[102:103]
	s_delay_alu instid0(VALU_DEP_2) | instskip(NEXT) | instid1(VALU_DEP_2)
	v_fma_f64 v[108:109], v[110:111], v[100:101], -v[104:105]
	v_fma_f64 v[102:103], v[112:113], v[100:101], v[102:103]
	ds_load_2addr_b64 v[104:107], v216 offset0:2 offset1:3
	ds_load_2addr_b64 v[110:113], v216 offset0:4 offset1:5
	s_waitcnt lgkmcnt(1)
	v_mul_f64 v[100:101], v[106:107], v[102:103]
	s_delay_alu instid0(VALU_DEP_1) | instskip(SKIP_1) | instid1(VALU_DEP_2)
	v_fma_f64 v[100:101], v[104:105], v[108:109], -v[100:101]
	v_mul_f64 v[104:105], v[104:105], v[102:103]
	v_add_f64 v[96:97], v[96:97], -v[100:101]
	s_delay_alu instid0(VALU_DEP_2) | instskip(SKIP_3) | instid1(VALU_DEP_3)
	v_fma_f64 v[114:115], v[106:107], v[108:109], v[104:105]
	s_waitcnt lgkmcnt(0)
	v_mul_f64 v[104:105], v[112:113], v[102:103]
	v_dual_mov_b32 v100, v108 :: v_dual_mov_b32 v101, v109
	v_add_f64 v[98:99], v[98:99], -v[114:115]
	s_delay_alu instid0(VALU_DEP_3) | instskip(SKIP_1) | instid1(VALU_DEP_2)
	v_fma_f64 v[116:117], v[110:111], v[108:109], -v[104:105]
	v_mul_f64 v[104:105], v[110:111], v[102:103]
	v_add_f64 v[92:93], v[92:93], -v[116:117]
	s_delay_alu instid0(VALU_DEP_2)
	v_fma_f64 v[118:119], v[112:113], v[108:109], v[104:105]
	ds_load_2addr_b64 v[104:107], v216 offset0:6 offset1:7
	ds_load_2addr_b64 v[110:113], v216 offset0:8 offset1:9
	s_waitcnt lgkmcnt(1)
	v_mul_f64 v[120:121], v[106:107], v[102:103]
	v_add_f64 v[94:95], v[94:95], -v[118:119]
	s_delay_alu instid0(VALU_DEP_2) | instskip(SKIP_1) | instid1(VALU_DEP_2)
	v_fma_f64 v[120:121], v[104:105], v[108:109], -v[120:121]
	v_mul_f64 v[104:105], v[104:105], v[102:103]
	v_add_f64 v[88:89], v[88:89], -v[120:121]
	s_delay_alu instid0(VALU_DEP_2) | instskip(SKIP_2) | instid1(VALU_DEP_2)
	v_fma_f64 v[122:123], v[106:107], v[108:109], v[104:105]
	s_waitcnt lgkmcnt(0)
	v_mul_f64 v[104:105], v[112:113], v[102:103]
	v_add_f64 v[90:91], v[90:91], -v[122:123]
	s_delay_alu instid0(VALU_DEP_2) | instskip(SKIP_1) | instid1(VALU_DEP_2)
	v_fma_f64 v[124:125], v[110:111], v[108:109], -v[104:105]
	v_mul_f64 v[104:105], v[110:111], v[102:103]
	v_add_f64 v[84:85], v[84:85], -v[124:125]
	s_delay_alu instid0(VALU_DEP_2)
	v_fma_f64 v[126:127], v[112:113], v[108:109], v[104:105]
	ds_load_2addr_b64 v[104:107], v216 offset0:10 offset1:11
	ds_load_2addr_b64 v[110:113], v216 offset0:12 offset1:13
	s_waitcnt lgkmcnt(1)
	v_mul_f64 v[128:129], v[106:107], v[102:103]
	v_add_f64 v[86:87], v[86:87], -v[126:127]
	s_delay_alu instid0(VALU_DEP_2) | instskip(SKIP_1) | instid1(VALU_DEP_2)
	v_fma_f64 v[128:129], v[104:105], v[108:109], -v[128:129]
	v_mul_f64 v[104:105], v[104:105], v[102:103]
	v_add_f64 v[80:81], v[80:81], -v[128:129]
	s_delay_alu instid0(VALU_DEP_2) | instskip(SKIP_2) | instid1(VALU_DEP_2)
	v_fma_f64 v[130:131], v[106:107], v[108:109], v[104:105]
	s_waitcnt lgkmcnt(0)
	v_mul_f64 v[104:105], v[112:113], v[102:103]
	v_add_f64 v[82:83], v[82:83], -v[130:131]
	s_delay_alu instid0(VALU_DEP_2) | instskip(SKIP_1) | instid1(VALU_DEP_2)
	v_fma_f64 v[132:133], v[110:111], v[108:109], -v[104:105]
	v_mul_f64 v[104:105], v[110:111], v[102:103]
	v_add_f64 v[76:77], v[76:77], -v[132:133]
	s_delay_alu instid0(VALU_DEP_2)
	v_fma_f64 v[134:135], v[112:113], v[108:109], v[104:105]
	ds_load_2addr_b64 v[104:107], v216 offset0:14 offset1:15
	ds_load_2addr_b64 v[110:113], v216 offset0:16 offset1:17
	s_waitcnt lgkmcnt(1)
	v_mul_f64 v[136:137], v[106:107], v[102:103]
	v_add_f64 v[78:79], v[78:79], -v[134:135]
	s_delay_alu instid0(VALU_DEP_2) | instskip(SKIP_1) | instid1(VALU_DEP_2)
	v_fma_f64 v[136:137], v[104:105], v[108:109], -v[136:137]
	v_mul_f64 v[104:105], v[104:105], v[102:103]
	v_add_f64 v[72:73], v[72:73], -v[136:137]
	s_delay_alu instid0(VALU_DEP_2) | instskip(SKIP_2) | instid1(VALU_DEP_2)
	v_fma_f64 v[138:139], v[106:107], v[108:109], v[104:105]
	s_waitcnt lgkmcnt(0)
	v_mul_f64 v[104:105], v[112:113], v[102:103]
	v_add_f64 v[74:75], v[74:75], -v[138:139]
	s_delay_alu instid0(VALU_DEP_2) | instskip(SKIP_1) | instid1(VALU_DEP_2)
	v_fma_f64 v[140:141], v[110:111], v[108:109], -v[104:105]
	v_mul_f64 v[104:105], v[110:111], v[102:103]
	v_add_f64 v[68:69], v[68:69], -v[140:141]
	s_delay_alu instid0(VALU_DEP_2)
	v_fma_f64 v[142:143], v[112:113], v[108:109], v[104:105]
	ds_load_2addr_b64 v[104:107], v216 offset0:18 offset1:19
	ds_load_2addr_b64 v[110:113], v216 offset0:20 offset1:21
	s_waitcnt lgkmcnt(1)
	v_mul_f64 v[144:145], v[106:107], v[102:103]
	v_add_f64 v[70:71], v[70:71], -v[142:143]
	s_delay_alu instid0(VALU_DEP_2) | instskip(SKIP_1) | instid1(VALU_DEP_2)
	v_fma_f64 v[144:145], v[104:105], v[108:109], -v[144:145]
	v_mul_f64 v[104:105], v[104:105], v[102:103]
	v_add_f64 v[64:65], v[64:65], -v[144:145]
	s_delay_alu instid0(VALU_DEP_2) | instskip(SKIP_2) | instid1(VALU_DEP_2)
	v_fma_f64 v[146:147], v[106:107], v[108:109], v[104:105]
	s_waitcnt lgkmcnt(0)
	v_mul_f64 v[104:105], v[112:113], v[102:103]
	v_add_f64 v[66:67], v[66:67], -v[146:147]
	s_delay_alu instid0(VALU_DEP_2) | instskip(SKIP_1) | instid1(VALU_DEP_2)
	v_fma_f64 v[148:149], v[110:111], v[108:109], -v[104:105]
	v_mul_f64 v[104:105], v[110:111], v[102:103]
	v_add_f64 v[60:61], v[60:61], -v[148:149]
	s_delay_alu instid0(VALU_DEP_2)
	v_fma_f64 v[150:151], v[112:113], v[108:109], v[104:105]
	ds_load_2addr_b64 v[104:107], v216 offset0:22 offset1:23
	ds_load_2addr_b64 v[110:113], v216 offset0:24 offset1:25
	s_waitcnt lgkmcnt(1)
	v_mul_f64 v[152:153], v[106:107], v[102:103]
	v_add_f64 v[62:63], v[62:63], -v[150:151]
	s_delay_alu instid0(VALU_DEP_2) | instskip(SKIP_1) | instid1(VALU_DEP_2)
	v_fma_f64 v[152:153], v[104:105], v[108:109], -v[152:153]
	v_mul_f64 v[104:105], v[104:105], v[102:103]
	v_add_f64 v[56:57], v[56:57], -v[152:153]
	s_delay_alu instid0(VALU_DEP_2) | instskip(SKIP_2) | instid1(VALU_DEP_2)
	v_fma_f64 v[154:155], v[106:107], v[108:109], v[104:105]
	s_waitcnt lgkmcnt(0)
	v_mul_f64 v[104:105], v[112:113], v[102:103]
	v_add_f64 v[58:59], v[58:59], -v[154:155]
	s_delay_alu instid0(VALU_DEP_2) | instskip(SKIP_1) | instid1(VALU_DEP_2)
	v_fma_f64 v[156:157], v[110:111], v[108:109], -v[104:105]
	v_mul_f64 v[104:105], v[110:111], v[102:103]
	v_add_f64 v[52:53], v[52:53], -v[156:157]
	s_delay_alu instid0(VALU_DEP_2)
	v_fma_f64 v[158:159], v[112:113], v[108:109], v[104:105]
	ds_load_2addr_b64 v[104:107], v216 offset0:26 offset1:27
	ds_load_2addr_b64 v[110:113], v216 offset0:28 offset1:29
	s_waitcnt lgkmcnt(1)
	v_mul_f64 v[160:161], v[106:107], v[102:103]
	v_add_f64 v[54:55], v[54:55], -v[158:159]
	s_delay_alu instid0(VALU_DEP_2) | instskip(SKIP_1) | instid1(VALU_DEP_2)
	v_fma_f64 v[160:161], v[104:105], v[108:109], -v[160:161]
	v_mul_f64 v[104:105], v[104:105], v[102:103]
	v_add_f64 v[48:49], v[48:49], -v[160:161]
	s_delay_alu instid0(VALU_DEP_2) | instskip(SKIP_2) | instid1(VALU_DEP_2)
	v_fma_f64 v[162:163], v[106:107], v[108:109], v[104:105]
	s_waitcnt lgkmcnt(0)
	v_mul_f64 v[104:105], v[112:113], v[102:103]
	v_add_f64 v[50:51], v[50:51], -v[162:163]
	s_delay_alu instid0(VALU_DEP_2) | instskip(SKIP_1) | instid1(VALU_DEP_2)
	v_fma_f64 v[164:165], v[110:111], v[108:109], -v[104:105]
	v_mul_f64 v[104:105], v[110:111], v[102:103]
	v_add_f64 v[44:45], v[44:45], -v[164:165]
	s_delay_alu instid0(VALU_DEP_2)
	v_fma_f64 v[166:167], v[112:113], v[108:109], v[104:105]
	ds_load_2addr_b64 v[104:107], v216 offset0:30 offset1:31
	ds_load_2addr_b64 v[110:113], v216 offset0:32 offset1:33
	s_waitcnt lgkmcnt(1)
	v_mul_f64 v[168:169], v[106:107], v[102:103]
	v_add_f64 v[46:47], v[46:47], -v[166:167]
	s_delay_alu instid0(VALU_DEP_2) | instskip(SKIP_1) | instid1(VALU_DEP_2)
	v_fma_f64 v[168:169], v[104:105], v[108:109], -v[168:169]
	v_mul_f64 v[104:105], v[104:105], v[102:103]
	v_add_f64 v[40:41], v[40:41], -v[168:169]
	s_delay_alu instid0(VALU_DEP_2) | instskip(SKIP_2) | instid1(VALU_DEP_2)
	v_fma_f64 v[170:171], v[106:107], v[108:109], v[104:105]
	s_waitcnt lgkmcnt(0)
	v_mul_f64 v[104:105], v[112:113], v[102:103]
	v_add_f64 v[42:43], v[42:43], -v[170:171]
	s_delay_alu instid0(VALU_DEP_2) | instskip(SKIP_1) | instid1(VALU_DEP_2)
	v_fma_f64 v[172:173], v[110:111], v[108:109], -v[104:105]
	v_mul_f64 v[104:105], v[110:111], v[102:103]
	v_add_f64 v[36:37], v[36:37], -v[172:173]
	s_delay_alu instid0(VALU_DEP_2)
	v_fma_f64 v[174:175], v[112:113], v[108:109], v[104:105]
	ds_load_2addr_b64 v[104:107], v216 offset0:34 offset1:35
	ds_load_2addr_b64 v[110:113], v216 offset0:36 offset1:37
	s_waitcnt lgkmcnt(1)
	v_mul_f64 v[176:177], v[106:107], v[102:103]
	v_add_f64 v[38:39], v[38:39], -v[174:175]
	s_delay_alu instid0(VALU_DEP_2) | instskip(SKIP_1) | instid1(VALU_DEP_2)
	v_fma_f64 v[176:177], v[104:105], v[108:109], -v[176:177]
	v_mul_f64 v[104:105], v[104:105], v[102:103]
	v_add_f64 v[32:33], v[32:33], -v[176:177]
	s_delay_alu instid0(VALU_DEP_2) | instskip(SKIP_2) | instid1(VALU_DEP_2)
	v_fma_f64 v[178:179], v[106:107], v[108:109], v[104:105]
	s_waitcnt lgkmcnt(0)
	v_mul_f64 v[104:105], v[112:113], v[102:103]
	v_add_f64 v[34:35], v[34:35], -v[178:179]
	s_delay_alu instid0(VALU_DEP_2) | instskip(SKIP_1) | instid1(VALU_DEP_2)
	v_fma_f64 v[180:181], v[110:111], v[108:109], -v[104:105]
	v_mul_f64 v[104:105], v[110:111], v[102:103]
	v_add_f64 v[28:29], v[28:29], -v[180:181]
	s_delay_alu instid0(VALU_DEP_2)
	v_fma_f64 v[182:183], v[112:113], v[108:109], v[104:105]
	ds_load_2addr_b64 v[104:107], v216 offset0:38 offset1:39
	ds_load_2addr_b64 v[110:113], v216 offset0:40 offset1:41
	s_waitcnt lgkmcnt(1)
	v_mul_f64 v[184:185], v[106:107], v[102:103]
	v_add_f64 v[30:31], v[30:31], -v[182:183]
	s_delay_alu instid0(VALU_DEP_2) | instskip(SKIP_1) | instid1(VALU_DEP_2)
	v_fma_f64 v[184:185], v[104:105], v[108:109], -v[184:185]
	v_mul_f64 v[104:105], v[104:105], v[102:103]
	v_add_f64 v[24:25], v[24:25], -v[184:185]
	s_delay_alu instid0(VALU_DEP_2) | instskip(SKIP_2) | instid1(VALU_DEP_2)
	v_fma_f64 v[186:187], v[106:107], v[108:109], v[104:105]
	s_waitcnt lgkmcnt(0)
	v_mul_f64 v[104:105], v[112:113], v[102:103]
	v_add_f64 v[26:27], v[26:27], -v[186:187]
	s_delay_alu instid0(VALU_DEP_2) | instskip(SKIP_1) | instid1(VALU_DEP_2)
	v_fma_f64 v[188:189], v[110:111], v[108:109], -v[104:105]
	v_mul_f64 v[104:105], v[110:111], v[102:103]
	v_add_f64 v[20:21], v[20:21], -v[188:189]
	s_delay_alu instid0(VALU_DEP_2)
	v_fma_f64 v[190:191], v[112:113], v[108:109], v[104:105]
	ds_load_2addr_b64 v[104:107], v216 offset0:42 offset1:43
	ds_load_2addr_b64 v[110:113], v216 offset0:44 offset1:45
	s_waitcnt lgkmcnt(1)
	v_mul_f64 v[192:193], v[106:107], v[102:103]
	v_add_f64 v[22:23], v[22:23], -v[190:191]
	s_delay_alu instid0(VALU_DEP_2) | instskip(SKIP_1) | instid1(VALU_DEP_2)
	v_fma_f64 v[192:193], v[104:105], v[108:109], -v[192:193]
	v_mul_f64 v[104:105], v[104:105], v[102:103]
	v_add_f64 v[16:17], v[16:17], -v[192:193]
	s_delay_alu instid0(VALU_DEP_2) | instskip(SKIP_2) | instid1(VALU_DEP_2)
	v_fma_f64 v[194:195], v[106:107], v[108:109], v[104:105]
	s_waitcnt lgkmcnt(0)
	v_mul_f64 v[104:105], v[112:113], v[102:103]
	v_add_f64 v[18:19], v[18:19], -v[194:195]
	s_delay_alu instid0(VALU_DEP_2) | instskip(SKIP_1) | instid1(VALU_DEP_2)
	v_fma_f64 v[196:197], v[110:111], v[108:109], -v[104:105]
	v_mul_f64 v[104:105], v[110:111], v[102:103]
	v_add_f64 v[12:13], v[12:13], -v[196:197]
	s_delay_alu instid0(VALU_DEP_2)
	v_fma_f64 v[198:199], v[112:113], v[108:109], v[104:105]
	ds_load_2addr_b64 v[104:107], v216 offset0:46 offset1:47
	ds_load_2addr_b64 v[110:113], v216 offset0:48 offset1:49
	s_waitcnt lgkmcnt(1)
	v_mul_f64 v[200:201], v[106:107], v[102:103]
	v_add_f64 v[14:15], v[14:15], -v[198:199]
	s_delay_alu instid0(VALU_DEP_2) | instskip(SKIP_1) | instid1(VALU_DEP_2)
	v_fma_f64 v[200:201], v[104:105], v[108:109], -v[200:201]
	v_mul_f64 v[104:105], v[104:105], v[102:103]
	v_add_f64 v[8:9], v[8:9], -v[200:201]
	s_delay_alu instid0(VALU_DEP_2) | instskip(SKIP_2) | instid1(VALU_DEP_2)
	v_fma_f64 v[202:203], v[106:107], v[108:109], v[104:105]
	s_waitcnt lgkmcnt(0)
	v_mul_f64 v[104:105], v[112:113], v[102:103]
	v_add_f64 v[10:11], v[10:11], -v[202:203]
	s_delay_alu instid0(VALU_DEP_2) | instskip(SKIP_1) | instid1(VALU_DEP_2)
	v_fma_f64 v[204:205], v[110:111], v[108:109], -v[104:105]
	v_mul_f64 v[104:105], v[110:111], v[102:103]
	v_add_f64 v[4:5], v[4:5], -v[204:205]
	s_delay_alu instid0(VALU_DEP_2) | instskip(SKIP_4) | instid1(VALU_DEP_2)
	v_fma_f64 v[110:111], v[112:113], v[108:109], v[104:105]
	ds_load_2addr_b64 v[104:107], v216 offset0:50 offset1:51
	s_waitcnt lgkmcnt(0)
	v_mul_f64 v[112:113], v[106:107], v[102:103]
	v_add_f64 v[6:7], v[6:7], -v[110:111]
	v_fma_f64 v[112:113], v[104:105], v[108:109], -v[112:113]
	v_mul_f64 v[104:105], v[104:105], v[102:103]
	s_delay_alu instid0(VALU_DEP_2) | instskip(NEXT) | instid1(VALU_DEP_2)
	v_add_f64 v[0:1], v[0:1], -v[112:113]
	v_fma_f64 v[104:105], v[106:107], v[108:109], v[104:105]
	s_delay_alu instid0(VALU_DEP_1)
	v_add_f64 v[2:3], v[2:3], -v[104:105]
.LBB51_10:
	s_or_b32 exec_lo, exec_lo, s4
	s_delay_alu instid0(SALU_CYCLE_1)
	s_mov_b32 s4, exec_lo
	s_waitcnt_vscnt null, 0x0
	s_barrier
	buffer_gl0_inv
	v_cmpx_eq_u32_e32 1, v214
	s_cbranch_execz .LBB51_17
; %bb.11:
	ds_store_2addr_b64 v215, v[96:97], v[98:99] offset1:1
	ds_store_2addr_b64 v216, v[92:93], v[94:95] offset0:4 offset1:5
	ds_store_2addr_b64 v216, v[88:89], v[90:91] offset0:6 offset1:7
	;; [unrolled: 1-line block ×24, first 2 shown]
	ds_load_2addr_b64 v[108:111], v215 offset1:1
	s_waitcnt lgkmcnt(0)
	v_cmp_neq_f64_e32 vcc_lo, 0, v[108:109]
	v_cmp_neq_f64_e64 s3, 0, v[110:111]
	s_delay_alu instid0(VALU_DEP_1) | instskip(NEXT) | instid1(SALU_CYCLE_1)
	s_or_b32 s3, vcc_lo, s3
	s_and_b32 exec_lo, exec_lo, s3
	s_cbranch_execz .LBB51_17
; %bb.12:
	v_cmp_gt_f64_e32 vcc_lo, 0, v[108:109]
	v_cmp_gt_f64_e64 s3, 0, v[110:111]
	v_xor_b32_e32 v104, 0x80000000, v109
	v_xor_b32_e32 v106, 0x80000000, v111
	s_delay_alu instid0(VALU_DEP_2) | instskip(NEXT) | instid1(VALU_DEP_2)
	v_cndmask_b32_e32 v105, v109, v104, vcc_lo
	v_cndmask_b32_e64 v107, v111, v106, s3
	v_cndmask_b32_e32 v104, v108, v108, vcc_lo
	v_cndmask_b32_e64 v106, v110, v110, s3
	s_delay_alu instid0(VALU_DEP_1) | instskip(SKIP_1) | instid1(SALU_CYCLE_1)
	v_cmp_ngt_f64_e32 vcc_lo, v[104:105], v[106:107]
                                        ; implicit-def: $vgpr104_vgpr105
	s_and_saveexec_b32 s3, vcc_lo
	s_xor_b32 s3, exec_lo, s3
                                        ; implicit-def: $vgpr112_vgpr113_vgpr114_vgpr115
	s_cbranch_execz .LBB51_14
; %bb.13:
	v_div_scale_f64 v[104:105], null, v[110:111], v[110:111], v[108:109]
	v_div_scale_f64 v[114:115], vcc_lo, v[108:109], v[110:111], v[108:109]
	s_delay_alu instid0(VALU_DEP_2) | instskip(SKIP_2) | instid1(VALU_DEP_1)
	v_rcp_f64_e32 v[106:107], v[104:105]
	s_waitcnt_depctr 0xfff
	v_fma_f64 v[112:113], -v[104:105], v[106:107], 1.0
	v_fma_f64 v[106:107], v[106:107], v[112:113], v[106:107]
	s_delay_alu instid0(VALU_DEP_1) | instskip(NEXT) | instid1(VALU_DEP_1)
	v_fma_f64 v[112:113], -v[104:105], v[106:107], 1.0
	v_fma_f64 v[106:107], v[106:107], v[112:113], v[106:107]
	s_delay_alu instid0(VALU_DEP_1) | instskip(NEXT) | instid1(VALU_DEP_1)
	v_mul_f64 v[112:113], v[114:115], v[106:107]
	v_fma_f64 v[104:105], -v[104:105], v[112:113], v[114:115]
	s_delay_alu instid0(VALU_DEP_1) | instskip(NEXT) | instid1(VALU_DEP_1)
	v_div_fmas_f64 v[104:105], v[104:105], v[106:107], v[112:113]
	v_div_fixup_f64 v[104:105], v[104:105], v[110:111], v[108:109]
	s_delay_alu instid0(VALU_DEP_1) | instskip(NEXT) | instid1(VALU_DEP_1)
	v_fma_f64 v[106:107], v[108:109], v[104:105], v[110:111]
	v_div_scale_f64 v[108:109], null, v[106:107], v[106:107], 1.0
	s_delay_alu instid0(VALU_DEP_1) | instskip(SKIP_2) | instid1(VALU_DEP_1)
	v_rcp_f64_e32 v[110:111], v[108:109]
	s_waitcnt_depctr 0xfff
	v_fma_f64 v[112:113], -v[108:109], v[110:111], 1.0
	v_fma_f64 v[110:111], v[110:111], v[112:113], v[110:111]
	s_delay_alu instid0(VALU_DEP_1) | instskip(NEXT) | instid1(VALU_DEP_1)
	v_fma_f64 v[112:113], -v[108:109], v[110:111], 1.0
	v_fma_f64 v[110:111], v[110:111], v[112:113], v[110:111]
	v_div_scale_f64 v[112:113], vcc_lo, 1.0, v[106:107], 1.0
	s_delay_alu instid0(VALU_DEP_1) | instskip(NEXT) | instid1(VALU_DEP_1)
	v_mul_f64 v[114:115], v[112:113], v[110:111]
	v_fma_f64 v[108:109], -v[108:109], v[114:115], v[112:113]
	s_delay_alu instid0(VALU_DEP_1) | instskip(NEXT) | instid1(VALU_DEP_1)
	v_div_fmas_f64 v[108:109], v[108:109], v[110:111], v[114:115]
	v_div_fixup_f64 v[114:115], v[108:109], v[106:107], 1.0
                                        ; implicit-def: $vgpr108_vgpr109
	s_delay_alu instid0(VALU_DEP_1)
	v_mul_f64 v[104:105], v[104:105], v[114:115]
	v_xor_b32_e32 v115, 0x80000000, v115
.LBB51_14:
	s_and_not1_saveexec_b32 s3, s3
	s_cbranch_execz .LBB51_16
; %bb.15:
	v_div_scale_f64 v[104:105], null, v[108:109], v[108:109], v[110:111]
	v_div_scale_f64 v[114:115], vcc_lo, v[110:111], v[108:109], v[110:111]
	s_delay_alu instid0(VALU_DEP_2) | instskip(SKIP_2) | instid1(VALU_DEP_1)
	v_rcp_f64_e32 v[106:107], v[104:105]
	s_waitcnt_depctr 0xfff
	v_fma_f64 v[112:113], -v[104:105], v[106:107], 1.0
	v_fma_f64 v[106:107], v[106:107], v[112:113], v[106:107]
	s_delay_alu instid0(VALU_DEP_1) | instskip(NEXT) | instid1(VALU_DEP_1)
	v_fma_f64 v[112:113], -v[104:105], v[106:107], 1.0
	v_fma_f64 v[106:107], v[106:107], v[112:113], v[106:107]
	s_delay_alu instid0(VALU_DEP_1) | instskip(NEXT) | instid1(VALU_DEP_1)
	v_mul_f64 v[112:113], v[114:115], v[106:107]
	v_fma_f64 v[104:105], -v[104:105], v[112:113], v[114:115]
	s_delay_alu instid0(VALU_DEP_1) | instskip(NEXT) | instid1(VALU_DEP_1)
	v_div_fmas_f64 v[104:105], v[104:105], v[106:107], v[112:113]
	v_div_fixup_f64 v[106:107], v[104:105], v[108:109], v[110:111]
	s_delay_alu instid0(VALU_DEP_1) | instskip(NEXT) | instid1(VALU_DEP_1)
	v_fma_f64 v[104:105], v[110:111], v[106:107], v[108:109]
	v_div_scale_f64 v[108:109], null, v[104:105], v[104:105], 1.0
	s_delay_alu instid0(VALU_DEP_1) | instskip(SKIP_2) | instid1(VALU_DEP_1)
	v_rcp_f64_e32 v[110:111], v[108:109]
	s_waitcnt_depctr 0xfff
	v_fma_f64 v[112:113], -v[108:109], v[110:111], 1.0
	v_fma_f64 v[110:111], v[110:111], v[112:113], v[110:111]
	s_delay_alu instid0(VALU_DEP_1) | instskip(NEXT) | instid1(VALU_DEP_1)
	v_fma_f64 v[112:113], -v[108:109], v[110:111], 1.0
	v_fma_f64 v[110:111], v[110:111], v[112:113], v[110:111]
	v_div_scale_f64 v[112:113], vcc_lo, 1.0, v[104:105], 1.0
	s_delay_alu instid0(VALU_DEP_1) | instskip(NEXT) | instid1(VALU_DEP_1)
	v_mul_f64 v[114:115], v[112:113], v[110:111]
	v_fma_f64 v[108:109], -v[108:109], v[114:115], v[112:113]
	s_delay_alu instid0(VALU_DEP_1) | instskip(NEXT) | instid1(VALU_DEP_1)
	v_div_fmas_f64 v[108:109], v[108:109], v[110:111], v[114:115]
	v_div_fixup_f64 v[104:105], v[108:109], v[104:105], 1.0
	s_delay_alu instid0(VALU_DEP_1)
	v_mul_f64 v[114:115], v[106:107], -v[104:105]
.LBB51_16:
	s_or_b32 exec_lo, exec_lo, s3
	ds_store_2addr_b64 v215, v[104:105], v[114:115] offset1:1
.LBB51_17:
	s_or_b32 exec_lo, exec_lo, s4
	s_waitcnt lgkmcnt(0)
	s_barrier
	buffer_gl0_inv
	ds_load_2addr_b64 v[104:107], v215 offset1:1
	s_mov_b32 s3, exec_lo
	s_waitcnt lgkmcnt(0)
	scratch_store_b128 off, v[104:107], off offset:56 ; 16-byte Folded Spill
	v_cmpx_lt_u32_e32 1, v214
	s_cbranch_execz .LBB51_19
; %bb.18:
	scratch_load_b128 v[106:109], off, off offset:56 ; 16-byte Folded Reload
	s_waitcnt vmcnt(0)
	v_mul_f64 v[104:105], v[108:109], v[98:99]
	v_mul_f64 v[98:99], v[106:107], v[98:99]
	s_delay_alu instid0(VALU_DEP_2) | instskip(NEXT) | instid1(VALU_DEP_2)
	v_fma_f64 v[112:113], v[106:107], v[96:97], -v[104:105]
	v_fma_f64 v[98:99], v[108:109], v[96:97], v[98:99]
	ds_load_2addr_b64 v[104:107], v216 offset0:4 offset1:5
	ds_load_2addr_b64 v[118:121], v216 offset0:6 offset1:7
	s_waitcnt lgkmcnt(1)
	v_mul_f64 v[96:97], v[106:107], v[98:99]
	s_delay_alu instid0(VALU_DEP_1) | instskip(SKIP_1) | instid1(VALU_DEP_2)
	v_fma_f64 v[96:97], v[104:105], v[112:113], -v[96:97]
	v_mul_f64 v[104:105], v[104:105], v[98:99]
	v_add_f64 v[92:93], v[92:93], -v[96:97]
	s_delay_alu instid0(VALU_DEP_2) | instskip(SKIP_3) | instid1(VALU_DEP_3)
	v_fma_f64 v[114:115], v[106:107], v[112:113], v[104:105]
	s_waitcnt lgkmcnt(0)
	v_mul_f64 v[104:105], v[120:121], v[98:99]
	v_dual_mov_b32 v96, v112 :: v_dual_mov_b32 v97, v113
	v_add_f64 v[94:95], v[94:95], -v[114:115]
	s_delay_alu instid0(VALU_DEP_3) | instskip(SKIP_1) | instid1(VALU_DEP_2)
	v_fma_f64 v[116:117], v[118:119], v[112:113], -v[104:105]
	v_mul_f64 v[104:105], v[118:119], v[98:99]
	v_add_f64 v[88:89], v[88:89], -v[116:117]
	s_delay_alu instid0(VALU_DEP_2)
	v_fma_f64 v[118:119], v[120:121], v[112:113], v[104:105]
	ds_load_2addr_b64 v[104:107], v216 offset0:8 offset1:9
	ds_load_2addr_b64 v[126:129], v216 offset0:10 offset1:11
	s_waitcnt lgkmcnt(1)
	v_mul_f64 v[120:121], v[106:107], v[98:99]
	v_add_f64 v[90:91], v[90:91], -v[118:119]
	s_delay_alu instid0(VALU_DEP_2) | instskip(SKIP_1) | instid1(VALU_DEP_2)
	v_fma_f64 v[120:121], v[104:105], v[112:113], -v[120:121]
	v_mul_f64 v[104:105], v[104:105], v[98:99]
	v_add_f64 v[84:85], v[84:85], -v[120:121]
	s_delay_alu instid0(VALU_DEP_2) | instskip(SKIP_2) | instid1(VALU_DEP_2)
	v_fma_f64 v[122:123], v[106:107], v[112:113], v[104:105]
	s_waitcnt lgkmcnt(0)
	v_mul_f64 v[104:105], v[128:129], v[98:99]
	v_add_f64 v[86:87], v[86:87], -v[122:123]
	s_delay_alu instid0(VALU_DEP_2) | instskip(SKIP_1) | instid1(VALU_DEP_2)
	v_fma_f64 v[124:125], v[126:127], v[112:113], -v[104:105]
	v_mul_f64 v[104:105], v[126:127], v[98:99]
	v_add_f64 v[80:81], v[80:81], -v[124:125]
	s_delay_alu instid0(VALU_DEP_2)
	v_fma_f64 v[126:127], v[128:129], v[112:113], v[104:105]
	ds_load_2addr_b64 v[104:107], v216 offset0:12 offset1:13
	ds_load_2addr_b64 v[134:137], v216 offset0:14 offset1:15
	s_waitcnt lgkmcnt(1)
	v_mul_f64 v[128:129], v[106:107], v[98:99]
	v_add_f64 v[82:83], v[82:83], -v[126:127]
	s_delay_alu instid0(VALU_DEP_2) | instskip(SKIP_1) | instid1(VALU_DEP_2)
	v_fma_f64 v[128:129], v[104:105], v[112:113], -v[128:129]
	v_mul_f64 v[104:105], v[104:105], v[98:99]
	v_add_f64 v[76:77], v[76:77], -v[128:129]
	s_delay_alu instid0(VALU_DEP_2) | instskip(SKIP_2) | instid1(VALU_DEP_2)
	v_fma_f64 v[130:131], v[106:107], v[112:113], v[104:105]
	s_waitcnt lgkmcnt(0)
	v_mul_f64 v[104:105], v[136:137], v[98:99]
	v_add_f64 v[78:79], v[78:79], -v[130:131]
	s_delay_alu instid0(VALU_DEP_2) | instskip(SKIP_1) | instid1(VALU_DEP_2)
	;; [unrolled: 20-line block ×11, first 2 shown]
	v_fma_f64 v[106:107], v[136:137], v[112:113], -v[106:107]
	v_mul_f64 v[136:137], v[136:137], v[98:99]
	v_add_f64 v[0:1], v[0:1], -v[106:107]
	s_delay_alu instid0(VALU_DEP_2) | instskip(NEXT) | instid1(VALU_DEP_1)
	v_fma_f64 v[136:137], v[138:139], v[112:113], v[136:137]
	v_add_f64 v[2:3], v[2:3], -v[136:137]
.LBB51_19:
	s_or_b32 exec_lo, exec_lo, s3
	s_delay_alu instid0(SALU_CYCLE_1)
	s_mov_b32 s4, exec_lo
	s_waitcnt_vscnt null, 0x0
	s_barrier
	buffer_gl0_inv
	v_cmpx_eq_u32_e32 2, v214
	s_cbranch_execz .LBB51_26
; %bb.20:
	ds_store_2addr_b64 v215, v[92:93], v[94:95] offset1:1
	ds_store_2addr_b64 v216, v[88:89], v[90:91] offset0:6 offset1:7
	ds_store_2addr_b64 v216, v[84:85], v[86:87] offset0:8 offset1:9
	;; [unrolled: 1-line block ×23, first 2 shown]
	ds_load_2addr_b64 v[112:115], v215 offset1:1
	s_waitcnt lgkmcnt(0)
	v_cmp_neq_f64_e32 vcc_lo, 0, v[112:113]
	v_cmp_neq_f64_e64 s3, 0, v[114:115]
	s_delay_alu instid0(VALU_DEP_1) | instskip(NEXT) | instid1(SALU_CYCLE_1)
	s_or_b32 s3, vcc_lo, s3
	s_and_b32 exec_lo, exec_lo, s3
	s_cbranch_execz .LBB51_26
; %bb.21:
	v_cmp_gt_f64_e32 vcc_lo, 0, v[112:113]
	v_cmp_gt_f64_e64 s3, 0, v[114:115]
	v_xor_b32_e32 v104, 0x80000000, v113
	v_xor_b32_e32 v106, 0x80000000, v115
	s_delay_alu instid0(VALU_DEP_2) | instskip(NEXT) | instid1(VALU_DEP_2)
	v_cndmask_b32_e32 v105, v113, v104, vcc_lo
	v_cndmask_b32_e64 v107, v115, v106, s3
	v_cndmask_b32_e32 v104, v112, v112, vcc_lo
	v_cndmask_b32_e64 v106, v114, v114, s3
	s_delay_alu instid0(VALU_DEP_1) | instskip(SKIP_1) | instid1(SALU_CYCLE_1)
	v_cmp_ngt_f64_e32 vcc_lo, v[104:105], v[106:107]
                                        ; implicit-def: $vgpr104_vgpr105
	s_and_saveexec_b32 s3, vcc_lo
	s_xor_b32 s3, exec_lo, s3
                                        ; implicit-def: $vgpr116_vgpr117_vgpr118_vgpr119
	s_cbranch_execz .LBB51_23
; %bb.22:
	v_div_scale_f64 v[104:105], null, v[114:115], v[114:115], v[112:113]
	v_div_scale_f64 v[118:119], vcc_lo, v[112:113], v[114:115], v[112:113]
	s_delay_alu instid0(VALU_DEP_2) | instskip(SKIP_2) | instid1(VALU_DEP_1)
	v_rcp_f64_e32 v[106:107], v[104:105]
	s_waitcnt_depctr 0xfff
	v_fma_f64 v[116:117], -v[104:105], v[106:107], 1.0
	v_fma_f64 v[106:107], v[106:107], v[116:117], v[106:107]
	s_delay_alu instid0(VALU_DEP_1) | instskip(NEXT) | instid1(VALU_DEP_1)
	v_fma_f64 v[116:117], -v[104:105], v[106:107], 1.0
	v_fma_f64 v[106:107], v[106:107], v[116:117], v[106:107]
	s_delay_alu instid0(VALU_DEP_1) | instskip(NEXT) | instid1(VALU_DEP_1)
	v_mul_f64 v[116:117], v[118:119], v[106:107]
	v_fma_f64 v[104:105], -v[104:105], v[116:117], v[118:119]
	s_delay_alu instid0(VALU_DEP_1) | instskip(NEXT) | instid1(VALU_DEP_1)
	v_div_fmas_f64 v[104:105], v[104:105], v[106:107], v[116:117]
	v_div_fixup_f64 v[104:105], v[104:105], v[114:115], v[112:113]
	s_delay_alu instid0(VALU_DEP_1) | instskip(NEXT) | instid1(VALU_DEP_1)
	v_fma_f64 v[106:107], v[112:113], v[104:105], v[114:115]
	v_div_scale_f64 v[112:113], null, v[106:107], v[106:107], 1.0
	s_delay_alu instid0(VALU_DEP_1) | instskip(SKIP_2) | instid1(VALU_DEP_1)
	v_rcp_f64_e32 v[114:115], v[112:113]
	s_waitcnt_depctr 0xfff
	v_fma_f64 v[116:117], -v[112:113], v[114:115], 1.0
	v_fma_f64 v[114:115], v[114:115], v[116:117], v[114:115]
	s_delay_alu instid0(VALU_DEP_1) | instskip(NEXT) | instid1(VALU_DEP_1)
	v_fma_f64 v[116:117], -v[112:113], v[114:115], 1.0
	v_fma_f64 v[114:115], v[114:115], v[116:117], v[114:115]
	v_div_scale_f64 v[116:117], vcc_lo, 1.0, v[106:107], 1.0
	s_delay_alu instid0(VALU_DEP_1) | instskip(NEXT) | instid1(VALU_DEP_1)
	v_mul_f64 v[118:119], v[116:117], v[114:115]
	v_fma_f64 v[112:113], -v[112:113], v[118:119], v[116:117]
	s_delay_alu instid0(VALU_DEP_1) | instskip(NEXT) | instid1(VALU_DEP_1)
	v_div_fmas_f64 v[112:113], v[112:113], v[114:115], v[118:119]
	v_div_fixup_f64 v[118:119], v[112:113], v[106:107], 1.0
                                        ; implicit-def: $vgpr112_vgpr113
	s_delay_alu instid0(VALU_DEP_1)
	v_mul_f64 v[104:105], v[104:105], v[118:119]
	v_xor_b32_e32 v119, 0x80000000, v119
.LBB51_23:
	s_and_not1_saveexec_b32 s3, s3
	s_cbranch_execz .LBB51_25
; %bb.24:
	v_div_scale_f64 v[104:105], null, v[112:113], v[112:113], v[114:115]
	v_div_scale_f64 v[118:119], vcc_lo, v[114:115], v[112:113], v[114:115]
	s_delay_alu instid0(VALU_DEP_2) | instskip(SKIP_2) | instid1(VALU_DEP_1)
	v_rcp_f64_e32 v[106:107], v[104:105]
	s_waitcnt_depctr 0xfff
	v_fma_f64 v[116:117], -v[104:105], v[106:107], 1.0
	v_fma_f64 v[106:107], v[106:107], v[116:117], v[106:107]
	s_delay_alu instid0(VALU_DEP_1) | instskip(NEXT) | instid1(VALU_DEP_1)
	v_fma_f64 v[116:117], -v[104:105], v[106:107], 1.0
	v_fma_f64 v[106:107], v[106:107], v[116:117], v[106:107]
	s_delay_alu instid0(VALU_DEP_1) | instskip(NEXT) | instid1(VALU_DEP_1)
	v_mul_f64 v[116:117], v[118:119], v[106:107]
	v_fma_f64 v[104:105], -v[104:105], v[116:117], v[118:119]
	s_delay_alu instid0(VALU_DEP_1) | instskip(NEXT) | instid1(VALU_DEP_1)
	v_div_fmas_f64 v[104:105], v[104:105], v[106:107], v[116:117]
	v_div_fixup_f64 v[106:107], v[104:105], v[112:113], v[114:115]
	s_delay_alu instid0(VALU_DEP_1) | instskip(NEXT) | instid1(VALU_DEP_1)
	v_fma_f64 v[104:105], v[114:115], v[106:107], v[112:113]
	v_div_scale_f64 v[112:113], null, v[104:105], v[104:105], 1.0
	s_delay_alu instid0(VALU_DEP_1) | instskip(SKIP_2) | instid1(VALU_DEP_1)
	v_rcp_f64_e32 v[114:115], v[112:113]
	s_waitcnt_depctr 0xfff
	v_fma_f64 v[116:117], -v[112:113], v[114:115], 1.0
	v_fma_f64 v[114:115], v[114:115], v[116:117], v[114:115]
	s_delay_alu instid0(VALU_DEP_1) | instskip(NEXT) | instid1(VALU_DEP_1)
	v_fma_f64 v[116:117], -v[112:113], v[114:115], 1.0
	v_fma_f64 v[114:115], v[114:115], v[116:117], v[114:115]
	v_div_scale_f64 v[116:117], vcc_lo, 1.0, v[104:105], 1.0
	s_delay_alu instid0(VALU_DEP_1) | instskip(NEXT) | instid1(VALU_DEP_1)
	v_mul_f64 v[118:119], v[116:117], v[114:115]
	v_fma_f64 v[112:113], -v[112:113], v[118:119], v[116:117]
	s_delay_alu instid0(VALU_DEP_1) | instskip(NEXT) | instid1(VALU_DEP_1)
	v_div_fmas_f64 v[112:113], v[112:113], v[114:115], v[118:119]
	v_div_fixup_f64 v[104:105], v[112:113], v[104:105], 1.0
	s_delay_alu instid0(VALU_DEP_1)
	v_mul_f64 v[118:119], v[106:107], -v[104:105]
.LBB51_25:
	s_or_b32 exec_lo, exec_lo, s3
	ds_store_2addr_b64 v215, v[104:105], v[118:119] offset1:1
.LBB51_26:
	s_or_b32 exec_lo, exec_lo, s4
	s_waitcnt lgkmcnt(0)
	s_barrier
	buffer_gl0_inv
	ds_load_2addr_b64 v[112:115], v215 offset1:1
	s_mov_b32 s3, exec_lo
	v_cmpx_lt_u32_e32 2, v214
	s_cbranch_execz .LBB51_28
; %bb.27:
	s_waitcnt lgkmcnt(0)
	v_mul_f64 v[104:105], v[114:115], v[94:95]
	v_mul_f64 v[94:95], v[112:113], v[94:95]
	s_delay_alu instid0(VALU_DEP_2) | instskip(NEXT) | instid1(VALU_DEP_2)
	v_fma_f64 v[116:117], v[112:113], v[92:93], -v[104:105]
	v_fma_f64 v[94:95], v[114:115], v[92:93], v[94:95]
	ds_load_2addr_b64 v[104:107], v216 offset0:6 offset1:7
	ds_load_2addr_b64 v[122:125], v216 offset0:8 offset1:9
	s_waitcnt lgkmcnt(1)
	v_mul_f64 v[92:93], v[106:107], v[94:95]
	s_delay_alu instid0(VALU_DEP_1) | instskip(SKIP_1) | instid1(VALU_DEP_2)
	v_fma_f64 v[92:93], v[104:105], v[116:117], -v[92:93]
	v_mul_f64 v[104:105], v[104:105], v[94:95]
	v_add_f64 v[88:89], v[88:89], -v[92:93]
	s_delay_alu instid0(VALU_DEP_2) | instskip(SKIP_3) | instid1(VALU_DEP_3)
	v_fma_f64 v[118:119], v[106:107], v[116:117], v[104:105]
	s_waitcnt lgkmcnt(0)
	v_mul_f64 v[104:105], v[124:125], v[94:95]
	v_dual_mov_b32 v92, v116 :: v_dual_mov_b32 v93, v117
	v_add_f64 v[90:91], v[90:91], -v[118:119]
	s_delay_alu instid0(VALU_DEP_3) | instskip(SKIP_1) | instid1(VALU_DEP_2)
	v_fma_f64 v[120:121], v[122:123], v[116:117], -v[104:105]
	v_mul_f64 v[104:105], v[122:123], v[94:95]
	v_add_f64 v[84:85], v[84:85], -v[120:121]
	s_delay_alu instid0(VALU_DEP_2)
	v_fma_f64 v[122:123], v[124:125], v[116:117], v[104:105]
	ds_load_2addr_b64 v[104:107], v216 offset0:10 offset1:11
	ds_load_2addr_b64 v[130:133], v216 offset0:12 offset1:13
	s_waitcnt lgkmcnt(1)
	v_mul_f64 v[124:125], v[106:107], v[94:95]
	v_add_f64 v[86:87], v[86:87], -v[122:123]
	s_delay_alu instid0(VALU_DEP_2) | instskip(SKIP_1) | instid1(VALU_DEP_2)
	v_fma_f64 v[124:125], v[104:105], v[116:117], -v[124:125]
	v_mul_f64 v[104:105], v[104:105], v[94:95]
	v_add_f64 v[80:81], v[80:81], -v[124:125]
	s_delay_alu instid0(VALU_DEP_2) | instskip(SKIP_2) | instid1(VALU_DEP_2)
	v_fma_f64 v[126:127], v[106:107], v[116:117], v[104:105]
	s_waitcnt lgkmcnt(0)
	v_mul_f64 v[104:105], v[132:133], v[94:95]
	v_add_f64 v[82:83], v[82:83], -v[126:127]
	s_delay_alu instid0(VALU_DEP_2) | instskip(SKIP_1) | instid1(VALU_DEP_2)
	v_fma_f64 v[128:129], v[130:131], v[116:117], -v[104:105]
	v_mul_f64 v[104:105], v[130:131], v[94:95]
	v_add_f64 v[76:77], v[76:77], -v[128:129]
	s_delay_alu instid0(VALU_DEP_2)
	v_fma_f64 v[130:131], v[132:133], v[116:117], v[104:105]
	ds_load_2addr_b64 v[104:107], v216 offset0:14 offset1:15
	ds_load_2addr_b64 v[132:135], v216 offset0:16 offset1:17
	s_waitcnt lgkmcnt(1)
	v_mul_f64 v[136:137], v[106:107], v[94:95]
	v_add_f64 v[78:79], v[78:79], -v[130:131]
	s_delay_alu instid0(VALU_DEP_2) | instskip(SKIP_1) | instid1(VALU_DEP_2)
	v_fma_f64 v[136:137], v[104:105], v[116:117], -v[136:137]
	v_mul_f64 v[104:105], v[104:105], v[94:95]
	v_add_f64 v[72:73], v[72:73], -v[136:137]
	s_delay_alu instid0(VALU_DEP_2) | instskip(SKIP_2) | instid1(VALU_DEP_2)
	v_fma_f64 v[138:139], v[106:107], v[116:117], v[104:105]
	s_waitcnt lgkmcnt(0)
	v_mul_f64 v[104:105], v[134:135], v[94:95]
	v_add_f64 v[74:75], v[74:75], -v[138:139]
	s_delay_alu instid0(VALU_DEP_2) | instskip(SKIP_1) | instid1(VALU_DEP_2)
	;; [unrolled: 20-line block ×10, first 2 shown]
	v_fma_f64 v[204:205], v[132:133], v[116:117], -v[104:105]
	v_mul_f64 v[104:105], v[132:133], v[94:95]
	v_add_f64 v[4:5], v[4:5], -v[204:205]
	s_delay_alu instid0(VALU_DEP_2) | instskip(SKIP_4) | instid1(VALU_DEP_2)
	v_fma_f64 v[132:133], v[134:135], v[116:117], v[104:105]
	ds_load_2addr_b64 v[104:107], v216 offset0:50 offset1:51
	s_waitcnt lgkmcnt(0)
	v_mul_f64 v[134:135], v[106:107], v[94:95]
	v_add_f64 v[6:7], v[6:7], -v[132:133]
	v_fma_f64 v[134:135], v[104:105], v[116:117], -v[134:135]
	v_mul_f64 v[104:105], v[104:105], v[94:95]
	s_delay_alu instid0(VALU_DEP_2) | instskip(NEXT) | instid1(VALU_DEP_2)
	v_add_f64 v[0:1], v[0:1], -v[134:135]
	v_fma_f64 v[104:105], v[106:107], v[116:117], v[104:105]
	s_delay_alu instid0(VALU_DEP_1)
	v_add_f64 v[2:3], v[2:3], -v[104:105]
.LBB51_28:
	s_or_b32 exec_lo, exec_lo, s3
	s_delay_alu instid0(SALU_CYCLE_1)
	s_mov_b32 s4, exec_lo
	s_waitcnt lgkmcnt(0)
	s_barrier
	buffer_gl0_inv
	v_cmpx_eq_u32_e32 3, v214
	s_cbranch_execz .LBB51_35
; %bb.29:
	ds_store_2addr_b64 v215, v[88:89], v[90:91] offset1:1
	ds_store_2addr_b64 v216, v[84:85], v[86:87] offset0:8 offset1:9
	ds_store_2addr_b64 v216, v[80:81], v[82:83] offset0:10 offset1:11
	;; [unrolled: 1-line block ×22, first 2 shown]
	ds_load_2addr_b64 v[116:119], v215 offset1:1
	s_waitcnt lgkmcnt(0)
	v_cmp_neq_f64_e32 vcc_lo, 0, v[116:117]
	v_cmp_neq_f64_e64 s3, 0, v[118:119]
	s_delay_alu instid0(VALU_DEP_1) | instskip(NEXT) | instid1(SALU_CYCLE_1)
	s_or_b32 s3, vcc_lo, s3
	s_and_b32 exec_lo, exec_lo, s3
	s_cbranch_execz .LBB51_35
; %bb.30:
	v_cmp_gt_f64_e32 vcc_lo, 0, v[116:117]
	v_cmp_gt_f64_e64 s3, 0, v[118:119]
	v_xor_b32_e32 v104, 0x80000000, v117
	v_xor_b32_e32 v106, 0x80000000, v119
	s_delay_alu instid0(VALU_DEP_2) | instskip(NEXT) | instid1(VALU_DEP_2)
	v_cndmask_b32_e32 v105, v117, v104, vcc_lo
	v_cndmask_b32_e64 v107, v119, v106, s3
	v_cndmask_b32_e32 v104, v116, v116, vcc_lo
	v_cndmask_b32_e64 v106, v118, v118, s3
	s_delay_alu instid0(VALU_DEP_1) | instskip(SKIP_1) | instid1(SALU_CYCLE_1)
	v_cmp_ngt_f64_e32 vcc_lo, v[104:105], v[106:107]
                                        ; implicit-def: $vgpr104_vgpr105
	s_and_saveexec_b32 s3, vcc_lo
	s_xor_b32 s3, exec_lo, s3
                                        ; implicit-def: $vgpr120_vgpr121_vgpr122_vgpr123
	s_cbranch_execz .LBB51_32
; %bb.31:
	v_div_scale_f64 v[104:105], null, v[118:119], v[118:119], v[116:117]
	v_div_scale_f64 v[122:123], vcc_lo, v[116:117], v[118:119], v[116:117]
	s_delay_alu instid0(VALU_DEP_2) | instskip(SKIP_2) | instid1(VALU_DEP_1)
	v_rcp_f64_e32 v[106:107], v[104:105]
	s_waitcnt_depctr 0xfff
	v_fma_f64 v[120:121], -v[104:105], v[106:107], 1.0
	v_fma_f64 v[106:107], v[106:107], v[120:121], v[106:107]
	s_delay_alu instid0(VALU_DEP_1) | instskip(NEXT) | instid1(VALU_DEP_1)
	v_fma_f64 v[120:121], -v[104:105], v[106:107], 1.0
	v_fma_f64 v[106:107], v[106:107], v[120:121], v[106:107]
	s_delay_alu instid0(VALU_DEP_1) | instskip(NEXT) | instid1(VALU_DEP_1)
	v_mul_f64 v[120:121], v[122:123], v[106:107]
	v_fma_f64 v[104:105], -v[104:105], v[120:121], v[122:123]
	s_delay_alu instid0(VALU_DEP_1) | instskip(NEXT) | instid1(VALU_DEP_1)
	v_div_fmas_f64 v[104:105], v[104:105], v[106:107], v[120:121]
	v_div_fixup_f64 v[104:105], v[104:105], v[118:119], v[116:117]
	s_delay_alu instid0(VALU_DEP_1) | instskip(NEXT) | instid1(VALU_DEP_1)
	v_fma_f64 v[106:107], v[116:117], v[104:105], v[118:119]
	v_div_scale_f64 v[116:117], null, v[106:107], v[106:107], 1.0
	s_delay_alu instid0(VALU_DEP_1) | instskip(SKIP_2) | instid1(VALU_DEP_1)
	v_rcp_f64_e32 v[118:119], v[116:117]
	s_waitcnt_depctr 0xfff
	v_fma_f64 v[120:121], -v[116:117], v[118:119], 1.0
	v_fma_f64 v[118:119], v[118:119], v[120:121], v[118:119]
	s_delay_alu instid0(VALU_DEP_1) | instskip(NEXT) | instid1(VALU_DEP_1)
	v_fma_f64 v[120:121], -v[116:117], v[118:119], 1.0
	v_fma_f64 v[118:119], v[118:119], v[120:121], v[118:119]
	v_div_scale_f64 v[120:121], vcc_lo, 1.0, v[106:107], 1.0
	s_delay_alu instid0(VALU_DEP_1) | instskip(NEXT) | instid1(VALU_DEP_1)
	v_mul_f64 v[122:123], v[120:121], v[118:119]
	v_fma_f64 v[116:117], -v[116:117], v[122:123], v[120:121]
	s_delay_alu instid0(VALU_DEP_1) | instskip(NEXT) | instid1(VALU_DEP_1)
	v_div_fmas_f64 v[116:117], v[116:117], v[118:119], v[122:123]
	v_div_fixup_f64 v[122:123], v[116:117], v[106:107], 1.0
                                        ; implicit-def: $vgpr116_vgpr117
	s_delay_alu instid0(VALU_DEP_1)
	v_mul_f64 v[104:105], v[104:105], v[122:123]
	v_xor_b32_e32 v123, 0x80000000, v123
.LBB51_32:
	s_and_not1_saveexec_b32 s3, s3
	s_cbranch_execz .LBB51_34
; %bb.33:
	v_div_scale_f64 v[104:105], null, v[116:117], v[116:117], v[118:119]
	v_div_scale_f64 v[122:123], vcc_lo, v[118:119], v[116:117], v[118:119]
	s_delay_alu instid0(VALU_DEP_2) | instskip(SKIP_2) | instid1(VALU_DEP_1)
	v_rcp_f64_e32 v[106:107], v[104:105]
	s_waitcnt_depctr 0xfff
	v_fma_f64 v[120:121], -v[104:105], v[106:107], 1.0
	v_fma_f64 v[106:107], v[106:107], v[120:121], v[106:107]
	s_delay_alu instid0(VALU_DEP_1) | instskip(NEXT) | instid1(VALU_DEP_1)
	v_fma_f64 v[120:121], -v[104:105], v[106:107], 1.0
	v_fma_f64 v[106:107], v[106:107], v[120:121], v[106:107]
	s_delay_alu instid0(VALU_DEP_1) | instskip(NEXT) | instid1(VALU_DEP_1)
	v_mul_f64 v[120:121], v[122:123], v[106:107]
	v_fma_f64 v[104:105], -v[104:105], v[120:121], v[122:123]
	s_delay_alu instid0(VALU_DEP_1) | instskip(NEXT) | instid1(VALU_DEP_1)
	v_div_fmas_f64 v[104:105], v[104:105], v[106:107], v[120:121]
	v_div_fixup_f64 v[106:107], v[104:105], v[116:117], v[118:119]
	s_delay_alu instid0(VALU_DEP_1) | instskip(NEXT) | instid1(VALU_DEP_1)
	v_fma_f64 v[104:105], v[118:119], v[106:107], v[116:117]
	v_div_scale_f64 v[116:117], null, v[104:105], v[104:105], 1.0
	s_delay_alu instid0(VALU_DEP_1) | instskip(SKIP_2) | instid1(VALU_DEP_1)
	v_rcp_f64_e32 v[118:119], v[116:117]
	s_waitcnt_depctr 0xfff
	v_fma_f64 v[120:121], -v[116:117], v[118:119], 1.0
	v_fma_f64 v[118:119], v[118:119], v[120:121], v[118:119]
	s_delay_alu instid0(VALU_DEP_1) | instskip(NEXT) | instid1(VALU_DEP_1)
	v_fma_f64 v[120:121], -v[116:117], v[118:119], 1.0
	v_fma_f64 v[118:119], v[118:119], v[120:121], v[118:119]
	v_div_scale_f64 v[120:121], vcc_lo, 1.0, v[104:105], 1.0
	s_delay_alu instid0(VALU_DEP_1) | instskip(NEXT) | instid1(VALU_DEP_1)
	v_mul_f64 v[122:123], v[120:121], v[118:119]
	v_fma_f64 v[116:117], -v[116:117], v[122:123], v[120:121]
	s_delay_alu instid0(VALU_DEP_1) | instskip(NEXT) | instid1(VALU_DEP_1)
	v_div_fmas_f64 v[116:117], v[116:117], v[118:119], v[122:123]
	v_div_fixup_f64 v[104:105], v[116:117], v[104:105], 1.0
	s_delay_alu instid0(VALU_DEP_1)
	v_mul_f64 v[122:123], v[106:107], -v[104:105]
.LBB51_34:
	s_or_b32 exec_lo, exec_lo, s3
	ds_store_2addr_b64 v215, v[104:105], v[122:123] offset1:1
.LBB51_35:
	s_or_b32 exec_lo, exec_lo, s4
	s_waitcnt lgkmcnt(0)
	s_barrier
	buffer_gl0_inv
	ds_load_2addr_b64 v[116:119], v215 offset1:1
	s_mov_b32 s3, exec_lo
	v_cmpx_lt_u32_e32 3, v214
	s_cbranch_execz .LBB51_37
; %bb.36:
	s_waitcnt lgkmcnt(0)
	v_mul_f64 v[104:105], v[118:119], v[90:91]
	v_mul_f64 v[90:91], v[116:117], v[90:91]
	s_delay_alu instid0(VALU_DEP_2) | instskip(NEXT) | instid1(VALU_DEP_2)
	v_fma_f64 v[120:121], v[116:117], v[88:89], -v[104:105]
	v_fma_f64 v[90:91], v[118:119], v[88:89], v[90:91]
	ds_load_2addr_b64 v[104:107], v216 offset0:8 offset1:9
	ds_load_2addr_b64 v[126:129], v216 offset0:10 offset1:11
	s_waitcnt lgkmcnt(1)
	v_mul_f64 v[88:89], v[106:107], v[90:91]
	s_delay_alu instid0(VALU_DEP_1) | instskip(SKIP_1) | instid1(VALU_DEP_2)
	v_fma_f64 v[88:89], v[104:105], v[120:121], -v[88:89]
	v_mul_f64 v[104:105], v[104:105], v[90:91]
	v_add_f64 v[84:85], v[84:85], -v[88:89]
	s_delay_alu instid0(VALU_DEP_2) | instskip(SKIP_3) | instid1(VALU_DEP_3)
	v_fma_f64 v[122:123], v[106:107], v[120:121], v[104:105]
	s_waitcnt lgkmcnt(0)
	v_mul_f64 v[104:105], v[128:129], v[90:91]
	v_dual_mov_b32 v88, v120 :: v_dual_mov_b32 v89, v121
	v_add_f64 v[86:87], v[86:87], -v[122:123]
	s_delay_alu instid0(VALU_DEP_3) | instskip(SKIP_1) | instid1(VALU_DEP_2)
	v_fma_f64 v[124:125], v[126:127], v[120:121], -v[104:105]
	v_mul_f64 v[104:105], v[126:127], v[90:91]
	v_add_f64 v[80:81], v[80:81], -v[124:125]
	s_delay_alu instid0(VALU_DEP_2)
	v_fma_f64 v[126:127], v[128:129], v[120:121], v[104:105]
	ds_load_2addr_b64 v[104:107], v216 offset0:12 offset1:13
	ds_load_2addr_b64 v[134:137], v216 offset0:14 offset1:15
	s_waitcnt lgkmcnt(1)
	v_mul_f64 v[128:129], v[106:107], v[90:91]
	v_add_f64 v[82:83], v[82:83], -v[126:127]
	s_delay_alu instid0(VALU_DEP_2) | instskip(SKIP_1) | instid1(VALU_DEP_2)
	v_fma_f64 v[128:129], v[104:105], v[120:121], -v[128:129]
	v_mul_f64 v[104:105], v[104:105], v[90:91]
	v_add_f64 v[76:77], v[76:77], -v[128:129]
	s_delay_alu instid0(VALU_DEP_2) | instskip(SKIP_2) | instid1(VALU_DEP_2)
	v_fma_f64 v[130:131], v[106:107], v[120:121], v[104:105]
	s_waitcnt lgkmcnt(0)
	v_mul_f64 v[104:105], v[136:137], v[90:91]
	v_add_f64 v[78:79], v[78:79], -v[130:131]
	s_delay_alu instid0(VALU_DEP_2) | instskip(SKIP_1) | instid1(VALU_DEP_2)
	v_fma_f64 v[132:133], v[134:135], v[120:121], -v[104:105]
	v_mul_f64 v[104:105], v[134:135], v[90:91]
	v_add_f64 v[72:73], v[72:73], -v[132:133]
	s_delay_alu instid0(VALU_DEP_2)
	v_fma_f64 v[134:135], v[136:137], v[120:121], v[104:105]
	ds_load_2addr_b64 v[104:107], v216 offset0:16 offset1:17
	ds_load_2addr_b64 v[136:139], v216 offset0:18 offset1:19
	s_waitcnt lgkmcnt(1)
	v_mul_f64 v[140:141], v[106:107], v[90:91]
	v_add_f64 v[74:75], v[74:75], -v[134:135]
	s_delay_alu instid0(VALU_DEP_2) | instskip(SKIP_1) | instid1(VALU_DEP_2)
	v_fma_f64 v[140:141], v[104:105], v[120:121], -v[140:141]
	v_mul_f64 v[104:105], v[104:105], v[90:91]
	v_add_f64 v[68:69], v[68:69], -v[140:141]
	s_delay_alu instid0(VALU_DEP_2) | instskip(SKIP_2) | instid1(VALU_DEP_2)
	v_fma_f64 v[142:143], v[106:107], v[120:121], v[104:105]
	s_waitcnt lgkmcnt(0)
	v_mul_f64 v[104:105], v[138:139], v[90:91]
	v_add_f64 v[70:71], v[70:71], -v[142:143]
	s_delay_alu instid0(VALU_DEP_2) | instskip(SKIP_1) | instid1(VALU_DEP_2)
	;; [unrolled: 20-line block ×10, first 2 shown]
	v_fma_f64 v[106:107], v[136:137], v[120:121], -v[106:107]
	v_mul_f64 v[136:137], v[136:137], v[90:91]
	v_add_f64 v[0:1], v[0:1], -v[106:107]
	s_delay_alu instid0(VALU_DEP_2) | instskip(NEXT) | instid1(VALU_DEP_1)
	v_fma_f64 v[136:137], v[138:139], v[120:121], v[136:137]
	v_add_f64 v[2:3], v[2:3], -v[136:137]
.LBB51_37:
	s_or_b32 exec_lo, exec_lo, s3
	s_delay_alu instid0(SALU_CYCLE_1)
	s_mov_b32 s4, exec_lo
	s_waitcnt lgkmcnt(0)
	s_barrier
	buffer_gl0_inv
	v_cmpx_eq_u32_e32 4, v214
	s_cbranch_execz .LBB51_44
; %bb.38:
	ds_store_2addr_b64 v215, v[84:85], v[86:87] offset1:1
	ds_store_2addr_b64 v216, v[80:81], v[82:83] offset0:10 offset1:11
	ds_store_2addr_b64 v216, v[76:77], v[78:79] offset0:12 offset1:13
	;; [unrolled: 1-line block ×21, first 2 shown]
	ds_load_2addr_b64 v[120:123], v215 offset1:1
	s_waitcnt lgkmcnt(0)
	v_cmp_neq_f64_e32 vcc_lo, 0, v[120:121]
	v_cmp_neq_f64_e64 s3, 0, v[122:123]
	s_delay_alu instid0(VALU_DEP_1) | instskip(NEXT) | instid1(SALU_CYCLE_1)
	s_or_b32 s3, vcc_lo, s3
	s_and_b32 exec_lo, exec_lo, s3
	s_cbranch_execz .LBB51_44
; %bb.39:
	v_cmp_gt_f64_e32 vcc_lo, 0, v[120:121]
	v_cmp_gt_f64_e64 s3, 0, v[122:123]
	v_xor_b32_e32 v104, 0x80000000, v121
	v_xor_b32_e32 v106, 0x80000000, v123
	s_delay_alu instid0(VALU_DEP_2) | instskip(NEXT) | instid1(VALU_DEP_2)
	v_cndmask_b32_e32 v105, v121, v104, vcc_lo
	v_cndmask_b32_e64 v107, v123, v106, s3
	v_cndmask_b32_e32 v104, v120, v120, vcc_lo
	v_cndmask_b32_e64 v106, v122, v122, s3
	s_delay_alu instid0(VALU_DEP_1) | instskip(SKIP_1) | instid1(SALU_CYCLE_1)
	v_cmp_ngt_f64_e32 vcc_lo, v[104:105], v[106:107]
                                        ; implicit-def: $vgpr104_vgpr105
	s_and_saveexec_b32 s3, vcc_lo
	s_xor_b32 s3, exec_lo, s3
                                        ; implicit-def: $vgpr124_vgpr125_vgpr126_vgpr127
	s_cbranch_execz .LBB51_41
; %bb.40:
	v_div_scale_f64 v[104:105], null, v[122:123], v[122:123], v[120:121]
	v_div_scale_f64 v[126:127], vcc_lo, v[120:121], v[122:123], v[120:121]
	s_delay_alu instid0(VALU_DEP_2) | instskip(SKIP_2) | instid1(VALU_DEP_1)
	v_rcp_f64_e32 v[106:107], v[104:105]
	s_waitcnt_depctr 0xfff
	v_fma_f64 v[124:125], -v[104:105], v[106:107], 1.0
	v_fma_f64 v[106:107], v[106:107], v[124:125], v[106:107]
	s_delay_alu instid0(VALU_DEP_1) | instskip(NEXT) | instid1(VALU_DEP_1)
	v_fma_f64 v[124:125], -v[104:105], v[106:107], 1.0
	v_fma_f64 v[106:107], v[106:107], v[124:125], v[106:107]
	s_delay_alu instid0(VALU_DEP_1) | instskip(NEXT) | instid1(VALU_DEP_1)
	v_mul_f64 v[124:125], v[126:127], v[106:107]
	v_fma_f64 v[104:105], -v[104:105], v[124:125], v[126:127]
	s_delay_alu instid0(VALU_DEP_1) | instskip(NEXT) | instid1(VALU_DEP_1)
	v_div_fmas_f64 v[104:105], v[104:105], v[106:107], v[124:125]
	v_div_fixup_f64 v[104:105], v[104:105], v[122:123], v[120:121]
	s_delay_alu instid0(VALU_DEP_1) | instskip(NEXT) | instid1(VALU_DEP_1)
	v_fma_f64 v[106:107], v[120:121], v[104:105], v[122:123]
	v_div_scale_f64 v[120:121], null, v[106:107], v[106:107], 1.0
	s_delay_alu instid0(VALU_DEP_1) | instskip(SKIP_2) | instid1(VALU_DEP_1)
	v_rcp_f64_e32 v[122:123], v[120:121]
	s_waitcnt_depctr 0xfff
	v_fma_f64 v[124:125], -v[120:121], v[122:123], 1.0
	v_fma_f64 v[122:123], v[122:123], v[124:125], v[122:123]
	s_delay_alu instid0(VALU_DEP_1) | instskip(NEXT) | instid1(VALU_DEP_1)
	v_fma_f64 v[124:125], -v[120:121], v[122:123], 1.0
	v_fma_f64 v[122:123], v[122:123], v[124:125], v[122:123]
	v_div_scale_f64 v[124:125], vcc_lo, 1.0, v[106:107], 1.0
	s_delay_alu instid0(VALU_DEP_1) | instskip(NEXT) | instid1(VALU_DEP_1)
	v_mul_f64 v[126:127], v[124:125], v[122:123]
	v_fma_f64 v[120:121], -v[120:121], v[126:127], v[124:125]
	s_delay_alu instid0(VALU_DEP_1) | instskip(NEXT) | instid1(VALU_DEP_1)
	v_div_fmas_f64 v[120:121], v[120:121], v[122:123], v[126:127]
	v_div_fixup_f64 v[126:127], v[120:121], v[106:107], 1.0
                                        ; implicit-def: $vgpr120_vgpr121
	s_delay_alu instid0(VALU_DEP_1)
	v_mul_f64 v[104:105], v[104:105], v[126:127]
	v_xor_b32_e32 v127, 0x80000000, v127
.LBB51_41:
	s_and_not1_saveexec_b32 s3, s3
	s_cbranch_execz .LBB51_43
; %bb.42:
	v_div_scale_f64 v[104:105], null, v[120:121], v[120:121], v[122:123]
	v_div_scale_f64 v[126:127], vcc_lo, v[122:123], v[120:121], v[122:123]
	s_delay_alu instid0(VALU_DEP_2) | instskip(SKIP_2) | instid1(VALU_DEP_1)
	v_rcp_f64_e32 v[106:107], v[104:105]
	s_waitcnt_depctr 0xfff
	v_fma_f64 v[124:125], -v[104:105], v[106:107], 1.0
	v_fma_f64 v[106:107], v[106:107], v[124:125], v[106:107]
	s_delay_alu instid0(VALU_DEP_1) | instskip(NEXT) | instid1(VALU_DEP_1)
	v_fma_f64 v[124:125], -v[104:105], v[106:107], 1.0
	v_fma_f64 v[106:107], v[106:107], v[124:125], v[106:107]
	s_delay_alu instid0(VALU_DEP_1) | instskip(NEXT) | instid1(VALU_DEP_1)
	v_mul_f64 v[124:125], v[126:127], v[106:107]
	v_fma_f64 v[104:105], -v[104:105], v[124:125], v[126:127]
	s_delay_alu instid0(VALU_DEP_1) | instskip(NEXT) | instid1(VALU_DEP_1)
	v_div_fmas_f64 v[104:105], v[104:105], v[106:107], v[124:125]
	v_div_fixup_f64 v[106:107], v[104:105], v[120:121], v[122:123]
	s_delay_alu instid0(VALU_DEP_1) | instskip(NEXT) | instid1(VALU_DEP_1)
	v_fma_f64 v[104:105], v[122:123], v[106:107], v[120:121]
	v_div_scale_f64 v[120:121], null, v[104:105], v[104:105], 1.0
	s_delay_alu instid0(VALU_DEP_1) | instskip(SKIP_2) | instid1(VALU_DEP_1)
	v_rcp_f64_e32 v[122:123], v[120:121]
	s_waitcnt_depctr 0xfff
	v_fma_f64 v[124:125], -v[120:121], v[122:123], 1.0
	v_fma_f64 v[122:123], v[122:123], v[124:125], v[122:123]
	s_delay_alu instid0(VALU_DEP_1) | instskip(NEXT) | instid1(VALU_DEP_1)
	v_fma_f64 v[124:125], -v[120:121], v[122:123], 1.0
	v_fma_f64 v[122:123], v[122:123], v[124:125], v[122:123]
	v_div_scale_f64 v[124:125], vcc_lo, 1.0, v[104:105], 1.0
	s_delay_alu instid0(VALU_DEP_1) | instskip(NEXT) | instid1(VALU_DEP_1)
	v_mul_f64 v[126:127], v[124:125], v[122:123]
	v_fma_f64 v[120:121], -v[120:121], v[126:127], v[124:125]
	s_delay_alu instid0(VALU_DEP_1) | instskip(NEXT) | instid1(VALU_DEP_1)
	v_div_fmas_f64 v[120:121], v[120:121], v[122:123], v[126:127]
	v_div_fixup_f64 v[104:105], v[120:121], v[104:105], 1.0
	s_delay_alu instid0(VALU_DEP_1)
	v_mul_f64 v[126:127], v[106:107], -v[104:105]
.LBB51_43:
	s_or_b32 exec_lo, exec_lo, s3
	ds_store_2addr_b64 v215, v[104:105], v[126:127] offset1:1
.LBB51_44:
	s_or_b32 exec_lo, exec_lo, s4
	s_waitcnt lgkmcnt(0)
	s_barrier
	buffer_gl0_inv
	ds_load_2addr_b64 v[120:123], v215 offset1:1
	s_mov_b32 s3, exec_lo
	v_cmpx_lt_u32_e32 4, v214
	s_cbranch_execz .LBB51_46
; %bb.45:
	s_waitcnt lgkmcnt(0)
	v_mul_f64 v[104:105], v[122:123], v[86:87]
	v_mul_f64 v[86:87], v[120:121], v[86:87]
	s_delay_alu instid0(VALU_DEP_2) | instskip(NEXT) | instid1(VALU_DEP_2)
	v_fma_f64 v[124:125], v[120:121], v[84:85], -v[104:105]
	v_fma_f64 v[86:87], v[122:123], v[84:85], v[86:87]
	ds_load_2addr_b64 v[104:107], v216 offset0:10 offset1:11
	ds_load_2addr_b64 v[130:133], v216 offset0:12 offset1:13
	s_waitcnt lgkmcnt(1)
	v_mul_f64 v[84:85], v[106:107], v[86:87]
	s_delay_alu instid0(VALU_DEP_1) | instskip(SKIP_1) | instid1(VALU_DEP_2)
	v_fma_f64 v[84:85], v[104:105], v[124:125], -v[84:85]
	v_mul_f64 v[104:105], v[104:105], v[86:87]
	v_add_f64 v[80:81], v[80:81], -v[84:85]
	s_delay_alu instid0(VALU_DEP_2) | instskip(SKIP_3) | instid1(VALU_DEP_3)
	v_fma_f64 v[126:127], v[106:107], v[124:125], v[104:105]
	s_waitcnt lgkmcnt(0)
	v_mul_f64 v[104:105], v[132:133], v[86:87]
	v_dual_mov_b32 v84, v124 :: v_dual_mov_b32 v85, v125
	v_add_f64 v[82:83], v[82:83], -v[126:127]
	s_delay_alu instid0(VALU_DEP_3) | instskip(SKIP_1) | instid1(VALU_DEP_2)
	v_fma_f64 v[128:129], v[130:131], v[124:125], -v[104:105]
	v_mul_f64 v[104:105], v[130:131], v[86:87]
	v_add_f64 v[76:77], v[76:77], -v[128:129]
	s_delay_alu instid0(VALU_DEP_2)
	v_fma_f64 v[130:131], v[132:133], v[124:125], v[104:105]
	ds_load_2addr_b64 v[104:107], v216 offset0:14 offset1:15
	ds_load_2addr_b64 v[132:135], v216 offset0:16 offset1:17
	s_waitcnt lgkmcnt(1)
	v_mul_f64 v[136:137], v[106:107], v[86:87]
	v_add_f64 v[78:79], v[78:79], -v[130:131]
	s_delay_alu instid0(VALU_DEP_2) | instskip(SKIP_1) | instid1(VALU_DEP_2)
	v_fma_f64 v[136:137], v[104:105], v[124:125], -v[136:137]
	v_mul_f64 v[104:105], v[104:105], v[86:87]
	v_add_f64 v[72:73], v[72:73], -v[136:137]
	s_delay_alu instid0(VALU_DEP_2) | instskip(SKIP_2) | instid1(VALU_DEP_2)
	v_fma_f64 v[138:139], v[106:107], v[124:125], v[104:105]
	s_waitcnt lgkmcnt(0)
	v_mul_f64 v[104:105], v[134:135], v[86:87]
	v_add_f64 v[74:75], v[74:75], -v[138:139]
	s_delay_alu instid0(VALU_DEP_2) | instskip(SKIP_1) | instid1(VALU_DEP_2)
	v_fma_f64 v[140:141], v[132:133], v[124:125], -v[104:105]
	v_mul_f64 v[104:105], v[132:133], v[86:87]
	v_add_f64 v[68:69], v[68:69], -v[140:141]
	s_delay_alu instid0(VALU_DEP_2)
	v_fma_f64 v[142:143], v[134:135], v[124:125], v[104:105]
	ds_load_2addr_b64 v[104:107], v216 offset0:18 offset1:19
	ds_load_2addr_b64 v[132:135], v216 offset0:20 offset1:21
	s_waitcnt lgkmcnt(1)
	v_mul_f64 v[144:145], v[106:107], v[86:87]
	v_add_f64 v[70:71], v[70:71], -v[142:143]
	s_delay_alu instid0(VALU_DEP_2) | instskip(SKIP_1) | instid1(VALU_DEP_2)
	v_fma_f64 v[144:145], v[104:105], v[124:125], -v[144:145]
	v_mul_f64 v[104:105], v[104:105], v[86:87]
	v_add_f64 v[64:65], v[64:65], -v[144:145]
	s_delay_alu instid0(VALU_DEP_2) | instskip(SKIP_2) | instid1(VALU_DEP_2)
	v_fma_f64 v[146:147], v[106:107], v[124:125], v[104:105]
	s_waitcnt lgkmcnt(0)
	v_mul_f64 v[104:105], v[134:135], v[86:87]
	v_add_f64 v[66:67], v[66:67], -v[146:147]
	s_delay_alu instid0(VALU_DEP_2) | instskip(SKIP_1) | instid1(VALU_DEP_2)
	;; [unrolled: 20-line block ×9, first 2 shown]
	v_fma_f64 v[204:205], v[132:133], v[124:125], -v[104:105]
	v_mul_f64 v[104:105], v[132:133], v[86:87]
	v_add_f64 v[4:5], v[4:5], -v[204:205]
	s_delay_alu instid0(VALU_DEP_2) | instskip(SKIP_4) | instid1(VALU_DEP_2)
	v_fma_f64 v[132:133], v[134:135], v[124:125], v[104:105]
	ds_load_2addr_b64 v[104:107], v216 offset0:50 offset1:51
	s_waitcnt lgkmcnt(0)
	v_mul_f64 v[134:135], v[106:107], v[86:87]
	v_add_f64 v[6:7], v[6:7], -v[132:133]
	v_fma_f64 v[134:135], v[104:105], v[124:125], -v[134:135]
	v_mul_f64 v[104:105], v[104:105], v[86:87]
	s_delay_alu instid0(VALU_DEP_2) | instskip(NEXT) | instid1(VALU_DEP_2)
	v_add_f64 v[0:1], v[0:1], -v[134:135]
	v_fma_f64 v[104:105], v[106:107], v[124:125], v[104:105]
	s_delay_alu instid0(VALU_DEP_1)
	v_add_f64 v[2:3], v[2:3], -v[104:105]
.LBB51_46:
	s_or_b32 exec_lo, exec_lo, s3
	s_delay_alu instid0(SALU_CYCLE_1)
	s_mov_b32 s4, exec_lo
	s_waitcnt lgkmcnt(0)
	s_barrier
	buffer_gl0_inv
	v_cmpx_eq_u32_e32 5, v214
	s_cbranch_execz .LBB51_53
; %bb.47:
	ds_store_2addr_b64 v215, v[80:81], v[82:83] offset1:1
	ds_store_2addr_b64 v216, v[76:77], v[78:79] offset0:12 offset1:13
	ds_store_2addr_b64 v216, v[72:73], v[74:75] offset0:14 offset1:15
	;; [unrolled: 1-line block ×20, first 2 shown]
	ds_load_2addr_b64 v[124:127], v215 offset1:1
	s_waitcnt lgkmcnt(0)
	v_cmp_neq_f64_e32 vcc_lo, 0, v[124:125]
	v_cmp_neq_f64_e64 s3, 0, v[126:127]
	s_delay_alu instid0(VALU_DEP_1) | instskip(NEXT) | instid1(SALU_CYCLE_1)
	s_or_b32 s3, vcc_lo, s3
	s_and_b32 exec_lo, exec_lo, s3
	s_cbranch_execz .LBB51_53
; %bb.48:
	v_cmp_gt_f64_e32 vcc_lo, 0, v[124:125]
	v_cmp_gt_f64_e64 s3, 0, v[126:127]
	v_xor_b32_e32 v104, 0x80000000, v125
	v_xor_b32_e32 v106, 0x80000000, v127
	s_delay_alu instid0(VALU_DEP_2) | instskip(NEXT) | instid1(VALU_DEP_2)
	v_cndmask_b32_e32 v105, v125, v104, vcc_lo
	v_cndmask_b32_e64 v107, v127, v106, s3
	v_cndmask_b32_e32 v104, v124, v124, vcc_lo
	v_cndmask_b32_e64 v106, v126, v126, s3
	s_delay_alu instid0(VALU_DEP_1) | instskip(SKIP_1) | instid1(SALU_CYCLE_1)
	v_cmp_ngt_f64_e32 vcc_lo, v[104:105], v[106:107]
                                        ; implicit-def: $vgpr104_vgpr105
	s_and_saveexec_b32 s3, vcc_lo
	s_xor_b32 s3, exec_lo, s3
                                        ; implicit-def: $vgpr128_vgpr129_vgpr130_vgpr131
	s_cbranch_execz .LBB51_50
; %bb.49:
	v_div_scale_f64 v[104:105], null, v[126:127], v[126:127], v[124:125]
	v_div_scale_f64 v[130:131], vcc_lo, v[124:125], v[126:127], v[124:125]
	s_delay_alu instid0(VALU_DEP_2) | instskip(SKIP_2) | instid1(VALU_DEP_1)
	v_rcp_f64_e32 v[106:107], v[104:105]
	s_waitcnt_depctr 0xfff
	v_fma_f64 v[128:129], -v[104:105], v[106:107], 1.0
	v_fma_f64 v[106:107], v[106:107], v[128:129], v[106:107]
	s_delay_alu instid0(VALU_DEP_1) | instskip(NEXT) | instid1(VALU_DEP_1)
	v_fma_f64 v[128:129], -v[104:105], v[106:107], 1.0
	v_fma_f64 v[106:107], v[106:107], v[128:129], v[106:107]
	s_delay_alu instid0(VALU_DEP_1) | instskip(NEXT) | instid1(VALU_DEP_1)
	v_mul_f64 v[128:129], v[130:131], v[106:107]
	v_fma_f64 v[104:105], -v[104:105], v[128:129], v[130:131]
	s_delay_alu instid0(VALU_DEP_1) | instskip(NEXT) | instid1(VALU_DEP_1)
	v_div_fmas_f64 v[104:105], v[104:105], v[106:107], v[128:129]
	v_div_fixup_f64 v[104:105], v[104:105], v[126:127], v[124:125]
	s_delay_alu instid0(VALU_DEP_1) | instskip(NEXT) | instid1(VALU_DEP_1)
	v_fma_f64 v[106:107], v[124:125], v[104:105], v[126:127]
	v_div_scale_f64 v[124:125], null, v[106:107], v[106:107], 1.0
	s_delay_alu instid0(VALU_DEP_1) | instskip(SKIP_2) | instid1(VALU_DEP_1)
	v_rcp_f64_e32 v[126:127], v[124:125]
	s_waitcnt_depctr 0xfff
	v_fma_f64 v[128:129], -v[124:125], v[126:127], 1.0
	v_fma_f64 v[126:127], v[126:127], v[128:129], v[126:127]
	s_delay_alu instid0(VALU_DEP_1) | instskip(NEXT) | instid1(VALU_DEP_1)
	v_fma_f64 v[128:129], -v[124:125], v[126:127], 1.0
	v_fma_f64 v[126:127], v[126:127], v[128:129], v[126:127]
	v_div_scale_f64 v[128:129], vcc_lo, 1.0, v[106:107], 1.0
	s_delay_alu instid0(VALU_DEP_1) | instskip(NEXT) | instid1(VALU_DEP_1)
	v_mul_f64 v[130:131], v[128:129], v[126:127]
	v_fma_f64 v[124:125], -v[124:125], v[130:131], v[128:129]
	s_delay_alu instid0(VALU_DEP_1) | instskip(NEXT) | instid1(VALU_DEP_1)
	v_div_fmas_f64 v[124:125], v[124:125], v[126:127], v[130:131]
	v_div_fixup_f64 v[130:131], v[124:125], v[106:107], 1.0
                                        ; implicit-def: $vgpr124_vgpr125
	s_delay_alu instid0(VALU_DEP_1)
	v_mul_f64 v[104:105], v[104:105], v[130:131]
	v_xor_b32_e32 v131, 0x80000000, v131
.LBB51_50:
	s_and_not1_saveexec_b32 s3, s3
	s_cbranch_execz .LBB51_52
; %bb.51:
	v_div_scale_f64 v[104:105], null, v[124:125], v[124:125], v[126:127]
	v_div_scale_f64 v[130:131], vcc_lo, v[126:127], v[124:125], v[126:127]
	s_delay_alu instid0(VALU_DEP_2) | instskip(SKIP_2) | instid1(VALU_DEP_1)
	v_rcp_f64_e32 v[106:107], v[104:105]
	s_waitcnt_depctr 0xfff
	v_fma_f64 v[128:129], -v[104:105], v[106:107], 1.0
	v_fma_f64 v[106:107], v[106:107], v[128:129], v[106:107]
	s_delay_alu instid0(VALU_DEP_1) | instskip(NEXT) | instid1(VALU_DEP_1)
	v_fma_f64 v[128:129], -v[104:105], v[106:107], 1.0
	v_fma_f64 v[106:107], v[106:107], v[128:129], v[106:107]
	s_delay_alu instid0(VALU_DEP_1) | instskip(NEXT) | instid1(VALU_DEP_1)
	v_mul_f64 v[128:129], v[130:131], v[106:107]
	v_fma_f64 v[104:105], -v[104:105], v[128:129], v[130:131]
	s_delay_alu instid0(VALU_DEP_1) | instskip(NEXT) | instid1(VALU_DEP_1)
	v_div_fmas_f64 v[104:105], v[104:105], v[106:107], v[128:129]
	v_div_fixup_f64 v[106:107], v[104:105], v[124:125], v[126:127]
	s_delay_alu instid0(VALU_DEP_1) | instskip(NEXT) | instid1(VALU_DEP_1)
	v_fma_f64 v[104:105], v[126:127], v[106:107], v[124:125]
	v_div_scale_f64 v[124:125], null, v[104:105], v[104:105], 1.0
	s_delay_alu instid0(VALU_DEP_1) | instskip(SKIP_2) | instid1(VALU_DEP_1)
	v_rcp_f64_e32 v[126:127], v[124:125]
	s_waitcnt_depctr 0xfff
	v_fma_f64 v[128:129], -v[124:125], v[126:127], 1.0
	v_fma_f64 v[126:127], v[126:127], v[128:129], v[126:127]
	s_delay_alu instid0(VALU_DEP_1) | instskip(NEXT) | instid1(VALU_DEP_1)
	v_fma_f64 v[128:129], -v[124:125], v[126:127], 1.0
	v_fma_f64 v[126:127], v[126:127], v[128:129], v[126:127]
	v_div_scale_f64 v[128:129], vcc_lo, 1.0, v[104:105], 1.0
	s_delay_alu instid0(VALU_DEP_1) | instskip(NEXT) | instid1(VALU_DEP_1)
	v_mul_f64 v[130:131], v[128:129], v[126:127]
	v_fma_f64 v[124:125], -v[124:125], v[130:131], v[128:129]
	s_delay_alu instid0(VALU_DEP_1) | instskip(NEXT) | instid1(VALU_DEP_1)
	v_div_fmas_f64 v[124:125], v[124:125], v[126:127], v[130:131]
	v_div_fixup_f64 v[104:105], v[124:125], v[104:105], 1.0
	s_delay_alu instid0(VALU_DEP_1)
	v_mul_f64 v[130:131], v[106:107], -v[104:105]
.LBB51_52:
	s_or_b32 exec_lo, exec_lo, s3
	ds_store_2addr_b64 v215, v[104:105], v[130:131] offset1:1
.LBB51_53:
	s_or_b32 exec_lo, exec_lo, s4
	s_waitcnt lgkmcnt(0)
	s_barrier
	buffer_gl0_inv
	ds_load_2addr_b64 v[124:127], v215 offset1:1
	s_mov_b32 s3, exec_lo
	v_cmpx_lt_u32_e32 5, v214
	s_cbranch_execz .LBB51_55
; %bb.54:
	s_waitcnt lgkmcnt(0)
	v_mul_f64 v[104:105], v[126:127], v[82:83]
	v_mul_f64 v[82:83], v[124:125], v[82:83]
	s_delay_alu instid0(VALU_DEP_2) | instskip(NEXT) | instid1(VALU_DEP_2)
	v_fma_f64 v[128:129], v[124:125], v[80:81], -v[104:105]
	v_fma_f64 v[82:83], v[126:127], v[80:81], v[82:83]
	ds_load_2addr_b64 v[104:107], v216 offset0:12 offset1:13
	ds_load_2addr_b64 v[130:133], v216 offset0:14 offset1:15
	s_waitcnt lgkmcnt(1)
	v_mul_f64 v[80:81], v[106:107], v[82:83]
	s_delay_alu instid0(VALU_DEP_1) | instskip(SKIP_1) | instid1(VALU_DEP_2)
	v_fma_f64 v[80:81], v[104:105], v[128:129], -v[80:81]
	v_mul_f64 v[104:105], v[104:105], v[82:83]
	v_add_f64 v[76:77], v[76:77], -v[80:81]
	s_delay_alu instid0(VALU_DEP_2) | instskip(SKIP_3) | instid1(VALU_DEP_3)
	v_fma_f64 v[134:135], v[106:107], v[128:129], v[104:105]
	s_waitcnt lgkmcnt(0)
	v_mul_f64 v[104:105], v[132:133], v[82:83]
	v_dual_mov_b32 v80, v128 :: v_dual_mov_b32 v81, v129
	v_add_f64 v[78:79], v[78:79], -v[134:135]
	s_delay_alu instid0(VALU_DEP_3) | instskip(SKIP_1) | instid1(VALU_DEP_2)
	v_fma_f64 v[136:137], v[130:131], v[128:129], -v[104:105]
	v_mul_f64 v[104:105], v[130:131], v[82:83]
	v_add_f64 v[72:73], v[72:73], -v[136:137]
	s_delay_alu instid0(VALU_DEP_2)
	v_fma_f64 v[138:139], v[132:133], v[128:129], v[104:105]
	ds_load_2addr_b64 v[104:107], v216 offset0:16 offset1:17
	ds_load_2addr_b64 v[130:133], v216 offset0:18 offset1:19
	s_waitcnt lgkmcnt(1)
	v_mul_f64 v[140:141], v[106:107], v[82:83]
	v_add_f64 v[74:75], v[74:75], -v[138:139]
	s_delay_alu instid0(VALU_DEP_2) | instskip(SKIP_1) | instid1(VALU_DEP_2)
	v_fma_f64 v[140:141], v[104:105], v[128:129], -v[140:141]
	v_mul_f64 v[104:105], v[104:105], v[82:83]
	v_add_f64 v[68:69], v[68:69], -v[140:141]
	s_delay_alu instid0(VALU_DEP_2) | instskip(SKIP_2) | instid1(VALU_DEP_2)
	v_fma_f64 v[142:143], v[106:107], v[128:129], v[104:105]
	s_waitcnt lgkmcnt(0)
	v_mul_f64 v[104:105], v[132:133], v[82:83]
	v_add_f64 v[70:71], v[70:71], -v[142:143]
	s_delay_alu instid0(VALU_DEP_2) | instskip(SKIP_1) | instid1(VALU_DEP_2)
	v_fma_f64 v[144:145], v[130:131], v[128:129], -v[104:105]
	v_mul_f64 v[104:105], v[130:131], v[82:83]
	v_add_f64 v[64:65], v[64:65], -v[144:145]
	s_delay_alu instid0(VALU_DEP_2)
	v_fma_f64 v[146:147], v[132:133], v[128:129], v[104:105]
	ds_load_2addr_b64 v[104:107], v216 offset0:20 offset1:21
	ds_load_2addr_b64 v[130:133], v216 offset0:22 offset1:23
	s_waitcnt lgkmcnt(1)
	v_mul_f64 v[148:149], v[106:107], v[82:83]
	v_add_f64 v[66:67], v[66:67], -v[146:147]
	s_delay_alu instid0(VALU_DEP_2) | instskip(SKIP_1) | instid1(VALU_DEP_2)
	v_fma_f64 v[148:149], v[104:105], v[128:129], -v[148:149]
	v_mul_f64 v[104:105], v[104:105], v[82:83]
	v_add_f64 v[60:61], v[60:61], -v[148:149]
	s_delay_alu instid0(VALU_DEP_2) | instskip(SKIP_2) | instid1(VALU_DEP_2)
	v_fma_f64 v[150:151], v[106:107], v[128:129], v[104:105]
	s_waitcnt lgkmcnt(0)
	v_mul_f64 v[104:105], v[132:133], v[82:83]
	v_add_f64 v[62:63], v[62:63], -v[150:151]
	s_delay_alu instid0(VALU_DEP_2) | instskip(SKIP_1) | instid1(VALU_DEP_2)
	;; [unrolled: 20-line block ×9, first 2 shown]
	v_fma_f64 v[106:107], v[130:131], v[128:129], -v[106:107]
	v_mul_f64 v[130:131], v[130:131], v[82:83]
	v_add_f64 v[0:1], v[0:1], -v[106:107]
	s_delay_alu instid0(VALU_DEP_2) | instskip(NEXT) | instid1(VALU_DEP_1)
	v_fma_f64 v[130:131], v[132:133], v[128:129], v[130:131]
	v_add_f64 v[2:3], v[2:3], -v[130:131]
.LBB51_55:
	s_or_b32 exec_lo, exec_lo, s3
	s_delay_alu instid0(SALU_CYCLE_1)
	s_mov_b32 s4, exec_lo
	s_waitcnt lgkmcnt(0)
	s_barrier
	buffer_gl0_inv
	v_cmpx_eq_u32_e32 6, v214
	s_cbranch_execz .LBB51_62
; %bb.56:
	ds_store_2addr_b64 v215, v[76:77], v[78:79] offset1:1
	ds_store_2addr_b64 v216, v[72:73], v[74:75] offset0:14 offset1:15
	ds_store_2addr_b64 v216, v[68:69], v[70:71] offset0:16 offset1:17
	;; [unrolled: 1-line block ×19, first 2 shown]
	ds_load_2addr_b64 v[128:131], v215 offset1:1
	s_waitcnt lgkmcnt(0)
	v_cmp_neq_f64_e32 vcc_lo, 0, v[128:129]
	v_cmp_neq_f64_e64 s3, 0, v[130:131]
	s_delay_alu instid0(VALU_DEP_1) | instskip(NEXT) | instid1(SALU_CYCLE_1)
	s_or_b32 s3, vcc_lo, s3
	s_and_b32 exec_lo, exec_lo, s3
	s_cbranch_execz .LBB51_62
; %bb.57:
	v_cmp_gt_f64_e32 vcc_lo, 0, v[128:129]
	v_cmp_gt_f64_e64 s3, 0, v[130:131]
	v_xor_b32_e32 v104, 0x80000000, v129
	v_xor_b32_e32 v106, 0x80000000, v131
	s_delay_alu instid0(VALU_DEP_2) | instskip(NEXT) | instid1(VALU_DEP_2)
	v_cndmask_b32_e32 v105, v129, v104, vcc_lo
	v_cndmask_b32_e64 v107, v131, v106, s3
	v_cndmask_b32_e32 v104, v128, v128, vcc_lo
	v_cndmask_b32_e64 v106, v130, v130, s3
	s_delay_alu instid0(VALU_DEP_1) | instskip(SKIP_1) | instid1(SALU_CYCLE_1)
	v_cmp_ngt_f64_e32 vcc_lo, v[104:105], v[106:107]
                                        ; implicit-def: $vgpr104_vgpr105
	s_and_saveexec_b32 s3, vcc_lo
	s_xor_b32 s3, exec_lo, s3
                                        ; implicit-def: $vgpr132_vgpr133_vgpr134_vgpr135
	s_cbranch_execz .LBB51_59
; %bb.58:
	v_div_scale_f64 v[104:105], null, v[130:131], v[130:131], v[128:129]
	v_div_scale_f64 v[134:135], vcc_lo, v[128:129], v[130:131], v[128:129]
	s_delay_alu instid0(VALU_DEP_2) | instskip(SKIP_2) | instid1(VALU_DEP_1)
	v_rcp_f64_e32 v[106:107], v[104:105]
	s_waitcnt_depctr 0xfff
	v_fma_f64 v[132:133], -v[104:105], v[106:107], 1.0
	v_fma_f64 v[106:107], v[106:107], v[132:133], v[106:107]
	s_delay_alu instid0(VALU_DEP_1) | instskip(NEXT) | instid1(VALU_DEP_1)
	v_fma_f64 v[132:133], -v[104:105], v[106:107], 1.0
	v_fma_f64 v[106:107], v[106:107], v[132:133], v[106:107]
	s_delay_alu instid0(VALU_DEP_1) | instskip(NEXT) | instid1(VALU_DEP_1)
	v_mul_f64 v[132:133], v[134:135], v[106:107]
	v_fma_f64 v[104:105], -v[104:105], v[132:133], v[134:135]
	s_delay_alu instid0(VALU_DEP_1) | instskip(NEXT) | instid1(VALU_DEP_1)
	v_div_fmas_f64 v[104:105], v[104:105], v[106:107], v[132:133]
	v_div_fixup_f64 v[104:105], v[104:105], v[130:131], v[128:129]
	s_delay_alu instid0(VALU_DEP_1) | instskip(NEXT) | instid1(VALU_DEP_1)
	v_fma_f64 v[106:107], v[128:129], v[104:105], v[130:131]
	v_div_scale_f64 v[128:129], null, v[106:107], v[106:107], 1.0
	s_delay_alu instid0(VALU_DEP_1) | instskip(SKIP_2) | instid1(VALU_DEP_1)
	v_rcp_f64_e32 v[130:131], v[128:129]
	s_waitcnt_depctr 0xfff
	v_fma_f64 v[132:133], -v[128:129], v[130:131], 1.0
	v_fma_f64 v[130:131], v[130:131], v[132:133], v[130:131]
	s_delay_alu instid0(VALU_DEP_1) | instskip(NEXT) | instid1(VALU_DEP_1)
	v_fma_f64 v[132:133], -v[128:129], v[130:131], 1.0
	v_fma_f64 v[130:131], v[130:131], v[132:133], v[130:131]
	v_div_scale_f64 v[132:133], vcc_lo, 1.0, v[106:107], 1.0
	s_delay_alu instid0(VALU_DEP_1) | instskip(NEXT) | instid1(VALU_DEP_1)
	v_mul_f64 v[134:135], v[132:133], v[130:131]
	v_fma_f64 v[128:129], -v[128:129], v[134:135], v[132:133]
	s_delay_alu instid0(VALU_DEP_1) | instskip(NEXT) | instid1(VALU_DEP_1)
	v_div_fmas_f64 v[128:129], v[128:129], v[130:131], v[134:135]
	v_div_fixup_f64 v[134:135], v[128:129], v[106:107], 1.0
                                        ; implicit-def: $vgpr128_vgpr129
	s_delay_alu instid0(VALU_DEP_1)
	v_mul_f64 v[104:105], v[104:105], v[134:135]
	v_xor_b32_e32 v135, 0x80000000, v135
.LBB51_59:
	s_and_not1_saveexec_b32 s3, s3
	s_cbranch_execz .LBB51_61
; %bb.60:
	v_div_scale_f64 v[104:105], null, v[128:129], v[128:129], v[130:131]
	v_div_scale_f64 v[134:135], vcc_lo, v[130:131], v[128:129], v[130:131]
	s_delay_alu instid0(VALU_DEP_2) | instskip(SKIP_2) | instid1(VALU_DEP_1)
	v_rcp_f64_e32 v[106:107], v[104:105]
	s_waitcnt_depctr 0xfff
	v_fma_f64 v[132:133], -v[104:105], v[106:107], 1.0
	v_fma_f64 v[106:107], v[106:107], v[132:133], v[106:107]
	s_delay_alu instid0(VALU_DEP_1) | instskip(NEXT) | instid1(VALU_DEP_1)
	v_fma_f64 v[132:133], -v[104:105], v[106:107], 1.0
	v_fma_f64 v[106:107], v[106:107], v[132:133], v[106:107]
	s_delay_alu instid0(VALU_DEP_1) | instskip(NEXT) | instid1(VALU_DEP_1)
	v_mul_f64 v[132:133], v[134:135], v[106:107]
	v_fma_f64 v[104:105], -v[104:105], v[132:133], v[134:135]
	s_delay_alu instid0(VALU_DEP_1) | instskip(NEXT) | instid1(VALU_DEP_1)
	v_div_fmas_f64 v[104:105], v[104:105], v[106:107], v[132:133]
	v_div_fixup_f64 v[106:107], v[104:105], v[128:129], v[130:131]
	s_delay_alu instid0(VALU_DEP_1) | instskip(NEXT) | instid1(VALU_DEP_1)
	v_fma_f64 v[104:105], v[130:131], v[106:107], v[128:129]
	v_div_scale_f64 v[128:129], null, v[104:105], v[104:105], 1.0
	s_delay_alu instid0(VALU_DEP_1) | instskip(SKIP_2) | instid1(VALU_DEP_1)
	v_rcp_f64_e32 v[130:131], v[128:129]
	s_waitcnt_depctr 0xfff
	v_fma_f64 v[132:133], -v[128:129], v[130:131], 1.0
	v_fma_f64 v[130:131], v[130:131], v[132:133], v[130:131]
	s_delay_alu instid0(VALU_DEP_1) | instskip(NEXT) | instid1(VALU_DEP_1)
	v_fma_f64 v[132:133], -v[128:129], v[130:131], 1.0
	v_fma_f64 v[130:131], v[130:131], v[132:133], v[130:131]
	v_div_scale_f64 v[132:133], vcc_lo, 1.0, v[104:105], 1.0
	s_delay_alu instid0(VALU_DEP_1) | instskip(NEXT) | instid1(VALU_DEP_1)
	v_mul_f64 v[134:135], v[132:133], v[130:131]
	v_fma_f64 v[128:129], -v[128:129], v[134:135], v[132:133]
	s_delay_alu instid0(VALU_DEP_1) | instskip(NEXT) | instid1(VALU_DEP_1)
	v_div_fmas_f64 v[128:129], v[128:129], v[130:131], v[134:135]
	v_div_fixup_f64 v[104:105], v[128:129], v[104:105], 1.0
	s_delay_alu instid0(VALU_DEP_1)
	v_mul_f64 v[134:135], v[106:107], -v[104:105]
.LBB51_61:
	s_or_b32 exec_lo, exec_lo, s3
	ds_store_2addr_b64 v215, v[104:105], v[134:135] offset1:1
.LBB51_62:
	s_or_b32 exec_lo, exec_lo, s4
	s_waitcnt lgkmcnt(0)
	s_barrier
	buffer_gl0_inv
	ds_load_2addr_b64 v[128:131], v215 offset1:1
	s_mov_b32 s3, exec_lo
	v_cmpx_lt_u32_e32 6, v214
	s_cbranch_execz .LBB51_64
; %bb.63:
	s_waitcnt lgkmcnt(0)
	v_mul_f64 v[104:105], v[130:131], v[78:79]
	v_mul_f64 v[78:79], v[128:129], v[78:79]
	s_delay_alu instid0(VALU_DEP_2) | instskip(NEXT) | instid1(VALU_DEP_2)
	v_fma_f64 v[132:133], v[128:129], v[76:77], -v[104:105]
	v_fma_f64 v[78:79], v[130:131], v[76:77], v[78:79]
	ds_load_2addr_b64 v[104:107], v216 offset0:14 offset1:15
	ds_load_2addr_b64 v[134:137], v216 offset0:16 offset1:17
	s_waitcnt lgkmcnt(1)
	v_mul_f64 v[76:77], v[106:107], v[78:79]
	s_delay_alu instid0(VALU_DEP_1) | instskip(SKIP_1) | instid1(VALU_DEP_2)
	v_fma_f64 v[76:77], v[104:105], v[132:133], -v[76:77]
	v_mul_f64 v[104:105], v[104:105], v[78:79]
	v_add_f64 v[72:73], v[72:73], -v[76:77]
	s_delay_alu instid0(VALU_DEP_2) | instskip(SKIP_3) | instid1(VALU_DEP_3)
	v_fma_f64 v[138:139], v[106:107], v[132:133], v[104:105]
	s_waitcnt lgkmcnt(0)
	v_mul_f64 v[104:105], v[136:137], v[78:79]
	v_dual_mov_b32 v76, v132 :: v_dual_mov_b32 v77, v133
	v_add_f64 v[74:75], v[74:75], -v[138:139]
	s_delay_alu instid0(VALU_DEP_3) | instskip(SKIP_1) | instid1(VALU_DEP_2)
	v_fma_f64 v[140:141], v[134:135], v[132:133], -v[104:105]
	v_mul_f64 v[104:105], v[134:135], v[78:79]
	v_add_f64 v[68:69], v[68:69], -v[140:141]
	s_delay_alu instid0(VALU_DEP_2)
	v_fma_f64 v[142:143], v[136:137], v[132:133], v[104:105]
	ds_load_2addr_b64 v[104:107], v216 offset0:18 offset1:19
	ds_load_2addr_b64 v[134:137], v216 offset0:20 offset1:21
	s_waitcnt lgkmcnt(1)
	v_mul_f64 v[144:145], v[106:107], v[78:79]
	v_add_f64 v[70:71], v[70:71], -v[142:143]
	s_delay_alu instid0(VALU_DEP_2) | instskip(SKIP_1) | instid1(VALU_DEP_2)
	v_fma_f64 v[144:145], v[104:105], v[132:133], -v[144:145]
	v_mul_f64 v[104:105], v[104:105], v[78:79]
	v_add_f64 v[64:65], v[64:65], -v[144:145]
	s_delay_alu instid0(VALU_DEP_2) | instskip(SKIP_2) | instid1(VALU_DEP_2)
	v_fma_f64 v[146:147], v[106:107], v[132:133], v[104:105]
	s_waitcnt lgkmcnt(0)
	v_mul_f64 v[104:105], v[136:137], v[78:79]
	v_add_f64 v[66:67], v[66:67], -v[146:147]
	s_delay_alu instid0(VALU_DEP_2) | instskip(SKIP_1) | instid1(VALU_DEP_2)
	v_fma_f64 v[148:149], v[134:135], v[132:133], -v[104:105]
	v_mul_f64 v[104:105], v[134:135], v[78:79]
	v_add_f64 v[60:61], v[60:61], -v[148:149]
	s_delay_alu instid0(VALU_DEP_2)
	v_fma_f64 v[150:151], v[136:137], v[132:133], v[104:105]
	ds_load_2addr_b64 v[104:107], v216 offset0:22 offset1:23
	ds_load_2addr_b64 v[134:137], v216 offset0:24 offset1:25
	s_waitcnt lgkmcnt(1)
	v_mul_f64 v[152:153], v[106:107], v[78:79]
	v_add_f64 v[62:63], v[62:63], -v[150:151]
	s_delay_alu instid0(VALU_DEP_2) | instskip(SKIP_1) | instid1(VALU_DEP_2)
	v_fma_f64 v[152:153], v[104:105], v[132:133], -v[152:153]
	v_mul_f64 v[104:105], v[104:105], v[78:79]
	v_add_f64 v[56:57], v[56:57], -v[152:153]
	s_delay_alu instid0(VALU_DEP_2) | instskip(SKIP_2) | instid1(VALU_DEP_2)
	v_fma_f64 v[154:155], v[106:107], v[132:133], v[104:105]
	s_waitcnt lgkmcnt(0)
	v_mul_f64 v[104:105], v[136:137], v[78:79]
	v_add_f64 v[58:59], v[58:59], -v[154:155]
	s_delay_alu instid0(VALU_DEP_2) | instskip(SKIP_1) | instid1(VALU_DEP_2)
	;; [unrolled: 20-line block ×8, first 2 shown]
	v_fma_f64 v[204:205], v[134:135], v[132:133], -v[104:105]
	v_mul_f64 v[104:105], v[134:135], v[78:79]
	v_add_f64 v[4:5], v[4:5], -v[204:205]
	s_delay_alu instid0(VALU_DEP_2) | instskip(SKIP_4) | instid1(VALU_DEP_2)
	v_fma_f64 v[134:135], v[136:137], v[132:133], v[104:105]
	ds_load_2addr_b64 v[104:107], v216 offset0:50 offset1:51
	s_waitcnt lgkmcnt(0)
	v_mul_f64 v[136:137], v[106:107], v[78:79]
	v_add_f64 v[6:7], v[6:7], -v[134:135]
	v_fma_f64 v[136:137], v[104:105], v[132:133], -v[136:137]
	v_mul_f64 v[104:105], v[104:105], v[78:79]
	s_delay_alu instid0(VALU_DEP_2) | instskip(NEXT) | instid1(VALU_DEP_2)
	v_add_f64 v[0:1], v[0:1], -v[136:137]
	v_fma_f64 v[104:105], v[106:107], v[132:133], v[104:105]
	s_delay_alu instid0(VALU_DEP_1)
	v_add_f64 v[2:3], v[2:3], -v[104:105]
.LBB51_64:
	s_or_b32 exec_lo, exec_lo, s3
	s_delay_alu instid0(SALU_CYCLE_1)
	s_mov_b32 s4, exec_lo
	s_waitcnt lgkmcnt(0)
	s_barrier
	buffer_gl0_inv
	v_cmpx_eq_u32_e32 7, v214
	s_cbranch_execz .LBB51_71
; %bb.65:
	ds_store_2addr_b64 v215, v[72:73], v[74:75] offset1:1
	ds_store_2addr_b64 v216, v[68:69], v[70:71] offset0:16 offset1:17
	ds_store_2addr_b64 v216, v[64:65], v[66:67] offset0:18 offset1:19
	;; [unrolled: 1-line block ×18, first 2 shown]
	ds_load_2addr_b64 v[132:135], v215 offset1:1
	s_waitcnt lgkmcnt(0)
	v_cmp_neq_f64_e32 vcc_lo, 0, v[132:133]
	v_cmp_neq_f64_e64 s3, 0, v[134:135]
	s_delay_alu instid0(VALU_DEP_1) | instskip(NEXT) | instid1(SALU_CYCLE_1)
	s_or_b32 s3, vcc_lo, s3
	s_and_b32 exec_lo, exec_lo, s3
	s_cbranch_execz .LBB51_71
; %bb.66:
	v_cmp_gt_f64_e32 vcc_lo, 0, v[132:133]
	v_cmp_gt_f64_e64 s3, 0, v[134:135]
	v_xor_b32_e32 v104, 0x80000000, v133
	v_xor_b32_e32 v106, 0x80000000, v135
	s_delay_alu instid0(VALU_DEP_2) | instskip(NEXT) | instid1(VALU_DEP_2)
	v_cndmask_b32_e32 v105, v133, v104, vcc_lo
	v_cndmask_b32_e64 v107, v135, v106, s3
	v_cndmask_b32_e32 v104, v132, v132, vcc_lo
	v_cndmask_b32_e64 v106, v134, v134, s3
	s_delay_alu instid0(VALU_DEP_1) | instskip(SKIP_1) | instid1(SALU_CYCLE_1)
	v_cmp_ngt_f64_e32 vcc_lo, v[104:105], v[106:107]
                                        ; implicit-def: $vgpr104_vgpr105
	s_and_saveexec_b32 s3, vcc_lo
	s_xor_b32 s3, exec_lo, s3
                                        ; implicit-def: $vgpr136_vgpr137_vgpr138_vgpr139
	s_cbranch_execz .LBB51_68
; %bb.67:
	v_div_scale_f64 v[104:105], null, v[134:135], v[134:135], v[132:133]
	v_div_scale_f64 v[138:139], vcc_lo, v[132:133], v[134:135], v[132:133]
	s_delay_alu instid0(VALU_DEP_2) | instskip(SKIP_2) | instid1(VALU_DEP_1)
	v_rcp_f64_e32 v[106:107], v[104:105]
	s_waitcnt_depctr 0xfff
	v_fma_f64 v[136:137], -v[104:105], v[106:107], 1.0
	v_fma_f64 v[106:107], v[106:107], v[136:137], v[106:107]
	s_delay_alu instid0(VALU_DEP_1) | instskip(NEXT) | instid1(VALU_DEP_1)
	v_fma_f64 v[136:137], -v[104:105], v[106:107], 1.0
	v_fma_f64 v[106:107], v[106:107], v[136:137], v[106:107]
	s_delay_alu instid0(VALU_DEP_1) | instskip(NEXT) | instid1(VALU_DEP_1)
	v_mul_f64 v[136:137], v[138:139], v[106:107]
	v_fma_f64 v[104:105], -v[104:105], v[136:137], v[138:139]
	s_delay_alu instid0(VALU_DEP_1) | instskip(NEXT) | instid1(VALU_DEP_1)
	v_div_fmas_f64 v[104:105], v[104:105], v[106:107], v[136:137]
	v_div_fixup_f64 v[104:105], v[104:105], v[134:135], v[132:133]
	s_delay_alu instid0(VALU_DEP_1) | instskip(NEXT) | instid1(VALU_DEP_1)
	v_fma_f64 v[106:107], v[132:133], v[104:105], v[134:135]
	v_div_scale_f64 v[132:133], null, v[106:107], v[106:107], 1.0
	s_delay_alu instid0(VALU_DEP_1) | instskip(SKIP_2) | instid1(VALU_DEP_1)
	v_rcp_f64_e32 v[134:135], v[132:133]
	s_waitcnt_depctr 0xfff
	v_fma_f64 v[136:137], -v[132:133], v[134:135], 1.0
	v_fma_f64 v[134:135], v[134:135], v[136:137], v[134:135]
	s_delay_alu instid0(VALU_DEP_1) | instskip(NEXT) | instid1(VALU_DEP_1)
	v_fma_f64 v[136:137], -v[132:133], v[134:135], 1.0
	v_fma_f64 v[134:135], v[134:135], v[136:137], v[134:135]
	v_div_scale_f64 v[136:137], vcc_lo, 1.0, v[106:107], 1.0
	s_delay_alu instid0(VALU_DEP_1) | instskip(NEXT) | instid1(VALU_DEP_1)
	v_mul_f64 v[138:139], v[136:137], v[134:135]
	v_fma_f64 v[132:133], -v[132:133], v[138:139], v[136:137]
	s_delay_alu instid0(VALU_DEP_1) | instskip(NEXT) | instid1(VALU_DEP_1)
	v_div_fmas_f64 v[132:133], v[132:133], v[134:135], v[138:139]
	v_div_fixup_f64 v[138:139], v[132:133], v[106:107], 1.0
                                        ; implicit-def: $vgpr132_vgpr133
	s_delay_alu instid0(VALU_DEP_1)
	v_mul_f64 v[104:105], v[104:105], v[138:139]
	v_xor_b32_e32 v139, 0x80000000, v139
.LBB51_68:
	s_and_not1_saveexec_b32 s3, s3
	s_cbranch_execz .LBB51_70
; %bb.69:
	v_div_scale_f64 v[104:105], null, v[132:133], v[132:133], v[134:135]
	v_div_scale_f64 v[138:139], vcc_lo, v[134:135], v[132:133], v[134:135]
	s_delay_alu instid0(VALU_DEP_2) | instskip(SKIP_2) | instid1(VALU_DEP_1)
	v_rcp_f64_e32 v[106:107], v[104:105]
	s_waitcnt_depctr 0xfff
	v_fma_f64 v[136:137], -v[104:105], v[106:107], 1.0
	v_fma_f64 v[106:107], v[106:107], v[136:137], v[106:107]
	s_delay_alu instid0(VALU_DEP_1) | instskip(NEXT) | instid1(VALU_DEP_1)
	v_fma_f64 v[136:137], -v[104:105], v[106:107], 1.0
	v_fma_f64 v[106:107], v[106:107], v[136:137], v[106:107]
	s_delay_alu instid0(VALU_DEP_1) | instskip(NEXT) | instid1(VALU_DEP_1)
	v_mul_f64 v[136:137], v[138:139], v[106:107]
	v_fma_f64 v[104:105], -v[104:105], v[136:137], v[138:139]
	s_delay_alu instid0(VALU_DEP_1) | instskip(NEXT) | instid1(VALU_DEP_1)
	v_div_fmas_f64 v[104:105], v[104:105], v[106:107], v[136:137]
	v_div_fixup_f64 v[106:107], v[104:105], v[132:133], v[134:135]
	s_delay_alu instid0(VALU_DEP_1) | instskip(NEXT) | instid1(VALU_DEP_1)
	v_fma_f64 v[104:105], v[134:135], v[106:107], v[132:133]
	v_div_scale_f64 v[132:133], null, v[104:105], v[104:105], 1.0
	s_delay_alu instid0(VALU_DEP_1) | instskip(SKIP_2) | instid1(VALU_DEP_1)
	v_rcp_f64_e32 v[134:135], v[132:133]
	s_waitcnt_depctr 0xfff
	v_fma_f64 v[136:137], -v[132:133], v[134:135], 1.0
	v_fma_f64 v[134:135], v[134:135], v[136:137], v[134:135]
	s_delay_alu instid0(VALU_DEP_1) | instskip(NEXT) | instid1(VALU_DEP_1)
	v_fma_f64 v[136:137], -v[132:133], v[134:135], 1.0
	v_fma_f64 v[134:135], v[134:135], v[136:137], v[134:135]
	v_div_scale_f64 v[136:137], vcc_lo, 1.0, v[104:105], 1.0
	s_delay_alu instid0(VALU_DEP_1) | instskip(NEXT) | instid1(VALU_DEP_1)
	v_mul_f64 v[138:139], v[136:137], v[134:135]
	v_fma_f64 v[132:133], -v[132:133], v[138:139], v[136:137]
	s_delay_alu instid0(VALU_DEP_1) | instskip(NEXT) | instid1(VALU_DEP_1)
	v_div_fmas_f64 v[132:133], v[132:133], v[134:135], v[138:139]
	v_div_fixup_f64 v[104:105], v[132:133], v[104:105], 1.0
	s_delay_alu instid0(VALU_DEP_1)
	v_mul_f64 v[138:139], v[106:107], -v[104:105]
.LBB51_70:
	s_or_b32 exec_lo, exec_lo, s3
	ds_store_2addr_b64 v215, v[104:105], v[138:139] offset1:1
.LBB51_71:
	s_or_b32 exec_lo, exec_lo, s4
	s_waitcnt lgkmcnt(0)
	s_barrier
	buffer_gl0_inv
	ds_load_2addr_b64 v[132:135], v215 offset1:1
	s_mov_b32 s3, exec_lo
	v_cmpx_lt_u32_e32 7, v214
	s_cbranch_execz .LBB51_73
; %bb.72:
	s_waitcnt lgkmcnt(0)
	v_mul_f64 v[104:105], v[134:135], v[74:75]
	v_mul_f64 v[74:75], v[132:133], v[74:75]
	s_delay_alu instid0(VALU_DEP_2) | instskip(NEXT) | instid1(VALU_DEP_2)
	v_fma_f64 v[136:137], v[132:133], v[72:73], -v[104:105]
	v_fma_f64 v[74:75], v[134:135], v[72:73], v[74:75]
	ds_load_2addr_b64 v[104:107], v216 offset0:16 offset1:17
	ds_load_2addr_b64 v[138:141], v216 offset0:18 offset1:19
	s_waitcnt lgkmcnt(1)
	v_mul_f64 v[72:73], v[106:107], v[74:75]
	s_delay_alu instid0(VALU_DEP_1) | instskip(SKIP_1) | instid1(VALU_DEP_2)
	v_fma_f64 v[72:73], v[104:105], v[136:137], -v[72:73]
	v_mul_f64 v[104:105], v[104:105], v[74:75]
	v_add_f64 v[68:69], v[68:69], -v[72:73]
	s_delay_alu instid0(VALU_DEP_2) | instskip(SKIP_3) | instid1(VALU_DEP_3)
	v_fma_f64 v[142:143], v[106:107], v[136:137], v[104:105]
	s_waitcnt lgkmcnt(0)
	v_mul_f64 v[104:105], v[140:141], v[74:75]
	v_dual_mov_b32 v72, v136 :: v_dual_mov_b32 v73, v137
	v_add_f64 v[70:71], v[70:71], -v[142:143]
	s_delay_alu instid0(VALU_DEP_3) | instskip(SKIP_1) | instid1(VALU_DEP_2)
	v_fma_f64 v[144:145], v[138:139], v[136:137], -v[104:105]
	v_mul_f64 v[104:105], v[138:139], v[74:75]
	v_add_f64 v[64:65], v[64:65], -v[144:145]
	s_delay_alu instid0(VALU_DEP_2)
	v_fma_f64 v[146:147], v[140:141], v[136:137], v[104:105]
	ds_load_2addr_b64 v[104:107], v216 offset0:20 offset1:21
	ds_load_2addr_b64 v[138:141], v216 offset0:22 offset1:23
	s_waitcnt lgkmcnt(1)
	v_mul_f64 v[148:149], v[106:107], v[74:75]
	v_add_f64 v[66:67], v[66:67], -v[146:147]
	s_delay_alu instid0(VALU_DEP_2) | instskip(SKIP_1) | instid1(VALU_DEP_2)
	v_fma_f64 v[148:149], v[104:105], v[136:137], -v[148:149]
	v_mul_f64 v[104:105], v[104:105], v[74:75]
	v_add_f64 v[60:61], v[60:61], -v[148:149]
	s_delay_alu instid0(VALU_DEP_2) | instskip(SKIP_2) | instid1(VALU_DEP_2)
	v_fma_f64 v[150:151], v[106:107], v[136:137], v[104:105]
	s_waitcnt lgkmcnt(0)
	v_mul_f64 v[104:105], v[140:141], v[74:75]
	v_add_f64 v[62:63], v[62:63], -v[150:151]
	s_delay_alu instid0(VALU_DEP_2) | instskip(SKIP_1) | instid1(VALU_DEP_2)
	v_fma_f64 v[152:153], v[138:139], v[136:137], -v[104:105]
	v_mul_f64 v[104:105], v[138:139], v[74:75]
	v_add_f64 v[56:57], v[56:57], -v[152:153]
	s_delay_alu instid0(VALU_DEP_2)
	v_fma_f64 v[154:155], v[140:141], v[136:137], v[104:105]
	ds_load_2addr_b64 v[104:107], v216 offset0:24 offset1:25
	ds_load_2addr_b64 v[138:141], v216 offset0:26 offset1:27
	s_waitcnt lgkmcnt(1)
	v_mul_f64 v[156:157], v[106:107], v[74:75]
	v_add_f64 v[58:59], v[58:59], -v[154:155]
	s_delay_alu instid0(VALU_DEP_2) | instskip(SKIP_1) | instid1(VALU_DEP_2)
	v_fma_f64 v[156:157], v[104:105], v[136:137], -v[156:157]
	v_mul_f64 v[104:105], v[104:105], v[74:75]
	v_add_f64 v[52:53], v[52:53], -v[156:157]
	s_delay_alu instid0(VALU_DEP_2) | instskip(SKIP_2) | instid1(VALU_DEP_2)
	v_fma_f64 v[158:159], v[106:107], v[136:137], v[104:105]
	s_waitcnt lgkmcnt(0)
	v_mul_f64 v[104:105], v[140:141], v[74:75]
	v_add_f64 v[54:55], v[54:55], -v[158:159]
	s_delay_alu instid0(VALU_DEP_2) | instskip(SKIP_1) | instid1(VALU_DEP_2)
	;; [unrolled: 20-line block ×8, first 2 shown]
	v_fma_f64 v[106:107], v[138:139], v[136:137], -v[106:107]
	v_mul_f64 v[138:139], v[138:139], v[74:75]
	v_add_f64 v[0:1], v[0:1], -v[106:107]
	s_delay_alu instid0(VALU_DEP_2) | instskip(NEXT) | instid1(VALU_DEP_1)
	v_fma_f64 v[138:139], v[140:141], v[136:137], v[138:139]
	v_add_f64 v[2:3], v[2:3], -v[138:139]
.LBB51_73:
	s_or_b32 exec_lo, exec_lo, s3
	s_delay_alu instid0(SALU_CYCLE_1)
	s_mov_b32 s4, exec_lo
	s_waitcnt lgkmcnt(0)
	s_barrier
	buffer_gl0_inv
	v_cmpx_eq_u32_e32 8, v214
	s_cbranch_execz .LBB51_80
; %bb.74:
	ds_store_2addr_b64 v215, v[68:69], v[70:71] offset1:1
	ds_store_2addr_b64 v216, v[64:65], v[66:67] offset0:18 offset1:19
	ds_store_2addr_b64 v216, v[60:61], v[62:63] offset0:20 offset1:21
	;; [unrolled: 1-line block ×17, first 2 shown]
	ds_load_2addr_b64 v[136:139], v215 offset1:1
	s_waitcnt lgkmcnt(0)
	v_cmp_neq_f64_e32 vcc_lo, 0, v[136:137]
	v_cmp_neq_f64_e64 s3, 0, v[138:139]
	s_delay_alu instid0(VALU_DEP_1) | instskip(NEXT) | instid1(SALU_CYCLE_1)
	s_or_b32 s3, vcc_lo, s3
	s_and_b32 exec_lo, exec_lo, s3
	s_cbranch_execz .LBB51_80
; %bb.75:
	v_cmp_gt_f64_e32 vcc_lo, 0, v[136:137]
	v_cmp_gt_f64_e64 s3, 0, v[138:139]
	v_xor_b32_e32 v104, 0x80000000, v137
	v_xor_b32_e32 v106, 0x80000000, v139
	s_delay_alu instid0(VALU_DEP_2) | instskip(NEXT) | instid1(VALU_DEP_2)
	v_cndmask_b32_e32 v105, v137, v104, vcc_lo
	v_cndmask_b32_e64 v107, v139, v106, s3
	v_cndmask_b32_e32 v104, v136, v136, vcc_lo
	v_cndmask_b32_e64 v106, v138, v138, s3
	s_delay_alu instid0(VALU_DEP_1) | instskip(SKIP_1) | instid1(SALU_CYCLE_1)
	v_cmp_ngt_f64_e32 vcc_lo, v[104:105], v[106:107]
                                        ; implicit-def: $vgpr104_vgpr105
	s_and_saveexec_b32 s3, vcc_lo
	s_xor_b32 s3, exec_lo, s3
                                        ; implicit-def: $vgpr140_vgpr141_vgpr142_vgpr143
	s_cbranch_execz .LBB51_77
; %bb.76:
	v_div_scale_f64 v[104:105], null, v[138:139], v[138:139], v[136:137]
	v_div_scale_f64 v[142:143], vcc_lo, v[136:137], v[138:139], v[136:137]
	s_delay_alu instid0(VALU_DEP_2) | instskip(SKIP_2) | instid1(VALU_DEP_1)
	v_rcp_f64_e32 v[106:107], v[104:105]
	s_waitcnt_depctr 0xfff
	v_fma_f64 v[140:141], -v[104:105], v[106:107], 1.0
	v_fma_f64 v[106:107], v[106:107], v[140:141], v[106:107]
	s_delay_alu instid0(VALU_DEP_1) | instskip(NEXT) | instid1(VALU_DEP_1)
	v_fma_f64 v[140:141], -v[104:105], v[106:107], 1.0
	v_fma_f64 v[106:107], v[106:107], v[140:141], v[106:107]
	s_delay_alu instid0(VALU_DEP_1) | instskip(NEXT) | instid1(VALU_DEP_1)
	v_mul_f64 v[140:141], v[142:143], v[106:107]
	v_fma_f64 v[104:105], -v[104:105], v[140:141], v[142:143]
	s_delay_alu instid0(VALU_DEP_1) | instskip(NEXT) | instid1(VALU_DEP_1)
	v_div_fmas_f64 v[104:105], v[104:105], v[106:107], v[140:141]
	v_div_fixup_f64 v[104:105], v[104:105], v[138:139], v[136:137]
	s_delay_alu instid0(VALU_DEP_1) | instskip(NEXT) | instid1(VALU_DEP_1)
	v_fma_f64 v[106:107], v[136:137], v[104:105], v[138:139]
	v_div_scale_f64 v[136:137], null, v[106:107], v[106:107], 1.0
	s_delay_alu instid0(VALU_DEP_1) | instskip(SKIP_2) | instid1(VALU_DEP_1)
	v_rcp_f64_e32 v[138:139], v[136:137]
	s_waitcnt_depctr 0xfff
	v_fma_f64 v[140:141], -v[136:137], v[138:139], 1.0
	v_fma_f64 v[138:139], v[138:139], v[140:141], v[138:139]
	s_delay_alu instid0(VALU_DEP_1) | instskip(NEXT) | instid1(VALU_DEP_1)
	v_fma_f64 v[140:141], -v[136:137], v[138:139], 1.0
	v_fma_f64 v[138:139], v[138:139], v[140:141], v[138:139]
	v_div_scale_f64 v[140:141], vcc_lo, 1.0, v[106:107], 1.0
	s_delay_alu instid0(VALU_DEP_1) | instskip(NEXT) | instid1(VALU_DEP_1)
	v_mul_f64 v[142:143], v[140:141], v[138:139]
	v_fma_f64 v[136:137], -v[136:137], v[142:143], v[140:141]
	s_delay_alu instid0(VALU_DEP_1) | instskip(NEXT) | instid1(VALU_DEP_1)
	v_div_fmas_f64 v[136:137], v[136:137], v[138:139], v[142:143]
	v_div_fixup_f64 v[142:143], v[136:137], v[106:107], 1.0
                                        ; implicit-def: $vgpr136_vgpr137
	s_delay_alu instid0(VALU_DEP_1)
	v_mul_f64 v[104:105], v[104:105], v[142:143]
	v_xor_b32_e32 v143, 0x80000000, v143
.LBB51_77:
	s_and_not1_saveexec_b32 s3, s3
	s_cbranch_execz .LBB51_79
; %bb.78:
	v_div_scale_f64 v[104:105], null, v[136:137], v[136:137], v[138:139]
	v_div_scale_f64 v[142:143], vcc_lo, v[138:139], v[136:137], v[138:139]
	s_delay_alu instid0(VALU_DEP_2) | instskip(SKIP_2) | instid1(VALU_DEP_1)
	v_rcp_f64_e32 v[106:107], v[104:105]
	s_waitcnt_depctr 0xfff
	v_fma_f64 v[140:141], -v[104:105], v[106:107], 1.0
	v_fma_f64 v[106:107], v[106:107], v[140:141], v[106:107]
	s_delay_alu instid0(VALU_DEP_1) | instskip(NEXT) | instid1(VALU_DEP_1)
	v_fma_f64 v[140:141], -v[104:105], v[106:107], 1.0
	v_fma_f64 v[106:107], v[106:107], v[140:141], v[106:107]
	s_delay_alu instid0(VALU_DEP_1) | instskip(NEXT) | instid1(VALU_DEP_1)
	v_mul_f64 v[140:141], v[142:143], v[106:107]
	v_fma_f64 v[104:105], -v[104:105], v[140:141], v[142:143]
	s_delay_alu instid0(VALU_DEP_1) | instskip(NEXT) | instid1(VALU_DEP_1)
	v_div_fmas_f64 v[104:105], v[104:105], v[106:107], v[140:141]
	v_div_fixup_f64 v[106:107], v[104:105], v[136:137], v[138:139]
	s_delay_alu instid0(VALU_DEP_1) | instskip(NEXT) | instid1(VALU_DEP_1)
	v_fma_f64 v[104:105], v[138:139], v[106:107], v[136:137]
	v_div_scale_f64 v[136:137], null, v[104:105], v[104:105], 1.0
	s_delay_alu instid0(VALU_DEP_1) | instskip(SKIP_2) | instid1(VALU_DEP_1)
	v_rcp_f64_e32 v[138:139], v[136:137]
	s_waitcnt_depctr 0xfff
	v_fma_f64 v[140:141], -v[136:137], v[138:139], 1.0
	v_fma_f64 v[138:139], v[138:139], v[140:141], v[138:139]
	s_delay_alu instid0(VALU_DEP_1) | instskip(NEXT) | instid1(VALU_DEP_1)
	v_fma_f64 v[140:141], -v[136:137], v[138:139], 1.0
	v_fma_f64 v[138:139], v[138:139], v[140:141], v[138:139]
	v_div_scale_f64 v[140:141], vcc_lo, 1.0, v[104:105], 1.0
	s_delay_alu instid0(VALU_DEP_1) | instskip(NEXT) | instid1(VALU_DEP_1)
	v_mul_f64 v[142:143], v[140:141], v[138:139]
	v_fma_f64 v[136:137], -v[136:137], v[142:143], v[140:141]
	s_delay_alu instid0(VALU_DEP_1) | instskip(NEXT) | instid1(VALU_DEP_1)
	v_div_fmas_f64 v[136:137], v[136:137], v[138:139], v[142:143]
	v_div_fixup_f64 v[104:105], v[136:137], v[104:105], 1.0
	s_delay_alu instid0(VALU_DEP_1)
	v_mul_f64 v[142:143], v[106:107], -v[104:105]
.LBB51_79:
	s_or_b32 exec_lo, exec_lo, s3
	ds_store_2addr_b64 v215, v[104:105], v[142:143] offset1:1
.LBB51_80:
	s_or_b32 exec_lo, exec_lo, s4
	s_waitcnt lgkmcnt(0)
	s_barrier
	buffer_gl0_inv
	ds_load_2addr_b64 v[136:139], v215 offset1:1
	s_mov_b32 s3, exec_lo
	v_cmpx_lt_u32_e32 8, v214
	s_cbranch_execz .LBB51_82
; %bb.81:
	s_waitcnt lgkmcnt(0)
	v_mul_f64 v[104:105], v[138:139], v[70:71]
	v_mul_f64 v[70:71], v[136:137], v[70:71]
	s_delay_alu instid0(VALU_DEP_2) | instskip(NEXT) | instid1(VALU_DEP_2)
	v_fma_f64 v[140:141], v[136:137], v[68:69], -v[104:105]
	v_fma_f64 v[70:71], v[138:139], v[68:69], v[70:71]
	ds_load_2addr_b64 v[104:107], v216 offset0:18 offset1:19
	ds_load_2addr_b64 v[142:145], v216 offset0:20 offset1:21
	s_waitcnt lgkmcnt(1)
	v_mul_f64 v[68:69], v[106:107], v[70:71]
	s_delay_alu instid0(VALU_DEP_1) | instskip(SKIP_1) | instid1(VALU_DEP_2)
	v_fma_f64 v[68:69], v[104:105], v[140:141], -v[68:69]
	v_mul_f64 v[104:105], v[104:105], v[70:71]
	v_add_f64 v[64:65], v[64:65], -v[68:69]
	s_delay_alu instid0(VALU_DEP_2) | instskip(SKIP_3) | instid1(VALU_DEP_3)
	v_fma_f64 v[146:147], v[106:107], v[140:141], v[104:105]
	s_waitcnt lgkmcnt(0)
	v_mul_f64 v[104:105], v[144:145], v[70:71]
	v_dual_mov_b32 v68, v140 :: v_dual_mov_b32 v69, v141
	v_add_f64 v[66:67], v[66:67], -v[146:147]
	s_delay_alu instid0(VALU_DEP_3) | instskip(SKIP_1) | instid1(VALU_DEP_2)
	v_fma_f64 v[148:149], v[142:143], v[140:141], -v[104:105]
	v_mul_f64 v[104:105], v[142:143], v[70:71]
	v_add_f64 v[60:61], v[60:61], -v[148:149]
	s_delay_alu instid0(VALU_DEP_2)
	v_fma_f64 v[150:151], v[144:145], v[140:141], v[104:105]
	ds_load_2addr_b64 v[104:107], v216 offset0:22 offset1:23
	ds_load_2addr_b64 v[142:145], v216 offset0:24 offset1:25
	s_waitcnt lgkmcnt(1)
	v_mul_f64 v[152:153], v[106:107], v[70:71]
	v_add_f64 v[62:63], v[62:63], -v[150:151]
	s_delay_alu instid0(VALU_DEP_2) | instskip(SKIP_1) | instid1(VALU_DEP_2)
	v_fma_f64 v[152:153], v[104:105], v[140:141], -v[152:153]
	v_mul_f64 v[104:105], v[104:105], v[70:71]
	v_add_f64 v[56:57], v[56:57], -v[152:153]
	s_delay_alu instid0(VALU_DEP_2) | instskip(SKIP_2) | instid1(VALU_DEP_2)
	v_fma_f64 v[154:155], v[106:107], v[140:141], v[104:105]
	s_waitcnt lgkmcnt(0)
	v_mul_f64 v[104:105], v[144:145], v[70:71]
	v_add_f64 v[58:59], v[58:59], -v[154:155]
	s_delay_alu instid0(VALU_DEP_2) | instskip(SKIP_1) | instid1(VALU_DEP_2)
	v_fma_f64 v[156:157], v[142:143], v[140:141], -v[104:105]
	v_mul_f64 v[104:105], v[142:143], v[70:71]
	v_add_f64 v[52:53], v[52:53], -v[156:157]
	s_delay_alu instid0(VALU_DEP_2)
	v_fma_f64 v[158:159], v[144:145], v[140:141], v[104:105]
	ds_load_2addr_b64 v[104:107], v216 offset0:26 offset1:27
	ds_load_2addr_b64 v[142:145], v216 offset0:28 offset1:29
	s_waitcnt lgkmcnt(1)
	v_mul_f64 v[160:161], v[106:107], v[70:71]
	v_add_f64 v[54:55], v[54:55], -v[158:159]
	s_delay_alu instid0(VALU_DEP_2) | instskip(SKIP_1) | instid1(VALU_DEP_2)
	v_fma_f64 v[160:161], v[104:105], v[140:141], -v[160:161]
	v_mul_f64 v[104:105], v[104:105], v[70:71]
	v_add_f64 v[48:49], v[48:49], -v[160:161]
	s_delay_alu instid0(VALU_DEP_2) | instskip(SKIP_2) | instid1(VALU_DEP_2)
	v_fma_f64 v[162:163], v[106:107], v[140:141], v[104:105]
	s_waitcnt lgkmcnt(0)
	v_mul_f64 v[104:105], v[144:145], v[70:71]
	v_add_f64 v[50:51], v[50:51], -v[162:163]
	s_delay_alu instid0(VALU_DEP_2) | instskip(SKIP_1) | instid1(VALU_DEP_2)
	;; [unrolled: 20-line block ×7, first 2 shown]
	v_fma_f64 v[204:205], v[142:143], v[140:141], -v[104:105]
	v_mul_f64 v[104:105], v[142:143], v[70:71]
	v_add_f64 v[4:5], v[4:5], -v[204:205]
	s_delay_alu instid0(VALU_DEP_2) | instskip(SKIP_4) | instid1(VALU_DEP_2)
	v_fma_f64 v[142:143], v[144:145], v[140:141], v[104:105]
	ds_load_2addr_b64 v[104:107], v216 offset0:50 offset1:51
	s_waitcnt lgkmcnt(0)
	v_mul_f64 v[144:145], v[106:107], v[70:71]
	v_add_f64 v[6:7], v[6:7], -v[142:143]
	v_fma_f64 v[144:145], v[104:105], v[140:141], -v[144:145]
	v_mul_f64 v[104:105], v[104:105], v[70:71]
	s_delay_alu instid0(VALU_DEP_2) | instskip(NEXT) | instid1(VALU_DEP_2)
	v_add_f64 v[0:1], v[0:1], -v[144:145]
	v_fma_f64 v[104:105], v[106:107], v[140:141], v[104:105]
	s_delay_alu instid0(VALU_DEP_1)
	v_add_f64 v[2:3], v[2:3], -v[104:105]
.LBB51_82:
	s_or_b32 exec_lo, exec_lo, s3
	s_delay_alu instid0(SALU_CYCLE_1)
	s_mov_b32 s4, exec_lo
	s_waitcnt lgkmcnt(0)
	s_barrier
	buffer_gl0_inv
	v_cmpx_eq_u32_e32 9, v214
	s_cbranch_execz .LBB51_89
; %bb.83:
	ds_store_2addr_b64 v215, v[64:65], v[66:67] offset1:1
	ds_store_2addr_b64 v216, v[60:61], v[62:63] offset0:20 offset1:21
	ds_store_2addr_b64 v216, v[56:57], v[58:59] offset0:22 offset1:23
	;; [unrolled: 1-line block ×16, first 2 shown]
	ds_load_2addr_b64 v[140:143], v215 offset1:1
	s_waitcnt lgkmcnt(0)
	v_cmp_neq_f64_e32 vcc_lo, 0, v[140:141]
	v_cmp_neq_f64_e64 s3, 0, v[142:143]
	s_delay_alu instid0(VALU_DEP_1) | instskip(NEXT) | instid1(SALU_CYCLE_1)
	s_or_b32 s3, vcc_lo, s3
	s_and_b32 exec_lo, exec_lo, s3
	s_cbranch_execz .LBB51_89
; %bb.84:
	v_cmp_gt_f64_e32 vcc_lo, 0, v[140:141]
	v_cmp_gt_f64_e64 s3, 0, v[142:143]
	v_xor_b32_e32 v104, 0x80000000, v141
	v_xor_b32_e32 v106, 0x80000000, v143
	s_delay_alu instid0(VALU_DEP_2) | instskip(NEXT) | instid1(VALU_DEP_2)
	v_cndmask_b32_e32 v105, v141, v104, vcc_lo
	v_cndmask_b32_e64 v107, v143, v106, s3
	v_cndmask_b32_e32 v104, v140, v140, vcc_lo
	v_cndmask_b32_e64 v106, v142, v142, s3
	s_delay_alu instid0(VALU_DEP_1) | instskip(SKIP_1) | instid1(SALU_CYCLE_1)
	v_cmp_ngt_f64_e32 vcc_lo, v[104:105], v[106:107]
                                        ; implicit-def: $vgpr104_vgpr105
	s_and_saveexec_b32 s3, vcc_lo
	s_xor_b32 s3, exec_lo, s3
                                        ; implicit-def: $vgpr144_vgpr145_vgpr146_vgpr147
	s_cbranch_execz .LBB51_86
; %bb.85:
	v_div_scale_f64 v[104:105], null, v[142:143], v[142:143], v[140:141]
	v_div_scale_f64 v[146:147], vcc_lo, v[140:141], v[142:143], v[140:141]
	s_delay_alu instid0(VALU_DEP_2) | instskip(SKIP_2) | instid1(VALU_DEP_1)
	v_rcp_f64_e32 v[106:107], v[104:105]
	s_waitcnt_depctr 0xfff
	v_fma_f64 v[144:145], -v[104:105], v[106:107], 1.0
	v_fma_f64 v[106:107], v[106:107], v[144:145], v[106:107]
	s_delay_alu instid0(VALU_DEP_1) | instskip(NEXT) | instid1(VALU_DEP_1)
	v_fma_f64 v[144:145], -v[104:105], v[106:107], 1.0
	v_fma_f64 v[106:107], v[106:107], v[144:145], v[106:107]
	s_delay_alu instid0(VALU_DEP_1) | instskip(NEXT) | instid1(VALU_DEP_1)
	v_mul_f64 v[144:145], v[146:147], v[106:107]
	v_fma_f64 v[104:105], -v[104:105], v[144:145], v[146:147]
	s_delay_alu instid0(VALU_DEP_1) | instskip(NEXT) | instid1(VALU_DEP_1)
	v_div_fmas_f64 v[104:105], v[104:105], v[106:107], v[144:145]
	v_div_fixup_f64 v[104:105], v[104:105], v[142:143], v[140:141]
	s_delay_alu instid0(VALU_DEP_1) | instskip(NEXT) | instid1(VALU_DEP_1)
	v_fma_f64 v[106:107], v[140:141], v[104:105], v[142:143]
	v_div_scale_f64 v[140:141], null, v[106:107], v[106:107], 1.0
	s_delay_alu instid0(VALU_DEP_1) | instskip(SKIP_2) | instid1(VALU_DEP_1)
	v_rcp_f64_e32 v[142:143], v[140:141]
	s_waitcnt_depctr 0xfff
	v_fma_f64 v[144:145], -v[140:141], v[142:143], 1.0
	v_fma_f64 v[142:143], v[142:143], v[144:145], v[142:143]
	s_delay_alu instid0(VALU_DEP_1) | instskip(NEXT) | instid1(VALU_DEP_1)
	v_fma_f64 v[144:145], -v[140:141], v[142:143], 1.0
	v_fma_f64 v[142:143], v[142:143], v[144:145], v[142:143]
	v_div_scale_f64 v[144:145], vcc_lo, 1.0, v[106:107], 1.0
	s_delay_alu instid0(VALU_DEP_1) | instskip(NEXT) | instid1(VALU_DEP_1)
	v_mul_f64 v[146:147], v[144:145], v[142:143]
	v_fma_f64 v[140:141], -v[140:141], v[146:147], v[144:145]
	s_delay_alu instid0(VALU_DEP_1) | instskip(NEXT) | instid1(VALU_DEP_1)
	v_div_fmas_f64 v[140:141], v[140:141], v[142:143], v[146:147]
	v_div_fixup_f64 v[146:147], v[140:141], v[106:107], 1.0
                                        ; implicit-def: $vgpr140_vgpr141
	s_delay_alu instid0(VALU_DEP_1)
	v_mul_f64 v[104:105], v[104:105], v[146:147]
	v_xor_b32_e32 v147, 0x80000000, v147
.LBB51_86:
	s_and_not1_saveexec_b32 s3, s3
	s_cbranch_execz .LBB51_88
; %bb.87:
	v_div_scale_f64 v[104:105], null, v[140:141], v[140:141], v[142:143]
	v_div_scale_f64 v[146:147], vcc_lo, v[142:143], v[140:141], v[142:143]
	s_delay_alu instid0(VALU_DEP_2) | instskip(SKIP_2) | instid1(VALU_DEP_1)
	v_rcp_f64_e32 v[106:107], v[104:105]
	s_waitcnt_depctr 0xfff
	v_fma_f64 v[144:145], -v[104:105], v[106:107], 1.0
	v_fma_f64 v[106:107], v[106:107], v[144:145], v[106:107]
	s_delay_alu instid0(VALU_DEP_1) | instskip(NEXT) | instid1(VALU_DEP_1)
	v_fma_f64 v[144:145], -v[104:105], v[106:107], 1.0
	v_fma_f64 v[106:107], v[106:107], v[144:145], v[106:107]
	s_delay_alu instid0(VALU_DEP_1) | instskip(NEXT) | instid1(VALU_DEP_1)
	v_mul_f64 v[144:145], v[146:147], v[106:107]
	v_fma_f64 v[104:105], -v[104:105], v[144:145], v[146:147]
	s_delay_alu instid0(VALU_DEP_1) | instskip(NEXT) | instid1(VALU_DEP_1)
	v_div_fmas_f64 v[104:105], v[104:105], v[106:107], v[144:145]
	v_div_fixup_f64 v[106:107], v[104:105], v[140:141], v[142:143]
	s_delay_alu instid0(VALU_DEP_1) | instskip(NEXT) | instid1(VALU_DEP_1)
	v_fma_f64 v[104:105], v[142:143], v[106:107], v[140:141]
	v_div_scale_f64 v[140:141], null, v[104:105], v[104:105], 1.0
	s_delay_alu instid0(VALU_DEP_1) | instskip(SKIP_2) | instid1(VALU_DEP_1)
	v_rcp_f64_e32 v[142:143], v[140:141]
	s_waitcnt_depctr 0xfff
	v_fma_f64 v[144:145], -v[140:141], v[142:143], 1.0
	v_fma_f64 v[142:143], v[142:143], v[144:145], v[142:143]
	s_delay_alu instid0(VALU_DEP_1) | instskip(NEXT) | instid1(VALU_DEP_1)
	v_fma_f64 v[144:145], -v[140:141], v[142:143], 1.0
	v_fma_f64 v[142:143], v[142:143], v[144:145], v[142:143]
	v_div_scale_f64 v[144:145], vcc_lo, 1.0, v[104:105], 1.0
	s_delay_alu instid0(VALU_DEP_1) | instskip(NEXT) | instid1(VALU_DEP_1)
	v_mul_f64 v[146:147], v[144:145], v[142:143]
	v_fma_f64 v[140:141], -v[140:141], v[146:147], v[144:145]
	s_delay_alu instid0(VALU_DEP_1) | instskip(NEXT) | instid1(VALU_DEP_1)
	v_div_fmas_f64 v[140:141], v[140:141], v[142:143], v[146:147]
	v_div_fixup_f64 v[104:105], v[140:141], v[104:105], 1.0
	s_delay_alu instid0(VALU_DEP_1)
	v_mul_f64 v[146:147], v[106:107], -v[104:105]
.LBB51_88:
	s_or_b32 exec_lo, exec_lo, s3
	ds_store_2addr_b64 v215, v[104:105], v[146:147] offset1:1
.LBB51_89:
	s_or_b32 exec_lo, exec_lo, s4
	s_waitcnt lgkmcnt(0)
	s_barrier
	buffer_gl0_inv
	ds_load_2addr_b64 v[140:143], v215 offset1:1
	s_mov_b32 s3, exec_lo
	v_cmpx_lt_u32_e32 9, v214
	s_cbranch_execz .LBB51_91
; %bb.90:
	s_waitcnt lgkmcnt(0)
	v_mul_f64 v[104:105], v[140:141], v[66:67]
	v_mul_f64 v[66:67], v[142:143], v[66:67]
	s_delay_alu instid0(VALU_DEP_2)
	v_fma_f64 v[144:145], v[142:143], v[64:65], v[104:105]
	ds_load_2addr_b64 v[104:107], v216 offset0:20 offset1:21
	ds_load_2addr_b64 v[146:149], v216 offset0:22 offset1:23
	v_fma_f64 v[64:65], v[140:141], v[64:65], -v[66:67]
	s_waitcnt lgkmcnt(1)
	v_mul_f64 v[66:67], v[106:107], v[144:145]
	s_delay_alu instid0(VALU_DEP_1) | instskip(SKIP_1) | instid1(VALU_DEP_2)
	v_fma_f64 v[66:67], v[104:105], v[64:65], -v[66:67]
	v_mul_f64 v[104:105], v[104:105], v[144:145]
	v_add_f64 v[60:61], v[60:61], -v[66:67]
	s_delay_alu instid0(VALU_DEP_2) | instskip(SKIP_3) | instid1(VALU_DEP_3)
	v_fma_f64 v[150:151], v[106:107], v[64:65], v[104:105]
	s_waitcnt lgkmcnt(0)
	v_mul_f64 v[104:105], v[148:149], v[144:145]
	v_dual_mov_b32 v66, v144 :: v_dual_mov_b32 v67, v145
	v_add_f64 v[62:63], v[62:63], -v[150:151]
	s_delay_alu instid0(VALU_DEP_3) | instskip(SKIP_1) | instid1(VALU_DEP_2)
	v_fma_f64 v[152:153], v[146:147], v[64:65], -v[104:105]
	v_mul_f64 v[104:105], v[146:147], v[144:145]
	v_add_f64 v[56:57], v[56:57], -v[152:153]
	s_delay_alu instid0(VALU_DEP_2)
	v_fma_f64 v[154:155], v[148:149], v[64:65], v[104:105]
	ds_load_2addr_b64 v[104:107], v216 offset0:24 offset1:25
	ds_load_2addr_b64 v[146:149], v216 offset0:26 offset1:27
	s_waitcnt lgkmcnt(1)
	v_mul_f64 v[156:157], v[106:107], v[144:145]
	v_add_f64 v[58:59], v[58:59], -v[154:155]
	s_delay_alu instid0(VALU_DEP_2) | instskip(SKIP_1) | instid1(VALU_DEP_2)
	v_fma_f64 v[156:157], v[104:105], v[64:65], -v[156:157]
	v_mul_f64 v[104:105], v[104:105], v[144:145]
	v_add_f64 v[52:53], v[52:53], -v[156:157]
	s_delay_alu instid0(VALU_DEP_2) | instskip(SKIP_2) | instid1(VALU_DEP_2)
	v_fma_f64 v[158:159], v[106:107], v[64:65], v[104:105]
	s_waitcnt lgkmcnt(0)
	v_mul_f64 v[104:105], v[148:149], v[144:145]
	v_add_f64 v[54:55], v[54:55], -v[158:159]
	s_delay_alu instid0(VALU_DEP_2) | instskip(SKIP_1) | instid1(VALU_DEP_2)
	v_fma_f64 v[160:161], v[146:147], v[64:65], -v[104:105]
	v_mul_f64 v[104:105], v[146:147], v[144:145]
	v_add_f64 v[48:49], v[48:49], -v[160:161]
	s_delay_alu instid0(VALU_DEP_2)
	v_fma_f64 v[162:163], v[148:149], v[64:65], v[104:105]
	ds_load_2addr_b64 v[104:107], v216 offset0:28 offset1:29
	ds_load_2addr_b64 v[146:149], v216 offset0:30 offset1:31
	s_waitcnt lgkmcnt(1)
	v_mul_f64 v[164:165], v[106:107], v[144:145]
	v_add_f64 v[50:51], v[50:51], -v[162:163]
	s_delay_alu instid0(VALU_DEP_2) | instskip(SKIP_1) | instid1(VALU_DEP_2)
	v_fma_f64 v[164:165], v[104:105], v[64:65], -v[164:165]
	v_mul_f64 v[104:105], v[104:105], v[144:145]
	v_add_f64 v[44:45], v[44:45], -v[164:165]
	s_delay_alu instid0(VALU_DEP_2) | instskip(SKIP_2) | instid1(VALU_DEP_2)
	v_fma_f64 v[166:167], v[106:107], v[64:65], v[104:105]
	s_waitcnt lgkmcnt(0)
	v_mul_f64 v[104:105], v[148:149], v[144:145]
	v_add_f64 v[46:47], v[46:47], -v[166:167]
	s_delay_alu instid0(VALU_DEP_2) | instskip(SKIP_1) | instid1(VALU_DEP_2)
	;; [unrolled: 20-line block ×7, first 2 shown]
	v_fma_f64 v[106:107], v[146:147], v[64:65], -v[106:107]
	v_mul_f64 v[146:147], v[146:147], v[144:145]
	v_add_f64 v[0:1], v[0:1], -v[106:107]
	s_delay_alu instid0(VALU_DEP_2) | instskip(NEXT) | instid1(VALU_DEP_1)
	v_fma_f64 v[146:147], v[148:149], v[64:65], v[146:147]
	v_add_f64 v[2:3], v[2:3], -v[146:147]
.LBB51_91:
	s_or_b32 exec_lo, exec_lo, s3
	s_delay_alu instid0(SALU_CYCLE_1)
	s_mov_b32 s4, exec_lo
	s_waitcnt lgkmcnt(0)
	s_barrier
	buffer_gl0_inv
	v_cmpx_eq_u32_e32 10, v214
	s_cbranch_execz .LBB51_98
; %bb.92:
	ds_store_2addr_b64 v215, v[60:61], v[62:63] offset1:1
	ds_store_2addr_b64 v216, v[56:57], v[58:59] offset0:22 offset1:23
	ds_store_2addr_b64 v216, v[52:53], v[54:55] offset0:24 offset1:25
	;; [unrolled: 1-line block ×15, first 2 shown]
	ds_load_2addr_b64 v[144:147], v215 offset1:1
	s_waitcnt lgkmcnt(0)
	v_cmp_neq_f64_e32 vcc_lo, 0, v[144:145]
	v_cmp_neq_f64_e64 s3, 0, v[146:147]
	s_delay_alu instid0(VALU_DEP_1) | instskip(NEXT) | instid1(SALU_CYCLE_1)
	s_or_b32 s3, vcc_lo, s3
	s_and_b32 exec_lo, exec_lo, s3
	s_cbranch_execz .LBB51_98
; %bb.93:
	v_cmp_gt_f64_e32 vcc_lo, 0, v[144:145]
	v_cmp_gt_f64_e64 s3, 0, v[146:147]
	v_xor_b32_e32 v104, 0x80000000, v145
	v_xor_b32_e32 v106, 0x80000000, v147
	s_delay_alu instid0(VALU_DEP_2) | instskip(NEXT) | instid1(VALU_DEP_2)
	v_cndmask_b32_e32 v105, v145, v104, vcc_lo
	v_cndmask_b32_e64 v107, v147, v106, s3
	v_cndmask_b32_e32 v104, v144, v144, vcc_lo
	v_cndmask_b32_e64 v106, v146, v146, s3
	s_delay_alu instid0(VALU_DEP_1) | instskip(SKIP_1) | instid1(SALU_CYCLE_1)
	v_cmp_ngt_f64_e32 vcc_lo, v[104:105], v[106:107]
                                        ; implicit-def: $vgpr104_vgpr105
	s_and_saveexec_b32 s3, vcc_lo
	s_xor_b32 s3, exec_lo, s3
                                        ; implicit-def: $vgpr148_vgpr149_vgpr150_vgpr151
	s_cbranch_execz .LBB51_95
; %bb.94:
	v_div_scale_f64 v[104:105], null, v[146:147], v[146:147], v[144:145]
	v_div_scale_f64 v[150:151], vcc_lo, v[144:145], v[146:147], v[144:145]
	s_delay_alu instid0(VALU_DEP_2) | instskip(SKIP_2) | instid1(VALU_DEP_1)
	v_rcp_f64_e32 v[106:107], v[104:105]
	s_waitcnt_depctr 0xfff
	v_fma_f64 v[148:149], -v[104:105], v[106:107], 1.0
	v_fma_f64 v[106:107], v[106:107], v[148:149], v[106:107]
	s_delay_alu instid0(VALU_DEP_1) | instskip(NEXT) | instid1(VALU_DEP_1)
	v_fma_f64 v[148:149], -v[104:105], v[106:107], 1.0
	v_fma_f64 v[106:107], v[106:107], v[148:149], v[106:107]
	s_delay_alu instid0(VALU_DEP_1) | instskip(NEXT) | instid1(VALU_DEP_1)
	v_mul_f64 v[148:149], v[150:151], v[106:107]
	v_fma_f64 v[104:105], -v[104:105], v[148:149], v[150:151]
	s_delay_alu instid0(VALU_DEP_1) | instskip(NEXT) | instid1(VALU_DEP_1)
	v_div_fmas_f64 v[104:105], v[104:105], v[106:107], v[148:149]
	v_div_fixup_f64 v[104:105], v[104:105], v[146:147], v[144:145]
	s_delay_alu instid0(VALU_DEP_1) | instskip(NEXT) | instid1(VALU_DEP_1)
	v_fma_f64 v[106:107], v[144:145], v[104:105], v[146:147]
	v_div_scale_f64 v[144:145], null, v[106:107], v[106:107], 1.0
	s_delay_alu instid0(VALU_DEP_1) | instskip(SKIP_2) | instid1(VALU_DEP_1)
	v_rcp_f64_e32 v[146:147], v[144:145]
	s_waitcnt_depctr 0xfff
	v_fma_f64 v[148:149], -v[144:145], v[146:147], 1.0
	v_fma_f64 v[146:147], v[146:147], v[148:149], v[146:147]
	s_delay_alu instid0(VALU_DEP_1) | instskip(NEXT) | instid1(VALU_DEP_1)
	v_fma_f64 v[148:149], -v[144:145], v[146:147], 1.0
	v_fma_f64 v[146:147], v[146:147], v[148:149], v[146:147]
	v_div_scale_f64 v[148:149], vcc_lo, 1.0, v[106:107], 1.0
	s_delay_alu instid0(VALU_DEP_1) | instskip(NEXT) | instid1(VALU_DEP_1)
	v_mul_f64 v[150:151], v[148:149], v[146:147]
	v_fma_f64 v[144:145], -v[144:145], v[150:151], v[148:149]
	s_delay_alu instid0(VALU_DEP_1) | instskip(NEXT) | instid1(VALU_DEP_1)
	v_div_fmas_f64 v[144:145], v[144:145], v[146:147], v[150:151]
	v_div_fixup_f64 v[150:151], v[144:145], v[106:107], 1.0
                                        ; implicit-def: $vgpr144_vgpr145
	s_delay_alu instid0(VALU_DEP_1)
	v_mul_f64 v[104:105], v[104:105], v[150:151]
	v_xor_b32_e32 v151, 0x80000000, v151
.LBB51_95:
	s_and_not1_saveexec_b32 s3, s3
	s_cbranch_execz .LBB51_97
; %bb.96:
	v_div_scale_f64 v[104:105], null, v[144:145], v[144:145], v[146:147]
	v_div_scale_f64 v[150:151], vcc_lo, v[146:147], v[144:145], v[146:147]
	s_delay_alu instid0(VALU_DEP_2) | instskip(SKIP_2) | instid1(VALU_DEP_1)
	v_rcp_f64_e32 v[106:107], v[104:105]
	s_waitcnt_depctr 0xfff
	v_fma_f64 v[148:149], -v[104:105], v[106:107], 1.0
	v_fma_f64 v[106:107], v[106:107], v[148:149], v[106:107]
	s_delay_alu instid0(VALU_DEP_1) | instskip(NEXT) | instid1(VALU_DEP_1)
	v_fma_f64 v[148:149], -v[104:105], v[106:107], 1.0
	v_fma_f64 v[106:107], v[106:107], v[148:149], v[106:107]
	s_delay_alu instid0(VALU_DEP_1) | instskip(NEXT) | instid1(VALU_DEP_1)
	v_mul_f64 v[148:149], v[150:151], v[106:107]
	v_fma_f64 v[104:105], -v[104:105], v[148:149], v[150:151]
	s_delay_alu instid0(VALU_DEP_1) | instskip(NEXT) | instid1(VALU_DEP_1)
	v_div_fmas_f64 v[104:105], v[104:105], v[106:107], v[148:149]
	v_div_fixup_f64 v[106:107], v[104:105], v[144:145], v[146:147]
	s_delay_alu instid0(VALU_DEP_1) | instskip(NEXT) | instid1(VALU_DEP_1)
	v_fma_f64 v[104:105], v[146:147], v[106:107], v[144:145]
	v_div_scale_f64 v[144:145], null, v[104:105], v[104:105], 1.0
	s_delay_alu instid0(VALU_DEP_1) | instskip(SKIP_2) | instid1(VALU_DEP_1)
	v_rcp_f64_e32 v[146:147], v[144:145]
	s_waitcnt_depctr 0xfff
	v_fma_f64 v[148:149], -v[144:145], v[146:147], 1.0
	v_fma_f64 v[146:147], v[146:147], v[148:149], v[146:147]
	s_delay_alu instid0(VALU_DEP_1) | instskip(NEXT) | instid1(VALU_DEP_1)
	v_fma_f64 v[148:149], -v[144:145], v[146:147], 1.0
	v_fma_f64 v[146:147], v[146:147], v[148:149], v[146:147]
	v_div_scale_f64 v[148:149], vcc_lo, 1.0, v[104:105], 1.0
	s_delay_alu instid0(VALU_DEP_1) | instskip(NEXT) | instid1(VALU_DEP_1)
	v_mul_f64 v[150:151], v[148:149], v[146:147]
	v_fma_f64 v[144:145], -v[144:145], v[150:151], v[148:149]
	s_delay_alu instid0(VALU_DEP_1) | instskip(NEXT) | instid1(VALU_DEP_1)
	v_div_fmas_f64 v[144:145], v[144:145], v[146:147], v[150:151]
	v_div_fixup_f64 v[104:105], v[144:145], v[104:105], 1.0
	s_delay_alu instid0(VALU_DEP_1)
	v_mul_f64 v[150:151], v[106:107], -v[104:105]
.LBB51_97:
	s_or_b32 exec_lo, exec_lo, s3
	ds_store_2addr_b64 v215, v[104:105], v[150:151] offset1:1
.LBB51_98:
	s_or_b32 exec_lo, exec_lo, s4
	s_waitcnt lgkmcnt(0)
	s_barrier
	buffer_gl0_inv
	ds_load_2addr_b64 v[144:147], v215 offset1:1
	s_mov_b32 s3, exec_lo
	v_cmpx_lt_u32_e32 10, v214
	s_cbranch_execz .LBB51_100
; %bb.99:
	s_waitcnt lgkmcnt(0)
	v_mul_f64 v[104:105], v[144:145], v[62:63]
	v_mul_f64 v[62:63], v[146:147], v[62:63]
	s_delay_alu instid0(VALU_DEP_2)
	v_fma_f64 v[152:153], v[146:147], v[60:61], v[104:105]
	ds_load_2addr_b64 v[104:107], v216 offset0:22 offset1:23
	ds_load_2addr_b64 v[148:151], v216 offset0:24 offset1:25
	v_fma_f64 v[60:61], v[144:145], v[60:61], -v[62:63]
	s_waitcnt lgkmcnt(1)
	v_mul_f64 v[62:63], v[106:107], v[152:153]
	s_delay_alu instid0(VALU_DEP_1) | instskip(SKIP_1) | instid1(VALU_DEP_2)
	v_fma_f64 v[62:63], v[104:105], v[60:61], -v[62:63]
	v_mul_f64 v[104:105], v[104:105], v[152:153]
	v_add_f64 v[56:57], v[56:57], -v[62:63]
	s_delay_alu instid0(VALU_DEP_2) | instskip(SKIP_3) | instid1(VALU_DEP_3)
	v_fma_f64 v[154:155], v[106:107], v[60:61], v[104:105]
	s_waitcnt lgkmcnt(0)
	v_mul_f64 v[104:105], v[150:151], v[152:153]
	v_dual_mov_b32 v62, v152 :: v_dual_mov_b32 v63, v153
	v_add_f64 v[58:59], v[58:59], -v[154:155]
	s_delay_alu instid0(VALU_DEP_3) | instskip(SKIP_1) | instid1(VALU_DEP_2)
	v_fma_f64 v[156:157], v[148:149], v[60:61], -v[104:105]
	v_mul_f64 v[104:105], v[148:149], v[152:153]
	v_add_f64 v[52:53], v[52:53], -v[156:157]
	s_delay_alu instid0(VALU_DEP_2)
	v_fma_f64 v[158:159], v[150:151], v[60:61], v[104:105]
	ds_load_2addr_b64 v[104:107], v216 offset0:26 offset1:27
	ds_load_2addr_b64 v[148:151], v216 offset0:28 offset1:29
	s_waitcnt lgkmcnt(1)
	v_mul_f64 v[160:161], v[106:107], v[152:153]
	v_add_f64 v[54:55], v[54:55], -v[158:159]
	s_delay_alu instid0(VALU_DEP_2) | instskip(SKIP_1) | instid1(VALU_DEP_2)
	v_fma_f64 v[160:161], v[104:105], v[60:61], -v[160:161]
	v_mul_f64 v[104:105], v[104:105], v[152:153]
	v_add_f64 v[48:49], v[48:49], -v[160:161]
	s_delay_alu instid0(VALU_DEP_2) | instskip(SKIP_2) | instid1(VALU_DEP_2)
	v_fma_f64 v[162:163], v[106:107], v[60:61], v[104:105]
	s_waitcnt lgkmcnt(0)
	v_mul_f64 v[104:105], v[150:151], v[152:153]
	v_add_f64 v[50:51], v[50:51], -v[162:163]
	s_delay_alu instid0(VALU_DEP_2) | instskip(SKIP_1) | instid1(VALU_DEP_2)
	v_fma_f64 v[164:165], v[148:149], v[60:61], -v[104:105]
	v_mul_f64 v[104:105], v[148:149], v[152:153]
	v_add_f64 v[44:45], v[44:45], -v[164:165]
	s_delay_alu instid0(VALU_DEP_2)
	v_fma_f64 v[166:167], v[150:151], v[60:61], v[104:105]
	ds_load_2addr_b64 v[104:107], v216 offset0:30 offset1:31
	ds_load_2addr_b64 v[148:151], v216 offset0:32 offset1:33
	s_waitcnt lgkmcnt(1)
	v_mul_f64 v[168:169], v[106:107], v[152:153]
	v_add_f64 v[46:47], v[46:47], -v[166:167]
	s_delay_alu instid0(VALU_DEP_2) | instskip(SKIP_1) | instid1(VALU_DEP_2)
	v_fma_f64 v[168:169], v[104:105], v[60:61], -v[168:169]
	v_mul_f64 v[104:105], v[104:105], v[152:153]
	v_add_f64 v[40:41], v[40:41], -v[168:169]
	s_delay_alu instid0(VALU_DEP_2) | instskip(SKIP_2) | instid1(VALU_DEP_2)
	v_fma_f64 v[170:171], v[106:107], v[60:61], v[104:105]
	s_waitcnt lgkmcnt(0)
	v_mul_f64 v[104:105], v[150:151], v[152:153]
	v_add_f64 v[42:43], v[42:43], -v[170:171]
	s_delay_alu instid0(VALU_DEP_2) | instskip(SKIP_1) | instid1(VALU_DEP_2)
	;; [unrolled: 20-line block ×6, first 2 shown]
	v_fma_f64 v[204:205], v[148:149], v[60:61], -v[104:105]
	v_mul_f64 v[104:105], v[148:149], v[152:153]
	v_add_f64 v[4:5], v[4:5], -v[204:205]
	s_delay_alu instid0(VALU_DEP_2) | instskip(SKIP_4) | instid1(VALU_DEP_2)
	v_fma_f64 v[148:149], v[150:151], v[60:61], v[104:105]
	ds_load_2addr_b64 v[104:107], v216 offset0:50 offset1:51
	s_waitcnt lgkmcnt(0)
	v_mul_f64 v[150:151], v[106:107], v[152:153]
	v_add_f64 v[6:7], v[6:7], -v[148:149]
	v_fma_f64 v[150:151], v[104:105], v[60:61], -v[150:151]
	v_mul_f64 v[104:105], v[104:105], v[152:153]
	s_delay_alu instid0(VALU_DEP_2) | instskip(NEXT) | instid1(VALU_DEP_2)
	v_add_f64 v[0:1], v[0:1], -v[150:151]
	v_fma_f64 v[104:105], v[106:107], v[60:61], v[104:105]
	s_delay_alu instid0(VALU_DEP_1)
	v_add_f64 v[2:3], v[2:3], -v[104:105]
.LBB51_100:
	s_or_b32 exec_lo, exec_lo, s3
	s_delay_alu instid0(SALU_CYCLE_1)
	s_mov_b32 s4, exec_lo
	s_waitcnt lgkmcnt(0)
	s_barrier
	buffer_gl0_inv
	v_cmpx_eq_u32_e32 11, v214
	s_cbranch_execz .LBB51_107
; %bb.101:
	ds_store_2addr_b64 v215, v[56:57], v[58:59] offset1:1
	ds_store_2addr_b64 v216, v[52:53], v[54:55] offset0:24 offset1:25
	ds_store_2addr_b64 v216, v[48:49], v[50:51] offset0:26 offset1:27
	;; [unrolled: 1-line block ×14, first 2 shown]
	ds_load_2addr_b64 v[148:151], v215 offset1:1
	s_waitcnt lgkmcnt(0)
	v_cmp_neq_f64_e32 vcc_lo, 0, v[148:149]
	v_cmp_neq_f64_e64 s3, 0, v[150:151]
	s_delay_alu instid0(VALU_DEP_1) | instskip(NEXT) | instid1(SALU_CYCLE_1)
	s_or_b32 s3, vcc_lo, s3
	s_and_b32 exec_lo, exec_lo, s3
	s_cbranch_execz .LBB51_107
; %bb.102:
	v_cmp_gt_f64_e32 vcc_lo, 0, v[148:149]
	v_cmp_gt_f64_e64 s3, 0, v[150:151]
	v_xor_b32_e32 v104, 0x80000000, v149
	v_xor_b32_e32 v106, 0x80000000, v151
	s_delay_alu instid0(VALU_DEP_2) | instskip(NEXT) | instid1(VALU_DEP_2)
	v_cndmask_b32_e32 v105, v149, v104, vcc_lo
	v_cndmask_b32_e64 v107, v151, v106, s3
	v_cndmask_b32_e32 v104, v148, v148, vcc_lo
	v_cndmask_b32_e64 v106, v150, v150, s3
	s_delay_alu instid0(VALU_DEP_1) | instskip(SKIP_1) | instid1(SALU_CYCLE_1)
	v_cmp_ngt_f64_e32 vcc_lo, v[104:105], v[106:107]
                                        ; implicit-def: $vgpr104_vgpr105
	s_and_saveexec_b32 s3, vcc_lo
	s_xor_b32 s3, exec_lo, s3
                                        ; implicit-def: $vgpr152_vgpr153_vgpr154_vgpr155
	s_cbranch_execz .LBB51_104
; %bb.103:
	v_div_scale_f64 v[104:105], null, v[150:151], v[150:151], v[148:149]
	v_div_scale_f64 v[154:155], vcc_lo, v[148:149], v[150:151], v[148:149]
	s_delay_alu instid0(VALU_DEP_2) | instskip(SKIP_2) | instid1(VALU_DEP_1)
	v_rcp_f64_e32 v[106:107], v[104:105]
	s_waitcnt_depctr 0xfff
	v_fma_f64 v[152:153], -v[104:105], v[106:107], 1.0
	v_fma_f64 v[106:107], v[106:107], v[152:153], v[106:107]
	s_delay_alu instid0(VALU_DEP_1) | instskip(NEXT) | instid1(VALU_DEP_1)
	v_fma_f64 v[152:153], -v[104:105], v[106:107], 1.0
	v_fma_f64 v[106:107], v[106:107], v[152:153], v[106:107]
	s_delay_alu instid0(VALU_DEP_1) | instskip(NEXT) | instid1(VALU_DEP_1)
	v_mul_f64 v[152:153], v[154:155], v[106:107]
	v_fma_f64 v[104:105], -v[104:105], v[152:153], v[154:155]
	s_delay_alu instid0(VALU_DEP_1) | instskip(NEXT) | instid1(VALU_DEP_1)
	v_div_fmas_f64 v[104:105], v[104:105], v[106:107], v[152:153]
	v_div_fixup_f64 v[104:105], v[104:105], v[150:151], v[148:149]
	s_delay_alu instid0(VALU_DEP_1) | instskip(NEXT) | instid1(VALU_DEP_1)
	v_fma_f64 v[106:107], v[148:149], v[104:105], v[150:151]
	v_div_scale_f64 v[148:149], null, v[106:107], v[106:107], 1.0
	s_delay_alu instid0(VALU_DEP_1) | instskip(SKIP_2) | instid1(VALU_DEP_1)
	v_rcp_f64_e32 v[150:151], v[148:149]
	s_waitcnt_depctr 0xfff
	v_fma_f64 v[152:153], -v[148:149], v[150:151], 1.0
	v_fma_f64 v[150:151], v[150:151], v[152:153], v[150:151]
	s_delay_alu instid0(VALU_DEP_1) | instskip(NEXT) | instid1(VALU_DEP_1)
	v_fma_f64 v[152:153], -v[148:149], v[150:151], 1.0
	v_fma_f64 v[150:151], v[150:151], v[152:153], v[150:151]
	v_div_scale_f64 v[152:153], vcc_lo, 1.0, v[106:107], 1.0
	s_delay_alu instid0(VALU_DEP_1) | instskip(NEXT) | instid1(VALU_DEP_1)
	v_mul_f64 v[154:155], v[152:153], v[150:151]
	v_fma_f64 v[148:149], -v[148:149], v[154:155], v[152:153]
	s_delay_alu instid0(VALU_DEP_1) | instskip(NEXT) | instid1(VALU_DEP_1)
	v_div_fmas_f64 v[148:149], v[148:149], v[150:151], v[154:155]
	v_div_fixup_f64 v[154:155], v[148:149], v[106:107], 1.0
                                        ; implicit-def: $vgpr148_vgpr149
	s_delay_alu instid0(VALU_DEP_1)
	v_mul_f64 v[104:105], v[104:105], v[154:155]
	v_xor_b32_e32 v155, 0x80000000, v155
.LBB51_104:
	s_and_not1_saveexec_b32 s3, s3
	s_cbranch_execz .LBB51_106
; %bb.105:
	v_div_scale_f64 v[104:105], null, v[148:149], v[148:149], v[150:151]
	v_div_scale_f64 v[154:155], vcc_lo, v[150:151], v[148:149], v[150:151]
	s_delay_alu instid0(VALU_DEP_2) | instskip(SKIP_2) | instid1(VALU_DEP_1)
	v_rcp_f64_e32 v[106:107], v[104:105]
	s_waitcnt_depctr 0xfff
	v_fma_f64 v[152:153], -v[104:105], v[106:107], 1.0
	v_fma_f64 v[106:107], v[106:107], v[152:153], v[106:107]
	s_delay_alu instid0(VALU_DEP_1) | instskip(NEXT) | instid1(VALU_DEP_1)
	v_fma_f64 v[152:153], -v[104:105], v[106:107], 1.0
	v_fma_f64 v[106:107], v[106:107], v[152:153], v[106:107]
	s_delay_alu instid0(VALU_DEP_1) | instskip(NEXT) | instid1(VALU_DEP_1)
	v_mul_f64 v[152:153], v[154:155], v[106:107]
	v_fma_f64 v[104:105], -v[104:105], v[152:153], v[154:155]
	s_delay_alu instid0(VALU_DEP_1) | instskip(NEXT) | instid1(VALU_DEP_1)
	v_div_fmas_f64 v[104:105], v[104:105], v[106:107], v[152:153]
	v_div_fixup_f64 v[106:107], v[104:105], v[148:149], v[150:151]
	s_delay_alu instid0(VALU_DEP_1) | instskip(NEXT) | instid1(VALU_DEP_1)
	v_fma_f64 v[104:105], v[150:151], v[106:107], v[148:149]
	v_div_scale_f64 v[148:149], null, v[104:105], v[104:105], 1.0
	s_delay_alu instid0(VALU_DEP_1) | instskip(SKIP_2) | instid1(VALU_DEP_1)
	v_rcp_f64_e32 v[150:151], v[148:149]
	s_waitcnt_depctr 0xfff
	v_fma_f64 v[152:153], -v[148:149], v[150:151], 1.0
	v_fma_f64 v[150:151], v[150:151], v[152:153], v[150:151]
	s_delay_alu instid0(VALU_DEP_1) | instskip(NEXT) | instid1(VALU_DEP_1)
	v_fma_f64 v[152:153], -v[148:149], v[150:151], 1.0
	v_fma_f64 v[150:151], v[150:151], v[152:153], v[150:151]
	v_div_scale_f64 v[152:153], vcc_lo, 1.0, v[104:105], 1.0
	s_delay_alu instid0(VALU_DEP_1) | instskip(NEXT) | instid1(VALU_DEP_1)
	v_mul_f64 v[154:155], v[152:153], v[150:151]
	v_fma_f64 v[148:149], -v[148:149], v[154:155], v[152:153]
	s_delay_alu instid0(VALU_DEP_1) | instskip(NEXT) | instid1(VALU_DEP_1)
	v_div_fmas_f64 v[148:149], v[148:149], v[150:151], v[154:155]
	v_div_fixup_f64 v[104:105], v[148:149], v[104:105], 1.0
	s_delay_alu instid0(VALU_DEP_1)
	v_mul_f64 v[154:155], v[106:107], -v[104:105]
.LBB51_106:
	s_or_b32 exec_lo, exec_lo, s3
	ds_store_2addr_b64 v215, v[104:105], v[154:155] offset1:1
.LBB51_107:
	s_or_b32 exec_lo, exec_lo, s4
	s_waitcnt lgkmcnt(0)
	s_barrier
	buffer_gl0_inv
	ds_load_2addr_b64 v[148:151], v215 offset1:1
	s_mov_b32 s3, exec_lo
	v_cmpx_lt_u32_e32 11, v214
	s_cbranch_execz .LBB51_109
; %bb.108:
	s_waitcnt lgkmcnt(0)
	v_mul_f64 v[104:105], v[148:149], v[58:59]
	v_mul_f64 v[58:59], v[150:151], v[58:59]
	s_delay_alu instid0(VALU_DEP_2)
	v_fma_f64 v[156:157], v[150:151], v[56:57], v[104:105]
	ds_load_2addr_b64 v[104:107], v216 offset0:24 offset1:25
	ds_load_2addr_b64 v[152:155], v216 offset0:26 offset1:27
	v_fma_f64 v[56:57], v[148:149], v[56:57], -v[58:59]
	s_waitcnt lgkmcnt(1)
	v_mul_f64 v[58:59], v[106:107], v[156:157]
	s_delay_alu instid0(VALU_DEP_1) | instskip(SKIP_1) | instid1(VALU_DEP_2)
	v_fma_f64 v[58:59], v[104:105], v[56:57], -v[58:59]
	v_mul_f64 v[104:105], v[104:105], v[156:157]
	v_add_f64 v[52:53], v[52:53], -v[58:59]
	s_delay_alu instid0(VALU_DEP_2) | instskip(SKIP_3) | instid1(VALU_DEP_3)
	v_fma_f64 v[158:159], v[106:107], v[56:57], v[104:105]
	s_waitcnt lgkmcnt(0)
	v_mul_f64 v[104:105], v[154:155], v[156:157]
	v_dual_mov_b32 v58, v156 :: v_dual_mov_b32 v59, v157
	v_add_f64 v[54:55], v[54:55], -v[158:159]
	s_delay_alu instid0(VALU_DEP_3) | instskip(SKIP_1) | instid1(VALU_DEP_2)
	v_fma_f64 v[160:161], v[152:153], v[56:57], -v[104:105]
	v_mul_f64 v[104:105], v[152:153], v[156:157]
	v_add_f64 v[48:49], v[48:49], -v[160:161]
	s_delay_alu instid0(VALU_DEP_2)
	v_fma_f64 v[162:163], v[154:155], v[56:57], v[104:105]
	ds_load_2addr_b64 v[104:107], v216 offset0:28 offset1:29
	ds_load_2addr_b64 v[152:155], v216 offset0:30 offset1:31
	s_waitcnt lgkmcnt(1)
	v_mul_f64 v[164:165], v[106:107], v[156:157]
	v_add_f64 v[50:51], v[50:51], -v[162:163]
	s_delay_alu instid0(VALU_DEP_2) | instskip(SKIP_1) | instid1(VALU_DEP_2)
	v_fma_f64 v[164:165], v[104:105], v[56:57], -v[164:165]
	v_mul_f64 v[104:105], v[104:105], v[156:157]
	v_add_f64 v[44:45], v[44:45], -v[164:165]
	s_delay_alu instid0(VALU_DEP_2) | instskip(SKIP_2) | instid1(VALU_DEP_2)
	v_fma_f64 v[166:167], v[106:107], v[56:57], v[104:105]
	s_waitcnt lgkmcnt(0)
	v_mul_f64 v[104:105], v[154:155], v[156:157]
	v_add_f64 v[46:47], v[46:47], -v[166:167]
	s_delay_alu instid0(VALU_DEP_2) | instskip(SKIP_1) | instid1(VALU_DEP_2)
	v_fma_f64 v[168:169], v[152:153], v[56:57], -v[104:105]
	v_mul_f64 v[104:105], v[152:153], v[156:157]
	v_add_f64 v[40:41], v[40:41], -v[168:169]
	s_delay_alu instid0(VALU_DEP_2)
	v_fma_f64 v[170:171], v[154:155], v[56:57], v[104:105]
	ds_load_2addr_b64 v[104:107], v216 offset0:32 offset1:33
	ds_load_2addr_b64 v[152:155], v216 offset0:34 offset1:35
	s_waitcnt lgkmcnt(1)
	v_mul_f64 v[172:173], v[106:107], v[156:157]
	v_add_f64 v[42:43], v[42:43], -v[170:171]
	s_delay_alu instid0(VALU_DEP_2) | instskip(SKIP_1) | instid1(VALU_DEP_2)
	v_fma_f64 v[172:173], v[104:105], v[56:57], -v[172:173]
	v_mul_f64 v[104:105], v[104:105], v[156:157]
	v_add_f64 v[36:37], v[36:37], -v[172:173]
	s_delay_alu instid0(VALU_DEP_2) | instskip(SKIP_2) | instid1(VALU_DEP_2)
	v_fma_f64 v[174:175], v[106:107], v[56:57], v[104:105]
	s_waitcnt lgkmcnt(0)
	v_mul_f64 v[104:105], v[154:155], v[156:157]
	v_add_f64 v[38:39], v[38:39], -v[174:175]
	s_delay_alu instid0(VALU_DEP_2) | instskip(SKIP_1) | instid1(VALU_DEP_2)
	;; [unrolled: 20-line block ×6, first 2 shown]
	v_fma_f64 v[106:107], v[152:153], v[56:57], -v[106:107]
	v_mul_f64 v[152:153], v[152:153], v[156:157]
	v_add_f64 v[0:1], v[0:1], -v[106:107]
	s_delay_alu instid0(VALU_DEP_2) | instskip(NEXT) | instid1(VALU_DEP_1)
	v_fma_f64 v[152:153], v[154:155], v[56:57], v[152:153]
	v_add_f64 v[2:3], v[2:3], -v[152:153]
.LBB51_109:
	s_or_b32 exec_lo, exec_lo, s3
	s_delay_alu instid0(SALU_CYCLE_1)
	s_mov_b32 s4, exec_lo
	s_waitcnt lgkmcnt(0)
	s_barrier
	buffer_gl0_inv
	v_cmpx_eq_u32_e32 12, v214
	s_cbranch_execz .LBB51_116
; %bb.110:
	ds_store_2addr_b64 v215, v[52:53], v[54:55] offset1:1
	ds_store_2addr_b64 v216, v[48:49], v[50:51] offset0:26 offset1:27
	ds_store_2addr_b64 v216, v[44:45], v[46:47] offset0:28 offset1:29
	;; [unrolled: 1-line block ×13, first 2 shown]
	ds_load_2addr_b64 v[152:155], v215 offset1:1
	s_waitcnt lgkmcnt(0)
	v_cmp_neq_f64_e32 vcc_lo, 0, v[152:153]
	v_cmp_neq_f64_e64 s3, 0, v[154:155]
	s_delay_alu instid0(VALU_DEP_1) | instskip(NEXT) | instid1(SALU_CYCLE_1)
	s_or_b32 s3, vcc_lo, s3
	s_and_b32 exec_lo, exec_lo, s3
	s_cbranch_execz .LBB51_116
; %bb.111:
	v_cmp_gt_f64_e32 vcc_lo, 0, v[152:153]
	v_cmp_gt_f64_e64 s3, 0, v[154:155]
	v_xor_b32_e32 v104, 0x80000000, v153
	v_xor_b32_e32 v106, 0x80000000, v155
	s_delay_alu instid0(VALU_DEP_2) | instskip(NEXT) | instid1(VALU_DEP_2)
	v_cndmask_b32_e32 v105, v153, v104, vcc_lo
	v_cndmask_b32_e64 v107, v155, v106, s3
	v_cndmask_b32_e32 v104, v152, v152, vcc_lo
	v_cndmask_b32_e64 v106, v154, v154, s3
	s_delay_alu instid0(VALU_DEP_1) | instskip(SKIP_1) | instid1(SALU_CYCLE_1)
	v_cmp_ngt_f64_e32 vcc_lo, v[104:105], v[106:107]
                                        ; implicit-def: $vgpr104_vgpr105
	s_and_saveexec_b32 s3, vcc_lo
	s_xor_b32 s3, exec_lo, s3
                                        ; implicit-def: $vgpr156_vgpr157_vgpr158_vgpr159
	s_cbranch_execz .LBB51_113
; %bb.112:
	v_div_scale_f64 v[104:105], null, v[154:155], v[154:155], v[152:153]
	v_div_scale_f64 v[158:159], vcc_lo, v[152:153], v[154:155], v[152:153]
	s_delay_alu instid0(VALU_DEP_2) | instskip(SKIP_2) | instid1(VALU_DEP_1)
	v_rcp_f64_e32 v[106:107], v[104:105]
	s_waitcnt_depctr 0xfff
	v_fma_f64 v[156:157], -v[104:105], v[106:107], 1.0
	v_fma_f64 v[106:107], v[106:107], v[156:157], v[106:107]
	s_delay_alu instid0(VALU_DEP_1) | instskip(NEXT) | instid1(VALU_DEP_1)
	v_fma_f64 v[156:157], -v[104:105], v[106:107], 1.0
	v_fma_f64 v[106:107], v[106:107], v[156:157], v[106:107]
	s_delay_alu instid0(VALU_DEP_1) | instskip(NEXT) | instid1(VALU_DEP_1)
	v_mul_f64 v[156:157], v[158:159], v[106:107]
	v_fma_f64 v[104:105], -v[104:105], v[156:157], v[158:159]
	s_delay_alu instid0(VALU_DEP_1) | instskip(NEXT) | instid1(VALU_DEP_1)
	v_div_fmas_f64 v[104:105], v[104:105], v[106:107], v[156:157]
	v_div_fixup_f64 v[104:105], v[104:105], v[154:155], v[152:153]
	s_delay_alu instid0(VALU_DEP_1) | instskip(NEXT) | instid1(VALU_DEP_1)
	v_fma_f64 v[106:107], v[152:153], v[104:105], v[154:155]
	v_div_scale_f64 v[152:153], null, v[106:107], v[106:107], 1.0
	s_delay_alu instid0(VALU_DEP_1) | instskip(SKIP_2) | instid1(VALU_DEP_1)
	v_rcp_f64_e32 v[154:155], v[152:153]
	s_waitcnt_depctr 0xfff
	v_fma_f64 v[156:157], -v[152:153], v[154:155], 1.0
	v_fma_f64 v[154:155], v[154:155], v[156:157], v[154:155]
	s_delay_alu instid0(VALU_DEP_1) | instskip(NEXT) | instid1(VALU_DEP_1)
	v_fma_f64 v[156:157], -v[152:153], v[154:155], 1.0
	v_fma_f64 v[154:155], v[154:155], v[156:157], v[154:155]
	v_div_scale_f64 v[156:157], vcc_lo, 1.0, v[106:107], 1.0
	s_delay_alu instid0(VALU_DEP_1) | instskip(NEXT) | instid1(VALU_DEP_1)
	v_mul_f64 v[158:159], v[156:157], v[154:155]
	v_fma_f64 v[152:153], -v[152:153], v[158:159], v[156:157]
	s_delay_alu instid0(VALU_DEP_1) | instskip(NEXT) | instid1(VALU_DEP_1)
	v_div_fmas_f64 v[152:153], v[152:153], v[154:155], v[158:159]
	v_div_fixup_f64 v[158:159], v[152:153], v[106:107], 1.0
                                        ; implicit-def: $vgpr152_vgpr153
	s_delay_alu instid0(VALU_DEP_1)
	v_mul_f64 v[104:105], v[104:105], v[158:159]
	v_xor_b32_e32 v159, 0x80000000, v159
.LBB51_113:
	s_and_not1_saveexec_b32 s3, s3
	s_cbranch_execz .LBB51_115
; %bb.114:
	v_div_scale_f64 v[104:105], null, v[152:153], v[152:153], v[154:155]
	v_div_scale_f64 v[158:159], vcc_lo, v[154:155], v[152:153], v[154:155]
	s_delay_alu instid0(VALU_DEP_2) | instskip(SKIP_2) | instid1(VALU_DEP_1)
	v_rcp_f64_e32 v[106:107], v[104:105]
	s_waitcnt_depctr 0xfff
	v_fma_f64 v[156:157], -v[104:105], v[106:107], 1.0
	v_fma_f64 v[106:107], v[106:107], v[156:157], v[106:107]
	s_delay_alu instid0(VALU_DEP_1) | instskip(NEXT) | instid1(VALU_DEP_1)
	v_fma_f64 v[156:157], -v[104:105], v[106:107], 1.0
	v_fma_f64 v[106:107], v[106:107], v[156:157], v[106:107]
	s_delay_alu instid0(VALU_DEP_1) | instskip(NEXT) | instid1(VALU_DEP_1)
	v_mul_f64 v[156:157], v[158:159], v[106:107]
	v_fma_f64 v[104:105], -v[104:105], v[156:157], v[158:159]
	s_delay_alu instid0(VALU_DEP_1) | instskip(NEXT) | instid1(VALU_DEP_1)
	v_div_fmas_f64 v[104:105], v[104:105], v[106:107], v[156:157]
	v_div_fixup_f64 v[106:107], v[104:105], v[152:153], v[154:155]
	s_delay_alu instid0(VALU_DEP_1) | instskip(NEXT) | instid1(VALU_DEP_1)
	v_fma_f64 v[104:105], v[154:155], v[106:107], v[152:153]
	v_div_scale_f64 v[152:153], null, v[104:105], v[104:105], 1.0
	s_delay_alu instid0(VALU_DEP_1) | instskip(SKIP_2) | instid1(VALU_DEP_1)
	v_rcp_f64_e32 v[154:155], v[152:153]
	s_waitcnt_depctr 0xfff
	v_fma_f64 v[156:157], -v[152:153], v[154:155], 1.0
	v_fma_f64 v[154:155], v[154:155], v[156:157], v[154:155]
	s_delay_alu instid0(VALU_DEP_1) | instskip(NEXT) | instid1(VALU_DEP_1)
	v_fma_f64 v[156:157], -v[152:153], v[154:155], 1.0
	v_fma_f64 v[154:155], v[154:155], v[156:157], v[154:155]
	v_div_scale_f64 v[156:157], vcc_lo, 1.0, v[104:105], 1.0
	s_delay_alu instid0(VALU_DEP_1) | instskip(NEXT) | instid1(VALU_DEP_1)
	v_mul_f64 v[158:159], v[156:157], v[154:155]
	v_fma_f64 v[152:153], -v[152:153], v[158:159], v[156:157]
	s_delay_alu instid0(VALU_DEP_1) | instskip(NEXT) | instid1(VALU_DEP_1)
	v_div_fmas_f64 v[152:153], v[152:153], v[154:155], v[158:159]
	v_div_fixup_f64 v[104:105], v[152:153], v[104:105], 1.0
	s_delay_alu instid0(VALU_DEP_1)
	v_mul_f64 v[158:159], v[106:107], -v[104:105]
.LBB51_115:
	s_or_b32 exec_lo, exec_lo, s3
	ds_store_2addr_b64 v215, v[104:105], v[158:159] offset1:1
.LBB51_116:
	s_or_b32 exec_lo, exec_lo, s4
	s_waitcnt lgkmcnt(0)
	s_barrier
	buffer_gl0_inv
	ds_load_2addr_b64 v[152:155], v215 offset1:1
	s_mov_b32 s3, exec_lo
	v_cmpx_lt_u32_e32 12, v214
	s_cbranch_execz .LBB51_118
; %bb.117:
	s_waitcnt lgkmcnt(0)
	v_mul_f64 v[104:105], v[152:153], v[54:55]
	v_mul_f64 v[54:55], v[154:155], v[54:55]
	s_delay_alu instid0(VALU_DEP_2)
	v_fma_f64 v[160:161], v[154:155], v[52:53], v[104:105]
	ds_load_2addr_b64 v[104:107], v216 offset0:26 offset1:27
	ds_load_2addr_b64 v[156:159], v216 offset0:28 offset1:29
	v_fma_f64 v[52:53], v[152:153], v[52:53], -v[54:55]
	s_waitcnt lgkmcnt(1)
	v_mul_f64 v[54:55], v[106:107], v[160:161]
	s_delay_alu instid0(VALU_DEP_1) | instskip(SKIP_1) | instid1(VALU_DEP_2)
	v_fma_f64 v[54:55], v[104:105], v[52:53], -v[54:55]
	v_mul_f64 v[104:105], v[104:105], v[160:161]
	v_add_f64 v[48:49], v[48:49], -v[54:55]
	s_delay_alu instid0(VALU_DEP_2) | instskip(SKIP_3) | instid1(VALU_DEP_3)
	v_fma_f64 v[162:163], v[106:107], v[52:53], v[104:105]
	s_waitcnt lgkmcnt(0)
	v_mul_f64 v[104:105], v[158:159], v[160:161]
	v_dual_mov_b32 v54, v160 :: v_dual_mov_b32 v55, v161
	v_add_f64 v[50:51], v[50:51], -v[162:163]
	s_delay_alu instid0(VALU_DEP_3) | instskip(SKIP_1) | instid1(VALU_DEP_2)
	v_fma_f64 v[164:165], v[156:157], v[52:53], -v[104:105]
	v_mul_f64 v[104:105], v[156:157], v[160:161]
	v_add_f64 v[44:45], v[44:45], -v[164:165]
	s_delay_alu instid0(VALU_DEP_2)
	v_fma_f64 v[166:167], v[158:159], v[52:53], v[104:105]
	ds_load_2addr_b64 v[104:107], v216 offset0:30 offset1:31
	ds_load_2addr_b64 v[156:159], v216 offset0:32 offset1:33
	s_waitcnt lgkmcnt(1)
	v_mul_f64 v[168:169], v[106:107], v[160:161]
	v_add_f64 v[46:47], v[46:47], -v[166:167]
	s_delay_alu instid0(VALU_DEP_2) | instskip(SKIP_1) | instid1(VALU_DEP_2)
	v_fma_f64 v[168:169], v[104:105], v[52:53], -v[168:169]
	v_mul_f64 v[104:105], v[104:105], v[160:161]
	v_add_f64 v[40:41], v[40:41], -v[168:169]
	s_delay_alu instid0(VALU_DEP_2) | instskip(SKIP_2) | instid1(VALU_DEP_2)
	v_fma_f64 v[170:171], v[106:107], v[52:53], v[104:105]
	s_waitcnt lgkmcnt(0)
	v_mul_f64 v[104:105], v[158:159], v[160:161]
	v_add_f64 v[42:43], v[42:43], -v[170:171]
	s_delay_alu instid0(VALU_DEP_2) | instskip(SKIP_1) | instid1(VALU_DEP_2)
	v_fma_f64 v[172:173], v[156:157], v[52:53], -v[104:105]
	v_mul_f64 v[104:105], v[156:157], v[160:161]
	v_add_f64 v[36:37], v[36:37], -v[172:173]
	s_delay_alu instid0(VALU_DEP_2)
	v_fma_f64 v[174:175], v[158:159], v[52:53], v[104:105]
	ds_load_2addr_b64 v[104:107], v216 offset0:34 offset1:35
	ds_load_2addr_b64 v[156:159], v216 offset0:36 offset1:37
	s_waitcnt lgkmcnt(1)
	v_mul_f64 v[176:177], v[106:107], v[160:161]
	v_add_f64 v[38:39], v[38:39], -v[174:175]
	s_delay_alu instid0(VALU_DEP_2) | instskip(SKIP_1) | instid1(VALU_DEP_2)
	v_fma_f64 v[176:177], v[104:105], v[52:53], -v[176:177]
	v_mul_f64 v[104:105], v[104:105], v[160:161]
	v_add_f64 v[32:33], v[32:33], -v[176:177]
	s_delay_alu instid0(VALU_DEP_2) | instskip(SKIP_2) | instid1(VALU_DEP_2)
	v_fma_f64 v[178:179], v[106:107], v[52:53], v[104:105]
	s_waitcnt lgkmcnt(0)
	v_mul_f64 v[104:105], v[158:159], v[160:161]
	v_add_f64 v[34:35], v[34:35], -v[178:179]
	s_delay_alu instid0(VALU_DEP_2) | instskip(SKIP_1) | instid1(VALU_DEP_2)
	;; [unrolled: 20-line block ×5, first 2 shown]
	v_fma_f64 v[204:205], v[156:157], v[52:53], -v[104:105]
	v_mul_f64 v[104:105], v[156:157], v[160:161]
	v_add_f64 v[4:5], v[4:5], -v[204:205]
	s_delay_alu instid0(VALU_DEP_2) | instskip(SKIP_4) | instid1(VALU_DEP_2)
	v_fma_f64 v[156:157], v[158:159], v[52:53], v[104:105]
	ds_load_2addr_b64 v[104:107], v216 offset0:50 offset1:51
	s_waitcnt lgkmcnt(0)
	v_mul_f64 v[158:159], v[106:107], v[160:161]
	v_add_f64 v[6:7], v[6:7], -v[156:157]
	v_fma_f64 v[158:159], v[104:105], v[52:53], -v[158:159]
	v_mul_f64 v[104:105], v[104:105], v[160:161]
	s_delay_alu instid0(VALU_DEP_2) | instskip(NEXT) | instid1(VALU_DEP_2)
	v_add_f64 v[0:1], v[0:1], -v[158:159]
	v_fma_f64 v[104:105], v[106:107], v[52:53], v[104:105]
	s_delay_alu instid0(VALU_DEP_1)
	v_add_f64 v[2:3], v[2:3], -v[104:105]
.LBB51_118:
	s_or_b32 exec_lo, exec_lo, s3
	s_delay_alu instid0(SALU_CYCLE_1)
	s_mov_b32 s4, exec_lo
	s_waitcnt lgkmcnt(0)
	s_barrier
	buffer_gl0_inv
	v_cmpx_eq_u32_e32 13, v214
	s_cbranch_execz .LBB51_125
; %bb.119:
	ds_store_2addr_b64 v215, v[48:49], v[50:51] offset1:1
	ds_store_2addr_b64 v216, v[44:45], v[46:47] offset0:28 offset1:29
	ds_store_2addr_b64 v216, v[40:41], v[42:43] offset0:30 offset1:31
	;; [unrolled: 1-line block ×12, first 2 shown]
	ds_load_2addr_b64 v[156:159], v215 offset1:1
	s_waitcnt lgkmcnt(0)
	v_cmp_neq_f64_e32 vcc_lo, 0, v[156:157]
	v_cmp_neq_f64_e64 s3, 0, v[158:159]
	s_delay_alu instid0(VALU_DEP_1) | instskip(NEXT) | instid1(SALU_CYCLE_1)
	s_or_b32 s3, vcc_lo, s3
	s_and_b32 exec_lo, exec_lo, s3
	s_cbranch_execz .LBB51_125
; %bb.120:
	v_cmp_gt_f64_e32 vcc_lo, 0, v[156:157]
	v_cmp_gt_f64_e64 s3, 0, v[158:159]
	v_xor_b32_e32 v104, 0x80000000, v157
	v_xor_b32_e32 v106, 0x80000000, v159
	s_delay_alu instid0(VALU_DEP_2) | instskip(NEXT) | instid1(VALU_DEP_2)
	v_cndmask_b32_e32 v105, v157, v104, vcc_lo
	v_cndmask_b32_e64 v107, v159, v106, s3
	v_cndmask_b32_e32 v104, v156, v156, vcc_lo
	v_cndmask_b32_e64 v106, v158, v158, s3
	s_delay_alu instid0(VALU_DEP_1) | instskip(SKIP_1) | instid1(SALU_CYCLE_1)
	v_cmp_ngt_f64_e32 vcc_lo, v[104:105], v[106:107]
                                        ; implicit-def: $vgpr104_vgpr105
	s_and_saveexec_b32 s3, vcc_lo
	s_xor_b32 s3, exec_lo, s3
                                        ; implicit-def: $vgpr160_vgpr161_vgpr162_vgpr163
	s_cbranch_execz .LBB51_122
; %bb.121:
	v_div_scale_f64 v[104:105], null, v[158:159], v[158:159], v[156:157]
	v_div_scale_f64 v[162:163], vcc_lo, v[156:157], v[158:159], v[156:157]
	s_delay_alu instid0(VALU_DEP_2) | instskip(SKIP_2) | instid1(VALU_DEP_1)
	v_rcp_f64_e32 v[106:107], v[104:105]
	s_waitcnt_depctr 0xfff
	v_fma_f64 v[160:161], -v[104:105], v[106:107], 1.0
	v_fma_f64 v[106:107], v[106:107], v[160:161], v[106:107]
	s_delay_alu instid0(VALU_DEP_1) | instskip(NEXT) | instid1(VALU_DEP_1)
	v_fma_f64 v[160:161], -v[104:105], v[106:107], 1.0
	v_fma_f64 v[106:107], v[106:107], v[160:161], v[106:107]
	s_delay_alu instid0(VALU_DEP_1) | instskip(NEXT) | instid1(VALU_DEP_1)
	v_mul_f64 v[160:161], v[162:163], v[106:107]
	v_fma_f64 v[104:105], -v[104:105], v[160:161], v[162:163]
	s_delay_alu instid0(VALU_DEP_1) | instskip(NEXT) | instid1(VALU_DEP_1)
	v_div_fmas_f64 v[104:105], v[104:105], v[106:107], v[160:161]
	v_div_fixup_f64 v[104:105], v[104:105], v[158:159], v[156:157]
	s_delay_alu instid0(VALU_DEP_1) | instskip(NEXT) | instid1(VALU_DEP_1)
	v_fma_f64 v[106:107], v[156:157], v[104:105], v[158:159]
	v_div_scale_f64 v[156:157], null, v[106:107], v[106:107], 1.0
	s_delay_alu instid0(VALU_DEP_1) | instskip(SKIP_2) | instid1(VALU_DEP_1)
	v_rcp_f64_e32 v[158:159], v[156:157]
	s_waitcnt_depctr 0xfff
	v_fma_f64 v[160:161], -v[156:157], v[158:159], 1.0
	v_fma_f64 v[158:159], v[158:159], v[160:161], v[158:159]
	s_delay_alu instid0(VALU_DEP_1) | instskip(NEXT) | instid1(VALU_DEP_1)
	v_fma_f64 v[160:161], -v[156:157], v[158:159], 1.0
	v_fma_f64 v[158:159], v[158:159], v[160:161], v[158:159]
	v_div_scale_f64 v[160:161], vcc_lo, 1.0, v[106:107], 1.0
	s_delay_alu instid0(VALU_DEP_1) | instskip(NEXT) | instid1(VALU_DEP_1)
	v_mul_f64 v[162:163], v[160:161], v[158:159]
	v_fma_f64 v[156:157], -v[156:157], v[162:163], v[160:161]
	s_delay_alu instid0(VALU_DEP_1) | instskip(NEXT) | instid1(VALU_DEP_1)
	v_div_fmas_f64 v[156:157], v[156:157], v[158:159], v[162:163]
	v_div_fixup_f64 v[162:163], v[156:157], v[106:107], 1.0
                                        ; implicit-def: $vgpr156_vgpr157
	s_delay_alu instid0(VALU_DEP_1)
	v_mul_f64 v[104:105], v[104:105], v[162:163]
	v_xor_b32_e32 v163, 0x80000000, v163
.LBB51_122:
	s_and_not1_saveexec_b32 s3, s3
	s_cbranch_execz .LBB51_124
; %bb.123:
	v_div_scale_f64 v[104:105], null, v[156:157], v[156:157], v[158:159]
	v_div_scale_f64 v[162:163], vcc_lo, v[158:159], v[156:157], v[158:159]
	s_delay_alu instid0(VALU_DEP_2) | instskip(SKIP_2) | instid1(VALU_DEP_1)
	v_rcp_f64_e32 v[106:107], v[104:105]
	s_waitcnt_depctr 0xfff
	v_fma_f64 v[160:161], -v[104:105], v[106:107], 1.0
	v_fma_f64 v[106:107], v[106:107], v[160:161], v[106:107]
	s_delay_alu instid0(VALU_DEP_1) | instskip(NEXT) | instid1(VALU_DEP_1)
	v_fma_f64 v[160:161], -v[104:105], v[106:107], 1.0
	v_fma_f64 v[106:107], v[106:107], v[160:161], v[106:107]
	s_delay_alu instid0(VALU_DEP_1) | instskip(NEXT) | instid1(VALU_DEP_1)
	v_mul_f64 v[160:161], v[162:163], v[106:107]
	v_fma_f64 v[104:105], -v[104:105], v[160:161], v[162:163]
	s_delay_alu instid0(VALU_DEP_1) | instskip(NEXT) | instid1(VALU_DEP_1)
	v_div_fmas_f64 v[104:105], v[104:105], v[106:107], v[160:161]
	v_div_fixup_f64 v[106:107], v[104:105], v[156:157], v[158:159]
	s_delay_alu instid0(VALU_DEP_1) | instskip(NEXT) | instid1(VALU_DEP_1)
	v_fma_f64 v[104:105], v[158:159], v[106:107], v[156:157]
	v_div_scale_f64 v[156:157], null, v[104:105], v[104:105], 1.0
	s_delay_alu instid0(VALU_DEP_1) | instskip(SKIP_2) | instid1(VALU_DEP_1)
	v_rcp_f64_e32 v[158:159], v[156:157]
	s_waitcnt_depctr 0xfff
	v_fma_f64 v[160:161], -v[156:157], v[158:159], 1.0
	v_fma_f64 v[158:159], v[158:159], v[160:161], v[158:159]
	s_delay_alu instid0(VALU_DEP_1) | instskip(NEXT) | instid1(VALU_DEP_1)
	v_fma_f64 v[160:161], -v[156:157], v[158:159], 1.0
	v_fma_f64 v[158:159], v[158:159], v[160:161], v[158:159]
	v_div_scale_f64 v[160:161], vcc_lo, 1.0, v[104:105], 1.0
	s_delay_alu instid0(VALU_DEP_1) | instskip(NEXT) | instid1(VALU_DEP_1)
	v_mul_f64 v[162:163], v[160:161], v[158:159]
	v_fma_f64 v[156:157], -v[156:157], v[162:163], v[160:161]
	s_delay_alu instid0(VALU_DEP_1) | instskip(NEXT) | instid1(VALU_DEP_1)
	v_div_fmas_f64 v[156:157], v[156:157], v[158:159], v[162:163]
	v_div_fixup_f64 v[104:105], v[156:157], v[104:105], 1.0
	s_delay_alu instid0(VALU_DEP_1)
	v_mul_f64 v[162:163], v[106:107], -v[104:105]
.LBB51_124:
	s_or_b32 exec_lo, exec_lo, s3
	ds_store_2addr_b64 v215, v[104:105], v[162:163] offset1:1
.LBB51_125:
	s_or_b32 exec_lo, exec_lo, s4
	s_waitcnt lgkmcnt(0)
	s_barrier
	buffer_gl0_inv
	ds_load_2addr_b64 v[156:159], v215 offset1:1
	s_mov_b32 s3, exec_lo
	v_cmpx_lt_u32_e32 13, v214
	s_cbranch_execz .LBB51_127
; %bb.126:
	s_waitcnt lgkmcnt(0)
	v_mul_f64 v[104:105], v[156:157], v[50:51]
	v_mul_f64 v[50:51], v[158:159], v[50:51]
	s_delay_alu instid0(VALU_DEP_2)
	v_fma_f64 v[164:165], v[158:159], v[48:49], v[104:105]
	ds_load_2addr_b64 v[104:107], v216 offset0:28 offset1:29
	ds_load_2addr_b64 v[160:163], v216 offset0:30 offset1:31
	v_fma_f64 v[48:49], v[156:157], v[48:49], -v[50:51]
	s_waitcnt lgkmcnt(1)
	v_mul_f64 v[50:51], v[106:107], v[164:165]
	s_delay_alu instid0(VALU_DEP_1) | instskip(SKIP_1) | instid1(VALU_DEP_2)
	v_fma_f64 v[50:51], v[104:105], v[48:49], -v[50:51]
	v_mul_f64 v[104:105], v[104:105], v[164:165]
	v_add_f64 v[44:45], v[44:45], -v[50:51]
	s_delay_alu instid0(VALU_DEP_2) | instskip(SKIP_3) | instid1(VALU_DEP_3)
	v_fma_f64 v[166:167], v[106:107], v[48:49], v[104:105]
	s_waitcnt lgkmcnt(0)
	v_mul_f64 v[104:105], v[162:163], v[164:165]
	v_dual_mov_b32 v50, v164 :: v_dual_mov_b32 v51, v165
	v_add_f64 v[46:47], v[46:47], -v[166:167]
	s_delay_alu instid0(VALU_DEP_3) | instskip(SKIP_1) | instid1(VALU_DEP_2)
	v_fma_f64 v[168:169], v[160:161], v[48:49], -v[104:105]
	v_mul_f64 v[104:105], v[160:161], v[164:165]
	v_add_f64 v[40:41], v[40:41], -v[168:169]
	s_delay_alu instid0(VALU_DEP_2)
	v_fma_f64 v[170:171], v[162:163], v[48:49], v[104:105]
	ds_load_2addr_b64 v[104:107], v216 offset0:32 offset1:33
	ds_load_2addr_b64 v[160:163], v216 offset0:34 offset1:35
	s_waitcnt lgkmcnt(1)
	v_mul_f64 v[172:173], v[106:107], v[164:165]
	v_add_f64 v[42:43], v[42:43], -v[170:171]
	s_delay_alu instid0(VALU_DEP_2) | instskip(SKIP_1) | instid1(VALU_DEP_2)
	v_fma_f64 v[172:173], v[104:105], v[48:49], -v[172:173]
	v_mul_f64 v[104:105], v[104:105], v[164:165]
	v_add_f64 v[36:37], v[36:37], -v[172:173]
	s_delay_alu instid0(VALU_DEP_2) | instskip(SKIP_2) | instid1(VALU_DEP_2)
	v_fma_f64 v[174:175], v[106:107], v[48:49], v[104:105]
	s_waitcnt lgkmcnt(0)
	v_mul_f64 v[104:105], v[162:163], v[164:165]
	v_add_f64 v[38:39], v[38:39], -v[174:175]
	s_delay_alu instid0(VALU_DEP_2) | instskip(SKIP_1) | instid1(VALU_DEP_2)
	v_fma_f64 v[176:177], v[160:161], v[48:49], -v[104:105]
	v_mul_f64 v[104:105], v[160:161], v[164:165]
	v_add_f64 v[32:33], v[32:33], -v[176:177]
	s_delay_alu instid0(VALU_DEP_2)
	v_fma_f64 v[178:179], v[162:163], v[48:49], v[104:105]
	ds_load_2addr_b64 v[104:107], v216 offset0:36 offset1:37
	ds_load_2addr_b64 v[160:163], v216 offset0:38 offset1:39
	s_waitcnt lgkmcnt(1)
	v_mul_f64 v[180:181], v[106:107], v[164:165]
	v_add_f64 v[34:35], v[34:35], -v[178:179]
	s_delay_alu instid0(VALU_DEP_2) | instskip(SKIP_1) | instid1(VALU_DEP_2)
	v_fma_f64 v[180:181], v[104:105], v[48:49], -v[180:181]
	v_mul_f64 v[104:105], v[104:105], v[164:165]
	v_add_f64 v[28:29], v[28:29], -v[180:181]
	s_delay_alu instid0(VALU_DEP_2) | instskip(SKIP_2) | instid1(VALU_DEP_2)
	v_fma_f64 v[182:183], v[106:107], v[48:49], v[104:105]
	s_waitcnt lgkmcnt(0)
	v_mul_f64 v[104:105], v[162:163], v[164:165]
	v_add_f64 v[30:31], v[30:31], -v[182:183]
	s_delay_alu instid0(VALU_DEP_2) | instskip(SKIP_1) | instid1(VALU_DEP_2)
	;; [unrolled: 20-line block ×5, first 2 shown]
	v_fma_f64 v[106:107], v[160:161], v[48:49], -v[106:107]
	v_mul_f64 v[160:161], v[160:161], v[164:165]
	v_add_f64 v[0:1], v[0:1], -v[106:107]
	s_delay_alu instid0(VALU_DEP_2) | instskip(NEXT) | instid1(VALU_DEP_1)
	v_fma_f64 v[160:161], v[162:163], v[48:49], v[160:161]
	v_add_f64 v[2:3], v[2:3], -v[160:161]
.LBB51_127:
	s_or_b32 exec_lo, exec_lo, s3
	s_delay_alu instid0(SALU_CYCLE_1)
	s_mov_b32 s4, exec_lo
	s_waitcnt lgkmcnt(0)
	s_barrier
	buffer_gl0_inv
	v_cmpx_eq_u32_e32 14, v214
	s_cbranch_execz .LBB51_134
; %bb.128:
	ds_store_2addr_b64 v215, v[44:45], v[46:47] offset1:1
	ds_store_2addr_b64 v216, v[40:41], v[42:43] offset0:30 offset1:31
	ds_store_2addr_b64 v216, v[36:37], v[38:39] offset0:32 offset1:33
	;; [unrolled: 1-line block ×11, first 2 shown]
	ds_load_2addr_b64 v[160:163], v215 offset1:1
	s_waitcnt lgkmcnt(0)
	v_cmp_neq_f64_e32 vcc_lo, 0, v[160:161]
	v_cmp_neq_f64_e64 s3, 0, v[162:163]
	s_delay_alu instid0(VALU_DEP_1) | instskip(NEXT) | instid1(SALU_CYCLE_1)
	s_or_b32 s3, vcc_lo, s3
	s_and_b32 exec_lo, exec_lo, s3
	s_cbranch_execz .LBB51_134
; %bb.129:
	v_cmp_gt_f64_e32 vcc_lo, 0, v[160:161]
	v_cmp_gt_f64_e64 s3, 0, v[162:163]
	v_xor_b32_e32 v104, 0x80000000, v161
	v_xor_b32_e32 v106, 0x80000000, v163
	s_delay_alu instid0(VALU_DEP_2) | instskip(NEXT) | instid1(VALU_DEP_2)
	v_cndmask_b32_e32 v105, v161, v104, vcc_lo
	v_cndmask_b32_e64 v107, v163, v106, s3
	v_cndmask_b32_e32 v104, v160, v160, vcc_lo
	v_cndmask_b32_e64 v106, v162, v162, s3
	s_delay_alu instid0(VALU_DEP_1) | instskip(SKIP_1) | instid1(SALU_CYCLE_1)
	v_cmp_ngt_f64_e32 vcc_lo, v[104:105], v[106:107]
                                        ; implicit-def: $vgpr104_vgpr105
	s_and_saveexec_b32 s3, vcc_lo
	s_xor_b32 s3, exec_lo, s3
                                        ; implicit-def: $vgpr164_vgpr165_vgpr166_vgpr167
	s_cbranch_execz .LBB51_131
; %bb.130:
	v_div_scale_f64 v[104:105], null, v[162:163], v[162:163], v[160:161]
	v_div_scale_f64 v[166:167], vcc_lo, v[160:161], v[162:163], v[160:161]
	s_delay_alu instid0(VALU_DEP_2) | instskip(SKIP_2) | instid1(VALU_DEP_1)
	v_rcp_f64_e32 v[106:107], v[104:105]
	s_waitcnt_depctr 0xfff
	v_fma_f64 v[164:165], -v[104:105], v[106:107], 1.0
	v_fma_f64 v[106:107], v[106:107], v[164:165], v[106:107]
	s_delay_alu instid0(VALU_DEP_1) | instskip(NEXT) | instid1(VALU_DEP_1)
	v_fma_f64 v[164:165], -v[104:105], v[106:107], 1.0
	v_fma_f64 v[106:107], v[106:107], v[164:165], v[106:107]
	s_delay_alu instid0(VALU_DEP_1) | instskip(NEXT) | instid1(VALU_DEP_1)
	v_mul_f64 v[164:165], v[166:167], v[106:107]
	v_fma_f64 v[104:105], -v[104:105], v[164:165], v[166:167]
	s_delay_alu instid0(VALU_DEP_1) | instskip(NEXT) | instid1(VALU_DEP_1)
	v_div_fmas_f64 v[104:105], v[104:105], v[106:107], v[164:165]
	v_div_fixup_f64 v[104:105], v[104:105], v[162:163], v[160:161]
	s_delay_alu instid0(VALU_DEP_1) | instskip(NEXT) | instid1(VALU_DEP_1)
	v_fma_f64 v[106:107], v[160:161], v[104:105], v[162:163]
	v_div_scale_f64 v[160:161], null, v[106:107], v[106:107], 1.0
	s_delay_alu instid0(VALU_DEP_1) | instskip(SKIP_2) | instid1(VALU_DEP_1)
	v_rcp_f64_e32 v[162:163], v[160:161]
	s_waitcnt_depctr 0xfff
	v_fma_f64 v[164:165], -v[160:161], v[162:163], 1.0
	v_fma_f64 v[162:163], v[162:163], v[164:165], v[162:163]
	s_delay_alu instid0(VALU_DEP_1) | instskip(NEXT) | instid1(VALU_DEP_1)
	v_fma_f64 v[164:165], -v[160:161], v[162:163], 1.0
	v_fma_f64 v[162:163], v[162:163], v[164:165], v[162:163]
	v_div_scale_f64 v[164:165], vcc_lo, 1.0, v[106:107], 1.0
	s_delay_alu instid0(VALU_DEP_1) | instskip(NEXT) | instid1(VALU_DEP_1)
	v_mul_f64 v[166:167], v[164:165], v[162:163]
	v_fma_f64 v[160:161], -v[160:161], v[166:167], v[164:165]
	s_delay_alu instid0(VALU_DEP_1) | instskip(NEXT) | instid1(VALU_DEP_1)
	v_div_fmas_f64 v[160:161], v[160:161], v[162:163], v[166:167]
	v_div_fixup_f64 v[166:167], v[160:161], v[106:107], 1.0
                                        ; implicit-def: $vgpr160_vgpr161
	s_delay_alu instid0(VALU_DEP_1)
	v_mul_f64 v[104:105], v[104:105], v[166:167]
	v_xor_b32_e32 v167, 0x80000000, v167
.LBB51_131:
	s_and_not1_saveexec_b32 s3, s3
	s_cbranch_execz .LBB51_133
; %bb.132:
	v_div_scale_f64 v[104:105], null, v[160:161], v[160:161], v[162:163]
	v_div_scale_f64 v[166:167], vcc_lo, v[162:163], v[160:161], v[162:163]
	s_delay_alu instid0(VALU_DEP_2) | instskip(SKIP_2) | instid1(VALU_DEP_1)
	v_rcp_f64_e32 v[106:107], v[104:105]
	s_waitcnt_depctr 0xfff
	v_fma_f64 v[164:165], -v[104:105], v[106:107], 1.0
	v_fma_f64 v[106:107], v[106:107], v[164:165], v[106:107]
	s_delay_alu instid0(VALU_DEP_1) | instskip(NEXT) | instid1(VALU_DEP_1)
	v_fma_f64 v[164:165], -v[104:105], v[106:107], 1.0
	v_fma_f64 v[106:107], v[106:107], v[164:165], v[106:107]
	s_delay_alu instid0(VALU_DEP_1) | instskip(NEXT) | instid1(VALU_DEP_1)
	v_mul_f64 v[164:165], v[166:167], v[106:107]
	v_fma_f64 v[104:105], -v[104:105], v[164:165], v[166:167]
	s_delay_alu instid0(VALU_DEP_1) | instskip(NEXT) | instid1(VALU_DEP_1)
	v_div_fmas_f64 v[104:105], v[104:105], v[106:107], v[164:165]
	v_div_fixup_f64 v[106:107], v[104:105], v[160:161], v[162:163]
	s_delay_alu instid0(VALU_DEP_1) | instskip(NEXT) | instid1(VALU_DEP_1)
	v_fma_f64 v[104:105], v[162:163], v[106:107], v[160:161]
	v_div_scale_f64 v[160:161], null, v[104:105], v[104:105], 1.0
	s_delay_alu instid0(VALU_DEP_1) | instskip(SKIP_2) | instid1(VALU_DEP_1)
	v_rcp_f64_e32 v[162:163], v[160:161]
	s_waitcnt_depctr 0xfff
	v_fma_f64 v[164:165], -v[160:161], v[162:163], 1.0
	v_fma_f64 v[162:163], v[162:163], v[164:165], v[162:163]
	s_delay_alu instid0(VALU_DEP_1) | instskip(NEXT) | instid1(VALU_DEP_1)
	v_fma_f64 v[164:165], -v[160:161], v[162:163], 1.0
	v_fma_f64 v[162:163], v[162:163], v[164:165], v[162:163]
	v_div_scale_f64 v[164:165], vcc_lo, 1.0, v[104:105], 1.0
	s_delay_alu instid0(VALU_DEP_1) | instskip(NEXT) | instid1(VALU_DEP_1)
	v_mul_f64 v[166:167], v[164:165], v[162:163]
	v_fma_f64 v[160:161], -v[160:161], v[166:167], v[164:165]
	s_delay_alu instid0(VALU_DEP_1) | instskip(NEXT) | instid1(VALU_DEP_1)
	v_div_fmas_f64 v[160:161], v[160:161], v[162:163], v[166:167]
	v_div_fixup_f64 v[104:105], v[160:161], v[104:105], 1.0
	s_delay_alu instid0(VALU_DEP_1)
	v_mul_f64 v[166:167], v[106:107], -v[104:105]
.LBB51_133:
	s_or_b32 exec_lo, exec_lo, s3
	ds_store_2addr_b64 v215, v[104:105], v[166:167] offset1:1
.LBB51_134:
	s_or_b32 exec_lo, exec_lo, s4
	s_waitcnt lgkmcnt(0)
	s_barrier
	buffer_gl0_inv
	ds_load_2addr_b64 v[160:163], v215 offset1:1
	s_mov_b32 s3, exec_lo
	v_cmpx_lt_u32_e32 14, v214
	s_cbranch_execz .LBB51_136
; %bb.135:
	s_waitcnt lgkmcnt(0)
	v_mul_f64 v[104:105], v[160:161], v[46:47]
	v_mul_f64 v[46:47], v[162:163], v[46:47]
	s_delay_alu instid0(VALU_DEP_2)
	v_fma_f64 v[168:169], v[162:163], v[44:45], v[104:105]
	ds_load_2addr_b64 v[104:107], v216 offset0:30 offset1:31
	ds_load_2addr_b64 v[164:167], v216 offset0:32 offset1:33
	v_fma_f64 v[44:45], v[160:161], v[44:45], -v[46:47]
	s_waitcnt lgkmcnt(1)
	v_mul_f64 v[46:47], v[106:107], v[168:169]
	s_delay_alu instid0(VALU_DEP_1) | instskip(SKIP_1) | instid1(VALU_DEP_2)
	v_fma_f64 v[46:47], v[104:105], v[44:45], -v[46:47]
	v_mul_f64 v[104:105], v[104:105], v[168:169]
	v_add_f64 v[40:41], v[40:41], -v[46:47]
	s_delay_alu instid0(VALU_DEP_2) | instskip(SKIP_3) | instid1(VALU_DEP_3)
	v_fma_f64 v[170:171], v[106:107], v[44:45], v[104:105]
	s_waitcnt lgkmcnt(0)
	v_mul_f64 v[104:105], v[166:167], v[168:169]
	v_dual_mov_b32 v46, v168 :: v_dual_mov_b32 v47, v169
	v_add_f64 v[42:43], v[42:43], -v[170:171]
	s_delay_alu instid0(VALU_DEP_3) | instskip(SKIP_1) | instid1(VALU_DEP_2)
	v_fma_f64 v[172:173], v[164:165], v[44:45], -v[104:105]
	v_mul_f64 v[104:105], v[164:165], v[168:169]
	v_add_f64 v[36:37], v[36:37], -v[172:173]
	s_delay_alu instid0(VALU_DEP_2)
	v_fma_f64 v[174:175], v[166:167], v[44:45], v[104:105]
	ds_load_2addr_b64 v[104:107], v216 offset0:34 offset1:35
	ds_load_2addr_b64 v[164:167], v216 offset0:36 offset1:37
	s_waitcnt lgkmcnt(1)
	v_mul_f64 v[176:177], v[106:107], v[168:169]
	v_add_f64 v[38:39], v[38:39], -v[174:175]
	s_delay_alu instid0(VALU_DEP_2) | instskip(SKIP_1) | instid1(VALU_DEP_2)
	v_fma_f64 v[176:177], v[104:105], v[44:45], -v[176:177]
	v_mul_f64 v[104:105], v[104:105], v[168:169]
	v_add_f64 v[32:33], v[32:33], -v[176:177]
	s_delay_alu instid0(VALU_DEP_2) | instskip(SKIP_2) | instid1(VALU_DEP_2)
	v_fma_f64 v[178:179], v[106:107], v[44:45], v[104:105]
	s_waitcnt lgkmcnt(0)
	v_mul_f64 v[104:105], v[166:167], v[168:169]
	v_add_f64 v[34:35], v[34:35], -v[178:179]
	s_delay_alu instid0(VALU_DEP_2) | instskip(SKIP_1) | instid1(VALU_DEP_2)
	v_fma_f64 v[180:181], v[164:165], v[44:45], -v[104:105]
	v_mul_f64 v[104:105], v[164:165], v[168:169]
	v_add_f64 v[28:29], v[28:29], -v[180:181]
	s_delay_alu instid0(VALU_DEP_2)
	v_fma_f64 v[182:183], v[166:167], v[44:45], v[104:105]
	ds_load_2addr_b64 v[104:107], v216 offset0:38 offset1:39
	ds_load_2addr_b64 v[164:167], v216 offset0:40 offset1:41
	s_waitcnt lgkmcnt(1)
	v_mul_f64 v[184:185], v[106:107], v[168:169]
	v_add_f64 v[30:31], v[30:31], -v[182:183]
	s_delay_alu instid0(VALU_DEP_2) | instskip(SKIP_1) | instid1(VALU_DEP_2)
	v_fma_f64 v[184:185], v[104:105], v[44:45], -v[184:185]
	v_mul_f64 v[104:105], v[104:105], v[168:169]
	v_add_f64 v[24:25], v[24:25], -v[184:185]
	s_delay_alu instid0(VALU_DEP_2) | instskip(SKIP_2) | instid1(VALU_DEP_2)
	v_fma_f64 v[186:187], v[106:107], v[44:45], v[104:105]
	s_waitcnt lgkmcnt(0)
	v_mul_f64 v[104:105], v[166:167], v[168:169]
	v_add_f64 v[26:27], v[26:27], -v[186:187]
	s_delay_alu instid0(VALU_DEP_2) | instskip(SKIP_1) | instid1(VALU_DEP_2)
	;; [unrolled: 20-line block ×4, first 2 shown]
	v_fma_f64 v[204:205], v[164:165], v[44:45], -v[104:105]
	v_mul_f64 v[104:105], v[164:165], v[168:169]
	v_add_f64 v[4:5], v[4:5], -v[204:205]
	s_delay_alu instid0(VALU_DEP_2) | instskip(SKIP_4) | instid1(VALU_DEP_2)
	v_fma_f64 v[164:165], v[166:167], v[44:45], v[104:105]
	ds_load_2addr_b64 v[104:107], v216 offset0:50 offset1:51
	s_waitcnt lgkmcnt(0)
	v_mul_f64 v[166:167], v[106:107], v[168:169]
	v_add_f64 v[6:7], v[6:7], -v[164:165]
	v_fma_f64 v[166:167], v[104:105], v[44:45], -v[166:167]
	v_mul_f64 v[104:105], v[104:105], v[168:169]
	s_delay_alu instid0(VALU_DEP_2) | instskip(NEXT) | instid1(VALU_DEP_2)
	v_add_f64 v[0:1], v[0:1], -v[166:167]
	v_fma_f64 v[104:105], v[106:107], v[44:45], v[104:105]
	s_delay_alu instid0(VALU_DEP_1)
	v_add_f64 v[2:3], v[2:3], -v[104:105]
.LBB51_136:
	s_or_b32 exec_lo, exec_lo, s3
	s_delay_alu instid0(SALU_CYCLE_1)
	s_mov_b32 s4, exec_lo
	s_waitcnt lgkmcnt(0)
	s_barrier
	buffer_gl0_inv
	v_cmpx_eq_u32_e32 15, v214
	s_cbranch_execz .LBB51_143
; %bb.137:
	ds_store_2addr_b64 v215, v[40:41], v[42:43] offset1:1
	ds_store_2addr_b64 v216, v[36:37], v[38:39] offset0:32 offset1:33
	ds_store_2addr_b64 v216, v[32:33], v[34:35] offset0:34 offset1:35
	;; [unrolled: 1-line block ×10, first 2 shown]
	ds_load_2addr_b64 v[164:167], v215 offset1:1
	s_waitcnt lgkmcnt(0)
	v_cmp_neq_f64_e32 vcc_lo, 0, v[164:165]
	v_cmp_neq_f64_e64 s3, 0, v[166:167]
	s_delay_alu instid0(VALU_DEP_1) | instskip(NEXT) | instid1(SALU_CYCLE_1)
	s_or_b32 s3, vcc_lo, s3
	s_and_b32 exec_lo, exec_lo, s3
	s_cbranch_execz .LBB51_143
; %bb.138:
	v_cmp_gt_f64_e32 vcc_lo, 0, v[164:165]
	v_cmp_gt_f64_e64 s3, 0, v[166:167]
	v_xor_b32_e32 v104, 0x80000000, v165
	v_xor_b32_e32 v106, 0x80000000, v167
	s_delay_alu instid0(VALU_DEP_2) | instskip(NEXT) | instid1(VALU_DEP_2)
	v_cndmask_b32_e32 v105, v165, v104, vcc_lo
	v_cndmask_b32_e64 v107, v167, v106, s3
	v_cndmask_b32_e32 v104, v164, v164, vcc_lo
	v_cndmask_b32_e64 v106, v166, v166, s3
	s_delay_alu instid0(VALU_DEP_1) | instskip(SKIP_1) | instid1(SALU_CYCLE_1)
	v_cmp_ngt_f64_e32 vcc_lo, v[104:105], v[106:107]
                                        ; implicit-def: $vgpr104_vgpr105
	s_and_saveexec_b32 s3, vcc_lo
	s_xor_b32 s3, exec_lo, s3
                                        ; implicit-def: $vgpr168_vgpr169_vgpr170_vgpr171
	s_cbranch_execz .LBB51_140
; %bb.139:
	v_div_scale_f64 v[104:105], null, v[166:167], v[166:167], v[164:165]
	v_div_scale_f64 v[170:171], vcc_lo, v[164:165], v[166:167], v[164:165]
	s_delay_alu instid0(VALU_DEP_2) | instskip(SKIP_2) | instid1(VALU_DEP_1)
	v_rcp_f64_e32 v[106:107], v[104:105]
	s_waitcnt_depctr 0xfff
	v_fma_f64 v[168:169], -v[104:105], v[106:107], 1.0
	v_fma_f64 v[106:107], v[106:107], v[168:169], v[106:107]
	s_delay_alu instid0(VALU_DEP_1) | instskip(NEXT) | instid1(VALU_DEP_1)
	v_fma_f64 v[168:169], -v[104:105], v[106:107], 1.0
	v_fma_f64 v[106:107], v[106:107], v[168:169], v[106:107]
	s_delay_alu instid0(VALU_DEP_1) | instskip(NEXT) | instid1(VALU_DEP_1)
	v_mul_f64 v[168:169], v[170:171], v[106:107]
	v_fma_f64 v[104:105], -v[104:105], v[168:169], v[170:171]
	s_delay_alu instid0(VALU_DEP_1) | instskip(NEXT) | instid1(VALU_DEP_1)
	v_div_fmas_f64 v[104:105], v[104:105], v[106:107], v[168:169]
	v_div_fixup_f64 v[104:105], v[104:105], v[166:167], v[164:165]
	s_delay_alu instid0(VALU_DEP_1) | instskip(NEXT) | instid1(VALU_DEP_1)
	v_fma_f64 v[106:107], v[164:165], v[104:105], v[166:167]
	v_div_scale_f64 v[164:165], null, v[106:107], v[106:107], 1.0
	s_delay_alu instid0(VALU_DEP_1) | instskip(SKIP_2) | instid1(VALU_DEP_1)
	v_rcp_f64_e32 v[166:167], v[164:165]
	s_waitcnt_depctr 0xfff
	v_fma_f64 v[168:169], -v[164:165], v[166:167], 1.0
	v_fma_f64 v[166:167], v[166:167], v[168:169], v[166:167]
	s_delay_alu instid0(VALU_DEP_1) | instskip(NEXT) | instid1(VALU_DEP_1)
	v_fma_f64 v[168:169], -v[164:165], v[166:167], 1.0
	v_fma_f64 v[166:167], v[166:167], v[168:169], v[166:167]
	v_div_scale_f64 v[168:169], vcc_lo, 1.0, v[106:107], 1.0
	s_delay_alu instid0(VALU_DEP_1) | instskip(NEXT) | instid1(VALU_DEP_1)
	v_mul_f64 v[170:171], v[168:169], v[166:167]
	v_fma_f64 v[164:165], -v[164:165], v[170:171], v[168:169]
	s_delay_alu instid0(VALU_DEP_1) | instskip(NEXT) | instid1(VALU_DEP_1)
	v_div_fmas_f64 v[164:165], v[164:165], v[166:167], v[170:171]
	v_div_fixup_f64 v[170:171], v[164:165], v[106:107], 1.0
                                        ; implicit-def: $vgpr164_vgpr165
	s_delay_alu instid0(VALU_DEP_1)
	v_mul_f64 v[104:105], v[104:105], v[170:171]
	v_xor_b32_e32 v171, 0x80000000, v171
.LBB51_140:
	s_and_not1_saveexec_b32 s3, s3
	s_cbranch_execz .LBB51_142
; %bb.141:
	v_div_scale_f64 v[104:105], null, v[164:165], v[164:165], v[166:167]
	v_div_scale_f64 v[170:171], vcc_lo, v[166:167], v[164:165], v[166:167]
	s_delay_alu instid0(VALU_DEP_2) | instskip(SKIP_2) | instid1(VALU_DEP_1)
	v_rcp_f64_e32 v[106:107], v[104:105]
	s_waitcnt_depctr 0xfff
	v_fma_f64 v[168:169], -v[104:105], v[106:107], 1.0
	v_fma_f64 v[106:107], v[106:107], v[168:169], v[106:107]
	s_delay_alu instid0(VALU_DEP_1) | instskip(NEXT) | instid1(VALU_DEP_1)
	v_fma_f64 v[168:169], -v[104:105], v[106:107], 1.0
	v_fma_f64 v[106:107], v[106:107], v[168:169], v[106:107]
	s_delay_alu instid0(VALU_DEP_1) | instskip(NEXT) | instid1(VALU_DEP_1)
	v_mul_f64 v[168:169], v[170:171], v[106:107]
	v_fma_f64 v[104:105], -v[104:105], v[168:169], v[170:171]
	s_delay_alu instid0(VALU_DEP_1) | instskip(NEXT) | instid1(VALU_DEP_1)
	v_div_fmas_f64 v[104:105], v[104:105], v[106:107], v[168:169]
	v_div_fixup_f64 v[106:107], v[104:105], v[164:165], v[166:167]
	s_delay_alu instid0(VALU_DEP_1) | instskip(NEXT) | instid1(VALU_DEP_1)
	v_fma_f64 v[104:105], v[166:167], v[106:107], v[164:165]
	v_div_scale_f64 v[164:165], null, v[104:105], v[104:105], 1.0
	s_delay_alu instid0(VALU_DEP_1) | instskip(SKIP_2) | instid1(VALU_DEP_1)
	v_rcp_f64_e32 v[166:167], v[164:165]
	s_waitcnt_depctr 0xfff
	v_fma_f64 v[168:169], -v[164:165], v[166:167], 1.0
	v_fma_f64 v[166:167], v[166:167], v[168:169], v[166:167]
	s_delay_alu instid0(VALU_DEP_1) | instskip(NEXT) | instid1(VALU_DEP_1)
	v_fma_f64 v[168:169], -v[164:165], v[166:167], 1.0
	v_fma_f64 v[166:167], v[166:167], v[168:169], v[166:167]
	v_div_scale_f64 v[168:169], vcc_lo, 1.0, v[104:105], 1.0
	s_delay_alu instid0(VALU_DEP_1) | instskip(NEXT) | instid1(VALU_DEP_1)
	v_mul_f64 v[170:171], v[168:169], v[166:167]
	v_fma_f64 v[164:165], -v[164:165], v[170:171], v[168:169]
	s_delay_alu instid0(VALU_DEP_1) | instskip(NEXT) | instid1(VALU_DEP_1)
	v_div_fmas_f64 v[164:165], v[164:165], v[166:167], v[170:171]
	v_div_fixup_f64 v[104:105], v[164:165], v[104:105], 1.0
	s_delay_alu instid0(VALU_DEP_1)
	v_mul_f64 v[170:171], v[106:107], -v[104:105]
.LBB51_142:
	s_or_b32 exec_lo, exec_lo, s3
	ds_store_2addr_b64 v215, v[104:105], v[170:171] offset1:1
.LBB51_143:
	s_or_b32 exec_lo, exec_lo, s4
	s_waitcnt lgkmcnt(0)
	s_barrier
	buffer_gl0_inv
	ds_load_2addr_b64 v[164:167], v215 offset1:1
	s_mov_b32 s3, exec_lo
	v_cmpx_lt_u32_e32 15, v214
	s_cbranch_execz .LBB51_145
; %bb.144:
	s_waitcnt lgkmcnt(0)
	v_mul_f64 v[104:105], v[164:165], v[42:43]
	v_mul_f64 v[42:43], v[166:167], v[42:43]
	s_delay_alu instid0(VALU_DEP_2)
	v_fma_f64 v[172:173], v[166:167], v[40:41], v[104:105]
	ds_load_2addr_b64 v[104:107], v216 offset0:32 offset1:33
	ds_load_2addr_b64 v[168:171], v216 offset0:34 offset1:35
	v_fma_f64 v[40:41], v[164:165], v[40:41], -v[42:43]
	s_waitcnt lgkmcnt(1)
	v_mul_f64 v[42:43], v[106:107], v[172:173]
	s_delay_alu instid0(VALU_DEP_1) | instskip(SKIP_1) | instid1(VALU_DEP_2)
	v_fma_f64 v[42:43], v[104:105], v[40:41], -v[42:43]
	v_mul_f64 v[104:105], v[104:105], v[172:173]
	v_add_f64 v[36:37], v[36:37], -v[42:43]
	s_delay_alu instid0(VALU_DEP_2) | instskip(SKIP_3) | instid1(VALU_DEP_3)
	v_fma_f64 v[174:175], v[106:107], v[40:41], v[104:105]
	s_waitcnt lgkmcnt(0)
	v_mul_f64 v[104:105], v[170:171], v[172:173]
	v_dual_mov_b32 v42, v172 :: v_dual_mov_b32 v43, v173
	v_add_f64 v[38:39], v[38:39], -v[174:175]
	s_delay_alu instid0(VALU_DEP_3) | instskip(SKIP_1) | instid1(VALU_DEP_2)
	v_fma_f64 v[176:177], v[168:169], v[40:41], -v[104:105]
	v_mul_f64 v[104:105], v[168:169], v[172:173]
	v_add_f64 v[32:33], v[32:33], -v[176:177]
	s_delay_alu instid0(VALU_DEP_2)
	v_fma_f64 v[178:179], v[170:171], v[40:41], v[104:105]
	ds_load_2addr_b64 v[104:107], v216 offset0:36 offset1:37
	ds_load_2addr_b64 v[168:171], v216 offset0:38 offset1:39
	s_waitcnt lgkmcnt(1)
	v_mul_f64 v[180:181], v[106:107], v[172:173]
	v_add_f64 v[34:35], v[34:35], -v[178:179]
	s_delay_alu instid0(VALU_DEP_2) | instskip(SKIP_1) | instid1(VALU_DEP_2)
	v_fma_f64 v[180:181], v[104:105], v[40:41], -v[180:181]
	v_mul_f64 v[104:105], v[104:105], v[172:173]
	v_add_f64 v[28:29], v[28:29], -v[180:181]
	s_delay_alu instid0(VALU_DEP_2) | instskip(SKIP_2) | instid1(VALU_DEP_2)
	v_fma_f64 v[182:183], v[106:107], v[40:41], v[104:105]
	s_waitcnt lgkmcnt(0)
	v_mul_f64 v[104:105], v[170:171], v[172:173]
	v_add_f64 v[30:31], v[30:31], -v[182:183]
	s_delay_alu instid0(VALU_DEP_2) | instskip(SKIP_1) | instid1(VALU_DEP_2)
	v_fma_f64 v[184:185], v[168:169], v[40:41], -v[104:105]
	v_mul_f64 v[104:105], v[168:169], v[172:173]
	v_add_f64 v[24:25], v[24:25], -v[184:185]
	s_delay_alu instid0(VALU_DEP_2)
	v_fma_f64 v[186:187], v[170:171], v[40:41], v[104:105]
	ds_load_2addr_b64 v[104:107], v216 offset0:40 offset1:41
	ds_load_2addr_b64 v[168:171], v216 offset0:42 offset1:43
	s_waitcnt lgkmcnt(1)
	v_mul_f64 v[188:189], v[106:107], v[172:173]
	v_add_f64 v[26:27], v[26:27], -v[186:187]
	s_delay_alu instid0(VALU_DEP_2) | instskip(SKIP_1) | instid1(VALU_DEP_2)
	v_fma_f64 v[188:189], v[104:105], v[40:41], -v[188:189]
	v_mul_f64 v[104:105], v[104:105], v[172:173]
	v_add_f64 v[20:21], v[20:21], -v[188:189]
	s_delay_alu instid0(VALU_DEP_2) | instskip(SKIP_2) | instid1(VALU_DEP_2)
	v_fma_f64 v[190:191], v[106:107], v[40:41], v[104:105]
	s_waitcnt lgkmcnt(0)
	v_mul_f64 v[104:105], v[170:171], v[172:173]
	v_add_f64 v[22:23], v[22:23], -v[190:191]
	s_delay_alu instid0(VALU_DEP_2) | instskip(SKIP_1) | instid1(VALU_DEP_2)
	;; [unrolled: 20-line block ×4, first 2 shown]
	v_fma_f64 v[106:107], v[168:169], v[40:41], -v[106:107]
	v_mul_f64 v[168:169], v[168:169], v[172:173]
	v_add_f64 v[0:1], v[0:1], -v[106:107]
	s_delay_alu instid0(VALU_DEP_2) | instskip(NEXT) | instid1(VALU_DEP_1)
	v_fma_f64 v[168:169], v[170:171], v[40:41], v[168:169]
	v_add_f64 v[2:3], v[2:3], -v[168:169]
.LBB51_145:
	s_or_b32 exec_lo, exec_lo, s3
	s_delay_alu instid0(SALU_CYCLE_1)
	s_mov_b32 s4, exec_lo
	s_waitcnt lgkmcnt(0)
	s_barrier
	buffer_gl0_inv
	v_cmpx_eq_u32_e32 16, v214
	s_cbranch_execz .LBB51_152
; %bb.146:
	ds_store_2addr_b64 v215, v[36:37], v[38:39] offset1:1
	ds_store_2addr_b64 v216, v[32:33], v[34:35] offset0:34 offset1:35
	ds_store_2addr_b64 v216, v[28:29], v[30:31] offset0:36 offset1:37
	;; [unrolled: 1-line block ×9, first 2 shown]
	ds_load_2addr_b64 v[168:171], v215 offset1:1
	s_waitcnt lgkmcnt(0)
	v_cmp_neq_f64_e32 vcc_lo, 0, v[168:169]
	v_cmp_neq_f64_e64 s3, 0, v[170:171]
	s_delay_alu instid0(VALU_DEP_1) | instskip(NEXT) | instid1(SALU_CYCLE_1)
	s_or_b32 s3, vcc_lo, s3
	s_and_b32 exec_lo, exec_lo, s3
	s_cbranch_execz .LBB51_152
; %bb.147:
	v_cmp_gt_f64_e32 vcc_lo, 0, v[168:169]
	v_cmp_gt_f64_e64 s3, 0, v[170:171]
	v_xor_b32_e32 v104, 0x80000000, v169
	v_xor_b32_e32 v106, 0x80000000, v171
	s_delay_alu instid0(VALU_DEP_2) | instskip(NEXT) | instid1(VALU_DEP_2)
	v_cndmask_b32_e32 v105, v169, v104, vcc_lo
	v_cndmask_b32_e64 v107, v171, v106, s3
	v_cndmask_b32_e32 v104, v168, v168, vcc_lo
	v_cndmask_b32_e64 v106, v170, v170, s3
	s_delay_alu instid0(VALU_DEP_1) | instskip(SKIP_1) | instid1(SALU_CYCLE_1)
	v_cmp_ngt_f64_e32 vcc_lo, v[104:105], v[106:107]
                                        ; implicit-def: $vgpr104_vgpr105
	s_and_saveexec_b32 s3, vcc_lo
	s_xor_b32 s3, exec_lo, s3
                                        ; implicit-def: $vgpr172_vgpr173_vgpr174_vgpr175
	s_cbranch_execz .LBB51_149
; %bb.148:
	v_div_scale_f64 v[104:105], null, v[170:171], v[170:171], v[168:169]
	v_div_scale_f64 v[174:175], vcc_lo, v[168:169], v[170:171], v[168:169]
	s_delay_alu instid0(VALU_DEP_2) | instskip(SKIP_2) | instid1(VALU_DEP_1)
	v_rcp_f64_e32 v[106:107], v[104:105]
	s_waitcnt_depctr 0xfff
	v_fma_f64 v[172:173], -v[104:105], v[106:107], 1.0
	v_fma_f64 v[106:107], v[106:107], v[172:173], v[106:107]
	s_delay_alu instid0(VALU_DEP_1) | instskip(NEXT) | instid1(VALU_DEP_1)
	v_fma_f64 v[172:173], -v[104:105], v[106:107], 1.0
	v_fma_f64 v[106:107], v[106:107], v[172:173], v[106:107]
	s_delay_alu instid0(VALU_DEP_1) | instskip(NEXT) | instid1(VALU_DEP_1)
	v_mul_f64 v[172:173], v[174:175], v[106:107]
	v_fma_f64 v[104:105], -v[104:105], v[172:173], v[174:175]
	s_delay_alu instid0(VALU_DEP_1) | instskip(NEXT) | instid1(VALU_DEP_1)
	v_div_fmas_f64 v[104:105], v[104:105], v[106:107], v[172:173]
	v_div_fixup_f64 v[104:105], v[104:105], v[170:171], v[168:169]
	s_delay_alu instid0(VALU_DEP_1) | instskip(NEXT) | instid1(VALU_DEP_1)
	v_fma_f64 v[106:107], v[168:169], v[104:105], v[170:171]
	v_div_scale_f64 v[168:169], null, v[106:107], v[106:107], 1.0
	s_delay_alu instid0(VALU_DEP_1) | instskip(SKIP_2) | instid1(VALU_DEP_1)
	v_rcp_f64_e32 v[170:171], v[168:169]
	s_waitcnt_depctr 0xfff
	v_fma_f64 v[172:173], -v[168:169], v[170:171], 1.0
	v_fma_f64 v[170:171], v[170:171], v[172:173], v[170:171]
	s_delay_alu instid0(VALU_DEP_1) | instskip(NEXT) | instid1(VALU_DEP_1)
	v_fma_f64 v[172:173], -v[168:169], v[170:171], 1.0
	v_fma_f64 v[170:171], v[170:171], v[172:173], v[170:171]
	v_div_scale_f64 v[172:173], vcc_lo, 1.0, v[106:107], 1.0
	s_delay_alu instid0(VALU_DEP_1) | instskip(NEXT) | instid1(VALU_DEP_1)
	v_mul_f64 v[174:175], v[172:173], v[170:171]
	v_fma_f64 v[168:169], -v[168:169], v[174:175], v[172:173]
	s_delay_alu instid0(VALU_DEP_1) | instskip(NEXT) | instid1(VALU_DEP_1)
	v_div_fmas_f64 v[168:169], v[168:169], v[170:171], v[174:175]
	v_div_fixup_f64 v[174:175], v[168:169], v[106:107], 1.0
                                        ; implicit-def: $vgpr168_vgpr169
	s_delay_alu instid0(VALU_DEP_1)
	v_mul_f64 v[104:105], v[104:105], v[174:175]
	v_xor_b32_e32 v175, 0x80000000, v175
.LBB51_149:
	s_and_not1_saveexec_b32 s3, s3
	s_cbranch_execz .LBB51_151
; %bb.150:
	v_div_scale_f64 v[104:105], null, v[168:169], v[168:169], v[170:171]
	v_div_scale_f64 v[174:175], vcc_lo, v[170:171], v[168:169], v[170:171]
	s_delay_alu instid0(VALU_DEP_2) | instskip(SKIP_2) | instid1(VALU_DEP_1)
	v_rcp_f64_e32 v[106:107], v[104:105]
	s_waitcnt_depctr 0xfff
	v_fma_f64 v[172:173], -v[104:105], v[106:107], 1.0
	v_fma_f64 v[106:107], v[106:107], v[172:173], v[106:107]
	s_delay_alu instid0(VALU_DEP_1) | instskip(NEXT) | instid1(VALU_DEP_1)
	v_fma_f64 v[172:173], -v[104:105], v[106:107], 1.0
	v_fma_f64 v[106:107], v[106:107], v[172:173], v[106:107]
	s_delay_alu instid0(VALU_DEP_1) | instskip(NEXT) | instid1(VALU_DEP_1)
	v_mul_f64 v[172:173], v[174:175], v[106:107]
	v_fma_f64 v[104:105], -v[104:105], v[172:173], v[174:175]
	s_delay_alu instid0(VALU_DEP_1) | instskip(NEXT) | instid1(VALU_DEP_1)
	v_div_fmas_f64 v[104:105], v[104:105], v[106:107], v[172:173]
	v_div_fixup_f64 v[106:107], v[104:105], v[168:169], v[170:171]
	s_delay_alu instid0(VALU_DEP_1) | instskip(NEXT) | instid1(VALU_DEP_1)
	v_fma_f64 v[104:105], v[170:171], v[106:107], v[168:169]
	v_div_scale_f64 v[168:169], null, v[104:105], v[104:105], 1.0
	s_delay_alu instid0(VALU_DEP_1) | instskip(SKIP_2) | instid1(VALU_DEP_1)
	v_rcp_f64_e32 v[170:171], v[168:169]
	s_waitcnt_depctr 0xfff
	v_fma_f64 v[172:173], -v[168:169], v[170:171], 1.0
	v_fma_f64 v[170:171], v[170:171], v[172:173], v[170:171]
	s_delay_alu instid0(VALU_DEP_1) | instskip(NEXT) | instid1(VALU_DEP_1)
	v_fma_f64 v[172:173], -v[168:169], v[170:171], 1.0
	v_fma_f64 v[170:171], v[170:171], v[172:173], v[170:171]
	v_div_scale_f64 v[172:173], vcc_lo, 1.0, v[104:105], 1.0
	s_delay_alu instid0(VALU_DEP_1) | instskip(NEXT) | instid1(VALU_DEP_1)
	v_mul_f64 v[174:175], v[172:173], v[170:171]
	v_fma_f64 v[168:169], -v[168:169], v[174:175], v[172:173]
	s_delay_alu instid0(VALU_DEP_1) | instskip(NEXT) | instid1(VALU_DEP_1)
	v_div_fmas_f64 v[168:169], v[168:169], v[170:171], v[174:175]
	v_div_fixup_f64 v[104:105], v[168:169], v[104:105], 1.0
	s_delay_alu instid0(VALU_DEP_1)
	v_mul_f64 v[174:175], v[106:107], -v[104:105]
.LBB51_151:
	s_or_b32 exec_lo, exec_lo, s3
	ds_store_2addr_b64 v215, v[104:105], v[174:175] offset1:1
.LBB51_152:
	s_or_b32 exec_lo, exec_lo, s4
	s_waitcnt lgkmcnt(0)
	s_barrier
	buffer_gl0_inv
	ds_load_2addr_b64 v[168:171], v215 offset1:1
	s_mov_b32 s3, exec_lo
	v_cmpx_lt_u32_e32 16, v214
	s_cbranch_execz .LBB51_154
; %bb.153:
	s_waitcnt lgkmcnt(0)
	v_mul_f64 v[104:105], v[168:169], v[38:39]
	v_mul_f64 v[38:39], v[170:171], v[38:39]
	s_delay_alu instid0(VALU_DEP_2)
	v_fma_f64 v[176:177], v[170:171], v[36:37], v[104:105]
	ds_load_2addr_b64 v[104:107], v216 offset0:34 offset1:35
	ds_load_2addr_b64 v[172:175], v216 offset0:36 offset1:37
	v_fma_f64 v[36:37], v[168:169], v[36:37], -v[38:39]
	s_waitcnt lgkmcnt(1)
	v_mul_f64 v[38:39], v[106:107], v[176:177]
	s_delay_alu instid0(VALU_DEP_1) | instskip(SKIP_1) | instid1(VALU_DEP_2)
	v_fma_f64 v[38:39], v[104:105], v[36:37], -v[38:39]
	v_mul_f64 v[104:105], v[104:105], v[176:177]
	v_add_f64 v[32:33], v[32:33], -v[38:39]
	s_delay_alu instid0(VALU_DEP_2) | instskip(SKIP_3) | instid1(VALU_DEP_3)
	v_fma_f64 v[178:179], v[106:107], v[36:37], v[104:105]
	s_waitcnt lgkmcnt(0)
	v_mul_f64 v[104:105], v[174:175], v[176:177]
	v_dual_mov_b32 v38, v176 :: v_dual_mov_b32 v39, v177
	v_add_f64 v[34:35], v[34:35], -v[178:179]
	s_delay_alu instid0(VALU_DEP_3) | instskip(SKIP_1) | instid1(VALU_DEP_2)
	v_fma_f64 v[180:181], v[172:173], v[36:37], -v[104:105]
	v_mul_f64 v[104:105], v[172:173], v[176:177]
	v_add_f64 v[28:29], v[28:29], -v[180:181]
	s_delay_alu instid0(VALU_DEP_2)
	v_fma_f64 v[182:183], v[174:175], v[36:37], v[104:105]
	ds_load_2addr_b64 v[104:107], v216 offset0:38 offset1:39
	ds_load_2addr_b64 v[172:175], v216 offset0:40 offset1:41
	s_waitcnt lgkmcnt(1)
	v_mul_f64 v[184:185], v[106:107], v[176:177]
	v_add_f64 v[30:31], v[30:31], -v[182:183]
	s_delay_alu instid0(VALU_DEP_2) | instskip(SKIP_1) | instid1(VALU_DEP_2)
	v_fma_f64 v[184:185], v[104:105], v[36:37], -v[184:185]
	v_mul_f64 v[104:105], v[104:105], v[176:177]
	v_add_f64 v[24:25], v[24:25], -v[184:185]
	s_delay_alu instid0(VALU_DEP_2) | instskip(SKIP_2) | instid1(VALU_DEP_2)
	v_fma_f64 v[186:187], v[106:107], v[36:37], v[104:105]
	s_waitcnt lgkmcnt(0)
	v_mul_f64 v[104:105], v[174:175], v[176:177]
	v_add_f64 v[26:27], v[26:27], -v[186:187]
	s_delay_alu instid0(VALU_DEP_2) | instskip(SKIP_1) | instid1(VALU_DEP_2)
	v_fma_f64 v[188:189], v[172:173], v[36:37], -v[104:105]
	v_mul_f64 v[104:105], v[172:173], v[176:177]
	v_add_f64 v[20:21], v[20:21], -v[188:189]
	s_delay_alu instid0(VALU_DEP_2)
	v_fma_f64 v[190:191], v[174:175], v[36:37], v[104:105]
	ds_load_2addr_b64 v[104:107], v216 offset0:42 offset1:43
	ds_load_2addr_b64 v[172:175], v216 offset0:44 offset1:45
	s_waitcnt lgkmcnt(1)
	v_mul_f64 v[192:193], v[106:107], v[176:177]
	v_add_f64 v[22:23], v[22:23], -v[190:191]
	s_delay_alu instid0(VALU_DEP_2) | instskip(SKIP_1) | instid1(VALU_DEP_2)
	v_fma_f64 v[192:193], v[104:105], v[36:37], -v[192:193]
	v_mul_f64 v[104:105], v[104:105], v[176:177]
	v_add_f64 v[16:17], v[16:17], -v[192:193]
	s_delay_alu instid0(VALU_DEP_2) | instskip(SKIP_2) | instid1(VALU_DEP_2)
	v_fma_f64 v[194:195], v[106:107], v[36:37], v[104:105]
	s_waitcnt lgkmcnt(0)
	v_mul_f64 v[104:105], v[174:175], v[176:177]
	v_add_f64 v[18:19], v[18:19], -v[194:195]
	s_delay_alu instid0(VALU_DEP_2) | instskip(SKIP_1) | instid1(VALU_DEP_2)
	;; [unrolled: 20-line block ×3, first 2 shown]
	v_fma_f64 v[204:205], v[172:173], v[36:37], -v[104:105]
	v_mul_f64 v[104:105], v[172:173], v[176:177]
	v_add_f64 v[4:5], v[4:5], -v[204:205]
	s_delay_alu instid0(VALU_DEP_2) | instskip(SKIP_4) | instid1(VALU_DEP_2)
	v_fma_f64 v[172:173], v[174:175], v[36:37], v[104:105]
	ds_load_2addr_b64 v[104:107], v216 offset0:50 offset1:51
	s_waitcnt lgkmcnt(0)
	v_mul_f64 v[174:175], v[106:107], v[176:177]
	v_add_f64 v[6:7], v[6:7], -v[172:173]
	v_fma_f64 v[174:175], v[104:105], v[36:37], -v[174:175]
	v_mul_f64 v[104:105], v[104:105], v[176:177]
	s_delay_alu instid0(VALU_DEP_2) | instskip(NEXT) | instid1(VALU_DEP_2)
	v_add_f64 v[0:1], v[0:1], -v[174:175]
	v_fma_f64 v[104:105], v[106:107], v[36:37], v[104:105]
	s_delay_alu instid0(VALU_DEP_1)
	v_add_f64 v[2:3], v[2:3], -v[104:105]
.LBB51_154:
	s_or_b32 exec_lo, exec_lo, s3
	s_delay_alu instid0(SALU_CYCLE_1)
	s_mov_b32 s4, exec_lo
	s_waitcnt lgkmcnt(0)
	s_barrier
	buffer_gl0_inv
	v_cmpx_eq_u32_e32 17, v214
	s_cbranch_execz .LBB51_161
; %bb.155:
	ds_store_2addr_b64 v215, v[32:33], v[34:35] offset1:1
	ds_store_2addr_b64 v216, v[28:29], v[30:31] offset0:36 offset1:37
	ds_store_2addr_b64 v216, v[24:25], v[26:27] offset0:38 offset1:39
	;; [unrolled: 1-line block ×8, first 2 shown]
	ds_load_2addr_b64 v[172:175], v215 offset1:1
	s_waitcnt lgkmcnt(0)
	v_cmp_neq_f64_e32 vcc_lo, 0, v[172:173]
	v_cmp_neq_f64_e64 s3, 0, v[174:175]
	s_delay_alu instid0(VALU_DEP_1) | instskip(NEXT) | instid1(SALU_CYCLE_1)
	s_or_b32 s3, vcc_lo, s3
	s_and_b32 exec_lo, exec_lo, s3
	s_cbranch_execz .LBB51_161
; %bb.156:
	v_cmp_gt_f64_e32 vcc_lo, 0, v[172:173]
	v_cmp_gt_f64_e64 s3, 0, v[174:175]
	v_xor_b32_e32 v104, 0x80000000, v173
	v_xor_b32_e32 v106, 0x80000000, v175
	s_delay_alu instid0(VALU_DEP_2) | instskip(NEXT) | instid1(VALU_DEP_2)
	v_cndmask_b32_e32 v105, v173, v104, vcc_lo
	v_cndmask_b32_e64 v107, v175, v106, s3
	v_cndmask_b32_e32 v104, v172, v172, vcc_lo
	v_cndmask_b32_e64 v106, v174, v174, s3
	s_delay_alu instid0(VALU_DEP_1) | instskip(SKIP_1) | instid1(SALU_CYCLE_1)
	v_cmp_ngt_f64_e32 vcc_lo, v[104:105], v[106:107]
                                        ; implicit-def: $vgpr104_vgpr105
	s_and_saveexec_b32 s3, vcc_lo
	s_xor_b32 s3, exec_lo, s3
                                        ; implicit-def: $vgpr176_vgpr177_vgpr178_vgpr179
	s_cbranch_execz .LBB51_158
; %bb.157:
	v_div_scale_f64 v[104:105], null, v[174:175], v[174:175], v[172:173]
	v_div_scale_f64 v[178:179], vcc_lo, v[172:173], v[174:175], v[172:173]
	s_delay_alu instid0(VALU_DEP_2) | instskip(SKIP_2) | instid1(VALU_DEP_1)
	v_rcp_f64_e32 v[106:107], v[104:105]
	s_waitcnt_depctr 0xfff
	v_fma_f64 v[176:177], -v[104:105], v[106:107], 1.0
	v_fma_f64 v[106:107], v[106:107], v[176:177], v[106:107]
	s_delay_alu instid0(VALU_DEP_1) | instskip(NEXT) | instid1(VALU_DEP_1)
	v_fma_f64 v[176:177], -v[104:105], v[106:107], 1.0
	v_fma_f64 v[106:107], v[106:107], v[176:177], v[106:107]
	s_delay_alu instid0(VALU_DEP_1) | instskip(NEXT) | instid1(VALU_DEP_1)
	v_mul_f64 v[176:177], v[178:179], v[106:107]
	v_fma_f64 v[104:105], -v[104:105], v[176:177], v[178:179]
	s_delay_alu instid0(VALU_DEP_1) | instskip(NEXT) | instid1(VALU_DEP_1)
	v_div_fmas_f64 v[104:105], v[104:105], v[106:107], v[176:177]
	v_div_fixup_f64 v[104:105], v[104:105], v[174:175], v[172:173]
	s_delay_alu instid0(VALU_DEP_1) | instskip(NEXT) | instid1(VALU_DEP_1)
	v_fma_f64 v[106:107], v[172:173], v[104:105], v[174:175]
	v_div_scale_f64 v[172:173], null, v[106:107], v[106:107], 1.0
	s_delay_alu instid0(VALU_DEP_1) | instskip(SKIP_2) | instid1(VALU_DEP_1)
	v_rcp_f64_e32 v[174:175], v[172:173]
	s_waitcnt_depctr 0xfff
	v_fma_f64 v[176:177], -v[172:173], v[174:175], 1.0
	v_fma_f64 v[174:175], v[174:175], v[176:177], v[174:175]
	s_delay_alu instid0(VALU_DEP_1) | instskip(NEXT) | instid1(VALU_DEP_1)
	v_fma_f64 v[176:177], -v[172:173], v[174:175], 1.0
	v_fma_f64 v[174:175], v[174:175], v[176:177], v[174:175]
	v_div_scale_f64 v[176:177], vcc_lo, 1.0, v[106:107], 1.0
	s_delay_alu instid0(VALU_DEP_1) | instskip(NEXT) | instid1(VALU_DEP_1)
	v_mul_f64 v[178:179], v[176:177], v[174:175]
	v_fma_f64 v[172:173], -v[172:173], v[178:179], v[176:177]
	s_delay_alu instid0(VALU_DEP_1) | instskip(NEXT) | instid1(VALU_DEP_1)
	v_div_fmas_f64 v[172:173], v[172:173], v[174:175], v[178:179]
	v_div_fixup_f64 v[178:179], v[172:173], v[106:107], 1.0
                                        ; implicit-def: $vgpr172_vgpr173
	s_delay_alu instid0(VALU_DEP_1)
	v_mul_f64 v[104:105], v[104:105], v[178:179]
	v_xor_b32_e32 v179, 0x80000000, v179
.LBB51_158:
	s_and_not1_saveexec_b32 s3, s3
	s_cbranch_execz .LBB51_160
; %bb.159:
	v_div_scale_f64 v[104:105], null, v[172:173], v[172:173], v[174:175]
	v_div_scale_f64 v[178:179], vcc_lo, v[174:175], v[172:173], v[174:175]
	s_delay_alu instid0(VALU_DEP_2) | instskip(SKIP_2) | instid1(VALU_DEP_1)
	v_rcp_f64_e32 v[106:107], v[104:105]
	s_waitcnt_depctr 0xfff
	v_fma_f64 v[176:177], -v[104:105], v[106:107], 1.0
	v_fma_f64 v[106:107], v[106:107], v[176:177], v[106:107]
	s_delay_alu instid0(VALU_DEP_1) | instskip(NEXT) | instid1(VALU_DEP_1)
	v_fma_f64 v[176:177], -v[104:105], v[106:107], 1.0
	v_fma_f64 v[106:107], v[106:107], v[176:177], v[106:107]
	s_delay_alu instid0(VALU_DEP_1) | instskip(NEXT) | instid1(VALU_DEP_1)
	v_mul_f64 v[176:177], v[178:179], v[106:107]
	v_fma_f64 v[104:105], -v[104:105], v[176:177], v[178:179]
	s_delay_alu instid0(VALU_DEP_1) | instskip(NEXT) | instid1(VALU_DEP_1)
	v_div_fmas_f64 v[104:105], v[104:105], v[106:107], v[176:177]
	v_div_fixup_f64 v[106:107], v[104:105], v[172:173], v[174:175]
	s_delay_alu instid0(VALU_DEP_1) | instskip(NEXT) | instid1(VALU_DEP_1)
	v_fma_f64 v[104:105], v[174:175], v[106:107], v[172:173]
	v_div_scale_f64 v[172:173], null, v[104:105], v[104:105], 1.0
	s_delay_alu instid0(VALU_DEP_1) | instskip(SKIP_2) | instid1(VALU_DEP_1)
	v_rcp_f64_e32 v[174:175], v[172:173]
	s_waitcnt_depctr 0xfff
	v_fma_f64 v[176:177], -v[172:173], v[174:175], 1.0
	v_fma_f64 v[174:175], v[174:175], v[176:177], v[174:175]
	s_delay_alu instid0(VALU_DEP_1) | instskip(NEXT) | instid1(VALU_DEP_1)
	v_fma_f64 v[176:177], -v[172:173], v[174:175], 1.0
	v_fma_f64 v[174:175], v[174:175], v[176:177], v[174:175]
	v_div_scale_f64 v[176:177], vcc_lo, 1.0, v[104:105], 1.0
	s_delay_alu instid0(VALU_DEP_1) | instskip(NEXT) | instid1(VALU_DEP_1)
	v_mul_f64 v[178:179], v[176:177], v[174:175]
	v_fma_f64 v[172:173], -v[172:173], v[178:179], v[176:177]
	s_delay_alu instid0(VALU_DEP_1) | instskip(NEXT) | instid1(VALU_DEP_1)
	v_div_fmas_f64 v[172:173], v[172:173], v[174:175], v[178:179]
	v_div_fixup_f64 v[104:105], v[172:173], v[104:105], 1.0
	s_delay_alu instid0(VALU_DEP_1)
	v_mul_f64 v[178:179], v[106:107], -v[104:105]
.LBB51_160:
	s_or_b32 exec_lo, exec_lo, s3
	ds_store_2addr_b64 v215, v[104:105], v[178:179] offset1:1
.LBB51_161:
	s_or_b32 exec_lo, exec_lo, s4
	s_waitcnt lgkmcnt(0)
	s_barrier
	buffer_gl0_inv
	ds_load_2addr_b64 v[172:175], v215 offset1:1
	s_mov_b32 s3, exec_lo
	v_cmpx_lt_u32_e32 17, v214
	s_cbranch_execz .LBB51_163
; %bb.162:
	s_waitcnt lgkmcnt(0)
	v_mul_f64 v[104:105], v[172:173], v[34:35]
	v_mul_f64 v[34:35], v[174:175], v[34:35]
	s_delay_alu instid0(VALU_DEP_2)
	v_fma_f64 v[180:181], v[174:175], v[32:33], v[104:105]
	ds_load_2addr_b64 v[104:107], v216 offset0:36 offset1:37
	ds_load_2addr_b64 v[176:179], v216 offset0:38 offset1:39
	v_fma_f64 v[32:33], v[172:173], v[32:33], -v[34:35]
	s_waitcnt lgkmcnt(1)
	v_mul_f64 v[34:35], v[106:107], v[180:181]
	s_delay_alu instid0(VALU_DEP_1) | instskip(SKIP_1) | instid1(VALU_DEP_2)
	v_fma_f64 v[34:35], v[104:105], v[32:33], -v[34:35]
	v_mul_f64 v[104:105], v[104:105], v[180:181]
	v_add_f64 v[28:29], v[28:29], -v[34:35]
	s_delay_alu instid0(VALU_DEP_2) | instskip(SKIP_3) | instid1(VALU_DEP_3)
	v_fma_f64 v[182:183], v[106:107], v[32:33], v[104:105]
	s_waitcnt lgkmcnt(0)
	v_mul_f64 v[104:105], v[178:179], v[180:181]
	v_dual_mov_b32 v34, v180 :: v_dual_mov_b32 v35, v181
	v_add_f64 v[30:31], v[30:31], -v[182:183]
	s_delay_alu instid0(VALU_DEP_3) | instskip(SKIP_1) | instid1(VALU_DEP_2)
	v_fma_f64 v[184:185], v[176:177], v[32:33], -v[104:105]
	v_mul_f64 v[104:105], v[176:177], v[180:181]
	v_add_f64 v[24:25], v[24:25], -v[184:185]
	s_delay_alu instid0(VALU_DEP_2)
	v_fma_f64 v[186:187], v[178:179], v[32:33], v[104:105]
	ds_load_2addr_b64 v[104:107], v216 offset0:40 offset1:41
	ds_load_2addr_b64 v[176:179], v216 offset0:42 offset1:43
	s_waitcnt lgkmcnt(1)
	v_mul_f64 v[188:189], v[106:107], v[180:181]
	v_add_f64 v[26:27], v[26:27], -v[186:187]
	s_delay_alu instid0(VALU_DEP_2) | instskip(SKIP_1) | instid1(VALU_DEP_2)
	v_fma_f64 v[188:189], v[104:105], v[32:33], -v[188:189]
	v_mul_f64 v[104:105], v[104:105], v[180:181]
	v_add_f64 v[20:21], v[20:21], -v[188:189]
	s_delay_alu instid0(VALU_DEP_2) | instskip(SKIP_2) | instid1(VALU_DEP_2)
	v_fma_f64 v[190:191], v[106:107], v[32:33], v[104:105]
	s_waitcnt lgkmcnt(0)
	v_mul_f64 v[104:105], v[178:179], v[180:181]
	v_add_f64 v[22:23], v[22:23], -v[190:191]
	s_delay_alu instid0(VALU_DEP_2) | instskip(SKIP_1) | instid1(VALU_DEP_2)
	v_fma_f64 v[192:193], v[176:177], v[32:33], -v[104:105]
	v_mul_f64 v[104:105], v[176:177], v[180:181]
	v_add_f64 v[16:17], v[16:17], -v[192:193]
	s_delay_alu instid0(VALU_DEP_2)
	v_fma_f64 v[194:195], v[178:179], v[32:33], v[104:105]
	ds_load_2addr_b64 v[104:107], v216 offset0:44 offset1:45
	ds_load_2addr_b64 v[176:179], v216 offset0:46 offset1:47
	s_waitcnt lgkmcnt(1)
	v_mul_f64 v[196:197], v[106:107], v[180:181]
	v_add_f64 v[18:19], v[18:19], -v[194:195]
	s_delay_alu instid0(VALU_DEP_2) | instskip(SKIP_1) | instid1(VALU_DEP_2)
	v_fma_f64 v[196:197], v[104:105], v[32:33], -v[196:197]
	v_mul_f64 v[104:105], v[104:105], v[180:181]
	v_add_f64 v[12:13], v[12:13], -v[196:197]
	s_delay_alu instid0(VALU_DEP_2) | instskip(SKIP_2) | instid1(VALU_DEP_2)
	v_fma_f64 v[198:199], v[106:107], v[32:33], v[104:105]
	s_waitcnt lgkmcnt(0)
	v_mul_f64 v[104:105], v[178:179], v[180:181]
	v_add_f64 v[14:15], v[14:15], -v[198:199]
	s_delay_alu instid0(VALU_DEP_2) | instskip(SKIP_1) | instid1(VALU_DEP_2)
	;; [unrolled: 20-line block ×3, first 2 shown]
	v_fma_f64 v[106:107], v[176:177], v[32:33], -v[106:107]
	v_mul_f64 v[176:177], v[176:177], v[180:181]
	v_add_f64 v[0:1], v[0:1], -v[106:107]
	s_delay_alu instid0(VALU_DEP_2) | instskip(NEXT) | instid1(VALU_DEP_1)
	v_fma_f64 v[176:177], v[178:179], v[32:33], v[176:177]
	v_add_f64 v[2:3], v[2:3], -v[176:177]
.LBB51_163:
	s_or_b32 exec_lo, exec_lo, s3
	s_delay_alu instid0(SALU_CYCLE_1)
	s_mov_b32 s4, exec_lo
	s_waitcnt lgkmcnt(0)
	s_barrier
	buffer_gl0_inv
	v_cmpx_eq_u32_e32 18, v214
	s_cbranch_execz .LBB51_170
; %bb.164:
	ds_store_2addr_b64 v215, v[28:29], v[30:31] offset1:1
	ds_store_2addr_b64 v216, v[24:25], v[26:27] offset0:38 offset1:39
	ds_store_2addr_b64 v216, v[20:21], v[22:23] offset0:40 offset1:41
	;; [unrolled: 1-line block ×7, first 2 shown]
	ds_load_2addr_b64 v[176:179], v215 offset1:1
	s_waitcnt lgkmcnt(0)
	v_cmp_neq_f64_e32 vcc_lo, 0, v[176:177]
	v_cmp_neq_f64_e64 s3, 0, v[178:179]
	s_delay_alu instid0(VALU_DEP_1) | instskip(NEXT) | instid1(SALU_CYCLE_1)
	s_or_b32 s3, vcc_lo, s3
	s_and_b32 exec_lo, exec_lo, s3
	s_cbranch_execz .LBB51_170
; %bb.165:
	v_cmp_gt_f64_e32 vcc_lo, 0, v[176:177]
	v_cmp_gt_f64_e64 s3, 0, v[178:179]
	v_xor_b32_e32 v104, 0x80000000, v177
	v_xor_b32_e32 v106, 0x80000000, v179
	s_delay_alu instid0(VALU_DEP_2) | instskip(NEXT) | instid1(VALU_DEP_2)
	v_cndmask_b32_e32 v105, v177, v104, vcc_lo
	v_cndmask_b32_e64 v107, v179, v106, s3
	v_cndmask_b32_e32 v104, v176, v176, vcc_lo
	v_cndmask_b32_e64 v106, v178, v178, s3
	s_delay_alu instid0(VALU_DEP_1) | instskip(SKIP_1) | instid1(SALU_CYCLE_1)
	v_cmp_ngt_f64_e32 vcc_lo, v[104:105], v[106:107]
                                        ; implicit-def: $vgpr104_vgpr105
	s_and_saveexec_b32 s3, vcc_lo
	s_xor_b32 s3, exec_lo, s3
                                        ; implicit-def: $vgpr180_vgpr181_vgpr182_vgpr183
	s_cbranch_execz .LBB51_167
; %bb.166:
	v_div_scale_f64 v[104:105], null, v[178:179], v[178:179], v[176:177]
	v_div_scale_f64 v[182:183], vcc_lo, v[176:177], v[178:179], v[176:177]
	s_delay_alu instid0(VALU_DEP_2) | instskip(SKIP_2) | instid1(VALU_DEP_1)
	v_rcp_f64_e32 v[106:107], v[104:105]
	s_waitcnt_depctr 0xfff
	v_fma_f64 v[180:181], -v[104:105], v[106:107], 1.0
	v_fma_f64 v[106:107], v[106:107], v[180:181], v[106:107]
	s_delay_alu instid0(VALU_DEP_1) | instskip(NEXT) | instid1(VALU_DEP_1)
	v_fma_f64 v[180:181], -v[104:105], v[106:107], 1.0
	v_fma_f64 v[106:107], v[106:107], v[180:181], v[106:107]
	s_delay_alu instid0(VALU_DEP_1) | instskip(NEXT) | instid1(VALU_DEP_1)
	v_mul_f64 v[180:181], v[182:183], v[106:107]
	v_fma_f64 v[104:105], -v[104:105], v[180:181], v[182:183]
	s_delay_alu instid0(VALU_DEP_1) | instskip(NEXT) | instid1(VALU_DEP_1)
	v_div_fmas_f64 v[104:105], v[104:105], v[106:107], v[180:181]
	v_div_fixup_f64 v[104:105], v[104:105], v[178:179], v[176:177]
	s_delay_alu instid0(VALU_DEP_1) | instskip(NEXT) | instid1(VALU_DEP_1)
	v_fma_f64 v[106:107], v[176:177], v[104:105], v[178:179]
	v_div_scale_f64 v[176:177], null, v[106:107], v[106:107], 1.0
	s_delay_alu instid0(VALU_DEP_1) | instskip(SKIP_2) | instid1(VALU_DEP_1)
	v_rcp_f64_e32 v[178:179], v[176:177]
	s_waitcnt_depctr 0xfff
	v_fma_f64 v[180:181], -v[176:177], v[178:179], 1.0
	v_fma_f64 v[178:179], v[178:179], v[180:181], v[178:179]
	s_delay_alu instid0(VALU_DEP_1) | instskip(NEXT) | instid1(VALU_DEP_1)
	v_fma_f64 v[180:181], -v[176:177], v[178:179], 1.0
	v_fma_f64 v[178:179], v[178:179], v[180:181], v[178:179]
	v_div_scale_f64 v[180:181], vcc_lo, 1.0, v[106:107], 1.0
	s_delay_alu instid0(VALU_DEP_1) | instskip(NEXT) | instid1(VALU_DEP_1)
	v_mul_f64 v[182:183], v[180:181], v[178:179]
	v_fma_f64 v[176:177], -v[176:177], v[182:183], v[180:181]
	s_delay_alu instid0(VALU_DEP_1) | instskip(NEXT) | instid1(VALU_DEP_1)
	v_div_fmas_f64 v[176:177], v[176:177], v[178:179], v[182:183]
	v_div_fixup_f64 v[182:183], v[176:177], v[106:107], 1.0
                                        ; implicit-def: $vgpr176_vgpr177
	s_delay_alu instid0(VALU_DEP_1)
	v_mul_f64 v[104:105], v[104:105], v[182:183]
	v_xor_b32_e32 v183, 0x80000000, v183
.LBB51_167:
	s_and_not1_saveexec_b32 s3, s3
	s_cbranch_execz .LBB51_169
; %bb.168:
	v_div_scale_f64 v[104:105], null, v[176:177], v[176:177], v[178:179]
	v_div_scale_f64 v[182:183], vcc_lo, v[178:179], v[176:177], v[178:179]
	s_delay_alu instid0(VALU_DEP_2) | instskip(SKIP_2) | instid1(VALU_DEP_1)
	v_rcp_f64_e32 v[106:107], v[104:105]
	s_waitcnt_depctr 0xfff
	v_fma_f64 v[180:181], -v[104:105], v[106:107], 1.0
	v_fma_f64 v[106:107], v[106:107], v[180:181], v[106:107]
	s_delay_alu instid0(VALU_DEP_1) | instskip(NEXT) | instid1(VALU_DEP_1)
	v_fma_f64 v[180:181], -v[104:105], v[106:107], 1.0
	v_fma_f64 v[106:107], v[106:107], v[180:181], v[106:107]
	s_delay_alu instid0(VALU_DEP_1) | instskip(NEXT) | instid1(VALU_DEP_1)
	v_mul_f64 v[180:181], v[182:183], v[106:107]
	v_fma_f64 v[104:105], -v[104:105], v[180:181], v[182:183]
	s_delay_alu instid0(VALU_DEP_1) | instskip(NEXT) | instid1(VALU_DEP_1)
	v_div_fmas_f64 v[104:105], v[104:105], v[106:107], v[180:181]
	v_div_fixup_f64 v[106:107], v[104:105], v[176:177], v[178:179]
	s_delay_alu instid0(VALU_DEP_1) | instskip(NEXT) | instid1(VALU_DEP_1)
	v_fma_f64 v[104:105], v[178:179], v[106:107], v[176:177]
	v_div_scale_f64 v[176:177], null, v[104:105], v[104:105], 1.0
	s_delay_alu instid0(VALU_DEP_1) | instskip(SKIP_2) | instid1(VALU_DEP_1)
	v_rcp_f64_e32 v[178:179], v[176:177]
	s_waitcnt_depctr 0xfff
	v_fma_f64 v[180:181], -v[176:177], v[178:179], 1.0
	v_fma_f64 v[178:179], v[178:179], v[180:181], v[178:179]
	s_delay_alu instid0(VALU_DEP_1) | instskip(NEXT) | instid1(VALU_DEP_1)
	v_fma_f64 v[180:181], -v[176:177], v[178:179], 1.0
	v_fma_f64 v[178:179], v[178:179], v[180:181], v[178:179]
	v_div_scale_f64 v[180:181], vcc_lo, 1.0, v[104:105], 1.0
	s_delay_alu instid0(VALU_DEP_1) | instskip(NEXT) | instid1(VALU_DEP_1)
	v_mul_f64 v[182:183], v[180:181], v[178:179]
	v_fma_f64 v[176:177], -v[176:177], v[182:183], v[180:181]
	s_delay_alu instid0(VALU_DEP_1) | instskip(NEXT) | instid1(VALU_DEP_1)
	v_div_fmas_f64 v[176:177], v[176:177], v[178:179], v[182:183]
	v_div_fixup_f64 v[104:105], v[176:177], v[104:105], 1.0
	s_delay_alu instid0(VALU_DEP_1)
	v_mul_f64 v[182:183], v[106:107], -v[104:105]
.LBB51_169:
	s_or_b32 exec_lo, exec_lo, s3
	ds_store_2addr_b64 v215, v[104:105], v[182:183] offset1:1
.LBB51_170:
	s_or_b32 exec_lo, exec_lo, s4
	s_waitcnt lgkmcnt(0)
	s_barrier
	buffer_gl0_inv
	ds_load_2addr_b64 v[176:179], v215 offset1:1
	s_mov_b32 s3, exec_lo
	v_cmpx_lt_u32_e32 18, v214
	s_cbranch_execz .LBB51_172
; %bb.171:
	s_waitcnt lgkmcnt(0)
	v_mul_f64 v[104:105], v[176:177], v[30:31]
	v_mul_f64 v[30:31], v[178:179], v[30:31]
	s_delay_alu instid0(VALU_DEP_2)
	v_fma_f64 v[184:185], v[178:179], v[28:29], v[104:105]
	ds_load_2addr_b64 v[104:107], v216 offset0:38 offset1:39
	ds_load_2addr_b64 v[180:183], v216 offset0:40 offset1:41
	v_fma_f64 v[28:29], v[176:177], v[28:29], -v[30:31]
	s_waitcnt lgkmcnt(1)
	v_mul_f64 v[30:31], v[106:107], v[184:185]
	s_delay_alu instid0(VALU_DEP_1) | instskip(SKIP_1) | instid1(VALU_DEP_2)
	v_fma_f64 v[30:31], v[104:105], v[28:29], -v[30:31]
	v_mul_f64 v[104:105], v[104:105], v[184:185]
	v_add_f64 v[24:25], v[24:25], -v[30:31]
	s_delay_alu instid0(VALU_DEP_2) | instskip(SKIP_3) | instid1(VALU_DEP_3)
	v_fma_f64 v[186:187], v[106:107], v[28:29], v[104:105]
	s_waitcnt lgkmcnt(0)
	v_mul_f64 v[104:105], v[182:183], v[184:185]
	v_dual_mov_b32 v30, v184 :: v_dual_mov_b32 v31, v185
	v_add_f64 v[26:27], v[26:27], -v[186:187]
	s_delay_alu instid0(VALU_DEP_3) | instskip(SKIP_1) | instid1(VALU_DEP_2)
	v_fma_f64 v[188:189], v[180:181], v[28:29], -v[104:105]
	v_mul_f64 v[104:105], v[180:181], v[184:185]
	v_add_f64 v[20:21], v[20:21], -v[188:189]
	s_delay_alu instid0(VALU_DEP_2)
	v_fma_f64 v[190:191], v[182:183], v[28:29], v[104:105]
	ds_load_2addr_b64 v[104:107], v216 offset0:42 offset1:43
	ds_load_2addr_b64 v[180:183], v216 offset0:44 offset1:45
	s_waitcnt lgkmcnt(1)
	v_mul_f64 v[192:193], v[106:107], v[184:185]
	v_add_f64 v[22:23], v[22:23], -v[190:191]
	s_delay_alu instid0(VALU_DEP_2) | instskip(SKIP_1) | instid1(VALU_DEP_2)
	v_fma_f64 v[192:193], v[104:105], v[28:29], -v[192:193]
	v_mul_f64 v[104:105], v[104:105], v[184:185]
	v_add_f64 v[16:17], v[16:17], -v[192:193]
	s_delay_alu instid0(VALU_DEP_2) | instskip(SKIP_2) | instid1(VALU_DEP_2)
	v_fma_f64 v[194:195], v[106:107], v[28:29], v[104:105]
	s_waitcnt lgkmcnt(0)
	v_mul_f64 v[104:105], v[182:183], v[184:185]
	v_add_f64 v[18:19], v[18:19], -v[194:195]
	s_delay_alu instid0(VALU_DEP_2) | instskip(SKIP_1) | instid1(VALU_DEP_2)
	v_fma_f64 v[196:197], v[180:181], v[28:29], -v[104:105]
	v_mul_f64 v[104:105], v[180:181], v[184:185]
	v_add_f64 v[12:13], v[12:13], -v[196:197]
	s_delay_alu instid0(VALU_DEP_2)
	v_fma_f64 v[198:199], v[182:183], v[28:29], v[104:105]
	ds_load_2addr_b64 v[104:107], v216 offset0:46 offset1:47
	ds_load_2addr_b64 v[180:183], v216 offset0:48 offset1:49
	s_waitcnt lgkmcnt(1)
	v_mul_f64 v[200:201], v[106:107], v[184:185]
	v_add_f64 v[14:15], v[14:15], -v[198:199]
	s_delay_alu instid0(VALU_DEP_2) | instskip(SKIP_1) | instid1(VALU_DEP_2)
	v_fma_f64 v[200:201], v[104:105], v[28:29], -v[200:201]
	v_mul_f64 v[104:105], v[104:105], v[184:185]
	v_add_f64 v[8:9], v[8:9], -v[200:201]
	s_delay_alu instid0(VALU_DEP_2) | instskip(SKIP_2) | instid1(VALU_DEP_2)
	v_fma_f64 v[202:203], v[106:107], v[28:29], v[104:105]
	s_waitcnt lgkmcnt(0)
	v_mul_f64 v[104:105], v[182:183], v[184:185]
	v_add_f64 v[10:11], v[10:11], -v[202:203]
	s_delay_alu instid0(VALU_DEP_2) | instskip(SKIP_1) | instid1(VALU_DEP_2)
	v_fma_f64 v[204:205], v[180:181], v[28:29], -v[104:105]
	v_mul_f64 v[104:105], v[180:181], v[184:185]
	v_add_f64 v[4:5], v[4:5], -v[204:205]
	s_delay_alu instid0(VALU_DEP_2) | instskip(SKIP_4) | instid1(VALU_DEP_2)
	v_fma_f64 v[180:181], v[182:183], v[28:29], v[104:105]
	ds_load_2addr_b64 v[104:107], v216 offset0:50 offset1:51
	s_waitcnt lgkmcnt(0)
	v_mul_f64 v[182:183], v[106:107], v[184:185]
	v_add_f64 v[6:7], v[6:7], -v[180:181]
	v_fma_f64 v[182:183], v[104:105], v[28:29], -v[182:183]
	v_mul_f64 v[104:105], v[104:105], v[184:185]
	s_delay_alu instid0(VALU_DEP_2) | instskip(NEXT) | instid1(VALU_DEP_2)
	v_add_f64 v[0:1], v[0:1], -v[182:183]
	v_fma_f64 v[104:105], v[106:107], v[28:29], v[104:105]
	s_delay_alu instid0(VALU_DEP_1)
	v_add_f64 v[2:3], v[2:3], -v[104:105]
.LBB51_172:
	s_or_b32 exec_lo, exec_lo, s3
	s_delay_alu instid0(SALU_CYCLE_1)
	s_mov_b32 s4, exec_lo
	s_waitcnt lgkmcnt(0)
	s_barrier
	buffer_gl0_inv
	v_cmpx_eq_u32_e32 19, v214
	s_cbranch_execz .LBB51_179
; %bb.173:
	ds_store_2addr_b64 v215, v[24:25], v[26:27] offset1:1
	ds_store_2addr_b64 v216, v[20:21], v[22:23] offset0:40 offset1:41
	ds_store_2addr_b64 v216, v[16:17], v[18:19] offset0:42 offset1:43
	;; [unrolled: 1-line block ×6, first 2 shown]
	ds_load_2addr_b64 v[180:183], v215 offset1:1
	s_waitcnt lgkmcnt(0)
	v_cmp_neq_f64_e32 vcc_lo, 0, v[180:181]
	v_cmp_neq_f64_e64 s3, 0, v[182:183]
	s_delay_alu instid0(VALU_DEP_1) | instskip(NEXT) | instid1(SALU_CYCLE_1)
	s_or_b32 s3, vcc_lo, s3
	s_and_b32 exec_lo, exec_lo, s3
	s_cbranch_execz .LBB51_179
; %bb.174:
	v_cmp_gt_f64_e32 vcc_lo, 0, v[180:181]
	v_cmp_gt_f64_e64 s3, 0, v[182:183]
	v_xor_b32_e32 v104, 0x80000000, v181
	v_xor_b32_e32 v106, 0x80000000, v183
	s_delay_alu instid0(VALU_DEP_2) | instskip(NEXT) | instid1(VALU_DEP_2)
	v_cndmask_b32_e32 v105, v181, v104, vcc_lo
	v_cndmask_b32_e64 v107, v183, v106, s3
	v_cndmask_b32_e32 v104, v180, v180, vcc_lo
	v_cndmask_b32_e64 v106, v182, v182, s3
	s_delay_alu instid0(VALU_DEP_1) | instskip(SKIP_1) | instid1(SALU_CYCLE_1)
	v_cmp_ngt_f64_e32 vcc_lo, v[104:105], v[106:107]
                                        ; implicit-def: $vgpr104_vgpr105
	s_and_saveexec_b32 s3, vcc_lo
	s_xor_b32 s3, exec_lo, s3
                                        ; implicit-def: $vgpr184_vgpr185_vgpr186_vgpr187
	s_cbranch_execz .LBB51_176
; %bb.175:
	v_div_scale_f64 v[104:105], null, v[182:183], v[182:183], v[180:181]
	v_div_scale_f64 v[186:187], vcc_lo, v[180:181], v[182:183], v[180:181]
	s_delay_alu instid0(VALU_DEP_2) | instskip(SKIP_2) | instid1(VALU_DEP_1)
	v_rcp_f64_e32 v[106:107], v[104:105]
	s_waitcnt_depctr 0xfff
	v_fma_f64 v[184:185], -v[104:105], v[106:107], 1.0
	v_fma_f64 v[106:107], v[106:107], v[184:185], v[106:107]
	s_delay_alu instid0(VALU_DEP_1) | instskip(NEXT) | instid1(VALU_DEP_1)
	v_fma_f64 v[184:185], -v[104:105], v[106:107], 1.0
	v_fma_f64 v[106:107], v[106:107], v[184:185], v[106:107]
	s_delay_alu instid0(VALU_DEP_1) | instskip(NEXT) | instid1(VALU_DEP_1)
	v_mul_f64 v[184:185], v[186:187], v[106:107]
	v_fma_f64 v[104:105], -v[104:105], v[184:185], v[186:187]
	s_delay_alu instid0(VALU_DEP_1) | instskip(NEXT) | instid1(VALU_DEP_1)
	v_div_fmas_f64 v[104:105], v[104:105], v[106:107], v[184:185]
	v_div_fixup_f64 v[104:105], v[104:105], v[182:183], v[180:181]
	s_delay_alu instid0(VALU_DEP_1) | instskip(NEXT) | instid1(VALU_DEP_1)
	v_fma_f64 v[106:107], v[180:181], v[104:105], v[182:183]
	v_div_scale_f64 v[180:181], null, v[106:107], v[106:107], 1.0
	s_delay_alu instid0(VALU_DEP_1) | instskip(SKIP_2) | instid1(VALU_DEP_1)
	v_rcp_f64_e32 v[182:183], v[180:181]
	s_waitcnt_depctr 0xfff
	v_fma_f64 v[184:185], -v[180:181], v[182:183], 1.0
	v_fma_f64 v[182:183], v[182:183], v[184:185], v[182:183]
	s_delay_alu instid0(VALU_DEP_1) | instskip(NEXT) | instid1(VALU_DEP_1)
	v_fma_f64 v[184:185], -v[180:181], v[182:183], 1.0
	v_fma_f64 v[182:183], v[182:183], v[184:185], v[182:183]
	v_div_scale_f64 v[184:185], vcc_lo, 1.0, v[106:107], 1.0
	s_delay_alu instid0(VALU_DEP_1) | instskip(NEXT) | instid1(VALU_DEP_1)
	v_mul_f64 v[186:187], v[184:185], v[182:183]
	v_fma_f64 v[180:181], -v[180:181], v[186:187], v[184:185]
	s_delay_alu instid0(VALU_DEP_1) | instskip(NEXT) | instid1(VALU_DEP_1)
	v_div_fmas_f64 v[180:181], v[180:181], v[182:183], v[186:187]
	v_div_fixup_f64 v[186:187], v[180:181], v[106:107], 1.0
                                        ; implicit-def: $vgpr180_vgpr181
	s_delay_alu instid0(VALU_DEP_1)
	v_mul_f64 v[104:105], v[104:105], v[186:187]
	v_xor_b32_e32 v187, 0x80000000, v187
.LBB51_176:
	s_and_not1_saveexec_b32 s3, s3
	s_cbranch_execz .LBB51_178
; %bb.177:
	v_div_scale_f64 v[104:105], null, v[180:181], v[180:181], v[182:183]
	v_div_scale_f64 v[186:187], vcc_lo, v[182:183], v[180:181], v[182:183]
	s_delay_alu instid0(VALU_DEP_2) | instskip(SKIP_2) | instid1(VALU_DEP_1)
	v_rcp_f64_e32 v[106:107], v[104:105]
	s_waitcnt_depctr 0xfff
	v_fma_f64 v[184:185], -v[104:105], v[106:107], 1.0
	v_fma_f64 v[106:107], v[106:107], v[184:185], v[106:107]
	s_delay_alu instid0(VALU_DEP_1) | instskip(NEXT) | instid1(VALU_DEP_1)
	v_fma_f64 v[184:185], -v[104:105], v[106:107], 1.0
	v_fma_f64 v[106:107], v[106:107], v[184:185], v[106:107]
	s_delay_alu instid0(VALU_DEP_1) | instskip(NEXT) | instid1(VALU_DEP_1)
	v_mul_f64 v[184:185], v[186:187], v[106:107]
	v_fma_f64 v[104:105], -v[104:105], v[184:185], v[186:187]
	s_delay_alu instid0(VALU_DEP_1) | instskip(NEXT) | instid1(VALU_DEP_1)
	v_div_fmas_f64 v[104:105], v[104:105], v[106:107], v[184:185]
	v_div_fixup_f64 v[106:107], v[104:105], v[180:181], v[182:183]
	s_delay_alu instid0(VALU_DEP_1) | instskip(NEXT) | instid1(VALU_DEP_1)
	v_fma_f64 v[104:105], v[182:183], v[106:107], v[180:181]
	v_div_scale_f64 v[180:181], null, v[104:105], v[104:105], 1.0
	s_delay_alu instid0(VALU_DEP_1) | instskip(SKIP_2) | instid1(VALU_DEP_1)
	v_rcp_f64_e32 v[182:183], v[180:181]
	s_waitcnt_depctr 0xfff
	v_fma_f64 v[184:185], -v[180:181], v[182:183], 1.0
	v_fma_f64 v[182:183], v[182:183], v[184:185], v[182:183]
	s_delay_alu instid0(VALU_DEP_1) | instskip(NEXT) | instid1(VALU_DEP_1)
	v_fma_f64 v[184:185], -v[180:181], v[182:183], 1.0
	v_fma_f64 v[182:183], v[182:183], v[184:185], v[182:183]
	v_div_scale_f64 v[184:185], vcc_lo, 1.0, v[104:105], 1.0
	s_delay_alu instid0(VALU_DEP_1) | instskip(NEXT) | instid1(VALU_DEP_1)
	v_mul_f64 v[186:187], v[184:185], v[182:183]
	v_fma_f64 v[180:181], -v[180:181], v[186:187], v[184:185]
	s_delay_alu instid0(VALU_DEP_1) | instskip(NEXT) | instid1(VALU_DEP_1)
	v_div_fmas_f64 v[180:181], v[180:181], v[182:183], v[186:187]
	v_div_fixup_f64 v[104:105], v[180:181], v[104:105], 1.0
	s_delay_alu instid0(VALU_DEP_1)
	v_mul_f64 v[186:187], v[106:107], -v[104:105]
.LBB51_178:
	s_or_b32 exec_lo, exec_lo, s3
	ds_store_2addr_b64 v215, v[104:105], v[186:187] offset1:1
.LBB51_179:
	s_or_b32 exec_lo, exec_lo, s4
	s_waitcnt lgkmcnt(0)
	s_barrier
	buffer_gl0_inv
	ds_load_2addr_b64 v[180:183], v215 offset1:1
	s_mov_b32 s3, exec_lo
	v_cmpx_lt_u32_e32 19, v214
	s_cbranch_execz .LBB51_181
; %bb.180:
	s_waitcnt lgkmcnt(0)
	v_mul_f64 v[104:105], v[180:181], v[26:27]
	v_mul_f64 v[26:27], v[182:183], v[26:27]
	ds_load_2addr_b64 v[184:187], v216 offset0:42 offset1:43
	v_fma_f64 v[188:189], v[182:183], v[24:25], v[104:105]
	ds_load_2addr_b64 v[104:107], v216 offset0:40 offset1:41
	v_fma_f64 v[24:25], v[180:181], v[24:25], -v[26:27]
	s_waitcnt lgkmcnt(0)
	v_mul_f64 v[26:27], v[106:107], v[188:189]
	s_delay_alu instid0(VALU_DEP_1) | instskip(SKIP_1) | instid1(VALU_DEP_2)
	v_fma_f64 v[26:27], v[104:105], v[24:25], -v[26:27]
	v_mul_f64 v[104:105], v[104:105], v[188:189]
	v_add_f64 v[20:21], v[20:21], -v[26:27]
	s_delay_alu instid0(VALU_DEP_2) | instskip(SKIP_2) | instid1(VALU_DEP_3)
	v_fma_f64 v[190:191], v[106:107], v[24:25], v[104:105]
	v_mul_f64 v[104:105], v[186:187], v[188:189]
	v_dual_mov_b32 v26, v188 :: v_dual_mov_b32 v27, v189
	v_add_f64 v[22:23], v[22:23], -v[190:191]
	s_delay_alu instid0(VALU_DEP_3) | instskip(SKIP_1) | instid1(VALU_DEP_2)
	v_fma_f64 v[192:193], v[184:185], v[24:25], -v[104:105]
	v_mul_f64 v[104:105], v[184:185], v[188:189]
	v_add_f64 v[16:17], v[16:17], -v[192:193]
	s_delay_alu instid0(VALU_DEP_2)
	v_fma_f64 v[194:195], v[186:187], v[24:25], v[104:105]
	ds_load_2addr_b64 v[104:107], v216 offset0:44 offset1:45
	ds_load_2addr_b64 v[184:187], v216 offset0:46 offset1:47
	s_waitcnt lgkmcnt(1)
	v_mul_f64 v[196:197], v[106:107], v[188:189]
	v_add_f64 v[18:19], v[18:19], -v[194:195]
	s_delay_alu instid0(VALU_DEP_2) | instskip(SKIP_1) | instid1(VALU_DEP_2)
	v_fma_f64 v[196:197], v[104:105], v[24:25], -v[196:197]
	v_mul_f64 v[104:105], v[104:105], v[188:189]
	v_add_f64 v[12:13], v[12:13], -v[196:197]
	s_delay_alu instid0(VALU_DEP_2) | instskip(SKIP_2) | instid1(VALU_DEP_2)
	v_fma_f64 v[198:199], v[106:107], v[24:25], v[104:105]
	s_waitcnt lgkmcnt(0)
	v_mul_f64 v[104:105], v[186:187], v[188:189]
	v_add_f64 v[14:15], v[14:15], -v[198:199]
	s_delay_alu instid0(VALU_DEP_2) | instskip(SKIP_1) | instid1(VALU_DEP_2)
	v_fma_f64 v[200:201], v[184:185], v[24:25], -v[104:105]
	v_mul_f64 v[104:105], v[184:185], v[188:189]
	v_add_f64 v[8:9], v[8:9], -v[200:201]
	s_delay_alu instid0(VALU_DEP_2)
	v_fma_f64 v[202:203], v[186:187], v[24:25], v[104:105]
	ds_load_2addr_b64 v[104:107], v216 offset0:48 offset1:49
	ds_load_2addr_b64 v[184:187], v216 offset0:50 offset1:51
	s_waitcnt lgkmcnt(1)
	v_mul_f64 v[204:205], v[106:107], v[188:189]
	v_add_f64 v[10:11], v[10:11], -v[202:203]
	s_delay_alu instid0(VALU_DEP_2) | instskip(SKIP_1) | instid1(VALU_DEP_2)
	v_fma_f64 v[204:205], v[104:105], v[24:25], -v[204:205]
	v_mul_f64 v[104:105], v[104:105], v[188:189]
	v_add_f64 v[4:5], v[4:5], -v[204:205]
	s_delay_alu instid0(VALU_DEP_2) | instskip(SKIP_2) | instid1(VALU_DEP_2)
	v_fma_f64 v[104:105], v[106:107], v[24:25], v[104:105]
	s_waitcnt lgkmcnt(0)
	v_mul_f64 v[106:107], v[186:187], v[188:189]
	v_add_f64 v[6:7], v[6:7], -v[104:105]
	s_delay_alu instid0(VALU_DEP_2) | instskip(SKIP_1) | instid1(VALU_DEP_2)
	v_fma_f64 v[106:107], v[184:185], v[24:25], -v[106:107]
	v_mul_f64 v[184:185], v[184:185], v[188:189]
	v_add_f64 v[0:1], v[0:1], -v[106:107]
	s_delay_alu instid0(VALU_DEP_2) | instskip(NEXT) | instid1(VALU_DEP_1)
	v_fma_f64 v[184:185], v[186:187], v[24:25], v[184:185]
	v_add_f64 v[2:3], v[2:3], -v[184:185]
.LBB51_181:
	s_or_b32 exec_lo, exec_lo, s3
	s_delay_alu instid0(SALU_CYCLE_1)
	s_mov_b32 s4, exec_lo
	s_waitcnt lgkmcnt(0)
	s_barrier
	buffer_gl0_inv
	v_cmpx_eq_u32_e32 20, v214
	s_cbranch_execz .LBB51_188
; %bb.182:
	ds_store_2addr_b64 v215, v[20:21], v[22:23] offset1:1
	ds_store_2addr_b64 v216, v[16:17], v[18:19] offset0:42 offset1:43
	ds_store_2addr_b64 v216, v[12:13], v[14:15] offset0:44 offset1:45
	;; [unrolled: 1-line block ×5, first 2 shown]
	ds_load_2addr_b64 v[184:187], v215 offset1:1
	s_waitcnt lgkmcnt(0)
	v_cmp_neq_f64_e32 vcc_lo, 0, v[184:185]
	v_cmp_neq_f64_e64 s3, 0, v[186:187]
	s_delay_alu instid0(VALU_DEP_1) | instskip(NEXT) | instid1(SALU_CYCLE_1)
	s_or_b32 s3, vcc_lo, s3
	s_and_b32 exec_lo, exec_lo, s3
	s_cbranch_execz .LBB51_188
; %bb.183:
	v_cmp_gt_f64_e32 vcc_lo, 0, v[184:185]
	v_cmp_gt_f64_e64 s3, 0, v[186:187]
	v_xor_b32_e32 v104, 0x80000000, v185
	v_xor_b32_e32 v106, 0x80000000, v187
	s_delay_alu instid0(VALU_DEP_2) | instskip(NEXT) | instid1(VALU_DEP_2)
	v_cndmask_b32_e32 v105, v185, v104, vcc_lo
	v_cndmask_b32_e64 v107, v187, v106, s3
	v_cndmask_b32_e32 v104, v184, v184, vcc_lo
	v_cndmask_b32_e64 v106, v186, v186, s3
	s_delay_alu instid0(VALU_DEP_1) | instskip(SKIP_1) | instid1(SALU_CYCLE_1)
	v_cmp_ngt_f64_e32 vcc_lo, v[104:105], v[106:107]
                                        ; implicit-def: $vgpr104_vgpr105
	s_and_saveexec_b32 s3, vcc_lo
	s_xor_b32 s3, exec_lo, s3
                                        ; implicit-def: $vgpr188_vgpr189_vgpr190_vgpr191
	s_cbranch_execz .LBB51_185
; %bb.184:
	v_div_scale_f64 v[104:105], null, v[186:187], v[186:187], v[184:185]
	v_div_scale_f64 v[190:191], vcc_lo, v[184:185], v[186:187], v[184:185]
	s_delay_alu instid0(VALU_DEP_2) | instskip(SKIP_2) | instid1(VALU_DEP_1)
	v_rcp_f64_e32 v[106:107], v[104:105]
	s_waitcnt_depctr 0xfff
	v_fma_f64 v[188:189], -v[104:105], v[106:107], 1.0
	v_fma_f64 v[106:107], v[106:107], v[188:189], v[106:107]
	s_delay_alu instid0(VALU_DEP_1) | instskip(NEXT) | instid1(VALU_DEP_1)
	v_fma_f64 v[188:189], -v[104:105], v[106:107], 1.0
	v_fma_f64 v[106:107], v[106:107], v[188:189], v[106:107]
	s_delay_alu instid0(VALU_DEP_1) | instskip(NEXT) | instid1(VALU_DEP_1)
	v_mul_f64 v[188:189], v[190:191], v[106:107]
	v_fma_f64 v[104:105], -v[104:105], v[188:189], v[190:191]
	s_delay_alu instid0(VALU_DEP_1) | instskip(NEXT) | instid1(VALU_DEP_1)
	v_div_fmas_f64 v[104:105], v[104:105], v[106:107], v[188:189]
	v_div_fixup_f64 v[104:105], v[104:105], v[186:187], v[184:185]
	s_delay_alu instid0(VALU_DEP_1) | instskip(NEXT) | instid1(VALU_DEP_1)
	v_fma_f64 v[106:107], v[184:185], v[104:105], v[186:187]
	v_div_scale_f64 v[184:185], null, v[106:107], v[106:107], 1.0
	s_delay_alu instid0(VALU_DEP_1) | instskip(SKIP_2) | instid1(VALU_DEP_1)
	v_rcp_f64_e32 v[186:187], v[184:185]
	s_waitcnt_depctr 0xfff
	v_fma_f64 v[188:189], -v[184:185], v[186:187], 1.0
	v_fma_f64 v[186:187], v[186:187], v[188:189], v[186:187]
	s_delay_alu instid0(VALU_DEP_1) | instskip(NEXT) | instid1(VALU_DEP_1)
	v_fma_f64 v[188:189], -v[184:185], v[186:187], 1.0
	v_fma_f64 v[186:187], v[186:187], v[188:189], v[186:187]
	v_div_scale_f64 v[188:189], vcc_lo, 1.0, v[106:107], 1.0
	s_delay_alu instid0(VALU_DEP_1) | instskip(NEXT) | instid1(VALU_DEP_1)
	v_mul_f64 v[190:191], v[188:189], v[186:187]
	v_fma_f64 v[184:185], -v[184:185], v[190:191], v[188:189]
	s_delay_alu instid0(VALU_DEP_1) | instskip(NEXT) | instid1(VALU_DEP_1)
	v_div_fmas_f64 v[184:185], v[184:185], v[186:187], v[190:191]
	v_div_fixup_f64 v[190:191], v[184:185], v[106:107], 1.0
                                        ; implicit-def: $vgpr184_vgpr185
	s_delay_alu instid0(VALU_DEP_1)
	v_mul_f64 v[104:105], v[104:105], v[190:191]
	v_xor_b32_e32 v191, 0x80000000, v191
.LBB51_185:
	s_and_not1_saveexec_b32 s3, s3
	s_cbranch_execz .LBB51_187
; %bb.186:
	v_div_scale_f64 v[104:105], null, v[184:185], v[184:185], v[186:187]
	v_div_scale_f64 v[190:191], vcc_lo, v[186:187], v[184:185], v[186:187]
	s_delay_alu instid0(VALU_DEP_2) | instskip(SKIP_2) | instid1(VALU_DEP_1)
	v_rcp_f64_e32 v[106:107], v[104:105]
	s_waitcnt_depctr 0xfff
	v_fma_f64 v[188:189], -v[104:105], v[106:107], 1.0
	v_fma_f64 v[106:107], v[106:107], v[188:189], v[106:107]
	s_delay_alu instid0(VALU_DEP_1) | instskip(NEXT) | instid1(VALU_DEP_1)
	v_fma_f64 v[188:189], -v[104:105], v[106:107], 1.0
	v_fma_f64 v[106:107], v[106:107], v[188:189], v[106:107]
	s_delay_alu instid0(VALU_DEP_1) | instskip(NEXT) | instid1(VALU_DEP_1)
	v_mul_f64 v[188:189], v[190:191], v[106:107]
	v_fma_f64 v[104:105], -v[104:105], v[188:189], v[190:191]
	s_delay_alu instid0(VALU_DEP_1) | instskip(NEXT) | instid1(VALU_DEP_1)
	v_div_fmas_f64 v[104:105], v[104:105], v[106:107], v[188:189]
	v_div_fixup_f64 v[106:107], v[104:105], v[184:185], v[186:187]
	s_delay_alu instid0(VALU_DEP_1) | instskip(NEXT) | instid1(VALU_DEP_1)
	v_fma_f64 v[104:105], v[186:187], v[106:107], v[184:185]
	v_div_scale_f64 v[184:185], null, v[104:105], v[104:105], 1.0
	s_delay_alu instid0(VALU_DEP_1) | instskip(SKIP_2) | instid1(VALU_DEP_1)
	v_rcp_f64_e32 v[186:187], v[184:185]
	s_waitcnt_depctr 0xfff
	v_fma_f64 v[188:189], -v[184:185], v[186:187], 1.0
	v_fma_f64 v[186:187], v[186:187], v[188:189], v[186:187]
	s_delay_alu instid0(VALU_DEP_1) | instskip(NEXT) | instid1(VALU_DEP_1)
	v_fma_f64 v[188:189], -v[184:185], v[186:187], 1.0
	v_fma_f64 v[186:187], v[186:187], v[188:189], v[186:187]
	v_div_scale_f64 v[188:189], vcc_lo, 1.0, v[104:105], 1.0
	s_delay_alu instid0(VALU_DEP_1) | instskip(NEXT) | instid1(VALU_DEP_1)
	v_mul_f64 v[190:191], v[188:189], v[186:187]
	v_fma_f64 v[184:185], -v[184:185], v[190:191], v[188:189]
	s_delay_alu instid0(VALU_DEP_1) | instskip(NEXT) | instid1(VALU_DEP_1)
	v_div_fmas_f64 v[184:185], v[184:185], v[186:187], v[190:191]
	v_div_fixup_f64 v[104:105], v[184:185], v[104:105], 1.0
	s_delay_alu instid0(VALU_DEP_1)
	v_mul_f64 v[190:191], v[106:107], -v[104:105]
.LBB51_187:
	s_or_b32 exec_lo, exec_lo, s3
	ds_store_2addr_b64 v215, v[104:105], v[190:191] offset1:1
.LBB51_188:
	s_or_b32 exec_lo, exec_lo, s4
	s_waitcnt lgkmcnt(0)
	s_barrier
	buffer_gl0_inv
	ds_load_2addr_b64 v[184:187], v215 offset1:1
	s_mov_b32 s3, exec_lo
	v_cmpx_lt_u32_e32 20, v214
	s_cbranch_execz .LBB51_190
; %bb.189:
	s_waitcnt lgkmcnt(0)
	v_mul_f64 v[104:105], v[184:185], v[22:23]
	v_mul_f64 v[22:23], v[186:187], v[22:23]
	s_delay_alu instid0(VALU_DEP_2)
	v_fma_f64 v[192:193], v[186:187], v[20:21], v[104:105]
	ds_load_2addr_b64 v[104:107], v216 offset0:42 offset1:43
	ds_load_2addr_b64 v[188:191], v216 offset0:44 offset1:45
	v_fma_f64 v[20:21], v[184:185], v[20:21], -v[22:23]
	s_waitcnt lgkmcnt(1)
	v_mul_f64 v[22:23], v[106:107], v[192:193]
	v_mul_f64 v[194:195], v[104:105], v[192:193]
	s_delay_alu instid0(VALU_DEP_2) | instskip(NEXT) | instid1(VALU_DEP_2)
	v_fma_f64 v[22:23], v[104:105], v[20:21], -v[22:23]
	v_fma_f64 v[194:195], v[106:107], v[20:21], v[194:195]
	s_waitcnt lgkmcnt(0)
	v_mul_f64 v[104:105], v[190:191], v[192:193]
	v_mul_f64 v[106:107], v[188:189], v[192:193]
	s_delay_alu instid0(VALU_DEP_4) | instskip(NEXT) | instid1(VALU_DEP_4)
	v_add_f64 v[16:17], v[16:17], -v[22:23]
	v_add_f64 v[18:19], v[18:19], -v[194:195]
	s_delay_alu instid0(VALU_DEP_4) | instskip(NEXT) | instid1(VALU_DEP_4)
	v_fma_f64 v[196:197], v[188:189], v[20:21], -v[104:105]
	v_fma_f64 v[198:199], v[190:191], v[20:21], v[106:107]
	ds_load_2addr_b64 v[104:107], v216 offset0:46 offset1:47
	ds_load_2addr_b64 v[188:191], v216 offset0:48 offset1:49
	v_dual_mov_b32 v22, v192 :: v_dual_mov_b32 v23, v193
	s_waitcnt lgkmcnt(1)
	v_mul_f64 v[200:201], v[106:107], v[192:193]
	v_add_f64 v[12:13], v[12:13], -v[196:197]
	v_add_f64 v[14:15], v[14:15], -v[198:199]
	s_delay_alu instid0(VALU_DEP_3) | instskip(SKIP_1) | instid1(VALU_DEP_2)
	v_fma_f64 v[200:201], v[104:105], v[20:21], -v[200:201]
	v_mul_f64 v[104:105], v[104:105], v[192:193]
	v_add_f64 v[8:9], v[8:9], -v[200:201]
	s_delay_alu instid0(VALU_DEP_2) | instskip(SKIP_2) | instid1(VALU_DEP_2)
	v_fma_f64 v[202:203], v[106:107], v[20:21], v[104:105]
	s_waitcnt lgkmcnt(0)
	v_mul_f64 v[104:105], v[190:191], v[192:193]
	v_add_f64 v[10:11], v[10:11], -v[202:203]
	s_delay_alu instid0(VALU_DEP_2) | instskip(SKIP_1) | instid1(VALU_DEP_2)
	v_fma_f64 v[204:205], v[188:189], v[20:21], -v[104:105]
	v_mul_f64 v[104:105], v[188:189], v[192:193]
	v_add_f64 v[4:5], v[4:5], -v[204:205]
	s_delay_alu instid0(VALU_DEP_2) | instskip(SKIP_4) | instid1(VALU_DEP_2)
	v_fma_f64 v[188:189], v[190:191], v[20:21], v[104:105]
	ds_load_2addr_b64 v[104:107], v216 offset0:50 offset1:51
	s_waitcnt lgkmcnt(0)
	v_mul_f64 v[190:191], v[106:107], v[192:193]
	v_add_f64 v[6:7], v[6:7], -v[188:189]
	v_fma_f64 v[190:191], v[104:105], v[20:21], -v[190:191]
	v_mul_f64 v[104:105], v[104:105], v[192:193]
	s_delay_alu instid0(VALU_DEP_2) | instskip(NEXT) | instid1(VALU_DEP_2)
	v_add_f64 v[0:1], v[0:1], -v[190:191]
	v_fma_f64 v[104:105], v[106:107], v[20:21], v[104:105]
	s_delay_alu instid0(VALU_DEP_1)
	v_add_f64 v[2:3], v[2:3], -v[104:105]
.LBB51_190:
	s_or_b32 exec_lo, exec_lo, s3
	s_delay_alu instid0(SALU_CYCLE_1)
	s_mov_b32 s4, exec_lo
	s_waitcnt lgkmcnt(0)
	s_barrier
	buffer_gl0_inv
	v_cmpx_eq_u32_e32 21, v214
	s_cbranch_execz .LBB51_197
; %bb.191:
	ds_store_2addr_b64 v215, v[16:17], v[18:19] offset1:1
	ds_store_2addr_b64 v216, v[12:13], v[14:15] offset0:44 offset1:45
	ds_store_2addr_b64 v216, v[8:9], v[10:11] offset0:46 offset1:47
	;; [unrolled: 1-line block ×4, first 2 shown]
	ds_load_2addr_b64 v[188:191], v215 offset1:1
	s_waitcnt lgkmcnt(0)
	v_cmp_neq_f64_e32 vcc_lo, 0, v[188:189]
	v_cmp_neq_f64_e64 s3, 0, v[190:191]
	s_delay_alu instid0(VALU_DEP_1) | instskip(NEXT) | instid1(SALU_CYCLE_1)
	s_or_b32 s3, vcc_lo, s3
	s_and_b32 exec_lo, exec_lo, s3
	s_cbranch_execz .LBB51_197
; %bb.192:
	v_cmp_gt_f64_e32 vcc_lo, 0, v[188:189]
	v_cmp_gt_f64_e64 s3, 0, v[190:191]
	v_xor_b32_e32 v104, 0x80000000, v189
	v_xor_b32_e32 v106, 0x80000000, v191
	s_delay_alu instid0(VALU_DEP_2) | instskip(NEXT) | instid1(VALU_DEP_2)
	v_cndmask_b32_e32 v105, v189, v104, vcc_lo
	v_cndmask_b32_e64 v107, v191, v106, s3
	v_cndmask_b32_e32 v104, v188, v188, vcc_lo
	v_cndmask_b32_e64 v106, v190, v190, s3
	s_delay_alu instid0(VALU_DEP_1) | instskip(SKIP_1) | instid1(SALU_CYCLE_1)
	v_cmp_ngt_f64_e32 vcc_lo, v[104:105], v[106:107]
                                        ; implicit-def: $vgpr104_vgpr105
	s_and_saveexec_b32 s3, vcc_lo
	s_xor_b32 s3, exec_lo, s3
                                        ; implicit-def: $vgpr192_vgpr193_vgpr194_vgpr195
	s_cbranch_execz .LBB51_194
; %bb.193:
	v_div_scale_f64 v[104:105], null, v[190:191], v[190:191], v[188:189]
	v_div_scale_f64 v[194:195], vcc_lo, v[188:189], v[190:191], v[188:189]
	s_delay_alu instid0(VALU_DEP_2) | instskip(SKIP_2) | instid1(VALU_DEP_1)
	v_rcp_f64_e32 v[106:107], v[104:105]
	s_waitcnt_depctr 0xfff
	v_fma_f64 v[192:193], -v[104:105], v[106:107], 1.0
	v_fma_f64 v[106:107], v[106:107], v[192:193], v[106:107]
	s_delay_alu instid0(VALU_DEP_1) | instskip(NEXT) | instid1(VALU_DEP_1)
	v_fma_f64 v[192:193], -v[104:105], v[106:107], 1.0
	v_fma_f64 v[106:107], v[106:107], v[192:193], v[106:107]
	s_delay_alu instid0(VALU_DEP_1) | instskip(NEXT) | instid1(VALU_DEP_1)
	v_mul_f64 v[192:193], v[194:195], v[106:107]
	v_fma_f64 v[104:105], -v[104:105], v[192:193], v[194:195]
	s_delay_alu instid0(VALU_DEP_1) | instskip(NEXT) | instid1(VALU_DEP_1)
	v_div_fmas_f64 v[104:105], v[104:105], v[106:107], v[192:193]
	v_div_fixup_f64 v[104:105], v[104:105], v[190:191], v[188:189]
	s_delay_alu instid0(VALU_DEP_1) | instskip(NEXT) | instid1(VALU_DEP_1)
	v_fma_f64 v[106:107], v[188:189], v[104:105], v[190:191]
	v_div_scale_f64 v[188:189], null, v[106:107], v[106:107], 1.0
	s_delay_alu instid0(VALU_DEP_1) | instskip(SKIP_2) | instid1(VALU_DEP_1)
	v_rcp_f64_e32 v[190:191], v[188:189]
	s_waitcnt_depctr 0xfff
	v_fma_f64 v[192:193], -v[188:189], v[190:191], 1.0
	v_fma_f64 v[190:191], v[190:191], v[192:193], v[190:191]
	s_delay_alu instid0(VALU_DEP_1) | instskip(NEXT) | instid1(VALU_DEP_1)
	v_fma_f64 v[192:193], -v[188:189], v[190:191], 1.0
	v_fma_f64 v[190:191], v[190:191], v[192:193], v[190:191]
	v_div_scale_f64 v[192:193], vcc_lo, 1.0, v[106:107], 1.0
	s_delay_alu instid0(VALU_DEP_1) | instskip(NEXT) | instid1(VALU_DEP_1)
	v_mul_f64 v[194:195], v[192:193], v[190:191]
	v_fma_f64 v[188:189], -v[188:189], v[194:195], v[192:193]
	s_delay_alu instid0(VALU_DEP_1) | instskip(NEXT) | instid1(VALU_DEP_1)
	v_div_fmas_f64 v[188:189], v[188:189], v[190:191], v[194:195]
	v_div_fixup_f64 v[194:195], v[188:189], v[106:107], 1.0
                                        ; implicit-def: $vgpr188_vgpr189
	s_delay_alu instid0(VALU_DEP_1)
	v_mul_f64 v[104:105], v[104:105], v[194:195]
	v_xor_b32_e32 v195, 0x80000000, v195
.LBB51_194:
	s_and_not1_saveexec_b32 s3, s3
	s_cbranch_execz .LBB51_196
; %bb.195:
	v_div_scale_f64 v[104:105], null, v[188:189], v[188:189], v[190:191]
	v_div_scale_f64 v[194:195], vcc_lo, v[190:191], v[188:189], v[190:191]
	s_delay_alu instid0(VALU_DEP_2) | instskip(SKIP_2) | instid1(VALU_DEP_1)
	v_rcp_f64_e32 v[106:107], v[104:105]
	s_waitcnt_depctr 0xfff
	v_fma_f64 v[192:193], -v[104:105], v[106:107], 1.0
	v_fma_f64 v[106:107], v[106:107], v[192:193], v[106:107]
	s_delay_alu instid0(VALU_DEP_1) | instskip(NEXT) | instid1(VALU_DEP_1)
	v_fma_f64 v[192:193], -v[104:105], v[106:107], 1.0
	v_fma_f64 v[106:107], v[106:107], v[192:193], v[106:107]
	s_delay_alu instid0(VALU_DEP_1) | instskip(NEXT) | instid1(VALU_DEP_1)
	v_mul_f64 v[192:193], v[194:195], v[106:107]
	v_fma_f64 v[104:105], -v[104:105], v[192:193], v[194:195]
	s_delay_alu instid0(VALU_DEP_1) | instskip(NEXT) | instid1(VALU_DEP_1)
	v_div_fmas_f64 v[104:105], v[104:105], v[106:107], v[192:193]
	v_div_fixup_f64 v[106:107], v[104:105], v[188:189], v[190:191]
	s_delay_alu instid0(VALU_DEP_1) | instskip(NEXT) | instid1(VALU_DEP_1)
	v_fma_f64 v[104:105], v[190:191], v[106:107], v[188:189]
	v_div_scale_f64 v[188:189], null, v[104:105], v[104:105], 1.0
	s_delay_alu instid0(VALU_DEP_1) | instskip(SKIP_2) | instid1(VALU_DEP_1)
	v_rcp_f64_e32 v[190:191], v[188:189]
	s_waitcnt_depctr 0xfff
	v_fma_f64 v[192:193], -v[188:189], v[190:191], 1.0
	v_fma_f64 v[190:191], v[190:191], v[192:193], v[190:191]
	s_delay_alu instid0(VALU_DEP_1) | instskip(NEXT) | instid1(VALU_DEP_1)
	v_fma_f64 v[192:193], -v[188:189], v[190:191], 1.0
	v_fma_f64 v[190:191], v[190:191], v[192:193], v[190:191]
	v_div_scale_f64 v[192:193], vcc_lo, 1.0, v[104:105], 1.0
	s_delay_alu instid0(VALU_DEP_1) | instskip(NEXT) | instid1(VALU_DEP_1)
	v_mul_f64 v[194:195], v[192:193], v[190:191]
	v_fma_f64 v[188:189], -v[188:189], v[194:195], v[192:193]
	s_delay_alu instid0(VALU_DEP_1) | instskip(NEXT) | instid1(VALU_DEP_1)
	v_div_fmas_f64 v[188:189], v[188:189], v[190:191], v[194:195]
	v_div_fixup_f64 v[104:105], v[188:189], v[104:105], 1.0
	s_delay_alu instid0(VALU_DEP_1)
	v_mul_f64 v[194:195], v[106:107], -v[104:105]
.LBB51_196:
	s_or_b32 exec_lo, exec_lo, s3
	ds_store_2addr_b64 v215, v[104:105], v[194:195] offset1:1
.LBB51_197:
	s_or_b32 exec_lo, exec_lo, s4
	s_waitcnt lgkmcnt(0)
	s_barrier
	buffer_gl0_inv
	ds_load_2addr_b64 v[188:191], v215 offset1:1
	s_mov_b32 s3, exec_lo
	v_cmpx_lt_u32_e32 21, v214
	s_cbranch_execz .LBB51_199
; %bb.198:
	s_waitcnt lgkmcnt(0)
	v_mul_f64 v[104:105], v[188:189], v[18:19]
	v_mul_f64 v[18:19], v[190:191], v[18:19]
	s_delay_alu instid0(VALU_DEP_2)
	v_fma_f64 v[196:197], v[190:191], v[16:17], v[104:105]
	ds_load_2addr_b64 v[104:107], v216 offset0:44 offset1:45
	ds_load_2addr_b64 v[192:195], v216 offset0:46 offset1:47
	v_fma_f64 v[16:17], v[188:189], v[16:17], -v[18:19]
	s_waitcnt lgkmcnt(1)
	v_mul_f64 v[18:19], v[106:107], v[196:197]
	v_mul_f64 v[198:199], v[104:105], v[196:197]
	s_waitcnt lgkmcnt(0)
	v_mul_f64 v[200:201], v[194:195], v[196:197]
	v_mul_f64 v[202:203], v[192:193], v[196:197]
	s_delay_alu instid0(VALU_DEP_4) | instskip(NEXT) | instid1(VALU_DEP_4)
	v_fma_f64 v[18:19], v[104:105], v[16:17], -v[18:19]
	v_fma_f64 v[198:199], v[106:107], v[16:17], v[198:199]
	ds_load_2addr_b64 v[104:107], v216 offset0:48 offset1:49
	v_fma_f64 v[200:201], v[192:193], v[16:17], -v[200:201]
	v_fma_f64 v[202:203], v[194:195], v[16:17], v[202:203]
	ds_load_2addr_b64 v[192:195], v216 offset0:50 offset1:51
	s_waitcnt lgkmcnt(1)
	v_mul_f64 v[204:205], v[106:107], v[196:197]
	v_add_f64 v[12:13], v[12:13], -v[18:19]
	v_add_f64 v[14:15], v[14:15], -v[198:199]
	v_dual_mov_b32 v18, v196 :: v_dual_mov_b32 v19, v197
	v_add_f64 v[8:9], v[8:9], -v[200:201]
	v_add_f64 v[10:11], v[10:11], -v[202:203]
	v_fma_f64 v[204:205], v[104:105], v[16:17], -v[204:205]
	v_mul_f64 v[104:105], v[104:105], v[196:197]
	s_delay_alu instid0(VALU_DEP_2) | instskip(NEXT) | instid1(VALU_DEP_2)
	v_add_f64 v[4:5], v[4:5], -v[204:205]
	v_fma_f64 v[104:105], v[106:107], v[16:17], v[104:105]
	s_waitcnt lgkmcnt(0)
	v_mul_f64 v[106:107], v[194:195], v[196:197]
	s_delay_alu instid0(VALU_DEP_2) | instskip(NEXT) | instid1(VALU_DEP_2)
	v_add_f64 v[6:7], v[6:7], -v[104:105]
	v_fma_f64 v[106:107], v[192:193], v[16:17], -v[106:107]
	v_mul_f64 v[192:193], v[192:193], v[196:197]
	s_delay_alu instid0(VALU_DEP_2) | instskip(NEXT) | instid1(VALU_DEP_2)
	v_add_f64 v[0:1], v[0:1], -v[106:107]
	v_fma_f64 v[192:193], v[194:195], v[16:17], v[192:193]
	s_delay_alu instid0(VALU_DEP_1)
	v_add_f64 v[2:3], v[2:3], -v[192:193]
.LBB51_199:
	s_or_b32 exec_lo, exec_lo, s3
	s_delay_alu instid0(SALU_CYCLE_1)
	s_mov_b32 s4, exec_lo
	s_waitcnt lgkmcnt(0)
	s_barrier
	buffer_gl0_inv
	v_cmpx_eq_u32_e32 22, v214
	s_cbranch_execz .LBB51_206
; %bb.200:
	ds_store_2addr_b64 v215, v[12:13], v[14:15] offset1:1
	ds_store_2addr_b64 v216, v[8:9], v[10:11] offset0:46 offset1:47
	ds_store_2addr_b64 v216, v[4:5], v[6:7] offset0:48 offset1:49
	;; [unrolled: 1-line block ×3, first 2 shown]
	ds_load_2addr_b64 v[192:195], v215 offset1:1
	s_waitcnt lgkmcnt(0)
	v_cmp_neq_f64_e32 vcc_lo, 0, v[192:193]
	v_cmp_neq_f64_e64 s3, 0, v[194:195]
	s_delay_alu instid0(VALU_DEP_1) | instskip(NEXT) | instid1(SALU_CYCLE_1)
	s_or_b32 s3, vcc_lo, s3
	s_and_b32 exec_lo, exec_lo, s3
	s_cbranch_execz .LBB51_206
; %bb.201:
	v_cmp_gt_f64_e32 vcc_lo, 0, v[192:193]
	v_cmp_gt_f64_e64 s3, 0, v[194:195]
	v_xor_b32_e32 v104, 0x80000000, v193
	v_xor_b32_e32 v106, 0x80000000, v195
	s_delay_alu instid0(VALU_DEP_2) | instskip(NEXT) | instid1(VALU_DEP_2)
	v_cndmask_b32_e32 v105, v193, v104, vcc_lo
	v_cndmask_b32_e64 v107, v195, v106, s3
	v_cndmask_b32_e32 v104, v192, v192, vcc_lo
	v_cndmask_b32_e64 v106, v194, v194, s3
	s_delay_alu instid0(VALU_DEP_1) | instskip(SKIP_1) | instid1(SALU_CYCLE_1)
	v_cmp_ngt_f64_e32 vcc_lo, v[104:105], v[106:107]
                                        ; implicit-def: $vgpr104_vgpr105
	s_and_saveexec_b32 s3, vcc_lo
	s_xor_b32 s3, exec_lo, s3
                                        ; implicit-def: $vgpr196_vgpr197_vgpr198_vgpr199
	s_cbranch_execz .LBB51_203
; %bb.202:
	v_div_scale_f64 v[104:105], null, v[194:195], v[194:195], v[192:193]
	v_div_scale_f64 v[198:199], vcc_lo, v[192:193], v[194:195], v[192:193]
	s_delay_alu instid0(VALU_DEP_2) | instskip(SKIP_2) | instid1(VALU_DEP_1)
	v_rcp_f64_e32 v[106:107], v[104:105]
	s_waitcnt_depctr 0xfff
	v_fma_f64 v[196:197], -v[104:105], v[106:107], 1.0
	v_fma_f64 v[106:107], v[106:107], v[196:197], v[106:107]
	s_delay_alu instid0(VALU_DEP_1) | instskip(NEXT) | instid1(VALU_DEP_1)
	v_fma_f64 v[196:197], -v[104:105], v[106:107], 1.0
	v_fma_f64 v[106:107], v[106:107], v[196:197], v[106:107]
	s_delay_alu instid0(VALU_DEP_1) | instskip(NEXT) | instid1(VALU_DEP_1)
	v_mul_f64 v[196:197], v[198:199], v[106:107]
	v_fma_f64 v[104:105], -v[104:105], v[196:197], v[198:199]
	s_delay_alu instid0(VALU_DEP_1) | instskip(NEXT) | instid1(VALU_DEP_1)
	v_div_fmas_f64 v[104:105], v[104:105], v[106:107], v[196:197]
	v_div_fixup_f64 v[104:105], v[104:105], v[194:195], v[192:193]
	s_delay_alu instid0(VALU_DEP_1) | instskip(NEXT) | instid1(VALU_DEP_1)
	v_fma_f64 v[106:107], v[192:193], v[104:105], v[194:195]
	v_div_scale_f64 v[192:193], null, v[106:107], v[106:107], 1.0
	s_delay_alu instid0(VALU_DEP_1) | instskip(SKIP_2) | instid1(VALU_DEP_1)
	v_rcp_f64_e32 v[194:195], v[192:193]
	s_waitcnt_depctr 0xfff
	v_fma_f64 v[196:197], -v[192:193], v[194:195], 1.0
	v_fma_f64 v[194:195], v[194:195], v[196:197], v[194:195]
	s_delay_alu instid0(VALU_DEP_1) | instskip(NEXT) | instid1(VALU_DEP_1)
	v_fma_f64 v[196:197], -v[192:193], v[194:195], 1.0
	v_fma_f64 v[194:195], v[194:195], v[196:197], v[194:195]
	v_div_scale_f64 v[196:197], vcc_lo, 1.0, v[106:107], 1.0
	s_delay_alu instid0(VALU_DEP_1) | instskip(NEXT) | instid1(VALU_DEP_1)
	v_mul_f64 v[198:199], v[196:197], v[194:195]
	v_fma_f64 v[192:193], -v[192:193], v[198:199], v[196:197]
	s_delay_alu instid0(VALU_DEP_1) | instskip(NEXT) | instid1(VALU_DEP_1)
	v_div_fmas_f64 v[192:193], v[192:193], v[194:195], v[198:199]
	v_div_fixup_f64 v[198:199], v[192:193], v[106:107], 1.0
                                        ; implicit-def: $vgpr192_vgpr193
	s_delay_alu instid0(VALU_DEP_1)
	v_mul_f64 v[104:105], v[104:105], v[198:199]
	v_xor_b32_e32 v199, 0x80000000, v199
.LBB51_203:
	s_and_not1_saveexec_b32 s3, s3
	s_cbranch_execz .LBB51_205
; %bb.204:
	v_div_scale_f64 v[104:105], null, v[192:193], v[192:193], v[194:195]
	v_div_scale_f64 v[198:199], vcc_lo, v[194:195], v[192:193], v[194:195]
	s_delay_alu instid0(VALU_DEP_2) | instskip(SKIP_2) | instid1(VALU_DEP_1)
	v_rcp_f64_e32 v[106:107], v[104:105]
	s_waitcnt_depctr 0xfff
	v_fma_f64 v[196:197], -v[104:105], v[106:107], 1.0
	v_fma_f64 v[106:107], v[106:107], v[196:197], v[106:107]
	s_delay_alu instid0(VALU_DEP_1) | instskip(NEXT) | instid1(VALU_DEP_1)
	v_fma_f64 v[196:197], -v[104:105], v[106:107], 1.0
	v_fma_f64 v[106:107], v[106:107], v[196:197], v[106:107]
	s_delay_alu instid0(VALU_DEP_1) | instskip(NEXT) | instid1(VALU_DEP_1)
	v_mul_f64 v[196:197], v[198:199], v[106:107]
	v_fma_f64 v[104:105], -v[104:105], v[196:197], v[198:199]
	s_delay_alu instid0(VALU_DEP_1) | instskip(NEXT) | instid1(VALU_DEP_1)
	v_div_fmas_f64 v[104:105], v[104:105], v[106:107], v[196:197]
	v_div_fixup_f64 v[106:107], v[104:105], v[192:193], v[194:195]
	s_delay_alu instid0(VALU_DEP_1) | instskip(NEXT) | instid1(VALU_DEP_1)
	v_fma_f64 v[104:105], v[194:195], v[106:107], v[192:193]
	v_div_scale_f64 v[192:193], null, v[104:105], v[104:105], 1.0
	s_delay_alu instid0(VALU_DEP_1) | instskip(SKIP_2) | instid1(VALU_DEP_1)
	v_rcp_f64_e32 v[194:195], v[192:193]
	s_waitcnt_depctr 0xfff
	v_fma_f64 v[196:197], -v[192:193], v[194:195], 1.0
	v_fma_f64 v[194:195], v[194:195], v[196:197], v[194:195]
	s_delay_alu instid0(VALU_DEP_1) | instskip(NEXT) | instid1(VALU_DEP_1)
	v_fma_f64 v[196:197], -v[192:193], v[194:195], 1.0
	v_fma_f64 v[194:195], v[194:195], v[196:197], v[194:195]
	v_div_scale_f64 v[196:197], vcc_lo, 1.0, v[104:105], 1.0
	s_delay_alu instid0(VALU_DEP_1) | instskip(NEXT) | instid1(VALU_DEP_1)
	v_mul_f64 v[198:199], v[196:197], v[194:195]
	v_fma_f64 v[192:193], -v[192:193], v[198:199], v[196:197]
	s_delay_alu instid0(VALU_DEP_1) | instskip(NEXT) | instid1(VALU_DEP_1)
	v_div_fmas_f64 v[192:193], v[192:193], v[194:195], v[198:199]
	v_div_fixup_f64 v[104:105], v[192:193], v[104:105], 1.0
	s_delay_alu instid0(VALU_DEP_1)
	v_mul_f64 v[198:199], v[106:107], -v[104:105]
.LBB51_205:
	s_or_b32 exec_lo, exec_lo, s3
	ds_store_2addr_b64 v215, v[104:105], v[198:199] offset1:1
.LBB51_206:
	s_or_b32 exec_lo, exec_lo, s4
	s_waitcnt lgkmcnt(0)
	s_barrier
	buffer_gl0_inv
	ds_load_2addr_b64 v[192:195], v215 offset1:1
	s_mov_b32 s3, exec_lo
	v_cmpx_lt_u32_e32 22, v214
	s_cbranch_execz .LBB51_208
; %bb.207:
	s_waitcnt lgkmcnt(0)
	v_mul_f64 v[104:105], v[192:193], v[14:15]
	v_mul_f64 v[14:15], v[194:195], v[14:15]
	s_delay_alu instid0(VALU_DEP_2)
	v_fma_f64 v[204:205], v[194:195], v[12:13], v[104:105]
	ds_load_2addr_b64 v[104:107], v216 offset0:46 offset1:47
	ds_load_2addr_b64 v[196:199], v216 offset0:48 offset1:49
	v_fma_f64 v[12:13], v[192:193], v[12:13], -v[14:15]
	ds_load_2addr_b64 v[200:203], v216 offset0:50 offset1:51
	s_waitcnt lgkmcnt(2)
	v_mul_f64 v[14:15], v[106:107], v[204:205]
	v_mul_f64 v[206:207], v[104:105], v[204:205]
	s_waitcnt lgkmcnt(1)
	v_mul_f64 v[108:109], v[198:199], v[204:205]
	v_mul_f64 v[110:111], v[196:197], v[204:205]
	s_delay_alu instid0(VALU_DEP_4) | instskip(NEXT) | instid1(VALU_DEP_4)
	v_fma_f64 v[14:15], v[104:105], v[12:13], -v[14:15]
	v_fma_f64 v[104:105], v[106:107], v[12:13], v[206:207]
	s_waitcnt lgkmcnt(0)
	v_mul_f64 v[106:107], v[202:203], v[204:205]
	v_mul_f64 v[206:207], v[200:201], v[204:205]
	v_fma_f64 v[108:109], v[196:197], v[12:13], -v[108:109]
	v_fma_f64 v[110:111], v[198:199], v[12:13], v[110:111]
	v_add_f64 v[8:9], v[8:9], -v[14:15]
	v_add_f64 v[10:11], v[10:11], -v[104:105]
	v_fma_f64 v[106:107], v[200:201], v[12:13], -v[106:107]
	v_fma_f64 v[196:197], v[202:203], v[12:13], v[206:207]
	v_add_f64 v[4:5], v[4:5], -v[108:109]
	v_add_f64 v[6:7], v[6:7], -v[110:111]
	v_dual_mov_b32 v14, v204 :: v_dual_mov_b32 v15, v205
	v_add_f64 v[0:1], v[0:1], -v[106:107]
	v_add_f64 v[2:3], v[2:3], -v[196:197]
.LBB51_208:
	s_or_b32 exec_lo, exec_lo, s3
	s_delay_alu instid0(SALU_CYCLE_1)
	s_mov_b32 s4, exec_lo
	s_waitcnt lgkmcnt(0)
	s_barrier
	buffer_gl0_inv
	v_cmpx_eq_u32_e32 23, v214
	s_cbranch_execz .LBB51_215
; %bb.209:
	ds_store_2addr_b64 v215, v[8:9], v[10:11] offset1:1
	ds_store_2addr_b64 v216, v[4:5], v[6:7] offset0:48 offset1:49
	ds_store_2addr_b64 v216, v[0:1], v[2:3] offset0:50 offset1:51
	ds_load_2addr_b64 v[196:199], v215 offset1:1
	s_waitcnt lgkmcnt(0)
	v_cmp_neq_f64_e32 vcc_lo, 0, v[196:197]
	v_cmp_neq_f64_e64 s3, 0, v[198:199]
	s_delay_alu instid0(VALU_DEP_1) | instskip(NEXT) | instid1(SALU_CYCLE_1)
	s_or_b32 s3, vcc_lo, s3
	s_and_b32 exec_lo, exec_lo, s3
	s_cbranch_execz .LBB51_215
; %bb.210:
	v_cmp_gt_f64_e32 vcc_lo, 0, v[196:197]
	v_cmp_gt_f64_e64 s3, 0, v[198:199]
	v_xor_b32_e32 v104, 0x80000000, v197
	v_xor_b32_e32 v106, 0x80000000, v199
	s_delay_alu instid0(VALU_DEP_2) | instskip(NEXT) | instid1(VALU_DEP_2)
	v_cndmask_b32_e32 v105, v197, v104, vcc_lo
	v_cndmask_b32_e64 v107, v199, v106, s3
	v_cndmask_b32_e32 v104, v196, v196, vcc_lo
	v_cndmask_b32_e64 v106, v198, v198, s3
	s_delay_alu instid0(VALU_DEP_1) | instskip(SKIP_1) | instid1(SALU_CYCLE_1)
	v_cmp_ngt_f64_e32 vcc_lo, v[104:105], v[106:107]
                                        ; implicit-def: $vgpr104_vgpr105
	s_and_saveexec_b32 s3, vcc_lo
	s_xor_b32 s3, exec_lo, s3
                                        ; implicit-def: $vgpr200_vgpr201_vgpr202_vgpr203
	s_cbranch_execz .LBB51_212
; %bb.211:
	v_div_scale_f64 v[104:105], null, v[198:199], v[198:199], v[196:197]
	v_div_scale_f64 v[110:111], vcc_lo, v[196:197], v[198:199], v[196:197]
	s_delay_alu instid0(VALU_DEP_2) | instskip(SKIP_2) | instid1(VALU_DEP_1)
	v_rcp_f64_e32 v[106:107], v[104:105]
	s_waitcnt_depctr 0xfff
	v_fma_f64 v[108:109], -v[104:105], v[106:107], 1.0
	v_fma_f64 v[106:107], v[106:107], v[108:109], v[106:107]
	s_delay_alu instid0(VALU_DEP_1) | instskip(NEXT) | instid1(VALU_DEP_1)
	v_fma_f64 v[108:109], -v[104:105], v[106:107], 1.0
	v_fma_f64 v[106:107], v[106:107], v[108:109], v[106:107]
	s_delay_alu instid0(VALU_DEP_1) | instskip(NEXT) | instid1(VALU_DEP_1)
	v_mul_f64 v[108:109], v[110:111], v[106:107]
	v_fma_f64 v[104:105], -v[104:105], v[108:109], v[110:111]
	s_delay_alu instid0(VALU_DEP_1) | instskip(NEXT) | instid1(VALU_DEP_1)
	v_div_fmas_f64 v[104:105], v[104:105], v[106:107], v[108:109]
	v_div_fixup_f64 v[104:105], v[104:105], v[198:199], v[196:197]
	s_delay_alu instid0(VALU_DEP_1) | instskip(NEXT) | instid1(VALU_DEP_1)
	v_fma_f64 v[106:107], v[196:197], v[104:105], v[198:199]
	v_div_scale_f64 v[108:109], null, v[106:107], v[106:107], 1.0
	s_delay_alu instid0(VALU_DEP_1) | instskip(SKIP_2) | instid1(VALU_DEP_1)
	v_rcp_f64_e32 v[110:111], v[108:109]
	s_waitcnt_depctr 0xfff
	v_fma_f64 v[196:197], -v[108:109], v[110:111], 1.0
	v_fma_f64 v[110:111], v[110:111], v[196:197], v[110:111]
	s_delay_alu instid0(VALU_DEP_1) | instskip(NEXT) | instid1(VALU_DEP_1)
	v_fma_f64 v[196:197], -v[108:109], v[110:111], 1.0
	v_fma_f64 v[110:111], v[110:111], v[196:197], v[110:111]
	v_div_scale_f64 v[196:197], vcc_lo, 1.0, v[106:107], 1.0
	s_delay_alu instid0(VALU_DEP_1) | instskip(NEXT) | instid1(VALU_DEP_1)
	v_mul_f64 v[198:199], v[196:197], v[110:111]
	v_fma_f64 v[108:109], -v[108:109], v[198:199], v[196:197]
                                        ; implicit-def: $vgpr196_vgpr197
	s_delay_alu instid0(VALU_DEP_1) | instskip(NEXT) | instid1(VALU_DEP_1)
	v_div_fmas_f64 v[108:109], v[108:109], v[110:111], v[198:199]
	v_div_fixup_f64 v[202:203], v[108:109], v[106:107], 1.0
	s_delay_alu instid0(VALU_DEP_1)
	v_mul_f64 v[104:105], v[104:105], v[202:203]
	v_xor_b32_e32 v203, 0x80000000, v203
.LBB51_212:
	s_and_not1_saveexec_b32 s3, s3
	s_cbranch_execz .LBB51_214
; %bb.213:
	v_div_scale_f64 v[104:105], null, v[196:197], v[196:197], v[198:199]
	v_div_scale_f64 v[110:111], vcc_lo, v[198:199], v[196:197], v[198:199]
	s_delay_alu instid0(VALU_DEP_2) | instskip(SKIP_2) | instid1(VALU_DEP_1)
	v_rcp_f64_e32 v[106:107], v[104:105]
	s_waitcnt_depctr 0xfff
	v_fma_f64 v[108:109], -v[104:105], v[106:107], 1.0
	v_fma_f64 v[106:107], v[106:107], v[108:109], v[106:107]
	s_delay_alu instid0(VALU_DEP_1) | instskip(NEXT) | instid1(VALU_DEP_1)
	v_fma_f64 v[108:109], -v[104:105], v[106:107], 1.0
	v_fma_f64 v[106:107], v[106:107], v[108:109], v[106:107]
	s_delay_alu instid0(VALU_DEP_1) | instskip(NEXT) | instid1(VALU_DEP_1)
	v_mul_f64 v[108:109], v[110:111], v[106:107]
	v_fma_f64 v[104:105], -v[104:105], v[108:109], v[110:111]
	s_delay_alu instid0(VALU_DEP_1) | instskip(NEXT) | instid1(VALU_DEP_1)
	v_div_fmas_f64 v[104:105], v[104:105], v[106:107], v[108:109]
	v_div_fixup_f64 v[106:107], v[104:105], v[196:197], v[198:199]
	s_delay_alu instid0(VALU_DEP_1) | instskip(NEXT) | instid1(VALU_DEP_1)
	v_fma_f64 v[104:105], v[198:199], v[106:107], v[196:197]
	v_div_scale_f64 v[108:109], null, v[104:105], v[104:105], 1.0
	s_delay_alu instid0(VALU_DEP_1) | instskip(SKIP_2) | instid1(VALU_DEP_1)
	v_rcp_f64_e32 v[110:111], v[108:109]
	s_waitcnt_depctr 0xfff
	v_fma_f64 v[196:197], -v[108:109], v[110:111], 1.0
	v_fma_f64 v[110:111], v[110:111], v[196:197], v[110:111]
	s_delay_alu instid0(VALU_DEP_1) | instskip(NEXT) | instid1(VALU_DEP_1)
	v_fma_f64 v[196:197], -v[108:109], v[110:111], 1.0
	v_fma_f64 v[110:111], v[110:111], v[196:197], v[110:111]
	v_div_scale_f64 v[196:197], vcc_lo, 1.0, v[104:105], 1.0
	s_delay_alu instid0(VALU_DEP_1) | instskip(NEXT) | instid1(VALU_DEP_1)
	v_mul_f64 v[198:199], v[196:197], v[110:111]
	v_fma_f64 v[108:109], -v[108:109], v[198:199], v[196:197]
	s_delay_alu instid0(VALU_DEP_1) | instskip(NEXT) | instid1(VALU_DEP_1)
	v_div_fmas_f64 v[108:109], v[108:109], v[110:111], v[198:199]
	v_div_fixup_f64 v[104:105], v[108:109], v[104:105], 1.0
	s_delay_alu instid0(VALU_DEP_1)
	v_mul_f64 v[202:203], v[106:107], -v[104:105]
.LBB51_214:
	s_or_b32 exec_lo, exec_lo, s3
	ds_store_2addr_b64 v215, v[104:105], v[202:203] offset1:1
.LBB51_215:
	s_or_b32 exec_lo, exec_lo, s4
	s_waitcnt lgkmcnt(0)
	s_barrier
	buffer_gl0_inv
	ds_load_2addr_b64 v[196:199], v215 offset1:1
	s_mov_b32 s3, exec_lo
	v_cmpx_lt_u32_e32 23, v214
	s_cbranch_execz .LBB51_217
; %bb.216:
	s_waitcnt lgkmcnt(0)
	v_mul_f64 v[104:105], v[196:197], v[10:11]
	v_mul_f64 v[10:11], v[198:199], v[10:11]
	s_delay_alu instid0(VALU_DEP_2)
	v_fma_f64 v[108:109], v[198:199], v[8:9], v[104:105]
	ds_load_2addr_b64 v[104:107], v216 offset0:48 offset1:49
	ds_load_2addr_b64 v[200:203], v216 offset0:50 offset1:51
	v_fma_f64 v[8:9], v[196:197], v[8:9], -v[10:11]
	s_waitcnt lgkmcnt(1)
	v_mul_f64 v[10:11], v[106:107], v[108:109]
	v_mul_f64 v[110:111], v[104:105], v[108:109]
	s_waitcnt lgkmcnt(0)
	v_mul_f64 v[204:205], v[202:203], v[108:109]
	v_mul_f64 v[206:207], v[200:201], v[108:109]
	s_delay_alu instid0(VALU_DEP_4) | instskip(NEXT) | instid1(VALU_DEP_4)
	v_fma_f64 v[10:11], v[104:105], v[8:9], -v[10:11]
	v_fma_f64 v[104:105], v[106:107], v[8:9], v[110:111]
	s_delay_alu instid0(VALU_DEP_4) | instskip(NEXT) | instid1(VALU_DEP_4)
	v_fma_f64 v[106:107], v[200:201], v[8:9], -v[204:205]
	v_fma_f64 v[110:111], v[202:203], v[8:9], v[206:207]
	s_delay_alu instid0(VALU_DEP_4) | instskip(NEXT) | instid1(VALU_DEP_4)
	v_add_f64 v[4:5], v[4:5], -v[10:11]
	v_add_f64 v[6:7], v[6:7], -v[104:105]
	s_delay_alu instid0(VALU_DEP_4) | instskip(NEXT) | instid1(VALU_DEP_4)
	v_add_f64 v[0:1], v[0:1], -v[106:107]
	v_add_f64 v[2:3], v[2:3], -v[110:111]
	v_dual_mov_b32 v10, v108 :: v_dual_mov_b32 v11, v109
.LBB51_217:
	s_or_b32 exec_lo, exec_lo, s3
	s_delay_alu instid0(SALU_CYCLE_1)
	s_mov_b32 s4, exec_lo
	s_waitcnt lgkmcnt(0)
	s_barrier
	buffer_gl0_inv
	v_cmpx_eq_u32_e32 24, v214
	s_cbranch_execz .LBB51_224
; %bb.218:
	ds_store_2addr_b64 v215, v[4:5], v[6:7] offset1:1
	ds_store_2addr_b64 v216, v[0:1], v[2:3] offset0:50 offset1:51
	ds_load_2addr_b64 v[200:203], v215 offset1:1
	s_waitcnt lgkmcnt(0)
	v_cmp_neq_f64_e32 vcc_lo, 0, v[200:201]
	v_cmp_neq_f64_e64 s3, 0, v[202:203]
	s_delay_alu instid0(VALU_DEP_1) | instskip(NEXT) | instid1(SALU_CYCLE_1)
	s_or_b32 s3, vcc_lo, s3
	s_and_b32 exec_lo, exec_lo, s3
	s_cbranch_execz .LBB51_224
; %bb.219:
	v_cmp_gt_f64_e32 vcc_lo, 0, v[200:201]
	v_cmp_gt_f64_e64 s3, 0, v[202:203]
	v_xor_b32_e32 v104, 0x80000000, v201
	v_xor_b32_e32 v106, 0x80000000, v203
	s_delay_alu instid0(VALU_DEP_2) | instskip(NEXT) | instid1(VALU_DEP_2)
	v_cndmask_b32_e32 v105, v201, v104, vcc_lo
	v_cndmask_b32_e64 v107, v203, v106, s3
	v_cndmask_b32_e32 v104, v200, v200, vcc_lo
	v_cndmask_b32_e64 v106, v202, v202, s3
	s_delay_alu instid0(VALU_DEP_1) | instskip(SKIP_1) | instid1(SALU_CYCLE_1)
	v_cmp_ngt_f64_e32 vcc_lo, v[104:105], v[106:107]
                                        ; implicit-def: $vgpr104_vgpr105
	s_and_saveexec_b32 s3, vcc_lo
	s_xor_b32 s3, exec_lo, s3
                                        ; implicit-def: $vgpr204_vgpr205_vgpr206_vgpr207
	s_cbranch_execz .LBB51_221
; %bb.220:
	v_div_scale_f64 v[104:105], null, v[202:203], v[202:203], v[200:201]
	v_div_scale_f64 v[110:111], vcc_lo, v[200:201], v[202:203], v[200:201]
	s_delay_alu instid0(VALU_DEP_2) | instskip(SKIP_2) | instid1(VALU_DEP_1)
	v_rcp_f64_e32 v[106:107], v[104:105]
	s_waitcnt_depctr 0xfff
	v_fma_f64 v[108:109], -v[104:105], v[106:107], 1.0
	v_fma_f64 v[106:107], v[106:107], v[108:109], v[106:107]
	s_delay_alu instid0(VALU_DEP_1) | instskip(NEXT) | instid1(VALU_DEP_1)
	v_fma_f64 v[108:109], -v[104:105], v[106:107], 1.0
	v_fma_f64 v[106:107], v[106:107], v[108:109], v[106:107]
	s_delay_alu instid0(VALU_DEP_1) | instskip(NEXT) | instid1(VALU_DEP_1)
	v_mul_f64 v[108:109], v[110:111], v[106:107]
	v_fma_f64 v[104:105], -v[104:105], v[108:109], v[110:111]
	s_delay_alu instid0(VALU_DEP_1) | instskip(NEXT) | instid1(VALU_DEP_1)
	v_div_fmas_f64 v[104:105], v[104:105], v[106:107], v[108:109]
	v_div_fixup_f64 v[104:105], v[104:105], v[202:203], v[200:201]
	s_delay_alu instid0(VALU_DEP_1) | instskip(NEXT) | instid1(VALU_DEP_1)
	v_fma_f64 v[106:107], v[200:201], v[104:105], v[202:203]
	v_div_scale_f64 v[108:109], null, v[106:107], v[106:107], 1.0
	s_delay_alu instid0(VALU_DEP_1) | instskip(SKIP_2) | instid1(VALU_DEP_1)
	v_rcp_f64_e32 v[110:111], v[108:109]
	s_waitcnt_depctr 0xfff
	v_fma_f64 v[200:201], -v[108:109], v[110:111], 1.0
	v_fma_f64 v[110:111], v[110:111], v[200:201], v[110:111]
	s_delay_alu instid0(VALU_DEP_1) | instskip(NEXT) | instid1(VALU_DEP_1)
	v_fma_f64 v[200:201], -v[108:109], v[110:111], 1.0
	v_fma_f64 v[110:111], v[110:111], v[200:201], v[110:111]
	v_div_scale_f64 v[200:201], vcc_lo, 1.0, v[106:107], 1.0
	s_delay_alu instid0(VALU_DEP_1) | instskip(NEXT) | instid1(VALU_DEP_1)
	v_mul_f64 v[202:203], v[200:201], v[110:111]
	v_fma_f64 v[108:109], -v[108:109], v[202:203], v[200:201]
                                        ; implicit-def: $vgpr200_vgpr201
	s_delay_alu instid0(VALU_DEP_1) | instskip(NEXT) | instid1(VALU_DEP_1)
	v_div_fmas_f64 v[108:109], v[108:109], v[110:111], v[202:203]
	v_div_fixup_f64 v[206:207], v[108:109], v[106:107], 1.0
	s_delay_alu instid0(VALU_DEP_1)
	v_mul_f64 v[104:105], v[104:105], v[206:207]
	v_xor_b32_e32 v207, 0x80000000, v207
.LBB51_221:
	s_and_not1_saveexec_b32 s3, s3
	s_cbranch_execz .LBB51_223
; %bb.222:
	v_div_scale_f64 v[104:105], null, v[200:201], v[200:201], v[202:203]
	v_div_scale_f64 v[110:111], vcc_lo, v[202:203], v[200:201], v[202:203]
	s_delay_alu instid0(VALU_DEP_2) | instskip(SKIP_2) | instid1(VALU_DEP_1)
	v_rcp_f64_e32 v[106:107], v[104:105]
	s_waitcnt_depctr 0xfff
	v_fma_f64 v[108:109], -v[104:105], v[106:107], 1.0
	v_fma_f64 v[106:107], v[106:107], v[108:109], v[106:107]
	s_delay_alu instid0(VALU_DEP_1) | instskip(NEXT) | instid1(VALU_DEP_1)
	v_fma_f64 v[108:109], -v[104:105], v[106:107], 1.0
	v_fma_f64 v[106:107], v[106:107], v[108:109], v[106:107]
	s_delay_alu instid0(VALU_DEP_1) | instskip(NEXT) | instid1(VALU_DEP_1)
	v_mul_f64 v[108:109], v[110:111], v[106:107]
	v_fma_f64 v[104:105], -v[104:105], v[108:109], v[110:111]
	s_delay_alu instid0(VALU_DEP_1) | instskip(NEXT) | instid1(VALU_DEP_1)
	v_div_fmas_f64 v[104:105], v[104:105], v[106:107], v[108:109]
	v_div_fixup_f64 v[106:107], v[104:105], v[200:201], v[202:203]
	s_delay_alu instid0(VALU_DEP_1) | instskip(NEXT) | instid1(VALU_DEP_1)
	v_fma_f64 v[104:105], v[202:203], v[106:107], v[200:201]
	v_div_scale_f64 v[108:109], null, v[104:105], v[104:105], 1.0
	s_delay_alu instid0(VALU_DEP_1) | instskip(SKIP_2) | instid1(VALU_DEP_1)
	v_rcp_f64_e32 v[110:111], v[108:109]
	s_waitcnt_depctr 0xfff
	v_fma_f64 v[200:201], -v[108:109], v[110:111], 1.0
	v_fma_f64 v[110:111], v[110:111], v[200:201], v[110:111]
	s_delay_alu instid0(VALU_DEP_1) | instskip(NEXT) | instid1(VALU_DEP_1)
	v_fma_f64 v[200:201], -v[108:109], v[110:111], 1.0
	v_fma_f64 v[110:111], v[110:111], v[200:201], v[110:111]
	v_div_scale_f64 v[200:201], vcc_lo, 1.0, v[104:105], 1.0
	s_delay_alu instid0(VALU_DEP_1) | instskip(NEXT) | instid1(VALU_DEP_1)
	v_mul_f64 v[202:203], v[200:201], v[110:111]
	v_fma_f64 v[108:109], -v[108:109], v[202:203], v[200:201]
	s_delay_alu instid0(VALU_DEP_1) | instskip(NEXT) | instid1(VALU_DEP_1)
	v_div_fmas_f64 v[108:109], v[108:109], v[110:111], v[202:203]
	v_div_fixup_f64 v[104:105], v[108:109], v[104:105], 1.0
	s_delay_alu instid0(VALU_DEP_1)
	v_mul_f64 v[206:207], v[106:107], -v[104:105]
.LBB51_223:
	s_or_b32 exec_lo, exec_lo, s3
	ds_store_2addr_b64 v215, v[104:105], v[206:207] offset1:1
.LBB51_224:
	s_or_b32 exec_lo, exec_lo, s4
	s_waitcnt lgkmcnt(0)
	s_barrier
	buffer_gl0_inv
	ds_load_2addr_b64 v[200:203], v215 offset1:1
	s_mov_b32 s3, exec_lo
	v_cmpx_lt_u32_e32 24, v214
	s_cbranch_execz .LBB51_226
; %bb.225:
	s_waitcnt lgkmcnt(0)
	v_mul_f64 v[104:105], v[200:201], v[6:7]
	v_mul_f64 v[6:7], v[202:203], v[6:7]
	s_delay_alu instid0(VALU_DEP_2)
	v_fma_f64 v[108:109], v[202:203], v[4:5], v[104:105]
	ds_load_2addr_b64 v[104:107], v216 offset0:50 offset1:51
	v_fma_f64 v[4:5], v[200:201], v[4:5], -v[6:7]
	s_waitcnt lgkmcnt(0)
	v_mul_f64 v[6:7], v[106:107], v[108:109]
	v_mul_f64 v[110:111], v[104:105], v[108:109]
	s_delay_alu instid0(VALU_DEP_2) | instskip(NEXT) | instid1(VALU_DEP_2)
	v_fma_f64 v[6:7], v[104:105], v[4:5], -v[6:7]
	v_fma_f64 v[104:105], v[106:107], v[4:5], v[110:111]
	s_delay_alu instid0(VALU_DEP_2) | instskip(NEXT) | instid1(VALU_DEP_2)
	v_add_f64 v[0:1], v[0:1], -v[6:7]
	v_add_f64 v[2:3], v[2:3], -v[104:105]
	v_dual_mov_b32 v6, v108 :: v_dual_mov_b32 v7, v109
.LBB51_226:
	s_or_b32 exec_lo, exec_lo, s3
	s_delay_alu instid0(SALU_CYCLE_1)
	s_mov_b32 s4, exec_lo
	s_waitcnt lgkmcnt(0)
	s_barrier
	buffer_gl0_inv
	v_cmpx_eq_u32_e32 25, v214
	s_cbranch_execz .LBB51_233
; %bb.227:
	v_cmp_neq_f64_e32 vcc_lo, 0, v[0:1]
	v_cmp_neq_f64_e64 s3, 0, v[2:3]
	ds_store_2addr_b64 v215, v[0:1], v[2:3] offset1:1
	s_or_b32 s3, vcc_lo, s3
	s_delay_alu instid0(SALU_CYCLE_1)
	s_and_b32 exec_lo, exec_lo, s3
	s_cbranch_execz .LBB51_233
; %bb.228:
	v_cmp_gt_f64_e32 vcc_lo, 0, v[0:1]
	v_cmp_gt_f64_e64 s3, 0, v[2:3]
	v_xor_b32_e32 v104, 0x80000000, v1
	v_xor_b32_e32 v106, 0x80000000, v3
	s_delay_alu instid0(VALU_DEP_2) | instskip(NEXT) | instid1(VALU_DEP_2)
	v_cndmask_b32_e32 v105, v1, v104, vcc_lo
	v_cndmask_b32_e64 v107, v3, v106, s3
	v_cndmask_b32_e32 v104, v0, v0, vcc_lo
	v_cndmask_b32_e64 v106, v2, v2, s3
	s_delay_alu instid0(VALU_DEP_1) | instskip(SKIP_1) | instid1(SALU_CYCLE_1)
	v_cmp_ngt_f64_e32 vcc_lo, v[104:105], v[106:107]
                                        ; implicit-def: $vgpr104_vgpr105
	s_and_saveexec_b32 s3, vcc_lo
	s_xor_b32 s3, exec_lo, s3
                                        ; implicit-def: $vgpr204_vgpr205_vgpr206_vgpr207
	s_cbranch_execz .LBB51_230
; %bb.229:
	v_div_scale_f64 v[104:105], null, v[2:3], v[2:3], v[0:1]
	v_div_scale_f64 v[110:111], vcc_lo, v[0:1], v[2:3], v[0:1]
	s_delay_alu instid0(VALU_DEP_2) | instskip(SKIP_2) | instid1(VALU_DEP_1)
	v_rcp_f64_e32 v[106:107], v[104:105]
	s_waitcnt_depctr 0xfff
	v_fma_f64 v[108:109], -v[104:105], v[106:107], 1.0
	v_fma_f64 v[106:107], v[106:107], v[108:109], v[106:107]
	s_delay_alu instid0(VALU_DEP_1) | instskip(NEXT) | instid1(VALU_DEP_1)
	v_fma_f64 v[108:109], -v[104:105], v[106:107], 1.0
	v_fma_f64 v[106:107], v[106:107], v[108:109], v[106:107]
	s_delay_alu instid0(VALU_DEP_1) | instskip(NEXT) | instid1(VALU_DEP_1)
	v_mul_f64 v[108:109], v[110:111], v[106:107]
	v_fma_f64 v[104:105], -v[104:105], v[108:109], v[110:111]
	s_delay_alu instid0(VALU_DEP_1) | instskip(NEXT) | instid1(VALU_DEP_1)
	v_div_fmas_f64 v[104:105], v[104:105], v[106:107], v[108:109]
	v_div_fixup_f64 v[104:105], v[104:105], v[2:3], v[0:1]
	s_delay_alu instid0(VALU_DEP_1) | instskip(NEXT) | instid1(VALU_DEP_1)
	v_fma_f64 v[106:107], v[0:1], v[104:105], v[2:3]
	v_div_scale_f64 v[108:109], null, v[106:107], v[106:107], 1.0
	s_delay_alu instid0(VALU_DEP_1) | instskip(SKIP_2) | instid1(VALU_DEP_1)
	v_rcp_f64_e32 v[110:111], v[108:109]
	s_waitcnt_depctr 0xfff
	v_fma_f64 v[204:205], -v[108:109], v[110:111], 1.0
	v_fma_f64 v[110:111], v[110:111], v[204:205], v[110:111]
	s_delay_alu instid0(VALU_DEP_1) | instskip(NEXT) | instid1(VALU_DEP_1)
	v_fma_f64 v[204:205], -v[108:109], v[110:111], 1.0
	v_fma_f64 v[110:111], v[110:111], v[204:205], v[110:111]
	v_div_scale_f64 v[204:205], vcc_lo, 1.0, v[106:107], 1.0
	s_delay_alu instid0(VALU_DEP_1) | instskip(NEXT) | instid1(VALU_DEP_1)
	v_mul_f64 v[206:207], v[204:205], v[110:111]
	v_fma_f64 v[108:109], -v[108:109], v[206:207], v[204:205]
	s_delay_alu instid0(VALU_DEP_1) | instskip(NEXT) | instid1(VALU_DEP_1)
	v_div_fmas_f64 v[108:109], v[108:109], v[110:111], v[206:207]
	v_div_fixup_f64 v[206:207], v[108:109], v[106:107], 1.0
	s_delay_alu instid0(VALU_DEP_1)
	v_mul_f64 v[104:105], v[104:105], v[206:207]
	v_xor_b32_e32 v207, 0x80000000, v207
.LBB51_230:
	s_and_not1_saveexec_b32 s3, s3
	s_cbranch_execz .LBB51_232
; %bb.231:
	v_div_scale_f64 v[104:105], null, v[0:1], v[0:1], v[2:3]
	v_div_scale_f64 v[110:111], vcc_lo, v[2:3], v[0:1], v[2:3]
	s_delay_alu instid0(VALU_DEP_2) | instskip(SKIP_2) | instid1(VALU_DEP_1)
	v_rcp_f64_e32 v[106:107], v[104:105]
	s_waitcnt_depctr 0xfff
	v_fma_f64 v[108:109], -v[104:105], v[106:107], 1.0
	v_fma_f64 v[106:107], v[106:107], v[108:109], v[106:107]
	s_delay_alu instid0(VALU_DEP_1) | instskip(NEXT) | instid1(VALU_DEP_1)
	v_fma_f64 v[108:109], -v[104:105], v[106:107], 1.0
	v_fma_f64 v[106:107], v[106:107], v[108:109], v[106:107]
	s_delay_alu instid0(VALU_DEP_1) | instskip(NEXT) | instid1(VALU_DEP_1)
	v_mul_f64 v[108:109], v[110:111], v[106:107]
	v_fma_f64 v[104:105], -v[104:105], v[108:109], v[110:111]
	s_delay_alu instid0(VALU_DEP_1) | instskip(NEXT) | instid1(VALU_DEP_1)
	v_div_fmas_f64 v[104:105], v[104:105], v[106:107], v[108:109]
	v_div_fixup_f64 v[106:107], v[104:105], v[0:1], v[2:3]
	s_delay_alu instid0(VALU_DEP_1) | instskip(NEXT) | instid1(VALU_DEP_1)
	v_fma_f64 v[104:105], v[2:3], v[106:107], v[0:1]
	v_div_scale_f64 v[108:109], null, v[104:105], v[104:105], 1.0
	s_delay_alu instid0(VALU_DEP_1) | instskip(SKIP_2) | instid1(VALU_DEP_1)
	v_rcp_f64_e32 v[110:111], v[108:109]
	s_waitcnt_depctr 0xfff
	v_fma_f64 v[204:205], -v[108:109], v[110:111], 1.0
	v_fma_f64 v[110:111], v[110:111], v[204:205], v[110:111]
	s_delay_alu instid0(VALU_DEP_1) | instskip(NEXT) | instid1(VALU_DEP_1)
	v_fma_f64 v[204:205], -v[108:109], v[110:111], 1.0
	v_fma_f64 v[110:111], v[110:111], v[204:205], v[110:111]
	v_div_scale_f64 v[204:205], vcc_lo, 1.0, v[104:105], 1.0
	s_delay_alu instid0(VALU_DEP_1) | instskip(NEXT) | instid1(VALU_DEP_1)
	v_mul_f64 v[206:207], v[204:205], v[110:111]
	v_fma_f64 v[108:109], -v[108:109], v[206:207], v[204:205]
	s_delay_alu instid0(VALU_DEP_1) | instskip(NEXT) | instid1(VALU_DEP_1)
	v_div_fmas_f64 v[108:109], v[108:109], v[110:111], v[206:207]
	v_div_fixup_f64 v[104:105], v[108:109], v[104:105], 1.0
	s_delay_alu instid0(VALU_DEP_1)
	v_mul_f64 v[206:207], v[106:107], -v[104:105]
.LBB51_232:
	s_or_b32 exec_lo, exec_lo, s3
	ds_store_2addr_b64 v215, v[104:105], v[206:207] offset1:1
.LBB51_233:
	s_or_b32 exec_lo, exec_lo, s4
	s_waitcnt lgkmcnt(0)
	s_barrier
	buffer_gl0_inv
	ds_load_2addr_b64 v[204:207], v215 offset1:1
	s_mov_b32 s3, exec_lo
	v_cmpx_lt_u32_e32 25, v214
	s_cbranch_execz .LBB51_235
; %bb.234:
	s_waitcnt lgkmcnt(0)
	v_mul_f64 v[104:105], v[206:207], v[2:3]
	v_mul_f64 v[2:3], v[204:205], v[2:3]
	s_delay_alu instid0(VALU_DEP_2) | instskip(NEXT) | instid1(VALU_DEP_2)
	v_fma_f64 v[104:105], v[204:205], v[0:1], -v[104:105]
	v_fma_f64 v[2:3], v[206:207], v[0:1], v[2:3]
	s_delay_alu instid0(VALU_DEP_2)
	v_dual_mov_b32 v0, v104 :: v_dual_mov_b32 v1, v105
.LBB51_235:
	s_or_b32 exec_lo, exec_lo, s3
	s_waitcnt lgkmcnt(0)
	s_barrier
	buffer_gl0_inv
	s_and_saveexec_b32 s34, s2
	s_cbranch_execz .LBB51_238
; %bb.236:
	scratch_load_b128 v[104:107], off, off offset:40 ; 16-byte Folded Reload
	s_load_b64 s[0:1], s[0:1], 0x28
	v_cmp_eq_f64_e64 s5, 0, v[112:113]
	v_cmp_eq_f64_e64 s6, 0, v[114:115]
	;; [unrolled: 1-line block ×28, first 2 shown]
	s_waitcnt vmcnt(0)
	v_cmp_eq_f64_e32 vcc_lo, 0, v[104:105]
	v_cmp_eq_f64_e64 s2, 0, v[106:107]
	scratch_load_b128 v[104:107], off, off offset:56 ; 16-byte Folded Reload
	s_waitcnt vmcnt(0)
	v_cmp_neq_f64_e64 s3, 0, v[104:105]
	v_cmp_neq_f64_e64 s4, 0, v[106:107]
	v_lshlrev_b64 v[104:105], 2, v[230:231]
	s_waitcnt lgkmcnt(0)
	s_delay_alu instid0(VALU_DEP_1) | instskip(NEXT) | instid1(VALU_DEP_1)
	v_add_co_u32 v104, s0, s0, v104
	v_add_co_ci_u32_e64 v105, s0, s1, v105, s0
	s_and_b32 s0, vcc_lo, s2
	s_and_b32 s2, s27, s31
	v_cndmask_b32_e64 v106, 0, 1, s0
	global_load_b32 v107, v[104:105], off
	s_or_b32 s1, s3, s4
	s_and_b32 s4, s28, s33
	s_or_b32 vcc_lo, s1, s0
	s_and_b32 s0, s5, s6
	v_cndmask_b32_e32 v106, 2, v106, vcc_lo
	s_and_b32 s6, s25, s29
	s_delay_alu instid0(VALU_DEP_1) | instskip(SKIP_1) | instid1(SALU_CYCLE_1)
	v_cmp_eq_u32_e32 vcc_lo, 0, v106
	s_and_b32 s0, s0, vcc_lo
	v_cndmask_b32_e64 v106, v106, 3, s0
	s_and_b32 s0, s7, s8
	s_delay_alu instid0(VALU_DEP_1) | instskip(SKIP_1) | instid1(SALU_CYCLE_1)
	v_cmp_eq_u32_e32 vcc_lo, 0, v106
	s_and_b32 s0, s0, vcc_lo
	v_cndmask_b32_e64 v106, v106, 4, s0
	;; [unrolled: 5-line block ×10, first 2 shown]
	s_and_b32 s0, s26, s30
	s_delay_alu instid0(VALU_DEP_1) | instskip(SKIP_4) | instid1(VALU_DEP_2)
	v_cmp_eq_u32_e32 vcc_lo, 0, v106
	s_and_b32 s0, s0, vcc_lo
	v_cmp_eq_f64_e32 vcc_lo, 0, v[168:169]
	v_cndmask_b32_e64 v106, v106, 13, s0
	v_cmp_eq_f64_e64 s0, 0, v[170:171]
	v_cmp_eq_u32_e64 s1, 0, v106
	s_delay_alu instid0(VALU_DEP_1) | instskip(SKIP_3) | instid1(VALU_DEP_2)
	s_and_b32 s1, s2, s1
	v_cmp_eq_f64_e64 s2, 0, v[174:175]
	v_cndmask_b32_e64 v106, v106, 14, s1
	v_cmp_eq_f64_e64 s1, 0, v[172:173]
	v_cmp_eq_u32_e64 s3, 0, v106
	s_delay_alu instid0(VALU_DEP_1) | instskip(SKIP_3) | instid1(VALU_DEP_2)
	s_and_b32 s3, s4, s3
	v_cmp_eq_f64_e64 s4, 0, v[178:179]
	v_cndmask_b32_e64 v106, v106, 15, s3
	v_cmp_eq_f64_e64 s3, 0, v[176:177]
	v_cmp_eq_u32_e64 s5, 0, v106
	s_delay_alu instid0(VALU_DEP_1)
	s_and_b32 s5, s6, s5
	v_cmp_eq_f64_e64 s6, 0, v[182:183]
	v_cndmask_b32_e64 v106, v106, 16, s5
	v_cmp_eq_f64_e64 s5, 0, v[180:181]
	s_and_b32 s0, vcc_lo, s0
	v_cmp_eq_f64_e32 vcc_lo, 0, v[184:185]
	s_delay_alu instid0(VALU_DEP_3) | instskip(NEXT) | instid1(VALU_DEP_1)
	v_cmp_eq_u32_e64 s7, 0, v106
	s_and_b32 s0, s0, s7
	s_delay_alu instid0(SALU_CYCLE_1) | instskip(SKIP_3) | instid1(VALU_DEP_3)
	v_cndmask_b32_e64 v106, v106, 17, s0
	v_cmp_eq_f64_e64 s0, 0, v[186:187]
	s_and_b32 s1, s1, s2
	v_cmp_eq_f64_e64 s2, 0, v[190:191]
	v_cmp_eq_u32_e64 s7, 0, v106
	s_delay_alu instid0(VALU_DEP_1) | instskip(NEXT) | instid1(SALU_CYCLE_1)
	s_and_b32 s1, s1, s7
	v_cndmask_b32_e64 v106, v106, 18, s1
	v_cmp_eq_f64_e64 s1, 0, v[188:189]
	s_and_b32 s3, s3, s4
	v_cmp_eq_f64_e64 s4, 0, v[194:195]
	s_delay_alu instid0(VALU_DEP_3) | instskip(NEXT) | instid1(VALU_DEP_1)
	v_cmp_eq_u32_e64 s7, 0, v106
	s_and_b32 s3, s3, s7
	s_delay_alu instid0(SALU_CYCLE_1) | instskip(SKIP_3) | instid1(VALU_DEP_3)
	v_cndmask_b32_e64 v106, v106, 19, s3
	v_cmp_eq_f64_e64 s3, 0, v[192:193]
	s_and_b32 s5, s5, s6
	v_cmp_eq_f64_e64 s6, 0, v[198:199]
	v_cmp_eq_u32_e64 s7, 0, v106
	s_delay_alu instid0(VALU_DEP_1) | instskip(NEXT) | instid1(SALU_CYCLE_1)
	s_and_b32 s5, s5, s7
	v_cndmask_b32_e64 v106, v106, 20, s5
	v_cmp_eq_f64_e64 s5, 0, v[196:197]
	s_and_b32 s0, vcc_lo, s0
	v_cmp_eq_f64_e32 vcc_lo, 0, v[200:201]
	s_delay_alu instid0(VALU_DEP_3) | instskip(NEXT) | instid1(VALU_DEP_1)
	v_cmp_eq_u32_e64 s7, 0, v106
	s_and_b32 s0, s0, s7
	s_delay_alu instid0(SALU_CYCLE_1) | instskip(SKIP_3) | instid1(VALU_DEP_3)
	v_cndmask_b32_e64 v106, v106, 21, s0
	v_cmp_eq_f64_e64 s0, 0, v[202:203]
	s_and_b32 s1, s1, s2
	v_cmp_eq_f64_e64 s2, 0, v[206:207]
	v_cmp_eq_u32_e64 s7, 0, v106
	s_delay_alu instid0(VALU_DEP_1) | instskip(NEXT) | instid1(SALU_CYCLE_1)
	s_and_b32 s1, s1, s7
	v_cndmask_b32_e64 v106, v106, 22, s1
	v_cmp_eq_f64_e64 s1, 0, v[204:205]
	s_and_b32 s3, s3, s4
	s_delay_alu instid0(VALU_DEP_2) | instskip(NEXT) | instid1(VALU_DEP_1)
	v_cmp_eq_u32_e64 s7, 0, v106
	s_and_b32 s3, s3, s7
	s_delay_alu instid0(SALU_CYCLE_1) | instskip(SKIP_1) | instid1(VALU_DEP_1)
	v_cndmask_b32_e64 v106, v106, 23, s3
	s_and_b32 s4, s5, s6
	v_cmp_eq_u32_e64 s3, 0, v106
	s_delay_alu instid0(VALU_DEP_1) | instskip(NEXT) | instid1(SALU_CYCLE_1)
	s_and_b32 s3, s4, s3
	v_cndmask_b32_e64 v106, v106, 24, s3
	s_and_b32 s0, vcc_lo, s0
	s_delay_alu instid0(VALU_DEP_1) | instskip(NEXT) | instid1(VALU_DEP_1)
	v_cmp_eq_u32_e64 s3, 0, v106
	s_and_b32 s0, s0, s3
	s_delay_alu instid0(SALU_CYCLE_1) | instskip(SKIP_1) | instid1(VALU_DEP_1)
	v_cndmask_b32_e64 v106, v106, 25, s0
	s_and_b32 s0, s1, s2
	v_cmp_eq_u32_e32 vcc_lo, 0, v106
	s_and_b32 s0, s0, vcc_lo
	s_delay_alu instid0(SALU_CYCLE_1) | instskip(SKIP_2) | instid1(VALU_DEP_2)
	v_cndmask_b32_e64 v106, v106, 26, s0
	s_waitcnt vmcnt(0)
	v_cmp_eq_u32_e32 vcc_lo, 0, v107
	v_cmp_ne_u32_e64 s0, 0, v106
	s_delay_alu instid0(VALU_DEP_1) | instskip(NEXT) | instid1(SALU_CYCLE_1)
	s_and_b32 s0, vcc_lo, s0
	s_and_b32 exec_lo, exec_lo, s0
	s_cbranch_execz .LBB51_238
; %bb.237:
	v_add_nc_u32_e32 v106, s35, v106
	global_store_b32 v[104:105], v106, off
.LBB51_238:
	s_or_b32 exec_lo, exec_lo, s34
	s_clause 0x14
	global_store_b128 v[210:211], v[100:103], off
	global_store_b128 v[212:213], v[96:99], off
	;; [unrolled: 1-line block ×21, first 2 shown]
	scratch_load_b64 v[20:21], off, off offset:32 ; 8-byte Folded Reload
	s_waitcnt vmcnt(0)
	global_store_b128 v[20:21], v[16:19], off
	scratch_load_b64 v[16:17], off, off offset:24 ; 8-byte Folded Reload
	s_waitcnt vmcnt(0)
	global_store_b128 v[16:17], v[12:15], off
	;; [unrolled: 3-line block ×4, first 2 shown]
	scratch_load_b64 v[4:5], off, off       ; 8-byte Folded Reload
	s_waitcnt vmcnt(0)
	global_store_b128 v[4:5], v[0:3], off
.LBB51_239:
	s_nop 0
	s_sendmsg sendmsg(MSG_DEALLOC_VGPRS)
	s_endpgm
	.section	.rodata,"a",@progbits
	.p2align	6, 0x0
	.amdhsa_kernel _ZN9rocsolver6v33100L23getf2_npvt_small_kernelILi26E19rocblas_complex_numIdEiiPKPS3_EEvT1_T3_lS7_lPT2_S7_S7_
		.amdhsa_group_segment_fixed_size 0
		.amdhsa_private_segment_fixed_size 76
		.amdhsa_kernarg_size 312
		.amdhsa_user_sgpr_count 14
		.amdhsa_user_sgpr_dispatch_ptr 0
		.amdhsa_user_sgpr_queue_ptr 0
		.amdhsa_user_sgpr_kernarg_segment_ptr 1
		.amdhsa_user_sgpr_dispatch_id 0
		.amdhsa_user_sgpr_private_segment_size 0
		.amdhsa_wavefront_size32 1
		.amdhsa_uses_dynamic_stack 0
		.amdhsa_enable_private_segment 1
		.amdhsa_system_sgpr_workgroup_id_x 1
		.amdhsa_system_sgpr_workgroup_id_y 1
		.amdhsa_system_sgpr_workgroup_id_z 0
		.amdhsa_system_sgpr_workgroup_info 0
		.amdhsa_system_vgpr_workitem_id 1
		.amdhsa_next_free_vgpr 256
		.amdhsa_next_free_sgpr 36
		.amdhsa_reserve_vcc 1
		.amdhsa_float_round_mode_32 0
		.amdhsa_float_round_mode_16_64 0
		.amdhsa_float_denorm_mode_32 3
		.amdhsa_float_denorm_mode_16_64 3
		.amdhsa_dx10_clamp 1
		.amdhsa_ieee_mode 1
		.amdhsa_fp16_overflow 0
		.amdhsa_workgroup_processor_mode 1
		.amdhsa_memory_ordered 1
		.amdhsa_forward_progress 0
		.amdhsa_shared_vgpr_count 0
		.amdhsa_exception_fp_ieee_invalid_op 0
		.amdhsa_exception_fp_denorm_src 0
		.amdhsa_exception_fp_ieee_div_zero 0
		.amdhsa_exception_fp_ieee_overflow 0
		.amdhsa_exception_fp_ieee_underflow 0
		.amdhsa_exception_fp_ieee_inexact 0
		.amdhsa_exception_int_div_zero 0
	.end_amdhsa_kernel
	.section	.text._ZN9rocsolver6v33100L23getf2_npvt_small_kernelILi26E19rocblas_complex_numIdEiiPKPS3_EEvT1_T3_lS7_lPT2_S7_S7_,"axG",@progbits,_ZN9rocsolver6v33100L23getf2_npvt_small_kernelILi26E19rocblas_complex_numIdEiiPKPS3_EEvT1_T3_lS7_lPT2_S7_S7_,comdat
.Lfunc_end51:
	.size	_ZN9rocsolver6v33100L23getf2_npvt_small_kernelILi26E19rocblas_complex_numIdEiiPKPS3_EEvT1_T3_lS7_lPT2_S7_S7_, .Lfunc_end51-_ZN9rocsolver6v33100L23getf2_npvt_small_kernelILi26E19rocblas_complex_numIdEiiPKPS3_EEvT1_T3_lS7_lPT2_S7_S7_
                                        ; -- End function
	.section	.AMDGPU.csdata,"",@progbits
; Kernel info:
; codeLenInByte = 46688
; NumSgprs: 38
; NumVgprs: 256
; ScratchSize: 76
; MemoryBound: 1
; FloatMode: 240
; IeeeMode: 1
; LDSByteSize: 0 bytes/workgroup (compile time only)
; SGPRBlocks: 4
; VGPRBlocks: 31
; NumSGPRsForWavesPerEU: 38
; NumVGPRsForWavesPerEU: 256
; Occupancy: 5
; WaveLimiterHint : 1
; COMPUTE_PGM_RSRC2:SCRATCH_EN: 1
; COMPUTE_PGM_RSRC2:USER_SGPR: 14
; COMPUTE_PGM_RSRC2:TRAP_HANDLER: 0
; COMPUTE_PGM_RSRC2:TGID_X_EN: 1
; COMPUTE_PGM_RSRC2:TGID_Y_EN: 1
; COMPUTE_PGM_RSRC2:TGID_Z_EN: 0
; COMPUTE_PGM_RSRC2:TIDIG_COMP_CNT: 1
	.section	.text._ZN9rocsolver6v33100L18getf2_small_kernelILi27E19rocblas_complex_numIdEiiPKPS3_EEvT1_T3_lS7_lPS7_llPT2_S7_S7_S9_l,"axG",@progbits,_ZN9rocsolver6v33100L18getf2_small_kernelILi27E19rocblas_complex_numIdEiiPKPS3_EEvT1_T3_lS7_lPS7_llPT2_S7_S7_S9_l,comdat
	.globl	_ZN9rocsolver6v33100L18getf2_small_kernelILi27E19rocblas_complex_numIdEiiPKPS3_EEvT1_T3_lS7_lPS7_llPT2_S7_S7_S9_l ; -- Begin function _ZN9rocsolver6v33100L18getf2_small_kernelILi27E19rocblas_complex_numIdEiiPKPS3_EEvT1_T3_lS7_lPS7_llPT2_S7_S7_S9_l
	.p2align	8
	.type	_ZN9rocsolver6v33100L18getf2_small_kernelILi27E19rocblas_complex_numIdEiiPKPS3_EEvT1_T3_lS7_lPS7_llPT2_S7_S7_S9_l,@function
_ZN9rocsolver6v33100L18getf2_small_kernelILi27E19rocblas_complex_numIdEiiPKPS3_EEvT1_T3_lS7_lPS7_llPT2_S7_S7_S9_l: ; @_ZN9rocsolver6v33100L18getf2_small_kernelILi27E19rocblas_complex_numIdEiiPKPS3_EEvT1_T3_lS7_lPS7_llPT2_S7_S7_S9_l
; %bb.0:
	s_clause 0x1
	s_load_b32 s2, s[0:1], 0x6c
	s_load_b64 s[12:13], s[0:1], 0x48
	v_bfe_u32 v108, v0, 10, 10
	s_waitcnt lgkmcnt(0)
	s_lshr_b32 s2, s2, 16
	s_delay_alu instid0(VALU_DEP_1) | instid1(SALU_CYCLE_1)
	v_mad_u64_u32 v[2:3], null, s15, s2, v[108:109]
	s_mov_b32 s2, exec_lo
	s_delay_alu instid0(VALU_DEP_1)
	v_mov_b32_e32 v1, v2
	v_cmpx_gt_i32_e64 s12, v2
	s_cbranch_execz .LBB52_570
; %bb.1:
	s_clause 0x1
	s_load_b128 s[4:7], s[0:1], 0x8
	s_load_b128 s[8:11], s[0:1], 0x50
	v_ashrrev_i32_e32 v2, 31, v1
	v_mov_b32_e32 v3, 0
	v_mov_b32_e32 v4, 0
	scratch_store_b64 off, v[1:2], off offset:72 ; 8-byte Folded Spill
	v_lshlrev_b64 v[1:2], 3, v[1:2]
	scratch_store_b64 off, v[3:4], off offset:48 ; 8-byte Folded Spill
	s_waitcnt lgkmcnt(0)
	v_add_co_u32 v1, vcc_lo, s4, v1
	v_add_co_ci_u32_e32 v2, vcc_lo, s5, v2, vcc_lo
	s_cmp_eq_u64 s[8:9], 0
	s_cselect_b32 s4, -1, 0
	global_load_b64 v[1:2], v[1:2], off
	s_and_b32 vcc_lo, exec_lo, s4
	s_cbranch_vccnz .LBB52_3
; %bb.2:
	scratch_load_b64 v[7:8], off, off offset:72 ; 8-byte Folded Reload
	s_waitcnt vmcnt(0)
	v_mul_lo_u32 v5, v8, s10
	v_mul_lo_u32 v6, v7, s11
	v_mad_u64_u32 v[3:4], null, v7, s10, 0
	s_delay_alu instid0(VALU_DEP_1) | instskip(NEXT) | instid1(VALU_DEP_1)
	v_add3_u32 v4, v4, v6, v5
	v_lshlrev_b64 v[3:4], 2, v[3:4]
	s_delay_alu instid0(VALU_DEP_1) | instskip(NEXT) | instid1(VALU_DEP_2)
	v_add_co_u32 v3, vcc_lo, s8, v3
	v_add_co_ci_u32_e32 v4, vcc_lo, s9, v4, vcc_lo
	scratch_store_b64 off, v[3:4], off offset:48 ; 8-byte Folded Spill
.LBB52_3:
	s_clause 0x1
	s_load_b32 s8, s[0:1], 0x18
	s_load_b32 s5, s[0:1], 0x0
	v_and_b32_e32 v119, 0x3ff, v0
	s_lshl_b64 s[2:3], s[6:7], 4
	s_waitcnt vmcnt(0)
	v_add_co_u32 v26, vcc_lo, v1, s2
	s_delay_alu instid0(VALU_DEP_2) | instskip(SKIP_1) | instid1(VALU_DEP_2)
	v_lshlrev_b32_e32 v40, 4, v119
	v_add_co_ci_u32_e32 v27, vcc_lo, s3, v2, vcc_lo
	v_add_co_u32 v2, vcc_lo, v26, v40
	s_delay_alu instid0(VALU_DEP_2)
	v_add_co_ci_u32_e32 v3, vcc_lo, 0, v27, vcc_lo
	s_waitcnt lgkmcnt(0)
	v_add3_u32 v0, s8, s8, v119
	s_ashr_i32 s9, s8, 31
	s_max_i32 s2, s5, 27
	s_lshl_b64 s[10:11], s[8:9], 4
	v_mul_lo_u32 v41, s2, v108
	v_add_nc_u32_e32 v4, s8, v0
	v_ashrrev_i32_e32 v1, 31, v0
	v_add_co_u32 v6, vcc_lo, v2, s10
	v_add_co_ci_u32_e32 v7, vcc_lo, s11, v3, vcc_lo
	s_delay_alu instid0(VALU_DEP_4)
	v_ashrrev_i32_e32 v5, 31, v4
	v_add_nc_u32_e32 v8, s8, v4
	v_lshlrev_b64 v[0:1], 4, v[0:1]
	s_clause 0x1
	global_load_b128 v[42:45], v[2:3], off
	global_load_b128 v[96:99], v[6:7], off
	v_lshl_add_u32 v118, v41, 4, 0
	v_lshlrev_b64 v[2:3], 4, v[4:5]
	v_ashrrev_i32_e32 v9, 31, v8
	v_add_nc_u32_e32 v4, s8, v8
	v_add_co_u32 v0, vcc_lo, v26, v0
	v_add_co_ci_u32_e32 v1, vcc_lo, v27, v1, vcc_lo
	s_delay_alu instid0(VALU_DEP_4) | instskip(NEXT) | instid1(VALU_DEP_4)
	v_lshlrev_b64 v[6:7], 4, v[8:9]
	v_add_nc_u32_e32 v8, s8, v4
	v_ashrrev_i32_e32 v5, 31, v4
	v_add_co_u32 v2, vcc_lo, v26, v2
	v_add_co_ci_u32_e32 v3, vcc_lo, v27, v3, vcc_lo
	s_delay_alu instid0(VALU_DEP_4) | instskip(NEXT) | instid1(VALU_DEP_4)
	v_add_nc_u32_e32 v10, s8, v8
	v_lshlrev_b64 v[4:5], 4, v[4:5]
	v_ashrrev_i32_e32 v9, 31, v8
	s_clause 0x1
	global_load_b128 v[56:59], v[0:1], off
	global_load_b128 v[231:234], v[2:3], off
	v_add_co_u32 v0, vcc_lo, v26, v6
	v_ashrrev_i32_e32 v11, 31, v10
	v_add_nc_u32_e32 v6, s8, v10
	v_add_co_ci_u32_e32 v1, vcc_lo, v27, v7, vcc_lo
	v_lshlrev_b64 v[2:3], 4, v[8:9]
	v_add_co_u32 v4, vcc_lo, v26, v4
	v_add_co_ci_u32_e32 v5, vcc_lo, v27, v5, vcc_lo
	v_lshlrev_b64 v[8:9], 4, v[10:11]
	v_add_nc_u32_e32 v10, s8, v6
	v_ashrrev_i32_e32 v7, 31, v6
	s_clause 0x1
	global_load_b128 v[60:63], v[0:1], off
	global_load_b128 v[88:91], v[4:5], off
	v_add_co_u32 v0, vcc_lo, v26, v2
	v_add_co_ci_u32_e32 v1, vcc_lo, v27, v3, vcc_lo
	v_ashrrev_i32_e32 v11, 31, v10
	v_lshlrev_b64 v[2:3], 4, v[6:7]
	v_add_co_u32 v6, vcc_lo, v26, v8
	v_add_co_ci_u32_e32 v7, vcc_lo, v27, v9, vcc_lo
	s_delay_alu instid0(VALU_DEP_4) | instskip(SKIP_4) | instid1(VALU_DEP_3)
	v_lshlrev_b64 v[8:9], 4, v[10:11]
	global_load_b128 v[11:14], v[0:1], off
	v_add_nc_u32_e32 v4, s8, v10
	v_add_co_u32 v0, vcc_lo, v26, v2
	v_add_co_ci_u32_e32 v1, vcc_lo, v27, v3, vcc_lo
	v_ashrrev_i32_e32 v5, 31, v4
	v_add_nc_u32_e32 v10, s8, v4
	v_add_nc_u32_e32 v40, v118, v40
	v_lshlrev_b32_e32 v120, 4, v41
	s_cmp_lt_i32 s5, 2
	v_lshlrev_b64 v[2:3], 4, v[4:5]
	v_add_nc_u32_e32 v4, s8, v10
	s_delay_alu instid0(VALU_DEP_1)
	v_ashrrev_i32_e32 v5, 31, v4
	s_waitcnt vmcnt(0)
	scratch_store_b128 off, v[11:14], off offset:32 ; 16-byte Folded Spill
	global_load_b128 v[11:14], v[6:7], off
	v_add_co_u32 v6, vcc_lo, v26, v8
	v_add_co_ci_u32_e32 v7, vcc_lo, v27, v9, vcc_lo
	s_waitcnt vmcnt(0)
	scratch_store_b128 off, v[11:14], off offset:16 ; 16-byte Folded Spill
	v_ashrrev_i32_e32 v11, 31, v10
	s_clause 0x1
	global_load_b128 v[84:87], v[0:1], off
	global_load_b128 v[80:83], v[6:7], off
	v_add_co_u32 v0, vcc_lo, v26, v2
	v_add_co_ci_u32_e32 v1, vcc_lo, v27, v3, vcc_lo
	v_lshlrev_b64 v[8:9], 4, v[10:11]
	v_add_nc_u32_e32 v10, s8, v4
	v_lshlrev_b64 v[2:3], 4, v[4:5]
	s_delay_alu instid0(VALU_DEP_2) | instskip(SKIP_3) | instid1(VALU_DEP_4)
	v_ashrrev_i32_e32 v11, 31, v10
	v_add_nc_u32_e32 v4, s8, v10
	v_add_co_u32 v6, vcc_lo, v26, v8
	v_add_co_ci_u32_e32 v7, vcc_lo, v27, v9, vcc_lo
	v_lshlrev_b64 v[8:9], 4, v[10:11]
	s_delay_alu instid0(VALU_DEP_4)
	v_add_nc_u32_e32 v10, s8, v4
	s_clause 0x1
	global_load_b128 v[68:71], v[0:1], off
	global_load_b128 v[64:67], v[6:7], off
	v_add_co_u32 v0, vcc_lo, v26, v2
	v_add_co_ci_u32_e32 v1, vcc_lo, v27, v3, vcc_lo
	v_ashrrev_i32_e32 v11, 31, v10
	v_add_co_u32 v6, vcc_lo, v26, v8
	v_add_co_ci_u32_e32 v7, vcc_lo, v27, v9, vcc_lo
	s_delay_alu instid0(VALU_DEP_3)
	v_lshlrev_b64 v[8:9], 4, v[10:11]
	global_load_b128 v[11:14], v[0:1], off
	v_ashrrev_i32_e32 v5, 31, v4
	global_load_b128 v[235:238], v[6:7], off
	scratch_store_b32 off, v27, off offset:80 ; 4-byte Folded Spill
	v_lshlrev_b64 v[2:3], 4, v[4:5]
	v_add_nc_u32_e32 v4, s8, v10
	s_delay_alu instid0(VALU_DEP_1) | instskip(SKIP_1) | instid1(VALU_DEP_4)
	v_ashrrev_i32_e32 v5, 31, v4
	v_add_nc_u32_e32 v10, s8, v4
	v_add_co_u32 v0, vcc_lo, v26, v2
	v_add_co_ci_u32_e32 v1, vcc_lo, v27, v3, vcc_lo
	s_delay_alu instid0(VALU_DEP_4) | instskip(NEXT) | instid1(VALU_DEP_4)
	v_lshlrev_b64 v[2:3], 4, v[4:5]
	v_add_nc_u32_e32 v4, s8, v10
	v_add_co_u32 v6, vcc_lo, v26, v8
	v_add_co_ci_u32_e32 v7, vcc_lo, v27, v9, vcc_lo
	s_delay_alu instid0(VALU_DEP_3)
	v_ashrrev_i32_e32 v5, 31, v4
	v_add_co_u32 v2, vcc_lo, v26, v2
	v_add_co_ci_u32_e32 v3, vcc_lo, v27, v3, vcc_lo
	s_waitcnt vmcnt(1)
	scratch_store_b128 off, v[11:14], off   ; 16-byte Folded Spill
	v_ashrrev_i32_e32 v11, 31, v10
	scratch_store_b32 off, v26, off offset:84 ; 4-byte Folded Spill
	v_lshlrev_b64 v[8:9], 4, v[10:11]
	v_add_nc_u32_e32 v10, s8, v4
	v_lshlrev_b64 v[4:5], 4, v[4:5]
	s_delay_alu instid0(VALU_DEP_2) | instskip(SKIP_3) | instid1(VALU_DEP_4)
	v_add_nc_u32_e32 v12, s8, v10
	v_ashrrev_i32_e32 v11, 31, v10
	v_add_co_u32 v8, vcc_lo, v26, v8
	v_add_co_ci_u32_e32 v9, vcc_lo, v27, v9, vcc_lo
	v_add_nc_u32_e32 v14, s8, v12
	v_ashrrev_i32_e32 v13, 31, v12
	v_lshlrev_b64 v[10:11], 4, v[10:11]
	v_add_co_u32 v4, vcc_lo, v26, v4
	s_delay_alu instid0(VALU_DEP_4) | instskip(SKIP_3) | instid1(VALU_DEP_4)
	v_add_nc_u32_e32 v16, s8, v14
	v_ashrrev_i32_e32 v15, 31, v14
	v_lshlrev_b64 v[12:13], 4, v[12:13]
	v_add_co_ci_u32_e32 v5, vcc_lo, v27, v5, vcc_lo
	v_add_nc_u32_e32 v18, s8, v16
	v_ashrrev_i32_e32 v17, 31, v16
	v_add_co_u32 v10, vcc_lo, v26, v10
	v_lshlrev_b64 v[14:15], 4, v[14:15]
	s_delay_alu instid0(VALU_DEP_4) | instskip(SKIP_3) | instid1(VALU_DEP_4)
	v_add_nc_u32_e32 v20, s8, v18
	v_ashrrev_i32_e32 v19, 31, v18
	v_add_co_ci_u32_e32 v11, vcc_lo, v27, v11, vcc_lo
	v_add_co_u32 v12, vcc_lo, v26, v12
	v_add_nc_u32_e32 v22, s8, v20
	v_lshlrev_b64 v[16:17], 4, v[16:17]
	v_ashrrev_i32_e32 v21, 31, v20
	v_add_co_ci_u32_e32 v13, vcc_lo, v27, v13, vcc_lo
	v_add_co_u32 v14, vcc_lo, v26, v14
	v_lshlrev_b64 v[18:19], 4, v[18:19]
	v_add_nc_u32_e32 v24, s8, v22
	v_add_co_ci_u32_e32 v15, vcc_lo, v27, v15, vcc_lo
	v_add_co_u32 v16, vcc_lo, v26, v16
	v_lshlrev_b64 v[20:21], 4, v[20:21]
	v_ashrrev_i32_e32 v23, 31, v22
	v_add_co_ci_u32_e32 v17, vcc_lo, v27, v17, vcc_lo
	v_add_co_u32 v109, vcc_lo, v26, v18
	v_ashrrev_i32_e32 v25, 31, v24
	v_add_co_ci_u32_e32 v110, vcc_lo, v27, v19, vcc_lo
	v_lshlrev_b64 v[18:19], 4, v[22:23]
	v_add_co_u32 v116, vcc_lo, v26, v20
	v_add_co_ci_u32_e32 v117, vcc_lo, v27, v21, vcc_lo
	v_lshlrev_b64 v[20:21], 4, v[24:25]
	s_delay_alu instid0(VALU_DEP_4) | instskip(SKIP_1) | instid1(VALU_DEP_3)
	v_add_co_u32 v122, vcc_lo, v26, v18
	v_add_co_ci_u32_e32 v123, vcc_lo, v27, v19, vcc_lo
	v_add_co_u32 v124, vcc_lo, v26, v20
	s_delay_alu instid0(VALU_DEP_4)
	v_add_co_ci_u32_e32 v125, vcc_lo, v27, v21, vcc_lo
	s_clause 0xc
	global_load_b128 v[239:242], v[0:1], off
	global_load_b128 v[48:51], v[6:7], off
	;; [unrolled: 1-line block ×13, first 2 shown]
	scratch_store_b128 off, v[42:45], off offset:56 ; 16-byte Folded Spill
	ds_store_2addr_b64 v40, v[42:43], v[44:45] offset1:1
	s_waitcnt vmcnt(0) lgkmcnt(0)
	s_waitcnt_vscnt null, 0x0
	s_barrier
	buffer_gl0_inv
	ds_load_2addr_b64 v[108:111], v118 offset1:1
	v_mov_b32_e32 v116, 0
	s_cbranch_scc1 .LBB52_6
; %bb.4:
	v_add3_u32 v117, v120, 0, 16
	v_mov_b32_e32 v116, 0
	s_mov_b32 s6, 1
	s_set_inst_prefetch_distance 0x1
	.p2align	6
.LBB52_5:                               ; =>This Inner Loop Header: Depth=1
	ds_load_2addr_b64 v[124:127], v117 offset1:1
	s_waitcnt lgkmcnt(1)
	v_cmp_gt_f64_e32 vcc_lo, 0, v[108:109]
	v_xor_b32_e32 v40, 0x80000000, v109
	v_cmp_gt_f64_e64 s2, 0, v[110:111]
	v_xor_b32_e32 v41, 0x80000000, v111
	v_add_nc_u32_e32 v117, 16, v117
	s_waitcnt lgkmcnt(0)
	v_cmp_gt_f64_e64 s3, 0, v[124:125]
	v_mov_b32_e32 v132, v124
	v_dual_mov_b32 v134, v126 :: v_dual_cndmask_b32 v129, v109, v40
	v_xor_b32_e32 v40, 0x80000000, v125
	v_cndmask_b32_e64 v131, v111, v41, s2
	v_xor_b32_e32 v41, 0x80000000, v127
	v_cndmask_b32_e32 v128, v108, v108, vcc_lo
	v_cndmask_b32_e64 v130, v110, v110, s2
	s_delay_alu instid0(VALU_DEP_1) | instskip(SKIP_2) | instid1(VALU_DEP_1)
	v_add_f64 v[128:129], v[128:129], v[130:131]
	v_cndmask_b32_e64 v133, v125, v40, s3
	v_cmp_gt_f64_e64 s3, 0, v[126:127]
	v_cndmask_b32_e64 v135, v127, v41, s3
	s_delay_alu instid0(VALU_DEP_1) | instskip(NEXT) | instid1(VALU_DEP_1)
	v_add_f64 v[132:133], v[132:133], v[134:135]
	v_cmp_lt_f64_e32 vcc_lo, v[128:129], v[132:133]
	v_cndmask_b32_e32 v111, v111, v127, vcc_lo
	v_dual_cndmask_b32 v109, v109, v125 :: v_dual_cndmask_b32 v108, v108, v124
	v_cndmask_b32_e32 v110, v110, v126, vcc_lo
	v_cndmask_b32_e64 v116, v116, s6, vcc_lo
	s_add_i32 s6, s6, 1
	s_delay_alu instid0(SALU_CYCLE_1)
	s_cmp_eq_u32 s5, s6
	s_cbranch_scc0 .LBB52_5
.LBB52_6:
	s_set_inst_prefetch_distance 0x2
	s_waitcnt lgkmcnt(0)
	v_cmp_neq_f64_e32 vcc_lo, 0, v[108:109]
	v_cmp_neq_f64_e64 s2, 0, v[110:111]
	v_mov_b32_e32 v123, 1
	v_mov_b32_e32 v125, 1
	s_delay_alu instid0(VALU_DEP_3) | instskip(NEXT) | instid1(SALU_CYCLE_1)
	s_or_b32 s2, vcc_lo, s2
	s_and_saveexec_b32 s3, s2
	s_cbranch_execz .LBB52_12
; %bb.7:
	v_cmp_gt_f64_e32 vcc_lo, 0, v[108:109]
	v_cmp_gt_f64_e64 s2, 0, v[110:111]
	v_xor_b32_e32 v40, 0x80000000, v109
	v_xor_b32_e32 v41, 0x80000000, v111
                                        ; implicit-def: $sgpr6
                                        ; implicit-def: $sgpr7
	s_delay_alu instid0(VALU_DEP_2) | instskip(NEXT) | instid1(VALU_DEP_2)
	v_cndmask_b32_e32 v125, v109, v40, vcc_lo
	v_cndmask_b32_e64 v127, v111, v41, s2
	v_cndmask_b32_e32 v124, v108, v108, vcc_lo
	v_cndmask_b32_e64 v126, v110, v110, s2
	s_mov_b32 s2, exec_lo
	s_delay_alu instid0(VALU_DEP_1)
	v_cmpx_ngt_f64_e32 v[124:125], v[126:127]
	s_xor_b32 s2, exec_lo, s2
	s_cbranch_execz .LBB52_9
; %bb.8:
	v_div_scale_f64 v[124:125], null, v[110:111], v[110:111], v[108:109]
	v_div_scale_f64 v[130:131], vcc_lo, v[108:109], v[110:111], v[108:109]
	s_mov_b32 s7, 2
	s_mov_b32 s6, 0
	s_delay_alu instid0(VALU_DEP_2) | instskip(SKIP_2) | instid1(VALU_DEP_1)
	v_rcp_f64_e32 v[126:127], v[124:125]
	s_waitcnt_depctr 0xfff
	v_fma_f64 v[128:129], -v[124:125], v[126:127], 1.0
	v_fma_f64 v[126:127], v[126:127], v[128:129], v[126:127]
	s_delay_alu instid0(VALU_DEP_1) | instskip(NEXT) | instid1(VALU_DEP_1)
	v_fma_f64 v[128:129], -v[124:125], v[126:127], 1.0
	v_fma_f64 v[126:127], v[126:127], v[128:129], v[126:127]
	s_delay_alu instid0(VALU_DEP_1) | instskip(NEXT) | instid1(VALU_DEP_1)
	v_mul_f64 v[128:129], v[130:131], v[126:127]
	v_fma_f64 v[124:125], -v[124:125], v[128:129], v[130:131]
	s_delay_alu instid0(VALU_DEP_1) | instskip(NEXT) | instid1(VALU_DEP_1)
	v_div_fmas_f64 v[124:125], v[124:125], v[126:127], v[128:129]
	v_div_fixup_f64 v[124:125], v[124:125], v[110:111], v[108:109]
	s_delay_alu instid0(VALU_DEP_1) | instskip(NEXT) | instid1(VALU_DEP_1)
	v_fma_f64 v[108:109], v[108:109], v[124:125], v[110:111]
	v_div_scale_f64 v[110:111], null, v[108:109], v[108:109], 1.0
	s_delay_alu instid0(VALU_DEP_1) | instskip(SKIP_2) | instid1(VALU_DEP_1)
	v_rcp_f64_e32 v[126:127], v[110:111]
	s_waitcnt_depctr 0xfff
	v_fma_f64 v[128:129], -v[110:111], v[126:127], 1.0
	v_fma_f64 v[126:127], v[126:127], v[128:129], v[126:127]
	s_delay_alu instid0(VALU_DEP_1) | instskip(NEXT) | instid1(VALU_DEP_1)
	v_fma_f64 v[128:129], -v[110:111], v[126:127], 1.0
	v_fma_f64 v[126:127], v[126:127], v[128:129], v[126:127]
	v_div_scale_f64 v[128:129], vcc_lo, 1.0, v[108:109], 1.0
	s_delay_alu instid0(VALU_DEP_1) | instskip(NEXT) | instid1(VALU_DEP_1)
	v_mul_f64 v[130:131], v[128:129], v[126:127]
	v_fma_f64 v[110:111], -v[110:111], v[130:131], v[128:129]
	s_delay_alu instid0(VALU_DEP_1) | instskip(NEXT) | instid1(VALU_DEP_1)
	v_div_fmas_f64 v[110:111], v[110:111], v[126:127], v[130:131]
	v_div_fixup_f64 v[110:111], v[110:111], v[108:109], 1.0
	s_delay_alu instid0(VALU_DEP_1)
	v_mul_f64 v[108:109], v[124:125], v[110:111]
	v_xor_b32_e32 v111, 0x80000000, v111
.LBB52_9:
	s_or_saveexec_b32 s2, s2
	v_mov_b32_e32 v125, s6
	v_mov_b32_e32 v123, s7
	s_xor_b32 exec_lo, exec_lo, s2
	s_cbranch_execz .LBB52_11
; %bb.10:
	s_delay_alu instid0(VALU_DEP_4) | instskip(SKIP_2) | instid1(VALU_DEP_3)
	v_div_scale_f64 v[124:125], null, v[108:109], v[108:109], v[110:111]
	v_div_scale_f64 v[130:131], vcc_lo, v[110:111], v[108:109], v[110:111]
	v_mov_b32_e32 v123, 2
	v_rcp_f64_e32 v[126:127], v[124:125]
	s_waitcnt_depctr 0xfff
	v_fma_f64 v[128:129], -v[124:125], v[126:127], 1.0
	s_delay_alu instid0(VALU_DEP_1) | instskip(NEXT) | instid1(VALU_DEP_1)
	v_fma_f64 v[126:127], v[126:127], v[128:129], v[126:127]
	v_fma_f64 v[128:129], -v[124:125], v[126:127], 1.0
	s_delay_alu instid0(VALU_DEP_1) | instskip(NEXT) | instid1(VALU_DEP_1)
	v_fma_f64 v[126:127], v[126:127], v[128:129], v[126:127]
	v_mul_f64 v[128:129], v[130:131], v[126:127]
	s_delay_alu instid0(VALU_DEP_1) | instskip(NEXT) | instid1(VALU_DEP_1)
	v_fma_f64 v[124:125], -v[124:125], v[128:129], v[130:131]
	v_div_fmas_f64 v[124:125], v[124:125], v[126:127], v[128:129]
	s_delay_alu instid0(VALU_DEP_1) | instskip(NEXT) | instid1(VALU_DEP_1)
	v_div_fixup_f64 v[124:125], v[124:125], v[108:109], v[110:111]
	v_fma_f64 v[108:109], v[110:111], v[124:125], v[108:109]
	s_delay_alu instid0(VALU_DEP_1) | instskip(NEXT) | instid1(VALU_DEP_1)
	v_div_scale_f64 v[110:111], null, v[108:109], v[108:109], 1.0
	v_rcp_f64_e32 v[126:127], v[110:111]
	s_waitcnt_depctr 0xfff
	v_fma_f64 v[128:129], -v[110:111], v[126:127], 1.0
	s_delay_alu instid0(VALU_DEP_1) | instskip(NEXT) | instid1(VALU_DEP_1)
	v_fma_f64 v[126:127], v[126:127], v[128:129], v[126:127]
	v_fma_f64 v[128:129], -v[110:111], v[126:127], 1.0
	s_delay_alu instid0(VALU_DEP_1) | instskip(SKIP_1) | instid1(VALU_DEP_1)
	v_fma_f64 v[126:127], v[126:127], v[128:129], v[126:127]
	v_div_scale_f64 v[128:129], vcc_lo, 1.0, v[108:109], 1.0
	v_mul_f64 v[130:131], v[128:129], v[126:127]
	s_delay_alu instid0(VALU_DEP_1) | instskip(NEXT) | instid1(VALU_DEP_1)
	v_fma_f64 v[110:111], -v[110:111], v[130:131], v[128:129]
	v_div_fmas_f64 v[110:111], v[110:111], v[126:127], v[130:131]
	s_delay_alu instid0(VALU_DEP_1) | instskip(NEXT) | instid1(VALU_DEP_1)
	v_div_fixup_f64 v[108:109], v[110:111], v[108:109], 1.0
	v_mul_f64 v[110:111], v[124:125], -v[108:109]
	v_mov_b32_e32 v125, 0
.LBB52_11:
	s_or_b32 exec_lo, exec_lo, s2
.LBB52_12:
	s_delay_alu instid0(SALU_CYCLE_1) | instskip(NEXT) | instid1(SALU_CYCLE_1)
	s_or_b32 exec_lo, exec_lo, s3
	s_mov_b32 s2, exec_lo
	v_cmpx_ne_u32_e64 v119, v116
	s_xor_b32 s2, exec_lo, s2
	s_cbranch_execz .LBB52_18
; %bb.13:
	s_mov_b32 s3, exec_lo
	v_cmpx_eq_u32_e32 0, v119
	s_cbranch_execz .LBB52_17
; %bb.14:
	v_cmp_ne_u32_e32 vcc_lo, 0, v116
	s_xor_b32 s6, s4, -1
	s_delay_alu instid0(SALU_CYCLE_1) | instskip(NEXT) | instid1(SALU_CYCLE_1)
	s_and_b32 s7, s6, vcc_lo
	s_and_saveexec_b32 s6, s7
	s_cbranch_execz .LBB52_16
; %bb.15:
	scratch_load_b64 v[42:43], off, off offset:48 ; 8-byte Folded Reload
	v_ashrrev_i32_e32 v117, 31, v116
	s_delay_alu instid0(VALU_DEP_1) | instskip(SKIP_1) | instid1(VALU_DEP_1)
	v_lshlrev_b64 v[126:127], 2, v[116:117]
	s_waitcnt vmcnt(0)
	v_add_co_u32 v126, vcc_lo, v42, v126
	s_delay_alu instid0(VALU_DEP_2)
	v_add_co_ci_u32_e32 v127, vcc_lo, v43, v127, vcc_lo
	s_clause 0x1
	flat_load_b32 v40, v[126:127]
	flat_load_b32 v41, v[42:43]
	s_waitcnt vmcnt(1) lgkmcnt(1)
	flat_store_b32 v[42:43], v40
	s_waitcnt vmcnt(0) lgkmcnt(1)
	flat_store_b32 v[126:127], v41
.LBB52_16:
	s_or_b32 exec_lo, exec_lo, s6
	v_mov_b32_e32 v119, v116
.LBB52_17:
	s_or_b32 exec_lo, exec_lo, s3
.LBB52_18:
	s_or_saveexec_b32 s2, s2
	s_delay_alu instid0(VALU_DEP_1)
	v_mov_b32_e32 v124, v119
	s_xor_b32 exec_lo, exec_lo, s2
	s_cbranch_execz .LBB52_20
; %bb.19:
	ds_store_2addr_b64 v118, v[96:97], v[98:99] offset0:2 offset1:3
	ds_store_2addr_b64 v118, v[56:57], v[58:59] offset0:4 offset1:5
	ds_store_2addr_b64 v118, v[231:232], v[233:234] offset0:6 offset1:7
	ds_store_2addr_b64 v118, v[60:61], v[62:63] offset0:8 offset1:9
	ds_store_2addr_b64 v118, v[88:89], v[90:91] offset0:10 offset1:11
	s_clause 0x1
	scratch_load_b128 v[40:43], off, off offset:32
	scratch_load_b128 v[0:3], off, off offset:16
	v_mov_b32_e32 v124, 0
	s_waitcnt vmcnt(1)
	ds_store_2addr_b64 v118, v[40:41], v[42:43] offset0:12 offset1:13
	s_waitcnt vmcnt(0)
	ds_store_2addr_b64 v118, v[0:1], v[2:3] offset0:14 offset1:15
	ds_store_2addr_b64 v118, v[84:85], v[86:87] offset0:16 offset1:17
	;; [unrolled: 1-line block ×5, first 2 shown]
	scratch_load_b128 v[0:3], off, off      ; 16-byte Folded Reload
	s_waitcnt vmcnt(0)
	ds_store_2addr_b64 v118, v[0:1], v[2:3] offset0:24 offset1:25
	ds_store_2addr_b64 v118, v[235:236], v[237:238] offset0:26 offset1:27
	;; [unrolled: 1-line block ×15, first 2 shown]
.LBB52_20:
	s_or_b32 exec_lo, exec_lo, s2
	s_delay_alu instid0(SALU_CYCLE_1)
	s_mov_b32 s2, exec_lo
	s_waitcnt lgkmcnt(0)
	s_waitcnt_vscnt null, 0x0
	s_barrier
	buffer_gl0_inv
	v_cmpx_lt_i32_e32 0, v124
	s_cbranch_execz .LBB52_22
; %bb.21:
	scratch_load_b128 v[40:43], off, off offset:56 ; 16-byte Folded Reload
	ds_load_2addr_b64 v[126:129], v118 offset0:2 offset1:3
	ds_load_2addr_b64 v[130:133], v118 offset0:4 offset1:5
	;; [unrolled: 1-line block ×8, first 2 shown]
	v_dual_mov_b32 v218, v235 :: v_dual_mov_b32 v219, v236
	v_dual_mov_b32 v220, v237 :: v_dual_mov_b32 v221, v238
	v_mov_b32_e32 v93, v91
	v_dual_mov_b32 v107, v99 :: v_dual_mov_b32 v104, v96
	v_mov_b32_e32 v106, v98
	v_dual_mov_b32 v92, v90 :: v_dual_mov_b32 v91, v89
	v_dual_mov_b32 v90, v88 :: v_dual_mov_b32 v105, v97
	;; [unrolled: 1-line block ×41, first 2 shown]
	s_waitcnt vmcnt(0)
	v_mul_f64 v[116:117], v[108:109], v[42:43]
	v_mul_f64 v[158:159], v[110:111], v[42:43]
	s_delay_alu instid0(VALU_DEP_2) | instskip(NEXT) | instid1(VALU_DEP_2)
	v_fma_f64 v[42:43], v[110:111], v[40:41], v[116:117]
	v_fma_f64 v[40:41], v[108:109], v[40:41], -v[158:159]
	ds_load_2addr_b64 v[108:111], v118 offset0:18 offset1:19
	ds_load_2addr_b64 v[158:161], v118 offset0:20 offset1:21
	;; [unrolled: 1-line block ×6, first 2 shown]
	scratch_store_b128 off, v[231:234], off offset:56 ; 16-byte Folded Spill
	ds_load_2addr_b64 v[178:181], v118 offset0:30 offset1:31
	ds_load_2addr_b64 v[182:185], v118 offset0:32 offset1:33
	;; [unrolled: 1-line block ×10, first 2 shown]
	s_waitcnt lgkmcnt(20)
	v_mul_f64 v[230:231], v[138:139], v[42:43]
	s_waitcnt lgkmcnt(19)
	v_mul_f64 v[232:233], v[144:145], v[42:43]
	v_mul_f64 v[234:235], v[142:143], v[42:43]
	;; [unrolled: 1-line block ×6, first 2 shown]
	s_waitcnt lgkmcnt(16)
	v_mul_f64 v[246:247], v[154:155], v[42:43]
	v_dual_mov_b32 v99, v43 :: v_dual_mov_b32 v98, v42
	v_mul_f64 v[228:229], v[140:141], v[42:43]
	v_mul_f64 v[236:237], v[148:149], v[42:43]
	s_waitcnt lgkmcnt(15)
	v_mul_f64 v[248:249], v[110:111], v[42:43]
	v_mul_f64 v[244:245], v[156:157], v[42:43]
	;; [unrolled: 1-line block ×8, first 2 shown]
	s_waitcnt lgkmcnt(13)
	v_mul_f64 v[112:113], v[164:165], v[98:99]
	v_mul_f64 v[114:115], v[162:163], v[98:99]
	s_waitcnt lgkmcnt(12)
	v_mul_f64 v[42:43], v[168:169], v[98:99]
	s_waitcnt lgkmcnt(11)
	v_mul_f64 v[100:101], v[170:171], v[98:99]
	v_mul_f64 v[254:255], v[158:159], v[98:99]
	;; [unrolled: 1-line block ×3, first 2 shown]
	v_fma_f64 v[140:141], v[140:141], v[40:41], v[230:231]
	v_fma_f64 v[142:143], v[142:143], v[40:41], -v[232:233]
	v_fma_f64 v[144:145], v[144:145], v[40:41], v[234:235]
	s_waitcnt lgkmcnt(8)
	v_mul_f64 v[230:231], v[184:185], v[98:99]
	v_mul_f64 v[232:233], v[182:183], v[98:99]
	s_waitcnt lgkmcnt(7)
	v_mul_f64 v[234:235], v[188:189], v[98:99]
	v_fma_f64 v[116:117], v[126:127], v[40:41], -v[116:117]
	v_fma_f64 v[96:97], v[128:129], v[40:41], v[44:45]
	v_fma_f64 v[46:47], v[130:131], v[40:41], -v[46:47]
	v_fma_f64 v[88:89], v[132:133], v[40:41], v[222:223]
	ds_load_2addr_b64 v[126:129], v118 offset0:50 offset1:51
	ds_load_2addr_b64 v[130:133], v118 offset0:52 offset1:53
	v_fma_f64 v[156:157], v[156:157], v[40:41], v[246:247]
	v_dual_mov_b32 v247, v99 :: v_dual_mov_b32 v246, v98
	v_fma_f64 v[146:147], v[146:147], v[40:41], -v[236:237]
	v_mul_f64 v[236:237], v[186:187], v[98:99]
	v_fma_f64 v[108:109], v[108:109], v[40:41], -v[248:249]
	v_fma_f64 v[110:111], v[110:111], v[40:41], v[250:251]
	s_clause 0x2
	scratch_load_b128 v[248:251], off, off offset:32
	scratch_load_b128 v[84:87], off, off offset:16
	scratch_load_b128 v[119:122], off, off
	v_mul_f64 v[44:45], v[166:167], v[98:99]
	v_mul_f64 v[222:223], v[172:173], v[98:99]
	v_fma_f64 v[102:103], v[134:135], v[40:41], -v[224:225]
	v_fma_f64 v[134:135], v[136:137], v[40:41], v[226:227]
	v_mul_f64 v[136:137], v[176:177], v[98:99]
	v_mul_f64 v[224:225], v[174:175], v[98:99]
	v_fma_f64 v[138:139], v[138:139], v[40:41], -v[228:229]
	v_mul_f64 v[226:227], v[180:181], v[98:99]
	v_mul_f64 v[228:229], v[178:179], v[98:99]
	v_fma_f64 v[148:149], v[148:149], v[40:41], v[238:239]
	v_fma_f64 v[150:151], v[150:151], v[40:41], -v[240:241]
	v_fma_f64 v[152:153], v[152:153], v[40:41], v[242:243]
	v_fma_f64 v[154:155], v[154:155], v[40:41], -v[244:245]
	s_waitcnt lgkmcnt(8)
	v_mul_f64 v[238:239], v[192:193], v[98:99]
	v_mul_f64 v[240:241], v[190:191], v[98:99]
	s_waitcnt lgkmcnt(7)
	v_mul_f64 v[242:243], v[196:197], v[246:247]
	v_mul_f64 v[244:245], v[194:195], v[246:247]
	v_fma_f64 v[112:113], v[162:163], v[40:41], -v[112:113]
	v_fma_f64 v[114:115], v[164:165], v[40:41], v[114:115]
	s_waitcnt lgkmcnt(6)
	v_mul_f64 v[162:163], v[200:201], v[246:247]
	v_mul_f64 v[164:165], v[198:199], v[246:247]
	v_fma_f64 v[182:183], v[182:183], v[40:41], -v[230:231]
	v_fma_f64 v[184:185], v[184:185], v[40:41], v[232:233]
	s_waitcnt lgkmcnt(1)
	v_mul_f64 v[230:231], v[128:129], v[246:247]
	v_mul_f64 v[232:233], v[126:127], v[246:247]
	v_fma_f64 v[186:187], v[186:187], v[40:41], -v[234:235]
	s_waitcnt lgkmcnt(0)
	v_mul_f64 v[234:235], v[132:133], v[246:247]
	v_fma_f64 v[42:43], v[166:167], v[40:41], -v[42:43]
	v_mul_f64 v[166:167], v[204:205], v[246:247]
	v_fma_f64 v[100:101], v[172:173], v[40:41], v[100:101]
	v_mul_f64 v[172:173], v[208:209], v[246:247]
	v_fma_f64 v[160:161], v[160:161], v[40:41], v[254:255]
	v_fma_f64 v[158:159], v[158:159], v[40:41], -v[252:253]
	v_fma_f64 v[188:189], v[188:189], v[40:41], v[236:237]
	v_mul_f64 v[236:237], v[130:131], v[246:247]
	v_add_f64 v[90:91], v[90:91], -v[142:143]
	v_add_f64 v[82:83], v[82:83], -v[156:157]
	;; [unrolled: 1-line block ×3, first 2 shown]
	v_fma_f64 v[44:45], v[168:169], v[40:41], v[44:45]
	v_mul_f64 v[168:169], v[202:203], v[246:247]
	v_fma_f64 v[170:171], v[170:171], v[40:41], -v[222:223]
	v_mul_f64 v[222:223], v[206:207], v[246:247]
	v_fma_f64 v[136:137], v[174:175], v[40:41], -v[136:137]
	v_fma_f64 v[174:175], v[176:177], v[40:41], v[224:225]
	v_mul_f64 v[176:177], v[212:213], v[246:247]
	v_mul_f64 v[224:225], v[210:211], v[246:247]
	v_fma_f64 v[178:179], v[178:179], v[40:41], -v[226:227]
	v_fma_f64 v[180:181], v[180:181], v[40:41], v[228:229]
	v_mul_f64 v[226:227], v[216:217], v[246:247]
	v_mul_f64 v[228:229], v[214:215], v[246:247]
	v_add_f64 v[80:81], v[80:81], -v[154:155]
	v_fma_f64 v[190:191], v[190:191], v[40:41], -v[238:239]
	v_fma_f64 v[192:193], v[192:193], v[40:41], v[240:241]
	v_fma_f64 v[194:195], v[194:195], v[40:41], -v[242:243]
	v_fma_f64 v[196:197], v[196:197], v[40:41], v[244:245]
	v_dual_mov_b32 v242, v51 :: v_dual_mov_b32 v241, v50
	v_fma_f64 v[162:163], v[198:199], v[40:41], -v[162:163]
	v_fma_f64 v[164:165], v[200:201], v[40:41], v[164:165]
	v_dual_mov_b32 v240, v49 :: v_dual_mov_b32 v239, v48
	;; [unrolled: 3-line block ×3, first 2 shown]
	v_fma_f64 v[130:131], v[130:131], v[40:41], -v[234:235]
	scratch_load_b128 v[231:234], off, off offset:56 ; 16-byte Folded Reload
	v_fma_f64 v[166:167], v[202:203], v[40:41], -v[166:167]
	v_fma_f64 v[172:173], v[206:207], v[40:41], -v[172:173]
	v_dual_mov_b32 v50, v54 :: v_dual_mov_b32 v51, v55
	v_dual_mov_b32 v55, v39 :: v_dual_mov_b32 v54, v38
	v_fma_f64 v[132:133], v[132:133], v[40:41], v[236:237]
	v_dual_mov_b32 v53, v37 :: v_dual_mov_b32 v52, v36
	v_dual_mov_b32 v39, v35 :: v_dual_mov_b32 v38, v34
	v_fma_f64 v[168:169], v[204:205], v[40:41], v[168:169]
	v_fma_f64 v[198:199], v[208:209], v[40:41], v[222:223]
	v_dual_mov_b32 v37, v33 :: v_dual_mov_b32 v36, v32
	v_fma_f64 v[176:177], v[210:211], v[40:41], -v[176:177]
	v_fma_f64 v[200:201], v[212:213], v[40:41], v[224:225]
	v_dual_mov_b32 v35, v31 :: v_dual_mov_b32 v34, v30
	v_fma_f64 v[202:203], v[214:215], v[40:41], -v[226:227]
	v_fma_f64 v[204:205], v[216:217], v[40:41], v[228:229]
	v_dual_mov_b32 v33, v29 :: v_dual_mov_b32 v32, v28
	v_dual_mov_b32 v31, v27 :: v_dual_mov_b32 v30, v26
	;; [unrolled: 1-line block ×10, first 2 shown]
	v_add_f64 v[70:71], v[70:71], -v[110:111]
	v_dual_mov_b32 v13, v9 :: v_dual_mov_b32 v12, v8
	v_dual_mov_b32 v11, v7 :: v_dual_mov_b32 v10, v6
	v_add_f64 v[68:69], v[68:69], -v[108:109]
	v_add_f64 v[66:67], v[66:67], -v[160:161]
	v_dual_mov_b32 v9, v5 :: v_dual_mov_b32 v8, v4
	v_dual_mov_b32 v4, v56 :: v_dual_mov_b32 v5, v57
	v_add_f64 v[64:65], v[64:65], -v[158:159]
	v_add_f64 v[62:63], v[62:63], -v[114:115]
	v_dual_mov_b32 v6, v58 :: v_dual_mov_b32 v7, v59
	v_dual_mov_b32 v255, v75 :: v_dual_mov_b32 v254, v74
	;; [unrolled: 1-line block ×4, first 2 shown]
	v_add_f64 v[104:105], v[104:105], -v[116:117]
	v_add_f64 v[2:3], v[2:3], -v[140:141]
	;; [unrolled: 1-line block ×3, first 2 shown]
	v_dual_mov_b32 v253, v73 :: v_dual_mov_b32 v252, v72
	v_dual_mov_b32 v58, v78 :: v_dual_mov_b32 v59, v79
	;; [unrolled: 1-line block ×3, first 2 shown]
	v_add_f64 v[106:107], v[106:107], -v[96:97]
	v_add_f64 v[0:1], v[0:1], -v[138:139]
	;; [unrolled: 1-line block ×32, first 2 shown]
	v_mov_b32_e32 v88, v90
	v_dual_mov_b32 v96, v104 :: v_dual_mov_b32 v97, v105
	v_dual_mov_b32 v245, v41 :: v_dual_mov_b32 v244, v40
	v_dual_mov_b32 v98, v106 :: v_dual_mov_b32 v99, v107
	scratch_store_b128 off, v[244:247], off offset:56 ; 16-byte Folded Spill
	s_waitcnt vmcnt(3)
	v_add_f64 v[248:249], v[248:249], -v[146:147]
	s_waitcnt vmcnt(2)
	v_add_f64 v[84:85], v[84:85], -v[150:151]
	v_add_f64 v[86:87], v[86:87], -v[152:153]
	s_waitcnt vmcnt(1)
	v_add_f64 v[119:120], v[119:120], -v[42:43]
	v_add_f64 v[121:122], v[121:122], -v[44:45]
	;; [unrolled: 1-line block ×3, first 2 shown]
	scratch_store_b128 off, v[84:87], off offset:16 ; 16-byte Folded Spill
	v_mov_b32_e32 v87, v83
	scratch_store_b128 off, v[119:122], off ; 16-byte Folded Spill
	v_dual_mov_b32 v89, v91 :: v_dual_mov_b32 v90, v92
	v_dual_mov_b32 v91, v93 :: v_dual_mov_b32 v86, v82
	;; [unrolled: 1-line block ×12, first 2 shown]
	scratch_store_b128 off, v[248:251], off offset:32 ; 16-byte Folded Spill
	s_waitcnt vmcnt(0)
	v_add_f64 v[231:232], v[231:232], -v[102:103]
	v_add_f64 v[233:234], v[233:234], -v[134:135]
.LBB52_22:
	s_or_b32 exec_lo, exec_lo, s2
	v_lshl_add_u32 v40, v124, 4, v118
	s_waitcnt_vscnt null, 0x0
	s_barrier
	buffer_gl0_inv
	v_mov_b32_e32 v116, 1
	ds_store_2addr_b64 v40, v[96:97], v[98:99] offset1:1
	s_waitcnt lgkmcnt(0)
	s_barrier
	buffer_gl0_inv
	ds_load_2addr_b64 v[108:111], v118 offset0:2 offset1:3
	s_cmp_lt_i32 s5, 3
	s_cbranch_scc1 .LBB52_25
; %bb.23:
	v_add3_u32 v117, v120, 0, 32
	v_mov_b32_e32 v116, 1
	s_mov_b32 s6, 2
	s_set_inst_prefetch_distance 0x1
	.p2align	6
.LBB52_24:                              ; =>This Inner Loop Header: Depth=1
	ds_load_2addr_b64 v[126:129], v117 offset1:1
	s_waitcnt lgkmcnt(1)
	v_cmp_gt_f64_e32 vcc_lo, 0, v[108:109]
	v_xor_b32_e32 v40, 0x80000000, v109
	v_cmp_gt_f64_e64 s2, 0, v[110:111]
	v_xor_b32_e32 v42, 0x80000000, v111
	v_add_nc_u32_e32 v117, 16, v117
	s_waitcnt lgkmcnt(0)
	v_cmp_gt_f64_e64 s3, 0, v[126:127]
	v_mov_b32_e32 v44, v126
	v_dual_mov_b32 v46, v128 :: v_dual_cndmask_b32 v41, v109, v40
	v_xor_b32_e32 v40, 0x80000000, v127
	v_cndmask_b32_e64 v43, v111, v42, s2
	v_xor_b32_e32 v42, 0x80000000, v129
	s_delay_alu instid0(VALU_DEP_3) | instskip(SKIP_2) | instid1(VALU_DEP_2)
	v_cndmask_b32_e64 v45, v127, v40, s3
	v_cmp_gt_f64_e64 s3, 0, v[128:129]
	v_cndmask_b32_e32 v40, v108, v108, vcc_lo
	v_cndmask_b32_e64 v47, v129, v42, s3
	v_cndmask_b32_e64 v42, v110, v110, s2
	s_delay_alu instid0(VALU_DEP_2) | instskip(NEXT) | instid1(VALU_DEP_2)
	v_add_f64 v[44:45], v[44:45], v[46:47]
	v_add_f64 v[40:41], v[40:41], v[42:43]
	s_delay_alu instid0(VALU_DEP_1)
	v_cmp_lt_f64_e32 vcc_lo, v[40:41], v[44:45]
	v_cndmask_b32_e32 v111, v111, v129, vcc_lo
	v_dual_cndmask_b32 v109, v109, v127 :: v_dual_cndmask_b32 v108, v108, v126
	v_cndmask_b32_e32 v110, v110, v128, vcc_lo
	v_cndmask_b32_e64 v116, v116, s6, vcc_lo
	s_add_i32 s6, s6, 1
	s_delay_alu instid0(SALU_CYCLE_1)
	s_cmp_lg_u32 s5, s6
	s_cbranch_scc1 .LBB52_24
.LBB52_25:
	s_set_inst_prefetch_distance 0x2
	s_waitcnt lgkmcnt(0)
	v_cmp_neq_f64_e32 vcc_lo, 0, v[108:109]
	v_cmp_neq_f64_e64 s2, 0, v[110:111]
	s_delay_alu instid0(VALU_DEP_1) | instskip(NEXT) | instid1(SALU_CYCLE_1)
	s_or_b32 s2, vcc_lo, s2
	s_and_saveexec_b32 s3, s2
	s_cbranch_execz .LBB52_31
; %bb.26:
	v_cmp_gt_f64_e32 vcc_lo, 0, v[108:109]
	v_cmp_gt_f64_e64 s2, 0, v[110:111]
	v_xor_b32_e32 v40, 0x80000000, v109
	v_xor_b32_e32 v42, 0x80000000, v111
	s_delay_alu instid0(VALU_DEP_2) | instskip(NEXT) | instid1(VALU_DEP_2)
	v_cndmask_b32_e32 v41, v109, v40, vcc_lo
	v_cndmask_b32_e64 v43, v111, v42, s2
	v_cndmask_b32_e32 v40, v108, v108, vcc_lo
	v_cndmask_b32_e64 v42, v110, v110, s2
	s_mov_b32 s2, exec_lo
	s_delay_alu instid0(VALU_DEP_1)
	v_cmpx_ngt_f64_e32 v[40:41], v[42:43]
	s_xor_b32 s2, exec_lo, s2
	s_cbranch_execz .LBB52_28
; %bb.27:
	v_div_scale_f64 v[40:41], null, v[110:111], v[110:111], v[108:109]
	v_div_scale_f64 v[46:47], vcc_lo, v[108:109], v[110:111], v[108:109]
	s_delay_alu instid0(VALU_DEP_2) | instskip(SKIP_2) | instid1(VALU_DEP_1)
	v_rcp_f64_e32 v[42:43], v[40:41]
	s_waitcnt_depctr 0xfff
	v_fma_f64 v[44:45], -v[40:41], v[42:43], 1.0
	v_fma_f64 v[42:43], v[42:43], v[44:45], v[42:43]
	s_delay_alu instid0(VALU_DEP_1) | instskip(NEXT) | instid1(VALU_DEP_1)
	v_fma_f64 v[44:45], -v[40:41], v[42:43], 1.0
	v_fma_f64 v[42:43], v[42:43], v[44:45], v[42:43]
	s_delay_alu instid0(VALU_DEP_1) | instskip(NEXT) | instid1(VALU_DEP_1)
	v_mul_f64 v[44:45], v[46:47], v[42:43]
	v_fma_f64 v[40:41], -v[40:41], v[44:45], v[46:47]
	s_delay_alu instid0(VALU_DEP_1) | instskip(NEXT) | instid1(VALU_DEP_1)
	v_div_fmas_f64 v[40:41], v[40:41], v[42:43], v[44:45]
	v_div_fixup_f64 v[40:41], v[40:41], v[110:111], v[108:109]
	s_delay_alu instid0(VALU_DEP_1) | instskip(NEXT) | instid1(VALU_DEP_1)
	v_fma_f64 v[42:43], v[108:109], v[40:41], v[110:111]
	v_div_scale_f64 v[44:45], null, v[42:43], v[42:43], 1.0
	s_delay_alu instid0(VALU_DEP_1) | instskip(SKIP_2) | instid1(VALU_DEP_1)
	v_rcp_f64_e32 v[46:47], v[44:45]
	s_waitcnt_depctr 0xfff
	v_fma_f64 v[100:101], -v[44:45], v[46:47], 1.0
	v_fma_f64 v[46:47], v[46:47], v[100:101], v[46:47]
	s_delay_alu instid0(VALU_DEP_1) | instskip(NEXT) | instid1(VALU_DEP_1)
	v_fma_f64 v[100:101], -v[44:45], v[46:47], 1.0
	v_fma_f64 v[46:47], v[46:47], v[100:101], v[46:47]
	v_div_scale_f64 v[100:101], vcc_lo, 1.0, v[42:43], 1.0
	s_delay_alu instid0(VALU_DEP_1) | instskip(NEXT) | instid1(VALU_DEP_1)
	v_mul_f64 v[102:103], v[100:101], v[46:47]
	v_fma_f64 v[44:45], -v[44:45], v[102:103], v[100:101]
	s_delay_alu instid0(VALU_DEP_1) | instskip(NEXT) | instid1(VALU_DEP_1)
	v_div_fmas_f64 v[44:45], v[44:45], v[46:47], v[102:103]
	v_div_fixup_f64 v[110:111], v[44:45], v[42:43], 1.0
	s_delay_alu instid0(VALU_DEP_1)
	v_mul_f64 v[108:109], v[40:41], v[110:111]
	v_xor_b32_e32 v111, 0x80000000, v111
.LBB52_28:
	s_and_not1_saveexec_b32 s2, s2
	s_cbranch_execz .LBB52_30
; %bb.29:
	s_delay_alu instid0(VALU_DEP_1) | instskip(SKIP_1) | instid1(VALU_DEP_2)
	v_div_scale_f64 v[40:41], null, v[108:109], v[108:109], v[110:111]
	v_div_scale_f64 v[46:47], vcc_lo, v[110:111], v[108:109], v[110:111]
	v_rcp_f64_e32 v[42:43], v[40:41]
	s_waitcnt_depctr 0xfff
	v_fma_f64 v[44:45], -v[40:41], v[42:43], 1.0
	s_delay_alu instid0(VALU_DEP_1) | instskip(NEXT) | instid1(VALU_DEP_1)
	v_fma_f64 v[42:43], v[42:43], v[44:45], v[42:43]
	v_fma_f64 v[44:45], -v[40:41], v[42:43], 1.0
	s_delay_alu instid0(VALU_DEP_1) | instskip(NEXT) | instid1(VALU_DEP_1)
	v_fma_f64 v[42:43], v[42:43], v[44:45], v[42:43]
	v_mul_f64 v[44:45], v[46:47], v[42:43]
	s_delay_alu instid0(VALU_DEP_1) | instskip(NEXT) | instid1(VALU_DEP_1)
	v_fma_f64 v[40:41], -v[40:41], v[44:45], v[46:47]
	v_div_fmas_f64 v[40:41], v[40:41], v[42:43], v[44:45]
	s_delay_alu instid0(VALU_DEP_1) | instskip(NEXT) | instid1(VALU_DEP_1)
	v_div_fixup_f64 v[40:41], v[40:41], v[108:109], v[110:111]
	v_fma_f64 v[42:43], v[110:111], v[40:41], v[108:109]
	s_delay_alu instid0(VALU_DEP_1) | instskip(NEXT) | instid1(VALU_DEP_1)
	v_div_scale_f64 v[44:45], null, v[42:43], v[42:43], 1.0
	v_rcp_f64_e32 v[46:47], v[44:45]
	s_waitcnt_depctr 0xfff
	v_fma_f64 v[100:101], -v[44:45], v[46:47], 1.0
	s_delay_alu instid0(VALU_DEP_1) | instskip(NEXT) | instid1(VALU_DEP_1)
	v_fma_f64 v[46:47], v[46:47], v[100:101], v[46:47]
	v_fma_f64 v[100:101], -v[44:45], v[46:47], 1.0
	s_delay_alu instid0(VALU_DEP_1) | instskip(SKIP_1) | instid1(VALU_DEP_1)
	v_fma_f64 v[46:47], v[46:47], v[100:101], v[46:47]
	v_div_scale_f64 v[100:101], vcc_lo, 1.0, v[42:43], 1.0
	v_mul_f64 v[102:103], v[100:101], v[46:47]
	s_delay_alu instid0(VALU_DEP_1) | instskip(NEXT) | instid1(VALU_DEP_1)
	v_fma_f64 v[44:45], -v[44:45], v[102:103], v[100:101]
	v_div_fmas_f64 v[44:45], v[44:45], v[46:47], v[102:103]
	s_delay_alu instid0(VALU_DEP_1) | instskip(NEXT) | instid1(VALU_DEP_1)
	v_div_fixup_f64 v[108:109], v[44:45], v[42:43], 1.0
	v_mul_f64 v[110:111], v[40:41], -v[108:109]
.LBB52_30:
	s_or_b32 exec_lo, exec_lo, s2
	v_mov_b32_e32 v123, v125
.LBB52_31:
	s_or_b32 exec_lo, exec_lo, s3
	s_delay_alu instid0(SALU_CYCLE_1)
	s_mov_b32 s2, exec_lo
	v_cmpx_ne_u32_e64 v124, v116
	s_xor_b32 s2, exec_lo, s2
	s_cbranch_execz .LBB52_37
; %bb.32:
	s_mov_b32 s3, exec_lo
	v_cmpx_eq_u32_e32 1, v124
	s_cbranch_execz .LBB52_36
; %bb.33:
	v_cmp_ne_u32_e32 vcc_lo, 1, v116
	s_xor_b32 s6, s4, -1
	s_delay_alu instid0(SALU_CYCLE_1) | instskip(NEXT) | instid1(SALU_CYCLE_1)
	s_and_b32 s7, s6, vcc_lo
	s_and_saveexec_b32 s6, s7
	s_cbranch_execz .LBB52_35
; %bb.34:
	scratch_load_b64 v[44:45], off, off offset:48 ; 8-byte Folded Reload
	v_ashrrev_i32_e32 v117, 31, v116
	s_delay_alu instid0(VALU_DEP_1) | instskip(SKIP_1) | instid1(VALU_DEP_1)
	v_lshlrev_b64 v[40:41], 2, v[116:117]
	s_waitcnt vmcnt(0)
	v_add_co_u32 v40, vcc_lo, v44, v40
	s_delay_alu instid0(VALU_DEP_2)
	v_add_co_ci_u32_e32 v41, vcc_lo, v45, v41, vcc_lo
	s_clause 0x1
	flat_load_b32 v42, v[40:41]
	flat_load_b32 v43, v[44:45] offset:4
	s_waitcnt vmcnt(1) lgkmcnt(1)
	flat_store_b32 v[44:45], v42 offset:4
	s_waitcnt vmcnt(0) lgkmcnt(1)
	flat_store_b32 v[40:41], v43
.LBB52_35:
	s_or_b32 exec_lo, exec_lo, s6
	v_mov_b32_e32 v124, v116
	v_mov_b32_e32 v119, v116
.LBB52_36:
	s_or_b32 exec_lo, exec_lo, s3
.LBB52_37:
	s_and_not1_saveexec_b32 s2, s2
	s_cbranch_execz .LBB52_39
; %bb.38:
	ds_store_2addr_b64 v118, v[56:57], v[58:59] offset0:4 offset1:5
	ds_store_2addr_b64 v118, v[231:232], v[233:234] offset0:6 offset1:7
	ds_store_2addr_b64 v118, v[60:61], v[62:63] offset0:8 offset1:9
	ds_store_2addr_b64 v118, v[88:89], v[90:91] offset0:10 offset1:11
	s_clause 0x1
	scratch_load_b128 v[40:43], off, off offset:32
	scratch_load_b128 v[0:3], off, off offset:16
	v_mov_b32_e32 v124, 1
	s_waitcnt vmcnt(1)
	ds_store_2addr_b64 v118, v[40:41], v[42:43] offset0:12 offset1:13
	s_waitcnt vmcnt(0)
	ds_store_2addr_b64 v118, v[0:1], v[2:3] offset0:14 offset1:15
	ds_store_2addr_b64 v118, v[84:85], v[86:87] offset0:16 offset1:17
	;; [unrolled: 1-line block ×5, first 2 shown]
	scratch_load_b128 v[0:3], off, off      ; 16-byte Folded Reload
	s_waitcnt vmcnt(0)
	ds_store_2addr_b64 v118, v[0:1], v[2:3] offset0:24 offset1:25
	ds_store_2addr_b64 v118, v[235:236], v[237:238] offset0:26 offset1:27
	;; [unrolled: 1-line block ×15, first 2 shown]
.LBB52_39:
	s_or_b32 exec_lo, exec_lo, s2
	s_delay_alu instid0(SALU_CYCLE_1)
	s_mov_b32 s2, exec_lo
	s_waitcnt lgkmcnt(0)
	s_waitcnt_vscnt null, 0x0
	s_barrier
	buffer_gl0_inv
	v_cmpx_lt_i32_e32 1, v124
	s_cbranch_execz .LBB52_41
; %bb.40:
	v_mul_f64 v[40:41], v[108:109], v[98:99]
	v_mul_f64 v[42:43], v[110:111], v[98:99]
	ds_load_2addr_b64 v[125:128], v118 offset0:4 offset1:5
	ds_load_2addr_b64 v[129:132], v118 offset0:6 offset1:7
	;; [unrolled: 1-line block ×8, first 2 shown]
	v_dual_mov_b32 v0, v4 :: v_dual_mov_b32 v1, v5
	v_dual_mov_b32 v2, v6 :: v_dual_mov_b32 v3, v7
	;; [unrolled: 1-line block ×18, first 2 shown]
	v_fma_f64 v[98:99], v[110:111], v[96:97], v[40:41]
	v_fma_f64 v[44:45], v[108:109], v[96:97], -v[42:43]
	ds_load_2addr_b64 v[108:111], v118 offset0:20 offset1:21
	ds_load_2addr_b64 v[157:160], v118 offset0:22 offset1:23
	v_dual_mov_b32 v36, v52 :: v_dual_mov_b32 v37, v53
	v_dual_mov_b32 v107, v59 :: v_dual_mov_b32 v106, v58
	v_dual_mov_b32 v38, v54 :: v_dual_mov_b32 v39, v55
	v_dual_mov_b32 v55, v51 :: v_dual_mov_b32 v54, v50
	v_dual_mov_b32 v105, v57 :: v_dual_mov_b32 v104, v56
	v_dual_mov_b32 v56, v231 :: v_dual_mov_b32 v57, v232
	v_dual_mov_b32 v72, v235 :: v_dual_mov_b32 v73, v236
	v_dual_mov_b32 v53, v49 :: v_dual_mov_b32 v52, v48
	v_dual_mov_b32 v48, v239 :: v_dual_mov_b32 v49, v240
	v_dual_mov_b32 v58, v233 :: v_dual_mov_b32 v59, v234
	v_dual_mov_b32 v74, v237 :: v_dual_mov_b32 v75, v238
	v_dual_mov_b32 v50, v241 :: v_dual_mov_b32 v51, v242
	ds_load_2addr_b64 v[161:164], v118 offset0:24 offset1:25
	ds_load_2addr_b64 v[165:168], v118 offset0:26 offset1:27
	;; [unrolled: 1-line block ×15, first 2 shown]
	s_waitcnt lgkmcnt(21)
	v_mul_f64 v[114:115], v[139:140], v[98:99]
	v_mul_f64 v[116:117], v[137:138], v[98:99]
	s_waitcnt lgkmcnt(20)
	v_mul_f64 v[221:222], v[143:144], v[98:99]
	v_mul_f64 v[223:224], v[141:142], v[98:99]
	;; [unrolled: 3-line block ×7, first 2 shown]
	v_mul_f64 v[40:41], v[127:128], v[98:99]
	v_mul_f64 v[42:43], v[125:126], v[98:99]
	;; [unrolled: 1-line block ×6, first 2 shown]
	s_waitcnt lgkmcnt(14)
	v_mul_f64 v[245:246], v[163:164], v[98:99]
	v_mul_f64 v[247:248], v[161:162], v[98:99]
	v_dual_mov_b32 v97, v45 :: v_dual_mov_b32 v96, v44
	v_fma_f64 v[114:115], v[137:138], v[44:45], -v[114:115]
	v_fma_f64 v[116:117], v[139:140], v[44:45], v[116:117]
	s_waitcnt lgkmcnt(10)
	v_mul_f64 v[137:138], v[179:180], v[98:99]
	v_mul_f64 v[139:140], v[177:178], v[98:99]
	v_fma_f64 v[141:142], v[141:142], v[44:45], -v[221:222]
	v_fma_f64 v[143:144], v[143:144], v[44:45], v[223:224]
	s_waitcnt lgkmcnt(9)
	v_mul_f64 v[221:222], v[183:184], v[98:99]
	v_mul_f64 v[223:224], v[181:182], v[98:99]
	v_fma_f64 v[145:146], v[145:146], v[44:45], -v[225:226]
	v_fma_f64 v[147:148], v[147:148], v[44:45], v[227:228]
	s_waitcnt lgkmcnt(8)
	v_mul_f64 v[225:226], v[187:188], v[98:99]
	v_mul_f64 v[227:228], v[185:186], v[98:99]
	v_fma_f64 v[149:150], v[149:150], v[44:45], -v[229:230]
	v_fma_f64 v[151:152], v[151:152], v[44:45], v[231:232]
	s_waitcnt lgkmcnt(7)
	v_mul_f64 v[229:230], v[191:192], v[98:99]
	v_mul_f64 v[231:232], v[189:190], v[98:99]
	v_fma_f64 v[153:154], v[153:154], v[44:45], -v[233:234]
	v_fma_f64 v[155:156], v[155:156], v[44:45], v[235:236]
	s_waitcnt lgkmcnt(6)
	v_mul_f64 v[233:234], v[195:196], v[98:99]
	v_mul_f64 v[235:236], v[193:194], v[98:99]
	v_fma_f64 v[108:109], v[108:109], v[44:45], -v[237:238]
	v_fma_f64 v[110:111], v[110:111], v[44:45], v[239:240]
	s_waitcnt lgkmcnt(5)
	v_mul_f64 v[237:238], v[199:200], v[98:99]
	v_mul_f64 v[239:240], v[197:198], v[98:99]
	v_fma_f64 v[157:158], v[157:158], v[44:45], -v[241:242]
	s_waitcnt lgkmcnt(4)
	v_mul_f64 v[241:242], v[203:204], v[98:99]
	v_fma_f64 v[40:41], v[125:126], v[44:45], -v[40:41]
	v_fma_f64 v[42:43], v[127:128], v[44:45], v[42:43]
	v_mul_f64 v[125:126], v[167:168], v[98:99]
	v_mul_f64 v[127:128], v[165:166], v[98:99]
	v_fma_f64 v[46:47], v[129:130], v[44:45], -v[46:47]
	v_fma_f64 v[100:101], v[131:132], v[44:45], v[100:101]
	v_mul_f64 v[129:130], v[171:172], v[98:99]
	;; [unrolled: 4-line block ×3, first 2 shown]
	v_mul_f64 v[135:136], v[173:174], v[98:99]
	v_fma_f64 v[159:160], v[159:160], v[44:45], v[243:244]
	v_mul_f64 v[243:244], v[201:202], v[98:99]
	v_fma_f64 v[137:138], v[177:178], v[44:45], -v[137:138]
	v_fma_f64 v[139:140], v[179:180], v[44:45], v[139:140]
	v_fma_f64 v[161:162], v[161:162], v[44:45], -v[245:246]
	v_fma_f64 v[163:164], v[163:164], v[44:45], v[247:248]
	;; [unrolled: 2-line block ×3, first 2 shown]
	s_waitcnt lgkmcnt(3)
	v_mul_f64 v[245:246], v[207:208], v[98:99]
	v_mul_f64 v[247:248], v[205:206], v[98:99]
	v_fma_f64 v[181:182], v[185:186], v[44:45], -v[225:226]
	v_fma_f64 v[183:184], v[187:188], v[44:45], v[227:228]
	v_add_f64 v[88:89], v[88:89], -v[114:115]
	v_add_f64 v[90:91], v[90:91], -v[116:117]
	v_fma_f64 v[185:186], v[189:190], v[44:45], -v[229:230]
	v_fma_f64 v[187:188], v[191:192], v[44:45], v[231:232]
	v_add_f64 v[84:85], v[84:85], -v[149:150]
	v_add_f64 v[86:87], v[86:87], -v[151:152]
	v_fma_f64 v[189:190], v[193:194], v[44:45], -v[233:234]
	v_fma_f64 v[191:192], v[195:196], v[44:45], v[235:236]
	v_dual_mov_b32 v234, v59 :: v_dual_mov_b32 v233, v58
	v_fma_f64 v[193:194], v[197:198], v[44:45], -v[237:238]
	v_fma_f64 v[195:196], v[199:200], v[44:45], v[239:240]
	v_dual_mov_b32 v232, v57 :: v_dual_mov_b32 v231, v56
	v_fma_f64 v[197:198], v[201:202], v[44:45], -v[241:242]
	v_dual_mov_b32 v242, v51 :: v_dual_mov_b32 v241, v50
	v_dual_mov_b32 v240, v49 :: v_dual_mov_b32 v239, v48
	;; [unrolled: 1-line block ×24, first 2 shown]
	scratch_load_b128 v[0:3], off, off offset:16 ; 16-byte Folded Reload
	v_dual_mov_b32 v56, v104 :: v_dual_mov_b32 v57, v105
	v_dual_mov_b32 v58, v106 :: v_dual_mov_b32 v59, v107
	v_fma_f64 v[125:126], v[165:166], v[44:45], -v[125:126]
	v_fma_f64 v[127:128], v[167:168], v[44:45], v[127:128]
	s_delay_alu instid0(VALU_DEP_4)
	v_add_f64 v[56:57], v[56:57], -v[40:41]
	s_waitcnt lgkmcnt(2)
	v_mul_f64 v[165:166], v[211:212], v[98:99]
	v_add_f64 v[58:59], v[58:59], -v[42:43]
	scratch_load_b128 v[40:43], off, off offset:32 ; 16-byte Folded Reload
	v_mul_f64 v[167:168], v[209:210], v[98:99]
	v_fma_f64 v[129:130], v[169:170], v[44:45], -v[129:130]
	v_fma_f64 v[131:132], v[171:172], v[44:45], v[131:132]
	s_waitcnt lgkmcnt(1)
	v_mul_f64 v[169:170], v[215:216], v[98:99]
	v_mul_f64 v[171:172], v[213:214], v[98:99]
	v_fma_f64 v[133:134], v[173:174], v[44:45], -v[133:134]
	v_fma_f64 v[135:136], v[175:176], v[44:45], v[135:136]
	s_waitcnt lgkmcnt(0)
	v_mul_f64 v[173:174], v[219:220], v[98:99]
	v_mul_f64 v[175:176], v[217:218], v[98:99]
	v_fma_f64 v[199:200], v[203:204], v[44:45], v[243:244]
	v_fma_f64 v[201:202], v[205:206], v[44:45], -v[245:246]
	v_fma_f64 v[203:204], v[207:208], v[44:45], v[247:248]
	v_dual_mov_b32 v238, v75 :: v_dual_mov_b32 v237, v74
	v_dual_mov_b32 v236, v73 :: v_dual_mov_b32 v235, v72
	v_add_f64 v[231:232], v[231:232], -v[46:47]
	v_add_f64 v[233:234], v[233:234], -v[100:101]
	;; [unrolled: 1-line block ×19, first 2 shown]
	v_fma_f64 v[165:166], v[209:210], v[44:45], -v[165:166]
	v_add_f64 v[30:31], v[30:31], -v[187:188]
	v_add_f64 v[24:25], v[24:25], -v[189:190]
	v_fma_f64 v[167:168], v[211:212], v[44:45], v[167:168]
	v_add_f64 v[239:240], v[239:240], -v[129:130]
	v_add_f64 v[241:242], v[241:242], -v[131:132]
	v_fma_f64 v[169:170], v[213:214], v[44:45], -v[169:170]
	v_fma_f64 v[171:172], v[215:216], v[44:45], v[171:172]
	v_add_f64 v[48:49], v[48:49], -v[133:134]
	v_add_f64 v[50:51], v[50:51], -v[135:136]
	v_fma_f64 v[173:174], v[217:218], v[44:45], -v[173:174]
	v_fma_f64 v[175:176], v[219:220], v[44:45], v[175:176]
	v_add_f64 v[26:27], v[26:27], -v[191:192]
	v_add_f64 v[20:21], v[20:21], -v[193:194]
	;; [unrolled: 1-line block ×13, first 2 shown]
	s_waitcnt vmcnt(1)
	v_add_f64 v[0:1], v[0:1], -v[145:146]
	v_add_f64 v[2:3], v[2:3], -v[147:148]
	scratch_store_b128 off, v[0:3], off offset:16 ; 16-byte Folded Spill
	scratch_load_b128 v[0:3], off, off      ; 16-byte Folded Reload
	s_waitcnt vmcnt(1)
	v_add_f64 v[40:41], v[40:41], -v[141:142]
	v_add_f64 v[42:43], v[42:43], -v[143:144]
	s_waitcnt vmcnt(0)
	v_add_f64 v[0:1], v[0:1], -v[161:162]
	v_add_f64 v[2:3], v[2:3], -v[163:164]
	s_clause 0x1
	scratch_store_b128 off, v[40:43], off offset:32
	scratch_store_b128 off, v[0:3], off
.LBB52_41:
	s_or_b32 exec_lo, exec_lo, s2
	v_lshl_add_u32 v40, v124, 4, v118
	s_waitcnt_vscnt null, 0x0
	s_barrier
	buffer_gl0_inv
	v_mov_b32_e32 v116, 2
	ds_store_2addr_b64 v40, v[56:57], v[58:59] offset1:1
	s_waitcnt lgkmcnt(0)
	s_barrier
	buffer_gl0_inv
	ds_load_2addr_b64 v[108:111], v118 offset0:4 offset1:5
	s_cmp_lt_i32 s5, 4
	s_cbranch_scc1 .LBB52_44
; %bb.42:
	v_add3_u32 v117, v120, 0, 48
	v_mov_b32_e32 v116, 2
	s_mov_b32 s6, 3
	s_set_inst_prefetch_distance 0x1
	.p2align	6
.LBB52_43:                              ; =>This Inner Loop Header: Depth=1
	ds_load_2addr_b64 v[125:128], v117 offset1:1
	s_waitcnt lgkmcnt(1)
	v_cmp_gt_f64_e32 vcc_lo, 0, v[108:109]
	v_xor_b32_e32 v40, 0x80000000, v109
	v_cmp_gt_f64_e64 s2, 0, v[110:111]
	v_xor_b32_e32 v42, 0x80000000, v111
	v_add_nc_u32_e32 v117, 16, v117
	s_waitcnt lgkmcnt(0)
	v_cmp_gt_f64_e64 s3, 0, v[125:126]
	v_mov_b32_e32 v44, v125
	v_dual_mov_b32 v46, v127 :: v_dual_cndmask_b32 v41, v109, v40
	v_xor_b32_e32 v40, 0x80000000, v126
	v_cndmask_b32_e64 v43, v111, v42, s2
	v_xor_b32_e32 v42, 0x80000000, v128
	s_delay_alu instid0(VALU_DEP_3) | instskip(SKIP_2) | instid1(VALU_DEP_2)
	v_cndmask_b32_e64 v45, v126, v40, s3
	v_cmp_gt_f64_e64 s3, 0, v[127:128]
	v_cndmask_b32_e32 v40, v108, v108, vcc_lo
	v_cndmask_b32_e64 v47, v128, v42, s3
	v_cndmask_b32_e64 v42, v110, v110, s2
	s_delay_alu instid0(VALU_DEP_2) | instskip(NEXT) | instid1(VALU_DEP_2)
	v_add_f64 v[44:45], v[44:45], v[46:47]
	v_add_f64 v[40:41], v[40:41], v[42:43]
	s_delay_alu instid0(VALU_DEP_1) | instskip(SKIP_4) | instid1(SALU_CYCLE_1)
	v_cmp_lt_f64_e32 vcc_lo, v[40:41], v[44:45]
	v_dual_cndmask_b32 v109, v109, v126 :: v_dual_cndmask_b32 v108, v108, v125
	v_dual_cndmask_b32 v111, v111, v128 :: v_dual_cndmask_b32 v110, v110, v127
	v_cndmask_b32_e64 v116, v116, s6, vcc_lo
	s_add_i32 s6, s6, 1
	s_cmp_lg_u32 s5, s6
	s_cbranch_scc1 .LBB52_43
.LBB52_44:
	s_set_inst_prefetch_distance 0x2
	s_waitcnt lgkmcnt(0)
	v_cmp_eq_f64_e32 vcc_lo, 0, v[108:109]
	v_cmp_eq_f64_e64 s2, 0, v[110:111]
	s_delay_alu instid0(VALU_DEP_1) | instskip(NEXT) | instid1(SALU_CYCLE_1)
	s_and_b32 s2, vcc_lo, s2
	s_and_saveexec_b32 s3, s2
	s_delay_alu instid0(SALU_CYCLE_1)
	s_xor_b32 s2, exec_lo, s3
; %bb.45:
	v_cmp_ne_u32_e32 vcc_lo, 0, v123
	v_cndmask_b32_e32 v123, 3, v123, vcc_lo
; %bb.46:
	s_and_not1_saveexec_b32 s3, s2
	s_cbranch_execz .LBB52_52
; %bb.47:
	v_cmp_gt_f64_e32 vcc_lo, 0, v[108:109]
	v_cmp_gt_f64_e64 s2, 0, v[110:111]
	v_xor_b32_e32 v40, 0x80000000, v109
	v_xor_b32_e32 v42, 0x80000000, v111
	s_delay_alu instid0(VALU_DEP_2) | instskip(NEXT) | instid1(VALU_DEP_2)
	v_cndmask_b32_e32 v41, v109, v40, vcc_lo
	v_cndmask_b32_e64 v43, v111, v42, s2
	v_cndmask_b32_e32 v40, v108, v108, vcc_lo
	v_cndmask_b32_e64 v42, v110, v110, s2
	s_mov_b32 s2, exec_lo
	s_delay_alu instid0(VALU_DEP_1)
	v_cmpx_ngt_f64_e32 v[40:41], v[42:43]
	s_xor_b32 s2, exec_lo, s2
	s_cbranch_execz .LBB52_49
; %bb.48:
	v_div_scale_f64 v[40:41], null, v[110:111], v[110:111], v[108:109]
	v_div_scale_f64 v[46:47], vcc_lo, v[108:109], v[110:111], v[108:109]
	s_delay_alu instid0(VALU_DEP_2) | instskip(SKIP_2) | instid1(VALU_DEP_1)
	v_rcp_f64_e32 v[42:43], v[40:41]
	s_waitcnt_depctr 0xfff
	v_fma_f64 v[44:45], -v[40:41], v[42:43], 1.0
	v_fma_f64 v[42:43], v[42:43], v[44:45], v[42:43]
	s_delay_alu instid0(VALU_DEP_1) | instskip(NEXT) | instid1(VALU_DEP_1)
	v_fma_f64 v[44:45], -v[40:41], v[42:43], 1.0
	v_fma_f64 v[42:43], v[42:43], v[44:45], v[42:43]
	s_delay_alu instid0(VALU_DEP_1) | instskip(NEXT) | instid1(VALU_DEP_1)
	v_mul_f64 v[44:45], v[46:47], v[42:43]
	v_fma_f64 v[40:41], -v[40:41], v[44:45], v[46:47]
	s_delay_alu instid0(VALU_DEP_1) | instskip(NEXT) | instid1(VALU_DEP_1)
	v_div_fmas_f64 v[40:41], v[40:41], v[42:43], v[44:45]
	v_div_fixup_f64 v[40:41], v[40:41], v[110:111], v[108:109]
	s_delay_alu instid0(VALU_DEP_1) | instskip(NEXT) | instid1(VALU_DEP_1)
	v_fma_f64 v[42:43], v[108:109], v[40:41], v[110:111]
	v_div_scale_f64 v[44:45], null, v[42:43], v[42:43], 1.0
	s_delay_alu instid0(VALU_DEP_1) | instskip(SKIP_2) | instid1(VALU_DEP_1)
	v_rcp_f64_e32 v[46:47], v[44:45]
	s_waitcnt_depctr 0xfff
	v_fma_f64 v[100:101], -v[44:45], v[46:47], 1.0
	v_fma_f64 v[46:47], v[46:47], v[100:101], v[46:47]
	s_delay_alu instid0(VALU_DEP_1) | instskip(NEXT) | instid1(VALU_DEP_1)
	v_fma_f64 v[100:101], -v[44:45], v[46:47], 1.0
	v_fma_f64 v[46:47], v[46:47], v[100:101], v[46:47]
	v_div_scale_f64 v[100:101], vcc_lo, 1.0, v[42:43], 1.0
	s_delay_alu instid0(VALU_DEP_1) | instskip(NEXT) | instid1(VALU_DEP_1)
	v_mul_f64 v[102:103], v[100:101], v[46:47]
	v_fma_f64 v[44:45], -v[44:45], v[102:103], v[100:101]
	s_delay_alu instid0(VALU_DEP_1) | instskip(NEXT) | instid1(VALU_DEP_1)
	v_div_fmas_f64 v[44:45], v[44:45], v[46:47], v[102:103]
	v_div_fixup_f64 v[110:111], v[44:45], v[42:43], 1.0
	s_delay_alu instid0(VALU_DEP_1)
	v_mul_f64 v[108:109], v[40:41], v[110:111]
	v_xor_b32_e32 v111, 0x80000000, v111
.LBB52_49:
	s_and_not1_saveexec_b32 s2, s2
	s_cbranch_execz .LBB52_51
; %bb.50:
	s_delay_alu instid0(VALU_DEP_1) | instskip(SKIP_1) | instid1(VALU_DEP_2)
	v_div_scale_f64 v[40:41], null, v[108:109], v[108:109], v[110:111]
	v_div_scale_f64 v[46:47], vcc_lo, v[110:111], v[108:109], v[110:111]
	v_rcp_f64_e32 v[42:43], v[40:41]
	s_waitcnt_depctr 0xfff
	v_fma_f64 v[44:45], -v[40:41], v[42:43], 1.0
	s_delay_alu instid0(VALU_DEP_1) | instskip(NEXT) | instid1(VALU_DEP_1)
	v_fma_f64 v[42:43], v[42:43], v[44:45], v[42:43]
	v_fma_f64 v[44:45], -v[40:41], v[42:43], 1.0
	s_delay_alu instid0(VALU_DEP_1) | instskip(NEXT) | instid1(VALU_DEP_1)
	v_fma_f64 v[42:43], v[42:43], v[44:45], v[42:43]
	v_mul_f64 v[44:45], v[46:47], v[42:43]
	s_delay_alu instid0(VALU_DEP_1) | instskip(NEXT) | instid1(VALU_DEP_1)
	v_fma_f64 v[40:41], -v[40:41], v[44:45], v[46:47]
	v_div_fmas_f64 v[40:41], v[40:41], v[42:43], v[44:45]
	s_delay_alu instid0(VALU_DEP_1) | instskip(NEXT) | instid1(VALU_DEP_1)
	v_div_fixup_f64 v[40:41], v[40:41], v[108:109], v[110:111]
	v_fma_f64 v[42:43], v[110:111], v[40:41], v[108:109]
	s_delay_alu instid0(VALU_DEP_1) | instskip(NEXT) | instid1(VALU_DEP_1)
	v_div_scale_f64 v[44:45], null, v[42:43], v[42:43], 1.0
	v_rcp_f64_e32 v[46:47], v[44:45]
	s_waitcnt_depctr 0xfff
	v_fma_f64 v[100:101], -v[44:45], v[46:47], 1.0
	s_delay_alu instid0(VALU_DEP_1) | instskip(NEXT) | instid1(VALU_DEP_1)
	v_fma_f64 v[46:47], v[46:47], v[100:101], v[46:47]
	v_fma_f64 v[100:101], -v[44:45], v[46:47], 1.0
	s_delay_alu instid0(VALU_DEP_1) | instskip(SKIP_1) | instid1(VALU_DEP_1)
	v_fma_f64 v[46:47], v[46:47], v[100:101], v[46:47]
	v_div_scale_f64 v[100:101], vcc_lo, 1.0, v[42:43], 1.0
	v_mul_f64 v[102:103], v[100:101], v[46:47]
	s_delay_alu instid0(VALU_DEP_1) | instskip(NEXT) | instid1(VALU_DEP_1)
	v_fma_f64 v[44:45], -v[44:45], v[102:103], v[100:101]
	v_div_fmas_f64 v[44:45], v[44:45], v[46:47], v[102:103]
	s_delay_alu instid0(VALU_DEP_1) | instskip(NEXT) | instid1(VALU_DEP_1)
	v_div_fixup_f64 v[108:109], v[44:45], v[42:43], 1.0
	v_mul_f64 v[110:111], v[40:41], -v[108:109]
.LBB52_51:
	s_or_b32 exec_lo, exec_lo, s2
.LBB52_52:
	s_delay_alu instid0(SALU_CYCLE_1) | instskip(NEXT) | instid1(SALU_CYCLE_1)
	s_or_b32 exec_lo, exec_lo, s3
	s_mov_b32 s2, exec_lo
	v_cmpx_ne_u32_e64 v124, v116
	s_xor_b32 s2, exec_lo, s2
	s_cbranch_execz .LBB52_58
; %bb.53:
	s_mov_b32 s3, exec_lo
	v_cmpx_eq_u32_e32 2, v124
	s_cbranch_execz .LBB52_57
; %bb.54:
	v_cmp_ne_u32_e32 vcc_lo, 2, v116
	s_xor_b32 s6, s4, -1
	s_delay_alu instid0(SALU_CYCLE_1) | instskip(NEXT) | instid1(SALU_CYCLE_1)
	s_and_b32 s7, s6, vcc_lo
	s_and_saveexec_b32 s6, s7
	s_cbranch_execz .LBB52_56
; %bb.55:
	scratch_load_b64 v[44:45], off, off offset:48 ; 8-byte Folded Reload
	v_ashrrev_i32_e32 v117, 31, v116
	s_delay_alu instid0(VALU_DEP_1) | instskip(SKIP_1) | instid1(VALU_DEP_1)
	v_lshlrev_b64 v[40:41], 2, v[116:117]
	s_waitcnt vmcnt(0)
	v_add_co_u32 v40, vcc_lo, v44, v40
	s_delay_alu instid0(VALU_DEP_2)
	v_add_co_ci_u32_e32 v41, vcc_lo, v45, v41, vcc_lo
	s_clause 0x1
	flat_load_b32 v42, v[40:41]
	flat_load_b32 v43, v[44:45] offset:8
	s_waitcnt vmcnt(1) lgkmcnt(1)
	flat_store_b32 v[44:45], v42 offset:8
	s_waitcnt vmcnt(0) lgkmcnt(1)
	flat_store_b32 v[40:41], v43
.LBB52_56:
	s_or_b32 exec_lo, exec_lo, s6
	v_mov_b32_e32 v124, v116
	v_mov_b32_e32 v119, v116
.LBB52_57:
	s_or_b32 exec_lo, exec_lo, s3
.LBB52_58:
	s_and_not1_saveexec_b32 s2, s2
	s_cbranch_execz .LBB52_60
; %bb.59:
	ds_store_2addr_b64 v118, v[231:232], v[233:234] offset0:6 offset1:7
	ds_store_2addr_b64 v118, v[60:61], v[62:63] offset0:8 offset1:9
	;; [unrolled: 1-line block ×3, first 2 shown]
	s_clause 0x1
	scratch_load_b128 v[40:43], off, off offset:32
	scratch_load_b128 v[0:3], off, off offset:16
	v_mov_b32_e32 v124, 2
	s_waitcnt vmcnt(1)
	ds_store_2addr_b64 v118, v[40:41], v[42:43] offset0:12 offset1:13
	s_waitcnt vmcnt(0)
	ds_store_2addr_b64 v118, v[0:1], v[2:3] offset0:14 offset1:15
	ds_store_2addr_b64 v118, v[84:85], v[86:87] offset0:16 offset1:17
	;; [unrolled: 1-line block ×5, first 2 shown]
	scratch_load_b128 v[0:3], off, off      ; 16-byte Folded Reload
	s_waitcnt vmcnt(0)
	ds_store_2addr_b64 v118, v[0:1], v[2:3] offset0:24 offset1:25
	ds_store_2addr_b64 v118, v[235:236], v[237:238] offset0:26 offset1:27
	;; [unrolled: 1-line block ×15, first 2 shown]
.LBB52_60:
	s_or_b32 exec_lo, exec_lo, s2
	s_delay_alu instid0(SALU_CYCLE_1)
	s_mov_b32 s2, exec_lo
	s_waitcnt lgkmcnt(0)
	s_waitcnt_vscnt null, 0x0
	s_barrier
	buffer_gl0_inv
	v_cmpx_lt_i32_e32 2, v124
	s_cbranch_execz .LBB52_62
; %bb.61:
	v_mul_f64 v[42:43], v[108:109], v[58:59]
	v_mul_f64 v[40:41], v[110:111], v[58:59]
	s_delay_alu instid0(VALU_DEP_2) | instskip(NEXT) | instid1(VALU_DEP_2)
	v_fma_f64 v[58:59], v[110:111], v[56:57], v[42:43]
	v_fma_f64 v[40:41], v[108:109], v[56:57], -v[40:41]
	ds_load_2addr_b64 v[108:111], v118 offset0:6 offset1:7
	ds_load_2addr_b64 v[125:128], v118 offset0:8 offset1:9
	s_waitcnt lgkmcnt(1)
	v_mul_f64 v[42:43], v[110:111], v[58:59]
	v_mul_f64 v[44:45], v[108:109], v[58:59]
	s_waitcnt lgkmcnt(0)
	v_mul_f64 v[46:47], v[127:128], v[58:59]
	v_mul_f64 v[100:101], v[125:126], v[58:59]
	v_dual_mov_b32 v57, v41 :: v_dual_mov_b32 v56, v40
	v_fma_f64 v[42:43], v[108:109], v[40:41], -v[42:43]
	v_fma_f64 v[44:45], v[110:111], v[40:41], v[44:45]
	v_fma_f64 v[46:47], v[125:126], v[40:41], -v[46:47]
	v_fma_f64 v[100:101], v[127:128], v[40:41], v[100:101]
	ds_load_2addr_b64 v[108:111], v118 offset0:10 offset1:11
	ds_load_2addr_b64 v[125:128], v118 offset0:12 offset1:13
	s_waitcnt lgkmcnt(1)
	v_mul_f64 v[102:103], v[110:111], v[58:59]
	v_add_f64 v[231:232], v[231:232], -v[42:43]
	v_add_f64 v[233:234], v[233:234], -v[44:45]
	;; [unrolled: 1-line block ×4, first 2 shown]
	v_fma_f64 v[102:103], v[108:109], v[40:41], -v[102:103]
	v_mul_f64 v[108:109], v[108:109], v[58:59]
	s_delay_alu instid0(VALU_DEP_2) | instskip(NEXT) | instid1(VALU_DEP_2)
	v_add_f64 v[88:89], v[88:89], -v[102:103]
	v_fma_f64 v[112:113], v[110:111], v[40:41], v[108:109]
	s_waitcnt lgkmcnt(0)
	v_mul_f64 v[108:109], v[127:128], v[58:59]
	s_delay_alu instid0(VALU_DEP_2) | instskip(NEXT) | instid1(VALU_DEP_2)
	v_add_f64 v[90:91], v[90:91], -v[112:113]
	v_fma_f64 v[114:115], v[125:126], v[40:41], -v[108:109]
	v_mul_f64 v[108:109], v[125:126], v[58:59]
	s_delay_alu instid0(VALU_DEP_1) | instskip(SKIP_4) | instid1(VALU_DEP_1)
	v_fma_f64 v[116:117], v[127:128], v[40:41], v[108:109]
	ds_load_2addr_b64 v[108:111], v118 offset0:14 offset1:15
	ds_load_2addr_b64 v[125:128], v118 offset0:16 offset1:17
	s_waitcnt lgkmcnt(1)
	v_mul_f64 v[129:130], v[110:111], v[58:59]
	v_fma_f64 v[129:130], v[108:109], v[40:41], -v[129:130]
	v_mul_f64 v[108:109], v[108:109], v[58:59]
	s_delay_alu instid0(VALU_DEP_1) | instskip(SKIP_2) | instid1(VALU_DEP_1)
	v_fma_f64 v[131:132], v[110:111], v[40:41], v[108:109]
	s_waitcnt lgkmcnt(0)
	v_mul_f64 v[108:109], v[127:128], v[58:59]
	v_fma_f64 v[133:134], v[125:126], v[40:41], -v[108:109]
	v_mul_f64 v[108:109], v[125:126], v[58:59]
	s_delay_alu instid0(VALU_DEP_2) | instskip(NEXT) | instid1(VALU_DEP_2)
	v_add_f64 v[84:85], v[84:85], -v[133:134]
	v_fma_f64 v[135:136], v[127:128], v[40:41], v[108:109]
	ds_load_2addr_b64 v[108:111], v118 offset0:18 offset1:19
	ds_load_2addr_b64 v[125:128], v118 offset0:20 offset1:21
	s_waitcnt lgkmcnt(1)
	v_mul_f64 v[137:138], v[110:111], v[58:59]
	v_add_f64 v[86:87], v[86:87], -v[135:136]
	s_delay_alu instid0(VALU_DEP_2) | instskip(SKIP_1) | instid1(VALU_DEP_2)
	v_fma_f64 v[137:138], v[108:109], v[40:41], -v[137:138]
	v_mul_f64 v[108:109], v[108:109], v[58:59]
	v_add_f64 v[80:81], v[80:81], -v[137:138]
	s_delay_alu instid0(VALU_DEP_2) | instskip(SKIP_2) | instid1(VALU_DEP_2)
	v_fma_f64 v[139:140], v[110:111], v[40:41], v[108:109]
	s_waitcnt lgkmcnt(0)
	v_mul_f64 v[108:109], v[127:128], v[58:59]
	v_add_f64 v[82:83], v[82:83], -v[139:140]
	s_delay_alu instid0(VALU_DEP_2) | instskip(SKIP_1) | instid1(VALU_DEP_2)
	v_fma_f64 v[141:142], v[125:126], v[40:41], -v[108:109]
	v_mul_f64 v[108:109], v[125:126], v[58:59]
	v_add_f64 v[68:69], v[68:69], -v[141:142]
	s_delay_alu instid0(VALU_DEP_2)
	v_fma_f64 v[143:144], v[127:128], v[40:41], v[108:109]
	ds_load_2addr_b64 v[108:111], v118 offset0:22 offset1:23
	ds_load_2addr_b64 v[125:128], v118 offset0:24 offset1:25
	s_waitcnt lgkmcnt(1)
	v_mul_f64 v[145:146], v[110:111], v[58:59]
	v_add_f64 v[70:71], v[70:71], -v[143:144]
	s_delay_alu instid0(VALU_DEP_2) | instskip(SKIP_1) | instid1(VALU_DEP_2)
	v_fma_f64 v[145:146], v[108:109], v[40:41], -v[145:146]
	v_mul_f64 v[108:109], v[108:109], v[58:59]
	v_add_f64 v[64:65], v[64:65], -v[145:146]
	s_delay_alu instid0(VALU_DEP_2) | instskip(SKIP_2) | instid1(VALU_DEP_2)
	v_fma_f64 v[147:148], v[110:111], v[40:41], v[108:109]
	s_waitcnt lgkmcnt(0)
	v_mul_f64 v[108:109], v[127:128], v[58:59]
	v_add_f64 v[66:67], v[66:67], -v[147:148]
	s_delay_alu instid0(VALU_DEP_2) | instskip(SKIP_1) | instid1(VALU_DEP_1)
	v_fma_f64 v[149:150], v[125:126], v[40:41], -v[108:109]
	v_mul_f64 v[108:109], v[125:126], v[58:59]
	v_fma_f64 v[151:152], v[127:128], v[40:41], v[108:109]
	ds_load_2addr_b64 v[108:111], v118 offset0:26 offset1:27
	ds_load_2addr_b64 v[125:128], v118 offset0:28 offset1:29
	s_waitcnt lgkmcnt(1)
	v_mul_f64 v[153:154], v[110:111], v[58:59]
	s_delay_alu instid0(VALU_DEP_1) | instskip(SKIP_1) | instid1(VALU_DEP_2)
	v_fma_f64 v[153:154], v[108:109], v[40:41], -v[153:154]
	v_mul_f64 v[108:109], v[108:109], v[58:59]
	v_add_f64 v[235:236], v[235:236], -v[153:154]
	s_delay_alu instid0(VALU_DEP_2) | instskip(SKIP_2) | instid1(VALU_DEP_2)
	v_fma_f64 v[155:156], v[110:111], v[40:41], v[108:109]
	s_waitcnt lgkmcnt(0)
	v_mul_f64 v[108:109], v[127:128], v[58:59]
	v_add_f64 v[237:238], v[237:238], -v[155:156]
	s_delay_alu instid0(VALU_DEP_2) | instskip(SKIP_1) | instid1(VALU_DEP_2)
	v_fma_f64 v[157:158], v[125:126], v[40:41], -v[108:109]
	v_mul_f64 v[108:109], v[125:126], v[58:59]
	v_add_f64 v[239:240], v[239:240], -v[157:158]
	s_delay_alu instid0(VALU_DEP_2)
	v_fma_f64 v[159:160], v[127:128], v[40:41], v[108:109]
	ds_load_2addr_b64 v[108:111], v118 offset0:30 offset1:31
	ds_load_2addr_b64 v[125:128], v118 offset0:32 offset1:33
	s_waitcnt lgkmcnt(1)
	v_mul_f64 v[161:162], v[110:111], v[58:59]
	v_add_f64 v[241:242], v[241:242], -v[159:160]
	s_delay_alu instid0(VALU_DEP_2) | instskip(SKIP_1) | instid1(VALU_DEP_2)
	v_fma_f64 v[161:162], v[108:109], v[40:41], -v[161:162]
	v_mul_f64 v[108:109], v[108:109], v[58:59]
	v_add_f64 v[48:49], v[48:49], -v[161:162]
	s_delay_alu instid0(VALU_DEP_2) | instskip(SKIP_2) | instid1(VALU_DEP_2)
	v_fma_f64 v[163:164], v[110:111], v[40:41], v[108:109]
	s_waitcnt lgkmcnt(0)
	v_mul_f64 v[108:109], v[127:128], v[58:59]
	v_add_f64 v[50:51], v[50:51], -v[163:164]
	s_delay_alu instid0(VALU_DEP_2) | instskip(SKIP_1) | instid1(VALU_DEP_2)
	v_fma_f64 v[165:166], v[125:126], v[40:41], -v[108:109]
	v_mul_f64 v[108:109], v[125:126], v[58:59]
	v_add_f64 v[52:53], v[52:53], -v[165:166]
	s_delay_alu instid0(VALU_DEP_2)
	v_fma_f64 v[167:168], v[127:128], v[40:41], v[108:109]
	ds_load_2addr_b64 v[108:111], v118 offset0:34 offset1:35
	ds_load_2addr_b64 v[125:128], v118 offset0:36 offset1:37
	s_waitcnt lgkmcnt(1)
	v_mul_f64 v[169:170], v[110:111], v[58:59]
	v_add_f64 v[54:55], v[54:55], -v[167:168]
	s_delay_alu instid0(VALU_DEP_2) | instskip(SKIP_1) | instid1(VALU_DEP_2)
	;; [unrolled: 20-line block ×5, first 2 shown]
	v_fma_f64 v[193:194], v[108:109], v[40:41], -v[193:194]
	v_mul_f64 v[108:109], v[108:109], v[58:59]
	v_add_f64 v[12:13], v[12:13], -v[193:194]
	s_delay_alu instid0(VALU_DEP_2) | instskip(SKIP_2) | instid1(VALU_DEP_2)
	v_fma_f64 v[195:196], v[110:111], v[40:41], v[108:109]
	s_waitcnt lgkmcnt(0)
	v_mul_f64 v[108:109], v[127:128], v[58:59]
	v_add_f64 v[14:15], v[14:15], -v[195:196]
	s_delay_alu instid0(VALU_DEP_2) | instskip(SKIP_1) | instid1(VALU_DEP_2)
	v_fma_f64 v[197:198], v[125:126], v[40:41], -v[108:109]
	v_mul_f64 v[108:109], v[125:126], v[58:59]
	v_add_f64 v[8:9], v[8:9], -v[197:198]
	s_delay_alu instid0(VALU_DEP_2)
	v_fma_f64 v[199:200], v[127:128], v[40:41], v[108:109]
	ds_load_2addr_b64 v[108:111], v118 offset0:50 offset1:51
	ds_load_2addr_b64 v[125:128], v118 offset0:52 offset1:53
	s_clause 0x1
	scratch_load_b128 v[0:3], off, off offset:16
	scratch_load_b128 v[42:45], off, off offset:32
	s_waitcnt lgkmcnt(1)
	v_mul_f64 v[201:202], v[110:111], v[58:59]
	v_add_f64 v[10:11], v[10:11], -v[199:200]
	s_delay_alu instid0(VALU_DEP_2) | instskip(SKIP_1) | instid1(VALU_DEP_2)
	v_fma_f64 v[201:202], v[108:109], v[40:41], -v[201:202]
	v_mul_f64 v[108:109], v[108:109], v[58:59]
	v_add_f64 v[4:5], v[4:5], -v[201:202]
	s_delay_alu instid0(VALU_DEP_2) | instskip(SKIP_2) | instid1(VALU_DEP_2)
	v_fma_f64 v[108:109], v[110:111], v[40:41], v[108:109]
	s_waitcnt lgkmcnt(0)
	v_mul_f64 v[110:111], v[127:128], v[58:59]
	v_add_f64 v[6:7], v[6:7], -v[108:109]
	s_delay_alu instid0(VALU_DEP_2) | instskip(SKIP_1) | instid1(VALU_DEP_2)
	v_fma_f64 v[110:111], v[125:126], v[40:41], -v[110:111]
	v_mul_f64 v[125:126], v[125:126], v[58:59]
	v_add_f64 v[252:253], v[252:253], -v[110:111]
	s_delay_alu instid0(VALU_DEP_2) | instskip(NEXT) | instid1(VALU_DEP_1)
	v_fma_f64 v[125:126], v[127:128], v[40:41], v[125:126]
	v_add_f64 v[254:255], v[254:255], -v[125:126]
	s_waitcnt vmcnt(1)
	v_add_f64 v[0:1], v[0:1], -v[129:130]
	v_add_f64 v[2:3], v[2:3], -v[131:132]
	scratch_store_b128 off, v[0:3], off offset:16 ; 16-byte Folded Spill
	scratch_load_b128 v[0:3], off, off      ; 16-byte Folded Reload
	s_waitcnt vmcnt(1)
	v_add_f64 v[42:43], v[42:43], -v[114:115]
	v_add_f64 v[44:45], v[44:45], -v[116:117]
	s_waitcnt vmcnt(0)
	v_add_f64 v[0:1], v[0:1], -v[149:150]
	v_add_f64 v[2:3], v[2:3], -v[151:152]
	s_clause 0x1
	scratch_store_b128 off, v[42:45], off offset:32
	scratch_store_b128 off, v[0:3], off
.LBB52_62:
	s_or_b32 exec_lo, exec_lo, s2
	v_lshl_add_u32 v40, v124, 4, v118
	s_waitcnt_vscnt null, 0x0
	s_barrier
	buffer_gl0_inv
	v_mov_b32_e32 v116, 3
	ds_store_2addr_b64 v40, v[231:232], v[233:234] offset1:1
	s_waitcnt lgkmcnt(0)
	s_barrier
	buffer_gl0_inv
	ds_load_2addr_b64 v[108:111], v118 offset0:6 offset1:7
	s_cmp_lt_i32 s5, 5
	s_mov_b32 s6, 4
	s_cbranch_scc1 .LBB52_65
; %bb.63:
	v_add3_u32 v117, v120, 0, 64
	v_mov_b32_e32 v116, 3
	s_set_inst_prefetch_distance 0x1
	.p2align	6
.LBB52_64:                              ; =>This Inner Loop Header: Depth=1
	ds_load_2addr_b64 v[125:128], v117 offset1:1
	s_waitcnt lgkmcnt(1)
	v_cmp_gt_f64_e32 vcc_lo, 0, v[108:109]
	v_xor_b32_e32 v40, 0x80000000, v109
	v_cmp_gt_f64_e64 s2, 0, v[110:111]
	v_xor_b32_e32 v42, 0x80000000, v111
	v_add_nc_u32_e32 v117, 16, v117
	s_waitcnt lgkmcnt(0)
	v_cmp_gt_f64_e64 s3, 0, v[125:126]
	v_mov_b32_e32 v44, v125
	v_dual_mov_b32 v46, v127 :: v_dual_cndmask_b32 v41, v109, v40
	v_xor_b32_e32 v40, 0x80000000, v126
	v_cndmask_b32_e64 v43, v111, v42, s2
	v_xor_b32_e32 v42, 0x80000000, v128
	s_delay_alu instid0(VALU_DEP_3) | instskip(SKIP_2) | instid1(VALU_DEP_2)
	v_cndmask_b32_e64 v45, v126, v40, s3
	v_cmp_gt_f64_e64 s3, 0, v[127:128]
	v_cndmask_b32_e32 v40, v108, v108, vcc_lo
	v_cndmask_b32_e64 v47, v128, v42, s3
	v_cndmask_b32_e64 v42, v110, v110, s2
	s_delay_alu instid0(VALU_DEP_2) | instskip(NEXT) | instid1(VALU_DEP_2)
	v_add_f64 v[44:45], v[44:45], v[46:47]
	v_add_f64 v[40:41], v[40:41], v[42:43]
	s_delay_alu instid0(VALU_DEP_1) | instskip(SKIP_4) | instid1(SALU_CYCLE_1)
	v_cmp_lt_f64_e32 vcc_lo, v[40:41], v[44:45]
	v_dual_cndmask_b32 v109, v109, v126 :: v_dual_cndmask_b32 v108, v108, v125
	v_dual_cndmask_b32 v111, v111, v128 :: v_dual_cndmask_b32 v110, v110, v127
	v_cndmask_b32_e64 v116, v116, s6, vcc_lo
	s_add_i32 s6, s6, 1
	s_cmp_lg_u32 s5, s6
	s_cbranch_scc1 .LBB52_64
.LBB52_65:
	s_set_inst_prefetch_distance 0x2
	s_waitcnt lgkmcnt(0)
	v_cmp_eq_f64_e32 vcc_lo, 0, v[108:109]
	v_cmp_eq_f64_e64 s2, 0, v[110:111]
	s_delay_alu instid0(VALU_DEP_1) | instskip(NEXT) | instid1(SALU_CYCLE_1)
	s_and_b32 s2, vcc_lo, s2
	s_and_saveexec_b32 s3, s2
	s_delay_alu instid0(SALU_CYCLE_1)
	s_xor_b32 s2, exec_lo, s3
; %bb.66:
	v_cmp_ne_u32_e32 vcc_lo, 0, v123
	v_cndmask_b32_e32 v123, 4, v123, vcc_lo
; %bb.67:
	s_and_not1_saveexec_b32 s3, s2
	s_cbranch_execz .LBB52_73
; %bb.68:
	v_cmp_gt_f64_e32 vcc_lo, 0, v[108:109]
	v_cmp_gt_f64_e64 s2, 0, v[110:111]
	v_xor_b32_e32 v40, 0x80000000, v109
	v_xor_b32_e32 v42, 0x80000000, v111
	s_delay_alu instid0(VALU_DEP_2) | instskip(NEXT) | instid1(VALU_DEP_2)
	v_cndmask_b32_e32 v41, v109, v40, vcc_lo
	v_cndmask_b32_e64 v43, v111, v42, s2
	v_cndmask_b32_e32 v40, v108, v108, vcc_lo
	v_cndmask_b32_e64 v42, v110, v110, s2
	s_mov_b32 s2, exec_lo
	s_delay_alu instid0(VALU_DEP_1)
	v_cmpx_ngt_f64_e32 v[40:41], v[42:43]
	s_xor_b32 s2, exec_lo, s2
	s_cbranch_execz .LBB52_70
; %bb.69:
	v_div_scale_f64 v[40:41], null, v[110:111], v[110:111], v[108:109]
	v_div_scale_f64 v[46:47], vcc_lo, v[108:109], v[110:111], v[108:109]
	s_delay_alu instid0(VALU_DEP_2) | instskip(SKIP_2) | instid1(VALU_DEP_1)
	v_rcp_f64_e32 v[42:43], v[40:41]
	s_waitcnt_depctr 0xfff
	v_fma_f64 v[44:45], -v[40:41], v[42:43], 1.0
	v_fma_f64 v[42:43], v[42:43], v[44:45], v[42:43]
	s_delay_alu instid0(VALU_DEP_1) | instskip(NEXT) | instid1(VALU_DEP_1)
	v_fma_f64 v[44:45], -v[40:41], v[42:43], 1.0
	v_fma_f64 v[42:43], v[42:43], v[44:45], v[42:43]
	s_delay_alu instid0(VALU_DEP_1) | instskip(NEXT) | instid1(VALU_DEP_1)
	v_mul_f64 v[44:45], v[46:47], v[42:43]
	v_fma_f64 v[40:41], -v[40:41], v[44:45], v[46:47]
	s_delay_alu instid0(VALU_DEP_1) | instskip(NEXT) | instid1(VALU_DEP_1)
	v_div_fmas_f64 v[40:41], v[40:41], v[42:43], v[44:45]
	v_div_fixup_f64 v[40:41], v[40:41], v[110:111], v[108:109]
	s_delay_alu instid0(VALU_DEP_1) | instskip(NEXT) | instid1(VALU_DEP_1)
	v_fma_f64 v[42:43], v[108:109], v[40:41], v[110:111]
	v_div_scale_f64 v[44:45], null, v[42:43], v[42:43], 1.0
	s_delay_alu instid0(VALU_DEP_1) | instskip(SKIP_2) | instid1(VALU_DEP_1)
	v_rcp_f64_e32 v[46:47], v[44:45]
	s_waitcnt_depctr 0xfff
	v_fma_f64 v[100:101], -v[44:45], v[46:47], 1.0
	v_fma_f64 v[46:47], v[46:47], v[100:101], v[46:47]
	s_delay_alu instid0(VALU_DEP_1) | instskip(NEXT) | instid1(VALU_DEP_1)
	v_fma_f64 v[100:101], -v[44:45], v[46:47], 1.0
	v_fma_f64 v[46:47], v[46:47], v[100:101], v[46:47]
	v_div_scale_f64 v[100:101], vcc_lo, 1.0, v[42:43], 1.0
	s_delay_alu instid0(VALU_DEP_1) | instskip(NEXT) | instid1(VALU_DEP_1)
	v_mul_f64 v[102:103], v[100:101], v[46:47]
	v_fma_f64 v[44:45], -v[44:45], v[102:103], v[100:101]
	s_delay_alu instid0(VALU_DEP_1) | instskip(NEXT) | instid1(VALU_DEP_1)
	v_div_fmas_f64 v[44:45], v[44:45], v[46:47], v[102:103]
	v_div_fixup_f64 v[110:111], v[44:45], v[42:43], 1.0
	s_delay_alu instid0(VALU_DEP_1)
	v_mul_f64 v[108:109], v[40:41], v[110:111]
	v_xor_b32_e32 v111, 0x80000000, v111
.LBB52_70:
	s_and_not1_saveexec_b32 s2, s2
	s_cbranch_execz .LBB52_72
; %bb.71:
	s_delay_alu instid0(VALU_DEP_1) | instskip(SKIP_1) | instid1(VALU_DEP_2)
	v_div_scale_f64 v[40:41], null, v[108:109], v[108:109], v[110:111]
	v_div_scale_f64 v[46:47], vcc_lo, v[110:111], v[108:109], v[110:111]
	v_rcp_f64_e32 v[42:43], v[40:41]
	s_waitcnt_depctr 0xfff
	v_fma_f64 v[44:45], -v[40:41], v[42:43], 1.0
	s_delay_alu instid0(VALU_DEP_1) | instskip(NEXT) | instid1(VALU_DEP_1)
	v_fma_f64 v[42:43], v[42:43], v[44:45], v[42:43]
	v_fma_f64 v[44:45], -v[40:41], v[42:43], 1.0
	s_delay_alu instid0(VALU_DEP_1) | instskip(NEXT) | instid1(VALU_DEP_1)
	v_fma_f64 v[42:43], v[42:43], v[44:45], v[42:43]
	v_mul_f64 v[44:45], v[46:47], v[42:43]
	s_delay_alu instid0(VALU_DEP_1) | instskip(NEXT) | instid1(VALU_DEP_1)
	v_fma_f64 v[40:41], -v[40:41], v[44:45], v[46:47]
	v_div_fmas_f64 v[40:41], v[40:41], v[42:43], v[44:45]
	s_delay_alu instid0(VALU_DEP_1) | instskip(NEXT) | instid1(VALU_DEP_1)
	v_div_fixup_f64 v[40:41], v[40:41], v[108:109], v[110:111]
	v_fma_f64 v[42:43], v[110:111], v[40:41], v[108:109]
	s_delay_alu instid0(VALU_DEP_1) | instskip(NEXT) | instid1(VALU_DEP_1)
	v_div_scale_f64 v[44:45], null, v[42:43], v[42:43], 1.0
	v_rcp_f64_e32 v[46:47], v[44:45]
	s_waitcnt_depctr 0xfff
	v_fma_f64 v[100:101], -v[44:45], v[46:47], 1.0
	s_delay_alu instid0(VALU_DEP_1) | instskip(NEXT) | instid1(VALU_DEP_1)
	v_fma_f64 v[46:47], v[46:47], v[100:101], v[46:47]
	v_fma_f64 v[100:101], -v[44:45], v[46:47], 1.0
	s_delay_alu instid0(VALU_DEP_1) | instskip(SKIP_1) | instid1(VALU_DEP_1)
	v_fma_f64 v[46:47], v[46:47], v[100:101], v[46:47]
	v_div_scale_f64 v[100:101], vcc_lo, 1.0, v[42:43], 1.0
	v_mul_f64 v[102:103], v[100:101], v[46:47]
	s_delay_alu instid0(VALU_DEP_1) | instskip(NEXT) | instid1(VALU_DEP_1)
	v_fma_f64 v[44:45], -v[44:45], v[102:103], v[100:101]
	v_div_fmas_f64 v[44:45], v[44:45], v[46:47], v[102:103]
	s_delay_alu instid0(VALU_DEP_1) | instskip(NEXT) | instid1(VALU_DEP_1)
	v_div_fixup_f64 v[108:109], v[44:45], v[42:43], 1.0
	v_mul_f64 v[110:111], v[40:41], -v[108:109]
.LBB52_72:
	s_or_b32 exec_lo, exec_lo, s2
.LBB52_73:
	s_delay_alu instid0(SALU_CYCLE_1) | instskip(NEXT) | instid1(SALU_CYCLE_1)
	s_or_b32 exec_lo, exec_lo, s3
	s_mov_b32 s2, exec_lo
	v_cmpx_ne_u32_e64 v124, v116
	s_xor_b32 s2, exec_lo, s2
	s_cbranch_execz .LBB52_79
; %bb.74:
	s_mov_b32 s3, exec_lo
	v_cmpx_eq_u32_e32 3, v124
	s_cbranch_execz .LBB52_78
; %bb.75:
	v_cmp_ne_u32_e32 vcc_lo, 3, v116
	s_xor_b32 s6, s4, -1
	s_delay_alu instid0(SALU_CYCLE_1) | instskip(NEXT) | instid1(SALU_CYCLE_1)
	s_and_b32 s7, s6, vcc_lo
	s_and_saveexec_b32 s6, s7
	s_cbranch_execz .LBB52_77
; %bb.76:
	scratch_load_b64 v[44:45], off, off offset:48 ; 8-byte Folded Reload
	v_ashrrev_i32_e32 v117, 31, v116
	s_delay_alu instid0(VALU_DEP_1) | instskip(SKIP_1) | instid1(VALU_DEP_1)
	v_lshlrev_b64 v[40:41], 2, v[116:117]
	s_waitcnt vmcnt(0)
	v_add_co_u32 v40, vcc_lo, v44, v40
	s_delay_alu instid0(VALU_DEP_2)
	v_add_co_ci_u32_e32 v41, vcc_lo, v45, v41, vcc_lo
	s_clause 0x1
	flat_load_b32 v42, v[40:41]
	flat_load_b32 v43, v[44:45] offset:12
	s_waitcnt vmcnt(1) lgkmcnt(1)
	flat_store_b32 v[44:45], v42 offset:12
	s_waitcnt vmcnt(0) lgkmcnt(1)
	flat_store_b32 v[40:41], v43
.LBB52_77:
	s_or_b32 exec_lo, exec_lo, s6
	v_mov_b32_e32 v124, v116
	v_mov_b32_e32 v119, v116
.LBB52_78:
	s_or_b32 exec_lo, exec_lo, s3
.LBB52_79:
	s_and_not1_saveexec_b32 s2, s2
	s_cbranch_execz .LBB52_81
; %bb.80:
	ds_store_2addr_b64 v118, v[60:61], v[62:63] offset0:8 offset1:9
	ds_store_2addr_b64 v118, v[88:89], v[90:91] offset0:10 offset1:11
	s_clause 0x1
	scratch_load_b128 v[40:43], off, off offset:32
	scratch_load_b128 v[0:3], off, off offset:16
	v_mov_b32_e32 v124, 3
	s_waitcnt vmcnt(1)
	ds_store_2addr_b64 v118, v[40:41], v[42:43] offset0:12 offset1:13
	s_waitcnt vmcnt(0)
	ds_store_2addr_b64 v118, v[0:1], v[2:3] offset0:14 offset1:15
	ds_store_2addr_b64 v118, v[84:85], v[86:87] offset0:16 offset1:17
	;; [unrolled: 1-line block ×5, first 2 shown]
	scratch_load_b128 v[0:3], off, off      ; 16-byte Folded Reload
	s_waitcnt vmcnt(0)
	ds_store_2addr_b64 v118, v[0:1], v[2:3] offset0:24 offset1:25
	ds_store_2addr_b64 v118, v[235:236], v[237:238] offset0:26 offset1:27
	;; [unrolled: 1-line block ×15, first 2 shown]
.LBB52_81:
	s_or_b32 exec_lo, exec_lo, s2
	s_delay_alu instid0(SALU_CYCLE_1)
	s_mov_b32 s2, exec_lo
	s_waitcnt lgkmcnt(0)
	s_waitcnt_vscnt null, 0x0
	s_barrier
	buffer_gl0_inv
	v_cmpx_lt_i32_e32 3, v124
	s_cbranch_execz .LBB52_83
; %bb.82:
	v_mul_f64 v[42:43], v[108:109], v[233:234]
	v_mul_f64 v[40:41], v[110:111], v[233:234]
	v_dual_mov_b32 v200, v99 :: v_dual_mov_b32 v199, v98
	v_dual_mov_b32 v198, v97 :: v_dual_mov_b32 v197, v96
	s_delay_alu instid0(VALU_DEP_4) | instskip(NEXT) | instid1(VALU_DEP_4)
	v_fma_f64 v[233:234], v[110:111], v[231:232], v[42:43]
	v_fma_f64 v[40:41], v[108:109], v[231:232], -v[40:41]
	ds_load_2addr_b64 v[108:111], v118 offset0:8 offset1:9
	ds_load_2addr_b64 v[125:128], v118 offset0:10 offset1:11
	s_waitcnt lgkmcnt(1)
	v_mul_f64 v[42:43], v[110:111], v[233:234]
	v_mul_f64 v[44:45], v[108:109], v[233:234]
	s_waitcnt lgkmcnt(0)
	v_mul_f64 v[46:47], v[127:128], v[233:234]
	v_mul_f64 v[96:97], v[125:126], v[233:234]
	v_dual_mov_b32 v232, v41 :: v_dual_mov_b32 v231, v40
	v_fma_f64 v[42:43], v[108:109], v[40:41], -v[42:43]
	v_fma_f64 v[44:45], v[110:111], v[40:41], v[44:45]
	v_fma_f64 v[46:47], v[125:126], v[40:41], -v[46:47]
	v_fma_f64 v[96:97], v[127:128], v[40:41], v[96:97]
	ds_load_2addr_b64 v[108:111], v118 offset0:12 offset1:13
	ds_load_2addr_b64 v[125:128], v118 offset0:14 offset1:15
	s_waitcnt lgkmcnt(1)
	v_mul_f64 v[100:101], v[110:111], v[233:234]
	v_mul_f64 v[102:103], v[108:109], v[233:234]
	v_add_f64 v[60:61], v[60:61], -v[42:43]
	v_add_f64 v[62:63], v[62:63], -v[44:45]
	;; [unrolled: 1-line block ×4, first 2 shown]
	v_dual_mov_b32 v96, v197 :: v_dual_mov_b32 v97, v198
	v_dual_mov_b32 v98, v199 :: v_dual_mov_b32 v99, v200
	v_fma_f64 v[100:101], v[108:109], v[40:41], -v[100:101]
	s_waitcnt lgkmcnt(0)
	v_mul_f64 v[108:109], v[127:128], v[233:234]
	v_fma_f64 v[102:103], v[110:111], v[40:41], v[102:103]
	s_delay_alu instid0(VALU_DEP_2) | instskip(SKIP_1) | instid1(VALU_DEP_1)
	v_fma_f64 v[112:113], v[125:126], v[40:41], -v[108:109]
	v_mul_f64 v[108:109], v[125:126], v[233:234]
	v_fma_f64 v[114:115], v[127:128], v[40:41], v[108:109]
	ds_load_2addr_b64 v[108:111], v118 offset0:16 offset1:17
	ds_load_2addr_b64 v[125:128], v118 offset0:18 offset1:19
	s_waitcnt lgkmcnt(1)
	v_mul_f64 v[116:117], v[110:111], v[233:234]
	s_delay_alu instid0(VALU_DEP_1) | instskip(SKIP_1) | instid1(VALU_DEP_2)
	v_fma_f64 v[116:117], v[108:109], v[40:41], -v[116:117]
	v_mul_f64 v[108:109], v[108:109], v[233:234]
	v_add_f64 v[84:85], v[84:85], -v[116:117]
	s_delay_alu instid0(VALU_DEP_2) | instskip(SKIP_2) | instid1(VALU_DEP_2)
	v_fma_f64 v[129:130], v[110:111], v[40:41], v[108:109]
	s_waitcnt lgkmcnt(0)
	v_mul_f64 v[108:109], v[127:128], v[233:234]
	v_add_f64 v[86:87], v[86:87], -v[129:130]
	s_delay_alu instid0(VALU_DEP_2) | instskip(SKIP_1) | instid1(VALU_DEP_2)
	v_fma_f64 v[131:132], v[125:126], v[40:41], -v[108:109]
	v_mul_f64 v[108:109], v[125:126], v[233:234]
	v_add_f64 v[80:81], v[80:81], -v[131:132]
	s_delay_alu instid0(VALU_DEP_2)
	v_fma_f64 v[133:134], v[127:128], v[40:41], v[108:109]
	ds_load_2addr_b64 v[108:111], v118 offset0:20 offset1:21
	ds_load_2addr_b64 v[125:128], v118 offset0:22 offset1:23
	s_waitcnt lgkmcnt(1)
	v_mul_f64 v[135:136], v[110:111], v[233:234]
	v_add_f64 v[82:83], v[82:83], -v[133:134]
	s_delay_alu instid0(VALU_DEP_2) | instskip(SKIP_1) | instid1(VALU_DEP_2)
	v_fma_f64 v[135:136], v[108:109], v[40:41], -v[135:136]
	v_mul_f64 v[108:109], v[108:109], v[233:234]
	v_add_f64 v[68:69], v[68:69], -v[135:136]
	s_delay_alu instid0(VALU_DEP_2) | instskip(SKIP_2) | instid1(VALU_DEP_2)
	v_fma_f64 v[137:138], v[110:111], v[40:41], v[108:109]
	s_waitcnt lgkmcnt(0)
	v_mul_f64 v[108:109], v[127:128], v[233:234]
	v_add_f64 v[70:71], v[70:71], -v[137:138]
	s_delay_alu instid0(VALU_DEP_2) | instskip(SKIP_1) | instid1(VALU_DEP_2)
	v_fma_f64 v[139:140], v[125:126], v[40:41], -v[108:109]
	v_mul_f64 v[108:109], v[125:126], v[233:234]
	v_add_f64 v[64:65], v[64:65], -v[139:140]
	s_delay_alu instid0(VALU_DEP_2)
	v_fma_f64 v[141:142], v[127:128], v[40:41], v[108:109]
	ds_load_2addr_b64 v[108:111], v118 offset0:24 offset1:25
	ds_load_2addr_b64 v[125:128], v118 offset0:26 offset1:27
	s_waitcnt lgkmcnt(1)
	v_mul_f64 v[143:144], v[110:111], v[233:234]
	v_add_f64 v[66:67], v[66:67], -v[141:142]
	s_delay_alu instid0(VALU_DEP_2) | instskip(SKIP_1) | instid1(VALU_DEP_1)
	v_fma_f64 v[143:144], v[108:109], v[40:41], -v[143:144]
	v_mul_f64 v[108:109], v[108:109], v[233:234]
	v_fma_f64 v[145:146], v[110:111], v[40:41], v[108:109]
	s_waitcnt lgkmcnt(0)
	v_mul_f64 v[108:109], v[127:128], v[233:234]
	s_delay_alu instid0(VALU_DEP_1) | instskip(SKIP_1) | instid1(VALU_DEP_2)
	v_fma_f64 v[147:148], v[125:126], v[40:41], -v[108:109]
	v_mul_f64 v[108:109], v[125:126], v[233:234]
	v_add_f64 v[235:236], v[235:236], -v[147:148]
	s_delay_alu instid0(VALU_DEP_2)
	v_fma_f64 v[149:150], v[127:128], v[40:41], v[108:109]
	ds_load_2addr_b64 v[108:111], v118 offset0:28 offset1:29
	ds_load_2addr_b64 v[125:128], v118 offset0:30 offset1:31
	s_waitcnt lgkmcnt(1)
	v_mul_f64 v[151:152], v[110:111], v[233:234]
	v_add_f64 v[237:238], v[237:238], -v[149:150]
	s_delay_alu instid0(VALU_DEP_2) | instskip(SKIP_1) | instid1(VALU_DEP_2)
	v_fma_f64 v[151:152], v[108:109], v[40:41], -v[151:152]
	v_mul_f64 v[108:109], v[108:109], v[233:234]
	v_add_f64 v[239:240], v[239:240], -v[151:152]
	s_delay_alu instid0(VALU_DEP_2) | instskip(SKIP_2) | instid1(VALU_DEP_2)
	v_fma_f64 v[153:154], v[110:111], v[40:41], v[108:109]
	s_waitcnt lgkmcnt(0)
	v_mul_f64 v[108:109], v[127:128], v[233:234]
	v_add_f64 v[241:242], v[241:242], -v[153:154]
	s_delay_alu instid0(VALU_DEP_2) | instskip(SKIP_1) | instid1(VALU_DEP_2)
	v_fma_f64 v[155:156], v[125:126], v[40:41], -v[108:109]
	v_mul_f64 v[108:109], v[125:126], v[233:234]
	v_add_f64 v[48:49], v[48:49], -v[155:156]
	s_delay_alu instid0(VALU_DEP_2)
	v_fma_f64 v[157:158], v[127:128], v[40:41], v[108:109]
	ds_load_2addr_b64 v[108:111], v118 offset0:32 offset1:33
	ds_load_2addr_b64 v[125:128], v118 offset0:34 offset1:35
	s_waitcnt lgkmcnt(1)
	v_mul_f64 v[159:160], v[110:111], v[233:234]
	v_add_f64 v[50:51], v[50:51], -v[157:158]
	s_delay_alu instid0(VALU_DEP_2) | instskip(SKIP_1) | instid1(VALU_DEP_2)
	v_fma_f64 v[159:160], v[108:109], v[40:41], -v[159:160]
	v_mul_f64 v[108:109], v[108:109], v[233:234]
	v_add_f64 v[52:53], v[52:53], -v[159:160]
	s_delay_alu instid0(VALU_DEP_2) | instskip(SKIP_2) | instid1(VALU_DEP_2)
	v_fma_f64 v[161:162], v[110:111], v[40:41], v[108:109]
	s_waitcnt lgkmcnt(0)
	v_mul_f64 v[108:109], v[127:128], v[233:234]
	v_add_f64 v[54:55], v[54:55], -v[161:162]
	s_delay_alu instid0(VALU_DEP_2) | instskip(SKIP_1) | instid1(VALU_DEP_2)
	;; [unrolled: 20-line block ×5, first 2 shown]
	v_fma_f64 v[187:188], v[125:126], v[40:41], -v[108:109]
	v_mul_f64 v[108:109], v[125:126], v[233:234]
	v_add_f64 v[12:13], v[12:13], -v[187:188]
	s_delay_alu instid0(VALU_DEP_2)
	v_fma_f64 v[189:190], v[127:128], v[40:41], v[108:109]
	ds_load_2addr_b64 v[108:111], v118 offset0:48 offset1:49
	ds_load_2addr_b64 v[125:128], v118 offset0:50 offset1:51
	s_clause 0x1
	scratch_load_b128 v[0:3], off, off offset:16
	scratch_load_b128 v[42:45], off, off offset:32
	s_waitcnt lgkmcnt(1)
	v_mul_f64 v[191:192], v[110:111], v[233:234]
	v_add_f64 v[14:15], v[14:15], -v[189:190]
	s_delay_alu instid0(VALU_DEP_2) | instskip(SKIP_1) | instid1(VALU_DEP_2)
	v_fma_f64 v[191:192], v[108:109], v[40:41], -v[191:192]
	v_mul_f64 v[108:109], v[108:109], v[233:234]
	v_add_f64 v[8:9], v[8:9], -v[191:192]
	s_delay_alu instid0(VALU_DEP_2) | instskip(SKIP_2) | instid1(VALU_DEP_2)
	v_fma_f64 v[193:194], v[110:111], v[40:41], v[108:109]
	s_waitcnt lgkmcnt(0)
	v_mul_f64 v[108:109], v[127:128], v[233:234]
	v_add_f64 v[10:11], v[10:11], -v[193:194]
	s_delay_alu instid0(VALU_DEP_2) | instskip(SKIP_1) | instid1(VALU_DEP_2)
	v_fma_f64 v[195:196], v[125:126], v[40:41], -v[108:109]
	v_mul_f64 v[108:109], v[125:126], v[233:234]
	v_add_f64 v[4:5], v[4:5], -v[195:196]
	s_delay_alu instid0(VALU_DEP_2) | instskip(SKIP_4) | instid1(VALU_DEP_2)
	v_fma_f64 v[125:126], v[127:128], v[40:41], v[108:109]
	ds_load_2addr_b64 v[108:111], v118 offset0:52 offset1:53
	s_waitcnt lgkmcnt(0)
	v_mul_f64 v[127:128], v[110:111], v[233:234]
	v_add_f64 v[6:7], v[6:7], -v[125:126]
	v_fma_f64 v[127:128], v[108:109], v[40:41], -v[127:128]
	v_mul_f64 v[108:109], v[108:109], v[233:234]
	s_delay_alu instid0(VALU_DEP_2) | instskip(NEXT) | instid1(VALU_DEP_2)
	v_add_f64 v[252:253], v[252:253], -v[127:128]
	v_fma_f64 v[108:109], v[110:111], v[40:41], v[108:109]
	s_delay_alu instid0(VALU_DEP_1)
	v_add_f64 v[254:255], v[254:255], -v[108:109]
	s_waitcnt vmcnt(1)
	v_add_f64 v[0:1], v[0:1], -v[112:113]
	v_add_f64 v[2:3], v[2:3], -v[114:115]
	scratch_store_b128 off, v[0:3], off offset:16 ; 16-byte Folded Spill
	scratch_load_b128 v[0:3], off, off      ; 16-byte Folded Reload
	s_waitcnt vmcnt(1)
	v_add_f64 v[42:43], v[42:43], -v[100:101]
	v_add_f64 v[44:45], v[44:45], -v[102:103]
	s_waitcnt vmcnt(0)
	v_add_f64 v[0:1], v[0:1], -v[143:144]
	v_add_f64 v[2:3], v[2:3], -v[145:146]
	s_clause 0x1
	scratch_store_b128 off, v[42:45], off offset:32
	scratch_store_b128 off, v[0:3], off
.LBB52_83:
	s_or_b32 exec_lo, exec_lo, s2
	v_lshl_add_u32 v40, v124, 4, v118
	s_waitcnt_vscnt null, 0x0
	s_barrier
	buffer_gl0_inv
	v_mov_b32_e32 v116, 4
	ds_store_2addr_b64 v40, v[60:61], v[62:63] offset1:1
	s_waitcnt lgkmcnt(0)
	s_barrier
	buffer_gl0_inv
	ds_load_2addr_b64 v[108:111], v118 offset0:8 offset1:9
	s_cmp_lt_i32 s5, 6
	s_cbranch_scc1 .LBB52_86
; %bb.84:
	v_add3_u32 v117, v120, 0, 0x50
	v_mov_b32_e32 v116, 4
	s_mov_b32 s6, 5
	s_set_inst_prefetch_distance 0x1
	.p2align	6
.LBB52_85:                              ; =>This Inner Loop Header: Depth=1
	ds_load_2addr_b64 v[125:128], v117 offset1:1
	s_waitcnt lgkmcnt(1)
	v_cmp_gt_f64_e32 vcc_lo, 0, v[108:109]
	v_xor_b32_e32 v40, 0x80000000, v109
	v_cmp_gt_f64_e64 s2, 0, v[110:111]
	v_xor_b32_e32 v42, 0x80000000, v111
	v_add_nc_u32_e32 v117, 16, v117
	s_waitcnt lgkmcnt(0)
	v_cmp_gt_f64_e64 s3, 0, v[125:126]
	v_mov_b32_e32 v44, v125
	v_dual_mov_b32 v46, v127 :: v_dual_cndmask_b32 v41, v109, v40
	v_xor_b32_e32 v40, 0x80000000, v126
	v_cndmask_b32_e64 v43, v111, v42, s2
	v_xor_b32_e32 v42, 0x80000000, v128
	s_delay_alu instid0(VALU_DEP_3) | instskip(SKIP_2) | instid1(VALU_DEP_2)
	v_cndmask_b32_e64 v45, v126, v40, s3
	v_cmp_gt_f64_e64 s3, 0, v[127:128]
	v_cndmask_b32_e32 v40, v108, v108, vcc_lo
	v_cndmask_b32_e64 v47, v128, v42, s3
	v_cndmask_b32_e64 v42, v110, v110, s2
	s_delay_alu instid0(VALU_DEP_2) | instskip(NEXT) | instid1(VALU_DEP_2)
	v_add_f64 v[44:45], v[44:45], v[46:47]
	v_add_f64 v[40:41], v[40:41], v[42:43]
	s_delay_alu instid0(VALU_DEP_1) | instskip(SKIP_4) | instid1(SALU_CYCLE_1)
	v_cmp_lt_f64_e32 vcc_lo, v[40:41], v[44:45]
	v_dual_cndmask_b32 v109, v109, v126 :: v_dual_cndmask_b32 v108, v108, v125
	v_dual_cndmask_b32 v111, v111, v128 :: v_dual_cndmask_b32 v110, v110, v127
	v_cndmask_b32_e64 v116, v116, s6, vcc_lo
	s_add_i32 s6, s6, 1
	s_cmp_lg_u32 s5, s6
	s_cbranch_scc1 .LBB52_85
.LBB52_86:
	s_set_inst_prefetch_distance 0x2
	s_waitcnt lgkmcnt(0)
	v_cmp_eq_f64_e32 vcc_lo, 0, v[108:109]
	v_cmp_eq_f64_e64 s2, 0, v[110:111]
	s_delay_alu instid0(VALU_DEP_1) | instskip(NEXT) | instid1(SALU_CYCLE_1)
	s_and_b32 s2, vcc_lo, s2
	s_and_saveexec_b32 s3, s2
	s_delay_alu instid0(SALU_CYCLE_1)
	s_xor_b32 s2, exec_lo, s3
; %bb.87:
	v_cmp_ne_u32_e32 vcc_lo, 0, v123
	v_cndmask_b32_e32 v123, 5, v123, vcc_lo
; %bb.88:
	s_and_not1_saveexec_b32 s3, s2
	s_cbranch_execz .LBB52_94
; %bb.89:
	v_cmp_gt_f64_e32 vcc_lo, 0, v[108:109]
	v_cmp_gt_f64_e64 s2, 0, v[110:111]
	v_xor_b32_e32 v40, 0x80000000, v109
	v_xor_b32_e32 v42, 0x80000000, v111
	s_delay_alu instid0(VALU_DEP_2) | instskip(NEXT) | instid1(VALU_DEP_2)
	v_cndmask_b32_e32 v41, v109, v40, vcc_lo
	v_cndmask_b32_e64 v43, v111, v42, s2
	v_cndmask_b32_e32 v40, v108, v108, vcc_lo
	v_cndmask_b32_e64 v42, v110, v110, s2
	s_mov_b32 s2, exec_lo
	s_delay_alu instid0(VALU_DEP_1)
	v_cmpx_ngt_f64_e32 v[40:41], v[42:43]
	s_xor_b32 s2, exec_lo, s2
	s_cbranch_execz .LBB52_91
; %bb.90:
	v_div_scale_f64 v[40:41], null, v[110:111], v[110:111], v[108:109]
	v_div_scale_f64 v[46:47], vcc_lo, v[108:109], v[110:111], v[108:109]
	s_delay_alu instid0(VALU_DEP_2) | instskip(SKIP_2) | instid1(VALU_DEP_1)
	v_rcp_f64_e32 v[42:43], v[40:41]
	s_waitcnt_depctr 0xfff
	v_fma_f64 v[44:45], -v[40:41], v[42:43], 1.0
	v_fma_f64 v[42:43], v[42:43], v[44:45], v[42:43]
	s_delay_alu instid0(VALU_DEP_1) | instskip(NEXT) | instid1(VALU_DEP_1)
	v_fma_f64 v[44:45], -v[40:41], v[42:43], 1.0
	v_fma_f64 v[42:43], v[42:43], v[44:45], v[42:43]
	s_delay_alu instid0(VALU_DEP_1) | instskip(NEXT) | instid1(VALU_DEP_1)
	v_mul_f64 v[44:45], v[46:47], v[42:43]
	v_fma_f64 v[40:41], -v[40:41], v[44:45], v[46:47]
	s_delay_alu instid0(VALU_DEP_1) | instskip(NEXT) | instid1(VALU_DEP_1)
	v_div_fmas_f64 v[40:41], v[40:41], v[42:43], v[44:45]
	v_div_fixup_f64 v[40:41], v[40:41], v[110:111], v[108:109]
	s_delay_alu instid0(VALU_DEP_1) | instskip(NEXT) | instid1(VALU_DEP_1)
	v_fma_f64 v[42:43], v[108:109], v[40:41], v[110:111]
	v_div_scale_f64 v[44:45], null, v[42:43], v[42:43], 1.0
	s_delay_alu instid0(VALU_DEP_1) | instskip(SKIP_2) | instid1(VALU_DEP_1)
	v_rcp_f64_e32 v[46:47], v[44:45]
	s_waitcnt_depctr 0xfff
	v_fma_f64 v[100:101], -v[44:45], v[46:47], 1.0
	v_fma_f64 v[46:47], v[46:47], v[100:101], v[46:47]
	s_delay_alu instid0(VALU_DEP_1) | instskip(NEXT) | instid1(VALU_DEP_1)
	v_fma_f64 v[100:101], -v[44:45], v[46:47], 1.0
	v_fma_f64 v[46:47], v[46:47], v[100:101], v[46:47]
	v_div_scale_f64 v[100:101], vcc_lo, 1.0, v[42:43], 1.0
	s_delay_alu instid0(VALU_DEP_1) | instskip(NEXT) | instid1(VALU_DEP_1)
	v_mul_f64 v[102:103], v[100:101], v[46:47]
	v_fma_f64 v[44:45], -v[44:45], v[102:103], v[100:101]
	s_delay_alu instid0(VALU_DEP_1) | instskip(NEXT) | instid1(VALU_DEP_1)
	v_div_fmas_f64 v[44:45], v[44:45], v[46:47], v[102:103]
	v_div_fixup_f64 v[110:111], v[44:45], v[42:43], 1.0
	s_delay_alu instid0(VALU_DEP_1)
	v_mul_f64 v[108:109], v[40:41], v[110:111]
	v_xor_b32_e32 v111, 0x80000000, v111
.LBB52_91:
	s_and_not1_saveexec_b32 s2, s2
	s_cbranch_execz .LBB52_93
; %bb.92:
	s_delay_alu instid0(VALU_DEP_1) | instskip(SKIP_1) | instid1(VALU_DEP_2)
	v_div_scale_f64 v[40:41], null, v[108:109], v[108:109], v[110:111]
	v_div_scale_f64 v[46:47], vcc_lo, v[110:111], v[108:109], v[110:111]
	v_rcp_f64_e32 v[42:43], v[40:41]
	s_waitcnt_depctr 0xfff
	v_fma_f64 v[44:45], -v[40:41], v[42:43], 1.0
	s_delay_alu instid0(VALU_DEP_1) | instskip(NEXT) | instid1(VALU_DEP_1)
	v_fma_f64 v[42:43], v[42:43], v[44:45], v[42:43]
	v_fma_f64 v[44:45], -v[40:41], v[42:43], 1.0
	s_delay_alu instid0(VALU_DEP_1) | instskip(NEXT) | instid1(VALU_DEP_1)
	v_fma_f64 v[42:43], v[42:43], v[44:45], v[42:43]
	v_mul_f64 v[44:45], v[46:47], v[42:43]
	s_delay_alu instid0(VALU_DEP_1) | instskip(NEXT) | instid1(VALU_DEP_1)
	v_fma_f64 v[40:41], -v[40:41], v[44:45], v[46:47]
	v_div_fmas_f64 v[40:41], v[40:41], v[42:43], v[44:45]
	s_delay_alu instid0(VALU_DEP_1) | instskip(NEXT) | instid1(VALU_DEP_1)
	v_div_fixup_f64 v[40:41], v[40:41], v[108:109], v[110:111]
	v_fma_f64 v[42:43], v[110:111], v[40:41], v[108:109]
	s_delay_alu instid0(VALU_DEP_1) | instskip(NEXT) | instid1(VALU_DEP_1)
	v_div_scale_f64 v[44:45], null, v[42:43], v[42:43], 1.0
	v_rcp_f64_e32 v[46:47], v[44:45]
	s_waitcnt_depctr 0xfff
	v_fma_f64 v[100:101], -v[44:45], v[46:47], 1.0
	s_delay_alu instid0(VALU_DEP_1) | instskip(NEXT) | instid1(VALU_DEP_1)
	v_fma_f64 v[46:47], v[46:47], v[100:101], v[46:47]
	v_fma_f64 v[100:101], -v[44:45], v[46:47], 1.0
	s_delay_alu instid0(VALU_DEP_1) | instskip(SKIP_1) | instid1(VALU_DEP_1)
	v_fma_f64 v[46:47], v[46:47], v[100:101], v[46:47]
	v_div_scale_f64 v[100:101], vcc_lo, 1.0, v[42:43], 1.0
	v_mul_f64 v[102:103], v[100:101], v[46:47]
	s_delay_alu instid0(VALU_DEP_1) | instskip(NEXT) | instid1(VALU_DEP_1)
	v_fma_f64 v[44:45], -v[44:45], v[102:103], v[100:101]
	v_div_fmas_f64 v[44:45], v[44:45], v[46:47], v[102:103]
	s_delay_alu instid0(VALU_DEP_1) | instskip(NEXT) | instid1(VALU_DEP_1)
	v_div_fixup_f64 v[108:109], v[44:45], v[42:43], 1.0
	v_mul_f64 v[110:111], v[40:41], -v[108:109]
.LBB52_93:
	s_or_b32 exec_lo, exec_lo, s2
.LBB52_94:
	s_delay_alu instid0(SALU_CYCLE_1) | instskip(NEXT) | instid1(SALU_CYCLE_1)
	s_or_b32 exec_lo, exec_lo, s3
	s_mov_b32 s2, exec_lo
	v_cmpx_ne_u32_e64 v124, v116
	s_xor_b32 s2, exec_lo, s2
	s_cbranch_execz .LBB52_100
; %bb.95:
	s_mov_b32 s3, exec_lo
	v_cmpx_eq_u32_e32 4, v124
	s_cbranch_execz .LBB52_99
; %bb.96:
	v_cmp_ne_u32_e32 vcc_lo, 4, v116
	s_xor_b32 s6, s4, -1
	s_delay_alu instid0(SALU_CYCLE_1) | instskip(NEXT) | instid1(SALU_CYCLE_1)
	s_and_b32 s7, s6, vcc_lo
	s_and_saveexec_b32 s6, s7
	s_cbranch_execz .LBB52_98
; %bb.97:
	scratch_load_b64 v[44:45], off, off offset:48 ; 8-byte Folded Reload
	v_ashrrev_i32_e32 v117, 31, v116
	s_delay_alu instid0(VALU_DEP_1) | instskip(SKIP_1) | instid1(VALU_DEP_1)
	v_lshlrev_b64 v[40:41], 2, v[116:117]
	s_waitcnt vmcnt(0)
	v_add_co_u32 v40, vcc_lo, v44, v40
	s_delay_alu instid0(VALU_DEP_2)
	v_add_co_ci_u32_e32 v41, vcc_lo, v45, v41, vcc_lo
	s_clause 0x1
	flat_load_b32 v42, v[40:41]
	flat_load_b32 v43, v[44:45] offset:16
	s_waitcnt vmcnt(1) lgkmcnt(1)
	flat_store_b32 v[44:45], v42 offset:16
	s_waitcnt vmcnt(0) lgkmcnt(1)
	flat_store_b32 v[40:41], v43
.LBB52_98:
	s_or_b32 exec_lo, exec_lo, s6
	v_mov_b32_e32 v124, v116
	v_mov_b32_e32 v119, v116
.LBB52_99:
	s_or_b32 exec_lo, exec_lo, s3
.LBB52_100:
	s_and_not1_saveexec_b32 s2, s2
	s_cbranch_execz .LBB52_102
; %bb.101:
	s_clause 0x1
	scratch_load_b128 v[40:43], off, off offset:32
	scratch_load_b128 v[0:3], off, off offset:16
	ds_store_2addr_b64 v118, v[88:89], v[90:91] offset0:10 offset1:11
	v_mov_b32_e32 v124, 4
	s_waitcnt vmcnt(1)
	ds_store_2addr_b64 v118, v[40:41], v[42:43] offset0:12 offset1:13
	s_waitcnt vmcnt(0)
	ds_store_2addr_b64 v118, v[0:1], v[2:3] offset0:14 offset1:15
	ds_store_2addr_b64 v118, v[84:85], v[86:87] offset0:16 offset1:17
	ds_store_2addr_b64 v118, v[80:81], v[82:83] offset0:18 offset1:19
	ds_store_2addr_b64 v118, v[68:69], v[70:71] offset0:20 offset1:21
	ds_store_2addr_b64 v118, v[64:65], v[66:67] offset0:22 offset1:23
	scratch_load_b128 v[0:3], off, off      ; 16-byte Folded Reload
	s_waitcnt vmcnt(0)
	ds_store_2addr_b64 v118, v[0:1], v[2:3] offset0:24 offset1:25
	ds_store_2addr_b64 v118, v[235:236], v[237:238] offset0:26 offset1:27
	;; [unrolled: 1-line block ×15, first 2 shown]
.LBB52_102:
	s_or_b32 exec_lo, exec_lo, s2
	s_delay_alu instid0(SALU_CYCLE_1)
	s_mov_b32 s2, exec_lo
	s_waitcnt lgkmcnt(0)
	s_waitcnt_vscnt null, 0x0
	s_barrier
	buffer_gl0_inv
	v_cmpx_lt_i32_e32 4, v124
	s_cbranch_execz .LBB52_104
; %bb.103:
	v_mul_f64 v[42:43], v[108:109], v[62:63]
	v_mul_f64 v[40:41], v[110:111], v[62:63]
	s_delay_alu instid0(VALU_DEP_2) | instskip(NEXT) | instid1(VALU_DEP_2)
	v_fma_f64 v[62:63], v[110:111], v[60:61], v[42:43]
	v_fma_f64 v[40:41], v[108:109], v[60:61], -v[40:41]
	ds_load_2addr_b64 v[108:111], v118 offset0:10 offset1:11
	ds_load_2addr_b64 v[125:128], v118 offset0:12 offset1:13
	s_waitcnt lgkmcnt(1)
	v_mul_f64 v[42:43], v[110:111], v[62:63]
	v_mul_f64 v[44:45], v[108:109], v[62:63]
	s_waitcnt lgkmcnt(0)
	v_mul_f64 v[46:47], v[127:128], v[62:63]
	v_mul_f64 v[100:101], v[125:126], v[62:63]
	v_dual_mov_b32 v61, v41 :: v_dual_mov_b32 v60, v40
	v_fma_f64 v[42:43], v[108:109], v[40:41], -v[42:43]
	v_fma_f64 v[44:45], v[110:111], v[40:41], v[44:45]
	v_fma_f64 v[46:47], v[125:126], v[40:41], -v[46:47]
	v_fma_f64 v[100:101], v[127:128], v[40:41], v[100:101]
	ds_load_2addr_b64 v[108:111], v118 offset0:14 offset1:15
	ds_load_2addr_b64 v[125:128], v118 offset0:16 offset1:17
	s_waitcnt lgkmcnt(1)
	v_mul_f64 v[102:103], v[110:111], v[62:63]
	v_mul_f64 v[104:105], v[108:109], v[62:63]
	v_add_f64 v[88:89], v[88:89], -v[42:43]
	v_add_f64 v[90:91], v[90:91], -v[44:45]
	s_delay_alu instid0(VALU_DEP_4) | instskip(SKIP_3) | instid1(VALU_DEP_2)
	v_fma_f64 v[102:103], v[108:109], v[40:41], -v[102:103]
	s_waitcnt lgkmcnt(0)
	v_mul_f64 v[108:109], v[127:128], v[62:63]
	v_fma_f64 v[104:105], v[110:111], v[40:41], v[104:105]
	v_fma_f64 v[112:113], v[125:126], v[40:41], -v[108:109]
	v_mul_f64 v[108:109], v[125:126], v[62:63]
	s_delay_alu instid0(VALU_DEP_2) | instskip(NEXT) | instid1(VALU_DEP_2)
	v_add_f64 v[84:85], v[84:85], -v[112:113]
	v_fma_f64 v[114:115], v[127:128], v[40:41], v[108:109]
	ds_load_2addr_b64 v[108:111], v118 offset0:18 offset1:19
	ds_load_2addr_b64 v[125:128], v118 offset0:20 offset1:21
	s_waitcnt lgkmcnt(1)
	v_mul_f64 v[116:117], v[110:111], v[62:63]
	v_add_f64 v[86:87], v[86:87], -v[114:115]
	s_delay_alu instid0(VALU_DEP_2) | instskip(SKIP_1) | instid1(VALU_DEP_2)
	v_fma_f64 v[116:117], v[108:109], v[40:41], -v[116:117]
	v_mul_f64 v[108:109], v[108:109], v[62:63]
	v_add_f64 v[80:81], v[80:81], -v[116:117]
	s_delay_alu instid0(VALU_DEP_2) | instskip(SKIP_2) | instid1(VALU_DEP_2)
	v_fma_f64 v[129:130], v[110:111], v[40:41], v[108:109]
	s_waitcnt lgkmcnt(0)
	v_mul_f64 v[108:109], v[127:128], v[62:63]
	v_add_f64 v[82:83], v[82:83], -v[129:130]
	s_delay_alu instid0(VALU_DEP_2) | instskip(SKIP_1) | instid1(VALU_DEP_2)
	v_fma_f64 v[131:132], v[125:126], v[40:41], -v[108:109]
	v_mul_f64 v[108:109], v[125:126], v[62:63]
	v_add_f64 v[68:69], v[68:69], -v[131:132]
	s_delay_alu instid0(VALU_DEP_2)
	v_fma_f64 v[133:134], v[127:128], v[40:41], v[108:109]
	ds_load_2addr_b64 v[108:111], v118 offset0:22 offset1:23
	ds_load_2addr_b64 v[125:128], v118 offset0:24 offset1:25
	s_waitcnt lgkmcnt(1)
	v_mul_f64 v[135:136], v[110:111], v[62:63]
	v_add_f64 v[70:71], v[70:71], -v[133:134]
	s_delay_alu instid0(VALU_DEP_2) | instskip(SKIP_1) | instid1(VALU_DEP_2)
	v_fma_f64 v[135:136], v[108:109], v[40:41], -v[135:136]
	v_mul_f64 v[108:109], v[108:109], v[62:63]
	v_add_f64 v[64:65], v[64:65], -v[135:136]
	s_delay_alu instid0(VALU_DEP_2) | instskip(SKIP_2) | instid1(VALU_DEP_2)
	v_fma_f64 v[137:138], v[110:111], v[40:41], v[108:109]
	s_waitcnt lgkmcnt(0)
	v_mul_f64 v[108:109], v[127:128], v[62:63]
	v_add_f64 v[66:67], v[66:67], -v[137:138]
	s_delay_alu instid0(VALU_DEP_2) | instskip(SKIP_1) | instid1(VALU_DEP_1)
	v_fma_f64 v[139:140], v[125:126], v[40:41], -v[108:109]
	v_mul_f64 v[108:109], v[125:126], v[62:63]
	v_fma_f64 v[141:142], v[127:128], v[40:41], v[108:109]
	ds_load_2addr_b64 v[108:111], v118 offset0:26 offset1:27
	ds_load_2addr_b64 v[125:128], v118 offset0:28 offset1:29
	s_waitcnt lgkmcnt(1)
	v_mul_f64 v[143:144], v[110:111], v[62:63]
	s_delay_alu instid0(VALU_DEP_1) | instskip(SKIP_1) | instid1(VALU_DEP_2)
	v_fma_f64 v[143:144], v[108:109], v[40:41], -v[143:144]
	v_mul_f64 v[108:109], v[108:109], v[62:63]
	v_add_f64 v[235:236], v[235:236], -v[143:144]
	s_delay_alu instid0(VALU_DEP_2) | instskip(SKIP_2) | instid1(VALU_DEP_2)
	v_fma_f64 v[145:146], v[110:111], v[40:41], v[108:109]
	s_waitcnt lgkmcnt(0)
	v_mul_f64 v[108:109], v[127:128], v[62:63]
	v_add_f64 v[237:238], v[237:238], -v[145:146]
	s_delay_alu instid0(VALU_DEP_2) | instskip(SKIP_1) | instid1(VALU_DEP_2)
	v_fma_f64 v[147:148], v[125:126], v[40:41], -v[108:109]
	v_mul_f64 v[108:109], v[125:126], v[62:63]
	v_add_f64 v[239:240], v[239:240], -v[147:148]
	s_delay_alu instid0(VALU_DEP_2)
	v_fma_f64 v[149:150], v[127:128], v[40:41], v[108:109]
	ds_load_2addr_b64 v[108:111], v118 offset0:30 offset1:31
	ds_load_2addr_b64 v[125:128], v118 offset0:32 offset1:33
	s_waitcnt lgkmcnt(1)
	v_mul_f64 v[151:152], v[110:111], v[62:63]
	v_add_f64 v[241:242], v[241:242], -v[149:150]
	s_delay_alu instid0(VALU_DEP_2) | instskip(SKIP_1) | instid1(VALU_DEP_2)
	v_fma_f64 v[151:152], v[108:109], v[40:41], -v[151:152]
	v_mul_f64 v[108:109], v[108:109], v[62:63]
	v_add_f64 v[48:49], v[48:49], -v[151:152]
	s_delay_alu instid0(VALU_DEP_2) | instskip(SKIP_2) | instid1(VALU_DEP_2)
	v_fma_f64 v[153:154], v[110:111], v[40:41], v[108:109]
	s_waitcnt lgkmcnt(0)
	v_mul_f64 v[108:109], v[127:128], v[62:63]
	v_add_f64 v[50:51], v[50:51], -v[153:154]
	s_delay_alu instid0(VALU_DEP_2) | instskip(SKIP_1) | instid1(VALU_DEP_2)
	v_fma_f64 v[155:156], v[125:126], v[40:41], -v[108:109]
	v_mul_f64 v[108:109], v[125:126], v[62:63]
	v_add_f64 v[52:53], v[52:53], -v[155:156]
	s_delay_alu instid0(VALU_DEP_2)
	v_fma_f64 v[157:158], v[127:128], v[40:41], v[108:109]
	ds_load_2addr_b64 v[108:111], v118 offset0:34 offset1:35
	ds_load_2addr_b64 v[125:128], v118 offset0:36 offset1:37
	s_waitcnt lgkmcnt(1)
	v_mul_f64 v[159:160], v[110:111], v[62:63]
	v_add_f64 v[54:55], v[54:55], -v[157:158]
	s_delay_alu instid0(VALU_DEP_2) | instskip(SKIP_1) | instid1(VALU_DEP_2)
	;; [unrolled: 20-line block ×5, first 2 shown]
	v_fma_f64 v[183:184], v[108:109], v[40:41], -v[183:184]
	v_mul_f64 v[108:109], v[108:109], v[62:63]
	v_add_f64 v[12:13], v[12:13], -v[183:184]
	s_delay_alu instid0(VALU_DEP_2) | instskip(SKIP_2) | instid1(VALU_DEP_2)
	v_fma_f64 v[185:186], v[110:111], v[40:41], v[108:109]
	s_waitcnt lgkmcnt(0)
	v_mul_f64 v[108:109], v[127:128], v[62:63]
	v_add_f64 v[14:15], v[14:15], -v[185:186]
	s_delay_alu instid0(VALU_DEP_2) | instskip(SKIP_1) | instid1(VALU_DEP_2)
	v_fma_f64 v[187:188], v[125:126], v[40:41], -v[108:109]
	v_mul_f64 v[108:109], v[125:126], v[62:63]
	v_add_f64 v[8:9], v[8:9], -v[187:188]
	s_delay_alu instid0(VALU_DEP_2)
	v_fma_f64 v[189:190], v[127:128], v[40:41], v[108:109]
	ds_load_2addr_b64 v[108:111], v118 offset0:50 offset1:51
	ds_load_2addr_b64 v[125:128], v118 offset0:52 offset1:53
	s_clause 0x1
	scratch_load_b128 v[0:3], off, off offset:16
	scratch_load_b128 v[42:45], off, off offset:32
	s_waitcnt lgkmcnt(1)
	v_mul_f64 v[191:192], v[110:111], v[62:63]
	v_add_f64 v[10:11], v[10:11], -v[189:190]
	s_delay_alu instid0(VALU_DEP_2) | instskip(SKIP_1) | instid1(VALU_DEP_2)
	v_fma_f64 v[191:192], v[108:109], v[40:41], -v[191:192]
	v_mul_f64 v[108:109], v[108:109], v[62:63]
	v_add_f64 v[4:5], v[4:5], -v[191:192]
	s_delay_alu instid0(VALU_DEP_2) | instskip(SKIP_2) | instid1(VALU_DEP_2)
	v_fma_f64 v[108:109], v[110:111], v[40:41], v[108:109]
	s_waitcnt lgkmcnt(0)
	v_mul_f64 v[110:111], v[127:128], v[62:63]
	v_add_f64 v[6:7], v[6:7], -v[108:109]
	s_delay_alu instid0(VALU_DEP_2) | instskip(SKIP_1) | instid1(VALU_DEP_2)
	v_fma_f64 v[110:111], v[125:126], v[40:41], -v[110:111]
	v_mul_f64 v[125:126], v[125:126], v[62:63]
	v_add_f64 v[252:253], v[252:253], -v[110:111]
	s_delay_alu instid0(VALU_DEP_2) | instskip(NEXT) | instid1(VALU_DEP_1)
	v_fma_f64 v[125:126], v[127:128], v[40:41], v[125:126]
	v_add_f64 v[254:255], v[254:255], -v[125:126]
	s_waitcnt vmcnt(1)
	v_add_f64 v[0:1], v[0:1], -v[102:103]
	v_add_f64 v[2:3], v[2:3], -v[104:105]
	scratch_store_b128 off, v[0:3], off offset:16 ; 16-byte Folded Spill
	scratch_load_b128 v[0:3], off, off      ; 16-byte Folded Reload
	s_waitcnt vmcnt(1)
	v_add_f64 v[42:43], v[42:43], -v[46:47]
	v_add_f64 v[44:45], v[44:45], -v[100:101]
	s_waitcnt vmcnt(0)
	v_add_f64 v[0:1], v[0:1], -v[139:140]
	v_add_f64 v[2:3], v[2:3], -v[141:142]
	s_clause 0x1
	scratch_store_b128 off, v[42:45], off offset:32
	scratch_store_b128 off, v[0:3], off
.LBB52_104:
	s_or_b32 exec_lo, exec_lo, s2
	v_lshl_add_u32 v40, v124, 4, v118
	s_waitcnt_vscnt null, 0x0
	s_barrier
	buffer_gl0_inv
	v_mov_b32_e32 v116, 5
	ds_store_2addr_b64 v40, v[88:89], v[90:91] offset1:1
	s_waitcnt lgkmcnt(0)
	s_barrier
	buffer_gl0_inv
	ds_load_2addr_b64 v[108:111], v118 offset0:10 offset1:11
	s_cmp_lt_i32 s5, 7
	s_cbranch_scc1 .LBB52_107
; %bb.105:
	v_add3_u32 v117, v120, 0, 0x60
	v_mov_b32_e32 v116, 5
	s_mov_b32 s6, 6
	s_set_inst_prefetch_distance 0x1
	.p2align	6
.LBB52_106:                             ; =>This Inner Loop Header: Depth=1
	ds_load_2addr_b64 v[125:128], v117 offset1:1
	s_waitcnt lgkmcnt(1)
	v_cmp_gt_f64_e32 vcc_lo, 0, v[108:109]
	v_xor_b32_e32 v40, 0x80000000, v109
	v_cmp_gt_f64_e64 s2, 0, v[110:111]
	v_xor_b32_e32 v42, 0x80000000, v111
	v_add_nc_u32_e32 v117, 16, v117
	s_waitcnt lgkmcnt(0)
	v_cmp_gt_f64_e64 s3, 0, v[125:126]
	v_mov_b32_e32 v44, v125
	v_dual_mov_b32 v46, v127 :: v_dual_cndmask_b32 v41, v109, v40
	v_xor_b32_e32 v40, 0x80000000, v126
	v_cndmask_b32_e64 v43, v111, v42, s2
	v_xor_b32_e32 v42, 0x80000000, v128
	s_delay_alu instid0(VALU_DEP_3) | instskip(SKIP_2) | instid1(VALU_DEP_2)
	v_cndmask_b32_e64 v45, v126, v40, s3
	v_cmp_gt_f64_e64 s3, 0, v[127:128]
	v_cndmask_b32_e32 v40, v108, v108, vcc_lo
	v_cndmask_b32_e64 v47, v128, v42, s3
	v_cndmask_b32_e64 v42, v110, v110, s2
	s_delay_alu instid0(VALU_DEP_2) | instskip(NEXT) | instid1(VALU_DEP_2)
	v_add_f64 v[44:45], v[44:45], v[46:47]
	v_add_f64 v[40:41], v[40:41], v[42:43]
	s_delay_alu instid0(VALU_DEP_1) | instskip(SKIP_4) | instid1(SALU_CYCLE_1)
	v_cmp_lt_f64_e32 vcc_lo, v[40:41], v[44:45]
	v_dual_cndmask_b32 v109, v109, v126 :: v_dual_cndmask_b32 v108, v108, v125
	v_dual_cndmask_b32 v111, v111, v128 :: v_dual_cndmask_b32 v110, v110, v127
	v_cndmask_b32_e64 v116, v116, s6, vcc_lo
	s_add_i32 s6, s6, 1
	s_cmp_lg_u32 s5, s6
	s_cbranch_scc1 .LBB52_106
.LBB52_107:
	s_set_inst_prefetch_distance 0x2
	s_waitcnt lgkmcnt(0)
	v_cmp_eq_f64_e32 vcc_lo, 0, v[108:109]
	v_cmp_eq_f64_e64 s2, 0, v[110:111]
	s_delay_alu instid0(VALU_DEP_1) | instskip(NEXT) | instid1(SALU_CYCLE_1)
	s_and_b32 s2, vcc_lo, s2
	s_and_saveexec_b32 s3, s2
	s_delay_alu instid0(SALU_CYCLE_1)
	s_xor_b32 s2, exec_lo, s3
; %bb.108:
	v_cmp_ne_u32_e32 vcc_lo, 0, v123
	v_cndmask_b32_e32 v123, 6, v123, vcc_lo
; %bb.109:
	s_and_not1_saveexec_b32 s3, s2
	s_cbranch_execz .LBB52_115
; %bb.110:
	v_cmp_gt_f64_e32 vcc_lo, 0, v[108:109]
	v_cmp_gt_f64_e64 s2, 0, v[110:111]
	v_xor_b32_e32 v40, 0x80000000, v109
	v_xor_b32_e32 v42, 0x80000000, v111
	s_delay_alu instid0(VALU_DEP_2) | instskip(NEXT) | instid1(VALU_DEP_2)
	v_cndmask_b32_e32 v41, v109, v40, vcc_lo
	v_cndmask_b32_e64 v43, v111, v42, s2
	v_cndmask_b32_e32 v40, v108, v108, vcc_lo
	v_cndmask_b32_e64 v42, v110, v110, s2
	s_mov_b32 s2, exec_lo
	s_delay_alu instid0(VALU_DEP_1)
	v_cmpx_ngt_f64_e32 v[40:41], v[42:43]
	s_xor_b32 s2, exec_lo, s2
	s_cbranch_execz .LBB52_112
; %bb.111:
	v_div_scale_f64 v[40:41], null, v[110:111], v[110:111], v[108:109]
	v_div_scale_f64 v[46:47], vcc_lo, v[108:109], v[110:111], v[108:109]
	s_delay_alu instid0(VALU_DEP_2) | instskip(SKIP_2) | instid1(VALU_DEP_1)
	v_rcp_f64_e32 v[42:43], v[40:41]
	s_waitcnt_depctr 0xfff
	v_fma_f64 v[44:45], -v[40:41], v[42:43], 1.0
	v_fma_f64 v[42:43], v[42:43], v[44:45], v[42:43]
	s_delay_alu instid0(VALU_DEP_1) | instskip(NEXT) | instid1(VALU_DEP_1)
	v_fma_f64 v[44:45], -v[40:41], v[42:43], 1.0
	v_fma_f64 v[42:43], v[42:43], v[44:45], v[42:43]
	s_delay_alu instid0(VALU_DEP_1) | instskip(NEXT) | instid1(VALU_DEP_1)
	v_mul_f64 v[44:45], v[46:47], v[42:43]
	v_fma_f64 v[40:41], -v[40:41], v[44:45], v[46:47]
	s_delay_alu instid0(VALU_DEP_1) | instskip(NEXT) | instid1(VALU_DEP_1)
	v_div_fmas_f64 v[40:41], v[40:41], v[42:43], v[44:45]
	v_div_fixup_f64 v[40:41], v[40:41], v[110:111], v[108:109]
	s_delay_alu instid0(VALU_DEP_1) | instskip(NEXT) | instid1(VALU_DEP_1)
	v_fma_f64 v[42:43], v[108:109], v[40:41], v[110:111]
	v_div_scale_f64 v[44:45], null, v[42:43], v[42:43], 1.0
	s_delay_alu instid0(VALU_DEP_1) | instskip(SKIP_2) | instid1(VALU_DEP_1)
	v_rcp_f64_e32 v[46:47], v[44:45]
	s_waitcnt_depctr 0xfff
	v_fma_f64 v[100:101], -v[44:45], v[46:47], 1.0
	v_fma_f64 v[46:47], v[46:47], v[100:101], v[46:47]
	s_delay_alu instid0(VALU_DEP_1) | instskip(NEXT) | instid1(VALU_DEP_1)
	v_fma_f64 v[100:101], -v[44:45], v[46:47], 1.0
	v_fma_f64 v[46:47], v[46:47], v[100:101], v[46:47]
	v_div_scale_f64 v[100:101], vcc_lo, 1.0, v[42:43], 1.0
	s_delay_alu instid0(VALU_DEP_1) | instskip(NEXT) | instid1(VALU_DEP_1)
	v_mul_f64 v[102:103], v[100:101], v[46:47]
	v_fma_f64 v[44:45], -v[44:45], v[102:103], v[100:101]
	s_delay_alu instid0(VALU_DEP_1) | instskip(NEXT) | instid1(VALU_DEP_1)
	v_div_fmas_f64 v[44:45], v[44:45], v[46:47], v[102:103]
	v_div_fixup_f64 v[110:111], v[44:45], v[42:43], 1.0
	s_delay_alu instid0(VALU_DEP_1)
	v_mul_f64 v[108:109], v[40:41], v[110:111]
	v_xor_b32_e32 v111, 0x80000000, v111
.LBB52_112:
	s_and_not1_saveexec_b32 s2, s2
	s_cbranch_execz .LBB52_114
; %bb.113:
	s_delay_alu instid0(VALU_DEP_1) | instskip(SKIP_1) | instid1(VALU_DEP_2)
	v_div_scale_f64 v[40:41], null, v[108:109], v[108:109], v[110:111]
	v_div_scale_f64 v[46:47], vcc_lo, v[110:111], v[108:109], v[110:111]
	v_rcp_f64_e32 v[42:43], v[40:41]
	s_waitcnt_depctr 0xfff
	v_fma_f64 v[44:45], -v[40:41], v[42:43], 1.0
	s_delay_alu instid0(VALU_DEP_1) | instskip(NEXT) | instid1(VALU_DEP_1)
	v_fma_f64 v[42:43], v[42:43], v[44:45], v[42:43]
	v_fma_f64 v[44:45], -v[40:41], v[42:43], 1.0
	s_delay_alu instid0(VALU_DEP_1) | instskip(NEXT) | instid1(VALU_DEP_1)
	v_fma_f64 v[42:43], v[42:43], v[44:45], v[42:43]
	v_mul_f64 v[44:45], v[46:47], v[42:43]
	s_delay_alu instid0(VALU_DEP_1) | instskip(NEXT) | instid1(VALU_DEP_1)
	v_fma_f64 v[40:41], -v[40:41], v[44:45], v[46:47]
	v_div_fmas_f64 v[40:41], v[40:41], v[42:43], v[44:45]
	s_delay_alu instid0(VALU_DEP_1) | instskip(NEXT) | instid1(VALU_DEP_1)
	v_div_fixup_f64 v[40:41], v[40:41], v[108:109], v[110:111]
	v_fma_f64 v[42:43], v[110:111], v[40:41], v[108:109]
	s_delay_alu instid0(VALU_DEP_1) | instskip(NEXT) | instid1(VALU_DEP_1)
	v_div_scale_f64 v[44:45], null, v[42:43], v[42:43], 1.0
	v_rcp_f64_e32 v[46:47], v[44:45]
	s_waitcnt_depctr 0xfff
	v_fma_f64 v[100:101], -v[44:45], v[46:47], 1.0
	s_delay_alu instid0(VALU_DEP_1) | instskip(NEXT) | instid1(VALU_DEP_1)
	v_fma_f64 v[46:47], v[46:47], v[100:101], v[46:47]
	v_fma_f64 v[100:101], -v[44:45], v[46:47], 1.0
	s_delay_alu instid0(VALU_DEP_1) | instskip(SKIP_1) | instid1(VALU_DEP_1)
	v_fma_f64 v[46:47], v[46:47], v[100:101], v[46:47]
	v_div_scale_f64 v[100:101], vcc_lo, 1.0, v[42:43], 1.0
	v_mul_f64 v[102:103], v[100:101], v[46:47]
	s_delay_alu instid0(VALU_DEP_1) | instskip(NEXT) | instid1(VALU_DEP_1)
	v_fma_f64 v[44:45], -v[44:45], v[102:103], v[100:101]
	v_div_fmas_f64 v[44:45], v[44:45], v[46:47], v[102:103]
	s_delay_alu instid0(VALU_DEP_1) | instskip(NEXT) | instid1(VALU_DEP_1)
	v_div_fixup_f64 v[108:109], v[44:45], v[42:43], 1.0
	v_mul_f64 v[110:111], v[40:41], -v[108:109]
.LBB52_114:
	s_or_b32 exec_lo, exec_lo, s2
.LBB52_115:
	s_delay_alu instid0(SALU_CYCLE_1) | instskip(NEXT) | instid1(SALU_CYCLE_1)
	s_or_b32 exec_lo, exec_lo, s3
	s_mov_b32 s2, exec_lo
	v_cmpx_ne_u32_e64 v124, v116
	s_xor_b32 s2, exec_lo, s2
	s_cbranch_execz .LBB52_121
; %bb.116:
	s_mov_b32 s3, exec_lo
	v_cmpx_eq_u32_e32 5, v124
	s_cbranch_execz .LBB52_120
; %bb.117:
	v_cmp_ne_u32_e32 vcc_lo, 5, v116
	s_xor_b32 s6, s4, -1
	s_delay_alu instid0(SALU_CYCLE_1) | instskip(NEXT) | instid1(SALU_CYCLE_1)
	s_and_b32 s7, s6, vcc_lo
	s_and_saveexec_b32 s6, s7
	s_cbranch_execz .LBB52_119
; %bb.118:
	scratch_load_b64 v[44:45], off, off offset:48 ; 8-byte Folded Reload
	v_ashrrev_i32_e32 v117, 31, v116
	s_delay_alu instid0(VALU_DEP_1) | instskip(SKIP_1) | instid1(VALU_DEP_1)
	v_lshlrev_b64 v[40:41], 2, v[116:117]
	s_waitcnt vmcnt(0)
	v_add_co_u32 v40, vcc_lo, v44, v40
	s_delay_alu instid0(VALU_DEP_2)
	v_add_co_ci_u32_e32 v41, vcc_lo, v45, v41, vcc_lo
	s_clause 0x1
	flat_load_b32 v42, v[40:41]
	flat_load_b32 v43, v[44:45] offset:20
	s_waitcnt vmcnt(1) lgkmcnt(1)
	flat_store_b32 v[44:45], v42 offset:20
	s_waitcnt vmcnt(0) lgkmcnt(1)
	flat_store_b32 v[40:41], v43
.LBB52_119:
	s_or_b32 exec_lo, exec_lo, s6
	v_mov_b32_e32 v124, v116
	v_mov_b32_e32 v119, v116
.LBB52_120:
	s_or_b32 exec_lo, exec_lo, s3
.LBB52_121:
	s_and_not1_saveexec_b32 s2, s2
	s_cbranch_execz .LBB52_123
; %bb.122:
	s_clause 0x1
	scratch_load_b128 v[40:43], off, off offset:32
	scratch_load_b128 v[0:3], off, off offset:16
	v_mov_b32_e32 v124, 5
	s_waitcnt vmcnt(1)
	ds_store_2addr_b64 v118, v[40:41], v[42:43] offset0:12 offset1:13
	s_waitcnt vmcnt(0)
	ds_store_2addr_b64 v118, v[0:1], v[2:3] offset0:14 offset1:15
	ds_store_2addr_b64 v118, v[84:85], v[86:87] offset0:16 offset1:17
	;; [unrolled: 1-line block ×5, first 2 shown]
	scratch_load_b128 v[0:3], off, off      ; 16-byte Folded Reload
	s_waitcnt vmcnt(0)
	ds_store_2addr_b64 v118, v[0:1], v[2:3] offset0:24 offset1:25
	ds_store_2addr_b64 v118, v[235:236], v[237:238] offset0:26 offset1:27
	;; [unrolled: 1-line block ×15, first 2 shown]
.LBB52_123:
	s_or_b32 exec_lo, exec_lo, s2
	s_delay_alu instid0(SALU_CYCLE_1)
	s_mov_b32 s2, exec_lo
	s_waitcnt lgkmcnt(0)
	s_waitcnt_vscnt null, 0x0
	s_barrier
	buffer_gl0_inv
	v_cmpx_lt_i32_e32 5, v124
	s_cbranch_execz .LBB52_125
; %bb.124:
	v_mul_f64 v[42:43], v[108:109], v[90:91]
	v_mul_f64 v[40:41], v[110:111], v[90:91]
	s_delay_alu instid0(VALU_DEP_2) | instskip(NEXT) | instid1(VALU_DEP_2)
	v_fma_f64 v[90:91], v[110:111], v[88:89], v[42:43]
	v_fma_f64 v[40:41], v[108:109], v[88:89], -v[40:41]
	ds_load_2addr_b64 v[108:111], v118 offset0:12 offset1:13
	ds_load_2addr_b64 v[125:128], v118 offset0:14 offset1:15
	s_waitcnt lgkmcnt(1)
	v_mul_f64 v[42:43], v[110:111], v[90:91]
	v_mul_f64 v[44:45], v[108:109], v[90:91]
	s_waitcnt lgkmcnt(0)
	v_mul_f64 v[46:47], v[127:128], v[90:91]
	v_mul_f64 v[88:89], v[125:126], v[90:91]
	s_delay_alu instid0(VALU_DEP_4) | instskip(NEXT) | instid1(VALU_DEP_4)
	v_fma_f64 v[42:43], v[108:109], v[40:41], -v[42:43]
	v_fma_f64 v[44:45], v[110:111], v[40:41], v[44:45]
	s_delay_alu instid0(VALU_DEP_4) | instskip(NEXT) | instid1(VALU_DEP_4)
	v_fma_f64 v[46:47], v[125:126], v[40:41], -v[46:47]
	v_fma_f64 v[88:89], v[127:128], v[40:41], v[88:89]
	ds_load_2addr_b64 v[108:111], v118 offset0:16 offset1:17
	ds_load_2addr_b64 v[125:128], v118 offset0:18 offset1:19
	s_waitcnt lgkmcnt(1)
	v_mul_f64 v[100:101], v[110:111], v[90:91]
	v_mul_f64 v[102:103], v[108:109], v[90:91]
	s_delay_alu instid0(VALU_DEP_2) | instskip(SKIP_2) | instid1(VALU_DEP_3)
	v_fma_f64 v[100:101], v[108:109], v[40:41], -v[100:101]
	s_waitcnt lgkmcnt(0)
	v_mul_f64 v[108:109], v[127:128], v[90:91]
	v_fma_f64 v[102:103], v[110:111], v[40:41], v[102:103]
	s_delay_alu instid0(VALU_DEP_3) | instskip(NEXT) | instid1(VALU_DEP_3)
	v_add_f64 v[84:85], v[84:85], -v[100:101]
	v_fma_f64 v[112:113], v[125:126], v[40:41], -v[108:109]
	v_mul_f64 v[108:109], v[125:126], v[90:91]
	s_delay_alu instid0(VALU_DEP_4) | instskip(NEXT) | instid1(VALU_DEP_3)
	v_add_f64 v[86:87], v[86:87], -v[102:103]
	v_add_f64 v[80:81], v[80:81], -v[112:113]
	s_delay_alu instid0(VALU_DEP_3)
	v_fma_f64 v[114:115], v[127:128], v[40:41], v[108:109]
	ds_load_2addr_b64 v[108:111], v118 offset0:20 offset1:21
	ds_load_2addr_b64 v[125:128], v118 offset0:22 offset1:23
	s_waitcnt lgkmcnt(1)
	v_mul_f64 v[116:117], v[110:111], v[90:91]
	v_add_f64 v[82:83], v[82:83], -v[114:115]
	s_delay_alu instid0(VALU_DEP_2) | instskip(SKIP_1) | instid1(VALU_DEP_2)
	v_fma_f64 v[116:117], v[108:109], v[40:41], -v[116:117]
	v_mul_f64 v[108:109], v[108:109], v[90:91]
	v_add_f64 v[68:69], v[68:69], -v[116:117]
	s_delay_alu instid0(VALU_DEP_2) | instskip(SKIP_2) | instid1(VALU_DEP_2)
	v_fma_f64 v[129:130], v[110:111], v[40:41], v[108:109]
	s_waitcnt lgkmcnt(0)
	v_mul_f64 v[108:109], v[127:128], v[90:91]
	v_add_f64 v[70:71], v[70:71], -v[129:130]
	s_delay_alu instid0(VALU_DEP_2) | instskip(SKIP_1) | instid1(VALU_DEP_2)
	v_fma_f64 v[131:132], v[125:126], v[40:41], -v[108:109]
	v_mul_f64 v[108:109], v[125:126], v[90:91]
	v_add_f64 v[64:65], v[64:65], -v[131:132]
	s_delay_alu instid0(VALU_DEP_2)
	v_fma_f64 v[133:134], v[127:128], v[40:41], v[108:109]
	ds_load_2addr_b64 v[108:111], v118 offset0:24 offset1:25
	ds_load_2addr_b64 v[125:128], v118 offset0:26 offset1:27
	s_waitcnt lgkmcnt(1)
	v_mul_f64 v[135:136], v[110:111], v[90:91]
	v_add_f64 v[66:67], v[66:67], -v[133:134]
	s_delay_alu instid0(VALU_DEP_2) | instskip(SKIP_1) | instid1(VALU_DEP_1)
	v_fma_f64 v[135:136], v[108:109], v[40:41], -v[135:136]
	v_mul_f64 v[108:109], v[108:109], v[90:91]
	v_fma_f64 v[137:138], v[110:111], v[40:41], v[108:109]
	s_waitcnt lgkmcnt(0)
	v_mul_f64 v[108:109], v[127:128], v[90:91]
	s_delay_alu instid0(VALU_DEP_1) | instskip(SKIP_1) | instid1(VALU_DEP_2)
	v_fma_f64 v[139:140], v[125:126], v[40:41], -v[108:109]
	v_mul_f64 v[108:109], v[125:126], v[90:91]
	v_add_f64 v[235:236], v[235:236], -v[139:140]
	s_delay_alu instid0(VALU_DEP_2)
	v_fma_f64 v[141:142], v[127:128], v[40:41], v[108:109]
	ds_load_2addr_b64 v[108:111], v118 offset0:28 offset1:29
	ds_load_2addr_b64 v[125:128], v118 offset0:30 offset1:31
	s_waitcnt lgkmcnt(1)
	v_mul_f64 v[143:144], v[110:111], v[90:91]
	v_add_f64 v[237:238], v[237:238], -v[141:142]
	s_delay_alu instid0(VALU_DEP_2) | instskip(SKIP_1) | instid1(VALU_DEP_2)
	v_fma_f64 v[143:144], v[108:109], v[40:41], -v[143:144]
	v_mul_f64 v[108:109], v[108:109], v[90:91]
	v_add_f64 v[239:240], v[239:240], -v[143:144]
	s_delay_alu instid0(VALU_DEP_2) | instskip(SKIP_2) | instid1(VALU_DEP_2)
	v_fma_f64 v[145:146], v[110:111], v[40:41], v[108:109]
	s_waitcnt lgkmcnt(0)
	v_mul_f64 v[108:109], v[127:128], v[90:91]
	v_add_f64 v[241:242], v[241:242], -v[145:146]
	s_delay_alu instid0(VALU_DEP_2) | instskip(SKIP_1) | instid1(VALU_DEP_2)
	v_fma_f64 v[147:148], v[125:126], v[40:41], -v[108:109]
	v_mul_f64 v[108:109], v[125:126], v[90:91]
	v_add_f64 v[48:49], v[48:49], -v[147:148]
	s_delay_alu instid0(VALU_DEP_2)
	v_fma_f64 v[149:150], v[127:128], v[40:41], v[108:109]
	ds_load_2addr_b64 v[108:111], v118 offset0:32 offset1:33
	ds_load_2addr_b64 v[125:128], v118 offset0:34 offset1:35
	s_waitcnt lgkmcnt(1)
	v_mul_f64 v[151:152], v[110:111], v[90:91]
	v_add_f64 v[50:51], v[50:51], -v[149:150]
	s_delay_alu instid0(VALU_DEP_2) | instskip(SKIP_1) | instid1(VALU_DEP_2)
	v_fma_f64 v[151:152], v[108:109], v[40:41], -v[151:152]
	v_mul_f64 v[108:109], v[108:109], v[90:91]
	v_add_f64 v[52:53], v[52:53], -v[151:152]
	s_delay_alu instid0(VALU_DEP_2) | instskip(SKIP_2) | instid1(VALU_DEP_2)
	v_fma_f64 v[153:154], v[110:111], v[40:41], v[108:109]
	s_waitcnt lgkmcnt(0)
	v_mul_f64 v[108:109], v[127:128], v[90:91]
	v_add_f64 v[54:55], v[54:55], -v[153:154]
	s_delay_alu instid0(VALU_DEP_2) | instskip(SKIP_1) | instid1(VALU_DEP_2)
	;; [unrolled: 20-line block ×5, first 2 shown]
	v_fma_f64 v[179:180], v[125:126], v[40:41], -v[108:109]
	v_mul_f64 v[108:109], v[125:126], v[90:91]
	v_add_f64 v[12:13], v[12:13], -v[179:180]
	s_delay_alu instid0(VALU_DEP_2)
	v_fma_f64 v[181:182], v[127:128], v[40:41], v[108:109]
	ds_load_2addr_b64 v[108:111], v118 offset0:48 offset1:49
	ds_load_2addr_b64 v[125:128], v118 offset0:50 offset1:51
	s_clause 0x1
	scratch_load_b128 v[0:3], off, off offset:16
	scratch_load_b128 v[72:75], off, off offset:32
	s_waitcnt lgkmcnt(1)
	v_mul_f64 v[183:184], v[110:111], v[90:91]
	v_add_f64 v[14:15], v[14:15], -v[181:182]
	s_delay_alu instid0(VALU_DEP_2) | instskip(SKIP_1) | instid1(VALU_DEP_2)
	v_fma_f64 v[183:184], v[108:109], v[40:41], -v[183:184]
	v_mul_f64 v[108:109], v[108:109], v[90:91]
	v_add_f64 v[8:9], v[8:9], -v[183:184]
	s_delay_alu instid0(VALU_DEP_2) | instskip(SKIP_2) | instid1(VALU_DEP_2)
	v_fma_f64 v[185:186], v[110:111], v[40:41], v[108:109]
	s_waitcnt lgkmcnt(0)
	v_mul_f64 v[108:109], v[127:128], v[90:91]
	v_add_f64 v[10:11], v[10:11], -v[185:186]
	s_delay_alu instid0(VALU_DEP_2) | instskip(SKIP_1) | instid1(VALU_DEP_2)
	v_fma_f64 v[187:188], v[125:126], v[40:41], -v[108:109]
	v_mul_f64 v[108:109], v[125:126], v[90:91]
	v_add_f64 v[4:5], v[4:5], -v[187:188]
	s_delay_alu instid0(VALU_DEP_2) | instskip(SKIP_4) | instid1(VALU_DEP_2)
	v_fma_f64 v[125:126], v[127:128], v[40:41], v[108:109]
	ds_load_2addr_b64 v[108:111], v118 offset0:52 offset1:53
	s_waitcnt lgkmcnt(0)
	v_mul_f64 v[127:128], v[110:111], v[90:91]
	v_add_f64 v[6:7], v[6:7], -v[125:126]
	v_fma_f64 v[127:128], v[108:109], v[40:41], -v[127:128]
	v_mul_f64 v[108:109], v[108:109], v[90:91]
	s_delay_alu instid0(VALU_DEP_2) | instskip(NEXT) | instid1(VALU_DEP_2)
	v_add_f64 v[252:253], v[252:253], -v[127:128]
	v_fma_f64 v[108:109], v[110:111], v[40:41], v[108:109]
	s_delay_alu instid0(VALU_DEP_1)
	v_add_f64 v[254:255], v[254:255], -v[108:109]
	s_waitcnt vmcnt(1)
	v_add_f64 v[0:1], v[0:1], -v[46:47]
	v_add_f64 v[2:3], v[2:3], -v[88:89]
	v_dual_mov_b32 v89, v41 :: v_dual_mov_b32 v88, v40
	scratch_store_b128 off, v[0:3], off offset:16 ; 16-byte Folded Spill
	scratch_load_b128 v[0:3], off, off      ; 16-byte Folded Reload
	s_waitcnt vmcnt(1)
	v_add_f64 v[72:73], v[72:73], -v[42:43]
	v_add_f64 v[74:75], v[74:75], -v[44:45]
	s_waitcnt vmcnt(0)
	v_add_f64 v[0:1], v[0:1], -v[135:136]
	v_add_f64 v[2:3], v[2:3], -v[137:138]
	s_clause 0x1
	scratch_store_b128 off, v[72:75], off offset:32
	scratch_store_b128 off, v[0:3], off
.LBB52_125:
	s_or_b32 exec_lo, exec_lo, s2
	s_waitcnt_vscnt null, 0x0
	s_barrier
	buffer_gl0_inv
	scratch_load_b128 v[41:44], off, off offset:32 ; 16-byte Folded Reload
	v_lshl_add_u32 v40, v124, 4, v118
	v_mov_b32_e32 v116, 6
	s_cmp_lt_i32 s5, 8
	s_waitcnt vmcnt(0)
	ds_store_2addr_b64 v40, v[41:42], v[43:44] offset1:1
	s_waitcnt lgkmcnt(0)
	s_barrier
	buffer_gl0_inv
	ds_load_2addr_b64 v[108:111], v118 offset0:12 offset1:13
	s_cbranch_scc1 .LBB52_128
; %bb.126:
	v_add3_u32 v117, v120, 0, 0x70
	v_mov_b32_e32 v116, 6
	s_mov_b32 s6, 7
	s_set_inst_prefetch_distance 0x1
	.p2align	6
.LBB52_127:                             ; =>This Inner Loop Header: Depth=1
	ds_load_2addr_b64 v[125:128], v117 offset1:1
	s_waitcnt lgkmcnt(1)
	v_cmp_gt_f64_e32 vcc_lo, 0, v[108:109]
	v_xor_b32_e32 v40, 0x80000000, v109
	v_cmp_gt_f64_e64 s2, 0, v[110:111]
	v_xor_b32_e32 v42, 0x80000000, v111
	v_add_nc_u32_e32 v117, 16, v117
	s_waitcnt lgkmcnt(0)
	v_cmp_gt_f64_e64 s3, 0, v[125:126]
	v_mov_b32_e32 v44, v125
	v_dual_mov_b32 v46, v127 :: v_dual_cndmask_b32 v41, v109, v40
	v_xor_b32_e32 v40, 0x80000000, v126
	v_cndmask_b32_e64 v43, v111, v42, s2
	v_xor_b32_e32 v42, 0x80000000, v128
	s_delay_alu instid0(VALU_DEP_3) | instskip(SKIP_2) | instid1(VALU_DEP_2)
	v_cndmask_b32_e64 v45, v126, v40, s3
	v_cmp_gt_f64_e64 s3, 0, v[127:128]
	v_cndmask_b32_e32 v40, v108, v108, vcc_lo
	v_cndmask_b32_e64 v47, v128, v42, s3
	v_cndmask_b32_e64 v42, v110, v110, s2
	s_delay_alu instid0(VALU_DEP_2) | instskip(NEXT) | instid1(VALU_DEP_2)
	v_add_f64 v[44:45], v[44:45], v[46:47]
	v_add_f64 v[40:41], v[40:41], v[42:43]
	s_delay_alu instid0(VALU_DEP_1) | instskip(SKIP_4) | instid1(SALU_CYCLE_1)
	v_cmp_lt_f64_e32 vcc_lo, v[40:41], v[44:45]
	v_dual_cndmask_b32 v109, v109, v126 :: v_dual_cndmask_b32 v108, v108, v125
	v_dual_cndmask_b32 v111, v111, v128 :: v_dual_cndmask_b32 v110, v110, v127
	v_cndmask_b32_e64 v116, v116, s6, vcc_lo
	s_add_i32 s6, s6, 1
	s_cmp_lg_u32 s5, s6
	s_cbranch_scc1 .LBB52_127
.LBB52_128:
	s_set_inst_prefetch_distance 0x2
	s_waitcnt lgkmcnt(0)
	v_cmp_eq_f64_e32 vcc_lo, 0, v[108:109]
	v_cmp_eq_f64_e64 s2, 0, v[110:111]
	s_delay_alu instid0(VALU_DEP_1) | instskip(NEXT) | instid1(SALU_CYCLE_1)
	s_and_b32 s2, vcc_lo, s2
	s_and_saveexec_b32 s3, s2
	s_delay_alu instid0(SALU_CYCLE_1)
	s_xor_b32 s2, exec_lo, s3
; %bb.129:
	v_cmp_ne_u32_e32 vcc_lo, 0, v123
	v_cndmask_b32_e32 v123, 7, v123, vcc_lo
; %bb.130:
	s_and_not1_saveexec_b32 s3, s2
	s_cbranch_execz .LBB52_136
; %bb.131:
	v_cmp_gt_f64_e32 vcc_lo, 0, v[108:109]
	v_cmp_gt_f64_e64 s2, 0, v[110:111]
	v_xor_b32_e32 v40, 0x80000000, v109
	v_xor_b32_e32 v42, 0x80000000, v111
	s_delay_alu instid0(VALU_DEP_2) | instskip(NEXT) | instid1(VALU_DEP_2)
	v_cndmask_b32_e32 v41, v109, v40, vcc_lo
	v_cndmask_b32_e64 v43, v111, v42, s2
	v_cndmask_b32_e32 v40, v108, v108, vcc_lo
	v_cndmask_b32_e64 v42, v110, v110, s2
	s_mov_b32 s2, exec_lo
	s_delay_alu instid0(VALU_DEP_1)
	v_cmpx_ngt_f64_e32 v[40:41], v[42:43]
	s_xor_b32 s2, exec_lo, s2
	s_cbranch_execz .LBB52_133
; %bb.132:
	v_div_scale_f64 v[40:41], null, v[110:111], v[110:111], v[108:109]
	v_div_scale_f64 v[46:47], vcc_lo, v[108:109], v[110:111], v[108:109]
	s_delay_alu instid0(VALU_DEP_2) | instskip(SKIP_2) | instid1(VALU_DEP_1)
	v_rcp_f64_e32 v[42:43], v[40:41]
	s_waitcnt_depctr 0xfff
	v_fma_f64 v[44:45], -v[40:41], v[42:43], 1.0
	v_fma_f64 v[42:43], v[42:43], v[44:45], v[42:43]
	s_delay_alu instid0(VALU_DEP_1) | instskip(NEXT) | instid1(VALU_DEP_1)
	v_fma_f64 v[44:45], -v[40:41], v[42:43], 1.0
	v_fma_f64 v[42:43], v[42:43], v[44:45], v[42:43]
	s_delay_alu instid0(VALU_DEP_1) | instskip(NEXT) | instid1(VALU_DEP_1)
	v_mul_f64 v[44:45], v[46:47], v[42:43]
	v_fma_f64 v[40:41], -v[40:41], v[44:45], v[46:47]
	s_delay_alu instid0(VALU_DEP_1) | instskip(NEXT) | instid1(VALU_DEP_1)
	v_div_fmas_f64 v[40:41], v[40:41], v[42:43], v[44:45]
	v_div_fixup_f64 v[40:41], v[40:41], v[110:111], v[108:109]
	s_delay_alu instid0(VALU_DEP_1) | instskip(NEXT) | instid1(VALU_DEP_1)
	v_fma_f64 v[42:43], v[108:109], v[40:41], v[110:111]
	v_div_scale_f64 v[44:45], null, v[42:43], v[42:43], 1.0
	s_delay_alu instid0(VALU_DEP_1) | instskip(SKIP_2) | instid1(VALU_DEP_1)
	v_rcp_f64_e32 v[46:47], v[44:45]
	s_waitcnt_depctr 0xfff
	v_fma_f64 v[100:101], -v[44:45], v[46:47], 1.0
	v_fma_f64 v[46:47], v[46:47], v[100:101], v[46:47]
	s_delay_alu instid0(VALU_DEP_1) | instskip(NEXT) | instid1(VALU_DEP_1)
	v_fma_f64 v[100:101], -v[44:45], v[46:47], 1.0
	v_fma_f64 v[46:47], v[46:47], v[100:101], v[46:47]
	v_div_scale_f64 v[100:101], vcc_lo, 1.0, v[42:43], 1.0
	s_delay_alu instid0(VALU_DEP_1) | instskip(NEXT) | instid1(VALU_DEP_1)
	v_mul_f64 v[102:103], v[100:101], v[46:47]
	v_fma_f64 v[44:45], -v[44:45], v[102:103], v[100:101]
	s_delay_alu instid0(VALU_DEP_1) | instskip(NEXT) | instid1(VALU_DEP_1)
	v_div_fmas_f64 v[44:45], v[44:45], v[46:47], v[102:103]
	v_div_fixup_f64 v[110:111], v[44:45], v[42:43], 1.0
	s_delay_alu instid0(VALU_DEP_1)
	v_mul_f64 v[108:109], v[40:41], v[110:111]
	v_xor_b32_e32 v111, 0x80000000, v111
.LBB52_133:
	s_and_not1_saveexec_b32 s2, s2
	s_cbranch_execz .LBB52_135
; %bb.134:
	s_delay_alu instid0(VALU_DEP_1) | instskip(SKIP_1) | instid1(VALU_DEP_2)
	v_div_scale_f64 v[40:41], null, v[108:109], v[108:109], v[110:111]
	v_div_scale_f64 v[46:47], vcc_lo, v[110:111], v[108:109], v[110:111]
	v_rcp_f64_e32 v[42:43], v[40:41]
	s_waitcnt_depctr 0xfff
	v_fma_f64 v[44:45], -v[40:41], v[42:43], 1.0
	s_delay_alu instid0(VALU_DEP_1) | instskip(NEXT) | instid1(VALU_DEP_1)
	v_fma_f64 v[42:43], v[42:43], v[44:45], v[42:43]
	v_fma_f64 v[44:45], -v[40:41], v[42:43], 1.0
	s_delay_alu instid0(VALU_DEP_1) | instskip(NEXT) | instid1(VALU_DEP_1)
	v_fma_f64 v[42:43], v[42:43], v[44:45], v[42:43]
	v_mul_f64 v[44:45], v[46:47], v[42:43]
	s_delay_alu instid0(VALU_DEP_1) | instskip(NEXT) | instid1(VALU_DEP_1)
	v_fma_f64 v[40:41], -v[40:41], v[44:45], v[46:47]
	v_div_fmas_f64 v[40:41], v[40:41], v[42:43], v[44:45]
	s_delay_alu instid0(VALU_DEP_1) | instskip(NEXT) | instid1(VALU_DEP_1)
	v_div_fixup_f64 v[40:41], v[40:41], v[108:109], v[110:111]
	v_fma_f64 v[42:43], v[110:111], v[40:41], v[108:109]
	s_delay_alu instid0(VALU_DEP_1) | instskip(NEXT) | instid1(VALU_DEP_1)
	v_div_scale_f64 v[44:45], null, v[42:43], v[42:43], 1.0
	v_rcp_f64_e32 v[46:47], v[44:45]
	s_waitcnt_depctr 0xfff
	v_fma_f64 v[100:101], -v[44:45], v[46:47], 1.0
	s_delay_alu instid0(VALU_DEP_1) | instskip(NEXT) | instid1(VALU_DEP_1)
	v_fma_f64 v[46:47], v[46:47], v[100:101], v[46:47]
	v_fma_f64 v[100:101], -v[44:45], v[46:47], 1.0
	s_delay_alu instid0(VALU_DEP_1) | instskip(SKIP_1) | instid1(VALU_DEP_1)
	v_fma_f64 v[46:47], v[46:47], v[100:101], v[46:47]
	v_div_scale_f64 v[100:101], vcc_lo, 1.0, v[42:43], 1.0
	v_mul_f64 v[102:103], v[100:101], v[46:47]
	s_delay_alu instid0(VALU_DEP_1) | instskip(NEXT) | instid1(VALU_DEP_1)
	v_fma_f64 v[44:45], -v[44:45], v[102:103], v[100:101]
	v_div_fmas_f64 v[44:45], v[44:45], v[46:47], v[102:103]
	s_delay_alu instid0(VALU_DEP_1) | instskip(NEXT) | instid1(VALU_DEP_1)
	v_div_fixup_f64 v[108:109], v[44:45], v[42:43], 1.0
	v_mul_f64 v[110:111], v[40:41], -v[108:109]
.LBB52_135:
	s_or_b32 exec_lo, exec_lo, s2
.LBB52_136:
	s_delay_alu instid0(SALU_CYCLE_1) | instskip(NEXT) | instid1(SALU_CYCLE_1)
	s_or_b32 exec_lo, exec_lo, s3
	s_mov_b32 s2, exec_lo
	v_cmpx_ne_u32_e64 v124, v116
	s_xor_b32 s2, exec_lo, s2
	s_cbranch_execz .LBB52_142
; %bb.137:
	s_mov_b32 s3, exec_lo
	v_cmpx_eq_u32_e32 6, v124
	s_cbranch_execz .LBB52_141
; %bb.138:
	v_cmp_ne_u32_e32 vcc_lo, 6, v116
	s_xor_b32 s6, s4, -1
	s_delay_alu instid0(SALU_CYCLE_1) | instskip(NEXT) | instid1(SALU_CYCLE_1)
	s_and_b32 s7, s6, vcc_lo
	s_and_saveexec_b32 s6, s7
	s_cbranch_execz .LBB52_140
; %bb.139:
	scratch_load_b64 v[44:45], off, off offset:48 ; 8-byte Folded Reload
	v_ashrrev_i32_e32 v117, 31, v116
	s_delay_alu instid0(VALU_DEP_1) | instskip(SKIP_1) | instid1(VALU_DEP_1)
	v_lshlrev_b64 v[40:41], 2, v[116:117]
	s_waitcnt vmcnt(0)
	v_add_co_u32 v40, vcc_lo, v44, v40
	s_delay_alu instid0(VALU_DEP_2)
	v_add_co_ci_u32_e32 v41, vcc_lo, v45, v41, vcc_lo
	s_clause 0x1
	flat_load_b32 v42, v[40:41]
	flat_load_b32 v43, v[44:45] offset:24
	s_waitcnt vmcnt(1) lgkmcnt(1)
	flat_store_b32 v[44:45], v42 offset:24
	s_waitcnt vmcnt(0) lgkmcnt(1)
	flat_store_b32 v[40:41], v43
.LBB52_140:
	s_or_b32 exec_lo, exec_lo, s6
	v_mov_b32_e32 v124, v116
	v_mov_b32_e32 v119, v116
.LBB52_141:
	s_or_b32 exec_lo, exec_lo, s3
.LBB52_142:
	s_and_not1_saveexec_b32 s2, s2
	s_cbranch_execz .LBB52_144
; %bb.143:
	scratch_load_b128 v[0:3], off, off offset:16 ; 16-byte Folded Reload
	v_mov_b32_e32 v124, 6
	s_waitcnt vmcnt(0)
	ds_store_2addr_b64 v118, v[0:1], v[2:3] offset0:14 offset1:15
	ds_store_2addr_b64 v118, v[84:85], v[86:87] offset0:16 offset1:17
	;; [unrolled: 1-line block ×5, first 2 shown]
	scratch_load_b128 v[0:3], off, off      ; 16-byte Folded Reload
	s_waitcnt vmcnt(0)
	ds_store_2addr_b64 v118, v[0:1], v[2:3] offset0:24 offset1:25
	ds_store_2addr_b64 v118, v[235:236], v[237:238] offset0:26 offset1:27
	;; [unrolled: 1-line block ×15, first 2 shown]
.LBB52_144:
	s_or_b32 exec_lo, exec_lo, s2
	s_delay_alu instid0(SALU_CYCLE_1)
	s_mov_b32 s2, exec_lo
	s_waitcnt lgkmcnt(0)
	s_waitcnt_vscnt null, 0x0
	s_barrier
	buffer_gl0_inv
	v_cmpx_lt_i32_e32 6, v124
	s_cbranch_execz .LBB52_146
; %bb.145:
	scratch_load_b128 v[92:95], off, off offset:32 ; 16-byte Folded Reload
	s_waitcnt vmcnt(0)
	v_mul_f64 v[42:43], v[108:109], v[94:95]
	v_mul_f64 v[40:41], v[110:111], v[94:95]
	s_delay_alu instid0(VALU_DEP_2) | instskip(NEXT) | instid1(VALU_DEP_2)
	v_fma_f64 v[94:95], v[110:111], v[92:93], v[42:43]
	v_fma_f64 v[40:41], v[108:109], v[92:93], -v[40:41]
	ds_load_2addr_b64 v[108:111], v118 offset0:14 offset1:15
	ds_load_2addr_b64 v[125:128], v118 offset0:16 offset1:17
	s_waitcnt lgkmcnt(1)
	v_mul_f64 v[42:43], v[110:111], v[94:95]
	v_mul_f64 v[44:45], v[108:109], v[94:95]
	s_waitcnt lgkmcnt(0)
	v_mul_f64 v[46:47], v[127:128], v[94:95]
	v_mul_f64 v[92:93], v[125:126], v[94:95]
	s_delay_alu instid0(VALU_DEP_4) | instskip(NEXT) | instid1(VALU_DEP_4)
	v_fma_f64 v[42:43], v[108:109], v[40:41], -v[42:43]
	v_fma_f64 v[44:45], v[110:111], v[40:41], v[44:45]
	s_delay_alu instid0(VALU_DEP_4) | instskip(NEXT) | instid1(VALU_DEP_4)
	v_fma_f64 v[46:47], v[125:126], v[40:41], -v[46:47]
	v_fma_f64 v[92:93], v[127:128], v[40:41], v[92:93]
	ds_load_2addr_b64 v[108:111], v118 offset0:18 offset1:19
	ds_load_2addr_b64 v[125:128], v118 offset0:20 offset1:21
	s_waitcnt lgkmcnt(1)
	v_mul_f64 v[100:101], v[110:111], v[94:95]
	v_mul_f64 v[102:103], v[108:109], v[94:95]
	v_add_f64 v[84:85], v[84:85], -v[46:47]
	v_add_f64 v[86:87], v[86:87], -v[92:93]
	v_dual_mov_b32 v93, v41 :: v_dual_mov_b32 v92, v40
	v_fma_f64 v[100:101], v[108:109], v[40:41], -v[100:101]
	s_waitcnt lgkmcnt(0)
	v_mul_f64 v[108:109], v[127:128], v[94:95]
	v_fma_f64 v[102:103], v[110:111], v[40:41], v[102:103]
	s_delay_alu instid0(VALU_DEP_3) | instskip(NEXT) | instid1(VALU_DEP_3)
	v_add_f64 v[80:81], v[80:81], -v[100:101]
	v_fma_f64 v[112:113], v[125:126], v[40:41], -v[108:109]
	v_mul_f64 v[108:109], v[125:126], v[94:95]
	s_delay_alu instid0(VALU_DEP_4) | instskip(NEXT) | instid1(VALU_DEP_3)
	v_add_f64 v[82:83], v[82:83], -v[102:103]
	v_add_f64 v[68:69], v[68:69], -v[112:113]
	s_delay_alu instid0(VALU_DEP_3)
	v_fma_f64 v[114:115], v[127:128], v[40:41], v[108:109]
	ds_load_2addr_b64 v[108:111], v118 offset0:22 offset1:23
	ds_load_2addr_b64 v[125:128], v118 offset0:24 offset1:25
	s_waitcnt lgkmcnt(1)
	v_mul_f64 v[116:117], v[110:111], v[94:95]
	v_add_f64 v[70:71], v[70:71], -v[114:115]
	s_delay_alu instid0(VALU_DEP_2) | instskip(SKIP_1) | instid1(VALU_DEP_2)
	v_fma_f64 v[116:117], v[108:109], v[40:41], -v[116:117]
	v_mul_f64 v[108:109], v[108:109], v[94:95]
	v_add_f64 v[64:65], v[64:65], -v[116:117]
	s_delay_alu instid0(VALU_DEP_2) | instskip(SKIP_2) | instid1(VALU_DEP_2)
	v_fma_f64 v[129:130], v[110:111], v[40:41], v[108:109]
	s_waitcnt lgkmcnt(0)
	v_mul_f64 v[108:109], v[127:128], v[94:95]
	v_add_f64 v[66:67], v[66:67], -v[129:130]
	s_delay_alu instid0(VALU_DEP_2) | instskip(SKIP_1) | instid1(VALU_DEP_1)
	v_fma_f64 v[131:132], v[125:126], v[40:41], -v[108:109]
	v_mul_f64 v[108:109], v[125:126], v[94:95]
	v_fma_f64 v[133:134], v[127:128], v[40:41], v[108:109]
	ds_load_2addr_b64 v[108:111], v118 offset0:26 offset1:27
	ds_load_2addr_b64 v[125:128], v118 offset0:28 offset1:29
	s_waitcnt lgkmcnt(1)
	v_mul_f64 v[135:136], v[110:111], v[94:95]
	s_delay_alu instid0(VALU_DEP_1) | instskip(SKIP_1) | instid1(VALU_DEP_2)
	v_fma_f64 v[135:136], v[108:109], v[40:41], -v[135:136]
	v_mul_f64 v[108:109], v[108:109], v[94:95]
	v_add_f64 v[235:236], v[235:236], -v[135:136]
	s_delay_alu instid0(VALU_DEP_2) | instskip(SKIP_2) | instid1(VALU_DEP_2)
	v_fma_f64 v[137:138], v[110:111], v[40:41], v[108:109]
	s_waitcnt lgkmcnt(0)
	v_mul_f64 v[108:109], v[127:128], v[94:95]
	v_add_f64 v[237:238], v[237:238], -v[137:138]
	s_delay_alu instid0(VALU_DEP_2) | instskip(SKIP_1) | instid1(VALU_DEP_2)
	v_fma_f64 v[139:140], v[125:126], v[40:41], -v[108:109]
	v_mul_f64 v[108:109], v[125:126], v[94:95]
	v_add_f64 v[239:240], v[239:240], -v[139:140]
	s_delay_alu instid0(VALU_DEP_2)
	v_fma_f64 v[141:142], v[127:128], v[40:41], v[108:109]
	ds_load_2addr_b64 v[108:111], v118 offset0:30 offset1:31
	ds_load_2addr_b64 v[125:128], v118 offset0:32 offset1:33
	s_waitcnt lgkmcnt(1)
	v_mul_f64 v[143:144], v[110:111], v[94:95]
	v_add_f64 v[241:242], v[241:242], -v[141:142]
	s_delay_alu instid0(VALU_DEP_2) | instskip(SKIP_1) | instid1(VALU_DEP_2)
	v_fma_f64 v[143:144], v[108:109], v[40:41], -v[143:144]
	v_mul_f64 v[108:109], v[108:109], v[94:95]
	v_add_f64 v[48:49], v[48:49], -v[143:144]
	s_delay_alu instid0(VALU_DEP_2) | instskip(SKIP_2) | instid1(VALU_DEP_2)
	v_fma_f64 v[145:146], v[110:111], v[40:41], v[108:109]
	s_waitcnt lgkmcnt(0)
	v_mul_f64 v[108:109], v[127:128], v[94:95]
	v_add_f64 v[50:51], v[50:51], -v[145:146]
	s_delay_alu instid0(VALU_DEP_2) | instskip(SKIP_1) | instid1(VALU_DEP_2)
	v_fma_f64 v[147:148], v[125:126], v[40:41], -v[108:109]
	v_mul_f64 v[108:109], v[125:126], v[94:95]
	v_add_f64 v[52:53], v[52:53], -v[147:148]
	s_delay_alu instid0(VALU_DEP_2)
	v_fma_f64 v[149:150], v[127:128], v[40:41], v[108:109]
	ds_load_2addr_b64 v[108:111], v118 offset0:34 offset1:35
	ds_load_2addr_b64 v[125:128], v118 offset0:36 offset1:37
	s_waitcnt lgkmcnt(1)
	v_mul_f64 v[151:152], v[110:111], v[94:95]
	v_add_f64 v[54:55], v[54:55], -v[149:150]
	s_delay_alu instid0(VALU_DEP_2) | instskip(SKIP_1) | instid1(VALU_DEP_2)
	;; [unrolled: 20-line block ×5, first 2 shown]
	v_fma_f64 v[175:176], v[108:109], v[40:41], -v[175:176]
	v_mul_f64 v[108:109], v[108:109], v[94:95]
	v_add_f64 v[12:13], v[12:13], -v[175:176]
	s_delay_alu instid0(VALU_DEP_2) | instskip(SKIP_2) | instid1(VALU_DEP_2)
	v_fma_f64 v[177:178], v[110:111], v[40:41], v[108:109]
	s_waitcnt lgkmcnt(0)
	v_mul_f64 v[108:109], v[127:128], v[94:95]
	v_add_f64 v[14:15], v[14:15], -v[177:178]
	s_delay_alu instid0(VALU_DEP_2) | instskip(SKIP_1) | instid1(VALU_DEP_2)
	v_fma_f64 v[179:180], v[125:126], v[40:41], -v[108:109]
	v_mul_f64 v[108:109], v[125:126], v[94:95]
	v_add_f64 v[8:9], v[8:9], -v[179:180]
	s_delay_alu instid0(VALU_DEP_2)
	v_fma_f64 v[181:182], v[127:128], v[40:41], v[108:109]
	ds_load_2addr_b64 v[108:111], v118 offset0:50 offset1:51
	ds_load_2addr_b64 v[125:128], v118 offset0:52 offset1:53
	scratch_load_b128 v[0:3], off, off offset:16 ; 16-byte Folded Reload
	scratch_store_b128 off, v[92:95], off offset:32 ; 16-byte Folded Spill
	s_waitcnt lgkmcnt(1)
	v_mul_f64 v[183:184], v[110:111], v[94:95]
	v_add_f64 v[10:11], v[10:11], -v[181:182]
	s_delay_alu instid0(VALU_DEP_2) | instskip(SKIP_1) | instid1(VALU_DEP_2)
	v_fma_f64 v[183:184], v[108:109], v[40:41], -v[183:184]
	v_mul_f64 v[108:109], v[108:109], v[94:95]
	v_add_f64 v[4:5], v[4:5], -v[183:184]
	s_delay_alu instid0(VALU_DEP_2) | instskip(SKIP_2) | instid1(VALU_DEP_2)
	v_fma_f64 v[108:109], v[110:111], v[40:41], v[108:109]
	s_waitcnt lgkmcnt(0)
	v_mul_f64 v[110:111], v[127:128], v[94:95]
	v_add_f64 v[6:7], v[6:7], -v[108:109]
	s_delay_alu instid0(VALU_DEP_2) | instskip(SKIP_1) | instid1(VALU_DEP_2)
	v_fma_f64 v[110:111], v[125:126], v[40:41], -v[110:111]
	v_mul_f64 v[125:126], v[125:126], v[94:95]
	v_add_f64 v[252:253], v[252:253], -v[110:111]
	s_delay_alu instid0(VALU_DEP_2) | instskip(NEXT) | instid1(VALU_DEP_1)
	v_fma_f64 v[125:126], v[127:128], v[40:41], v[125:126]
	v_add_f64 v[254:255], v[254:255], -v[125:126]
	s_waitcnt vmcnt(0)
	v_add_f64 v[0:1], v[0:1], -v[42:43]
	v_add_f64 v[2:3], v[2:3], -v[44:45]
	scratch_store_b128 off, v[0:3], off offset:16 ; 16-byte Folded Spill
	scratch_load_b128 v[0:3], off, off      ; 16-byte Folded Reload
	s_waitcnt vmcnt(0)
	v_add_f64 v[0:1], v[0:1], -v[131:132]
	v_add_f64 v[2:3], v[2:3], -v[133:134]
	scratch_store_b128 off, v[0:3], off     ; 16-byte Folded Spill
.LBB52_146:
	s_or_b32 exec_lo, exec_lo, s2
	s_waitcnt_vscnt null, 0x0
	s_barrier
	buffer_gl0_inv
	scratch_load_b128 v[0:3], off, off offset:16 ; 16-byte Folded Reload
	v_lshl_add_u32 v40, v124, 4, v118
	v_mov_b32_e32 v116, 7
	s_cmp_lt_i32 s5, 9
	s_waitcnt vmcnt(0)
	ds_store_2addr_b64 v40, v[0:1], v[2:3] offset1:1
	s_waitcnt lgkmcnt(0)
	s_barrier
	buffer_gl0_inv
	ds_load_2addr_b64 v[108:111], v118 offset0:14 offset1:15
	s_cbranch_scc1 .LBB52_149
; %bb.147:
	v_add3_u32 v117, v120, 0, 0x80
	v_mov_b32_e32 v116, 7
	s_mov_b32 s6, 8
	s_set_inst_prefetch_distance 0x1
	.p2align	6
.LBB52_148:                             ; =>This Inner Loop Header: Depth=1
	ds_load_2addr_b64 v[125:128], v117 offset1:1
	s_waitcnt lgkmcnt(1)
	v_cmp_gt_f64_e32 vcc_lo, 0, v[108:109]
	v_xor_b32_e32 v40, 0x80000000, v109
	v_cmp_gt_f64_e64 s2, 0, v[110:111]
	v_xor_b32_e32 v42, 0x80000000, v111
	v_add_nc_u32_e32 v117, 16, v117
	s_waitcnt lgkmcnt(0)
	v_cmp_gt_f64_e64 s3, 0, v[125:126]
	v_mov_b32_e32 v44, v125
	v_dual_mov_b32 v46, v127 :: v_dual_cndmask_b32 v41, v109, v40
	v_xor_b32_e32 v40, 0x80000000, v126
	v_cndmask_b32_e64 v43, v111, v42, s2
	v_xor_b32_e32 v42, 0x80000000, v128
	s_delay_alu instid0(VALU_DEP_3) | instskip(SKIP_2) | instid1(VALU_DEP_2)
	v_cndmask_b32_e64 v45, v126, v40, s3
	v_cmp_gt_f64_e64 s3, 0, v[127:128]
	v_cndmask_b32_e32 v40, v108, v108, vcc_lo
	v_cndmask_b32_e64 v47, v128, v42, s3
	v_cndmask_b32_e64 v42, v110, v110, s2
	s_delay_alu instid0(VALU_DEP_2) | instskip(NEXT) | instid1(VALU_DEP_2)
	v_add_f64 v[44:45], v[44:45], v[46:47]
	v_add_f64 v[40:41], v[40:41], v[42:43]
	s_delay_alu instid0(VALU_DEP_1) | instskip(SKIP_4) | instid1(SALU_CYCLE_1)
	v_cmp_lt_f64_e32 vcc_lo, v[40:41], v[44:45]
	v_dual_cndmask_b32 v109, v109, v126 :: v_dual_cndmask_b32 v108, v108, v125
	v_dual_cndmask_b32 v111, v111, v128 :: v_dual_cndmask_b32 v110, v110, v127
	v_cndmask_b32_e64 v116, v116, s6, vcc_lo
	s_add_i32 s6, s6, 1
	s_cmp_lg_u32 s5, s6
	s_cbranch_scc1 .LBB52_148
.LBB52_149:
	s_set_inst_prefetch_distance 0x2
	s_waitcnt lgkmcnt(0)
	v_cmp_eq_f64_e32 vcc_lo, 0, v[108:109]
	v_cmp_eq_f64_e64 s2, 0, v[110:111]
	s_delay_alu instid0(VALU_DEP_1) | instskip(NEXT) | instid1(SALU_CYCLE_1)
	s_and_b32 s2, vcc_lo, s2
	s_and_saveexec_b32 s3, s2
	s_delay_alu instid0(SALU_CYCLE_1)
	s_xor_b32 s2, exec_lo, s3
; %bb.150:
	v_cmp_ne_u32_e32 vcc_lo, 0, v123
	v_cndmask_b32_e32 v123, 8, v123, vcc_lo
; %bb.151:
	s_and_not1_saveexec_b32 s3, s2
	s_cbranch_execz .LBB52_157
; %bb.152:
	v_cmp_gt_f64_e32 vcc_lo, 0, v[108:109]
	v_cmp_gt_f64_e64 s2, 0, v[110:111]
	v_xor_b32_e32 v40, 0x80000000, v109
	v_xor_b32_e32 v42, 0x80000000, v111
	s_delay_alu instid0(VALU_DEP_2) | instskip(NEXT) | instid1(VALU_DEP_2)
	v_cndmask_b32_e32 v41, v109, v40, vcc_lo
	v_cndmask_b32_e64 v43, v111, v42, s2
	v_cndmask_b32_e32 v40, v108, v108, vcc_lo
	v_cndmask_b32_e64 v42, v110, v110, s2
	s_mov_b32 s2, exec_lo
	s_delay_alu instid0(VALU_DEP_1)
	v_cmpx_ngt_f64_e32 v[40:41], v[42:43]
	s_xor_b32 s2, exec_lo, s2
	s_cbranch_execz .LBB52_154
; %bb.153:
	v_div_scale_f64 v[40:41], null, v[110:111], v[110:111], v[108:109]
	v_div_scale_f64 v[46:47], vcc_lo, v[108:109], v[110:111], v[108:109]
	s_delay_alu instid0(VALU_DEP_2) | instskip(SKIP_2) | instid1(VALU_DEP_1)
	v_rcp_f64_e32 v[42:43], v[40:41]
	s_waitcnt_depctr 0xfff
	v_fma_f64 v[44:45], -v[40:41], v[42:43], 1.0
	v_fma_f64 v[42:43], v[42:43], v[44:45], v[42:43]
	s_delay_alu instid0(VALU_DEP_1) | instskip(NEXT) | instid1(VALU_DEP_1)
	v_fma_f64 v[44:45], -v[40:41], v[42:43], 1.0
	v_fma_f64 v[42:43], v[42:43], v[44:45], v[42:43]
	s_delay_alu instid0(VALU_DEP_1) | instskip(NEXT) | instid1(VALU_DEP_1)
	v_mul_f64 v[44:45], v[46:47], v[42:43]
	v_fma_f64 v[40:41], -v[40:41], v[44:45], v[46:47]
	s_delay_alu instid0(VALU_DEP_1) | instskip(NEXT) | instid1(VALU_DEP_1)
	v_div_fmas_f64 v[40:41], v[40:41], v[42:43], v[44:45]
	v_div_fixup_f64 v[40:41], v[40:41], v[110:111], v[108:109]
	s_delay_alu instid0(VALU_DEP_1) | instskip(NEXT) | instid1(VALU_DEP_1)
	v_fma_f64 v[42:43], v[108:109], v[40:41], v[110:111]
	v_div_scale_f64 v[44:45], null, v[42:43], v[42:43], 1.0
	s_delay_alu instid0(VALU_DEP_1) | instskip(SKIP_2) | instid1(VALU_DEP_1)
	v_rcp_f64_e32 v[46:47], v[44:45]
	s_waitcnt_depctr 0xfff
	v_fma_f64 v[100:101], -v[44:45], v[46:47], 1.0
	v_fma_f64 v[46:47], v[46:47], v[100:101], v[46:47]
	s_delay_alu instid0(VALU_DEP_1) | instskip(NEXT) | instid1(VALU_DEP_1)
	v_fma_f64 v[100:101], -v[44:45], v[46:47], 1.0
	v_fma_f64 v[46:47], v[46:47], v[100:101], v[46:47]
	v_div_scale_f64 v[100:101], vcc_lo, 1.0, v[42:43], 1.0
	s_delay_alu instid0(VALU_DEP_1) | instskip(NEXT) | instid1(VALU_DEP_1)
	v_mul_f64 v[102:103], v[100:101], v[46:47]
	v_fma_f64 v[44:45], -v[44:45], v[102:103], v[100:101]
	s_delay_alu instid0(VALU_DEP_1) | instskip(NEXT) | instid1(VALU_DEP_1)
	v_div_fmas_f64 v[44:45], v[44:45], v[46:47], v[102:103]
	v_div_fixup_f64 v[110:111], v[44:45], v[42:43], 1.0
	s_delay_alu instid0(VALU_DEP_1)
	v_mul_f64 v[108:109], v[40:41], v[110:111]
	v_xor_b32_e32 v111, 0x80000000, v111
.LBB52_154:
	s_and_not1_saveexec_b32 s2, s2
	s_cbranch_execz .LBB52_156
; %bb.155:
	s_delay_alu instid0(VALU_DEP_1) | instskip(SKIP_1) | instid1(VALU_DEP_2)
	v_div_scale_f64 v[40:41], null, v[108:109], v[108:109], v[110:111]
	v_div_scale_f64 v[46:47], vcc_lo, v[110:111], v[108:109], v[110:111]
	v_rcp_f64_e32 v[42:43], v[40:41]
	s_waitcnt_depctr 0xfff
	v_fma_f64 v[44:45], -v[40:41], v[42:43], 1.0
	s_delay_alu instid0(VALU_DEP_1) | instskip(NEXT) | instid1(VALU_DEP_1)
	v_fma_f64 v[42:43], v[42:43], v[44:45], v[42:43]
	v_fma_f64 v[44:45], -v[40:41], v[42:43], 1.0
	s_delay_alu instid0(VALU_DEP_1) | instskip(NEXT) | instid1(VALU_DEP_1)
	v_fma_f64 v[42:43], v[42:43], v[44:45], v[42:43]
	v_mul_f64 v[44:45], v[46:47], v[42:43]
	s_delay_alu instid0(VALU_DEP_1) | instskip(NEXT) | instid1(VALU_DEP_1)
	v_fma_f64 v[40:41], -v[40:41], v[44:45], v[46:47]
	v_div_fmas_f64 v[40:41], v[40:41], v[42:43], v[44:45]
	s_delay_alu instid0(VALU_DEP_1) | instskip(NEXT) | instid1(VALU_DEP_1)
	v_div_fixup_f64 v[40:41], v[40:41], v[108:109], v[110:111]
	v_fma_f64 v[42:43], v[110:111], v[40:41], v[108:109]
	s_delay_alu instid0(VALU_DEP_1) | instskip(NEXT) | instid1(VALU_DEP_1)
	v_div_scale_f64 v[44:45], null, v[42:43], v[42:43], 1.0
	v_rcp_f64_e32 v[46:47], v[44:45]
	s_waitcnt_depctr 0xfff
	v_fma_f64 v[100:101], -v[44:45], v[46:47], 1.0
	s_delay_alu instid0(VALU_DEP_1) | instskip(NEXT) | instid1(VALU_DEP_1)
	v_fma_f64 v[46:47], v[46:47], v[100:101], v[46:47]
	v_fma_f64 v[100:101], -v[44:45], v[46:47], 1.0
	s_delay_alu instid0(VALU_DEP_1) | instskip(SKIP_1) | instid1(VALU_DEP_1)
	v_fma_f64 v[46:47], v[46:47], v[100:101], v[46:47]
	v_div_scale_f64 v[100:101], vcc_lo, 1.0, v[42:43], 1.0
	v_mul_f64 v[102:103], v[100:101], v[46:47]
	s_delay_alu instid0(VALU_DEP_1) | instskip(NEXT) | instid1(VALU_DEP_1)
	v_fma_f64 v[44:45], -v[44:45], v[102:103], v[100:101]
	v_div_fmas_f64 v[44:45], v[44:45], v[46:47], v[102:103]
	s_delay_alu instid0(VALU_DEP_1) | instskip(NEXT) | instid1(VALU_DEP_1)
	v_div_fixup_f64 v[108:109], v[44:45], v[42:43], 1.0
	v_mul_f64 v[110:111], v[40:41], -v[108:109]
.LBB52_156:
	s_or_b32 exec_lo, exec_lo, s2
.LBB52_157:
	s_delay_alu instid0(SALU_CYCLE_1) | instskip(NEXT) | instid1(SALU_CYCLE_1)
	s_or_b32 exec_lo, exec_lo, s3
	s_mov_b32 s2, exec_lo
	v_cmpx_ne_u32_e64 v124, v116
	s_xor_b32 s2, exec_lo, s2
	s_cbranch_execz .LBB52_163
; %bb.158:
	s_mov_b32 s3, exec_lo
	v_cmpx_eq_u32_e32 7, v124
	s_cbranch_execz .LBB52_162
; %bb.159:
	v_cmp_ne_u32_e32 vcc_lo, 7, v116
	s_xor_b32 s6, s4, -1
	s_delay_alu instid0(SALU_CYCLE_1) | instskip(NEXT) | instid1(SALU_CYCLE_1)
	s_and_b32 s7, s6, vcc_lo
	s_and_saveexec_b32 s6, s7
	s_cbranch_execz .LBB52_161
; %bb.160:
	scratch_load_b64 v[44:45], off, off offset:48 ; 8-byte Folded Reload
	v_ashrrev_i32_e32 v117, 31, v116
	s_delay_alu instid0(VALU_DEP_1) | instskip(SKIP_1) | instid1(VALU_DEP_1)
	v_lshlrev_b64 v[40:41], 2, v[116:117]
	s_waitcnt vmcnt(0)
	v_add_co_u32 v40, vcc_lo, v44, v40
	s_delay_alu instid0(VALU_DEP_2)
	v_add_co_ci_u32_e32 v41, vcc_lo, v45, v41, vcc_lo
	s_clause 0x1
	flat_load_b32 v42, v[40:41]
	flat_load_b32 v43, v[44:45] offset:28
	s_waitcnt vmcnt(1) lgkmcnt(1)
	flat_store_b32 v[44:45], v42 offset:28
	s_waitcnt vmcnt(0) lgkmcnt(1)
	flat_store_b32 v[40:41], v43
.LBB52_161:
	s_or_b32 exec_lo, exec_lo, s6
	v_mov_b32_e32 v124, v116
	v_mov_b32_e32 v119, v116
.LBB52_162:
	s_or_b32 exec_lo, exec_lo, s3
.LBB52_163:
	s_and_not1_saveexec_b32 s2, s2
	s_cbranch_execz .LBB52_165
; %bb.164:
	ds_store_2addr_b64 v118, v[84:85], v[86:87] offset0:16 offset1:17
	ds_store_2addr_b64 v118, v[80:81], v[82:83] offset0:18 offset1:19
	;; [unrolled: 1-line block ×4, first 2 shown]
	scratch_load_b128 v[0:3], off, off      ; 16-byte Folded Reload
	v_mov_b32_e32 v124, 7
	s_waitcnt vmcnt(0)
	ds_store_2addr_b64 v118, v[0:1], v[2:3] offset0:24 offset1:25
	ds_store_2addr_b64 v118, v[235:236], v[237:238] offset0:26 offset1:27
	;; [unrolled: 1-line block ×15, first 2 shown]
.LBB52_165:
	s_or_b32 exec_lo, exec_lo, s2
	s_delay_alu instid0(SALU_CYCLE_1)
	s_mov_b32 s2, exec_lo
	s_waitcnt lgkmcnt(0)
	s_waitcnt_vscnt null, 0x0
	s_barrier
	buffer_gl0_inv
	v_cmpx_lt_i32_e32 7, v124
	s_cbranch_execz .LBB52_167
; %bb.166:
	scratch_load_b128 v[76:79], off, off offset:16 ; 16-byte Folded Reload
	s_waitcnt vmcnt(0)
	v_mul_f64 v[42:43], v[108:109], v[78:79]
	v_mul_f64 v[40:41], v[110:111], v[78:79]
	s_delay_alu instid0(VALU_DEP_2) | instskip(NEXT) | instid1(VALU_DEP_2)
	v_fma_f64 v[78:79], v[110:111], v[76:77], v[42:43]
	v_fma_f64 v[40:41], v[108:109], v[76:77], -v[40:41]
	ds_load_2addr_b64 v[108:111], v118 offset0:16 offset1:17
	ds_load_2addr_b64 v[125:128], v118 offset0:18 offset1:19
	s_waitcnt lgkmcnt(1)
	v_mul_f64 v[42:43], v[110:111], v[78:79]
	v_mul_f64 v[44:45], v[108:109], v[78:79]
	s_waitcnt lgkmcnt(0)
	v_mul_f64 v[46:47], v[127:128], v[78:79]
	v_mul_f64 v[76:77], v[125:126], v[78:79]
	s_delay_alu instid0(VALU_DEP_4) | instskip(NEXT) | instid1(VALU_DEP_4)
	v_fma_f64 v[42:43], v[108:109], v[40:41], -v[42:43]
	v_fma_f64 v[44:45], v[110:111], v[40:41], v[44:45]
	s_delay_alu instid0(VALU_DEP_4) | instskip(NEXT) | instid1(VALU_DEP_4)
	v_fma_f64 v[46:47], v[125:126], v[40:41], -v[46:47]
	v_fma_f64 v[76:77], v[127:128], v[40:41], v[76:77]
	ds_load_2addr_b64 v[108:111], v118 offset0:20 offset1:21
	ds_load_2addr_b64 v[125:128], v118 offset0:22 offset1:23
	s_waitcnt lgkmcnt(1)
	v_mul_f64 v[100:101], v[110:111], v[78:79]
	v_mul_f64 v[102:103], v[108:109], v[78:79]
	v_add_f64 v[84:85], v[84:85], -v[42:43]
	v_add_f64 v[86:87], v[86:87], -v[44:45]
	;; [unrolled: 1-line block ×4, first 2 shown]
	v_dual_mov_b32 v77, v41 :: v_dual_mov_b32 v76, v40
	v_fma_f64 v[100:101], v[108:109], v[40:41], -v[100:101]
	s_waitcnt lgkmcnt(0)
	v_mul_f64 v[108:109], v[127:128], v[78:79]
	v_fma_f64 v[102:103], v[110:111], v[40:41], v[102:103]
	s_delay_alu instid0(VALU_DEP_3) | instskip(NEXT) | instid1(VALU_DEP_3)
	v_add_f64 v[68:69], v[68:69], -v[100:101]
	v_fma_f64 v[112:113], v[125:126], v[40:41], -v[108:109]
	v_mul_f64 v[108:109], v[125:126], v[78:79]
	s_delay_alu instid0(VALU_DEP_4) | instskip(NEXT) | instid1(VALU_DEP_3)
	v_add_f64 v[70:71], v[70:71], -v[102:103]
	v_add_f64 v[64:65], v[64:65], -v[112:113]
	s_delay_alu instid0(VALU_DEP_3)
	v_fma_f64 v[114:115], v[127:128], v[40:41], v[108:109]
	ds_load_2addr_b64 v[108:111], v118 offset0:24 offset1:25
	ds_load_2addr_b64 v[125:128], v118 offset0:26 offset1:27
	s_waitcnt lgkmcnt(1)
	v_mul_f64 v[116:117], v[110:111], v[78:79]
	v_add_f64 v[66:67], v[66:67], -v[114:115]
	s_delay_alu instid0(VALU_DEP_2) | instskip(SKIP_1) | instid1(VALU_DEP_1)
	v_fma_f64 v[116:117], v[108:109], v[40:41], -v[116:117]
	v_mul_f64 v[108:109], v[108:109], v[78:79]
	v_fma_f64 v[129:130], v[110:111], v[40:41], v[108:109]
	s_waitcnt lgkmcnt(0)
	v_mul_f64 v[108:109], v[127:128], v[78:79]
	s_delay_alu instid0(VALU_DEP_1) | instskip(SKIP_1) | instid1(VALU_DEP_2)
	v_fma_f64 v[131:132], v[125:126], v[40:41], -v[108:109]
	v_mul_f64 v[108:109], v[125:126], v[78:79]
	v_add_f64 v[235:236], v[235:236], -v[131:132]
	s_delay_alu instid0(VALU_DEP_2)
	v_fma_f64 v[133:134], v[127:128], v[40:41], v[108:109]
	ds_load_2addr_b64 v[108:111], v118 offset0:28 offset1:29
	ds_load_2addr_b64 v[125:128], v118 offset0:30 offset1:31
	s_waitcnt lgkmcnt(1)
	v_mul_f64 v[135:136], v[110:111], v[78:79]
	v_add_f64 v[237:238], v[237:238], -v[133:134]
	s_delay_alu instid0(VALU_DEP_2) | instskip(SKIP_1) | instid1(VALU_DEP_2)
	v_fma_f64 v[135:136], v[108:109], v[40:41], -v[135:136]
	v_mul_f64 v[108:109], v[108:109], v[78:79]
	v_add_f64 v[239:240], v[239:240], -v[135:136]
	s_delay_alu instid0(VALU_DEP_2) | instskip(SKIP_2) | instid1(VALU_DEP_2)
	v_fma_f64 v[137:138], v[110:111], v[40:41], v[108:109]
	s_waitcnt lgkmcnt(0)
	v_mul_f64 v[108:109], v[127:128], v[78:79]
	v_add_f64 v[241:242], v[241:242], -v[137:138]
	s_delay_alu instid0(VALU_DEP_2) | instskip(SKIP_1) | instid1(VALU_DEP_2)
	v_fma_f64 v[139:140], v[125:126], v[40:41], -v[108:109]
	v_mul_f64 v[108:109], v[125:126], v[78:79]
	v_add_f64 v[48:49], v[48:49], -v[139:140]
	s_delay_alu instid0(VALU_DEP_2)
	v_fma_f64 v[141:142], v[127:128], v[40:41], v[108:109]
	ds_load_2addr_b64 v[108:111], v118 offset0:32 offset1:33
	ds_load_2addr_b64 v[125:128], v118 offset0:34 offset1:35
	s_waitcnt lgkmcnt(1)
	v_mul_f64 v[143:144], v[110:111], v[78:79]
	v_add_f64 v[50:51], v[50:51], -v[141:142]
	s_delay_alu instid0(VALU_DEP_2) | instskip(SKIP_1) | instid1(VALU_DEP_2)
	v_fma_f64 v[143:144], v[108:109], v[40:41], -v[143:144]
	v_mul_f64 v[108:109], v[108:109], v[78:79]
	v_add_f64 v[52:53], v[52:53], -v[143:144]
	s_delay_alu instid0(VALU_DEP_2) | instskip(SKIP_2) | instid1(VALU_DEP_2)
	v_fma_f64 v[145:146], v[110:111], v[40:41], v[108:109]
	s_waitcnt lgkmcnt(0)
	v_mul_f64 v[108:109], v[127:128], v[78:79]
	v_add_f64 v[54:55], v[54:55], -v[145:146]
	s_delay_alu instid0(VALU_DEP_2) | instskip(SKIP_1) | instid1(VALU_DEP_2)
	;; [unrolled: 20-line block ×5, first 2 shown]
	v_fma_f64 v[171:172], v[125:126], v[40:41], -v[108:109]
	v_mul_f64 v[108:109], v[125:126], v[78:79]
	v_add_f64 v[12:13], v[12:13], -v[171:172]
	s_delay_alu instid0(VALU_DEP_2)
	v_fma_f64 v[173:174], v[127:128], v[40:41], v[108:109]
	ds_load_2addr_b64 v[108:111], v118 offset0:48 offset1:49
	ds_load_2addr_b64 v[125:128], v118 offset0:50 offset1:51
	scratch_load_b128 v[0:3], off, off      ; 16-byte Folded Reload
	scratch_store_b128 off, v[76:79], off offset:16 ; 16-byte Folded Spill
	s_waitcnt lgkmcnt(1)
	v_mul_f64 v[175:176], v[110:111], v[78:79]
	v_add_f64 v[14:15], v[14:15], -v[173:174]
	s_delay_alu instid0(VALU_DEP_2) | instskip(SKIP_1) | instid1(VALU_DEP_2)
	v_fma_f64 v[175:176], v[108:109], v[40:41], -v[175:176]
	v_mul_f64 v[108:109], v[108:109], v[78:79]
	v_add_f64 v[8:9], v[8:9], -v[175:176]
	s_delay_alu instid0(VALU_DEP_2) | instskip(SKIP_2) | instid1(VALU_DEP_2)
	v_fma_f64 v[177:178], v[110:111], v[40:41], v[108:109]
	s_waitcnt lgkmcnt(0)
	v_mul_f64 v[108:109], v[127:128], v[78:79]
	v_add_f64 v[10:11], v[10:11], -v[177:178]
	s_delay_alu instid0(VALU_DEP_2) | instskip(SKIP_1) | instid1(VALU_DEP_2)
	v_fma_f64 v[179:180], v[125:126], v[40:41], -v[108:109]
	v_mul_f64 v[108:109], v[125:126], v[78:79]
	v_add_f64 v[4:5], v[4:5], -v[179:180]
	s_delay_alu instid0(VALU_DEP_2) | instskip(SKIP_4) | instid1(VALU_DEP_2)
	v_fma_f64 v[125:126], v[127:128], v[40:41], v[108:109]
	ds_load_2addr_b64 v[108:111], v118 offset0:52 offset1:53
	s_waitcnt lgkmcnt(0)
	v_mul_f64 v[127:128], v[110:111], v[78:79]
	v_add_f64 v[6:7], v[6:7], -v[125:126]
	v_fma_f64 v[127:128], v[108:109], v[40:41], -v[127:128]
	v_mul_f64 v[108:109], v[108:109], v[78:79]
	s_delay_alu instid0(VALU_DEP_2) | instskip(NEXT) | instid1(VALU_DEP_2)
	v_add_f64 v[252:253], v[252:253], -v[127:128]
	v_fma_f64 v[108:109], v[110:111], v[40:41], v[108:109]
	s_delay_alu instid0(VALU_DEP_1)
	v_add_f64 v[254:255], v[254:255], -v[108:109]
	s_waitcnt vmcnt(0)
	v_add_f64 v[0:1], v[0:1], -v[116:117]
	v_add_f64 v[2:3], v[2:3], -v[129:130]
	scratch_store_b128 off, v[0:3], off     ; 16-byte Folded Spill
.LBB52_167:
	s_or_b32 exec_lo, exec_lo, s2
	v_lshl_add_u32 v40, v124, 4, v118
	s_waitcnt_vscnt null, 0x0
	s_barrier
	buffer_gl0_inv
	v_mov_b32_e32 v116, 8
	ds_store_2addr_b64 v40, v[84:85], v[86:87] offset1:1
	s_waitcnt lgkmcnt(0)
	s_barrier
	buffer_gl0_inv
	ds_load_2addr_b64 v[108:111], v118 offset0:16 offset1:17
	s_cmp_lt_i32 s5, 10
	s_cbranch_scc1 .LBB52_170
; %bb.168:
	v_add3_u32 v117, v120, 0, 0x90
	v_mov_b32_e32 v116, 8
	s_mov_b32 s6, 9
	s_set_inst_prefetch_distance 0x1
	.p2align	6
.LBB52_169:                             ; =>This Inner Loop Header: Depth=1
	ds_load_2addr_b64 v[125:128], v117 offset1:1
	s_waitcnt lgkmcnt(1)
	v_cmp_gt_f64_e32 vcc_lo, 0, v[108:109]
	v_xor_b32_e32 v40, 0x80000000, v109
	v_cmp_gt_f64_e64 s2, 0, v[110:111]
	v_xor_b32_e32 v42, 0x80000000, v111
	v_add_nc_u32_e32 v117, 16, v117
	s_waitcnt lgkmcnt(0)
	v_cmp_gt_f64_e64 s3, 0, v[125:126]
	v_mov_b32_e32 v44, v125
	v_dual_mov_b32 v46, v127 :: v_dual_cndmask_b32 v41, v109, v40
	v_xor_b32_e32 v40, 0x80000000, v126
	v_cndmask_b32_e64 v43, v111, v42, s2
	v_xor_b32_e32 v42, 0x80000000, v128
	s_delay_alu instid0(VALU_DEP_3) | instskip(SKIP_2) | instid1(VALU_DEP_2)
	v_cndmask_b32_e64 v45, v126, v40, s3
	v_cmp_gt_f64_e64 s3, 0, v[127:128]
	v_cndmask_b32_e32 v40, v108, v108, vcc_lo
	v_cndmask_b32_e64 v47, v128, v42, s3
	v_cndmask_b32_e64 v42, v110, v110, s2
	s_delay_alu instid0(VALU_DEP_2) | instskip(NEXT) | instid1(VALU_DEP_2)
	v_add_f64 v[44:45], v[44:45], v[46:47]
	v_add_f64 v[40:41], v[40:41], v[42:43]
	s_delay_alu instid0(VALU_DEP_1) | instskip(SKIP_4) | instid1(SALU_CYCLE_1)
	v_cmp_lt_f64_e32 vcc_lo, v[40:41], v[44:45]
	v_dual_cndmask_b32 v109, v109, v126 :: v_dual_cndmask_b32 v108, v108, v125
	v_dual_cndmask_b32 v111, v111, v128 :: v_dual_cndmask_b32 v110, v110, v127
	v_cndmask_b32_e64 v116, v116, s6, vcc_lo
	s_add_i32 s6, s6, 1
	s_cmp_lg_u32 s5, s6
	s_cbranch_scc1 .LBB52_169
.LBB52_170:
	s_set_inst_prefetch_distance 0x2
	s_waitcnt lgkmcnt(0)
	v_cmp_eq_f64_e32 vcc_lo, 0, v[108:109]
	v_cmp_eq_f64_e64 s2, 0, v[110:111]
	s_delay_alu instid0(VALU_DEP_1) | instskip(NEXT) | instid1(SALU_CYCLE_1)
	s_and_b32 s2, vcc_lo, s2
	s_and_saveexec_b32 s3, s2
	s_delay_alu instid0(SALU_CYCLE_1)
	s_xor_b32 s2, exec_lo, s3
; %bb.171:
	v_cmp_ne_u32_e32 vcc_lo, 0, v123
	v_cndmask_b32_e32 v123, 9, v123, vcc_lo
; %bb.172:
	s_and_not1_saveexec_b32 s3, s2
	s_cbranch_execz .LBB52_178
; %bb.173:
	v_cmp_gt_f64_e32 vcc_lo, 0, v[108:109]
	v_cmp_gt_f64_e64 s2, 0, v[110:111]
	v_xor_b32_e32 v40, 0x80000000, v109
	v_xor_b32_e32 v42, 0x80000000, v111
	s_delay_alu instid0(VALU_DEP_2) | instskip(NEXT) | instid1(VALU_DEP_2)
	v_cndmask_b32_e32 v41, v109, v40, vcc_lo
	v_cndmask_b32_e64 v43, v111, v42, s2
	v_cndmask_b32_e32 v40, v108, v108, vcc_lo
	v_cndmask_b32_e64 v42, v110, v110, s2
	s_mov_b32 s2, exec_lo
	s_delay_alu instid0(VALU_DEP_1)
	v_cmpx_ngt_f64_e32 v[40:41], v[42:43]
	s_xor_b32 s2, exec_lo, s2
	s_cbranch_execz .LBB52_175
; %bb.174:
	v_div_scale_f64 v[40:41], null, v[110:111], v[110:111], v[108:109]
	v_div_scale_f64 v[46:47], vcc_lo, v[108:109], v[110:111], v[108:109]
	s_delay_alu instid0(VALU_DEP_2) | instskip(SKIP_2) | instid1(VALU_DEP_1)
	v_rcp_f64_e32 v[42:43], v[40:41]
	s_waitcnt_depctr 0xfff
	v_fma_f64 v[44:45], -v[40:41], v[42:43], 1.0
	v_fma_f64 v[42:43], v[42:43], v[44:45], v[42:43]
	s_delay_alu instid0(VALU_DEP_1) | instskip(NEXT) | instid1(VALU_DEP_1)
	v_fma_f64 v[44:45], -v[40:41], v[42:43], 1.0
	v_fma_f64 v[42:43], v[42:43], v[44:45], v[42:43]
	s_delay_alu instid0(VALU_DEP_1) | instskip(NEXT) | instid1(VALU_DEP_1)
	v_mul_f64 v[44:45], v[46:47], v[42:43]
	v_fma_f64 v[40:41], -v[40:41], v[44:45], v[46:47]
	s_delay_alu instid0(VALU_DEP_1) | instskip(NEXT) | instid1(VALU_DEP_1)
	v_div_fmas_f64 v[40:41], v[40:41], v[42:43], v[44:45]
	v_div_fixup_f64 v[40:41], v[40:41], v[110:111], v[108:109]
	s_delay_alu instid0(VALU_DEP_1) | instskip(NEXT) | instid1(VALU_DEP_1)
	v_fma_f64 v[42:43], v[108:109], v[40:41], v[110:111]
	v_div_scale_f64 v[44:45], null, v[42:43], v[42:43], 1.0
	s_delay_alu instid0(VALU_DEP_1) | instskip(SKIP_2) | instid1(VALU_DEP_1)
	v_rcp_f64_e32 v[46:47], v[44:45]
	s_waitcnt_depctr 0xfff
	v_fma_f64 v[100:101], -v[44:45], v[46:47], 1.0
	v_fma_f64 v[46:47], v[46:47], v[100:101], v[46:47]
	s_delay_alu instid0(VALU_DEP_1) | instskip(NEXT) | instid1(VALU_DEP_1)
	v_fma_f64 v[100:101], -v[44:45], v[46:47], 1.0
	v_fma_f64 v[46:47], v[46:47], v[100:101], v[46:47]
	v_div_scale_f64 v[100:101], vcc_lo, 1.0, v[42:43], 1.0
	s_delay_alu instid0(VALU_DEP_1) | instskip(NEXT) | instid1(VALU_DEP_1)
	v_mul_f64 v[102:103], v[100:101], v[46:47]
	v_fma_f64 v[44:45], -v[44:45], v[102:103], v[100:101]
	s_delay_alu instid0(VALU_DEP_1) | instskip(NEXT) | instid1(VALU_DEP_1)
	v_div_fmas_f64 v[44:45], v[44:45], v[46:47], v[102:103]
	v_div_fixup_f64 v[110:111], v[44:45], v[42:43], 1.0
	s_delay_alu instid0(VALU_DEP_1)
	v_mul_f64 v[108:109], v[40:41], v[110:111]
	v_xor_b32_e32 v111, 0x80000000, v111
.LBB52_175:
	s_and_not1_saveexec_b32 s2, s2
	s_cbranch_execz .LBB52_177
; %bb.176:
	s_delay_alu instid0(VALU_DEP_1) | instskip(SKIP_1) | instid1(VALU_DEP_2)
	v_div_scale_f64 v[40:41], null, v[108:109], v[108:109], v[110:111]
	v_div_scale_f64 v[46:47], vcc_lo, v[110:111], v[108:109], v[110:111]
	v_rcp_f64_e32 v[42:43], v[40:41]
	s_waitcnt_depctr 0xfff
	v_fma_f64 v[44:45], -v[40:41], v[42:43], 1.0
	s_delay_alu instid0(VALU_DEP_1) | instskip(NEXT) | instid1(VALU_DEP_1)
	v_fma_f64 v[42:43], v[42:43], v[44:45], v[42:43]
	v_fma_f64 v[44:45], -v[40:41], v[42:43], 1.0
	s_delay_alu instid0(VALU_DEP_1) | instskip(NEXT) | instid1(VALU_DEP_1)
	v_fma_f64 v[42:43], v[42:43], v[44:45], v[42:43]
	v_mul_f64 v[44:45], v[46:47], v[42:43]
	s_delay_alu instid0(VALU_DEP_1) | instskip(NEXT) | instid1(VALU_DEP_1)
	v_fma_f64 v[40:41], -v[40:41], v[44:45], v[46:47]
	v_div_fmas_f64 v[40:41], v[40:41], v[42:43], v[44:45]
	s_delay_alu instid0(VALU_DEP_1) | instskip(NEXT) | instid1(VALU_DEP_1)
	v_div_fixup_f64 v[40:41], v[40:41], v[108:109], v[110:111]
	v_fma_f64 v[42:43], v[110:111], v[40:41], v[108:109]
	s_delay_alu instid0(VALU_DEP_1) | instskip(NEXT) | instid1(VALU_DEP_1)
	v_div_scale_f64 v[44:45], null, v[42:43], v[42:43], 1.0
	v_rcp_f64_e32 v[46:47], v[44:45]
	s_waitcnt_depctr 0xfff
	v_fma_f64 v[100:101], -v[44:45], v[46:47], 1.0
	s_delay_alu instid0(VALU_DEP_1) | instskip(NEXT) | instid1(VALU_DEP_1)
	v_fma_f64 v[46:47], v[46:47], v[100:101], v[46:47]
	v_fma_f64 v[100:101], -v[44:45], v[46:47], 1.0
	s_delay_alu instid0(VALU_DEP_1) | instskip(SKIP_1) | instid1(VALU_DEP_1)
	v_fma_f64 v[46:47], v[46:47], v[100:101], v[46:47]
	v_div_scale_f64 v[100:101], vcc_lo, 1.0, v[42:43], 1.0
	v_mul_f64 v[102:103], v[100:101], v[46:47]
	s_delay_alu instid0(VALU_DEP_1) | instskip(NEXT) | instid1(VALU_DEP_1)
	v_fma_f64 v[44:45], -v[44:45], v[102:103], v[100:101]
	v_div_fmas_f64 v[44:45], v[44:45], v[46:47], v[102:103]
	s_delay_alu instid0(VALU_DEP_1) | instskip(NEXT) | instid1(VALU_DEP_1)
	v_div_fixup_f64 v[108:109], v[44:45], v[42:43], 1.0
	v_mul_f64 v[110:111], v[40:41], -v[108:109]
.LBB52_177:
	s_or_b32 exec_lo, exec_lo, s2
.LBB52_178:
	s_delay_alu instid0(SALU_CYCLE_1) | instskip(NEXT) | instid1(SALU_CYCLE_1)
	s_or_b32 exec_lo, exec_lo, s3
	s_mov_b32 s2, exec_lo
	v_cmpx_ne_u32_e64 v124, v116
	s_xor_b32 s2, exec_lo, s2
	s_cbranch_execz .LBB52_184
; %bb.179:
	s_mov_b32 s3, exec_lo
	v_cmpx_eq_u32_e32 8, v124
	s_cbranch_execz .LBB52_183
; %bb.180:
	v_cmp_ne_u32_e32 vcc_lo, 8, v116
	s_xor_b32 s6, s4, -1
	s_delay_alu instid0(SALU_CYCLE_1) | instskip(NEXT) | instid1(SALU_CYCLE_1)
	s_and_b32 s7, s6, vcc_lo
	s_and_saveexec_b32 s6, s7
	s_cbranch_execz .LBB52_182
; %bb.181:
	scratch_load_b64 v[44:45], off, off offset:48 ; 8-byte Folded Reload
	v_ashrrev_i32_e32 v117, 31, v116
	s_delay_alu instid0(VALU_DEP_1) | instskip(SKIP_1) | instid1(VALU_DEP_1)
	v_lshlrev_b64 v[40:41], 2, v[116:117]
	s_waitcnt vmcnt(0)
	v_add_co_u32 v40, vcc_lo, v44, v40
	s_delay_alu instid0(VALU_DEP_2)
	v_add_co_ci_u32_e32 v41, vcc_lo, v45, v41, vcc_lo
	s_clause 0x1
	flat_load_b32 v42, v[40:41]
	flat_load_b32 v43, v[44:45] offset:32
	s_waitcnt vmcnt(1) lgkmcnt(1)
	flat_store_b32 v[44:45], v42 offset:32
	s_waitcnt vmcnt(0) lgkmcnt(1)
	flat_store_b32 v[40:41], v43
.LBB52_182:
	s_or_b32 exec_lo, exec_lo, s6
	v_mov_b32_e32 v124, v116
	v_mov_b32_e32 v119, v116
.LBB52_183:
	s_or_b32 exec_lo, exec_lo, s3
.LBB52_184:
	s_and_not1_saveexec_b32 s2, s2
	s_cbranch_execz .LBB52_186
; %bb.185:
	ds_store_2addr_b64 v118, v[80:81], v[82:83] offset0:18 offset1:19
	ds_store_2addr_b64 v118, v[68:69], v[70:71] offset0:20 offset1:21
	ds_store_2addr_b64 v118, v[64:65], v[66:67] offset0:22 offset1:23
	scratch_load_b128 v[0:3], off, off      ; 16-byte Folded Reload
	v_mov_b32_e32 v124, 8
	s_waitcnt vmcnt(0)
	ds_store_2addr_b64 v118, v[0:1], v[2:3] offset0:24 offset1:25
	ds_store_2addr_b64 v118, v[235:236], v[237:238] offset0:26 offset1:27
	;; [unrolled: 1-line block ×15, first 2 shown]
.LBB52_186:
	s_or_b32 exec_lo, exec_lo, s2
	s_delay_alu instid0(SALU_CYCLE_1)
	s_mov_b32 s2, exec_lo
	s_waitcnt lgkmcnt(0)
	s_waitcnt_vscnt null, 0x0
	s_barrier
	buffer_gl0_inv
	v_cmpx_lt_i32_e32 8, v124
	s_cbranch_execz .LBB52_188
; %bb.187:
	v_mul_f64 v[42:43], v[108:109], v[86:87]
	v_mul_f64 v[40:41], v[110:111], v[86:87]
	s_delay_alu instid0(VALU_DEP_2) | instskip(NEXT) | instid1(VALU_DEP_2)
	v_fma_f64 v[86:87], v[110:111], v[84:85], v[42:43]
	v_fma_f64 v[40:41], v[108:109], v[84:85], -v[40:41]
	ds_load_2addr_b64 v[108:111], v118 offset0:18 offset1:19
	ds_load_2addr_b64 v[125:128], v118 offset0:20 offset1:21
	s_waitcnt lgkmcnt(1)
	v_mul_f64 v[42:43], v[110:111], v[86:87]
	v_mul_f64 v[44:45], v[108:109], v[86:87]
	s_waitcnt lgkmcnt(0)
	v_mul_f64 v[46:47], v[127:128], v[86:87]
	v_mul_f64 v[84:85], v[125:126], v[86:87]
	s_delay_alu instid0(VALU_DEP_4) | instskip(NEXT) | instid1(VALU_DEP_4)
	v_fma_f64 v[42:43], v[108:109], v[40:41], -v[42:43]
	v_fma_f64 v[44:45], v[110:111], v[40:41], v[44:45]
	s_delay_alu instid0(VALU_DEP_4) | instskip(NEXT) | instid1(VALU_DEP_4)
	v_fma_f64 v[46:47], v[125:126], v[40:41], -v[46:47]
	v_fma_f64 v[84:85], v[127:128], v[40:41], v[84:85]
	ds_load_2addr_b64 v[108:111], v118 offset0:22 offset1:23
	ds_load_2addr_b64 v[125:128], v118 offset0:24 offset1:25
	s_waitcnt lgkmcnt(1)
	v_mul_f64 v[100:101], v[110:111], v[86:87]
	v_mul_f64 v[102:103], v[108:109], v[86:87]
	v_add_f64 v[80:81], v[80:81], -v[42:43]
	v_add_f64 v[82:83], v[82:83], -v[44:45]
	;; [unrolled: 1-line block ×4, first 2 shown]
	v_dual_mov_b32 v85, v41 :: v_dual_mov_b32 v84, v40
	v_fma_f64 v[100:101], v[108:109], v[40:41], -v[100:101]
	s_waitcnt lgkmcnt(0)
	v_mul_f64 v[108:109], v[127:128], v[86:87]
	v_fma_f64 v[102:103], v[110:111], v[40:41], v[102:103]
	s_delay_alu instid0(VALU_DEP_3) | instskip(NEXT) | instid1(VALU_DEP_3)
	v_add_f64 v[64:65], v[64:65], -v[100:101]
	v_fma_f64 v[112:113], v[125:126], v[40:41], -v[108:109]
	v_mul_f64 v[108:109], v[125:126], v[86:87]
	s_delay_alu instid0(VALU_DEP_4) | instskip(NEXT) | instid1(VALU_DEP_2)
	v_add_f64 v[66:67], v[66:67], -v[102:103]
	v_fma_f64 v[114:115], v[127:128], v[40:41], v[108:109]
	ds_load_2addr_b64 v[108:111], v118 offset0:26 offset1:27
	ds_load_2addr_b64 v[125:128], v118 offset0:28 offset1:29
	s_waitcnt lgkmcnt(1)
	v_mul_f64 v[116:117], v[110:111], v[86:87]
	s_delay_alu instid0(VALU_DEP_1) | instskip(SKIP_1) | instid1(VALU_DEP_2)
	v_fma_f64 v[116:117], v[108:109], v[40:41], -v[116:117]
	v_mul_f64 v[108:109], v[108:109], v[86:87]
	v_add_f64 v[235:236], v[235:236], -v[116:117]
	s_delay_alu instid0(VALU_DEP_2) | instskip(SKIP_2) | instid1(VALU_DEP_2)
	v_fma_f64 v[129:130], v[110:111], v[40:41], v[108:109]
	s_waitcnt lgkmcnt(0)
	v_mul_f64 v[108:109], v[127:128], v[86:87]
	v_add_f64 v[237:238], v[237:238], -v[129:130]
	s_delay_alu instid0(VALU_DEP_2) | instskip(SKIP_1) | instid1(VALU_DEP_2)
	v_fma_f64 v[131:132], v[125:126], v[40:41], -v[108:109]
	v_mul_f64 v[108:109], v[125:126], v[86:87]
	v_add_f64 v[239:240], v[239:240], -v[131:132]
	s_delay_alu instid0(VALU_DEP_2)
	v_fma_f64 v[133:134], v[127:128], v[40:41], v[108:109]
	ds_load_2addr_b64 v[108:111], v118 offset0:30 offset1:31
	ds_load_2addr_b64 v[125:128], v118 offset0:32 offset1:33
	s_waitcnt lgkmcnt(1)
	v_mul_f64 v[135:136], v[110:111], v[86:87]
	v_add_f64 v[241:242], v[241:242], -v[133:134]
	s_delay_alu instid0(VALU_DEP_2) | instskip(SKIP_1) | instid1(VALU_DEP_2)
	v_fma_f64 v[135:136], v[108:109], v[40:41], -v[135:136]
	v_mul_f64 v[108:109], v[108:109], v[86:87]
	v_add_f64 v[48:49], v[48:49], -v[135:136]
	s_delay_alu instid0(VALU_DEP_2) | instskip(SKIP_2) | instid1(VALU_DEP_2)
	v_fma_f64 v[137:138], v[110:111], v[40:41], v[108:109]
	s_waitcnt lgkmcnt(0)
	v_mul_f64 v[108:109], v[127:128], v[86:87]
	v_add_f64 v[50:51], v[50:51], -v[137:138]
	s_delay_alu instid0(VALU_DEP_2) | instskip(SKIP_1) | instid1(VALU_DEP_2)
	v_fma_f64 v[139:140], v[125:126], v[40:41], -v[108:109]
	v_mul_f64 v[108:109], v[125:126], v[86:87]
	v_add_f64 v[52:53], v[52:53], -v[139:140]
	s_delay_alu instid0(VALU_DEP_2)
	v_fma_f64 v[141:142], v[127:128], v[40:41], v[108:109]
	ds_load_2addr_b64 v[108:111], v118 offset0:34 offset1:35
	ds_load_2addr_b64 v[125:128], v118 offset0:36 offset1:37
	s_waitcnt lgkmcnt(1)
	v_mul_f64 v[143:144], v[110:111], v[86:87]
	v_add_f64 v[54:55], v[54:55], -v[141:142]
	s_delay_alu instid0(VALU_DEP_2) | instskip(SKIP_1) | instid1(VALU_DEP_2)
	;; [unrolled: 20-line block ×5, first 2 shown]
	v_fma_f64 v[167:168], v[108:109], v[40:41], -v[167:168]
	v_mul_f64 v[108:109], v[108:109], v[86:87]
	v_add_f64 v[12:13], v[12:13], -v[167:168]
	s_delay_alu instid0(VALU_DEP_2) | instskip(SKIP_2) | instid1(VALU_DEP_2)
	v_fma_f64 v[169:170], v[110:111], v[40:41], v[108:109]
	s_waitcnt lgkmcnt(0)
	v_mul_f64 v[108:109], v[127:128], v[86:87]
	v_add_f64 v[14:15], v[14:15], -v[169:170]
	s_delay_alu instid0(VALU_DEP_2) | instskip(SKIP_1) | instid1(VALU_DEP_2)
	v_fma_f64 v[171:172], v[125:126], v[40:41], -v[108:109]
	v_mul_f64 v[108:109], v[125:126], v[86:87]
	v_add_f64 v[8:9], v[8:9], -v[171:172]
	s_delay_alu instid0(VALU_DEP_2)
	v_fma_f64 v[173:174], v[127:128], v[40:41], v[108:109]
	ds_load_2addr_b64 v[108:111], v118 offset0:50 offset1:51
	ds_load_2addr_b64 v[125:128], v118 offset0:52 offset1:53
	scratch_load_b128 v[0:3], off, off      ; 16-byte Folded Reload
	s_waitcnt lgkmcnt(1)
	v_mul_f64 v[175:176], v[110:111], v[86:87]
	v_add_f64 v[10:11], v[10:11], -v[173:174]
	s_delay_alu instid0(VALU_DEP_2) | instskip(SKIP_1) | instid1(VALU_DEP_2)
	v_fma_f64 v[175:176], v[108:109], v[40:41], -v[175:176]
	v_mul_f64 v[108:109], v[108:109], v[86:87]
	v_add_f64 v[4:5], v[4:5], -v[175:176]
	s_delay_alu instid0(VALU_DEP_2) | instskip(SKIP_2) | instid1(VALU_DEP_2)
	v_fma_f64 v[108:109], v[110:111], v[40:41], v[108:109]
	s_waitcnt lgkmcnt(0)
	v_mul_f64 v[110:111], v[127:128], v[86:87]
	v_add_f64 v[6:7], v[6:7], -v[108:109]
	s_delay_alu instid0(VALU_DEP_2) | instskip(SKIP_1) | instid1(VALU_DEP_2)
	v_fma_f64 v[110:111], v[125:126], v[40:41], -v[110:111]
	v_mul_f64 v[125:126], v[125:126], v[86:87]
	v_add_f64 v[252:253], v[252:253], -v[110:111]
	s_delay_alu instid0(VALU_DEP_2) | instskip(NEXT) | instid1(VALU_DEP_1)
	v_fma_f64 v[125:126], v[127:128], v[40:41], v[125:126]
	v_add_f64 v[254:255], v[254:255], -v[125:126]
	s_waitcnt vmcnt(0)
	v_add_f64 v[0:1], v[0:1], -v[112:113]
	v_add_f64 v[2:3], v[2:3], -v[114:115]
	scratch_store_b128 off, v[0:3], off     ; 16-byte Folded Spill
.LBB52_188:
	s_or_b32 exec_lo, exec_lo, s2
	v_lshl_add_u32 v40, v124, 4, v118
	s_waitcnt_vscnt null, 0x0
	s_barrier
	buffer_gl0_inv
	v_mov_b32_e32 v116, 9
	ds_store_2addr_b64 v40, v[80:81], v[82:83] offset1:1
	s_waitcnt lgkmcnt(0)
	s_barrier
	buffer_gl0_inv
	ds_load_2addr_b64 v[108:111], v118 offset0:18 offset1:19
	s_cmp_lt_i32 s5, 11
	s_cbranch_scc1 .LBB52_191
; %bb.189:
	v_add3_u32 v117, v120, 0, 0xa0
	v_mov_b32_e32 v116, 9
	s_mov_b32 s6, 10
	s_set_inst_prefetch_distance 0x1
	.p2align	6
.LBB52_190:                             ; =>This Inner Loop Header: Depth=1
	ds_load_2addr_b64 v[125:128], v117 offset1:1
	s_waitcnt lgkmcnt(1)
	v_cmp_gt_f64_e32 vcc_lo, 0, v[108:109]
	v_xor_b32_e32 v40, 0x80000000, v109
	v_cmp_gt_f64_e64 s2, 0, v[110:111]
	v_xor_b32_e32 v42, 0x80000000, v111
	v_add_nc_u32_e32 v117, 16, v117
	s_waitcnt lgkmcnt(0)
	v_cmp_gt_f64_e64 s3, 0, v[125:126]
	v_mov_b32_e32 v44, v125
	v_dual_mov_b32 v46, v127 :: v_dual_cndmask_b32 v41, v109, v40
	v_xor_b32_e32 v40, 0x80000000, v126
	v_cndmask_b32_e64 v43, v111, v42, s2
	v_xor_b32_e32 v42, 0x80000000, v128
	s_delay_alu instid0(VALU_DEP_3) | instskip(SKIP_2) | instid1(VALU_DEP_2)
	v_cndmask_b32_e64 v45, v126, v40, s3
	v_cmp_gt_f64_e64 s3, 0, v[127:128]
	v_cndmask_b32_e32 v40, v108, v108, vcc_lo
	v_cndmask_b32_e64 v47, v128, v42, s3
	v_cndmask_b32_e64 v42, v110, v110, s2
	s_delay_alu instid0(VALU_DEP_2) | instskip(NEXT) | instid1(VALU_DEP_2)
	v_add_f64 v[44:45], v[44:45], v[46:47]
	v_add_f64 v[40:41], v[40:41], v[42:43]
	s_delay_alu instid0(VALU_DEP_1) | instskip(SKIP_4) | instid1(SALU_CYCLE_1)
	v_cmp_lt_f64_e32 vcc_lo, v[40:41], v[44:45]
	v_dual_cndmask_b32 v109, v109, v126 :: v_dual_cndmask_b32 v108, v108, v125
	v_dual_cndmask_b32 v111, v111, v128 :: v_dual_cndmask_b32 v110, v110, v127
	v_cndmask_b32_e64 v116, v116, s6, vcc_lo
	s_add_i32 s6, s6, 1
	s_cmp_lg_u32 s5, s6
	s_cbranch_scc1 .LBB52_190
.LBB52_191:
	s_set_inst_prefetch_distance 0x2
	s_waitcnt lgkmcnt(0)
	v_cmp_eq_f64_e32 vcc_lo, 0, v[108:109]
	v_cmp_eq_f64_e64 s2, 0, v[110:111]
	s_delay_alu instid0(VALU_DEP_1) | instskip(NEXT) | instid1(SALU_CYCLE_1)
	s_and_b32 s2, vcc_lo, s2
	s_and_saveexec_b32 s3, s2
	s_delay_alu instid0(SALU_CYCLE_1)
	s_xor_b32 s2, exec_lo, s3
; %bb.192:
	v_cmp_ne_u32_e32 vcc_lo, 0, v123
	v_cndmask_b32_e32 v123, 10, v123, vcc_lo
; %bb.193:
	s_and_not1_saveexec_b32 s3, s2
	s_cbranch_execz .LBB52_199
; %bb.194:
	v_cmp_gt_f64_e32 vcc_lo, 0, v[108:109]
	v_cmp_gt_f64_e64 s2, 0, v[110:111]
	v_xor_b32_e32 v40, 0x80000000, v109
	v_xor_b32_e32 v42, 0x80000000, v111
	s_delay_alu instid0(VALU_DEP_2) | instskip(NEXT) | instid1(VALU_DEP_2)
	v_cndmask_b32_e32 v41, v109, v40, vcc_lo
	v_cndmask_b32_e64 v43, v111, v42, s2
	v_cndmask_b32_e32 v40, v108, v108, vcc_lo
	v_cndmask_b32_e64 v42, v110, v110, s2
	s_mov_b32 s2, exec_lo
	s_delay_alu instid0(VALU_DEP_1)
	v_cmpx_ngt_f64_e32 v[40:41], v[42:43]
	s_xor_b32 s2, exec_lo, s2
	s_cbranch_execz .LBB52_196
; %bb.195:
	v_div_scale_f64 v[40:41], null, v[110:111], v[110:111], v[108:109]
	v_div_scale_f64 v[46:47], vcc_lo, v[108:109], v[110:111], v[108:109]
	s_delay_alu instid0(VALU_DEP_2) | instskip(SKIP_2) | instid1(VALU_DEP_1)
	v_rcp_f64_e32 v[42:43], v[40:41]
	s_waitcnt_depctr 0xfff
	v_fma_f64 v[44:45], -v[40:41], v[42:43], 1.0
	v_fma_f64 v[42:43], v[42:43], v[44:45], v[42:43]
	s_delay_alu instid0(VALU_DEP_1) | instskip(NEXT) | instid1(VALU_DEP_1)
	v_fma_f64 v[44:45], -v[40:41], v[42:43], 1.0
	v_fma_f64 v[42:43], v[42:43], v[44:45], v[42:43]
	s_delay_alu instid0(VALU_DEP_1) | instskip(NEXT) | instid1(VALU_DEP_1)
	v_mul_f64 v[44:45], v[46:47], v[42:43]
	v_fma_f64 v[40:41], -v[40:41], v[44:45], v[46:47]
	s_delay_alu instid0(VALU_DEP_1) | instskip(NEXT) | instid1(VALU_DEP_1)
	v_div_fmas_f64 v[40:41], v[40:41], v[42:43], v[44:45]
	v_div_fixup_f64 v[40:41], v[40:41], v[110:111], v[108:109]
	s_delay_alu instid0(VALU_DEP_1) | instskip(NEXT) | instid1(VALU_DEP_1)
	v_fma_f64 v[42:43], v[108:109], v[40:41], v[110:111]
	v_div_scale_f64 v[44:45], null, v[42:43], v[42:43], 1.0
	s_delay_alu instid0(VALU_DEP_1) | instskip(SKIP_2) | instid1(VALU_DEP_1)
	v_rcp_f64_e32 v[46:47], v[44:45]
	s_waitcnt_depctr 0xfff
	v_fma_f64 v[100:101], -v[44:45], v[46:47], 1.0
	v_fma_f64 v[46:47], v[46:47], v[100:101], v[46:47]
	s_delay_alu instid0(VALU_DEP_1) | instskip(NEXT) | instid1(VALU_DEP_1)
	v_fma_f64 v[100:101], -v[44:45], v[46:47], 1.0
	v_fma_f64 v[46:47], v[46:47], v[100:101], v[46:47]
	v_div_scale_f64 v[100:101], vcc_lo, 1.0, v[42:43], 1.0
	s_delay_alu instid0(VALU_DEP_1) | instskip(NEXT) | instid1(VALU_DEP_1)
	v_mul_f64 v[102:103], v[100:101], v[46:47]
	v_fma_f64 v[44:45], -v[44:45], v[102:103], v[100:101]
	s_delay_alu instid0(VALU_DEP_1) | instskip(NEXT) | instid1(VALU_DEP_1)
	v_div_fmas_f64 v[44:45], v[44:45], v[46:47], v[102:103]
	v_div_fixup_f64 v[110:111], v[44:45], v[42:43], 1.0
	s_delay_alu instid0(VALU_DEP_1)
	v_mul_f64 v[108:109], v[40:41], v[110:111]
	v_xor_b32_e32 v111, 0x80000000, v111
.LBB52_196:
	s_and_not1_saveexec_b32 s2, s2
	s_cbranch_execz .LBB52_198
; %bb.197:
	s_delay_alu instid0(VALU_DEP_1) | instskip(SKIP_1) | instid1(VALU_DEP_2)
	v_div_scale_f64 v[40:41], null, v[108:109], v[108:109], v[110:111]
	v_div_scale_f64 v[46:47], vcc_lo, v[110:111], v[108:109], v[110:111]
	v_rcp_f64_e32 v[42:43], v[40:41]
	s_waitcnt_depctr 0xfff
	v_fma_f64 v[44:45], -v[40:41], v[42:43], 1.0
	s_delay_alu instid0(VALU_DEP_1) | instskip(NEXT) | instid1(VALU_DEP_1)
	v_fma_f64 v[42:43], v[42:43], v[44:45], v[42:43]
	v_fma_f64 v[44:45], -v[40:41], v[42:43], 1.0
	s_delay_alu instid0(VALU_DEP_1) | instskip(NEXT) | instid1(VALU_DEP_1)
	v_fma_f64 v[42:43], v[42:43], v[44:45], v[42:43]
	v_mul_f64 v[44:45], v[46:47], v[42:43]
	s_delay_alu instid0(VALU_DEP_1) | instskip(NEXT) | instid1(VALU_DEP_1)
	v_fma_f64 v[40:41], -v[40:41], v[44:45], v[46:47]
	v_div_fmas_f64 v[40:41], v[40:41], v[42:43], v[44:45]
	s_delay_alu instid0(VALU_DEP_1) | instskip(NEXT) | instid1(VALU_DEP_1)
	v_div_fixup_f64 v[40:41], v[40:41], v[108:109], v[110:111]
	v_fma_f64 v[42:43], v[110:111], v[40:41], v[108:109]
	s_delay_alu instid0(VALU_DEP_1) | instskip(NEXT) | instid1(VALU_DEP_1)
	v_div_scale_f64 v[44:45], null, v[42:43], v[42:43], 1.0
	v_rcp_f64_e32 v[46:47], v[44:45]
	s_waitcnt_depctr 0xfff
	v_fma_f64 v[100:101], -v[44:45], v[46:47], 1.0
	s_delay_alu instid0(VALU_DEP_1) | instskip(NEXT) | instid1(VALU_DEP_1)
	v_fma_f64 v[46:47], v[46:47], v[100:101], v[46:47]
	v_fma_f64 v[100:101], -v[44:45], v[46:47], 1.0
	s_delay_alu instid0(VALU_DEP_1) | instskip(SKIP_1) | instid1(VALU_DEP_1)
	v_fma_f64 v[46:47], v[46:47], v[100:101], v[46:47]
	v_div_scale_f64 v[100:101], vcc_lo, 1.0, v[42:43], 1.0
	v_mul_f64 v[102:103], v[100:101], v[46:47]
	s_delay_alu instid0(VALU_DEP_1) | instskip(NEXT) | instid1(VALU_DEP_1)
	v_fma_f64 v[44:45], -v[44:45], v[102:103], v[100:101]
	v_div_fmas_f64 v[44:45], v[44:45], v[46:47], v[102:103]
	s_delay_alu instid0(VALU_DEP_1) | instskip(NEXT) | instid1(VALU_DEP_1)
	v_div_fixup_f64 v[108:109], v[44:45], v[42:43], 1.0
	v_mul_f64 v[110:111], v[40:41], -v[108:109]
.LBB52_198:
	s_or_b32 exec_lo, exec_lo, s2
.LBB52_199:
	s_delay_alu instid0(SALU_CYCLE_1) | instskip(NEXT) | instid1(SALU_CYCLE_1)
	s_or_b32 exec_lo, exec_lo, s3
	s_mov_b32 s2, exec_lo
	v_cmpx_ne_u32_e64 v124, v116
	s_xor_b32 s2, exec_lo, s2
	s_cbranch_execz .LBB52_205
; %bb.200:
	s_mov_b32 s3, exec_lo
	v_cmpx_eq_u32_e32 9, v124
	s_cbranch_execz .LBB52_204
; %bb.201:
	v_cmp_ne_u32_e32 vcc_lo, 9, v116
	s_xor_b32 s6, s4, -1
	s_delay_alu instid0(SALU_CYCLE_1) | instskip(NEXT) | instid1(SALU_CYCLE_1)
	s_and_b32 s7, s6, vcc_lo
	s_and_saveexec_b32 s6, s7
	s_cbranch_execz .LBB52_203
; %bb.202:
	scratch_load_b64 v[44:45], off, off offset:48 ; 8-byte Folded Reload
	v_ashrrev_i32_e32 v117, 31, v116
	s_delay_alu instid0(VALU_DEP_1) | instskip(SKIP_1) | instid1(VALU_DEP_1)
	v_lshlrev_b64 v[40:41], 2, v[116:117]
	s_waitcnt vmcnt(0)
	v_add_co_u32 v40, vcc_lo, v44, v40
	s_delay_alu instid0(VALU_DEP_2)
	v_add_co_ci_u32_e32 v41, vcc_lo, v45, v41, vcc_lo
	s_clause 0x1
	flat_load_b32 v42, v[40:41]
	flat_load_b32 v43, v[44:45] offset:36
	s_waitcnt vmcnt(1) lgkmcnt(1)
	flat_store_b32 v[44:45], v42 offset:36
	s_waitcnt vmcnt(0) lgkmcnt(1)
	flat_store_b32 v[40:41], v43
.LBB52_203:
	s_or_b32 exec_lo, exec_lo, s6
	v_mov_b32_e32 v124, v116
	v_mov_b32_e32 v119, v116
.LBB52_204:
	s_or_b32 exec_lo, exec_lo, s3
.LBB52_205:
	s_and_not1_saveexec_b32 s2, s2
	s_cbranch_execz .LBB52_207
; %bb.206:
	ds_store_2addr_b64 v118, v[68:69], v[70:71] offset0:20 offset1:21
	ds_store_2addr_b64 v118, v[64:65], v[66:67] offset0:22 offset1:23
	scratch_load_b128 v[0:3], off, off      ; 16-byte Folded Reload
	v_mov_b32_e32 v124, 9
	s_waitcnt vmcnt(0)
	ds_store_2addr_b64 v118, v[0:1], v[2:3] offset0:24 offset1:25
	ds_store_2addr_b64 v118, v[235:236], v[237:238] offset0:26 offset1:27
	;; [unrolled: 1-line block ×15, first 2 shown]
.LBB52_207:
	s_or_b32 exec_lo, exec_lo, s2
	s_delay_alu instid0(SALU_CYCLE_1)
	s_mov_b32 s2, exec_lo
	s_waitcnt lgkmcnt(0)
	s_waitcnt_vscnt null, 0x0
	s_barrier
	buffer_gl0_inv
	v_cmpx_lt_i32_e32 9, v124
	s_cbranch_execz .LBB52_209
; %bb.208:
	v_mul_f64 v[42:43], v[108:109], v[82:83]
	v_mul_f64 v[40:41], v[110:111], v[82:83]
	s_delay_alu instid0(VALU_DEP_2) | instskip(NEXT) | instid1(VALU_DEP_2)
	v_fma_f64 v[82:83], v[110:111], v[80:81], v[42:43]
	v_fma_f64 v[40:41], v[108:109], v[80:81], -v[40:41]
	ds_load_2addr_b64 v[108:111], v118 offset0:20 offset1:21
	ds_load_2addr_b64 v[125:128], v118 offset0:22 offset1:23
	s_waitcnt lgkmcnt(1)
	v_mul_f64 v[42:43], v[110:111], v[82:83]
	v_mul_f64 v[44:45], v[108:109], v[82:83]
	s_waitcnt lgkmcnt(0)
	v_mul_f64 v[46:47], v[127:128], v[82:83]
	v_mul_f64 v[80:81], v[125:126], v[82:83]
	s_delay_alu instid0(VALU_DEP_4) | instskip(NEXT) | instid1(VALU_DEP_4)
	v_fma_f64 v[42:43], v[108:109], v[40:41], -v[42:43]
	v_fma_f64 v[44:45], v[110:111], v[40:41], v[44:45]
	s_delay_alu instid0(VALU_DEP_4) | instskip(NEXT) | instid1(VALU_DEP_4)
	v_fma_f64 v[46:47], v[125:126], v[40:41], -v[46:47]
	v_fma_f64 v[80:81], v[127:128], v[40:41], v[80:81]
	ds_load_2addr_b64 v[108:111], v118 offset0:24 offset1:25
	ds_load_2addr_b64 v[125:128], v118 offset0:26 offset1:27
	s_waitcnt lgkmcnt(1)
	v_mul_f64 v[100:101], v[110:111], v[82:83]
	v_mul_f64 v[102:103], v[108:109], v[82:83]
	v_add_f64 v[68:69], v[68:69], -v[42:43]
	v_add_f64 v[70:71], v[70:71], -v[44:45]
	;; [unrolled: 1-line block ×4, first 2 shown]
	v_dual_mov_b32 v81, v41 :: v_dual_mov_b32 v80, v40
	v_fma_f64 v[100:101], v[108:109], v[40:41], -v[100:101]
	s_waitcnt lgkmcnt(0)
	v_mul_f64 v[108:109], v[127:128], v[82:83]
	v_fma_f64 v[102:103], v[110:111], v[40:41], v[102:103]
	s_delay_alu instid0(VALU_DEP_2) | instskip(SKIP_1) | instid1(VALU_DEP_2)
	v_fma_f64 v[112:113], v[125:126], v[40:41], -v[108:109]
	v_mul_f64 v[108:109], v[125:126], v[82:83]
	v_add_f64 v[235:236], v[235:236], -v[112:113]
	s_delay_alu instid0(VALU_DEP_2)
	v_fma_f64 v[114:115], v[127:128], v[40:41], v[108:109]
	ds_load_2addr_b64 v[108:111], v118 offset0:28 offset1:29
	ds_load_2addr_b64 v[125:128], v118 offset0:30 offset1:31
	s_waitcnt lgkmcnt(1)
	v_mul_f64 v[116:117], v[110:111], v[82:83]
	v_add_f64 v[237:238], v[237:238], -v[114:115]
	s_delay_alu instid0(VALU_DEP_2) | instskip(SKIP_1) | instid1(VALU_DEP_2)
	v_fma_f64 v[116:117], v[108:109], v[40:41], -v[116:117]
	v_mul_f64 v[108:109], v[108:109], v[82:83]
	v_add_f64 v[239:240], v[239:240], -v[116:117]
	s_delay_alu instid0(VALU_DEP_2) | instskip(SKIP_2) | instid1(VALU_DEP_2)
	v_fma_f64 v[129:130], v[110:111], v[40:41], v[108:109]
	s_waitcnt lgkmcnt(0)
	v_mul_f64 v[108:109], v[127:128], v[82:83]
	v_add_f64 v[241:242], v[241:242], -v[129:130]
	s_delay_alu instid0(VALU_DEP_2) | instskip(SKIP_1) | instid1(VALU_DEP_2)
	v_fma_f64 v[131:132], v[125:126], v[40:41], -v[108:109]
	v_mul_f64 v[108:109], v[125:126], v[82:83]
	v_add_f64 v[48:49], v[48:49], -v[131:132]
	s_delay_alu instid0(VALU_DEP_2)
	v_fma_f64 v[133:134], v[127:128], v[40:41], v[108:109]
	ds_load_2addr_b64 v[108:111], v118 offset0:32 offset1:33
	ds_load_2addr_b64 v[125:128], v118 offset0:34 offset1:35
	s_waitcnt lgkmcnt(1)
	v_mul_f64 v[135:136], v[110:111], v[82:83]
	v_add_f64 v[50:51], v[50:51], -v[133:134]
	s_delay_alu instid0(VALU_DEP_2) | instskip(SKIP_1) | instid1(VALU_DEP_2)
	v_fma_f64 v[135:136], v[108:109], v[40:41], -v[135:136]
	v_mul_f64 v[108:109], v[108:109], v[82:83]
	v_add_f64 v[52:53], v[52:53], -v[135:136]
	s_delay_alu instid0(VALU_DEP_2) | instskip(SKIP_2) | instid1(VALU_DEP_2)
	v_fma_f64 v[137:138], v[110:111], v[40:41], v[108:109]
	s_waitcnt lgkmcnt(0)
	v_mul_f64 v[108:109], v[127:128], v[82:83]
	v_add_f64 v[54:55], v[54:55], -v[137:138]
	;; [unrolled: 20-line block ×5, first 2 shown]
	s_delay_alu instid0(VALU_DEP_2) | instskip(SKIP_1) | instid1(VALU_DEP_2)
	v_fma_f64 v[163:164], v[125:126], v[40:41], -v[108:109]
	v_mul_f64 v[108:109], v[125:126], v[82:83]
	v_add_f64 v[12:13], v[12:13], -v[163:164]
	s_delay_alu instid0(VALU_DEP_2)
	v_fma_f64 v[165:166], v[127:128], v[40:41], v[108:109]
	ds_load_2addr_b64 v[108:111], v118 offset0:48 offset1:49
	ds_load_2addr_b64 v[125:128], v118 offset0:50 offset1:51
	scratch_load_b128 v[0:3], off, off      ; 16-byte Folded Reload
	s_waitcnt lgkmcnt(1)
	v_mul_f64 v[167:168], v[110:111], v[82:83]
	v_add_f64 v[14:15], v[14:15], -v[165:166]
	s_delay_alu instid0(VALU_DEP_2) | instskip(SKIP_1) | instid1(VALU_DEP_2)
	v_fma_f64 v[167:168], v[108:109], v[40:41], -v[167:168]
	v_mul_f64 v[108:109], v[108:109], v[82:83]
	v_add_f64 v[8:9], v[8:9], -v[167:168]
	s_delay_alu instid0(VALU_DEP_2) | instskip(SKIP_2) | instid1(VALU_DEP_2)
	v_fma_f64 v[169:170], v[110:111], v[40:41], v[108:109]
	s_waitcnt lgkmcnt(0)
	v_mul_f64 v[108:109], v[127:128], v[82:83]
	v_add_f64 v[10:11], v[10:11], -v[169:170]
	s_delay_alu instid0(VALU_DEP_2) | instskip(SKIP_1) | instid1(VALU_DEP_2)
	v_fma_f64 v[171:172], v[125:126], v[40:41], -v[108:109]
	v_mul_f64 v[108:109], v[125:126], v[82:83]
	v_add_f64 v[4:5], v[4:5], -v[171:172]
	s_delay_alu instid0(VALU_DEP_2) | instskip(SKIP_4) | instid1(VALU_DEP_2)
	v_fma_f64 v[125:126], v[127:128], v[40:41], v[108:109]
	ds_load_2addr_b64 v[108:111], v118 offset0:52 offset1:53
	s_waitcnt lgkmcnt(0)
	v_mul_f64 v[127:128], v[110:111], v[82:83]
	v_add_f64 v[6:7], v[6:7], -v[125:126]
	v_fma_f64 v[127:128], v[108:109], v[40:41], -v[127:128]
	v_mul_f64 v[108:109], v[108:109], v[82:83]
	s_delay_alu instid0(VALU_DEP_2) | instskip(NEXT) | instid1(VALU_DEP_2)
	v_add_f64 v[252:253], v[252:253], -v[127:128]
	v_fma_f64 v[108:109], v[110:111], v[40:41], v[108:109]
	s_delay_alu instid0(VALU_DEP_1)
	v_add_f64 v[254:255], v[254:255], -v[108:109]
	s_waitcnt vmcnt(0)
	v_add_f64 v[0:1], v[0:1], -v[100:101]
	v_add_f64 v[2:3], v[2:3], -v[102:103]
	scratch_store_b128 off, v[0:3], off     ; 16-byte Folded Spill
.LBB52_209:
	s_or_b32 exec_lo, exec_lo, s2
	v_lshl_add_u32 v40, v124, 4, v118
	s_waitcnt_vscnt null, 0x0
	s_barrier
	buffer_gl0_inv
	v_mov_b32_e32 v116, 10
	ds_store_2addr_b64 v40, v[68:69], v[70:71] offset1:1
	s_waitcnt lgkmcnt(0)
	s_barrier
	buffer_gl0_inv
	ds_load_2addr_b64 v[108:111], v118 offset0:20 offset1:21
	s_cmp_lt_i32 s5, 12
	s_cbranch_scc1 .LBB52_212
; %bb.210:
	v_add3_u32 v117, v120, 0, 0xb0
	v_mov_b32_e32 v116, 10
	s_mov_b32 s6, 11
	s_set_inst_prefetch_distance 0x1
	.p2align	6
.LBB52_211:                             ; =>This Inner Loop Header: Depth=1
	ds_load_2addr_b64 v[125:128], v117 offset1:1
	s_waitcnt lgkmcnt(1)
	v_cmp_gt_f64_e32 vcc_lo, 0, v[108:109]
	v_xor_b32_e32 v40, 0x80000000, v109
	v_cmp_gt_f64_e64 s2, 0, v[110:111]
	v_xor_b32_e32 v42, 0x80000000, v111
	v_add_nc_u32_e32 v117, 16, v117
	s_waitcnt lgkmcnt(0)
	v_cmp_gt_f64_e64 s3, 0, v[125:126]
	v_mov_b32_e32 v44, v125
	v_dual_mov_b32 v46, v127 :: v_dual_cndmask_b32 v41, v109, v40
	v_xor_b32_e32 v40, 0x80000000, v126
	v_cndmask_b32_e64 v43, v111, v42, s2
	v_xor_b32_e32 v42, 0x80000000, v128
	s_delay_alu instid0(VALU_DEP_3) | instskip(SKIP_2) | instid1(VALU_DEP_2)
	v_cndmask_b32_e64 v45, v126, v40, s3
	v_cmp_gt_f64_e64 s3, 0, v[127:128]
	v_cndmask_b32_e32 v40, v108, v108, vcc_lo
	v_cndmask_b32_e64 v47, v128, v42, s3
	v_cndmask_b32_e64 v42, v110, v110, s2
	s_delay_alu instid0(VALU_DEP_2) | instskip(NEXT) | instid1(VALU_DEP_2)
	v_add_f64 v[44:45], v[44:45], v[46:47]
	v_add_f64 v[40:41], v[40:41], v[42:43]
	s_delay_alu instid0(VALU_DEP_1) | instskip(SKIP_4) | instid1(SALU_CYCLE_1)
	v_cmp_lt_f64_e32 vcc_lo, v[40:41], v[44:45]
	v_dual_cndmask_b32 v109, v109, v126 :: v_dual_cndmask_b32 v108, v108, v125
	v_dual_cndmask_b32 v111, v111, v128 :: v_dual_cndmask_b32 v110, v110, v127
	v_cndmask_b32_e64 v116, v116, s6, vcc_lo
	s_add_i32 s6, s6, 1
	s_cmp_lg_u32 s5, s6
	s_cbranch_scc1 .LBB52_211
.LBB52_212:
	s_set_inst_prefetch_distance 0x2
	s_waitcnt lgkmcnt(0)
	v_cmp_eq_f64_e32 vcc_lo, 0, v[108:109]
	v_cmp_eq_f64_e64 s2, 0, v[110:111]
	s_delay_alu instid0(VALU_DEP_1) | instskip(NEXT) | instid1(SALU_CYCLE_1)
	s_and_b32 s2, vcc_lo, s2
	s_and_saveexec_b32 s3, s2
	s_delay_alu instid0(SALU_CYCLE_1)
	s_xor_b32 s2, exec_lo, s3
; %bb.213:
	v_cmp_ne_u32_e32 vcc_lo, 0, v123
	v_cndmask_b32_e32 v123, 11, v123, vcc_lo
; %bb.214:
	s_and_not1_saveexec_b32 s3, s2
	s_cbranch_execz .LBB52_220
; %bb.215:
	v_cmp_gt_f64_e32 vcc_lo, 0, v[108:109]
	v_cmp_gt_f64_e64 s2, 0, v[110:111]
	v_xor_b32_e32 v40, 0x80000000, v109
	v_xor_b32_e32 v42, 0x80000000, v111
	s_delay_alu instid0(VALU_DEP_2) | instskip(NEXT) | instid1(VALU_DEP_2)
	v_cndmask_b32_e32 v41, v109, v40, vcc_lo
	v_cndmask_b32_e64 v43, v111, v42, s2
	v_cndmask_b32_e32 v40, v108, v108, vcc_lo
	v_cndmask_b32_e64 v42, v110, v110, s2
	s_mov_b32 s2, exec_lo
	s_delay_alu instid0(VALU_DEP_1)
	v_cmpx_ngt_f64_e32 v[40:41], v[42:43]
	s_xor_b32 s2, exec_lo, s2
	s_cbranch_execz .LBB52_217
; %bb.216:
	v_div_scale_f64 v[40:41], null, v[110:111], v[110:111], v[108:109]
	v_div_scale_f64 v[46:47], vcc_lo, v[108:109], v[110:111], v[108:109]
	s_delay_alu instid0(VALU_DEP_2) | instskip(SKIP_2) | instid1(VALU_DEP_1)
	v_rcp_f64_e32 v[42:43], v[40:41]
	s_waitcnt_depctr 0xfff
	v_fma_f64 v[44:45], -v[40:41], v[42:43], 1.0
	v_fma_f64 v[42:43], v[42:43], v[44:45], v[42:43]
	s_delay_alu instid0(VALU_DEP_1) | instskip(NEXT) | instid1(VALU_DEP_1)
	v_fma_f64 v[44:45], -v[40:41], v[42:43], 1.0
	v_fma_f64 v[42:43], v[42:43], v[44:45], v[42:43]
	s_delay_alu instid0(VALU_DEP_1) | instskip(NEXT) | instid1(VALU_DEP_1)
	v_mul_f64 v[44:45], v[46:47], v[42:43]
	v_fma_f64 v[40:41], -v[40:41], v[44:45], v[46:47]
	s_delay_alu instid0(VALU_DEP_1) | instskip(NEXT) | instid1(VALU_DEP_1)
	v_div_fmas_f64 v[40:41], v[40:41], v[42:43], v[44:45]
	v_div_fixup_f64 v[40:41], v[40:41], v[110:111], v[108:109]
	s_delay_alu instid0(VALU_DEP_1) | instskip(NEXT) | instid1(VALU_DEP_1)
	v_fma_f64 v[42:43], v[108:109], v[40:41], v[110:111]
	v_div_scale_f64 v[44:45], null, v[42:43], v[42:43], 1.0
	s_delay_alu instid0(VALU_DEP_1) | instskip(SKIP_2) | instid1(VALU_DEP_1)
	v_rcp_f64_e32 v[46:47], v[44:45]
	s_waitcnt_depctr 0xfff
	v_fma_f64 v[100:101], -v[44:45], v[46:47], 1.0
	v_fma_f64 v[46:47], v[46:47], v[100:101], v[46:47]
	s_delay_alu instid0(VALU_DEP_1) | instskip(NEXT) | instid1(VALU_DEP_1)
	v_fma_f64 v[100:101], -v[44:45], v[46:47], 1.0
	v_fma_f64 v[46:47], v[46:47], v[100:101], v[46:47]
	v_div_scale_f64 v[100:101], vcc_lo, 1.0, v[42:43], 1.0
	s_delay_alu instid0(VALU_DEP_1) | instskip(NEXT) | instid1(VALU_DEP_1)
	v_mul_f64 v[102:103], v[100:101], v[46:47]
	v_fma_f64 v[44:45], -v[44:45], v[102:103], v[100:101]
	s_delay_alu instid0(VALU_DEP_1) | instskip(NEXT) | instid1(VALU_DEP_1)
	v_div_fmas_f64 v[44:45], v[44:45], v[46:47], v[102:103]
	v_div_fixup_f64 v[110:111], v[44:45], v[42:43], 1.0
	s_delay_alu instid0(VALU_DEP_1)
	v_mul_f64 v[108:109], v[40:41], v[110:111]
	v_xor_b32_e32 v111, 0x80000000, v111
.LBB52_217:
	s_and_not1_saveexec_b32 s2, s2
	s_cbranch_execz .LBB52_219
; %bb.218:
	s_delay_alu instid0(VALU_DEP_1) | instskip(SKIP_1) | instid1(VALU_DEP_2)
	v_div_scale_f64 v[40:41], null, v[108:109], v[108:109], v[110:111]
	v_div_scale_f64 v[46:47], vcc_lo, v[110:111], v[108:109], v[110:111]
	v_rcp_f64_e32 v[42:43], v[40:41]
	s_waitcnt_depctr 0xfff
	v_fma_f64 v[44:45], -v[40:41], v[42:43], 1.0
	s_delay_alu instid0(VALU_DEP_1) | instskip(NEXT) | instid1(VALU_DEP_1)
	v_fma_f64 v[42:43], v[42:43], v[44:45], v[42:43]
	v_fma_f64 v[44:45], -v[40:41], v[42:43], 1.0
	s_delay_alu instid0(VALU_DEP_1) | instskip(NEXT) | instid1(VALU_DEP_1)
	v_fma_f64 v[42:43], v[42:43], v[44:45], v[42:43]
	v_mul_f64 v[44:45], v[46:47], v[42:43]
	s_delay_alu instid0(VALU_DEP_1) | instskip(NEXT) | instid1(VALU_DEP_1)
	v_fma_f64 v[40:41], -v[40:41], v[44:45], v[46:47]
	v_div_fmas_f64 v[40:41], v[40:41], v[42:43], v[44:45]
	s_delay_alu instid0(VALU_DEP_1) | instskip(NEXT) | instid1(VALU_DEP_1)
	v_div_fixup_f64 v[40:41], v[40:41], v[108:109], v[110:111]
	v_fma_f64 v[42:43], v[110:111], v[40:41], v[108:109]
	s_delay_alu instid0(VALU_DEP_1) | instskip(NEXT) | instid1(VALU_DEP_1)
	v_div_scale_f64 v[44:45], null, v[42:43], v[42:43], 1.0
	v_rcp_f64_e32 v[46:47], v[44:45]
	s_waitcnt_depctr 0xfff
	v_fma_f64 v[100:101], -v[44:45], v[46:47], 1.0
	s_delay_alu instid0(VALU_DEP_1) | instskip(NEXT) | instid1(VALU_DEP_1)
	v_fma_f64 v[46:47], v[46:47], v[100:101], v[46:47]
	v_fma_f64 v[100:101], -v[44:45], v[46:47], 1.0
	s_delay_alu instid0(VALU_DEP_1) | instskip(SKIP_1) | instid1(VALU_DEP_1)
	v_fma_f64 v[46:47], v[46:47], v[100:101], v[46:47]
	v_div_scale_f64 v[100:101], vcc_lo, 1.0, v[42:43], 1.0
	v_mul_f64 v[102:103], v[100:101], v[46:47]
	s_delay_alu instid0(VALU_DEP_1) | instskip(NEXT) | instid1(VALU_DEP_1)
	v_fma_f64 v[44:45], -v[44:45], v[102:103], v[100:101]
	v_div_fmas_f64 v[44:45], v[44:45], v[46:47], v[102:103]
	s_delay_alu instid0(VALU_DEP_1) | instskip(NEXT) | instid1(VALU_DEP_1)
	v_div_fixup_f64 v[108:109], v[44:45], v[42:43], 1.0
	v_mul_f64 v[110:111], v[40:41], -v[108:109]
.LBB52_219:
	s_or_b32 exec_lo, exec_lo, s2
.LBB52_220:
	s_delay_alu instid0(SALU_CYCLE_1) | instskip(NEXT) | instid1(SALU_CYCLE_1)
	s_or_b32 exec_lo, exec_lo, s3
	s_mov_b32 s2, exec_lo
	v_cmpx_ne_u32_e64 v124, v116
	s_xor_b32 s2, exec_lo, s2
	s_cbranch_execz .LBB52_226
; %bb.221:
	s_mov_b32 s3, exec_lo
	v_cmpx_eq_u32_e32 10, v124
	s_cbranch_execz .LBB52_225
; %bb.222:
	v_cmp_ne_u32_e32 vcc_lo, 10, v116
	s_xor_b32 s6, s4, -1
	s_delay_alu instid0(SALU_CYCLE_1) | instskip(NEXT) | instid1(SALU_CYCLE_1)
	s_and_b32 s7, s6, vcc_lo
	s_and_saveexec_b32 s6, s7
	s_cbranch_execz .LBB52_224
; %bb.223:
	scratch_load_b64 v[44:45], off, off offset:48 ; 8-byte Folded Reload
	v_ashrrev_i32_e32 v117, 31, v116
	s_delay_alu instid0(VALU_DEP_1) | instskip(SKIP_1) | instid1(VALU_DEP_1)
	v_lshlrev_b64 v[40:41], 2, v[116:117]
	s_waitcnt vmcnt(0)
	v_add_co_u32 v40, vcc_lo, v44, v40
	s_delay_alu instid0(VALU_DEP_2)
	v_add_co_ci_u32_e32 v41, vcc_lo, v45, v41, vcc_lo
	s_clause 0x1
	flat_load_b32 v42, v[40:41]
	flat_load_b32 v43, v[44:45] offset:40
	s_waitcnt vmcnt(1) lgkmcnt(1)
	flat_store_b32 v[44:45], v42 offset:40
	s_waitcnt vmcnt(0) lgkmcnt(1)
	flat_store_b32 v[40:41], v43
.LBB52_224:
	s_or_b32 exec_lo, exec_lo, s6
	v_mov_b32_e32 v124, v116
	v_mov_b32_e32 v119, v116
.LBB52_225:
	s_or_b32 exec_lo, exec_lo, s3
.LBB52_226:
	s_and_not1_saveexec_b32 s2, s2
	s_cbranch_execz .LBB52_228
; %bb.227:
	scratch_load_b128 v[0:3], off, off      ; 16-byte Folded Reload
	v_mov_b32_e32 v124, 10
	ds_store_2addr_b64 v118, v[64:65], v[66:67] offset0:22 offset1:23
	s_waitcnt vmcnt(0)
	ds_store_2addr_b64 v118, v[0:1], v[2:3] offset0:24 offset1:25
	ds_store_2addr_b64 v118, v[235:236], v[237:238] offset0:26 offset1:27
	;; [unrolled: 1-line block ×15, first 2 shown]
.LBB52_228:
	s_or_b32 exec_lo, exec_lo, s2
	s_delay_alu instid0(SALU_CYCLE_1)
	s_mov_b32 s2, exec_lo
	s_waitcnt lgkmcnt(0)
	s_waitcnt_vscnt null, 0x0
	s_barrier
	buffer_gl0_inv
	v_cmpx_lt_i32_e32 10, v124
	s_cbranch_execz .LBB52_230
; %bb.229:
	ds_load_2addr_b64 v[125:128], v118 offset0:22 offset1:23
	ds_load_2addr_b64 v[129:132], v118 offset0:24 offset1:25
	;; [unrolled: 1-line block ×16, first 2 shown]
	scratch_load_b128 v[0:3], off, off      ; 16-byte Folded Reload
	v_mul_f64 v[40:41], v[108:109], v[70:71]
	v_mul_f64 v[42:43], v[110:111], v[70:71]
	s_delay_alu instid0(VALU_DEP_2) | instskip(NEXT) | instid1(VALU_DEP_2)
	v_fma_f64 v[40:41], v[110:111], v[68:69], v[40:41]
	v_fma_f64 v[68:69], v[108:109], v[68:69], -v[42:43]
	s_waitcnt lgkmcnt(15)
	s_delay_alu instid0(VALU_DEP_2)
	v_mul_f64 v[42:43], v[127:128], v[40:41]
	v_mul_f64 v[44:45], v[125:126], v[40:41]
	s_waitcnt lgkmcnt(14)
	v_mul_f64 v[46:47], v[131:132], v[40:41]
	v_mul_f64 v[70:71], v[129:130], v[40:41]
	s_waitcnt lgkmcnt(13)
	v_mul_f64 v[100:101], v[135:136], v[40:41]
	v_mul_f64 v[102:103], v[133:134], v[40:41]
	s_waitcnt lgkmcnt(12)
	v_mul_f64 v[108:109], v[139:140], v[40:41]
	v_mul_f64 v[110:111], v[137:138], v[40:41]
	s_waitcnt lgkmcnt(11)
	v_mul_f64 v[112:113], v[143:144], v[40:41]
	v_mul_f64 v[114:115], v[141:142], v[40:41]
	s_waitcnt lgkmcnt(10)
	v_mul_f64 v[116:117], v[147:148], v[40:41]
	v_mul_f64 v[189:190], v[145:146], v[40:41]
	s_waitcnt lgkmcnt(9)
	v_mul_f64 v[191:192], v[151:152], v[40:41]
	v_mul_f64 v[193:194], v[149:150], v[40:41]
	s_waitcnt lgkmcnt(8)
	v_mul_f64 v[195:196], v[155:156], v[40:41]
	v_mul_f64 v[197:198], v[153:154], v[40:41]
	s_waitcnt lgkmcnt(7)
	v_mul_f64 v[199:200], v[159:160], v[40:41]
	v_mul_f64 v[201:202], v[157:158], v[40:41]
	s_waitcnt lgkmcnt(6)
	v_mul_f64 v[203:204], v[163:164], v[40:41]
	v_mul_f64 v[205:206], v[161:162], v[40:41]
	s_waitcnt lgkmcnt(5)
	v_mul_f64 v[207:208], v[167:168], v[40:41]
	v_mul_f64 v[209:210], v[165:166], v[40:41]
	s_waitcnt lgkmcnt(4)
	v_mul_f64 v[211:212], v[171:172], v[40:41]
	v_mul_f64 v[213:214], v[169:170], v[40:41]
	s_waitcnt lgkmcnt(3)
	v_mul_f64 v[215:216], v[175:176], v[40:41]
	v_mul_f64 v[217:218], v[173:174], v[40:41]
	s_waitcnt lgkmcnt(2)
	v_mul_f64 v[219:220], v[179:180], v[40:41]
	v_mul_f64 v[221:222], v[177:178], v[40:41]
	s_waitcnt lgkmcnt(1)
	v_mul_f64 v[223:224], v[183:184], v[40:41]
	v_mul_f64 v[225:226], v[181:182], v[40:41]
	s_waitcnt lgkmcnt(0)
	v_mul_f64 v[227:228], v[187:188], v[40:41]
	v_mul_f64 v[229:230], v[185:186], v[40:41]
	v_fma_f64 v[42:43], v[125:126], v[68:69], -v[42:43]
	v_fma_f64 v[44:45], v[127:128], v[68:69], v[44:45]
	v_fma_f64 v[46:47], v[129:130], v[68:69], -v[46:47]
	v_fma_f64 v[70:71], v[131:132], v[68:69], v[70:71]
	v_fma_f64 v[100:101], v[133:134], v[68:69], -v[100:101]
	v_fma_f64 v[102:103], v[135:136], v[68:69], v[102:103]
	v_fma_f64 v[108:109], v[137:138], v[68:69], -v[108:109]
	v_fma_f64 v[110:111], v[139:140], v[68:69], v[110:111]
	v_fma_f64 v[112:113], v[141:142], v[68:69], -v[112:113]
	v_fma_f64 v[114:115], v[143:144], v[68:69], v[114:115]
	v_fma_f64 v[116:117], v[145:146], v[68:69], -v[116:117]
	v_fma_f64 v[125:126], v[147:148], v[68:69], v[189:190]
	v_fma_f64 v[127:128], v[149:150], v[68:69], -v[191:192]
	v_fma_f64 v[129:130], v[151:152], v[68:69], v[193:194]
	v_fma_f64 v[131:132], v[153:154], v[68:69], -v[195:196]
	v_fma_f64 v[133:134], v[155:156], v[68:69], v[197:198]
	v_fma_f64 v[135:136], v[157:158], v[68:69], -v[199:200]
	v_fma_f64 v[137:138], v[159:160], v[68:69], v[201:202]
	v_fma_f64 v[139:140], v[161:162], v[68:69], -v[203:204]
	v_fma_f64 v[141:142], v[163:164], v[68:69], v[205:206]
	v_fma_f64 v[143:144], v[165:166], v[68:69], -v[207:208]
	v_fma_f64 v[145:146], v[167:168], v[68:69], v[209:210]
	v_fma_f64 v[147:148], v[169:170], v[68:69], -v[211:212]
	v_fma_f64 v[149:150], v[171:172], v[68:69], v[213:214]
	v_fma_f64 v[151:152], v[173:174], v[68:69], -v[215:216]
	v_fma_f64 v[153:154], v[175:176], v[68:69], v[217:218]
	v_fma_f64 v[155:156], v[177:178], v[68:69], -v[219:220]
	v_fma_f64 v[157:158], v[179:180], v[68:69], v[221:222]
	v_fma_f64 v[159:160], v[181:182], v[68:69], -v[223:224]
	v_fma_f64 v[161:162], v[183:184], v[68:69], v[225:226]
	v_fma_f64 v[163:164], v[185:186], v[68:69], -v[227:228]
	v_fma_f64 v[165:166], v[187:188], v[68:69], v[229:230]
	v_add_f64 v[64:65], v[64:65], -v[42:43]
	v_add_f64 v[66:67], v[66:67], -v[44:45]
	;; [unrolled: 1-line block ×30, first 2 shown]
	s_waitcnt vmcnt(0)
	v_add_f64 v[0:1], v[0:1], -v[46:47]
	v_add_f64 v[2:3], v[2:3], -v[70:71]
	v_dual_mov_b32 v71, v41 :: v_dual_mov_b32 v70, v40
	scratch_store_b128 off, v[0:3], off     ; 16-byte Folded Spill
.LBB52_230:
	s_or_b32 exec_lo, exec_lo, s2
	v_lshl_add_u32 v40, v124, 4, v118
	s_waitcnt_vscnt null, 0x0
	s_barrier
	buffer_gl0_inv
	v_mov_b32_e32 v116, 11
	ds_store_2addr_b64 v40, v[64:65], v[66:67] offset1:1
	s_waitcnt lgkmcnt(0)
	s_barrier
	buffer_gl0_inv
	ds_load_2addr_b64 v[108:111], v118 offset0:22 offset1:23
	s_cmp_lt_i32 s5, 13
	s_cbranch_scc1 .LBB52_233
; %bb.231:
	v_add3_u32 v117, v120, 0, 0xc0
	v_mov_b32_e32 v116, 11
	s_mov_b32 s6, 12
	s_set_inst_prefetch_distance 0x1
	.p2align	6
.LBB52_232:                             ; =>This Inner Loop Header: Depth=1
	ds_load_2addr_b64 v[125:128], v117 offset1:1
	s_waitcnt lgkmcnt(1)
	v_cmp_gt_f64_e32 vcc_lo, 0, v[108:109]
	v_xor_b32_e32 v40, 0x80000000, v109
	v_cmp_gt_f64_e64 s2, 0, v[110:111]
	v_xor_b32_e32 v42, 0x80000000, v111
	v_add_nc_u32_e32 v117, 16, v117
	s_waitcnt lgkmcnt(0)
	v_cmp_gt_f64_e64 s3, 0, v[125:126]
	v_mov_b32_e32 v44, v125
	v_dual_mov_b32 v46, v127 :: v_dual_cndmask_b32 v41, v109, v40
	v_xor_b32_e32 v40, 0x80000000, v126
	v_cndmask_b32_e64 v43, v111, v42, s2
	v_xor_b32_e32 v42, 0x80000000, v128
	s_delay_alu instid0(VALU_DEP_3) | instskip(SKIP_2) | instid1(VALU_DEP_2)
	v_cndmask_b32_e64 v45, v126, v40, s3
	v_cmp_gt_f64_e64 s3, 0, v[127:128]
	v_cndmask_b32_e32 v40, v108, v108, vcc_lo
	v_cndmask_b32_e64 v47, v128, v42, s3
	v_cndmask_b32_e64 v42, v110, v110, s2
	s_delay_alu instid0(VALU_DEP_2) | instskip(NEXT) | instid1(VALU_DEP_2)
	v_add_f64 v[44:45], v[44:45], v[46:47]
	v_add_f64 v[40:41], v[40:41], v[42:43]
	s_delay_alu instid0(VALU_DEP_1) | instskip(SKIP_4) | instid1(SALU_CYCLE_1)
	v_cmp_lt_f64_e32 vcc_lo, v[40:41], v[44:45]
	v_dual_cndmask_b32 v109, v109, v126 :: v_dual_cndmask_b32 v108, v108, v125
	v_dual_cndmask_b32 v111, v111, v128 :: v_dual_cndmask_b32 v110, v110, v127
	v_cndmask_b32_e64 v116, v116, s6, vcc_lo
	s_add_i32 s6, s6, 1
	s_cmp_lg_u32 s5, s6
	s_cbranch_scc1 .LBB52_232
.LBB52_233:
	s_set_inst_prefetch_distance 0x2
	s_waitcnt lgkmcnt(0)
	v_cmp_eq_f64_e32 vcc_lo, 0, v[108:109]
	v_cmp_eq_f64_e64 s2, 0, v[110:111]
	s_delay_alu instid0(VALU_DEP_1) | instskip(NEXT) | instid1(SALU_CYCLE_1)
	s_and_b32 s2, vcc_lo, s2
	s_and_saveexec_b32 s3, s2
	s_delay_alu instid0(SALU_CYCLE_1)
	s_xor_b32 s2, exec_lo, s3
; %bb.234:
	v_cmp_ne_u32_e32 vcc_lo, 0, v123
	v_cndmask_b32_e32 v123, 12, v123, vcc_lo
; %bb.235:
	s_and_not1_saveexec_b32 s3, s2
	s_cbranch_execz .LBB52_241
; %bb.236:
	v_cmp_gt_f64_e32 vcc_lo, 0, v[108:109]
	v_cmp_gt_f64_e64 s2, 0, v[110:111]
	v_xor_b32_e32 v40, 0x80000000, v109
	v_xor_b32_e32 v42, 0x80000000, v111
	s_delay_alu instid0(VALU_DEP_2) | instskip(NEXT) | instid1(VALU_DEP_2)
	v_cndmask_b32_e32 v41, v109, v40, vcc_lo
	v_cndmask_b32_e64 v43, v111, v42, s2
	v_cndmask_b32_e32 v40, v108, v108, vcc_lo
	v_cndmask_b32_e64 v42, v110, v110, s2
	s_mov_b32 s2, exec_lo
	s_delay_alu instid0(VALU_DEP_1)
	v_cmpx_ngt_f64_e32 v[40:41], v[42:43]
	s_xor_b32 s2, exec_lo, s2
	s_cbranch_execz .LBB52_238
; %bb.237:
	v_div_scale_f64 v[40:41], null, v[110:111], v[110:111], v[108:109]
	v_div_scale_f64 v[46:47], vcc_lo, v[108:109], v[110:111], v[108:109]
	s_delay_alu instid0(VALU_DEP_2) | instskip(SKIP_2) | instid1(VALU_DEP_1)
	v_rcp_f64_e32 v[42:43], v[40:41]
	s_waitcnt_depctr 0xfff
	v_fma_f64 v[44:45], -v[40:41], v[42:43], 1.0
	v_fma_f64 v[42:43], v[42:43], v[44:45], v[42:43]
	s_delay_alu instid0(VALU_DEP_1) | instskip(NEXT) | instid1(VALU_DEP_1)
	v_fma_f64 v[44:45], -v[40:41], v[42:43], 1.0
	v_fma_f64 v[42:43], v[42:43], v[44:45], v[42:43]
	s_delay_alu instid0(VALU_DEP_1) | instskip(NEXT) | instid1(VALU_DEP_1)
	v_mul_f64 v[44:45], v[46:47], v[42:43]
	v_fma_f64 v[40:41], -v[40:41], v[44:45], v[46:47]
	s_delay_alu instid0(VALU_DEP_1) | instskip(NEXT) | instid1(VALU_DEP_1)
	v_div_fmas_f64 v[40:41], v[40:41], v[42:43], v[44:45]
	v_div_fixup_f64 v[40:41], v[40:41], v[110:111], v[108:109]
	s_delay_alu instid0(VALU_DEP_1) | instskip(NEXT) | instid1(VALU_DEP_1)
	v_fma_f64 v[42:43], v[108:109], v[40:41], v[110:111]
	v_div_scale_f64 v[44:45], null, v[42:43], v[42:43], 1.0
	s_delay_alu instid0(VALU_DEP_1) | instskip(SKIP_2) | instid1(VALU_DEP_1)
	v_rcp_f64_e32 v[46:47], v[44:45]
	s_waitcnt_depctr 0xfff
	v_fma_f64 v[100:101], -v[44:45], v[46:47], 1.0
	v_fma_f64 v[46:47], v[46:47], v[100:101], v[46:47]
	s_delay_alu instid0(VALU_DEP_1) | instskip(NEXT) | instid1(VALU_DEP_1)
	v_fma_f64 v[100:101], -v[44:45], v[46:47], 1.0
	v_fma_f64 v[46:47], v[46:47], v[100:101], v[46:47]
	v_div_scale_f64 v[100:101], vcc_lo, 1.0, v[42:43], 1.0
	s_delay_alu instid0(VALU_DEP_1) | instskip(NEXT) | instid1(VALU_DEP_1)
	v_mul_f64 v[102:103], v[100:101], v[46:47]
	v_fma_f64 v[44:45], -v[44:45], v[102:103], v[100:101]
	s_delay_alu instid0(VALU_DEP_1) | instskip(NEXT) | instid1(VALU_DEP_1)
	v_div_fmas_f64 v[44:45], v[44:45], v[46:47], v[102:103]
	v_div_fixup_f64 v[110:111], v[44:45], v[42:43], 1.0
	s_delay_alu instid0(VALU_DEP_1)
	v_mul_f64 v[108:109], v[40:41], v[110:111]
	v_xor_b32_e32 v111, 0x80000000, v111
.LBB52_238:
	s_and_not1_saveexec_b32 s2, s2
	s_cbranch_execz .LBB52_240
; %bb.239:
	s_delay_alu instid0(VALU_DEP_1) | instskip(SKIP_1) | instid1(VALU_DEP_2)
	v_div_scale_f64 v[40:41], null, v[108:109], v[108:109], v[110:111]
	v_div_scale_f64 v[46:47], vcc_lo, v[110:111], v[108:109], v[110:111]
	v_rcp_f64_e32 v[42:43], v[40:41]
	s_waitcnt_depctr 0xfff
	v_fma_f64 v[44:45], -v[40:41], v[42:43], 1.0
	s_delay_alu instid0(VALU_DEP_1) | instskip(NEXT) | instid1(VALU_DEP_1)
	v_fma_f64 v[42:43], v[42:43], v[44:45], v[42:43]
	v_fma_f64 v[44:45], -v[40:41], v[42:43], 1.0
	s_delay_alu instid0(VALU_DEP_1) | instskip(NEXT) | instid1(VALU_DEP_1)
	v_fma_f64 v[42:43], v[42:43], v[44:45], v[42:43]
	v_mul_f64 v[44:45], v[46:47], v[42:43]
	s_delay_alu instid0(VALU_DEP_1) | instskip(NEXT) | instid1(VALU_DEP_1)
	v_fma_f64 v[40:41], -v[40:41], v[44:45], v[46:47]
	v_div_fmas_f64 v[40:41], v[40:41], v[42:43], v[44:45]
	s_delay_alu instid0(VALU_DEP_1) | instskip(NEXT) | instid1(VALU_DEP_1)
	v_div_fixup_f64 v[40:41], v[40:41], v[108:109], v[110:111]
	v_fma_f64 v[42:43], v[110:111], v[40:41], v[108:109]
	s_delay_alu instid0(VALU_DEP_1) | instskip(NEXT) | instid1(VALU_DEP_1)
	v_div_scale_f64 v[44:45], null, v[42:43], v[42:43], 1.0
	v_rcp_f64_e32 v[46:47], v[44:45]
	s_waitcnt_depctr 0xfff
	v_fma_f64 v[100:101], -v[44:45], v[46:47], 1.0
	s_delay_alu instid0(VALU_DEP_1) | instskip(NEXT) | instid1(VALU_DEP_1)
	v_fma_f64 v[46:47], v[46:47], v[100:101], v[46:47]
	v_fma_f64 v[100:101], -v[44:45], v[46:47], 1.0
	s_delay_alu instid0(VALU_DEP_1) | instskip(SKIP_1) | instid1(VALU_DEP_1)
	v_fma_f64 v[46:47], v[46:47], v[100:101], v[46:47]
	v_div_scale_f64 v[100:101], vcc_lo, 1.0, v[42:43], 1.0
	v_mul_f64 v[102:103], v[100:101], v[46:47]
	s_delay_alu instid0(VALU_DEP_1) | instskip(NEXT) | instid1(VALU_DEP_1)
	v_fma_f64 v[44:45], -v[44:45], v[102:103], v[100:101]
	v_div_fmas_f64 v[44:45], v[44:45], v[46:47], v[102:103]
	s_delay_alu instid0(VALU_DEP_1) | instskip(NEXT) | instid1(VALU_DEP_1)
	v_div_fixup_f64 v[108:109], v[44:45], v[42:43], 1.0
	v_mul_f64 v[110:111], v[40:41], -v[108:109]
.LBB52_240:
	s_or_b32 exec_lo, exec_lo, s2
.LBB52_241:
	s_delay_alu instid0(SALU_CYCLE_1) | instskip(NEXT) | instid1(SALU_CYCLE_1)
	s_or_b32 exec_lo, exec_lo, s3
	s_mov_b32 s2, exec_lo
	v_cmpx_ne_u32_e64 v124, v116
	s_xor_b32 s2, exec_lo, s2
	s_cbranch_execz .LBB52_247
; %bb.242:
	s_mov_b32 s3, exec_lo
	v_cmpx_eq_u32_e32 11, v124
	s_cbranch_execz .LBB52_246
; %bb.243:
	v_cmp_ne_u32_e32 vcc_lo, 11, v116
	s_xor_b32 s6, s4, -1
	s_delay_alu instid0(SALU_CYCLE_1) | instskip(NEXT) | instid1(SALU_CYCLE_1)
	s_and_b32 s7, s6, vcc_lo
	s_and_saveexec_b32 s6, s7
	s_cbranch_execz .LBB52_245
; %bb.244:
	scratch_load_b64 v[44:45], off, off offset:48 ; 8-byte Folded Reload
	v_ashrrev_i32_e32 v117, 31, v116
	s_delay_alu instid0(VALU_DEP_1) | instskip(SKIP_1) | instid1(VALU_DEP_1)
	v_lshlrev_b64 v[40:41], 2, v[116:117]
	s_waitcnt vmcnt(0)
	v_add_co_u32 v40, vcc_lo, v44, v40
	s_delay_alu instid0(VALU_DEP_2)
	v_add_co_ci_u32_e32 v41, vcc_lo, v45, v41, vcc_lo
	s_clause 0x1
	flat_load_b32 v42, v[40:41]
	flat_load_b32 v43, v[44:45] offset:44
	s_waitcnt vmcnt(1) lgkmcnt(1)
	flat_store_b32 v[44:45], v42 offset:44
	s_waitcnt vmcnt(0) lgkmcnt(1)
	flat_store_b32 v[40:41], v43
.LBB52_245:
	s_or_b32 exec_lo, exec_lo, s6
	v_mov_b32_e32 v124, v116
	v_mov_b32_e32 v119, v116
.LBB52_246:
	s_or_b32 exec_lo, exec_lo, s3
.LBB52_247:
	s_and_not1_saveexec_b32 s2, s2
	s_cbranch_execz .LBB52_249
; %bb.248:
	scratch_load_b128 v[0:3], off, off      ; 16-byte Folded Reload
	v_mov_b32_e32 v124, 11
	s_waitcnt vmcnt(0)
	ds_store_2addr_b64 v118, v[0:1], v[2:3] offset0:24 offset1:25
	ds_store_2addr_b64 v118, v[235:236], v[237:238] offset0:26 offset1:27
	;; [unrolled: 1-line block ×15, first 2 shown]
.LBB52_249:
	s_or_b32 exec_lo, exec_lo, s2
	s_delay_alu instid0(SALU_CYCLE_1)
	s_mov_b32 s2, exec_lo
	s_waitcnt lgkmcnt(0)
	s_waitcnt_vscnt null, 0x0
	s_barrier
	buffer_gl0_inv
	v_cmpx_lt_i32_e32 11, v124
	s_cbranch_execz .LBB52_251
; %bb.250:
	ds_load_2addr_b64 v[125:128], v118 offset0:24 offset1:25
	ds_load_2addr_b64 v[129:132], v118 offset0:26 offset1:27
	;; [unrolled: 1-line block ×15, first 2 shown]
	scratch_load_b128 v[0:3], off, off      ; 16-byte Folded Reload
	v_mul_f64 v[40:41], v[108:109], v[66:67]
	v_mul_f64 v[42:43], v[110:111], v[66:67]
	s_delay_alu instid0(VALU_DEP_2) | instskip(NEXT) | instid1(VALU_DEP_2)
	v_fma_f64 v[40:41], v[110:111], v[64:65], v[40:41]
	v_fma_f64 v[64:65], v[108:109], v[64:65], -v[42:43]
	s_waitcnt lgkmcnt(14)
	s_delay_alu instid0(VALU_DEP_2)
	v_mul_f64 v[42:43], v[127:128], v[40:41]
	v_mul_f64 v[44:45], v[125:126], v[40:41]
	s_waitcnt lgkmcnt(13)
	v_mul_f64 v[46:47], v[131:132], v[40:41]
	v_mul_f64 v[66:67], v[129:130], v[40:41]
	s_waitcnt lgkmcnt(12)
	;; [unrolled: 3-line block ×14, first 2 shown]
	v_mul_f64 v[219:220], v[183:184], v[40:41]
	v_mul_f64 v[221:222], v[181:182], v[40:41]
	v_fma_f64 v[42:43], v[125:126], v[64:65], -v[42:43]
	v_fma_f64 v[44:45], v[127:128], v[64:65], v[44:45]
	v_fma_f64 v[46:47], v[129:130], v[64:65], -v[46:47]
	v_fma_f64 v[66:67], v[131:132], v[64:65], v[66:67]
	;; [unrolled: 2-line block ×15, first 2 shown]
	v_add_f64 v[235:236], v[235:236], -v[46:47]
	v_add_f64 v[237:238], v[237:238], -v[66:67]
	;; [unrolled: 1-line block ×28, first 2 shown]
	v_dual_mov_b32 v67, v41 :: v_dual_mov_b32 v66, v40
	s_waitcnt vmcnt(0)
	v_add_f64 v[0:1], v[0:1], -v[42:43]
	v_add_f64 v[2:3], v[2:3], -v[44:45]
	scratch_store_b128 off, v[0:3], off     ; 16-byte Folded Spill
.LBB52_251:
	s_or_b32 exec_lo, exec_lo, s2
	s_waitcnt_vscnt null, 0x0
	s_barrier
	buffer_gl0_inv
	scratch_load_b128 v[0:3], off, off      ; 16-byte Folded Reload
	v_lshl_add_u32 v40, v124, 4, v118
	v_mov_b32_e32 v116, 12
	s_cmp_lt_i32 s5, 14
	s_waitcnt vmcnt(0)
	ds_store_2addr_b64 v40, v[0:1], v[2:3] offset1:1
	s_waitcnt lgkmcnt(0)
	s_barrier
	buffer_gl0_inv
	ds_load_2addr_b64 v[108:111], v118 offset0:24 offset1:25
	s_cbranch_scc1 .LBB52_254
; %bb.252:
	v_add3_u32 v117, v120, 0, 0xd0
	v_mov_b32_e32 v116, 12
	s_mov_b32 s6, 13
	s_set_inst_prefetch_distance 0x1
	.p2align	6
.LBB52_253:                             ; =>This Inner Loop Header: Depth=1
	ds_load_2addr_b64 v[125:128], v117 offset1:1
	s_waitcnt lgkmcnt(1)
	v_cmp_gt_f64_e32 vcc_lo, 0, v[108:109]
	v_xor_b32_e32 v40, 0x80000000, v109
	v_cmp_gt_f64_e64 s2, 0, v[110:111]
	v_xor_b32_e32 v42, 0x80000000, v111
	v_add_nc_u32_e32 v117, 16, v117
	s_waitcnt lgkmcnt(0)
	v_cmp_gt_f64_e64 s3, 0, v[125:126]
	v_mov_b32_e32 v44, v125
	v_dual_mov_b32 v46, v127 :: v_dual_cndmask_b32 v41, v109, v40
	v_xor_b32_e32 v40, 0x80000000, v126
	v_cndmask_b32_e64 v43, v111, v42, s2
	v_xor_b32_e32 v42, 0x80000000, v128
	s_delay_alu instid0(VALU_DEP_3) | instskip(SKIP_2) | instid1(VALU_DEP_2)
	v_cndmask_b32_e64 v45, v126, v40, s3
	v_cmp_gt_f64_e64 s3, 0, v[127:128]
	v_cndmask_b32_e32 v40, v108, v108, vcc_lo
	v_cndmask_b32_e64 v47, v128, v42, s3
	v_cndmask_b32_e64 v42, v110, v110, s2
	s_delay_alu instid0(VALU_DEP_2) | instskip(NEXT) | instid1(VALU_DEP_2)
	v_add_f64 v[44:45], v[44:45], v[46:47]
	v_add_f64 v[40:41], v[40:41], v[42:43]
	s_delay_alu instid0(VALU_DEP_1) | instskip(SKIP_4) | instid1(SALU_CYCLE_1)
	v_cmp_lt_f64_e32 vcc_lo, v[40:41], v[44:45]
	v_dual_cndmask_b32 v109, v109, v126 :: v_dual_cndmask_b32 v108, v108, v125
	v_dual_cndmask_b32 v111, v111, v128 :: v_dual_cndmask_b32 v110, v110, v127
	v_cndmask_b32_e64 v116, v116, s6, vcc_lo
	s_add_i32 s6, s6, 1
	s_cmp_lg_u32 s5, s6
	s_cbranch_scc1 .LBB52_253
.LBB52_254:
	s_set_inst_prefetch_distance 0x2
	s_waitcnt lgkmcnt(0)
	v_cmp_eq_f64_e32 vcc_lo, 0, v[108:109]
	v_cmp_eq_f64_e64 s2, 0, v[110:111]
	s_delay_alu instid0(VALU_DEP_1) | instskip(NEXT) | instid1(SALU_CYCLE_1)
	s_and_b32 s2, vcc_lo, s2
	s_and_saveexec_b32 s3, s2
	s_delay_alu instid0(SALU_CYCLE_1)
	s_xor_b32 s2, exec_lo, s3
; %bb.255:
	v_cmp_ne_u32_e32 vcc_lo, 0, v123
	v_cndmask_b32_e32 v123, 13, v123, vcc_lo
; %bb.256:
	s_and_not1_saveexec_b32 s3, s2
	s_cbranch_execz .LBB52_262
; %bb.257:
	v_cmp_gt_f64_e32 vcc_lo, 0, v[108:109]
	v_cmp_gt_f64_e64 s2, 0, v[110:111]
	v_xor_b32_e32 v40, 0x80000000, v109
	v_xor_b32_e32 v42, 0x80000000, v111
	s_delay_alu instid0(VALU_DEP_2) | instskip(NEXT) | instid1(VALU_DEP_2)
	v_cndmask_b32_e32 v41, v109, v40, vcc_lo
	v_cndmask_b32_e64 v43, v111, v42, s2
	v_cndmask_b32_e32 v40, v108, v108, vcc_lo
	v_cndmask_b32_e64 v42, v110, v110, s2
	s_mov_b32 s2, exec_lo
	s_delay_alu instid0(VALU_DEP_1)
	v_cmpx_ngt_f64_e32 v[40:41], v[42:43]
	s_xor_b32 s2, exec_lo, s2
	s_cbranch_execz .LBB52_259
; %bb.258:
	v_div_scale_f64 v[40:41], null, v[110:111], v[110:111], v[108:109]
	v_div_scale_f64 v[46:47], vcc_lo, v[108:109], v[110:111], v[108:109]
	s_delay_alu instid0(VALU_DEP_2) | instskip(SKIP_2) | instid1(VALU_DEP_1)
	v_rcp_f64_e32 v[42:43], v[40:41]
	s_waitcnt_depctr 0xfff
	v_fma_f64 v[44:45], -v[40:41], v[42:43], 1.0
	v_fma_f64 v[42:43], v[42:43], v[44:45], v[42:43]
	s_delay_alu instid0(VALU_DEP_1) | instskip(NEXT) | instid1(VALU_DEP_1)
	v_fma_f64 v[44:45], -v[40:41], v[42:43], 1.0
	v_fma_f64 v[42:43], v[42:43], v[44:45], v[42:43]
	s_delay_alu instid0(VALU_DEP_1) | instskip(NEXT) | instid1(VALU_DEP_1)
	v_mul_f64 v[44:45], v[46:47], v[42:43]
	v_fma_f64 v[40:41], -v[40:41], v[44:45], v[46:47]
	s_delay_alu instid0(VALU_DEP_1) | instskip(NEXT) | instid1(VALU_DEP_1)
	v_div_fmas_f64 v[40:41], v[40:41], v[42:43], v[44:45]
	v_div_fixup_f64 v[40:41], v[40:41], v[110:111], v[108:109]
	s_delay_alu instid0(VALU_DEP_1) | instskip(NEXT) | instid1(VALU_DEP_1)
	v_fma_f64 v[42:43], v[108:109], v[40:41], v[110:111]
	v_div_scale_f64 v[44:45], null, v[42:43], v[42:43], 1.0
	s_delay_alu instid0(VALU_DEP_1) | instskip(SKIP_2) | instid1(VALU_DEP_1)
	v_rcp_f64_e32 v[46:47], v[44:45]
	s_waitcnt_depctr 0xfff
	v_fma_f64 v[100:101], -v[44:45], v[46:47], 1.0
	v_fma_f64 v[46:47], v[46:47], v[100:101], v[46:47]
	s_delay_alu instid0(VALU_DEP_1) | instskip(NEXT) | instid1(VALU_DEP_1)
	v_fma_f64 v[100:101], -v[44:45], v[46:47], 1.0
	v_fma_f64 v[46:47], v[46:47], v[100:101], v[46:47]
	v_div_scale_f64 v[100:101], vcc_lo, 1.0, v[42:43], 1.0
	s_delay_alu instid0(VALU_DEP_1) | instskip(NEXT) | instid1(VALU_DEP_1)
	v_mul_f64 v[102:103], v[100:101], v[46:47]
	v_fma_f64 v[44:45], -v[44:45], v[102:103], v[100:101]
	s_delay_alu instid0(VALU_DEP_1) | instskip(NEXT) | instid1(VALU_DEP_1)
	v_div_fmas_f64 v[44:45], v[44:45], v[46:47], v[102:103]
	v_div_fixup_f64 v[110:111], v[44:45], v[42:43], 1.0
	s_delay_alu instid0(VALU_DEP_1)
	v_mul_f64 v[108:109], v[40:41], v[110:111]
	v_xor_b32_e32 v111, 0x80000000, v111
.LBB52_259:
	s_and_not1_saveexec_b32 s2, s2
	s_cbranch_execz .LBB52_261
; %bb.260:
	s_delay_alu instid0(VALU_DEP_1) | instskip(SKIP_1) | instid1(VALU_DEP_2)
	v_div_scale_f64 v[40:41], null, v[108:109], v[108:109], v[110:111]
	v_div_scale_f64 v[46:47], vcc_lo, v[110:111], v[108:109], v[110:111]
	v_rcp_f64_e32 v[42:43], v[40:41]
	s_waitcnt_depctr 0xfff
	v_fma_f64 v[44:45], -v[40:41], v[42:43], 1.0
	s_delay_alu instid0(VALU_DEP_1) | instskip(NEXT) | instid1(VALU_DEP_1)
	v_fma_f64 v[42:43], v[42:43], v[44:45], v[42:43]
	v_fma_f64 v[44:45], -v[40:41], v[42:43], 1.0
	s_delay_alu instid0(VALU_DEP_1) | instskip(NEXT) | instid1(VALU_DEP_1)
	v_fma_f64 v[42:43], v[42:43], v[44:45], v[42:43]
	v_mul_f64 v[44:45], v[46:47], v[42:43]
	s_delay_alu instid0(VALU_DEP_1) | instskip(NEXT) | instid1(VALU_DEP_1)
	v_fma_f64 v[40:41], -v[40:41], v[44:45], v[46:47]
	v_div_fmas_f64 v[40:41], v[40:41], v[42:43], v[44:45]
	s_delay_alu instid0(VALU_DEP_1) | instskip(NEXT) | instid1(VALU_DEP_1)
	v_div_fixup_f64 v[40:41], v[40:41], v[108:109], v[110:111]
	v_fma_f64 v[42:43], v[110:111], v[40:41], v[108:109]
	s_delay_alu instid0(VALU_DEP_1) | instskip(NEXT) | instid1(VALU_DEP_1)
	v_div_scale_f64 v[44:45], null, v[42:43], v[42:43], 1.0
	v_rcp_f64_e32 v[46:47], v[44:45]
	s_waitcnt_depctr 0xfff
	v_fma_f64 v[100:101], -v[44:45], v[46:47], 1.0
	s_delay_alu instid0(VALU_DEP_1) | instskip(NEXT) | instid1(VALU_DEP_1)
	v_fma_f64 v[46:47], v[46:47], v[100:101], v[46:47]
	v_fma_f64 v[100:101], -v[44:45], v[46:47], 1.0
	s_delay_alu instid0(VALU_DEP_1) | instskip(SKIP_1) | instid1(VALU_DEP_1)
	v_fma_f64 v[46:47], v[46:47], v[100:101], v[46:47]
	v_div_scale_f64 v[100:101], vcc_lo, 1.0, v[42:43], 1.0
	v_mul_f64 v[102:103], v[100:101], v[46:47]
	s_delay_alu instid0(VALU_DEP_1) | instskip(NEXT) | instid1(VALU_DEP_1)
	v_fma_f64 v[44:45], -v[44:45], v[102:103], v[100:101]
	v_div_fmas_f64 v[44:45], v[44:45], v[46:47], v[102:103]
	s_delay_alu instid0(VALU_DEP_1) | instskip(NEXT) | instid1(VALU_DEP_1)
	v_div_fixup_f64 v[108:109], v[44:45], v[42:43], 1.0
	v_mul_f64 v[110:111], v[40:41], -v[108:109]
.LBB52_261:
	s_or_b32 exec_lo, exec_lo, s2
.LBB52_262:
	s_delay_alu instid0(SALU_CYCLE_1) | instskip(NEXT) | instid1(SALU_CYCLE_1)
	s_or_b32 exec_lo, exec_lo, s3
	s_mov_b32 s2, exec_lo
	v_cmpx_ne_u32_e64 v124, v116
	s_xor_b32 s2, exec_lo, s2
	s_cbranch_execz .LBB52_268
; %bb.263:
	s_mov_b32 s3, exec_lo
	v_cmpx_eq_u32_e32 12, v124
	s_cbranch_execz .LBB52_267
; %bb.264:
	v_cmp_ne_u32_e32 vcc_lo, 12, v116
	s_xor_b32 s6, s4, -1
	s_delay_alu instid0(SALU_CYCLE_1) | instskip(NEXT) | instid1(SALU_CYCLE_1)
	s_and_b32 s7, s6, vcc_lo
	s_and_saveexec_b32 s6, s7
	s_cbranch_execz .LBB52_266
; %bb.265:
	scratch_load_b64 v[44:45], off, off offset:48 ; 8-byte Folded Reload
	v_ashrrev_i32_e32 v117, 31, v116
	s_delay_alu instid0(VALU_DEP_1) | instskip(SKIP_1) | instid1(VALU_DEP_1)
	v_lshlrev_b64 v[40:41], 2, v[116:117]
	s_waitcnt vmcnt(0)
	v_add_co_u32 v40, vcc_lo, v44, v40
	s_delay_alu instid0(VALU_DEP_2)
	v_add_co_ci_u32_e32 v41, vcc_lo, v45, v41, vcc_lo
	s_clause 0x1
	flat_load_b32 v42, v[40:41]
	flat_load_b32 v43, v[44:45] offset:48
	s_waitcnt vmcnt(1) lgkmcnt(1)
	flat_store_b32 v[44:45], v42 offset:48
	s_waitcnt vmcnt(0) lgkmcnt(1)
	flat_store_b32 v[40:41], v43
.LBB52_266:
	s_or_b32 exec_lo, exec_lo, s6
	v_mov_b32_e32 v124, v116
	v_mov_b32_e32 v119, v116
.LBB52_267:
	s_or_b32 exec_lo, exec_lo, s3
.LBB52_268:
	s_and_not1_saveexec_b32 s2, s2
	s_cbranch_execz .LBB52_270
; %bb.269:
	v_mov_b32_e32 v124, 12
	ds_store_2addr_b64 v118, v[235:236], v[237:238] offset0:26 offset1:27
	ds_store_2addr_b64 v118, v[239:240], v[241:242] offset0:28 offset1:29
	;; [unrolled: 1-line block ×14, first 2 shown]
.LBB52_270:
	s_or_b32 exec_lo, exec_lo, s2
	s_delay_alu instid0(SALU_CYCLE_1)
	s_mov_b32 s2, exec_lo
	s_waitcnt lgkmcnt(0)
	s_waitcnt_vscnt null, 0x0
	s_barrier
	buffer_gl0_inv
	v_cmpx_lt_i32_e32 12, v124
	s_cbranch_execz .LBB52_272
; %bb.271:
	scratch_load_b128 v[0:3], off, off      ; 16-byte Folded Reload
	ds_load_2addr_b64 v[125:128], v118 offset0:26 offset1:27
	ds_load_2addr_b64 v[129:132], v118 offset0:28 offset1:29
	;; [unrolled: 1-line block ×14, first 2 shown]
	v_dual_mov_b32 v75, v63 :: v_dual_mov_b32 v74, v62
	v_dual_mov_b32 v73, v61 :: v_dual_mov_b32 v72, v60
	s_waitcnt vmcnt(0)
	v_mul_f64 v[40:41], v[108:109], v[2:3]
	v_mul_f64 v[42:43], v[110:111], v[2:3]
	s_delay_alu instid0(VALU_DEP_2) | instskip(NEXT) | instid1(VALU_DEP_2)
	v_fma_f64 v[40:41], v[110:111], v[0:1], v[40:41]
	v_fma_f64 v[0:1], v[108:109], v[0:1], -v[42:43]
	s_waitcnt lgkmcnt(13)
	s_delay_alu instid0(VALU_DEP_2)
	v_mul_f64 v[42:43], v[127:128], v[40:41]
	v_mul_f64 v[44:45], v[125:126], v[40:41]
	s_waitcnt lgkmcnt(12)
	v_mul_f64 v[46:47], v[131:132], v[40:41]
	v_mul_f64 v[62:63], v[129:130], v[40:41]
	s_waitcnt lgkmcnt(11)
	;; [unrolled: 3-line block ×13, first 2 shown]
	v_mul_f64 v[211:212], v[179:180], v[40:41]
	v_mul_f64 v[213:214], v[177:178], v[40:41]
	v_dual_mov_b32 v61, v1 :: v_dual_mov_b32 v60, v0
	v_dual_mov_b32 v2, v40 :: v_dual_mov_b32 v3, v41
	scratch_store_b128 off, v[0:3], off     ; 16-byte Folded Spill
	v_fma_f64 v[42:43], v[125:126], v[60:61], -v[42:43]
	v_fma_f64 v[44:45], v[127:128], v[60:61], v[44:45]
	v_fma_f64 v[46:47], v[129:130], v[60:61], -v[46:47]
	v_fma_f64 v[62:63], v[131:132], v[60:61], v[62:63]
	;; [unrolled: 2-line block ×14, first 2 shown]
	v_add_f64 v[235:236], v[235:236], -v[42:43]
	v_add_f64 v[237:238], v[237:238], -v[44:45]
	;; [unrolled: 1-line block ×28, first 2 shown]
	v_dual_mov_b32 v60, v72 :: v_dual_mov_b32 v61, v73
	v_dual_mov_b32 v62, v74 :: v_dual_mov_b32 v63, v75
.LBB52_272:
	s_or_b32 exec_lo, exec_lo, s2
	v_lshl_add_u32 v40, v124, 4, v118
	s_waitcnt_vscnt null, 0x0
	s_barrier
	buffer_gl0_inv
	v_mov_b32_e32 v116, 13
	ds_store_2addr_b64 v40, v[235:236], v[237:238] offset1:1
	s_waitcnt lgkmcnt(0)
	s_barrier
	buffer_gl0_inv
	ds_load_2addr_b64 v[108:111], v118 offset0:26 offset1:27
	s_cmp_lt_i32 s5, 15
	s_cbranch_scc1 .LBB52_275
; %bb.273:
	v_add3_u32 v117, v120, 0, 0xe0
	v_mov_b32_e32 v116, 13
	s_mov_b32 s6, 14
	s_set_inst_prefetch_distance 0x1
	.p2align	6
.LBB52_274:                             ; =>This Inner Loop Header: Depth=1
	ds_load_2addr_b64 v[125:128], v117 offset1:1
	s_waitcnt lgkmcnt(1)
	v_cmp_gt_f64_e32 vcc_lo, 0, v[108:109]
	v_xor_b32_e32 v40, 0x80000000, v109
	v_cmp_gt_f64_e64 s2, 0, v[110:111]
	v_xor_b32_e32 v42, 0x80000000, v111
	v_add_nc_u32_e32 v117, 16, v117
	s_waitcnt lgkmcnt(0)
	v_cmp_gt_f64_e64 s3, 0, v[125:126]
	v_mov_b32_e32 v44, v125
	v_dual_mov_b32 v46, v127 :: v_dual_cndmask_b32 v41, v109, v40
	v_xor_b32_e32 v40, 0x80000000, v126
	v_cndmask_b32_e64 v43, v111, v42, s2
	v_xor_b32_e32 v42, 0x80000000, v128
	s_delay_alu instid0(VALU_DEP_3) | instskip(SKIP_2) | instid1(VALU_DEP_2)
	v_cndmask_b32_e64 v45, v126, v40, s3
	v_cmp_gt_f64_e64 s3, 0, v[127:128]
	v_cndmask_b32_e32 v40, v108, v108, vcc_lo
	v_cndmask_b32_e64 v47, v128, v42, s3
	v_cndmask_b32_e64 v42, v110, v110, s2
	s_delay_alu instid0(VALU_DEP_2) | instskip(NEXT) | instid1(VALU_DEP_2)
	v_add_f64 v[44:45], v[44:45], v[46:47]
	v_add_f64 v[40:41], v[40:41], v[42:43]
	s_delay_alu instid0(VALU_DEP_1) | instskip(SKIP_4) | instid1(SALU_CYCLE_1)
	v_cmp_lt_f64_e32 vcc_lo, v[40:41], v[44:45]
	v_dual_cndmask_b32 v109, v109, v126 :: v_dual_cndmask_b32 v108, v108, v125
	v_dual_cndmask_b32 v111, v111, v128 :: v_dual_cndmask_b32 v110, v110, v127
	v_cndmask_b32_e64 v116, v116, s6, vcc_lo
	s_add_i32 s6, s6, 1
	s_cmp_lg_u32 s5, s6
	s_cbranch_scc1 .LBB52_274
.LBB52_275:
	s_set_inst_prefetch_distance 0x2
	s_waitcnt lgkmcnt(0)
	v_cmp_eq_f64_e32 vcc_lo, 0, v[108:109]
	v_cmp_eq_f64_e64 s2, 0, v[110:111]
	s_delay_alu instid0(VALU_DEP_1) | instskip(NEXT) | instid1(SALU_CYCLE_1)
	s_and_b32 s2, vcc_lo, s2
	s_and_saveexec_b32 s3, s2
	s_delay_alu instid0(SALU_CYCLE_1)
	s_xor_b32 s2, exec_lo, s3
; %bb.276:
	v_cmp_ne_u32_e32 vcc_lo, 0, v123
	v_cndmask_b32_e32 v123, 14, v123, vcc_lo
; %bb.277:
	s_and_not1_saveexec_b32 s3, s2
	s_cbranch_execz .LBB52_283
; %bb.278:
	v_cmp_gt_f64_e32 vcc_lo, 0, v[108:109]
	v_cmp_gt_f64_e64 s2, 0, v[110:111]
	v_xor_b32_e32 v40, 0x80000000, v109
	v_xor_b32_e32 v42, 0x80000000, v111
	s_delay_alu instid0(VALU_DEP_2) | instskip(NEXT) | instid1(VALU_DEP_2)
	v_cndmask_b32_e32 v41, v109, v40, vcc_lo
	v_cndmask_b32_e64 v43, v111, v42, s2
	v_cndmask_b32_e32 v40, v108, v108, vcc_lo
	v_cndmask_b32_e64 v42, v110, v110, s2
	s_mov_b32 s2, exec_lo
	s_delay_alu instid0(VALU_DEP_1)
	v_cmpx_ngt_f64_e32 v[40:41], v[42:43]
	s_xor_b32 s2, exec_lo, s2
	s_cbranch_execz .LBB52_280
; %bb.279:
	v_div_scale_f64 v[40:41], null, v[110:111], v[110:111], v[108:109]
	v_div_scale_f64 v[46:47], vcc_lo, v[108:109], v[110:111], v[108:109]
	s_delay_alu instid0(VALU_DEP_2) | instskip(SKIP_2) | instid1(VALU_DEP_1)
	v_rcp_f64_e32 v[42:43], v[40:41]
	s_waitcnt_depctr 0xfff
	v_fma_f64 v[44:45], -v[40:41], v[42:43], 1.0
	v_fma_f64 v[42:43], v[42:43], v[44:45], v[42:43]
	s_delay_alu instid0(VALU_DEP_1) | instskip(NEXT) | instid1(VALU_DEP_1)
	v_fma_f64 v[44:45], -v[40:41], v[42:43], 1.0
	v_fma_f64 v[42:43], v[42:43], v[44:45], v[42:43]
	s_delay_alu instid0(VALU_DEP_1) | instskip(NEXT) | instid1(VALU_DEP_1)
	v_mul_f64 v[44:45], v[46:47], v[42:43]
	v_fma_f64 v[40:41], -v[40:41], v[44:45], v[46:47]
	s_delay_alu instid0(VALU_DEP_1) | instskip(NEXT) | instid1(VALU_DEP_1)
	v_div_fmas_f64 v[40:41], v[40:41], v[42:43], v[44:45]
	v_div_fixup_f64 v[40:41], v[40:41], v[110:111], v[108:109]
	s_delay_alu instid0(VALU_DEP_1) | instskip(NEXT) | instid1(VALU_DEP_1)
	v_fma_f64 v[42:43], v[108:109], v[40:41], v[110:111]
	v_div_scale_f64 v[44:45], null, v[42:43], v[42:43], 1.0
	s_delay_alu instid0(VALU_DEP_1) | instskip(SKIP_2) | instid1(VALU_DEP_1)
	v_rcp_f64_e32 v[46:47], v[44:45]
	s_waitcnt_depctr 0xfff
	v_fma_f64 v[100:101], -v[44:45], v[46:47], 1.0
	v_fma_f64 v[46:47], v[46:47], v[100:101], v[46:47]
	s_delay_alu instid0(VALU_DEP_1) | instskip(NEXT) | instid1(VALU_DEP_1)
	v_fma_f64 v[100:101], -v[44:45], v[46:47], 1.0
	v_fma_f64 v[46:47], v[46:47], v[100:101], v[46:47]
	v_div_scale_f64 v[100:101], vcc_lo, 1.0, v[42:43], 1.0
	s_delay_alu instid0(VALU_DEP_1) | instskip(NEXT) | instid1(VALU_DEP_1)
	v_mul_f64 v[102:103], v[100:101], v[46:47]
	v_fma_f64 v[44:45], -v[44:45], v[102:103], v[100:101]
	s_delay_alu instid0(VALU_DEP_1) | instskip(NEXT) | instid1(VALU_DEP_1)
	v_div_fmas_f64 v[44:45], v[44:45], v[46:47], v[102:103]
	v_div_fixup_f64 v[110:111], v[44:45], v[42:43], 1.0
	s_delay_alu instid0(VALU_DEP_1)
	v_mul_f64 v[108:109], v[40:41], v[110:111]
	v_xor_b32_e32 v111, 0x80000000, v111
.LBB52_280:
	s_and_not1_saveexec_b32 s2, s2
	s_cbranch_execz .LBB52_282
; %bb.281:
	s_delay_alu instid0(VALU_DEP_1) | instskip(SKIP_1) | instid1(VALU_DEP_2)
	v_div_scale_f64 v[40:41], null, v[108:109], v[108:109], v[110:111]
	v_div_scale_f64 v[46:47], vcc_lo, v[110:111], v[108:109], v[110:111]
	v_rcp_f64_e32 v[42:43], v[40:41]
	s_waitcnt_depctr 0xfff
	v_fma_f64 v[44:45], -v[40:41], v[42:43], 1.0
	s_delay_alu instid0(VALU_DEP_1) | instskip(NEXT) | instid1(VALU_DEP_1)
	v_fma_f64 v[42:43], v[42:43], v[44:45], v[42:43]
	v_fma_f64 v[44:45], -v[40:41], v[42:43], 1.0
	s_delay_alu instid0(VALU_DEP_1) | instskip(NEXT) | instid1(VALU_DEP_1)
	v_fma_f64 v[42:43], v[42:43], v[44:45], v[42:43]
	v_mul_f64 v[44:45], v[46:47], v[42:43]
	s_delay_alu instid0(VALU_DEP_1) | instskip(NEXT) | instid1(VALU_DEP_1)
	v_fma_f64 v[40:41], -v[40:41], v[44:45], v[46:47]
	v_div_fmas_f64 v[40:41], v[40:41], v[42:43], v[44:45]
	s_delay_alu instid0(VALU_DEP_1) | instskip(NEXT) | instid1(VALU_DEP_1)
	v_div_fixup_f64 v[40:41], v[40:41], v[108:109], v[110:111]
	v_fma_f64 v[42:43], v[110:111], v[40:41], v[108:109]
	s_delay_alu instid0(VALU_DEP_1) | instskip(NEXT) | instid1(VALU_DEP_1)
	v_div_scale_f64 v[44:45], null, v[42:43], v[42:43], 1.0
	v_rcp_f64_e32 v[46:47], v[44:45]
	s_waitcnt_depctr 0xfff
	v_fma_f64 v[100:101], -v[44:45], v[46:47], 1.0
	s_delay_alu instid0(VALU_DEP_1) | instskip(NEXT) | instid1(VALU_DEP_1)
	v_fma_f64 v[46:47], v[46:47], v[100:101], v[46:47]
	v_fma_f64 v[100:101], -v[44:45], v[46:47], 1.0
	s_delay_alu instid0(VALU_DEP_1) | instskip(SKIP_1) | instid1(VALU_DEP_1)
	v_fma_f64 v[46:47], v[46:47], v[100:101], v[46:47]
	v_div_scale_f64 v[100:101], vcc_lo, 1.0, v[42:43], 1.0
	v_mul_f64 v[102:103], v[100:101], v[46:47]
	s_delay_alu instid0(VALU_DEP_1) | instskip(NEXT) | instid1(VALU_DEP_1)
	v_fma_f64 v[44:45], -v[44:45], v[102:103], v[100:101]
	v_div_fmas_f64 v[44:45], v[44:45], v[46:47], v[102:103]
	s_delay_alu instid0(VALU_DEP_1) | instskip(NEXT) | instid1(VALU_DEP_1)
	v_div_fixup_f64 v[108:109], v[44:45], v[42:43], 1.0
	v_mul_f64 v[110:111], v[40:41], -v[108:109]
.LBB52_282:
	s_or_b32 exec_lo, exec_lo, s2
.LBB52_283:
	s_delay_alu instid0(SALU_CYCLE_1) | instskip(NEXT) | instid1(SALU_CYCLE_1)
	s_or_b32 exec_lo, exec_lo, s3
	s_mov_b32 s2, exec_lo
	v_cmpx_ne_u32_e64 v124, v116
	s_xor_b32 s2, exec_lo, s2
	s_cbranch_execz .LBB52_289
; %bb.284:
	s_mov_b32 s3, exec_lo
	v_cmpx_eq_u32_e32 13, v124
	s_cbranch_execz .LBB52_288
; %bb.285:
	v_cmp_ne_u32_e32 vcc_lo, 13, v116
	s_xor_b32 s6, s4, -1
	s_delay_alu instid0(SALU_CYCLE_1) | instskip(NEXT) | instid1(SALU_CYCLE_1)
	s_and_b32 s7, s6, vcc_lo
	s_and_saveexec_b32 s6, s7
	s_cbranch_execz .LBB52_287
; %bb.286:
	scratch_load_b64 v[44:45], off, off offset:48 ; 8-byte Folded Reload
	v_ashrrev_i32_e32 v117, 31, v116
	s_delay_alu instid0(VALU_DEP_1) | instskip(SKIP_1) | instid1(VALU_DEP_1)
	v_lshlrev_b64 v[40:41], 2, v[116:117]
	s_waitcnt vmcnt(0)
	v_add_co_u32 v40, vcc_lo, v44, v40
	s_delay_alu instid0(VALU_DEP_2)
	v_add_co_ci_u32_e32 v41, vcc_lo, v45, v41, vcc_lo
	s_clause 0x1
	flat_load_b32 v42, v[40:41]
	flat_load_b32 v43, v[44:45] offset:52
	s_waitcnt vmcnt(1) lgkmcnt(1)
	flat_store_b32 v[44:45], v42 offset:52
	s_waitcnt vmcnt(0) lgkmcnt(1)
	flat_store_b32 v[40:41], v43
.LBB52_287:
	s_or_b32 exec_lo, exec_lo, s6
	v_mov_b32_e32 v124, v116
	v_mov_b32_e32 v119, v116
.LBB52_288:
	s_or_b32 exec_lo, exec_lo, s3
.LBB52_289:
	s_and_not1_saveexec_b32 s2, s2
	s_cbranch_execz .LBB52_291
; %bb.290:
	v_mov_b32_e32 v124, 13
	ds_store_2addr_b64 v118, v[239:240], v[241:242] offset0:28 offset1:29
	ds_store_2addr_b64 v118, v[48:49], v[50:51] offset0:30 offset1:31
	;; [unrolled: 1-line block ×13, first 2 shown]
.LBB52_291:
	s_or_b32 exec_lo, exec_lo, s2
	s_delay_alu instid0(SALU_CYCLE_1)
	s_mov_b32 s2, exec_lo
	s_waitcnt lgkmcnt(0)
	s_waitcnt_vscnt null, 0x0
	s_barrier
	buffer_gl0_inv
	v_cmpx_lt_i32_e32 13, v124
	s_cbranch_execz .LBB52_293
; %bb.292:
	v_mul_f64 v[40:41], v[108:109], v[237:238]
	v_mul_f64 v[42:43], v[110:111], v[237:238]
	ds_load_2addr_b64 v[125:128], v118 offset0:28 offset1:29
	ds_load_2addr_b64 v[129:132], v118 offset0:30 offset1:31
	;; [unrolled: 1-line block ×13, first 2 shown]
	v_dual_mov_b32 v75, v59 :: v_dual_mov_b32 v74, v58
	v_dual_mov_b32 v73, v57 :: v_dual_mov_b32 v72, v56
	v_fma_f64 v[40:41], v[110:111], v[235:236], v[40:41]
	v_fma_f64 v[235:236], v[108:109], v[235:236], -v[42:43]
	s_waitcnt lgkmcnt(12)
	s_delay_alu instid0(VALU_DEP_2)
	v_mul_f64 v[42:43], v[127:128], v[40:41]
	v_mul_f64 v[44:45], v[125:126], v[40:41]
	s_waitcnt lgkmcnt(11)
	v_mul_f64 v[46:47], v[131:132], v[40:41]
	v_mul_f64 v[58:59], v[129:130], v[40:41]
	s_waitcnt lgkmcnt(10)
	;; [unrolled: 3-line block ×12, first 2 shown]
	v_mul_f64 v[203:204], v[175:176], v[40:41]
	v_mul_f64 v[205:206], v[173:174], v[40:41]
	v_dual_mov_b32 v238, v41 :: v_dual_mov_b32 v237, v40
	v_fma_f64 v[42:43], v[125:126], v[235:236], -v[42:43]
	v_fma_f64 v[44:45], v[127:128], v[235:236], v[44:45]
	v_fma_f64 v[46:47], v[129:130], v[235:236], -v[46:47]
	v_fma_f64 v[58:59], v[131:132], v[235:236], v[58:59]
	;; [unrolled: 2-line block ×13, first 2 shown]
	v_add_f64 v[239:240], v[239:240], -v[42:43]
	v_add_f64 v[241:242], v[241:242], -v[44:45]
	;; [unrolled: 1-line block ×26, first 2 shown]
	v_dual_mov_b32 v56, v72 :: v_dual_mov_b32 v57, v73
	v_dual_mov_b32 v58, v74 :: v_dual_mov_b32 v59, v75
.LBB52_293:
	s_or_b32 exec_lo, exec_lo, s2
	v_lshl_add_u32 v40, v124, 4, v118
	s_barrier
	buffer_gl0_inv
	v_mov_b32_e32 v116, 14
	ds_store_2addr_b64 v40, v[239:240], v[241:242] offset1:1
	s_waitcnt lgkmcnt(0)
	s_barrier
	buffer_gl0_inv
	ds_load_2addr_b64 v[108:111], v118 offset0:28 offset1:29
	s_cmp_lt_i32 s5, 16
	s_cbranch_scc1 .LBB52_296
; %bb.294:
	v_add3_u32 v117, v120, 0, 0xf0
	v_mov_b32_e32 v116, 14
	s_mov_b32 s6, 15
	s_set_inst_prefetch_distance 0x1
	.p2align	6
.LBB52_295:                             ; =>This Inner Loop Header: Depth=1
	ds_load_2addr_b64 v[125:128], v117 offset1:1
	s_waitcnt lgkmcnt(1)
	v_cmp_gt_f64_e32 vcc_lo, 0, v[108:109]
	v_xor_b32_e32 v40, 0x80000000, v109
	v_cmp_gt_f64_e64 s2, 0, v[110:111]
	v_xor_b32_e32 v42, 0x80000000, v111
	v_add_nc_u32_e32 v117, 16, v117
	s_waitcnt lgkmcnt(0)
	v_cmp_gt_f64_e64 s3, 0, v[125:126]
	v_mov_b32_e32 v44, v125
	v_dual_mov_b32 v46, v127 :: v_dual_cndmask_b32 v41, v109, v40
	v_xor_b32_e32 v40, 0x80000000, v126
	v_cndmask_b32_e64 v43, v111, v42, s2
	v_xor_b32_e32 v42, 0x80000000, v128
	s_delay_alu instid0(VALU_DEP_3) | instskip(SKIP_2) | instid1(VALU_DEP_2)
	v_cndmask_b32_e64 v45, v126, v40, s3
	v_cmp_gt_f64_e64 s3, 0, v[127:128]
	v_cndmask_b32_e32 v40, v108, v108, vcc_lo
	v_cndmask_b32_e64 v47, v128, v42, s3
	v_cndmask_b32_e64 v42, v110, v110, s2
	s_delay_alu instid0(VALU_DEP_2) | instskip(NEXT) | instid1(VALU_DEP_2)
	v_add_f64 v[44:45], v[44:45], v[46:47]
	v_add_f64 v[40:41], v[40:41], v[42:43]
	s_delay_alu instid0(VALU_DEP_1) | instskip(SKIP_4) | instid1(SALU_CYCLE_1)
	v_cmp_lt_f64_e32 vcc_lo, v[40:41], v[44:45]
	v_dual_cndmask_b32 v109, v109, v126 :: v_dual_cndmask_b32 v108, v108, v125
	v_dual_cndmask_b32 v111, v111, v128 :: v_dual_cndmask_b32 v110, v110, v127
	v_cndmask_b32_e64 v116, v116, s6, vcc_lo
	s_add_i32 s6, s6, 1
	s_cmp_lg_u32 s5, s6
	s_cbranch_scc1 .LBB52_295
.LBB52_296:
	s_set_inst_prefetch_distance 0x2
	s_waitcnt lgkmcnt(0)
	v_cmp_eq_f64_e32 vcc_lo, 0, v[108:109]
	v_cmp_eq_f64_e64 s2, 0, v[110:111]
	s_delay_alu instid0(VALU_DEP_1) | instskip(NEXT) | instid1(SALU_CYCLE_1)
	s_and_b32 s2, vcc_lo, s2
	s_and_saveexec_b32 s3, s2
	s_delay_alu instid0(SALU_CYCLE_1)
	s_xor_b32 s2, exec_lo, s3
; %bb.297:
	v_cmp_ne_u32_e32 vcc_lo, 0, v123
	v_cndmask_b32_e32 v123, 15, v123, vcc_lo
; %bb.298:
	s_and_not1_saveexec_b32 s3, s2
	s_cbranch_execz .LBB52_304
; %bb.299:
	v_cmp_gt_f64_e32 vcc_lo, 0, v[108:109]
	v_cmp_gt_f64_e64 s2, 0, v[110:111]
	v_xor_b32_e32 v40, 0x80000000, v109
	v_xor_b32_e32 v42, 0x80000000, v111
	s_delay_alu instid0(VALU_DEP_2) | instskip(NEXT) | instid1(VALU_DEP_2)
	v_cndmask_b32_e32 v41, v109, v40, vcc_lo
	v_cndmask_b32_e64 v43, v111, v42, s2
	v_cndmask_b32_e32 v40, v108, v108, vcc_lo
	v_cndmask_b32_e64 v42, v110, v110, s2
	s_mov_b32 s2, exec_lo
	s_delay_alu instid0(VALU_DEP_1)
	v_cmpx_ngt_f64_e32 v[40:41], v[42:43]
	s_xor_b32 s2, exec_lo, s2
	s_cbranch_execz .LBB52_301
; %bb.300:
	v_div_scale_f64 v[40:41], null, v[110:111], v[110:111], v[108:109]
	v_div_scale_f64 v[46:47], vcc_lo, v[108:109], v[110:111], v[108:109]
	s_delay_alu instid0(VALU_DEP_2) | instskip(SKIP_2) | instid1(VALU_DEP_1)
	v_rcp_f64_e32 v[42:43], v[40:41]
	s_waitcnt_depctr 0xfff
	v_fma_f64 v[44:45], -v[40:41], v[42:43], 1.0
	v_fma_f64 v[42:43], v[42:43], v[44:45], v[42:43]
	s_delay_alu instid0(VALU_DEP_1) | instskip(NEXT) | instid1(VALU_DEP_1)
	v_fma_f64 v[44:45], -v[40:41], v[42:43], 1.0
	v_fma_f64 v[42:43], v[42:43], v[44:45], v[42:43]
	s_delay_alu instid0(VALU_DEP_1) | instskip(NEXT) | instid1(VALU_DEP_1)
	v_mul_f64 v[44:45], v[46:47], v[42:43]
	v_fma_f64 v[40:41], -v[40:41], v[44:45], v[46:47]
	s_delay_alu instid0(VALU_DEP_1) | instskip(NEXT) | instid1(VALU_DEP_1)
	v_div_fmas_f64 v[40:41], v[40:41], v[42:43], v[44:45]
	v_div_fixup_f64 v[40:41], v[40:41], v[110:111], v[108:109]
	s_delay_alu instid0(VALU_DEP_1) | instskip(NEXT) | instid1(VALU_DEP_1)
	v_fma_f64 v[42:43], v[108:109], v[40:41], v[110:111]
	v_div_scale_f64 v[44:45], null, v[42:43], v[42:43], 1.0
	s_delay_alu instid0(VALU_DEP_1) | instskip(SKIP_2) | instid1(VALU_DEP_1)
	v_rcp_f64_e32 v[46:47], v[44:45]
	s_waitcnt_depctr 0xfff
	v_fma_f64 v[100:101], -v[44:45], v[46:47], 1.0
	v_fma_f64 v[46:47], v[46:47], v[100:101], v[46:47]
	s_delay_alu instid0(VALU_DEP_1) | instskip(NEXT) | instid1(VALU_DEP_1)
	v_fma_f64 v[100:101], -v[44:45], v[46:47], 1.0
	v_fma_f64 v[46:47], v[46:47], v[100:101], v[46:47]
	v_div_scale_f64 v[100:101], vcc_lo, 1.0, v[42:43], 1.0
	s_delay_alu instid0(VALU_DEP_1) | instskip(NEXT) | instid1(VALU_DEP_1)
	v_mul_f64 v[102:103], v[100:101], v[46:47]
	v_fma_f64 v[44:45], -v[44:45], v[102:103], v[100:101]
	s_delay_alu instid0(VALU_DEP_1) | instskip(NEXT) | instid1(VALU_DEP_1)
	v_div_fmas_f64 v[44:45], v[44:45], v[46:47], v[102:103]
	v_div_fixup_f64 v[110:111], v[44:45], v[42:43], 1.0
	s_delay_alu instid0(VALU_DEP_1)
	v_mul_f64 v[108:109], v[40:41], v[110:111]
	v_xor_b32_e32 v111, 0x80000000, v111
.LBB52_301:
	s_and_not1_saveexec_b32 s2, s2
	s_cbranch_execz .LBB52_303
; %bb.302:
	s_delay_alu instid0(VALU_DEP_1) | instskip(SKIP_1) | instid1(VALU_DEP_2)
	v_div_scale_f64 v[40:41], null, v[108:109], v[108:109], v[110:111]
	v_div_scale_f64 v[46:47], vcc_lo, v[110:111], v[108:109], v[110:111]
	v_rcp_f64_e32 v[42:43], v[40:41]
	s_waitcnt_depctr 0xfff
	v_fma_f64 v[44:45], -v[40:41], v[42:43], 1.0
	s_delay_alu instid0(VALU_DEP_1) | instskip(NEXT) | instid1(VALU_DEP_1)
	v_fma_f64 v[42:43], v[42:43], v[44:45], v[42:43]
	v_fma_f64 v[44:45], -v[40:41], v[42:43], 1.0
	s_delay_alu instid0(VALU_DEP_1) | instskip(NEXT) | instid1(VALU_DEP_1)
	v_fma_f64 v[42:43], v[42:43], v[44:45], v[42:43]
	v_mul_f64 v[44:45], v[46:47], v[42:43]
	s_delay_alu instid0(VALU_DEP_1) | instskip(NEXT) | instid1(VALU_DEP_1)
	v_fma_f64 v[40:41], -v[40:41], v[44:45], v[46:47]
	v_div_fmas_f64 v[40:41], v[40:41], v[42:43], v[44:45]
	s_delay_alu instid0(VALU_DEP_1) | instskip(NEXT) | instid1(VALU_DEP_1)
	v_div_fixup_f64 v[40:41], v[40:41], v[108:109], v[110:111]
	v_fma_f64 v[42:43], v[110:111], v[40:41], v[108:109]
	s_delay_alu instid0(VALU_DEP_1) | instskip(NEXT) | instid1(VALU_DEP_1)
	v_div_scale_f64 v[44:45], null, v[42:43], v[42:43], 1.0
	v_rcp_f64_e32 v[46:47], v[44:45]
	s_waitcnt_depctr 0xfff
	v_fma_f64 v[100:101], -v[44:45], v[46:47], 1.0
	s_delay_alu instid0(VALU_DEP_1) | instskip(NEXT) | instid1(VALU_DEP_1)
	v_fma_f64 v[46:47], v[46:47], v[100:101], v[46:47]
	v_fma_f64 v[100:101], -v[44:45], v[46:47], 1.0
	s_delay_alu instid0(VALU_DEP_1) | instskip(SKIP_1) | instid1(VALU_DEP_1)
	v_fma_f64 v[46:47], v[46:47], v[100:101], v[46:47]
	v_div_scale_f64 v[100:101], vcc_lo, 1.0, v[42:43], 1.0
	v_mul_f64 v[102:103], v[100:101], v[46:47]
	s_delay_alu instid0(VALU_DEP_1) | instskip(NEXT) | instid1(VALU_DEP_1)
	v_fma_f64 v[44:45], -v[44:45], v[102:103], v[100:101]
	v_div_fmas_f64 v[44:45], v[44:45], v[46:47], v[102:103]
	s_delay_alu instid0(VALU_DEP_1) | instskip(NEXT) | instid1(VALU_DEP_1)
	v_div_fixup_f64 v[108:109], v[44:45], v[42:43], 1.0
	v_mul_f64 v[110:111], v[40:41], -v[108:109]
.LBB52_303:
	s_or_b32 exec_lo, exec_lo, s2
.LBB52_304:
	s_delay_alu instid0(SALU_CYCLE_1) | instskip(NEXT) | instid1(SALU_CYCLE_1)
	s_or_b32 exec_lo, exec_lo, s3
	s_mov_b32 s2, exec_lo
	v_cmpx_ne_u32_e64 v124, v116
	s_xor_b32 s2, exec_lo, s2
	s_cbranch_execz .LBB52_310
; %bb.305:
	s_mov_b32 s3, exec_lo
	v_cmpx_eq_u32_e32 14, v124
	s_cbranch_execz .LBB52_309
; %bb.306:
	v_cmp_ne_u32_e32 vcc_lo, 14, v116
	s_xor_b32 s6, s4, -1
	s_delay_alu instid0(SALU_CYCLE_1) | instskip(NEXT) | instid1(SALU_CYCLE_1)
	s_and_b32 s7, s6, vcc_lo
	s_and_saveexec_b32 s6, s7
	s_cbranch_execz .LBB52_308
; %bb.307:
	scratch_load_b64 v[44:45], off, off offset:48 ; 8-byte Folded Reload
	v_ashrrev_i32_e32 v117, 31, v116
	s_delay_alu instid0(VALU_DEP_1) | instskip(SKIP_1) | instid1(VALU_DEP_1)
	v_lshlrev_b64 v[40:41], 2, v[116:117]
	s_waitcnt vmcnt(0)
	v_add_co_u32 v40, vcc_lo, v44, v40
	s_delay_alu instid0(VALU_DEP_2)
	v_add_co_ci_u32_e32 v41, vcc_lo, v45, v41, vcc_lo
	s_clause 0x1
	flat_load_b32 v42, v[40:41]
	flat_load_b32 v43, v[44:45] offset:56
	s_waitcnt vmcnt(1) lgkmcnt(1)
	flat_store_b32 v[44:45], v42 offset:56
	s_waitcnt vmcnt(0) lgkmcnt(1)
	flat_store_b32 v[40:41], v43
.LBB52_308:
	s_or_b32 exec_lo, exec_lo, s6
	v_mov_b32_e32 v124, v116
	v_mov_b32_e32 v119, v116
.LBB52_309:
	s_or_b32 exec_lo, exec_lo, s3
.LBB52_310:
	s_and_not1_saveexec_b32 s2, s2
	s_cbranch_execz .LBB52_312
; %bb.311:
	v_mov_b32_e32 v124, 14
	ds_store_2addr_b64 v118, v[48:49], v[50:51] offset0:30 offset1:31
	ds_store_2addr_b64 v118, v[52:53], v[54:55] offset0:32 offset1:33
	;; [unrolled: 1-line block ×12, first 2 shown]
.LBB52_312:
	s_or_b32 exec_lo, exec_lo, s2
	s_delay_alu instid0(SALU_CYCLE_1)
	s_mov_b32 s2, exec_lo
	s_waitcnt lgkmcnt(0)
	s_waitcnt_vscnt null, 0x0
	s_barrier
	buffer_gl0_inv
	v_cmpx_lt_i32_e32 14, v124
	s_cbranch_execz .LBB52_314
; %bb.313:
	v_mul_f64 v[40:41], v[108:109], v[241:242]
	v_mul_f64 v[42:43], v[110:111], v[241:242]
	ds_load_2addr_b64 v[125:128], v118 offset0:30 offset1:31
	ds_load_2addr_b64 v[129:132], v118 offset0:32 offset1:33
	;; [unrolled: 1-line block ×12, first 2 shown]
	v_fma_f64 v[40:41], v[110:111], v[239:240], v[40:41]
	v_fma_f64 v[239:240], v[108:109], v[239:240], -v[42:43]
	s_waitcnt lgkmcnt(11)
	s_delay_alu instid0(VALU_DEP_2)
	v_mul_f64 v[42:43], v[127:128], v[40:41]
	v_mul_f64 v[44:45], v[125:126], v[40:41]
	s_waitcnt lgkmcnt(10)
	v_mul_f64 v[46:47], v[131:132], v[40:41]
	v_mul_f64 v[74:75], v[129:130], v[40:41]
	s_waitcnt lgkmcnt(9)
	;; [unrolled: 3-line block ×11, first 2 shown]
	v_mul_f64 v[195:196], v[171:172], v[40:41]
	v_mul_f64 v[197:198], v[169:170], v[40:41]
	v_dual_mov_b32 v242, v41 :: v_dual_mov_b32 v241, v40
	v_fma_f64 v[42:43], v[125:126], v[239:240], -v[42:43]
	v_fma_f64 v[44:45], v[127:128], v[239:240], v[44:45]
	v_fma_f64 v[46:47], v[129:130], v[239:240], -v[46:47]
	v_fma_f64 v[74:75], v[131:132], v[239:240], v[74:75]
	;; [unrolled: 2-line block ×12, first 2 shown]
	v_add_f64 v[48:49], v[48:49], -v[42:43]
	v_add_f64 v[50:51], v[50:51], -v[44:45]
	;; [unrolled: 1-line block ×24, first 2 shown]
.LBB52_314:
	s_or_b32 exec_lo, exec_lo, s2
	v_lshl_add_u32 v40, v124, 4, v118
	s_barrier
	buffer_gl0_inv
	v_mov_b32_e32 v116, 15
	ds_store_2addr_b64 v40, v[48:49], v[50:51] offset1:1
	s_waitcnt lgkmcnt(0)
	s_barrier
	buffer_gl0_inv
	ds_load_2addr_b64 v[108:111], v118 offset0:30 offset1:31
	s_cmp_lt_i32 s5, 17
	s_cbranch_scc1 .LBB52_317
; %bb.315:
	v_add3_u32 v117, v120, 0, 0x100
	v_mov_b32_e32 v116, 15
	s_mov_b32 s6, 16
	s_set_inst_prefetch_distance 0x1
	.p2align	6
.LBB52_316:                             ; =>This Inner Loop Header: Depth=1
	ds_load_2addr_b64 v[125:128], v117 offset1:1
	s_waitcnt lgkmcnt(1)
	v_cmp_gt_f64_e32 vcc_lo, 0, v[108:109]
	v_xor_b32_e32 v40, 0x80000000, v109
	v_cmp_gt_f64_e64 s2, 0, v[110:111]
	v_xor_b32_e32 v42, 0x80000000, v111
	v_add_nc_u32_e32 v117, 16, v117
	s_waitcnt lgkmcnt(0)
	v_cmp_gt_f64_e64 s3, 0, v[125:126]
	v_mov_b32_e32 v44, v125
	v_dual_mov_b32 v46, v127 :: v_dual_cndmask_b32 v41, v109, v40
	v_xor_b32_e32 v40, 0x80000000, v126
	v_cndmask_b32_e64 v43, v111, v42, s2
	v_xor_b32_e32 v42, 0x80000000, v128
	s_delay_alu instid0(VALU_DEP_3) | instskip(SKIP_2) | instid1(VALU_DEP_2)
	v_cndmask_b32_e64 v45, v126, v40, s3
	v_cmp_gt_f64_e64 s3, 0, v[127:128]
	v_cndmask_b32_e32 v40, v108, v108, vcc_lo
	v_cndmask_b32_e64 v47, v128, v42, s3
	v_cndmask_b32_e64 v42, v110, v110, s2
	s_delay_alu instid0(VALU_DEP_2) | instskip(NEXT) | instid1(VALU_DEP_2)
	v_add_f64 v[44:45], v[44:45], v[46:47]
	v_add_f64 v[40:41], v[40:41], v[42:43]
	s_delay_alu instid0(VALU_DEP_1) | instskip(SKIP_4) | instid1(SALU_CYCLE_1)
	v_cmp_lt_f64_e32 vcc_lo, v[40:41], v[44:45]
	v_dual_cndmask_b32 v109, v109, v126 :: v_dual_cndmask_b32 v108, v108, v125
	v_dual_cndmask_b32 v111, v111, v128 :: v_dual_cndmask_b32 v110, v110, v127
	v_cndmask_b32_e64 v116, v116, s6, vcc_lo
	s_add_i32 s6, s6, 1
	s_cmp_lg_u32 s5, s6
	s_cbranch_scc1 .LBB52_316
.LBB52_317:
	s_set_inst_prefetch_distance 0x2
	s_waitcnt lgkmcnt(0)
	v_cmp_eq_f64_e32 vcc_lo, 0, v[108:109]
	v_cmp_eq_f64_e64 s2, 0, v[110:111]
	s_delay_alu instid0(VALU_DEP_1) | instskip(NEXT) | instid1(SALU_CYCLE_1)
	s_and_b32 s2, vcc_lo, s2
	s_and_saveexec_b32 s3, s2
	s_delay_alu instid0(SALU_CYCLE_1)
	s_xor_b32 s2, exec_lo, s3
; %bb.318:
	v_cmp_ne_u32_e32 vcc_lo, 0, v123
	v_cndmask_b32_e32 v123, 16, v123, vcc_lo
; %bb.319:
	s_and_not1_saveexec_b32 s3, s2
	s_cbranch_execz .LBB52_325
; %bb.320:
	v_cmp_gt_f64_e32 vcc_lo, 0, v[108:109]
	v_cmp_gt_f64_e64 s2, 0, v[110:111]
	v_xor_b32_e32 v40, 0x80000000, v109
	v_xor_b32_e32 v42, 0x80000000, v111
	s_delay_alu instid0(VALU_DEP_2) | instskip(NEXT) | instid1(VALU_DEP_2)
	v_cndmask_b32_e32 v41, v109, v40, vcc_lo
	v_cndmask_b32_e64 v43, v111, v42, s2
	v_cndmask_b32_e32 v40, v108, v108, vcc_lo
	v_cndmask_b32_e64 v42, v110, v110, s2
	s_mov_b32 s2, exec_lo
	s_delay_alu instid0(VALU_DEP_1)
	v_cmpx_ngt_f64_e32 v[40:41], v[42:43]
	s_xor_b32 s2, exec_lo, s2
	s_cbranch_execz .LBB52_322
; %bb.321:
	v_div_scale_f64 v[40:41], null, v[110:111], v[110:111], v[108:109]
	v_div_scale_f64 v[46:47], vcc_lo, v[108:109], v[110:111], v[108:109]
	s_delay_alu instid0(VALU_DEP_2) | instskip(SKIP_2) | instid1(VALU_DEP_1)
	v_rcp_f64_e32 v[42:43], v[40:41]
	s_waitcnt_depctr 0xfff
	v_fma_f64 v[44:45], -v[40:41], v[42:43], 1.0
	v_fma_f64 v[42:43], v[42:43], v[44:45], v[42:43]
	s_delay_alu instid0(VALU_DEP_1) | instskip(NEXT) | instid1(VALU_DEP_1)
	v_fma_f64 v[44:45], -v[40:41], v[42:43], 1.0
	v_fma_f64 v[42:43], v[42:43], v[44:45], v[42:43]
	s_delay_alu instid0(VALU_DEP_1) | instskip(NEXT) | instid1(VALU_DEP_1)
	v_mul_f64 v[44:45], v[46:47], v[42:43]
	v_fma_f64 v[40:41], -v[40:41], v[44:45], v[46:47]
	s_delay_alu instid0(VALU_DEP_1) | instskip(NEXT) | instid1(VALU_DEP_1)
	v_div_fmas_f64 v[40:41], v[40:41], v[42:43], v[44:45]
	v_div_fixup_f64 v[40:41], v[40:41], v[110:111], v[108:109]
	s_delay_alu instid0(VALU_DEP_1) | instskip(NEXT) | instid1(VALU_DEP_1)
	v_fma_f64 v[42:43], v[108:109], v[40:41], v[110:111]
	v_div_scale_f64 v[44:45], null, v[42:43], v[42:43], 1.0
	s_delay_alu instid0(VALU_DEP_1) | instskip(SKIP_2) | instid1(VALU_DEP_1)
	v_rcp_f64_e32 v[46:47], v[44:45]
	s_waitcnt_depctr 0xfff
	v_fma_f64 v[100:101], -v[44:45], v[46:47], 1.0
	v_fma_f64 v[46:47], v[46:47], v[100:101], v[46:47]
	s_delay_alu instid0(VALU_DEP_1) | instskip(NEXT) | instid1(VALU_DEP_1)
	v_fma_f64 v[100:101], -v[44:45], v[46:47], 1.0
	v_fma_f64 v[46:47], v[46:47], v[100:101], v[46:47]
	v_div_scale_f64 v[100:101], vcc_lo, 1.0, v[42:43], 1.0
	s_delay_alu instid0(VALU_DEP_1) | instskip(NEXT) | instid1(VALU_DEP_1)
	v_mul_f64 v[102:103], v[100:101], v[46:47]
	v_fma_f64 v[44:45], -v[44:45], v[102:103], v[100:101]
	s_delay_alu instid0(VALU_DEP_1) | instskip(NEXT) | instid1(VALU_DEP_1)
	v_div_fmas_f64 v[44:45], v[44:45], v[46:47], v[102:103]
	v_div_fixup_f64 v[110:111], v[44:45], v[42:43], 1.0
	s_delay_alu instid0(VALU_DEP_1)
	v_mul_f64 v[108:109], v[40:41], v[110:111]
	v_xor_b32_e32 v111, 0x80000000, v111
.LBB52_322:
	s_and_not1_saveexec_b32 s2, s2
	s_cbranch_execz .LBB52_324
; %bb.323:
	s_delay_alu instid0(VALU_DEP_1) | instskip(SKIP_1) | instid1(VALU_DEP_2)
	v_div_scale_f64 v[40:41], null, v[108:109], v[108:109], v[110:111]
	v_div_scale_f64 v[46:47], vcc_lo, v[110:111], v[108:109], v[110:111]
	v_rcp_f64_e32 v[42:43], v[40:41]
	s_waitcnt_depctr 0xfff
	v_fma_f64 v[44:45], -v[40:41], v[42:43], 1.0
	s_delay_alu instid0(VALU_DEP_1) | instskip(NEXT) | instid1(VALU_DEP_1)
	v_fma_f64 v[42:43], v[42:43], v[44:45], v[42:43]
	v_fma_f64 v[44:45], -v[40:41], v[42:43], 1.0
	s_delay_alu instid0(VALU_DEP_1) | instskip(NEXT) | instid1(VALU_DEP_1)
	v_fma_f64 v[42:43], v[42:43], v[44:45], v[42:43]
	v_mul_f64 v[44:45], v[46:47], v[42:43]
	s_delay_alu instid0(VALU_DEP_1) | instskip(NEXT) | instid1(VALU_DEP_1)
	v_fma_f64 v[40:41], -v[40:41], v[44:45], v[46:47]
	v_div_fmas_f64 v[40:41], v[40:41], v[42:43], v[44:45]
	s_delay_alu instid0(VALU_DEP_1) | instskip(NEXT) | instid1(VALU_DEP_1)
	v_div_fixup_f64 v[40:41], v[40:41], v[108:109], v[110:111]
	v_fma_f64 v[42:43], v[110:111], v[40:41], v[108:109]
	s_delay_alu instid0(VALU_DEP_1) | instskip(NEXT) | instid1(VALU_DEP_1)
	v_div_scale_f64 v[44:45], null, v[42:43], v[42:43], 1.0
	v_rcp_f64_e32 v[46:47], v[44:45]
	s_waitcnt_depctr 0xfff
	v_fma_f64 v[100:101], -v[44:45], v[46:47], 1.0
	s_delay_alu instid0(VALU_DEP_1) | instskip(NEXT) | instid1(VALU_DEP_1)
	v_fma_f64 v[46:47], v[46:47], v[100:101], v[46:47]
	v_fma_f64 v[100:101], -v[44:45], v[46:47], 1.0
	s_delay_alu instid0(VALU_DEP_1) | instskip(SKIP_1) | instid1(VALU_DEP_1)
	v_fma_f64 v[46:47], v[46:47], v[100:101], v[46:47]
	v_div_scale_f64 v[100:101], vcc_lo, 1.0, v[42:43], 1.0
	v_mul_f64 v[102:103], v[100:101], v[46:47]
	s_delay_alu instid0(VALU_DEP_1) | instskip(NEXT) | instid1(VALU_DEP_1)
	v_fma_f64 v[44:45], -v[44:45], v[102:103], v[100:101]
	v_div_fmas_f64 v[44:45], v[44:45], v[46:47], v[102:103]
	s_delay_alu instid0(VALU_DEP_1) | instskip(NEXT) | instid1(VALU_DEP_1)
	v_div_fixup_f64 v[108:109], v[44:45], v[42:43], 1.0
	v_mul_f64 v[110:111], v[40:41], -v[108:109]
.LBB52_324:
	s_or_b32 exec_lo, exec_lo, s2
.LBB52_325:
	s_delay_alu instid0(SALU_CYCLE_1) | instskip(NEXT) | instid1(SALU_CYCLE_1)
	s_or_b32 exec_lo, exec_lo, s3
	s_mov_b32 s2, exec_lo
	v_cmpx_ne_u32_e64 v124, v116
	s_xor_b32 s2, exec_lo, s2
	s_cbranch_execz .LBB52_331
; %bb.326:
	s_mov_b32 s3, exec_lo
	v_cmpx_eq_u32_e32 15, v124
	s_cbranch_execz .LBB52_330
; %bb.327:
	v_cmp_ne_u32_e32 vcc_lo, 15, v116
	s_xor_b32 s6, s4, -1
	s_delay_alu instid0(SALU_CYCLE_1) | instskip(NEXT) | instid1(SALU_CYCLE_1)
	s_and_b32 s7, s6, vcc_lo
	s_and_saveexec_b32 s6, s7
	s_cbranch_execz .LBB52_329
; %bb.328:
	scratch_load_b64 v[44:45], off, off offset:48 ; 8-byte Folded Reload
	v_ashrrev_i32_e32 v117, 31, v116
	s_delay_alu instid0(VALU_DEP_1) | instskip(SKIP_1) | instid1(VALU_DEP_1)
	v_lshlrev_b64 v[40:41], 2, v[116:117]
	s_waitcnt vmcnt(0)
	v_add_co_u32 v40, vcc_lo, v44, v40
	s_delay_alu instid0(VALU_DEP_2)
	v_add_co_ci_u32_e32 v41, vcc_lo, v45, v41, vcc_lo
	s_clause 0x1
	flat_load_b32 v42, v[40:41]
	flat_load_b32 v43, v[44:45] offset:60
	s_waitcnt vmcnt(1) lgkmcnt(1)
	flat_store_b32 v[44:45], v42 offset:60
	s_waitcnt vmcnt(0) lgkmcnt(1)
	flat_store_b32 v[40:41], v43
.LBB52_329:
	s_or_b32 exec_lo, exec_lo, s6
	v_mov_b32_e32 v124, v116
	v_mov_b32_e32 v119, v116
.LBB52_330:
	s_or_b32 exec_lo, exec_lo, s3
.LBB52_331:
	s_and_not1_saveexec_b32 s2, s2
	s_cbranch_execz .LBB52_333
; %bb.332:
	v_mov_b32_e32 v124, 15
	ds_store_2addr_b64 v118, v[52:53], v[54:55] offset0:32 offset1:33
	ds_store_2addr_b64 v118, v[36:37], v[38:39] offset0:34 offset1:35
	;; [unrolled: 1-line block ×11, first 2 shown]
.LBB52_333:
	s_or_b32 exec_lo, exec_lo, s2
	s_delay_alu instid0(SALU_CYCLE_1)
	s_mov_b32 s2, exec_lo
	s_waitcnt lgkmcnt(0)
	s_waitcnt_vscnt null, 0x0
	s_barrier
	buffer_gl0_inv
	v_cmpx_lt_i32_e32 15, v124
	s_cbranch_execz .LBB52_335
; %bb.334:
	v_mul_f64 v[40:41], v[108:109], v[50:51]
	v_mul_f64 v[42:43], v[110:111], v[50:51]
	ds_load_2addr_b64 v[125:128], v118 offset0:32 offset1:33
	ds_load_2addr_b64 v[129:132], v118 offset0:34 offset1:35
	;; [unrolled: 1-line block ×11, first 2 shown]
	v_fma_f64 v[40:41], v[110:111], v[48:49], v[40:41]
	v_fma_f64 v[48:49], v[108:109], v[48:49], -v[42:43]
	s_waitcnt lgkmcnt(10)
	s_delay_alu instid0(VALU_DEP_2)
	v_mul_f64 v[42:43], v[127:128], v[40:41]
	v_mul_f64 v[44:45], v[125:126], v[40:41]
	s_waitcnt lgkmcnt(9)
	v_mul_f64 v[46:47], v[131:132], v[40:41]
	v_mul_f64 v[50:51], v[129:130], v[40:41]
	s_waitcnt lgkmcnt(8)
	;; [unrolled: 3-line block ×10, first 2 shown]
	v_mul_f64 v[187:188], v[167:168], v[40:41]
	v_mul_f64 v[189:190], v[165:166], v[40:41]
	v_fma_f64 v[42:43], v[125:126], v[48:49], -v[42:43]
	v_fma_f64 v[44:45], v[127:128], v[48:49], v[44:45]
	v_fma_f64 v[46:47], v[129:130], v[48:49], -v[46:47]
	v_fma_f64 v[50:51], v[131:132], v[48:49], v[50:51]
	;; [unrolled: 2-line block ×11, first 2 shown]
	v_add_f64 v[52:53], v[52:53], -v[42:43]
	v_add_f64 v[54:55], v[54:55], -v[44:45]
	;; [unrolled: 1-line block ×22, first 2 shown]
	v_dual_mov_b32 v51, v41 :: v_dual_mov_b32 v50, v40
.LBB52_335:
	s_or_b32 exec_lo, exec_lo, s2
	v_lshl_add_u32 v40, v124, 4, v118
	s_barrier
	buffer_gl0_inv
	v_mov_b32_e32 v116, 16
	ds_store_2addr_b64 v40, v[52:53], v[54:55] offset1:1
	s_waitcnt lgkmcnt(0)
	s_barrier
	buffer_gl0_inv
	ds_load_2addr_b64 v[108:111], v118 offset0:32 offset1:33
	s_cmp_lt_i32 s5, 18
	s_cbranch_scc1 .LBB52_338
; %bb.336:
	v_add3_u32 v117, v120, 0, 0x110
	v_mov_b32_e32 v116, 16
	s_mov_b32 s6, 17
	s_set_inst_prefetch_distance 0x1
	.p2align	6
.LBB52_337:                             ; =>This Inner Loop Header: Depth=1
	ds_load_2addr_b64 v[125:128], v117 offset1:1
	s_waitcnt lgkmcnt(1)
	v_cmp_gt_f64_e32 vcc_lo, 0, v[108:109]
	v_xor_b32_e32 v40, 0x80000000, v109
	v_cmp_gt_f64_e64 s2, 0, v[110:111]
	v_xor_b32_e32 v42, 0x80000000, v111
	v_add_nc_u32_e32 v117, 16, v117
	s_waitcnt lgkmcnt(0)
	v_cmp_gt_f64_e64 s3, 0, v[125:126]
	v_mov_b32_e32 v44, v125
	v_dual_mov_b32 v46, v127 :: v_dual_cndmask_b32 v41, v109, v40
	v_xor_b32_e32 v40, 0x80000000, v126
	v_cndmask_b32_e64 v43, v111, v42, s2
	v_xor_b32_e32 v42, 0x80000000, v128
	s_delay_alu instid0(VALU_DEP_3) | instskip(SKIP_2) | instid1(VALU_DEP_2)
	v_cndmask_b32_e64 v45, v126, v40, s3
	v_cmp_gt_f64_e64 s3, 0, v[127:128]
	v_cndmask_b32_e32 v40, v108, v108, vcc_lo
	v_cndmask_b32_e64 v47, v128, v42, s3
	v_cndmask_b32_e64 v42, v110, v110, s2
	s_delay_alu instid0(VALU_DEP_2) | instskip(NEXT) | instid1(VALU_DEP_2)
	v_add_f64 v[44:45], v[44:45], v[46:47]
	v_add_f64 v[40:41], v[40:41], v[42:43]
	s_delay_alu instid0(VALU_DEP_1) | instskip(SKIP_4) | instid1(SALU_CYCLE_1)
	v_cmp_lt_f64_e32 vcc_lo, v[40:41], v[44:45]
	v_dual_cndmask_b32 v109, v109, v126 :: v_dual_cndmask_b32 v108, v108, v125
	v_dual_cndmask_b32 v111, v111, v128 :: v_dual_cndmask_b32 v110, v110, v127
	v_cndmask_b32_e64 v116, v116, s6, vcc_lo
	s_add_i32 s6, s6, 1
	s_cmp_lg_u32 s5, s6
	s_cbranch_scc1 .LBB52_337
.LBB52_338:
	s_set_inst_prefetch_distance 0x2
	s_waitcnt lgkmcnt(0)
	v_cmp_eq_f64_e32 vcc_lo, 0, v[108:109]
	v_cmp_eq_f64_e64 s2, 0, v[110:111]
	s_delay_alu instid0(VALU_DEP_1) | instskip(NEXT) | instid1(SALU_CYCLE_1)
	s_and_b32 s2, vcc_lo, s2
	s_and_saveexec_b32 s3, s2
	s_delay_alu instid0(SALU_CYCLE_1)
	s_xor_b32 s2, exec_lo, s3
; %bb.339:
	v_cmp_ne_u32_e32 vcc_lo, 0, v123
	v_cndmask_b32_e32 v123, 17, v123, vcc_lo
; %bb.340:
	s_and_not1_saveexec_b32 s3, s2
	s_cbranch_execz .LBB52_346
; %bb.341:
	v_cmp_gt_f64_e32 vcc_lo, 0, v[108:109]
	v_cmp_gt_f64_e64 s2, 0, v[110:111]
	v_xor_b32_e32 v40, 0x80000000, v109
	v_xor_b32_e32 v42, 0x80000000, v111
	s_delay_alu instid0(VALU_DEP_2) | instskip(NEXT) | instid1(VALU_DEP_2)
	v_cndmask_b32_e32 v41, v109, v40, vcc_lo
	v_cndmask_b32_e64 v43, v111, v42, s2
	v_cndmask_b32_e32 v40, v108, v108, vcc_lo
	v_cndmask_b32_e64 v42, v110, v110, s2
	s_mov_b32 s2, exec_lo
	s_delay_alu instid0(VALU_DEP_1)
	v_cmpx_ngt_f64_e32 v[40:41], v[42:43]
	s_xor_b32 s2, exec_lo, s2
	s_cbranch_execz .LBB52_343
; %bb.342:
	v_div_scale_f64 v[40:41], null, v[110:111], v[110:111], v[108:109]
	v_div_scale_f64 v[46:47], vcc_lo, v[108:109], v[110:111], v[108:109]
	s_delay_alu instid0(VALU_DEP_2) | instskip(SKIP_2) | instid1(VALU_DEP_1)
	v_rcp_f64_e32 v[42:43], v[40:41]
	s_waitcnt_depctr 0xfff
	v_fma_f64 v[44:45], -v[40:41], v[42:43], 1.0
	v_fma_f64 v[42:43], v[42:43], v[44:45], v[42:43]
	s_delay_alu instid0(VALU_DEP_1) | instskip(NEXT) | instid1(VALU_DEP_1)
	v_fma_f64 v[44:45], -v[40:41], v[42:43], 1.0
	v_fma_f64 v[42:43], v[42:43], v[44:45], v[42:43]
	s_delay_alu instid0(VALU_DEP_1) | instskip(NEXT) | instid1(VALU_DEP_1)
	v_mul_f64 v[44:45], v[46:47], v[42:43]
	v_fma_f64 v[40:41], -v[40:41], v[44:45], v[46:47]
	s_delay_alu instid0(VALU_DEP_1) | instskip(NEXT) | instid1(VALU_DEP_1)
	v_div_fmas_f64 v[40:41], v[40:41], v[42:43], v[44:45]
	v_div_fixup_f64 v[40:41], v[40:41], v[110:111], v[108:109]
	s_delay_alu instid0(VALU_DEP_1) | instskip(NEXT) | instid1(VALU_DEP_1)
	v_fma_f64 v[42:43], v[108:109], v[40:41], v[110:111]
	v_div_scale_f64 v[44:45], null, v[42:43], v[42:43], 1.0
	s_delay_alu instid0(VALU_DEP_1) | instskip(SKIP_2) | instid1(VALU_DEP_1)
	v_rcp_f64_e32 v[46:47], v[44:45]
	s_waitcnt_depctr 0xfff
	v_fma_f64 v[100:101], -v[44:45], v[46:47], 1.0
	v_fma_f64 v[46:47], v[46:47], v[100:101], v[46:47]
	s_delay_alu instid0(VALU_DEP_1) | instskip(NEXT) | instid1(VALU_DEP_1)
	v_fma_f64 v[100:101], -v[44:45], v[46:47], 1.0
	v_fma_f64 v[46:47], v[46:47], v[100:101], v[46:47]
	v_div_scale_f64 v[100:101], vcc_lo, 1.0, v[42:43], 1.0
	s_delay_alu instid0(VALU_DEP_1) | instskip(NEXT) | instid1(VALU_DEP_1)
	v_mul_f64 v[102:103], v[100:101], v[46:47]
	v_fma_f64 v[44:45], -v[44:45], v[102:103], v[100:101]
	s_delay_alu instid0(VALU_DEP_1) | instskip(NEXT) | instid1(VALU_DEP_1)
	v_div_fmas_f64 v[44:45], v[44:45], v[46:47], v[102:103]
	v_div_fixup_f64 v[110:111], v[44:45], v[42:43], 1.0
	s_delay_alu instid0(VALU_DEP_1)
	v_mul_f64 v[108:109], v[40:41], v[110:111]
	v_xor_b32_e32 v111, 0x80000000, v111
.LBB52_343:
	s_and_not1_saveexec_b32 s2, s2
	s_cbranch_execz .LBB52_345
; %bb.344:
	s_delay_alu instid0(VALU_DEP_1) | instskip(SKIP_1) | instid1(VALU_DEP_2)
	v_div_scale_f64 v[40:41], null, v[108:109], v[108:109], v[110:111]
	v_div_scale_f64 v[46:47], vcc_lo, v[110:111], v[108:109], v[110:111]
	v_rcp_f64_e32 v[42:43], v[40:41]
	s_waitcnt_depctr 0xfff
	v_fma_f64 v[44:45], -v[40:41], v[42:43], 1.0
	s_delay_alu instid0(VALU_DEP_1) | instskip(NEXT) | instid1(VALU_DEP_1)
	v_fma_f64 v[42:43], v[42:43], v[44:45], v[42:43]
	v_fma_f64 v[44:45], -v[40:41], v[42:43], 1.0
	s_delay_alu instid0(VALU_DEP_1) | instskip(NEXT) | instid1(VALU_DEP_1)
	v_fma_f64 v[42:43], v[42:43], v[44:45], v[42:43]
	v_mul_f64 v[44:45], v[46:47], v[42:43]
	s_delay_alu instid0(VALU_DEP_1) | instskip(NEXT) | instid1(VALU_DEP_1)
	v_fma_f64 v[40:41], -v[40:41], v[44:45], v[46:47]
	v_div_fmas_f64 v[40:41], v[40:41], v[42:43], v[44:45]
	s_delay_alu instid0(VALU_DEP_1) | instskip(NEXT) | instid1(VALU_DEP_1)
	v_div_fixup_f64 v[40:41], v[40:41], v[108:109], v[110:111]
	v_fma_f64 v[42:43], v[110:111], v[40:41], v[108:109]
	s_delay_alu instid0(VALU_DEP_1) | instskip(NEXT) | instid1(VALU_DEP_1)
	v_div_scale_f64 v[44:45], null, v[42:43], v[42:43], 1.0
	v_rcp_f64_e32 v[46:47], v[44:45]
	s_waitcnt_depctr 0xfff
	v_fma_f64 v[100:101], -v[44:45], v[46:47], 1.0
	s_delay_alu instid0(VALU_DEP_1) | instskip(NEXT) | instid1(VALU_DEP_1)
	v_fma_f64 v[46:47], v[46:47], v[100:101], v[46:47]
	v_fma_f64 v[100:101], -v[44:45], v[46:47], 1.0
	s_delay_alu instid0(VALU_DEP_1) | instskip(SKIP_1) | instid1(VALU_DEP_1)
	v_fma_f64 v[46:47], v[46:47], v[100:101], v[46:47]
	v_div_scale_f64 v[100:101], vcc_lo, 1.0, v[42:43], 1.0
	v_mul_f64 v[102:103], v[100:101], v[46:47]
	s_delay_alu instid0(VALU_DEP_1) | instskip(NEXT) | instid1(VALU_DEP_1)
	v_fma_f64 v[44:45], -v[44:45], v[102:103], v[100:101]
	v_div_fmas_f64 v[44:45], v[44:45], v[46:47], v[102:103]
	s_delay_alu instid0(VALU_DEP_1) | instskip(NEXT) | instid1(VALU_DEP_1)
	v_div_fixup_f64 v[108:109], v[44:45], v[42:43], 1.0
	v_mul_f64 v[110:111], v[40:41], -v[108:109]
.LBB52_345:
	s_or_b32 exec_lo, exec_lo, s2
.LBB52_346:
	s_delay_alu instid0(SALU_CYCLE_1) | instskip(NEXT) | instid1(SALU_CYCLE_1)
	s_or_b32 exec_lo, exec_lo, s3
	s_mov_b32 s2, exec_lo
	v_cmpx_ne_u32_e64 v124, v116
	s_xor_b32 s2, exec_lo, s2
	s_cbranch_execz .LBB52_352
; %bb.347:
	s_mov_b32 s3, exec_lo
	v_cmpx_eq_u32_e32 16, v124
	s_cbranch_execz .LBB52_351
; %bb.348:
	v_cmp_ne_u32_e32 vcc_lo, 16, v116
	s_xor_b32 s6, s4, -1
	s_delay_alu instid0(SALU_CYCLE_1) | instskip(NEXT) | instid1(SALU_CYCLE_1)
	s_and_b32 s7, s6, vcc_lo
	s_and_saveexec_b32 s6, s7
	s_cbranch_execz .LBB52_350
; %bb.349:
	scratch_load_b64 v[44:45], off, off offset:48 ; 8-byte Folded Reload
	v_ashrrev_i32_e32 v117, 31, v116
	s_delay_alu instid0(VALU_DEP_1) | instskip(SKIP_1) | instid1(VALU_DEP_1)
	v_lshlrev_b64 v[40:41], 2, v[116:117]
	s_waitcnt vmcnt(0)
	v_add_co_u32 v40, vcc_lo, v44, v40
	s_delay_alu instid0(VALU_DEP_2)
	v_add_co_ci_u32_e32 v41, vcc_lo, v45, v41, vcc_lo
	s_clause 0x1
	flat_load_b32 v42, v[40:41]
	flat_load_b32 v43, v[44:45] offset:64
	s_waitcnt vmcnt(1) lgkmcnt(1)
	flat_store_b32 v[44:45], v42 offset:64
	s_waitcnt vmcnt(0) lgkmcnt(1)
	flat_store_b32 v[40:41], v43
.LBB52_350:
	s_or_b32 exec_lo, exec_lo, s6
	v_mov_b32_e32 v124, v116
	v_mov_b32_e32 v119, v116
.LBB52_351:
	s_or_b32 exec_lo, exec_lo, s3
.LBB52_352:
	s_and_not1_saveexec_b32 s2, s2
	s_cbranch_execz .LBB52_354
; %bb.353:
	v_mov_b32_e32 v124, 16
	ds_store_2addr_b64 v118, v[36:37], v[38:39] offset0:34 offset1:35
	ds_store_2addr_b64 v118, v[32:33], v[34:35] offset0:36 offset1:37
	;; [unrolled: 1-line block ×10, first 2 shown]
.LBB52_354:
	s_or_b32 exec_lo, exec_lo, s2
	s_delay_alu instid0(SALU_CYCLE_1)
	s_mov_b32 s2, exec_lo
	s_waitcnt lgkmcnt(0)
	s_waitcnt_vscnt null, 0x0
	s_barrier
	buffer_gl0_inv
	v_cmpx_lt_i32_e32 16, v124
	s_cbranch_execz .LBB52_356
; %bb.355:
	v_mul_f64 v[40:41], v[108:109], v[54:55]
	v_mul_f64 v[42:43], v[110:111], v[54:55]
	ds_load_2addr_b64 v[125:128], v118 offset0:34 offset1:35
	ds_load_2addr_b64 v[129:132], v118 offset0:36 offset1:37
	;; [unrolled: 1-line block ×10, first 2 shown]
	v_fma_f64 v[40:41], v[110:111], v[52:53], v[40:41]
	v_fma_f64 v[52:53], v[108:109], v[52:53], -v[42:43]
	s_waitcnt lgkmcnt(9)
	s_delay_alu instid0(VALU_DEP_2)
	v_mul_f64 v[42:43], v[127:128], v[40:41]
	v_mul_f64 v[44:45], v[125:126], v[40:41]
	s_waitcnt lgkmcnt(8)
	v_mul_f64 v[46:47], v[131:132], v[40:41]
	v_mul_f64 v[54:55], v[129:130], v[40:41]
	s_waitcnt lgkmcnt(7)
	;; [unrolled: 3-line block ×9, first 2 shown]
	v_mul_f64 v[179:180], v[163:164], v[40:41]
	v_mul_f64 v[181:182], v[161:162], v[40:41]
	v_fma_f64 v[42:43], v[125:126], v[52:53], -v[42:43]
	v_fma_f64 v[44:45], v[127:128], v[52:53], v[44:45]
	v_fma_f64 v[46:47], v[129:130], v[52:53], -v[46:47]
	v_fma_f64 v[54:55], v[131:132], v[52:53], v[54:55]
	;; [unrolled: 2-line block ×10, first 2 shown]
	v_add_f64 v[36:37], v[36:37], -v[42:43]
	v_add_f64 v[38:39], v[38:39], -v[44:45]
	;; [unrolled: 1-line block ×20, first 2 shown]
	v_dual_mov_b32 v55, v41 :: v_dual_mov_b32 v54, v40
.LBB52_356:
	s_or_b32 exec_lo, exec_lo, s2
	v_lshl_add_u32 v40, v124, 4, v118
	s_barrier
	buffer_gl0_inv
	v_mov_b32_e32 v116, 17
	ds_store_2addr_b64 v40, v[36:37], v[38:39] offset1:1
	s_waitcnt lgkmcnt(0)
	s_barrier
	buffer_gl0_inv
	ds_load_2addr_b64 v[108:111], v118 offset0:34 offset1:35
	s_cmp_lt_i32 s5, 19
	s_cbranch_scc1 .LBB52_359
; %bb.357:
	v_add3_u32 v117, v120, 0, 0x120
	v_mov_b32_e32 v116, 17
	s_mov_b32 s6, 18
	s_set_inst_prefetch_distance 0x1
	.p2align	6
.LBB52_358:                             ; =>This Inner Loop Header: Depth=1
	ds_load_2addr_b64 v[125:128], v117 offset1:1
	s_waitcnt lgkmcnt(1)
	v_cmp_gt_f64_e32 vcc_lo, 0, v[108:109]
	v_xor_b32_e32 v40, 0x80000000, v109
	v_cmp_gt_f64_e64 s2, 0, v[110:111]
	v_xor_b32_e32 v42, 0x80000000, v111
	v_add_nc_u32_e32 v117, 16, v117
	s_waitcnt lgkmcnt(0)
	v_cmp_gt_f64_e64 s3, 0, v[125:126]
	v_mov_b32_e32 v44, v125
	v_dual_mov_b32 v46, v127 :: v_dual_cndmask_b32 v41, v109, v40
	v_xor_b32_e32 v40, 0x80000000, v126
	v_cndmask_b32_e64 v43, v111, v42, s2
	v_xor_b32_e32 v42, 0x80000000, v128
	s_delay_alu instid0(VALU_DEP_3) | instskip(SKIP_2) | instid1(VALU_DEP_2)
	v_cndmask_b32_e64 v45, v126, v40, s3
	v_cmp_gt_f64_e64 s3, 0, v[127:128]
	v_cndmask_b32_e32 v40, v108, v108, vcc_lo
	v_cndmask_b32_e64 v47, v128, v42, s3
	v_cndmask_b32_e64 v42, v110, v110, s2
	s_delay_alu instid0(VALU_DEP_2) | instskip(NEXT) | instid1(VALU_DEP_2)
	v_add_f64 v[44:45], v[44:45], v[46:47]
	v_add_f64 v[40:41], v[40:41], v[42:43]
	s_delay_alu instid0(VALU_DEP_1) | instskip(SKIP_4) | instid1(SALU_CYCLE_1)
	v_cmp_lt_f64_e32 vcc_lo, v[40:41], v[44:45]
	v_dual_cndmask_b32 v109, v109, v126 :: v_dual_cndmask_b32 v108, v108, v125
	v_dual_cndmask_b32 v111, v111, v128 :: v_dual_cndmask_b32 v110, v110, v127
	v_cndmask_b32_e64 v116, v116, s6, vcc_lo
	s_add_i32 s6, s6, 1
	s_cmp_lg_u32 s5, s6
	s_cbranch_scc1 .LBB52_358
.LBB52_359:
	s_set_inst_prefetch_distance 0x2
	s_waitcnt lgkmcnt(0)
	v_cmp_eq_f64_e32 vcc_lo, 0, v[108:109]
	v_cmp_eq_f64_e64 s2, 0, v[110:111]
	s_delay_alu instid0(VALU_DEP_1) | instskip(NEXT) | instid1(SALU_CYCLE_1)
	s_and_b32 s2, vcc_lo, s2
	s_and_saveexec_b32 s3, s2
	s_delay_alu instid0(SALU_CYCLE_1)
	s_xor_b32 s2, exec_lo, s3
; %bb.360:
	v_cmp_ne_u32_e32 vcc_lo, 0, v123
	v_cndmask_b32_e32 v123, 18, v123, vcc_lo
; %bb.361:
	s_and_not1_saveexec_b32 s3, s2
	s_cbranch_execz .LBB52_367
; %bb.362:
	v_cmp_gt_f64_e32 vcc_lo, 0, v[108:109]
	v_cmp_gt_f64_e64 s2, 0, v[110:111]
	v_xor_b32_e32 v40, 0x80000000, v109
	v_xor_b32_e32 v42, 0x80000000, v111
	s_delay_alu instid0(VALU_DEP_2) | instskip(NEXT) | instid1(VALU_DEP_2)
	v_cndmask_b32_e32 v41, v109, v40, vcc_lo
	v_cndmask_b32_e64 v43, v111, v42, s2
	v_cndmask_b32_e32 v40, v108, v108, vcc_lo
	v_cndmask_b32_e64 v42, v110, v110, s2
	s_mov_b32 s2, exec_lo
	s_delay_alu instid0(VALU_DEP_1)
	v_cmpx_ngt_f64_e32 v[40:41], v[42:43]
	s_xor_b32 s2, exec_lo, s2
	s_cbranch_execz .LBB52_364
; %bb.363:
	v_div_scale_f64 v[40:41], null, v[110:111], v[110:111], v[108:109]
	v_div_scale_f64 v[46:47], vcc_lo, v[108:109], v[110:111], v[108:109]
	s_delay_alu instid0(VALU_DEP_2) | instskip(SKIP_2) | instid1(VALU_DEP_1)
	v_rcp_f64_e32 v[42:43], v[40:41]
	s_waitcnt_depctr 0xfff
	v_fma_f64 v[44:45], -v[40:41], v[42:43], 1.0
	v_fma_f64 v[42:43], v[42:43], v[44:45], v[42:43]
	s_delay_alu instid0(VALU_DEP_1) | instskip(NEXT) | instid1(VALU_DEP_1)
	v_fma_f64 v[44:45], -v[40:41], v[42:43], 1.0
	v_fma_f64 v[42:43], v[42:43], v[44:45], v[42:43]
	s_delay_alu instid0(VALU_DEP_1) | instskip(NEXT) | instid1(VALU_DEP_1)
	v_mul_f64 v[44:45], v[46:47], v[42:43]
	v_fma_f64 v[40:41], -v[40:41], v[44:45], v[46:47]
	s_delay_alu instid0(VALU_DEP_1) | instskip(NEXT) | instid1(VALU_DEP_1)
	v_div_fmas_f64 v[40:41], v[40:41], v[42:43], v[44:45]
	v_div_fixup_f64 v[40:41], v[40:41], v[110:111], v[108:109]
	s_delay_alu instid0(VALU_DEP_1) | instskip(NEXT) | instid1(VALU_DEP_1)
	v_fma_f64 v[42:43], v[108:109], v[40:41], v[110:111]
	v_div_scale_f64 v[44:45], null, v[42:43], v[42:43], 1.0
	s_delay_alu instid0(VALU_DEP_1) | instskip(SKIP_2) | instid1(VALU_DEP_1)
	v_rcp_f64_e32 v[46:47], v[44:45]
	s_waitcnt_depctr 0xfff
	v_fma_f64 v[100:101], -v[44:45], v[46:47], 1.0
	v_fma_f64 v[46:47], v[46:47], v[100:101], v[46:47]
	s_delay_alu instid0(VALU_DEP_1) | instskip(NEXT) | instid1(VALU_DEP_1)
	v_fma_f64 v[100:101], -v[44:45], v[46:47], 1.0
	v_fma_f64 v[46:47], v[46:47], v[100:101], v[46:47]
	v_div_scale_f64 v[100:101], vcc_lo, 1.0, v[42:43], 1.0
	s_delay_alu instid0(VALU_DEP_1) | instskip(NEXT) | instid1(VALU_DEP_1)
	v_mul_f64 v[102:103], v[100:101], v[46:47]
	v_fma_f64 v[44:45], -v[44:45], v[102:103], v[100:101]
	s_delay_alu instid0(VALU_DEP_1) | instskip(NEXT) | instid1(VALU_DEP_1)
	v_div_fmas_f64 v[44:45], v[44:45], v[46:47], v[102:103]
	v_div_fixup_f64 v[110:111], v[44:45], v[42:43], 1.0
	s_delay_alu instid0(VALU_DEP_1)
	v_mul_f64 v[108:109], v[40:41], v[110:111]
	v_xor_b32_e32 v111, 0x80000000, v111
.LBB52_364:
	s_and_not1_saveexec_b32 s2, s2
	s_cbranch_execz .LBB52_366
; %bb.365:
	s_delay_alu instid0(VALU_DEP_1) | instskip(SKIP_1) | instid1(VALU_DEP_2)
	v_div_scale_f64 v[40:41], null, v[108:109], v[108:109], v[110:111]
	v_div_scale_f64 v[46:47], vcc_lo, v[110:111], v[108:109], v[110:111]
	v_rcp_f64_e32 v[42:43], v[40:41]
	s_waitcnt_depctr 0xfff
	v_fma_f64 v[44:45], -v[40:41], v[42:43], 1.0
	s_delay_alu instid0(VALU_DEP_1) | instskip(NEXT) | instid1(VALU_DEP_1)
	v_fma_f64 v[42:43], v[42:43], v[44:45], v[42:43]
	v_fma_f64 v[44:45], -v[40:41], v[42:43], 1.0
	s_delay_alu instid0(VALU_DEP_1) | instskip(NEXT) | instid1(VALU_DEP_1)
	v_fma_f64 v[42:43], v[42:43], v[44:45], v[42:43]
	v_mul_f64 v[44:45], v[46:47], v[42:43]
	s_delay_alu instid0(VALU_DEP_1) | instskip(NEXT) | instid1(VALU_DEP_1)
	v_fma_f64 v[40:41], -v[40:41], v[44:45], v[46:47]
	v_div_fmas_f64 v[40:41], v[40:41], v[42:43], v[44:45]
	s_delay_alu instid0(VALU_DEP_1) | instskip(NEXT) | instid1(VALU_DEP_1)
	v_div_fixup_f64 v[40:41], v[40:41], v[108:109], v[110:111]
	v_fma_f64 v[42:43], v[110:111], v[40:41], v[108:109]
	s_delay_alu instid0(VALU_DEP_1) | instskip(NEXT) | instid1(VALU_DEP_1)
	v_div_scale_f64 v[44:45], null, v[42:43], v[42:43], 1.0
	v_rcp_f64_e32 v[46:47], v[44:45]
	s_waitcnt_depctr 0xfff
	v_fma_f64 v[100:101], -v[44:45], v[46:47], 1.0
	s_delay_alu instid0(VALU_DEP_1) | instskip(NEXT) | instid1(VALU_DEP_1)
	v_fma_f64 v[46:47], v[46:47], v[100:101], v[46:47]
	v_fma_f64 v[100:101], -v[44:45], v[46:47], 1.0
	s_delay_alu instid0(VALU_DEP_1) | instskip(SKIP_1) | instid1(VALU_DEP_1)
	v_fma_f64 v[46:47], v[46:47], v[100:101], v[46:47]
	v_div_scale_f64 v[100:101], vcc_lo, 1.0, v[42:43], 1.0
	v_mul_f64 v[102:103], v[100:101], v[46:47]
	s_delay_alu instid0(VALU_DEP_1) | instskip(NEXT) | instid1(VALU_DEP_1)
	v_fma_f64 v[44:45], -v[44:45], v[102:103], v[100:101]
	v_div_fmas_f64 v[44:45], v[44:45], v[46:47], v[102:103]
	s_delay_alu instid0(VALU_DEP_1) | instskip(NEXT) | instid1(VALU_DEP_1)
	v_div_fixup_f64 v[108:109], v[44:45], v[42:43], 1.0
	v_mul_f64 v[110:111], v[40:41], -v[108:109]
.LBB52_366:
	s_or_b32 exec_lo, exec_lo, s2
.LBB52_367:
	s_delay_alu instid0(SALU_CYCLE_1) | instskip(NEXT) | instid1(SALU_CYCLE_1)
	s_or_b32 exec_lo, exec_lo, s3
	s_mov_b32 s2, exec_lo
	v_cmpx_ne_u32_e64 v124, v116
	s_xor_b32 s2, exec_lo, s2
	s_cbranch_execz .LBB52_373
; %bb.368:
	s_mov_b32 s3, exec_lo
	v_cmpx_eq_u32_e32 17, v124
	s_cbranch_execz .LBB52_372
; %bb.369:
	v_cmp_ne_u32_e32 vcc_lo, 17, v116
	s_xor_b32 s6, s4, -1
	s_delay_alu instid0(SALU_CYCLE_1) | instskip(NEXT) | instid1(SALU_CYCLE_1)
	s_and_b32 s7, s6, vcc_lo
	s_and_saveexec_b32 s6, s7
	s_cbranch_execz .LBB52_371
; %bb.370:
	scratch_load_b64 v[44:45], off, off offset:48 ; 8-byte Folded Reload
	v_ashrrev_i32_e32 v117, 31, v116
	s_delay_alu instid0(VALU_DEP_1) | instskip(SKIP_1) | instid1(VALU_DEP_1)
	v_lshlrev_b64 v[40:41], 2, v[116:117]
	s_waitcnt vmcnt(0)
	v_add_co_u32 v40, vcc_lo, v44, v40
	s_delay_alu instid0(VALU_DEP_2)
	v_add_co_ci_u32_e32 v41, vcc_lo, v45, v41, vcc_lo
	s_clause 0x1
	flat_load_b32 v42, v[40:41]
	flat_load_b32 v43, v[44:45] offset:68
	s_waitcnt vmcnt(1) lgkmcnt(1)
	flat_store_b32 v[44:45], v42 offset:68
	s_waitcnt vmcnt(0) lgkmcnt(1)
	flat_store_b32 v[40:41], v43
.LBB52_371:
	s_or_b32 exec_lo, exec_lo, s6
	v_mov_b32_e32 v124, v116
	v_mov_b32_e32 v119, v116
.LBB52_372:
	s_or_b32 exec_lo, exec_lo, s3
.LBB52_373:
	s_and_not1_saveexec_b32 s2, s2
	s_cbranch_execz .LBB52_375
; %bb.374:
	v_mov_b32_e32 v124, 17
	ds_store_2addr_b64 v118, v[32:33], v[34:35] offset0:36 offset1:37
	ds_store_2addr_b64 v118, v[28:29], v[30:31] offset0:38 offset1:39
	;; [unrolled: 1-line block ×9, first 2 shown]
.LBB52_375:
	s_or_b32 exec_lo, exec_lo, s2
	s_delay_alu instid0(SALU_CYCLE_1)
	s_mov_b32 s2, exec_lo
	s_waitcnt lgkmcnt(0)
	s_waitcnt_vscnt null, 0x0
	s_barrier
	buffer_gl0_inv
	v_cmpx_lt_i32_e32 17, v124
	s_cbranch_execz .LBB52_377
; %bb.376:
	v_mul_f64 v[40:41], v[108:109], v[38:39]
	v_mul_f64 v[38:39], v[110:111], v[38:39]
	ds_load_2addr_b64 v[125:128], v118 offset0:36 offset1:37
	ds_load_2addr_b64 v[129:132], v118 offset0:38 offset1:39
	;; [unrolled: 1-line block ×9, first 2 shown]
	v_fma_f64 v[40:41], v[110:111], v[36:37], v[40:41]
	v_fma_f64 v[36:37], v[108:109], v[36:37], -v[38:39]
	s_waitcnt lgkmcnt(8)
	s_delay_alu instid0(VALU_DEP_2)
	v_mul_f64 v[38:39], v[127:128], v[40:41]
	v_mul_f64 v[42:43], v[125:126], v[40:41]
	s_waitcnt lgkmcnt(7)
	v_mul_f64 v[44:45], v[131:132], v[40:41]
	v_mul_f64 v[46:47], v[129:130], v[40:41]
	s_waitcnt lgkmcnt(6)
	;; [unrolled: 3-line block ×8, first 2 shown]
	v_mul_f64 v[171:172], v[159:160], v[40:41]
	v_mul_f64 v[173:174], v[157:158], v[40:41]
	v_fma_f64 v[38:39], v[125:126], v[36:37], -v[38:39]
	v_fma_f64 v[42:43], v[127:128], v[36:37], v[42:43]
	v_fma_f64 v[44:45], v[129:130], v[36:37], -v[44:45]
	v_fma_f64 v[46:47], v[131:132], v[36:37], v[46:47]
	;; [unrolled: 2-line block ×9, first 2 shown]
	v_add_f64 v[32:33], v[32:33], -v[38:39]
	v_add_f64 v[34:35], v[34:35], -v[42:43]
	;; [unrolled: 1-line block ×18, first 2 shown]
	v_dual_mov_b32 v38, v40 :: v_dual_mov_b32 v39, v41
.LBB52_377:
	s_or_b32 exec_lo, exec_lo, s2
	v_lshl_add_u32 v40, v124, 4, v118
	s_barrier
	buffer_gl0_inv
	v_mov_b32_e32 v116, 18
	ds_store_2addr_b64 v40, v[32:33], v[34:35] offset1:1
	s_waitcnt lgkmcnt(0)
	s_barrier
	buffer_gl0_inv
	ds_load_2addr_b64 v[108:111], v118 offset0:36 offset1:37
	s_cmp_lt_i32 s5, 20
	s_cbranch_scc1 .LBB52_380
; %bb.378:
	v_add3_u32 v117, v120, 0, 0x130
	v_mov_b32_e32 v116, 18
	s_mov_b32 s6, 19
	s_set_inst_prefetch_distance 0x1
	.p2align	6
.LBB52_379:                             ; =>This Inner Loop Header: Depth=1
	ds_load_2addr_b64 v[125:128], v117 offset1:1
	s_waitcnt lgkmcnt(1)
	v_cmp_gt_f64_e32 vcc_lo, 0, v[108:109]
	v_xor_b32_e32 v40, 0x80000000, v109
	v_cmp_gt_f64_e64 s2, 0, v[110:111]
	v_xor_b32_e32 v42, 0x80000000, v111
	v_add_nc_u32_e32 v117, 16, v117
	s_waitcnt lgkmcnt(0)
	v_cmp_gt_f64_e64 s3, 0, v[125:126]
	v_mov_b32_e32 v44, v125
	v_dual_mov_b32 v46, v127 :: v_dual_cndmask_b32 v41, v109, v40
	v_xor_b32_e32 v40, 0x80000000, v126
	v_cndmask_b32_e64 v43, v111, v42, s2
	v_xor_b32_e32 v42, 0x80000000, v128
	s_delay_alu instid0(VALU_DEP_3) | instskip(SKIP_2) | instid1(VALU_DEP_2)
	v_cndmask_b32_e64 v45, v126, v40, s3
	v_cmp_gt_f64_e64 s3, 0, v[127:128]
	v_cndmask_b32_e32 v40, v108, v108, vcc_lo
	v_cndmask_b32_e64 v47, v128, v42, s3
	v_cndmask_b32_e64 v42, v110, v110, s2
	s_delay_alu instid0(VALU_DEP_2) | instskip(NEXT) | instid1(VALU_DEP_2)
	v_add_f64 v[44:45], v[44:45], v[46:47]
	v_add_f64 v[40:41], v[40:41], v[42:43]
	s_delay_alu instid0(VALU_DEP_1) | instskip(SKIP_4) | instid1(SALU_CYCLE_1)
	v_cmp_lt_f64_e32 vcc_lo, v[40:41], v[44:45]
	v_dual_cndmask_b32 v109, v109, v126 :: v_dual_cndmask_b32 v108, v108, v125
	v_dual_cndmask_b32 v111, v111, v128 :: v_dual_cndmask_b32 v110, v110, v127
	v_cndmask_b32_e64 v116, v116, s6, vcc_lo
	s_add_i32 s6, s6, 1
	s_cmp_lg_u32 s5, s6
	s_cbranch_scc1 .LBB52_379
.LBB52_380:
	s_set_inst_prefetch_distance 0x2
	s_waitcnt lgkmcnt(0)
	v_cmp_eq_f64_e32 vcc_lo, 0, v[108:109]
	v_cmp_eq_f64_e64 s2, 0, v[110:111]
	s_delay_alu instid0(VALU_DEP_1) | instskip(NEXT) | instid1(SALU_CYCLE_1)
	s_and_b32 s2, vcc_lo, s2
	s_and_saveexec_b32 s3, s2
	s_delay_alu instid0(SALU_CYCLE_1)
	s_xor_b32 s2, exec_lo, s3
; %bb.381:
	v_cmp_ne_u32_e32 vcc_lo, 0, v123
	v_cndmask_b32_e32 v123, 19, v123, vcc_lo
; %bb.382:
	s_and_not1_saveexec_b32 s3, s2
	s_cbranch_execz .LBB52_388
; %bb.383:
	v_cmp_gt_f64_e32 vcc_lo, 0, v[108:109]
	v_cmp_gt_f64_e64 s2, 0, v[110:111]
	v_xor_b32_e32 v40, 0x80000000, v109
	v_xor_b32_e32 v42, 0x80000000, v111
	s_delay_alu instid0(VALU_DEP_2) | instskip(NEXT) | instid1(VALU_DEP_2)
	v_cndmask_b32_e32 v41, v109, v40, vcc_lo
	v_cndmask_b32_e64 v43, v111, v42, s2
	v_cndmask_b32_e32 v40, v108, v108, vcc_lo
	v_cndmask_b32_e64 v42, v110, v110, s2
	s_mov_b32 s2, exec_lo
	s_delay_alu instid0(VALU_DEP_1)
	v_cmpx_ngt_f64_e32 v[40:41], v[42:43]
	s_xor_b32 s2, exec_lo, s2
	s_cbranch_execz .LBB52_385
; %bb.384:
	v_div_scale_f64 v[40:41], null, v[110:111], v[110:111], v[108:109]
	v_div_scale_f64 v[46:47], vcc_lo, v[108:109], v[110:111], v[108:109]
	s_delay_alu instid0(VALU_DEP_2) | instskip(SKIP_2) | instid1(VALU_DEP_1)
	v_rcp_f64_e32 v[42:43], v[40:41]
	s_waitcnt_depctr 0xfff
	v_fma_f64 v[44:45], -v[40:41], v[42:43], 1.0
	v_fma_f64 v[42:43], v[42:43], v[44:45], v[42:43]
	s_delay_alu instid0(VALU_DEP_1) | instskip(NEXT) | instid1(VALU_DEP_1)
	v_fma_f64 v[44:45], -v[40:41], v[42:43], 1.0
	v_fma_f64 v[42:43], v[42:43], v[44:45], v[42:43]
	s_delay_alu instid0(VALU_DEP_1) | instskip(NEXT) | instid1(VALU_DEP_1)
	v_mul_f64 v[44:45], v[46:47], v[42:43]
	v_fma_f64 v[40:41], -v[40:41], v[44:45], v[46:47]
	s_delay_alu instid0(VALU_DEP_1) | instskip(NEXT) | instid1(VALU_DEP_1)
	v_div_fmas_f64 v[40:41], v[40:41], v[42:43], v[44:45]
	v_div_fixup_f64 v[40:41], v[40:41], v[110:111], v[108:109]
	s_delay_alu instid0(VALU_DEP_1) | instskip(NEXT) | instid1(VALU_DEP_1)
	v_fma_f64 v[42:43], v[108:109], v[40:41], v[110:111]
	v_div_scale_f64 v[44:45], null, v[42:43], v[42:43], 1.0
	s_delay_alu instid0(VALU_DEP_1) | instskip(SKIP_2) | instid1(VALU_DEP_1)
	v_rcp_f64_e32 v[46:47], v[44:45]
	s_waitcnt_depctr 0xfff
	v_fma_f64 v[100:101], -v[44:45], v[46:47], 1.0
	v_fma_f64 v[46:47], v[46:47], v[100:101], v[46:47]
	s_delay_alu instid0(VALU_DEP_1) | instskip(NEXT) | instid1(VALU_DEP_1)
	v_fma_f64 v[100:101], -v[44:45], v[46:47], 1.0
	v_fma_f64 v[46:47], v[46:47], v[100:101], v[46:47]
	v_div_scale_f64 v[100:101], vcc_lo, 1.0, v[42:43], 1.0
	s_delay_alu instid0(VALU_DEP_1) | instskip(NEXT) | instid1(VALU_DEP_1)
	v_mul_f64 v[102:103], v[100:101], v[46:47]
	v_fma_f64 v[44:45], -v[44:45], v[102:103], v[100:101]
	s_delay_alu instid0(VALU_DEP_1) | instskip(NEXT) | instid1(VALU_DEP_1)
	v_div_fmas_f64 v[44:45], v[44:45], v[46:47], v[102:103]
	v_div_fixup_f64 v[110:111], v[44:45], v[42:43], 1.0
	s_delay_alu instid0(VALU_DEP_1)
	v_mul_f64 v[108:109], v[40:41], v[110:111]
	v_xor_b32_e32 v111, 0x80000000, v111
.LBB52_385:
	s_and_not1_saveexec_b32 s2, s2
	s_cbranch_execz .LBB52_387
; %bb.386:
	s_delay_alu instid0(VALU_DEP_1) | instskip(SKIP_1) | instid1(VALU_DEP_2)
	v_div_scale_f64 v[40:41], null, v[108:109], v[108:109], v[110:111]
	v_div_scale_f64 v[46:47], vcc_lo, v[110:111], v[108:109], v[110:111]
	v_rcp_f64_e32 v[42:43], v[40:41]
	s_waitcnt_depctr 0xfff
	v_fma_f64 v[44:45], -v[40:41], v[42:43], 1.0
	s_delay_alu instid0(VALU_DEP_1) | instskip(NEXT) | instid1(VALU_DEP_1)
	v_fma_f64 v[42:43], v[42:43], v[44:45], v[42:43]
	v_fma_f64 v[44:45], -v[40:41], v[42:43], 1.0
	s_delay_alu instid0(VALU_DEP_1) | instskip(NEXT) | instid1(VALU_DEP_1)
	v_fma_f64 v[42:43], v[42:43], v[44:45], v[42:43]
	v_mul_f64 v[44:45], v[46:47], v[42:43]
	s_delay_alu instid0(VALU_DEP_1) | instskip(NEXT) | instid1(VALU_DEP_1)
	v_fma_f64 v[40:41], -v[40:41], v[44:45], v[46:47]
	v_div_fmas_f64 v[40:41], v[40:41], v[42:43], v[44:45]
	s_delay_alu instid0(VALU_DEP_1) | instskip(NEXT) | instid1(VALU_DEP_1)
	v_div_fixup_f64 v[40:41], v[40:41], v[108:109], v[110:111]
	v_fma_f64 v[42:43], v[110:111], v[40:41], v[108:109]
	s_delay_alu instid0(VALU_DEP_1) | instskip(NEXT) | instid1(VALU_DEP_1)
	v_div_scale_f64 v[44:45], null, v[42:43], v[42:43], 1.0
	v_rcp_f64_e32 v[46:47], v[44:45]
	s_waitcnt_depctr 0xfff
	v_fma_f64 v[100:101], -v[44:45], v[46:47], 1.0
	s_delay_alu instid0(VALU_DEP_1) | instskip(NEXT) | instid1(VALU_DEP_1)
	v_fma_f64 v[46:47], v[46:47], v[100:101], v[46:47]
	v_fma_f64 v[100:101], -v[44:45], v[46:47], 1.0
	s_delay_alu instid0(VALU_DEP_1) | instskip(SKIP_1) | instid1(VALU_DEP_1)
	v_fma_f64 v[46:47], v[46:47], v[100:101], v[46:47]
	v_div_scale_f64 v[100:101], vcc_lo, 1.0, v[42:43], 1.0
	v_mul_f64 v[102:103], v[100:101], v[46:47]
	s_delay_alu instid0(VALU_DEP_1) | instskip(NEXT) | instid1(VALU_DEP_1)
	v_fma_f64 v[44:45], -v[44:45], v[102:103], v[100:101]
	v_div_fmas_f64 v[44:45], v[44:45], v[46:47], v[102:103]
	s_delay_alu instid0(VALU_DEP_1) | instskip(NEXT) | instid1(VALU_DEP_1)
	v_div_fixup_f64 v[108:109], v[44:45], v[42:43], 1.0
	v_mul_f64 v[110:111], v[40:41], -v[108:109]
.LBB52_387:
	s_or_b32 exec_lo, exec_lo, s2
.LBB52_388:
	s_delay_alu instid0(SALU_CYCLE_1) | instskip(NEXT) | instid1(SALU_CYCLE_1)
	s_or_b32 exec_lo, exec_lo, s3
	s_mov_b32 s2, exec_lo
	v_cmpx_ne_u32_e64 v124, v116
	s_xor_b32 s2, exec_lo, s2
	s_cbranch_execz .LBB52_394
; %bb.389:
	s_mov_b32 s3, exec_lo
	v_cmpx_eq_u32_e32 18, v124
	s_cbranch_execz .LBB52_393
; %bb.390:
	v_cmp_ne_u32_e32 vcc_lo, 18, v116
	s_xor_b32 s6, s4, -1
	s_delay_alu instid0(SALU_CYCLE_1) | instskip(NEXT) | instid1(SALU_CYCLE_1)
	s_and_b32 s7, s6, vcc_lo
	s_and_saveexec_b32 s6, s7
	s_cbranch_execz .LBB52_392
; %bb.391:
	scratch_load_b64 v[44:45], off, off offset:48 ; 8-byte Folded Reload
	v_ashrrev_i32_e32 v117, 31, v116
	s_delay_alu instid0(VALU_DEP_1) | instskip(SKIP_1) | instid1(VALU_DEP_1)
	v_lshlrev_b64 v[40:41], 2, v[116:117]
	s_waitcnt vmcnt(0)
	v_add_co_u32 v40, vcc_lo, v44, v40
	s_delay_alu instid0(VALU_DEP_2)
	v_add_co_ci_u32_e32 v41, vcc_lo, v45, v41, vcc_lo
	s_clause 0x1
	flat_load_b32 v42, v[40:41]
	flat_load_b32 v43, v[44:45] offset:72
	s_waitcnt vmcnt(1) lgkmcnt(1)
	flat_store_b32 v[44:45], v42 offset:72
	s_waitcnt vmcnt(0) lgkmcnt(1)
	flat_store_b32 v[40:41], v43
.LBB52_392:
	s_or_b32 exec_lo, exec_lo, s6
	v_mov_b32_e32 v124, v116
	v_mov_b32_e32 v119, v116
.LBB52_393:
	s_or_b32 exec_lo, exec_lo, s3
.LBB52_394:
	s_and_not1_saveexec_b32 s2, s2
	s_cbranch_execz .LBB52_396
; %bb.395:
	v_mov_b32_e32 v124, 18
	ds_store_2addr_b64 v118, v[28:29], v[30:31] offset0:38 offset1:39
	ds_store_2addr_b64 v118, v[24:25], v[26:27] offset0:40 offset1:41
	ds_store_2addr_b64 v118, v[20:21], v[22:23] offset0:42 offset1:43
	ds_store_2addr_b64 v118, v[16:17], v[18:19] offset0:44 offset1:45
	ds_store_2addr_b64 v118, v[12:13], v[14:15] offset0:46 offset1:47
	ds_store_2addr_b64 v118, v[8:9], v[10:11] offset0:48 offset1:49
	ds_store_2addr_b64 v118, v[4:5], v[6:7] offset0:50 offset1:51
	ds_store_2addr_b64 v118, v[252:253], v[254:255] offset0:52 offset1:53
.LBB52_396:
	s_or_b32 exec_lo, exec_lo, s2
	s_delay_alu instid0(SALU_CYCLE_1)
	s_mov_b32 s2, exec_lo
	s_waitcnt lgkmcnt(0)
	s_waitcnt_vscnt null, 0x0
	s_barrier
	buffer_gl0_inv
	v_cmpx_lt_i32_e32 18, v124
	s_cbranch_execz .LBB52_398
; %bb.397:
	v_mul_f64 v[40:41], v[108:109], v[34:35]
	v_mul_f64 v[34:35], v[110:111], v[34:35]
	ds_load_2addr_b64 v[125:128], v118 offset0:38 offset1:39
	ds_load_2addr_b64 v[129:132], v118 offset0:40 offset1:41
	;; [unrolled: 1-line block ×8, first 2 shown]
	v_fma_f64 v[40:41], v[110:111], v[32:33], v[40:41]
	v_fma_f64 v[32:33], v[108:109], v[32:33], -v[34:35]
	s_waitcnt lgkmcnt(7)
	s_delay_alu instid0(VALU_DEP_2)
	v_mul_f64 v[34:35], v[127:128], v[40:41]
	v_mul_f64 v[42:43], v[125:126], v[40:41]
	s_waitcnt lgkmcnt(6)
	v_mul_f64 v[44:45], v[131:132], v[40:41]
	v_mul_f64 v[46:47], v[129:130], v[40:41]
	s_waitcnt lgkmcnt(5)
	;; [unrolled: 3-line block ×7, first 2 shown]
	v_mul_f64 v[163:164], v[155:156], v[40:41]
	v_mul_f64 v[165:166], v[153:154], v[40:41]
	v_fma_f64 v[34:35], v[125:126], v[32:33], -v[34:35]
	v_fma_f64 v[42:43], v[127:128], v[32:33], v[42:43]
	v_fma_f64 v[44:45], v[129:130], v[32:33], -v[44:45]
	v_fma_f64 v[46:47], v[131:132], v[32:33], v[46:47]
	;; [unrolled: 2-line block ×8, first 2 shown]
	v_add_f64 v[28:29], v[28:29], -v[34:35]
	v_add_f64 v[30:31], v[30:31], -v[42:43]
	;; [unrolled: 1-line block ×16, first 2 shown]
	v_dual_mov_b32 v34, v40 :: v_dual_mov_b32 v35, v41
.LBB52_398:
	s_or_b32 exec_lo, exec_lo, s2
	v_lshl_add_u32 v40, v124, 4, v118
	s_barrier
	buffer_gl0_inv
	v_mov_b32_e32 v116, 19
	ds_store_2addr_b64 v40, v[28:29], v[30:31] offset1:1
	s_waitcnt lgkmcnt(0)
	s_barrier
	buffer_gl0_inv
	ds_load_2addr_b64 v[108:111], v118 offset0:38 offset1:39
	s_cmp_lt_i32 s5, 21
	s_cbranch_scc1 .LBB52_401
; %bb.399:
	v_add3_u32 v117, v120, 0, 0x140
	v_mov_b32_e32 v116, 19
	s_mov_b32 s6, 20
	s_set_inst_prefetch_distance 0x1
	.p2align	6
.LBB52_400:                             ; =>This Inner Loop Header: Depth=1
	ds_load_2addr_b64 v[125:128], v117 offset1:1
	s_waitcnt lgkmcnt(1)
	v_cmp_gt_f64_e32 vcc_lo, 0, v[108:109]
	v_xor_b32_e32 v40, 0x80000000, v109
	v_cmp_gt_f64_e64 s2, 0, v[110:111]
	v_xor_b32_e32 v42, 0x80000000, v111
	v_add_nc_u32_e32 v117, 16, v117
	s_waitcnt lgkmcnt(0)
	v_cmp_gt_f64_e64 s3, 0, v[125:126]
	v_mov_b32_e32 v44, v125
	v_dual_mov_b32 v46, v127 :: v_dual_cndmask_b32 v41, v109, v40
	v_xor_b32_e32 v40, 0x80000000, v126
	v_cndmask_b32_e64 v43, v111, v42, s2
	v_xor_b32_e32 v42, 0x80000000, v128
	s_delay_alu instid0(VALU_DEP_3) | instskip(SKIP_2) | instid1(VALU_DEP_2)
	v_cndmask_b32_e64 v45, v126, v40, s3
	v_cmp_gt_f64_e64 s3, 0, v[127:128]
	v_cndmask_b32_e32 v40, v108, v108, vcc_lo
	v_cndmask_b32_e64 v47, v128, v42, s3
	v_cndmask_b32_e64 v42, v110, v110, s2
	s_delay_alu instid0(VALU_DEP_2) | instskip(NEXT) | instid1(VALU_DEP_2)
	v_add_f64 v[44:45], v[44:45], v[46:47]
	v_add_f64 v[40:41], v[40:41], v[42:43]
	s_delay_alu instid0(VALU_DEP_1) | instskip(SKIP_4) | instid1(SALU_CYCLE_1)
	v_cmp_lt_f64_e32 vcc_lo, v[40:41], v[44:45]
	v_dual_cndmask_b32 v109, v109, v126 :: v_dual_cndmask_b32 v108, v108, v125
	v_dual_cndmask_b32 v111, v111, v128 :: v_dual_cndmask_b32 v110, v110, v127
	v_cndmask_b32_e64 v116, v116, s6, vcc_lo
	s_add_i32 s6, s6, 1
	s_cmp_lg_u32 s5, s6
	s_cbranch_scc1 .LBB52_400
.LBB52_401:
	s_set_inst_prefetch_distance 0x2
	s_waitcnt lgkmcnt(0)
	v_cmp_eq_f64_e32 vcc_lo, 0, v[108:109]
	v_cmp_eq_f64_e64 s2, 0, v[110:111]
	s_delay_alu instid0(VALU_DEP_1) | instskip(NEXT) | instid1(SALU_CYCLE_1)
	s_and_b32 s2, vcc_lo, s2
	s_and_saveexec_b32 s3, s2
	s_delay_alu instid0(SALU_CYCLE_1)
	s_xor_b32 s2, exec_lo, s3
; %bb.402:
	v_cmp_ne_u32_e32 vcc_lo, 0, v123
	v_cndmask_b32_e32 v123, 20, v123, vcc_lo
; %bb.403:
	s_and_not1_saveexec_b32 s3, s2
	s_cbranch_execz .LBB52_409
; %bb.404:
	v_cmp_gt_f64_e32 vcc_lo, 0, v[108:109]
	v_cmp_gt_f64_e64 s2, 0, v[110:111]
	v_xor_b32_e32 v40, 0x80000000, v109
	v_xor_b32_e32 v42, 0x80000000, v111
	s_delay_alu instid0(VALU_DEP_2) | instskip(NEXT) | instid1(VALU_DEP_2)
	v_cndmask_b32_e32 v41, v109, v40, vcc_lo
	v_cndmask_b32_e64 v43, v111, v42, s2
	v_cndmask_b32_e32 v40, v108, v108, vcc_lo
	v_cndmask_b32_e64 v42, v110, v110, s2
	s_mov_b32 s2, exec_lo
	s_delay_alu instid0(VALU_DEP_1)
	v_cmpx_ngt_f64_e32 v[40:41], v[42:43]
	s_xor_b32 s2, exec_lo, s2
	s_cbranch_execz .LBB52_406
; %bb.405:
	v_div_scale_f64 v[40:41], null, v[110:111], v[110:111], v[108:109]
	v_div_scale_f64 v[46:47], vcc_lo, v[108:109], v[110:111], v[108:109]
	s_delay_alu instid0(VALU_DEP_2) | instskip(SKIP_2) | instid1(VALU_DEP_1)
	v_rcp_f64_e32 v[42:43], v[40:41]
	s_waitcnt_depctr 0xfff
	v_fma_f64 v[44:45], -v[40:41], v[42:43], 1.0
	v_fma_f64 v[42:43], v[42:43], v[44:45], v[42:43]
	s_delay_alu instid0(VALU_DEP_1) | instskip(NEXT) | instid1(VALU_DEP_1)
	v_fma_f64 v[44:45], -v[40:41], v[42:43], 1.0
	v_fma_f64 v[42:43], v[42:43], v[44:45], v[42:43]
	s_delay_alu instid0(VALU_DEP_1) | instskip(NEXT) | instid1(VALU_DEP_1)
	v_mul_f64 v[44:45], v[46:47], v[42:43]
	v_fma_f64 v[40:41], -v[40:41], v[44:45], v[46:47]
	s_delay_alu instid0(VALU_DEP_1) | instskip(NEXT) | instid1(VALU_DEP_1)
	v_div_fmas_f64 v[40:41], v[40:41], v[42:43], v[44:45]
	v_div_fixup_f64 v[40:41], v[40:41], v[110:111], v[108:109]
	s_delay_alu instid0(VALU_DEP_1) | instskip(NEXT) | instid1(VALU_DEP_1)
	v_fma_f64 v[42:43], v[108:109], v[40:41], v[110:111]
	v_div_scale_f64 v[44:45], null, v[42:43], v[42:43], 1.0
	s_delay_alu instid0(VALU_DEP_1) | instskip(SKIP_2) | instid1(VALU_DEP_1)
	v_rcp_f64_e32 v[46:47], v[44:45]
	s_waitcnt_depctr 0xfff
	v_fma_f64 v[100:101], -v[44:45], v[46:47], 1.0
	v_fma_f64 v[46:47], v[46:47], v[100:101], v[46:47]
	s_delay_alu instid0(VALU_DEP_1) | instskip(NEXT) | instid1(VALU_DEP_1)
	v_fma_f64 v[100:101], -v[44:45], v[46:47], 1.0
	v_fma_f64 v[46:47], v[46:47], v[100:101], v[46:47]
	v_div_scale_f64 v[100:101], vcc_lo, 1.0, v[42:43], 1.0
	s_delay_alu instid0(VALU_DEP_1) | instskip(NEXT) | instid1(VALU_DEP_1)
	v_mul_f64 v[102:103], v[100:101], v[46:47]
	v_fma_f64 v[44:45], -v[44:45], v[102:103], v[100:101]
	s_delay_alu instid0(VALU_DEP_1) | instskip(NEXT) | instid1(VALU_DEP_1)
	v_div_fmas_f64 v[44:45], v[44:45], v[46:47], v[102:103]
	v_div_fixup_f64 v[110:111], v[44:45], v[42:43], 1.0
	s_delay_alu instid0(VALU_DEP_1)
	v_mul_f64 v[108:109], v[40:41], v[110:111]
	v_xor_b32_e32 v111, 0x80000000, v111
.LBB52_406:
	s_and_not1_saveexec_b32 s2, s2
	s_cbranch_execz .LBB52_408
; %bb.407:
	s_delay_alu instid0(VALU_DEP_1) | instskip(SKIP_1) | instid1(VALU_DEP_2)
	v_div_scale_f64 v[40:41], null, v[108:109], v[108:109], v[110:111]
	v_div_scale_f64 v[46:47], vcc_lo, v[110:111], v[108:109], v[110:111]
	v_rcp_f64_e32 v[42:43], v[40:41]
	s_waitcnt_depctr 0xfff
	v_fma_f64 v[44:45], -v[40:41], v[42:43], 1.0
	s_delay_alu instid0(VALU_DEP_1) | instskip(NEXT) | instid1(VALU_DEP_1)
	v_fma_f64 v[42:43], v[42:43], v[44:45], v[42:43]
	v_fma_f64 v[44:45], -v[40:41], v[42:43], 1.0
	s_delay_alu instid0(VALU_DEP_1) | instskip(NEXT) | instid1(VALU_DEP_1)
	v_fma_f64 v[42:43], v[42:43], v[44:45], v[42:43]
	v_mul_f64 v[44:45], v[46:47], v[42:43]
	s_delay_alu instid0(VALU_DEP_1) | instskip(NEXT) | instid1(VALU_DEP_1)
	v_fma_f64 v[40:41], -v[40:41], v[44:45], v[46:47]
	v_div_fmas_f64 v[40:41], v[40:41], v[42:43], v[44:45]
	s_delay_alu instid0(VALU_DEP_1) | instskip(NEXT) | instid1(VALU_DEP_1)
	v_div_fixup_f64 v[40:41], v[40:41], v[108:109], v[110:111]
	v_fma_f64 v[42:43], v[110:111], v[40:41], v[108:109]
	s_delay_alu instid0(VALU_DEP_1) | instskip(NEXT) | instid1(VALU_DEP_1)
	v_div_scale_f64 v[44:45], null, v[42:43], v[42:43], 1.0
	v_rcp_f64_e32 v[46:47], v[44:45]
	s_waitcnt_depctr 0xfff
	v_fma_f64 v[100:101], -v[44:45], v[46:47], 1.0
	s_delay_alu instid0(VALU_DEP_1) | instskip(NEXT) | instid1(VALU_DEP_1)
	v_fma_f64 v[46:47], v[46:47], v[100:101], v[46:47]
	v_fma_f64 v[100:101], -v[44:45], v[46:47], 1.0
	s_delay_alu instid0(VALU_DEP_1) | instskip(SKIP_1) | instid1(VALU_DEP_1)
	v_fma_f64 v[46:47], v[46:47], v[100:101], v[46:47]
	v_div_scale_f64 v[100:101], vcc_lo, 1.0, v[42:43], 1.0
	v_mul_f64 v[102:103], v[100:101], v[46:47]
	s_delay_alu instid0(VALU_DEP_1) | instskip(NEXT) | instid1(VALU_DEP_1)
	v_fma_f64 v[44:45], -v[44:45], v[102:103], v[100:101]
	v_div_fmas_f64 v[44:45], v[44:45], v[46:47], v[102:103]
	s_delay_alu instid0(VALU_DEP_1) | instskip(NEXT) | instid1(VALU_DEP_1)
	v_div_fixup_f64 v[108:109], v[44:45], v[42:43], 1.0
	v_mul_f64 v[110:111], v[40:41], -v[108:109]
.LBB52_408:
	s_or_b32 exec_lo, exec_lo, s2
.LBB52_409:
	s_delay_alu instid0(SALU_CYCLE_1) | instskip(NEXT) | instid1(SALU_CYCLE_1)
	s_or_b32 exec_lo, exec_lo, s3
	s_mov_b32 s2, exec_lo
	v_cmpx_ne_u32_e64 v124, v116
	s_xor_b32 s2, exec_lo, s2
	s_cbranch_execz .LBB52_415
; %bb.410:
	s_mov_b32 s3, exec_lo
	v_cmpx_eq_u32_e32 19, v124
	s_cbranch_execz .LBB52_414
; %bb.411:
	v_cmp_ne_u32_e32 vcc_lo, 19, v116
	s_xor_b32 s6, s4, -1
	s_delay_alu instid0(SALU_CYCLE_1) | instskip(NEXT) | instid1(SALU_CYCLE_1)
	s_and_b32 s7, s6, vcc_lo
	s_and_saveexec_b32 s6, s7
	s_cbranch_execz .LBB52_413
; %bb.412:
	scratch_load_b64 v[44:45], off, off offset:48 ; 8-byte Folded Reload
	v_ashrrev_i32_e32 v117, 31, v116
	s_delay_alu instid0(VALU_DEP_1) | instskip(SKIP_1) | instid1(VALU_DEP_1)
	v_lshlrev_b64 v[40:41], 2, v[116:117]
	s_waitcnt vmcnt(0)
	v_add_co_u32 v40, vcc_lo, v44, v40
	s_delay_alu instid0(VALU_DEP_2)
	v_add_co_ci_u32_e32 v41, vcc_lo, v45, v41, vcc_lo
	s_clause 0x1
	flat_load_b32 v42, v[40:41]
	flat_load_b32 v43, v[44:45] offset:76
	s_waitcnt vmcnt(1) lgkmcnt(1)
	flat_store_b32 v[44:45], v42 offset:76
	s_waitcnt vmcnt(0) lgkmcnt(1)
	flat_store_b32 v[40:41], v43
.LBB52_413:
	s_or_b32 exec_lo, exec_lo, s6
	v_mov_b32_e32 v124, v116
	v_mov_b32_e32 v119, v116
.LBB52_414:
	s_or_b32 exec_lo, exec_lo, s3
.LBB52_415:
	s_and_not1_saveexec_b32 s2, s2
	s_cbranch_execz .LBB52_417
; %bb.416:
	v_mov_b32_e32 v124, 19
	ds_store_2addr_b64 v118, v[24:25], v[26:27] offset0:40 offset1:41
	ds_store_2addr_b64 v118, v[20:21], v[22:23] offset0:42 offset1:43
	;; [unrolled: 1-line block ×7, first 2 shown]
.LBB52_417:
	s_or_b32 exec_lo, exec_lo, s2
	s_delay_alu instid0(SALU_CYCLE_1)
	s_mov_b32 s2, exec_lo
	s_waitcnt lgkmcnt(0)
	s_waitcnt_vscnt null, 0x0
	s_barrier
	buffer_gl0_inv
	v_cmpx_lt_i32_e32 19, v124
	s_cbranch_execz .LBB52_419
; %bb.418:
	v_mul_f64 v[40:41], v[108:109], v[30:31]
	v_mul_f64 v[30:31], v[110:111], v[30:31]
	ds_load_2addr_b64 v[125:128], v118 offset0:40 offset1:41
	ds_load_2addr_b64 v[129:132], v118 offset0:42 offset1:43
	;; [unrolled: 1-line block ×7, first 2 shown]
	v_fma_f64 v[40:41], v[110:111], v[28:29], v[40:41]
	v_fma_f64 v[28:29], v[108:109], v[28:29], -v[30:31]
	s_waitcnt lgkmcnt(6)
	s_delay_alu instid0(VALU_DEP_2)
	v_mul_f64 v[30:31], v[127:128], v[40:41]
	v_mul_f64 v[42:43], v[125:126], v[40:41]
	s_waitcnt lgkmcnt(5)
	v_mul_f64 v[44:45], v[131:132], v[40:41]
	v_mul_f64 v[46:47], v[129:130], v[40:41]
	s_waitcnt lgkmcnt(4)
	;; [unrolled: 3-line block ×6, first 2 shown]
	v_mul_f64 v[155:156], v[151:152], v[40:41]
	v_mul_f64 v[157:158], v[149:150], v[40:41]
	v_fma_f64 v[30:31], v[125:126], v[28:29], -v[30:31]
	v_fma_f64 v[42:43], v[127:128], v[28:29], v[42:43]
	v_fma_f64 v[44:45], v[129:130], v[28:29], -v[44:45]
	v_fma_f64 v[46:47], v[131:132], v[28:29], v[46:47]
	;; [unrolled: 2-line block ×7, first 2 shown]
	v_add_f64 v[24:25], v[24:25], -v[30:31]
	v_add_f64 v[26:27], v[26:27], -v[42:43]
	v_add_f64 v[20:21], v[20:21], -v[44:45]
	v_add_f64 v[22:23], v[22:23], -v[46:47]
	v_add_f64 v[16:17], v[16:17], -v[100:101]
	v_add_f64 v[18:19], v[18:19], -v[102:103]
	v_add_f64 v[12:13], v[12:13], -v[108:109]
	v_add_f64 v[14:15], v[14:15], -v[110:111]
	v_add_f64 v[8:9], v[8:9], -v[112:113]
	v_add_f64 v[10:11], v[10:11], -v[114:115]
	v_add_f64 v[4:5], v[4:5], -v[116:117]
	v_add_f64 v[6:7], v[6:7], -v[125:126]
	v_add_f64 v[252:253], v[252:253], -v[127:128]
	v_add_f64 v[254:255], v[254:255], -v[129:130]
	v_dual_mov_b32 v30, v40 :: v_dual_mov_b32 v31, v41
.LBB52_419:
	s_or_b32 exec_lo, exec_lo, s2
	v_lshl_add_u32 v40, v124, 4, v118
	s_barrier
	buffer_gl0_inv
	v_mov_b32_e32 v116, 20
	ds_store_2addr_b64 v40, v[24:25], v[26:27] offset1:1
	s_waitcnt lgkmcnt(0)
	s_barrier
	buffer_gl0_inv
	ds_load_2addr_b64 v[108:111], v118 offset0:40 offset1:41
	s_cmp_lt_i32 s5, 22
	s_cbranch_scc1 .LBB52_422
; %bb.420:
	v_add3_u32 v117, v120, 0, 0x150
	v_mov_b32_e32 v116, 20
	s_mov_b32 s6, 21
	s_set_inst_prefetch_distance 0x1
	.p2align	6
.LBB52_421:                             ; =>This Inner Loop Header: Depth=1
	ds_load_2addr_b64 v[125:128], v117 offset1:1
	s_waitcnt lgkmcnt(1)
	v_cmp_gt_f64_e32 vcc_lo, 0, v[108:109]
	v_xor_b32_e32 v40, 0x80000000, v109
	v_cmp_gt_f64_e64 s2, 0, v[110:111]
	v_xor_b32_e32 v42, 0x80000000, v111
	v_add_nc_u32_e32 v117, 16, v117
	s_waitcnt lgkmcnt(0)
	v_cmp_gt_f64_e64 s3, 0, v[125:126]
	v_mov_b32_e32 v44, v125
	v_dual_mov_b32 v46, v127 :: v_dual_cndmask_b32 v41, v109, v40
	v_xor_b32_e32 v40, 0x80000000, v126
	v_cndmask_b32_e64 v43, v111, v42, s2
	v_xor_b32_e32 v42, 0x80000000, v128
	s_delay_alu instid0(VALU_DEP_3) | instskip(SKIP_2) | instid1(VALU_DEP_2)
	v_cndmask_b32_e64 v45, v126, v40, s3
	v_cmp_gt_f64_e64 s3, 0, v[127:128]
	v_cndmask_b32_e32 v40, v108, v108, vcc_lo
	v_cndmask_b32_e64 v47, v128, v42, s3
	v_cndmask_b32_e64 v42, v110, v110, s2
	s_delay_alu instid0(VALU_DEP_2) | instskip(NEXT) | instid1(VALU_DEP_2)
	v_add_f64 v[44:45], v[44:45], v[46:47]
	v_add_f64 v[40:41], v[40:41], v[42:43]
	s_delay_alu instid0(VALU_DEP_1) | instskip(SKIP_4) | instid1(SALU_CYCLE_1)
	v_cmp_lt_f64_e32 vcc_lo, v[40:41], v[44:45]
	v_dual_cndmask_b32 v109, v109, v126 :: v_dual_cndmask_b32 v108, v108, v125
	v_dual_cndmask_b32 v111, v111, v128 :: v_dual_cndmask_b32 v110, v110, v127
	v_cndmask_b32_e64 v116, v116, s6, vcc_lo
	s_add_i32 s6, s6, 1
	s_cmp_lg_u32 s5, s6
	s_cbranch_scc1 .LBB52_421
.LBB52_422:
	s_set_inst_prefetch_distance 0x2
	s_waitcnt lgkmcnt(0)
	v_cmp_eq_f64_e32 vcc_lo, 0, v[108:109]
	v_cmp_eq_f64_e64 s2, 0, v[110:111]
	s_delay_alu instid0(VALU_DEP_1) | instskip(NEXT) | instid1(SALU_CYCLE_1)
	s_and_b32 s2, vcc_lo, s2
	s_and_saveexec_b32 s3, s2
	s_delay_alu instid0(SALU_CYCLE_1)
	s_xor_b32 s2, exec_lo, s3
; %bb.423:
	v_cmp_ne_u32_e32 vcc_lo, 0, v123
	v_cndmask_b32_e32 v123, 21, v123, vcc_lo
; %bb.424:
	s_and_not1_saveexec_b32 s3, s2
	s_cbranch_execz .LBB52_430
; %bb.425:
	v_cmp_gt_f64_e32 vcc_lo, 0, v[108:109]
	v_cmp_gt_f64_e64 s2, 0, v[110:111]
	v_xor_b32_e32 v40, 0x80000000, v109
	v_xor_b32_e32 v42, 0x80000000, v111
	s_delay_alu instid0(VALU_DEP_2) | instskip(NEXT) | instid1(VALU_DEP_2)
	v_cndmask_b32_e32 v41, v109, v40, vcc_lo
	v_cndmask_b32_e64 v43, v111, v42, s2
	v_cndmask_b32_e32 v40, v108, v108, vcc_lo
	v_cndmask_b32_e64 v42, v110, v110, s2
	s_mov_b32 s2, exec_lo
	s_delay_alu instid0(VALU_DEP_1)
	v_cmpx_ngt_f64_e32 v[40:41], v[42:43]
	s_xor_b32 s2, exec_lo, s2
	s_cbranch_execz .LBB52_427
; %bb.426:
	v_div_scale_f64 v[40:41], null, v[110:111], v[110:111], v[108:109]
	v_div_scale_f64 v[46:47], vcc_lo, v[108:109], v[110:111], v[108:109]
	s_delay_alu instid0(VALU_DEP_2) | instskip(SKIP_2) | instid1(VALU_DEP_1)
	v_rcp_f64_e32 v[42:43], v[40:41]
	s_waitcnt_depctr 0xfff
	v_fma_f64 v[44:45], -v[40:41], v[42:43], 1.0
	v_fma_f64 v[42:43], v[42:43], v[44:45], v[42:43]
	s_delay_alu instid0(VALU_DEP_1) | instskip(NEXT) | instid1(VALU_DEP_1)
	v_fma_f64 v[44:45], -v[40:41], v[42:43], 1.0
	v_fma_f64 v[42:43], v[42:43], v[44:45], v[42:43]
	s_delay_alu instid0(VALU_DEP_1) | instskip(NEXT) | instid1(VALU_DEP_1)
	v_mul_f64 v[44:45], v[46:47], v[42:43]
	v_fma_f64 v[40:41], -v[40:41], v[44:45], v[46:47]
	s_delay_alu instid0(VALU_DEP_1) | instskip(NEXT) | instid1(VALU_DEP_1)
	v_div_fmas_f64 v[40:41], v[40:41], v[42:43], v[44:45]
	v_div_fixup_f64 v[40:41], v[40:41], v[110:111], v[108:109]
	s_delay_alu instid0(VALU_DEP_1) | instskip(NEXT) | instid1(VALU_DEP_1)
	v_fma_f64 v[42:43], v[108:109], v[40:41], v[110:111]
	v_div_scale_f64 v[44:45], null, v[42:43], v[42:43], 1.0
	s_delay_alu instid0(VALU_DEP_1) | instskip(SKIP_2) | instid1(VALU_DEP_1)
	v_rcp_f64_e32 v[46:47], v[44:45]
	s_waitcnt_depctr 0xfff
	v_fma_f64 v[100:101], -v[44:45], v[46:47], 1.0
	v_fma_f64 v[46:47], v[46:47], v[100:101], v[46:47]
	s_delay_alu instid0(VALU_DEP_1) | instskip(NEXT) | instid1(VALU_DEP_1)
	v_fma_f64 v[100:101], -v[44:45], v[46:47], 1.0
	v_fma_f64 v[46:47], v[46:47], v[100:101], v[46:47]
	v_div_scale_f64 v[100:101], vcc_lo, 1.0, v[42:43], 1.0
	s_delay_alu instid0(VALU_DEP_1) | instskip(NEXT) | instid1(VALU_DEP_1)
	v_mul_f64 v[102:103], v[100:101], v[46:47]
	v_fma_f64 v[44:45], -v[44:45], v[102:103], v[100:101]
	s_delay_alu instid0(VALU_DEP_1) | instskip(NEXT) | instid1(VALU_DEP_1)
	v_div_fmas_f64 v[44:45], v[44:45], v[46:47], v[102:103]
	v_div_fixup_f64 v[110:111], v[44:45], v[42:43], 1.0
	s_delay_alu instid0(VALU_DEP_1)
	v_mul_f64 v[108:109], v[40:41], v[110:111]
	v_xor_b32_e32 v111, 0x80000000, v111
.LBB52_427:
	s_and_not1_saveexec_b32 s2, s2
	s_cbranch_execz .LBB52_429
; %bb.428:
	s_delay_alu instid0(VALU_DEP_1) | instskip(SKIP_1) | instid1(VALU_DEP_2)
	v_div_scale_f64 v[40:41], null, v[108:109], v[108:109], v[110:111]
	v_div_scale_f64 v[46:47], vcc_lo, v[110:111], v[108:109], v[110:111]
	v_rcp_f64_e32 v[42:43], v[40:41]
	s_waitcnt_depctr 0xfff
	v_fma_f64 v[44:45], -v[40:41], v[42:43], 1.0
	s_delay_alu instid0(VALU_DEP_1) | instskip(NEXT) | instid1(VALU_DEP_1)
	v_fma_f64 v[42:43], v[42:43], v[44:45], v[42:43]
	v_fma_f64 v[44:45], -v[40:41], v[42:43], 1.0
	s_delay_alu instid0(VALU_DEP_1) | instskip(NEXT) | instid1(VALU_DEP_1)
	v_fma_f64 v[42:43], v[42:43], v[44:45], v[42:43]
	v_mul_f64 v[44:45], v[46:47], v[42:43]
	s_delay_alu instid0(VALU_DEP_1) | instskip(NEXT) | instid1(VALU_DEP_1)
	v_fma_f64 v[40:41], -v[40:41], v[44:45], v[46:47]
	v_div_fmas_f64 v[40:41], v[40:41], v[42:43], v[44:45]
	s_delay_alu instid0(VALU_DEP_1) | instskip(NEXT) | instid1(VALU_DEP_1)
	v_div_fixup_f64 v[40:41], v[40:41], v[108:109], v[110:111]
	v_fma_f64 v[42:43], v[110:111], v[40:41], v[108:109]
	s_delay_alu instid0(VALU_DEP_1) | instskip(NEXT) | instid1(VALU_DEP_1)
	v_div_scale_f64 v[44:45], null, v[42:43], v[42:43], 1.0
	v_rcp_f64_e32 v[46:47], v[44:45]
	s_waitcnt_depctr 0xfff
	v_fma_f64 v[100:101], -v[44:45], v[46:47], 1.0
	s_delay_alu instid0(VALU_DEP_1) | instskip(NEXT) | instid1(VALU_DEP_1)
	v_fma_f64 v[46:47], v[46:47], v[100:101], v[46:47]
	v_fma_f64 v[100:101], -v[44:45], v[46:47], 1.0
	s_delay_alu instid0(VALU_DEP_1) | instskip(SKIP_1) | instid1(VALU_DEP_1)
	v_fma_f64 v[46:47], v[46:47], v[100:101], v[46:47]
	v_div_scale_f64 v[100:101], vcc_lo, 1.0, v[42:43], 1.0
	v_mul_f64 v[102:103], v[100:101], v[46:47]
	s_delay_alu instid0(VALU_DEP_1) | instskip(NEXT) | instid1(VALU_DEP_1)
	v_fma_f64 v[44:45], -v[44:45], v[102:103], v[100:101]
	v_div_fmas_f64 v[44:45], v[44:45], v[46:47], v[102:103]
	s_delay_alu instid0(VALU_DEP_1) | instskip(NEXT) | instid1(VALU_DEP_1)
	v_div_fixup_f64 v[108:109], v[44:45], v[42:43], 1.0
	v_mul_f64 v[110:111], v[40:41], -v[108:109]
.LBB52_429:
	s_or_b32 exec_lo, exec_lo, s2
.LBB52_430:
	s_delay_alu instid0(SALU_CYCLE_1) | instskip(NEXT) | instid1(SALU_CYCLE_1)
	s_or_b32 exec_lo, exec_lo, s3
	s_mov_b32 s2, exec_lo
	v_cmpx_ne_u32_e64 v124, v116
	s_xor_b32 s2, exec_lo, s2
	s_cbranch_execz .LBB52_436
; %bb.431:
	s_mov_b32 s3, exec_lo
	v_cmpx_eq_u32_e32 20, v124
	s_cbranch_execz .LBB52_435
; %bb.432:
	v_cmp_ne_u32_e32 vcc_lo, 20, v116
	s_xor_b32 s6, s4, -1
	s_delay_alu instid0(SALU_CYCLE_1) | instskip(NEXT) | instid1(SALU_CYCLE_1)
	s_and_b32 s7, s6, vcc_lo
	s_and_saveexec_b32 s6, s7
	s_cbranch_execz .LBB52_434
; %bb.433:
	scratch_load_b64 v[44:45], off, off offset:48 ; 8-byte Folded Reload
	v_ashrrev_i32_e32 v117, 31, v116
	s_delay_alu instid0(VALU_DEP_1) | instskip(SKIP_1) | instid1(VALU_DEP_1)
	v_lshlrev_b64 v[40:41], 2, v[116:117]
	s_waitcnt vmcnt(0)
	v_add_co_u32 v40, vcc_lo, v44, v40
	s_delay_alu instid0(VALU_DEP_2)
	v_add_co_ci_u32_e32 v41, vcc_lo, v45, v41, vcc_lo
	s_clause 0x1
	flat_load_b32 v42, v[40:41]
	flat_load_b32 v43, v[44:45] offset:80
	s_waitcnt vmcnt(1) lgkmcnt(1)
	flat_store_b32 v[44:45], v42 offset:80
	s_waitcnt vmcnt(0) lgkmcnt(1)
	flat_store_b32 v[40:41], v43
.LBB52_434:
	s_or_b32 exec_lo, exec_lo, s6
	v_mov_b32_e32 v124, v116
	v_mov_b32_e32 v119, v116
.LBB52_435:
	s_or_b32 exec_lo, exec_lo, s3
.LBB52_436:
	s_and_not1_saveexec_b32 s2, s2
	s_cbranch_execz .LBB52_438
; %bb.437:
	v_mov_b32_e32 v124, 20
	ds_store_2addr_b64 v118, v[20:21], v[22:23] offset0:42 offset1:43
	ds_store_2addr_b64 v118, v[16:17], v[18:19] offset0:44 offset1:45
	;; [unrolled: 1-line block ×6, first 2 shown]
.LBB52_438:
	s_or_b32 exec_lo, exec_lo, s2
	s_delay_alu instid0(SALU_CYCLE_1)
	s_mov_b32 s2, exec_lo
	s_waitcnt lgkmcnt(0)
	s_waitcnt_vscnt null, 0x0
	s_barrier
	buffer_gl0_inv
	v_cmpx_lt_i32_e32 20, v124
	s_cbranch_execz .LBB52_440
; %bb.439:
	v_mul_f64 v[40:41], v[108:109], v[26:27]
	v_mul_f64 v[26:27], v[110:111], v[26:27]
	ds_load_2addr_b64 v[125:128], v118 offset0:42 offset1:43
	ds_load_2addr_b64 v[129:132], v118 offset0:44 offset1:45
	;; [unrolled: 1-line block ×6, first 2 shown]
	v_fma_f64 v[40:41], v[110:111], v[24:25], v[40:41]
	v_fma_f64 v[24:25], v[108:109], v[24:25], -v[26:27]
	s_waitcnt lgkmcnt(5)
	s_delay_alu instid0(VALU_DEP_2)
	v_mul_f64 v[26:27], v[127:128], v[40:41]
	v_mul_f64 v[42:43], v[125:126], v[40:41]
	s_waitcnt lgkmcnt(4)
	v_mul_f64 v[44:45], v[131:132], v[40:41]
	v_mul_f64 v[46:47], v[129:130], v[40:41]
	s_waitcnt lgkmcnt(3)
	;; [unrolled: 3-line block ×5, first 2 shown]
	v_mul_f64 v[116:117], v[147:148], v[40:41]
	v_mul_f64 v[149:150], v[145:146], v[40:41]
	v_fma_f64 v[26:27], v[125:126], v[24:25], -v[26:27]
	v_fma_f64 v[42:43], v[127:128], v[24:25], v[42:43]
	v_fma_f64 v[44:45], v[129:130], v[24:25], -v[44:45]
	v_fma_f64 v[46:47], v[131:132], v[24:25], v[46:47]
	;; [unrolled: 2-line block ×6, first 2 shown]
	v_add_f64 v[20:21], v[20:21], -v[26:27]
	v_add_f64 v[22:23], v[22:23], -v[42:43]
	v_add_f64 v[16:17], v[16:17], -v[44:45]
	v_add_f64 v[18:19], v[18:19], -v[46:47]
	v_add_f64 v[12:13], v[12:13], -v[100:101]
	v_add_f64 v[14:15], v[14:15], -v[102:103]
	v_add_f64 v[8:9], v[8:9], -v[108:109]
	v_add_f64 v[10:11], v[10:11], -v[110:111]
	v_add_f64 v[4:5], v[4:5], -v[112:113]
	v_add_f64 v[6:7], v[6:7], -v[114:115]
	v_add_f64 v[252:253], v[252:253], -v[116:117]
	v_add_f64 v[254:255], v[254:255], -v[125:126]
	v_dual_mov_b32 v26, v40 :: v_dual_mov_b32 v27, v41
.LBB52_440:
	s_or_b32 exec_lo, exec_lo, s2
	v_lshl_add_u32 v40, v124, 4, v118
	s_barrier
	buffer_gl0_inv
	v_mov_b32_e32 v116, 21
	ds_store_2addr_b64 v40, v[20:21], v[22:23] offset1:1
	s_waitcnt lgkmcnt(0)
	s_barrier
	buffer_gl0_inv
	ds_load_2addr_b64 v[108:111], v118 offset0:42 offset1:43
	s_cmp_lt_i32 s5, 23
	s_cbranch_scc1 .LBB52_443
; %bb.441:
	v_add3_u32 v117, v120, 0, 0x160
	v_mov_b32_e32 v116, 21
	s_mov_b32 s6, 22
	s_set_inst_prefetch_distance 0x1
	.p2align	6
.LBB52_442:                             ; =>This Inner Loop Header: Depth=1
	ds_load_2addr_b64 v[125:128], v117 offset1:1
	s_waitcnt lgkmcnt(1)
	v_cmp_gt_f64_e32 vcc_lo, 0, v[108:109]
	v_xor_b32_e32 v40, 0x80000000, v109
	v_cmp_gt_f64_e64 s2, 0, v[110:111]
	v_xor_b32_e32 v42, 0x80000000, v111
	v_add_nc_u32_e32 v117, 16, v117
	s_waitcnt lgkmcnt(0)
	v_cmp_gt_f64_e64 s3, 0, v[125:126]
	v_mov_b32_e32 v44, v125
	v_dual_mov_b32 v46, v127 :: v_dual_cndmask_b32 v41, v109, v40
	v_xor_b32_e32 v40, 0x80000000, v126
	v_cndmask_b32_e64 v43, v111, v42, s2
	v_xor_b32_e32 v42, 0x80000000, v128
	s_delay_alu instid0(VALU_DEP_3) | instskip(SKIP_2) | instid1(VALU_DEP_2)
	v_cndmask_b32_e64 v45, v126, v40, s3
	v_cmp_gt_f64_e64 s3, 0, v[127:128]
	v_cndmask_b32_e32 v40, v108, v108, vcc_lo
	v_cndmask_b32_e64 v47, v128, v42, s3
	v_cndmask_b32_e64 v42, v110, v110, s2
	s_delay_alu instid0(VALU_DEP_2) | instskip(NEXT) | instid1(VALU_DEP_2)
	v_add_f64 v[44:45], v[44:45], v[46:47]
	v_add_f64 v[40:41], v[40:41], v[42:43]
	s_delay_alu instid0(VALU_DEP_1) | instskip(SKIP_4) | instid1(SALU_CYCLE_1)
	v_cmp_lt_f64_e32 vcc_lo, v[40:41], v[44:45]
	v_dual_cndmask_b32 v109, v109, v126 :: v_dual_cndmask_b32 v108, v108, v125
	v_dual_cndmask_b32 v111, v111, v128 :: v_dual_cndmask_b32 v110, v110, v127
	v_cndmask_b32_e64 v116, v116, s6, vcc_lo
	s_add_i32 s6, s6, 1
	s_cmp_lg_u32 s5, s6
	s_cbranch_scc1 .LBB52_442
.LBB52_443:
	s_set_inst_prefetch_distance 0x2
	s_waitcnt lgkmcnt(0)
	v_cmp_eq_f64_e32 vcc_lo, 0, v[108:109]
	v_cmp_eq_f64_e64 s2, 0, v[110:111]
	s_delay_alu instid0(VALU_DEP_1) | instskip(NEXT) | instid1(SALU_CYCLE_1)
	s_and_b32 s2, vcc_lo, s2
	s_and_saveexec_b32 s3, s2
	s_delay_alu instid0(SALU_CYCLE_1)
	s_xor_b32 s2, exec_lo, s3
; %bb.444:
	v_cmp_ne_u32_e32 vcc_lo, 0, v123
	v_cndmask_b32_e32 v123, 22, v123, vcc_lo
; %bb.445:
	s_and_not1_saveexec_b32 s3, s2
	s_cbranch_execz .LBB52_451
; %bb.446:
	v_cmp_gt_f64_e32 vcc_lo, 0, v[108:109]
	v_cmp_gt_f64_e64 s2, 0, v[110:111]
	v_xor_b32_e32 v40, 0x80000000, v109
	v_xor_b32_e32 v42, 0x80000000, v111
	s_delay_alu instid0(VALU_DEP_2) | instskip(NEXT) | instid1(VALU_DEP_2)
	v_cndmask_b32_e32 v41, v109, v40, vcc_lo
	v_cndmask_b32_e64 v43, v111, v42, s2
	v_cndmask_b32_e32 v40, v108, v108, vcc_lo
	v_cndmask_b32_e64 v42, v110, v110, s2
	s_mov_b32 s2, exec_lo
	s_delay_alu instid0(VALU_DEP_1)
	v_cmpx_ngt_f64_e32 v[40:41], v[42:43]
	s_xor_b32 s2, exec_lo, s2
	s_cbranch_execz .LBB52_448
; %bb.447:
	v_div_scale_f64 v[40:41], null, v[110:111], v[110:111], v[108:109]
	v_div_scale_f64 v[46:47], vcc_lo, v[108:109], v[110:111], v[108:109]
	s_delay_alu instid0(VALU_DEP_2) | instskip(SKIP_2) | instid1(VALU_DEP_1)
	v_rcp_f64_e32 v[42:43], v[40:41]
	s_waitcnt_depctr 0xfff
	v_fma_f64 v[44:45], -v[40:41], v[42:43], 1.0
	v_fma_f64 v[42:43], v[42:43], v[44:45], v[42:43]
	s_delay_alu instid0(VALU_DEP_1) | instskip(NEXT) | instid1(VALU_DEP_1)
	v_fma_f64 v[44:45], -v[40:41], v[42:43], 1.0
	v_fma_f64 v[42:43], v[42:43], v[44:45], v[42:43]
	s_delay_alu instid0(VALU_DEP_1) | instskip(NEXT) | instid1(VALU_DEP_1)
	v_mul_f64 v[44:45], v[46:47], v[42:43]
	v_fma_f64 v[40:41], -v[40:41], v[44:45], v[46:47]
	s_delay_alu instid0(VALU_DEP_1) | instskip(NEXT) | instid1(VALU_DEP_1)
	v_div_fmas_f64 v[40:41], v[40:41], v[42:43], v[44:45]
	v_div_fixup_f64 v[40:41], v[40:41], v[110:111], v[108:109]
	s_delay_alu instid0(VALU_DEP_1) | instskip(NEXT) | instid1(VALU_DEP_1)
	v_fma_f64 v[42:43], v[108:109], v[40:41], v[110:111]
	v_div_scale_f64 v[44:45], null, v[42:43], v[42:43], 1.0
	s_delay_alu instid0(VALU_DEP_1) | instskip(SKIP_2) | instid1(VALU_DEP_1)
	v_rcp_f64_e32 v[46:47], v[44:45]
	s_waitcnt_depctr 0xfff
	v_fma_f64 v[100:101], -v[44:45], v[46:47], 1.0
	v_fma_f64 v[46:47], v[46:47], v[100:101], v[46:47]
	s_delay_alu instid0(VALU_DEP_1) | instskip(NEXT) | instid1(VALU_DEP_1)
	v_fma_f64 v[100:101], -v[44:45], v[46:47], 1.0
	v_fma_f64 v[46:47], v[46:47], v[100:101], v[46:47]
	v_div_scale_f64 v[100:101], vcc_lo, 1.0, v[42:43], 1.0
	s_delay_alu instid0(VALU_DEP_1) | instskip(NEXT) | instid1(VALU_DEP_1)
	v_mul_f64 v[102:103], v[100:101], v[46:47]
	v_fma_f64 v[44:45], -v[44:45], v[102:103], v[100:101]
	s_delay_alu instid0(VALU_DEP_1) | instskip(NEXT) | instid1(VALU_DEP_1)
	v_div_fmas_f64 v[44:45], v[44:45], v[46:47], v[102:103]
	v_div_fixup_f64 v[110:111], v[44:45], v[42:43], 1.0
	s_delay_alu instid0(VALU_DEP_1)
	v_mul_f64 v[108:109], v[40:41], v[110:111]
	v_xor_b32_e32 v111, 0x80000000, v111
.LBB52_448:
	s_and_not1_saveexec_b32 s2, s2
	s_cbranch_execz .LBB52_450
; %bb.449:
	s_delay_alu instid0(VALU_DEP_1) | instskip(SKIP_1) | instid1(VALU_DEP_2)
	v_div_scale_f64 v[40:41], null, v[108:109], v[108:109], v[110:111]
	v_div_scale_f64 v[46:47], vcc_lo, v[110:111], v[108:109], v[110:111]
	v_rcp_f64_e32 v[42:43], v[40:41]
	s_waitcnt_depctr 0xfff
	v_fma_f64 v[44:45], -v[40:41], v[42:43], 1.0
	s_delay_alu instid0(VALU_DEP_1) | instskip(NEXT) | instid1(VALU_DEP_1)
	v_fma_f64 v[42:43], v[42:43], v[44:45], v[42:43]
	v_fma_f64 v[44:45], -v[40:41], v[42:43], 1.0
	s_delay_alu instid0(VALU_DEP_1) | instskip(NEXT) | instid1(VALU_DEP_1)
	v_fma_f64 v[42:43], v[42:43], v[44:45], v[42:43]
	v_mul_f64 v[44:45], v[46:47], v[42:43]
	s_delay_alu instid0(VALU_DEP_1) | instskip(NEXT) | instid1(VALU_DEP_1)
	v_fma_f64 v[40:41], -v[40:41], v[44:45], v[46:47]
	v_div_fmas_f64 v[40:41], v[40:41], v[42:43], v[44:45]
	s_delay_alu instid0(VALU_DEP_1) | instskip(NEXT) | instid1(VALU_DEP_1)
	v_div_fixup_f64 v[40:41], v[40:41], v[108:109], v[110:111]
	v_fma_f64 v[42:43], v[110:111], v[40:41], v[108:109]
	s_delay_alu instid0(VALU_DEP_1) | instskip(NEXT) | instid1(VALU_DEP_1)
	v_div_scale_f64 v[44:45], null, v[42:43], v[42:43], 1.0
	v_rcp_f64_e32 v[46:47], v[44:45]
	s_waitcnt_depctr 0xfff
	v_fma_f64 v[100:101], -v[44:45], v[46:47], 1.0
	s_delay_alu instid0(VALU_DEP_1) | instskip(NEXT) | instid1(VALU_DEP_1)
	v_fma_f64 v[46:47], v[46:47], v[100:101], v[46:47]
	v_fma_f64 v[100:101], -v[44:45], v[46:47], 1.0
	s_delay_alu instid0(VALU_DEP_1) | instskip(SKIP_1) | instid1(VALU_DEP_1)
	v_fma_f64 v[46:47], v[46:47], v[100:101], v[46:47]
	v_div_scale_f64 v[100:101], vcc_lo, 1.0, v[42:43], 1.0
	v_mul_f64 v[102:103], v[100:101], v[46:47]
	s_delay_alu instid0(VALU_DEP_1) | instskip(NEXT) | instid1(VALU_DEP_1)
	v_fma_f64 v[44:45], -v[44:45], v[102:103], v[100:101]
	v_div_fmas_f64 v[44:45], v[44:45], v[46:47], v[102:103]
	s_delay_alu instid0(VALU_DEP_1) | instskip(NEXT) | instid1(VALU_DEP_1)
	v_div_fixup_f64 v[108:109], v[44:45], v[42:43], 1.0
	v_mul_f64 v[110:111], v[40:41], -v[108:109]
.LBB52_450:
	s_or_b32 exec_lo, exec_lo, s2
.LBB52_451:
	s_delay_alu instid0(SALU_CYCLE_1) | instskip(NEXT) | instid1(SALU_CYCLE_1)
	s_or_b32 exec_lo, exec_lo, s3
	s_mov_b32 s2, exec_lo
	v_cmpx_ne_u32_e64 v124, v116
	s_xor_b32 s2, exec_lo, s2
	s_cbranch_execz .LBB52_457
; %bb.452:
	s_mov_b32 s3, exec_lo
	v_cmpx_eq_u32_e32 21, v124
	s_cbranch_execz .LBB52_456
; %bb.453:
	v_cmp_ne_u32_e32 vcc_lo, 21, v116
	s_xor_b32 s6, s4, -1
	s_delay_alu instid0(SALU_CYCLE_1) | instskip(NEXT) | instid1(SALU_CYCLE_1)
	s_and_b32 s7, s6, vcc_lo
	s_and_saveexec_b32 s6, s7
	s_cbranch_execz .LBB52_455
; %bb.454:
	scratch_load_b64 v[44:45], off, off offset:48 ; 8-byte Folded Reload
	v_ashrrev_i32_e32 v117, 31, v116
	s_delay_alu instid0(VALU_DEP_1) | instskip(SKIP_1) | instid1(VALU_DEP_1)
	v_lshlrev_b64 v[40:41], 2, v[116:117]
	s_waitcnt vmcnt(0)
	v_add_co_u32 v40, vcc_lo, v44, v40
	s_delay_alu instid0(VALU_DEP_2)
	v_add_co_ci_u32_e32 v41, vcc_lo, v45, v41, vcc_lo
	s_clause 0x1
	flat_load_b32 v42, v[40:41]
	flat_load_b32 v43, v[44:45] offset:84
	s_waitcnt vmcnt(1) lgkmcnt(1)
	flat_store_b32 v[44:45], v42 offset:84
	s_waitcnt vmcnt(0) lgkmcnt(1)
	flat_store_b32 v[40:41], v43
.LBB52_455:
	s_or_b32 exec_lo, exec_lo, s6
	v_mov_b32_e32 v124, v116
	v_mov_b32_e32 v119, v116
.LBB52_456:
	s_or_b32 exec_lo, exec_lo, s3
.LBB52_457:
	s_and_not1_saveexec_b32 s2, s2
	s_cbranch_execz .LBB52_459
; %bb.458:
	v_mov_b32_e32 v124, 21
	ds_store_2addr_b64 v118, v[16:17], v[18:19] offset0:44 offset1:45
	ds_store_2addr_b64 v118, v[12:13], v[14:15] offset0:46 offset1:47
	;; [unrolled: 1-line block ×5, first 2 shown]
.LBB52_459:
	s_or_b32 exec_lo, exec_lo, s2
	s_delay_alu instid0(SALU_CYCLE_1)
	s_mov_b32 s2, exec_lo
	s_waitcnt lgkmcnt(0)
	s_waitcnt_vscnt null, 0x0
	s_barrier
	buffer_gl0_inv
	v_cmpx_lt_i32_e32 21, v124
	s_cbranch_execz .LBB52_461
; %bb.460:
	v_mul_f64 v[40:41], v[108:109], v[22:23]
	v_mul_f64 v[22:23], v[110:111], v[22:23]
	ds_load_2addr_b64 v[125:128], v118 offset0:44 offset1:45
	ds_load_2addr_b64 v[129:132], v118 offset0:46 offset1:47
	;; [unrolled: 1-line block ×5, first 2 shown]
	v_fma_f64 v[40:41], v[110:111], v[20:21], v[40:41]
	v_fma_f64 v[20:21], v[108:109], v[20:21], -v[22:23]
	s_waitcnt lgkmcnt(4)
	s_delay_alu instid0(VALU_DEP_2)
	v_mul_f64 v[22:23], v[127:128], v[40:41]
	v_mul_f64 v[42:43], v[125:126], v[40:41]
	s_waitcnt lgkmcnt(3)
	v_mul_f64 v[44:45], v[131:132], v[40:41]
	v_mul_f64 v[46:47], v[129:130], v[40:41]
	s_waitcnt lgkmcnt(2)
	;; [unrolled: 3-line block ×4, first 2 shown]
	v_mul_f64 v[112:113], v[143:144], v[40:41]
	v_mul_f64 v[114:115], v[141:142], v[40:41]
	v_fma_f64 v[22:23], v[125:126], v[20:21], -v[22:23]
	v_fma_f64 v[42:43], v[127:128], v[20:21], v[42:43]
	v_fma_f64 v[44:45], v[129:130], v[20:21], -v[44:45]
	v_fma_f64 v[46:47], v[131:132], v[20:21], v[46:47]
	;; [unrolled: 2-line block ×5, first 2 shown]
	v_add_f64 v[16:17], v[16:17], -v[22:23]
	v_add_f64 v[18:19], v[18:19], -v[42:43]
	;; [unrolled: 1-line block ×10, first 2 shown]
	v_dual_mov_b32 v22, v40 :: v_dual_mov_b32 v23, v41
.LBB52_461:
	s_or_b32 exec_lo, exec_lo, s2
	v_lshl_add_u32 v40, v124, 4, v118
	s_barrier
	buffer_gl0_inv
	v_mov_b32_e32 v116, 22
	ds_store_2addr_b64 v40, v[16:17], v[18:19] offset1:1
	s_waitcnt lgkmcnt(0)
	s_barrier
	buffer_gl0_inv
	ds_load_2addr_b64 v[108:111], v118 offset0:44 offset1:45
	s_cmp_lt_i32 s5, 24
	s_cbranch_scc1 .LBB52_464
; %bb.462:
	v_add3_u32 v117, v120, 0, 0x170
	v_mov_b32_e32 v116, 22
	s_mov_b32 s6, 23
	s_set_inst_prefetch_distance 0x1
	.p2align	6
.LBB52_463:                             ; =>This Inner Loop Header: Depth=1
	ds_load_2addr_b64 v[125:128], v117 offset1:1
	s_waitcnt lgkmcnt(1)
	v_cmp_gt_f64_e32 vcc_lo, 0, v[108:109]
	v_xor_b32_e32 v40, 0x80000000, v109
	v_cmp_gt_f64_e64 s2, 0, v[110:111]
	v_xor_b32_e32 v42, 0x80000000, v111
	v_add_nc_u32_e32 v117, 16, v117
	s_waitcnt lgkmcnt(0)
	v_cmp_gt_f64_e64 s3, 0, v[125:126]
	v_mov_b32_e32 v44, v125
	v_dual_mov_b32 v46, v127 :: v_dual_cndmask_b32 v41, v109, v40
	v_xor_b32_e32 v40, 0x80000000, v126
	v_cndmask_b32_e64 v43, v111, v42, s2
	v_xor_b32_e32 v42, 0x80000000, v128
	s_delay_alu instid0(VALU_DEP_3) | instskip(SKIP_2) | instid1(VALU_DEP_2)
	v_cndmask_b32_e64 v45, v126, v40, s3
	v_cmp_gt_f64_e64 s3, 0, v[127:128]
	v_cndmask_b32_e32 v40, v108, v108, vcc_lo
	v_cndmask_b32_e64 v47, v128, v42, s3
	v_cndmask_b32_e64 v42, v110, v110, s2
	s_delay_alu instid0(VALU_DEP_2) | instskip(NEXT) | instid1(VALU_DEP_2)
	v_add_f64 v[44:45], v[44:45], v[46:47]
	v_add_f64 v[40:41], v[40:41], v[42:43]
	s_delay_alu instid0(VALU_DEP_1) | instskip(SKIP_4) | instid1(SALU_CYCLE_1)
	v_cmp_lt_f64_e32 vcc_lo, v[40:41], v[44:45]
	v_dual_cndmask_b32 v109, v109, v126 :: v_dual_cndmask_b32 v108, v108, v125
	v_dual_cndmask_b32 v111, v111, v128 :: v_dual_cndmask_b32 v110, v110, v127
	v_cndmask_b32_e64 v116, v116, s6, vcc_lo
	s_add_i32 s6, s6, 1
	s_cmp_lg_u32 s5, s6
	s_cbranch_scc1 .LBB52_463
.LBB52_464:
	s_set_inst_prefetch_distance 0x2
	s_waitcnt lgkmcnt(0)
	v_cmp_eq_f64_e32 vcc_lo, 0, v[108:109]
	v_cmp_eq_f64_e64 s2, 0, v[110:111]
	s_delay_alu instid0(VALU_DEP_1) | instskip(NEXT) | instid1(SALU_CYCLE_1)
	s_and_b32 s2, vcc_lo, s2
	s_and_saveexec_b32 s3, s2
	s_delay_alu instid0(SALU_CYCLE_1)
	s_xor_b32 s2, exec_lo, s3
; %bb.465:
	v_cmp_ne_u32_e32 vcc_lo, 0, v123
	v_cndmask_b32_e32 v123, 23, v123, vcc_lo
; %bb.466:
	s_and_not1_saveexec_b32 s3, s2
	s_cbranch_execz .LBB52_472
; %bb.467:
	v_cmp_gt_f64_e32 vcc_lo, 0, v[108:109]
	v_cmp_gt_f64_e64 s2, 0, v[110:111]
	v_xor_b32_e32 v40, 0x80000000, v109
	v_xor_b32_e32 v42, 0x80000000, v111
	s_delay_alu instid0(VALU_DEP_2) | instskip(NEXT) | instid1(VALU_DEP_2)
	v_cndmask_b32_e32 v41, v109, v40, vcc_lo
	v_cndmask_b32_e64 v43, v111, v42, s2
	v_cndmask_b32_e32 v40, v108, v108, vcc_lo
	v_cndmask_b32_e64 v42, v110, v110, s2
	s_mov_b32 s2, exec_lo
	s_delay_alu instid0(VALU_DEP_1)
	v_cmpx_ngt_f64_e32 v[40:41], v[42:43]
	s_xor_b32 s2, exec_lo, s2
	s_cbranch_execz .LBB52_469
; %bb.468:
	v_div_scale_f64 v[40:41], null, v[110:111], v[110:111], v[108:109]
	v_div_scale_f64 v[46:47], vcc_lo, v[108:109], v[110:111], v[108:109]
	s_delay_alu instid0(VALU_DEP_2) | instskip(SKIP_2) | instid1(VALU_DEP_1)
	v_rcp_f64_e32 v[42:43], v[40:41]
	s_waitcnt_depctr 0xfff
	v_fma_f64 v[44:45], -v[40:41], v[42:43], 1.0
	v_fma_f64 v[42:43], v[42:43], v[44:45], v[42:43]
	s_delay_alu instid0(VALU_DEP_1) | instskip(NEXT) | instid1(VALU_DEP_1)
	v_fma_f64 v[44:45], -v[40:41], v[42:43], 1.0
	v_fma_f64 v[42:43], v[42:43], v[44:45], v[42:43]
	s_delay_alu instid0(VALU_DEP_1) | instskip(NEXT) | instid1(VALU_DEP_1)
	v_mul_f64 v[44:45], v[46:47], v[42:43]
	v_fma_f64 v[40:41], -v[40:41], v[44:45], v[46:47]
	s_delay_alu instid0(VALU_DEP_1) | instskip(NEXT) | instid1(VALU_DEP_1)
	v_div_fmas_f64 v[40:41], v[40:41], v[42:43], v[44:45]
	v_div_fixup_f64 v[40:41], v[40:41], v[110:111], v[108:109]
	s_delay_alu instid0(VALU_DEP_1) | instskip(NEXT) | instid1(VALU_DEP_1)
	v_fma_f64 v[42:43], v[108:109], v[40:41], v[110:111]
	v_div_scale_f64 v[44:45], null, v[42:43], v[42:43], 1.0
	s_delay_alu instid0(VALU_DEP_1) | instskip(SKIP_2) | instid1(VALU_DEP_1)
	v_rcp_f64_e32 v[46:47], v[44:45]
	s_waitcnt_depctr 0xfff
	v_fma_f64 v[100:101], -v[44:45], v[46:47], 1.0
	v_fma_f64 v[46:47], v[46:47], v[100:101], v[46:47]
	s_delay_alu instid0(VALU_DEP_1) | instskip(NEXT) | instid1(VALU_DEP_1)
	v_fma_f64 v[100:101], -v[44:45], v[46:47], 1.0
	v_fma_f64 v[46:47], v[46:47], v[100:101], v[46:47]
	v_div_scale_f64 v[100:101], vcc_lo, 1.0, v[42:43], 1.0
	s_delay_alu instid0(VALU_DEP_1) | instskip(NEXT) | instid1(VALU_DEP_1)
	v_mul_f64 v[102:103], v[100:101], v[46:47]
	v_fma_f64 v[44:45], -v[44:45], v[102:103], v[100:101]
	s_delay_alu instid0(VALU_DEP_1) | instskip(NEXT) | instid1(VALU_DEP_1)
	v_div_fmas_f64 v[44:45], v[44:45], v[46:47], v[102:103]
	v_div_fixup_f64 v[110:111], v[44:45], v[42:43], 1.0
	s_delay_alu instid0(VALU_DEP_1)
	v_mul_f64 v[108:109], v[40:41], v[110:111]
	v_xor_b32_e32 v111, 0x80000000, v111
.LBB52_469:
	s_and_not1_saveexec_b32 s2, s2
	s_cbranch_execz .LBB52_471
; %bb.470:
	s_delay_alu instid0(VALU_DEP_1) | instskip(SKIP_1) | instid1(VALU_DEP_2)
	v_div_scale_f64 v[40:41], null, v[108:109], v[108:109], v[110:111]
	v_div_scale_f64 v[46:47], vcc_lo, v[110:111], v[108:109], v[110:111]
	v_rcp_f64_e32 v[42:43], v[40:41]
	s_waitcnt_depctr 0xfff
	v_fma_f64 v[44:45], -v[40:41], v[42:43], 1.0
	s_delay_alu instid0(VALU_DEP_1) | instskip(NEXT) | instid1(VALU_DEP_1)
	v_fma_f64 v[42:43], v[42:43], v[44:45], v[42:43]
	v_fma_f64 v[44:45], -v[40:41], v[42:43], 1.0
	s_delay_alu instid0(VALU_DEP_1) | instskip(NEXT) | instid1(VALU_DEP_1)
	v_fma_f64 v[42:43], v[42:43], v[44:45], v[42:43]
	v_mul_f64 v[44:45], v[46:47], v[42:43]
	s_delay_alu instid0(VALU_DEP_1) | instskip(NEXT) | instid1(VALU_DEP_1)
	v_fma_f64 v[40:41], -v[40:41], v[44:45], v[46:47]
	v_div_fmas_f64 v[40:41], v[40:41], v[42:43], v[44:45]
	s_delay_alu instid0(VALU_DEP_1) | instskip(NEXT) | instid1(VALU_DEP_1)
	v_div_fixup_f64 v[40:41], v[40:41], v[108:109], v[110:111]
	v_fma_f64 v[42:43], v[110:111], v[40:41], v[108:109]
	s_delay_alu instid0(VALU_DEP_1) | instskip(NEXT) | instid1(VALU_DEP_1)
	v_div_scale_f64 v[44:45], null, v[42:43], v[42:43], 1.0
	v_rcp_f64_e32 v[46:47], v[44:45]
	s_waitcnt_depctr 0xfff
	v_fma_f64 v[100:101], -v[44:45], v[46:47], 1.0
	s_delay_alu instid0(VALU_DEP_1) | instskip(NEXT) | instid1(VALU_DEP_1)
	v_fma_f64 v[46:47], v[46:47], v[100:101], v[46:47]
	v_fma_f64 v[100:101], -v[44:45], v[46:47], 1.0
	s_delay_alu instid0(VALU_DEP_1) | instskip(SKIP_1) | instid1(VALU_DEP_1)
	v_fma_f64 v[46:47], v[46:47], v[100:101], v[46:47]
	v_div_scale_f64 v[100:101], vcc_lo, 1.0, v[42:43], 1.0
	v_mul_f64 v[102:103], v[100:101], v[46:47]
	s_delay_alu instid0(VALU_DEP_1) | instskip(NEXT) | instid1(VALU_DEP_1)
	v_fma_f64 v[44:45], -v[44:45], v[102:103], v[100:101]
	v_div_fmas_f64 v[44:45], v[44:45], v[46:47], v[102:103]
	s_delay_alu instid0(VALU_DEP_1) | instskip(NEXT) | instid1(VALU_DEP_1)
	v_div_fixup_f64 v[108:109], v[44:45], v[42:43], 1.0
	v_mul_f64 v[110:111], v[40:41], -v[108:109]
.LBB52_471:
	s_or_b32 exec_lo, exec_lo, s2
.LBB52_472:
	s_delay_alu instid0(SALU_CYCLE_1) | instskip(NEXT) | instid1(SALU_CYCLE_1)
	s_or_b32 exec_lo, exec_lo, s3
	s_mov_b32 s2, exec_lo
	v_cmpx_ne_u32_e64 v124, v116
	s_xor_b32 s2, exec_lo, s2
	s_cbranch_execz .LBB52_478
; %bb.473:
	s_mov_b32 s3, exec_lo
	v_cmpx_eq_u32_e32 22, v124
	s_cbranch_execz .LBB52_477
; %bb.474:
	v_cmp_ne_u32_e32 vcc_lo, 22, v116
	s_xor_b32 s6, s4, -1
	s_delay_alu instid0(SALU_CYCLE_1) | instskip(NEXT) | instid1(SALU_CYCLE_1)
	s_and_b32 s7, s6, vcc_lo
	s_and_saveexec_b32 s6, s7
	s_cbranch_execz .LBB52_476
; %bb.475:
	scratch_load_b64 v[44:45], off, off offset:48 ; 8-byte Folded Reload
	v_ashrrev_i32_e32 v117, 31, v116
	s_delay_alu instid0(VALU_DEP_1) | instskip(SKIP_1) | instid1(VALU_DEP_1)
	v_lshlrev_b64 v[40:41], 2, v[116:117]
	s_waitcnt vmcnt(0)
	v_add_co_u32 v40, vcc_lo, v44, v40
	s_delay_alu instid0(VALU_DEP_2)
	v_add_co_ci_u32_e32 v41, vcc_lo, v45, v41, vcc_lo
	s_clause 0x1
	flat_load_b32 v42, v[40:41]
	flat_load_b32 v43, v[44:45] offset:88
	s_waitcnt vmcnt(1) lgkmcnt(1)
	flat_store_b32 v[44:45], v42 offset:88
	s_waitcnt vmcnt(0) lgkmcnt(1)
	flat_store_b32 v[40:41], v43
.LBB52_476:
	s_or_b32 exec_lo, exec_lo, s6
	v_mov_b32_e32 v124, v116
	v_mov_b32_e32 v119, v116
.LBB52_477:
	s_or_b32 exec_lo, exec_lo, s3
.LBB52_478:
	s_and_not1_saveexec_b32 s2, s2
	s_cbranch_execz .LBB52_480
; %bb.479:
	v_mov_b32_e32 v124, 22
	ds_store_2addr_b64 v118, v[12:13], v[14:15] offset0:46 offset1:47
	ds_store_2addr_b64 v118, v[8:9], v[10:11] offset0:48 offset1:49
	;; [unrolled: 1-line block ×4, first 2 shown]
.LBB52_480:
	s_or_b32 exec_lo, exec_lo, s2
	s_delay_alu instid0(SALU_CYCLE_1)
	s_mov_b32 s2, exec_lo
	s_waitcnt lgkmcnt(0)
	s_waitcnt_vscnt null, 0x0
	s_barrier
	buffer_gl0_inv
	v_cmpx_lt_i32_e32 22, v124
	s_cbranch_execz .LBB52_482
; %bb.481:
	v_mul_f64 v[40:41], v[108:109], v[18:19]
	v_mul_f64 v[18:19], v[110:111], v[18:19]
	ds_load_2addr_b64 v[125:128], v118 offset0:46 offset1:47
	ds_load_2addr_b64 v[129:132], v118 offset0:48 offset1:49
	;; [unrolled: 1-line block ×4, first 2 shown]
	v_fma_f64 v[40:41], v[110:111], v[16:17], v[40:41]
	v_fma_f64 v[16:17], v[108:109], v[16:17], -v[18:19]
	s_waitcnt lgkmcnt(3)
	s_delay_alu instid0(VALU_DEP_2)
	v_mul_f64 v[18:19], v[127:128], v[40:41]
	v_mul_f64 v[42:43], v[125:126], v[40:41]
	s_waitcnt lgkmcnt(2)
	v_mul_f64 v[44:45], v[131:132], v[40:41]
	v_mul_f64 v[46:47], v[129:130], v[40:41]
	s_waitcnt lgkmcnt(1)
	;; [unrolled: 3-line block ×3, first 2 shown]
	v_mul_f64 v[108:109], v[139:140], v[40:41]
	v_mul_f64 v[110:111], v[137:138], v[40:41]
	v_fma_f64 v[18:19], v[125:126], v[16:17], -v[18:19]
	v_fma_f64 v[42:43], v[127:128], v[16:17], v[42:43]
	v_fma_f64 v[44:45], v[129:130], v[16:17], -v[44:45]
	v_fma_f64 v[46:47], v[131:132], v[16:17], v[46:47]
	;; [unrolled: 2-line block ×4, first 2 shown]
	v_add_f64 v[12:13], v[12:13], -v[18:19]
	v_add_f64 v[14:15], v[14:15], -v[42:43]
	;; [unrolled: 1-line block ×8, first 2 shown]
	v_dual_mov_b32 v18, v40 :: v_dual_mov_b32 v19, v41
.LBB52_482:
	s_or_b32 exec_lo, exec_lo, s2
	v_lshl_add_u32 v40, v124, 4, v118
	s_barrier
	buffer_gl0_inv
	v_mov_b32_e32 v116, 23
	ds_store_2addr_b64 v40, v[12:13], v[14:15] offset1:1
	s_waitcnt lgkmcnt(0)
	s_barrier
	buffer_gl0_inv
	ds_load_2addr_b64 v[108:111], v118 offset0:46 offset1:47
	s_cmp_lt_i32 s5, 25
	s_cbranch_scc1 .LBB52_485
; %bb.483:
	v_add3_u32 v117, v120, 0, 0x180
	v_mov_b32_e32 v116, 23
	s_mov_b32 s6, 24
	s_set_inst_prefetch_distance 0x1
	.p2align	6
.LBB52_484:                             ; =>This Inner Loop Header: Depth=1
	ds_load_2addr_b64 v[125:128], v117 offset1:1
	s_waitcnt lgkmcnt(1)
	v_cmp_gt_f64_e32 vcc_lo, 0, v[108:109]
	v_xor_b32_e32 v40, 0x80000000, v109
	v_cmp_gt_f64_e64 s2, 0, v[110:111]
	v_xor_b32_e32 v42, 0x80000000, v111
	v_add_nc_u32_e32 v117, 16, v117
	s_waitcnt lgkmcnt(0)
	v_cmp_gt_f64_e64 s3, 0, v[125:126]
	v_mov_b32_e32 v44, v125
	v_dual_mov_b32 v46, v127 :: v_dual_cndmask_b32 v41, v109, v40
	v_xor_b32_e32 v40, 0x80000000, v126
	v_cndmask_b32_e64 v43, v111, v42, s2
	v_xor_b32_e32 v42, 0x80000000, v128
	s_delay_alu instid0(VALU_DEP_3) | instskip(SKIP_2) | instid1(VALU_DEP_2)
	v_cndmask_b32_e64 v45, v126, v40, s3
	v_cmp_gt_f64_e64 s3, 0, v[127:128]
	v_cndmask_b32_e32 v40, v108, v108, vcc_lo
	v_cndmask_b32_e64 v47, v128, v42, s3
	v_cndmask_b32_e64 v42, v110, v110, s2
	s_delay_alu instid0(VALU_DEP_2) | instskip(NEXT) | instid1(VALU_DEP_2)
	v_add_f64 v[44:45], v[44:45], v[46:47]
	v_add_f64 v[40:41], v[40:41], v[42:43]
	s_delay_alu instid0(VALU_DEP_1) | instskip(SKIP_4) | instid1(SALU_CYCLE_1)
	v_cmp_lt_f64_e32 vcc_lo, v[40:41], v[44:45]
	v_dual_cndmask_b32 v109, v109, v126 :: v_dual_cndmask_b32 v108, v108, v125
	v_dual_cndmask_b32 v111, v111, v128 :: v_dual_cndmask_b32 v110, v110, v127
	v_cndmask_b32_e64 v116, v116, s6, vcc_lo
	s_add_i32 s6, s6, 1
	s_cmp_lg_u32 s5, s6
	s_cbranch_scc1 .LBB52_484
.LBB52_485:
	s_set_inst_prefetch_distance 0x2
	s_waitcnt lgkmcnt(0)
	v_cmp_eq_f64_e32 vcc_lo, 0, v[108:109]
	v_cmp_eq_f64_e64 s2, 0, v[110:111]
	s_delay_alu instid0(VALU_DEP_1) | instskip(NEXT) | instid1(SALU_CYCLE_1)
	s_and_b32 s2, vcc_lo, s2
	s_and_saveexec_b32 s3, s2
	s_delay_alu instid0(SALU_CYCLE_1)
	s_xor_b32 s2, exec_lo, s3
; %bb.486:
	v_cmp_ne_u32_e32 vcc_lo, 0, v123
	v_cndmask_b32_e32 v123, 24, v123, vcc_lo
; %bb.487:
	s_and_not1_saveexec_b32 s3, s2
	s_cbranch_execz .LBB52_493
; %bb.488:
	v_cmp_gt_f64_e32 vcc_lo, 0, v[108:109]
	v_cmp_gt_f64_e64 s2, 0, v[110:111]
	v_xor_b32_e32 v40, 0x80000000, v109
	v_xor_b32_e32 v42, 0x80000000, v111
	s_delay_alu instid0(VALU_DEP_2) | instskip(NEXT) | instid1(VALU_DEP_2)
	v_cndmask_b32_e32 v41, v109, v40, vcc_lo
	v_cndmask_b32_e64 v43, v111, v42, s2
	v_cndmask_b32_e32 v40, v108, v108, vcc_lo
	v_cndmask_b32_e64 v42, v110, v110, s2
	s_mov_b32 s2, exec_lo
	s_delay_alu instid0(VALU_DEP_1)
	v_cmpx_ngt_f64_e32 v[40:41], v[42:43]
	s_xor_b32 s2, exec_lo, s2
	s_cbranch_execz .LBB52_490
; %bb.489:
	v_div_scale_f64 v[40:41], null, v[110:111], v[110:111], v[108:109]
	v_div_scale_f64 v[46:47], vcc_lo, v[108:109], v[110:111], v[108:109]
	s_delay_alu instid0(VALU_DEP_2) | instskip(SKIP_2) | instid1(VALU_DEP_1)
	v_rcp_f64_e32 v[42:43], v[40:41]
	s_waitcnt_depctr 0xfff
	v_fma_f64 v[44:45], -v[40:41], v[42:43], 1.0
	v_fma_f64 v[42:43], v[42:43], v[44:45], v[42:43]
	s_delay_alu instid0(VALU_DEP_1) | instskip(NEXT) | instid1(VALU_DEP_1)
	v_fma_f64 v[44:45], -v[40:41], v[42:43], 1.0
	v_fma_f64 v[42:43], v[42:43], v[44:45], v[42:43]
	s_delay_alu instid0(VALU_DEP_1) | instskip(NEXT) | instid1(VALU_DEP_1)
	v_mul_f64 v[44:45], v[46:47], v[42:43]
	v_fma_f64 v[40:41], -v[40:41], v[44:45], v[46:47]
	s_delay_alu instid0(VALU_DEP_1) | instskip(NEXT) | instid1(VALU_DEP_1)
	v_div_fmas_f64 v[40:41], v[40:41], v[42:43], v[44:45]
	v_div_fixup_f64 v[40:41], v[40:41], v[110:111], v[108:109]
	s_delay_alu instid0(VALU_DEP_1) | instskip(NEXT) | instid1(VALU_DEP_1)
	v_fma_f64 v[42:43], v[108:109], v[40:41], v[110:111]
	v_div_scale_f64 v[44:45], null, v[42:43], v[42:43], 1.0
	s_delay_alu instid0(VALU_DEP_1) | instskip(SKIP_2) | instid1(VALU_DEP_1)
	v_rcp_f64_e32 v[46:47], v[44:45]
	s_waitcnt_depctr 0xfff
	v_fma_f64 v[100:101], -v[44:45], v[46:47], 1.0
	v_fma_f64 v[46:47], v[46:47], v[100:101], v[46:47]
	s_delay_alu instid0(VALU_DEP_1) | instskip(NEXT) | instid1(VALU_DEP_1)
	v_fma_f64 v[100:101], -v[44:45], v[46:47], 1.0
	v_fma_f64 v[46:47], v[46:47], v[100:101], v[46:47]
	v_div_scale_f64 v[100:101], vcc_lo, 1.0, v[42:43], 1.0
	s_delay_alu instid0(VALU_DEP_1) | instskip(NEXT) | instid1(VALU_DEP_1)
	v_mul_f64 v[102:103], v[100:101], v[46:47]
	v_fma_f64 v[44:45], -v[44:45], v[102:103], v[100:101]
	s_delay_alu instid0(VALU_DEP_1) | instskip(NEXT) | instid1(VALU_DEP_1)
	v_div_fmas_f64 v[44:45], v[44:45], v[46:47], v[102:103]
	v_div_fixup_f64 v[110:111], v[44:45], v[42:43], 1.0
	s_delay_alu instid0(VALU_DEP_1)
	v_mul_f64 v[108:109], v[40:41], v[110:111]
	v_xor_b32_e32 v111, 0x80000000, v111
.LBB52_490:
	s_and_not1_saveexec_b32 s2, s2
	s_cbranch_execz .LBB52_492
; %bb.491:
	s_delay_alu instid0(VALU_DEP_1) | instskip(SKIP_1) | instid1(VALU_DEP_2)
	v_div_scale_f64 v[40:41], null, v[108:109], v[108:109], v[110:111]
	v_div_scale_f64 v[46:47], vcc_lo, v[110:111], v[108:109], v[110:111]
	v_rcp_f64_e32 v[42:43], v[40:41]
	s_waitcnt_depctr 0xfff
	v_fma_f64 v[44:45], -v[40:41], v[42:43], 1.0
	s_delay_alu instid0(VALU_DEP_1) | instskip(NEXT) | instid1(VALU_DEP_1)
	v_fma_f64 v[42:43], v[42:43], v[44:45], v[42:43]
	v_fma_f64 v[44:45], -v[40:41], v[42:43], 1.0
	s_delay_alu instid0(VALU_DEP_1) | instskip(NEXT) | instid1(VALU_DEP_1)
	v_fma_f64 v[42:43], v[42:43], v[44:45], v[42:43]
	v_mul_f64 v[44:45], v[46:47], v[42:43]
	s_delay_alu instid0(VALU_DEP_1) | instskip(NEXT) | instid1(VALU_DEP_1)
	v_fma_f64 v[40:41], -v[40:41], v[44:45], v[46:47]
	v_div_fmas_f64 v[40:41], v[40:41], v[42:43], v[44:45]
	s_delay_alu instid0(VALU_DEP_1) | instskip(NEXT) | instid1(VALU_DEP_1)
	v_div_fixup_f64 v[40:41], v[40:41], v[108:109], v[110:111]
	v_fma_f64 v[42:43], v[110:111], v[40:41], v[108:109]
	s_delay_alu instid0(VALU_DEP_1) | instskip(NEXT) | instid1(VALU_DEP_1)
	v_div_scale_f64 v[44:45], null, v[42:43], v[42:43], 1.0
	v_rcp_f64_e32 v[46:47], v[44:45]
	s_waitcnt_depctr 0xfff
	v_fma_f64 v[100:101], -v[44:45], v[46:47], 1.0
	s_delay_alu instid0(VALU_DEP_1) | instskip(NEXT) | instid1(VALU_DEP_1)
	v_fma_f64 v[46:47], v[46:47], v[100:101], v[46:47]
	v_fma_f64 v[100:101], -v[44:45], v[46:47], 1.0
	s_delay_alu instid0(VALU_DEP_1) | instskip(SKIP_1) | instid1(VALU_DEP_1)
	v_fma_f64 v[46:47], v[46:47], v[100:101], v[46:47]
	v_div_scale_f64 v[100:101], vcc_lo, 1.0, v[42:43], 1.0
	v_mul_f64 v[102:103], v[100:101], v[46:47]
	s_delay_alu instid0(VALU_DEP_1) | instskip(NEXT) | instid1(VALU_DEP_1)
	v_fma_f64 v[44:45], -v[44:45], v[102:103], v[100:101]
	v_div_fmas_f64 v[44:45], v[44:45], v[46:47], v[102:103]
	s_delay_alu instid0(VALU_DEP_1) | instskip(NEXT) | instid1(VALU_DEP_1)
	v_div_fixup_f64 v[108:109], v[44:45], v[42:43], 1.0
	v_mul_f64 v[110:111], v[40:41], -v[108:109]
.LBB52_492:
	s_or_b32 exec_lo, exec_lo, s2
.LBB52_493:
	s_delay_alu instid0(SALU_CYCLE_1) | instskip(NEXT) | instid1(SALU_CYCLE_1)
	s_or_b32 exec_lo, exec_lo, s3
	s_mov_b32 s2, exec_lo
	v_cmpx_ne_u32_e64 v124, v116
	s_xor_b32 s2, exec_lo, s2
	s_cbranch_execz .LBB52_499
; %bb.494:
	s_mov_b32 s3, exec_lo
	v_cmpx_eq_u32_e32 23, v124
	s_cbranch_execz .LBB52_498
; %bb.495:
	v_cmp_ne_u32_e32 vcc_lo, 23, v116
	s_xor_b32 s6, s4, -1
	s_delay_alu instid0(SALU_CYCLE_1) | instskip(NEXT) | instid1(SALU_CYCLE_1)
	s_and_b32 s7, s6, vcc_lo
	s_and_saveexec_b32 s6, s7
	s_cbranch_execz .LBB52_497
; %bb.496:
	scratch_load_b64 v[44:45], off, off offset:48 ; 8-byte Folded Reload
	v_ashrrev_i32_e32 v117, 31, v116
	s_delay_alu instid0(VALU_DEP_1) | instskip(SKIP_1) | instid1(VALU_DEP_1)
	v_lshlrev_b64 v[40:41], 2, v[116:117]
	s_waitcnt vmcnt(0)
	v_add_co_u32 v40, vcc_lo, v44, v40
	s_delay_alu instid0(VALU_DEP_2)
	v_add_co_ci_u32_e32 v41, vcc_lo, v45, v41, vcc_lo
	s_clause 0x1
	flat_load_b32 v42, v[40:41]
	flat_load_b32 v43, v[44:45] offset:92
	s_waitcnt vmcnt(1) lgkmcnt(1)
	flat_store_b32 v[44:45], v42 offset:92
	s_waitcnt vmcnt(0) lgkmcnt(1)
	flat_store_b32 v[40:41], v43
.LBB52_497:
	s_or_b32 exec_lo, exec_lo, s6
	v_mov_b32_e32 v124, v116
	v_mov_b32_e32 v119, v116
.LBB52_498:
	s_or_b32 exec_lo, exec_lo, s3
.LBB52_499:
	s_and_not1_saveexec_b32 s2, s2
	s_cbranch_execz .LBB52_501
; %bb.500:
	v_mov_b32_e32 v124, 23
	ds_store_2addr_b64 v118, v[8:9], v[10:11] offset0:48 offset1:49
	ds_store_2addr_b64 v118, v[4:5], v[6:7] offset0:50 offset1:51
	;; [unrolled: 1-line block ×3, first 2 shown]
.LBB52_501:
	s_or_b32 exec_lo, exec_lo, s2
	s_delay_alu instid0(SALU_CYCLE_1)
	s_mov_b32 s2, exec_lo
	s_waitcnt lgkmcnt(0)
	s_waitcnt_vscnt null, 0x0
	s_barrier
	buffer_gl0_inv
	v_cmpx_lt_i32_e32 23, v124
	s_cbranch_execz .LBB52_503
; %bb.502:
	v_mul_f64 v[40:41], v[108:109], v[14:15]
	v_mul_f64 v[14:15], v[110:111], v[14:15]
	ds_load_2addr_b64 v[125:128], v118 offset0:48 offset1:49
	ds_load_2addr_b64 v[129:132], v118 offset0:50 offset1:51
	;; [unrolled: 1-line block ×3, first 2 shown]
	v_fma_f64 v[40:41], v[110:111], v[12:13], v[40:41]
	v_fma_f64 v[12:13], v[108:109], v[12:13], -v[14:15]
	s_waitcnt lgkmcnt(2)
	s_delay_alu instid0(VALU_DEP_2)
	v_mul_f64 v[14:15], v[127:128], v[40:41]
	v_mul_f64 v[42:43], v[125:126], v[40:41]
	s_waitcnt lgkmcnt(1)
	v_mul_f64 v[44:45], v[131:132], v[40:41]
	v_mul_f64 v[46:47], v[129:130], v[40:41]
	s_waitcnt lgkmcnt(0)
	v_mul_f64 v[100:101], v[135:136], v[40:41]
	v_mul_f64 v[102:103], v[133:134], v[40:41]
	v_fma_f64 v[14:15], v[125:126], v[12:13], -v[14:15]
	v_fma_f64 v[42:43], v[127:128], v[12:13], v[42:43]
	v_fma_f64 v[44:45], v[129:130], v[12:13], -v[44:45]
	v_fma_f64 v[46:47], v[131:132], v[12:13], v[46:47]
	;; [unrolled: 2-line block ×3, first 2 shown]
	v_add_f64 v[8:9], v[8:9], -v[14:15]
	v_add_f64 v[10:11], v[10:11], -v[42:43]
	v_add_f64 v[4:5], v[4:5], -v[44:45]
	v_add_f64 v[6:7], v[6:7], -v[46:47]
	v_add_f64 v[252:253], v[252:253], -v[100:101]
	v_add_f64 v[254:255], v[254:255], -v[102:103]
	v_dual_mov_b32 v14, v40 :: v_dual_mov_b32 v15, v41
.LBB52_503:
	s_or_b32 exec_lo, exec_lo, s2
	v_lshl_add_u32 v40, v124, 4, v118
	s_barrier
	buffer_gl0_inv
	v_mov_b32_e32 v116, 24
	ds_store_2addr_b64 v40, v[8:9], v[10:11] offset1:1
	s_waitcnt lgkmcnt(0)
	s_barrier
	buffer_gl0_inv
	ds_load_2addr_b64 v[108:111], v118 offset0:48 offset1:49
	s_cmp_lt_i32 s5, 26
	s_cbranch_scc1 .LBB52_506
; %bb.504:
	v_add3_u32 v117, v120, 0, 0x190
	v_mov_b32_e32 v116, 24
	s_mov_b32 s6, 25
	s_set_inst_prefetch_distance 0x1
	.p2align	6
.LBB52_505:                             ; =>This Inner Loop Header: Depth=1
	ds_load_2addr_b64 v[125:128], v117 offset1:1
	s_waitcnt lgkmcnt(1)
	v_cmp_gt_f64_e32 vcc_lo, 0, v[108:109]
	v_xor_b32_e32 v40, 0x80000000, v109
	v_cmp_gt_f64_e64 s2, 0, v[110:111]
	v_xor_b32_e32 v42, 0x80000000, v111
	v_add_nc_u32_e32 v117, 16, v117
	s_waitcnt lgkmcnt(0)
	v_cmp_gt_f64_e64 s3, 0, v[125:126]
	v_mov_b32_e32 v44, v125
	v_dual_mov_b32 v46, v127 :: v_dual_cndmask_b32 v41, v109, v40
	v_xor_b32_e32 v40, 0x80000000, v126
	v_cndmask_b32_e64 v43, v111, v42, s2
	v_xor_b32_e32 v42, 0x80000000, v128
	s_delay_alu instid0(VALU_DEP_3) | instskip(SKIP_2) | instid1(VALU_DEP_2)
	v_cndmask_b32_e64 v45, v126, v40, s3
	v_cmp_gt_f64_e64 s3, 0, v[127:128]
	v_cndmask_b32_e32 v40, v108, v108, vcc_lo
	v_cndmask_b32_e64 v47, v128, v42, s3
	v_cndmask_b32_e64 v42, v110, v110, s2
	s_delay_alu instid0(VALU_DEP_2) | instskip(NEXT) | instid1(VALU_DEP_2)
	v_add_f64 v[44:45], v[44:45], v[46:47]
	v_add_f64 v[40:41], v[40:41], v[42:43]
	s_delay_alu instid0(VALU_DEP_1) | instskip(SKIP_4) | instid1(SALU_CYCLE_1)
	v_cmp_lt_f64_e32 vcc_lo, v[40:41], v[44:45]
	v_dual_cndmask_b32 v109, v109, v126 :: v_dual_cndmask_b32 v108, v108, v125
	v_dual_cndmask_b32 v111, v111, v128 :: v_dual_cndmask_b32 v110, v110, v127
	v_cndmask_b32_e64 v116, v116, s6, vcc_lo
	s_add_i32 s6, s6, 1
	s_cmp_lg_u32 s5, s6
	s_cbranch_scc1 .LBB52_505
.LBB52_506:
	s_set_inst_prefetch_distance 0x2
	s_waitcnt lgkmcnt(0)
	v_cmp_eq_f64_e32 vcc_lo, 0, v[108:109]
	v_cmp_eq_f64_e64 s2, 0, v[110:111]
	s_delay_alu instid0(VALU_DEP_1) | instskip(NEXT) | instid1(SALU_CYCLE_1)
	s_and_b32 s2, vcc_lo, s2
	s_and_saveexec_b32 s3, s2
	s_delay_alu instid0(SALU_CYCLE_1)
	s_xor_b32 s2, exec_lo, s3
; %bb.507:
	v_cmp_ne_u32_e32 vcc_lo, 0, v123
	v_cndmask_b32_e32 v123, 25, v123, vcc_lo
; %bb.508:
	s_and_not1_saveexec_b32 s3, s2
	s_cbranch_execz .LBB52_514
; %bb.509:
	v_cmp_gt_f64_e32 vcc_lo, 0, v[108:109]
	v_cmp_gt_f64_e64 s2, 0, v[110:111]
	v_xor_b32_e32 v40, 0x80000000, v109
	v_xor_b32_e32 v42, 0x80000000, v111
	s_delay_alu instid0(VALU_DEP_2) | instskip(NEXT) | instid1(VALU_DEP_2)
	v_cndmask_b32_e32 v41, v109, v40, vcc_lo
	v_cndmask_b32_e64 v43, v111, v42, s2
	v_cndmask_b32_e32 v40, v108, v108, vcc_lo
	v_cndmask_b32_e64 v42, v110, v110, s2
	s_mov_b32 s2, exec_lo
	s_delay_alu instid0(VALU_DEP_1)
	v_cmpx_ngt_f64_e32 v[40:41], v[42:43]
	s_xor_b32 s2, exec_lo, s2
	s_cbranch_execz .LBB52_511
; %bb.510:
	v_div_scale_f64 v[40:41], null, v[110:111], v[110:111], v[108:109]
	v_div_scale_f64 v[46:47], vcc_lo, v[108:109], v[110:111], v[108:109]
	s_delay_alu instid0(VALU_DEP_2) | instskip(SKIP_2) | instid1(VALU_DEP_1)
	v_rcp_f64_e32 v[42:43], v[40:41]
	s_waitcnt_depctr 0xfff
	v_fma_f64 v[44:45], -v[40:41], v[42:43], 1.0
	v_fma_f64 v[42:43], v[42:43], v[44:45], v[42:43]
	s_delay_alu instid0(VALU_DEP_1) | instskip(NEXT) | instid1(VALU_DEP_1)
	v_fma_f64 v[44:45], -v[40:41], v[42:43], 1.0
	v_fma_f64 v[42:43], v[42:43], v[44:45], v[42:43]
	s_delay_alu instid0(VALU_DEP_1) | instskip(NEXT) | instid1(VALU_DEP_1)
	v_mul_f64 v[44:45], v[46:47], v[42:43]
	v_fma_f64 v[40:41], -v[40:41], v[44:45], v[46:47]
	s_delay_alu instid0(VALU_DEP_1) | instskip(NEXT) | instid1(VALU_DEP_1)
	v_div_fmas_f64 v[40:41], v[40:41], v[42:43], v[44:45]
	v_div_fixup_f64 v[40:41], v[40:41], v[110:111], v[108:109]
	s_delay_alu instid0(VALU_DEP_1) | instskip(NEXT) | instid1(VALU_DEP_1)
	v_fma_f64 v[42:43], v[108:109], v[40:41], v[110:111]
	v_div_scale_f64 v[44:45], null, v[42:43], v[42:43], 1.0
	s_delay_alu instid0(VALU_DEP_1) | instskip(SKIP_2) | instid1(VALU_DEP_1)
	v_rcp_f64_e32 v[46:47], v[44:45]
	s_waitcnt_depctr 0xfff
	v_fma_f64 v[100:101], -v[44:45], v[46:47], 1.0
	v_fma_f64 v[46:47], v[46:47], v[100:101], v[46:47]
	s_delay_alu instid0(VALU_DEP_1) | instskip(NEXT) | instid1(VALU_DEP_1)
	v_fma_f64 v[100:101], -v[44:45], v[46:47], 1.0
	v_fma_f64 v[46:47], v[46:47], v[100:101], v[46:47]
	v_div_scale_f64 v[100:101], vcc_lo, 1.0, v[42:43], 1.0
	s_delay_alu instid0(VALU_DEP_1) | instskip(NEXT) | instid1(VALU_DEP_1)
	v_mul_f64 v[102:103], v[100:101], v[46:47]
	v_fma_f64 v[44:45], -v[44:45], v[102:103], v[100:101]
	s_delay_alu instid0(VALU_DEP_1) | instskip(NEXT) | instid1(VALU_DEP_1)
	v_div_fmas_f64 v[44:45], v[44:45], v[46:47], v[102:103]
	v_div_fixup_f64 v[110:111], v[44:45], v[42:43], 1.0
	s_delay_alu instid0(VALU_DEP_1)
	v_mul_f64 v[108:109], v[40:41], v[110:111]
	v_xor_b32_e32 v111, 0x80000000, v111
.LBB52_511:
	s_and_not1_saveexec_b32 s2, s2
	s_cbranch_execz .LBB52_513
; %bb.512:
	s_delay_alu instid0(VALU_DEP_1) | instskip(SKIP_1) | instid1(VALU_DEP_2)
	v_div_scale_f64 v[40:41], null, v[108:109], v[108:109], v[110:111]
	v_div_scale_f64 v[46:47], vcc_lo, v[110:111], v[108:109], v[110:111]
	v_rcp_f64_e32 v[42:43], v[40:41]
	s_waitcnt_depctr 0xfff
	v_fma_f64 v[44:45], -v[40:41], v[42:43], 1.0
	s_delay_alu instid0(VALU_DEP_1) | instskip(NEXT) | instid1(VALU_DEP_1)
	v_fma_f64 v[42:43], v[42:43], v[44:45], v[42:43]
	v_fma_f64 v[44:45], -v[40:41], v[42:43], 1.0
	s_delay_alu instid0(VALU_DEP_1) | instskip(NEXT) | instid1(VALU_DEP_1)
	v_fma_f64 v[42:43], v[42:43], v[44:45], v[42:43]
	v_mul_f64 v[44:45], v[46:47], v[42:43]
	s_delay_alu instid0(VALU_DEP_1) | instskip(NEXT) | instid1(VALU_DEP_1)
	v_fma_f64 v[40:41], -v[40:41], v[44:45], v[46:47]
	v_div_fmas_f64 v[40:41], v[40:41], v[42:43], v[44:45]
	s_delay_alu instid0(VALU_DEP_1) | instskip(NEXT) | instid1(VALU_DEP_1)
	v_div_fixup_f64 v[40:41], v[40:41], v[108:109], v[110:111]
	v_fma_f64 v[42:43], v[110:111], v[40:41], v[108:109]
	s_delay_alu instid0(VALU_DEP_1) | instskip(NEXT) | instid1(VALU_DEP_1)
	v_div_scale_f64 v[44:45], null, v[42:43], v[42:43], 1.0
	v_rcp_f64_e32 v[46:47], v[44:45]
	s_waitcnt_depctr 0xfff
	v_fma_f64 v[100:101], -v[44:45], v[46:47], 1.0
	s_delay_alu instid0(VALU_DEP_1) | instskip(NEXT) | instid1(VALU_DEP_1)
	v_fma_f64 v[46:47], v[46:47], v[100:101], v[46:47]
	v_fma_f64 v[100:101], -v[44:45], v[46:47], 1.0
	s_delay_alu instid0(VALU_DEP_1) | instskip(SKIP_1) | instid1(VALU_DEP_1)
	v_fma_f64 v[46:47], v[46:47], v[100:101], v[46:47]
	v_div_scale_f64 v[100:101], vcc_lo, 1.0, v[42:43], 1.0
	v_mul_f64 v[102:103], v[100:101], v[46:47]
	s_delay_alu instid0(VALU_DEP_1) | instskip(NEXT) | instid1(VALU_DEP_1)
	v_fma_f64 v[44:45], -v[44:45], v[102:103], v[100:101]
	v_div_fmas_f64 v[44:45], v[44:45], v[46:47], v[102:103]
	s_delay_alu instid0(VALU_DEP_1) | instskip(NEXT) | instid1(VALU_DEP_1)
	v_div_fixup_f64 v[108:109], v[44:45], v[42:43], 1.0
	v_mul_f64 v[110:111], v[40:41], -v[108:109]
.LBB52_513:
	s_or_b32 exec_lo, exec_lo, s2
.LBB52_514:
	s_delay_alu instid0(SALU_CYCLE_1) | instskip(NEXT) | instid1(SALU_CYCLE_1)
	s_or_b32 exec_lo, exec_lo, s3
	s_mov_b32 s2, exec_lo
	v_cmpx_ne_u32_e64 v124, v116
	s_xor_b32 s2, exec_lo, s2
	s_cbranch_execz .LBB52_520
; %bb.515:
	s_mov_b32 s3, exec_lo
	v_cmpx_eq_u32_e32 24, v124
	s_cbranch_execz .LBB52_519
; %bb.516:
	v_cmp_ne_u32_e32 vcc_lo, 24, v116
	s_xor_b32 s6, s4, -1
	s_delay_alu instid0(SALU_CYCLE_1) | instskip(NEXT) | instid1(SALU_CYCLE_1)
	s_and_b32 s7, s6, vcc_lo
	s_and_saveexec_b32 s6, s7
	s_cbranch_execz .LBB52_518
; %bb.517:
	scratch_load_b64 v[44:45], off, off offset:48 ; 8-byte Folded Reload
	v_ashrrev_i32_e32 v117, 31, v116
	s_delay_alu instid0(VALU_DEP_1) | instskip(SKIP_1) | instid1(VALU_DEP_1)
	v_lshlrev_b64 v[40:41], 2, v[116:117]
	s_waitcnt vmcnt(0)
	v_add_co_u32 v40, vcc_lo, v44, v40
	s_delay_alu instid0(VALU_DEP_2)
	v_add_co_ci_u32_e32 v41, vcc_lo, v45, v41, vcc_lo
	s_clause 0x1
	flat_load_b32 v42, v[40:41]
	flat_load_b32 v43, v[44:45] offset:96
	s_waitcnt vmcnt(1) lgkmcnt(1)
	flat_store_b32 v[44:45], v42 offset:96
	s_waitcnt vmcnt(0) lgkmcnt(1)
	flat_store_b32 v[40:41], v43
.LBB52_518:
	s_or_b32 exec_lo, exec_lo, s6
	v_mov_b32_e32 v124, v116
	v_mov_b32_e32 v119, v116
.LBB52_519:
	s_or_b32 exec_lo, exec_lo, s3
.LBB52_520:
	s_and_not1_saveexec_b32 s2, s2
	s_cbranch_execz .LBB52_522
; %bb.521:
	v_mov_b32_e32 v124, 24
	ds_store_2addr_b64 v118, v[4:5], v[6:7] offset0:50 offset1:51
	ds_store_2addr_b64 v118, v[252:253], v[254:255] offset0:52 offset1:53
.LBB52_522:
	s_or_b32 exec_lo, exec_lo, s2
	s_delay_alu instid0(SALU_CYCLE_1)
	s_mov_b32 s2, exec_lo
	s_waitcnt lgkmcnt(0)
	s_waitcnt_vscnt null, 0x0
	s_barrier
	buffer_gl0_inv
	v_cmpx_lt_i32_e32 24, v124
	s_cbranch_execz .LBB52_524
; %bb.523:
	v_mul_f64 v[40:41], v[108:109], v[10:11]
	v_mul_f64 v[10:11], v[110:111], v[10:11]
	ds_load_2addr_b64 v[125:128], v118 offset0:50 offset1:51
	ds_load_2addr_b64 v[129:132], v118 offset0:52 offset1:53
	v_fma_f64 v[40:41], v[110:111], v[8:9], v[40:41]
	v_fma_f64 v[8:9], v[108:109], v[8:9], -v[10:11]
	s_waitcnt lgkmcnt(1)
	s_delay_alu instid0(VALU_DEP_2) | instskip(SKIP_4) | instid1(VALU_DEP_4)
	v_mul_f64 v[10:11], v[127:128], v[40:41]
	v_mul_f64 v[42:43], v[125:126], v[40:41]
	s_waitcnt lgkmcnt(0)
	v_mul_f64 v[44:45], v[131:132], v[40:41]
	v_mul_f64 v[46:47], v[129:130], v[40:41]
	v_fma_f64 v[10:11], v[125:126], v[8:9], -v[10:11]
	s_delay_alu instid0(VALU_DEP_4) | instskip(NEXT) | instid1(VALU_DEP_4)
	v_fma_f64 v[42:43], v[127:128], v[8:9], v[42:43]
	v_fma_f64 v[44:45], v[129:130], v[8:9], -v[44:45]
	s_delay_alu instid0(VALU_DEP_4) | instskip(NEXT) | instid1(VALU_DEP_4)
	v_fma_f64 v[46:47], v[131:132], v[8:9], v[46:47]
	v_add_f64 v[4:5], v[4:5], -v[10:11]
	s_delay_alu instid0(VALU_DEP_4) | instskip(NEXT) | instid1(VALU_DEP_4)
	v_add_f64 v[6:7], v[6:7], -v[42:43]
	v_add_f64 v[252:253], v[252:253], -v[44:45]
	s_delay_alu instid0(VALU_DEP_4)
	v_add_f64 v[254:255], v[254:255], -v[46:47]
	v_dual_mov_b32 v10, v40 :: v_dual_mov_b32 v11, v41
.LBB52_524:
	s_or_b32 exec_lo, exec_lo, s2
	v_lshl_add_u32 v40, v124, 4, v118
	s_barrier
	buffer_gl0_inv
	v_mov_b32_e32 v116, 25
	ds_store_2addr_b64 v40, v[4:5], v[6:7] offset1:1
	s_waitcnt lgkmcnt(0)
	s_barrier
	buffer_gl0_inv
	ds_load_2addr_b64 v[108:111], v118 offset0:50 offset1:51
	s_cmp_lt_i32 s5, 27
	s_cbranch_scc1 .LBB52_527
; %bb.525:
	v_add3_u32 v117, v120, 0, 0x1a0
	v_mov_b32_e32 v116, 25
	s_mov_b32 s6, 26
	s_set_inst_prefetch_distance 0x1
	.p2align	6
.LBB52_526:                             ; =>This Inner Loop Header: Depth=1
	ds_load_2addr_b64 v[125:128], v117 offset1:1
	s_waitcnt lgkmcnt(1)
	v_cmp_gt_f64_e32 vcc_lo, 0, v[108:109]
	v_xor_b32_e32 v40, 0x80000000, v109
	v_cmp_gt_f64_e64 s2, 0, v[110:111]
	v_xor_b32_e32 v42, 0x80000000, v111
	v_add_nc_u32_e32 v117, 16, v117
	s_waitcnt lgkmcnt(0)
	v_cmp_gt_f64_e64 s3, 0, v[125:126]
	v_mov_b32_e32 v44, v125
	v_dual_mov_b32 v46, v127 :: v_dual_cndmask_b32 v41, v109, v40
	v_xor_b32_e32 v40, 0x80000000, v126
	v_cndmask_b32_e64 v43, v111, v42, s2
	v_xor_b32_e32 v42, 0x80000000, v128
	s_delay_alu instid0(VALU_DEP_3) | instskip(SKIP_2) | instid1(VALU_DEP_2)
	v_cndmask_b32_e64 v45, v126, v40, s3
	v_cmp_gt_f64_e64 s3, 0, v[127:128]
	v_cndmask_b32_e32 v40, v108, v108, vcc_lo
	v_cndmask_b32_e64 v47, v128, v42, s3
	v_cndmask_b32_e64 v42, v110, v110, s2
	s_delay_alu instid0(VALU_DEP_2) | instskip(NEXT) | instid1(VALU_DEP_2)
	v_add_f64 v[44:45], v[44:45], v[46:47]
	v_add_f64 v[40:41], v[40:41], v[42:43]
	s_delay_alu instid0(VALU_DEP_1) | instskip(SKIP_4) | instid1(SALU_CYCLE_1)
	v_cmp_lt_f64_e32 vcc_lo, v[40:41], v[44:45]
	v_dual_cndmask_b32 v109, v109, v126 :: v_dual_cndmask_b32 v108, v108, v125
	v_dual_cndmask_b32 v111, v111, v128 :: v_dual_cndmask_b32 v110, v110, v127
	v_cndmask_b32_e64 v116, v116, s6, vcc_lo
	s_add_i32 s6, s6, 1
	s_cmp_lg_u32 s5, s6
	s_cbranch_scc1 .LBB52_526
.LBB52_527:
	s_set_inst_prefetch_distance 0x2
	s_waitcnt lgkmcnt(0)
	v_cmp_eq_f64_e32 vcc_lo, 0, v[108:109]
	v_cmp_eq_f64_e64 s2, 0, v[110:111]
	s_delay_alu instid0(VALU_DEP_1) | instskip(NEXT) | instid1(SALU_CYCLE_1)
	s_and_b32 s2, vcc_lo, s2
	s_and_saveexec_b32 s3, s2
	s_delay_alu instid0(SALU_CYCLE_1)
	s_xor_b32 s2, exec_lo, s3
; %bb.528:
	v_cmp_ne_u32_e32 vcc_lo, 0, v123
	v_cndmask_b32_e32 v123, 26, v123, vcc_lo
; %bb.529:
	s_and_not1_saveexec_b32 s3, s2
	s_cbranch_execz .LBB52_535
; %bb.530:
	v_cmp_gt_f64_e32 vcc_lo, 0, v[108:109]
	v_cmp_gt_f64_e64 s2, 0, v[110:111]
	v_xor_b32_e32 v40, 0x80000000, v109
	v_xor_b32_e32 v42, 0x80000000, v111
	s_delay_alu instid0(VALU_DEP_2) | instskip(NEXT) | instid1(VALU_DEP_2)
	v_cndmask_b32_e32 v41, v109, v40, vcc_lo
	v_cndmask_b32_e64 v43, v111, v42, s2
	v_cndmask_b32_e32 v40, v108, v108, vcc_lo
	v_cndmask_b32_e64 v42, v110, v110, s2
	s_mov_b32 s2, exec_lo
	s_delay_alu instid0(VALU_DEP_1)
	v_cmpx_ngt_f64_e32 v[40:41], v[42:43]
	s_xor_b32 s2, exec_lo, s2
	s_cbranch_execz .LBB52_532
; %bb.531:
	v_div_scale_f64 v[40:41], null, v[110:111], v[110:111], v[108:109]
	v_div_scale_f64 v[46:47], vcc_lo, v[108:109], v[110:111], v[108:109]
	s_delay_alu instid0(VALU_DEP_2) | instskip(SKIP_2) | instid1(VALU_DEP_1)
	v_rcp_f64_e32 v[42:43], v[40:41]
	s_waitcnt_depctr 0xfff
	v_fma_f64 v[44:45], -v[40:41], v[42:43], 1.0
	v_fma_f64 v[42:43], v[42:43], v[44:45], v[42:43]
	s_delay_alu instid0(VALU_DEP_1) | instskip(NEXT) | instid1(VALU_DEP_1)
	v_fma_f64 v[44:45], -v[40:41], v[42:43], 1.0
	v_fma_f64 v[42:43], v[42:43], v[44:45], v[42:43]
	s_delay_alu instid0(VALU_DEP_1) | instskip(NEXT) | instid1(VALU_DEP_1)
	v_mul_f64 v[44:45], v[46:47], v[42:43]
	v_fma_f64 v[40:41], -v[40:41], v[44:45], v[46:47]
	s_delay_alu instid0(VALU_DEP_1) | instskip(NEXT) | instid1(VALU_DEP_1)
	v_div_fmas_f64 v[40:41], v[40:41], v[42:43], v[44:45]
	v_div_fixup_f64 v[40:41], v[40:41], v[110:111], v[108:109]
	s_delay_alu instid0(VALU_DEP_1) | instskip(NEXT) | instid1(VALU_DEP_1)
	v_fma_f64 v[42:43], v[108:109], v[40:41], v[110:111]
	v_div_scale_f64 v[44:45], null, v[42:43], v[42:43], 1.0
	s_delay_alu instid0(VALU_DEP_1) | instskip(SKIP_2) | instid1(VALU_DEP_1)
	v_rcp_f64_e32 v[46:47], v[44:45]
	s_waitcnt_depctr 0xfff
	v_fma_f64 v[100:101], -v[44:45], v[46:47], 1.0
	v_fma_f64 v[46:47], v[46:47], v[100:101], v[46:47]
	s_delay_alu instid0(VALU_DEP_1) | instskip(NEXT) | instid1(VALU_DEP_1)
	v_fma_f64 v[100:101], -v[44:45], v[46:47], 1.0
	v_fma_f64 v[46:47], v[46:47], v[100:101], v[46:47]
	v_div_scale_f64 v[100:101], vcc_lo, 1.0, v[42:43], 1.0
	s_delay_alu instid0(VALU_DEP_1) | instskip(NEXT) | instid1(VALU_DEP_1)
	v_mul_f64 v[102:103], v[100:101], v[46:47]
	v_fma_f64 v[44:45], -v[44:45], v[102:103], v[100:101]
	s_delay_alu instid0(VALU_DEP_1) | instskip(NEXT) | instid1(VALU_DEP_1)
	v_div_fmas_f64 v[44:45], v[44:45], v[46:47], v[102:103]
	v_div_fixup_f64 v[110:111], v[44:45], v[42:43], 1.0
	s_delay_alu instid0(VALU_DEP_1)
	v_mul_f64 v[108:109], v[40:41], v[110:111]
	v_xor_b32_e32 v111, 0x80000000, v111
.LBB52_532:
	s_and_not1_saveexec_b32 s2, s2
	s_cbranch_execz .LBB52_534
; %bb.533:
	s_delay_alu instid0(VALU_DEP_1) | instskip(SKIP_1) | instid1(VALU_DEP_2)
	v_div_scale_f64 v[40:41], null, v[108:109], v[108:109], v[110:111]
	v_div_scale_f64 v[46:47], vcc_lo, v[110:111], v[108:109], v[110:111]
	v_rcp_f64_e32 v[42:43], v[40:41]
	s_waitcnt_depctr 0xfff
	v_fma_f64 v[44:45], -v[40:41], v[42:43], 1.0
	s_delay_alu instid0(VALU_DEP_1) | instskip(NEXT) | instid1(VALU_DEP_1)
	v_fma_f64 v[42:43], v[42:43], v[44:45], v[42:43]
	v_fma_f64 v[44:45], -v[40:41], v[42:43], 1.0
	s_delay_alu instid0(VALU_DEP_1) | instskip(NEXT) | instid1(VALU_DEP_1)
	v_fma_f64 v[42:43], v[42:43], v[44:45], v[42:43]
	v_mul_f64 v[44:45], v[46:47], v[42:43]
	s_delay_alu instid0(VALU_DEP_1) | instskip(NEXT) | instid1(VALU_DEP_1)
	v_fma_f64 v[40:41], -v[40:41], v[44:45], v[46:47]
	v_div_fmas_f64 v[40:41], v[40:41], v[42:43], v[44:45]
	s_delay_alu instid0(VALU_DEP_1) | instskip(NEXT) | instid1(VALU_DEP_1)
	v_div_fixup_f64 v[40:41], v[40:41], v[108:109], v[110:111]
	v_fma_f64 v[42:43], v[110:111], v[40:41], v[108:109]
	s_delay_alu instid0(VALU_DEP_1) | instskip(NEXT) | instid1(VALU_DEP_1)
	v_div_scale_f64 v[44:45], null, v[42:43], v[42:43], 1.0
	v_rcp_f64_e32 v[46:47], v[44:45]
	s_waitcnt_depctr 0xfff
	v_fma_f64 v[100:101], -v[44:45], v[46:47], 1.0
	s_delay_alu instid0(VALU_DEP_1) | instskip(NEXT) | instid1(VALU_DEP_1)
	v_fma_f64 v[46:47], v[46:47], v[100:101], v[46:47]
	v_fma_f64 v[100:101], -v[44:45], v[46:47], 1.0
	s_delay_alu instid0(VALU_DEP_1) | instskip(SKIP_1) | instid1(VALU_DEP_1)
	v_fma_f64 v[46:47], v[46:47], v[100:101], v[46:47]
	v_div_scale_f64 v[100:101], vcc_lo, 1.0, v[42:43], 1.0
	v_mul_f64 v[102:103], v[100:101], v[46:47]
	s_delay_alu instid0(VALU_DEP_1) | instskip(NEXT) | instid1(VALU_DEP_1)
	v_fma_f64 v[44:45], -v[44:45], v[102:103], v[100:101]
	v_div_fmas_f64 v[44:45], v[44:45], v[46:47], v[102:103]
	s_delay_alu instid0(VALU_DEP_1) | instskip(NEXT) | instid1(VALU_DEP_1)
	v_div_fixup_f64 v[108:109], v[44:45], v[42:43], 1.0
	v_mul_f64 v[110:111], v[40:41], -v[108:109]
.LBB52_534:
	s_or_b32 exec_lo, exec_lo, s2
.LBB52_535:
	s_delay_alu instid0(SALU_CYCLE_1) | instskip(NEXT) | instid1(SALU_CYCLE_1)
	s_or_b32 exec_lo, exec_lo, s3
	s_mov_b32 s2, exec_lo
	v_cmpx_ne_u32_e64 v124, v116
	s_xor_b32 s2, exec_lo, s2
	s_cbranch_execz .LBB52_541
; %bb.536:
	s_mov_b32 s3, exec_lo
	v_cmpx_eq_u32_e32 25, v124
	s_cbranch_execz .LBB52_540
; %bb.537:
	v_cmp_ne_u32_e32 vcc_lo, 25, v116
	s_xor_b32 s6, s4, -1
	s_delay_alu instid0(SALU_CYCLE_1) | instskip(NEXT) | instid1(SALU_CYCLE_1)
	s_and_b32 s7, s6, vcc_lo
	s_and_saveexec_b32 s6, s7
	s_cbranch_execz .LBB52_539
; %bb.538:
	scratch_load_b64 v[44:45], off, off offset:48 ; 8-byte Folded Reload
	v_ashrrev_i32_e32 v117, 31, v116
	s_delay_alu instid0(VALU_DEP_1) | instskip(SKIP_1) | instid1(VALU_DEP_1)
	v_lshlrev_b64 v[40:41], 2, v[116:117]
	s_waitcnt vmcnt(0)
	v_add_co_u32 v40, vcc_lo, v44, v40
	s_delay_alu instid0(VALU_DEP_2)
	v_add_co_ci_u32_e32 v41, vcc_lo, v45, v41, vcc_lo
	s_clause 0x1
	flat_load_b32 v42, v[40:41]
	flat_load_b32 v43, v[44:45] offset:100
	s_waitcnt vmcnt(1) lgkmcnt(1)
	flat_store_b32 v[44:45], v42 offset:100
	s_waitcnt vmcnt(0) lgkmcnt(1)
	flat_store_b32 v[40:41], v43
.LBB52_539:
	s_or_b32 exec_lo, exec_lo, s6
	v_mov_b32_e32 v124, v116
	v_mov_b32_e32 v119, v116
.LBB52_540:
	s_or_b32 exec_lo, exec_lo, s3
.LBB52_541:
	s_and_not1_saveexec_b32 s2, s2
	s_cbranch_execz .LBB52_543
; %bb.542:
	v_mov_b32_e32 v124, 25
	ds_store_2addr_b64 v118, v[252:253], v[254:255] offset0:52 offset1:53
.LBB52_543:
	s_or_b32 exec_lo, exec_lo, s2
	s_delay_alu instid0(SALU_CYCLE_1)
	s_mov_b32 s2, exec_lo
	s_waitcnt lgkmcnt(0)
	s_waitcnt_vscnt null, 0x0
	s_barrier
	buffer_gl0_inv
	v_cmpx_lt_i32_e32 25, v124
	s_cbranch_execz .LBB52_545
; %bb.544:
	v_mul_f64 v[40:41], v[108:109], v[6:7]
	v_mul_f64 v[6:7], v[110:111], v[6:7]
	ds_load_2addr_b64 v[125:128], v118 offset0:52 offset1:53
	v_fma_f64 v[40:41], v[110:111], v[4:5], v[40:41]
	v_fma_f64 v[4:5], v[108:109], v[4:5], -v[6:7]
	s_waitcnt lgkmcnt(0)
	s_delay_alu instid0(VALU_DEP_2) | instskip(SKIP_1) | instid1(VALU_DEP_2)
	v_mul_f64 v[6:7], v[127:128], v[40:41]
	v_mul_f64 v[42:43], v[125:126], v[40:41]
	v_fma_f64 v[6:7], v[125:126], v[4:5], -v[6:7]
	s_delay_alu instid0(VALU_DEP_2) | instskip(NEXT) | instid1(VALU_DEP_2)
	v_fma_f64 v[42:43], v[127:128], v[4:5], v[42:43]
	v_add_f64 v[252:253], v[252:253], -v[6:7]
	s_delay_alu instid0(VALU_DEP_2)
	v_add_f64 v[254:255], v[254:255], -v[42:43]
	v_dual_mov_b32 v6, v40 :: v_dual_mov_b32 v7, v41
.LBB52_545:
	s_or_b32 exec_lo, exec_lo, s2
	v_lshl_add_u32 v40, v124, 4, v118
	s_barrier
	buffer_gl0_inv
	v_mov_b32_e32 v116, 26
	ds_store_2addr_b64 v40, v[252:253], v[254:255] offset1:1
	s_waitcnt lgkmcnt(0)
	s_barrier
	buffer_gl0_inv
	ds_load_2addr_b64 v[108:111], v118 offset0:52 offset1:53
	s_cmp_lt_i32 s5, 28
	s_cbranch_scc1 .LBB52_548
; %bb.546:
	v_add3_u32 v117, v120, 0, 0x1b0
	v_mov_b32_e32 v116, 26
	s_mov_b32 s6, 27
	s_set_inst_prefetch_distance 0x1
	.p2align	6
.LBB52_547:                             ; =>This Inner Loop Header: Depth=1
	ds_load_2addr_b64 v[125:128], v117 offset1:1
	s_waitcnt lgkmcnt(1)
	v_cmp_gt_f64_e32 vcc_lo, 0, v[108:109]
	v_xor_b32_e32 v40, 0x80000000, v109
	v_cmp_gt_f64_e64 s2, 0, v[110:111]
	v_xor_b32_e32 v42, 0x80000000, v111
	v_add_nc_u32_e32 v117, 16, v117
	s_waitcnt lgkmcnt(0)
	v_cmp_gt_f64_e64 s3, 0, v[125:126]
	v_mov_b32_e32 v44, v125
	v_dual_mov_b32 v46, v127 :: v_dual_cndmask_b32 v41, v109, v40
	v_xor_b32_e32 v40, 0x80000000, v126
	v_cndmask_b32_e64 v43, v111, v42, s2
	v_xor_b32_e32 v42, 0x80000000, v128
	s_delay_alu instid0(VALU_DEP_3) | instskip(SKIP_2) | instid1(VALU_DEP_2)
	v_cndmask_b32_e64 v45, v126, v40, s3
	v_cmp_gt_f64_e64 s3, 0, v[127:128]
	v_cndmask_b32_e32 v40, v108, v108, vcc_lo
	v_cndmask_b32_e64 v47, v128, v42, s3
	v_cndmask_b32_e64 v42, v110, v110, s2
	s_delay_alu instid0(VALU_DEP_2) | instskip(NEXT) | instid1(VALU_DEP_2)
	v_add_f64 v[44:45], v[44:45], v[46:47]
	v_add_f64 v[40:41], v[40:41], v[42:43]
	s_delay_alu instid0(VALU_DEP_1) | instskip(SKIP_4) | instid1(SALU_CYCLE_1)
	v_cmp_lt_f64_e32 vcc_lo, v[40:41], v[44:45]
	v_dual_cndmask_b32 v109, v109, v126 :: v_dual_cndmask_b32 v108, v108, v125
	v_dual_cndmask_b32 v111, v111, v128 :: v_dual_cndmask_b32 v110, v110, v127
	v_cndmask_b32_e64 v116, v116, s6, vcc_lo
	s_add_i32 s6, s6, 1
	s_cmp_lg_u32 s5, s6
	s_cbranch_scc1 .LBB52_547
.LBB52_548:
	s_set_inst_prefetch_distance 0x2
	s_waitcnt lgkmcnt(0)
	v_cmp_eq_f64_e32 vcc_lo, 0, v[108:109]
	v_cmp_eq_f64_e64 s2, 0, v[110:111]
	s_delay_alu instid0(VALU_DEP_1) | instskip(NEXT) | instid1(SALU_CYCLE_1)
	s_and_b32 s2, vcc_lo, s2
	s_and_saveexec_b32 s3, s2
	s_delay_alu instid0(SALU_CYCLE_1)
	s_xor_b32 s2, exec_lo, s3
; %bb.549:
	v_cmp_ne_u32_e32 vcc_lo, 0, v123
	v_cndmask_b32_e32 v123, 27, v123, vcc_lo
; %bb.550:
	s_and_not1_saveexec_b32 s3, s2
	s_cbranch_execz .LBB52_556
; %bb.551:
	v_cmp_gt_f64_e32 vcc_lo, 0, v[108:109]
	v_cmp_gt_f64_e64 s2, 0, v[110:111]
	v_xor_b32_e32 v40, 0x80000000, v109
	v_xor_b32_e32 v42, 0x80000000, v111
	s_delay_alu instid0(VALU_DEP_2) | instskip(NEXT) | instid1(VALU_DEP_2)
	v_cndmask_b32_e32 v41, v109, v40, vcc_lo
	v_cndmask_b32_e64 v43, v111, v42, s2
	v_cndmask_b32_e32 v40, v108, v108, vcc_lo
	v_cndmask_b32_e64 v42, v110, v110, s2
	s_mov_b32 s2, exec_lo
	s_delay_alu instid0(VALU_DEP_1)
	v_cmpx_ngt_f64_e32 v[40:41], v[42:43]
	s_xor_b32 s2, exec_lo, s2
	s_cbranch_execz .LBB52_553
; %bb.552:
	v_div_scale_f64 v[40:41], null, v[110:111], v[110:111], v[108:109]
	v_div_scale_f64 v[46:47], vcc_lo, v[108:109], v[110:111], v[108:109]
	s_delay_alu instid0(VALU_DEP_2) | instskip(SKIP_2) | instid1(VALU_DEP_1)
	v_rcp_f64_e32 v[42:43], v[40:41]
	s_waitcnt_depctr 0xfff
	v_fma_f64 v[44:45], -v[40:41], v[42:43], 1.0
	v_fma_f64 v[42:43], v[42:43], v[44:45], v[42:43]
	s_delay_alu instid0(VALU_DEP_1) | instskip(NEXT) | instid1(VALU_DEP_1)
	v_fma_f64 v[44:45], -v[40:41], v[42:43], 1.0
	v_fma_f64 v[42:43], v[42:43], v[44:45], v[42:43]
	s_delay_alu instid0(VALU_DEP_1) | instskip(NEXT) | instid1(VALU_DEP_1)
	v_mul_f64 v[44:45], v[46:47], v[42:43]
	v_fma_f64 v[40:41], -v[40:41], v[44:45], v[46:47]
	s_delay_alu instid0(VALU_DEP_1) | instskip(NEXT) | instid1(VALU_DEP_1)
	v_div_fmas_f64 v[40:41], v[40:41], v[42:43], v[44:45]
	v_div_fixup_f64 v[40:41], v[40:41], v[110:111], v[108:109]
	s_delay_alu instid0(VALU_DEP_1) | instskip(NEXT) | instid1(VALU_DEP_1)
	v_fma_f64 v[42:43], v[108:109], v[40:41], v[110:111]
	v_div_scale_f64 v[44:45], null, v[42:43], v[42:43], 1.0
	s_delay_alu instid0(VALU_DEP_1) | instskip(SKIP_2) | instid1(VALU_DEP_1)
	v_rcp_f64_e32 v[46:47], v[44:45]
	s_waitcnt_depctr 0xfff
	v_fma_f64 v[100:101], -v[44:45], v[46:47], 1.0
	v_fma_f64 v[46:47], v[46:47], v[100:101], v[46:47]
	s_delay_alu instid0(VALU_DEP_1) | instskip(NEXT) | instid1(VALU_DEP_1)
	v_fma_f64 v[100:101], -v[44:45], v[46:47], 1.0
	v_fma_f64 v[46:47], v[46:47], v[100:101], v[46:47]
	v_div_scale_f64 v[100:101], vcc_lo, 1.0, v[42:43], 1.0
	s_delay_alu instid0(VALU_DEP_1) | instskip(NEXT) | instid1(VALU_DEP_1)
	v_mul_f64 v[102:103], v[100:101], v[46:47]
	v_fma_f64 v[44:45], -v[44:45], v[102:103], v[100:101]
	s_delay_alu instid0(VALU_DEP_1) | instskip(NEXT) | instid1(VALU_DEP_1)
	v_div_fmas_f64 v[44:45], v[44:45], v[46:47], v[102:103]
	v_div_fixup_f64 v[110:111], v[44:45], v[42:43], 1.0
	s_delay_alu instid0(VALU_DEP_1)
	v_mul_f64 v[108:109], v[40:41], v[110:111]
	v_xor_b32_e32 v111, 0x80000000, v111
.LBB52_553:
	s_and_not1_saveexec_b32 s2, s2
	s_cbranch_execz .LBB52_555
; %bb.554:
	s_delay_alu instid0(VALU_DEP_1) | instskip(SKIP_1) | instid1(VALU_DEP_2)
	v_div_scale_f64 v[40:41], null, v[108:109], v[108:109], v[110:111]
	v_div_scale_f64 v[46:47], vcc_lo, v[110:111], v[108:109], v[110:111]
	v_rcp_f64_e32 v[42:43], v[40:41]
	s_waitcnt_depctr 0xfff
	v_fma_f64 v[44:45], -v[40:41], v[42:43], 1.0
	s_delay_alu instid0(VALU_DEP_1) | instskip(NEXT) | instid1(VALU_DEP_1)
	v_fma_f64 v[42:43], v[42:43], v[44:45], v[42:43]
	v_fma_f64 v[44:45], -v[40:41], v[42:43], 1.0
	s_delay_alu instid0(VALU_DEP_1) | instskip(NEXT) | instid1(VALU_DEP_1)
	v_fma_f64 v[42:43], v[42:43], v[44:45], v[42:43]
	v_mul_f64 v[44:45], v[46:47], v[42:43]
	s_delay_alu instid0(VALU_DEP_1) | instskip(NEXT) | instid1(VALU_DEP_1)
	v_fma_f64 v[40:41], -v[40:41], v[44:45], v[46:47]
	v_div_fmas_f64 v[40:41], v[40:41], v[42:43], v[44:45]
	s_delay_alu instid0(VALU_DEP_1) | instskip(NEXT) | instid1(VALU_DEP_1)
	v_div_fixup_f64 v[40:41], v[40:41], v[108:109], v[110:111]
	v_fma_f64 v[42:43], v[110:111], v[40:41], v[108:109]
	s_delay_alu instid0(VALU_DEP_1) | instskip(NEXT) | instid1(VALU_DEP_1)
	v_div_scale_f64 v[44:45], null, v[42:43], v[42:43], 1.0
	v_rcp_f64_e32 v[46:47], v[44:45]
	s_waitcnt_depctr 0xfff
	v_fma_f64 v[100:101], -v[44:45], v[46:47], 1.0
	s_delay_alu instid0(VALU_DEP_1) | instskip(NEXT) | instid1(VALU_DEP_1)
	v_fma_f64 v[46:47], v[46:47], v[100:101], v[46:47]
	v_fma_f64 v[100:101], -v[44:45], v[46:47], 1.0
	s_delay_alu instid0(VALU_DEP_1) | instskip(SKIP_1) | instid1(VALU_DEP_1)
	v_fma_f64 v[46:47], v[46:47], v[100:101], v[46:47]
	v_div_scale_f64 v[100:101], vcc_lo, 1.0, v[42:43], 1.0
	v_mul_f64 v[102:103], v[100:101], v[46:47]
	s_delay_alu instid0(VALU_DEP_1) | instskip(NEXT) | instid1(VALU_DEP_1)
	v_fma_f64 v[44:45], -v[44:45], v[102:103], v[100:101]
	v_div_fmas_f64 v[44:45], v[44:45], v[46:47], v[102:103]
	s_delay_alu instid0(VALU_DEP_1) | instskip(NEXT) | instid1(VALU_DEP_1)
	v_div_fixup_f64 v[108:109], v[44:45], v[42:43], 1.0
	v_mul_f64 v[110:111], v[40:41], -v[108:109]
.LBB52_555:
	s_or_b32 exec_lo, exec_lo, s2
.LBB52_556:
	s_delay_alu instid0(SALU_CYCLE_1)
	s_or_b32 exec_lo, exec_lo, s3
	v_mov_b32_e32 v117, 26
	s_mov_b32 s2, exec_lo
	v_cmpx_ne_u32_e64 v124, v116
	s_cbranch_execz .LBB52_562
; %bb.557:
	s_mov_b32 s3, exec_lo
	v_cmpx_eq_u32_e32 26, v124
	s_cbranch_execz .LBB52_561
; %bb.558:
	v_cmp_ne_u32_e32 vcc_lo, 26, v116
	s_xor_b32 s4, s4, -1
	s_delay_alu instid0(SALU_CYCLE_1) | instskip(NEXT) | instid1(SALU_CYCLE_1)
	s_and_b32 s5, s4, vcc_lo
	s_and_saveexec_b32 s4, s5
	s_cbranch_execz .LBB52_560
; %bb.559:
	scratch_load_b64 v[44:45], off, off offset:48 ; 8-byte Folded Reload
	v_ashrrev_i32_e32 v117, 31, v116
	s_delay_alu instid0(VALU_DEP_1) | instskip(SKIP_1) | instid1(VALU_DEP_1)
	v_lshlrev_b64 v[40:41], 2, v[116:117]
	s_waitcnt vmcnt(0)
	v_add_co_u32 v40, vcc_lo, v44, v40
	s_delay_alu instid0(VALU_DEP_2)
	v_add_co_ci_u32_e32 v41, vcc_lo, v45, v41, vcc_lo
	s_clause 0x1
	flat_load_b32 v42, v[40:41]
	flat_load_b32 v43, v[44:45] offset:104
	s_waitcnt vmcnt(1) lgkmcnt(1)
	flat_store_b32 v[44:45], v42 offset:104
	s_waitcnt vmcnt(0) lgkmcnt(1)
	flat_store_b32 v[40:41], v43
.LBB52_560:
	s_or_b32 exec_lo, exec_lo, s4
	v_mov_b32_e32 v124, v116
	v_mov_b32_e32 v119, v116
.LBB52_561:
	s_or_b32 exec_lo, exec_lo, s3
	s_delay_alu instid0(VALU_DEP_2)
	v_mov_b32_e32 v117, v124
.LBB52_562:
	s_or_b32 exec_lo, exec_lo, s2
	s_delay_alu instid0(SALU_CYCLE_1)
	s_mov_b32 s2, exec_lo
	s_waitcnt lgkmcnt(0)
	s_waitcnt_vscnt null, 0x0
	s_barrier
	buffer_gl0_inv
	v_cmpx_lt_i32_e32 26, v117
; %bb.563:
	v_mul_f64 v[40:41], v[110:111], v[254:255]
	v_mul_f64 v[2:3], v[108:109], v[254:255]
	s_delay_alu instid0(VALU_DEP_2) | instskip(NEXT) | instid1(VALU_DEP_2)
	v_fma_f64 v[40:41], v[108:109], v[252:253], -v[40:41]
	v_fma_f64 v[254:255], v[110:111], v[252:253], v[2:3]
	s_delay_alu instid0(VALU_DEP_2)
	v_dual_mov_b32 v253, v41 :: v_dual_mov_b32 v252, v40
; %bb.564:
	s_or_b32 exec_lo, exec_lo, s2
	s_load_b256 s[0:7], s[0:1], 0x28
	v_ashrrev_i32_e32 v118, 31, v117
	s_mov_b32 s9, exec_lo
	s_waitcnt lgkmcnt(0)
	s_barrier
	buffer_gl0_inv
	v_cmpx_gt_i32_e32 27, v117
	s_cbranch_execz .LBB52_566
; %bb.565:
	scratch_load_b64 v[44:45], off, off offset:72 ; 8-byte Folded Reload
	s_lshl_b64 s[2:3], s[2:3], 2
	s_delay_alu instid0(SALU_CYCLE_1)
	s_add_u32 s0, s2, s0
	s_addc_u32 s1, s3, s1
	s_waitcnt vmcnt(0)
	v_mul_lo_u32 v42, v45, s4
	v_mul_lo_u32 v43, v44, s5
	v_mad_u64_u32 v[40:41], null, v44, s4, 0
	s_delay_alu instid0(VALU_DEP_1) | instskip(SKIP_1) | instid1(VALU_DEP_2)
	v_add3_u32 v41, v41, v43, v42
	v_lshlrev_b64 v[42:43], 2, v[117:118]
	v_lshlrev_b64 v[40:41], 2, v[40:41]
	s_delay_alu instid0(VALU_DEP_1) | instskip(NEXT) | instid1(VALU_DEP_2)
	v_add_co_u32 v40, vcc_lo, s0, v40
	v_add_co_ci_u32_e32 v41, vcc_lo, s1, v41, vcc_lo
	s_delay_alu instid0(VALU_DEP_2) | instskip(NEXT) | instid1(VALU_DEP_2)
	v_add_co_u32 v40, vcc_lo, v40, v42
	v_add_co_ci_u32_e32 v41, vcc_lo, v41, v43, vcc_lo
	v_add3_u32 v42, v119, s13, 1
	global_store_b32 v[40:41], v42, off
.LBB52_566:
	s_or_b32 exec_lo, exec_lo, s9
	s_delay_alu instid0(SALU_CYCLE_1)
	s_mov_b32 s1, exec_lo
	v_cmpx_eq_u32_e32 0, v117
	s_cbranch_execz .LBB52_569
; %bb.567:
	scratch_load_b64 v[40:41], off, off offset:72 ; 8-byte Folded Reload
	v_cmp_lt_i32_e64 s0, 0, v123
	s_waitcnt vmcnt(0)
	v_lshlrev_b64 v[40:41], 2, v[40:41]
	s_delay_alu instid0(VALU_DEP_1) | instskip(NEXT) | instid1(VALU_DEP_2)
	v_add_co_u32 v108, vcc_lo, s6, v40
	v_add_co_ci_u32_e32 v109, vcc_lo, s7, v41, vcc_lo
	global_load_b32 v40, v[108:109], off
	s_waitcnt vmcnt(0)
	v_cmp_eq_u32_e32 vcc_lo, 0, v40
	s_and_b32 s0, vcc_lo, s0
	s_delay_alu instid0(SALU_CYCLE_1)
	s_and_b32 exec_lo, exec_lo, s0
	s_cbranch_execz .LBB52_569
; %bb.568:
	v_add_nc_u32_e32 v40, s13, v123
	global_store_b32 v[108:109], v40, off
.LBB52_569:
	s_or_b32 exec_lo, exec_lo, s1
	s_clause 0x2
	scratch_load_b32 v73, off, off offset:84
	scratch_load_b32 v72, off, off offset:80
	scratch_load_b128 v[92:95], off, off offset:56
	v_add3_u32 v40, s8, s8, v117
	v_lshlrev_b64 v[42:43], 4, v[117:118]
	s_delay_alu instid0(VALU_DEP_2) | instskip(SKIP_1) | instid1(VALU_DEP_2)
	v_add_nc_u32_e32 v44, s8, v40
	v_ashrrev_i32_e32 v41, 31, v40
	v_add_nc_u32_e32 v100, s8, v44
	v_ashrrev_i32_e32 v45, 31, v44
	s_delay_alu instid0(VALU_DEP_3) | instskip(NEXT) | instid1(VALU_DEP_3)
	v_lshlrev_b64 v[40:41], 4, v[40:41]
	v_ashrrev_i32_e32 v101, 31, v100
	s_waitcnt vmcnt(2)
	v_add_co_u32 v42, vcc_lo, v73, v42
	s_waitcnt vmcnt(1)
	v_add_co_ci_u32_e32 v43, vcc_lo, v72, v43, vcc_lo
	s_delay_alu instid0(VALU_DEP_2) | instskip(NEXT) | instid1(VALU_DEP_2)
	v_add_co_u32 v46, vcc_lo, v42, s10
	v_add_co_ci_u32_e32 v47, vcc_lo, s11, v43, vcc_lo
	v_add_co_u32 v40, vcc_lo, v73, v40
	s_waitcnt vmcnt(0)
	s_clause 0x1
	global_store_b128 v[42:43], v[92:95], off
	global_store_b128 v[46:47], v[96:99], off
	v_lshlrev_b64 v[42:43], 4, v[44:45]
	v_lshlrev_b64 v[44:45], 4, v[100:101]
	v_add_co_ci_u32_e32 v41, vcc_lo, v72, v41, vcc_lo
	v_add_nc_u32_e32 v46, s8, v100
	s_delay_alu instid0(VALU_DEP_4)
	v_add_co_u32 v42, vcc_lo, v73, v42
	v_add_co_ci_u32_e32 v43, vcc_lo, v72, v43, vcc_lo
	v_add_co_u32 v44, vcc_lo, v73, v44
	v_add_co_ci_u32_e32 v45, vcc_lo, v72, v45, vcc_lo
	s_clause 0x2
	global_store_b128 v[40:41], v[56:59], off
	global_store_b128 v[42:43], v[231:234], off
	;; [unrolled: 1-line block ×3, first 2 shown]
	s_clause 0x1
	scratch_load_b128 v[56:59], off, off offset:32
	scratch_load_b128 v[0:3], off, off offset:16
	v_add_nc_u32_e32 v100, s8, v46
	v_ashrrev_i32_e32 v47, 31, v46
	s_delay_alu instid0(VALU_DEP_2) | instskip(SKIP_1) | instid1(VALU_DEP_3)
	v_ashrrev_i32_e32 v101, 31, v100
	v_add_nc_u32_e32 v44, s8, v100
	v_lshlrev_b64 v[40:41], 4, v[46:47]
	s_delay_alu instid0(VALU_DEP_3) | instskip(NEXT) | instid1(VALU_DEP_3)
	v_lshlrev_b64 v[42:43], 4, v[100:101]
	v_add_nc_u32_e32 v46, s8, v44
	v_ashrrev_i32_e32 v45, 31, v44
	s_delay_alu instid0(VALU_DEP_4) | instskip(SKIP_1) | instid1(VALU_DEP_4)
	v_add_co_u32 v40, vcc_lo, v73, v40
	v_add_co_ci_u32_e32 v41, vcc_lo, v72, v41, vcc_lo
	v_add_nc_u32_e32 v96, s8, v46
	v_add_co_u32 v42, vcc_lo, v73, v42
	v_ashrrev_i32_e32 v47, 31, v46
	v_lshlrev_b64 v[44:45], 4, v[44:45]
	v_add_co_ci_u32_e32 v43, vcc_lo, v72, v43, vcc_lo
	v_ashrrev_i32_e32 v97, 31, v96
	global_store_b128 v[40:41], v[88:91], off
	v_lshlrev_b64 v[40:41], 4, v[46:47]
	v_add_nc_u32_e32 v46, s8, v96
	s_delay_alu instid0(VALU_DEP_1) | instskip(SKIP_1) | instid1(VALU_DEP_2)
	v_add_nc_u32_e32 v88, s8, v46
	v_ashrrev_i32_e32 v47, 31, v46
	v_ashrrev_i32_e32 v89, 31, v88
	s_waitcnt vmcnt(1)
	global_store_b128 v[42:43], v[56:59], off
	v_add_co_u32 v42, vcc_lo, v73, v44
	v_add_co_ci_u32_e32 v43, vcc_lo, v72, v45, vcc_lo
	v_lshlrev_b64 v[44:45], 4, v[96:97]
	v_add_co_u32 v40, vcc_lo, v73, v40
	v_add_co_ci_u32_e32 v41, vcc_lo, v72, v41, vcc_lo
	s_waitcnt vmcnt(0)
	global_store_b128 v[42:43], v[0:3], off
	v_add_co_u32 v44, vcc_lo, v73, v44
	v_add_co_ci_u32_e32 v45, vcc_lo, v72, v45, vcc_lo
	v_lshlrev_b64 v[42:43], 4, v[46:47]
	s_clause 0x1
	global_store_b128 v[40:41], v[84:87], off
	global_store_b128 v[44:45], v[80:83], off
	v_lshlrev_b64 v[40:41], 4, v[88:89]
	v_add_nc_u32_e32 v44, s8, v88
	v_add_co_u32 v42, vcc_lo, v73, v42
	v_add_co_ci_u32_e32 v43, vcc_lo, v72, v43, vcc_lo
	s_delay_alu instid0(VALU_DEP_4)
	v_add_co_u32 v40, vcc_lo, v73, v40
	v_add_co_ci_u32_e32 v41, vcc_lo, v72, v41, vcc_lo
	s_clause 0x1
	global_store_b128 v[42:43], v[68:71], off
	global_store_b128 v[40:41], v[64:67], off
	scratch_load_b128 v[0:3], off, off      ; 16-byte Folded Reload
	v_add_nc_u32_e32 v46, s8, v44
	v_ashrrev_i32_e32 v45, 31, v44
	s_delay_alu instid0(VALU_DEP_2) | instskip(SKIP_1) | instid1(VALU_DEP_3)
	v_add_nc_u32_e32 v76, s8, v46
	v_ashrrev_i32_e32 v47, 31, v46
	v_lshlrev_b64 v[44:45], 4, v[44:45]
	s_delay_alu instid0(VALU_DEP_3) | instskip(NEXT) | instid1(VALU_DEP_3)
	v_ashrrev_i32_e32 v77, 31, v76
	v_lshlrev_b64 v[40:41], 4, v[46:47]
	v_add_nc_u32_e32 v46, s8, v76
	s_delay_alu instid0(VALU_DEP_4)
	v_add_co_u32 v42, vcc_lo, v73, v44
	v_add_co_ci_u32_e32 v43, vcc_lo, v72, v45, vcc_lo
	v_lshlrev_b64 v[44:45], 4, v[76:77]
	v_add_co_u32 v40, vcc_lo, v73, v40
	v_add_co_ci_u32_e32 v41, vcc_lo, v72, v41, vcc_lo
	v_add_nc_u32_e32 v64, s8, v46
	s_delay_alu instid0(VALU_DEP_4) | instskip(SKIP_2) | instid1(VALU_DEP_4)
	v_add_co_u32 v44, vcc_lo, v73, v44
	v_add_co_ci_u32_e32 v45, vcc_lo, v72, v45, vcc_lo
	v_ashrrev_i32_e32 v47, 31, v46
	v_ashrrev_i32_e32 v65, 31, v64
	s_waitcnt vmcnt(0)
	s_clause 0x2
	global_store_b128 v[42:43], v[0:3], off
	global_store_b128 v[40:41], v[235:238], off
	;; [unrolled: 1-line block ×3, first 2 shown]
	v_add_nc_u32_e32 v44, s8, v64
	v_lshlrev_b64 v[42:43], 4, v[46:47]
	v_lshlrev_b64 v[40:41], 4, v[64:65]
	s_delay_alu instid0(VALU_DEP_3) | instskip(SKIP_1) | instid1(VALU_DEP_4)
	v_add_nc_u32_e32 v46, s8, v44
	v_ashrrev_i32_e32 v45, 31, v44
	v_add_co_u32 v42, vcc_lo, v73, v42
	v_add_co_ci_u32_e32 v43, vcc_lo, v72, v43, vcc_lo
	s_delay_alu instid0(VALU_DEP_4)
	v_add_nc_u32_e32 v56, s8, v46
	v_add_co_u32 v40, vcc_lo, v73, v40
	v_ashrrev_i32_e32 v47, 31, v46
	v_lshlrev_b64 v[44:45], 4, v[44:45]
	v_add_co_ci_u32_e32 v41, vcc_lo, v72, v41, vcc_lo
	v_ashrrev_i32_e32 v57, 31, v56
	s_clause 0x1
	global_store_b128 v[42:43], v[48:51], off
	global_store_b128 v[40:41], v[52:55], off
	v_lshlrev_b64 v[40:41], 4, v[46:47]
	v_add_co_u32 v42, vcc_lo, v73, v44
	v_add_nc_u32_e32 v46, s8, v56
	v_add_co_ci_u32_e32 v43, vcc_lo, v72, v45, vcc_lo
	v_lshlrev_b64 v[44:45], 4, v[56:57]
	v_add_co_u32 v40, vcc_lo, v73, v40
	s_delay_alu instid0(VALU_DEP_4)
	v_add_nc_u32_e32 v48, s8, v46
	v_add_co_ci_u32_e32 v41, vcc_lo, v72, v41, vcc_lo
	v_ashrrev_i32_e32 v47, 31, v46
	v_add_co_u32 v44, vcc_lo, v73, v44
	v_add_co_ci_u32_e32 v45, vcc_lo, v72, v45, vcc_lo
	v_ashrrev_i32_e32 v49, 31, v48
	global_store_b128 v[42:43], v[36:39], off
	v_lshlrev_b64 v[36:37], 4, v[46:47]
	s_clause 0x1
	global_store_b128 v[40:41], v[32:35], off
	global_store_b128 v[44:45], v[28:31], off
	v_add_nc_u32_e32 v30, s8, v48
	v_lshlrev_b64 v[28:29], 4, v[48:49]
	v_add_co_u32 v32, vcc_lo, v73, v36
	s_delay_alu instid0(VALU_DEP_3) | instskip(SKIP_1) | instid1(VALU_DEP_4)
	v_add_nc_u32_e32 v34, s8, v30
	v_add_co_ci_u32_e32 v33, vcc_lo, v72, v37, vcc_lo
	v_add_co_u32 v28, vcc_lo, v73, v28
	v_add_co_ci_u32_e32 v29, vcc_lo, v72, v29, vcc_lo
	s_delay_alu instid0(VALU_DEP_4)
	v_add_nc_u32_e32 v36, s8, v34
	v_ashrrev_i32_e32 v31, 31, v30
	s_clause 0x1
	global_store_b128 v[32:33], v[24:27], off
	global_store_b128 v[28:29], v[20:23], off
	v_ashrrev_i32_e32 v35, 31, v34
	v_add_nc_u32_e32 v22, s8, v36
	v_lshlrev_b64 v[24:25], 4, v[30:31]
	v_ashrrev_i32_e32 v37, 31, v36
	s_delay_alu instid0(VALU_DEP_4) | instskip(NEXT) | instid1(VALU_DEP_4)
	v_lshlrev_b64 v[20:21], 4, v[34:35]
	v_add_nc_u32_e32 v28, s8, v22
	v_ashrrev_i32_e32 v23, 31, v22
	v_add_co_u32 v24, vcc_lo, v73, v24
	v_lshlrev_b64 v[26:27], 4, v[36:37]
	s_delay_alu instid0(VALU_DEP_4)
	v_ashrrev_i32_e32 v29, 31, v28
	v_add_co_ci_u32_e32 v25, vcc_lo, v72, v25, vcc_lo
	v_add_co_u32 v20, vcc_lo, v73, v20
	v_lshlrev_b64 v[22:23], 4, v[22:23]
	v_add_co_ci_u32_e32 v21, vcc_lo, v72, v21, vcc_lo
	v_add_co_u32 v26, vcc_lo, v73, v26
	v_lshlrev_b64 v[28:29], 4, v[28:29]
	v_add_co_ci_u32_e32 v27, vcc_lo, v72, v27, vcc_lo
	v_add_co_u32 v22, vcc_lo, v73, v22
	v_add_co_ci_u32_e32 v23, vcc_lo, v72, v23, vcc_lo
	s_delay_alu instid0(VALU_DEP_4)
	v_add_co_u32 v28, vcc_lo, v73, v28
	v_add_co_ci_u32_e32 v29, vcc_lo, v72, v29, vcc_lo
	s_clause 0x4
	global_store_b128 v[24:25], v[16:19], off
	global_store_b128 v[20:21], v[12:15], off
	;; [unrolled: 1-line block ×5, first 2 shown]
.LBB52_570:
	s_nop 0
	s_sendmsg sendmsg(MSG_DEALLOC_VGPRS)
	s_endpgm
	.section	.rodata,"a",@progbits
	.p2align	6, 0x0
	.amdhsa_kernel _ZN9rocsolver6v33100L18getf2_small_kernelILi27E19rocblas_complex_numIdEiiPKPS3_EEvT1_T3_lS7_lPS7_llPT2_S7_S7_S9_l
		.amdhsa_group_segment_fixed_size 0
		.amdhsa_private_segment_fixed_size 92
		.amdhsa_kernarg_size 352
		.amdhsa_user_sgpr_count 14
		.amdhsa_user_sgpr_dispatch_ptr 0
		.amdhsa_user_sgpr_queue_ptr 0
		.amdhsa_user_sgpr_kernarg_segment_ptr 1
		.amdhsa_user_sgpr_dispatch_id 0
		.amdhsa_user_sgpr_private_segment_size 0
		.amdhsa_wavefront_size32 1
		.amdhsa_uses_dynamic_stack 0
		.amdhsa_enable_private_segment 1
		.amdhsa_system_sgpr_workgroup_id_x 1
		.amdhsa_system_sgpr_workgroup_id_y 1
		.amdhsa_system_sgpr_workgroup_id_z 0
		.amdhsa_system_sgpr_workgroup_info 0
		.amdhsa_system_vgpr_workitem_id 1
		.amdhsa_next_free_vgpr 256
		.amdhsa_next_free_sgpr 16
		.amdhsa_reserve_vcc 1
		.amdhsa_float_round_mode_32 0
		.amdhsa_float_round_mode_16_64 0
		.amdhsa_float_denorm_mode_32 3
		.amdhsa_float_denorm_mode_16_64 3
		.amdhsa_dx10_clamp 1
		.amdhsa_ieee_mode 1
		.amdhsa_fp16_overflow 0
		.amdhsa_workgroup_processor_mode 1
		.amdhsa_memory_ordered 1
		.amdhsa_forward_progress 0
		.amdhsa_shared_vgpr_count 0
		.amdhsa_exception_fp_ieee_invalid_op 0
		.amdhsa_exception_fp_denorm_src 0
		.amdhsa_exception_fp_ieee_div_zero 0
		.amdhsa_exception_fp_ieee_overflow 0
		.amdhsa_exception_fp_ieee_underflow 0
		.amdhsa_exception_fp_ieee_inexact 0
		.amdhsa_exception_int_div_zero 0
	.end_amdhsa_kernel
	.section	.text._ZN9rocsolver6v33100L18getf2_small_kernelILi27E19rocblas_complex_numIdEiiPKPS3_EEvT1_T3_lS7_lPS7_llPT2_S7_S7_S9_l,"axG",@progbits,_ZN9rocsolver6v33100L18getf2_small_kernelILi27E19rocblas_complex_numIdEiiPKPS3_EEvT1_T3_lS7_lPS7_llPT2_S7_S7_S9_l,comdat
.Lfunc_end52:
	.size	_ZN9rocsolver6v33100L18getf2_small_kernelILi27E19rocblas_complex_numIdEiiPKPS3_EEvT1_T3_lS7_lPS7_llPT2_S7_S7_S9_l, .Lfunc_end52-_ZN9rocsolver6v33100L18getf2_small_kernelILi27E19rocblas_complex_numIdEiiPKPS3_EEvT1_T3_lS7_lPS7_llPT2_S7_S7_S9_l
                                        ; -- End function
	.section	.AMDGPU.csdata,"",@progbits
; Kernel info:
; codeLenInByte = 61744
; NumSgprs: 18
; NumVgprs: 256
; ScratchSize: 92
; MemoryBound: 0
; FloatMode: 240
; IeeeMode: 1
; LDSByteSize: 0 bytes/workgroup (compile time only)
; SGPRBlocks: 2
; VGPRBlocks: 31
; NumSGPRsForWavesPerEU: 18
; NumVGPRsForWavesPerEU: 256
; Occupancy: 5
; WaveLimiterHint : 1
; COMPUTE_PGM_RSRC2:SCRATCH_EN: 1
; COMPUTE_PGM_RSRC2:USER_SGPR: 14
; COMPUTE_PGM_RSRC2:TRAP_HANDLER: 0
; COMPUTE_PGM_RSRC2:TGID_X_EN: 1
; COMPUTE_PGM_RSRC2:TGID_Y_EN: 1
; COMPUTE_PGM_RSRC2:TGID_Z_EN: 0
; COMPUTE_PGM_RSRC2:TIDIG_COMP_CNT: 1
	.section	.text._ZN9rocsolver6v33100L23getf2_npvt_small_kernelILi27E19rocblas_complex_numIdEiiPKPS3_EEvT1_T3_lS7_lPT2_S7_S7_,"axG",@progbits,_ZN9rocsolver6v33100L23getf2_npvt_small_kernelILi27E19rocblas_complex_numIdEiiPKPS3_EEvT1_T3_lS7_lPT2_S7_S7_,comdat
	.globl	_ZN9rocsolver6v33100L23getf2_npvt_small_kernelILi27E19rocblas_complex_numIdEiiPKPS3_EEvT1_T3_lS7_lPT2_S7_S7_ ; -- Begin function _ZN9rocsolver6v33100L23getf2_npvt_small_kernelILi27E19rocblas_complex_numIdEiiPKPS3_EEvT1_T3_lS7_lPT2_S7_S7_
	.p2align	8
	.type	_ZN9rocsolver6v33100L23getf2_npvt_small_kernelILi27E19rocblas_complex_numIdEiiPKPS3_EEvT1_T3_lS7_lPT2_S7_S7_,@function
_ZN9rocsolver6v33100L23getf2_npvt_small_kernelILi27E19rocblas_complex_numIdEiiPKPS3_EEvT1_T3_lS7_lPT2_S7_S7_: ; @_ZN9rocsolver6v33100L23getf2_npvt_small_kernelILi27E19rocblas_complex_numIdEiiPKPS3_EEvT1_T3_lS7_lPT2_S7_S7_
; %bb.0:
	s_clause 0x1
	s_load_b32 s2, s[0:1], 0x44
	s_load_b64 s[36:37], s[0:1], 0x30
	v_bfe_u32 v108, v0, 10, 10
	s_waitcnt lgkmcnt(0)
	s_lshr_b32 s8, s2, 16
	s_mov_b32 s2, exec_lo
	s_delay_alu instid0(VALU_DEP_1) | instskip(NEXT) | instid1(VALU_DEP_1)
	v_mad_u64_u32 v[234:235], null, s15, s8, v[108:109]
	v_cmpx_gt_i32_e64 s36, v234
	s_cbranch_execz .LBB53_248
; %bb.1:
	s_clause 0x1
	s_load_b128 s[4:7], s[0:1], 0x8
	s_load_b32 s2, s[0:1], 0x18
	v_ashrrev_i32_e32 v235, 31, v234
	v_and_b32_e32 v232, 0x3ff, v0
	v_lshlrev_b32_e32 v109, 4, v108
	s_mulk_i32 s8, 0x1b0
	v_mad_u32_u24 v236, 0x1b0, v108, 0
	v_lshlrev_b64 v[1:2], 3, v[234:235]
	v_lshlrev_b32_e32 v53, 4, v232
	v_add3_u32 v233, 0, s8, v109
	s_waitcnt lgkmcnt(0)
	s_delay_alu instid0(VALU_DEP_3) | instskip(NEXT) | instid1(VALU_DEP_4)
	v_add_co_u32 v1, vcc_lo, s4, v1
	v_add_co_ci_u32_e32 v2, vcc_lo, s5, v2, vcc_lo
	v_add3_u32 v3, s2, s2, v232
	s_lshl_b64 s[6:7], s[6:7], 4
	s_ashr_i32 s3, s2, 31
	global_load_b64 v[1:2], v[1:2], off
	s_lshl_b64 s[4:5], s[2:3], 4
	v_add_nc_u32_e32 v5, s2, v3
	v_ashrrev_i32_e32 v4, 31, v3
	v_cmp_ne_u32_e64 s3, 0, v232
	s_delay_alu instid0(VALU_DEP_3) | instskip(SKIP_1) | instid1(VALU_DEP_4)
	v_add_nc_u32_e32 v7, s2, v5
	v_ashrrev_i32_e32 v6, 31, v5
	v_lshlrev_b64 v[3:4], 4, v[3:4]
	s_delay_alu instid0(VALU_DEP_3) | instskip(SKIP_1) | instid1(VALU_DEP_4)
	v_add_nc_u32_e32 v9, s2, v7
	v_ashrrev_i32_e32 v8, 31, v7
	v_lshlrev_b64 v[5:6], 4, v[5:6]
	;; [unrolled: 4-line block ×23, first 2 shown]
	v_cmp_eq_u32_e64 s2, 0, v232
	s_delay_alu instid0(VALU_DEP_4) | instskip(NEXT) | instid1(VALU_DEP_4)
	v_ashrrev_i32_e32 v52, 31, v51
	v_lshlrev_b64 v[49:50], 4, v[49:50]
	s_waitcnt vmcnt(0)
	v_add_co_u32 v54, vcc_lo, v1, s6
	v_add_co_ci_u32_e32 v2, vcc_lo, s7, v2, vcc_lo
	v_lshlrev_b64 v[0:1], 4, v[51:52]
	s_delay_alu instid0(VALU_DEP_3) | instskip(NEXT) | instid1(VALU_DEP_3)
	v_add_co_u32 v228, vcc_lo, v54, v53
	v_add_co_ci_u32_e32 v229, vcc_lo, 0, v2, vcc_lo
	v_add_co_u32 v226, vcc_lo, v54, v3
	v_add_co_ci_u32_e32 v227, vcc_lo, v2, v4, vcc_lo
	;; [unrolled: 2-line block ×25, first 2 shown]
	v_add_co_u32 v0, vcc_lo, v54, v0
	s_clause 0xe
	global_load_b128 v[96:99], v[226:227], off
	global_load_b128 v[92:95], v[224:225], off
	;; [unrolled: 1-line block ×15, first 2 shown]
	v_add_co_ci_u32_e32 v1, vcc_lo, v2, v1, vcc_lo
	v_add_co_u32 v230, vcc_lo, v228, s4
	v_add_co_ci_u32_e32 v231, vcc_lo, s5, v229, vcc_lo
	s_clause 0x8
	scratch_store_b64 off, v[19:20], off offset:72
	scratch_store_b64 off, v[17:18], off offset:64
	;; [unrolled: 1-line block ×9, first 2 shown]
	s_clause 0xa
	global_load_b128 v[36:39], v[19:20], off
	global_load_b128 v[32:35], v[17:18], off
	;; [unrolled: 1-line block ×11, first 2 shown]
	scratch_store_b64 off, v[0:1], off      ; 8-byte Folded Spill
	global_load_b128 v[0:3], v[0:1], off
	s_and_saveexec_b32 s5, s2
	s_cbranch_execz .LBB53_8
; %bb.2:
	s_waitcnt vmcnt(2)
	ds_store_2addr_b64 v233, v[104:105], v[106:107] offset1:1
	s_waitcnt vmcnt(1)
	ds_store_2addr_b64 v236, v[100:101], v[102:103] offset0:2 offset1:3
	ds_store_2addr_b64 v236, v[96:97], v[98:99] offset0:4 offset1:5
	;; [unrolled: 1-line block ×25, first 2 shown]
	s_waitcnt vmcnt(0)
	ds_store_2addr_b64 v236, v[0:1], v[2:3] offset0:52 offset1:53
	ds_load_2addr_b64 v[108:111], v233 offset1:1
	s_waitcnt lgkmcnt(0)
	v_cmp_neq_f64_e32 vcc_lo, 0, v[108:109]
	v_cmp_neq_f64_e64 s4, 0, v[110:111]
	s_delay_alu instid0(VALU_DEP_1) | instskip(NEXT) | instid1(SALU_CYCLE_1)
	s_or_b32 s4, vcc_lo, s4
	s_and_b32 exec_lo, exec_lo, s4
	s_cbranch_execz .LBB53_8
; %bb.3:
	v_cmp_gt_f64_e32 vcc_lo, 0, v[108:109]
	v_cmp_gt_f64_e64 s4, 0, v[110:111]
	v_xor_b32_e32 v112, 0x80000000, v109
	v_xor_b32_e32 v114, 0x80000000, v111
                                        ; implicit-def: $vgpr116_vgpr117
	s_delay_alu instid0(VALU_DEP_2) | instskip(NEXT) | instid1(VALU_DEP_2)
	v_cndmask_b32_e32 v113, v109, v112, vcc_lo
	v_cndmask_b32_e64 v115, v111, v114, s4
	v_cndmask_b32_e32 v112, v108, v108, vcc_lo
	v_cndmask_b32_e64 v114, v110, v110, s4
	s_mov_b32 s4, exec_lo
	s_delay_alu instid0(VALU_DEP_1)
	v_cmpx_ngt_f64_e32 v[112:113], v[114:115]
	s_xor_b32 s4, exec_lo, s4
                                        ; implicit-def: $vgpr112_vgpr113_vgpr114_vgpr115
	s_cbranch_execz .LBB53_5
; %bb.4:
	v_div_scale_f64 v[112:113], null, v[110:111], v[110:111], v[108:109]
	v_div_scale_f64 v[118:119], vcc_lo, v[108:109], v[110:111], v[108:109]
	s_delay_alu instid0(VALU_DEP_2) | instskip(SKIP_2) | instid1(VALU_DEP_1)
	v_rcp_f64_e32 v[114:115], v[112:113]
	s_waitcnt_depctr 0xfff
	v_fma_f64 v[116:117], -v[112:113], v[114:115], 1.0
	v_fma_f64 v[114:115], v[114:115], v[116:117], v[114:115]
	s_delay_alu instid0(VALU_DEP_1) | instskip(NEXT) | instid1(VALU_DEP_1)
	v_fma_f64 v[116:117], -v[112:113], v[114:115], 1.0
	v_fma_f64 v[114:115], v[114:115], v[116:117], v[114:115]
	s_delay_alu instid0(VALU_DEP_1) | instskip(NEXT) | instid1(VALU_DEP_1)
	v_mul_f64 v[116:117], v[118:119], v[114:115]
	v_fma_f64 v[112:113], -v[112:113], v[116:117], v[118:119]
	s_delay_alu instid0(VALU_DEP_1) | instskip(NEXT) | instid1(VALU_DEP_1)
	v_div_fmas_f64 v[112:113], v[112:113], v[114:115], v[116:117]
	v_div_fixup_f64 v[112:113], v[112:113], v[110:111], v[108:109]
	s_delay_alu instid0(VALU_DEP_1) | instskip(NEXT) | instid1(VALU_DEP_1)
	v_fma_f64 v[108:109], v[108:109], v[112:113], v[110:111]
	v_div_scale_f64 v[110:111], null, v[108:109], v[108:109], 1.0
	s_delay_alu instid0(VALU_DEP_1) | instskip(SKIP_2) | instid1(VALU_DEP_1)
	v_rcp_f64_e32 v[114:115], v[110:111]
	s_waitcnt_depctr 0xfff
	v_fma_f64 v[116:117], -v[110:111], v[114:115], 1.0
	v_fma_f64 v[114:115], v[114:115], v[116:117], v[114:115]
	s_delay_alu instid0(VALU_DEP_1) | instskip(NEXT) | instid1(VALU_DEP_1)
	v_fma_f64 v[116:117], -v[110:111], v[114:115], 1.0
	v_fma_f64 v[114:115], v[114:115], v[116:117], v[114:115]
	v_div_scale_f64 v[116:117], vcc_lo, 1.0, v[108:109], 1.0
	s_delay_alu instid0(VALU_DEP_1) | instskip(NEXT) | instid1(VALU_DEP_1)
	v_mul_f64 v[118:119], v[116:117], v[114:115]
	v_fma_f64 v[110:111], -v[110:111], v[118:119], v[116:117]
	s_delay_alu instid0(VALU_DEP_1) | instskip(NEXT) | instid1(VALU_DEP_1)
	v_div_fmas_f64 v[110:111], v[110:111], v[114:115], v[118:119]
	v_div_fixup_f64 v[114:115], v[110:111], v[108:109], 1.0
                                        ; implicit-def: $vgpr108_vgpr109
	s_delay_alu instid0(VALU_DEP_1)
	v_mul_f64 v[116:117], v[112:113], v[114:115]
	v_xor_b32_e32 v115, 0x80000000, v115
.LBB53_5:
	s_and_not1_saveexec_b32 s4, s4
	s_cbranch_execz .LBB53_7
; %bb.6:
	v_div_scale_f64 v[112:113], null, v[108:109], v[108:109], v[110:111]
	v_div_scale_f64 v[118:119], vcc_lo, v[110:111], v[108:109], v[110:111]
	s_delay_alu instid0(VALU_DEP_2) | instskip(SKIP_2) | instid1(VALU_DEP_1)
	v_rcp_f64_e32 v[114:115], v[112:113]
	s_waitcnt_depctr 0xfff
	v_fma_f64 v[116:117], -v[112:113], v[114:115], 1.0
	v_fma_f64 v[114:115], v[114:115], v[116:117], v[114:115]
	s_delay_alu instid0(VALU_DEP_1) | instskip(NEXT) | instid1(VALU_DEP_1)
	v_fma_f64 v[116:117], -v[112:113], v[114:115], 1.0
	v_fma_f64 v[114:115], v[114:115], v[116:117], v[114:115]
	s_delay_alu instid0(VALU_DEP_1) | instskip(NEXT) | instid1(VALU_DEP_1)
	v_mul_f64 v[116:117], v[118:119], v[114:115]
	v_fma_f64 v[112:113], -v[112:113], v[116:117], v[118:119]
	s_delay_alu instid0(VALU_DEP_1) | instskip(NEXT) | instid1(VALU_DEP_1)
	v_div_fmas_f64 v[112:113], v[112:113], v[114:115], v[116:117]
	v_div_fixup_f64 v[112:113], v[112:113], v[108:109], v[110:111]
	s_delay_alu instid0(VALU_DEP_1) | instskip(NEXT) | instid1(VALU_DEP_1)
	v_fma_f64 v[108:109], v[110:111], v[112:113], v[108:109]
	v_div_scale_f64 v[110:111], null, v[108:109], v[108:109], 1.0
	s_delay_alu instid0(VALU_DEP_1) | instskip(SKIP_2) | instid1(VALU_DEP_1)
	v_rcp_f64_e32 v[114:115], v[110:111]
	s_waitcnt_depctr 0xfff
	v_fma_f64 v[116:117], -v[110:111], v[114:115], 1.0
	v_fma_f64 v[114:115], v[114:115], v[116:117], v[114:115]
	s_delay_alu instid0(VALU_DEP_1) | instskip(NEXT) | instid1(VALU_DEP_1)
	v_fma_f64 v[116:117], -v[110:111], v[114:115], 1.0
	v_fma_f64 v[114:115], v[114:115], v[116:117], v[114:115]
	v_div_scale_f64 v[116:117], vcc_lo, 1.0, v[108:109], 1.0
	s_delay_alu instid0(VALU_DEP_1) | instskip(NEXT) | instid1(VALU_DEP_1)
	v_mul_f64 v[118:119], v[116:117], v[114:115]
	v_fma_f64 v[110:111], -v[110:111], v[118:119], v[116:117]
	s_delay_alu instid0(VALU_DEP_1) | instskip(NEXT) | instid1(VALU_DEP_1)
	v_div_fmas_f64 v[110:111], v[110:111], v[114:115], v[118:119]
	v_div_fixup_f64 v[116:117], v[110:111], v[108:109], 1.0
	s_delay_alu instid0(VALU_DEP_1)
	v_mul_f64 v[114:115], v[112:113], -v[116:117]
.LBB53_7:
	s_or_b32 exec_lo, exec_lo, s4
	ds_store_2addr_b64 v233, v[116:117], v[114:115] offset1:1
.LBB53_8:
	s_or_b32 exec_lo, exec_lo, s5
	s_waitcnt vmcnt(0) lgkmcnt(0)
	s_waitcnt_vscnt null, 0x0
	s_barrier
	buffer_gl0_inv
	ds_load_2addr_b64 v[108:111], v233 offset1:1
	s_waitcnt lgkmcnt(0)
	scratch_store_b128 off, v[108:111], off offset:80 ; 16-byte Folded Spill
	s_and_saveexec_b32 s4, s3
	s_cbranch_execz .LBB53_10
; %bb.9:
	scratch_load_b128 v[114:117], off, off offset:80 ; 16-byte Folded Reload
	s_waitcnt vmcnt(0)
	v_mul_f64 v[108:109], v[116:117], v[106:107]
	v_mul_f64 v[106:107], v[114:115], v[106:107]
	s_delay_alu instid0(VALU_DEP_2) | instskip(NEXT) | instid1(VALU_DEP_2)
	v_fma_f64 v[112:113], v[114:115], v[104:105], -v[108:109]
	v_fma_f64 v[106:107], v[116:117], v[104:105], v[106:107]
	ds_load_2addr_b64 v[108:111], v236 offset0:2 offset1:3
	ds_load_2addr_b64 v[114:117], v236 offset0:4 offset1:5
	s_waitcnt lgkmcnt(1)
	v_mul_f64 v[104:105], v[110:111], v[106:107]
	s_delay_alu instid0(VALU_DEP_1) | instskip(SKIP_1) | instid1(VALU_DEP_2)
	v_fma_f64 v[104:105], v[108:109], v[112:113], -v[104:105]
	v_mul_f64 v[108:109], v[108:109], v[106:107]
	v_add_f64 v[100:101], v[100:101], -v[104:105]
	s_delay_alu instid0(VALU_DEP_2) | instskip(SKIP_3) | instid1(VALU_DEP_3)
	v_fma_f64 v[118:119], v[110:111], v[112:113], v[108:109]
	s_waitcnt lgkmcnt(0)
	v_mul_f64 v[108:109], v[116:117], v[106:107]
	v_dual_mov_b32 v104, v112 :: v_dual_mov_b32 v105, v113
	v_add_f64 v[102:103], v[102:103], -v[118:119]
	s_delay_alu instid0(VALU_DEP_3) | instskip(SKIP_1) | instid1(VALU_DEP_2)
	v_fma_f64 v[120:121], v[114:115], v[112:113], -v[108:109]
	v_mul_f64 v[108:109], v[114:115], v[106:107]
	v_add_f64 v[96:97], v[96:97], -v[120:121]
	s_delay_alu instid0(VALU_DEP_2)
	v_fma_f64 v[122:123], v[116:117], v[112:113], v[108:109]
	ds_load_2addr_b64 v[108:111], v236 offset0:6 offset1:7
	ds_load_2addr_b64 v[114:117], v236 offset0:8 offset1:9
	s_waitcnt lgkmcnt(1)
	v_mul_f64 v[124:125], v[110:111], v[106:107]
	v_add_f64 v[98:99], v[98:99], -v[122:123]
	s_delay_alu instid0(VALU_DEP_2) | instskip(SKIP_1) | instid1(VALU_DEP_2)
	v_fma_f64 v[124:125], v[108:109], v[112:113], -v[124:125]
	v_mul_f64 v[108:109], v[108:109], v[106:107]
	v_add_f64 v[92:93], v[92:93], -v[124:125]
	s_delay_alu instid0(VALU_DEP_2) | instskip(SKIP_2) | instid1(VALU_DEP_2)
	v_fma_f64 v[126:127], v[110:111], v[112:113], v[108:109]
	s_waitcnt lgkmcnt(0)
	v_mul_f64 v[108:109], v[116:117], v[106:107]
	v_add_f64 v[94:95], v[94:95], -v[126:127]
	s_delay_alu instid0(VALU_DEP_2) | instskip(SKIP_1) | instid1(VALU_DEP_2)
	v_fma_f64 v[128:129], v[114:115], v[112:113], -v[108:109]
	v_mul_f64 v[108:109], v[114:115], v[106:107]
	v_add_f64 v[88:89], v[88:89], -v[128:129]
	s_delay_alu instid0(VALU_DEP_2)
	v_fma_f64 v[130:131], v[116:117], v[112:113], v[108:109]
	ds_load_2addr_b64 v[108:111], v236 offset0:10 offset1:11
	ds_load_2addr_b64 v[114:117], v236 offset0:12 offset1:13
	s_waitcnt lgkmcnt(1)
	v_mul_f64 v[132:133], v[110:111], v[106:107]
	v_add_f64 v[90:91], v[90:91], -v[130:131]
	s_delay_alu instid0(VALU_DEP_2) | instskip(SKIP_1) | instid1(VALU_DEP_2)
	v_fma_f64 v[132:133], v[108:109], v[112:113], -v[132:133]
	v_mul_f64 v[108:109], v[108:109], v[106:107]
	v_add_f64 v[84:85], v[84:85], -v[132:133]
	s_delay_alu instid0(VALU_DEP_2) | instskip(SKIP_2) | instid1(VALU_DEP_2)
	v_fma_f64 v[134:135], v[110:111], v[112:113], v[108:109]
	s_waitcnt lgkmcnt(0)
	v_mul_f64 v[108:109], v[116:117], v[106:107]
	v_add_f64 v[86:87], v[86:87], -v[134:135]
	s_delay_alu instid0(VALU_DEP_2) | instskip(SKIP_1) | instid1(VALU_DEP_2)
	;; [unrolled: 20-line block ×12, first 2 shown]
	v_fma_f64 v[110:111], v[114:115], v[112:113], -v[110:111]
	v_mul_f64 v[114:115], v[114:115], v[106:107]
	v_add_f64 v[0:1], v[0:1], -v[110:111]
	s_delay_alu instid0(VALU_DEP_2) | instskip(NEXT) | instid1(VALU_DEP_1)
	v_fma_f64 v[114:115], v[116:117], v[112:113], v[114:115]
	v_add_f64 v[2:3], v[2:3], -v[114:115]
.LBB53_10:
	s_or_b32 exec_lo, exec_lo, s4
	s_delay_alu instid0(SALU_CYCLE_1)
	s_mov_b32 s4, exec_lo
	s_waitcnt_vscnt null, 0x0
	s_barrier
	buffer_gl0_inv
	v_cmpx_eq_u32_e32 1, v232
	s_cbranch_execz .LBB53_17
; %bb.11:
	ds_store_2addr_b64 v233, v[100:101], v[102:103] offset1:1
	ds_store_2addr_b64 v236, v[96:97], v[98:99] offset0:4 offset1:5
	ds_store_2addr_b64 v236, v[92:93], v[94:95] offset0:6 offset1:7
	;; [unrolled: 1-line block ×25, first 2 shown]
	ds_load_2addr_b64 v[112:115], v233 offset1:1
	s_waitcnt lgkmcnt(0)
	v_cmp_neq_f64_e32 vcc_lo, 0, v[112:113]
	v_cmp_neq_f64_e64 s3, 0, v[114:115]
	s_delay_alu instid0(VALU_DEP_1) | instskip(NEXT) | instid1(SALU_CYCLE_1)
	s_or_b32 s3, vcc_lo, s3
	s_and_b32 exec_lo, exec_lo, s3
	s_cbranch_execz .LBB53_17
; %bb.12:
	v_cmp_gt_f64_e32 vcc_lo, 0, v[112:113]
	v_cmp_gt_f64_e64 s3, 0, v[114:115]
	v_xor_b32_e32 v108, 0x80000000, v113
	v_xor_b32_e32 v110, 0x80000000, v115
	s_delay_alu instid0(VALU_DEP_2) | instskip(NEXT) | instid1(VALU_DEP_2)
	v_cndmask_b32_e32 v109, v113, v108, vcc_lo
	v_cndmask_b32_e64 v111, v115, v110, s3
	v_cndmask_b32_e32 v108, v112, v112, vcc_lo
	v_cndmask_b32_e64 v110, v114, v114, s3
	s_delay_alu instid0(VALU_DEP_1) | instskip(SKIP_1) | instid1(SALU_CYCLE_1)
	v_cmp_ngt_f64_e32 vcc_lo, v[108:109], v[110:111]
                                        ; implicit-def: $vgpr108_vgpr109
	s_and_saveexec_b32 s3, vcc_lo
	s_xor_b32 s3, exec_lo, s3
                                        ; implicit-def: $vgpr116_vgpr117_vgpr118_vgpr119
	s_cbranch_execz .LBB53_14
; %bb.13:
	v_div_scale_f64 v[108:109], null, v[114:115], v[114:115], v[112:113]
	v_div_scale_f64 v[118:119], vcc_lo, v[112:113], v[114:115], v[112:113]
	s_delay_alu instid0(VALU_DEP_2) | instskip(SKIP_2) | instid1(VALU_DEP_1)
	v_rcp_f64_e32 v[110:111], v[108:109]
	s_waitcnt_depctr 0xfff
	v_fma_f64 v[116:117], -v[108:109], v[110:111], 1.0
	v_fma_f64 v[110:111], v[110:111], v[116:117], v[110:111]
	s_delay_alu instid0(VALU_DEP_1) | instskip(NEXT) | instid1(VALU_DEP_1)
	v_fma_f64 v[116:117], -v[108:109], v[110:111], 1.0
	v_fma_f64 v[110:111], v[110:111], v[116:117], v[110:111]
	s_delay_alu instid0(VALU_DEP_1) | instskip(NEXT) | instid1(VALU_DEP_1)
	v_mul_f64 v[116:117], v[118:119], v[110:111]
	v_fma_f64 v[108:109], -v[108:109], v[116:117], v[118:119]
	s_delay_alu instid0(VALU_DEP_1) | instskip(NEXT) | instid1(VALU_DEP_1)
	v_div_fmas_f64 v[108:109], v[108:109], v[110:111], v[116:117]
	v_div_fixup_f64 v[108:109], v[108:109], v[114:115], v[112:113]
	s_delay_alu instid0(VALU_DEP_1) | instskip(NEXT) | instid1(VALU_DEP_1)
	v_fma_f64 v[110:111], v[112:113], v[108:109], v[114:115]
	v_div_scale_f64 v[112:113], null, v[110:111], v[110:111], 1.0
	s_delay_alu instid0(VALU_DEP_1) | instskip(SKIP_2) | instid1(VALU_DEP_1)
	v_rcp_f64_e32 v[114:115], v[112:113]
	s_waitcnt_depctr 0xfff
	v_fma_f64 v[116:117], -v[112:113], v[114:115], 1.0
	v_fma_f64 v[114:115], v[114:115], v[116:117], v[114:115]
	s_delay_alu instid0(VALU_DEP_1) | instskip(NEXT) | instid1(VALU_DEP_1)
	v_fma_f64 v[116:117], -v[112:113], v[114:115], 1.0
	v_fma_f64 v[114:115], v[114:115], v[116:117], v[114:115]
	v_div_scale_f64 v[116:117], vcc_lo, 1.0, v[110:111], 1.0
	s_delay_alu instid0(VALU_DEP_1) | instskip(NEXT) | instid1(VALU_DEP_1)
	v_mul_f64 v[118:119], v[116:117], v[114:115]
	v_fma_f64 v[112:113], -v[112:113], v[118:119], v[116:117]
	s_delay_alu instid0(VALU_DEP_1) | instskip(NEXT) | instid1(VALU_DEP_1)
	v_div_fmas_f64 v[112:113], v[112:113], v[114:115], v[118:119]
	v_div_fixup_f64 v[118:119], v[112:113], v[110:111], 1.0
                                        ; implicit-def: $vgpr112_vgpr113
	s_delay_alu instid0(VALU_DEP_1)
	v_mul_f64 v[108:109], v[108:109], v[118:119]
	v_xor_b32_e32 v119, 0x80000000, v119
.LBB53_14:
	s_and_not1_saveexec_b32 s3, s3
	s_cbranch_execz .LBB53_16
; %bb.15:
	v_div_scale_f64 v[108:109], null, v[112:113], v[112:113], v[114:115]
	v_div_scale_f64 v[118:119], vcc_lo, v[114:115], v[112:113], v[114:115]
	s_delay_alu instid0(VALU_DEP_2) | instskip(SKIP_2) | instid1(VALU_DEP_1)
	v_rcp_f64_e32 v[110:111], v[108:109]
	s_waitcnt_depctr 0xfff
	v_fma_f64 v[116:117], -v[108:109], v[110:111], 1.0
	v_fma_f64 v[110:111], v[110:111], v[116:117], v[110:111]
	s_delay_alu instid0(VALU_DEP_1) | instskip(NEXT) | instid1(VALU_DEP_1)
	v_fma_f64 v[116:117], -v[108:109], v[110:111], 1.0
	v_fma_f64 v[110:111], v[110:111], v[116:117], v[110:111]
	s_delay_alu instid0(VALU_DEP_1) | instskip(NEXT) | instid1(VALU_DEP_1)
	v_mul_f64 v[116:117], v[118:119], v[110:111]
	v_fma_f64 v[108:109], -v[108:109], v[116:117], v[118:119]
	s_delay_alu instid0(VALU_DEP_1) | instskip(NEXT) | instid1(VALU_DEP_1)
	v_div_fmas_f64 v[108:109], v[108:109], v[110:111], v[116:117]
	v_div_fixup_f64 v[110:111], v[108:109], v[112:113], v[114:115]
	s_delay_alu instid0(VALU_DEP_1) | instskip(NEXT) | instid1(VALU_DEP_1)
	v_fma_f64 v[108:109], v[114:115], v[110:111], v[112:113]
	v_div_scale_f64 v[112:113], null, v[108:109], v[108:109], 1.0
	s_delay_alu instid0(VALU_DEP_1) | instskip(SKIP_2) | instid1(VALU_DEP_1)
	v_rcp_f64_e32 v[114:115], v[112:113]
	s_waitcnt_depctr 0xfff
	v_fma_f64 v[116:117], -v[112:113], v[114:115], 1.0
	v_fma_f64 v[114:115], v[114:115], v[116:117], v[114:115]
	s_delay_alu instid0(VALU_DEP_1) | instskip(NEXT) | instid1(VALU_DEP_1)
	v_fma_f64 v[116:117], -v[112:113], v[114:115], 1.0
	v_fma_f64 v[114:115], v[114:115], v[116:117], v[114:115]
	v_div_scale_f64 v[116:117], vcc_lo, 1.0, v[108:109], 1.0
	s_delay_alu instid0(VALU_DEP_1) | instskip(NEXT) | instid1(VALU_DEP_1)
	v_mul_f64 v[118:119], v[116:117], v[114:115]
	v_fma_f64 v[112:113], -v[112:113], v[118:119], v[116:117]
	s_delay_alu instid0(VALU_DEP_1) | instskip(NEXT) | instid1(VALU_DEP_1)
	v_div_fmas_f64 v[112:113], v[112:113], v[114:115], v[118:119]
	v_div_fixup_f64 v[108:109], v[112:113], v[108:109], 1.0
	s_delay_alu instid0(VALU_DEP_1)
	v_mul_f64 v[118:119], v[110:111], -v[108:109]
.LBB53_16:
	s_or_b32 exec_lo, exec_lo, s3
	ds_store_2addr_b64 v233, v[108:109], v[118:119] offset1:1
.LBB53_17:
	s_or_b32 exec_lo, exec_lo, s4
	s_waitcnt lgkmcnt(0)
	s_barrier
	buffer_gl0_inv
	ds_load_2addr_b64 v[108:111], v233 offset1:1
	s_mov_b32 s3, exec_lo
	s_waitcnt lgkmcnt(0)
	scratch_store_b128 off, v[108:111], off offset:96 ; 16-byte Folded Spill
	v_cmpx_lt_u32_e32 1, v232
	s_cbranch_execz .LBB53_19
; %bb.18:
	scratch_load_b128 v[110:113], off, off offset:96 ; 16-byte Folded Reload
	s_waitcnt vmcnt(0)
	v_mul_f64 v[108:109], v[112:113], v[102:103]
	v_mul_f64 v[102:103], v[110:111], v[102:103]
	s_delay_alu instid0(VALU_DEP_2) | instskip(NEXT) | instid1(VALU_DEP_2)
	v_fma_f64 v[116:117], v[110:111], v[100:101], -v[108:109]
	v_fma_f64 v[102:103], v[112:113], v[100:101], v[102:103]
	ds_load_2addr_b64 v[108:111], v236 offset0:4 offset1:5
	ds_load_2addr_b64 v[122:125], v236 offset0:6 offset1:7
	s_waitcnt lgkmcnt(1)
	v_mul_f64 v[100:101], v[110:111], v[102:103]
	s_delay_alu instid0(VALU_DEP_1) | instskip(SKIP_1) | instid1(VALU_DEP_2)
	v_fma_f64 v[100:101], v[108:109], v[116:117], -v[100:101]
	v_mul_f64 v[108:109], v[108:109], v[102:103]
	v_add_f64 v[96:97], v[96:97], -v[100:101]
	s_delay_alu instid0(VALU_DEP_2) | instskip(SKIP_3) | instid1(VALU_DEP_3)
	v_fma_f64 v[118:119], v[110:111], v[116:117], v[108:109]
	s_waitcnt lgkmcnt(0)
	v_mul_f64 v[108:109], v[124:125], v[102:103]
	v_dual_mov_b32 v100, v116 :: v_dual_mov_b32 v101, v117
	v_add_f64 v[98:99], v[98:99], -v[118:119]
	s_delay_alu instid0(VALU_DEP_3) | instskip(SKIP_1) | instid1(VALU_DEP_2)
	v_fma_f64 v[120:121], v[122:123], v[116:117], -v[108:109]
	v_mul_f64 v[108:109], v[122:123], v[102:103]
	v_add_f64 v[92:93], v[92:93], -v[120:121]
	s_delay_alu instid0(VALU_DEP_2)
	v_fma_f64 v[122:123], v[124:125], v[116:117], v[108:109]
	ds_load_2addr_b64 v[108:111], v236 offset0:8 offset1:9
	ds_load_2addr_b64 v[130:133], v236 offset0:10 offset1:11
	s_waitcnt lgkmcnt(1)
	v_mul_f64 v[124:125], v[110:111], v[102:103]
	v_add_f64 v[94:95], v[94:95], -v[122:123]
	s_delay_alu instid0(VALU_DEP_2) | instskip(SKIP_1) | instid1(VALU_DEP_2)
	v_fma_f64 v[124:125], v[108:109], v[116:117], -v[124:125]
	v_mul_f64 v[108:109], v[108:109], v[102:103]
	v_add_f64 v[88:89], v[88:89], -v[124:125]
	s_delay_alu instid0(VALU_DEP_2) | instskip(SKIP_2) | instid1(VALU_DEP_2)
	v_fma_f64 v[126:127], v[110:111], v[116:117], v[108:109]
	s_waitcnt lgkmcnt(0)
	v_mul_f64 v[108:109], v[132:133], v[102:103]
	v_add_f64 v[90:91], v[90:91], -v[126:127]
	s_delay_alu instid0(VALU_DEP_2) | instskip(SKIP_1) | instid1(VALU_DEP_2)
	v_fma_f64 v[128:129], v[130:131], v[116:117], -v[108:109]
	v_mul_f64 v[108:109], v[130:131], v[102:103]
	v_add_f64 v[84:85], v[84:85], -v[128:129]
	s_delay_alu instid0(VALU_DEP_2)
	v_fma_f64 v[130:131], v[132:133], v[116:117], v[108:109]
	ds_load_2addr_b64 v[108:111], v236 offset0:12 offset1:13
	ds_load_2addr_b64 v[138:141], v236 offset0:14 offset1:15
	s_waitcnt lgkmcnt(1)
	v_mul_f64 v[132:133], v[110:111], v[102:103]
	v_add_f64 v[86:87], v[86:87], -v[130:131]
	s_delay_alu instid0(VALU_DEP_2) | instskip(SKIP_1) | instid1(VALU_DEP_2)
	v_fma_f64 v[132:133], v[108:109], v[116:117], -v[132:133]
	v_mul_f64 v[108:109], v[108:109], v[102:103]
	v_add_f64 v[80:81], v[80:81], -v[132:133]
	s_delay_alu instid0(VALU_DEP_2) | instskip(SKIP_2) | instid1(VALU_DEP_2)
	v_fma_f64 v[134:135], v[110:111], v[116:117], v[108:109]
	s_waitcnt lgkmcnt(0)
	v_mul_f64 v[108:109], v[140:141], v[102:103]
	v_add_f64 v[82:83], v[82:83], -v[134:135]
	s_delay_alu instid0(VALU_DEP_2) | instskip(SKIP_1) | instid1(VALU_DEP_2)
	;; [unrolled: 20-line block ×11, first 2 shown]
	v_fma_f64 v[212:213], v[144:145], v[116:117], -v[108:109]
	v_mul_f64 v[108:109], v[144:145], v[102:103]
	v_add_f64 v[4:5], v[4:5], -v[212:213]
	s_delay_alu instid0(VALU_DEP_2) | instskip(SKIP_4) | instid1(VALU_DEP_2)
	v_fma_f64 v[144:145], v[146:147], v[116:117], v[108:109]
	ds_load_2addr_b64 v[108:111], v236 offset0:52 offset1:53
	s_waitcnt lgkmcnt(0)
	v_mul_f64 v[146:147], v[110:111], v[102:103]
	v_add_f64 v[6:7], v[6:7], -v[144:145]
	v_fma_f64 v[146:147], v[108:109], v[116:117], -v[146:147]
	v_mul_f64 v[108:109], v[108:109], v[102:103]
	s_delay_alu instid0(VALU_DEP_2) | instskip(NEXT) | instid1(VALU_DEP_2)
	v_add_f64 v[0:1], v[0:1], -v[146:147]
	v_fma_f64 v[108:109], v[110:111], v[116:117], v[108:109]
	s_delay_alu instid0(VALU_DEP_1)
	v_add_f64 v[2:3], v[2:3], -v[108:109]
.LBB53_19:
	s_or_b32 exec_lo, exec_lo, s3
	s_delay_alu instid0(SALU_CYCLE_1)
	s_mov_b32 s4, exec_lo
	s_waitcnt_vscnt null, 0x0
	s_barrier
	buffer_gl0_inv
	v_cmpx_eq_u32_e32 2, v232
	s_cbranch_execz .LBB53_26
; %bb.20:
	ds_store_2addr_b64 v233, v[96:97], v[98:99] offset1:1
	ds_store_2addr_b64 v236, v[92:93], v[94:95] offset0:6 offset1:7
	ds_store_2addr_b64 v236, v[88:89], v[90:91] offset0:8 offset1:9
	;; [unrolled: 1-line block ×24, first 2 shown]
	ds_load_2addr_b64 v[116:119], v233 offset1:1
	s_waitcnt lgkmcnt(0)
	v_cmp_neq_f64_e32 vcc_lo, 0, v[116:117]
	v_cmp_neq_f64_e64 s3, 0, v[118:119]
	s_delay_alu instid0(VALU_DEP_1) | instskip(NEXT) | instid1(SALU_CYCLE_1)
	s_or_b32 s3, vcc_lo, s3
	s_and_b32 exec_lo, exec_lo, s3
	s_cbranch_execz .LBB53_26
; %bb.21:
	v_cmp_gt_f64_e32 vcc_lo, 0, v[116:117]
	v_cmp_gt_f64_e64 s3, 0, v[118:119]
	v_xor_b32_e32 v108, 0x80000000, v117
	v_xor_b32_e32 v110, 0x80000000, v119
	s_delay_alu instid0(VALU_DEP_2) | instskip(NEXT) | instid1(VALU_DEP_2)
	v_cndmask_b32_e32 v109, v117, v108, vcc_lo
	v_cndmask_b32_e64 v111, v119, v110, s3
	v_cndmask_b32_e32 v108, v116, v116, vcc_lo
	v_cndmask_b32_e64 v110, v118, v118, s3
	s_delay_alu instid0(VALU_DEP_1) | instskip(SKIP_1) | instid1(SALU_CYCLE_1)
	v_cmp_ngt_f64_e32 vcc_lo, v[108:109], v[110:111]
                                        ; implicit-def: $vgpr108_vgpr109
	s_and_saveexec_b32 s3, vcc_lo
	s_xor_b32 s3, exec_lo, s3
                                        ; implicit-def: $vgpr120_vgpr121_vgpr122_vgpr123
	s_cbranch_execz .LBB53_23
; %bb.22:
	v_div_scale_f64 v[108:109], null, v[118:119], v[118:119], v[116:117]
	v_div_scale_f64 v[122:123], vcc_lo, v[116:117], v[118:119], v[116:117]
	s_delay_alu instid0(VALU_DEP_2) | instskip(SKIP_2) | instid1(VALU_DEP_1)
	v_rcp_f64_e32 v[110:111], v[108:109]
	s_waitcnt_depctr 0xfff
	v_fma_f64 v[120:121], -v[108:109], v[110:111], 1.0
	v_fma_f64 v[110:111], v[110:111], v[120:121], v[110:111]
	s_delay_alu instid0(VALU_DEP_1) | instskip(NEXT) | instid1(VALU_DEP_1)
	v_fma_f64 v[120:121], -v[108:109], v[110:111], 1.0
	v_fma_f64 v[110:111], v[110:111], v[120:121], v[110:111]
	s_delay_alu instid0(VALU_DEP_1) | instskip(NEXT) | instid1(VALU_DEP_1)
	v_mul_f64 v[120:121], v[122:123], v[110:111]
	v_fma_f64 v[108:109], -v[108:109], v[120:121], v[122:123]
	s_delay_alu instid0(VALU_DEP_1) | instskip(NEXT) | instid1(VALU_DEP_1)
	v_div_fmas_f64 v[108:109], v[108:109], v[110:111], v[120:121]
	v_div_fixup_f64 v[108:109], v[108:109], v[118:119], v[116:117]
	s_delay_alu instid0(VALU_DEP_1) | instskip(NEXT) | instid1(VALU_DEP_1)
	v_fma_f64 v[110:111], v[116:117], v[108:109], v[118:119]
	v_div_scale_f64 v[116:117], null, v[110:111], v[110:111], 1.0
	s_delay_alu instid0(VALU_DEP_1) | instskip(SKIP_2) | instid1(VALU_DEP_1)
	v_rcp_f64_e32 v[118:119], v[116:117]
	s_waitcnt_depctr 0xfff
	v_fma_f64 v[120:121], -v[116:117], v[118:119], 1.0
	v_fma_f64 v[118:119], v[118:119], v[120:121], v[118:119]
	s_delay_alu instid0(VALU_DEP_1) | instskip(NEXT) | instid1(VALU_DEP_1)
	v_fma_f64 v[120:121], -v[116:117], v[118:119], 1.0
	v_fma_f64 v[118:119], v[118:119], v[120:121], v[118:119]
	v_div_scale_f64 v[120:121], vcc_lo, 1.0, v[110:111], 1.0
	s_delay_alu instid0(VALU_DEP_1) | instskip(NEXT) | instid1(VALU_DEP_1)
	v_mul_f64 v[122:123], v[120:121], v[118:119]
	v_fma_f64 v[116:117], -v[116:117], v[122:123], v[120:121]
	s_delay_alu instid0(VALU_DEP_1) | instskip(NEXT) | instid1(VALU_DEP_1)
	v_div_fmas_f64 v[116:117], v[116:117], v[118:119], v[122:123]
	v_div_fixup_f64 v[122:123], v[116:117], v[110:111], 1.0
                                        ; implicit-def: $vgpr116_vgpr117
	s_delay_alu instid0(VALU_DEP_1)
	v_mul_f64 v[108:109], v[108:109], v[122:123]
	v_xor_b32_e32 v123, 0x80000000, v123
.LBB53_23:
	s_and_not1_saveexec_b32 s3, s3
	s_cbranch_execz .LBB53_25
; %bb.24:
	v_div_scale_f64 v[108:109], null, v[116:117], v[116:117], v[118:119]
	v_div_scale_f64 v[122:123], vcc_lo, v[118:119], v[116:117], v[118:119]
	s_delay_alu instid0(VALU_DEP_2) | instskip(SKIP_2) | instid1(VALU_DEP_1)
	v_rcp_f64_e32 v[110:111], v[108:109]
	s_waitcnt_depctr 0xfff
	v_fma_f64 v[120:121], -v[108:109], v[110:111], 1.0
	v_fma_f64 v[110:111], v[110:111], v[120:121], v[110:111]
	s_delay_alu instid0(VALU_DEP_1) | instskip(NEXT) | instid1(VALU_DEP_1)
	v_fma_f64 v[120:121], -v[108:109], v[110:111], 1.0
	v_fma_f64 v[110:111], v[110:111], v[120:121], v[110:111]
	s_delay_alu instid0(VALU_DEP_1) | instskip(NEXT) | instid1(VALU_DEP_1)
	v_mul_f64 v[120:121], v[122:123], v[110:111]
	v_fma_f64 v[108:109], -v[108:109], v[120:121], v[122:123]
	s_delay_alu instid0(VALU_DEP_1) | instskip(NEXT) | instid1(VALU_DEP_1)
	v_div_fmas_f64 v[108:109], v[108:109], v[110:111], v[120:121]
	v_div_fixup_f64 v[110:111], v[108:109], v[116:117], v[118:119]
	s_delay_alu instid0(VALU_DEP_1) | instskip(NEXT) | instid1(VALU_DEP_1)
	v_fma_f64 v[108:109], v[118:119], v[110:111], v[116:117]
	v_div_scale_f64 v[116:117], null, v[108:109], v[108:109], 1.0
	s_delay_alu instid0(VALU_DEP_1) | instskip(SKIP_2) | instid1(VALU_DEP_1)
	v_rcp_f64_e32 v[118:119], v[116:117]
	s_waitcnt_depctr 0xfff
	v_fma_f64 v[120:121], -v[116:117], v[118:119], 1.0
	v_fma_f64 v[118:119], v[118:119], v[120:121], v[118:119]
	s_delay_alu instid0(VALU_DEP_1) | instskip(NEXT) | instid1(VALU_DEP_1)
	v_fma_f64 v[120:121], -v[116:117], v[118:119], 1.0
	v_fma_f64 v[118:119], v[118:119], v[120:121], v[118:119]
	v_div_scale_f64 v[120:121], vcc_lo, 1.0, v[108:109], 1.0
	s_delay_alu instid0(VALU_DEP_1) | instskip(NEXT) | instid1(VALU_DEP_1)
	v_mul_f64 v[122:123], v[120:121], v[118:119]
	v_fma_f64 v[116:117], -v[116:117], v[122:123], v[120:121]
	s_delay_alu instid0(VALU_DEP_1) | instskip(NEXT) | instid1(VALU_DEP_1)
	v_div_fmas_f64 v[116:117], v[116:117], v[118:119], v[122:123]
	v_div_fixup_f64 v[108:109], v[116:117], v[108:109], 1.0
	s_delay_alu instid0(VALU_DEP_1)
	v_mul_f64 v[122:123], v[110:111], -v[108:109]
.LBB53_25:
	s_or_b32 exec_lo, exec_lo, s3
	ds_store_2addr_b64 v233, v[108:109], v[122:123] offset1:1
.LBB53_26:
	s_or_b32 exec_lo, exec_lo, s4
	s_waitcnt lgkmcnt(0)
	s_barrier
	buffer_gl0_inv
	ds_load_2addr_b64 v[116:119], v233 offset1:1
	s_mov_b32 s3, exec_lo
	v_cmpx_lt_u32_e32 2, v232
	s_cbranch_execz .LBB53_28
; %bb.27:
	s_waitcnt lgkmcnt(0)
	v_mul_f64 v[108:109], v[118:119], v[98:99]
	v_mul_f64 v[98:99], v[116:117], v[98:99]
	s_delay_alu instid0(VALU_DEP_2) | instskip(NEXT) | instid1(VALU_DEP_2)
	v_fma_f64 v[120:121], v[116:117], v[96:97], -v[108:109]
	v_fma_f64 v[98:99], v[118:119], v[96:97], v[98:99]
	ds_load_2addr_b64 v[108:111], v236 offset0:6 offset1:7
	ds_load_2addr_b64 v[126:129], v236 offset0:8 offset1:9
	s_waitcnt lgkmcnt(1)
	v_mul_f64 v[96:97], v[110:111], v[98:99]
	s_delay_alu instid0(VALU_DEP_1) | instskip(SKIP_1) | instid1(VALU_DEP_2)
	v_fma_f64 v[96:97], v[108:109], v[120:121], -v[96:97]
	v_mul_f64 v[108:109], v[108:109], v[98:99]
	v_add_f64 v[92:93], v[92:93], -v[96:97]
	s_delay_alu instid0(VALU_DEP_2) | instskip(SKIP_3) | instid1(VALU_DEP_3)
	v_fma_f64 v[122:123], v[110:111], v[120:121], v[108:109]
	s_waitcnt lgkmcnt(0)
	v_mul_f64 v[108:109], v[128:129], v[98:99]
	v_dual_mov_b32 v96, v120 :: v_dual_mov_b32 v97, v121
	v_add_f64 v[94:95], v[94:95], -v[122:123]
	s_delay_alu instid0(VALU_DEP_3) | instskip(SKIP_1) | instid1(VALU_DEP_2)
	v_fma_f64 v[124:125], v[126:127], v[120:121], -v[108:109]
	v_mul_f64 v[108:109], v[126:127], v[98:99]
	v_add_f64 v[88:89], v[88:89], -v[124:125]
	s_delay_alu instid0(VALU_DEP_2)
	v_fma_f64 v[126:127], v[128:129], v[120:121], v[108:109]
	ds_load_2addr_b64 v[108:111], v236 offset0:10 offset1:11
	ds_load_2addr_b64 v[134:137], v236 offset0:12 offset1:13
	s_waitcnt lgkmcnt(1)
	v_mul_f64 v[128:129], v[110:111], v[98:99]
	v_add_f64 v[90:91], v[90:91], -v[126:127]
	s_delay_alu instid0(VALU_DEP_2) | instskip(SKIP_1) | instid1(VALU_DEP_2)
	v_fma_f64 v[128:129], v[108:109], v[120:121], -v[128:129]
	v_mul_f64 v[108:109], v[108:109], v[98:99]
	v_add_f64 v[84:85], v[84:85], -v[128:129]
	s_delay_alu instid0(VALU_DEP_2) | instskip(SKIP_2) | instid1(VALU_DEP_2)
	v_fma_f64 v[130:131], v[110:111], v[120:121], v[108:109]
	s_waitcnt lgkmcnt(0)
	v_mul_f64 v[108:109], v[136:137], v[98:99]
	v_add_f64 v[86:87], v[86:87], -v[130:131]
	s_delay_alu instid0(VALU_DEP_2) | instskip(SKIP_1) | instid1(VALU_DEP_2)
	v_fma_f64 v[132:133], v[134:135], v[120:121], -v[108:109]
	v_mul_f64 v[108:109], v[134:135], v[98:99]
	v_add_f64 v[80:81], v[80:81], -v[132:133]
	s_delay_alu instid0(VALU_DEP_2)
	v_fma_f64 v[134:135], v[136:137], v[120:121], v[108:109]
	ds_load_2addr_b64 v[108:111], v236 offset0:14 offset1:15
	ds_load_2addr_b64 v[142:145], v236 offset0:16 offset1:17
	s_waitcnt lgkmcnt(1)
	v_mul_f64 v[136:137], v[110:111], v[98:99]
	v_add_f64 v[82:83], v[82:83], -v[134:135]
	s_delay_alu instid0(VALU_DEP_2) | instskip(SKIP_1) | instid1(VALU_DEP_2)
	v_fma_f64 v[136:137], v[108:109], v[120:121], -v[136:137]
	v_mul_f64 v[108:109], v[108:109], v[98:99]
	v_add_f64 v[76:77], v[76:77], -v[136:137]
	s_delay_alu instid0(VALU_DEP_2) | instskip(SKIP_2) | instid1(VALU_DEP_2)
	v_fma_f64 v[138:139], v[110:111], v[120:121], v[108:109]
	s_waitcnt lgkmcnt(0)
	v_mul_f64 v[108:109], v[144:145], v[98:99]
	v_add_f64 v[78:79], v[78:79], -v[138:139]
	s_delay_alu instid0(VALU_DEP_2) | instskip(SKIP_1) | instid1(VALU_DEP_2)
	;; [unrolled: 20-line block ×11, first 2 shown]
	v_fma_f64 v[110:111], v[144:145], v[120:121], -v[110:111]
	v_mul_f64 v[144:145], v[144:145], v[98:99]
	v_add_f64 v[0:1], v[0:1], -v[110:111]
	s_delay_alu instid0(VALU_DEP_2) | instskip(NEXT) | instid1(VALU_DEP_1)
	v_fma_f64 v[144:145], v[146:147], v[120:121], v[144:145]
	v_add_f64 v[2:3], v[2:3], -v[144:145]
.LBB53_28:
	s_or_b32 exec_lo, exec_lo, s3
	s_delay_alu instid0(SALU_CYCLE_1)
	s_mov_b32 s4, exec_lo
	s_waitcnt lgkmcnt(0)
	s_barrier
	buffer_gl0_inv
	v_cmpx_eq_u32_e32 3, v232
	s_cbranch_execz .LBB53_35
; %bb.29:
	ds_store_2addr_b64 v233, v[92:93], v[94:95] offset1:1
	ds_store_2addr_b64 v236, v[88:89], v[90:91] offset0:8 offset1:9
	ds_store_2addr_b64 v236, v[84:85], v[86:87] offset0:10 offset1:11
	;; [unrolled: 1-line block ×23, first 2 shown]
	ds_load_2addr_b64 v[120:123], v233 offset1:1
	s_waitcnt lgkmcnt(0)
	v_cmp_neq_f64_e32 vcc_lo, 0, v[120:121]
	v_cmp_neq_f64_e64 s3, 0, v[122:123]
	s_delay_alu instid0(VALU_DEP_1) | instskip(NEXT) | instid1(SALU_CYCLE_1)
	s_or_b32 s3, vcc_lo, s3
	s_and_b32 exec_lo, exec_lo, s3
	s_cbranch_execz .LBB53_35
; %bb.30:
	v_cmp_gt_f64_e32 vcc_lo, 0, v[120:121]
	v_cmp_gt_f64_e64 s3, 0, v[122:123]
	v_xor_b32_e32 v108, 0x80000000, v121
	v_xor_b32_e32 v110, 0x80000000, v123
	s_delay_alu instid0(VALU_DEP_2) | instskip(NEXT) | instid1(VALU_DEP_2)
	v_cndmask_b32_e32 v109, v121, v108, vcc_lo
	v_cndmask_b32_e64 v111, v123, v110, s3
	v_cndmask_b32_e32 v108, v120, v120, vcc_lo
	v_cndmask_b32_e64 v110, v122, v122, s3
	s_delay_alu instid0(VALU_DEP_1) | instskip(SKIP_1) | instid1(SALU_CYCLE_1)
	v_cmp_ngt_f64_e32 vcc_lo, v[108:109], v[110:111]
                                        ; implicit-def: $vgpr108_vgpr109
	s_and_saveexec_b32 s3, vcc_lo
	s_xor_b32 s3, exec_lo, s3
                                        ; implicit-def: $vgpr124_vgpr125_vgpr126_vgpr127
	s_cbranch_execz .LBB53_32
; %bb.31:
	v_div_scale_f64 v[108:109], null, v[122:123], v[122:123], v[120:121]
	v_div_scale_f64 v[126:127], vcc_lo, v[120:121], v[122:123], v[120:121]
	s_delay_alu instid0(VALU_DEP_2) | instskip(SKIP_2) | instid1(VALU_DEP_1)
	v_rcp_f64_e32 v[110:111], v[108:109]
	s_waitcnt_depctr 0xfff
	v_fma_f64 v[124:125], -v[108:109], v[110:111], 1.0
	v_fma_f64 v[110:111], v[110:111], v[124:125], v[110:111]
	s_delay_alu instid0(VALU_DEP_1) | instskip(NEXT) | instid1(VALU_DEP_1)
	v_fma_f64 v[124:125], -v[108:109], v[110:111], 1.0
	v_fma_f64 v[110:111], v[110:111], v[124:125], v[110:111]
	s_delay_alu instid0(VALU_DEP_1) | instskip(NEXT) | instid1(VALU_DEP_1)
	v_mul_f64 v[124:125], v[126:127], v[110:111]
	v_fma_f64 v[108:109], -v[108:109], v[124:125], v[126:127]
	s_delay_alu instid0(VALU_DEP_1) | instskip(NEXT) | instid1(VALU_DEP_1)
	v_div_fmas_f64 v[108:109], v[108:109], v[110:111], v[124:125]
	v_div_fixup_f64 v[108:109], v[108:109], v[122:123], v[120:121]
	s_delay_alu instid0(VALU_DEP_1) | instskip(NEXT) | instid1(VALU_DEP_1)
	v_fma_f64 v[110:111], v[120:121], v[108:109], v[122:123]
	v_div_scale_f64 v[120:121], null, v[110:111], v[110:111], 1.0
	s_delay_alu instid0(VALU_DEP_1) | instskip(SKIP_2) | instid1(VALU_DEP_1)
	v_rcp_f64_e32 v[122:123], v[120:121]
	s_waitcnt_depctr 0xfff
	v_fma_f64 v[124:125], -v[120:121], v[122:123], 1.0
	v_fma_f64 v[122:123], v[122:123], v[124:125], v[122:123]
	s_delay_alu instid0(VALU_DEP_1) | instskip(NEXT) | instid1(VALU_DEP_1)
	v_fma_f64 v[124:125], -v[120:121], v[122:123], 1.0
	v_fma_f64 v[122:123], v[122:123], v[124:125], v[122:123]
	v_div_scale_f64 v[124:125], vcc_lo, 1.0, v[110:111], 1.0
	s_delay_alu instid0(VALU_DEP_1) | instskip(NEXT) | instid1(VALU_DEP_1)
	v_mul_f64 v[126:127], v[124:125], v[122:123]
	v_fma_f64 v[120:121], -v[120:121], v[126:127], v[124:125]
	s_delay_alu instid0(VALU_DEP_1) | instskip(NEXT) | instid1(VALU_DEP_1)
	v_div_fmas_f64 v[120:121], v[120:121], v[122:123], v[126:127]
	v_div_fixup_f64 v[126:127], v[120:121], v[110:111], 1.0
                                        ; implicit-def: $vgpr120_vgpr121
	s_delay_alu instid0(VALU_DEP_1)
	v_mul_f64 v[108:109], v[108:109], v[126:127]
	v_xor_b32_e32 v127, 0x80000000, v127
.LBB53_32:
	s_and_not1_saveexec_b32 s3, s3
	s_cbranch_execz .LBB53_34
; %bb.33:
	v_div_scale_f64 v[108:109], null, v[120:121], v[120:121], v[122:123]
	v_div_scale_f64 v[126:127], vcc_lo, v[122:123], v[120:121], v[122:123]
	s_delay_alu instid0(VALU_DEP_2) | instskip(SKIP_2) | instid1(VALU_DEP_1)
	v_rcp_f64_e32 v[110:111], v[108:109]
	s_waitcnt_depctr 0xfff
	v_fma_f64 v[124:125], -v[108:109], v[110:111], 1.0
	v_fma_f64 v[110:111], v[110:111], v[124:125], v[110:111]
	s_delay_alu instid0(VALU_DEP_1) | instskip(NEXT) | instid1(VALU_DEP_1)
	v_fma_f64 v[124:125], -v[108:109], v[110:111], 1.0
	v_fma_f64 v[110:111], v[110:111], v[124:125], v[110:111]
	s_delay_alu instid0(VALU_DEP_1) | instskip(NEXT) | instid1(VALU_DEP_1)
	v_mul_f64 v[124:125], v[126:127], v[110:111]
	v_fma_f64 v[108:109], -v[108:109], v[124:125], v[126:127]
	s_delay_alu instid0(VALU_DEP_1) | instskip(NEXT) | instid1(VALU_DEP_1)
	v_div_fmas_f64 v[108:109], v[108:109], v[110:111], v[124:125]
	v_div_fixup_f64 v[110:111], v[108:109], v[120:121], v[122:123]
	s_delay_alu instid0(VALU_DEP_1) | instskip(NEXT) | instid1(VALU_DEP_1)
	v_fma_f64 v[108:109], v[122:123], v[110:111], v[120:121]
	v_div_scale_f64 v[120:121], null, v[108:109], v[108:109], 1.0
	s_delay_alu instid0(VALU_DEP_1) | instskip(SKIP_2) | instid1(VALU_DEP_1)
	v_rcp_f64_e32 v[122:123], v[120:121]
	s_waitcnt_depctr 0xfff
	v_fma_f64 v[124:125], -v[120:121], v[122:123], 1.0
	v_fma_f64 v[122:123], v[122:123], v[124:125], v[122:123]
	s_delay_alu instid0(VALU_DEP_1) | instskip(NEXT) | instid1(VALU_DEP_1)
	v_fma_f64 v[124:125], -v[120:121], v[122:123], 1.0
	v_fma_f64 v[122:123], v[122:123], v[124:125], v[122:123]
	v_div_scale_f64 v[124:125], vcc_lo, 1.0, v[108:109], 1.0
	s_delay_alu instid0(VALU_DEP_1) | instskip(NEXT) | instid1(VALU_DEP_1)
	v_mul_f64 v[126:127], v[124:125], v[122:123]
	v_fma_f64 v[120:121], -v[120:121], v[126:127], v[124:125]
	s_delay_alu instid0(VALU_DEP_1) | instskip(NEXT) | instid1(VALU_DEP_1)
	v_div_fmas_f64 v[120:121], v[120:121], v[122:123], v[126:127]
	v_div_fixup_f64 v[108:109], v[120:121], v[108:109], 1.0
	s_delay_alu instid0(VALU_DEP_1)
	v_mul_f64 v[126:127], v[110:111], -v[108:109]
.LBB53_34:
	s_or_b32 exec_lo, exec_lo, s3
	ds_store_2addr_b64 v233, v[108:109], v[126:127] offset1:1
.LBB53_35:
	s_or_b32 exec_lo, exec_lo, s4
	s_waitcnt lgkmcnt(0)
	s_barrier
	buffer_gl0_inv
	ds_load_2addr_b64 v[120:123], v233 offset1:1
	s_mov_b32 s3, exec_lo
	v_cmpx_lt_u32_e32 3, v232
	s_cbranch_execz .LBB53_37
; %bb.36:
	s_waitcnt lgkmcnt(0)
	v_mul_f64 v[108:109], v[122:123], v[94:95]
	v_mul_f64 v[94:95], v[120:121], v[94:95]
	s_delay_alu instid0(VALU_DEP_2) | instskip(NEXT) | instid1(VALU_DEP_2)
	v_fma_f64 v[124:125], v[120:121], v[92:93], -v[108:109]
	v_fma_f64 v[94:95], v[122:123], v[92:93], v[94:95]
	ds_load_2addr_b64 v[108:111], v236 offset0:8 offset1:9
	ds_load_2addr_b64 v[130:133], v236 offset0:10 offset1:11
	s_waitcnt lgkmcnt(1)
	v_mul_f64 v[92:93], v[110:111], v[94:95]
	s_delay_alu instid0(VALU_DEP_1) | instskip(SKIP_1) | instid1(VALU_DEP_2)
	v_fma_f64 v[92:93], v[108:109], v[124:125], -v[92:93]
	v_mul_f64 v[108:109], v[108:109], v[94:95]
	v_add_f64 v[88:89], v[88:89], -v[92:93]
	s_delay_alu instid0(VALU_DEP_2) | instskip(SKIP_3) | instid1(VALU_DEP_3)
	v_fma_f64 v[126:127], v[110:111], v[124:125], v[108:109]
	s_waitcnt lgkmcnt(0)
	v_mul_f64 v[108:109], v[132:133], v[94:95]
	v_dual_mov_b32 v92, v124 :: v_dual_mov_b32 v93, v125
	v_add_f64 v[90:91], v[90:91], -v[126:127]
	s_delay_alu instid0(VALU_DEP_3) | instskip(SKIP_1) | instid1(VALU_DEP_2)
	v_fma_f64 v[128:129], v[130:131], v[124:125], -v[108:109]
	v_mul_f64 v[108:109], v[130:131], v[94:95]
	v_add_f64 v[84:85], v[84:85], -v[128:129]
	s_delay_alu instid0(VALU_DEP_2)
	v_fma_f64 v[130:131], v[132:133], v[124:125], v[108:109]
	ds_load_2addr_b64 v[108:111], v236 offset0:12 offset1:13
	ds_load_2addr_b64 v[138:141], v236 offset0:14 offset1:15
	s_waitcnt lgkmcnt(1)
	v_mul_f64 v[132:133], v[110:111], v[94:95]
	v_add_f64 v[86:87], v[86:87], -v[130:131]
	s_delay_alu instid0(VALU_DEP_2) | instskip(SKIP_1) | instid1(VALU_DEP_2)
	v_fma_f64 v[132:133], v[108:109], v[124:125], -v[132:133]
	v_mul_f64 v[108:109], v[108:109], v[94:95]
	v_add_f64 v[80:81], v[80:81], -v[132:133]
	s_delay_alu instid0(VALU_DEP_2) | instskip(SKIP_2) | instid1(VALU_DEP_2)
	v_fma_f64 v[134:135], v[110:111], v[124:125], v[108:109]
	s_waitcnt lgkmcnt(0)
	v_mul_f64 v[108:109], v[140:141], v[94:95]
	v_add_f64 v[82:83], v[82:83], -v[134:135]
	s_delay_alu instid0(VALU_DEP_2) | instskip(SKIP_1) | instid1(VALU_DEP_2)
	v_fma_f64 v[136:137], v[138:139], v[124:125], -v[108:109]
	v_mul_f64 v[108:109], v[138:139], v[94:95]
	v_add_f64 v[76:77], v[76:77], -v[136:137]
	s_delay_alu instid0(VALU_DEP_2)
	v_fma_f64 v[138:139], v[140:141], v[124:125], v[108:109]
	ds_load_2addr_b64 v[108:111], v236 offset0:16 offset1:17
	ds_load_2addr_b64 v[140:143], v236 offset0:18 offset1:19
	s_waitcnt lgkmcnt(1)
	v_mul_f64 v[144:145], v[110:111], v[94:95]
	v_add_f64 v[78:79], v[78:79], -v[138:139]
	s_delay_alu instid0(VALU_DEP_2) | instskip(SKIP_1) | instid1(VALU_DEP_2)
	v_fma_f64 v[144:145], v[108:109], v[124:125], -v[144:145]
	v_mul_f64 v[108:109], v[108:109], v[94:95]
	v_add_f64 v[72:73], v[72:73], -v[144:145]
	s_delay_alu instid0(VALU_DEP_2) | instskip(SKIP_2) | instid1(VALU_DEP_2)
	v_fma_f64 v[146:147], v[110:111], v[124:125], v[108:109]
	s_waitcnt lgkmcnt(0)
	v_mul_f64 v[108:109], v[142:143], v[94:95]
	v_add_f64 v[74:75], v[74:75], -v[146:147]
	s_delay_alu instid0(VALU_DEP_2) | instskip(SKIP_1) | instid1(VALU_DEP_2)
	;; [unrolled: 20-line block ×10, first 2 shown]
	v_fma_f64 v[212:213], v[140:141], v[124:125], -v[108:109]
	v_mul_f64 v[108:109], v[140:141], v[94:95]
	v_add_f64 v[4:5], v[4:5], -v[212:213]
	s_delay_alu instid0(VALU_DEP_2) | instskip(SKIP_4) | instid1(VALU_DEP_2)
	v_fma_f64 v[140:141], v[142:143], v[124:125], v[108:109]
	ds_load_2addr_b64 v[108:111], v236 offset0:52 offset1:53
	s_waitcnt lgkmcnt(0)
	v_mul_f64 v[142:143], v[110:111], v[94:95]
	v_add_f64 v[6:7], v[6:7], -v[140:141]
	v_fma_f64 v[142:143], v[108:109], v[124:125], -v[142:143]
	v_mul_f64 v[108:109], v[108:109], v[94:95]
	s_delay_alu instid0(VALU_DEP_2) | instskip(NEXT) | instid1(VALU_DEP_2)
	v_add_f64 v[0:1], v[0:1], -v[142:143]
	v_fma_f64 v[108:109], v[110:111], v[124:125], v[108:109]
	s_delay_alu instid0(VALU_DEP_1)
	v_add_f64 v[2:3], v[2:3], -v[108:109]
.LBB53_37:
	s_or_b32 exec_lo, exec_lo, s3
	s_delay_alu instid0(SALU_CYCLE_1)
	s_mov_b32 s4, exec_lo
	s_waitcnt lgkmcnt(0)
	s_barrier
	buffer_gl0_inv
	v_cmpx_eq_u32_e32 4, v232
	s_cbranch_execz .LBB53_44
; %bb.38:
	ds_store_2addr_b64 v233, v[88:89], v[90:91] offset1:1
	ds_store_2addr_b64 v236, v[84:85], v[86:87] offset0:10 offset1:11
	ds_store_2addr_b64 v236, v[80:81], v[82:83] offset0:12 offset1:13
	;; [unrolled: 1-line block ×22, first 2 shown]
	ds_load_2addr_b64 v[124:127], v233 offset1:1
	s_waitcnt lgkmcnt(0)
	v_cmp_neq_f64_e32 vcc_lo, 0, v[124:125]
	v_cmp_neq_f64_e64 s3, 0, v[126:127]
	s_delay_alu instid0(VALU_DEP_1) | instskip(NEXT) | instid1(SALU_CYCLE_1)
	s_or_b32 s3, vcc_lo, s3
	s_and_b32 exec_lo, exec_lo, s3
	s_cbranch_execz .LBB53_44
; %bb.39:
	v_cmp_gt_f64_e32 vcc_lo, 0, v[124:125]
	v_cmp_gt_f64_e64 s3, 0, v[126:127]
	v_xor_b32_e32 v108, 0x80000000, v125
	v_xor_b32_e32 v110, 0x80000000, v127
	s_delay_alu instid0(VALU_DEP_2) | instskip(NEXT) | instid1(VALU_DEP_2)
	v_cndmask_b32_e32 v109, v125, v108, vcc_lo
	v_cndmask_b32_e64 v111, v127, v110, s3
	v_cndmask_b32_e32 v108, v124, v124, vcc_lo
	v_cndmask_b32_e64 v110, v126, v126, s3
	s_delay_alu instid0(VALU_DEP_1) | instskip(SKIP_1) | instid1(SALU_CYCLE_1)
	v_cmp_ngt_f64_e32 vcc_lo, v[108:109], v[110:111]
                                        ; implicit-def: $vgpr108_vgpr109
	s_and_saveexec_b32 s3, vcc_lo
	s_xor_b32 s3, exec_lo, s3
                                        ; implicit-def: $vgpr128_vgpr129_vgpr130_vgpr131
	s_cbranch_execz .LBB53_41
; %bb.40:
	v_div_scale_f64 v[108:109], null, v[126:127], v[126:127], v[124:125]
	v_div_scale_f64 v[130:131], vcc_lo, v[124:125], v[126:127], v[124:125]
	s_delay_alu instid0(VALU_DEP_2) | instskip(SKIP_2) | instid1(VALU_DEP_1)
	v_rcp_f64_e32 v[110:111], v[108:109]
	s_waitcnt_depctr 0xfff
	v_fma_f64 v[128:129], -v[108:109], v[110:111], 1.0
	v_fma_f64 v[110:111], v[110:111], v[128:129], v[110:111]
	s_delay_alu instid0(VALU_DEP_1) | instskip(NEXT) | instid1(VALU_DEP_1)
	v_fma_f64 v[128:129], -v[108:109], v[110:111], 1.0
	v_fma_f64 v[110:111], v[110:111], v[128:129], v[110:111]
	s_delay_alu instid0(VALU_DEP_1) | instskip(NEXT) | instid1(VALU_DEP_1)
	v_mul_f64 v[128:129], v[130:131], v[110:111]
	v_fma_f64 v[108:109], -v[108:109], v[128:129], v[130:131]
	s_delay_alu instid0(VALU_DEP_1) | instskip(NEXT) | instid1(VALU_DEP_1)
	v_div_fmas_f64 v[108:109], v[108:109], v[110:111], v[128:129]
	v_div_fixup_f64 v[108:109], v[108:109], v[126:127], v[124:125]
	s_delay_alu instid0(VALU_DEP_1) | instskip(NEXT) | instid1(VALU_DEP_1)
	v_fma_f64 v[110:111], v[124:125], v[108:109], v[126:127]
	v_div_scale_f64 v[124:125], null, v[110:111], v[110:111], 1.0
	s_delay_alu instid0(VALU_DEP_1) | instskip(SKIP_2) | instid1(VALU_DEP_1)
	v_rcp_f64_e32 v[126:127], v[124:125]
	s_waitcnt_depctr 0xfff
	v_fma_f64 v[128:129], -v[124:125], v[126:127], 1.0
	v_fma_f64 v[126:127], v[126:127], v[128:129], v[126:127]
	s_delay_alu instid0(VALU_DEP_1) | instskip(NEXT) | instid1(VALU_DEP_1)
	v_fma_f64 v[128:129], -v[124:125], v[126:127], 1.0
	v_fma_f64 v[126:127], v[126:127], v[128:129], v[126:127]
	v_div_scale_f64 v[128:129], vcc_lo, 1.0, v[110:111], 1.0
	s_delay_alu instid0(VALU_DEP_1) | instskip(NEXT) | instid1(VALU_DEP_1)
	v_mul_f64 v[130:131], v[128:129], v[126:127]
	v_fma_f64 v[124:125], -v[124:125], v[130:131], v[128:129]
	s_delay_alu instid0(VALU_DEP_1) | instskip(NEXT) | instid1(VALU_DEP_1)
	v_div_fmas_f64 v[124:125], v[124:125], v[126:127], v[130:131]
	v_div_fixup_f64 v[130:131], v[124:125], v[110:111], 1.0
                                        ; implicit-def: $vgpr124_vgpr125
	s_delay_alu instid0(VALU_DEP_1)
	v_mul_f64 v[108:109], v[108:109], v[130:131]
	v_xor_b32_e32 v131, 0x80000000, v131
.LBB53_41:
	s_and_not1_saveexec_b32 s3, s3
	s_cbranch_execz .LBB53_43
; %bb.42:
	v_div_scale_f64 v[108:109], null, v[124:125], v[124:125], v[126:127]
	v_div_scale_f64 v[130:131], vcc_lo, v[126:127], v[124:125], v[126:127]
	s_delay_alu instid0(VALU_DEP_2) | instskip(SKIP_2) | instid1(VALU_DEP_1)
	v_rcp_f64_e32 v[110:111], v[108:109]
	s_waitcnt_depctr 0xfff
	v_fma_f64 v[128:129], -v[108:109], v[110:111], 1.0
	v_fma_f64 v[110:111], v[110:111], v[128:129], v[110:111]
	s_delay_alu instid0(VALU_DEP_1) | instskip(NEXT) | instid1(VALU_DEP_1)
	v_fma_f64 v[128:129], -v[108:109], v[110:111], 1.0
	v_fma_f64 v[110:111], v[110:111], v[128:129], v[110:111]
	s_delay_alu instid0(VALU_DEP_1) | instskip(NEXT) | instid1(VALU_DEP_1)
	v_mul_f64 v[128:129], v[130:131], v[110:111]
	v_fma_f64 v[108:109], -v[108:109], v[128:129], v[130:131]
	s_delay_alu instid0(VALU_DEP_1) | instskip(NEXT) | instid1(VALU_DEP_1)
	v_div_fmas_f64 v[108:109], v[108:109], v[110:111], v[128:129]
	v_div_fixup_f64 v[110:111], v[108:109], v[124:125], v[126:127]
	s_delay_alu instid0(VALU_DEP_1) | instskip(NEXT) | instid1(VALU_DEP_1)
	v_fma_f64 v[108:109], v[126:127], v[110:111], v[124:125]
	v_div_scale_f64 v[124:125], null, v[108:109], v[108:109], 1.0
	s_delay_alu instid0(VALU_DEP_1) | instskip(SKIP_2) | instid1(VALU_DEP_1)
	v_rcp_f64_e32 v[126:127], v[124:125]
	s_waitcnt_depctr 0xfff
	v_fma_f64 v[128:129], -v[124:125], v[126:127], 1.0
	v_fma_f64 v[126:127], v[126:127], v[128:129], v[126:127]
	s_delay_alu instid0(VALU_DEP_1) | instskip(NEXT) | instid1(VALU_DEP_1)
	v_fma_f64 v[128:129], -v[124:125], v[126:127], 1.0
	v_fma_f64 v[126:127], v[126:127], v[128:129], v[126:127]
	v_div_scale_f64 v[128:129], vcc_lo, 1.0, v[108:109], 1.0
	s_delay_alu instid0(VALU_DEP_1) | instskip(NEXT) | instid1(VALU_DEP_1)
	v_mul_f64 v[130:131], v[128:129], v[126:127]
	v_fma_f64 v[124:125], -v[124:125], v[130:131], v[128:129]
	s_delay_alu instid0(VALU_DEP_1) | instskip(NEXT) | instid1(VALU_DEP_1)
	v_div_fmas_f64 v[124:125], v[124:125], v[126:127], v[130:131]
	v_div_fixup_f64 v[108:109], v[124:125], v[108:109], 1.0
	s_delay_alu instid0(VALU_DEP_1)
	v_mul_f64 v[130:131], v[110:111], -v[108:109]
.LBB53_43:
	s_or_b32 exec_lo, exec_lo, s3
	ds_store_2addr_b64 v233, v[108:109], v[130:131] offset1:1
.LBB53_44:
	s_or_b32 exec_lo, exec_lo, s4
	s_waitcnt lgkmcnt(0)
	s_barrier
	buffer_gl0_inv
	ds_load_2addr_b64 v[124:127], v233 offset1:1
	s_mov_b32 s3, exec_lo
	v_cmpx_lt_u32_e32 4, v232
	s_cbranch_execz .LBB53_46
; %bb.45:
	s_waitcnt lgkmcnt(0)
	v_mul_f64 v[108:109], v[126:127], v[90:91]
	v_mul_f64 v[90:91], v[124:125], v[90:91]
	s_delay_alu instid0(VALU_DEP_2) | instskip(NEXT) | instid1(VALU_DEP_2)
	v_fma_f64 v[128:129], v[124:125], v[88:89], -v[108:109]
	v_fma_f64 v[90:91], v[126:127], v[88:89], v[90:91]
	ds_load_2addr_b64 v[108:111], v236 offset0:10 offset1:11
	ds_load_2addr_b64 v[134:137], v236 offset0:12 offset1:13
	s_waitcnt lgkmcnt(1)
	v_mul_f64 v[88:89], v[110:111], v[90:91]
	s_delay_alu instid0(VALU_DEP_1) | instskip(SKIP_1) | instid1(VALU_DEP_2)
	v_fma_f64 v[88:89], v[108:109], v[128:129], -v[88:89]
	v_mul_f64 v[108:109], v[108:109], v[90:91]
	v_add_f64 v[84:85], v[84:85], -v[88:89]
	s_delay_alu instid0(VALU_DEP_2) | instskip(SKIP_3) | instid1(VALU_DEP_3)
	v_fma_f64 v[130:131], v[110:111], v[128:129], v[108:109]
	s_waitcnt lgkmcnt(0)
	v_mul_f64 v[108:109], v[136:137], v[90:91]
	v_dual_mov_b32 v88, v128 :: v_dual_mov_b32 v89, v129
	v_add_f64 v[86:87], v[86:87], -v[130:131]
	s_delay_alu instid0(VALU_DEP_3) | instskip(SKIP_1) | instid1(VALU_DEP_2)
	v_fma_f64 v[132:133], v[134:135], v[128:129], -v[108:109]
	v_mul_f64 v[108:109], v[134:135], v[90:91]
	v_add_f64 v[80:81], v[80:81], -v[132:133]
	s_delay_alu instid0(VALU_DEP_2)
	v_fma_f64 v[134:135], v[136:137], v[128:129], v[108:109]
	ds_load_2addr_b64 v[108:111], v236 offset0:14 offset1:15
	ds_load_2addr_b64 v[142:145], v236 offset0:16 offset1:17
	s_waitcnt lgkmcnt(1)
	v_mul_f64 v[136:137], v[110:111], v[90:91]
	v_add_f64 v[82:83], v[82:83], -v[134:135]
	s_delay_alu instid0(VALU_DEP_2) | instskip(SKIP_1) | instid1(VALU_DEP_2)
	v_fma_f64 v[136:137], v[108:109], v[128:129], -v[136:137]
	v_mul_f64 v[108:109], v[108:109], v[90:91]
	v_add_f64 v[76:77], v[76:77], -v[136:137]
	s_delay_alu instid0(VALU_DEP_2) | instskip(SKIP_2) | instid1(VALU_DEP_2)
	v_fma_f64 v[138:139], v[110:111], v[128:129], v[108:109]
	s_waitcnt lgkmcnt(0)
	v_mul_f64 v[108:109], v[144:145], v[90:91]
	v_add_f64 v[78:79], v[78:79], -v[138:139]
	s_delay_alu instid0(VALU_DEP_2) | instskip(SKIP_1) | instid1(VALU_DEP_2)
	v_fma_f64 v[140:141], v[142:143], v[128:129], -v[108:109]
	v_mul_f64 v[108:109], v[142:143], v[90:91]
	v_add_f64 v[72:73], v[72:73], -v[140:141]
	s_delay_alu instid0(VALU_DEP_2)
	v_fma_f64 v[142:143], v[144:145], v[128:129], v[108:109]
	ds_load_2addr_b64 v[108:111], v236 offset0:18 offset1:19
	ds_load_2addr_b64 v[144:147], v236 offset0:20 offset1:21
	s_waitcnt lgkmcnt(1)
	v_mul_f64 v[148:149], v[110:111], v[90:91]
	v_add_f64 v[74:75], v[74:75], -v[142:143]
	s_delay_alu instid0(VALU_DEP_2) | instskip(SKIP_1) | instid1(VALU_DEP_2)
	v_fma_f64 v[148:149], v[108:109], v[128:129], -v[148:149]
	v_mul_f64 v[108:109], v[108:109], v[90:91]
	v_add_f64 v[68:69], v[68:69], -v[148:149]
	s_delay_alu instid0(VALU_DEP_2) | instskip(SKIP_2) | instid1(VALU_DEP_2)
	v_fma_f64 v[150:151], v[110:111], v[128:129], v[108:109]
	s_waitcnt lgkmcnt(0)
	v_mul_f64 v[108:109], v[146:147], v[90:91]
	v_add_f64 v[70:71], v[70:71], -v[150:151]
	s_delay_alu instid0(VALU_DEP_2) | instskip(SKIP_1) | instid1(VALU_DEP_2)
	v_fma_f64 v[152:153], v[144:145], v[128:129], -v[108:109]
	v_mul_f64 v[108:109], v[144:145], v[90:91]
	v_add_f64 v[64:65], v[64:65], -v[152:153]
	s_delay_alu instid0(VALU_DEP_2)
	v_fma_f64 v[154:155], v[146:147], v[128:129], v[108:109]
	ds_load_2addr_b64 v[108:111], v236 offset0:22 offset1:23
	ds_load_2addr_b64 v[144:147], v236 offset0:24 offset1:25
	s_waitcnt lgkmcnt(1)
	v_mul_f64 v[156:157], v[110:111], v[90:91]
	v_add_f64 v[66:67], v[66:67], -v[154:155]
	s_delay_alu instid0(VALU_DEP_2) | instskip(SKIP_1) | instid1(VALU_DEP_2)
	v_fma_f64 v[156:157], v[108:109], v[128:129], -v[156:157]
	v_mul_f64 v[108:109], v[108:109], v[90:91]
	v_add_f64 v[60:61], v[60:61], -v[156:157]
	s_delay_alu instid0(VALU_DEP_2) | instskip(SKIP_2) | instid1(VALU_DEP_2)
	v_fma_f64 v[158:159], v[110:111], v[128:129], v[108:109]
	s_waitcnt lgkmcnt(0)
	v_mul_f64 v[108:109], v[146:147], v[90:91]
	v_add_f64 v[62:63], v[62:63], -v[158:159]
	s_delay_alu instid0(VALU_DEP_2) | instskip(SKIP_1) | instid1(VALU_DEP_2)
	v_fma_f64 v[160:161], v[144:145], v[128:129], -v[108:109]
	v_mul_f64 v[108:109], v[144:145], v[90:91]
	v_add_f64 v[56:57], v[56:57], -v[160:161]
	s_delay_alu instid0(VALU_DEP_2)
	v_fma_f64 v[162:163], v[146:147], v[128:129], v[108:109]
	ds_load_2addr_b64 v[108:111], v236 offset0:26 offset1:27
	ds_load_2addr_b64 v[144:147], v236 offset0:28 offset1:29
	s_waitcnt lgkmcnt(1)
	v_mul_f64 v[164:165], v[110:111], v[90:91]
	v_add_f64 v[58:59], v[58:59], -v[162:163]
	s_delay_alu instid0(VALU_DEP_2) | instskip(SKIP_1) | instid1(VALU_DEP_2)
	v_fma_f64 v[164:165], v[108:109], v[128:129], -v[164:165]
	v_mul_f64 v[108:109], v[108:109], v[90:91]
	v_add_f64 v[52:53], v[52:53], -v[164:165]
	s_delay_alu instid0(VALU_DEP_2) | instskip(SKIP_2) | instid1(VALU_DEP_2)
	v_fma_f64 v[166:167], v[110:111], v[128:129], v[108:109]
	s_waitcnt lgkmcnt(0)
	v_mul_f64 v[108:109], v[146:147], v[90:91]
	v_add_f64 v[54:55], v[54:55], -v[166:167]
	s_delay_alu instid0(VALU_DEP_2) | instskip(SKIP_1) | instid1(VALU_DEP_2)
	v_fma_f64 v[168:169], v[144:145], v[128:129], -v[108:109]
	v_mul_f64 v[108:109], v[144:145], v[90:91]
	v_add_f64 v[48:49], v[48:49], -v[168:169]
	s_delay_alu instid0(VALU_DEP_2)
	v_fma_f64 v[170:171], v[146:147], v[128:129], v[108:109]
	ds_load_2addr_b64 v[108:111], v236 offset0:30 offset1:31
	ds_load_2addr_b64 v[144:147], v236 offset0:32 offset1:33
	s_waitcnt lgkmcnt(1)
	v_mul_f64 v[172:173], v[110:111], v[90:91]
	v_add_f64 v[50:51], v[50:51], -v[170:171]
	s_delay_alu instid0(VALU_DEP_2) | instskip(SKIP_1) | instid1(VALU_DEP_2)
	v_fma_f64 v[172:173], v[108:109], v[128:129], -v[172:173]
	v_mul_f64 v[108:109], v[108:109], v[90:91]
	v_add_f64 v[44:45], v[44:45], -v[172:173]
	s_delay_alu instid0(VALU_DEP_2) | instskip(SKIP_2) | instid1(VALU_DEP_2)
	v_fma_f64 v[174:175], v[110:111], v[128:129], v[108:109]
	s_waitcnt lgkmcnt(0)
	v_mul_f64 v[108:109], v[146:147], v[90:91]
	v_add_f64 v[46:47], v[46:47], -v[174:175]
	s_delay_alu instid0(VALU_DEP_2) | instskip(SKIP_1) | instid1(VALU_DEP_2)
	v_fma_f64 v[176:177], v[144:145], v[128:129], -v[108:109]
	v_mul_f64 v[108:109], v[144:145], v[90:91]
	v_add_f64 v[40:41], v[40:41], -v[176:177]
	s_delay_alu instid0(VALU_DEP_2)
	v_fma_f64 v[178:179], v[146:147], v[128:129], v[108:109]
	ds_load_2addr_b64 v[108:111], v236 offset0:34 offset1:35
	ds_load_2addr_b64 v[144:147], v236 offset0:36 offset1:37
	s_waitcnt lgkmcnt(1)
	v_mul_f64 v[180:181], v[110:111], v[90:91]
	v_add_f64 v[42:43], v[42:43], -v[178:179]
	s_delay_alu instid0(VALU_DEP_2) | instskip(SKIP_1) | instid1(VALU_DEP_2)
	v_fma_f64 v[180:181], v[108:109], v[128:129], -v[180:181]
	v_mul_f64 v[108:109], v[108:109], v[90:91]
	v_add_f64 v[36:37], v[36:37], -v[180:181]
	s_delay_alu instid0(VALU_DEP_2) | instskip(SKIP_2) | instid1(VALU_DEP_2)
	v_fma_f64 v[182:183], v[110:111], v[128:129], v[108:109]
	s_waitcnt lgkmcnt(0)
	v_mul_f64 v[108:109], v[146:147], v[90:91]
	v_add_f64 v[38:39], v[38:39], -v[182:183]
	s_delay_alu instid0(VALU_DEP_2) | instskip(SKIP_1) | instid1(VALU_DEP_2)
	v_fma_f64 v[184:185], v[144:145], v[128:129], -v[108:109]
	v_mul_f64 v[108:109], v[144:145], v[90:91]
	v_add_f64 v[32:33], v[32:33], -v[184:185]
	s_delay_alu instid0(VALU_DEP_2)
	v_fma_f64 v[186:187], v[146:147], v[128:129], v[108:109]
	ds_load_2addr_b64 v[108:111], v236 offset0:38 offset1:39
	ds_load_2addr_b64 v[144:147], v236 offset0:40 offset1:41
	s_waitcnt lgkmcnt(1)
	v_mul_f64 v[188:189], v[110:111], v[90:91]
	v_add_f64 v[34:35], v[34:35], -v[186:187]
	s_delay_alu instid0(VALU_DEP_2) | instskip(SKIP_1) | instid1(VALU_DEP_2)
	v_fma_f64 v[188:189], v[108:109], v[128:129], -v[188:189]
	v_mul_f64 v[108:109], v[108:109], v[90:91]
	v_add_f64 v[28:29], v[28:29], -v[188:189]
	s_delay_alu instid0(VALU_DEP_2) | instskip(SKIP_2) | instid1(VALU_DEP_2)
	v_fma_f64 v[190:191], v[110:111], v[128:129], v[108:109]
	s_waitcnt lgkmcnt(0)
	v_mul_f64 v[108:109], v[146:147], v[90:91]
	v_add_f64 v[30:31], v[30:31], -v[190:191]
	s_delay_alu instid0(VALU_DEP_2) | instskip(SKIP_1) | instid1(VALU_DEP_2)
	v_fma_f64 v[192:193], v[144:145], v[128:129], -v[108:109]
	v_mul_f64 v[108:109], v[144:145], v[90:91]
	v_add_f64 v[24:25], v[24:25], -v[192:193]
	s_delay_alu instid0(VALU_DEP_2)
	v_fma_f64 v[194:195], v[146:147], v[128:129], v[108:109]
	ds_load_2addr_b64 v[108:111], v236 offset0:42 offset1:43
	ds_load_2addr_b64 v[144:147], v236 offset0:44 offset1:45
	s_waitcnt lgkmcnt(1)
	v_mul_f64 v[196:197], v[110:111], v[90:91]
	v_add_f64 v[26:27], v[26:27], -v[194:195]
	s_delay_alu instid0(VALU_DEP_2) | instskip(SKIP_1) | instid1(VALU_DEP_2)
	v_fma_f64 v[196:197], v[108:109], v[128:129], -v[196:197]
	v_mul_f64 v[108:109], v[108:109], v[90:91]
	v_add_f64 v[20:21], v[20:21], -v[196:197]
	s_delay_alu instid0(VALU_DEP_2) | instskip(SKIP_2) | instid1(VALU_DEP_2)
	v_fma_f64 v[198:199], v[110:111], v[128:129], v[108:109]
	s_waitcnt lgkmcnt(0)
	v_mul_f64 v[108:109], v[146:147], v[90:91]
	v_add_f64 v[22:23], v[22:23], -v[198:199]
	s_delay_alu instid0(VALU_DEP_2) | instskip(SKIP_1) | instid1(VALU_DEP_2)
	v_fma_f64 v[200:201], v[144:145], v[128:129], -v[108:109]
	v_mul_f64 v[108:109], v[144:145], v[90:91]
	v_add_f64 v[16:17], v[16:17], -v[200:201]
	s_delay_alu instid0(VALU_DEP_2)
	v_fma_f64 v[202:203], v[146:147], v[128:129], v[108:109]
	ds_load_2addr_b64 v[108:111], v236 offset0:46 offset1:47
	ds_load_2addr_b64 v[144:147], v236 offset0:48 offset1:49
	s_waitcnt lgkmcnt(1)
	v_mul_f64 v[204:205], v[110:111], v[90:91]
	v_add_f64 v[18:19], v[18:19], -v[202:203]
	s_delay_alu instid0(VALU_DEP_2) | instskip(SKIP_1) | instid1(VALU_DEP_2)
	v_fma_f64 v[204:205], v[108:109], v[128:129], -v[204:205]
	v_mul_f64 v[108:109], v[108:109], v[90:91]
	v_add_f64 v[12:13], v[12:13], -v[204:205]
	s_delay_alu instid0(VALU_DEP_2) | instskip(SKIP_2) | instid1(VALU_DEP_2)
	v_fma_f64 v[206:207], v[110:111], v[128:129], v[108:109]
	s_waitcnt lgkmcnt(0)
	v_mul_f64 v[108:109], v[146:147], v[90:91]
	v_add_f64 v[14:15], v[14:15], -v[206:207]
	s_delay_alu instid0(VALU_DEP_2) | instskip(SKIP_1) | instid1(VALU_DEP_2)
	v_fma_f64 v[208:209], v[144:145], v[128:129], -v[108:109]
	v_mul_f64 v[108:109], v[144:145], v[90:91]
	v_add_f64 v[8:9], v[8:9], -v[208:209]
	s_delay_alu instid0(VALU_DEP_2)
	v_fma_f64 v[210:211], v[146:147], v[128:129], v[108:109]
	ds_load_2addr_b64 v[108:111], v236 offset0:50 offset1:51
	ds_load_2addr_b64 v[144:147], v236 offset0:52 offset1:53
	s_waitcnt lgkmcnt(1)
	v_mul_f64 v[212:213], v[110:111], v[90:91]
	v_add_f64 v[10:11], v[10:11], -v[210:211]
	s_delay_alu instid0(VALU_DEP_2) | instskip(SKIP_1) | instid1(VALU_DEP_2)
	v_fma_f64 v[212:213], v[108:109], v[128:129], -v[212:213]
	v_mul_f64 v[108:109], v[108:109], v[90:91]
	v_add_f64 v[4:5], v[4:5], -v[212:213]
	s_delay_alu instid0(VALU_DEP_2) | instskip(SKIP_2) | instid1(VALU_DEP_2)
	v_fma_f64 v[108:109], v[110:111], v[128:129], v[108:109]
	s_waitcnt lgkmcnt(0)
	v_mul_f64 v[110:111], v[146:147], v[90:91]
	v_add_f64 v[6:7], v[6:7], -v[108:109]
	s_delay_alu instid0(VALU_DEP_2) | instskip(SKIP_1) | instid1(VALU_DEP_2)
	v_fma_f64 v[110:111], v[144:145], v[128:129], -v[110:111]
	v_mul_f64 v[144:145], v[144:145], v[90:91]
	v_add_f64 v[0:1], v[0:1], -v[110:111]
	s_delay_alu instid0(VALU_DEP_2) | instskip(NEXT) | instid1(VALU_DEP_1)
	v_fma_f64 v[144:145], v[146:147], v[128:129], v[144:145]
	v_add_f64 v[2:3], v[2:3], -v[144:145]
.LBB53_46:
	s_or_b32 exec_lo, exec_lo, s3
	s_delay_alu instid0(SALU_CYCLE_1)
	s_mov_b32 s4, exec_lo
	s_waitcnt lgkmcnt(0)
	s_barrier
	buffer_gl0_inv
	v_cmpx_eq_u32_e32 5, v232
	s_cbranch_execz .LBB53_53
; %bb.47:
	ds_store_2addr_b64 v233, v[84:85], v[86:87] offset1:1
	ds_store_2addr_b64 v236, v[80:81], v[82:83] offset0:12 offset1:13
	ds_store_2addr_b64 v236, v[76:77], v[78:79] offset0:14 offset1:15
	ds_store_2addr_b64 v236, v[72:73], v[74:75] offset0:16 offset1:17
	ds_store_2addr_b64 v236, v[68:69], v[70:71] offset0:18 offset1:19
	ds_store_2addr_b64 v236, v[64:65], v[66:67] offset0:20 offset1:21
	ds_store_2addr_b64 v236, v[60:61], v[62:63] offset0:22 offset1:23
	ds_store_2addr_b64 v236, v[56:57], v[58:59] offset0:24 offset1:25
	ds_store_2addr_b64 v236, v[52:53], v[54:55] offset0:26 offset1:27
	ds_store_2addr_b64 v236, v[48:49], v[50:51] offset0:28 offset1:29
	ds_store_2addr_b64 v236, v[44:45], v[46:47] offset0:30 offset1:31
	ds_store_2addr_b64 v236, v[40:41], v[42:43] offset0:32 offset1:33
	ds_store_2addr_b64 v236, v[36:37], v[38:39] offset0:34 offset1:35
	ds_store_2addr_b64 v236, v[32:33], v[34:35] offset0:36 offset1:37
	ds_store_2addr_b64 v236, v[28:29], v[30:31] offset0:38 offset1:39
	ds_store_2addr_b64 v236, v[24:25], v[26:27] offset0:40 offset1:41
	ds_store_2addr_b64 v236, v[20:21], v[22:23] offset0:42 offset1:43
	ds_store_2addr_b64 v236, v[16:17], v[18:19] offset0:44 offset1:45
	ds_store_2addr_b64 v236, v[12:13], v[14:15] offset0:46 offset1:47
	ds_store_2addr_b64 v236, v[8:9], v[10:11] offset0:48 offset1:49
	ds_store_2addr_b64 v236, v[4:5], v[6:7] offset0:50 offset1:51
	ds_store_2addr_b64 v236, v[0:1], v[2:3] offset0:52 offset1:53
	ds_load_2addr_b64 v[128:131], v233 offset1:1
	s_waitcnt lgkmcnt(0)
	v_cmp_neq_f64_e32 vcc_lo, 0, v[128:129]
	v_cmp_neq_f64_e64 s3, 0, v[130:131]
	s_delay_alu instid0(VALU_DEP_1) | instskip(NEXT) | instid1(SALU_CYCLE_1)
	s_or_b32 s3, vcc_lo, s3
	s_and_b32 exec_lo, exec_lo, s3
	s_cbranch_execz .LBB53_53
; %bb.48:
	v_cmp_gt_f64_e32 vcc_lo, 0, v[128:129]
	v_cmp_gt_f64_e64 s3, 0, v[130:131]
	v_xor_b32_e32 v108, 0x80000000, v129
	v_xor_b32_e32 v110, 0x80000000, v131
	s_delay_alu instid0(VALU_DEP_2) | instskip(NEXT) | instid1(VALU_DEP_2)
	v_cndmask_b32_e32 v109, v129, v108, vcc_lo
	v_cndmask_b32_e64 v111, v131, v110, s3
	v_cndmask_b32_e32 v108, v128, v128, vcc_lo
	v_cndmask_b32_e64 v110, v130, v130, s3
	s_delay_alu instid0(VALU_DEP_1) | instskip(SKIP_1) | instid1(SALU_CYCLE_1)
	v_cmp_ngt_f64_e32 vcc_lo, v[108:109], v[110:111]
                                        ; implicit-def: $vgpr108_vgpr109
	s_and_saveexec_b32 s3, vcc_lo
	s_xor_b32 s3, exec_lo, s3
                                        ; implicit-def: $vgpr132_vgpr133_vgpr134_vgpr135
	s_cbranch_execz .LBB53_50
; %bb.49:
	v_div_scale_f64 v[108:109], null, v[130:131], v[130:131], v[128:129]
	v_div_scale_f64 v[134:135], vcc_lo, v[128:129], v[130:131], v[128:129]
	s_delay_alu instid0(VALU_DEP_2) | instskip(SKIP_2) | instid1(VALU_DEP_1)
	v_rcp_f64_e32 v[110:111], v[108:109]
	s_waitcnt_depctr 0xfff
	v_fma_f64 v[132:133], -v[108:109], v[110:111], 1.0
	v_fma_f64 v[110:111], v[110:111], v[132:133], v[110:111]
	s_delay_alu instid0(VALU_DEP_1) | instskip(NEXT) | instid1(VALU_DEP_1)
	v_fma_f64 v[132:133], -v[108:109], v[110:111], 1.0
	v_fma_f64 v[110:111], v[110:111], v[132:133], v[110:111]
	s_delay_alu instid0(VALU_DEP_1) | instskip(NEXT) | instid1(VALU_DEP_1)
	v_mul_f64 v[132:133], v[134:135], v[110:111]
	v_fma_f64 v[108:109], -v[108:109], v[132:133], v[134:135]
	s_delay_alu instid0(VALU_DEP_1) | instskip(NEXT) | instid1(VALU_DEP_1)
	v_div_fmas_f64 v[108:109], v[108:109], v[110:111], v[132:133]
	v_div_fixup_f64 v[108:109], v[108:109], v[130:131], v[128:129]
	s_delay_alu instid0(VALU_DEP_1) | instskip(NEXT) | instid1(VALU_DEP_1)
	v_fma_f64 v[110:111], v[128:129], v[108:109], v[130:131]
	v_div_scale_f64 v[128:129], null, v[110:111], v[110:111], 1.0
	s_delay_alu instid0(VALU_DEP_1) | instskip(SKIP_2) | instid1(VALU_DEP_1)
	v_rcp_f64_e32 v[130:131], v[128:129]
	s_waitcnt_depctr 0xfff
	v_fma_f64 v[132:133], -v[128:129], v[130:131], 1.0
	v_fma_f64 v[130:131], v[130:131], v[132:133], v[130:131]
	s_delay_alu instid0(VALU_DEP_1) | instskip(NEXT) | instid1(VALU_DEP_1)
	v_fma_f64 v[132:133], -v[128:129], v[130:131], 1.0
	v_fma_f64 v[130:131], v[130:131], v[132:133], v[130:131]
	v_div_scale_f64 v[132:133], vcc_lo, 1.0, v[110:111], 1.0
	s_delay_alu instid0(VALU_DEP_1) | instskip(NEXT) | instid1(VALU_DEP_1)
	v_mul_f64 v[134:135], v[132:133], v[130:131]
	v_fma_f64 v[128:129], -v[128:129], v[134:135], v[132:133]
	s_delay_alu instid0(VALU_DEP_1) | instskip(NEXT) | instid1(VALU_DEP_1)
	v_div_fmas_f64 v[128:129], v[128:129], v[130:131], v[134:135]
	v_div_fixup_f64 v[134:135], v[128:129], v[110:111], 1.0
                                        ; implicit-def: $vgpr128_vgpr129
	s_delay_alu instid0(VALU_DEP_1)
	v_mul_f64 v[108:109], v[108:109], v[134:135]
	v_xor_b32_e32 v135, 0x80000000, v135
.LBB53_50:
	s_and_not1_saveexec_b32 s3, s3
	s_cbranch_execz .LBB53_52
; %bb.51:
	v_div_scale_f64 v[108:109], null, v[128:129], v[128:129], v[130:131]
	v_div_scale_f64 v[134:135], vcc_lo, v[130:131], v[128:129], v[130:131]
	s_delay_alu instid0(VALU_DEP_2) | instskip(SKIP_2) | instid1(VALU_DEP_1)
	v_rcp_f64_e32 v[110:111], v[108:109]
	s_waitcnt_depctr 0xfff
	v_fma_f64 v[132:133], -v[108:109], v[110:111], 1.0
	v_fma_f64 v[110:111], v[110:111], v[132:133], v[110:111]
	s_delay_alu instid0(VALU_DEP_1) | instskip(NEXT) | instid1(VALU_DEP_1)
	v_fma_f64 v[132:133], -v[108:109], v[110:111], 1.0
	v_fma_f64 v[110:111], v[110:111], v[132:133], v[110:111]
	s_delay_alu instid0(VALU_DEP_1) | instskip(NEXT) | instid1(VALU_DEP_1)
	v_mul_f64 v[132:133], v[134:135], v[110:111]
	v_fma_f64 v[108:109], -v[108:109], v[132:133], v[134:135]
	s_delay_alu instid0(VALU_DEP_1) | instskip(NEXT) | instid1(VALU_DEP_1)
	v_div_fmas_f64 v[108:109], v[108:109], v[110:111], v[132:133]
	v_div_fixup_f64 v[110:111], v[108:109], v[128:129], v[130:131]
	s_delay_alu instid0(VALU_DEP_1) | instskip(NEXT) | instid1(VALU_DEP_1)
	v_fma_f64 v[108:109], v[130:131], v[110:111], v[128:129]
	v_div_scale_f64 v[128:129], null, v[108:109], v[108:109], 1.0
	s_delay_alu instid0(VALU_DEP_1) | instskip(SKIP_2) | instid1(VALU_DEP_1)
	v_rcp_f64_e32 v[130:131], v[128:129]
	s_waitcnt_depctr 0xfff
	v_fma_f64 v[132:133], -v[128:129], v[130:131], 1.0
	v_fma_f64 v[130:131], v[130:131], v[132:133], v[130:131]
	s_delay_alu instid0(VALU_DEP_1) | instskip(NEXT) | instid1(VALU_DEP_1)
	v_fma_f64 v[132:133], -v[128:129], v[130:131], 1.0
	v_fma_f64 v[130:131], v[130:131], v[132:133], v[130:131]
	v_div_scale_f64 v[132:133], vcc_lo, 1.0, v[108:109], 1.0
	s_delay_alu instid0(VALU_DEP_1) | instskip(NEXT) | instid1(VALU_DEP_1)
	v_mul_f64 v[134:135], v[132:133], v[130:131]
	v_fma_f64 v[128:129], -v[128:129], v[134:135], v[132:133]
	s_delay_alu instid0(VALU_DEP_1) | instskip(NEXT) | instid1(VALU_DEP_1)
	v_div_fmas_f64 v[128:129], v[128:129], v[130:131], v[134:135]
	v_div_fixup_f64 v[108:109], v[128:129], v[108:109], 1.0
	s_delay_alu instid0(VALU_DEP_1)
	v_mul_f64 v[134:135], v[110:111], -v[108:109]
.LBB53_52:
	s_or_b32 exec_lo, exec_lo, s3
	ds_store_2addr_b64 v233, v[108:109], v[134:135] offset1:1
.LBB53_53:
	s_or_b32 exec_lo, exec_lo, s4
	s_waitcnt lgkmcnt(0)
	s_barrier
	buffer_gl0_inv
	ds_load_2addr_b64 v[128:131], v233 offset1:1
	s_mov_b32 s3, exec_lo
	v_cmpx_lt_u32_e32 5, v232
	s_cbranch_execz .LBB53_55
; %bb.54:
	s_waitcnt lgkmcnt(0)
	v_mul_f64 v[108:109], v[130:131], v[86:87]
	v_mul_f64 v[86:87], v[128:129], v[86:87]
	s_delay_alu instid0(VALU_DEP_2) | instskip(NEXT) | instid1(VALU_DEP_2)
	v_fma_f64 v[132:133], v[128:129], v[84:85], -v[108:109]
	v_fma_f64 v[86:87], v[130:131], v[84:85], v[86:87]
	ds_load_2addr_b64 v[108:111], v236 offset0:12 offset1:13
	ds_load_2addr_b64 v[138:141], v236 offset0:14 offset1:15
	s_waitcnt lgkmcnt(1)
	v_mul_f64 v[84:85], v[110:111], v[86:87]
	s_delay_alu instid0(VALU_DEP_1) | instskip(SKIP_1) | instid1(VALU_DEP_2)
	v_fma_f64 v[84:85], v[108:109], v[132:133], -v[84:85]
	v_mul_f64 v[108:109], v[108:109], v[86:87]
	v_add_f64 v[80:81], v[80:81], -v[84:85]
	s_delay_alu instid0(VALU_DEP_2) | instskip(SKIP_3) | instid1(VALU_DEP_3)
	v_fma_f64 v[134:135], v[110:111], v[132:133], v[108:109]
	s_waitcnt lgkmcnt(0)
	v_mul_f64 v[108:109], v[140:141], v[86:87]
	v_dual_mov_b32 v84, v132 :: v_dual_mov_b32 v85, v133
	v_add_f64 v[82:83], v[82:83], -v[134:135]
	s_delay_alu instid0(VALU_DEP_3) | instskip(SKIP_1) | instid1(VALU_DEP_2)
	v_fma_f64 v[136:137], v[138:139], v[132:133], -v[108:109]
	v_mul_f64 v[108:109], v[138:139], v[86:87]
	v_add_f64 v[76:77], v[76:77], -v[136:137]
	s_delay_alu instid0(VALU_DEP_2)
	v_fma_f64 v[138:139], v[140:141], v[132:133], v[108:109]
	ds_load_2addr_b64 v[108:111], v236 offset0:16 offset1:17
	ds_load_2addr_b64 v[140:143], v236 offset0:18 offset1:19
	s_waitcnt lgkmcnt(1)
	v_mul_f64 v[144:145], v[110:111], v[86:87]
	v_add_f64 v[78:79], v[78:79], -v[138:139]
	s_delay_alu instid0(VALU_DEP_2) | instskip(SKIP_1) | instid1(VALU_DEP_2)
	v_fma_f64 v[144:145], v[108:109], v[132:133], -v[144:145]
	v_mul_f64 v[108:109], v[108:109], v[86:87]
	v_add_f64 v[72:73], v[72:73], -v[144:145]
	s_delay_alu instid0(VALU_DEP_2) | instskip(SKIP_2) | instid1(VALU_DEP_2)
	v_fma_f64 v[146:147], v[110:111], v[132:133], v[108:109]
	s_waitcnt lgkmcnt(0)
	v_mul_f64 v[108:109], v[142:143], v[86:87]
	v_add_f64 v[74:75], v[74:75], -v[146:147]
	s_delay_alu instid0(VALU_DEP_2) | instskip(SKIP_1) | instid1(VALU_DEP_2)
	v_fma_f64 v[148:149], v[140:141], v[132:133], -v[108:109]
	v_mul_f64 v[108:109], v[140:141], v[86:87]
	v_add_f64 v[68:69], v[68:69], -v[148:149]
	s_delay_alu instid0(VALU_DEP_2)
	v_fma_f64 v[150:151], v[142:143], v[132:133], v[108:109]
	ds_load_2addr_b64 v[108:111], v236 offset0:20 offset1:21
	ds_load_2addr_b64 v[140:143], v236 offset0:22 offset1:23
	s_waitcnt lgkmcnt(1)
	v_mul_f64 v[152:153], v[110:111], v[86:87]
	v_add_f64 v[70:71], v[70:71], -v[150:151]
	s_delay_alu instid0(VALU_DEP_2) | instskip(SKIP_1) | instid1(VALU_DEP_2)
	v_fma_f64 v[152:153], v[108:109], v[132:133], -v[152:153]
	v_mul_f64 v[108:109], v[108:109], v[86:87]
	v_add_f64 v[64:65], v[64:65], -v[152:153]
	s_delay_alu instid0(VALU_DEP_2) | instskip(SKIP_2) | instid1(VALU_DEP_2)
	v_fma_f64 v[154:155], v[110:111], v[132:133], v[108:109]
	s_waitcnt lgkmcnt(0)
	v_mul_f64 v[108:109], v[142:143], v[86:87]
	v_add_f64 v[66:67], v[66:67], -v[154:155]
	s_delay_alu instid0(VALU_DEP_2) | instskip(SKIP_1) | instid1(VALU_DEP_2)
	v_fma_f64 v[156:157], v[140:141], v[132:133], -v[108:109]
	v_mul_f64 v[108:109], v[140:141], v[86:87]
	v_add_f64 v[60:61], v[60:61], -v[156:157]
	s_delay_alu instid0(VALU_DEP_2)
	v_fma_f64 v[158:159], v[142:143], v[132:133], v[108:109]
	ds_load_2addr_b64 v[108:111], v236 offset0:24 offset1:25
	ds_load_2addr_b64 v[140:143], v236 offset0:26 offset1:27
	s_waitcnt lgkmcnt(1)
	v_mul_f64 v[160:161], v[110:111], v[86:87]
	v_add_f64 v[62:63], v[62:63], -v[158:159]
	s_delay_alu instid0(VALU_DEP_2) | instskip(SKIP_1) | instid1(VALU_DEP_2)
	v_fma_f64 v[160:161], v[108:109], v[132:133], -v[160:161]
	v_mul_f64 v[108:109], v[108:109], v[86:87]
	v_add_f64 v[56:57], v[56:57], -v[160:161]
	s_delay_alu instid0(VALU_DEP_2) | instskip(SKIP_2) | instid1(VALU_DEP_2)
	v_fma_f64 v[162:163], v[110:111], v[132:133], v[108:109]
	s_waitcnt lgkmcnt(0)
	v_mul_f64 v[108:109], v[142:143], v[86:87]
	v_add_f64 v[58:59], v[58:59], -v[162:163]
	s_delay_alu instid0(VALU_DEP_2) | instskip(SKIP_1) | instid1(VALU_DEP_2)
	v_fma_f64 v[164:165], v[140:141], v[132:133], -v[108:109]
	v_mul_f64 v[108:109], v[140:141], v[86:87]
	v_add_f64 v[52:53], v[52:53], -v[164:165]
	s_delay_alu instid0(VALU_DEP_2)
	v_fma_f64 v[166:167], v[142:143], v[132:133], v[108:109]
	ds_load_2addr_b64 v[108:111], v236 offset0:28 offset1:29
	ds_load_2addr_b64 v[140:143], v236 offset0:30 offset1:31
	s_waitcnt lgkmcnt(1)
	v_mul_f64 v[168:169], v[110:111], v[86:87]
	v_add_f64 v[54:55], v[54:55], -v[166:167]
	s_delay_alu instid0(VALU_DEP_2) | instskip(SKIP_1) | instid1(VALU_DEP_2)
	v_fma_f64 v[168:169], v[108:109], v[132:133], -v[168:169]
	v_mul_f64 v[108:109], v[108:109], v[86:87]
	v_add_f64 v[48:49], v[48:49], -v[168:169]
	s_delay_alu instid0(VALU_DEP_2) | instskip(SKIP_2) | instid1(VALU_DEP_2)
	v_fma_f64 v[170:171], v[110:111], v[132:133], v[108:109]
	s_waitcnt lgkmcnt(0)
	v_mul_f64 v[108:109], v[142:143], v[86:87]
	v_add_f64 v[50:51], v[50:51], -v[170:171]
	s_delay_alu instid0(VALU_DEP_2) | instskip(SKIP_1) | instid1(VALU_DEP_2)
	v_fma_f64 v[172:173], v[140:141], v[132:133], -v[108:109]
	v_mul_f64 v[108:109], v[140:141], v[86:87]
	v_add_f64 v[44:45], v[44:45], -v[172:173]
	s_delay_alu instid0(VALU_DEP_2)
	v_fma_f64 v[174:175], v[142:143], v[132:133], v[108:109]
	ds_load_2addr_b64 v[108:111], v236 offset0:32 offset1:33
	ds_load_2addr_b64 v[140:143], v236 offset0:34 offset1:35
	s_waitcnt lgkmcnt(1)
	v_mul_f64 v[176:177], v[110:111], v[86:87]
	v_add_f64 v[46:47], v[46:47], -v[174:175]
	s_delay_alu instid0(VALU_DEP_2) | instskip(SKIP_1) | instid1(VALU_DEP_2)
	v_fma_f64 v[176:177], v[108:109], v[132:133], -v[176:177]
	v_mul_f64 v[108:109], v[108:109], v[86:87]
	v_add_f64 v[40:41], v[40:41], -v[176:177]
	s_delay_alu instid0(VALU_DEP_2) | instskip(SKIP_2) | instid1(VALU_DEP_2)
	v_fma_f64 v[178:179], v[110:111], v[132:133], v[108:109]
	s_waitcnt lgkmcnt(0)
	v_mul_f64 v[108:109], v[142:143], v[86:87]
	v_add_f64 v[42:43], v[42:43], -v[178:179]
	s_delay_alu instid0(VALU_DEP_2) | instskip(SKIP_1) | instid1(VALU_DEP_2)
	v_fma_f64 v[180:181], v[140:141], v[132:133], -v[108:109]
	v_mul_f64 v[108:109], v[140:141], v[86:87]
	v_add_f64 v[36:37], v[36:37], -v[180:181]
	s_delay_alu instid0(VALU_DEP_2)
	v_fma_f64 v[182:183], v[142:143], v[132:133], v[108:109]
	ds_load_2addr_b64 v[108:111], v236 offset0:36 offset1:37
	ds_load_2addr_b64 v[140:143], v236 offset0:38 offset1:39
	s_waitcnt lgkmcnt(1)
	v_mul_f64 v[184:185], v[110:111], v[86:87]
	v_add_f64 v[38:39], v[38:39], -v[182:183]
	s_delay_alu instid0(VALU_DEP_2) | instskip(SKIP_1) | instid1(VALU_DEP_2)
	v_fma_f64 v[184:185], v[108:109], v[132:133], -v[184:185]
	v_mul_f64 v[108:109], v[108:109], v[86:87]
	v_add_f64 v[32:33], v[32:33], -v[184:185]
	s_delay_alu instid0(VALU_DEP_2) | instskip(SKIP_2) | instid1(VALU_DEP_2)
	v_fma_f64 v[186:187], v[110:111], v[132:133], v[108:109]
	s_waitcnt lgkmcnt(0)
	v_mul_f64 v[108:109], v[142:143], v[86:87]
	v_add_f64 v[34:35], v[34:35], -v[186:187]
	s_delay_alu instid0(VALU_DEP_2) | instskip(SKIP_1) | instid1(VALU_DEP_2)
	v_fma_f64 v[188:189], v[140:141], v[132:133], -v[108:109]
	v_mul_f64 v[108:109], v[140:141], v[86:87]
	v_add_f64 v[28:29], v[28:29], -v[188:189]
	s_delay_alu instid0(VALU_DEP_2)
	v_fma_f64 v[190:191], v[142:143], v[132:133], v[108:109]
	ds_load_2addr_b64 v[108:111], v236 offset0:40 offset1:41
	ds_load_2addr_b64 v[140:143], v236 offset0:42 offset1:43
	s_waitcnt lgkmcnt(1)
	v_mul_f64 v[192:193], v[110:111], v[86:87]
	v_add_f64 v[30:31], v[30:31], -v[190:191]
	s_delay_alu instid0(VALU_DEP_2) | instskip(SKIP_1) | instid1(VALU_DEP_2)
	v_fma_f64 v[192:193], v[108:109], v[132:133], -v[192:193]
	v_mul_f64 v[108:109], v[108:109], v[86:87]
	v_add_f64 v[24:25], v[24:25], -v[192:193]
	s_delay_alu instid0(VALU_DEP_2) | instskip(SKIP_2) | instid1(VALU_DEP_2)
	v_fma_f64 v[194:195], v[110:111], v[132:133], v[108:109]
	s_waitcnt lgkmcnt(0)
	v_mul_f64 v[108:109], v[142:143], v[86:87]
	v_add_f64 v[26:27], v[26:27], -v[194:195]
	s_delay_alu instid0(VALU_DEP_2) | instskip(SKIP_1) | instid1(VALU_DEP_2)
	v_fma_f64 v[196:197], v[140:141], v[132:133], -v[108:109]
	v_mul_f64 v[108:109], v[140:141], v[86:87]
	v_add_f64 v[20:21], v[20:21], -v[196:197]
	s_delay_alu instid0(VALU_DEP_2)
	v_fma_f64 v[198:199], v[142:143], v[132:133], v[108:109]
	ds_load_2addr_b64 v[108:111], v236 offset0:44 offset1:45
	ds_load_2addr_b64 v[140:143], v236 offset0:46 offset1:47
	s_waitcnt lgkmcnt(1)
	v_mul_f64 v[200:201], v[110:111], v[86:87]
	v_add_f64 v[22:23], v[22:23], -v[198:199]
	s_delay_alu instid0(VALU_DEP_2) | instskip(SKIP_1) | instid1(VALU_DEP_2)
	v_fma_f64 v[200:201], v[108:109], v[132:133], -v[200:201]
	v_mul_f64 v[108:109], v[108:109], v[86:87]
	v_add_f64 v[16:17], v[16:17], -v[200:201]
	s_delay_alu instid0(VALU_DEP_2) | instskip(SKIP_2) | instid1(VALU_DEP_2)
	v_fma_f64 v[202:203], v[110:111], v[132:133], v[108:109]
	s_waitcnt lgkmcnt(0)
	v_mul_f64 v[108:109], v[142:143], v[86:87]
	v_add_f64 v[18:19], v[18:19], -v[202:203]
	s_delay_alu instid0(VALU_DEP_2) | instskip(SKIP_1) | instid1(VALU_DEP_2)
	v_fma_f64 v[204:205], v[140:141], v[132:133], -v[108:109]
	v_mul_f64 v[108:109], v[140:141], v[86:87]
	v_add_f64 v[12:13], v[12:13], -v[204:205]
	s_delay_alu instid0(VALU_DEP_2)
	v_fma_f64 v[206:207], v[142:143], v[132:133], v[108:109]
	ds_load_2addr_b64 v[108:111], v236 offset0:48 offset1:49
	ds_load_2addr_b64 v[140:143], v236 offset0:50 offset1:51
	s_waitcnt lgkmcnt(1)
	v_mul_f64 v[208:209], v[110:111], v[86:87]
	v_add_f64 v[14:15], v[14:15], -v[206:207]
	s_delay_alu instid0(VALU_DEP_2) | instskip(SKIP_1) | instid1(VALU_DEP_2)
	v_fma_f64 v[208:209], v[108:109], v[132:133], -v[208:209]
	v_mul_f64 v[108:109], v[108:109], v[86:87]
	v_add_f64 v[8:9], v[8:9], -v[208:209]
	s_delay_alu instid0(VALU_DEP_2) | instskip(SKIP_2) | instid1(VALU_DEP_2)
	v_fma_f64 v[210:211], v[110:111], v[132:133], v[108:109]
	s_waitcnt lgkmcnt(0)
	v_mul_f64 v[108:109], v[142:143], v[86:87]
	v_add_f64 v[10:11], v[10:11], -v[210:211]
	s_delay_alu instid0(VALU_DEP_2) | instskip(SKIP_1) | instid1(VALU_DEP_2)
	v_fma_f64 v[212:213], v[140:141], v[132:133], -v[108:109]
	v_mul_f64 v[108:109], v[140:141], v[86:87]
	v_add_f64 v[4:5], v[4:5], -v[212:213]
	s_delay_alu instid0(VALU_DEP_2) | instskip(SKIP_4) | instid1(VALU_DEP_2)
	v_fma_f64 v[140:141], v[142:143], v[132:133], v[108:109]
	ds_load_2addr_b64 v[108:111], v236 offset0:52 offset1:53
	s_waitcnt lgkmcnt(0)
	v_mul_f64 v[142:143], v[110:111], v[86:87]
	v_add_f64 v[6:7], v[6:7], -v[140:141]
	v_fma_f64 v[142:143], v[108:109], v[132:133], -v[142:143]
	v_mul_f64 v[108:109], v[108:109], v[86:87]
	s_delay_alu instid0(VALU_DEP_2) | instskip(NEXT) | instid1(VALU_DEP_2)
	v_add_f64 v[0:1], v[0:1], -v[142:143]
	v_fma_f64 v[108:109], v[110:111], v[132:133], v[108:109]
	s_delay_alu instid0(VALU_DEP_1)
	v_add_f64 v[2:3], v[2:3], -v[108:109]
.LBB53_55:
	s_or_b32 exec_lo, exec_lo, s3
	s_delay_alu instid0(SALU_CYCLE_1)
	s_mov_b32 s4, exec_lo
	s_waitcnt lgkmcnt(0)
	s_barrier
	buffer_gl0_inv
	v_cmpx_eq_u32_e32 6, v232
	s_cbranch_execz .LBB53_62
; %bb.56:
	ds_store_2addr_b64 v233, v[80:81], v[82:83] offset1:1
	ds_store_2addr_b64 v236, v[76:77], v[78:79] offset0:14 offset1:15
	ds_store_2addr_b64 v236, v[72:73], v[74:75] offset0:16 offset1:17
	;; [unrolled: 1-line block ×20, first 2 shown]
	ds_load_2addr_b64 v[132:135], v233 offset1:1
	s_waitcnt lgkmcnt(0)
	v_cmp_neq_f64_e32 vcc_lo, 0, v[132:133]
	v_cmp_neq_f64_e64 s3, 0, v[134:135]
	s_delay_alu instid0(VALU_DEP_1) | instskip(NEXT) | instid1(SALU_CYCLE_1)
	s_or_b32 s3, vcc_lo, s3
	s_and_b32 exec_lo, exec_lo, s3
	s_cbranch_execz .LBB53_62
; %bb.57:
	v_cmp_gt_f64_e32 vcc_lo, 0, v[132:133]
	v_cmp_gt_f64_e64 s3, 0, v[134:135]
	v_xor_b32_e32 v108, 0x80000000, v133
	v_xor_b32_e32 v110, 0x80000000, v135
	s_delay_alu instid0(VALU_DEP_2) | instskip(NEXT) | instid1(VALU_DEP_2)
	v_cndmask_b32_e32 v109, v133, v108, vcc_lo
	v_cndmask_b32_e64 v111, v135, v110, s3
	v_cndmask_b32_e32 v108, v132, v132, vcc_lo
	v_cndmask_b32_e64 v110, v134, v134, s3
	s_delay_alu instid0(VALU_DEP_1) | instskip(SKIP_1) | instid1(SALU_CYCLE_1)
	v_cmp_ngt_f64_e32 vcc_lo, v[108:109], v[110:111]
                                        ; implicit-def: $vgpr108_vgpr109
	s_and_saveexec_b32 s3, vcc_lo
	s_xor_b32 s3, exec_lo, s3
                                        ; implicit-def: $vgpr136_vgpr137_vgpr138_vgpr139
	s_cbranch_execz .LBB53_59
; %bb.58:
	v_div_scale_f64 v[108:109], null, v[134:135], v[134:135], v[132:133]
	v_div_scale_f64 v[138:139], vcc_lo, v[132:133], v[134:135], v[132:133]
	s_delay_alu instid0(VALU_DEP_2) | instskip(SKIP_2) | instid1(VALU_DEP_1)
	v_rcp_f64_e32 v[110:111], v[108:109]
	s_waitcnt_depctr 0xfff
	v_fma_f64 v[136:137], -v[108:109], v[110:111], 1.0
	v_fma_f64 v[110:111], v[110:111], v[136:137], v[110:111]
	s_delay_alu instid0(VALU_DEP_1) | instskip(NEXT) | instid1(VALU_DEP_1)
	v_fma_f64 v[136:137], -v[108:109], v[110:111], 1.0
	v_fma_f64 v[110:111], v[110:111], v[136:137], v[110:111]
	s_delay_alu instid0(VALU_DEP_1) | instskip(NEXT) | instid1(VALU_DEP_1)
	v_mul_f64 v[136:137], v[138:139], v[110:111]
	v_fma_f64 v[108:109], -v[108:109], v[136:137], v[138:139]
	s_delay_alu instid0(VALU_DEP_1) | instskip(NEXT) | instid1(VALU_DEP_1)
	v_div_fmas_f64 v[108:109], v[108:109], v[110:111], v[136:137]
	v_div_fixup_f64 v[108:109], v[108:109], v[134:135], v[132:133]
	s_delay_alu instid0(VALU_DEP_1) | instskip(NEXT) | instid1(VALU_DEP_1)
	v_fma_f64 v[110:111], v[132:133], v[108:109], v[134:135]
	v_div_scale_f64 v[132:133], null, v[110:111], v[110:111], 1.0
	s_delay_alu instid0(VALU_DEP_1) | instskip(SKIP_2) | instid1(VALU_DEP_1)
	v_rcp_f64_e32 v[134:135], v[132:133]
	s_waitcnt_depctr 0xfff
	v_fma_f64 v[136:137], -v[132:133], v[134:135], 1.0
	v_fma_f64 v[134:135], v[134:135], v[136:137], v[134:135]
	s_delay_alu instid0(VALU_DEP_1) | instskip(NEXT) | instid1(VALU_DEP_1)
	v_fma_f64 v[136:137], -v[132:133], v[134:135], 1.0
	v_fma_f64 v[134:135], v[134:135], v[136:137], v[134:135]
	v_div_scale_f64 v[136:137], vcc_lo, 1.0, v[110:111], 1.0
	s_delay_alu instid0(VALU_DEP_1) | instskip(NEXT) | instid1(VALU_DEP_1)
	v_mul_f64 v[138:139], v[136:137], v[134:135]
	v_fma_f64 v[132:133], -v[132:133], v[138:139], v[136:137]
	s_delay_alu instid0(VALU_DEP_1) | instskip(NEXT) | instid1(VALU_DEP_1)
	v_div_fmas_f64 v[132:133], v[132:133], v[134:135], v[138:139]
	v_div_fixup_f64 v[138:139], v[132:133], v[110:111], 1.0
                                        ; implicit-def: $vgpr132_vgpr133
	s_delay_alu instid0(VALU_DEP_1)
	v_mul_f64 v[108:109], v[108:109], v[138:139]
	v_xor_b32_e32 v139, 0x80000000, v139
.LBB53_59:
	s_and_not1_saveexec_b32 s3, s3
	s_cbranch_execz .LBB53_61
; %bb.60:
	v_div_scale_f64 v[108:109], null, v[132:133], v[132:133], v[134:135]
	v_div_scale_f64 v[138:139], vcc_lo, v[134:135], v[132:133], v[134:135]
	s_delay_alu instid0(VALU_DEP_2) | instskip(SKIP_2) | instid1(VALU_DEP_1)
	v_rcp_f64_e32 v[110:111], v[108:109]
	s_waitcnt_depctr 0xfff
	v_fma_f64 v[136:137], -v[108:109], v[110:111], 1.0
	v_fma_f64 v[110:111], v[110:111], v[136:137], v[110:111]
	s_delay_alu instid0(VALU_DEP_1) | instskip(NEXT) | instid1(VALU_DEP_1)
	v_fma_f64 v[136:137], -v[108:109], v[110:111], 1.0
	v_fma_f64 v[110:111], v[110:111], v[136:137], v[110:111]
	s_delay_alu instid0(VALU_DEP_1) | instskip(NEXT) | instid1(VALU_DEP_1)
	v_mul_f64 v[136:137], v[138:139], v[110:111]
	v_fma_f64 v[108:109], -v[108:109], v[136:137], v[138:139]
	s_delay_alu instid0(VALU_DEP_1) | instskip(NEXT) | instid1(VALU_DEP_1)
	v_div_fmas_f64 v[108:109], v[108:109], v[110:111], v[136:137]
	v_div_fixup_f64 v[110:111], v[108:109], v[132:133], v[134:135]
	s_delay_alu instid0(VALU_DEP_1) | instskip(NEXT) | instid1(VALU_DEP_1)
	v_fma_f64 v[108:109], v[134:135], v[110:111], v[132:133]
	v_div_scale_f64 v[132:133], null, v[108:109], v[108:109], 1.0
	s_delay_alu instid0(VALU_DEP_1) | instskip(SKIP_2) | instid1(VALU_DEP_1)
	v_rcp_f64_e32 v[134:135], v[132:133]
	s_waitcnt_depctr 0xfff
	v_fma_f64 v[136:137], -v[132:133], v[134:135], 1.0
	v_fma_f64 v[134:135], v[134:135], v[136:137], v[134:135]
	s_delay_alu instid0(VALU_DEP_1) | instskip(NEXT) | instid1(VALU_DEP_1)
	v_fma_f64 v[136:137], -v[132:133], v[134:135], 1.0
	v_fma_f64 v[134:135], v[134:135], v[136:137], v[134:135]
	v_div_scale_f64 v[136:137], vcc_lo, 1.0, v[108:109], 1.0
	s_delay_alu instid0(VALU_DEP_1) | instskip(NEXT) | instid1(VALU_DEP_1)
	v_mul_f64 v[138:139], v[136:137], v[134:135]
	v_fma_f64 v[132:133], -v[132:133], v[138:139], v[136:137]
	s_delay_alu instid0(VALU_DEP_1) | instskip(NEXT) | instid1(VALU_DEP_1)
	v_div_fmas_f64 v[132:133], v[132:133], v[134:135], v[138:139]
	v_div_fixup_f64 v[108:109], v[132:133], v[108:109], 1.0
	s_delay_alu instid0(VALU_DEP_1)
	v_mul_f64 v[138:139], v[110:111], -v[108:109]
.LBB53_61:
	s_or_b32 exec_lo, exec_lo, s3
	ds_store_2addr_b64 v233, v[108:109], v[138:139] offset1:1
.LBB53_62:
	s_or_b32 exec_lo, exec_lo, s4
	s_waitcnt lgkmcnt(0)
	s_barrier
	buffer_gl0_inv
	ds_load_2addr_b64 v[132:135], v233 offset1:1
	s_mov_b32 s3, exec_lo
	v_cmpx_lt_u32_e32 6, v232
	s_cbranch_execz .LBB53_64
; %bb.63:
	s_waitcnt lgkmcnt(0)
	v_mul_f64 v[108:109], v[134:135], v[82:83]
	v_mul_f64 v[82:83], v[132:133], v[82:83]
	s_delay_alu instid0(VALU_DEP_2) | instskip(NEXT) | instid1(VALU_DEP_2)
	v_fma_f64 v[136:137], v[132:133], v[80:81], -v[108:109]
	v_fma_f64 v[82:83], v[134:135], v[80:81], v[82:83]
	ds_load_2addr_b64 v[108:111], v236 offset0:14 offset1:15
	ds_load_2addr_b64 v[138:141], v236 offset0:16 offset1:17
	s_waitcnt lgkmcnt(1)
	v_mul_f64 v[80:81], v[110:111], v[82:83]
	s_delay_alu instid0(VALU_DEP_1) | instskip(SKIP_1) | instid1(VALU_DEP_2)
	v_fma_f64 v[80:81], v[108:109], v[136:137], -v[80:81]
	v_mul_f64 v[108:109], v[108:109], v[82:83]
	v_add_f64 v[76:77], v[76:77], -v[80:81]
	s_delay_alu instid0(VALU_DEP_2) | instskip(SKIP_3) | instid1(VALU_DEP_3)
	v_fma_f64 v[142:143], v[110:111], v[136:137], v[108:109]
	s_waitcnt lgkmcnt(0)
	v_mul_f64 v[108:109], v[140:141], v[82:83]
	v_dual_mov_b32 v80, v136 :: v_dual_mov_b32 v81, v137
	v_add_f64 v[78:79], v[78:79], -v[142:143]
	s_delay_alu instid0(VALU_DEP_3) | instskip(SKIP_1) | instid1(VALU_DEP_2)
	v_fma_f64 v[144:145], v[138:139], v[136:137], -v[108:109]
	v_mul_f64 v[108:109], v[138:139], v[82:83]
	v_add_f64 v[72:73], v[72:73], -v[144:145]
	s_delay_alu instid0(VALU_DEP_2)
	v_fma_f64 v[146:147], v[140:141], v[136:137], v[108:109]
	ds_load_2addr_b64 v[108:111], v236 offset0:18 offset1:19
	ds_load_2addr_b64 v[138:141], v236 offset0:20 offset1:21
	s_waitcnt lgkmcnt(1)
	v_mul_f64 v[148:149], v[110:111], v[82:83]
	v_add_f64 v[74:75], v[74:75], -v[146:147]
	s_delay_alu instid0(VALU_DEP_2) | instskip(SKIP_1) | instid1(VALU_DEP_2)
	v_fma_f64 v[148:149], v[108:109], v[136:137], -v[148:149]
	v_mul_f64 v[108:109], v[108:109], v[82:83]
	v_add_f64 v[68:69], v[68:69], -v[148:149]
	s_delay_alu instid0(VALU_DEP_2) | instskip(SKIP_2) | instid1(VALU_DEP_2)
	v_fma_f64 v[150:151], v[110:111], v[136:137], v[108:109]
	s_waitcnt lgkmcnt(0)
	v_mul_f64 v[108:109], v[140:141], v[82:83]
	v_add_f64 v[70:71], v[70:71], -v[150:151]
	s_delay_alu instid0(VALU_DEP_2) | instskip(SKIP_1) | instid1(VALU_DEP_2)
	v_fma_f64 v[152:153], v[138:139], v[136:137], -v[108:109]
	v_mul_f64 v[108:109], v[138:139], v[82:83]
	v_add_f64 v[64:65], v[64:65], -v[152:153]
	s_delay_alu instid0(VALU_DEP_2)
	v_fma_f64 v[154:155], v[140:141], v[136:137], v[108:109]
	ds_load_2addr_b64 v[108:111], v236 offset0:22 offset1:23
	ds_load_2addr_b64 v[138:141], v236 offset0:24 offset1:25
	s_waitcnt lgkmcnt(1)
	v_mul_f64 v[156:157], v[110:111], v[82:83]
	v_add_f64 v[66:67], v[66:67], -v[154:155]
	s_delay_alu instid0(VALU_DEP_2) | instskip(SKIP_1) | instid1(VALU_DEP_2)
	v_fma_f64 v[156:157], v[108:109], v[136:137], -v[156:157]
	v_mul_f64 v[108:109], v[108:109], v[82:83]
	v_add_f64 v[60:61], v[60:61], -v[156:157]
	s_delay_alu instid0(VALU_DEP_2) | instskip(SKIP_2) | instid1(VALU_DEP_2)
	v_fma_f64 v[158:159], v[110:111], v[136:137], v[108:109]
	s_waitcnt lgkmcnt(0)
	v_mul_f64 v[108:109], v[140:141], v[82:83]
	v_add_f64 v[62:63], v[62:63], -v[158:159]
	s_delay_alu instid0(VALU_DEP_2) | instskip(SKIP_1) | instid1(VALU_DEP_2)
	;; [unrolled: 20-line block ×9, first 2 shown]
	v_fma_f64 v[110:111], v[138:139], v[136:137], -v[110:111]
	v_mul_f64 v[138:139], v[138:139], v[82:83]
	v_add_f64 v[0:1], v[0:1], -v[110:111]
	s_delay_alu instid0(VALU_DEP_2) | instskip(NEXT) | instid1(VALU_DEP_1)
	v_fma_f64 v[138:139], v[140:141], v[136:137], v[138:139]
	v_add_f64 v[2:3], v[2:3], -v[138:139]
.LBB53_64:
	s_or_b32 exec_lo, exec_lo, s3
	s_delay_alu instid0(SALU_CYCLE_1)
	s_mov_b32 s4, exec_lo
	s_waitcnt lgkmcnt(0)
	s_barrier
	buffer_gl0_inv
	v_cmpx_eq_u32_e32 7, v232
	s_cbranch_execz .LBB53_71
; %bb.65:
	ds_store_2addr_b64 v233, v[76:77], v[78:79] offset1:1
	ds_store_2addr_b64 v236, v[72:73], v[74:75] offset0:16 offset1:17
	ds_store_2addr_b64 v236, v[68:69], v[70:71] offset0:18 offset1:19
	ds_store_2addr_b64 v236, v[64:65], v[66:67] offset0:20 offset1:21
	ds_store_2addr_b64 v236, v[60:61], v[62:63] offset0:22 offset1:23
	ds_store_2addr_b64 v236, v[56:57], v[58:59] offset0:24 offset1:25
	ds_store_2addr_b64 v236, v[52:53], v[54:55] offset0:26 offset1:27
	ds_store_2addr_b64 v236, v[48:49], v[50:51] offset0:28 offset1:29
	ds_store_2addr_b64 v236, v[44:45], v[46:47] offset0:30 offset1:31
	ds_store_2addr_b64 v236, v[40:41], v[42:43] offset0:32 offset1:33
	ds_store_2addr_b64 v236, v[36:37], v[38:39] offset0:34 offset1:35
	ds_store_2addr_b64 v236, v[32:33], v[34:35] offset0:36 offset1:37
	ds_store_2addr_b64 v236, v[28:29], v[30:31] offset0:38 offset1:39
	ds_store_2addr_b64 v236, v[24:25], v[26:27] offset0:40 offset1:41
	ds_store_2addr_b64 v236, v[20:21], v[22:23] offset0:42 offset1:43
	ds_store_2addr_b64 v236, v[16:17], v[18:19] offset0:44 offset1:45
	ds_store_2addr_b64 v236, v[12:13], v[14:15] offset0:46 offset1:47
	ds_store_2addr_b64 v236, v[8:9], v[10:11] offset0:48 offset1:49
	ds_store_2addr_b64 v236, v[4:5], v[6:7] offset0:50 offset1:51
	ds_store_2addr_b64 v236, v[0:1], v[2:3] offset0:52 offset1:53
	ds_load_2addr_b64 v[136:139], v233 offset1:1
	s_waitcnt lgkmcnt(0)
	v_cmp_neq_f64_e32 vcc_lo, 0, v[136:137]
	v_cmp_neq_f64_e64 s3, 0, v[138:139]
	s_delay_alu instid0(VALU_DEP_1) | instskip(NEXT) | instid1(SALU_CYCLE_1)
	s_or_b32 s3, vcc_lo, s3
	s_and_b32 exec_lo, exec_lo, s3
	s_cbranch_execz .LBB53_71
; %bb.66:
	v_cmp_gt_f64_e32 vcc_lo, 0, v[136:137]
	v_cmp_gt_f64_e64 s3, 0, v[138:139]
	v_xor_b32_e32 v108, 0x80000000, v137
	v_xor_b32_e32 v110, 0x80000000, v139
	s_delay_alu instid0(VALU_DEP_2) | instskip(NEXT) | instid1(VALU_DEP_2)
	v_cndmask_b32_e32 v109, v137, v108, vcc_lo
	v_cndmask_b32_e64 v111, v139, v110, s3
	v_cndmask_b32_e32 v108, v136, v136, vcc_lo
	v_cndmask_b32_e64 v110, v138, v138, s3
	s_delay_alu instid0(VALU_DEP_1) | instskip(SKIP_1) | instid1(SALU_CYCLE_1)
	v_cmp_ngt_f64_e32 vcc_lo, v[108:109], v[110:111]
                                        ; implicit-def: $vgpr108_vgpr109
	s_and_saveexec_b32 s3, vcc_lo
	s_xor_b32 s3, exec_lo, s3
                                        ; implicit-def: $vgpr140_vgpr141_vgpr142_vgpr143
	s_cbranch_execz .LBB53_68
; %bb.67:
	v_div_scale_f64 v[108:109], null, v[138:139], v[138:139], v[136:137]
	v_div_scale_f64 v[142:143], vcc_lo, v[136:137], v[138:139], v[136:137]
	s_delay_alu instid0(VALU_DEP_2) | instskip(SKIP_2) | instid1(VALU_DEP_1)
	v_rcp_f64_e32 v[110:111], v[108:109]
	s_waitcnt_depctr 0xfff
	v_fma_f64 v[140:141], -v[108:109], v[110:111], 1.0
	v_fma_f64 v[110:111], v[110:111], v[140:141], v[110:111]
	s_delay_alu instid0(VALU_DEP_1) | instskip(NEXT) | instid1(VALU_DEP_1)
	v_fma_f64 v[140:141], -v[108:109], v[110:111], 1.0
	v_fma_f64 v[110:111], v[110:111], v[140:141], v[110:111]
	s_delay_alu instid0(VALU_DEP_1) | instskip(NEXT) | instid1(VALU_DEP_1)
	v_mul_f64 v[140:141], v[142:143], v[110:111]
	v_fma_f64 v[108:109], -v[108:109], v[140:141], v[142:143]
	s_delay_alu instid0(VALU_DEP_1) | instskip(NEXT) | instid1(VALU_DEP_1)
	v_div_fmas_f64 v[108:109], v[108:109], v[110:111], v[140:141]
	v_div_fixup_f64 v[108:109], v[108:109], v[138:139], v[136:137]
	s_delay_alu instid0(VALU_DEP_1) | instskip(NEXT) | instid1(VALU_DEP_1)
	v_fma_f64 v[110:111], v[136:137], v[108:109], v[138:139]
	v_div_scale_f64 v[136:137], null, v[110:111], v[110:111], 1.0
	s_delay_alu instid0(VALU_DEP_1) | instskip(SKIP_2) | instid1(VALU_DEP_1)
	v_rcp_f64_e32 v[138:139], v[136:137]
	s_waitcnt_depctr 0xfff
	v_fma_f64 v[140:141], -v[136:137], v[138:139], 1.0
	v_fma_f64 v[138:139], v[138:139], v[140:141], v[138:139]
	s_delay_alu instid0(VALU_DEP_1) | instskip(NEXT) | instid1(VALU_DEP_1)
	v_fma_f64 v[140:141], -v[136:137], v[138:139], 1.0
	v_fma_f64 v[138:139], v[138:139], v[140:141], v[138:139]
	v_div_scale_f64 v[140:141], vcc_lo, 1.0, v[110:111], 1.0
	s_delay_alu instid0(VALU_DEP_1) | instskip(NEXT) | instid1(VALU_DEP_1)
	v_mul_f64 v[142:143], v[140:141], v[138:139]
	v_fma_f64 v[136:137], -v[136:137], v[142:143], v[140:141]
	s_delay_alu instid0(VALU_DEP_1) | instskip(NEXT) | instid1(VALU_DEP_1)
	v_div_fmas_f64 v[136:137], v[136:137], v[138:139], v[142:143]
	v_div_fixup_f64 v[142:143], v[136:137], v[110:111], 1.0
                                        ; implicit-def: $vgpr136_vgpr137
	s_delay_alu instid0(VALU_DEP_1)
	v_mul_f64 v[108:109], v[108:109], v[142:143]
	v_xor_b32_e32 v143, 0x80000000, v143
.LBB53_68:
	s_and_not1_saveexec_b32 s3, s3
	s_cbranch_execz .LBB53_70
; %bb.69:
	v_div_scale_f64 v[108:109], null, v[136:137], v[136:137], v[138:139]
	v_div_scale_f64 v[142:143], vcc_lo, v[138:139], v[136:137], v[138:139]
	s_delay_alu instid0(VALU_DEP_2) | instskip(SKIP_2) | instid1(VALU_DEP_1)
	v_rcp_f64_e32 v[110:111], v[108:109]
	s_waitcnt_depctr 0xfff
	v_fma_f64 v[140:141], -v[108:109], v[110:111], 1.0
	v_fma_f64 v[110:111], v[110:111], v[140:141], v[110:111]
	s_delay_alu instid0(VALU_DEP_1) | instskip(NEXT) | instid1(VALU_DEP_1)
	v_fma_f64 v[140:141], -v[108:109], v[110:111], 1.0
	v_fma_f64 v[110:111], v[110:111], v[140:141], v[110:111]
	s_delay_alu instid0(VALU_DEP_1) | instskip(NEXT) | instid1(VALU_DEP_1)
	v_mul_f64 v[140:141], v[142:143], v[110:111]
	v_fma_f64 v[108:109], -v[108:109], v[140:141], v[142:143]
	s_delay_alu instid0(VALU_DEP_1) | instskip(NEXT) | instid1(VALU_DEP_1)
	v_div_fmas_f64 v[108:109], v[108:109], v[110:111], v[140:141]
	v_div_fixup_f64 v[110:111], v[108:109], v[136:137], v[138:139]
	s_delay_alu instid0(VALU_DEP_1) | instskip(NEXT) | instid1(VALU_DEP_1)
	v_fma_f64 v[108:109], v[138:139], v[110:111], v[136:137]
	v_div_scale_f64 v[136:137], null, v[108:109], v[108:109], 1.0
	s_delay_alu instid0(VALU_DEP_1) | instskip(SKIP_2) | instid1(VALU_DEP_1)
	v_rcp_f64_e32 v[138:139], v[136:137]
	s_waitcnt_depctr 0xfff
	v_fma_f64 v[140:141], -v[136:137], v[138:139], 1.0
	v_fma_f64 v[138:139], v[138:139], v[140:141], v[138:139]
	s_delay_alu instid0(VALU_DEP_1) | instskip(NEXT) | instid1(VALU_DEP_1)
	v_fma_f64 v[140:141], -v[136:137], v[138:139], 1.0
	v_fma_f64 v[138:139], v[138:139], v[140:141], v[138:139]
	v_div_scale_f64 v[140:141], vcc_lo, 1.0, v[108:109], 1.0
	s_delay_alu instid0(VALU_DEP_1) | instskip(NEXT) | instid1(VALU_DEP_1)
	v_mul_f64 v[142:143], v[140:141], v[138:139]
	v_fma_f64 v[136:137], -v[136:137], v[142:143], v[140:141]
	s_delay_alu instid0(VALU_DEP_1) | instskip(NEXT) | instid1(VALU_DEP_1)
	v_div_fmas_f64 v[136:137], v[136:137], v[138:139], v[142:143]
	v_div_fixup_f64 v[108:109], v[136:137], v[108:109], 1.0
	s_delay_alu instid0(VALU_DEP_1)
	v_mul_f64 v[142:143], v[110:111], -v[108:109]
.LBB53_70:
	s_or_b32 exec_lo, exec_lo, s3
	ds_store_2addr_b64 v233, v[108:109], v[142:143] offset1:1
.LBB53_71:
	s_or_b32 exec_lo, exec_lo, s4
	s_waitcnt lgkmcnt(0)
	s_barrier
	buffer_gl0_inv
	ds_load_2addr_b64 v[136:139], v233 offset1:1
	s_mov_b32 s3, exec_lo
	v_cmpx_lt_u32_e32 7, v232
	s_cbranch_execz .LBB53_73
; %bb.72:
	s_waitcnt lgkmcnt(0)
	v_mul_f64 v[108:109], v[138:139], v[78:79]
	v_mul_f64 v[78:79], v[136:137], v[78:79]
	s_delay_alu instid0(VALU_DEP_2) | instskip(NEXT) | instid1(VALU_DEP_2)
	v_fma_f64 v[140:141], v[136:137], v[76:77], -v[108:109]
	v_fma_f64 v[78:79], v[138:139], v[76:77], v[78:79]
	ds_load_2addr_b64 v[108:111], v236 offset0:16 offset1:17
	ds_load_2addr_b64 v[142:145], v236 offset0:18 offset1:19
	s_waitcnt lgkmcnt(1)
	v_mul_f64 v[76:77], v[110:111], v[78:79]
	s_delay_alu instid0(VALU_DEP_1) | instskip(SKIP_1) | instid1(VALU_DEP_2)
	v_fma_f64 v[76:77], v[108:109], v[140:141], -v[76:77]
	v_mul_f64 v[108:109], v[108:109], v[78:79]
	v_add_f64 v[72:73], v[72:73], -v[76:77]
	s_delay_alu instid0(VALU_DEP_2) | instskip(SKIP_3) | instid1(VALU_DEP_3)
	v_fma_f64 v[146:147], v[110:111], v[140:141], v[108:109]
	s_waitcnt lgkmcnt(0)
	v_mul_f64 v[108:109], v[144:145], v[78:79]
	v_dual_mov_b32 v76, v140 :: v_dual_mov_b32 v77, v141
	v_add_f64 v[74:75], v[74:75], -v[146:147]
	s_delay_alu instid0(VALU_DEP_3) | instskip(SKIP_1) | instid1(VALU_DEP_2)
	v_fma_f64 v[148:149], v[142:143], v[140:141], -v[108:109]
	v_mul_f64 v[108:109], v[142:143], v[78:79]
	v_add_f64 v[68:69], v[68:69], -v[148:149]
	s_delay_alu instid0(VALU_DEP_2)
	v_fma_f64 v[150:151], v[144:145], v[140:141], v[108:109]
	ds_load_2addr_b64 v[108:111], v236 offset0:20 offset1:21
	ds_load_2addr_b64 v[142:145], v236 offset0:22 offset1:23
	s_waitcnt lgkmcnt(1)
	v_mul_f64 v[152:153], v[110:111], v[78:79]
	v_add_f64 v[70:71], v[70:71], -v[150:151]
	s_delay_alu instid0(VALU_DEP_2) | instskip(SKIP_1) | instid1(VALU_DEP_2)
	v_fma_f64 v[152:153], v[108:109], v[140:141], -v[152:153]
	v_mul_f64 v[108:109], v[108:109], v[78:79]
	v_add_f64 v[64:65], v[64:65], -v[152:153]
	s_delay_alu instid0(VALU_DEP_2) | instskip(SKIP_2) | instid1(VALU_DEP_2)
	v_fma_f64 v[154:155], v[110:111], v[140:141], v[108:109]
	s_waitcnt lgkmcnt(0)
	v_mul_f64 v[108:109], v[144:145], v[78:79]
	v_add_f64 v[66:67], v[66:67], -v[154:155]
	s_delay_alu instid0(VALU_DEP_2) | instskip(SKIP_1) | instid1(VALU_DEP_2)
	v_fma_f64 v[156:157], v[142:143], v[140:141], -v[108:109]
	v_mul_f64 v[108:109], v[142:143], v[78:79]
	v_add_f64 v[60:61], v[60:61], -v[156:157]
	s_delay_alu instid0(VALU_DEP_2)
	v_fma_f64 v[158:159], v[144:145], v[140:141], v[108:109]
	ds_load_2addr_b64 v[108:111], v236 offset0:24 offset1:25
	ds_load_2addr_b64 v[142:145], v236 offset0:26 offset1:27
	s_waitcnt lgkmcnt(1)
	v_mul_f64 v[160:161], v[110:111], v[78:79]
	v_add_f64 v[62:63], v[62:63], -v[158:159]
	s_delay_alu instid0(VALU_DEP_2) | instskip(SKIP_1) | instid1(VALU_DEP_2)
	v_fma_f64 v[160:161], v[108:109], v[140:141], -v[160:161]
	v_mul_f64 v[108:109], v[108:109], v[78:79]
	v_add_f64 v[56:57], v[56:57], -v[160:161]
	s_delay_alu instid0(VALU_DEP_2) | instskip(SKIP_2) | instid1(VALU_DEP_2)
	v_fma_f64 v[162:163], v[110:111], v[140:141], v[108:109]
	s_waitcnt lgkmcnt(0)
	v_mul_f64 v[108:109], v[144:145], v[78:79]
	v_add_f64 v[58:59], v[58:59], -v[162:163]
	s_delay_alu instid0(VALU_DEP_2) | instskip(SKIP_1) | instid1(VALU_DEP_2)
	;; [unrolled: 20-line block ×8, first 2 shown]
	v_fma_f64 v[212:213], v[142:143], v[140:141], -v[108:109]
	v_mul_f64 v[108:109], v[142:143], v[78:79]
	v_add_f64 v[4:5], v[4:5], -v[212:213]
	s_delay_alu instid0(VALU_DEP_2) | instskip(SKIP_4) | instid1(VALU_DEP_2)
	v_fma_f64 v[142:143], v[144:145], v[140:141], v[108:109]
	ds_load_2addr_b64 v[108:111], v236 offset0:52 offset1:53
	s_waitcnt lgkmcnt(0)
	v_mul_f64 v[144:145], v[110:111], v[78:79]
	v_add_f64 v[6:7], v[6:7], -v[142:143]
	v_fma_f64 v[144:145], v[108:109], v[140:141], -v[144:145]
	v_mul_f64 v[108:109], v[108:109], v[78:79]
	s_delay_alu instid0(VALU_DEP_2) | instskip(NEXT) | instid1(VALU_DEP_2)
	v_add_f64 v[0:1], v[0:1], -v[144:145]
	v_fma_f64 v[108:109], v[110:111], v[140:141], v[108:109]
	s_delay_alu instid0(VALU_DEP_1)
	v_add_f64 v[2:3], v[2:3], -v[108:109]
.LBB53_73:
	s_or_b32 exec_lo, exec_lo, s3
	s_delay_alu instid0(SALU_CYCLE_1)
	s_mov_b32 s4, exec_lo
	s_waitcnt lgkmcnt(0)
	s_barrier
	buffer_gl0_inv
	v_cmpx_eq_u32_e32 8, v232
	s_cbranch_execz .LBB53_80
; %bb.74:
	ds_store_2addr_b64 v233, v[72:73], v[74:75] offset1:1
	ds_store_2addr_b64 v236, v[68:69], v[70:71] offset0:18 offset1:19
	ds_store_2addr_b64 v236, v[64:65], v[66:67] offset0:20 offset1:21
	;; [unrolled: 1-line block ×18, first 2 shown]
	ds_load_2addr_b64 v[140:143], v233 offset1:1
	s_waitcnt lgkmcnt(0)
	v_cmp_neq_f64_e32 vcc_lo, 0, v[140:141]
	v_cmp_neq_f64_e64 s3, 0, v[142:143]
	s_delay_alu instid0(VALU_DEP_1) | instskip(NEXT) | instid1(SALU_CYCLE_1)
	s_or_b32 s3, vcc_lo, s3
	s_and_b32 exec_lo, exec_lo, s3
	s_cbranch_execz .LBB53_80
; %bb.75:
	v_cmp_gt_f64_e32 vcc_lo, 0, v[140:141]
	v_cmp_gt_f64_e64 s3, 0, v[142:143]
	v_xor_b32_e32 v108, 0x80000000, v141
	v_xor_b32_e32 v110, 0x80000000, v143
	s_delay_alu instid0(VALU_DEP_2) | instskip(NEXT) | instid1(VALU_DEP_2)
	v_cndmask_b32_e32 v109, v141, v108, vcc_lo
	v_cndmask_b32_e64 v111, v143, v110, s3
	v_cndmask_b32_e32 v108, v140, v140, vcc_lo
	v_cndmask_b32_e64 v110, v142, v142, s3
	s_delay_alu instid0(VALU_DEP_1) | instskip(SKIP_1) | instid1(SALU_CYCLE_1)
	v_cmp_ngt_f64_e32 vcc_lo, v[108:109], v[110:111]
                                        ; implicit-def: $vgpr108_vgpr109
	s_and_saveexec_b32 s3, vcc_lo
	s_xor_b32 s3, exec_lo, s3
                                        ; implicit-def: $vgpr144_vgpr145_vgpr146_vgpr147
	s_cbranch_execz .LBB53_77
; %bb.76:
	v_div_scale_f64 v[108:109], null, v[142:143], v[142:143], v[140:141]
	v_div_scale_f64 v[146:147], vcc_lo, v[140:141], v[142:143], v[140:141]
	s_delay_alu instid0(VALU_DEP_2) | instskip(SKIP_2) | instid1(VALU_DEP_1)
	v_rcp_f64_e32 v[110:111], v[108:109]
	s_waitcnt_depctr 0xfff
	v_fma_f64 v[144:145], -v[108:109], v[110:111], 1.0
	v_fma_f64 v[110:111], v[110:111], v[144:145], v[110:111]
	s_delay_alu instid0(VALU_DEP_1) | instskip(NEXT) | instid1(VALU_DEP_1)
	v_fma_f64 v[144:145], -v[108:109], v[110:111], 1.0
	v_fma_f64 v[110:111], v[110:111], v[144:145], v[110:111]
	s_delay_alu instid0(VALU_DEP_1) | instskip(NEXT) | instid1(VALU_DEP_1)
	v_mul_f64 v[144:145], v[146:147], v[110:111]
	v_fma_f64 v[108:109], -v[108:109], v[144:145], v[146:147]
	s_delay_alu instid0(VALU_DEP_1) | instskip(NEXT) | instid1(VALU_DEP_1)
	v_div_fmas_f64 v[108:109], v[108:109], v[110:111], v[144:145]
	v_div_fixup_f64 v[108:109], v[108:109], v[142:143], v[140:141]
	s_delay_alu instid0(VALU_DEP_1) | instskip(NEXT) | instid1(VALU_DEP_1)
	v_fma_f64 v[110:111], v[140:141], v[108:109], v[142:143]
	v_div_scale_f64 v[140:141], null, v[110:111], v[110:111], 1.0
	s_delay_alu instid0(VALU_DEP_1) | instskip(SKIP_2) | instid1(VALU_DEP_1)
	v_rcp_f64_e32 v[142:143], v[140:141]
	s_waitcnt_depctr 0xfff
	v_fma_f64 v[144:145], -v[140:141], v[142:143], 1.0
	v_fma_f64 v[142:143], v[142:143], v[144:145], v[142:143]
	s_delay_alu instid0(VALU_DEP_1) | instskip(NEXT) | instid1(VALU_DEP_1)
	v_fma_f64 v[144:145], -v[140:141], v[142:143], 1.0
	v_fma_f64 v[142:143], v[142:143], v[144:145], v[142:143]
	v_div_scale_f64 v[144:145], vcc_lo, 1.0, v[110:111], 1.0
	s_delay_alu instid0(VALU_DEP_1) | instskip(NEXT) | instid1(VALU_DEP_1)
	v_mul_f64 v[146:147], v[144:145], v[142:143]
	v_fma_f64 v[140:141], -v[140:141], v[146:147], v[144:145]
	s_delay_alu instid0(VALU_DEP_1) | instskip(NEXT) | instid1(VALU_DEP_1)
	v_div_fmas_f64 v[140:141], v[140:141], v[142:143], v[146:147]
	v_div_fixup_f64 v[146:147], v[140:141], v[110:111], 1.0
                                        ; implicit-def: $vgpr140_vgpr141
	s_delay_alu instid0(VALU_DEP_1)
	v_mul_f64 v[108:109], v[108:109], v[146:147]
	v_xor_b32_e32 v147, 0x80000000, v147
.LBB53_77:
	s_and_not1_saveexec_b32 s3, s3
	s_cbranch_execz .LBB53_79
; %bb.78:
	v_div_scale_f64 v[108:109], null, v[140:141], v[140:141], v[142:143]
	v_div_scale_f64 v[146:147], vcc_lo, v[142:143], v[140:141], v[142:143]
	s_delay_alu instid0(VALU_DEP_2) | instskip(SKIP_2) | instid1(VALU_DEP_1)
	v_rcp_f64_e32 v[110:111], v[108:109]
	s_waitcnt_depctr 0xfff
	v_fma_f64 v[144:145], -v[108:109], v[110:111], 1.0
	v_fma_f64 v[110:111], v[110:111], v[144:145], v[110:111]
	s_delay_alu instid0(VALU_DEP_1) | instskip(NEXT) | instid1(VALU_DEP_1)
	v_fma_f64 v[144:145], -v[108:109], v[110:111], 1.0
	v_fma_f64 v[110:111], v[110:111], v[144:145], v[110:111]
	s_delay_alu instid0(VALU_DEP_1) | instskip(NEXT) | instid1(VALU_DEP_1)
	v_mul_f64 v[144:145], v[146:147], v[110:111]
	v_fma_f64 v[108:109], -v[108:109], v[144:145], v[146:147]
	s_delay_alu instid0(VALU_DEP_1) | instskip(NEXT) | instid1(VALU_DEP_1)
	v_div_fmas_f64 v[108:109], v[108:109], v[110:111], v[144:145]
	v_div_fixup_f64 v[110:111], v[108:109], v[140:141], v[142:143]
	s_delay_alu instid0(VALU_DEP_1) | instskip(NEXT) | instid1(VALU_DEP_1)
	v_fma_f64 v[108:109], v[142:143], v[110:111], v[140:141]
	v_div_scale_f64 v[140:141], null, v[108:109], v[108:109], 1.0
	s_delay_alu instid0(VALU_DEP_1) | instskip(SKIP_2) | instid1(VALU_DEP_1)
	v_rcp_f64_e32 v[142:143], v[140:141]
	s_waitcnt_depctr 0xfff
	v_fma_f64 v[144:145], -v[140:141], v[142:143], 1.0
	v_fma_f64 v[142:143], v[142:143], v[144:145], v[142:143]
	s_delay_alu instid0(VALU_DEP_1) | instskip(NEXT) | instid1(VALU_DEP_1)
	v_fma_f64 v[144:145], -v[140:141], v[142:143], 1.0
	v_fma_f64 v[142:143], v[142:143], v[144:145], v[142:143]
	v_div_scale_f64 v[144:145], vcc_lo, 1.0, v[108:109], 1.0
	s_delay_alu instid0(VALU_DEP_1) | instskip(NEXT) | instid1(VALU_DEP_1)
	v_mul_f64 v[146:147], v[144:145], v[142:143]
	v_fma_f64 v[140:141], -v[140:141], v[146:147], v[144:145]
	s_delay_alu instid0(VALU_DEP_1) | instskip(NEXT) | instid1(VALU_DEP_1)
	v_div_fmas_f64 v[140:141], v[140:141], v[142:143], v[146:147]
	v_div_fixup_f64 v[108:109], v[140:141], v[108:109], 1.0
	s_delay_alu instid0(VALU_DEP_1)
	v_mul_f64 v[146:147], v[110:111], -v[108:109]
.LBB53_79:
	s_or_b32 exec_lo, exec_lo, s3
	ds_store_2addr_b64 v233, v[108:109], v[146:147] offset1:1
.LBB53_80:
	s_or_b32 exec_lo, exec_lo, s4
	s_waitcnt lgkmcnt(0)
	s_barrier
	buffer_gl0_inv
	ds_load_2addr_b64 v[140:143], v233 offset1:1
	s_mov_b32 s3, exec_lo
	v_cmpx_lt_u32_e32 8, v232
	s_cbranch_execz .LBB53_82
; %bb.81:
	s_waitcnt lgkmcnt(0)
	v_mul_f64 v[108:109], v[142:143], v[74:75]
	v_mul_f64 v[74:75], v[140:141], v[74:75]
	s_delay_alu instid0(VALU_DEP_2) | instskip(NEXT) | instid1(VALU_DEP_2)
	v_fma_f64 v[144:145], v[140:141], v[72:73], -v[108:109]
	v_fma_f64 v[74:75], v[142:143], v[72:73], v[74:75]
	ds_load_2addr_b64 v[108:111], v236 offset0:18 offset1:19
	ds_load_2addr_b64 v[146:149], v236 offset0:20 offset1:21
	s_waitcnt lgkmcnt(1)
	v_mul_f64 v[72:73], v[110:111], v[74:75]
	s_delay_alu instid0(VALU_DEP_1) | instskip(SKIP_1) | instid1(VALU_DEP_2)
	v_fma_f64 v[72:73], v[108:109], v[144:145], -v[72:73]
	v_mul_f64 v[108:109], v[108:109], v[74:75]
	v_add_f64 v[68:69], v[68:69], -v[72:73]
	s_delay_alu instid0(VALU_DEP_2) | instskip(SKIP_3) | instid1(VALU_DEP_3)
	v_fma_f64 v[150:151], v[110:111], v[144:145], v[108:109]
	s_waitcnt lgkmcnt(0)
	v_mul_f64 v[108:109], v[148:149], v[74:75]
	v_dual_mov_b32 v72, v144 :: v_dual_mov_b32 v73, v145
	v_add_f64 v[70:71], v[70:71], -v[150:151]
	s_delay_alu instid0(VALU_DEP_3) | instskip(SKIP_1) | instid1(VALU_DEP_2)
	v_fma_f64 v[152:153], v[146:147], v[144:145], -v[108:109]
	v_mul_f64 v[108:109], v[146:147], v[74:75]
	v_add_f64 v[64:65], v[64:65], -v[152:153]
	s_delay_alu instid0(VALU_DEP_2)
	v_fma_f64 v[154:155], v[148:149], v[144:145], v[108:109]
	ds_load_2addr_b64 v[108:111], v236 offset0:22 offset1:23
	ds_load_2addr_b64 v[146:149], v236 offset0:24 offset1:25
	s_waitcnt lgkmcnt(1)
	v_mul_f64 v[156:157], v[110:111], v[74:75]
	v_add_f64 v[66:67], v[66:67], -v[154:155]
	s_delay_alu instid0(VALU_DEP_2) | instskip(SKIP_1) | instid1(VALU_DEP_2)
	v_fma_f64 v[156:157], v[108:109], v[144:145], -v[156:157]
	v_mul_f64 v[108:109], v[108:109], v[74:75]
	v_add_f64 v[60:61], v[60:61], -v[156:157]
	s_delay_alu instid0(VALU_DEP_2) | instskip(SKIP_2) | instid1(VALU_DEP_2)
	v_fma_f64 v[158:159], v[110:111], v[144:145], v[108:109]
	s_waitcnt lgkmcnt(0)
	v_mul_f64 v[108:109], v[148:149], v[74:75]
	v_add_f64 v[62:63], v[62:63], -v[158:159]
	s_delay_alu instid0(VALU_DEP_2) | instskip(SKIP_1) | instid1(VALU_DEP_2)
	v_fma_f64 v[160:161], v[146:147], v[144:145], -v[108:109]
	v_mul_f64 v[108:109], v[146:147], v[74:75]
	v_add_f64 v[56:57], v[56:57], -v[160:161]
	s_delay_alu instid0(VALU_DEP_2)
	v_fma_f64 v[162:163], v[148:149], v[144:145], v[108:109]
	ds_load_2addr_b64 v[108:111], v236 offset0:26 offset1:27
	ds_load_2addr_b64 v[146:149], v236 offset0:28 offset1:29
	s_waitcnt lgkmcnt(1)
	v_mul_f64 v[164:165], v[110:111], v[74:75]
	v_add_f64 v[58:59], v[58:59], -v[162:163]
	s_delay_alu instid0(VALU_DEP_2) | instskip(SKIP_1) | instid1(VALU_DEP_2)
	v_fma_f64 v[164:165], v[108:109], v[144:145], -v[164:165]
	v_mul_f64 v[108:109], v[108:109], v[74:75]
	v_add_f64 v[52:53], v[52:53], -v[164:165]
	s_delay_alu instid0(VALU_DEP_2) | instskip(SKIP_2) | instid1(VALU_DEP_2)
	v_fma_f64 v[166:167], v[110:111], v[144:145], v[108:109]
	s_waitcnt lgkmcnt(0)
	v_mul_f64 v[108:109], v[148:149], v[74:75]
	v_add_f64 v[54:55], v[54:55], -v[166:167]
	s_delay_alu instid0(VALU_DEP_2) | instskip(SKIP_1) | instid1(VALU_DEP_2)
	;; [unrolled: 20-line block ×8, first 2 shown]
	v_fma_f64 v[110:111], v[146:147], v[144:145], -v[110:111]
	v_mul_f64 v[146:147], v[146:147], v[74:75]
	v_add_f64 v[0:1], v[0:1], -v[110:111]
	s_delay_alu instid0(VALU_DEP_2) | instskip(NEXT) | instid1(VALU_DEP_1)
	v_fma_f64 v[146:147], v[148:149], v[144:145], v[146:147]
	v_add_f64 v[2:3], v[2:3], -v[146:147]
.LBB53_82:
	s_or_b32 exec_lo, exec_lo, s3
	s_delay_alu instid0(SALU_CYCLE_1)
	s_mov_b32 s4, exec_lo
	s_waitcnt lgkmcnt(0)
	s_barrier
	buffer_gl0_inv
	v_cmpx_eq_u32_e32 9, v232
	s_cbranch_execz .LBB53_89
; %bb.83:
	ds_store_2addr_b64 v233, v[68:69], v[70:71] offset1:1
	ds_store_2addr_b64 v236, v[64:65], v[66:67] offset0:20 offset1:21
	ds_store_2addr_b64 v236, v[60:61], v[62:63] offset0:22 offset1:23
	;; [unrolled: 1-line block ×17, first 2 shown]
	ds_load_2addr_b64 v[144:147], v233 offset1:1
	s_waitcnt lgkmcnt(0)
	v_cmp_neq_f64_e32 vcc_lo, 0, v[144:145]
	v_cmp_neq_f64_e64 s3, 0, v[146:147]
	s_delay_alu instid0(VALU_DEP_1) | instskip(NEXT) | instid1(SALU_CYCLE_1)
	s_or_b32 s3, vcc_lo, s3
	s_and_b32 exec_lo, exec_lo, s3
	s_cbranch_execz .LBB53_89
; %bb.84:
	v_cmp_gt_f64_e32 vcc_lo, 0, v[144:145]
	v_cmp_gt_f64_e64 s3, 0, v[146:147]
	v_xor_b32_e32 v108, 0x80000000, v145
	v_xor_b32_e32 v110, 0x80000000, v147
	s_delay_alu instid0(VALU_DEP_2) | instskip(NEXT) | instid1(VALU_DEP_2)
	v_cndmask_b32_e32 v109, v145, v108, vcc_lo
	v_cndmask_b32_e64 v111, v147, v110, s3
	v_cndmask_b32_e32 v108, v144, v144, vcc_lo
	v_cndmask_b32_e64 v110, v146, v146, s3
	s_delay_alu instid0(VALU_DEP_1) | instskip(SKIP_1) | instid1(SALU_CYCLE_1)
	v_cmp_ngt_f64_e32 vcc_lo, v[108:109], v[110:111]
                                        ; implicit-def: $vgpr108_vgpr109
	s_and_saveexec_b32 s3, vcc_lo
	s_xor_b32 s3, exec_lo, s3
                                        ; implicit-def: $vgpr148_vgpr149_vgpr150_vgpr151
	s_cbranch_execz .LBB53_86
; %bb.85:
	v_div_scale_f64 v[108:109], null, v[146:147], v[146:147], v[144:145]
	v_div_scale_f64 v[150:151], vcc_lo, v[144:145], v[146:147], v[144:145]
	s_delay_alu instid0(VALU_DEP_2) | instskip(SKIP_2) | instid1(VALU_DEP_1)
	v_rcp_f64_e32 v[110:111], v[108:109]
	s_waitcnt_depctr 0xfff
	v_fma_f64 v[148:149], -v[108:109], v[110:111], 1.0
	v_fma_f64 v[110:111], v[110:111], v[148:149], v[110:111]
	s_delay_alu instid0(VALU_DEP_1) | instskip(NEXT) | instid1(VALU_DEP_1)
	v_fma_f64 v[148:149], -v[108:109], v[110:111], 1.0
	v_fma_f64 v[110:111], v[110:111], v[148:149], v[110:111]
	s_delay_alu instid0(VALU_DEP_1) | instskip(NEXT) | instid1(VALU_DEP_1)
	v_mul_f64 v[148:149], v[150:151], v[110:111]
	v_fma_f64 v[108:109], -v[108:109], v[148:149], v[150:151]
	s_delay_alu instid0(VALU_DEP_1) | instskip(NEXT) | instid1(VALU_DEP_1)
	v_div_fmas_f64 v[108:109], v[108:109], v[110:111], v[148:149]
	v_div_fixup_f64 v[108:109], v[108:109], v[146:147], v[144:145]
	s_delay_alu instid0(VALU_DEP_1) | instskip(NEXT) | instid1(VALU_DEP_1)
	v_fma_f64 v[110:111], v[144:145], v[108:109], v[146:147]
	v_div_scale_f64 v[144:145], null, v[110:111], v[110:111], 1.0
	s_delay_alu instid0(VALU_DEP_1) | instskip(SKIP_2) | instid1(VALU_DEP_1)
	v_rcp_f64_e32 v[146:147], v[144:145]
	s_waitcnt_depctr 0xfff
	v_fma_f64 v[148:149], -v[144:145], v[146:147], 1.0
	v_fma_f64 v[146:147], v[146:147], v[148:149], v[146:147]
	s_delay_alu instid0(VALU_DEP_1) | instskip(NEXT) | instid1(VALU_DEP_1)
	v_fma_f64 v[148:149], -v[144:145], v[146:147], 1.0
	v_fma_f64 v[146:147], v[146:147], v[148:149], v[146:147]
	v_div_scale_f64 v[148:149], vcc_lo, 1.0, v[110:111], 1.0
	s_delay_alu instid0(VALU_DEP_1) | instskip(NEXT) | instid1(VALU_DEP_1)
	v_mul_f64 v[150:151], v[148:149], v[146:147]
	v_fma_f64 v[144:145], -v[144:145], v[150:151], v[148:149]
	s_delay_alu instid0(VALU_DEP_1) | instskip(NEXT) | instid1(VALU_DEP_1)
	v_div_fmas_f64 v[144:145], v[144:145], v[146:147], v[150:151]
	v_div_fixup_f64 v[150:151], v[144:145], v[110:111], 1.0
                                        ; implicit-def: $vgpr144_vgpr145
	s_delay_alu instid0(VALU_DEP_1)
	v_mul_f64 v[108:109], v[108:109], v[150:151]
	v_xor_b32_e32 v151, 0x80000000, v151
.LBB53_86:
	s_and_not1_saveexec_b32 s3, s3
	s_cbranch_execz .LBB53_88
; %bb.87:
	v_div_scale_f64 v[108:109], null, v[144:145], v[144:145], v[146:147]
	v_div_scale_f64 v[150:151], vcc_lo, v[146:147], v[144:145], v[146:147]
	s_delay_alu instid0(VALU_DEP_2) | instskip(SKIP_2) | instid1(VALU_DEP_1)
	v_rcp_f64_e32 v[110:111], v[108:109]
	s_waitcnt_depctr 0xfff
	v_fma_f64 v[148:149], -v[108:109], v[110:111], 1.0
	v_fma_f64 v[110:111], v[110:111], v[148:149], v[110:111]
	s_delay_alu instid0(VALU_DEP_1) | instskip(NEXT) | instid1(VALU_DEP_1)
	v_fma_f64 v[148:149], -v[108:109], v[110:111], 1.0
	v_fma_f64 v[110:111], v[110:111], v[148:149], v[110:111]
	s_delay_alu instid0(VALU_DEP_1) | instskip(NEXT) | instid1(VALU_DEP_1)
	v_mul_f64 v[148:149], v[150:151], v[110:111]
	v_fma_f64 v[108:109], -v[108:109], v[148:149], v[150:151]
	s_delay_alu instid0(VALU_DEP_1) | instskip(NEXT) | instid1(VALU_DEP_1)
	v_div_fmas_f64 v[108:109], v[108:109], v[110:111], v[148:149]
	v_div_fixup_f64 v[110:111], v[108:109], v[144:145], v[146:147]
	s_delay_alu instid0(VALU_DEP_1) | instskip(NEXT) | instid1(VALU_DEP_1)
	v_fma_f64 v[108:109], v[146:147], v[110:111], v[144:145]
	v_div_scale_f64 v[144:145], null, v[108:109], v[108:109], 1.0
	s_delay_alu instid0(VALU_DEP_1) | instskip(SKIP_2) | instid1(VALU_DEP_1)
	v_rcp_f64_e32 v[146:147], v[144:145]
	s_waitcnt_depctr 0xfff
	v_fma_f64 v[148:149], -v[144:145], v[146:147], 1.0
	v_fma_f64 v[146:147], v[146:147], v[148:149], v[146:147]
	s_delay_alu instid0(VALU_DEP_1) | instskip(NEXT) | instid1(VALU_DEP_1)
	v_fma_f64 v[148:149], -v[144:145], v[146:147], 1.0
	v_fma_f64 v[146:147], v[146:147], v[148:149], v[146:147]
	v_div_scale_f64 v[148:149], vcc_lo, 1.0, v[108:109], 1.0
	s_delay_alu instid0(VALU_DEP_1) | instskip(NEXT) | instid1(VALU_DEP_1)
	v_mul_f64 v[150:151], v[148:149], v[146:147]
	v_fma_f64 v[144:145], -v[144:145], v[150:151], v[148:149]
	s_delay_alu instid0(VALU_DEP_1) | instskip(NEXT) | instid1(VALU_DEP_1)
	v_div_fmas_f64 v[144:145], v[144:145], v[146:147], v[150:151]
	v_div_fixup_f64 v[108:109], v[144:145], v[108:109], 1.0
	s_delay_alu instid0(VALU_DEP_1)
	v_mul_f64 v[150:151], v[110:111], -v[108:109]
.LBB53_88:
	s_or_b32 exec_lo, exec_lo, s3
	ds_store_2addr_b64 v233, v[108:109], v[150:151] offset1:1
.LBB53_89:
	s_or_b32 exec_lo, exec_lo, s4
	s_waitcnt lgkmcnt(0)
	s_barrier
	buffer_gl0_inv
	ds_load_2addr_b64 v[144:147], v233 offset1:1
	s_mov_b32 s3, exec_lo
	v_cmpx_lt_u32_e32 9, v232
	s_cbranch_execz .LBB53_91
; %bb.90:
	s_waitcnt lgkmcnt(0)
	v_mul_f64 v[108:109], v[146:147], v[70:71]
	v_mul_f64 v[70:71], v[144:145], v[70:71]
	s_delay_alu instid0(VALU_DEP_2) | instskip(NEXT) | instid1(VALU_DEP_2)
	v_fma_f64 v[148:149], v[144:145], v[68:69], -v[108:109]
	v_fma_f64 v[70:71], v[146:147], v[68:69], v[70:71]
	ds_load_2addr_b64 v[108:111], v236 offset0:20 offset1:21
	ds_load_2addr_b64 v[150:153], v236 offset0:22 offset1:23
	s_waitcnt lgkmcnt(1)
	v_mul_f64 v[68:69], v[110:111], v[70:71]
	s_delay_alu instid0(VALU_DEP_1) | instskip(SKIP_1) | instid1(VALU_DEP_2)
	v_fma_f64 v[68:69], v[108:109], v[148:149], -v[68:69]
	v_mul_f64 v[108:109], v[108:109], v[70:71]
	v_add_f64 v[64:65], v[64:65], -v[68:69]
	s_delay_alu instid0(VALU_DEP_2) | instskip(SKIP_3) | instid1(VALU_DEP_3)
	v_fma_f64 v[154:155], v[110:111], v[148:149], v[108:109]
	s_waitcnt lgkmcnt(0)
	v_mul_f64 v[108:109], v[152:153], v[70:71]
	v_dual_mov_b32 v68, v148 :: v_dual_mov_b32 v69, v149
	v_add_f64 v[66:67], v[66:67], -v[154:155]
	s_delay_alu instid0(VALU_DEP_3) | instskip(SKIP_1) | instid1(VALU_DEP_2)
	v_fma_f64 v[156:157], v[150:151], v[148:149], -v[108:109]
	v_mul_f64 v[108:109], v[150:151], v[70:71]
	v_add_f64 v[60:61], v[60:61], -v[156:157]
	s_delay_alu instid0(VALU_DEP_2)
	v_fma_f64 v[158:159], v[152:153], v[148:149], v[108:109]
	ds_load_2addr_b64 v[108:111], v236 offset0:24 offset1:25
	ds_load_2addr_b64 v[150:153], v236 offset0:26 offset1:27
	s_waitcnt lgkmcnt(1)
	v_mul_f64 v[160:161], v[110:111], v[70:71]
	v_add_f64 v[62:63], v[62:63], -v[158:159]
	s_delay_alu instid0(VALU_DEP_2) | instskip(SKIP_1) | instid1(VALU_DEP_2)
	v_fma_f64 v[160:161], v[108:109], v[148:149], -v[160:161]
	v_mul_f64 v[108:109], v[108:109], v[70:71]
	v_add_f64 v[56:57], v[56:57], -v[160:161]
	s_delay_alu instid0(VALU_DEP_2) | instskip(SKIP_2) | instid1(VALU_DEP_2)
	v_fma_f64 v[162:163], v[110:111], v[148:149], v[108:109]
	s_waitcnt lgkmcnt(0)
	v_mul_f64 v[108:109], v[152:153], v[70:71]
	v_add_f64 v[58:59], v[58:59], -v[162:163]
	s_delay_alu instid0(VALU_DEP_2) | instskip(SKIP_1) | instid1(VALU_DEP_2)
	v_fma_f64 v[164:165], v[150:151], v[148:149], -v[108:109]
	v_mul_f64 v[108:109], v[150:151], v[70:71]
	v_add_f64 v[52:53], v[52:53], -v[164:165]
	s_delay_alu instid0(VALU_DEP_2)
	v_fma_f64 v[166:167], v[152:153], v[148:149], v[108:109]
	ds_load_2addr_b64 v[108:111], v236 offset0:28 offset1:29
	ds_load_2addr_b64 v[150:153], v236 offset0:30 offset1:31
	s_waitcnt lgkmcnt(1)
	v_mul_f64 v[168:169], v[110:111], v[70:71]
	v_add_f64 v[54:55], v[54:55], -v[166:167]
	s_delay_alu instid0(VALU_DEP_2) | instskip(SKIP_1) | instid1(VALU_DEP_2)
	v_fma_f64 v[168:169], v[108:109], v[148:149], -v[168:169]
	v_mul_f64 v[108:109], v[108:109], v[70:71]
	v_add_f64 v[48:49], v[48:49], -v[168:169]
	s_delay_alu instid0(VALU_DEP_2) | instskip(SKIP_2) | instid1(VALU_DEP_2)
	v_fma_f64 v[170:171], v[110:111], v[148:149], v[108:109]
	s_waitcnt lgkmcnt(0)
	v_mul_f64 v[108:109], v[152:153], v[70:71]
	v_add_f64 v[50:51], v[50:51], -v[170:171]
	s_delay_alu instid0(VALU_DEP_2) | instskip(SKIP_1) | instid1(VALU_DEP_2)
	;; [unrolled: 20-line block ×7, first 2 shown]
	v_fma_f64 v[212:213], v[150:151], v[148:149], -v[108:109]
	v_mul_f64 v[108:109], v[150:151], v[70:71]
	v_add_f64 v[4:5], v[4:5], -v[212:213]
	s_delay_alu instid0(VALU_DEP_2) | instskip(SKIP_4) | instid1(VALU_DEP_2)
	v_fma_f64 v[150:151], v[152:153], v[148:149], v[108:109]
	ds_load_2addr_b64 v[108:111], v236 offset0:52 offset1:53
	s_waitcnt lgkmcnt(0)
	v_mul_f64 v[152:153], v[110:111], v[70:71]
	v_add_f64 v[6:7], v[6:7], -v[150:151]
	v_fma_f64 v[152:153], v[108:109], v[148:149], -v[152:153]
	v_mul_f64 v[108:109], v[108:109], v[70:71]
	s_delay_alu instid0(VALU_DEP_2) | instskip(NEXT) | instid1(VALU_DEP_2)
	v_add_f64 v[0:1], v[0:1], -v[152:153]
	v_fma_f64 v[108:109], v[110:111], v[148:149], v[108:109]
	s_delay_alu instid0(VALU_DEP_1)
	v_add_f64 v[2:3], v[2:3], -v[108:109]
.LBB53_91:
	s_or_b32 exec_lo, exec_lo, s3
	s_delay_alu instid0(SALU_CYCLE_1)
	s_mov_b32 s4, exec_lo
	s_waitcnt lgkmcnt(0)
	s_barrier
	buffer_gl0_inv
	v_cmpx_eq_u32_e32 10, v232
	s_cbranch_execz .LBB53_98
; %bb.92:
	ds_store_2addr_b64 v233, v[64:65], v[66:67] offset1:1
	ds_store_2addr_b64 v236, v[60:61], v[62:63] offset0:22 offset1:23
	ds_store_2addr_b64 v236, v[56:57], v[58:59] offset0:24 offset1:25
	;; [unrolled: 1-line block ×16, first 2 shown]
	ds_load_2addr_b64 v[148:151], v233 offset1:1
	s_waitcnt lgkmcnt(0)
	v_cmp_neq_f64_e32 vcc_lo, 0, v[148:149]
	v_cmp_neq_f64_e64 s3, 0, v[150:151]
	s_delay_alu instid0(VALU_DEP_1) | instskip(NEXT) | instid1(SALU_CYCLE_1)
	s_or_b32 s3, vcc_lo, s3
	s_and_b32 exec_lo, exec_lo, s3
	s_cbranch_execz .LBB53_98
; %bb.93:
	v_cmp_gt_f64_e32 vcc_lo, 0, v[148:149]
	v_cmp_gt_f64_e64 s3, 0, v[150:151]
	v_xor_b32_e32 v108, 0x80000000, v149
	v_xor_b32_e32 v110, 0x80000000, v151
	s_delay_alu instid0(VALU_DEP_2) | instskip(NEXT) | instid1(VALU_DEP_2)
	v_cndmask_b32_e32 v109, v149, v108, vcc_lo
	v_cndmask_b32_e64 v111, v151, v110, s3
	v_cndmask_b32_e32 v108, v148, v148, vcc_lo
	v_cndmask_b32_e64 v110, v150, v150, s3
	s_delay_alu instid0(VALU_DEP_1) | instskip(SKIP_1) | instid1(SALU_CYCLE_1)
	v_cmp_ngt_f64_e32 vcc_lo, v[108:109], v[110:111]
                                        ; implicit-def: $vgpr108_vgpr109
	s_and_saveexec_b32 s3, vcc_lo
	s_xor_b32 s3, exec_lo, s3
                                        ; implicit-def: $vgpr152_vgpr153_vgpr154_vgpr155
	s_cbranch_execz .LBB53_95
; %bb.94:
	v_div_scale_f64 v[108:109], null, v[150:151], v[150:151], v[148:149]
	v_div_scale_f64 v[154:155], vcc_lo, v[148:149], v[150:151], v[148:149]
	s_delay_alu instid0(VALU_DEP_2) | instskip(SKIP_2) | instid1(VALU_DEP_1)
	v_rcp_f64_e32 v[110:111], v[108:109]
	s_waitcnt_depctr 0xfff
	v_fma_f64 v[152:153], -v[108:109], v[110:111], 1.0
	v_fma_f64 v[110:111], v[110:111], v[152:153], v[110:111]
	s_delay_alu instid0(VALU_DEP_1) | instskip(NEXT) | instid1(VALU_DEP_1)
	v_fma_f64 v[152:153], -v[108:109], v[110:111], 1.0
	v_fma_f64 v[110:111], v[110:111], v[152:153], v[110:111]
	s_delay_alu instid0(VALU_DEP_1) | instskip(NEXT) | instid1(VALU_DEP_1)
	v_mul_f64 v[152:153], v[154:155], v[110:111]
	v_fma_f64 v[108:109], -v[108:109], v[152:153], v[154:155]
	s_delay_alu instid0(VALU_DEP_1) | instskip(NEXT) | instid1(VALU_DEP_1)
	v_div_fmas_f64 v[108:109], v[108:109], v[110:111], v[152:153]
	v_div_fixup_f64 v[108:109], v[108:109], v[150:151], v[148:149]
	s_delay_alu instid0(VALU_DEP_1) | instskip(NEXT) | instid1(VALU_DEP_1)
	v_fma_f64 v[110:111], v[148:149], v[108:109], v[150:151]
	v_div_scale_f64 v[148:149], null, v[110:111], v[110:111], 1.0
	s_delay_alu instid0(VALU_DEP_1) | instskip(SKIP_2) | instid1(VALU_DEP_1)
	v_rcp_f64_e32 v[150:151], v[148:149]
	s_waitcnt_depctr 0xfff
	v_fma_f64 v[152:153], -v[148:149], v[150:151], 1.0
	v_fma_f64 v[150:151], v[150:151], v[152:153], v[150:151]
	s_delay_alu instid0(VALU_DEP_1) | instskip(NEXT) | instid1(VALU_DEP_1)
	v_fma_f64 v[152:153], -v[148:149], v[150:151], 1.0
	v_fma_f64 v[150:151], v[150:151], v[152:153], v[150:151]
	v_div_scale_f64 v[152:153], vcc_lo, 1.0, v[110:111], 1.0
	s_delay_alu instid0(VALU_DEP_1) | instskip(NEXT) | instid1(VALU_DEP_1)
	v_mul_f64 v[154:155], v[152:153], v[150:151]
	v_fma_f64 v[148:149], -v[148:149], v[154:155], v[152:153]
	s_delay_alu instid0(VALU_DEP_1) | instskip(NEXT) | instid1(VALU_DEP_1)
	v_div_fmas_f64 v[148:149], v[148:149], v[150:151], v[154:155]
	v_div_fixup_f64 v[154:155], v[148:149], v[110:111], 1.0
                                        ; implicit-def: $vgpr148_vgpr149
	s_delay_alu instid0(VALU_DEP_1)
	v_mul_f64 v[108:109], v[108:109], v[154:155]
	v_xor_b32_e32 v155, 0x80000000, v155
.LBB53_95:
	s_and_not1_saveexec_b32 s3, s3
	s_cbranch_execz .LBB53_97
; %bb.96:
	v_div_scale_f64 v[108:109], null, v[148:149], v[148:149], v[150:151]
	v_div_scale_f64 v[154:155], vcc_lo, v[150:151], v[148:149], v[150:151]
	s_delay_alu instid0(VALU_DEP_2) | instskip(SKIP_2) | instid1(VALU_DEP_1)
	v_rcp_f64_e32 v[110:111], v[108:109]
	s_waitcnt_depctr 0xfff
	v_fma_f64 v[152:153], -v[108:109], v[110:111], 1.0
	v_fma_f64 v[110:111], v[110:111], v[152:153], v[110:111]
	s_delay_alu instid0(VALU_DEP_1) | instskip(NEXT) | instid1(VALU_DEP_1)
	v_fma_f64 v[152:153], -v[108:109], v[110:111], 1.0
	v_fma_f64 v[110:111], v[110:111], v[152:153], v[110:111]
	s_delay_alu instid0(VALU_DEP_1) | instskip(NEXT) | instid1(VALU_DEP_1)
	v_mul_f64 v[152:153], v[154:155], v[110:111]
	v_fma_f64 v[108:109], -v[108:109], v[152:153], v[154:155]
	s_delay_alu instid0(VALU_DEP_1) | instskip(NEXT) | instid1(VALU_DEP_1)
	v_div_fmas_f64 v[108:109], v[108:109], v[110:111], v[152:153]
	v_div_fixup_f64 v[110:111], v[108:109], v[148:149], v[150:151]
	s_delay_alu instid0(VALU_DEP_1) | instskip(NEXT) | instid1(VALU_DEP_1)
	v_fma_f64 v[108:109], v[150:151], v[110:111], v[148:149]
	v_div_scale_f64 v[148:149], null, v[108:109], v[108:109], 1.0
	s_delay_alu instid0(VALU_DEP_1) | instskip(SKIP_2) | instid1(VALU_DEP_1)
	v_rcp_f64_e32 v[150:151], v[148:149]
	s_waitcnt_depctr 0xfff
	v_fma_f64 v[152:153], -v[148:149], v[150:151], 1.0
	v_fma_f64 v[150:151], v[150:151], v[152:153], v[150:151]
	s_delay_alu instid0(VALU_DEP_1) | instskip(NEXT) | instid1(VALU_DEP_1)
	v_fma_f64 v[152:153], -v[148:149], v[150:151], 1.0
	v_fma_f64 v[150:151], v[150:151], v[152:153], v[150:151]
	v_div_scale_f64 v[152:153], vcc_lo, 1.0, v[108:109], 1.0
	s_delay_alu instid0(VALU_DEP_1) | instskip(NEXT) | instid1(VALU_DEP_1)
	v_mul_f64 v[154:155], v[152:153], v[150:151]
	v_fma_f64 v[148:149], -v[148:149], v[154:155], v[152:153]
	s_delay_alu instid0(VALU_DEP_1) | instskip(NEXT) | instid1(VALU_DEP_1)
	v_div_fmas_f64 v[148:149], v[148:149], v[150:151], v[154:155]
	v_div_fixup_f64 v[108:109], v[148:149], v[108:109], 1.0
	s_delay_alu instid0(VALU_DEP_1)
	v_mul_f64 v[154:155], v[110:111], -v[108:109]
.LBB53_97:
	s_or_b32 exec_lo, exec_lo, s3
	ds_store_2addr_b64 v233, v[108:109], v[154:155] offset1:1
.LBB53_98:
	s_or_b32 exec_lo, exec_lo, s4
	s_waitcnt lgkmcnt(0)
	s_barrier
	buffer_gl0_inv
	ds_load_2addr_b64 v[148:151], v233 offset1:1
	s_mov_b32 s3, exec_lo
	v_cmpx_lt_u32_e32 10, v232
	s_cbranch_execz .LBB53_100
; %bb.99:
	s_waitcnt lgkmcnt(0)
	v_mul_f64 v[108:109], v[148:149], v[66:67]
	v_mul_f64 v[66:67], v[150:151], v[66:67]
	s_delay_alu instid0(VALU_DEP_2)
	v_fma_f64 v[152:153], v[150:151], v[64:65], v[108:109]
	ds_load_2addr_b64 v[108:111], v236 offset0:22 offset1:23
	ds_load_2addr_b64 v[154:157], v236 offset0:24 offset1:25
	v_fma_f64 v[64:65], v[148:149], v[64:65], -v[66:67]
	s_waitcnt lgkmcnt(1)
	v_mul_f64 v[66:67], v[110:111], v[152:153]
	s_delay_alu instid0(VALU_DEP_1) | instskip(SKIP_1) | instid1(VALU_DEP_2)
	v_fma_f64 v[66:67], v[108:109], v[64:65], -v[66:67]
	v_mul_f64 v[108:109], v[108:109], v[152:153]
	v_add_f64 v[60:61], v[60:61], -v[66:67]
	s_delay_alu instid0(VALU_DEP_2) | instskip(SKIP_3) | instid1(VALU_DEP_3)
	v_fma_f64 v[158:159], v[110:111], v[64:65], v[108:109]
	s_waitcnt lgkmcnt(0)
	v_mul_f64 v[108:109], v[156:157], v[152:153]
	v_dual_mov_b32 v66, v152 :: v_dual_mov_b32 v67, v153
	v_add_f64 v[62:63], v[62:63], -v[158:159]
	s_delay_alu instid0(VALU_DEP_3) | instskip(SKIP_1) | instid1(VALU_DEP_2)
	v_fma_f64 v[160:161], v[154:155], v[64:65], -v[108:109]
	v_mul_f64 v[108:109], v[154:155], v[152:153]
	v_add_f64 v[56:57], v[56:57], -v[160:161]
	s_delay_alu instid0(VALU_DEP_2)
	v_fma_f64 v[162:163], v[156:157], v[64:65], v[108:109]
	ds_load_2addr_b64 v[108:111], v236 offset0:26 offset1:27
	ds_load_2addr_b64 v[154:157], v236 offset0:28 offset1:29
	s_waitcnt lgkmcnt(1)
	v_mul_f64 v[164:165], v[110:111], v[152:153]
	v_add_f64 v[58:59], v[58:59], -v[162:163]
	s_delay_alu instid0(VALU_DEP_2) | instskip(SKIP_1) | instid1(VALU_DEP_2)
	v_fma_f64 v[164:165], v[108:109], v[64:65], -v[164:165]
	v_mul_f64 v[108:109], v[108:109], v[152:153]
	v_add_f64 v[52:53], v[52:53], -v[164:165]
	s_delay_alu instid0(VALU_DEP_2) | instskip(SKIP_2) | instid1(VALU_DEP_2)
	v_fma_f64 v[166:167], v[110:111], v[64:65], v[108:109]
	s_waitcnt lgkmcnt(0)
	v_mul_f64 v[108:109], v[156:157], v[152:153]
	v_add_f64 v[54:55], v[54:55], -v[166:167]
	s_delay_alu instid0(VALU_DEP_2) | instskip(SKIP_1) | instid1(VALU_DEP_2)
	v_fma_f64 v[168:169], v[154:155], v[64:65], -v[108:109]
	v_mul_f64 v[108:109], v[154:155], v[152:153]
	v_add_f64 v[48:49], v[48:49], -v[168:169]
	s_delay_alu instid0(VALU_DEP_2)
	v_fma_f64 v[170:171], v[156:157], v[64:65], v[108:109]
	ds_load_2addr_b64 v[108:111], v236 offset0:30 offset1:31
	ds_load_2addr_b64 v[154:157], v236 offset0:32 offset1:33
	s_waitcnt lgkmcnt(1)
	v_mul_f64 v[172:173], v[110:111], v[152:153]
	v_add_f64 v[50:51], v[50:51], -v[170:171]
	s_delay_alu instid0(VALU_DEP_2) | instskip(SKIP_1) | instid1(VALU_DEP_2)
	v_fma_f64 v[172:173], v[108:109], v[64:65], -v[172:173]
	v_mul_f64 v[108:109], v[108:109], v[152:153]
	v_add_f64 v[44:45], v[44:45], -v[172:173]
	s_delay_alu instid0(VALU_DEP_2) | instskip(SKIP_2) | instid1(VALU_DEP_2)
	v_fma_f64 v[174:175], v[110:111], v[64:65], v[108:109]
	s_waitcnt lgkmcnt(0)
	v_mul_f64 v[108:109], v[156:157], v[152:153]
	v_add_f64 v[46:47], v[46:47], -v[174:175]
	s_delay_alu instid0(VALU_DEP_2) | instskip(SKIP_1) | instid1(VALU_DEP_2)
	;; [unrolled: 20-line block ×7, first 2 shown]
	v_fma_f64 v[110:111], v[154:155], v[64:65], -v[110:111]
	v_mul_f64 v[154:155], v[154:155], v[152:153]
	v_add_f64 v[0:1], v[0:1], -v[110:111]
	s_delay_alu instid0(VALU_DEP_2) | instskip(NEXT) | instid1(VALU_DEP_1)
	v_fma_f64 v[154:155], v[156:157], v[64:65], v[154:155]
	v_add_f64 v[2:3], v[2:3], -v[154:155]
.LBB53_100:
	s_or_b32 exec_lo, exec_lo, s3
	s_delay_alu instid0(SALU_CYCLE_1)
	s_mov_b32 s4, exec_lo
	s_waitcnt lgkmcnt(0)
	s_barrier
	buffer_gl0_inv
	v_cmpx_eq_u32_e32 11, v232
	s_cbranch_execz .LBB53_107
; %bb.101:
	ds_store_2addr_b64 v233, v[60:61], v[62:63] offset1:1
	ds_store_2addr_b64 v236, v[56:57], v[58:59] offset0:24 offset1:25
	ds_store_2addr_b64 v236, v[52:53], v[54:55] offset0:26 offset1:27
	;; [unrolled: 1-line block ×15, first 2 shown]
	ds_load_2addr_b64 v[152:155], v233 offset1:1
	s_waitcnt lgkmcnt(0)
	v_cmp_neq_f64_e32 vcc_lo, 0, v[152:153]
	v_cmp_neq_f64_e64 s3, 0, v[154:155]
	s_delay_alu instid0(VALU_DEP_1) | instskip(NEXT) | instid1(SALU_CYCLE_1)
	s_or_b32 s3, vcc_lo, s3
	s_and_b32 exec_lo, exec_lo, s3
	s_cbranch_execz .LBB53_107
; %bb.102:
	v_cmp_gt_f64_e32 vcc_lo, 0, v[152:153]
	v_cmp_gt_f64_e64 s3, 0, v[154:155]
	v_xor_b32_e32 v108, 0x80000000, v153
	v_xor_b32_e32 v110, 0x80000000, v155
	s_delay_alu instid0(VALU_DEP_2) | instskip(NEXT) | instid1(VALU_DEP_2)
	v_cndmask_b32_e32 v109, v153, v108, vcc_lo
	v_cndmask_b32_e64 v111, v155, v110, s3
	v_cndmask_b32_e32 v108, v152, v152, vcc_lo
	v_cndmask_b32_e64 v110, v154, v154, s3
	s_delay_alu instid0(VALU_DEP_1) | instskip(SKIP_1) | instid1(SALU_CYCLE_1)
	v_cmp_ngt_f64_e32 vcc_lo, v[108:109], v[110:111]
                                        ; implicit-def: $vgpr108_vgpr109
	s_and_saveexec_b32 s3, vcc_lo
	s_xor_b32 s3, exec_lo, s3
                                        ; implicit-def: $vgpr156_vgpr157_vgpr158_vgpr159
	s_cbranch_execz .LBB53_104
; %bb.103:
	v_div_scale_f64 v[108:109], null, v[154:155], v[154:155], v[152:153]
	v_div_scale_f64 v[158:159], vcc_lo, v[152:153], v[154:155], v[152:153]
	s_delay_alu instid0(VALU_DEP_2) | instskip(SKIP_2) | instid1(VALU_DEP_1)
	v_rcp_f64_e32 v[110:111], v[108:109]
	s_waitcnt_depctr 0xfff
	v_fma_f64 v[156:157], -v[108:109], v[110:111], 1.0
	v_fma_f64 v[110:111], v[110:111], v[156:157], v[110:111]
	s_delay_alu instid0(VALU_DEP_1) | instskip(NEXT) | instid1(VALU_DEP_1)
	v_fma_f64 v[156:157], -v[108:109], v[110:111], 1.0
	v_fma_f64 v[110:111], v[110:111], v[156:157], v[110:111]
	s_delay_alu instid0(VALU_DEP_1) | instskip(NEXT) | instid1(VALU_DEP_1)
	v_mul_f64 v[156:157], v[158:159], v[110:111]
	v_fma_f64 v[108:109], -v[108:109], v[156:157], v[158:159]
	s_delay_alu instid0(VALU_DEP_1) | instskip(NEXT) | instid1(VALU_DEP_1)
	v_div_fmas_f64 v[108:109], v[108:109], v[110:111], v[156:157]
	v_div_fixup_f64 v[108:109], v[108:109], v[154:155], v[152:153]
	s_delay_alu instid0(VALU_DEP_1) | instskip(NEXT) | instid1(VALU_DEP_1)
	v_fma_f64 v[110:111], v[152:153], v[108:109], v[154:155]
	v_div_scale_f64 v[152:153], null, v[110:111], v[110:111], 1.0
	s_delay_alu instid0(VALU_DEP_1) | instskip(SKIP_2) | instid1(VALU_DEP_1)
	v_rcp_f64_e32 v[154:155], v[152:153]
	s_waitcnt_depctr 0xfff
	v_fma_f64 v[156:157], -v[152:153], v[154:155], 1.0
	v_fma_f64 v[154:155], v[154:155], v[156:157], v[154:155]
	s_delay_alu instid0(VALU_DEP_1) | instskip(NEXT) | instid1(VALU_DEP_1)
	v_fma_f64 v[156:157], -v[152:153], v[154:155], 1.0
	v_fma_f64 v[154:155], v[154:155], v[156:157], v[154:155]
	v_div_scale_f64 v[156:157], vcc_lo, 1.0, v[110:111], 1.0
	s_delay_alu instid0(VALU_DEP_1) | instskip(NEXT) | instid1(VALU_DEP_1)
	v_mul_f64 v[158:159], v[156:157], v[154:155]
	v_fma_f64 v[152:153], -v[152:153], v[158:159], v[156:157]
	s_delay_alu instid0(VALU_DEP_1) | instskip(NEXT) | instid1(VALU_DEP_1)
	v_div_fmas_f64 v[152:153], v[152:153], v[154:155], v[158:159]
	v_div_fixup_f64 v[158:159], v[152:153], v[110:111], 1.0
                                        ; implicit-def: $vgpr152_vgpr153
	s_delay_alu instid0(VALU_DEP_1)
	v_mul_f64 v[108:109], v[108:109], v[158:159]
	v_xor_b32_e32 v159, 0x80000000, v159
.LBB53_104:
	s_and_not1_saveexec_b32 s3, s3
	s_cbranch_execz .LBB53_106
; %bb.105:
	v_div_scale_f64 v[108:109], null, v[152:153], v[152:153], v[154:155]
	v_div_scale_f64 v[158:159], vcc_lo, v[154:155], v[152:153], v[154:155]
	s_delay_alu instid0(VALU_DEP_2) | instskip(SKIP_2) | instid1(VALU_DEP_1)
	v_rcp_f64_e32 v[110:111], v[108:109]
	s_waitcnt_depctr 0xfff
	v_fma_f64 v[156:157], -v[108:109], v[110:111], 1.0
	v_fma_f64 v[110:111], v[110:111], v[156:157], v[110:111]
	s_delay_alu instid0(VALU_DEP_1) | instskip(NEXT) | instid1(VALU_DEP_1)
	v_fma_f64 v[156:157], -v[108:109], v[110:111], 1.0
	v_fma_f64 v[110:111], v[110:111], v[156:157], v[110:111]
	s_delay_alu instid0(VALU_DEP_1) | instskip(NEXT) | instid1(VALU_DEP_1)
	v_mul_f64 v[156:157], v[158:159], v[110:111]
	v_fma_f64 v[108:109], -v[108:109], v[156:157], v[158:159]
	s_delay_alu instid0(VALU_DEP_1) | instskip(NEXT) | instid1(VALU_DEP_1)
	v_div_fmas_f64 v[108:109], v[108:109], v[110:111], v[156:157]
	v_div_fixup_f64 v[110:111], v[108:109], v[152:153], v[154:155]
	s_delay_alu instid0(VALU_DEP_1) | instskip(NEXT) | instid1(VALU_DEP_1)
	v_fma_f64 v[108:109], v[154:155], v[110:111], v[152:153]
	v_div_scale_f64 v[152:153], null, v[108:109], v[108:109], 1.0
	s_delay_alu instid0(VALU_DEP_1) | instskip(SKIP_2) | instid1(VALU_DEP_1)
	v_rcp_f64_e32 v[154:155], v[152:153]
	s_waitcnt_depctr 0xfff
	v_fma_f64 v[156:157], -v[152:153], v[154:155], 1.0
	v_fma_f64 v[154:155], v[154:155], v[156:157], v[154:155]
	s_delay_alu instid0(VALU_DEP_1) | instskip(NEXT) | instid1(VALU_DEP_1)
	v_fma_f64 v[156:157], -v[152:153], v[154:155], 1.0
	v_fma_f64 v[154:155], v[154:155], v[156:157], v[154:155]
	v_div_scale_f64 v[156:157], vcc_lo, 1.0, v[108:109], 1.0
	s_delay_alu instid0(VALU_DEP_1) | instskip(NEXT) | instid1(VALU_DEP_1)
	v_mul_f64 v[158:159], v[156:157], v[154:155]
	v_fma_f64 v[152:153], -v[152:153], v[158:159], v[156:157]
	s_delay_alu instid0(VALU_DEP_1) | instskip(NEXT) | instid1(VALU_DEP_1)
	v_div_fmas_f64 v[152:153], v[152:153], v[154:155], v[158:159]
	v_div_fixup_f64 v[108:109], v[152:153], v[108:109], 1.0
	s_delay_alu instid0(VALU_DEP_1)
	v_mul_f64 v[158:159], v[110:111], -v[108:109]
.LBB53_106:
	s_or_b32 exec_lo, exec_lo, s3
	ds_store_2addr_b64 v233, v[108:109], v[158:159] offset1:1
.LBB53_107:
	s_or_b32 exec_lo, exec_lo, s4
	s_waitcnt lgkmcnt(0)
	s_barrier
	buffer_gl0_inv
	ds_load_2addr_b64 v[152:155], v233 offset1:1
	s_mov_b32 s3, exec_lo
	v_cmpx_lt_u32_e32 11, v232
	s_cbranch_execz .LBB53_109
; %bb.108:
	s_waitcnt lgkmcnt(0)
	v_mul_f64 v[108:109], v[152:153], v[62:63]
	v_mul_f64 v[62:63], v[154:155], v[62:63]
	s_delay_alu instid0(VALU_DEP_2)
	v_fma_f64 v[160:161], v[154:155], v[60:61], v[108:109]
	ds_load_2addr_b64 v[108:111], v236 offset0:24 offset1:25
	ds_load_2addr_b64 v[156:159], v236 offset0:26 offset1:27
	v_fma_f64 v[60:61], v[152:153], v[60:61], -v[62:63]
	s_waitcnt lgkmcnt(1)
	v_mul_f64 v[62:63], v[110:111], v[160:161]
	s_delay_alu instid0(VALU_DEP_1) | instskip(SKIP_1) | instid1(VALU_DEP_2)
	v_fma_f64 v[62:63], v[108:109], v[60:61], -v[62:63]
	v_mul_f64 v[108:109], v[108:109], v[160:161]
	v_add_f64 v[56:57], v[56:57], -v[62:63]
	s_delay_alu instid0(VALU_DEP_2) | instskip(SKIP_3) | instid1(VALU_DEP_3)
	v_fma_f64 v[162:163], v[110:111], v[60:61], v[108:109]
	s_waitcnt lgkmcnt(0)
	v_mul_f64 v[108:109], v[158:159], v[160:161]
	v_dual_mov_b32 v62, v160 :: v_dual_mov_b32 v63, v161
	v_add_f64 v[58:59], v[58:59], -v[162:163]
	s_delay_alu instid0(VALU_DEP_3) | instskip(SKIP_1) | instid1(VALU_DEP_2)
	v_fma_f64 v[164:165], v[156:157], v[60:61], -v[108:109]
	v_mul_f64 v[108:109], v[156:157], v[160:161]
	v_add_f64 v[52:53], v[52:53], -v[164:165]
	s_delay_alu instid0(VALU_DEP_2)
	v_fma_f64 v[166:167], v[158:159], v[60:61], v[108:109]
	ds_load_2addr_b64 v[108:111], v236 offset0:28 offset1:29
	ds_load_2addr_b64 v[156:159], v236 offset0:30 offset1:31
	s_waitcnt lgkmcnt(1)
	v_mul_f64 v[168:169], v[110:111], v[160:161]
	v_add_f64 v[54:55], v[54:55], -v[166:167]
	s_delay_alu instid0(VALU_DEP_2) | instskip(SKIP_1) | instid1(VALU_DEP_2)
	v_fma_f64 v[168:169], v[108:109], v[60:61], -v[168:169]
	v_mul_f64 v[108:109], v[108:109], v[160:161]
	v_add_f64 v[48:49], v[48:49], -v[168:169]
	s_delay_alu instid0(VALU_DEP_2) | instskip(SKIP_2) | instid1(VALU_DEP_2)
	v_fma_f64 v[170:171], v[110:111], v[60:61], v[108:109]
	s_waitcnt lgkmcnt(0)
	v_mul_f64 v[108:109], v[158:159], v[160:161]
	v_add_f64 v[50:51], v[50:51], -v[170:171]
	s_delay_alu instid0(VALU_DEP_2) | instskip(SKIP_1) | instid1(VALU_DEP_2)
	v_fma_f64 v[172:173], v[156:157], v[60:61], -v[108:109]
	v_mul_f64 v[108:109], v[156:157], v[160:161]
	v_add_f64 v[44:45], v[44:45], -v[172:173]
	s_delay_alu instid0(VALU_DEP_2)
	v_fma_f64 v[174:175], v[158:159], v[60:61], v[108:109]
	ds_load_2addr_b64 v[108:111], v236 offset0:32 offset1:33
	ds_load_2addr_b64 v[156:159], v236 offset0:34 offset1:35
	s_waitcnt lgkmcnt(1)
	v_mul_f64 v[176:177], v[110:111], v[160:161]
	v_add_f64 v[46:47], v[46:47], -v[174:175]
	s_delay_alu instid0(VALU_DEP_2) | instskip(SKIP_1) | instid1(VALU_DEP_2)
	v_fma_f64 v[176:177], v[108:109], v[60:61], -v[176:177]
	v_mul_f64 v[108:109], v[108:109], v[160:161]
	v_add_f64 v[40:41], v[40:41], -v[176:177]
	s_delay_alu instid0(VALU_DEP_2) | instskip(SKIP_2) | instid1(VALU_DEP_2)
	v_fma_f64 v[178:179], v[110:111], v[60:61], v[108:109]
	s_waitcnt lgkmcnt(0)
	v_mul_f64 v[108:109], v[158:159], v[160:161]
	v_add_f64 v[42:43], v[42:43], -v[178:179]
	s_delay_alu instid0(VALU_DEP_2) | instskip(SKIP_1) | instid1(VALU_DEP_2)
	;; [unrolled: 20-line block ×6, first 2 shown]
	v_fma_f64 v[212:213], v[156:157], v[60:61], -v[108:109]
	v_mul_f64 v[108:109], v[156:157], v[160:161]
	v_add_f64 v[4:5], v[4:5], -v[212:213]
	s_delay_alu instid0(VALU_DEP_2) | instskip(SKIP_4) | instid1(VALU_DEP_2)
	v_fma_f64 v[156:157], v[158:159], v[60:61], v[108:109]
	ds_load_2addr_b64 v[108:111], v236 offset0:52 offset1:53
	s_waitcnt lgkmcnt(0)
	v_mul_f64 v[158:159], v[110:111], v[160:161]
	v_add_f64 v[6:7], v[6:7], -v[156:157]
	v_fma_f64 v[158:159], v[108:109], v[60:61], -v[158:159]
	v_mul_f64 v[108:109], v[108:109], v[160:161]
	s_delay_alu instid0(VALU_DEP_2) | instskip(NEXT) | instid1(VALU_DEP_2)
	v_add_f64 v[0:1], v[0:1], -v[158:159]
	v_fma_f64 v[108:109], v[110:111], v[60:61], v[108:109]
	s_delay_alu instid0(VALU_DEP_1)
	v_add_f64 v[2:3], v[2:3], -v[108:109]
.LBB53_109:
	s_or_b32 exec_lo, exec_lo, s3
	s_delay_alu instid0(SALU_CYCLE_1)
	s_mov_b32 s4, exec_lo
	s_waitcnt lgkmcnt(0)
	s_barrier
	buffer_gl0_inv
	v_cmpx_eq_u32_e32 12, v232
	s_cbranch_execz .LBB53_116
; %bb.110:
	ds_store_2addr_b64 v233, v[56:57], v[58:59] offset1:1
	ds_store_2addr_b64 v236, v[52:53], v[54:55] offset0:26 offset1:27
	ds_store_2addr_b64 v236, v[48:49], v[50:51] offset0:28 offset1:29
	;; [unrolled: 1-line block ×14, first 2 shown]
	ds_load_2addr_b64 v[156:159], v233 offset1:1
	s_waitcnt lgkmcnt(0)
	v_cmp_neq_f64_e32 vcc_lo, 0, v[156:157]
	v_cmp_neq_f64_e64 s3, 0, v[158:159]
	s_delay_alu instid0(VALU_DEP_1) | instskip(NEXT) | instid1(SALU_CYCLE_1)
	s_or_b32 s3, vcc_lo, s3
	s_and_b32 exec_lo, exec_lo, s3
	s_cbranch_execz .LBB53_116
; %bb.111:
	v_cmp_gt_f64_e32 vcc_lo, 0, v[156:157]
	v_cmp_gt_f64_e64 s3, 0, v[158:159]
	v_xor_b32_e32 v108, 0x80000000, v157
	v_xor_b32_e32 v110, 0x80000000, v159
	s_delay_alu instid0(VALU_DEP_2) | instskip(NEXT) | instid1(VALU_DEP_2)
	v_cndmask_b32_e32 v109, v157, v108, vcc_lo
	v_cndmask_b32_e64 v111, v159, v110, s3
	v_cndmask_b32_e32 v108, v156, v156, vcc_lo
	v_cndmask_b32_e64 v110, v158, v158, s3
	s_delay_alu instid0(VALU_DEP_1) | instskip(SKIP_1) | instid1(SALU_CYCLE_1)
	v_cmp_ngt_f64_e32 vcc_lo, v[108:109], v[110:111]
                                        ; implicit-def: $vgpr108_vgpr109
	s_and_saveexec_b32 s3, vcc_lo
	s_xor_b32 s3, exec_lo, s3
                                        ; implicit-def: $vgpr160_vgpr161_vgpr162_vgpr163
	s_cbranch_execz .LBB53_113
; %bb.112:
	v_div_scale_f64 v[108:109], null, v[158:159], v[158:159], v[156:157]
	v_div_scale_f64 v[162:163], vcc_lo, v[156:157], v[158:159], v[156:157]
	s_delay_alu instid0(VALU_DEP_2) | instskip(SKIP_2) | instid1(VALU_DEP_1)
	v_rcp_f64_e32 v[110:111], v[108:109]
	s_waitcnt_depctr 0xfff
	v_fma_f64 v[160:161], -v[108:109], v[110:111], 1.0
	v_fma_f64 v[110:111], v[110:111], v[160:161], v[110:111]
	s_delay_alu instid0(VALU_DEP_1) | instskip(NEXT) | instid1(VALU_DEP_1)
	v_fma_f64 v[160:161], -v[108:109], v[110:111], 1.0
	v_fma_f64 v[110:111], v[110:111], v[160:161], v[110:111]
	s_delay_alu instid0(VALU_DEP_1) | instskip(NEXT) | instid1(VALU_DEP_1)
	v_mul_f64 v[160:161], v[162:163], v[110:111]
	v_fma_f64 v[108:109], -v[108:109], v[160:161], v[162:163]
	s_delay_alu instid0(VALU_DEP_1) | instskip(NEXT) | instid1(VALU_DEP_1)
	v_div_fmas_f64 v[108:109], v[108:109], v[110:111], v[160:161]
	v_div_fixup_f64 v[108:109], v[108:109], v[158:159], v[156:157]
	s_delay_alu instid0(VALU_DEP_1) | instskip(NEXT) | instid1(VALU_DEP_1)
	v_fma_f64 v[110:111], v[156:157], v[108:109], v[158:159]
	v_div_scale_f64 v[156:157], null, v[110:111], v[110:111], 1.0
	s_delay_alu instid0(VALU_DEP_1) | instskip(SKIP_2) | instid1(VALU_DEP_1)
	v_rcp_f64_e32 v[158:159], v[156:157]
	s_waitcnt_depctr 0xfff
	v_fma_f64 v[160:161], -v[156:157], v[158:159], 1.0
	v_fma_f64 v[158:159], v[158:159], v[160:161], v[158:159]
	s_delay_alu instid0(VALU_DEP_1) | instskip(NEXT) | instid1(VALU_DEP_1)
	v_fma_f64 v[160:161], -v[156:157], v[158:159], 1.0
	v_fma_f64 v[158:159], v[158:159], v[160:161], v[158:159]
	v_div_scale_f64 v[160:161], vcc_lo, 1.0, v[110:111], 1.0
	s_delay_alu instid0(VALU_DEP_1) | instskip(NEXT) | instid1(VALU_DEP_1)
	v_mul_f64 v[162:163], v[160:161], v[158:159]
	v_fma_f64 v[156:157], -v[156:157], v[162:163], v[160:161]
	s_delay_alu instid0(VALU_DEP_1) | instskip(NEXT) | instid1(VALU_DEP_1)
	v_div_fmas_f64 v[156:157], v[156:157], v[158:159], v[162:163]
	v_div_fixup_f64 v[162:163], v[156:157], v[110:111], 1.0
                                        ; implicit-def: $vgpr156_vgpr157
	s_delay_alu instid0(VALU_DEP_1)
	v_mul_f64 v[108:109], v[108:109], v[162:163]
	v_xor_b32_e32 v163, 0x80000000, v163
.LBB53_113:
	s_and_not1_saveexec_b32 s3, s3
	s_cbranch_execz .LBB53_115
; %bb.114:
	v_div_scale_f64 v[108:109], null, v[156:157], v[156:157], v[158:159]
	v_div_scale_f64 v[162:163], vcc_lo, v[158:159], v[156:157], v[158:159]
	s_delay_alu instid0(VALU_DEP_2) | instskip(SKIP_2) | instid1(VALU_DEP_1)
	v_rcp_f64_e32 v[110:111], v[108:109]
	s_waitcnt_depctr 0xfff
	v_fma_f64 v[160:161], -v[108:109], v[110:111], 1.0
	v_fma_f64 v[110:111], v[110:111], v[160:161], v[110:111]
	s_delay_alu instid0(VALU_DEP_1) | instskip(NEXT) | instid1(VALU_DEP_1)
	v_fma_f64 v[160:161], -v[108:109], v[110:111], 1.0
	v_fma_f64 v[110:111], v[110:111], v[160:161], v[110:111]
	s_delay_alu instid0(VALU_DEP_1) | instskip(NEXT) | instid1(VALU_DEP_1)
	v_mul_f64 v[160:161], v[162:163], v[110:111]
	v_fma_f64 v[108:109], -v[108:109], v[160:161], v[162:163]
	s_delay_alu instid0(VALU_DEP_1) | instskip(NEXT) | instid1(VALU_DEP_1)
	v_div_fmas_f64 v[108:109], v[108:109], v[110:111], v[160:161]
	v_div_fixup_f64 v[110:111], v[108:109], v[156:157], v[158:159]
	s_delay_alu instid0(VALU_DEP_1) | instskip(NEXT) | instid1(VALU_DEP_1)
	v_fma_f64 v[108:109], v[158:159], v[110:111], v[156:157]
	v_div_scale_f64 v[156:157], null, v[108:109], v[108:109], 1.0
	s_delay_alu instid0(VALU_DEP_1) | instskip(SKIP_2) | instid1(VALU_DEP_1)
	v_rcp_f64_e32 v[158:159], v[156:157]
	s_waitcnt_depctr 0xfff
	v_fma_f64 v[160:161], -v[156:157], v[158:159], 1.0
	v_fma_f64 v[158:159], v[158:159], v[160:161], v[158:159]
	s_delay_alu instid0(VALU_DEP_1) | instskip(NEXT) | instid1(VALU_DEP_1)
	v_fma_f64 v[160:161], -v[156:157], v[158:159], 1.0
	v_fma_f64 v[158:159], v[158:159], v[160:161], v[158:159]
	v_div_scale_f64 v[160:161], vcc_lo, 1.0, v[108:109], 1.0
	s_delay_alu instid0(VALU_DEP_1) | instskip(NEXT) | instid1(VALU_DEP_1)
	v_mul_f64 v[162:163], v[160:161], v[158:159]
	v_fma_f64 v[156:157], -v[156:157], v[162:163], v[160:161]
	s_delay_alu instid0(VALU_DEP_1) | instskip(NEXT) | instid1(VALU_DEP_1)
	v_div_fmas_f64 v[156:157], v[156:157], v[158:159], v[162:163]
	v_div_fixup_f64 v[108:109], v[156:157], v[108:109], 1.0
	s_delay_alu instid0(VALU_DEP_1)
	v_mul_f64 v[162:163], v[110:111], -v[108:109]
.LBB53_115:
	s_or_b32 exec_lo, exec_lo, s3
	ds_store_2addr_b64 v233, v[108:109], v[162:163] offset1:1
.LBB53_116:
	s_or_b32 exec_lo, exec_lo, s4
	s_waitcnt lgkmcnt(0)
	s_barrier
	buffer_gl0_inv
	ds_load_2addr_b64 v[156:159], v233 offset1:1
	s_mov_b32 s3, exec_lo
	v_cmpx_lt_u32_e32 12, v232
	s_cbranch_execz .LBB53_118
; %bb.117:
	s_waitcnt lgkmcnt(0)
	v_mul_f64 v[108:109], v[156:157], v[58:59]
	v_mul_f64 v[58:59], v[158:159], v[58:59]
	s_delay_alu instid0(VALU_DEP_2)
	v_fma_f64 v[164:165], v[158:159], v[56:57], v[108:109]
	ds_load_2addr_b64 v[108:111], v236 offset0:26 offset1:27
	ds_load_2addr_b64 v[160:163], v236 offset0:28 offset1:29
	v_fma_f64 v[56:57], v[156:157], v[56:57], -v[58:59]
	s_waitcnt lgkmcnt(1)
	v_mul_f64 v[58:59], v[110:111], v[164:165]
	s_delay_alu instid0(VALU_DEP_1) | instskip(SKIP_1) | instid1(VALU_DEP_2)
	v_fma_f64 v[58:59], v[108:109], v[56:57], -v[58:59]
	v_mul_f64 v[108:109], v[108:109], v[164:165]
	v_add_f64 v[52:53], v[52:53], -v[58:59]
	s_delay_alu instid0(VALU_DEP_2) | instskip(SKIP_3) | instid1(VALU_DEP_3)
	v_fma_f64 v[166:167], v[110:111], v[56:57], v[108:109]
	s_waitcnt lgkmcnt(0)
	v_mul_f64 v[108:109], v[162:163], v[164:165]
	v_dual_mov_b32 v58, v164 :: v_dual_mov_b32 v59, v165
	v_add_f64 v[54:55], v[54:55], -v[166:167]
	s_delay_alu instid0(VALU_DEP_3) | instskip(SKIP_1) | instid1(VALU_DEP_2)
	v_fma_f64 v[168:169], v[160:161], v[56:57], -v[108:109]
	v_mul_f64 v[108:109], v[160:161], v[164:165]
	v_add_f64 v[48:49], v[48:49], -v[168:169]
	s_delay_alu instid0(VALU_DEP_2)
	v_fma_f64 v[170:171], v[162:163], v[56:57], v[108:109]
	ds_load_2addr_b64 v[108:111], v236 offset0:30 offset1:31
	ds_load_2addr_b64 v[160:163], v236 offset0:32 offset1:33
	s_waitcnt lgkmcnt(1)
	v_mul_f64 v[172:173], v[110:111], v[164:165]
	v_add_f64 v[50:51], v[50:51], -v[170:171]
	s_delay_alu instid0(VALU_DEP_2) | instskip(SKIP_1) | instid1(VALU_DEP_2)
	v_fma_f64 v[172:173], v[108:109], v[56:57], -v[172:173]
	v_mul_f64 v[108:109], v[108:109], v[164:165]
	v_add_f64 v[44:45], v[44:45], -v[172:173]
	s_delay_alu instid0(VALU_DEP_2) | instskip(SKIP_2) | instid1(VALU_DEP_2)
	v_fma_f64 v[174:175], v[110:111], v[56:57], v[108:109]
	s_waitcnt lgkmcnt(0)
	v_mul_f64 v[108:109], v[162:163], v[164:165]
	v_add_f64 v[46:47], v[46:47], -v[174:175]
	s_delay_alu instid0(VALU_DEP_2) | instskip(SKIP_1) | instid1(VALU_DEP_2)
	v_fma_f64 v[176:177], v[160:161], v[56:57], -v[108:109]
	v_mul_f64 v[108:109], v[160:161], v[164:165]
	v_add_f64 v[40:41], v[40:41], -v[176:177]
	s_delay_alu instid0(VALU_DEP_2)
	v_fma_f64 v[178:179], v[162:163], v[56:57], v[108:109]
	ds_load_2addr_b64 v[108:111], v236 offset0:34 offset1:35
	ds_load_2addr_b64 v[160:163], v236 offset0:36 offset1:37
	s_waitcnt lgkmcnt(1)
	v_mul_f64 v[180:181], v[110:111], v[164:165]
	v_add_f64 v[42:43], v[42:43], -v[178:179]
	s_delay_alu instid0(VALU_DEP_2) | instskip(SKIP_1) | instid1(VALU_DEP_2)
	v_fma_f64 v[180:181], v[108:109], v[56:57], -v[180:181]
	v_mul_f64 v[108:109], v[108:109], v[164:165]
	v_add_f64 v[36:37], v[36:37], -v[180:181]
	s_delay_alu instid0(VALU_DEP_2) | instskip(SKIP_2) | instid1(VALU_DEP_2)
	v_fma_f64 v[182:183], v[110:111], v[56:57], v[108:109]
	s_waitcnt lgkmcnt(0)
	v_mul_f64 v[108:109], v[162:163], v[164:165]
	v_add_f64 v[38:39], v[38:39], -v[182:183]
	s_delay_alu instid0(VALU_DEP_2) | instskip(SKIP_1) | instid1(VALU_DEP_2)
	;; [unrolled: 20-line block ×6, first 2 shown]
	v_fma_f64 v[110:111], v[160:161], v[56:57], -v[110:111]
	v_mul_f64 v[160:161], v[160:161], v[164:165]
	v_add_f64 v[0:1], v[0:1], -v[110:111]
	s_delay_alu instid0(VALU_DEP_2) | instskip(NEXT) | instid1(VALU_DEP_1)
	v_fma_f64 v[160:161], v[162:163], v[56:57], v[160:161]
	v_add_f64 v[2:3], v[2:3], -v[160:161]
.LBB53_118:
	s_or_b32 exec_lo, exec_lo, s3
	s_delay_alu instid0(SALU_CYCLE_1)
	s_mov_b32 s4, exec_lo
	s_waitcnt lgkmcnt(0)
	s_barrier
	buffer_gl0_inv
	v_cmpx_eq_u32_e32 13, v232
	s_cbranch_execz .LBB53_125
; %bb.119:
	ds_store_2addr_b64 v233, v[52:53], v[54:55] offset1:1
	ds_store_2addr_b64 v236, v[48:49], v[50:51] offset0:28 offset1:29
	ds_store_2addr_b64 v236, v[44:45], v[46:47] offset0:30 offset1:31
	;; [unrolled: 1-line block ×13, first 2 shown]
	ds_load_2addr_b64 v[160:163], v233 offset1:1
	s_waitcnt lgkmcnt(0)
	v_cmp_neq_f64_e32 vcc_lo, 0, v[160:161]
	v_cmp_neq_f64_e64 s3, 0, v[162:163]
	s_delay_alu instid0(VALU_DEP_1) | instskip(NEXT) | instid1(SALU_CYCLE_1)
	s_or_b32 s3, vcc_lo, s3
	s_and_b32 exec_lo, exec_lo, s3
	s_cbranch_execz .LBB53_125
; %bb.120:
	v_cmp_gt_f64_e32 vcc_lo, 0, v[160:161]
	v_cmp_gt_f64_e64 s3, 0, v[162:163]
	v_xor_b32_e32 v108, 0x80000000, v161
	v_xor_b32_e32 v110, 0x80000000, v163
	s_delay_alu instid0(VALU_DEP_2) | instskip(NEXT) | instid1(VALU_DEP_2)
	v_cndmask_b32_e32 v109, v161, v108, vcc_lo
	v_cndmask_b32_e64 v111, v163, v110, s3
	v_cndmask_b32_e32 v108, v160, v160, vcc_lo
	v_cndmask_b32_e64 v110, v162, v162, s3
	s_delay_alu instid0(VALU_DEP_1) | instskip(SKIP_1) | instid1(SALU_CYCLE_1)
	v_cmp_ngt_f64_e32 vcc_lo, v[108:109], v[110:111]
                                        ; implicit-def: $vgpr108_vgpr109
	s_and_saveexec_b32 s3, vcc_lo
	s_xor_b32 s3, exec_lo, s3
                                        ; implicit-def: $vgpr164_vgpr165_vgpr166_vgpr167
	s_cbranch_execz .LBB53_122
; %bb.121:
	v_div_scale_f64 v[108:109], null, v[162:163], v[162:163], v[160:161]
	v_div_scale_f64 v[166:167], vcc_lo, v[160:161], v[162:163], v[160:161]
	s_delay_alu instid0(VALU_DEP_2) | instskip(SKIP_2) | instid1(VALU_DEP_1)
	v_rcp_f64_e32 v[110:111], v[108:109]
	s_waitcnt_depctr 0xfff
	v_fma_f64 v[164:165], -v[108:109], v[110:111], 1.0
	v_fma_f64 v[110:111], v[110:111], v[164:165], v[110:111]
	s_delay_alu instid0(VALU_DEP_1) | instskip(NEXT) | instid1(VALU_DEP_1)
	v_fma_f64 v[164:165], -v[108:109], v[110:111], 1.0
	v_fma_f64 v[110:111], v[110:111], v[164:165], v[110:111]
	s_delay_alu instid0(VALU_DEP_1) | instskip(NEXT) | instid1(VALU_DEP_1)
	v_mul_f64 v[164:165], v[166:167], v[110:111]
	v_fma_f64 v[108:109], -v[108:109], v[164:165], v[166:167]
	s_delay_alu instid0(VALU_DEP_1) | instskip(NEXT) | instid1(VALU_DEP_1)
	v_div_fmas_f64 v[108:109], v[108:109], v[110:111], v[164:165]
	v_div_fixup_f64 v[108:109], v[108:109], v[162:163], v[160:161]
	s_delay_alu instid0(VALU_DEP_1) | instskip(NEXT) | instid1(VALU_DEP_1)
	v_fma_f64 v[110:111], v[160:161], v[108:109], v[162:163]
	v_div_scale_f64 v[160:161], null, v[110:111], v[110:111], 1.0
	s_delay_alu instid0(VALU_DEP_1) | instskip(SKIP_2) | instid1(VALU_DEP_1)
	v_rcp_f64_e32 v[162:163], v[160:161]
	s_waitcnt_depctr 0xfff
	v_fma_f64 v[164:165], -v[160:161], v[162:163], 1.0
	v_fma_f64 v[162:163], v[162:163], v[164:165], v[162:163]
	s_delay_alu instid0(VALU_DEP_1) | instskip(NEXT) | instid1(VALU_DEP_1)
	v_fma_f64 v[164:165], -v[160:161], v[162:163], 1.0
	v_fma_f64 v[162:163], v[162:163], v[164:165], v[162:163]
	v_div_scale_f64 v[164:165], vcc_lo, 1.0, v[110:111], 1.0
	s_delay_alu instid0(VALU_DEP_1) | instskip(NEXT) | instid1(VALU_DEP_1)
	v_mul_f64 v[166:167], v[164:165], v[162:163]
	v_fma_f64 v[160:161], -v[160:161], v[166:167], v[164:165]
	s_delay_alu instid0(VALU_DEP_1) | instskip(NEXT) | instid1(VALU_DEP_1)
	v_div_fmas_f64 v[160:161], v[160:161], v[162:163], v[166:167]
	v_div_fixup_f64 v[166:167], v[160:161], v[110:111], 1.0
                                        ; implicit-def: $vgpr160_vgpr161
	s_delay_alu instid0(VALU_DEP_1)
	v_mul_f64 v[108:109], v[108:109], v[166:167]
	v_xor_b32_e32 v167, 0x80000000, v167
.LBB53_122:
	s_and_not1_saveexec_b32 s3, s3
	s_cbranch_execz .LBB53_124
; %bb.123:
	v_div_scale_f64 v[108:109], null, v[160:161], v[160:161], v[162:163]
	v_div_scale_f64 v[166:167], vcc_lo, v[162:163], v[160:161], v[162:163]
	s_delay_alu instid0(VALU_DEP_2) | instskip(SKIP_2) | instid1(VALU_DEP_1)
	v_rcp_f64_e32 v[110:111], v[108:109]
	s_waitcnt_depctr 0xfff
	v_fma_f64 v[164:165], -v[108:109], v[110:111], 1.0
	v_fma_f64 v[110:111], v[110:111], v[164:165], v[110:111]
	s_delay_alu instid0(VALU_DEP_1) | instskip(NEXT) | instid1(VALU_DEP_1)
	v_fma_f64 v[164:165], -v[108:109], v[110:111], 1.0
	v_fma_f64 v[110:111], v[110:111], v[164:165], v[110:111]
	s_delay_alu instid0(VALU_DEP_1) | instskip(NEXT) | instid1(VALU_DEP_1)
	v_mul_f64 v[164:165], v[166:167], v[110:111]
	v_fma_f64 v[108:109], -v[108:109], v[164:165], v[166:167]
	s_delay_alu instid0(VALU_DEP_1) | instskip(NEXT) | instid1(VALU_DEP_1)
	v_div_fmas_f64 v[108:109], v[108:109], v[110:111], v[164:165]
	v_div_fixup_f64 v[110:111], v[108:109], v[160:161], v[162:163]
	s_delay_alu instid0(VALU_DEP_1) | instskip(NEXT) | instid1(VALU_DEP_1)
	v_fma_f64 v[108:109], v[162:163], v[110:111], v[160:161]
	v_div_scale_f64 v[160:161], null, v[108:109], v[108:109], 1.0
	s_delay_alu instid0(VALU_DEP_1) | instskip(SKIP_2) | instid1(VALU_DEP_1)
	v_rcp_f64_e32 v[162:163], v[160:161]
	s_waitcnt_depctr 0xfff
	v_fma_f64 v[164:165], -v[160:161], v[162:163], 1.0
	v_fma_f64 v[162:163], v[162:163], v[164:165], v[162:163]
	s_delay_alu instid0(VALU_DEP_1) | instskip(NEXT) | instid1(VALU_DEP_1)
	v_fma_f64 v[164:165], -v[160:161], v[162:163], 1.0
	v_fma_f64 v[162:163], v[162:163], v[164:165], v[162:163]
	v_div_scale_f64 v[164:165], vcc_lo, 1.0, v[108:109], 1.0
	s_delay_alu instid0(VALU_DEP_1) | instskip(NEXT) | instid1(VALU_DEP_1)
	v_mul_f64 v[166:167], v[164:165], v[162:163]
	v_fma_f64 v[160:161], -v[160:161], v[166:167], v[164:165]
	s_delay_alu instid0(VALU_DEP_1) | instskip(NEXT) | instid1(VALU_DEP_1)
	v_div_fmas_f64 v[160:161], v[160:161], v[162:163], v[166:167]
	v_div_fixup_f64 v[108:109], v[160:161], v[108:109], 1.0
	s_delay_alu instid0(VALU_DEP_1)
	v_mul_f64 v[166:167], v[110:111], -v[108:109]
.LBB53_124:
	s_or_b32 exec_lo, exec_lo, s3
	ds_store_2addr_b64 v233, v[108:109], v[166:167] offset1:1
.LBB53_125:
	s_or_b32 exec_lo, exec_lo, s4
	s_waitcnt lgkmcnt(0)
	s_barrier
	buffer_gl0_inv
	ds_load_2addr_b64 v[160:163], v233 offset1:1
	s_mov_b32 s3, exec_lo
	v_cmpx_lt_u32_e32 13, v232
	s_cbranch_execz .LBB53_127
; %bb.126:
	s_waitcnt lgkmcnt(0)
	v_mul_f64 v[108:109], v[160:161], v[54:55]
	v_mul_f64 v[54:55], v[162:163], v[54:55]
	s_delay_alu instid0(VALU_DEP_2)
	v_fma_f64 v[168:169], v[162:163], v[52:53], v[108:109]
	ds_load_2addr_b64 v[108:111], v236 offset0:28 offset1:29
	ds_load_2addr_b64 v[164:167], v236 offset0:30 offset1:31
	v_fma_f64 v[52:53], v[160:161], v[52:53], -v[54:55]
	s_waitcnt lgkmcnt(1)
	v_mul_f64 v[54:55], v[110:111], v[168:169]
	s_delay_alu instid0(VALU_DEP_1) | instskip(SKIP_1) | instid1(VALU_DEP_2)
	v_fma_f64 v[54:55], v[108:109], v[52:53], -v[54:55]
	v_mul_f64 v[108:109], v[108:109], v[168:169]
	v_add_f64 v[48:49], v[48:49], -v[54:55]
	s_delay_alu instid0(VALU_DEP_2) | instskip(SKIP_3) | instid1(VALU_DEP_3)
	v_fma_f64 v[170:171], v[110:111], v[52:53], v[108:109]
	s_waitcnt lgkmcnt(0)
	v_mul_f64 v[108:109], v[166:167], v[168:169]
	v_dual_mov_b32 v54, v168 :: v_dual_mov_b32 v55, v169
	v_add_f64 v[50:51], v[50:51], -v[170:171]
	s_delay_alu instid0(VALU_DEP_3) | instskip(SKIP_1) | instid1(VALU_DEP_2)
	v_fma_f64 v[172:173], v[164:165], v[52:53], -v[108:109]
	v_mul_f64 v[108:109], v[164:165], v[168:169]
	v_add_f64 v[44:45], v[44:45], -v[172:173]
	s_delay_alu instid0(VALU_DEP_2)
	v_fma_f64 v[174:175], v[166:167], v[52:53], v[108:109]
	ds_load_2addr_b64 v[108:111], v236 offset0:32 offset1:33
	ds_load_2addr_b64 v[164:167], v236 offset0:34 offset1:35
	s_waitcnt lgkmcnt(1)
	v_mul_f64 v[176:177], v[110:111], v[168:169]
	v_add_f64 v[46:47], v[46:47], -v[174:175]
	s_delay_alu instid0(VALU_DEP_2) | instskip(SKIP_1) | instid1(VALU_DEP_2)
	v_fma_f64 v[176:177], v[108:109], v[52:53], -v[176:177]
	v_mul_f64 v[108:109], v[108:109], v[168:169]
	v_add_f64 v[40:41], v[40:41], -v[176:177]
	s_delay_alu instid0(VALU_DEP_2) | instskip(SKIP_2) | instid1(VALU_DEP_2)
	v_fma_f64 v[178:179], v[110:111], v[52:53], v[108:109]
	s_waitcnt lgkmcnt(0)
	v_mul_f64 v[108:109], v[166:167], v[168:169]
	v_add_f64 v[42:43], v[42:43], -v[178:179]
	s_delay_alu instid0(VALU_DEP_2) | instskip(SKIP_1) | instid1(VALU_DEP_2)
	v_fma_f64 v[180:181], v[164:165], v[52:53], -v[108:109]
	v_mul_f64 v[108:109], v[164:165], v[168:169]
	v_add_f64 v[36:37], v[36:37], -v[180:181]
	s_delay_alu instid0(VALU_DEP_2)
	v_fma_f64 v[182:183], v[166:167], v[52:53], v[108:109]
	ds_load_2addr_b64 v[108:111], v236 offset0:36 offset1:37
	ds_load_2addr_b64 v[164:167], v236 offset0:38 offset1:39
	s_waitcnt lgkmcnt(1)
	v_mul_f64 v[184:185], v[110:111], v[168:169]
	v_add_f64 v[38:39], v[38:39], -v[182:183]
	s_delay_alu instid0(VALU_DEP_2) | instskip(SKIP_1) | instid1(VALU_DEP_2)
	v_fma_f64 v[184:185], v[108:109], v[52:53], -v[184:185]
	v_mul_f64 v[108:109], v[108:109], v[168:169]
	v_add_f64 v[32:33], v[32:33], -v[184:185]
	s_delay_alu instid0(VALU_DEP_2) | instskip(SKIP_2) | instid1(VALU_DEP_2)
	v_fma_f64 v[186:187], v[110:111], v[52:53], v[108:109]
	s_waitcnt lgkmcnt(0)
	v_mul_f64 v[108:109], v[166:167], v[168:169]
	v_add_f64 v[34:35], v[34:35], -v[186:187]
	s_delay_alu instid0(VALU_DEP_2) | instskip(SKIP_1) | instid1(VALU_DEP_2)
	v_fma_f64 v[188:189], v[164:165], v[52:53], -v[108:109]
	v_mul_f64 v[108:109], v[164:165], v[168:169]
	v_add_f64 v[28:29], v[28:29], -v[188:189]
	s_delay_alu instid0(VALU_DEP_2)
	v_fma_f64 v[190:191], v[166:167], v[52:53], v[108:109]
	ds_load_2addr_b64 v[108:111], v236 offset0:40 offset1:41
	ds_load_2addr_b64 v[164:167], v236 offset0:42 offset1:43
	s_waitcnt lgkmcnt(1)
	v_mul_f64 v[192:193], v[110:111], v[168:169]
	v_add_f64 v[30:31], v[30:31], -v[190:191]
	s_delay_alu instid0(VALU_DEP_2) | instskip(SKIP_1) | instid1(VALU_DEP_2)
	v_fma_f64 v[192:193], v[108:109], v[52:53], -v[192:193]
	v_mul_f64 v[108:109], v[108:109], v[168:169]
	v_add_f64 v[24:25], v[24:25], -v[192:193]
	s_delay_alu instid0(VALU_DEP_2) | instskip(SKIP_2) | instid1(VALU_DEP_2)
	v_fma_f64 v[194:195], v[110:111], v[52:53], v[108:109]
	s_waitcnt lgkmcnt(0)
	v_mul_f64 v[108:109], v[166:167], v[168:169]
	v_add_f64 v[26:27], v[26:27], -v[194:195]
	s_delay_alu instid0(VALU_DEP_2) | instskip(SKIP_1) | instid1(VALU_DEP_2)
	v_fma_f64 v[196:197], v[164:165], v[52:53], -v[108:109]
	v_mul_f64 v[108:109], v[164:165], v[168:169]
	v_add_f64 v[20:21], v[20:21], -v[196:197]
	s_delay_alu instid0(VALU_DEP_2)
	v_fma_f64 v[198:199], v[166:167], v[52:53], v[108:109]
	ds_load_2addr_b64 v[108:111], v236 offset0:44 offset1:45
	ds_load_2addr_b64 v[164:167], v236 offset0:46 offset1:47
	s_waitcnt lgkmcnt(1)
	v_mul_f64 v[200:201], v[110:111], v[168:169]
	v_add_f64 v[22:23], v[22:23], -v[198:199]
	s_delay_alu instid0(VALU_DEP_2) | instskip(SKIP_1) | instid1(VALU_DEP_2)
	v_fma_f64 v[200:201], v[108:109], v[52:53], -v[200:201]
	v_mul_f64 v[108:109], v[108:109], v[168:169]
	v_add_f64 v[16:17], v[16:17], -v[200:201]
	s_delay_alu instid0(VALU_DEP_2) | instskip(SKIP_2) | instid1(VALU_DEP_2)
	v_fma_f64 v[202:203], v[110:111], v[52:53], v[108:109]
	s_waitcnt lgkmcnt(0)
	v_mul_f64 v[108:109], v[166:167], v[168:169]
	v_add_f64 v[18:19], v[18:19], -v[202:203]
	s_delay_alu instid0(VALU_DEP_2) | instskip(SKIP_1) | instid1(VALU_DEP_2)
	v_fma_f64 v[204:205], v[164:165], v[52:53], -v[108:109]
	v_mul_f64 v[108:109], v[164:165], v[168:169]
	v_add_f64 v[12:13], v[12:13], -v[204:205]
	s_delay_alu instid0(VALU_DEP_2)
	v_fma_f64 v[206:207], v[166:167], v[52:53], v[108:109]
	ds_load_2addr_b64 v[108:111], v236 offset0:48 offset1:49
	ds_load_2addr_b64 v[164:167], v236 offset0:50 offset1:51
	s_waitcnt lgkmcnt(1)
	v_mul_f64 v[208:209], v[110:111], v[168:169]
	v_add_f64 v[14:15], v[14:15], -v[206:207]
	s_delay_alu instid0(VALU_DEP_2) | instskip(SKIP_1) | instid1(VALU_DEP_2)
	v_fma_f64 v[208:209], v[108:109], v[52:53], -v[208:209]
	v_mul_f64 v[108:109], v[108:109], v[168:169]
	v_add_f64 v[8:9], v[8:9], -v[208:209]
	s_delay_alu instid0(VALU_DEP_2) | instskip(SKIP_2) | instid1(VALU_DEP_2)
	v_fma_f64 v[210:211], v[110:111], v[52:53], v[108:109]
	s_waitcnt lgkmcnt(0)
	v_mul_f64 v[108:109], v[166:167], v[168:169]
	v_add_f64 v[10:11], v[10:11], -v[210:211]
	s_delay_alu instid0(VALU_DEP_2) | instskip(SKIP_1) | instid1(VALU_DEP_2)
	v_fma_f64 v[212:213], v[164:165], v[52:53], -v[108:109]
	v_mul_f64 v[108:109], v[164:165], v[168:169]
	v_add_f64 v[4:5], v[4:5], -v[212:213]
	s_delay_alu instid0(VALU_DEP_2) | instskip(SKIP_4) | instid1(VALU_DEP_2)
	v_fma_f64 v[164:165], v[166:167], v[52:53], v[108:109]
	ds_load_2addr_b64 v[108:111], v236 offset0:52 offset1:53
	s_waitcnt lgkmcnt(0)
	v_mul_f64 v[166:167], v[110:111], v[168:169]
	v_add_f64 v[6:7], v[6:7], -v[164:165]
	v_fma_f64 v[166:167], v[108:109], v[52:53], -v[166:167]
	v_mul_f64 v[108:109], v[108:109], v[168:169]
	s_delay_alu instid0(VALU_DEP_2) | instskip(NEXT) | instid1(VALU_DEP_2)
	v_add_f64 v[0:1], v[0:1], -v[166:167]
	v_fma_f64 v[108:109], v[110:111], v[52:53], v[108:109]
	s_delay_alu instid0(VALU_DEP_1)
	v_add_f64 v[2:3], v[2:3], -v[108:109]
.LBB53_127:
	s_or_b32 exec_lo, exec_lo, s3
	s_delay_alu instid0(SALU_CYCLE_1)
	s_mov_b32 s4, exec_lo
	s_waitcnt lgkmcnt(0)
	s_barrier
	buffer_gl0_inv
	v_cmpx_eq_u32_e32 14, v232
	s_cbranch_execz .LBB53_134
; %bb.128:
	ds_store_2addr_b64 v233, v[48:49], v[50:51] offset1:1
	ds_store_2addr_b64 v236, v[44:45], v[46:47] offset0:30 offset1:31
	ds_store_2addr_b64 v236, v[40:41], v[42:43] offset0:32 offset1:33
	;; [unrolled: 1-line block ×12, first 2 shown]
	ds_load_2addr_b64 v[164:167], v233 offset1:1
	s_waitcnt lgkmcnt(0)
	v_cmp_neq_f64_e32 vcc_lo, 0, v[164:165]
	v_cmp_neq_f64_e64 s3, 0, v[166:167]
	s_delay_alu instid0(VALU_DEP_1) | instskip(NEXT) | instid1(SALU_CYCLE_1)
	s_or_b32 s3, vcc_lo, s3
	s_and_b32 exec_lo, exec_lo, s3
	s_cbranch_execz .LBB53_134
; %bb.129:
	v_cmp_gt_f64_e32 vcc_lo, 0, v[164:165]
	v_cmp_gt_f64_e64 s3, 0, v[166:167]
	v_xor_b32_e32 v108, 0x80000000, v165
	v_xor_b32_e32 v110, 0x80000000, v167
	s_delay_alu instid0(VALU_DEP_2) | instskip(NEXT) | instid1(VALU_DEP_2)
	v_cndmask_b32_e32 v109, v165, v108, vcc_lo
	v_cndmask_b32_e64 v111, v167, v110, s3
	v_cndmask_b32_e32 v108, v164, v164, vcc_lo
	v_cndmask_b32_e64 v110, v166, v166, s3
	s_delay_alu instid0(VALU_DEP_1) | instskip(SKIP_1) | instid1(SALU_CYCLE_1)
	v_cmp_ngt_f64_e32 vcc_lo, v[108:109], v[110:111]
                                        ; implicit-def: $vgpr108_vgpr109
	s_and_saveexec_b32 s3, vcc_lo
	s_xor_b32 s3, exec_lo, s3
                                        ; implicit-def: $vgpr168_vgpr169_vgpr170_vgpr171
	s_cbranch_execz .LBB53_131
; %bb.130:
	v_div_scale_f64 v[108:109], null, v[166:167], v[166:167], v[164:165]
	v_div_scale_f64 v[170:171], vcc_lo, v[164:165], v[166:167], v[164:165]
	s_delay_alu instid0(VALU_DEP_2) | instskip(SKIP_2) | instid1(VALU_DEP_1)
	v_rcp_f64_e32 v[110:111], v[108:109]
	s_waitcnt_depctr 0xfff
	v_fma_f64 v[168:169], -v[108:109], v[110:111], 1.0
	v_fma_f64 v[110:111], v[110:111], v[168:169], v[110:111]
	s_delay_alu instid0(VALU_DEP_1) | instskip(NEXT) | instid1(VALU_DEP_1)
	v_fma_f64 v[168:169], -v[108:109], v[110:111], 1.0
	v_fma_f64 v[110:111], v[110:111], v[168:169], v[110:111]
	s_delay_alu instid0(VALU_DEP_1) | instskip(NEXT) | instid1(VALU_DEP_1)
	v_mul_f64 v[168:169], v[170:171], v[110:111]
	v_fma_f64 v[108:109], -v[108:109], v[168:169], v[170:171]
	s_delay_alu instid0(VALU_DEP_1) | instskip(NEXT) | instid1(VALU_DEP_1)
	v_div_fmas_f64 v[108:109], v[108:109], v[110:111], v[168:169]
	v_div_fixup_f64 v[108:109], v[108:109], v[166:167], v[164:165]
	s_delay_alu instid0(VALU_DEP_1) | instskip(NEXT) | instid1(VALU_DEP_1)
	v_fma_f64 v[110:111], v[164:165], v[108:109], v[166:167]
	v_div_scale_f64 v[164:165], null, v[110:111], v[110:111], 1.0
	s_delay_alu instid0(VALU_DEP_1) | instskip(SKIP_2) | instid1(VALU_DEP_1)
	v_rcp_f64_e32 v[166:167], v[164:165]
	s_waitcnt_depctr 0xfff
	v_fma_f64 v[168:169], -v[164:165], v[166:167], 1.0
	v_fma_f64 v[166:167], v[166:167], v[168:169], v[166:167]
	s_delay_alu instid0(VALU_DEP_1) | instskip(NEXT) | instid1(VALU_DEP_1)
	v_fma_f64 v[168:169], -v[164:165], v[166:167], 1.0
	v_fma_f64 v[166:167], v[166:167], v[168:169], v[166:167]
	v_div_scale_f64 v[168:169], vcc_lo, 1.0, v[110:111], 1.0
	s_delay_alu instid0(VALU_DEP_1) | instskip(NEXT) | instid1(VALU_DEP_1)
	v_mul_f64 v[170:171], v[168:169], v[166:167]
	v_fma_f64 v[164:165], -v[164:165], v[170:171], v[168:169]
	s_delay_alu instid0(VALU_DEP_1) | instskip(NEXT) | instid1(VALU_DEP_1)
	v_div_fmas_f64 v[164:165], v[164:165], v[166:167], v[170:171]
	v_div_fixup_f64 v[170:171], v[164:165], v[110:111], 1.0
                                        ; implicit-def: $vgpr164_vgpr165
	s_delay_alu instid0(VALU_DEP_1)
	v_mul_f64 v[108:109], v[108:109], v[170:171]
	v_xor_b32_e32 v171, 0x80000000, v171
.LBB53_131:
	s_and_not1_saveexec_b32 s3, s3
	s_cbranch_execz .LBB53_133
; %bb.132:
	v_div_scale_f64 v[108:109], null, v[164:165], v[164:165], v[166:167]
	v_div_scale_f64 v[170:171], vcc_lo, v[166:167], v[164:165], v[166:167]
	s_delay_alu instid0(VALU_DEP_2) | instskip(SKIP_2) | instid1(VALU_DEP_1)
	v_rcp_f64_e32 v[110:111], v[108:109]
	s_waitcnt_depctr 0xfff
	v_fma_f64 v[168:169], -v[108:109], v[110:111], 1.0
	v_fma_f64 v[110:111], v[110:111], v[168:169], v[110:111]
	s_delay_alu instid0(VALU_DEP_1) | instskip(NEXT) | instid1(VALU_DEP_1)
	v_fma_f64 v[168:169], -v[108:109], v[110:111], 1.0
	v_fma_f64 v[110:111], v[110:111], v[168:169], v[110:111]
	s_delay_alu instid0(VALU_DEP_1) | instskip(NEXT) | instid1(VALU_DEP_1)
	v_mul_f64 v[168:169], v[170:171], v[110:111]
	v_fma_f64 v[108:109], -v[108:109], v[168:169], v[170:171]
	s_delay_alu instid0(VALU_DEP_1) | instskip(NEXT) | instid1(VALU_DEP_1)
	v_div_fmas_f64 v[108:109], v[108:109], v[110:111], v[168:169]
	v_div_fixup_f64 v[110:111], v[108:109], v[164:165], v[166:167]
	s_delay_alu instid0(VALU_DEP_1) | instskip(NEXT) | instid1(VALU_DEP_1)
	v_fma_f64 v[108:109], v[166:167], v[110:111], v[164:165]
	v_div_scale_f64 v[164:165], null, v[108:109], v[108:109], 1.0
	s_delay_alu instid0(VALU_DEP_1) | instskip(SKIP_2) | instid1(VALU_DEP_1)
	v_rcp_f64_e32 v[166:167], v[164:165]
	s_waitcnt_depctr 0xfff
	v_fma_f64 v[168:169], -v[164:165], v[166:167], 1.0
	v_fma_f64 v[166:167], v[166:167], v[168:169], v[166:167]
	s_delay_alu instid0(VALU_DEP_1) | instskip(NEXT) | instid1(VALU_DEP_1)
	v_fma_f64 v[168:169], -v[164:165], v[166:167], 1.0
	v_fma_f64 v[166:167], v[166:167], v[168:169], v[166:167]
	v_div_scale_f64 v[168:169], vcc_lo, 1.0, v[108:109], 1.0
	s_delay_alu instid0(VALU_DEP_1) | instskip(NEXT) | instid1(VALU_DEP_1)
	v_mul_f64 v[170:171], v[168:169], v[166:167]
	v_fma_f64 v[164:165], -v[164:165], v[170:171], v[168:169]
	s_delay_alu instid0(VALU_DEP_1) | instskip(NEXT) | instid1(VALU_DEP_1)
	v_div_fmas_f64 v[164:165], v[164:165], v[166:167], v[170:171]
	v_div_fixup_f64 v[108:109], v[164:165], v[108:109], 1.0
	s_delay_alu instid0(VALU_DEP_1)
	v_mul_f64 v[170:171], v[110:111], -v[108:109]
.LBB53_133:
	s_or_b32 exec_lo, exec_lo, s3
	ds_store_2addr_b64 v233, v[108:109], v[170:171] offset1:1
.LBB53_134:
	s_or_b32 exec_lo, exec_lo, s4
	s_waitcnt lgkmcnt(0)
	s_barrier
	buffer_gl0_inv
	ds_load_2addr_b64 v[164:167], v233 offset1:1
	s_mov_b32 s3, exec_lo
	v_cmpx_lt_u32_e32 14, v232
	s_cbranch_execz .LBB53_136
; %bb.135:
	s_waitcnt lgkmcnt(0)
	v_mul_f64 v[108:109], v[164:165], v[50:51]
	v_mul_f64 v[50:51], v[166:167], v[50:51]
	s_delay_alu instid0(VALU_DEP_2)
	v_fma_f64 v[172:173], v[166:167], v[48:49], v[108:109]
	ds_load_2addr_b64 v[108:111], v236 offset0:30 offset1:31
	ds_load_2addr_b64 v[168:171], v236 offset0:32 offset1:33
	v_fma_f64 v[48:49], v[164:165], v[48:49], -v[50:51]
	s_waitcnt lgkmcnt(1)
	v_mul_f64 v[50:51], v[110:111], v[172:173]
	s_delay_alu instid0(VALU_DEP_1) | instskip(SKIP_1) | instid1(VALU_DEP_2)
	v_fma_f64 v[50:51], v[108:109], v[48:49], -v[50:51]
	v_mul_f64 v[108:109], v[108:109], v[172:173]
	v_add_f64 v[44:45], v[44:45], -v[50:51]
	s_delay_alu instid0(VALU_DEP_2) | instskip(SKIP_3) | instid1(VALU_DEP_3)
	v_fma_f64 v[174:175], v[110:111], v[48:49], v[108:109]
	s_waitcnt lgkmcnt(0)
	v_mul_f64 v[108:109], v[170:171], v[172:173]
	v_dual_mov_b32 v50, v172 :: v_dual_mov_b32 v51, v173
	v_add_f64 v[46:47], v[46:47], -v[174:175]
	s_delay_alu instid0(VALU_DEP_3) | instskip(SKIP_1) | instid1(VALU_DEP_2)
	v_fma_f64 v[176:177], v[168:169], v[48:49], -v[108:109]
	v_mul_f64 v[108:109], v[168:169], v[172:173]
	v_add_f64 v[40:41], v[40:41], -v[176:177]
	s_delay_alu instid0(VALU_DEP_2)
	v_fma_f64 v[178:179], v[170:171], v[48:49], v[108:109]
	ds_load_2addr_b64 v[108:111], v236 offset0:34 offset1:35
	ds_load_2addr_b64 v[168:171], v236 offset0:36 offset1:37
	s_waitcnt lgkmcnt(1)
	v_mul_f64 v[180:181], v[110:111], v[172:173]
	v_add_f64 v[42:43], v[42:43], -v[178:179]
	s_delay_alu instid0(VALU_DEP_2) | instskip(SKIP_1) | instid1(VALU_DEP_2)
	v_fma_f64 v[180:181], v[108:109], v[48:49], -v[180:181]
	v_mul_f64 v[108:109], v[108:109], v[172:173]
	v_add_f64 v[36:37], v[36:37], -v[180:181]
	s_delay_alu instid0(VALU_DEP_2) | instskip(SKIP_2) | instid1(VALU_DEP_2)
	v_fma_f64 v[182:183], v[110:111], v[48:49], v[108:109]
	s_waitcnt lgkmcnt(0)
	v_mul_f64 v[108:109], v[170:171], v[172:173]
	v_add_f64 v[38:39], v[38:39], -v[182:183]
	s_delay_alu instid0(VALU_DEP_2) | instskip(SKIP_1) | instid1(VALU_DEP_2)
	v_fma_f64 v[184:185], v[168:169], v[48:49], -v[108:109]
	v_mul_f64 v[108:109], v[168:169], v[172:173]
	v_add_f64 v[32:33], v[32:33], -v[184:185]
	s_delay_alu instid0(VALU_DEP_2)
	v_fma_f64 v[186:187], v[170:171], v[48:49], v[108:109]
	ds_load_2addr_b64 v[108:111], v236 offset0:38 offset1:39
	ds_load_2addr_b64 v[168:171], v236 offset0:40 offset1:41
	s_waitcnt lgkmcnt(1)
	v_mul_f64 v[188:189], v[110:111], v[172:173]
	v_add_f64 v[34:35], v[34:35], -v[186:187]
	s_delay_alu instid0(VALU_DEP_2) | instskip(SKIP_1) | instid1(VALU_DEP_2)
	v_fma_f64 v[188:189], v[108:109], v[48:49], -v[188:189]
	v_mul_f64 v[108:109], v[108:109], v[172:173]
	v_add_f64 v[28:29], v[28:29], -v[188:189]
	s_delay_alu instid0(VALU_DEP_2) | instskip(SKIP_2) | instid1(VALU_DEP_2)
	v_fma_f64 v[190:191], v[110:111], v[48:49], v[108:109]
	s_waitcnt lgkmcnt(0)
	v_mul_f64 v[108:109], v[170:171], v[172:173]
	v_add_f64 v[30:31], v[30:31], -v[190:191]
	s_delay_alu instid0(VALU_DEP_2) | instskip(SKIP_1) | instid1(VALU_DEP_2)
	;; [unrolled: 20-line block ×5, first 2 shown]
	v_fma_f64 v[110:111], v[168:169], v[48:49], -v[110:111]
	v_mul_f64 v[168:169], v[168:169], v[172:173]
	v_add_f64 v[0:1], v[0:1], -v[110:111]
	s_delay_alu instid0(VALU_DEP_2) | instskip(NEXT) | instid1(VALU_DEP_1)
	v_fma_f64 v[168:169], v[170:171], v[48:49], v[168:169]
	v_add_f64 v[2:3], v[2:3], -v[168:169]
.LBB53_136:
	s_or_b32 exec_lo, exec_lo, s3
	s_delay_alu instid0(SALU_CYCLE_1)
	s_mov_b32 s4, exec_lo
	s_waitcnt lgkmcnt(0)
	s_barrier
	buffer_gl0_inv
	v_cmpx_eq_u32_e32 15, v232
	s_cbranch_execz .LBB53_143
; %bb.137:
	ds_store_2addr_b64 v233, v[44:45], v[46:47] offset1:1
	ds_store_2addr_b64 v236, v[40:41], v[42:43] offset0:32 offset1:33
	ds_store_2addr_b64 v236, v[36:37], v[38:39] offset0:34 offset1:35
	ds_store_2addr_b64 v236, v[32:33], v[34:35] offset0:36 offset1:37
	ds_store_2addr_b64 v236, v[28:29], v[30:31] offset0:38 offset1:39
	ds_store_2addr_b64 v236, v[24:25], v[26:27] offset0:40 offset1:41
	ds_store_2addr_b64 v236, v[20:21], v[22:23] offset0:42 offset1:43
	ds_store_2addr_b64 v236, v[16:17], v[18:19] offset0:44 offset1:45
	ds_store_2addr_b64 v236, v[12:13], v[14:15] offset0:46 offset1:47
	ds_store_2addr_b64 v236, v[8:9], v[10:11] offset0:48 offset1:49
	ds_store_2addr_b64 v236, v[4:5], v[6:7] offset0:50 offset1:51
	ds_store_2addr_b64 v236, v[0:1], v[2:3] offset0:52 offset1:53
	ds_load_2addr_b64 v[168:171], v233 offset1:1
	s_waitcnt lgkmcnt(0)
	v_cmp_neq_f64_e32 vcc_lo, 0, v[168:169]
	v_cmp_neq_f64_e64 s3, 0, v[170:171]
	s_delay_alu instid0(VALU_DEP_1) | instskip(NEXT) | instid1(SALU_CYCLE_1)
	s_or_b32 s3, vcc_lo, s3
	s_and_b32 exec_lo, exec_lo, s3
	s_cbranch_execz .LBB53_143
; %bb.138:
	v_cmp_gt_f64_e32 vcc_lo, 0, v[168:169]
	v_cmp_gt_f64_e64 s3, 0, v[170:171]
	v_xor_b32_e32 v108, 0x80000000, v169
	v_xor_b32_e32 v110, 0x80000000, v171
	s_delay_alu instid0(VALU_DEP_2) | instskip(NEXT) | instid1(VALU_DEP_2)
	v_cndmask_b32_e32 v109, v169, v108, vcc_lo
	v_cndmask_b32_e64 v111, v171, v110, s3
	v_cndmask_b32_e32 v108, v168, v168, vcc_lo
	v_cndmask_b32_e64 v110, v170, v170, s3
	s_delay_alu instid0(VALU_DEP_1) | instskip(SKIP_1) | instid1(SALU_CYCLE_1)
	v_cmp_ngt_f64_e32 vcc_lo, v[108:109], v[110:111]
                                        ; implicit-def: $vgpr108_vgpr109
	s_and_saveexec_b32 s3, vcc_lo
	s_xor_b32 s3, exec_lo, s3
                                        ; implicit-def: $vgpr172_vgpr173_vgpr174_vgpr175
	s_cbranch_execz .LBB53_140
; %bb.139:
	v_div_scale_f64 v[108:109], null, v[170:171], v[170:171], v[168:169]
	v_div_scale_f64 v[174:175], vcc_lo, v[168:169], v[170:171], v[168:169]
	s_delay_alu instid0(VALU_DEP_2) | instskip(SKIP_2) | instid1(VALU_DEP_1)
	v_rcp_f64_e32 v[110:111], v[108:109]
	s_waitcnt_depctr 0xfff
	v_fma_f64 v[172:173], -v[108:109], v[110:111], 1.0
	v_fma_f64 v[110:111], v[110:111], v[172:173], v[110:111]
	s_delay_alu instid0(VALU_DEP_1) | instskip(NEXT) | instid1(VALU_DEP_1)
	v_fma_f64 v[172:173], -v[108:109], v[110:111], 1.0
	v_fma_f64 v[110:111], v[110:111], v[172:173], v[110:111]
	s_delay_alu instid0(VALU_DEP_1) | instskip(NEXT) | instid1(VALU_DEP_1)
	v_mul_f64 v[172:173], v[174:175], v[110:111]
	v_fma_f64 v[108:109], -v[108:109], v[172:173], v[174:175]
	s_delay_alu instid0(VALU_DEP_1) | instskip(NEXT) | instid1(VALU_DEP_1)
	v_div_fmas_f64 v[108:109], v[108:109], v[110:111], v[172:173]
	v_div_fixup_f64 v[108:109], v[108:109], v[170:171], v[168:169]
	s_delay_alu instid0(VALU_DEP_1) | instskip(NEXT) | instid1(VALU_DEP_1)
	v_fma_f64 v[110:111], v[168:169], v[108:109], v[170:171]
	v_div_scale_f64 v[168:169], null, v[110:111], v[110:111], 1.0
	s_delay_alu instid0(VALU_DEP_1) | instskip(SKIP_2) | instid1(VALU_DEP_1)
	v_rcp_f64_e32 v[170:171], v[168:169]
	s_waitcnt_depctr 0xfff
	v_fma_f64 v[172:173], -v[168:169], v[170:171], 1.0
	v_fma_f64 v[170:171], v[170:171], v[172:173], v[170:171]
	s_delay_alu instid0(VALU_DEP_1) | instskip(NEXT) | instid1(VALU_DEP_1)
	v_fma_f64 v[172:173], -v[168:169], v[170:171], 1.0
	v_fma_f64 v[170:171], v[170:171], v[172:173], v[170:171]
	v_div_scale_f64 v[172:173], vcc_lo, 1.0, v[110:111], 1.0
	s_delay_alu instid0(VALU_DEP_1) | instskip(NEXT) | instid1(VALU_DEP_1)
	v_mul_f64 v[174:175], v[172:173], v[170:171]
	v_fma_f64 v[168:169], -v[168:169], v[174:175], v[172:173]
	s_delay_alu instid0(VALU_DEP_1) | instskip(NEXT) | instid1(VALU_DEP_1)
	v_div_fmas_f64 v[168:169], v[168:169], v[170:171], v[174:175]
	v_div_fixup_f64 v[174:175], v[168:169], v[110:111], 1.0
                                        ; implicit-def: $vgpr168_vgpr169
	s_delay_alu instid0(VALU_DEP_1)
	v_mul_f64 v[108:109], v[108:109], v[174:175]
	v_xor_b32_e32 v175, 0x80000000, v175
.LBB53_140:
	s_and_not1_saveexec_b32 s3, s3
	s_cbranch_execz .LBB53_142
; %bb.141:
	v_div_scale_f64 v[108:109], null, v[168:169], v[168:169], v[170:171]
	v_div_scale_f64 v[174:175], vcc_lo, v[170:171], v[168:169], v[170:171]
	s_delay_alu instid0(VALU_DEP_2) | instskip(SKIP_2) | instid1(VALU_DEP_1)
	v_rcp_f64_e32 v[110:111], v[108:109]
	s_waitcnt_depctr 0xfff
	v_fma_f64 v[172:173], -v[108:109], v[110:111], 1.0
	v_fma_f64 v[110:111], v[110:111], v[172:173], v[110:111]
	s_delay_alu instid0(VALU_DEP_1) | instskip(NEXT) | instid1(VALU_DEP_1)
	v_fma_f64 v[172:173], -v[108:109], v[110:111], 1.0
	v_fma_f64 v[110:111], v[110:111], v[172:173], v[110:111]
	s_delay_alu instid0(VALU_DEP_1) | instskip(NEXT) | instid1(VALU_DEP_1)
	v_mul_f64 v[172:173], v[174:175], v[110:111]
	v_fma_f64 v[108:109], -v[108:109], v[172:173], v[174:175]
	s_delay_alu instid0(VALU_DEP_1) | instskip(NEXT) | instid1(VALU_DEP_1)
	v_div_fmas_f64 v[108:109], v[108:109], v[110:111], v[172:173]
	v_div_fixup_f64 v[110:111], v[108:109], v[168:169], v[170:171]
	s_delay_alu instid0(VALU_DEP_1) | instskip(NEXT) | instid1(VALU_DEP_1)
	v_fma_f64 v[108:109], v[170:171], v[110:111], v[168:169]
	v_div_scale_f64 v[168:169], null, v[108:109], v[108:109], 1.0
	s_delay_alu instid0(VALU_DEP_1) | instskip(SKIP_2) | instid1(VALU_DEP_1)
	v_rcp_f64_e32 v[170:171], v[168:169]
	s_waitcnt_depctr 0xfff
	v_fma_f64 v[172:173], -v[168:169], v[170:171], 1.0
	v_fma_f64 v[170:171], v[170:171], v[172:173], v[170:171]
	s_delay_alu instid0(VALU_DEP_1) | instskip(NEXT) | instid1(VALU_DEP_1)
	v_fma_f64 v[172:173], -v[168:169], v[170:171], 1.0
	v_fma_f64 v[170:171], v[170:171], v[172:173], v[170:171]
	v_div_scale_f64 v[172:173], vcc_lo, 1.0, v[108:109], 1.0
	s_delay_alu instid0(VALU_DEP_1) | instskip(NEXT) | instid1(VALU_DEP_1)
	v_mul_f64 v[174:175], v[172:173], v[170:171]
	v_fma_f64 v[168:169], -v[168:169], v[174:175], v[172:173]
	s_delay_alu instid0(VALU_DEP_1) | instskip(NEXT) | instid1(VALU_DEP_1)
	v_div_fmas_f64 v[168:169], v[168:169], v[170:171], v[174:175]
	v_div_fixup_f64 v[108:109], v[168:169], v[108:109], 1.0
	s_delay_alu instid0(VALU_DEP_1)
	v_mul_f64 v[174:175], v[110:111], -v[108:109]
.LBB53_142:
	s_or_b32 exec_lo, exec_lo, s3
	ds_store_2addr_b64 v233, v[108:109], v[174:175] offset1:1
.LBB53_143:
	s_or_b32 exec_lo, exec_lo, s4
	s_waitcnt lgkmcnt(0)
	s_barrier
	buffer_gl0_inv
	ds_load_2addr_b64 v[168:171], v233 offset1:1
	s_mov_b32 s3, exec_lo
	v_cmpx_lt_u32_e32 15, v232
	s_cbranch_execz .LBB53_145
; %bb.144:
	s_waitcnt lgkmcnt(0)
	v_mul_f64 v[108:109], v[168:169], v[46:47]
	v_mul_f64 v[46:47], v[170:171], v[46:47]
	s_delay_alu instid0(VALU_DEP_2)
	v_fma_f64 v[176:177], v[170:171], v[44:45], v[108:109]
	ds_load_2addr_b64 v[108:111], v236 offset0:32 offset1:33
	ds_load_2addr_b64 v[172:175], v236 offset0:34 offset1:35
	v_fma_f64 v[44:45], v[168:169], v[44:45], -v[46:47]
	s_waitcnt lgkmcnt(1)
	v_mul_f64 v[46:47], v[110:111], v[176:177]
	s_delay_alu instid0(VALU_DEP_1) | instskip(SKIP_1) | instid1(VALU_DEP_2)
	v_fma_f64 v[46:47], v[108:109], v[44:45], -v[46:47]
	v_mul_f64 v[108:109], v[108:109], v[176:177]
	v_add_f64 v[40:41], v[40:41], -v[46:47]
	s_delay_alu instid0(VALU_DEP_2) | instskip(SKIP_3) | instid1(VALU_DEP_3)
	v_fma_f64 v[178:179], v[110:111], v[44:45], v[108:109]
	s_waitcnt lgkmcnt(0)
	v_mul_f64 v[108:109], v[174:175], v[176:177]
	v_dual_mov_b32 v46, v176 :: v_dual_mov_b32 v47, v177
	v_add_f64 v[42:43], v[42:43], -v[178:179]
	s_delay_alu instid0(VALU_DEP_3) | instskip(SKIP_1) | instid1(VALU_DEP_2)
	v_fma_f64 v[180:181], v[172:173], v[44:45], -v[108:109]
	v_mul_f64 v[108:109], v[172:173], v[176:177]
	v_add_f64 v[36:37], v[36:37], -v[180:181]
	s_delay_alu instid0(VALU_DEP_2)
	v_fma_f64 v[182:183], v[174:175], v[44:45], v[108:109]
	ds_load_2addr_b64 v[108:111], v236 offset0:36 offset1:37
	ds_load_2addr_b64 v[172:175], v236 offset0:38 offset1:39
	s_waitcnt lgkmcnt(1)
	v_mul_f64 v[184:185], v[110:111], v[176:177]
	v_add_f64 v[38:39], v[38:39], -v[182:183]
	s_delay_alu instid0(VALU_DEP_2) | instskip(SKIP_1) | instid1(VALU_DEP_2)
	v_fma_f64 v[184:185], v[108:109], v[44:45], -v[184:185]
	v_mul_f64 v[108:109], v[108:109], v[176:177]
	v_add_f64 v[32:33], v[32:33], -v[184:185]
	s_delay_alu instid0(VALU_DEP_2) | instskip(SKIP_2) | instid1(VALU_DEP_2)
	v_fma_f64 v[186:187], v[110:111], v[44:45], v[108:109]
	s_waitcnt lgkmcnt(0)
	v_mul_f64 v[108:109], v[174:175], v[176:177]
	v_add_f64 v[34:35], v[34:35], -v[186:187]
	s_delay_alu instid0(VALU_DEP_2) | instskip(SKIP_1) | instid1(VALU_DEP_2)
	v_fma_f64 v[188:189], v[172:173], v[44:45], -v[108:109]
	v_mul_f64 v[108:109], v[172:173], v[176:177]
	v_add_f64 v[28:29], v[28:29], -v[188:189]
	s_delay_alu instid0(VALU_DEP_2)
	v_fma_f64 v[190:191], v[174:175], v[44:45], v[108:109]
	ds_load_2addr_b64 v[108:111], v236 offset0:40 offset1:41
	ds_load_2addr_b64 v[172:175], v236 offset0:42 offset1:43
	s_waitcnt lgkmcnt(1)
	v_mul_f64 v[192:193], v[110:111], v[176:177]
	v_add_f64 v[30:31], v[30:31], -v[190:191]
	s_delay_alu instid0(VALU_DEP_2) | instskip(SKIP_1) | instid1(VALU_DEP_2)
	v_fma_f64 v[192:193], v[108:109], v[44:45], -v[192:193]
	v_mul_f64 v[108:109], v[108:109], v[176:177]
	v_add_f64 v[24:25], v[24:25], -v[192:193]
	s_delay_alu instid0(VALU_DEP_2) | instskip(SKIP_2) | instid1(VALU_DEP_2)
	v_fma_f64 v[194:195], v[110:111], v[44:45], v[108:109]
	s_waitcnt lgkmcnt(0)
	v_mul_f64 v[108:109], v[174:175], v[176:177]
	v_add_f64 v[26:27], v[26:27], -v[194:195]
	s_delay_alu instid0(VALU_DEP_2) | instskip(SKIP_1) | instid1(VALU_DEP_2)
	;; [unrolled: 20-line block ×4, first 2 shown]
	v_fma_f64 v[212:213], v[172:173], v[44:45], -v[108:109]
	v_mul_f64 v[108:109], v[172:173], v[176:177]
	v_add_f64 v[4:5], v[4:5], -v[212:213]
	s_delay_alu instid0(VALU_DEP_2) | instskip(SKIP_4) | instid1(VALU_DEP_2)
	v_fma_f64 v[172:173], v[174:175], v[44:45], v[108:109]
	ds_load_2addr_b64 v[108:111], v236 offset0:52 offset1:53
	s_waitcnt lgkmcnt(0)
	v_mul_f64 v[174:175], v[110:111], v[176:177]
	v_add_f64 v[6:7], v[6:7], -v[172:173]
	v_fma_f64 v[174:175], v[108:109], v[44:45], -v[174:175]
	v_mul_f64 v[108:109], v[108:109], v[176:177]
	s_delay_alu instid0(VALU_DEP_2) | instskip(NEXT) | instid1(VALU_DEP_2)
	v_add_f64 v[0:1], v[0:1], -v[174:175]
	v_fma_f64 v[108:109], v[110:111], v[44:45], v[108:109]
	s_delay_alu instid0(VALU_DEP_1)
	v_add_f64 v[2:3], v[2:3], -v[108:109]
.LBB53_145:
	s_or_b32 exec_lo, exec_lo, s3
	s_delay_alu instid0(SALU_CYCLE_1)
	s_mov_b32 s4, exec_lo
	s_waitcnt lgkmcnt(0)
	s_barrier
	buffer_gl0_inv
	v_cmpx_eq_u32_e32 16, v232
	s_cbranch_execz .LBB53_152
; %bb.146:
	ds_store_2addr_b64 v233, v[40:41], v[42:43] offset1:1
	ds_store_2addr_b64 v236, v[36:37], v[38:39] offset0:34 offset1:35
	ds_store_2addr_b64 v236, v[32:33], v[34:35] offset0:36 offset1:37
	;; [unrolled: 1-line block ×10, first 2 shown]
	ds_load_2addr_b64 v[172:175], v233 offset1:1
	s_waitcnt lgkmcnt(0)
	v_cmp_neq_f64_e32 vcc_lo, 0, v[172:173]
	v_cmp_neq_f64_e64 s3, 0, v[174:175]
	s_delay_alu instid0(VALU_DEP_1) | instskip(NEXT) | instid1(SALU_CYCLE_1)
	s_or_b32 s3, vcc_lo, s3
	s_and_b32 exec_lo, exec_lo, s3
	s_cbranch_execz .LBB53_152
; %bb.147:
	v_cmp_gt_f64_e32 vcc_lo, 0, v[172:173]
	v_cmp_gt_f64_e64 s3, 0, v[174:175]
	v_xor_b32_e32 v108, 0x80000000, v173
	v_xor_b32_e32 v110, 0x80000000, v175
	s_delay_alu instid0(VALU_DEP_2) | instskip(NEXT) | instid1(VALU_DEP_2)
	v_cndmask_b32_e32 v109, v173, v108, vcc_lo
	v_cndmask_b32_e64 v111, v175, v110, s3
	v_cndmask_b32_e32 v108, v172, v172, vcc_lo
	v_cndmask_b32_e64 v110, v174, v174, s3
	s_delay_alu instid0(VALU_DEP_1) | instskip(SKIP_1) | instid1(SALU_CYCLE_1)
	v_cmp_ngt_f64_e32 vcc_lo, v[108:109], v[110:111]
                                        ; implicit-def: $vgpr108_vgpr109
	s_and_saveexec_b32 s3, vcc_lo
	s_xor_b32 s3, exec_lo, s3
                                        ; implicit-def: $vgpr176_vgpr177_vgpr178_vgpr179
	s_cbranch_execz .LBB53_149
; %bb.148:
	v_div_scale_f64 v[108:109], null, v[174:175], v[174:175], v[172:173]
	v_div_scale_f64 v[178:179], vcc_lo, v[172:173], v[174:175], v[172:173]
	s_delay_alu instid0(VALU_DEP_2) | instskip(SKIP_2) | instid1(VALU_DEP_1)
	v_rcp_f64_e32 v[110:111], v[108:109]
	s_waitcnt_depctr 0xfff
	v_fma_f64 v[176:177], -v[108:109], v[110:111], 1.0
	v_fma_f64 v[110:111], v[110:111], v[176:177], v[110:111]
	s_delay_alu instid0(VALU_DEP_1) | instskip(NEXT) | instid1(VALU_DEP_1)
	v_fma_f64 v[176:177], -v[108:109], v[110:111], 1.0
	v_fma_f64 v[110:111], v[110:111], v[176:177], v[110:111]
	s_delay_alu instid0(VALU_DEP_1) | instskip(NEXT) | instid1(VALU_DEP_1)
	v_mul_f64 v[176:177], v[178:179], v[110:111]
	v_fma_f64 v[108:109], -v[108:109], v[176:177], v[178:179]
	s_delay_alu instid0(VALU_DEP_1) | instskip(NEXT) | instid1(VALU_DEP_1)
	v_div_fmas_f64 v[108:109], v[108:109], v[110:111], v[176:177]
	v_div_fixup_f64 v[108:109], v[108:109], v[174:175], v[172:173]
	s_delay_alu instid0(VALU_DEP_1) | instskip(NEXT) | instid1(VALU_DEP_1)
	v_fma_f64 v[110:111], v[172:173], v[108:109], v[174:175]
	v_div_scale_f64 v[172:173], null, v[110:111], v[110:111], 1.0
	s_delay_alu instid0(VALU_DEP_1) | instskip(SKIP_2) | instid1(VALU_DEP_1)
	v_rcp_f64_e32 v[174:175], v[172:173]
	s_waitcnt_depctr 0xfff
	v_fma_f64 v[176:177], -v[172:173], v[174:175], 1.0
	v_fma_f64 v[174:175], v[174:175], v[176:177], v[174:175]
	s_delay_alu instid0(VALU_DEP_1) | instskip(NEXT) | instid1(VALU_DEP_1)
	v_fma_f64 v[176:177], -v[172:173], v[174:175], 1.0
	v_fma_f64 v[174:175], v[174:175], v[176:177], v[174:175]
	v_div_scale_f64 v[176:177], vcc_lo, 1.0, v[110:111], 1.0
	s_delay_alu instid0(VALU_DEP_1) | instskip(NEXT) | instid1(VALU_DEP_1)
	v_mul_f64 v[178:179], v[176:177], v[174:175]
	v_fma_f64 v[172:173], -v[172:173], v[178:179], v[176:177]
	s_delay_alu instid0(VALU_DEP_1) | instskip(NEXT) | instid1(VALU_DEP_1)
	v_div_fmas_f64 v[172:173], v[172:173], v[174:175], v[178:179]
	v_div_fixup_f64 v[178:179], v[172:173], v[110:111], 1.0
                                        ; implicit-def: $vgpr172_vgpr173
	s_delay_alu instid0(VALU_DEP_1)
	v_mul_f64 v[108:109], v[108:109], v[178:179]
	v_xor_b32_e32 v179, 0x80000000, v179
.LBB53_149:
	s_and_not1_saveexec_b32 s3, s3
	s_cbranch_execz .LBB53_151
; %bb.150:
	v_div_scale_f64 v[108:109], null, v[172:173], v[172:173], v[174:175]
	v_div_scale_f64 v[178:179], vcc_lo, v[174:175], v[172:173], v[174:175]
	s_delay_alu instid0(VALU_DEP_2) | instskip(SKIP_2) | instid1(VALU_DEP_1)
	v_rcp_f64_e32 v[110:111], v[108:109]
	s_waitcnt_depctr 0xfff
	v_fma_f64 v[176:177], -v[108:109], v[110:111], 1.0
	v_fma_f64 v[110:111], v[110:111], v[176:177], v[110:111]
	s_delay_alu instid0(VALU_DEP_1) | instskip(NEXT) | instid1(VALU_DEP_1)
	v_fma_f64 v[176:177], -v[108:109], v[110:111], 1.0
	v_fma_f64 v[110:111], v[110:111], v[176:177], v[110:111]
	s_delay_alu instid0(VALU_DEP_1) | instskip(NEXT) | instid1(VALU_DEP_1)
	v_mul_f64 v[176:177], v[178:179], v[110:111]
	v_fma_f64 v[108:109], -v[108:109], v[176:177], v[178:179]
	s_delay_alu instid0(VALU_DEP_1) | instskip(NEXT) | instid1(VALU_DEP_1)
	v_div_fmas_f64 v[108:109], v[108:109], v[110:111], v[176:177]
	v_div_fixup_f64 v[110:111], v[108:109], v[172:173], v[174:175]
	s_delay_alu instid0(VALU_DEP_1) | instskip(NEXT) | instid1(VALU_DEP_1)
	v_fma_f64 v[108:109], v[174:175], v[110:111], v[172:173]
	v_div_scale_f64 v[172:173], null, v[108:109], v[108:109], 1.0
	s_delay_alu instid0(VALU_DEP_1) | instskip(SKIP_2) | instid1(VALU_DEP_1)
	v_rcp_f64_e32 v[174:175], v[172:173]
	s_waitcnt_depctr 0xfff
	v_fma_f64 v[176:177], -v[172:173], v[174:175], 1.0
	v_fma_f64 v[174:175], v[174:175], v[176:177], v[174:175]
	s_delay_alu instid0(VALU_DEP_1) | instskip(NEXT) | instid1(VALU_DEP_1)
	v_fma_f64 v[176:177], -v[172:173], v[174:175], 1.0
	v_fma_f64 v[174:175], v[174:175], v[176:177], v[174:175]
	v_div_scale_f64 v[176:177], vcc_lo, 1.0, v[108:109], 1.0
	s_delay_alu instid0(VALU_DEP_1) | instskip(NEXT) | instid1(VALU_DEP_1)
	v_mul_f64 v[178:179], v[176:177], v[174:175]
	v_fma_f64 v[172:173], -v[172:173], v[178:179], v[176:177]
	s_delay_alu instid0(VALU_DEP_1) | instskip(NEXT) | instid1(VALU_DEP_1)
	v_div_fmas_f64 v[172:173], v[172:173], v[174:175], v[178:179]
	v_div_fixup_f64 v[108:109], v[172:173], v[108:109], 1.0
	s_delay_alu instid0(VALU_DEP_1)
	v_mul_f64 v[178:179], v[110:111], -v[108:109]
.LBB53_151:
	s_or_b32 exec_lo, exec_lo, s3
	ds_store_2addr_b64 v233, v[108:109], v[178:179] offset1:1
.LBB53_152:
	s_or_b32 exec_lo, exec_lo, s4
	s_waitcnt lgkmcnt(0)
	s_barrier
	buffer_gl0_inv
	ds_load_2addr_b64 v[172:175], v233 offset1:1
	s_mov_b32 s3, exec_lo
	v_cmpx_lt_u32_e32 16, v232
	s_cbranch_execz .LBB53_154
; %bb.153:
	s_waitcnt lgkmcnt(0)
	v_mul_f64 v[108:109], v[172:173], v[42:43]
	v_mul_f64 v[42:43], v[174:175], v[42:43]
	s_delay_alu instid0(VALU_DEP_2)
	v_fma_f64 v[180:181], v[174:175], v[40:41], v[108:109]
	ds_load_2addr_b64 v[108:111], v236 offset0:34 offset1:35
	ds_load_2addr_b64 v[176:179], v236 offset0:36 offset1:37
	v_fma_f64 v[40:41], v[172:173], v[40:41], -v[42:43]
	s_waitcnt lgkmcnt(1)
	v_mul_f64 v[42:43], v[110:111], v[180:181]
	s_delay_alu instid0(VALU_DEP_1) | instskip(SKIP_1) | instid1(VALU_DEP_2)
	v_fma_f64 v[42:43], v[108:109], v[40:41], -v[42:43]
	v_mul_f64 v[108:109], v[108:109], v[180:181]
	v_add_f64 v[36:37], v[36:37], -v[42:43]
	s_delay_alu instid0(VALU_DEP_2) | instskip(SKIP_3) | instid1(VALU_DEP_3)
	v_fma_f64 v[182:183], v[110:111], v[40:41], v[108:109]
	s_waitcnt lgkmcnt(0)
	v_mul_f64 v[108:109], v[178:179], v[180:181]
	v_dual_mov_b32 v42, v180 :: v_dual_mov_b32 v43, v181
	v_add_f64 v[38:39], v[38:39], -v[182:183]
	s_delay_alu instid0(VALU_DEP_3) | instskip(SKIP_1) | instid1(VALU_DEP_2)
	v_fma_f64 v[184:185], v[176:177], v[40:41], -v[108:109]
	v_mul_f64 v[108:109], v[176:177], v[180:181]
	v_add_f64 v[32:33], v[32:33], -v[184:185]
	s_delay_alu instid0(VALU_DEP_2)
	v_fma_f64 v[186:187], v[178:179], v[40:41], v[108:109]
	ds_load_2addr_b64 v[108:111], v236 offset0:38 offset1:39
	ds_load_2addr_b64 v[176:179], v236 offset0:40 offset1:41
	s_waitcnt lgkmcnt(1)
	v_mul_f64 v[188:189], v[110:111], v[180:181]
	v_add_f64 v[34:35], v[34:35], -v[186:187]
	s_delay_alu instid0(VALU_DEP_2) | instskip(SKIP_1) | instid1(VALU_DEP_2)
	v_fma_f64 v[188:189], v[108:109], v[40:41], -v[188:189]
	v_mul_f64 v[108:109], v[108:109], v[180:181]
	v_add_f64 v[28:29], v[28:29], -v[188:189]
	s_delay_alu instid0(VALU_DEP_2) | instskip(SKIP_2) | instid1(VALU_DEP_2)
	v_fma_f64 v[190:191], v[110:111], v[40:41], v[108:109]
	s_waitcnt lgkmcnt(0)
	v_mul_f64 v[108:109], v[178:179], v[180:181]
	v_add_f64 v[30:31], v[30:31], -v[190:191]
	s_delay_alu instid0(VALU_DEP_2) | instskip(SKIP_1) | instid1(VALU_DEP_2)
	v_fma_f64 v[192:193], v[176:177], v[40:41], -v[108:109]
	v_mul_f64 v[108:109], v[176:177], v[180:181]
	v_add_f64 v[24:25], v[24:25], -v[192:193]
	s_delay_alu instid0(VALU_DEP_2)
	v_fma_f64 v[194:195], v[178:179], v[40:41], v[108:109]
	ds_load_2addr_b64 v[108:111], v236 offset0:42 offset1:43
	ds_load_2addr_b64 v[176:179], v236 offset0:44 offset1:45
	s_waitcnt lgkmcnt(1)
	v_mul_f64 v[196:197], v[110:111], v[180:181]
	v_add_f64 v[26:27], v[26:27], -v[194:195]
	s_delay_alu instid0(VALU_DEP_2) | instskip(SKIP_1) | instid1(VALU_DEP_2)
	v_fma_f64 v[196:197], v[108:109], v[40:41], -v[196:197]
	v_mul_f64 v[108:109], v[108:109], v[180:181]
	v_add_f64 v[20:21], v[20:21], -v[196:197]
	s_delay_alu instid0(VALU_DEP_2) | instskip(SKIP_2) | instid1(VALU_DEP_2)
	v_fma_f64 v[198:199], v[110:111], v[40:41], v[108:109]
	s_waitcnt lgkmcnt(0)
	v_mul_f64 v[108:109], v[178:179], v[180:181]
	v_add_f64 v[22:23], v[22:23], -v[198:199]
	s_delay_alu instid0(VALU_DEP_2) | instskip(SKIP_1) | instid1(VALU_DEP_2)
	v_fma_f64 v[200:201], v[176:177], v[40:41], -v[108:109]
	v_mul_f64 v[108:109], v[176:177], v[180:181]
	v_add_f64 v[16:17], v[16:17], -v[200:201]
	s_delay_alu instid0(VALU_DEP_2)
	v_fma_f64 v[202:203], v[178:179], v[40:41], v[108:109]
	ds_load_2addr_b64 v[108:111], v236 offset0:46 offset1:47
	ds_load_2addr_b64 v[176:179], v236 offset0:48 offset1:49
	s_waitcnt lgkmcnt(1)
	v_mul_f64 v[204:205], v[110:111], v[180:181]
	v_add_f64 v[18:19], v[18:19], -v[202:203]
	s_delay_alu instid0(VALU_DEP_2) | instskip(SKIP_1) | instid1(VALU_DEP_2)
	v_fma_f64 v[204:205], v[108:109], v[40:41], -v[204:205]
	v_mul_f64 v[108:109], v[108:109], v[180:181]
	v_add_f64 v[12:13], v[12:13], -v[204:205]
	s_delay_alu instid0(VALU_DEP_2) | instskip(SKIP_2) | instid1(VALU_DEP_2)
	v_fma_f64 v[206:207], v[110:111], v[40:41], v[108:109]
	s_waitcnt lgkmcnt(0)
	v_mul_f64 v[108:109], v[178:179], v[180:181]
	v_add_f64 v[14:15], v[14:15], -v[206:207]
	s_delay_alu instid0(VALU_DEP_2) | instskip(SKIP_1) | instid1(VALU_DEP_2)
	v_fma_f64 v[208:209], v[176:177], v[40:41], -v[108:109]
	v_mul_f64 v[108:109], v[176:177], v[180:181]
	v_add_f64 v[8:9], v[8:9], -v[208:209]
	s_delay_alu instid0(VALU_DEP_2)
	v_fma_f64 v[210:211], v[178:179], v[40:41], v[108:109]
	ds_load_2addr_b64 v[108:111], v236 offset0:50 offset1:51
	ds_load_2addr_b64 v[176:179], v236 offset0:52 offset1:53
	s_waitcnt lgkmcnt(1)
	v_mul_f64 v[212:213], v[110:111], v[180:181]
	v_add_f64 v[10:11], v[10:11], -v[210:211]
	s_delay_alu instid0(VALU_DEP_2) | instskip(SKIP_1) | instid1(VALU_DEP_2)
	v_fma_f64 v[212:213], v[108:109], v[40:41], -v[212:213]
	v_mul_f64 v[108:109], v[108:109], v[180:181]
	v_add_f64 v[4:5], v[4:5], -v[212:213]
	s_delay_alu instid0(VALU_DEP_2) | instskip(SKIP_2) | instid1(VALU_DEP_2)
	v_fma_f64 v[108:109], v[110:111], v[40:41], v[108:109]
	s_waitcnt lgkmcnt(0)
	v_mul_f64 v[110:111], v[178:179], v[180:181]
	v_add_f64 v[6:7], v[6:7], -v[108:109]
	s_delay_alu instid0(VALU_DEP_2) | instskip(SKIP_1) | instid1(VALU_DEP_2)
	v_fma_f64 v[110:111], v[176:177], v[40:41], -v[110:111]
	v_mul_f64 v[176:177], v[176:177], v[180:181]
	v_add_f64 v[0:1], v[0:1], -v[110:111]
	s_delay_alu instid0(VALU_DEP_2) | instskip(NEXT) | instid1(VALU_DEP_1)
	v_fma_f64 v[176:177], v[178:179], v[40:41], v[176:177]
	v_add_f64 v[2:3], v[2:3], -v[176:177]
.LBB53_154:
	s_or_b32 exec_lo, exec_lo, s3
	s_delay_alu instid0(SALU_CYCLE_1)
	s_mov_b32 s4, exec_lo
	s_waitcnt lgkmcnt(0)
	s_barrier
	buffer_gl0_inv
	v_cmpx_eq_u32_e32 17, v232
	s_cbranch_execz .LBB53_161
; %bb.155:
	ds_store_2addr_b64 v233, v[36:37], v[38:39] offset1:1
	ds_store_2addr_b64 v236, v[32:33], v[34:35] offset0:36 offset1:37
	ds_store_2addr_b64 v236, v[28:29], v[30:31] offset0:38 offset1:39
	;; [unrolled: 1-line block ×9, first 2 shown]
	ds_load_2addr_b64 v[176:179], v233 offset1:1
	s_waitcnt lgkmcnt(0)
	v_cmp_neq_f64_e32 vcc_lo, 0, v[176:177]
	v_cmp_neq_f64_e64 s3, 0, v[178:179]
	s_delay_alu instid0(VALU_DEP_1) | instskip(NEXT) | instid1(SALU_CYCLE_1)
	s_or_b32 s3, vcc_lo, s3
	s_and_b32 exec_lo, exec_lo, s3
	s_cbranch_execz .LBB53_161
; %bb.156:
	v_cmp_gt_f64_e32 vcc_lo, 0, v[176:177]
	v_cmp_gt_f64_e64 s3, 0, v[178:179]
	v_xor_b32_e32 v108, 0x80000000, v177
	v_xor_b32_e32 v110, 0x80000000, v179
	s_delay_alu instid0(VALU_DEP_2) | instskip(NEXT) | instid1(VALU_DEP_2)
	v_cndmask_b32_e32 v109, v177, v108, vcc_lo
	v_cndmask_b32_e64 v111, v179, v110, s3
	v_cndmask_b32_e32 v108, v176, v176, vcc_lo
	v_cndmask_b32_e64 v110, v178, v178, s3
	s_delay_alu instid0(VALU_DEP_1) | instskip(SKIP_1) | instid1(SALU_CYCLE_1)
	v_cmp_ngt_f64_e32 vcc_lo, v[108:109], v[110:111]
                                        ; implicit-def: $vgpr108_vgpr109
	s_and_saveexec_b32 s3, vcc_lo
	s_xor_b32 s3, exec_lo, s3
                                        ; implicit-def: $vgpr180_vgpr181_vgpr182_vgpr183
	s_cbranch_execz .LBB53_158
; %bb.157:
	v_div_scale_f64 v[108:109], null, v[178:179], v[178:179], v[176:177]
	v_div_scale_f64 v[182:183], vcc_lo, v[176:177], v[178:179], v[176:177]
	s_delay_alu instid0(VALU_DEP_2) | instskip(SKIP_2) | instid1(VALU_DEP_1)
	v_rcp_f64_e32 v[110:111], v[108:109]
	s_waitcnt_depctr 0xfff
	v_fma_f64 v[180:181], -v[108:109], v[110:111], 1.0
	v_fma_f64 v[110:111], v[110:111], v[180:181], v[110:111]
	s_delay_alu instid0(VALU_DEP_1) | instskip(NEXT) | instid1(VALU_DEP_1)
	v_fma_f64 v[180:181], -v[108:109], v[110:111], 1.0
	v_fma_f64 v[110:111], v[110:111], v[180:181], v[110:111]
	s_delay_alu instid0(VALU_DEP_1) | instskip(NEXT) | instid1(VALU_DEP_1)
	v_mul_f64 v[180:181], v[182:183], v[110:111]
	v_fma_f64 v[108:109], -v[108:109], v[180:181], v[182:183]
	s_delay_alu instid0(VALU_DEP_1) | instskip(NEXT) | instid1(VALU_DEP_1)
	v_div_fmas_f64 v[108:109], v[108:109], v[110:111], v[180:181]
	v_div_fixup_f64 v[108:109], v[108:109], v[178:179], v[176:177]
	s_delay_alu instid0(VALU_DEP_1) | instskip(NEXT) | instid1(VALU_DEP_1)
	v_fma_f64 v[110:111], v[176:177], v[108:109], v[178:179]
	v_div_scale_f64 v[176:177], null, v[110:111], v[110:111], 1.0
	s_delay_alu instid0(VALU_DEP_1) | instskip(SKIP_2) | instid1(VALU_DEP_1)
	v_rcp_f64_e32 v[178:179], v[176:177]
	s_waitcnt_depctr 0xfff
	v_fma_f64 v[180:181], -v[176:177], v[178:179], 1.0
	v_fma_f64 v[178:179], v[178:179], v[180:181], v[178:179]
	s_delay_alu instid0(VALU_DEP_1) | instskip(NEXT) | instid1(VALU_DEP_1)
	v_fma_f64 v[180:181], -v[176:177], v[178:179], 1.0
	v_fma_f64 v[178:179], v[178:179], v[180:181], v[178:179]
	v_div_scale_f64 v[180:181], vcc_lo, 1.0, v[110:111], 1.0
	s_delay_alu instid0(VALU_DEP_1) | instskip(NEXT) | instid1(VALU_DEP_1)
	v_mul_f64 v[182:183], v[180:181], v[178:179]
	v_fma_f64 v[176:177], -v[176:177], v[182:183], v[180:181]
	s_delay_alu instid0(VALU_DEP_1) | instskip(NEXT) | instid1(VALU_DEP_1)
	v_div_fmas_f64 v[176:177], v[176:177], v[178:179], v[182:183]
	v_div_fixup_f64 v[182:183], v[176:177], v[110:111], 1.0
                                        ; implicit-def: $vgpr176_vgpr177
	s_delay_alu instid0(VALU_DEP_1)
	v_mul_f64 v[108:109], v[108:109], v[182:183]
	v_xor_b32_e32 v183, 0x80000000, v183
.LBB53_158:
	s_and_not1_saveexec_b32 s3, s3
	s_cbranch_execz .LBB53_160
; %bb.159:
	v_div_scale_f64 v[108:109], null, v[176:177], v[176:177], v[178:179]
	v_div_scale_f64 v[182:183], vcc_lo, v[178:179], v[176:177], v[178:179]
	s_delay_alu instid0(VALU_DEP_2) | instskip(SKIP_2) | instid1(VALU_DEP_1)
	v_rcp_f64_e32 v[110:111], v[108:109]
	s_waitcnt_depctr 0xfff
	v_fma_f64 v[180:181], -v[108:109], v[110:111], 1.0
	v_fma_f64 v[110:111], v[110:111], v[180:181], v[110:111]
	s_delay_alu instid0(VALU_DEP_1) | instskip(NEXT) | instid1(VALU_DEP_1)
	v_fma_f64 v[180:181], -v[108:109], v[110:111], 1.0
	v_fma_f64 v[110:111], v[110:111], v[180:181], v[110:111]
	s_delay_alu instid0(VALU_DEP_1) | instskip(NEXT) | instid1(VALU_DEP_1)
	v_mul_f64 v[180:181], v[182:183], v[110:111]
	v_fma_f64 v[108:109], -v[108:109], v[180:181], v[182:183]
	s_delay_alu instid0(VALU_DEP_1) | instskip(NEXT) | instid1(VALU_DEP_1)
	v_div_fmas_f64 v[108:109], v[108:109], v[110:111], v[180:181]
	v_div_fixup_f64 v[110:111], v[108:109], v[176:177], v[178:179]
	s_delay_alu instid0(VALU_DEP_1) | instskip(NEXT) | instid1(VALU_DEP_1)
	v_fma_f64 v[108:109], v[178:179], v[110:111], v[176:177]
	v_div_scale_f64 v[176:177], null, v[108:109], v[108:109], 1.0
	s_delay_alu instid0(VALU_DEP_1) | instskip(SKIP_2) | instid1(VALU_DEP_1)
	v_rcp_f64_e32 v[178:179], v[176:177]
	s_waitcnt_depctr 0xfff
	v_fma_f64 v[180:181], -v[176:177], v[178:179], 1.0
	v_fma_f64 v[178:179], v[178:179], v[180:181], v[178:179]
	s_delay_alu instid0(VALU_DEP_1) | instskip(NEXT) | instid1(VALU_DEP_1)
	v_fma_f64 v[180:181], -v[176:177], v[178:179], 1.0
	v_fma_f64 v[178:179], v[178:179], v[180:181], v[178:179]
	v_div_scale_f64 v[180:181], vcc_lo, 1.0, v[108:109], 1.0
	s_delay_alu instid0(VALU_DEP_1) | instskip(NEXT) | instid1(VALU_DEP_1)
	v_mul_f64 v[182:183], v[180:181], v[178:179]
	v_fma_f64 v[176:177], -v[176:177], v[182:183], v[180:181]
	s_delay_alu instid0(VALU_DEP_1) | instskip(NEXT) | instid1(VALU_DEP_1)
	v_div_fmas_f64 v[176:177], v[176:177], v[178:179], v[182:183]
	v_div_fixup_f64 v[108:109], v[176:177], v[108:109], 1.0
	s_delay_alu instid0(VALU_DEP_1)
	v_mul_f64 v[182:183], v[110:111], -v[108:109]
.LBB53_160:
	s_or_b32 exec_lo, exec_lo, s3
	ds_store_2addr_b64 v233, v[108:109], v[182:183] offset1:1
.LBB53_161:
	s_or_b32 exec_lo, exec_lo, s4
	s_waitcnt lgkmcnt(0)
	s_barrier
	buffer_gl0_inv
	ds_load_2addr_b64 v[176:179], v233 offset1:1
	s_mov_b32 s3, exec_lo
	v_cmpx_lt_u32_e32 17, v232
	s_cbranch_execz .LBB53_163
; %bb.162:
	s_waitcnt lgkmcnt(0)
	v_mul_f64 v[108:109], v[176:177], v[38:39]
	v_mul_f64 v[38:39], v[178:179], v[38:39]
	s_delay_alu instid0(VALU_DEP_2)
	v_fma_f64 v[184:185], v[178:179], v[36:37], v[108:109]
	ds_load_2addr_b64 v[108:111], v236 offset0:36 offset1:37
	ds_load_2addr_b64 v[180:183], v236 offset0:38 offset1:39
	v_fma_f64 v[36:37], v[176:177], v[36:37], -v[38:39]
	s_waitcnt lgkmcnt(1)
	v_mul_f64 v[38:39], v[110:111], v[184:185]
	s_delay_alu instid0(VALU_DEP_1) | instskip(SKIP_1) | instid1(VALU_DEP_2)
	v_fma_f64 v[38:39], v[108:109], v[36:37], -v[38:39]
	v_mul_f64 v[108:109], v[108:109], v[184:185]
	v_add_f64 v[32:33], v[32:33], -v[38:39]
	s_delay_alu instid0(VALU_DEP_2) | instskip(SKIP_3) | instid1(VALU_DEP_3)
	v_fma_f64 v[186:187], v[110:111], v[36:37], v[108:109]
	s_waitcnt lgkmcnt(0)
	v_mul_f64 v[108:109], v[182:183], v[184:185]
	v_dual_mov_b32 v38, v184 :: v_dual_mov_b32 v39, v185
	v_add_f64 v[34:35], v[34:35], -v[186:187]
	s_delay_alu instid0(VALU_DEP_3) | instskip(SKIP_1) | instid1(VALU_DEP_2)
	v_fma_f64 v[188:189], v[180:181], v[36:37], -v[108:109]
	v_mul_f64 v[108:109], v[180:181], v[184:185]
	v_add_f64 v[28:29], v[28:29], -v[188:189]
	s_delay_alu instid0(VALU_DEP_2)
	v_fma_f64 v[190:191], v[182:183], v[36:37], v[108:109]
	ds_load_2addr_b64 v[108:111], v236 offset0:40 offset1:41
	ds_load_2addr_b64 v[180:183], v236 offset0:42 offset1:43
	s_waitcnt lgkmcnt(1)
	v_mul_f64 v[192:193], v[110:111], v[184:185]
	v_add_f64 v[30:31], v[30:31], -v[190:191]
	s_delay_alu instid0(VALU_DEP_2) | instskip(SKIP_1) | instid1(VALU_DEP_2)
	v_fma_f64 v[192:193], v[108:109], v[36:37], -v[192:193]
	v_mul_f64 v[108:109], v[108:109], v[184:185]
	v_add_f64 v[24:25], v[24:25], -v[192:193]
	s_delay_alu instid0(VALU_DEP_2) | instskip(SKIP_2) | instid1(VALU_DEP_2)
	v_fma_f64 v[194:195], v[110:111], v[36:37], v[108:109]
	s_waitcnt lgkmcnt(0)
	v_mul_f64 v[108:109], v[182:183], v[184:185]
	v_add_f64 v[26:27], v[26:27], -v[194:195]
	s_delay_alu instid0(VALU_DEP_2) | instskip(SKIP_1) | instid1(VALU_DEP_2)
	v_fma_f64 v[196:197], v[180:181], v[36:37], -v[108:109]
	v_mul_f64 v[108:109], v[180:181], v[184:185]
	v_add_f64 v[20:21], v[20:21], -v[196:197]
	s_delay_alu instid0(VALU_DEP_2)
	v_fma_f64 v[198:199], v[182:183], v[36:37], v[108:109]
	ds_load_2addr_b64 v[108:111], v236 offset0:44 offset1:45
	ds_load_2addr_b64 v[180:183], v236 offset0:46 offset1:47
	s_waitcnt lgkmcnt(1)
	v_mul_f64 v[200:201], v[110:111], v[184:185]
	v_add_f64 v[22:23], v[22:23], -v[198:199]
	s_delay_alu instid0(VALU_DEP_2) | instskip(SKIP_1) | instid1(VALU_DEP_2)
	v_fma_f64 v[200:201], v[108:109], v[36:37], -v[200:201]
	v_mul_f64 v[108:109], v[108:109], v[184:185]
	v_add_f64 v[16:17], v[16:17], -v[200:201]
	s_delay_alu instid0(VALU_DEP_2) | instskip(SKIP_2) | instid1(VALU_DEP_2)
	v_fma_f64 v[202:203], v[110:111], v[36:37], v[108:109]
	s_waitcnt lgkmcnt(0)
	v_mul_f64 v[108:109], v[182:183], v[184:185]
	v_add_f64 v[18:19], v[18:19], -v[202:203]
	s_delay_alu instid0(VALU_DEP_2) | instskip(SKIP_1) | instid1(VALU_DEP_2)
	;; [unrolled: 20-line block ×3, first 2 shown]
	v_fma_f64 v[212:213], v[180:181], v[36:37], -v[108:109]
	v_mul_f64 v[108:109], v[180:181], v[184:185]
	v_add_f64 v[4:5], v[4:5], -v[212:213]
	s_delay_alu instid0(VALU_DEP_2) | instskip(SKIP_4) | instid1(VALU_DEP_2)
	v_fma_f64 v[180:181], v[182:183], v[36:37], v[108:109]
	ds_load_2addr_b64 v[108:111], v236 offset0:52 offset1:53
	s_waitcnt lgkmcnt(0)
	v_mul_f64 v[182:183], v[110:111], v[184:185]
	v_add_f64 v[6:7], v[6:7], -v[180:181]
	v_fma_f64 v[182:183], v[108:109], v[36:37], -v[182:183]
	v_mul_f64 v[108:109], v[108:109], v[184:185]
	s_delay_alu instid0(VALU_DEP_2) | instskip(NEXT) | instid1(VALU_DEP_2)
	v_add_f64 v[0:1], v[0:1], -v[182:183]
	v_fma_f64 v[108:109], v[110:111], v[36:37], v[108:109]
	s_delay_alu instid0(VALU_DEP_1)
	v_add_f64 v[2:3], v[2:3], -v[108:109]
.LBB53_163:
	s_or_b32 exec_lo, exec_lo, s3
	s_delay_alu instid0(SALU_CYCLE_1)
	s_mov_b32 s4, exec_lo
	s_waitcnt lgkmcnt(0)
	s_barrier
	buffer_gl0_inv
	v_cmpx_eq_u32_e32 18, v232
	s_cbranch_execz .LBB53_170
; %bb.164:
	ds_store_2addr_b64 v233, v[32:33], v[34:35] offset1:1
	ds_store_2addr_b64 v236, v[28:29], v[30:31] offset0:38 offset1:39
	ds_store_2addr_b64 v236, v[24:25], v[26:27] offset0:40 offset1:41
	;; [unrolled: 1-line block ×8, first 2 shown]
	ds_load_2addr_b64 v[180:183], v233 offset1:1
	s_waitcnt lgkmcnt(0)
	v_cmp_neq_f64_e32 vcc_lo, 0, v[180:181]
	v_cmp_neq_f64_e64 s3, 0, v[182:183]
	s_delay_alu instid0(VALU_DEP_1) | instskip(NEXT) | instid1(SALU_CYCLE_1)
	s_or_b32 s3, vcc_lo, s3
	s_and_b32 exec_lo, exec_lo, s3
	s_cbranch_execz .LBB53_170
; %bb.165:
	v_cmp_gt_f64_e32 vcc_lo, 0, v[180:181]
	v_cmp_gt_f64_e64 s3, 0, v[182:183]
	v_xor_b32_e32 v108, 0x80000000, v181
	v_xor_b32_e32 v110, 0x80000000, v183
	s_delay_alu instid0(VALU_DEP_2) | instskip(NEXT) | instid1(VALU_DEP_2)
	v_cndmask_b32_e32 v109, v181, v108, vcc_lo
	v_cndmask_b32_e64 v111, v183, v110, s3
	v_cndmask_b32_e32 v108, v180, v180, vcc_lo
	v_cndmask_b32_e64 v110, v182, v182, s3
	s_delay_alu instid0(VALU_DEP_1) | instskip(SKIP_1) | instid1(SALU_CYCLE_1)
	v_cmp_ngt_f64_e32 vcc_lo, v[108:109], v[110:111]
                                        ; implicit-def: $vgpr108_vgpr109
	s_and_saveexec_b32 s3, vcc_lo
	s_xor_b32 s3, exec_lo, s3
                                        ; implicit-def: $vgpr184_vgpr185_vgpr186_vgpr187
	s_cbranch_execz .LBB53_167
; %bb.166:
	v_div_scale_f64 v[108:109], null, v[182:183], v[182:183], v[180:181]
	v_div_scale_f64 v[186:187], vcc_lo, v[180:181], v[182:183], v[180:181]
	s_delay_alu instid0(VALU_DEP_2) | instskip(SKIP_2) | instid1(VALU_DEP_1)
	v_rcp_f64_e32 v[110:111], v[108:109]
	s_waitcnt_depctr 0xfff
	v_fma_f64 v[184:185], -v[108:109], v[110:111], 1.0
	v_fma_f64 v[110:111], v[110:111], v[184:185], v[110:111]
	s_delay_alu instid0(VALU_DEP_1) | instskip(NEXT) | instid1(VALU_DEP_1)
	v_fma_f64 v[184:185], -v[108:109], v[110:111], 1.0
	v_fma_f64 v[110:111], v[110:111], v[184:185], v[110:111]
	s_delay_alu instid0(VALU_DEP_1) | instskip(NEXT) | instid1(VALU_DEP_1)
	v_mul_f64 v[184:185], v[186:187], v[110:111]
	v_fma_f64 v[108:109], -v[108:109], v[184:185], v[186:187]
	s_delay_alu instid0(VALU_DEP_1) | instskip(NEXT) | instid1(VALU_DEP_1)
	v_div_fmas_f64 v[108:109], v[108:109], v[110:111], v[184:185]
	v_div_fixup_f64 v[108:109], v[108:109], v[182:183], v[180:181]
	s_delay_alu instid0(VALU_DEP_1) | instskip(NEXT) | instid1(VALU_DEP_1)
	v_fma_f64 v[110:111], v[180:181], v[108:109], v[182:183]
	v_div_scale_f64 v[180:181], null, v[110:111], v[110:111], 1.0
	s_delay_alu instid0(VALU_DEP_1) | instskip(SKIP_2) | instid1(VALU_DEP_1)
	v_rcp_f64_e32 v[182:183], v[180:181]
	s_waitcnt_depctr 0xfff
	v_fma_f64 v[184:185], -v[180:181], v[182:183], 1.0
	v_fma_f64 v[182:183], v[182:183], v[184:185], v[182:183]
	s_delay_alu instid0(VALU_DEP_1) | instskip(NEXT) | instid1(VALU_DEP_1)
	v_fma_f64 v[184:185], -v[180:181], v[182:183], 1.0
	v_fma_f64 v[182:183], v[182:183], v[184:185], v[182:183]
	v_div_scale_f64 v[184:185], vcc_lo, 1.0, v[110:111], 1.0
	s_delay_alu instid0(VALU_DEP_1) | instskip(NEXT) | instid1(VALU_DEP_1)
	v_mul_f64 v[186:187], v[184:185], v[182:183]
	v_fma_f64 v[180:181], -v[180:181], v[186:187], v[184:185]
	s_delay_alu instid0(VALU_DEP_1) | instskip(NEXT) | instid1(VALU_DEP_1)
	v_div_fmas_f64 v[180:181], v[180:181], v[182:183], v[186:187]
	v_div_fixup_f64 v[186:187], v[180:181], v[110:111], 1.0
                                        ; implicit-def: $vgpr180_vgpr181
	s_delay_alu instid0(VALU_DEP_1)
	v_mul_f64 v[108:109], v[108:109], v[186:187]
	v_xor_b32_e32 v187, 0x80000000, v187
.LBB53_167:
	s_and_not1_saveexec_b32 s3, s3
	s_cbranch_execz .LBB53_169
; %bb.168:
	v_div_scale_f64 v[108:109], null, v[180:181], v[180:181], v[182:183]
	v_div_scale_f64 v[186:187], vcc_lo, v[182:183], v[180:181], v[182:183]
	s_delay_alu instid0(VALU_DEP_2) | instskip(SKIP_2) | instid1(VALU_DEP_1)
	v_rcp_f64_e32 v[110:111], v[108:109]
	s_waitcnt_depctr 0xfff
	v_fma_f64 v[184:185], -v[108:109], v[110:111], 1.0
	v_fma_f64 v[110:111], v[110:111], v[184:185], v[110:111]
	s_delay_alu instid0(VALU_DEP_1) | instskip(NEXT) | instid1(VALU_DEP_1)
	v_fma_f64 v[184:185], -v[108:109], v[110:111], 1.0
	v_fma_f64 v[110:111], v[110:111], v[184:185], v[110:111]
	s_delay_alu instid0(VALU_DEP_1) | instskip(NEXT) | instid1(VALU_DEP_1)
	v_mul_f64 v[184:185], v[186:187], v[110:111]
	v_fma_f64 v[108:109], -v[108:109], v[184:185], v[186:187]
	s_delay_alu instid0(VALU_DEP_1) | instskip(NEXT) | instid1(VALU_DEP_1)
	v_div_fmas_f64 v[108:109], v[108:109], v[110:111], v[184:185]
	v_div_fixup_f64 v[110:111], v[108:109], v[180:181], v[182:183]
	s_delay_alu instid0(VALU_DEP_1) | instskip(NEXT) | instid1(VALU_DEP_1)
	v_fma_f64 v[108:109], v[182:183], v[110:111], v[180:181]
	v_div_scale_f64 v[180:181], null, v[108:109], v[108:109], 1.0
	s_delay_alu instid0(VALU_DEP_1) | instskip(SKIP_2) | instid1(VALU_DEP_1)
	v_rcp_f64_e32 v[182:183], v[180:181]
	s_waitcnt_depctr 0xfff
	v_fma_f64 v[184:185], -v[180:181], v[182:183], 1.0
	v_fma_f64 v[182:183], v[182:183], v[184:185], v[182:183]
	s_delay_alu instid0(VALU_DEP_1) | instskip(NEXT) | instid1(VALU_DEP_1)
	v_fma_f64 v[184:185], -v[180:181], v[182:183], 1.0
	v_fma_f64 v[182:183], v[182:183], v[184:185], v[182:183]
	v_div_scale_f64 v[184:185], vcc_lo, 1.0, v[108:109], 1.0
	s_delay_alu instid0(VALU_DEP_1) | instskip(NEXT) | instid1(VALU_DEP_1)
	v_mul_f64 v[186:187], v[184:185], v[182:183]
	v_fma_f64 v[180:181], -v[180:181], v[186:187], v[184:185]
	s_delay_alu instid0(VALU_DEP_1) | instskip(NEXT) | instid1(VALU_DEP_1)
	v_div_fmas_f64 v[180:181], v[180:181], v[182:183], v[186:187]
	v_div_fixup_f64 v[108:109], v[180:181], v[108:109], 1.0
	s_delay_alu instid0(VALU_DEP_1)
	v_mul_f64 v[186:187], v[110:111], -v[108:109]
.LBB53_169:
	s_or_b32 exec_lo, exec_lo, s3
	ds_store_2addr_b64 v233, v[108:109], v[186:187] offset1:1
.LBB53_170:
	s_or_b32 exec_lo, exec_lo, s4
	s_waitcnt lgkmcnt(0)
	s_barrier
	buffer_gl0_inv
	ds_load_2addr_b64 v[180:183], v233 offset1:1
	s_mov_b32 s3, exec_lo
	v_cmpx_lt_u32_e32 18, v232
	s_cbranch_execz .LBB53_172
; %bb.171:
	s_waitcnt lgkmcnt(0)
	v_mul_f64 v[108:109], v[180:181], v[34:35]
	v_mul_f64 v[34:35], v[182:183], v[34:35]
	s_delay_alu instid0(VALU_DEP_2)
	v_fma_f64 v[188:189], v[182:183], v[32:33], v[108:109]
	ds_load_2addr_b64 v[108:111], v236 offset0:38 offset1:39
	ds_load_2addr_b64 v[184:187], v236 offset0:40 offset1:41
	v_fma_f64 v[32:33], v[180:181], v[32:33], -v[34:35]
	s_waitcnt lgkmcnt(1)
	v_mul_f64 v[34:35], v[110:111], v[188:189]
	s_delay_alu instid0(VALU_DEP_1) | instskip(SKIP_1) | instid1(VALU_DEP_2)
	v_fma_f64 v[34:35], v[108:109], v[32:33], -v[34:35]
	v_mul_f64 v[108:109], v[108:109], v[188:189]
	v_add_f64 v[28:29], v[28:29], -v[34:35]
	s_delay_alu instid0(VALU_DEP_2) | instskip(SKIP_3) | instid1(VALU_DEP_3)
	v_fma_f64 v[190:191], v[110:111], v[32:33], v[108:109]
	s_waitcnt lgkmcnt(0)
	v_mul_f64 v[108:109], v[186:187], v[188:189]
	v_dual_mov_b32 v34, v188 :: v_dual_mov_b32 v35, v189
	v_add_f64 v[30:31], v[30:31], -v[190:191]
	s_delay_alu instid0(VALU_DEP_3) | instskip(SKIP_1) | instid1(VALU_DEP_2)
	v_fma_f64 v[192:193], v[184:185], v[32:33], -v[108:109]
	v_mul_f64 v[108:109], v[184:185], v[188:189]
	v_add_f64 v[24:25], v[24:25], -v[192:193]
	s_delay_alu instid0(VALU_DEP_2)
	v_fma_f64 v[194:195], v[186:187], v[32:33], v[108:109]
	ds_load_2addr_b64 v[108:111], v236 offset0:42 offset1:43
	ds_load_2addr_b64 v[184:187], v236 offset0:44 offset1:45
	s_waitcnt lgkmcnt(1)
	v_mul_f64 v[196:197], v[110:111], v[188:189]
	v_add_f64 v[26:27], v[26:27], -v[194:195]
	s_delay_alu instid0(VALU_DEP_2) | instskip(SKIP_1) | instid1(VALU_DEP_2)
	v_fma_f64 v[196:197], v[108:109], v[32:33], -v[196:197]
	v_mul_f64 v[108:109], v[108:109], v[188:189]
	v_add_f64 v[20:21], v[20:21], -v[196:197]
	s_delay_alu instid0(VALU_DEP_2) | instskip(SKIP_2) | instid1(VALU_DEP_2)
	v_fma_f64 v[198:199], v[110:111], v[32:33], v[108:109]
	s_waitcnt lgkmcnt(0)
	v_mul_f64 v[108:109], v[186:187], v[188:189]
	v_add_f64 v[22:23], v[22:23], -v[198:199]
	s_delay_alu instid0(VALU_DEP_2) | instskip(SKIP_1) | instid1(VALU_DEP_2)
	v_fma_f64 v[200:201], v[184:185], v[32:33], -v[108:109]
	v_mul_f64 v[108:109], v[184:185], v[188:189]
	v_add_f64 v[16:17], v[16:17], -v[200:201]
	s_delay_alu instid0(VALU_DEP_2)
	v_fma_f64 v[202:203], v[186:187], v[32:33], v[108:109]
	ds_load_2addr_b64 v[108:111], v236 offset0:46 offset1:47
	ds_load_2addr_b64 v[184:187], v236 offset0:48 offset1:49
	s_waitcnt lgkmcnt(1)
	v_mul_f64 v[204:205], v[110:111], v[188:189]
	v_add_f64 v[18:19], v[18:19], -v[202:203]
	s_delay_alu instid0(VALU_DEP_2) | instskip(SKIP_1) | instid1(VALU_DEP_2)
	v_fma_f64 v[204:205], v[108:109], v[32:33], -v[204:205]
	v_mul_f64 v[108:109], v[108:109], v[188:189]
	v_add_f64 v[12:13], v[12:13], -v[204:205]
	s_delay_alu instid0(VALU_DEP_2) | instskip(SKIP_2) | instid1(VALU_DEP_2)
	v_fma_f64 v[206:207], v[110:111], v[32:33], v[108:109]
	s_waitcnt lgkmcnt(0)
	v_mul_f64 v[108:109], v[186:187], v[188:189]
	v_add_f64 v[14:15], v[14:15], -v[206:207]
	s_delay_alu instid0(VALU_DEP_2) | instskip(SKIP_1) | instid1(VALU_DEP_2)
	;; [unrolled: 20-line block ×3, first 2 shown]
	v_fma_f64 v[110:111], v[184:185], v[32:33], -v[110:111]
	v_mul_f64 v[184:185], v[184:185], v[188:189]
	v_add_f64 v[0:1], v[0:1], -v[110:111]
	s_delay_alu instid0(VALU_DEP_2) | instskip(NEXT) | instid1(VALU_DEP_1)
	v_fma_f64 v[184:185], v[186:187], v[32:33], v[184:185]
	v_add_f64 v[2:3], v[2:3], -v[184:185]
.LBB53_172:
	s_or_b32 exec_lo, exec_lo, s3
	s_delay_alu instid0(SALU_CYCLE_1)
	s_mov_b32 s4, exec_lo
	s_waitcnt lgkmcnt(0)
	s_barrier
	buffer_gl0_inv
	v_cmpx_eq_u32_e32 19, v232
	s_cbranch_execz .LBB53_179
; %bb.173:
	ds_store_2addr_b64 v233, v[28:29], v[30:31] offset1:1
	ds_store_2addr_b64 v236, v[24:25], v[26:27] offset0:40 offset1:41
	ds_store_2addr_b64 v236, v[20:21], v[22:23] offset0:42 offset1:43
	;; [unrolled: 1-line block ×7, first 2 shown]
	ds_load_2addr_b64 v[184:187], v233 offset1:1
	s_waitcnt lgkmcnt(0)
	v_cmp_neq_f64_e32 vcc_lo, 0, v[184:185]
	v_cmp_neq_f64_e64 s3, 0, v[186:187]
	s_delay_alu instid0(VALU_DEP_1) | instskip(NEXT) | instid1(SALU_CYCLE_1)
	s_or_b32 s3, vcc_lo, s3
	s_and_b32 exec_lo, exec_lo, s3
	s_cbranch_execz .LBB53_179
; %bb.174:
	v_cmp_gt_f64_e32 vcc_lo, 0, v[184:185]
	v_cmp_gt_f64_e64 s3, 0, v[186:187]
	v_xor_b32_e32 v108, 0x80000000, v185
	v_xor_b32_e32 v110, 0x80000000, v187
	s_delay_alu instid0(VALU_DEP_2) | instskip(NEXT) | instid1(VALU_DEP_2)
	v_cndmask_b32_e32 v109, v185, v108, vcc_lo
	v_cndmask_b32_e64 v111, v187, v110, s3
	v_cndmask_b32_e32 v108, v184, v184, vcc_lo
	v_cndmask_b32_e64 v110, v186, v186, s3
	s_delay_alu instid0(VALU_DEP_1) | instskip(SKIP_1) | instid1(SALU_CYCLE_1)
	v_cmp_ngt_f64_e32 vcc_lo, v[108:109], v[110:111]
                                        ; implicit-def: $vgpr108_vgpr109
	s_and_saveexec_b32 s3, vcc_lo
	s_xor_b32 s3, exec_lo, s3
                                        ; implicit-def: $vgpr188_vgpr189_vgpr190_vgpr191
	s_cbranch_execz .LBB53_176
; %bb.175:
	v_div_scale_f64 v[108:109], null, v[186:187], v[186:187], v[184:185]
	v_div_scale_f64 v[190:191], vcc_lo, v[184:185], v[186:187], v[184:185]
	s_delay_alu instid0(VALU_DEP_2) | instskip(SKIP_2) | instid1(VALU_DEP_1)
	v_rcp_f64_e32 v[110:111], v[108:109]
	s_waitcnt_depctr 0xfff
	v_fma_f64 v[188:189], -v[108:109], v[110:111], 1.0
	v_fma_f64 v[110:111], v[110:111], v[188:189], v[110:111]
	s_delay_alu instid0(VALU_DEP_1) | instskip(NEXT) | instid1(VALU_DEP_1)
	v_fma_f64 v[188:189], -v[108:109], v[110:111], 1.0
	v_fma_f64 v[110:111], v[110:111], v[188:189], v[110:111]
	s_delay_alu instid0(VALU_DEP_1) | instskip(NEXT) | instid1(VALU_DEP_1)
	v_mul_f64 v[188:189], v[190:191], v[110:111]
	v_fma_f64 v[108:109], -v[108:109], v[188:189], v[190:191]
	s_delay_alu instid0(VALU_DEP_1) | instskip(NEXT) | instid1(VALU_DEP_1)
	v_div_fmas_f64 v[108:109], v[108:109], v[110:111], v[188:189]
	v_div_fixup_f64 v[108:109], v[108:109], v[186:187], v[184:185]
	s_delay_alu instid0(VALU_DEP_1) | instskip(NEXT) | instid1(VALU_DEP_1)
	v_fma_f64 v[110:111], v[184:185], v[108:109], v[186:187]
	v_div_scale_f64 v[184:185], null, v[110:111], v[110:111], 1.0
	s_delay_alu instid0(VALU_DEP_1) | instskip(SKIP_2) | instid1(VALU_DEP_1)
	v_rcp_f64_e32 v[186:187], v[184:185]
	s_waitcnt_depctr 0xfff
	v_fma_f64 v[188:189], -v[184:185], v[186:187], 1.0
	v_fma_f64 v[186:187], v[186:187], v[188:189], v[186:187]
	s_delay_alu instid0(VALU_DEP_1) | instskip(NEXT) | instid1(VALU_DEP_1)
	v_fma_f64 v[188:189], -v[184:185], v[186:187], 1.0
	v_fma_f64 v[186:187], v[186:187], v[188:189], v[186:187]
	v_div_scale_f64 v[188:189], vcc_lo, 1.0, v[110:111], 1.0
	s_delay_alu instid0(VALU_DEP_1) | instskip(NEXT) | instid1(VALU_DEP_1)
	v_mul_f64 v[190:191], v[188:189], v[186:187]
	v_fma_f64 v[184:185], -v[184:185], v[190:191], v[188:189]
	s_delay_alu instid0(VALU_DEP_1) | instskip(NEXT) | instid1(VALU_DEP_1)
	v_div_fmas_f64 v[184:185], v[184:185], v[186:187], v[190:191]
	v_div_fixup_f64 v[190:191], v[184:185], v[110:111], 1.0
                                        ; implicit-def: $vgpr184_vgpr185
	s_delay_alu instid0(VALU_DEP_1)
	v_mul_f64 v[108:109], v[108:109], v[190:191]
	v_xor_b32_e32 v191, 0x80000000, v191
.LBB53_176:
	s_and_not1_saveexec_b32 s3, s3
	s_cbranch_execz .LBB53_178
; %bb.177:
	v_div_scale_f64 v[108:109], null, v[184:185], v[184:185], v[186:187]
	v_div_scale_f64 v[190:191], vcc_lo, v[186:187], v[184:185], v[186:187]
	s_delay_alu instid0(VALU_DEP_2) | instskip(SKIP_2) | instid1(VALU_DEP_1)
	v_rcp_f64_e32 v[110:111], v[108:109]
	s_waitcnt_depctr 0xfff
	v_fma_f64 v[188:189], -v[108:109], v[110:111], 1.0
	v_fma_f64 v[110:111], v[110:111], v[188:189], v[110:111]
	s_delay_alu instid0(VALU_DEP_1) | instskip(NEXT) | instid1(VALU_DEP_1)
	v_fma_f64 v[188:189], -v[108:109], v[110:111], 1.0
	v_fma_f64 v[110:111], v[110:111], v[188:189], v[110:111]
	s_delay_alu instid0(VALU_DEP_1) | instskip(NEXT) | instid1(VALU_DEP_1)
	v_mul_f64 v[188:189], v[190:191], v[110:111]
	v_fma_f64 v[108:109], -v[108:109], v[188:189], v[190:191]
	s_delay_alu instid0(VALU_DEP_1) | instskip(NEXT) | instid1(VALU_DEP_1)
	v_div_fmas_f64 v[108:109], v[108:109], v[110:111], v[188:189]
	v_div_fixup_f64 v[110:111], v[108:109], v[184:185], v[186:187]
	s_delay_alu instid0(VALU_DEP_1) | instskip(NEXT) | instid1(VALU_DEP_1)
	v_fma_f64 v[108:109], v[186:187], v[110:111], v[184:185]
	v_div_scale_f64 v[184:185], null, v[108:109], v[108:109], 1.0
	s_delay_alu instid0(VALU_DEP_1) | instskip(SKIP_2) | instid1(VALU_DEP_1)
	v_rcp_f64_e32 v[186:187], v[184:185]
	s_waitcnt_depctr 0xfff
	v_fma_f64 v[188:189], -v[184:185], v[186:187], 1.0
	v_fma_f64 v[186:187], v[186:187], v[188:189], v[186:187]
	s_delay_alu instid0(VALU_DEP_1) | instskip(NEXT) | instid1(VALU_DEP_1)
	v_fma_f64 v[188:189], -v[184:185], v[186:187], 1.0
	v_fma_f64 v[186:187], v[186:187], v[188:189], v[186:187]
	v_div_scale_f64 v[188:189], vcc_lo, 1.0, v[108:109], 1.0
	s_delay_alu instid0(VALU_DEP_1) | instskip(NEXT) | instid1(VALU_DEP_1)
	v_mul_f64 v[190:191], v[188:189], v[186:187]
	v_fma_f64 v[184:185], -v[184:185], v[190:191], v[188:189]
	s_delay_alu instid0(VALU_DEP_1) | instskip(NEXT) | instid1(VALU_DEP_1)
	v_div_fmas_f64 v[184:185], v[184:185], v[186:187], v[190:191]
	v_div_fixup_f64 v[108:109], v[184:185], v[108:109], 1.0
	s_delay_alu instid0(VALU_DEP_1)
	v_mul_f64 v[190:191], v[110:111], -v[108:109]
.LBB53_178:
	s_or_b32 exec_lo, exec_lo, s3
	ds_store_2addr_b64 v233, v[108:109], v[190:191] offset1:1
.LBB53_179:
	s_or_b32 exec_lo, exec_lo, s4
	s_waitcnt lgkmcnt(0)
	s_barrier
	buffer_gl0_inv
	ds_load_2addr_b64 v[184:187], v233 offset1:1
	s_mov_b32 s3, exec_lo
	v_cmpx_lt_u32_e32 19, v232
	s_cbranch_execz .LBB53_181
; %bb.180:
	s_waitcnt lgkmcnt(0)
	v_mul_f64 v[108:109], v[184:185], v[30:31]
	v_mul_f64 v[30:31], v[186:187], v[30:31]
	s_delay_alu instid0(VALU_DEP_2)
	v_fma_f64 v[192:193], v[186:187], v[28:29], v[108:109]
	ds_load_2addr_b64 v[108:111], v236 offset0:40 offset1:41
	ds_load_2addr_b64 v[188:191], v236 offset0:42 offset1:43
	v_fma_f64 v[28:29], v[184:185], v[28:29], -v[30:31]
	s_waitcnt lgkmcnt(1)
	v_mul_f64 v[30:31], v[110:111], v[192:193]
	s_delay_alu instid0(VALU_DEP_1) | instskip(SKIP_1) | instid1(VALU_DEP_2)
	v_fma_f64 v[30:31], v[108:109], v[28:29], -v[30:31]
	v_mul_f64 v[108:109], v[108:109], v[192:193]
	v_add_f64 v[24:25], v[24:25], -v[30:31]
	s_delay_alu instid0(VALU_DEP_2) | instskip(SKIP_3) | instid1(VALU_DEP_3)
	v_fma_f64 v[194:195], v[110:111], v[28:29], v[108:109]
	s_waitcnt lgkmcnt(0)
	v_mul_f64 v[108:109], v[190:191], v[192:193]
	v_dual_mov_b32 v30, v192 :: v_dual_mov_b32 v31, v193
	v_add_f64 v[26:27], v[26:27], -v[194:195]
	s_delay_alu instid0(VALU_DEP_3) | instskip(SKIP_1) | instid1(VALU_DEP_2)
	v_fma_f64 v[196:197], v[188:189], v[28:29], -v[108:109]
	v_mul_f64 v[108:109], v[188:189], v[192:193]
	v_add_f64 v[20:21], v[20:21], -v[196:197]
	s_delay_alu instid0(VALU_DEP_2)
	v_fma_f64 v[198:199], v[190:191], v[28:29], v[108:109]
	ds_load_2addr_b64 v[108:111], v236 offset0:44 offset1:45
	ds_load_2addr_b64 v[188:191], v236 offset0:46 offset1:47
	s_waitcnt lgkmcnt(1)
	v_mul_f64 v[200:201], v[110:111], v[192:193]
	v_add_f64 v[22:23], v[22:23], -v[198:199]
	s_delay_alu instid0(VALU_DEP_2) | instskip(SKIP_1) | instid1(VALU_DEP_2)
	v_fma_f64 v[200:201], v[108:109], v[28:29], -v[200:201]
	v_mul_f64 v[108:109], v[108:109], v[192:193]
	v_add_f64 v[16:17], v[16:17], -v[200:201]
	s_delay_alu instid0(VALU_DEP_2) | instskip(SKIP_2) | instid1(VALU_DEP_2)
	v_fma_f64 v[202:203], v[110:111], v[28:29], v[108:109]
	s_waitcnt lgkmcnt(0)
	v_mul_f64 v[108:109], v[190:191], v[192:193]
	v_add_f64 v[18:19], v[18:19], -v[202:203]
	s_delay_alu instid0(VALU_DEP_2) | instskip(SKIP_1) | instid1(VALU_DEP_2)
	v_fma_f64 v[204:205], v[188:189], v[28:29], -v[108:109]
	v_mul_f64 v[108:109], v[188:189], v[192:193]
	v_add_f64 v[12:13], v[12:13], -v[204:205]
	s_delay_alu instid0(VALU_DEP_2)
	v_fma_f64 v[206:207], v[190:191], v[28:29], v[108:109]
	ds_load_2addr_b64 v[108:111], v236 offset0:48 offset1:49
	ds_load_2addr_b64 v[188:191], v236 offset0:50 offset1:51
	s_waitcnt lgkmcnt(1)
	v_mul_f64 v[208:209], v[110:111], v[192:193]
	v_add_f64 v[14:15], v[14:15], -v[206:207]
	s_delay_alu instid0(VALU_DEP_2) | instskip(SKIP_1) | instid1(VALU_DEP_2)
	v_fma_f64 v[208:209], v[108:109], v[28:29], -v[208:209]
	v_mul_f64 v[108:109], v[108:109], v[192:193]
	v_add_f64 v[8:9], v[8:9], -v[208:209]
	s_delay_alu instid0(VALU_DEP_2) | instskip(SKIP_2) | instid1(VALU_DEP_2)
	v_fma_f64 v[210:211], v[110:111], v[28:29], v[108:109]
	s_waitcnt lgkmcnt(0)
	v_mul_f64 v[108:109], v[190:191], v[192:193]
	v_add_f64 v[10:11], v[10:11], -v[210:211]
	s_delay_alu instid0(VALU_DEP_2) | instskip(SKIP_1) | instid1(VALU_DEP_2)
	v_fma_f64 v[212:213], v[188:189], v[28:29], -v[108:109]
	v_mul_f64 v[108:109], v[188:189], v[192:193]
	v_add_f64 v[4:5], v[4:5], -v[212:213]
	s_delay_alu instid0(VALU_DEP_2) | instskip(SKIP_4) | instid1(VALU_DEP_2)
	v_fma_f64 v[188:189], v[190:191], v[28:29], v[108:109]
	ds_load_2addr_b64 v[108:111], v236 offset0:52 offset1:53
	s_waitcnt lgkmcnt(0)
	v_mul_f64 v[190:191], v[110:111], v[192:193]
	v_add_f64 v[6:7], v[6:7], -v[188:189]
	v_fma_f64 v[190:191], v[108:109], v[28:29], -v[190:191]
	v_mul_f64 v[108:109], v[108:109], v[192:193]
	s_delay_alu instid0(VALU_DEP_2) | instskip(NEXT) | instid1(VALU_DEP_2)
	v_add_f64 v[0:1], v[0:1], -v[190:191]
	v_fma_f64 v[108:109], v[110:111], v[28:29], v[108:109]
	s_delay_alu instid0(VALU_DEP_1)
	v_add_f64 v[2:3], v[2:3], -v[108:109]
.LBB53_181:
	s_or_b32 exec_lo, exec_lo, s3
	s_delay_alu instid0(SALU_CYCLE_1)
	s_mov_b32 s4, exec_lo
	s_waitcnt lgkmcnt(0)
	s_barrier
	buffer_gl0_inv
	v_cmpx_eq_u32_e32 20, v232
	s_cbranch_execz .LBB53_188
; %bb.182:
	ds_store_2addr_b64 v233, v[24:25], v[26:27] offset1:1
	ds_store_2addr_b64 v236, v[20:21], v[22:23] offset0:42 offset1:43
	ds_store_2addr_b64 v236, v[16:17], v[18:19] offset0:44 offset1:45
	;; [unrolled: 1-line block ×6, first 2 shown]
	ds_load_2addr_b64 v[188:191], v233 offset1:1
	s_waitcnt lgkmcnt(0)
	v_cmp_neq_f64_e32 vcc_lo, 0, v[188:189]
	v_cmp_neq_f64_e64 s3, 0, v[190:191]
	s_delay_alu instid0(VALU_DEP_1) | instskip(NEXT) | instid1(SALU_CYCLE_1)
	s_or_b32 s3, vcc_lo, s3
	s_and_b32 exec_lo, exec_lo, s3
	s_cbranch_execz .LBB53_188
; %bb.183:
	v_cmp_gt_f64_e32 vcc_lo, 0, v[188:189]
	v_cmp_gt_f64_e64 s3, 0, v[190:191]
	v_xor_b32_e32 v108, 0x80000000, v189
	v_xor_b32_e32 v110, 0x80000000, v191
	s_delay_alu instid0(VALU_DEP_2) | instskip(NEXT) | instid1(VALU_DEP_2)
	v_cndmask_b32_e32 v109, v189, v108, vcc_lo
	v_cndmask_b32_e64 v111, v191, v110, s3
	v_cndmask_b32_e32 v108, v188, v188, vcc_lo
	v_cndmask_b32_e64 v110, v190, v190, s3
	s_delay_alu instid0(VALU_DEP_1) | instskip(SKIP_1) | instid1(SALU_CYCLE_1)
	v_cmp_ngt_f64_e32 vcc_lo, v[108:109], v[110:111]
                                        ; implicit-def: $vgpr108_vgpr109
	s_and_saveexec_b32 s3, vcc_lo
	s_xor_b32 s3, exec_lo, s3
                                        ; implicit-def: $vgpr192_vgpr193_vgpr194_vgpr195
	s_cbranch_execz .LBB53_185
; %bb.184:
	v_div_scale_f64 v[108:109], null, v[190:191], v[190:191], v[188:189]
	v_div_scale_f64 v[194:195], vcc_lo, v[188:189], v[190:191], v[188:189]
	s_delay_alu instid0(VALU_DEP_2) | instskip(SKIP_2) | instid1(VALU_DEP_1)
	v_rcp_f64_e32 v[110:111], v[108:109]
	s_waitcnt_depctr 0xfff
	v_fma_f64 v[192:193], -v[108:109], v[110:111], 1.0
	v_fma_f64 v[110:111], v[110:111], v[192:193], v[110:111]
	s_delay_alu instid0(VALU_DEP_1) | instskip(NEXT) | instid1(VALU_DEP_1)
	v_fma_f64 v[192:193], -v[108:109], v[110:111], 1.0
	v_fma_f64 v[110:111], v[110:111], v[192:193], v[110:111]
	s_delay_alu instid0(VALU_DEP_1) | instskip(NEXT) | instid1(VALU_DEP_1)
	v_mul_f64 v[192:193], v[194:195], v[110:111]
	v_fma_f64 v[108:109], -v[108:109], v[192:193], v[194:195]
	s_delay_alu instid0(VALU_DEP_1) | instskip(NEXT) | instid1(VALU_DEP_1)
	v_div_fmas_f64 v[108:109], v[108:109], v[110:111], v[192:193]
	v_div_fixup_f64 v[108:109], v[108:109], v[190:191], v[188:189]
	s_delay_alu instid0(VALU_DEP_1) | instskip(NEXT) | instid1(VALU_DEP_1)
	v_fma_f64 v[110:111], v[188:189], v[108:109], v[190:191]
	v_div_scale_f64 v[188:189], null, v[110:111], v[110:111], 1.0
	s_delay_alu instid0(VALU_DEP_1) | instskip(SKIP_2) | instid1(VALU_DEP_1)
	v_rcp_f64_e32 v[190:191], v[188:189]
	s_waitcnt_depctr 0xfff
	v_fma_f64 v[192:193], -v[188:189], v[190:191], 1.0
	v_fma_f64 v[190:191], v[190:191], v[192:193], v[190:191]
	s_delay_alu instid0(VALU_DEP_1) | instskip(NEXT) | instid1(VALU_DEP_1)
	v_fma_f64 v[192:193], -v[188:189], v[190:191], 1.0
	v_fma_f64 v[190:191], v[190:191], v[192:193], v[190:191]
	v_div_scale_f64 v[192:193], vcc_lo, 1.0, v[110:111], 1.0
	s_delay_alu instid0(VALU_DEP_1) | instskip(NEXT) | instid1(VALU_DEP_1)
	v_mul_f64 v[194:195], v[192:193], v[190:191]
	v_fma_f64 v[188:189], -v[188:189], v[194:195], v[192:193]
	s_delay_alu instid0(VALU_DEP_1) | instskip(NEXT) | instid1(VALU_DEP_1)
	v_div_fmas_f64 v[188:189], v[188:189], v[190:191], v[194:195]
	v_div_fixup_f64 v[194:195], v[188:189], v[110:111], 1.0
                                        ; implicit-def: $vgpr188_vgpr189
	s_delay_alu instid0(VALU_DEP_1)
	v_mul_f64 v[108:109], v[108:109], v[194:195]
	v_xor_b32_e32 v195, 0x80000000, v195
.LBB53_185:
	s_and_not1_saveexec_b32 s3, s3
	s_cbranch_execz .LBB53_187
; %bb.186:
	v_div_scale_f64 v[108:109], null, v[188:189], v[188:189], v[190:191]
	v_div_scale_f64 v[194:195], vcc_lo, v[190:191], v[188:189], v[190:191]
	s_delay_alu instid0(VALU_DEP_2) | instskip(SKIP_2) | instid1(VALU_DEP_1)
	v_rcp_f64_e32 v[110:111], v[108:109]
	s_waitcnt_depctr 0xfff
	v_fma_f64 v[192:193], -v[108:109], v[110:111], 1.0
	v_fma_f64 v[110:111], v[110:111], v[192:193], v[110:111]
	s_delay_alu instid0(VALU_DEP_1) | instskip(NEXT) | instid1(VALU_DEP_1)
	v_fma_f64 v[192:193], -v[108:109], v[110:111], 1.0
	v_fma_f64 v[110:111], v[110:111], v[192:193], v[110:111]
	s_delay_alu instid0(VALU_DEP_1) | instskip(NEXT) | instid1(VALU_DEP_1)
	v_mul_f64 v[192:193], v[194:195], v[110:111]
	v_fma_f64 v[108:109], -v[108:109], v[192:193], v[194:195]
	s_delay_alu instid0(VALU_DEP_1) | instskip(NEXT) | instid1(VALU_DEP_1)
	v_div_fmas_f64 v[108:109], v[108:109], v[110:111], v[192:193]
	v_div_fixup_f64 v[110:111], v[108:109], v[188:189], v[190:191]
	s_delay_alu instid0(VALU_DEP_1) | instskip(NEXT) | instid1(VALU_DEP_1)
	v_fma_f64 v[108:109], v[190:191], v[110:111], v[188:189]
	v_div_scale_f64 v[188:189], null, v[108:109], v[108:109], 1.0
	s_delay_alu instid0(VALU_DEP_1) | instskip(SKIP_2) | instid1(VALU_DEP_1)
	v_rcp_f64_e32 v[190:191], v[188:189]
	s_waitcnt_depctr 0xfff
	v_fma_f64 v[192:193], -v[188:189], v[190:191], 1.0
	v_fma_f64 v[190:191], v[190:191], v[192:193], v[190:191]
	s_delay_alu instid0(VALU_DEP_1) | instskip(NEXT) | instid1(VALU_DEP_1)
	v_fma_f64 v[192:193], -v[188:189], v[190:191], 1.0
	v_fma_f64 v[190:191], v[190:191], v[192:193], v[190:191]
	v_div_scale_f64 v[192:193], vcc_lo, 1.0, v[108:109], 1.0
	s_delay_alu instid0(VALU_DEP_1) | instskip(NEXT) | instid1(VALU_DEP_1)
	v_mul_f64 v[194:195], v[192:193], v[190:191]
	v_fma_f64 v[188:189], -v[188:189], v[194:195], v[192:193]
	s_delay_alu instid0(VALU_DEP_1) | instskip(NEXT) | instid1(VALU_DEP_1)
	v_div_fmas_f64 v[188:189], v[188:189], v[190:191], v[194:195]
	v_div_fixup_f64 v[108:109], v[188:189], v[108:109], 1.0
	s_delay_alu instid0(VALU_DEP_1)
	v_mul_f64 v[194:195], v[110:111], -v[108:109]
.LBB53_187:
	s_or_b32 exec_lo, exec_lo, s3
	ds_store_2addr_b64 v233, v[108:109], v[194:195] offset1:1
.LBB53_188:
	s_or_b32 exec_lo, exec_lo, s4
	s_waitcnt lgkmcnt(0)
	s_barrier
	buffer_gl0_inv
	ds_load_2addr_b64 v[188:191], v233 offset1:1
	s_mov_b32 s3, exec_lo
	v_cmpx_lt_u32_e32 20, v232
	s_cbranch_execz .LBB53_190
; %bb.189:
	s_waitcnt lgkmcnt(0)
	v_mul_f64 v[108:109], v[188:189], v[26:27]
	v_mul_f64 v[26:27], v[190:191], v[26:27]
	ds_load_2addr_b64 v[192:195], v236 offset0:44 offset1:45
	v_fma_f64 v[196:197], v[190:191], v[24:25], v[108:109]
	ds_load_2addr_b64 v[108:111], v236 offset0:42 offset1:43
	v_fma_f64 v[24:25], v[188:189], v[24:25], -v[26:27]
	s_waitcnt lgkmcnt(0)
	v_mul_f64 v[26:27], v[110:111], v[196:197]
	s_delay_alu instid0(VALU_DEP_1) | instskip(SKIP_1) | instid1(VALU_DEP_2)
	v_fma_f64 v[26:27], v[108:109], v[24:25], -v[26:27]
	v_mul_f64 v[108:109], v[108:109], v[196:197]
	v_add_f64 v[20:21], v[20:21], -v[26:27]
	s_delay_alu instid0(VALU_DEP_2) | instskip(SKIP_2) | instid1(VALU_DEP_3)
	v_fma_f64 v[198:199], v[110:111], v[24:25], v[108:109]
	v_mul_f64 v[108:109], v[194:195], v[196:197]
	v_dual_mov_b32 v26, v196 :: v_dual_mov_b32 v27, v197
	v_add_f64 v[22:23], v[22:23], -v[198:199]
	s_delay_alu instid0(VALU_DEP_3) | instskip(SKIP_1) | instid1(VALU_DEP_2)
	v_fma_f64 v[200:201], v[192:193], v[24:25], -v[108:109]
	v_mul_f64 v[108:109], v[192:193], v[196:197]
	v_add_f64 v[16:17], v[16:17], -v[200:201]
	s_delay_alu instid0(VALU_DEP_2)
	v_fma_f64 v[202:203], v[194:195], v[24:25], v[108:109]
	ds_load_2addr_b64 v[108:111], v236 offset0:46 offset1:47
	ds_load_2addr_b64 v[192:195], v236 offset0:48 offset1:49
	s_waitcnt lgkmcnt(1)
	v_mul_f64 v[204:205], v[110:111], v[196:197]
	v_add_f64 v[18:19], v[18:19], -v[202:203]
	s_delay_alu instid0(VALU_DEP_2) | instskip(SKIP_1) | instid1(VALU_DEP_2)
	v_fma_f64 v[204:205], v[108:109], v[24:25], -v[204:205]
	v_mul_f64 v[108:109], v[108:109], v[196:197]
	v_add_f64 v[12:13], v[12:13], -v[204:205]
	s_delay_alu instid0(VALU_DEP_2) | instskip(SKIP_2) | instid1(VALU_DEP_2)
	v_fma_f64 v[206:207], v[110:111], v[24:25], v[108:109]
	s_waitcnt lgkmcnt(0)
	v_mul_f64 v[108:109], v[194:195], v[196:197]
	v_add_f64 v[14:15], v[14:15], -v[206:207]
	s_delay_alu instid0(VALU_DEP_2) | instskip(SKIP_1) | instid1(VALU_DEP_2)
	v_fma_f64 v[208:209], v[192:193], v[24:25], -v[108:109]
	v_mul_f64 v[108:109], v[192:193], v[196:197]
	v_add_f64 v[8:9], v[8:9], -v[208:209]
	s_delay_alu instid0(VALU_DEP_2)
	v_fma_f64 v[210:211], v[194:195], v[24:25], v[108:109]
	ds_load_2addr_b64 v[108:111], v236 offset0:50 offset1:51
	ds_load_2addr_b64 v[192:195], v236 offset0:52 offset1:53
	s_waitcnt lgkmcnt(1)
	v_mul_f64 v[212:213], v[110:111], v[196:197]
	v_add_f64 v[10:11], v[10:11], -v[210:211]
	s_delay_alu instid0(VALU_DEP_2) | instskip(SKIP_1) | instid1(VALU_DEP_2)
	v_fma_f64 v[212:213], v[108:109], v[24:25], -v[212:213]
	v_mul_f64 v[108:109], v[108:109], v[196:197]
	v_add_f64 v[4:5], v[4:5], -v[212:213]
	s_delay_alu instid0(VALU_DEP_2) | instskip(SKIP_2) | instid1(VALU_DEP_2)
	v_fma_f64 v[108:109], v[110:111], v[24:25], v[108:109]
	s_waitcnt lgkmcnt(0)
	v_mul_f64 v[110:111], v[194:195], v[196:197]
	v_add_f64 v[6:7], v[6:7], -v[108:109]
	s_delay_alu instid0(VALU_DEP_2) | instskip(SKIP_1) | instid1(VALU_DEP_2)
	v_fma_f64 v[110:111], v[192:193], v[24:25], -v[110:111]
	v_mul_f64 v[192:193], v[192:193], v[196:197]
	v_add_f64 v[0:1], v[0:1], -v[110:111]
	s_delay_alu instid0(VALU_DEP_2) | instskip(NEXT) | instid1(VALU_DEP_1)
	v_fma_f64 v[192:193], v[194:195], v[24:25], v[192:193]
	v_add_f64 v[2:3], v[2:3], -v[192:193]
.LBB53_190:
	s_or_b32 exec_lo, exec_lo, s3
	s_delay_alu instid0(SALU_CYCLE_1)
	s_mov_b32 s4, exec_lo
	s_waitcnt lgkmcnt(0)
	s_barrier
	buffer_gl0_inv
	v_cmpx_eq_u32_e32 21, v232
	s_cbranch_execz .LBB53_197
; %bb.191:
	ds_store_2addr_b64 v233, v[20:21], v[22:23] offset1:1
	ds_store_2addr_b64 v236, v[16:17], v[18:19] offset0:44 offset1:45
	ds_store_2addr_b64 v236, v[12:13], v[14:15] offset0:46 offset1:47
	;; [unrolled: 1-line block ×5, first 2 shown]
	ds_load_2addr_b64 v[192:195], v233 offset1:1
	s_waitcnt lgkmcnt(0)
	v_cmp_neq_f64_e32 vcc_lo, 0, v[192:193]
	v_cmp_neq_f64_e64 s3, 0, v[194:195]
	s_delay_alu instid0(VALU_DEP_1) | instskip(NEXT) | instid1(SALU_CYCLE_1)
	s_or_b32 s3, vcc_lo, s3
	s_and_b32 exec_lo, exec_lo, s3
	s_cbranch_execz .LBB53_197
; %bb.192:
	v_cmp_gt_f64_e32 vcc_lo, 0, v[192:193]
	v_cmp_gt_f64_e64 s3, 0, v[194:195]
	v_xor_b32_e32 v108, 0x80000000, v193
	v_xor_b32_e32 v110, 0x80000000, v195
	s_delay_alu instid0(VALU_DEP_2) | instskip(NEXT) | instid1(VALU_DEP_2)
	v_cndmask_b32_e32 v109, v193, v108, vcc_lo
	v_cndmask_b32_e64 v111, v195, v110, s3
	v_cndmask_b32_e32 v108, v192, v192, vcc_lo
	v_cndmask_b32_e64 v110, v194, v194, s3
	s_delay_alu instid0(VALU_DEP_1) | instskip(SKIP_1) | instid1(SALU_CYCLE_1)
	v_cmp_ngt_f64_e32 vcc_lo, v[108:109], v[110:111]
                                        ; implicit-def: $vgpr108_vgpr109
	s_and_saveexec_b32 s3, vcc_lo
	s_xor_b32 s3, exec_lo, s3
                                        ; implicit-def: $vgpr196_vgpr197_vgpr198_vgpr199
	s_cbranch_execz .LBB53_194
; %bb.193:
	v_div_scale_f64 v[108:109], null, v[194:195], v[194:195], v[192:193]
	v_div_scale_f64 v[198:199], vcc_lo, v[192:193], v[194:195], v[192:193]
	s_delay_alu instid0(VALU_DEP_2) | instskip(SKIP_2) | instid1(VALU_DEP_1)
	v_rcp_f64_e32 v[110:111], v[108:109]
	s_waitcnt_depctr 0xfff
	v_fma_f64 v[196:197], -v[108:109], v[110:111], 1.0
	v_fma_f64 v[110:111], v[110:111], v[196:197], v[110:111]
	s_delay_alu instid0(VALU_DEP_1) | instskip(NEXT) | instid1(VALU_DEP_1)
	v_fma_f64 v[196:197], -v[108:109], v[110:111], 1.0
	v_fma_f64 v[110:111], v[110:111], v[196:197], v[110:111]
	s_delay_alu instid0(VALU_DEP_1) | instskip(NEXT) | instid1(VALU_DEP_1)
	v_mul_f64 v[196:197], v[198:199], v[110:111]
	v_fma_f64 v[108:109], -v[108:109], v[196:197], v[198:199]
	s_delay_alu instid0(VALU_DEP_1) | instskip(NEXT) | instid1(VALU_DEP_1)
	v_div_fmas_f64 v[108:109], v[108:109], v[110:111], v[196:197]
	v_div_fixup_f64 v[108:109], v[108:109], v[194:195], v[192:193]
	s_delay_alu instid0(VALU_DEP_1) | instskip(NEXT) | instid1(VALU_DEP_1)
	v_fma_f64 v[110:111], v[192:193], v[108:109], v[194:195]
	v_div_scale_f64 v[192:193], null, v[110:111], v[110:111], 1.0
	s_delay_alu instid0(VALU_DEP_1) | instskip(SKIP_2) | instid1(VALU_DEP_1)
	v_rcp_f64_e32 v[194:195], v[192:193]
	s_waitcnt_depctr 0xfff
	v_fma_f64 v[196:197], -v[192:193], v[194:195], 1.0
	v_fma_f64 v[194:195], v[194:195], v[196:197], v[194:195]
	s_delay_alu instid0(VALU_DEP_1) | instskip(NEXT) | instid1(VALU_DEP_1)
	v_fma_f64 v[196:197], -v[192:193], v[194:195], 1.0
	v_fma_f64 v[194:195], v[194:195], v[196:197], v[194:195]
	v_div_scale_f64 v[196:197], vcc_lo, 1.0, v[110:111], 1.0
	s_delay_alu instid0(VALU_DEP_1) | instskip(NEXT) | instid1(VALU_DEP_1)
	v_mul_f64 v[198:199], v[196:197], v[194:195]
	v_fma_f64 v[192:193], -v[192:193], v[198:199], v[196:197]
	s_delay_alu instid0(VALU_DEP_1) | instskip(NEXT) | instid1(VALU_DEP_1)
	v_div_fmas_f64 v[192:193], v[192:193], v[194:195], v[198:199]
	v_div_fixup_f64 v[198:199], v[192:193], v[110:111], 1.0
                                        ; implicit-def: $vgpr192_vgpr193
	s_delay_alu instid0(VALU_DEP_1)
	v_mul_f64 v[108:109], v[108:109], v[198:199]
	v_xor_b32_e32 v199, 0x80000000, v199
.LBB53_194:
	s_and_not1_saveexec_b32 s3, s3
	s_cbranch_execz .LBB53_196
; %bb.195:
	v_div_scale_f64 v[108:109], null, v[192:193], v[192:193], v[194:195]
	v_div_scale_f64 v[198:199], vcc_lo, v[194:195], v[192:193], v[194:195]
	s_delay_alu instid0(VALU_DEP_2) | instskip(SKIP_2) | instid1(VALU_DEP_1)
	v_rcp_f64_e32 v[110:111], v[108:109]
	s_waitcnt_depctr 0xfff
	v_fma_f64 v[196:197], -v[108:109], v[110:111], 1.0
	v_fma_f64 v[110:111], v[110:111], v[196:197], v[110:111]
	s_delay_alu instid0(VALU_DEP_1) | instskip(NEXT) | instid1(VALU_DEP_1)
	v_fma_f64 v[196:197], -v[108:109], v[110:111], 1.0
	v_fma_f64 v[110:111], v[110:111], v[196:197], v[110:111]
	s_delay_alu instid0(VALU_DEP_1) | instskip(NEXT) | instid1(VALU_DEP_1)
	v_mul_f64 v[196:197], v[198:199], v[110:111]
	v_fma_f64 v[108:109], -v[108:109], v[196:197], v[198:199]
	s_delay_alu instid0(VALU_DEP_1) | instskip(NEXT) | instid1(VALU_DEP_1)
	v_div_fmas_f64 v[108:109], v[108:109], v[110:111], v[196:197]
	v_div_fixup_f64 v[110:111], v[108:109], v[192:193], v[194:195]
	s_delay_alu instid0(VALU_DEP_1) | instskip(NEXT) | instid1(VALU_DEP_1)
	v_fma_f64 v[108:109], v[194:195], v[110:111], v[192:193]
	v_div_scale_f64 v[192:193], null, v[108:109], v[108:109], 1.0
	s_delay_alu instid0(VALU_DEP_1) | instskip(SKIP_2) | instid1(VALU_DEP_1)
	v_rcp_f64_e32 v[194:195], v[192:193]
	s_waitcnt_depctr 0xfff
	v_fma_f64 v[196:197], -v[192:193], v[194:195], 1.0
	v_fma_f64 v[194:195], v[194:195], v[196:197], v[194:195]
	s_delay_alu instid0(VALU_DEP_1) | instskip(NEXT) | instid1(VALU_DEP_1)
	v_fma_f64 v[196:197], -v[192:193], v[194:195], 1.0
	v_fma_f64 v[194:195], v[194:195], v[196:197], v[194:195]
	v_div_scale_f64 v[196:197], vcc_lo, 1.0, v[108:109], 1.0
	s_delay_alu instid0(VALU_DEP_1) | instskip(NEXT) | instid1(VALU_DEP_1)
	v_mul_f64 v[198:199], v[196:197], v[194:195]
	v_fma_f64 v[192:193], -v[192:193], v[198:199], v[196:197]
	s_delay_alu instid0(VALU_DEP_1) | instskip(NEXT) | instid1(VALU_DEP_1)
	v_div_fmas_f64 v[192:193], v[192:193], v[194:195], v[198:199]
	v_div_fixup_f64 v[108:109], v[192:193], v[108:109], 1.0
	s_delay_alu instid0(VALU_DEP_1)
	v_mul_f64 v[198:199], v[110:111], -v[108:109]
.LBB53_196:
	s_or_b32 exec_lo, exec_lo, s3
	ds_store_2addr_b64 v233, v[108:109], v[198:199] offset1:1
.LBB53_197:
	s_or_b32 exec_lo, exec_lo, s4
	s_waitcnt lgkmcnt(0)
	s_barrier
	buffer_gl0_inv
	ds_load_2addr_b64 v[192:195], v233 offset1:1
	s_mov_b32 s3, exec_lo
	v_cmpx_lt_u32_e32 21, v232
	s_cbranch_execz .LBB53_199
; %bb.198:
	s_waitcnt lgkmcnt(0)
	v_mul_f64 v[108:109], v[192:193], v[22:23]
	v_mul_f64 v[22:23], v[194:195], v[22:23]
	s_delay_alu instid0(VALU_DEP_2)
	v_fma_f64 v[200:201], v[194:195], v[20:21], v[108:109]
	ds_load_2addr_b64 v[108:111], v236 offset0:44 offset1:45
	ds_load_2addr_b64 v[196:199], v236 offset0:46 offset1:47
	v_fma_f64 v[20:21], v[192:193], v[20:21], -v[22:23]
	s_waitcnt lgkmcnt(1)
	v_mul_f64 v[22:23], v[110:111], v[200:201]
	v_mul_f64 v[202:203], v[108:109], v[200:201]
	s_delay_alu instid0(VALU_DEP_2) | instskip(NEXT) | instid1(VALU_DEP_2)
	v_fma_f64 v[22:23], v[108:109], v[20:21], -v[22:23]
	v_fma_f64 v[202:203], v[110:111], v[20:21], v[202:203]
	s_waitcnt lgkmcnt(0)
	v_mul_f64 v[108:109], v[198:199], v[200:201]
	v_mul_f64 v[110:111], v[196:197], v[200:201]
	s_delay_alu instid0(VALU_DEP_4) | instskip(NEXT) | instid1(VALU_DEP_4)
	v_add_f64 v[16:17], v[16:17], -v[22:23]
	v_add_f64 v[18:19], v[18:19], -v[202:203]
	s_delay_alu instid0(VALU_DEP_4) | instskip(NEXT) | instid1(VALU_DEP_4)
	v_fma_f64 v[204:205], v[196:197], v[20:21], -v[108:109]
	v_fma_f64 v[206:207], v[198:199], v[20:21], v[110:111]
	ds_load_2addr_b64 v[108:111], v236 offset0:48 offset1:49
	ds_load_2addr_b64 v[196:199], v236 offset0:50 offset1:51
	v_dual_mov_b32 v22, v200 :: v_dual_mov_b32 v23, v201
	s_waitcnt lgkmcnt(1)
	v_mul_f64 v[208:209], v[110:111], v[200:201]
	v_add_f64 v[12:13], v[12:13], -v[204:205]
	v_add_f64 v[14:15], v[14:15], -v[206:207]
	s_delay_alu instid0(VALU_DEP_3) | instskip(SKIP_1) | instid1(VALU_DEP_2)
	v_fma_f64 v[208:209], v[108:109], v[20:21], -v[208:209]
	v_mul_f64 v[108:109], v[108:109], v[200:201]
	v_add_f64 v[8:9], v[8:9], -v[208:209]
	s_delay_alu instid0(VALU_DEP_2) | instskip(SKIP_2) | instid1(VALU_DEP_2)
	v_fma_f64 v[210:211], v[110:111], v[20:21], v[108:109]
	s_waitcnt lgkmcnt(0)
	v_mul_f64 v[108:109], v[198:199], v[200:201]
	v_add_f64 v[10:11], v[10:11], -v[210:211]
	s_delay_alu instid0(VALU_DEP_2) | instskip(SKIP_1) | instid1(VALU_DEP_2)
	v_fma_f64 v[212:213], v[196:197], v[20:21], -v[108:109]
	v_mul_f64 v[108:109], v[196:197], v[200:201]
	v_add_f64 v[4:5], v[4:5], -v[212:213]
	s_delay_alu instid0(VALU_DEP_2) | instskip(SKIP_4) | instid1(VALU_DEP_2)
	v_fma_f64 v[196:197], v[198:199], v[20:21], v[108:109]
	ds_load_2addr_b64 v[108:111], v236 offset0:52 offset1:53
	s_waitcnt lgkmcnt(0)
	v_mul_f64 v[198:199], v[110:111], v[200:201]
	v_add_f64 v[6:7], v[6:7], -v[196:197]
	v_fma_f64 v[198:199], v[108:109], v[20:21], -v[198:199]
	v_mul_f64 v[108:109], v[108:109], v[200:201]
	s_delay_alu instid0(VALU_DEP_2) | instskip(NEXT) | instid1(VALU_DEP_2)
	v_add_f64 v[0:1], v[0:1], -v[198:199]
	v_fma_f64 v[108:109], v[110:111], v[20:21], v[108:109]
	s_delay_alu instid0(VALU_DEP_1)
	v_add_f64 v[2:3], v[2:3], -v[108:109]
.LBB53_199:
	s_or_b32 exec_lo, exec_lo, s3
	s_delay_alu instid0(SALU_CYCLE_1)
	s_mov_b32 s4, exec_lo
	s_waitcnt lgkmcnt(0)
	s_barrier
	buffer_gl0_inv
	v_cmpx_eq_u32_e32 22, v232
	s_cbranch_execz .LBB53_206
; %bb.200:
	ds_store_2addr_b64 v233, v[16:17], v[18:19] offset1:1
	ds_store_2addr_b64 v236, v[12:13], v[14:15] offset0:46 offset1:47
	ds_store_2addr_b64 v236, v[8:9], v[10:11] offset0:48 offset1:49
	;; [unrolled: 1-line block ×4, first 2 shown]
	ds_load_2addr_b64 v[196:199], v233 offset1:1
	s_waitcnt lgkmcnt(0)
	v_cmp_neq_f64_e32 vcc_lo, 0, v[196:197]
	v_cmp_neq_f64_e64 s3, 0, v[198:199]
	s_delay_alu instid0(VALU_DEP_1) | instskip(NEXT) | instid1(SALU_CYCLE_1)
	s_or_b32 s3, vcc_lo, s3
	s_and_b32 exec_lo, exec_lo, s3
	s_cbranch_execz .LBB53_206
; %bb.201:
	v_cmp_gt_f64_e32 vcc_lo, 0, v[196:197]
	v_cmp_gt_f64_e64 s3, 0, v[198:199]
	v_xor_b32_e32 v108, 0x80000000, v197
	v_xor_b32_e32 v110, 0x80000000, v199
	s_delay_alu instid0(VALU_DEP_2) | instskip(NEXT) | instid1(VALU_DEP_2)
	v_cndmask_b32_e32 v109, v197, v108, vcc_lo
	v_cndmask_b32_e64 v111, v199, v110, s3
	v_cndmask_b32_e32 v108, v196, v196, vcc_lo
	v_cndmask_b32_e64 v110, v198, v198, s3
	s_delay_alu instid0(VALU_DEP_1) | instskip(SKIP_1) | instid1(SALU_CYCLE_1)
	v_cmp_ngt_f64_e32 vcc_lo, v[108:109], v[110:111]
                                        ; implicit-def: $vgpr108_vgpr109
	s_and_saveexec_b32 s3, vcc_lo
	s_xor_b32 s3, exec_lo, s3
                                        ; implicit-def: $vgpr200_vgpr201_vgpr202_vgpr203
	s_cbranch_execz .LBB53_203
; %bb.202:
	v_div_scale_f64 v[108:109], null, v[198:199], v[198:199], v[196:197]
	v_div_scale_f64 v[202:203], vcc_lo, v[196:197], v[198:199], v[196:197]
	s_delay_alu instid0(VALU_DEP_2) | instskip(SKIP_2) | instid1(VALU_DEP_1)
	v_rcp_f64_e32 v[110:111], v[108:109]
	s_waitcnt_depctr 0xfff
	v_fma_f64 v[200:201], -v[108:109], v[110:111], 1.0
	v_fma_f64 v[110:111], v[110:111], v[200:201], v[110:111]
	s_delay_alu instid0(VALU_DEP_1) | instskip(NEXT) | instid1(VALU_DEP_1)
	v_fma_f64 v[200:201], -v[108:109], v[110:111], 1.0
	v_fma_f64 v[110:111], v[110:111], v[200:201], v[110:111]
	s_delay_alu instid0(VALU_DEP_1) | instskip(NEXT) | instid1(VALU_DEP_1)
	v_mul_f64 v[200:201], v[202:203], v[110:111]
	v_fma_f64 v[108:109], -v[108:109], v[200:201], v[202:203]
	s_delay_alu instid0(VALU_DEP_1) | instskip(NEXT) | instid1(VALU_DEP_1)
	v_div_fmas_f64 v[108:109], v[108:109], v[110:111], v[200:201]
	v_div_fixup_f64 v[108:109], v[108:109], v[198:199], v[196:197]
	s_delay_alu instid0(VALU_DEP_1) | instskip(NEXT) | instid1(VALU_DEP_1)
	v_fma_f64 v[110:111], v[196:197], v[108:109], v[198:199]
	v_div_scale_f64 v[196:197], null, v[110:111], v[110:111], 1.0
	s_delay_alu instid0(VALU_DEP_1) | instskip(SKIP_2) | instid1(VALU_DEP_1)
	v_rcp_f64_e32 v[198:199], v[196:197]
	s_waitcnt_depctr 0xfff
	v_fma_f64 v[200:201], -v[196:197], v[198:199], 1.0
	v_fma_f64 v[198:199], v[198:199], v[200:201], v[198:199]
	s_delay_alu instid0(VALU_DEP_1) | instskip(NEXT) | instid1(VALU_DEP_1)
	v_fma_f64 v[200:201], -v[196:197], v[198:199], 1.0
	v_fma_f64 v[198:199], v[198:199], v[200:201], v[198:199]
	v_div_scale_f64 v[200:201], vcc_lo, 1.0, v[110:111], 1.0
	s_delay_alu instid0(VALU_DEP_1) | instskip(NEXT) | instid1(VALU_DEP_1)
	v_mul_f64 v[202:203], v[200:201], v[198:199]
	v_fma_f64 v[196:197], -v[196:197], v[202:203], v[200:201]
	s_delay_alu instid0(VALU_DEP_1) | instskip(NEXT) | instid1(VALU_DEP_1)
	v_div_fmas_f64 v[196:197], v[196:197], v[198:199], v[202:203]
	v_div_fixup_f64 v[202:203], v[196:197], v[110:111], 1.0
                                        ; implicit-def: $vgpr196_vgpr197
	s_delay_alu instid0(VALU_DEP_1)
	v_mul_f64 v[108:109], v[108:109], v[202:203]
	v_xor_b32_e32 v203, 0x80000000, v203
.LBB53_203:
	s_and_not1_saveexec_b32 s3, s3
	s_cbranch_execz .LBB53_205
; %bb.204:
	v_div_scale_f64 v[108:109], null, v[196:197], v[196:197], v[198:199]
	v_div_scale_f64 v[202:203], vcc_lo, v[198:199], v[196:197], v[198:199]
	s_delay_alu instid0(VALU_DEP_2) | instskip(SKIP_2) | instid1(VALU_DEP_1)
	v_rcp_f64_e32 v[110:111], v[108:109]
	s_waitcnt_depctr 0xfff
	v_fma_f64 v[200:201], -v[108:109], v[110:111], 1.0
	v_fma_f64 v[110:111], v[110:111], v[200:201], v[110:111]
	s_delay_alu instid0(VALU_DEP_1) | instskip(NEXT) | instid1(VALU_DEP_1)
	v_fma_f64 v[200:201], -v[108:109], v[110:111], 1.0
	v_fma_f64 v[110:111], v[110:111], v[200:201], v[110:111]
	s_delay_alu instid0(VALU_DEP_1) | instskip(NEXT) | instid1(VALU_DEP_1)
	v_mul_f64 v[200:201], v[202:203], v[110:111]
	v_fma_f64 v[108:109], -v[108:109], v[200:201], v[202:203]
	s_delay_alu instid0(VALU_DEP_1) | instskip(NEXT) | instid1(VALU_DEP_1)
	v_div_fmas_f64 v[108:109], v[108:109], v[110:111], v[200:201]
	v_div_fixup_f64 v[110:111], v[108:109], v[196:197], v[198:199]
	s_delay_alu instid0(VALU_DEP_1) | instskip(NEXT) | instid1(VALU_DEP_1)
	v_fma_f64 v[108:109], v[198:199], v[110:111], v[196:197]
	v_div_scale_f64 v[196:197], null, v[108:109], v[108:109], 1.0
	s_delay_alu instid0(VALU_DEP_1) | instskip(SKIP_2) | instid1(VALU_DEP_1)
	v_rcp_f64_e32 v[198:199], v[196:197]
	s_waitcnt_depctr 0xfff
	v_fma_f64 v[200:201], -v[196:197], v[198:199], 1.0
	v_fma_f64 v[198:199], v[198:199], v[200:201], v[198:199]
	s_delay_alu instid0(VALU_DEP_1) | instskip(NEXT) | instid1(VALU_DEP_1)
	v_fma_f64 v[200:201], -v[196:197], v[198:199], 1.0
	v_fma_f64 v[198:199], v[198:199], v[200:201], v[198:199]
	v_div_scale_f64 v[200:201], vcc_lo, 1.0, v[108:109], 1.0
	s_delay_alu instid0(VALU_DEP_1) | instskip(NEXT) | instid1(VALU_DEP_1)
	v_mul_f64 v[202:203], v[200:201], v[198:199]
	v_fma_f64 v[196:197], -v[196:197], v[202:203], v[200:201]
	s_delay_alu instid0(VALU_DEP_1) | instskip(NEXT) | instid1(VALU_DEP_1)
	v_div_fmas_f64 v[196:197], v[196:197], v[198:199], v[202:203]
	v_div_fixup_f64 v[108:109], v[196:197], v[108:109], 1.0
	s_delay_alu instid0(VALU_DEP_1)
	v_mul_f64 v[202:203], v[110:111], -v[108:109]
.LBB53_205:
	s_or_b32 exec_lo, exec_lo, s3
	ds_store_2addr_b64 v233, v[108:109], v[202:203] offset1:1
.LBB53_206:
	s_or_b32 exec_lo, exec_lo, s4
	s_waitcnt lgkmcnt(0)
	s_barrier
	buffer_gl0_inv
	ds_load_2addr_b64 v[196:199], v233 offset1:1
	s_mov_b32 s3, exec_lo
	v_cmpx_lt_u32_e32 22, v232
	s_cbranch_execz .LBB53_208
; %bb.207:
	s_waitcnt lgkmcnt(0)
	v_mul_f64 v[108:109], v[196:197], v[18:19]
	v_mul_f64 v[18:19], v[198:199], v[18:19]
	s_delay_alu instid0(VALU_DEP_2)
	v_fma_f64 v[204:205], v[198:199], v[16:17], v[108:109]
	ds_load_2addr_b64 v[108:111], v236 offset0:46 offset1:47
	ds_load_2addr_b64 v[200:203], v236 offset0:48 offset1:49
	v_fma_f64 v[16:17], v[196:197], v[16:17], -v[18:19]
	s_waitcnt lgkmcnt(1)
	v_mul_f64 v[18:19], v[110:111], v[204:205]
	v_mul_f64 v[206:207], v[108:109], v[204:205]
	s_waitcnt lgkmcnt(0)
	v_mul_f64 v[208:209], v[202:203], v[204:205]
	v_mul_f64 v[210:211], v[200:201], v[204:205]
	s_delay_alu instid0(VALU_DEP_4) | instskip(NEXT) | instid1(VALU_DEP_4)
	v_fma_f64 v[18:19], v[108:109], v[16:17], -v[18:19]
	v_fma_f64 v[206:207], v[110:111], v[16:17], v[206:207]
	ds_load_2addr_b64 v[108:111], v236 offset0:50 offset1:51
	v_fma_f64 v[208:209], v[200:201], v[16:17], -v[208:209]
	v_fma_f64 v[210:211], v[202:203], v[16:17], v[210:211]
	ds_load_2addr_b64 v[200:203], v236 offset0:52 offset1:53
	s_waitcnt lgkmcnt(1)
	v_mul_f64 v[212:213], v[110:111], v[204:205]
	v_add_f64 v[12:13], v[12:13], -v[18:19]
	v_add_f64 v[14:15], v[14:15], -v[206:207]
	v_dual_mov_b32 v18, v204 :: v_dual_mov_b32 v19, v205
	v_add_f64 v[8:9], v[8:9], -v[208:209]
	v_add_f64 v[10:11], v[10:11], -v[210:211]
	v_fma_f64 v[212:213], v[108:109], v[16:17], -v[212:213]
	v_mul_f64 v[108:109], v[108:109], v[204:205]
	s_delay_alu instid0(VALU_DEP_2) | instskip(NEXT) | instid1(VALU_DEP_2)
	v_add_f64 v[4:5], v[4:5], -v[212:213]
	v_fma_f64 v[108:109], v[110:111], v[16:17], v[108:109]
	s_waitcnt lgkmcnt(0)
	v_mul_f64 v[110:111], v[202:203], v[204:205]
	s_delay_alu instid0(VALU_DEP_2) | instskip(NEXT) | instid1(VALU_DEP_2)
	v_add_f64 v[6:7], v[6:7], -v[108:109]
	v_fma_f64 v[110:111], v[200:201], v[16:17], -v[110:111]
	v_mul_f64 v[200:201], v[200:201], v[204:205]
	s_delay_alu instid0(VALU_DEP_2) | instskip(NEXT) | instid1(VALU_DEP_2)
	v_add_f64 v[0:1], v[0:1], -v[110:111]
	v_fma_f64 v[200:201], v[202:203], v[16:17], v[200:201]
	s_delay_alu instid0(VALU_DEP_1)
	v_add_f64 v[2:3], v[2:3], -v[200:201]
.LBB53_208:
	s_or_b32 exec_lo, exec_lo, s3
	s_delay_alu instid0(SALU_CYCLE_1)
	s_mov_b32 s4, exec_lo
	s_waitcnt lgkmcnt(0)
	s_barrier
	buffer_gl0_inv
	v_cmpx_eq_u32_e32 23, v232
	s_cbranch_execz .LBB53_215
; %bb.209:
	ds_store_2addr_b64 v233, v[12:13], v[14:15] offset1:1
	ds_store_2addr_b64 v236, v[8:9], v[10:11] offset0:48 offset1:49
	ds_store_2addr_b64 v236, v[4:5], v[6:7] offset0:50 offset1:51
	;; [unrolled: 1-line block ×3, first 2 shown]
	ds_load_2addr_b64 v[200:203], v233 offset1:1
	s_waitcnt lgkmcnt(0)
	v_cmp_neq_f64_e32 vcc_lo, 0, v[200:201]
	v_cmp_neq_f64_e64 s3, 0, v[202:203]
	s_delay_alu instid0(VALU_DEP_1) | instskip(NEXT) | instid1(SALU_CYCLE_1)
	s_or_b32 s3, vcc_lo, s3
	s_and_b32 exec_lo, exec_lo, s3
	s_cbranch_execz .LBB53_215
; %bb.210:
	v_cmp_gt_f64_e32 vcc_lo, 0, v[200:201]
	v_cmp_gt_f64_e64 s3, 0, v[202:203]
	v_xor_b32_e32 v108, 0x80000000, v201
	v_xor_b32_e32 v110, 0x80000000, v203
	s_delay_alu instid0(VALU_DEP_2) | instskip(NEXT) | instid1(VALU_DEP_2)
	v_cndmask_b32_e32 v109, v201, v108, vcc_lo
	v_cndmask_b32_e64 v111, v203, v110, s3
	v_cndmask_b32_e32 v108, v200, v200, vcc_lo
	v_cndmask_b32_e64 v110, v202, v202, s3
	s_delay_alu instid0(VALU_DEP_1) | instskip(SKIP_1) | instid1(SALU_CYCLE_1)
	v_cmp_ngt_f64_e32 vcc_lo, v[108:109], v[110:111]
                                        ; implicit-def: $vgpr108_vgpr109
	s_and_saveexec_b32 s3, vcc_lo
	s_xor_b32 s3, exec_lo, s3
                                        ; implicit-def: $vgpr204_vgpr205_vgpr206_vgpr207
	s_cbranch_execz .LBB53_212
; %bb.211:
	v_div_scale_f64 v[108:109], null, v[202:203], v[202:203], v[200:201]
	v_div_scale_f64 v[206:207], vcc_lo, v[200:201], v[202:203], v[200:201]
	s_delay_alu instid0(VALU_DEP_2) | instskip(SKIP_2) | instid1(VALU_DEP_1)
	v_rcp_f64_e32 v[110:111], v[108:109]
	s_waitcnt_depctr 0xfff
	v_fma_f64 v[204:205], -v[108:109], v[110:111], 1.0
	v_fma_f64 v[110:111], v[110:111], v[204:205], v[110:111]
	s_delay_alu instid0(VALU_DEP_1) | instskip(NEXT) | instid1(VALU_DEP_1)
	v_fma_f64 v[204:205], -v[108:109], v[110:111], 1.0
	v_fma_f64 v[110:111], v[110:111], v[204:205], v[110:111]
	s_delay_alu instid0(VALU_DEP_1) | instskip(NEXT) | instid1(VALU_DEP_1)
	v_mul_f64 v[204:205], v[206:207], v[110:111]
	v_fma_f64 v[108:109], -v[108:109], v[204:205], v[206:207]
	s_delay_alu instid0(VALU_DEP_1) | instskip(NEXT) | instid1(VALU_DEP_1)
	v_div_fmas_f64 v[108:109], v[108:109], v[110:111], v[204:205]
	v_div_fixup_f64 v[108:109], v[108:109], v[202:203], v[200:201]
	s_delay_alu instid0(VALU_DEP_1) | instskip(NEXT) | instid1(VALU_DEP_1)
	v_fma_f64 v[110:111], v[200:201], v[108:109], v[202:203]
	v_div_scale_f64 v[200:201], null, v[110:111], v[110:111], 1.0
	s_delay_alu instid0(VALU_DEP_1) | instskip(SKIP_2) | instid1(VALU_DEP_1)
	v_rcp_f64_e32 v[202:203], v[200:201]
	s_waitcnt_depctr 0xfff
	v_fma_f64 v[204:205], -v[200:201], v[202:203], 1.0
	v_fma_f64 v[202:203], v[202:203], v[204:205], v[202:203]
	s_delay_alu instid0(VALU_DEP_1) | instskip(NEXT) | instid1(VALU_DEP_1)
	v_fma_f64 v[204:205], -v[200:201], v[202:203], 1.0
	v_fma_f64 v[202:203], v[202:203], v[204:205], v[202:203]
	v_div_scale_f64 v[204:205], vcc_lo, 1.0, v[110:111], 1.0
	s_delay_alu instid0(VALU_DEP_1) | instskip(NEXT) | instid1(VALU_DEP_1)
	v_mul_f64 v[206:207], v[204:205], v[202:203]
	v_fma_f64 v[200:201], -v[200:201], v[206:207], v[204:205]
	s_delay_alu instid0(VALU_DEP_1) | instskip(NEXT) | instid1(VALU_DEP_1)
	v_div_fmas_f64 v[200:201], v[200:201], v[202:203], v[206:207]
	v_div_fixup_f64 v[206:207], v[200:201], v[110:111], 1.0
                                        ; implicit-def: $vgpr200_vgpr201
	s_delay_alu instid0(VALU_DEP_1)
	v_mul_f64 v[108:109], v[108:109], v[206:207]
	v_xor_b32_e32 v207, 0x80000000, v207
.LBB53_212:
	s_and_not1_saveexec_b32 s3, s3
	s_cbranch_execz .LBB53_214
; %bb.213:
	v_div_scale_f64 v[108:109], null, v[200:201], v[200:201], v[202:203]
	v_div_scale_f64 v[206:207], vcc_lo, v[202:203], v[200:201], v[202:203]
	s_delay_alu instid0(VALU_DEP_2) | instskip(SKIP_2) | instid1(VALU_DEP_1)
	v_rcp_f64_e32 v[110:111], v[108:109]
	s_waitcnt_depctr 0xfff
	v_fma_f64 v[204:205], -v[108:109], v[110:111], 1.0
	v_fma_f64 v[110:111], v[110:111], v[204:205], v[110:111]
	s_delay_alu instid0(VALU_DEP_1) | instskip(NEXT) | instid1(VALU_DEP_1)
	v_fma_f64 v[204:205], -v[108:109], v[110:111], 1.0
	v_fma_f64 v[110:111], v[110:111], v[204:205], v[110:111]
	s_delay_alu instid0(VALU_DEP_1) | instskip(NEXT) | instid1(VALU_DEP_1)
	v_mul_f64 v[204:205], v[206:207], v[110:111]
	v_fma_f64 v[108:109], -v[108:109], v[204:205], v[206:207]
	s_delay_alu instid0(VALU_DEP_1) | instskip(NEXT) | instid1(VALU_DEP_1)
	v_div_fmas_f64 v[108:109], v[108:109], v[110:111], v[204:205]
	v_div_fixup_f64 v[110:111], v[108:109], v[200:201], v[202:203]
	s_delay_alu instid0(VALU_DEP_1) | instskip(NEXT) | instid1(VALU_DEP_1)
	v_fma_f64 v[108:109], v[202:203], v[110:111], v[200:201]
	v_div_scale_f64 v[200:201], null, v[108:109], v[108:109], 1.0
	s_delay_alu instid0(VALU_DEP_1) | instskip(SKIP_2) | instid1(VALU_DEP_1)
	v_rcp_f64_e32 v[202:203], v[200:201]
	s_waitcnt_depctr 0xfff
	v_fma_f64 v[204:205], -v[200:201], v[202:203], 1.0
	v_fma_f64 v[202:203], v[202:203], v[204:205], v[202:203]
	s_delay_alu instid0(VALU_DEP_1) | instskip(NEXT) | instid1(VALU_DEP_1)
	v_fma_f64 v[204:205], -v[200:201], v[202:203], 1.0
	v_fma_f64 v[202:203], v[202:203], v[204:205], v[202:203]
	v_div_scale_f64 v[204:205], vcc_lo, 1.0, v[108:109], 1.0
	s_delay_alu instid0(VALU_DEP_1) | instskip(NEXT) | instid1(VALU_DEP_1)
	v_mul_f64 v[206:207], v[204:205], v[202:203]
	v_fma_f64 v[200:201], -v[200:201], v[206:207], v[204:205]
	s_delay_alu instid0(VALU_DEP_1) | instskip(NEXT) | instid1(VALU_DEP_1)
	v_div_fmas_f64 v[200:201], v[200:201], v[202:203], v[206:207]
	v_div_fixup_f64 v[108:109], v[200:201], v[108:109], 1.0
	s_delay_alu instid0(VALU_DEP_1)
	v_mul_f64 v[206:207], v[110:111], -v[108:109]
.LBB53_214:
	s_or_b32 exec_lo, exec_lo, s3
	ds_store_2addr_b64 v233, v[108:109], v[206:207] offset1:1
.LBB53_215:
	s_or_b32 exec_lo, exec_lo, s4
	s_waitcnt lgkmcnt(0)
	s_barrier
	buffer_gl0_inv
	ds_load_2addr_b64 v[200:203], v233 offset1:1
	s_mov_b32 s3, exec_lo
	v_cmpx_lt_u32_e32 23, v232
	s_cbranch_execz .LBB53_217
; %bb.216:
	s_waitcnt lgkmcnt(0)
	v_mul_f64 v[108:109], v[200:201], v[14:15]
	v_mul_f64 v[14:15], v[202:203], v[14:15]
	s_delay_alu instid0(VALU_DEP_2)
	v_fma_f64 v[212:213], v[202:203], v[12:13], v[108:109]
	ds_load_2addr_b64 v[108:111], v236 offset0:48 offset1:49
	ds_load_2addr_b64 v[204:207], v236 offset0:50 offset1:51
	v_fma_f64 v[12:13], v[200:201], v[12:13], -v[14:15]
	ds_load_2addr_b64 v[208:211], v236 offset0:52 offset1:53
	s_waitcnt lgkmcnt(2)
	v_mul_f64 v[14:15], v[110:111], v[212:213]
	v_mul_f64 v[214:215], v[108:109], v[212:213]
	s_waitcnt lgkmcnt(1)
	v_mul_f64 v[112:113], v[206:207], v[212:213]
	v_mul_f64 v[114:115], v[204:205], v[212:213]
	s_delay_alu instid0(VALU_DEP_4) | instskip(NEXT) | instid1(VALU_DEP_4)
	v_fma_f64 v[14:15], v[108:109], v[12:13], -v[14:15]
	v_fma_f64 v[108:109], v[110:111], v[12:13], v[214:215]
	s_waitcnt lgkmcnt(0)
	v_mul_f64 v[110:111], v[210:211], v[212:213]
	v_mul_f64 v[214:215], v[208:209], v[212:213]
	v_fma_f64 v[112:113], v[204:205], v[12:13], -v[112:113]
	v_fma_f64 v[114:115], v[206:207], v[12:13], v[114:115]
	v_add_f64 v[8:9], v[8:9], -v[14:15]
	v_add_f64 v[10:11], v[10:11], -v[108:109]
	v_fma_f64 v[110:111], v[208:209], v[12:13], -v[110:111]
	v_fma_f64 v[204:205], v[210:211], v[12:13], v[214:215]
	v_add_f64 v[4:5], v[4:5], -v[112:113]
	v_add_f64 v[6:7], v[6:7], -v[114:115]
	v_dual_mov_b32 v14, v212 :: v_dual_mov_b32 v15, v213
	v_add_f64 v[0:1], v[0:1], -v[110:111]
	v_add_f64 v[2:3], v[2:3], -v[204:205]
.LBB53_217:
	s_or_b32 exec_lo, exec_lo, s3
	s_delay_alu instid0(SALU_CYCLE_1)
	s_mov_b32 s4, exec_lo
	s_waitcnt lgkmcnt(0)
	s_barrier
	buffer_gl0_inv
	v_cmpx_eq_u32_e32 24, v232
	s_cbranch_execz .LBB53_224
; %bb.218:
	ds_store_2addr_b64 v233, v[8:9], v[10:11] offset1:1
	ds_store_2addr_b64 v236, v[4:5], v[6:7] offset0:50 offset1:51
	ds_store_2addr_b64 v236, v[0:1], v[2:3] offset0:52 offset1:53
	ds_load_2addr_b64 v[204:207], v233 offset1:1
	s_waitcnt lgkmcnt(0)
	v_cmp_neq_f64_e32 vcc_lo, 0, v[204:205]
	v_cmp_neq_f64_e64 s3, 0, v[206:207]
	s_delay_alu instid0(VALU_DEP_1) | instskip(NEXT) | instid1(SALU_CYCLE_1)
	s_or_b32 s3, vcc_lo, s3
	s_and_b32 exec_lo, exec_lo, s3
	s_cbranch_execz .LBB53_224
; %bb.219:
	v_cmp_gt_f64_e32 vcc_lo, 0, v[204:205]
	v_cmp_gt_f64_e64 s3, 0, v[206:207]
	v_xor_b32_e32 v108, 0x80000000, v205
	v_xor_b32_e32 v110, 0x80000000, v207
	s_delay_alu instid0(VALU_DEP_2) | instskip(NEXT) | instid1(VALU_DEP_2)
	v_cndmask_b32_e32 v109, v205, v108, vcc_lo
	v_cndmask_b32_e64 v111, v207, v110, s3
	v_cndmask_b32_e32 v108, v204, v204, vcc_lo
	v_cndmask_b32_e64 v110, v206, v206, s3
	s_delay_alu instid0(VALU_DEP_1) | instskip(SKIP_1) | instid1(SALU_CYCLE_1)
	v_cmp_ngt_f64_e32 vcc_lo, v[108:109], v[110:111]
                                        ; implicit-def: $vgpr108_vgpr109
	s_and_saveexec_b32 s3, vcc_lo
	s_xor_b32 s3, exec_lo, s3
                                        ; implicit-def: $vgpr208_vgpr209_vgpr210_vgpr211
	s_cbranch_execz .LBB53_221
; %bb.220:
	v_div_scale_f64 v[108:109], null, v[206:207], v[206:207], v[204:205]
	v_div_scale_f64 v[114:115], vcc_lo, v[204:205], v[206:207], v[204:205]
	s_delay_alu instid0(VALU_DEP_2) | instskip(SKIP_2) | instid1(VALU_DEP_1)
	v_rcp_f64_e32 v[110:111], v[108:109]
	s_waitcnt_depctr 0xfff
	v_fma_f64 v[112:113], -v[108:109], v[110:111], 1.0
	v_fma_f64 v[110:111], v[110:111], v[112:113], v[110:111]
	s_delay_alu instid0(VALU_DEP_1) | instskip(NEXT) | instid1(VALU_DEP_1)
	v_fma_f64 v[112:113], -v[108:109], v[110:111], 1.0
	v_fma_f64 v[110:111], v[110:111], v[112:113], v[110:111]
	s_delay_alu instid0(VALU_DEP_1) | instskip(NEXT) | instid1(VALU_DEP_1)
	v_mul_f64 v[112:113], v[114:115], v[110:111]
	v_fma_f64 v[108:109], -v[108:109], v[112:113], v[114:115]
	s_delay_alu instid0(VALU_DEP_1) | instskip(NEXT) | instid1(VALU_DEP_1)
	v_div_fmas_f64 v[108:109], v[108:109], v[110:111], v[112:113]
	v_div_fixup_f64 v[108:109], v[108:109], v[206:207], v[204:205]
	s_delay_alu instid0(VALU_DEP_1) | instskip(NEXT) | instid1(VALU_DEP_1)
	v_fma_f64 v[110:111], v[204:205], v[108:109], v[206:207]
	v_div_scale_f64 v[112:113], null, v[110:111], v[110:111], 1.0
	s_delay_alu instid0(VALU_DEP_1) | instskip(SKIP_2) | instid1(VALU_DEP_1)
	v_rcp_f64_e32 v[114:115], v[112:113]
	s_waitcnt_depctr 0xfff
	v_fma_f64 v[204:205], -v[112:113], v[114:115], 1.0
	v_fma_f64 v[114:115], v[114:115], v[204:205], v[114:115]
	s_delay_alu instid0(VALU_DEP_1) | instskip(NEXT) | instid1(VALU_DEP_1)
	v_fma_f64 v[204:205], -v[112:113], v[114:115], 1.0
	v_fma_f64 v[114:115], v[114:115], v[204:205], v[114:115]
	v_div_scale_f64 v[204:205], vcc_lo, 1.0, v[110:111], 1.0
	s_delay_alu instid0(VALU_DEP_1) | instskip(NEXT) | instid1(VALU_DEP_1)
	v_mul_f64 v[206:207], v[204:205], v[114:115]
	v_fma_f64 v[112:113], -v[112:113], v[206:207], v[204:205]
                                        ; implicit-def: $vgpr204_vgpr205
	s_delay_alu instid0(VALU_DEP_1) | instskip(NEXT) | instid1(VALU_DEP_1)
	v_div_fmas_f64 v[112:113], v[112:113], v[114:115], v[206:207]
	v_div_fixup_f64 v[210:211], v[112:113], v[110:111], 1.0
	s_delay_alu instid0(VALU_DEP_1)
	v_mul_f64 v[108:109], v[108:109], v[210:211]
	v_xor_b32_e32 v211, 0x80000000, v211
.LBB53_221:
	s_and_not1_saveexec_b32 s3, s3
	s_cbranch_execz .LBB53_223
; %bb.222:
	v_div_scale_f64 v[108:109], null, v[204:205], v[204:205], v[206:207]
	v_div_scale_f64 v[114:115], vcc_lo, v[206:207], v[204:205], v[206:207]
	s_delay_alu instid0(VALU_DEP_2) | instskip(SKIP_2) | instid1(VALU_DEP_1)
	v_rcp_f64_e32 v[110:111], v[108:109]
	s_waitcnt_depctr 0xfff
	v_fma_f64 v[112:113], -v[108:109], v[110:111], 1.0
	v_fma_f64 v[110:111], v[110:111], v[112:113], v[110:111]
	s_delay_alu instid0(VALU_DEP_1) | instskip(NEXT) | instid1(VALU_DEP_1)
	v_fma_f64 v[112:113], -v[108:109], v[110:111], 1.0
	v_fma_f64 v[110:111], v[110:111], v[112:113], v[110:111]
	s_delay_alu instid0(VALU_DEP_1) | instskip(NEXT) | instid1(VALU_DEP_1)
	v_mul_f64 v[112:113], v[114:115], v[110:111]
	v_fma_f64 v[108:109], -v[108:109], v[112:113], v[114:115]
	s_delay_alu instid0(VALU_DEP_1) | instskip(NEXT) | instid1(VALU_DEP_1)
	v_div_fmas_f64 v[108:109], v[108:109], v[110:111], v[112:113]
	v_div_fixup_f64 v[110:111], v[108:109], v[204:205], v[206:207]
	s_delay_alu instid0(VALU_DEP_1) | instskip(NEXT) | instid1(VALU_DEP_1)
	v_fma_f64 v[108:109], v[206:207], v[110:111], v[204:205]
	v_div_scale_f64 v[112:113], null, v[108:109], v[108:109], 1.0
	s_delay_alu instid0(VALU_DEP_1) | instskip(SKIP_2) | instid1(VALU_DEP_1)
	v_rcp_f64_e32 v[114:115], v[112:113]
	s_waitcnt_depctr 0xfff
	v_fma_f64 v[204:205], -v[112:113], v[114:115], 1.0
	v_fma_f64 v[114:115], v[114:115], v[204:205], v[114:115]
	s_delay_alu instid0(VALU_DEP_1) | instskip(NEXT) | instid1(VALU_DEP_1)
	v_fma_f64 v[204:205], -v[112:113], v[114:115], 1.0
	v_fma_f64 v[114:115], v[114:115], v[204:205], v[114:115]
	v_div_scale_f64 v[204:205], vcc_lo, 1.0, v[108:109], 1.0
	s_delay_alu instid0(VALU_DEP_1) | instskip(NEXT) | instid1(VALU_DEP_1)
	v_mul_f64 v[206:207], v[204:205], v[114:115]
	v_fma_f64 v[112:113], -v[112:113], v[206:207], v[204:205]
	s_delay_alu instid0(VALU_DEP_1) | instskip(NEXT) | instid1(VALU_DEP_1)
	v_div_fmas_f64 v[112:113], v[112:113], v[114:115], v[206:207]
	v_div_fixup_f64 v[108:109], v[112:113], v[108:109], 1.0
	s_delay_alu instid0(VALU_DEP_1)
	v_mul_f64 v[210:211], v[110:111], -v[108:109]
.LBB53_223:
	s_or_b32 exec_lo, exec_lo, s3
	ds_store_2addr_b64 v233, v[108:109], v[210:211] offset1:1
.LBB53_224:
	s_or_b32 exec_lo, exec_lo, s4
	s_waitcnt lgkmcnt(0)
	s_barrier
	buffer_gl0_inv
	ds_load_2addr_b64 v[204:207], v233 offset1:1
	s_mov_b32 s3, exec_lo
	v_cmpx_lt_u32_e32 24, v232
	s_cbranch_execz .LBB53_226
; %bb.225:
	s_waitcnt lgkmcnt(0)
	v_mul_f64 v[108:109], v[204:205], v[10:11]
	v_mul_f64 v[10:11], v[206:207], v[10:11]
	s_delay_alu instid0(VALU_DEP_2)
	v_fma_f64 v[112:113], v[206:207], v[8:9], v[108:109]
	ds_load_2addr_b64 v[108:111], v236 offset0:50 offset1:51
	ds_load_2addr_b64 v[208:211], v236 offset0:52 offset1:53
	v_fma_f64 v[8:9], v[204:205], v[8:9], -v[10:11]
	s_waitcnt lgkmcnt(1)
	v_mul_f64 v[10:11], v[110:111], v[112:113]
	v_mul_f64 v[114:115], v[108:109], v[112:113]
	s_waitcnt lgkmcnt(0)
	v_mul_f64 v[212:213], v[210:211], v[112:113]
	v_mul_f64 v[214:215], v[208:209], v[112:113]
	s_delay_alu instid0(VALU_DEP_4) | instskip(NEXT) | instid1(VALU_DEP_4)
	v_fma_f64 v[10:11], v[108:109], v[8:9], -v[10:11]
	v_fma_f64 v[108:109], v[110:111], v[8:9], v[114:115]
	s_delay_alu instid0(VALU_DEP_4) | instskip(NEXT) | instid1(VALU_DEP_4)
	v_fma_f64 v[110:111], v[208:209], v[8:9], -v[212:213]
	v_fma_f64 v[114:115], v[210:211], v[8:9], v[214:215]
	s_delay_alu instid0(VALU_DEP_4) | instskip(NEXT) | instid1(VALU_DEP_4)
	v_add_f64 v[4:5], v[4:5], -v[10:11]
	v_add_f64 v[6:7], v[6:7], -v[108:109]
	s_delay_alu instid0(VALU_DEP_4) | instskip(NEXT) | instid1(VALU_DEP_4)
	v_add_f64 v[0:1], v[0:1], -v[110:111]
	v_add_f64 v[2:3], v[2:3], -v[114:115]
	v_dual_mov_b32 v10, v112 :: v_dual_mov_b32 v11, v113
.LBB53_226:
	s_or_b32 exec_lo, exec_lo, s3
	s_delay_alu instid0(SALU_CYCLE_1)
	s_mov_b32 s4, exec_lo
	s_waitcnt lgkmcnt(0)
	s_barrier
	buffer_gl0_inv
	v_cmpx_eq_u32_e32 25, v232
	s_cbranch_execz .LBB53_233
; %bb.227:
	ds_store_2addr_b64 v233, v[4:5], v[6:7] offset1:1
	ds_store_2addr_b64 v236, v[0:1], v[2:3] offset0:52 offset1:53
	ds_load_2addr_b64 v[208:211], v233 offset1:1
	s_waitcnt lgkmcnt(0)
	v_cmp_neq_f64_e32 vcc_lo, 0, v[208:209]
	v_cmp_neq_f64_e64 s3, 0, v[210:211]
	s_delay_alu instid0(VALU_DEP_1) | instskip(NEXT) | instid1(SALU_CYCLE_1)
	s_or_b32 s3, vcc_lo, s3
	s_and_b32 exec_lo, exec_lo, s3
	s_cbranch_execz .LBB53_233
; %bb.228:
	v_cmp_gt_f64_e32 vcc_lo, 0, v[208:209]
	v_cmp_gt_f64_e64 s3, 0, v[210:211]
	v_xor_b32_e32 v108, 0x80000000, v209
	v_xor_b32_e32 v110, 0x80000000, v211
	s_delay_alu instid0(VALU_DEP_2) | instskip(NEXT) | instid1(VALU_DEP_2)
	v_cndmask_b32_e32 v109, v209, v108, vcc_lo
	v_cndmask_b32_e64 v111, v211, v110, s3
	v_cndmask_b32_e32 v108, v208, v208, vcc_lo
	v_cndmask_b32_e64 v110, v210, v210, s3
	s_delay_alu instid0(VALU_DEP_1) | instskip(SKIP_1) | instid1(SALU_CYCLE_1)
	v_cmp_ngt_f64_e32 vcc_lo, v[108:109], v[110:111]
                                        ; implicit-def: $vgpr108_vgpr109
	s_and_saveexec_b32 s3, vcc_lo
	s_xor_b32 s3, exec_lo, s3
                                        ; implicit-def: $vgpr212_vgpr213_vgpr214_vgpr215
	s_cbranch_execz .LBB53_230
; %bb.229:
	v_div_scale_f64 v[108:109], null, v[210:211], v[210:211], v[208:209]
	v_div_scale_f64 v[114:115], vcc_lo, v[208:209], v[210:211], v[208:209]
	s_delay_alu instid0(VALU_DEP_2) | instskip(SKIP_2) | instid1(VALU_DEP_1)
	v_rcp_f64_e32 v[110:111], v[108:109]
	s_waitcnt_depctr 0xfff
	v_fma_f64 v[112:113], -v[108:109], v[110:111], 1.0
	v_fma_f64 v[110:111], v[110:111], v[112:113], v[110:111]
	s_delay_alu instid0(VALU_DEP_1) | instskip(NEXT) | instid1(VALU_DEP_1)
	v_fma_f64 v[112:113], -v[108:109], v[110:111], 1.0
	v_fma_f64 v[110:111], v[110:111], v[112:113], v[110:111]
	s_delay_alu instid0(VALU_DEP_1) | instskip(NEXT) | instid1(VALU_DEP_1)
	v_mul_f64 v[112:113], v[114:115], v[110:111]
	v_fma_f64 v[108:109], -v[108:109], v[112:113], v[114:115]
	s_delay_alu instid0(VALU_DEP_1) | instskip(NEXT) | instid1(VALU_DEP_1)
	v_div_fmas_f64 v[108:109], v[108:109], v[110:111], v[112:113]
	v_div_fixup_f64 v[108:109], v[108:109], v[210:211], v[208:209]
	s_delay_alu instid0(VALU_DEP_1) | instskip(NEXT) | instid1(VALU_DEP_1)
	v_fma_f64 v[110:111], v[208:209], v[108:109], v[210:211]
	v_div_scale_f64 v[112:113], null, v[110:111], v[110:111], 1.0
	s_delay_alu instid0(VALU_DEP_1) | instskip(SKIP_2) | instid1(VALU_DEP_1)
	v_rcp_f64_e32 v[114:115], v[112:113]
	s_waitcnt_depctr 0xfff
	v_fma_f64 v[208:209], -v[112:113], v[114:115], 1.0
	v_fma_f64 v[114:115], v[114:115], v[208:209], v[114:115]
	s_delay_alu instid0(VALU_DEP_1) | instskip(NEXT) | instid1(VALU_DEP_1)
	v_fma_f64 v[208:209], -v[112:113], v[114:115], 1.0
	v_fma_f64 v[114:115], v[114:115], v[208:209], v[114:115]
	v_div_scale_f64 v[208:209], vcc_lo, 1.0, v[110:111], 1.0
	s_delay_alu instid0(VALU_DEP_1) | instskip(NEXT) | instid1(VALU_DEP_1)
	v_mul_f64 v[210:211], v[208:209], v[114:115]
	v_fma_f64 v[112:113], -v[112:113], v[210:211], v[208:209]
                                        ; implicit-def: $vgpr208_vgpr209
	s_delay_alu instid0(VALU_DEP_1) | instskip(NEXT) | instid1(VALU_DEP_1)
	v_div_fmas_f64 v[112:113], v[112:113], v[114:115], v[210:211]
	v_div_fixup_f64 v[214:215], v[112:113], v[110:111], 1.0
	s_delay_alu instid0(VALU_DEP_1)
	v_mul_f64 v[108:109], v[108:109], v[214:215]
	v_xor_b32_e32 v215, 0x80000000, v215
.LBB53_230:
	s_and_not1_saveexec_b32 s3, s3
	s_cbranch_execz .LBB53_232
; %bb.231:
	v_div_scale_f64 v[108:109], null, v[208:209], v[208:209], v[210:211]
	v_div_scale_f64 v[114:115], vcc_lo, v[210:211], v[208:209], v[210:211]
	s_delay_alu instid0(VALU_DEP_2) | instskip(SKIP_2) | instid1(VALU_DEP_1)
	v_rcp_f64_e32 v[110:111], v[108:109]
	s_waitcnt_depctr 0xfff
	v_fma_f64 v[112:113], -v[108:109], v[110:111], 1.0
	v_fma_f64 v[110:111], v[110:111], v[112:113], v[110:111]
	s_delay_alu instid0(VALU_DEP_1) | instskip(NEXT) | instid1(VALU_DEP_1)
	v_fma_f64 v[112:113], -v[108:109], v[110:111], 1.0
	v_fma_f64 v[110:111], v[110:111], v[112:113], v[110:111]
	s_delay_alu instid0(VALU_DEP_1) | instskip(NEXT) | instid1(VALU_DEP_1)
	v_mul_f64 v[112:113], v[114:115], v[110:111]
	v_fma_f64 v[108:109], -v[108:109], v[112:113], v[114:115]
	s_delay_alu instid0(VALU_DEP_1) | instskip(NEXT) | instid1(VALU_DEP_1)
	v_div_fmas_f64 v[108:109], v[108:109], v[110:111], v[112:113]
	v_div_fixup_f64 v[110:111], v[108:109], v[208:209], v[210:211]
	s_delay_alu instid0(VALU_DEP_1) | instskip(NEXT) | instid1(VALU_DEP_1)
	v_fma_f64 v[108:109], v[210:211], v[110:111], v[208:209]
	v_div_scale_f64 v[112:113], null, v[108:109], v[108:109], 1.0
	s_delay_alu instid0(VALU_DEP_1) | instskip(SKIP_2) | instid1(VALU_DEP_1)
	v_rcp_f64_e32 v[114:115], v[112:113]
	s_waitcnt_depctr 0xfff
	v_fma_f64 v[208:209], -v[112:113], v[114:115], 1.0
	v_fma_f64 v[114:115], v[114:115], v[208:209], v[114:115]
	s_delay_alu instid0(VALU_DEP_1) | instskip(NEXT) | instid1(VALU_DEP_1)
	v_fma_f64 v[208:209], -v[112:113], v[114:115], 1.0
	v_fma_f64 v[114:115], v[114:115], v[208:209], v[114:115]
	v_div_scale_f64 v[208:209], vcc_lo, 1.0, v[108:109], 1.0
	s_delay_alu instid0(VALU_DEP_1) | instskip(NEXT) | instid1(VALU_DEP_1)
	v_mul_f64 v[210:211], v[208:209], v[114:115]
	v_fma_f64 v[112:113], -v[112:113], v[210:211], v[208:209]
	s_delay_alu instid0(VALU_DEP_1) | instskip(NEXT) | instid1(VALU_DEP_1)
	v_div_fmas_f64 v[112:113], v[112:113], v[114:115], v[210:211]
	v_div_fixup_f64 v[108:109], v[112:113], v[108:109], 1.0
	s_delay_alu instid0(VALU_DEP_1)
	v_mul_f64 v[214:215], v[110:111], -v[108:109]
.LBB53_232:
	s_or_b32 exec_lo, exec_lo, s3
	ds_store_2addr_b64 v233, v[108:109], v[214:215] offset1:1
.LBB53_233:
	s_or_b32 exec_lo, exec_lo, s4
	s_waitcnt lgkmcnt(0)
	s_barrier
	buffer_gl0_inv
	ds_load_2addr_b64 v[208:211], v233 offset1:1
	s_mov_b32 s3, exec_lo
	v_cmpx_lt_u32_e32 25, v232
	s_cbranch_execz .LBB53_235
; %bb.234:
	s_waitcnt lgkmcnt(0)
	v_mul_f64 v[108:109], v[208:209], v[6:7]
	v_mul_f64 v[6:7], v[210:211], v[6:7]
	s_delay_alu instid0(VALU_DEP_2)
	v_fma_f64 v[112:113], v[210:211], v[4:5], v[108:109]
	ds_load_2addr_b64 v[108:111], v236 offset0:52 offset1:53
	v_fma_f64 v[4:5], v[208:209], v[4:5], -v[6:7]
	s_waitcnt lgkmcnt(0)
	v_mul_f64 v[6:7], v[110:111], v[112:113]
	v_mul_f64 v[114:115], v[108:109], v[112:113]
	s_delay_alu instid0(VALU_DEP_2) | instskip(NEXT) | instid1(VALU_DEP_2)
	v_fma_f64 v[6:7], v[108:109], v[4:5], -v[6:7]
	v_fma_f64 v[108:109], v[110:111], v[4:5], v[114:115]
	s_delay_alu instid0(VALU_DEP_2) | instskip(NEXT) | instid1(VALU_DEP_2)
	v_add_f64 v[0:1], v[0:1], -v[6:7]
	v_add_f64 v[2:3], v[2:3], -v[108:109]
	v_dual_mov_b32 v6, v112 :: v_dual_mov_b32 v7, v113
.LBB53_235:
	s_or_b32 exec_lo, exec_lo, s3
	s_delay_alu instid0(SALU_CYCLE_1)
	s_mov_b32 s4, exec_lo
	s_waitcnt lgkmcnt(0)
	s_barrier
	buffer_gl0_inv
	v_cmpx_eq_u32_e32 26, v232
	s_cbranch_execz .LBB53_242
; %bb.236:
	v_cmp_neq_f64_e32 vcc_lo, 0, v[0:1]
	v_cmp_neq_f64_e64 s3, 0, v[2:3]
	ds_store_2addr_b64 v233, v[0:1], v[2:3] offset1:1
	s_or_b32 s3, vcc_lo, s3
	s_delay_alu instid0(SALU_CYCLE_1)
	s_and_b32 exec_lo, exec_lo, s3
	s_cbranch_execz .LBB53_242
; %bb.237:
	v_cmp_gt_f64_e32 vcc_lo, 0, v[0:1]
	v_cmp_gt_f64_e64 s3, 0, v[2:3]
	v_xor_b32_e32 v108, 0x80000000, v1
	v_xor_b32_e32 v110, 0x80000000, v3
	s_delay_alu instid0(VALU_DEP_2) | instskip(NEXT) | instid1(VALU_DEP_2)
	v_cndmask_b32_e32 v109, v1, v108, vcc_lo
	v_cndmask_b32_e64 v111, v3, v110, s3
	v_cndmask_b32_e32 v108, v0, v0, vcc_lo
	v_cndmask_b32_e64 v110, v2, v2, s3
	s_delay_alu instid0(VALU_DEP_1) | instskip(SKIP_1) | instid1(SALU_CYCLE_1)
	v_cmp_ngt_f64_e32 vcc_lo, v[108:109], v[110:111]
                                        ; implicit-def: $vgpr108_vgpr109
	s_and_saveexec_b32 s3, vcc_lo
	s_xor_b32 s3, exec_lo, s3
                                        ; implicit-def: $vgpr212_vgpr213_vgpr214_vgpr215
	s_cbranch_execz .LBB53_239
; %bb.238:
	v_div_scale_f64 v[108:109], null, v[2:3], v[2:3], v[0:1]
	v_div_scale_f64 v[114:115], vcc_lo, v[0:1], v[2:3], v[0:1]
	s_delay_alu instid0(VALU_DEP_2) | instskip(SKIP_2) | instid1(VALU_DEP_1)
	v_rcp_f64_e32 v[110:111], v[108:109]
	s_waitcnt_depctr 0xfff
	v_fma_f64 v[112:113], -v[108:109], v[110:111], 1.0
	v_fma_f64 v[110:111], v[110:111], v[112:113], v[110:111]
	s_delay_alu instid0(VALU_DEP_1) | instskip(NEXT) | instid1(VALU_DEP_1)
	v_fma_f64 v[112:113], -v[108:109], v[110:111], 1.0
	v_fma_f64 v[110:111], v[110:111], v[112:113], v[110:111]
	s_delay_alu instid0(VALU_DEP_1) | instskip(NEXT) | instid1(VALU_DEP_1)
	v_mul_f64 v[112:113], v[114:115], v[110:111]
	v_fma_f64 v[108:109], -v[108:109], v[112:113], v[114:115]
	s_delay_alu instid0(VALU_DEP_1) | instskip(NEXT) | instid1(VALU_DEP_1)
	v_div_fmas_f64 v[108:109], v[108:109], v[110:111], v[112:113]
	v_div_fixup_f64 v[108:109], v[108:109], v[2:3], v[0:1]
	s_delay_alu instid0(VALU_DEP_1) | instskip(NEXT) | instid1(VALU_DEP_1)
	v_fma_f64 v[110:111], v[0:1], v[108:109], v[2:3]
	v_div_scale_f64 v[112:113], null, v[110:111], v[110:111], 1.0
	s_delay_alu instid0(VALU_DEP_1) | instskip(SKIP_2) | instid1(VALU_DEP_1)
	v_rcp_f64_e32 v[114:115], v[112:113]
	s_waitcnt_depctr 0xfff
	v_fma_f64 v[212:213], -v[112:113], v[114:115], 1.0
	v_fma_f64 v[114:115], v[114:115], v[212:213], v[114:115]
	s_delay_alu instid0(VALU_DEP_1) | instskip(NEXT) | instid1(VALU_DEP_1)
	v_fma_f64 v[212:213], -v[112:113], v[114:115], 1.0
	v_fma_f64 v[114:115], v[114:115], v[212:213], v[114:115]
	v_div_scale_f64 v[212:213], vcc_lo, 1.0, v[110:111], 1.0
	s_delay_alu instid0(VALU_DEP_1) | instskip(NEXT) | instid1(VALU_DEP_1)
	v_mul_f64 v[214:215], v[212:213], v[114:115]
	v_fma_f64 v[112:113], -v[112:113], v[214:215], v[212:213]
	s_delay_alu instid0(VALU_DEP_1) | instskip(NEXT) | instid1(VALU_DEP_1)
	v_div_fmas_f64 v[112:113], v[112:113], v[114:115], v[214:215]
	v_div_fixup_f64 v[214:215], v[112:113], v[110:111], 1.0
	s_delay_alu instid0(VALU_DEP_1)
	v_mul_f64 v[108:109], v[108:109], v[214:215]
	v_xor_b32_e32 v215, 0x80000000, v215
.LBB53_239:
	s_and_not1_saveexec_b32 s3, s3
	s_cbranch_execz .LBB53_241
; %bb.240:
	v_div_scale_f64 v[108:109], null, v[0:1], v[0:1], v[2:3]
	v_div_scale_f64 v[114:115], vcc_lo, v[2:3], v[0:1], v[2:3]
	s_delay_alu instid0(VALU_DEP_2) | instskip(SKIP_2) | instid1(VALU_DEP_1)
	v_rcp_f64_e32 v[110:111], v[108:109]
	s_waitcnt_depctr 0xfff
	v_fma_f64 v[112:113], -v[108:109], v[110:111], 1.0
	v_fma_f64 v[110:111], v[110:111], v[112:113], v[110:111]
	s_delay_alu instid0(VALU_DEP_1) | instskip(NEXT) | instid1(VALU_DEP_1)
	v_fma_f64 v[112:113], -v[108:109], v[110:111], 1.0
	v_fma_f64 v[110:111], v[110:111], v[112:113], v[110:111]
	s_delay_alu instid0(VALU_DEP_1) | instskip(NEXT) | instid1(VALU_DEP_1)
	v_mul_f64 v[112:113], v[114:115], v[110:111]
	v_fma_f64 v[108:109], -v[108:109], v[112:113], v[114:115]
	s_delay_alu instid0(VALU_DEP_1) | instskip(NEXT) | instid1(VALU_DEP_1)
	v_div_fmas_f64 v[108:109], v[108:109], v[110:111], v[112:113]
	v_div_fixup_f64 v[110:111], v[108:109], v[0:1], v[2:3]
	s_delay_alu instid0(VALU_DEP_1) | instskip(NEXT) | instid1(VALU_DEP_1)
	v_fma_f64 v[108:109], v[2:3], v[110:111], v[0:1]
	v_div_scale_f64 v[112:113], null, v[108:109], v[108:109], 1.0
	s_delay_alu instid0(VALU_DEP_1) | instskip(SKIP_2) | instid1(VALU_DEP_1)
	v_rcp_f64_e32 v[114:115], v[112:113]
	s_waitcnt_depctr 0xfff
	v_fma_f64 v[212:213], -v[112:113], v[114:115], 1.0
	v_fma_f64 v[114:115], v[114:115], v[212:213], v[114:115]
	s_delay_alu instid0(VALU_DEP_1) | instskip(NEXT) | instid1(VALU_DEP_1)
	v_fma_f64 v[212:213], -v[112:113], v[114:115], 1.0
	v_fma_f64 v[114:115], v[114:115], v[212:213], v[114:115]
	v_div_scale_f64 v[212:213], vcc_lo, 1.0, v[108:109], 1.0
	s_delay_alu instid0(VALU_DEP_1) | instskip(NEXT) | instid1(VALU_DEP_1)
	v_mul_f64 v[214:215], v[212:213], v[114:115]
	v_fma_f64 v[112:113], -v[112:113], v[214:215], v[212:213]
	s_delay_alu instid0(VALU_DEP_1) | instskip(NEXT) | instid1(VALU_DEP_1)
	v_div_fmas_f64 v[112:113], v[112:113], v[114:115], v[214:215]
	v_div_fixup_f64 v[108:109], v[112:113], v[108:109], 1.0
	s_delay_alu instid0(VALU_DEP_1)
	v_mul_f64 v[214:215], v[110:111], -v[108:109]
.LBB53_241:
	s_or_b32 exec_lo, exec_lo, s3
	ds_store_2addr_b64 v233, v[108:109], v[214:215] offset1:1
.LBB53_242:
	s_or_b32 exec_lo, exec_lo, s4
	s_waitcnt lgkmcnt(0)
	s_barrier
	buffer_gl0_inv
	ds_load_2addr_b64 v[212:215], v233 offset1:1
	s_mov_b32 s3, exec_lo
	v_cmpx_lt_u32_e32 26, v232
	s_cbranch_execz .LBB53_244
; %bb.243:
	s_waitcnt lgkmcnt(0)
	v_mul_f64 v[108:109], v[214:215], v[2:3]
	v_mul_f64 v[2:3], v[212:213], v[2:3]
	s_delay_alu instid0(VALU_DEP_2) | instskip(NEXT) | instid1(VALU_DEP_2)
	v_fma_f64 v[108:109], v[212:213], v[0:1], -v[108:109]
	v_fma_f64 v[2:3], v[214:215], v[0:1], v[2:3]
	s_delay_alu instid0(VALU_DEP_2)
	v_dual_mov_b32 v0, v108 :: v_dual_mov_b32 v1, v109
.LBB53_244:
	s_or_b32 exec_lo, exec_lo, s3
	s_waitcnt lgkmcnt(0)
	s_barrier
	buffer_gl0_inv
	s_and_saveexec_b32 s36, s2
	s_cbranch_execz .LBB53_247
; %bb.245:
	scratch_load_b128 v[108:111], off, off offset:80 ; 16-byte Folded Reload
	s_load_b64 s[0:1], s[0:1], 0x28
	v_cmp_eq_f64_e64 s5, 0, v[116:117]
	v_cmp_eq_f64_e64 s6, 0, v[118:119]
	;; [unrolled: 1-line block ×30, first 2 shown]
	s_waitcnt vmcnt(0)
	v_cmp_eq_f64_e32 vcc_lo, 0, v[108:109]
	v_cmp_eq_f64_e64 s2, 0, v[110:111]
	scratch_load_b128 v[108:111], off, off offset:96 ; 16-byte Folded Reload
	s_waitcnt vmcnt(0)
	v_cmp_neq_f64_e64 s3, 0, v[108:109]
	v_cmp_neq_f64_e64 s4, 0, v[110:111]
	v_lshlrev_b64 v[108:109], 2, v[234:235]
	s_waitcnt lgkmcnt(0)
	s_delay_alu instid0(VALU_DEP_1) | instskip(NEXT) | instid1(VALU_DEP_1)
	v_add_co_u32 v108, s0, s0, v108
	v_add_co_ci_u32_e64 v109, s0, s1, v109, s0
	s_and_b32 s0, vcc_lo, s2
	s_and_b32 s2, s29, s34
	v_cndmask_b32_e64 v110, 0, 1, s0
	global_load_b32 v111, v[108:109], off
	s_or_b32 s1, s3, s4
	s_and_b32 s4, s30, s35
	s_or_b32 vcc_lo, s1, s0
	s_and_b32 s0, s5, s6
	v_cndmask_b32_e32 v110, 2, v110, vcc_lo
	s_and_b32 s6, s27, s31
	s_delay_alu instid0(VALU_DEP_1) | instskip(SKIP_1) | instid1(SALU_CYCLE_1)
	v_cmp_eq_u32_e32 vcc_lo, 0, v110
	s_and_b32 s0, s0, vcc_lo
	v_cndmask_b32_e64 v110, v110, 3, s0
	s_and_b32 s0, s7, s8
	s_delay_alu instid0(VALU_DEP_1) | instskip(SKIP_1) | instid1(SALU_CYCLE_1)
	v_cmp_eq_u32_e32 vcc_lo, 0, v110
	s_and_b32 s0, s0, vcc_lo
	v_cndmask_b32_e64 v110, v110, 4, s0
	;; [unrolled: 5-line block ×11, first 2 shown]
	s_and_b32 s0, s28, s33
	s_delay_alu instid0(VALU_DEP_1) | instskip(SKIP_4) | instid1(VALU_DEP_2)
	v_cmp_eq_u32_e32 vcc_lo, 0, v110
	s_and_b32 s0, s0, vcc_lo
	v_cmp_eq_f64_e32 vcc_lo, 0, v[176:177]
	v_cndmask_b32_e64 v110, v110, 14, s0
	v_cmp_eq_f64_e64 s0, 0, v[178:179]
	v_cmp_eq_u32_e64 s1, 0, v110
	s_delay_alu instid0(VALU_DEP_1) | instskip(SKIP_3) | instid1(VALU_DEP_2)
	s_and_b32 s1, s2, s1
	v_cmp_eq_f64_e64 s2, 0, v[182:183]
	v_cndmask_b32_e64 v110, v110, 15, s1
	v_cmp_eq_f64_e64 s1, 0, v[180:181]
	v_cmp_eq_u32_e64 s3, 0, v110
	s_delay_alu instid0(VALU_DEP_1) | instskip(SKIP_3) | instid1(VALU_DEP_2)
	s_and_b32 s3, s4, s3
	v_cmp_eq_f64_e64 s4, 0, v[186:187]
	v_cndmask_b32_e64 v110, v110, 16, s3
	v_cmp_eq_f64_e64 s3, 0, v[184:185]
	v_cmp_eq_u32_e64 s5, 0, v110
	s_delay_alu instid0(VALU_DEP_1)
	s_and_b32 s5, s6, s5
	v_cmp_eq_f64_e64 s6, 0, v[190:191]
	v_cndmask_b32_e64 v110, v110, 17, s5
	v_cmp_eq_f64_e64 s5, 0, v[188:189]
	s_and_b32 s0, vcc_lo, s0
	v_cmp_eq_f64_e32 vcc_lo, 0, v[192:193]
	s_delay_alu instid0(VALU_DEP_3) | instskip(NEXT) | instid1(VALU_DEP_1)
	v_cmp_eq_u32_e64 s7, 0, v110
	s_and_b32 s0, s0, s7
	s_delay_alu instid0(SALU_CYCLE_1) | instskip(SKIP_3) | instid1(VALU_DEP_3)
	v_cndmask_b32_e64 v110, v110, 18, s0
	v_cmp_eq_f64_e64 s0, 0, v[194:195]
	s_and_b32 s1, s1, s2
	v_cmp_eq_f64_e64 s2, 0, v[198:199]
	v_cmp_eq_u32_e64 s7, 0, v110
	s_delay_alu instid0(VALU_DEP_1) | instskip(NEXT) | instid1(SALU_CYCLE_1)
	s_and_b32 s1, s1, s7
	v_cndmask_b32_e64 v110, v110, 19, s1
	v_cmp_eq_f64_e64 s1, 0, v[196:197]
	s_and_b32 s3, s3, s4
	v_cmp_eq_f64_e64 s4, 0, v[202:203]
	s_delay_alu instid0(VALU_DEP_3) | instskip(NEXT) | instid1(VALU_DEP_1)
	v_cmp_eq_u32_e64 s7, 0, v110
	s_and_b32 s3, s3, s7
	s_delay_alu instid0(SALU_CYCLE_1) | instskip(SKIP_3) | instid1(VALU_DEP_3)
	v_cndmask_b32_e64 v110, v110, 20, s3
	v_cmp_eq_f64_e64 s3, 0, v[200:201]
	s_and_b32 s5, s5, s6
	v_cmp_eq_f64_e64 s6, 0, v[206:207]
	v_cmp_eq_u32_e64 s7, 0, v110
	s_delay_alu instid0(VALU_DEP_1) | instskip(NEXT) | instid1(SALU_CYCLE_1)
	s_and_b32 s5, s5, s7
	v_cndmask_b32_e64 v110, v110, 21, s5
	v_cmp_eq_f64_e64 s5, 0, v[204:205]
	s_and_b32 s0, vcc_lo, s0
	v_cmp_eq_f64_e32 vcc_lo, 0, v[208:209]
	s_delay_alu instid0(VALU_DEP_3) | instskip(NEXT) | instid1(VALU_DEP_1)
	v_cmp_eq_u32_e64 s7, 0, v110
	s_and_b32 s0, s0, s7
	s_delay_alu instid0(SALU_CYCLE_1) | instskip(SKIP_3) | instid1(VALU_DEP_3)
	v_cndmask_b32_e64 v110, v110, 22, s0
	v_cmp_eq_f64_e64 s0, 0, v[210:211]
	s_and_b32 s1, s1, s2
	v_cmp_eq_f64_e64 s2, 0, v[214:215]
	v_cmp_eq_u32_e64 s7, 0, v110
	s_delay_alu instid0(VALU_DEP_1) | instskip(NEXT) | instid1(SALU_CYCLE_1)
	s_and_b32 s1, s1, s7
	v_cndmask_b32_e64 v110, v110, 23, s1
	v_cmp_eq_f64_e64 s1, 0, v[212:213]
	s_and_b32 s3, s3, s4
	s_delay_alu instid0(VALU_DEP_2) | instskip(NEXT) | instid1(VALU_DEP_1)
	v_cmp_eq_u32_e64 s7, 0, v110
	s_and_b32 s3, s3, s7
	s_delay_alu instid0(SALU_CYCLE_1) | instskip(SKIP_1) | instid1(VALU_DEP_1)
	v_cndmask_b32_e64 v110, v110, 24, s3
	s_and_b32 s4, s5, s6
	v_cmp_eq_u32_e64 s3, 0, v110
	s_delay_alu instid0(VALU_DEP_1) | instskip(NEXT) | instid1(SALU_CYCLE_1)
	s_and_b32 s3, s4, s3
	v_cndmask_b32_e64 v110, v110, 25, s3
	s_and_b32 s0, vcc_lo, s0
	s_delay_alu instid0(VALU_DEP_1) | instskip(NEXT) | instid1(VALU_DEP_1)
	v_cmp_eq_u32_e64 s3, 0, v110
	s_and_b32 s0, s0, s3
	s_delay_alu instid0(SALU_CYCLE_1) | instskip(SKIP_1) | instid1(VALU_DEP_1)
	v_cndmask_b32_e64 v110, v110, 26, s0
	s_and_b32 s0, s1, s2
	v_cmp_eq_u32_e32 vcc_lo, 0, v110
	s_and_b32 s0, s0, vcc_lo
	s_waitcnt vmcnt(0)
	v_cmp_eq_u32_e32 vcc_lo, 0, v111
	v_cndmask_b32_e64 v110, v110, 27, s0
	s_delay_alu instid0(VALU_DEP_1) | instskip(NEXT) | instid1(VALU_DEP_1)
	v_cmp_ne_u32_e64 s0, 0, v110
	s_and_b32 s0, vcc_lo, s0
	s_delay_alu instid0(SALU_CYCLE_1)
	s_and_b32 exec_lo, exec_lo, s0
	s_cbranch_execz .LBB53_247
; %bb.246:
	v_add_nc_u32_e32 v110, s37, v110
	global_store_b32 v[108:109], v110, off
.LBB53_247:
	s_or_b32 exec_lo, exec_lo, s36
	s_clause 0x10
	global_store_b128 v[228:229], v[104:107], off
	global_store_b128 v[230:231], v[100:103], off
	;; [unrolled: 1-line block ×17, first 2 shown]
	scratch_load_b64 v[40:41], off, off offset:72 ; 8-byte Folded Reload
	s_waitcnt vmcnt(0)
	global_store_b128 v[40:41], v[36:39], off
	scratch_load_b64 v[36:37], off, off offset:64 ; 8-byte Folded Reload
	s_waitcnt vmcnt(0)
	global_store_b128 v[36:37], v[32:35], off
	;; [unrolled: 3-line block ×9, first 2 shown]
	scratch_load_b64 v[4:5], off, off       ; 8-byte Folded Reload
	s_waitcnt vmcnt(0)
	global_store_b128 v[4:5], v[0:3], off
.LBB53_248:
	s_nop 0
	s_sendmsg sendmsg(MSG_DEALLOC_VGPRS)
	s_endpgm
	.section	.rodata,"a",@progbits
	.p2align	6, 0x0
	.amdhsa_kernel _ZN9rocsolver6v33100L23getf2_npvt_small_kernelILi27E19rocblas_complex_numIdEiiPKPS3_EEvT1_T3_lS7_lPT2_S7_S7_
		.amdhsa_group_segment_fixed_size 0
		.amdhsa_private_segment_fixed_size 116
		.amdhsa_kernarg_size 312
		.amdhsa_user_sgpr_count 14
		.amdhsa_user_sgpr_dispatch_ptr 0
		.amdhsa_user_sgpr_queue_ptr 0
		.amdhsa_user_sgpr_kernarg_segment_ptr 1
		.amdhsa_user_sgpr_dispatch_id 0
		.amdhsa_user_sgpr_private_segment_size 0
		.amdhsa_wavefront_size32 1
		.amdhsa_uses_dynamic_stack 0
		.amdhsa_enable_private_segment 1
		.amdhsa_system_sgpr_workgroup_id_x 1
		.amdhsa_system_sgpr_workgroup_id_y 1
		.amdhsa_system_sgpr_workgroup_id_z 0
		.amdhsa_system_sgpr_workgroup_info 0
		.amdhsa_system_vgpr_workitem_id 1
		.amdhsa_next_free_vgpr 256
		.amdhsa_next_free_sgpr 38
		.amdhsa_reserve_vcc 1
		.amdhsa_float_round_mode_32 0
		.amdhsa_float_round_mode_16_64 0
		.amdhsa_float_denorm_mode_32 3
		.amdhsa_float_denorm_mode_16_64 3
		.amdhsa_dx10_clamp 1
		.amdhsa_ieee_mode 1
		.amdhsa_fp16_overflow 0
		.amdhsa_workgroup_processor_mode 1
		.amdhsa_memory_ordered 1
		.amdhsa_forward_progress 0
		.amdhsa_shared_vgpr_count 0
		.amdhsa_exception_fp_ieee_invalid_op 0
		.amdhsa_exception_fp_denorm_src 0
		.amdhsa_exception_fp_ieee_div_zero 0
		.amdhsa_exception_fp_ieee_overflow 0
		.amdhsa_exception_fp_ieee_underflow 0
		.amdhsa_exception_fp_ieee_inexact 0
		.amdhsa_exception_int_div_zero 0
	.end_amdhsa_kernel
	.section	.text._ZN9rocsolver6v33100L23getf2_npvt_small_kernelILi27E19rocblas_complex_numIdEiiPKPS3_EEvT1_T3_lS7_lPT2_S7_S7_,"axG",@progbits,_ZN9rocsolver6v33100L23getf2_npvt_small_kernelILi27E19rocblas_complex_numIdEiiPKPS3_EEvT1_T3_lS7_lPT2_S7_S7_,comdat
.Lfunc_end53:
	.size	_ZN9rocsolver6v33100L23getf2_npvt_small_kernelILi27E19rocblas_complex_numIdEiiPKPS3_EEvT1_T3_lS7_lPT2_S7_S7_, .Lfunc_end53-_ZN9rocsolver6v33100L23getf2_npvt_small_kernelILi27E19rocblas_complex_numIdEiiPKPS3_EEvT1_T3_lS7_lPT2_S7_S7_
                                        ; -- End function
	.section	.AMDGPU.csdata,"",@progbits
; Kernel info:
; codeLenInByte = 49580
; NumSgprs: 40
; NumVgprs: 256
; ScratchSize: 116
; MemoryBound: 1
; FloatMode: 240
; IeeeMode: 1
; LDSByteSize: 0 bytes/workgroup (compile time only)
; SGPRBlocks: 4
; VGPRBlocks: 31
; NumSGPRsForWavesPerEU: 40
; NumVGPRsForWavesPerEU: 256
; Occupancy: 5
; WaveLimiterHint : 1
; COMPUTE_PGM_RSRC2:SCRATCH_EN: 1
; COMPUTE_PGM_RSRC2:USER_SGPR: 14
; COMPUTE_PGM_RSRC2:TRAP_HANDLER: 0
; COMPUTE_PGM_RSRC2:TGID_X_EN: 1
; COMPUTE_PGM_RSRC2:TGID_Y_EN: 1
; COMPUTE_PGM_RSRC2:TGID_Z_EN: 0
; COMPUTE_PGM_RSRC2:TIDIG_COMP_CNT: 1
	.section	.text._ZN9rocsolver6v33100L18getf2_small_kernelILi28E19rocblas_complex_numIdEiiPKPS3_EEvT1_T3_lS7_lPS7_llPT2_S7_S7_S9_l,"axG",@progbits,_ZN9rocsolver6v33100L18getf2_small_kernelILi28E19rocblas_complex_numIdEiiPKPS3_EEvT1_T3_lS7_lPS7_llPT2_S7_S7_S9_l,comdat
	.globl	_ZN9rocsolver6v33100L18getf2_small_kernelILi28E19rocblas_complex_numIdEiiPKPS3_EEvT1_T3_lS7_lPS7_llPT2_S7_S7_S9_l ; -- Begin function _ZN9rocsolver6v33100L18getf2_small_kernelILi28E19rocblas_complex_numIdEiiPKPS3_EEvT1_T3_lS7_lPS7_llPT2_S7_S7_S9_l
	.p2align	8
	.type	_ZN9rocsolver6v33100L18getf2_small_kernelILi28E19rocblas_complex_numIdEiiPKPS3_EEvT1_T3_lS7_lPS7_llPT2_S7_S7_S9_l,@function
_ZN9rocsolver6v33100L18getf2_small_kernelILi28E19rocblas_complex_numIdEiiPKPS3_EEvT1_T3_lS7_lPS7_llPT2_S7_S7_S9_l: ; @_ZN9rocsolver6v33100L18getf2_small_kernelILi28E19rocblas_complex_numIdEiiPKPS3_EEvT1_T3_lS7_lPS7_llPT2_S7_S7_S9_l
; %bb.0:
	s_clause 0x1
	s_load_b32 s2, s[0:1], 0x6c
	s_load_b64 s[12:13], s[0:1], 0x48
	v_bfe_u32 v112, v0, 10, 10
	s_waitcnt lgkmcnt(0)
	s_lshr_b32 s2, s2, 16
	s_delay_alu instid0(VALU_DEP_1) | instid1(SALU_CYCLE_1)
	v_mad_u64_u32 v[2:3], null, s15, s2, v[112:113]
	s_mov_b32 s2, exec_lo
	s_delay_alu instid0(VALU_DEP_1)
	v_mov_b32_e32 v1, v2
	v_cmpx_gt_i32_e64 s12, v2
	s_cbranch_execz .LBB54_591
; %bb.1:
	s_clause 0x1
	s_load_b128 s[4:7], s[0:1], 0x8
	s_load_b128 s[8:11], s[0:1], 0x50
	v_ashrrev_i32_e32 v2, 31, v1
	v_mov_b32_e32 v78, 0
	v_mov_b32_e32 v79, 0
	scratch_store_b64 off, v[1:2], off offset:48 ; 8-byte Folded Spill
	v_lshlrev_b64 v[1:2], 3, v[1:2]
	s_waitcnt lgkmcnt(0)
	s_delay_alu instid0(VALU_DEP_1) | instskip(NEXT) | instid1(VALU_DEP_2)
	v_add_co_u32 v1, vcc_lo, s4, v1
	v_add_co_ci_u32_e32 v2, vcc_lo, s5, v2, vcc_lo
	s_cmp_eq_u64 s[8:9], 0
	s_cselect_b32 s4, -1, 0
	global_load_b64 v[1:2], v[1:2], off
	s_and_b32 vcc_lo, exec_lo, s4
	s_cbranch_vccnz .LBB54_3
; %bb.2:
	scratch_load_b64 v[7:8], off, off offset:48 ; 8-byte Folded Reload
	s_waitcnt vmcnt(0)
	v_mul_lo_u32 v5, v8, s10
	v_mul_lo_u32 v6, v7, s11
	v_mad_u64_u32 v[3:4], null, v7, s10, 0
	s_delay_alu instid0(VALU_DEP_1) | instskip(NEXT) | instid1(VALU_DEP_1)
	v_add3_u32 v4, v4, v6, v5
	v_lshlrev_b64 v[3:4], 2, v[3:4]
	s_delay_alu instid0(VALU_DEP_1) | instskip(NEXT) | instid1(VALU_DEP_2)
	v_add_co_u32 v78, vcc_lo, s8, v3
	v_add_co_ci_u32_e32 v79, vcc_lo, s9, v4, vcc_lo
.LBB54_3:
	s_clause 0x1
	s_load_b32 s8, s[0:1], 0x18
	s_load_b32 s5, s[0:1], 0x0
	v_and_b32_e32 v231, 0x3ff, v0
	s_lshl_b64 s[2:3], s[6:7], 4
	s_waitcnt vmcnt(0)
	v_add_co_u32 v255, vcc_lo, v1, s2
	s_delay_alu instid0(VALU_DEP_2) | instskip(SKIP_1) | instid1(VALU_DEP_2)
	v_lshlrev_b32_e32 v28, 4, v231
	v_add_co_ci_u32_e32 v139, vcc_lo, s3, v2, vcc_lo
	v_add_co_u32 v2, vcc_lo, v255, v28
	s_delay_alu instid0(VALU_DEP_2)
	v_add_co_ci_u32_e32 v3, vcc_lo, 0, v139, vcc_lo
	s_waitcnt lgkmcnt(0)
	v_add3_u32 v0, s8, s8, v231
	s_ashr_i32 s9, s8, 31
	s_max_i32 s2, s5, 28
	s_lshl_b64 s[10:11], s[8:9], 4
	v_mul_lo_u32 v29, s2, v112
	v_add_nc_u32_e32 v4, s8, v0
	v_add_co_u32 v6, vcc_lo, v2, s10
	v_ashrrev_i32_e32 v1, 31, v0
	v_add_co_ci_u32_e32 v7, vcc_lo, s11, v3, vcc_lo
	s_delay_alu instid0(VALU_DEP_4) | instskip(SKIP_1) | instid1(VALU_DEP_4)
	v_ashrrev_i32_e32 v5, 31, v4
	v_add_nc_u32_e32 v8, s8, v4
	v_lshlrev_b64 v[0:1], 4, v[0:1]
	s_clause 0x1
	global_load_b128 v[44:47], v[2:3], off
	global_load_b128 v[241:244], v[6:7], off
	v_lshl_add_u32 v138, v29, 4, 0
	v_lshlrev_b64 v[2:3], 4, v[4:5]
	v_ashrrev_i32_e32 v9, 31, v8
	v_add_nc_u32_e32 v4, s8, v8
	v_add_co_u32 v0, vcc_lo, v255, v0
	v_add_co_ci_u32_e32 v1, vcc_lo, v139, v1, vcc_lo
	s_delay_alu instid0(VALU_DEP_4) | instskip(NEXT) | instid1(VALU_DEP_4)
	v_lshlrev_b64 v[6:7], 4, v[8:9]
	v_add_nc_u32_e32 v8, s8, v4
	v_ashrrev_i32_e32 v5, 31, v4
	v_add_co_u32 v2, vcc_lo, v255, v2
	v_add_co_ci_u32_e32 v3, vcc_lo, v139, v3, vcc_lo
	s_delay_alu instid0(VALU_DEP_4) | instskip(NEXT) | instid1(VALU_DEP_4)
	v_add_nc_u32_e32 v10, s8, v8
	v_lshlrev_b64 v[4:5], 4, v[4:5]
	v_ashrrev_i32_e32 v9, 31, v8
	s_clause 0x1
	global_load_b128 v[227:230], v[0:1], off
	global_load_b128 v[233:236], v[2:3], off
	v_add_co_u32 v0, vcc_lo, v255, v6
	v_ashrrev_i32_e32 v11, 31, v10
	v_add_nc_u32_e32 v6, s8, v10
	v_add_co_ci_u32_e32 v1, vcc_lo, v139, v7, vcc_lo
	v_lshlrev_b64 v[2:3], 4, v[8:9]
	v_add_co_u32 v4, vcc_lo, v255, v4
	v_add_co_ci_u32_e32 v5, vcc_lo, v139, v5, vcc_lo
	v_lshlrev_b64 v[8:9], 4, v[10:11]
	v_add_nc_u32_e32 v10, s8, v6
	v_ashrrev_i32_e32 v7, 31, v6
	s_clause 0x1
	global_load_b128 v[237:240], v[0:1], off
	global_load_b128 v[80:83], v[4:5], off
	v_add_co_u32 v0, vcc_lo, v255, v2
	v_ashrrev_i32_e32 v11, 31, v10
	v_add_nc_u32_e32 v4, s8, v10
	v_add_co_ci_u32_e32 v1, vcc_lo, v139, v3, vcc_lo
	v_lshlrev_b64 v[2:3], 4, v[6:7]
	v_add_co_u32 v6, vcc_lo, v255, v8
	v_add_co_ci_u32_e32 v7, vcc_lo, v139, v9, vcc_lo
	v_lshlrev_b64 v[8:9], 4, v[10:11]
	v_ashrrev_i32_e32 v5, 31, v4
	v_add_nc_u32_e32 v10, s8, v4
	s_clause 0x1
	global_load_b128 v[223:226], v[0:1], off
	global_load_b128 v[88:91], v[6:7], off
	v_add_co_u32 v0, vcc_lo, v255, v2
	v_add_co_ci_u32_e32 v1, vcc_lo, v139, v3, vcc_lo
	v_lshlrev_b64 v[2:3], 4, v[4:5]
	v_ashrrev_i32_e32 v11, 31, v10
	v_add_nc_u32_e32 v4, s8, v10
	v_add_co_u32 v6, vcc_lo, v255, v8
	v_add_co_ci_u32_e32 v7, vcc_lo, v139, v9, vcc_lo
	s_delay_alu instid0(VALU_DEP_4) | instskip(NEXT) | instid1(VALU_DEP_4)
	v_lshlrev_b64 v[8:9], 4, v[10:11]
	v_add_nc_u32_e32 v10, s8, v4
	s_clause 0x1
	global_load_b128 v[249:252], v[0:1], off
	global_load_b128 v[219:222], v[6:7], off
	v_add_co_u32 v0, vcc_lo, v255, v2
	v_add_co_ci_u32_e32 v1, vcc_lo, v139, v3, vcc_lo
	v_ashrrev_i32_e32 v11, 31, v10
	v_add_co_u32 v6, vcc_lo, v255, v8
	v_add_co_ci_u32_e32 v7, vcc_lo, v139, v9, vcc_lo
	s_delay_alu instid0(VALU_DEP_3)
	v_lshlrev_b64 v[8:9], 4, v[10:11]
	global_load_b128 v[11:14], v[0:1], off
	v_ashrrev_i32_e32 v5, 31, v4
	v_add_nc_u32_e32 v28, v138, v28
	v_lshlrev_b32_e32 v62, 4, v29
	s_cmp_lt_i32 s5, 2
	s_delay_alu instid0(VALU_DEP_3) | instskip(SKIP_1) | instid1(VALU_DEP_1)
	v_lshlrev_b64 v[2:3], 4, v[4:5]
	v_add_nc_u32_e32 v4, s8, v10
	v_ashrrev_i32_e32 v5, 31, v4
	v_add_nc_u32_e32 v10, s8, v4
	s_delay_alu instid0(VALU_DEP_4) | instskip(SKIP_1) | instid1(VALU_DEP_4)
	v_add_co_u32 v0, vcc_lo, v255, v2
	v_add_co_ci_u32_e32 v1, vcc_lo, v139, v3, vcc_lo
	v_lshlrev_b64 v[2:3], 4, v[4:5]
	s_delay_alu instid0(VALU_DEP_4) | instskip(NEXT) | instid1(VALU_DEP_1)
	v_add_nc_u32_e32 v4, s8, v10
	v_ashrrev_i32_e32 v5, 31, v4
	s_waitcnt vmcnt(0)
	scratch_store_b128 off, v[11:14], off offset:16 ; 16-byte Folded Spill
	global_load_b128 v[11:14], v[6:7], off
	v_add_co_u32 v6, vcc_lo, v255, v8
	v_add_co_ci_u32_e32 v7, vcc_lo, v139, v9, vcc_lo
	s_waitcnt vmcnt(0)
	scratch_store_b128 off, v[11:14], off   ; 16-byte Folded Spill
	v_ashrrev_i32_e32 v11, 31, v10
	s_clause 0x1
	global_load_b128 v[64:67], v[0:1], off
	global_load_b128 v[48:51], v[6:7], off
	v_add_co_u32 v0, vcc_lo, v255, v2
	v_add_co_ci_u32_e32 v1, vcc_lo, v139, v3, vcc_lo
	v_lshlrev_b64 v[8:9], 4, v[10:11]
	v_add_nc_u32_e32 v10, s8, v4
	v_lshlrev_b64 v[2:3], 4, v[4:5]
	s_delay_alu instid0(VALU_DEP_2) | instskip(SKIP_3) | instid1(VALU_DEP_4)
	v_ashrrev_i32_e32 v11, 31, v10
	v_add_nc_u32_e32 v4, s8, v10
	v_add_co_u32 v6, vcc_lo, v255, v8
	v_add_co_ci_u32_e32 v7, vcc_lo, v139, v9, vcc_lo
	v_lshlrev_b64 v[8:9], 4, v[10:11]
	s_delay_alu instid0(VALU_DEP_4) | instskip(SKIP_3) | instid1(VALU_DEP_4)
	v_add_nc_u32_e32 v10, s8, v4
	v_ashrrev_i32_e32 v5, 31, v4
	v_add_co_u32 v2, vcc_lo, v255, v2
	v_add_co_ci_u32_e32 v3, vcc_lo, v139, v3, vcc_lo
	v_add_nc_u32_e32 v12, s8, v10
	v_ashrrev_i32_e32 v11, 31, v10
	v_lshlrev_b64 v[4:5], 4, v[4:5]
	v_add_co_u32 v8, vcc_lo, v255, v8
	s_delay_alu instid0(VALU_DEP_4) | instskip(SKIP_3) | instid1(VALU_DEP_4)
	v_add_nc_u32_e32 v14, s8, v12
	v_ashrrev_i32_e32 v13, 31, v12
	v_lshlrev_b64 v[10:11], 4, v[10:11]
	v_add_co_ci_u32_e32 v9, vcc_lo, v139, v9, vcc_lo
	v_add_nc_u32_e32 v16, s8, v14
	v_ashrrev_i32_e32 v15, 31, v14
	v_add_co_u32 v4, vcc_lo, v255, v4
	v_lshlrev_b64 v[12:13], 4, v[12:13]
	s_delay_alu instid0(VALU_DEP_4) | instskip(SKIP_3) | instid1(VALU_DEP_4)
	v_add_nc_u32_e32 v18, s8, v16
	v_ashrrev_i32_e32 v17, 31, v16
	v_add_co_ci_u32_e32 v5, vcc_lo, v139, v5, vcc_lo
	v_add_co_u32 v10, vcc_lo, v255, v10
	v_add_nc_u32_e32 v20, s8, v18
	v_lshlrev_b64 v[14:15], 4, v[14:15]
	v_ashrrev_i32_e32 v19, 31, v18
	v_add_co_ci_u32_e32 v11, vcc_lo, v139, v11, vcc_lo
	s_delay_alu instid0(VALU_DEP_4)
	v_add_nc_u32_e32 v22, s8, v20
	v_add_co_u32 v12, vcc_lo, v255, v12
	v_lshlrev_b64 v[16:17], 4, v[16:17]
	v_ashrrev_i32_e32 v21, 31, v20
	v_add_co_ci_u32_e32 v13, vcc_lo, v139, v13, vcc_lo
	v_add_nc_u32_e32 v24, s8, v22
	v_add_co_u32 v14, vcc_lo, v255, v14
	v_lshlrev_b64 v[18:19], 4, v[18:19]
	v_ashrrev_i32_e32 v23, 31, v22
	v_add_co_ci_u32_e32 v15, vcc_lo, v139, v15, vcc_lo
	v_add_co_u32 v16, vcc_lo, v255, v16
	v_lshlrev_b64 v[20:21], 4, v[20:21]
	v_add_nc_u32_e32 v26, s8, v24
	v_add_co_ci_u32_e32 v17, vcc_lo, v139, v17, vcc_lo
	v_add_co_u32 v18, vcc_lo, v255, v18
	v_lshlrev_b64 v[22:23], 4, v[22:23]
	v_ashrrev_i32_e32 v25, 31, v24
	v_add_co_ci_u32_e32 v19, vcc_lo, v139, v19, vcc_lo
	v_add_co_u32 v113, vcc_lo, v255, v20
	v_ashrrev_i32_e32 v27, 31, v26
	v_add_co_ci_u32_e32 v114, vcc_lo, v139, v21, vcc_lo
	v_lshlrev_b64 v[20:21], 4, v[24:25]
	v_add_co_u32 v115, vcc_lo, v255, v22
	v_add_co_ci_u32_e32 v116, vcc_lo, v139, v23, vcc_lo
	v_lshlrev_b64 v[22:23], 4, v[26:27]
	s_delay_alu instid0(VALU_DEP_4) | instskip(SKIP_1) | instid1(VALU_DEP_3)
	v_add_co_u32 v117, vcc_lo, v255, v20
	v_add_co_ci_u32_e32 v118, vcc_lo, v139, v21, vcc_lo
	v_add_co_u32 v119, vcc_lo, v255, v22
	s_delay_alu instid0(VALU_DEP_4)
	v_add_co_ci_u32_e32 v120, vcc_lo, v139, v23, vcc_lo
	s_clause 0xd
	global_load_b128 v[72:75], v[0:1], off
	global_load_b128 v[68:71], v[6:7], off
	;; [unrolled: 1-line block ×14, first 2 shown]
	v_mov_b32_e32 v116, 0
	scratch_store_b128 off, v[44:47], off offset:32 ; 16-byte Folded Spill
	ds_store_2addr_b64 v28, v[44:45], v[46:47] offset1:1
	s_waitcnt vmcnt(0) lgkmcnt(0)
	s_waitcnt_vscnt null, 0x0
	s_barrier
	buffer_gl0_inv
	ds_load_2addr_b64 v[112:115], v138 offset1:1
	s_cbranch_scc1 .LBB54_6
; %bb.4:
	v_add3_u32 v117, v62, 0, 16
	v_mov_b32_e32 v116, 0
	s_mov_b32 s6, 1
	s_set_inst_prefetch_distance 0x1
	.p2align	6
.LBB54_5:                               ; =>This Inner Loop Header: Depth=1
	ds_load_2addr_b64 v[118:121], v117 offset1:1
	s_waitcnt lgkmcnt(1)
	v_cmp_gt_f64_e32 vcc_lo, 0, v[112:113]
	v_xor_b32_e32 v28, 0x80000000, v113
	v_cmp_gt_f64_e64 s2, 0, v[114:115]
	v_xor_b32_e32 v29, 0x80000000, v115
	v_add_nc_u32_e32 v117, 16, v117
	s_waitcnt lgkmcnt(0)
	v_cmp_gt_f64_e64 s3, 0, v[118:119]
	v_mov_b32_e32 v126, v118
	v_dual_mov_b32 v128, v120 :: v_dual_cndmask_b32 v123, v113, v28
	v_xor_b32_e32 v28, 0x80000000, v119
	v_cndmask_b32_e64 v125, v115, v29, s2
	v_xor_b32_e32 v29, 0x80000000, v121
	v_cndmask_b32_e32 v122, v112, v112, vcc_lo
	v_cndmask_b32_e64 v124, v114, v114, s2
	s_delay_alu instid0(VALU_DEP_1) | instskip(SKIP_2) | instid1(VALU_DEP_1)
	v_add_f64 v[122:123], v[122:123], v[124:125]
	v_cndmask_b32_e64 v127, v119, v28, s3
	v_cmp_gt_f64_e64 s3, 0, v[120:121]
	v_cndmask_b32_e64 v129, v121, v29, s3
	s_delay_alu instid0(VALU_DEP_1) | instskip(NEXT) | instid1(VALU_DEP_1)
	v_add_f64 v[126:127], v[126:127], v[128:129]
	v_cmp_lt_f64_e32 vcc_lo, v[122:123], v[126:127]
	v_cndmask_b32_e32 v115, v115, v121, vcc_lo
	v_dual_cndmask_b32 v113, v113, v119 :: v_dual_cndmask_b32 v112, v112, v118
	v_cndmask_b32_e32 v114, v114, v120, vcc_lo
	v_cndmask_b32_e64 v116, v116, s6, vcc_lo
	s_add_i32 s6, s6, 1
	s_delay_alu instid0(SALU_CYCLE_1)
	s_cmp_eq_u32 s5, s6
	s_cbranch_scc0 .LBB54_5
.LBB54_6:
	s_set_inst_prefetch_distance 0x2
	s_waitcnt lgkmcnt(0)
	v_cmp_neq_f64_e32 vcc_lo, 0, v[112:113]
	v_cmp_neq_f64_e64 s2, 0, v[114:115]
	v_mov_b32_e32 v232, 1
	v_mov_b32_e32 v60, 1
	s_delay_alu instid0(VALU_DEP_3) | instskip(NEXT) | instid1(SALU_CYCLE_1)
	s_or_b32 s2, vcc_lo, s2
	s_and_saveexec_b32 s3, s2
	s_cbranch_execz .LBB54_12
; %bb.7:
	v_cmp_gt_f64_e32 vcc_lo, 0, v[112:113]
	v_cmp_gt_f64_e64 s2, 0, v[114:115]
	v_xor_b32_e32 v28, 0x80000000, v113
	v_xor_b32_e32 v29, 0x80000000, v115
                                        ; implicit-def: $sgpr6
                                        ; implicit-def: $sgpr7
	s_delay_alu instid0(VALU_DEP_2) | instskip(NEXT) | instid1(VALU_DEP_2)
	v_cndmask_b32_e32 v118, v113, v28, vcc_lo
	v_cndmask_b32_e64 v120, v115, v29, s2
	v_cndmask_b32_e32 v117, v112, v112, vcc_lo
	v_cndmask_b32_e64 v119, v114, v114, s2
	s_mov_b32 s2, exec_lo
	s_delay_alu instid0(VALU_DEP_1)
	v_cmpx_ngt_f64_e32 v[117:118], v[119:120]
	s_xor_b32 s2, exec_lo, s2
	s_cbranch_execz .LBB54_9
; %bb.8:
	v_div_scale_f64 v[117:118], null, v[114:115], v[114:115], v[112:113]
	v_div_scale_f64 v[123:124], vcc_lo, v[112:113], v[114:115], v[112:113]
	s_mov_b32 s7, 2
	s_mov_b32 s6, 0
	s_delay_alu instid0(VALU_DEP_2) | instskip(SKIP_2) | instid1(VALU_DEP_1)
	v_rcp_f64_e32 v[119:120], v[117:118]
	s_waitcnt_depctr 0xfff
	v_fma_f64 v[121:122], -v[117:118], v[119:120], 1.0
	v_fma_f64 v[119:120], v[119:120], v[121:122], v[119:120]
	s_delay_alu instid0(VALU_DEP_1) | instskip(NEXT) | instid1(VALU_DEP_1)
	v_fma_f64 v[121:122], -v[117:118], v[119:120], 1.0
	v_fma_f64 v[119:120], v[119:120], v[121:122], v[119:120]
	s_delay_alu instid0(VALU_DEP_1) | instskip(NEXT) | instid1(VALU_DEP_1)
	v_mul_f64 v[121:122], v[123:124], v[119:120]
	v_fma_f64 v[117:118], -v[117:118], v[121:122], v[123:124]
	s_delay_alu instid0(VALU_DEP_1) | instskip(NEXT) | instid1(VALU_DEP_1)
	v_div_fmas_f64 v[117:118], v[117:118], v[119:120], v[121:122]
	v_div_fixup_f64 v[117:118], v[117:118], v[114:115], v[112:113]
	s_delay_alu instid0(VALU_DEP_1) | instskip(NEXT) | instid1(VALU_DEP_1)
	v_fma_f64 v[112:113], v[112:113], v[117:118], v[114:115]
	v_div_scale_f64 v[114:115], null, v[112:113], v[112:113], 1.0
	s_delay_alu instid0(VALU_DEP_1) | instskip(SKIP_2) | instid1(VALU_DEP_1)
	v_rcp_f64_e32 v[119:120], v[114:115]
	s_waitcnt_depctr 0xfff
	v_fma_f64 v[121:122], -v[114:115], v[119:120], 1.0
	v_fma_f64 v[119:120], v[119:120], v[121:122], v[119:120]
	s_delay_alu instid0(VALU_DEP_1) | instskip(NEXT) | instid1(VALU_DEP_1)
	v_fma_f64 v[121:122], -v[114:115], v[119:120], 1.0
	v_fma_f64 v[119:120], v[119:120], v[121:122], v[119:120]
	v_div_scale_f64 v[121:122], vcc_lo, 1.0, v[112:113], 1.0
	s_delay_alu instid0(VALU_DEP_1) | instskip(NEXT) | instid1(VALU_DEP_1)
	v_mul_f64 v[123:124], v[121:122], v[119:120]
	v_fma_f64 v[114:115], -v[114:115], v[123:124], v[121:122]
	s_delay_alu instid0(VALU_DEP_1) | instskip(NEXT) | instid1(VALU_DEP_1)
	v_div_fmas_f64 v[114:115], v[114:115], v[119:120], v[123:124]
	v_div_fixup_f64 v[114:115], v[114:115], v[112:113], 1.0
	s_delay_alu instid0(VALU_DEP_1)
	v_mul_f64 v[112:113], v[117:118], v[114:115]
	v_xor_b32_e32 v115, 0x80000000, v115
.LBB54_9:
	s_or_saveexec_b32 s2, s2
	v_mov_b32_e32 v60, s6
	v_mov_b32_e32 v232, s7
	s_xor_b32 exec_lo, exec_lo, s2
	s_cbranch_execz .LBB54_11
; %bb.10:
	s_delay_alu instid0(VALU_DEP_4) | instskip(SKIP_3) | instid1(VALU_DEP_4)
	v_div_scale_f64 v[117:118], null, v[112:113], v[112:113], v[114:115]
	v_div_scale_f64 v[123:124], vcc_lo, v[114:115], v[112:113], v[114:115]
	v_mov_b32_e32 v60, 0
	v_mov_b32_e32 v232, 2
	v_rcp_f64_e32 v[119:120], v[117:118]
	s_waitcnt_depctr 0xfff
	v_fma_f64 v[121:122], -v[117:118], v[119:120], 1.0
	s_delay_alu instid0(VALU_DEP_1) | instskip(NEXT) | instid1(VALU_DEP_1)
	v_fma_f64 v[119:120], v[119:120], v[121:122], v[119:120]
	v_fma_f64 v[121:122], -v[117:118], v[119:120], 1.0
	s_delay_alu instid0(VALU_DEP_1) | instskip(NEXT) | instid1(VALU_DEP_1)
	v_fma_f64 v[119:120], v[119:120], v[121:122], v[119:120]
	v_mul_f64 v[121:122], v[123:124], v[119:120]
	s_delay_alu instid0(VALU_DEP_1) | instskip(NEXT) | instid1(VALU_DEP_1)
	v_fma_f64 v[117:118], -v[117:118], v[121:122], v[123:124]
	v_div_fmas_f64 v[117:118], v[117:118], v[119:120], v[121:122]
	s_delay_alu instid0(VALU_DEP_1) | instskip(NEXT) | instid1(VALU_DEP_1)
	v_div_fixup_f64 v[117:118], v[117:118], v[112:113], v[114:115]
	v_fma_f64 v[112:113], v[114:115], v[117:118], v[112:113]
	s_delay_alu instid0(VALU_DEP_1) | instskip(NEXT) | instid1(VALU_DEP_1)
	v_div_scale_f64 v[114:115], null, v[112:113], v[112:113], 1.0
	v_rcp_f64_e32 v[119:120], v[114:115]
	s_waitcnt_depctr 0xfff
	v_fma_f64 v[121:122], -v[114:115], v[119:120], 1.0
	s_delay_alu instid0(VALU_DEP_1) | instskip(NEXT) | instid1(VALU_DEP_1)
	v_fma_f64 v[119:120], v[119:120], v[121:122], v[119:120]
	v_fma_f64 v[121:122], -v[114:115], v[119:120], 1.0
	s_delay_alu instid0(VALU_DEP_1) | instskip(SKIP_1) | instid1(VALU_DEP_1)
	v_fma_f64 v[119:120], v[119:120], v[121:122], v[119:120]
	v_div_scale_f64 v[121:122], vcc_lo, 1.0, v[112:113], 1.0
	v_mul_f64 v[123:124], v[121:122], v[119:120]
	s_delay_alu instid0(VALU_DEP_1) | instskip(NEXT) | instid1(VALU_DEP_1)
	v_fma_f64 v[114:115], -v[114:115], v[123:124], v[121:122]
	v_div_fmas_f64 v[114:115], v[114:115], v[119:120], v[123:124]
	s_delay_alu instid0(VALU_DEP_1) | instskip(NEXT) | instid1(VALU_DEP_1)
	v_div_fixup_f64 v[112:113], v[114:115], v[112:113], 1.0
	v_mul_f64 v[114:115], v[117:118], -v[112:113]
.LBB54_11:
	s_or_b32 exec_lo, exec_lo, s2
.LBB54_12:
	s_delay_alu instid0(SALU_CYCLE_1) | instskip(NEXT) | instid1(SALU_CYCLE_1)
	s_or_b32 exec_lo, exec_lo, s3
	s_mov_b32 s2, exec_lo
	v_cmpx_ne_u32_e64 v231, v116
	s_xor_b32 s2, exec_lo, s2
	s_cbranch_execz .LBB54_18
; %bb.13:
	s_mov_b32 s3, exec_lo
	v_cmpx_eq_u32_e32 0, v231
	s_cbranch_execz .LBB54_17
; %bb.14:
	v_cmp_ne_u32_e32 vcc_lo, 0, v116
	s_xor_b32 s6, s4, -1
	s_delay_alu instid0(SALU_CYCLE_1) | instskip(NEXT) | instid1(SALU_CYCLE_1)
	s_and_b32 s7, s6, vcc_lo
	s_and_saveexec_b32 s6, s7
	s_cbranch_execz .LBB54_16
; %bb.15:
	v_ashrrev_i32_e32 v117, 31, v116
	s_delay_alu instid0(VALU_DEP_1) | instskip(NEXT) | instid1(VALU_DEP_1)
	v_lshlrev_b64 v[119:120], 2, v[116:117]
	v_add_co_u32 v119, vcc_lo, v78, v119
	s_delay_alu instid0(VALU_DEP_2)
	v_add_co_ci_u32_e32 v120, vcc_lo, v79, v120, vcc_lo
	s_clause 0x1
	flat_load_b32 v28, v[119:120]
	flat_load_b32 v29, v[78:79]
	s_waitcnt vmcnt(1) lgkmcnt(1)
	flat_store_b32 v[78:79], v28
	s_waitcnt vmcnt(0) lgkmcnt(1)
	flat_store_b32 v[119:120], v29
.LBB54_16:
	s_or_b32 exec_lo, exec_lo, s6
	v_mov_b32_e32 v231, v116
.LBB54_17:
	s_or_b32 exec_lo, exec_lo, s3
.LBB54_18:
	s_or_saveexec_b32 s2, s2
	s_delay_alu instid0(VALU_DEP_1)
	v_mov_b32_e32 v140, v231
	s_xor_b32 exec_lo, exec_lo, s2
	s_cbranch_execz .LBB54_20
; %bb.19:
	ds_store_2addr_b64 v138, v[241:242], v[243:244] offset0:2 offset1:3
	ds_store_2addr_b64 v138, v[227:228], v[229:230] offset0:4 offset1:5
	;; [unrolled: 1-line block ×9, first 2 shown]
	scratch_load_b128 v[0:3], off, off offset:16 ; 16-byte Folded Reload
	v_mov_b32_e32 v140, 0
	s_waitcnt vmcnt(0)
	ds_store_2addr_b64 v138, v[0:1], v[2:3] offset0:20 offset1:21
	scratch_load_b128 v[0:3], off, off      ; 16-byte Folded Reload
	s_waitcnt vmcnt(0)
	ds_store_2addr_b64 v138, v[0:1], v[2:3] offset0:22 offset1:23
	ds_store_2addr_b64 v138, v[64:65], v[66:67] offset0:24 offset1:25
	;; [unrolled: 1-line block ×17, first 2 shown]
.LBB54_20:
	s_or_b32 exec_lo, exec_lo, s2
	s_delay_alu instid0(SALU_CYCLE_1)
	s_mov_b32 s2, exec_lo
	s_waitcnt lgkmcnt(0)
	s_waitcnt_vscnt null, 0x0
	s_barrier
	buffer_gl0_inv
	v_cmpx_lt_i32_e32 0, v140
	s_cbranch_execz .LBB54_22
; %bb.21:
	scratch_load_b128 v[44:47], off, off offset:32 ; 16-byte Folded Reload
	v_dual_mov_b32 v212, v11 :: v_dual_mov_b32 v211, v10
	v_dual_mov_b32 v84, v219 :: v_dual_mov_b32 v85, v220
	;; [unrolled: 1-line block ×33, first 2 shown]
	v_mov_b32_e32 v66, v60
	v_mov_b32_e32 v60, v80
	v_dual_mov_b32 v62, v82 :: v_dual_mov_b32 v63, v83
	v_mov_b32_e32 v61, v81
	s_waitcnt vmcnt(0)
	v_mul_f64 v[116:117], v[112:113], v[46:47]
	v_mul_f64 v[127:128], v[114:115], v[46:47]
	s_delay_alu instid0(VALU_DEP_2)
	v_fma_f64 v[46:47], v[114:115], v[44:45], v[116:117]
	ds_load_2addr_b64 v[114:117], v138 offset0:2 offset1:3
	ds_load_2addr_b64 v[119:122], v138 offset0:4 offset1:5
	;; [unrolled: 1-line block ×10, first 2 shown]
	v_fma_f64 v[44:45], v[112:113], v[44:45], -v[127:128]
	ds_load_2addr_b64 v[169:172], v138 offset0:22 offset1:23
	ds_load_2addr_b64 v[173:176], v138 offset0:24 offset1:25
	;; [unrolled: 1-line block ×4, first 2 shown]
	scratch_store_b128 off, v[237:240], off offset:72 ; 16-byte Folded Spill
	ds_load_2addr_b64 v[185:188], v138 offset0:30 offset1:31
	ds_load_2addr_b64 v[189:192], v138 offset0:32 offset1:33
	s_clause 0x1
	scratch_store_b128 off, v[134:137], off offset:32
	scratch_store_b128 off, v[4:7], off offset:56
	ds_load_2addr_b64 v[193:196], v138 offset0:34 offset1:35
	ds_load_2addr_b64 v[197:200], v138 offset0:36 offset1:37
	;; [unrolled: 1-line block ×4, first 2 shown]
	v_mov_b32_e32 v118, v231
	s_waitcnt lgkmcnt(19)
	v_mul_f64 v[96:97], v[116:117], v[46:47]
	v_mul_f64 v[127:128], v[114:115], v[46:47]
	s_waitcnt lgkmcnt(18)
	v_mul_f64 v[94:95], v[119:120], v[46:47]
	v_mul_f64 v[98:99], v[121:122], v[46:47]
	;; [unrolled: 3-line block ×8, first 2 shown]
	v_dual_mov_b32 v248, v47 :: v_dual_mov_b32 v247, v46
	v_mul_f64 v[92:93], v[155:156], v[46:47]
	v_mul_f64 v[231:232], v[153:154], v[46:47]
	s_waitcnt lgkmcnt(10)
	v_mul_f64 v[6:7], v[165:166], v[46:47]
	v_mul_f64 v[8:9], v[167:168], v[46:47]
	s_waitcnt lgkmcnt(9)
	v_mul_f64 v[80:81], v[169:170], v[247:248]
	s_waitcnt lgkmcnt(8)
	v_mul_f64 v[82:83], v[175:176], v[247:248]
	v_mul_f64 v[245:246], v[171:172], v[247:248]
	;; [unrolled: 1-line block ×3, first 2 shown]
	s_waitcnt lgkmcnt(7)
	v_mul_f64 v[129:130], v[177:178], v[247:248]
	s_waitcnt lgkmcnt(6)
	v_mul_f64 v[131:132], v[183:184], v[247:248]
	v_mul_f64 v[46:47], v[181:182], v[247:248]
	s_waitcnt lgkmcnt(4)
	v_mul_f64 v[108:109], v[191:192], v[247:248]
	;; [unrolled: 3-line block ×4, first 2 shown]
	v_mul_f64 v[102:103], v[201:202], v[247:248]
	v_mul_f64 v[253:254], v[179:180], v[247:248]
	v_fma_f64 v[96:97], v[114:115], v[44:45], -v[96:97]
	v_fma_f64 v[94:95], v[121:122], v[44:45], v[94:95]
	v_fma_f64 v[135:136], v[123:124], v[44:45], -v[213:214]
	v_fma_f64 v[133:134], v[125:126], v[44:45], v[215:216]
	;; [unrolled: 2-line block ×5, first 2 shown]
	v_fma_f64 v[157:158], v[157:158], v[44:45], -v[112:113]
	ds_load_2addr_b64 v[112:115], v138 offset0:42 offset1:43
	v_fma_f64 v[159:160], v[159:160], v[44:45], v[4:5]
	v_fma_f64 v[161:162], v[161:162], v[44:45], -v[237:238]
	v_fma_f64 v[163:164], v[163:164], v[44:45], v[239:240]
	s_waitcnt lgkmcnt(1)
	v_mul_f64 v[10:11], v[207:208], v[247:248]
	v_fma_f64 v[215:216], v[153:154], v[44:45], -v[92:93]
	v_fma_f64 v[231:232], v[155:156], v[44:45], v[231:232]
	v_fma_f64 v[167:168], v[167:168], v[44:45], v[6:7]
	v_fma_f64 v[165:166], v[165:166], v[44:45], -v[8:9]
	v_fma_f64 v[171:172], v[171:172], v[44:45], v[80:81]
	v_fma_f64 v[173:174], v[173:174], v[44:45], -v[82:83]
	v_mov_b32_e32 v83, v63
	v_dual_mov_b32 v81, v61 :: v_dual_mov_b32 v80, v60
	v_fma_f64 v[129:130], v[179:180], v[44:45], v[129:130]
	v_fma_f64 v[131:132], v[181:182], v[44:45], -v[131:132]
	v_fma_f64 v[46:47], v[183:184], v[44:45], v[46:47]
	v_fma_f64 v[108:109], v[189:190], v[44:45], -v[108:109]
	;; [unrolled: 2-line block ×5, first 2 shown]
	v_fma_f64 v[175:176], v[175:176], v[44:45], v[76:77]
	scratch_store_b64 off, v[96:97], off offset:88 ; 8-byte Folded Spill
	v_fma_f64 v[96:97], v[116:117], v[44:45], v[127:128]
	scratch_store_b64 off, v[94:95], off offset:112 ; 8-byte Folded Spill
	v_mul_f64 v[116:117], v[187:188], v[247:248]
	v_add_f64 v[233:234], v[233:234], -v[135:136]
	v_add_f64 v[235:236], v[235:236], -v[133:134]
	v_mul_f64 v[127:128], v[185:186], v[247:248]
	v_mul_f64 v[94:95], v[205:206], v[247:248]
	v_add_f64 v[80:81], v[80:81], -v[221:222]
	v_fma_f64 v[177:178], v[177:178], v[44:45], -v[253:254]
	v_add_f64 v[0:1], v[0:1], -v[225:226]
	v_mov_b32_e32 v246, v45
	v_add_f64 v[249:250], v[249:250], -v[157:158]
	v_mov_b32_e32 v245, v44
	v_add_f64 v[251:252], v[251:252], -v[159:160]
	v_fma_f64 v[92:93], v[205:206], v[44:45], -v[10:11]
	v_dual_mov_b32 v8, v209 :: v_dual_mov_b32 v9, v210
	v_dual_mov_b32 v10, v211 :: v_dual_mov_b32 v11, v212
	v_add_f64 v[88:89], v[88:89], -v[215:216]
	v_add_f64 v[90:91], v[90:91], -v[231:232]
	v_mov_b32_e32 v231, v118
	scratch_store_b64 off, v[96:97], off offset:96 ; 8-byte Folded Spill
	v_fma_f64 v[96:97], v[119:120], v[44:45], -v[98:99]
	ds_load_2addr_b64 v[119:122], v138 offset0:44 offset1:45
	v_mul_f64 v[98:99], v[193:194], v[247:248]
	s_waitcnt lgkmcnt(1)
	v_mul_f64 v[179:180], v[114:115], v[247:248]
	v_mul_f64 v[181:182], v[112:113], v[247:248]
	v_fma_f64 v[116:117], v[185:186], v[44:45], -v[116:117]
	v_fma_f64 v[127:128], v[187:188], v[44:45], v[127:128]
	v_fma_f64 v[94:95], v[207:208], v[44:45], v[94:95]
	s_waitcnt lgkmcnt(0)
	v_mul_f64 v[183:184], v[121:122], v[247:248]
	v_mul_f64 v[185:186], v[119:120], v[247:248]
	scratch_store_b64 off, v[96:97], off offset:104 ; 8-byte Folded Spill
	ds_load_2addr_b64 v[123:126], v138 offset0:46 offset1:47
	ds_load_2addr_b64 v[141:144], v138 offset0:48 offset1:49
	ds_load_2addr_b64 v[145:148], v138 offset0:50 offset1:51
	ds_load_2addr_b64 v[149:152], v138 offset0:52 offset1:53
	s_clause 0x1
	scratch_load_b64 v[4:5], off, off offset:88
	scratch_load_b128 v[237:240], off, off offset:72
	ds_load_2addr_b64 v[153:156], v138 offset0:54 offset1:55
	v_mul_f64 v[96:97], v[195:196], v[247:248]
	v_fma_f64 v[98:99], v[195:196], v[44:45], v[98:99]
	v_fma_f64 v[112:113], v[112:113], v[44:45], -v[179:180]
	v_fma_f64 v[114:115], v[114:115], v[44:45], v[181:182]
	v_dual_mov_b32 v182, v51 :: v_dual_mov_b32 v181, v50
	v_dual_mov_b32 v180, v49 :: v_dual_mov_b32 v179, v48
	;; [unrolled: 1-line block ×4, first 2 shown]
	v_mov_b32_e32 v75, v71
	v_mov_b32_e32 v73, v69
	s_waitcnt lgkmcnt(4)
	v_mul_f64 v[187:188], v[125:126], v[247:248]
	v_mul_f64 v[189:190], v[123:124], v[247:248]
	s_waitcnt lgkmcnt(3)
	v_mul_f64 v[191:192], v[143:144], v[247:248]
	s_waitcnt lgkmcnt(2)
	v_mul_f64 v[195:196], v[147:148], v[247:248]
	v_mul_f64 v[197:198], v[145:146], v[247:248]
	s_waitcnt lgkmcnt(1)
	v_mul_f64 v[199:200], v[151:152], v[247:248]
	;; [unrolled: 3-line block ×3, first 2 shown]
	v_mul_f64 v[205:206], v[153:154], v[247:248]
	v_fma_f64 v[119:120], v[119:120], v[44:45], -v[183:184]
	v_fma_f64 v[121:122], v[121:122], v[44:45], v[185:186]
	v_mov_b32_e32 v74, v70
	v_dual_mov_b32 v72, v68 :: v_dual_mov_b32 v71, v59
	v_dual_mov_b32 v69, v57 :: v_dual_mov_b32 v70, v58
	;; [unrolled: 1-line block ×6, first 2 shown]
	v_fma_f64 v[96:97], v[193:194], v[44:45], -v[96:97]
	v_mul_f64 v[193:194], v[141:142], v[247:248]
	v_dual_mov_b32 v52, v40 :: v_dual_mov_b32 v43, v39
	v_dual_mov_b32 v41, v37 :: v_dual_mov_b32 v42, v38
	;; [unrolled: 1-line block ×6, first 2 shown]
	v_fma_f64 v[123:124], v[123:124], v[44:45], -v[187:188]
	v_fma_f64 v[125:126], v[125:126], v[44:45], v[189:190]
	v_fma_f64 v[141:142], v[141:142], v[44:45], -v[191:192]
	v_fma_f64 v[145:146], v[145:146], v[44:45], -v[195:196]
	v_fma_f64 v[147:148], v[147:148], v[44:45], v[197:198]
	v_fma_f64 v[149:150], v[149:150], v[44:45], -v[199:200]
	v_fma_f64 v[151:152], v[151:152], v[44:45], v[201:202]
	;; [unrolled: 2-line block ×3, first 2 shown]
	v_dual_mov_b32 v32, v24 :: v_dual_mov_b32 v27, v23
	v_dual_mov_b32 v25, v21 :: v_dual_mov_b32 v26, v22
	;; [unrolled: 1-line block ×6, first 2 shown]
	v_mov_b32_e32 v16, v12
	v_mov_b32_e32 v12, v28
	v_add_f64 v[179:180], v[179:180], -v[173:174]
	v_mov_b32_e32 v13, v29
	v_fma_f64 v[143:144], v[143:144], v[44:45], v[193:194]
	v_dual_mov_b32 v14, v30 :: v_dual_mov_b32 v15, v31
	v_add_f64 v[181:182], v[181:182], -v[175:176]
	v_add_f64 v[48:49], v[48:49], -v[177:178]
	;; [unrolled: 1-line block ×24, first 2 shown]
	v_mov_b32_e32 v232, v64
	v_add_f64 v[14:15], v[14:15], -v[143:144]
	s_waitcnt vmcnt(1)
	v_add_f64 v[241:242], v[241:242], -v[4:5]
	scratch_load_b64 v[4:5], off, off offset:96 ; 8-byte Folded Reload
	s_waitcnt vmcnt(1)
	v_add_f64 v[239:240], v[239:240], -v[219:220]
	v_dual_mov_b32 v222, v87 :: v_dual_mov_b32 v221, v86
	v_dual_mov_b32 v220, v85 :: v_dual_mov_b32 v219, v84
	v_mov_b32_e32 v82, v62
	v_add_f64 v[237:238], v[237:238], -v[217:218]
	s_delay_alu instid0(VALU_DEP_4) | instskip(NEXT) | instid1(VALU_DEP_4)
	v_add_f64 v[221:222], v[221:222], -v[163:164]
	v_add_f64 v[219:220], v[219:220], -v[161:162]
	s_delay_alu instid0(VALU_DEP_4)
	v_add_f64 v[82:83], v[82:83], -v[223:224]
	v_dual_mov_b32 v226, v3 :: v_dual_mov_b32 v225, v2
	v_mov_b32_e32 v223, v0
	v_add_f64 v[8:9], v[8:9], -v[145:146]
	v_add_f64 v[10:11], v[10:11], -v[147:148]
	v_mov_b32_e32 v224, v1
	v_add_f64 v[225:226], v[225:226], -v[213:214]
	s_waitcnt vmcnt(0)
	v_add_f64 v[243:244], v[243:244], -v[4:5]
	scratch_load_b64 v[4:5], off, off offset:104 ; 8-byte Folded Reload
	s_waitcnt vmcnt(0)
	v_add_f64 v[227:228], v[227:228], -v[4:5]
	s_clause 0x2
	scratch_load_b64 v[4:5], off, off offset:112
	scratch_load_b128 v[84:87], off, off offset:16
	scratch_load_b128 v[60:63], off, off
	s_waitcnt vmcnt(2)
	v_add_f64 v[229:230], v[229:230], -v[4:5]
	s_clause 0x1
	scratch_load_b128 v[4:7], off, off offset:56
	scratch_load_b128 v[134:137], off, off offset:32
	s_waitcnt vmcnt(3)
	v_add_f64 v[84:85], v[84:85], -v[165:166]
	v_add_f64 v[86:87], v[86:87], -v[167:168]
	s_waitcnt vmcnt(2)
	v_add_f64 v[60:61], v[60:61], -v[169:170]
	v_add_f64 v[62:63], v[62:63], -v[171:172]
	s_clause 0x2
	scratch_store_b128 off, v[245:248], off offset:32
	scratch_store_b128 off, v[84:87], off offset:16
	scratch_store_b128 off, v[60:63], off
	v_mov_b32_e32 v60, v66
	v_mov_b32_e32 v62, v65
	v_dual_mov_b32 v64, v179 :: v_dual_mov_b32 v65, v180
	v_dual_mov_b32 v66, v181 :: v_dual_mov_b32 v67, v182
	s_waitcnt vmcnt(1)
	v_add_f64 v[4:5], v[4:5], -v[149:150]
	v_add_f64 v[6:7], v[6:7], -v[151:152]
	s_waitcnt vmcnt(0)
	v_add_f64 v[134:135], v[134:135], -v[153:154]
	v_add_f64 v[136:137], v[136:137], -v[155:156]
.LBB54_22:
	s_or_b32 exec_lo, exec_lo, s2
	v_lshl_add_u32 v28, v140, 4, v138
	s_waitcnt_vscnt null, 0x0
	s_barrier
	buffer_gl0_inv
	v_mov_b32_e32 v116, 1
	ds_store_2addr_b64 v28, v[241:242], v[243:244] offset1:1
	s_waitcnt lgkmcnt(0)
	s_barrier
	buffer_gl0_inv
	ds_load_2addr_b64 v[112:115], v138 offset0:2 offset1:3
	s_cmp_lt_i32 s5, 3
	s_cbranch_scc1 .LBB54_25
; %bb.23:
	v_add3_u32 v117, v62, 0, 32
	v_mov_b32_e32 v116, 1
	s_mov_b32 s6, 2
	s_set_inst_prefetch_distance 0x1
	.p2align	6
.LBB54_24:                              ; =>This Inner Loop Header: Depth=1
	ds_load_2addr_b64 v[119:122], v117 offset1:1
	s_waitcnt lgkmcnt(1)
	v_cmp_gt_f64_e32 vcc_lo, 0, v[112:113]
	v_xor_b32_e32 v28, 0x80000000, v113
	v_cmp_gt_f64_e64 s2, 0, v[114:115]
	v_xor_b32_e32 v30, 0x80000000, v115
	v_add_nc_u32_e32 v117, 16, v117
	s_waitcnt lgkmcnt(0)
	v_cmp_gt_f64_e64 s3, 0, v[119:120]
	v_mov_b32_e32 v44, v119
	v_mov_b32_e32 v46, v121
	v_cndmask_b32_e32 v29, v113, v28, vcc_lo
	v_xor_b32_e32 v28, 0x80000000, v120
	v_cndmask_b32_e64 v31, v115, v30, s2
	v_xor_b32_e32 v30, 0x80000000, v122
	s_delay_alu instid0(VALU_DEP_3) | instskip(SKIP_2) | instid1(VALU_DEP_2)
	v_cndmask_b32_e64 v45, v120, v28, s3
	v_cmp_gt_f64_e64 s3, 0, v[121:122]
	v_cndmask_b32_e32 v28, v112, v112, vcc_lo
	v_cndmask_b32_e64 v47, v122, v30, s3
	v_cndmask_b32_e64 v30, v114, v114, s2
	s_delay_alu instid0(VALU_DEP_2) | instskip(NEXT) | instid1(VALU_DEP_2)
	v_add_f64 v[44:45], v[44:45], v[46:47]
	v_add_f64 v[28:29], v[28:29], v[30:31]
	s_delay_alu instid0(VALU_DEP_1) | instskip(SKIP_4) | instid1(SALU_CYCLE_1)
	v_cmp_lt_f64_e32 vcc_lo, v[28:29], v[44:45]
	v_dual_cndmask_b32 v113, v113, v120 :: v_dual_cndmask_b32 v112, v112, v119
	v_dual_cndmask_b32 v115, v115, v122 :: v_dual_cndmask_b32 v114, v114, v121
	v_cndmask_b32_e64 v116, v116, s6, vcc_lo
	s_add_i32 s6, s6, 1
	s_cmp_lg_u32 s5, s6
	s_cbranch_scc1 .LBB54_24
.LBB54_25:
	s_set_inst_prefetch_distance 0x2
	s_waitcnt lgkmcnt(0)
	v_cmp_neq_f64_e32 vcc_lo, 0, v[112:113]
	v_cmp_neq_f64_e64 s2, 0, v[114:115]
	s_delay_alu instid0(VALU_DEP_1) | instskip(NEXT) | instid1(SALU_CYCLE_1)
	s_or_b32 s2, vcc_lo, s2
	s_and_saveexec_b32 s3, s2
	s_cbranch_execz .LBB54_31
; %bb.26:
	v_cmp_gt_f64_e32 vcc_lo, 0, v[112:113]
	v_cmp_gt_f64_e64 s2, 0, v[114:115]
	v_xor_b32_e32 v28, 0x80000000, v113
	v_xor_b32_e32 v30, 0x80000000, v115
	s_delay_alu instid0(VALU_DEP_2) | instskip(NEXT) | instid1(VALU_DEP_2)
	v_cndmask_b32_e32 v29, v113, v28, vcc_lo
	v_cndmask_b32_e64 v31, v115, v30, s2
	v_cndmask_b32_e32 v28, v112, v112, vcc_lo
	v_cndmask_b32_e64 v30, v114, v114, s2
	s_mov_b32 s2, exec_lo
	s_delay_alu instid0(VALU_DEP_1)
	v_cmpx_ngt_f64_e32 v[28:29], v[30:31]
	s_xor_b32 s2, exec_lo, s2
	s_cbranch_execz .LBB54_28
; %bb.27:
	v_div_scale_f64 v[28:29], null, v[114:115], v[114:115], v[112:113]
	v_div_scale_f64 v[46:47], vcc_lo, v[112:113], v[114:115], v[112:113]
	s_delay_alu instid0(VALU_DEP_2) | instskip(SKIP_2) | instid1(VALU_DEP_1)
	v_rcp_f64_e32 v[30:31], v[28:29]
	s_waitcnt_depctr 0xfff
	v_fma_f64 v[44:45], -v[28:29], v[30:31], 1.0
	v_fma_f64 v[30:31], v[30:31], v[44:45], v[30:31]
	s_delay_alu instid0(VALU_DEP_1) | instskip(NEXT) | instid1(VALU_DEP_1)
	v_fma_f64 v[44:45], -v[28:29], v[30:31], 1.0
	v_fma_f64 v[30:31], v[30:31], v[44:45], v[30:31]
	s_delay_alu instid0(VALU_DEP_1) | instskip(NEXT) | instid1(VALU_DEP_1)
	v_mul_f64 v[44:45], v[46:47], v[30:31]
	v_fma_f64 v[28:29], -v[28:29], v[44:45], v[46:47]
	s_delay_alu instid0(VALU_DEP_1) | instskip(NEXT) | instid1(VALU_DEP_1)
	v_div_fmas_f64 v[28:29], v[28:29], v[30:31], v[44:45]
	v_div_fixup_f64 v[28:29], v[28:29], v[114:115], v[112:113]
	s_delay_alu instid0(VALU_DEP_1) | instskip(NEXT) | instid1(VALU_DEP_1)
	v_fma_f64 v[30:31], v[112:113], v[28:29], v[114:115]
	v_div_scale_f64 v[44:45], null, v[30:31], v[30:31], 1.0
	s_delay_alu instid0(VALU_DEP_1) | instskip(SKIP_2) | instid1(VALU_DEP_1)
	v_rcp_f64_e32 v[46:47], v[44:45]
	s_waitcnt_depctr 0xfff
	v_fma_f64 v[92:93], -v[44:45], v[46:47], 1.0
	v_fma_f64 v[46:47], v[46:47], v[92:93], v[46:47]
	s_delay_alu instid0(VALU_DEP_1) | instskip(NEXT) | instid1(VALU_DEP_1)
	v_fma_f64 v[92:93], -v[44:45], v[46:47], 1.0
	v_fma_f64 v[46:47], v[46:47], v[92:93], v[46:47]
	v_div_scale_f64 v[92:93], vcc_lo, 1.0, v[30:31], 1.0
	s_delay_alu instid0(VALU_DEP_1) | instskip(NEXT) | instid1(VALU_DEP_1)
	v_mul_f64 v[94:95], v[92:93], v[46:47]
	v_fma_f64 v[44:45], -v[44:45], v[94:95], v[92:93]
	s_delay_alu instid0(VALU_DEP_1) | instskip(NEXT) | instid1(VALU_DEP_1)
	v_div_fmas_f64 v[44:45], v[44:45], v[46:47], v[94:95]
	v_div_fixup_f64 v[114:115], v[44:45], v[30:31], 1.0
	s_delay_alu instid0(VALU_DEP_1)
	v_mul_f64 v[112:113], v[28:29], v[114:115]
	v_xor_b32_e32 v115, 0x80000000, v115
.LBB54_28:
	s_and_not1_saveexec_b32 s2, s2
	s_cbranch_execz .LBB54_30
; %bb.29:
	s_delay_alu instid0(VALU_DEP_1) | instskip(SKIP_1) | instid1(VALU_DEP_2)
	v_div_scale_f64 v[28:29], null, v[112:113], v[112:113], v[114:115]
	v_div_scale_f64 v[46:47], vcc_lo, v[114:115], v[112:113], v[114:115]
	v_rcp_f64_e32 v[30:31], v[28:29]
	s_waitcnt_depctr 0xfff
	v_fma_f64 v[44:45], -v[28:29], v[30:31], 1.0
	s_delay_alu instid0(VALU_DEP_1) | instskip(NEXT) | instid1(VALU_DEP_1)
	v_fma_f64 v[30:31], v[30:31], v[44:45], v[30:31]
	v_fma_f64 v[44:45], -v[28:29], v[30:31], 1.0
	s_delay_alu instid0(VALU_DEP_1) | instskip(NEXT) | instid1(VALU_DEP_1)
	v_fma_f64 v[30:31], v[30:31], v[44:45], v[30:31]
	v_mul_f64 v[44:45], v[46:47], v[30:31]
	s_delay_alu instid0(VALU_DEP_1) | instskip(NEXT) | instid1(VALU_DEP_1)
	v_fma_f64 v[28:29], -v[28:29], v[44:45], v[46:47]
	v_div_fmas_f64 v[28:29], v[28:29], v[30:31], v[44:45]
	s_delay_alu instid0(VALU_DEP_1) | instskip(NEXT) | instid1(VALU_DEP_1)
	v_div_fixup_f64 v[28:29], v[28:29], v[112:113], v[114:115]
	v_fma_f64 v[30:31], v[114:115], v[28:29], v[112:113]
	s_delay_alu instid0(VALU_DEP_1) | instskip(NEXT) | instid1(VALU_DEP_1)
	v_div_scale_f64 v[44:45], null, v[30:31], v[30:31], 1.0
	v_rcp_f64_e32 v[46:47], v[44:45]
	s_waitcnt_depctr 0xfff
	v_fma_f64 v[92:93], -v[44:45], v[46:47], 1.0
	s_delay_alu instid0(VALU_DEP_1) | instskip(NEXT) | instid1(VALU_DEP_1)
	v_fma_f64 v[46:47], v[46:47], v[92:93], v[46:47]
	v_fma_f64 v[92:93], -v[44:45], v[46:47], 1.0
	s_delay_alu instid0(VALU_DEP_1) | instskip(SKIP_1) | instid1(VALU_DEP_1)
	v_fma_f64 v[46:47], v[46:47], v[92:93], v[46:47]
	v_div_scale_f64 v[92:93], vcc_lo, 1.0, v[30:31], 1.0
	v_mul_f64 v[94:95], v[92:93], v[46:47]
	s_delay_alu instid0(VALU_DEP_1) | instskip(NEXT) | instid1(VALU_DEP_1)
	v_fma_f64 v[44:45], -v[44:45], v[94:95], v[92:93]
	v_div_fmas_f64 v[44:45], v[44:45], v[46:47], v[94:95]
	s_delay_alu instid0(VALU_DEP_1) | instskip(NEXT) | instid1(VALU_DEP_1)
	v_div_fixup_f64 v[112:113], v[44:45], v[30:31], 1.0
	v_mul_f64 v[114:115], v[28:29], -v[112:113]
.LBB54_30:
	s_or_b32 exec_lo, exec_lo, s2
	v_mov_b32_e32 v232, v60
.LBB54_31:
	s_or_b32 exec_lo, exec_lo, s3
	s_delay_alu instid0(SALU_CYCLE_1)
	s_mov_b32 s2, exec_lo
	v_cmpx_ne_u32_e64 v140, v116
	s_xor_b32 s2, exec_lo, s2
	s_cbranch_execz .LBB54_37
; %bb.32:
	s_mov_b32 s3, exec_lo
	v_cmpx_eq_u32_e32 1, v140
	s_cbranch_execz .LBB54_36
; %bb.33:
	v_cmp_ne_u32_e32 vcc_lo, 1, v116
	s_xor_b32 s6, s4, -1
	s_delay_alu instid0(SALU_CYCLE_1) | instskip(NEXT) | instid1(SALU_CYCLE_1)
	s_and_b32 s7, s6, vcc_lo
	s_and_saveexec_b32 s6, s7
	s_cbranch_execz .LBB54_35
; %bb.34:
	v_ashrrev_i32_e32 v117, 31, v116
	s_delay_alu instid0(VALU_DEP_1) | instskip(NEXT) | instid1(VALU_DEP_1)
	v_lshlrev_b64 v[28:29], 2, v[116:117]
	v_add_co_u32 v28, vcc_lo, v78, v28
	s_delay_alu instid0(VALU_DEP_2)
	v_add_co_ci_u32_e32 v29, vcc_lo, v79, v29, vcc_lo
	s_clause 0x1
	flat_load_b32 v30, v[28:29]
	flat_load_b32 v31, v[78:79] offset:4
	s_waitcnt vmcnt(1) lgkmcnt(1)
	flat_store_b32 v[78:79], v30 offset:4
	s_waitcnt vmcnt(0) lgkmcnt(1)
	flat_store_b32 v[28:29], v31
.LBB54_35:
	s_or_b32 exec_lo, exec_lo, s6
	v_mov_b32_e32 v140, v116
	v_mov_b32_e32 v231, v116
.LBB54_36:
	s_or_b32 exec_lo, exec_lo, s3
.LBB54_37:
	s_and_not1_saveexec_b32 s2, s2
	s_cbranch_execz .LBB54_39
; %bb.38:
	ds_store_2addr_b64 v138, v[227:228], v[229:230] offset0:4 offset1:5
	ds_store_2addr_b64 v138, v[233:234], v[235:236] offset0:6 offset1:7
	;; [unrolled: 1-line block ×8, first 2 shown]
	scratch_load_b128 v[0:3], off, off offset:16 ; 16-byte Folded Reload
	v_mov_b32_e32 v140, 1
	s_waitcnt vmcnt(0)
	ds_store_2addr_b64 v138, v[0:1], v[2:3] offset0:20 offset1:21
	scratch_load_b128 v[0:3], off, off      ; 16-byte Folded Reload
	s_waitcnt vmcnt(0)
	ds_store_2addr_b64 v138, v[0:1], v[2:3] offset0:22 offset1:23
	ds_store_2addr_b64 v138, v[64:65], v[66:67] offset0:24 offset1:25
	;; [unrolled: 1-line block ×17, first 2 shown]
.LBB54_39:
	s_or_b32 exec_lo, exec_lo, s2
	s_delay_alu instid0(SALU_CYCLE_1)
	s_mov_b32 s2, exec_lo
	s_waitcnt lgkmcnt(0)
	s_waitcnt_vscnt null, 0x0
	s_barrier
	buffer_gl0_inv
	v_cmpx_lt_i32_e32 1, v140
	s_cbranch_execz .LBB54_41
; %bb.40:
	v_mul_f64 v[28:29], v[112:113], v[243:244]
	v_mul_f64 v[30:31], v[114:115], v[243:244]
	v_dual_mov_b32 v87, v83 :: v_dual_mov_b32 v86, v82
	v_dual_mov_b32 v85, v81 :: v_dual_mov_b32 v84, v80
	;; [unrolled: 1-line block ×8, first 2 shown]
	v_fma_f64 v[243:244], v[114:115], v[241:242], v[28:29]
	ds_load_2addr_b64 v[114:117], v138 offset0:4 offset1:5
	ds_load_2addr_b64 v[118:121], v138 offset0:6 offset1:7
	;; [unrolled: 1-line block ×10, first 2 shown]
	v_fma_f64 v[28:29], v[112:113], v[241:242], -v[30:31]
	ds_load_2addr_b64 v[165:168], v138 offset0:24 offset1:25
	ds_load_2addr_b64 v[169:172], v138 offset0:26 offset1:27
	ds_load_2addr_b64 v[173:176], v138 offset0:28 offset1:29
	ds_load_2addr_b64 v[177:180], v138 offset0:30 offset1:31
	ds_load_2addr_b64 v[181:184], v138 offset0:32 offset1:33
	ds_load_2addr_b64 v[185:188], v138 offset0:34 offset1:35
	ds_load_2addr_b64 v[189:192], v138 offset0:36 offset1:37
	ds_load_2addr_b64 v[193:196], v138 offset0:38 offset1:39
	ds_load_2addr_b64 v[197:200], v138 offset0:40 offset1:41
	ds_load_2addr_b64 v[201:204], v138 offset0:42 offset1:43
	ds_load_2addr_b64 v[205:208], v138 offset0:44 offset1:45
	ds_load_2addr_b64 v[209:212], v138 offset0:46 offset1:47
	ds_load_2addr_b64 v[213:216], v138 offset0:48 offset1:49
	ds_load_2addr_b64 v[217:220], v138 offset0:50 offset1:51
	s_waitcnt lgkmcnt(17)
	v_mul_f64 v[110:111], v[151:152], v[243:244]
	v_mul_f64 v[112:113], v[149:150], v[243:244]
	s_waitcnt lgkmcnt(16)
	v_mul_f64 v[130:131], v[155:156], v[243:244]
	s_waitcnt lgkmcnt(15)
	v_mul_f64 v[221:222], v[159:160], v[243:244]
	v_mul_f64 v[223:224], v[157:158], v[243:244]
	s_waitcnt lgkmcnt(14)
	v_mul_f64 v[225:226], v[163:164], v[243:244]
	v_mul_f64 v[239:240], v[161:162], v[243:244]
	;; [unrolled: 1-line block ×15, first 2 shown]
	s_waitcnt lgkmcnt(13)
	v_mul_f64 v[60:61], v[165:166], v[243:244]
	s_waitcnt lgkmcnt(12)
	v_mul_f64 v[76:77], v[171:172], v[243:244]
	;; [unrolled: 2-line block ×3, first 2 shown]
	v_mul_f64 v[253:254], v[167:168], v[243:244]
	v_mul_f64 v[241:242], v[169:170], v[243:244]
	v_fma_f64 v[110:111], v[149:150], v[28:29], -v[110:111]
	v_fma_f64 v[149:150], v[151:152], v[28:29], v[112:113]
	v_fma_f64 v[130:131], v[153:154], v[28:29], -v[130:131]
	v_fma_f64 v[151:152], v[157:158], v[28:29], -v[221:222]
	v_fma_f64 v[153:154], v[159:160], v[28:29], v[223:224]
	s_waitcnt lgkmcnt(6)
	v_mul_f64 v[157:158], v[193:194], v[243:244]
	v_fma_f64 v[159:160], v[161:162], v[28:29], -v[225:226]
	v_fma_f64 v[161:162], v[163:164], v[28:29], v[239:240]
	s_waitcnt lgkmcnt(5)
	v_mul_f64 v[163:164], v[199:200], v[243:244]
	s_waitcnt lgkmcnt(4)
	v_mul_f64 v[223:224], v[203:204], v[243:244]
	v_mul_f64 v[225:226], v[201:202], v[243:244]
	v_fma_f64 v[132:133], v[155:156], v[28:29], v[132:133]
	v_mul_f64 v[155:156], v[195:196], v[243:244]
	v_mul_f64 v[221:222], v[197:198], v[243:244]
	v_fma_f64 v[30:31], v[114:115], v[28:29], -v[30:31]
	v_fma_f64 v[44:45], v[116:117], v[28:29], v[44:45]
	v_fma_f64 v[46:47], v[118:119], v[28:29], -v[46:47]
	ds_load_2addr_b64 v[112:115], v138 offset0:52 offset1:53
	ds_load_2addr_b64 v[116:119], v138 offset0:54 offset1:55
	v_fma_f64 v[92:93], v[120:121], v[28:29], v[92:93]
	v_mul_f64 v[120:121], v[175:176], v[243:244]
	v_fma_f64 v[94:95], v[122:123], v[28:29], -v[94:95]
	v_fma_f64 v[96:97], v[124:125], v[28:29], v[96:97]
	v_mul_f64 v[122:123], v[179:180], v[243:244]
	v_mul_f64 v[124:125], v[177:178], v[243:244]
	v_fma_f64 v[98:99], v[126:127], v[28:29], -v[98:99]
	v_fma_f64 v[100:101], v[128:129], v[28:29], v[100:101]
	v_mul_f64 v[126:127], v[183:184], v[243:244]
	v_mul_f64 v[128:129], v[181:182], v[243:244]
	v_fma_f64 v[102:103], v[141:142], v[28:29], -v[102:103]
	v_fma_f64 v[104:105], v[143:144], v[28:29], v[104:105]
	v_mul_f64 v[141:142], v[187:188], v[243:244]
	v_mul_f64 v[143:144], v[185:186], v[243:244]
	v_fma_f64 v[106:107], v[145:146], v[28:29], -v[106:107]
	v_fma_f64 v[108:109], v[147:148], v[28:29], v[108:109]
	v_mul_f64 v[145:146], v[191:192], v[243:244]
	v_mul_f64 v[147:148], v[189:190], v[243:244]
	v_fma_f64 v[167:168], v[167:168], v[28:29], v[60:61]
	v_fma_f64 v[169:170], v[169:170], v[28:29], -v[76:77]
	s_waitcnt lgkmcnt(5)
	v_mul_f64 v[76:77], v[207:208], v[243:244]
	v_mul_f64 v[239:240], v[205:206], v[243:244]
	s_waitcnt lgkmcnt(4)
	v_mul_f64 v[60:61], v[209:210], v[243:244]
	v_fma_f64 v[165:166], v[165:166], v[28:29], -v[253:254]
	v_fma_f64 v[171:172], v[171:172], v[28:29], v[241:242]
	v_fma_f64 v[157:158], v[195:196], v[28:29], v[157:158]
	v_add_f64 v[249:250], v[249:250], -v[110:111]
	v_add_f64 v[251:252], v[251:252], -v[149:150]
	v_fma_f64 v[163:164], v[197:198], v[28:29], -v[163:164]
	v_fma_f64 v[195:196], v[201:202], v[28:29], -v[223:224]
	v_fma_f64 v[197:198], v[203:204], v[28:29], v[225:226]
	v_dual_mov_b32 v226, v3 :: v_dual_mov_b32 v225, v2
	v_dual_mov_b32 v224, v1 :: v_dual_mov_b32 v223, v0
	scratch_load_b128 v[0:3], off, off offset:16 ; 16-byte Folded Reload
	v_fma_f64 v[155:156], v[193:194], v[28:29], -v[155:156]
	v_fma_f64 v[193:194], v[199:200], v[28:29], v[221:222]
	v_add_f64 v[227:228], v[227:228], -v[30:31]
	v_fma_f64 v[120:121], v[173:174], v[28:29], -v[120:121]
	v_fma_f64 v[173:174], v[175:176], v[28:29], v[237:238]
	v_mul_f64 v[175:176], v[211:212], v[243:244]
	v_fma_f64 v[122:123], v[177:178], v[28:29], -v[122:123]
	v_fma_f64 v[124:125], v[179:180], v[28:29], v[124:125]
	s_waitcnt lgkmcnt(3)
	v_mul_f64 v[177:178], v[215:216], v[243:244]
	v_mul_f64 v[179:180], v[213:214], v[243:244]
	v_fma_f64 v[126:127], v[181:182], v[28:29], -v[126:127]
	v_fma_f64 v[128:129], v[183:184], v[28:29], v[128:129]
	s_waitcnt lgkmcnt(2)
	v_mul_f64 v[181:182], v[219:220], v[243:244]
	;; [unrolled: 5-line block ×4, first 2 shown]
	v_mul_f64 v[191:192], v[116:117], v[243:244]
	v_fma_f64 v[199:200], v[205:206], v[28:29], -v[76:77]
	v_fma_f64 v[201:202], v[207:208], v[28:29], v[239:240]
	v_fma_f64 v[203:204], v[211:212], v[28:29], v[60:61]
	v_dual_mov_b32 v237, v245 :: v_dual_mov_b32 v238, v246
	v_dual_mov_b32 v239, v247 :: v_dual_mov_b32 v240, v248
	v_add_f64 v[229:230], v[229:230], -v[44:45]
	v_add_f64 v[233:234], v[233:234], -v[46:47]
	;; [unrolled: 1-line block ×14, first 2 shown]
	v_fma_f64 v[175:176], v[209:210], v[28:29], -v[175:176]
	v_add_f64 v[74:75], v[74:75], -v[173:174]
	v_add_f64 v[68:69], v[68:69], -v[122:123]
	v_fma_f64 v[177:178], v[213:214], v[28:29], -v[177:178]
	v_fma_f64 v[179:180], v[215:216], v[28:29], v[179:180]
	v_add_f64 v[70:71], v[70:71], -v[124:125]
	v_add_f64 v[56:57], v[56:57], -v[126:127]
	v_fma_f64 v[181:182], v[217:218], v[28:29], -v[181:182]
	v_fma_f64 v[183:184], v[219:220], v[28:29], v[183:184]
	v_dual_mov_b32 v222, v83 :: v_dual_mov_b32 v221, v82
	v_fma_f64 v[112:113], v[112:113], v[28:29], -v[185:186]
	v_fma_f64 v[114:115], v[114:115], v[28:29], v[187:188]
	v_dual_mov_b32 v220, v81 :: v_dual_mov_b32 v219, v80
	;; [unrolled: 3-line block ×3, first 2 shown]
	v_dual_mov_b32 v82, v86 :: v_dual_mov_b32 v83, v87
	v_add_f64 v[219:220], v[219:220], -v[130:131]
	v_add_f64 v[221:222], v[221:222], -v[132:133]
	s_delay_alu instid0(VALU_DEP_4)
	v_add_f64 v[80:81], v[80:81], -v[98:99]
	v_add_f64 v[58:59], v[58:59], -v[128:129]
	;; [unrolled: 1-line block ×17, first 2 shown]
	v_dual_mov_b32 v242, v29 :: v_dual_mov_b32 v241, v28
	v_add_f64 v[12:13], v[12:13], -v[177:178]
	v_add_f64 v[14:15], v[14:15], -v[179:180]
	;; [unrolled: 1-line block ×8, first 2 shown]
	s_waitcnt vmcnt(0)
	v_add_f64 v[0:1], v[0:1], -v[151:152]
	v_add_f64 v[2:3], v[2:3], -v[153:154]
	scratch_store_b128 off, v[0:3], off offset:16 ; 16-byte Folded Spill
	scratch_load_b128 v[0:3], off, off      ; 16-byte Folded Reload
	s_waitcnt vmcnt(0)
	v_add_f64 v[0:1], v[0:1], -v[159:160]
	v_add_f64 v[2:3], v[2:3], -v[161:162]
	scratch_store_b128 off, v[0:3], off     ; 16-byte Folded Spill
.LBB54_41:
	s_or_b32 exec_lo, exec_lo, s2
	v_lshl_add_u32 v28, v140, 4, v138
	s_waitcnt_vscnt null, 0x0
	s_barrier
	buffer_gl0_inv
	v_mov_b32_e32 v116, 2
	ds_store_2addr_b64 v28, v[227:228], v[229:230] offset1:1
	s_waitcnt lgkmcnt(0)
	s_barrier
	buffer_gl0_inv
	ds_load_2addr_b64 v[112:115], v138 offset0:4 offset1:5
	s_cmp_lt_i32 s5, 4
	s_cbranch_scc1 .LBB54_44
; %bb.42:
	v_add3_u32 v117, v62, 0, 48
	v_mov_b32_e32 v116, 2
	s_mov_b32 s6, 3
	s_set_inst_prefetch_distance 0x1
	.p2align	6
.LBB54_43:                              ; =>This Inner Loop Header: Depth=1
	ds_load_2addr_b64 v[118:121], v117 offset1:1
	s_waitcnt lgkmcnt(1)
	v_cmp_gt_f64_e32 vcc_lo, 0, v[112:113]
	v_xor_b32_e32 v28, 0x80000000, v113
	v_cmp_gt_f64_e64 s2, 0, v[114:115]
	v_xor_b32_e32 v30, 0x80000000, v115
	v_add_nc_u32_e32 v117, 16, v117
	s_waitcnt lgkmcnt(0)
	v_cmp_gt_f64_e64 s3, 0, v[118:119]
	v_mov_b32_e32 v44, v118
	v_dual_mov_b32 v46, v120 :: v_dual_cndmask_b32 v29, v113, v28
	v_xor_b32_e32 v28, 0x80000000, v119
	v_cndmask_b32_e64 v31, v115, v30, s2
	v_xor_b32_e32 v30, 0x80000000, v121
	s_delay_alu instid0(VALU_DEP_3) | instskip(SKIP_2) | instid1(VALU_DEP_2)
	v_cndmask_b32_e64 v45, v119, v28, s3
	v_cmp_gt_f64_e64 s3, 0, v[120:121]
	v_cndmask_b32_e32 v28, v112, v112, vcc_lo
	v_cndmask_b32_e64 v47, v121, v30, s3
	v_cndmask_b32_e64 v30, v114, v114, s2
	s_delay_alu instid0(VALU_DEP_2) | instskip(NEXT) | instid1(VALU_DEP_2)
	v_add_f64 v[44:45], v[44:45], v[46:47]
	v_add_f64 v[28:29], v[28:29], v[30:31]
	s_delay_alu instid0(VALU_DEP_1)
	v_cmp_lt_f64_e32 vcc_lo, v[28:29], v[44:45]
	v_cndmask_b32_e32 v115, v115, v121, vcc_lo
	v_dual_cndmask_b32 v113, v113, v119 :: v_dual_cndmask_b32 v112, v112, v118
	v_cndmask_b32_e32 v114, v114, v120, vcc_lo
	v_cndmask_b32_e64 v116, v116, s6, vcc_lo
	s_add_i32 s6, s6, 1
	s_delay_alu instid0(SALU_CYCLE_1)
	s_cmp_lg_u32 s5, s6
	s_cbranch_scc1 .LBB54_43
.LBB54_44:
	s_set_inst_prefetch_distance 0x2
	s_waitcnt lgkmcnt(0)
	v_cmp_eq_f64_e32 vcc_lo, 0, v[112:113]
	v_cmp_eq_f64_e64 s2, 0, v[114:115]
	s_delay_alu instid0(VALU_DEP_1) | instskip(NEXT) | instid1(SALU_CYCLE_1)
	s_and_b32 s2, vcc_lo, s2
	s_and_saveexec_b32 s3, s2
	s_delay_alu instid0(SALU_CYCLE_1)
	s_xor_b32 s2, exec_lo, s3
; %bb.45:
	v_cmp_ne_u32_e32 vcc_lo, 0, v232
	v_cndmask_b32_e32 v232, 3, v232, vcc_lo
; %bb.46:
	s_and_not1_saveexec_b32 s3, s2
	s_cbranch_execz .LBB54_52
; %bb.47:
	v_cmp_gt_f64_e32 vcc_lo, 0, v[112:113]
	v_cmp_gt_f64_e64 s2, 0, v[114:115]
	v_xor_b32_e32 v28, 0x80000000, v113
	v_xor_b32_e32 v30, 0x80000000, v115
	s_delay_alu instid0(VALU_DEP_2) | instskip(NEXT) | instid1(VALU_DEP_2)
	v_cndmask_b32_e32 v29, v113, v28, vcc_lo
	v_cndmask_b32_e64 v31, v115, v30, s2
	v_cndmask_b32_e32 v28, v112, v112, vcc_lo
	v_cndmask_b32_e64 v30, v114, v114, s2
	s_mov_b32 s2, exec_lo
	s_delay_alu instid0(VALU_DEP_1)
	v_cmpx_ngt_f64_e32 v[28:29], v[30:31]
	s_xor_b32 s2, exec_lo, s2
	s_cbranch_execz .LBB54_49
; %bb.48:
	v_div_scale_f64 v[28:29], null, v[114:115], v[114:115], v[112:113]
	v_div_scale_f64 v[46:47], vcc_lo, v[112:113], v[114:115], v[112:113]
	s_delay_alu instid0(VALU_DEP_2) | instskip(SKIP_2) | instid1(VALU_DEP_1)
	v_rcp_f64_e32 v[30:31], v[28:29]
	s_waitcnt_depctr 0xfff
	v_fma_f64 v[44:45], -v[28:29], v[30:31], 1.0
	v_fma_f64 v[30:31], v[30:31], v[44:45], v[30:31]
	s_delay_alu instid0(VALU_DEP_1) | instskip(NEXT) | instid1(VALU_DEP_1)
	v_fma_f64 v[44:45], -v[28:29], v[30:31], 1.0
	v_fma_f64 v[30:31], v[30:31], v[44:45], v[30:31]
	s_delay_alu instid0(VALU_DEP_1) | instskip(NEXT) | instid1(VALU_DEP_1)
	v_mul_f64 v[44:45], v[46:47], v[30:31]
	v_fma_f64 v[28:29], -v[28:29], v[44:45], v[46:47]
	s_delay_alu instid0(VALU_DEP_1) | instskip(NEXT) | instid1(VALU_DEP_1)
	v_div_fmas_f64 v[28:29], v[28:29], v[30:31], v[44:45]
	v_div_fixup_f64 v[28:29], v[28:29], v[114:115], v[112:113]
	s_delay_alu instid0(VALU_DEP_1) | instskip(NEXT) | instid1(VALU_DEP_1)
	v_fma_f64 v[30:31], v[112:113], v[28:29], v[114:115]
	v_div_scale_f64 v[44:45], null, v[30:31], v[30:31], 1.0
	s_delay_alu instid0(VALU_DEP_1) | instskip(SKIP_2) | instid1(VALU_DEP_1)
	v_rcp_f64_e32 v[46:47], v[44:45]
	s_waitcnt_depctr 0xfff
	v_fma_f64 v[92:93], -v[44:45], v[46:47], 1.0
	v_fma_f64 v[46:47], v[46:47], v[92:93], v[46:47]
	s_delay_alu instid0(VALU_DEP_1) | instskip(NEXT) | instid1(VALU_DEP_1)
	v_fma_f64 v[92:93], -v[44:45], v[46:47], 1.0
	v_fma_f64 v[46:47], v[46:47], v[92:93], v[46:47]
	v_div_scale_f64 v[92:93], vcc_lo, 1.0, v[30:31], 1.0
	s_delay_alu instid0(VALU_DEP_1) | instskip(NEXT) | instid1(VALU_DEP_1)
	v_mul_f64 v[94:95], v[92:93], v[46:47]
	v_fma_f64 v[44:45], -v[44:45], v[94:95], v[92:93]
	s_delay_alu instid0(VALU_DEP_1) | instskip(NEXT) | instid1(VALU_DEP_1)
	v_div_fmas_f64 v[44:45], v[44:45], v[46:47], v[94:95]
	v_div_fixup_f64 v[114:115], v[44:45], v[30:31], 1.0
	s_delay_alu instid0(VALU_DEP_1)
	v_mul_f64 v[112:113], v[28:29], v[114:115]
	v_xor_b32_e32 v115, 0x80000000, v115
.LBB54_49:
	s_and_not1_saveexec_b32 s2, s2
	s_cbranch_execz .LBB54_51
; %bb.50:
	s_delay_alu instid0(VALU_DEP_1) | instskip(SKIP_1) | instid1(VALU_DEP_2)
	v_div_scale_f64 v[28:29], null, v[112:113], v[112:113], v[114:115]
	v_div_scale_f64 v[46:47], vcc_lo, v[114:115], v[112:113], v[114:115]
	v_rcp_f64_e32 v[30:31], v[28:29]
	s_waitcnt_depctr 0xfff
	v_fma_f64 v[44:45], -v[28:29], v[30:31], 1.0
	s_delay_alu instid0(VALU_DEP_1) | instskip(NEXT) | instid1(VALU_DEP_1)
	v_fma_f64 v[30:31], v[30:31], v[44:45], v[30:31]
	v_fma_f64 v[44:45], -v[28:29], v[30:31], 1.0
	s_delay_alu instid0(VALU_DEP_1) | instskip(NEXT) | instid1(VALU_DEP_1)
	v_fma_f64 v[30:31], v[30:31], v[44:45], v[30:31]
	v_mul_f64 v[44:45], v[46:47], v[30:31]
	s_delay_alu instid0(VALU_DEP_1) | instskip(NEXT) | instid1(VALU_DEP_1)
	v_fma_f64 v[28:29], -v[28:29], v[44:45], v[46:47]
	v_div_fmas_f64 v[28:29], v[28:29], v[30:31], v[44:45]
	s_delay_alu instid0(VALU_DEP_1) | instskip(NEXT) | instid1(VALU_DEP_1)
	v_div_fixup_f64 v[28:29], v[28:29], v[112:113], v[114:115]
	v_fma_f64 v[30:31], v[114:115], v[28:29], v[112:113]
	s_delay_alu instid0(VALU_DEP_1) | instskip(NEXT) | instid1(VALU_DEP_1)
	v_div_scale_f64 v[44:45], null, v[30:31], v[30:31], 1.0
	v_rcp_f64_e32 v[46:47], v[44:45]
	s_waitcnt_depctr 0xfff
	v_fma_f64 v[92:93], -v[44:45], v[46:47], 1.0
	s_delay_alu instid0(VALU_DEP_1) | instskip(NEXT) | instid1(VALU_DEP_1)
	v_fma_f64 v[46:47], v[46:47], v[92:93], v[46:47]
	v_fma_f64 v[92:93], -v[44:45], v[46:47], 1.0
	s_delay_alu instid0(VALU_DEP_1) | instskip(SKIP_1) | instid1(VALU_DEP_1)
	v_fma_f64 v[46:47], v[46:47], v[92:93], v[46:47]
	v_div_scale_f64 v[92:93], vcc_lo, 1.0, v[30:31], 1.0
	v_mul_f64 v[94:95], v[92:93], v[46:47]
	s_delay_alu instid0(VALU_DEP_1) | instskip(NEXT) | instid1(VALU_DEP_1)
	v_fma_f64 v[44:45], -v[44:45], v[94:95], v[92:93]
	v_div_fmas_f64 v[44:45], v[44:45], v[46:47], v[94:95]
	s_delay_alu instid0(VALU_DEP_1) | instskip(NEXT) | instid1(VALU_DEP_1)
	v_div_fixup_f64 v[112:113], v[44:45], v[30:31], 1.0
	v_mul_f64 v[114:115], v[28:29], -v[112:113]
.LBB54_51:
	s_or_b32 exec_lo, exec_lo, s2
.LBB54_52:
	s_delay_alu instid0(SALU_CYCLE_1) | instskip(NEXT) | instid1(SALU_CYCLE_1)
	s_or_b32 exec_lo, exec_lo, s3
	s_mov_b32 s2, exec_lo
	v_cmpx_ne_u32_e64 v140, v116
	s_xor_b32 s2, exec_lo, s2
	s_cbranch_execz .LBB54_58
; %bb.53:
	s_mov_b32 s3, exec_lo
	v_cmpx_eq_u32_e32 2, v140
	s_cbranch_execz .LBB54_57
; %bb.54:
	v_cmp_ne_u32_e32 vcc_lo, 2, v116
	s_xor_b32 s6, s4, -1
	s_delay_alu instid0(SALU_CYCLE_1) | instskip(NEXT) | instid1(SALU_CYCLE_1)
	s_and_b32 s7, s6, vcc_lo
	s_and_saveexec_b32 s6, s7
	s_cbranch_execz .LBB54_56
; %bb.55:
	v_ashrrev_i32_e32 v117, 31, v116
	s_delay_alu instid0(VALU_DEP_1) | instskip(NEXT) | instid1(VALU_DEP_1)
	v_lshlrev_b64 v[28:29], 2, v[116:117]
	v_add_co_u32 v28, vcc_lo, v78, v28
	s_delay_alu instid0(VALU_DEP_2)
	v_add_co_ci_u32_e32 v29, vcc_lo, v79, v29, vcc_lo
	s_clause 0x1
	flat_load_b32 v30, v[28:29]
	flat_load_b32 v31, v[78:79] offset:8
	s_waitcnt vmcnt(1) lgkmcnt(1)
	flat_store_b32 v[78:79], v30 offset:8
	s_waitcnt vmcnt(0) lgkmcnt(1)
	flat_store_b32 v[28:29], v31
.LBB54_56:
	s_or_b32 exec_lo, exec_lo, s6
	v_mov_b32_e32 v140, v116
	v_mov_b32_e32 v231, v116
.LBB54_57:
	s_or_b32 exec_lo, exec_lo, s3
.LBB54_58:
	s_and_not1_saveexec_b32 s2, s2
	s_cbranch_execz .LBB54_60
; %bb.59:
	ds_store_2addr_b64 v138, v[233:234], v[235:236] offset0:6 offset1:7
	ds_store_2addr_b64 v138, v[237:238], v[239:240] offset0:8 offset1:9
	;; [unrolled: 1-line block ×7, first 2 shown]
	scratch_load_b128 v[0:3], off, off offset:16 ; 16-byte Folded Reload
	v_mov_b32_e32 v140, 2
	s_waitcnt vmcnt(0)
	ds_store_2addr_b64 v138, v[0:1], v[2:3] offset0:20 offset1:21
	scratch_load_b128 v[0:3], off, off      ; 16-byte Folded Reload
	s_waitcnt vmcnt(0)
	ds_store_2addr_b64 v138, v[0:1], v[2:3] offset0:22 offset1:23
	ds_store_2addr_b64 v138, v[64:65], v[66:67] offset0:24 offset1:25
	;; [unrolled: 1-line block ×17, first 2 shown]
.LBB54_60:
	s_or_b32 exec_lo, exec_lo, s2
	s_delay_alu instid0(SALU_CYCLE_1)
	s_mov_b32 s2, exec_lo
	s_waitcnt lgkmcnt(0)
	s_waitcnt_vscnt null, 0x0
	s_barrier
	buffer_gl0_inv
	v_cmpx_lt_i32_e32 2, v140
	s_cbranch_execz .LBB54_62
; %bb.61:
	v_mul_f64 v[28:29], v[114:115], v[229:230]
	s_delay_alu instid0(VALU_DEP_1) | instskip(SKIP_1) | instid1(VALU_DEP_1)
	v_fma_f64 v[116:117], v[112:113], v[227:228], -v[28:29]
	v_mul_f64 v[28:29], v[112:113], v[229:230]
	v_fma_f64 v[229:230], v[114:115], v[227:228], v[28:29]
	ds_load_2addr_b64 v[112:115], v138 offset0:6 offset1:7
	ds_load_2addr_b64 v[118:121], v138 offset0:8 offset1:9
	v_dual_mov_b32 v228, v117 :: v_dual_mov_b32 v227, v116
	s_waitcnt lgkmcnt(1)
	v_mul_f64 v[28:29], v[114:115], v[229:230]
	v_mul_f64 v[30:31], v[112:113], v[229:230]
	s_waitcnt lgkmcnt(0)
	v_mul_f64 v[44:45], v[120:121], v[229:230]
	v_mul_f64 v[46:47], v[118:119], v[229:230]
	s_delay_alu instid0(VALU_DEP_4) | instskip(NEXT) | instid1(VALU_DEP_4)
	v_fma_f64 v[28:29], v[112:113], v[116:117], -v[28:29]
	v_fma_f64 v[30:31], v[114:115], v[116:117], v[30:31]
	s_delay_alu instid0(VALU_DEP_4) | instskip(NEXT) | instid1(VALU_DEP_4)
	v_fma_f64 v[44:45], v[118:119], v[116:117], -v[44:45]
	v_fma_f64 v[46:47], v[120:121], v[116:117], v[46:47]
	ds_load_2addr_b64 v[112:115], v138 offset0:10 offset1:11
	ds_load_2addr_b64 v[118:121], v138 offset0:12 offset1:13
	s_waitcnt lgkmcnt(1)
	v_mul_f64 v[92:93], v[114:115], v[229:230]
	v_mul_f64 v[94:95], v[112:113], v[229:230]
	s_waitcnt lgkmcnt(0)
	v_mul_f64 v[96:97], v[120:121], v[229:230]
	v_mul_f64 v[98:99], v[118:119], v[229:230]
	v_add_f64 v[233:234], v[233:234], -v[28:29]
	v_add_f64 v[235:236], v[235:236], -v[30:31]
	;; [unrolled: 1-line block ×4, first 2 shown]
	v_fma_f64 v[92:93], v[112:113], v[116:117], -v[92:93]
	v_fma_f64 v[94:95], v[114:115], v[116:117], v[94:95]
	v_fma_f64 v[96:97], v[118:119], v[116:117], -v[96:97]
	v_fma_f64 v[98:99], v[120:121], v[116:117], v[98:99]
	ds_load_2addr_b64 v[112:115], v138 offset0:14 offset1:15
	ds_load_2addr_b64 v[118:121], v138 offset0:16 offset1:17
	s_waitcnt lgkmcnt(1)
	v_mul_f64 v[100:101], v[114:115], v[229:230]
	v_mul_f64 v[102:103], v[112:113], v[229:230]
	s_waitcnt lgkmcnt(0)
	v_mul_f64 v[104:105], v[120:121], v[229:230]
	v_mul_f64 v[106:107], v[118:119], v[229:230]
	v_add_f64 v[80:81], v[80:81], -v[92:93]
	v_add_f64 v[82:83], v[82:83], -v[94:95]
	;; [unrolled: 1-line block ×4, first 2 shown]
	v_fma_f64 v[100:101], v[112:113], v[116:117], -v[100:101]
	v_fma_f64 v[102:103], v[114:115], v[116:117], v[102:103]
	v_fma_f64 v[104:105], v[118:119], v[116:117], -v[104:105]
	v_fma_f64 v[106:107], v[120:121], v[116:117], v[106:107]
	ds_load_2addr_b64 v[112:115], v138 offset0:18 offset1:19
	ds_load_2addr_b64 v[118:121], v138 offset0:20 offset1:21
	s_waitcnt lgkmcnt(1)
	v_mul_f64 v[108:109], v[114:115], v[229:230]
	v_mul_f64 v[110:111], v[112:113], v[229:230]
	v_add_f64 v[88:89], v[88:89], -v[100:101]
	v_add_f64 v[90:91], v[90:91], -v[102:103]
	;; [unrolled: 1-line block ×4, first 2 shown]
	v_fma_f64 v[108:109], v[112:113], v[116:117], -v[108:109]
	s_waitcnt lgkmcnt(0)
	v_mul_f64 v[112:113], v[120:121], v[229:230]
	v_fma_f64 v[110:111], v[114:115], v[116:117], v[110:111]
	s_delay_alu instid0(VALU_DEP_3) | instskip(NEXT) | instid1(VALU_DEP_3)
	v_add_f64 v[219:220], v[219:220], -v[108:109]
	v_fma_f64 v[122:123], v[118:119], v[116:117], -v[112:113]
	v_mul_f64 v[112:113], v[118:119], v[229:230]
	s_delay_alu instid0(VALU_DEP_4) | instskip(NEXT) | instid1(VALU_DEP_2)
	v_add_f64 v[221:222], v[221:222], -v[110:111]
	v_fma_f64 v[124:125], v[120:121], v[116:117], v[112:113]
	ds_load_2addr_b64 v[112:115], v138 offset0:22 offset1:23
	ds_load_2addr_b64 v[118:121], v138 offset0:24 offset1:25
	s_waitcnt lgkmcnt(1)
	v_mul_f64 v[126:127], v[114:115], v[229:230]
	s_delay_alu instid0(VALU_DEP_1) | instskip(SKIP_1) | instid1(VALU_DEP_1)
	v_fma_f64 v[126:127], v[112:113], v[116:117], -v[126:127]
	v_mul_f64 v[112:113], v[112:113], v[229:230]
	v_fma_f64 v[128:129], v[114:115], v[116:117], v[112:113]
	s_waitcnt lgkmcnt(0)
	v_mul_f64 v[112:113], v[120:121], v[229:230]
	s_delay_alu instid0(VALU_DEP_1) | instskip(SKIP_1) | instid1(VALU_DEP_2)
	v_fma_f64 v[130:131], v[118:119], v[116:117], -v[112:113]
	v_mul_f64 v[112:113], v[118:119], v[229:230]
	v_add_f64 v[64:65], v[64:65], -v[130:131]
	s_delay_alu instid0(VALU_DEP_2)
	v_fma_f64 v[132:133], v[120:121], v[116:117], v[112:113]
	ds_load_2addr_b64 v[112:115], v138 offset0:26 offset1:27
	ds_load_2addr_b64 v[118:121], v138 offset0:28 offset1:29
	s_waitcnt lgkmcnt(1)
	v_mul_f64 v[141:142], v[114:115], v[229:230]
	v_add_f64 v[66:67], v[66:67], -v[132:133]
	s_delay_alu instid0(VALU_DEP_2) | instskip(SKIP_1) | instid1(VALU_DEP_2)
	v_fma_f64 v[141:142], v[112:113], v[116:117], -v[141:142]
	v_mul_f64 v[112:113], v[112:113], v[229:230]
	v_add_f64 v[48:49], v[48:49], -v[141:142]
	s_delay_alu instid0(VALU_DEP_2) | instskip(SKIP_2) | instid1(VALU_DEP_2)
	v_fma_f64 v[143:144], v[114:115], v[116:117], v[112:113]
	s_waitcnt lgkmcnt(0)
	v_mul_f64 v[112:113], v[120:121], v[229:230]
	v_add_f64 v[50:51], v[50:51], -v[143:144]
	s_delay_alu instid0(VALU_DEP_2) | instskip(SKIP_1) | instid1(VALU_DEP_2)
	v_fma_f64 v[145:146], v[118:119], v[116:117], -v[112:113]
	v_mul_f64 v[112:113], v[118:119], v[229:230]
	v_add_f64 v[72:73], v[72:73], -v[145:146]
	s_delay_alu instid0(VALU_DEP_2)
	v_fma_f64 v[147:148], v[120:121], v[116:117], v[112:113]
	ds_load_2addr_b64 v[112:115], v138 offset0:30 offset1:31
	ds_load_2addr_b64 v[118:121], v138 offset0:32 offset1:33
	s_waitcnt lgkmcnt(1)
	v_mul_f64 v[149:150], v[114:115], v[229:230]
	v_add_f64 v[74:75], v[74:75], -v[147:148]
	s_delay_alu instid0(VALU_DEP_2) | instskip(SKIP_1) | instid1(VALU_DEP_2)
	v_fma_f64 v[149:150], v[112:113], v[116:117], -v[149:150]
	v_mul_f64 v[112:113], v[112:113], v[229:230]
	v_add_f64 v[68:69], v[68:69], -v[149:150]
	s_delay_alu instid0(VALU_DEP_2) | instskip(SKIP_2) | instid1(VALU_DEP_2)
	v_fma_f64 v[151:152], v[114:115], v[116:117], v[112:113]
	s_waitcnt lgkmcnt(0)
	v_mul_f64 v[112:113], v[120:121], v[229:230]
	v_add_f64 v[70:71], v[70:71], -v[151:152]
	s_delay_alu instid0(VALU_DEP_2) | instskip(SKIP_1) | instid1(VALU_DEP_2)
	;; [unrolled: 20-line block ×6, first 2 shown]
	v_fma_f64 v[185:186], v[118:119], v[116:117], -v[112:113]
	v_mul_f64 v[112:113], v[118:119], v[229:230]
	v_add_f64 v[12:13], v[12:13], -v[185:186]
	s_delay_alu instid0(VALU_DEP_2)
	v_fma_f64 v[187:188], v[120:121], v[116:117], v[112:113]
	ds_load_2addr_b64 v[112:115], v138 offset0:50 offset1:51
	ds_load_2addr_b64 v[118:121], v138 offset0:52 offset1:53
	scratch_load_b128 v[0:3], off, off offset:16 ; 16-byte Folded Reload
	s_waitcnt lgkmcnt(1)
	v_mul_f64 v[189:190], v[114:115], v[229:230]
	v_add_f64 v[14:15], v[14:15], -v[187:188]
	s_delay_alu instid0(VALU_DEP_2) | instskip(SKIP_1) | instid1(VALU_DEP_2)
	v_fma_f64 v[189:190], v[112:113], v[116:117], -v[189:190]
	v_mul_f64 v[112:113], v[112:113], v[229:230]
	v_add_f64 v[8:9], v[8:9], -v[189:190]
	s_delay_alu instid0(VALU_DEP_2) | instskip(SKIP_2) | instid1(VALU_DEP_2)
	v_fma_f64 v[191:192], v[114:115], v[116:117], v[112:113]
	s_waitcnt lgkmcnt(0)
	v_mul_f64 v[112:113], v[120:121], v[229:230]
	v_add_f64 v[10:11], v[10:11], -v[191:192]
	s_delay_alu instid0(VALU_DEP_2) | instskip(SKIP_1) | instid1(VALU_DEP_2)
	v_fma_f64 v[193:194], v[118:119], v[116:117], -v[112:113]
	v_mul_f64 v[112:113], v[118:119], v[229:230]
	v_add_f64 v[4:5], v[4:5], -v[193:194]
	s_delay_alu instid0(VALU_DEP_2) | instskip(SKIP_4) | instid1(VALU_DEP_2)
	v_fma_f64 v[118:119], v[120:121], v[116:117], v[112:113]
	ds_load_2addr_b64 v[112:115], v138 offset0:54 offset1:55
	s_waitcnt lgkmcnt(0)
	v_mul_f64 v[120:121], v[114:115], v[229:230]
	v_add_f64 v[6:7], v[6:7], -v[118:119]
	v_fma_f64 v[120:121], v[112:113], v[116:117], -v[120:121]
	v_mul_f64 v[112:113], v[112:113], v[229:230]
	s_delay_alu instid0(VALU_DEP_2) | instskip(NEXT) | instid1(VALU_DEP_2)
	v_add_f64 v[134:135], v[134:135], -v[120:121]
	v_fma_f64 v[112:113], v[114:115], v[116:117], v[112:113]
	s_delay_alu instid0(VALU_DEP_1)
	v_add_f64 v[136:137], v[136:137], -v[112:113]
	s_waitcnt vmcnt(0)
	v_add_f64 v[0:1], v[0:1], -v[122:123]
	v_add_f64 v[2:3], v[2:3], -v[124:125]
	scratch_store_b128 off, v[0:3], off offset:16 ; 16-byte Folded Spill
	scratch_load_b128 v[0:3], off, off      ; 16-byte Folded Reload
	s_waitcnt vmcnt(0)
	v_add_f64 v[0:1], v[0:1], -v[126:127]
	v_add_f64 v[2:3], v[2:3], -v[128:129]
	scratch_store_b128 off, v[0:3], off     ; 16-byte Folded Spill
.LBB54_62:
	s_or_b32 exec_lo, exec_lo, s2
	v_lshl_add_u32 v28, v140, 4, v138
	s_waitcnt_vscnt null, 0x0
	s_barrier
	buffer_gl0_inv
	v_mov_b32_e32 v116, 3
	ds_store_2addr_b64 v28, v[233:234], v[235:236] offset1:1
	s_waitcnt lgkmcnt(0)
	s_barrier
	buffer_gl0_inv
	ds_load_2addr_b64 v[112:115], v138 offset0:6 offset1:7
	s_cmp_lt_i32 s5, 5
	s_mov_b32 s6, 4
	s_cbranch_scc1 .LBB54_65
; %bb.63:
	v_add3_u32 v117, v62, 0, 64
	v_mov_b32_e32 v116, 3
	s_set_inst_prefetch_distance 0x1
	.p2align	6
.LBB54_64:                              ; =>This Inner Loop Header: Depth=1
	ds_load_2addr_b64 v[118:121], v117 offset1:1
	s_waitcnt lgkmcnt(1)
	v_cmp_gt_f64_e32 vcc_lo, 0, v[112:113]
	v_xor_b32_e32 v28, 0x80000000, v113
	v_cmp_gt_f64_e64 s2, 0, v[114:115]
	v_xor_b32_e32 v30, 0x80000000, v115
	v_add_nc_u32_e32 v117, 16, v117
	s_waitcnt lgkmcnt(0)
	v_cmp_gt_f64_e64 s3, 0, v[118:119]
	v_mov_b32_e32 v44, v118
	v_dual_mov_b32 v46, v120 :: v_dual_cndmask_b32 v29, v113, v28
	v_xor_b32_e32 v28, 0x80000000, v119
	v_cndmask_b32_e64 v31, v115, v30, s2
	v_xor_b32_e32 v30, 0x80000000, v121
	s_delay_alu instid0(VALU_DEP_3) | instskip(SKIP_2) | instid1(VALU_DEP_2)
	v_cndmask_b32_e64 v45, v119, v28, s3
	v_cmp_gt_f64_e64 s3, 0, v[120:121]
	v_cndmask_b32_e32 v28, v112, v112, vcc_lo
	v_cndmask_b32_e64 v47, v121, v30, s3
	v_cndmask_b32_e64 v30, v114, v114, s2
	s_delay_alu instid0(VALU_DEP_2) | instskip(NEXT) | instid1(VALU_DEP_2)
	v_add_f64 v[44:45], v[44:45], v[46:47]
	v_add_f64 v[28:29], v[28:29], v[30:31]
	s_delay_alu instid0(VALU_DEP_1)
	v_cmp_lt_f64_e32 vcc_lo, v[28:29], v[44:45]
	v_cndmask_b32_e32 v115, v115, v121, vcc_lo
	v_dual_cndmask_b32 v113, v113, v119 :: v_dual_cndmask_b32 v112, v112, v118
	v_cndmask_b32_e32 v114, v114, v120, vcc_lo
	v_cndmask_b32_e64 v116, v116, s6, vcc_lo
	s_add_i32 s6, s6, 1
	s_delay_alu instid0(SALU_CYCLE_1)
	s_cmp_lg_u32 s5, s6
	s_cbranch_scc1 .LBB54_64
.LBB54_65:
	s_set_inst_prefetch_distance 0x2
	s_waitcnt lgkmcnt(0)
	v_cmp_eq_f64_e32 vcc_lo, 0, v[112:113]
	v_cmp_eq_f64_e64 s2, 0, v[114:115]
	s_delay_alu instid0(VALU_DEP_1) | instskip(NEXT) | instid1(SALU_CYCLE_1)
	s_and_b32 s2, vcc_lo, s2
	s_and_saveexec_b32 s3, s2
	s_delay_alu instid0(SALU_CYCLE_1)
	s_xor_b32 s2, exec_lo, s3
; %bb.66:
	v_cmp_ne_u32_e32 vcc_lo, 0, v232
	v_cndmask_b32_e32 v232, 4, v232, vcc_lo
; %bb.67:
	s_and_not1_saveexec_b32 s3, s2
	s_cbranch_execz .LBB54_73
; %bb.68:
	v_cmp_gt_f64_e32 vcc_lo, 0, v[112:113]
	v_cmp_gt_f64_e64 s2, 0, v[114:115]
	v_xor_b32_e32 v28, 0x80000000, v113
	v_xor_b32_e32 v30, 0x80000000, v115
	s_delay_alu instid0(VALU_DEP_2) | instskip(NEXT) | instid1(VALU_DEP_2)
	v_cndmask_b32_e32 v29, v113, v28, vcc_lo
	v_cndmask_b32_e64 v31, v115, v30, s2
	v_cndmask_b32_e32 v28, v112, v112, vcc_lo
	v_cndmask_b32_e64 v30, v114, v114, s2
	s_mov_b32 s2, exec_lo
	s_delay_alu instid0(VALU_DEP_1)
	v_cmpx_ngt_f64_e32 v[28:29], v[30:31]
	s_xor_b32 s2, exec_lo, s2
	s_cbranch_execz .LBB54_70
; %bb.69:
	v_div_scale_f64 v[28:29], null, v[114:115], v[114:115], v[112:113]
	v_div_scale_f64 v[46:47], vcc_lo, v[112:113], v[114:115], v[112:113]
	s_delay_alu instid0(VALU_DEP_2) | instskip(SKIP_2) | instid1(VALU_DEP_1)
	v_rcp_f64_e32 v[30:31], v[28:29]
	s_waitcnt_depctr 0xfff
	v_fma_f64 v[44:45], -v[28:29], v[30:31], 1.0
	v_fma_f64 v[30:31], v[30:31], v[44:45], v[30:31]
	s_delay_alu instid0(VALU_DEP_1) | instskip(NEXT) | instid1(VALU_DEP_1)
	v_fma_f64 v[44:45], -v[28:29], v[30:31], 1.0
	v_fma_f64 v[30:31], v[30:31], v[44:45], v[30:31]
	s_delay_alu instid0(VALU_DEP_1) | instskip(NEXT) | instid1(VALU_DEP_1)
	v_mul_f64 v[44:45], v[46:47], v[30:31]
	v_fma_f64 v[28:29], -v[28:29], v[44:45], v[46:47]
	s_delay_alu instid0(VALU_DEP_1) | instskip(NEXT) | instid1(VALU_DEP_1)
	v_div_fmas_f64 v[28:29], v[28:29], v[30:31], v[44:45]
	v_div_fixup_f64 v[28:29], v[28:29], v[114:115], v[112:113]
	s_delay_alu instid0(VALU_DEP_1) | instskip(NEXT) | instid1(VALU_DEP_1)
	v_fma_f64 v[30:31], v[112:113], v[28:29], v[114:115]
	v_div_scale_f64 v[44:45], null, v[30:31], v[30:31], 1.0
	s_delay_alu instid0(VALU_DEP_1) | instskip(SKIP_2) | instid1(VALU_DEP_1)
	v_rcp_f64_e32 v[46:47], v[44:45]
	s_waitcnt_depctr 0xfff
	v_fma_f64 v[92:93], -v[44:45], v[46:47], 1.0
	v_fma_f64 v[46:47], v[46:47], v[92:93], v[46:47]
	s_delay_alu instid0(VALU_DEP_1) | instskip(NEXT) | instid1(VALU_DEP_1)
	v_fma_f64 v[92:93], -v[44:45], v[46:47], 1.0
	v_fma_f64 v[46:47], v[46:47], v[92:93], v[46:47]
	v_div_scale_f64 v[92:93], vcc_lo, 1.0, v[30:31], 1.0
	s_delay_alu instid0(VALU_DEP_1) | instskip(NEXT) | instid1(VALU_DEP_1)
	v_mul_f64 v[94:95], v[92:93], v[46:47]
	v_fma_f64 v[44:45], -v[44:45], v[94:95], v[92:93]
	s_delay_alu instid0(VALU_DEP_1) | instskip(NEXT) | instid1(VALU_DEP_1)
	v_div_fmas_f64 v[44:45], v[44:45], v[46:47], v[94:95]
	v_div_fixup_f64 v[114:115], v[44:45], v[30:31], 1.0
	s_delay_alu instid0(VALU_DEP_1)
	v_mul_f64 v[112:113], v[28:29], v[114:115]
	v_xor_b32_e32 v115, 0x80000000, v115
.LBB54_70:
	s_and_not1_saveexec_b32 s2, s2
	s_cbranch_execz .LBB54_72
; %bb.71:
	s_delay_alu instid0(VALU_DEP_1) | instskip(SKIP_1) | instid1(VALU_DEP_2)
	v_div_scale_f64 v[28:29], null, v[112:113], v[112:113], v[114:115]
	v_div_scale_f64 v[46:47], vcc_lo, v[114:115], v[112:113], v[114:115]
	v_rcp_f64_e32 v[30:31], v[28:29]
	s_waitcnt_depctr 0xfff
	v_fma_f64 v[44:45], -v[28:29], v[30:31], 1.0
	s_delay_alu instid0(VALU_DEP_1) | instskip(NEXT) | instid1(VALU_DEP_1)
	v_fma_f64 v[30:31], v[30:31], v[44:45], v[30:31]
	v_fma_f64 v[44:45], -v[28:29], v[30:31], 1.0
	s_delay_alu instid0(VALU_DEP_1) | instskip(NEXT) | instid1(VALU_DEP_1)
	v_fma_f64 v[30:31], v[30:31], v[44:45], v[30:31]
	v_mul_f64 v[44:45], v[46:47], v[30:31]
	s_delay_alu instid0(VALU_DEP_1) | instskip(NEXT) | instid1(VALU_DEP_1)
	v_fma_f64 v[28:29], -v[28:29], v[44:45], v[46:47]
	v_div_fmas_f64 v[28:29], v[28:29], v[30:31], v[44:45]
	s_delay_alu instid0(VALU_DEP_1) | instskip(NEXT) | instid1(VALU_DEP_1)
	v_div_fixup_f64 v[28:29], v[28:29], v[112:113], v[114:115]
	v_fma_f64 v[30:31], v[114:115], v[28:29], v[112:113]
	s_delay_alu instid0(VALU_DEP_1) | instskip(NEXT) | instid1(VALU_DEP_1)
	v_div_scale_f64 v[44:45], null, v[30:31], v[30:31], 1.0
	v_rcp_f64_e32 v[46:47], v[44:45]
	s_waitcnt_depctr 0xfff
	v_fma_f64 v[92:93], -v[44:45], v[46:47], 1.0
	s_delay_alu instid0(VALU_DEP_1) | instskip(NEXT) | instid1(VALU_DEP_1)
	v_fma_f64 v[46:47], v[46:47], v[92:93], v[46:47]
	v_fma_f64 v[92:93], -v[44:45], v[46:47], 1.0
	s_delay_alu instid0(VALU_DEP_1) | instskip(SKIP_1) | instid1(VALU_DEP_1)
	v_fma_f64 v[46:47], v[46:47], v[92:93], v[46:47]
	v_div_scale_f64 v[92:93], vcc_lo, 1.0, v[30:31], 1.0
	v_mul_f64 v[94:95], v[92:93], v[46:47]
	s_delay_alu instid0(VALU_DEP_1) | instskip(NEXT) | instid1(VALU_DEP_1)
	v_fma_f64 v[44:45], -v[44:45], v[94:95], v[92:93]
	v_div_fmas_f64 v[44:45], v[44:45], v[46:47], v[94:95]
	s_delay_alu instid0(VALU_DEP_1) | instskip(NEXT) | instid1(VALU_DEP_1)
	v_div_fixup_f64 v[112:113], v[44:45], v[30:31], 1.0
	v_mul_f64 v[114:115], v[28:29], -v[112:113]
.LBB54_72:
	s_or_b32 exec_lo, exec_lo, s2
.LBB54_73:
	s_delay_alu instid0(SALU_CYCLE_1) | instskip(NEXT) | instid1(SALU_CYCLE_1)
	s_or_b32 exec_lo, exec_lo, s3
	s_mov_b32 s2, exec_lo
	v_cmpx_ne_u32_e64 v140, v116
	s_xor_b32 s2, exec_lo, s2
	s_cbranch_execz .LBB54_79
; %bb.74:
	s_mov_b32 s3, exec_lo
	v_cmpx_eq_u32_e32 3, v140
	s_cbranch_execz .LBB54_78
; %bb.75:
	v_cmp_ne_u32_e32 vcc_lo, 3, v116
	s_xor_b32 s6, s4, -1
	s_delay_alu instid0(SALU_CYCLE_1) | instskip(NEXT) | instid1(SALU_CYCLE_1)
	s_and_b32 s7, s6, vcc_lo
	s_and_saveexec_b32 s6, s7
	s_cbranch_execz .LBB54_77
; %bb.76:
	v_ashrrev_i32_e32 v117, 31, v116
	s_delay_alu instid0(VALU_DEP_1) | instskip(NEXT) | instid1(VALU_DEP_1)
	v_lshlrev_b64 v[28:29], 2, v[116:117]
	v_add_co_u32 v28, vcc_lo, v78, v28
	s_delay_alu instid0(VALU_DEP_2)
	v_add_co_ci_u32_e32 v29, vcc_lo, v79, v29, vcc_lo
	s_clause 0x1
	flat_load_b32 v30, v[28:29]
	flat_load_b32 v31, v[78:79] offset:12
	s_waitcnt vmcnt(1) lgkmcnt(1)
	flat_store_b32 v[78:79], v30 offset:12
	s_waitcnt vmcnt(0) lgkmcnt(1)
	flat_store_b32 v[28:29], v31
.LBB54_77:
	s_or_b32 exec_lo, exec_lo, s6
	v_mov_b32_e32 v140, v116
	v_mov_b32_e32 v231, v116
.LBB54_78:
	s_or_b32 exec_lo, exec_lo, s3
.LBB54_79:
	s_and_not1_saveexec_b32 s2, s2
	s_cbranch_execz .LBB54_81
; %bb.80:
	ds_store_2addr_b64 v138, v[237:238], v[239:240] offset0:8 offset1:9
	ds_store_2addr_b64 v138, v[80:81], v[82:83] offset0:10 offset1:11
	;; [unrolled: 1-line block ×6, first 2 shown]
	scratch_load_b128 v[0:3], off, off offset:16 ; 16-byte Folded Reload
	v_mov_b32_e32 v140, 3
	s_waitcnt vmcnt(0)
	ds_store_2addr_b64 v138, v[0:1], v[2:3] offset0:20 offset1:21
	scratch_load_b128 v[0:3], off, off      ; 16-byte Folded Reload
	s_waitcnt vmcnt(0)
	ds_store_2addr_b64 v138, v[0:1], v[2:3] offset0:22 offset1:23
	ds_store_2addr_b64 v138, v[64:65], v[66:67] offset0:24 offset1:25
	;; [unrolled: 1-line block ×17, first 2 shown]
.LBB54_81:
	s_or_b32 exec_lo, exec_lo, s2
	s_delay_alu instid0(SALU_CYCLE_1)
	s_mov_b32 s2, exec_lo
	s_waitcnt lgkmcnt(0)
	s_waitcnt_vscnt null, 0x0
	s_barrier
	buffer_gl0_inv
	v_cmpx_lt_i32_e32 3, v140
	s_cbranch_execz .LBB54_83
; %bb.82:
	v_mul_f64 v[30:31], v[112:113], v[235:236]
	v_mul_f64 v[28:29], v[114:115], v[235:236]
	s_delay_alu instid0(VALU_DEP_2) | instskip(NEXT) | instid1(VALU_DEP_2)
	v_fma_f64 v[235:236], v[114:115], v[233:234], v[30:31]
	v_fma_f64 v[28:29], v[112:113], v[233:234], -v[28:29]
	ds_load_2addr_b64 v[112:115], v138 offset0:8 offset1:9
	ds_load_2addr_b64 v[116:119], v138 offset0:10 offset1:11
	s_waitcnt lgkmcnt(1)
	v_mul_f64 v[30:31], v[114:115], v[235:236]
	v_mul_f64 v[44:45], v[112:113], v[235:236]
	s_waitcnt lgkmcnt(0)
	v_mul_f64 v[46:47], v[118:119], v[235:236]
	v_mul_f64 v[92:93], v[116:117], v[235:236]
	v_dual_mov_b32 v234, v29 :: v_dual_mov_b32 v233, v28
	v_fma_f64 v[30:31], v[112:113], v[28:29], -v[30:31]
	v_fma_f64 v[44:45], v[114:115], v[28:29], v[44:45]
	v_fma_f64 v[46:47], v[116:117], v[28:29], -v[46:47]
	v_fma_f64 v[92:93], v[118:119], v[28:29], v[92:93]
	ds_load_2addr_b64 v[112:115], v138 offset0:12 offset1:13
	ds_load_2addr_b64 v[116:119], v138 offset0:14 offset1:15
	s_waitcnt lgkmcnt(1)
	v_mul_f64 v[94:95], v[114:115], v[235:236]
	v_mul_f64 v[96:97], v[112:113], v[235:236]
	s_waitcnt lgkmcnt(0)
	v_mul_f64 v[98:99], v[118:119], v[235:236]
	v_mul_f64 v[100:101], v[116:117], v[235:236]
	v_add_f64 v[237:238], v[237:238], -v[30:31]
	v_add_f64 v[239:240], v[239:240], -v[44:45]
	;; [unrolled: 1-line block ×4, first 2 shown]
	v_fma_f64 v[94:95], v[112:113], v[28:29], -v[94:95]
	v_fma_f64 v[96:97], v[114:115], v[28:29], v[96:97]
	v_fma_f64 v[98:99], v[116:117], v[28:29], -v[98:99]
	v_fma_f64 v[100:101], v[118:119], v[28:29], v[100:101]
	ds_load_2addr_b64 v[112:115], v138 offset0:16 offset1:17
	ds_load_2addr_b64 v[116:119], v138 offset0:18 offset1:19
	s_waitcnt lgkmcnt(1)
	v_mul_f64 v[102:103], v[114:115], v[235:236]
	v_mul_f64 v[104:105], v[112:113], v[235:236]
	s_waitcnt lgkmcnt(0)
	v_mul_f64 v[106:107], v[118:119], v[235:236]
	v_mul_f64 v[108:109], v[116:117], v[235:236]
	v_add_f64 v[223:224], v[223:224], -v[94:95]
	v_add_f64 v[225:226], v[225:226], -v[96:97]
	;; [unrolled: 1-line block ×4, first 2 shown]
	v_fma_f64 v[102:103], v[112:113], v[28:29], -v[102:103]
	v_fma_f64 v[104:105], v[114:115], v[28:29], v[104:105]
	v_fma_f64 v[106:107], v[116:117], v[28:29], -v[106:107]
	v_fma_f64 v[108:109], v[118:119], v[28:29], v[108:109]
	ds_load_2addr_b64 v[112:115], v138 offset0:20 offset1:21
	ds_load_2addr_b64 v[116:119], v138 offset0:22 offset1:23
	s_waitcnt lgkmcnt(1)
	v_mul_f64 v[110:111], v[114:115], v[235:236]
	v_add_f64 v[249:250], v[249:250], -v[102:103]
	v_add_f64 v[251:252], v[251:252], -v[104:105]
	;; [unrolled: 1-line block ×4, first 2 shown]
	v_fma_f64 v[110:111], v[112:113], v[28:29], -v[110:111]
	v_mul_f64 v[112:113], v[112:113], v[235:236]
	s_delay_alu instid0(VALU_DEP_1) | instskip(SKIP_2) | instid1(VALU_DEP_1)
	v_fma_f64 v[120:121], v[114:115], v[28:29], v[112:113]
	s_waitcnt lgkmcnt(0)
	v_mul_f64 v[112:113], v[118:119], v[235:236]
	v_fma_f64 v[122:123], v[116:117], v[28:29], -v[112:113]
	v_mul_f64 v[112:113], v[116:117], v[235:236]
	s_delay_alu instid0(VALU_DEP_1) | instskip(SKIP_4) | instid1(VALU_DEP_1)
	v_fma_f64 v[124:125], v[118:119], v[28:29], v[112:113]
	ds_load_2addr_b64 v[112:115], v138 offset0:24 offset1:25
	ds_load_2addr_b64 v[116:119], v138 offset0:26 offset1:27
	s_waitcnt lgkmcnt(1)
	v_mul_f64 v[126:127], v[114:115], v[235:236]
	v_fma_f64 v[126:127], v[112:113], v[28:29], -v[126:127]
	v_mul_f64 v[112:113], v[112:113], v[235:236]
	s_delay_alu instid0(VALU_DEP_2) | instskip(NEXT) | instid1(VALU_DEP_2)
	v_add_f64 v[64:65], v[64:65], -v[126:127]
	v_fma_f64 v[128:129], v[114:115], v[28:29], v[112:113]
	s_waitcnt lgkmcnt(0)
	v_mul_f64 v[112:113], v[118:119], v[235:236]
	s_delay_alu instid0(VALU_DEP_2) | instskip(NEXT) | instid1(VALU_DEP_2)
	v_add_f64 v[66:67], v[66:67], -v[128:129]
	v_fma_f64 v[130:131], v[116:117], v[28:29], -v[112:113]
	v_mul_f64 v[112:113], v[116:117], v[235:236]
	s_delay_alu instid0(VALU_DEP_2) | instskip(NEXT) | instid1(VALU_DEP_2)
	v_add_f64 v[48:49], v[48:49], -v[130:131]
	v_fma_f64 v[132:133], v[118:119], v[28:29], v[112:113]
	ds_load_2addr_b64 v[112:115], v138 offset0:28 offset1:29
	ds_load_2addr_b64 v[116:119], v138 offset0:30 offset1:31
	s_waitcnt lgkmcnt(1)
	v_mul_f64 v[141:142], v[114:115], v[235:236]
	v_add_f64 v[50:51], v[50:51], -v[132:133]
	s_delay_alu instid0(VALU_DEP_2) | instskip(SKIP_1) | instid1(VALU_DEP_2)
	v_fma_f64 v[141:142], v[112:113], v[28:29], -v[141:142]
	v_mul_f64 v[112:113], v[112:113], v[235:236]
	v_add_f64 v[72:73], v[72:73], -v[141:142]
	s_delay_alu instid0(VALU_DEP_2) | instskip(SKIP_2) | instid1(VALU_DEP_2)
	v_fma_f64 v[143:144], v[114:115], v[28:29], v[112:113]
	s_waitcnt lgkmcnt(0)
	v_mul_f64 v[112:113], v[118:119], v[235:236]
	v_add_f64 v[74:75], v[74:75], -v[143:144]
	s_delay_alu instid0(VALU_DEP_2) | instskip(SKIP_1) | instid1(VALU_DEP_2)
	v_fma_f64 v[145:146], v[116:117], v[28:29], -v[112:113]
	v_mul_f64 v[112:113], v[116:117], v[235:236]
	v_add_f64 v[68:69], v[68:69], -v[145:146]
	s_delay_alu instid0(VALU_DEP_2)
	v_fma_f64 v[147:148], v[118:119], v[28:29], v[112:113]
	ds_load_2addr_b64 v[112:115], v138 offset0:32 offset1:33
	ds_load_2addr_b64 v[116:119], v138 offset0:34 offset1:35
	s_waitcnt lgkmcnt(1)
	v_mul_f64 v[149:150], v[114:115], v[235:236]
	v_add_f64 v[70:71], v[70:71], -v[147:148]
	s_delay_alu instid0(VALU_DEP_2) | instskip(SKIP_1) | instid1(VALU_DEP_2)
	v_fma_f64 v[149:150], v[112:113], v[28:29], -v[149:150]
	v_mul_f64 v[112:113], v[112:113], v[235:236]
	v_add_f64 v[56:57], v[56:57], -v[149:150]
	s_delay_alu instid0(VALU_DEP_2) | instskip(SKIP_2) | instid1(VALU_DEP_2)
	v_fma_f64 v[151:152], v[114:115], v[28:29], v[112:113]
	s_waitcnt lgkmcnt(0)
	v_mul_f64 v[112:113], v[118:119], v[235:236]
	v_add_f64 v[58:59], v[58:59], -v[151:152]
	s_delay_alu instid0(VALU_DEP_2) | instskip(SKIP_1) | instid1(VALU_DEP_2)
	v_fma_f64 v[153:154], v[116:117], v[28:29], -v[112:113]
	v_mul_f64 v[112:113], v[116:117], v[235:236]
	v_add_f64 v[52:53], v[52:53], -v[153:154]
	s_delay_alu instid0(VALU_DEP_2)
	;; [unrolled: 20-line block ×6, first 2 shown]
	v_fma_f64 v[187:188], v[118:119], v[28:29], v[112:113]
	ds_load_2addr_b64 v[112:115], v138 offset0:52 offset1:53
	ds_load_2addr_b64 v[116:119], v138 offset0:54 offset1:55
	scratch_load_b128 v[0:3], off, off offset:16 ; 16-byte Folded Reload
	s_waitcnt lgkmcnt(1)
	v_mul_f64 v[189:190], v[114:115], v[235:236]
	v_add_f64 v[10:11], v[10:11], -v[187:188]
	s_delay_alu instid0(VALU_DEP_2) | instskip(SKIP_1) | instid1(VALU_DEP_2)
	v_fma_f64 v[189:190], v[112:113], v[28:29], -v[189:190]
	v_mul_f64 v[112:113], v[112:113], v[235:236]
	v_add_f64 v[4:5], v[4:5], -v[189:190]
	s_delay_alu instid0(VALU_DEP_2) | instskip(SKIP_2) | instid1(VALU_DEP_2)
	v_fma_f64 v[112:113], v[114:115], v[28:29], v[112:113]
	s_waitcnt lgkmcnt(0)
	v_mul_f64 v[114:115], v[118:119], v[235:236]
	v_add_f64 v[6:7], v[6:7], -v[112:113]
	s_delay_alu instid0(VALU_DEP_2) | instskip(SKIP_1) | instid1(VALU_DEP_2)
	v_fma_f64 v[114:115], v[116:117], v[28:29], -v[114:115]
	v_mul_f64 v[116:117], v[116:117], v[235:236]
	v_add_f64 v[134:135], v[134:135], -v[114:115]
	s_delay_alu instid0(VALU_DEP_2) | instskip(NEXT) | instid1(VALU_DEP_1)
	v_fma_f64 v[116:117], v[118:119], v[28:29], v[116:117]
	v_add_f64 v[136:137], v[136:137], -v[116:117]
	s_waitcnt vmcnt(0)
	v_add_f64 v[0:1], v[0:1], -v[110:111]
	v_add_f64 v[2:3], v[2:3], -v[120:121]
	scratch_store_b128 off, v[0:3], off offset:16 ; 16-byte Folded Spill
	scratch_load_b128 v[0:3], off, off      ; 16-byte Folded Reload
	s_waitcnt vmcnt(0)
	v_add_f64 v[0:1], v[0:1], -v[122:123]
	v_add_f64 v[2:3], v[2:3], -v[124:125]
	scratch_store_b128 off, v[0:3], off     ; 16-byte Folded Spill
.LBB54_83:
	s_or_b32 exec_lo, exec_lo, s2
	v_lshl_add_u32 v28, v140, 4, v138
	s_waitcnt_vscnt null, 0x0
	s_barrier
	buffer_gl0_inv
	v_mov_b32_e32 v116, 4
	ds_store_2addr_b64 v28, v[237:238], v[239:240] offset1:1
	s_waitcnt lgkmcnt(0)
	s_barrier
	buffer_gl0_inv
	ds_load_2addr_b64 v[112:115], v138 offset0:8 offset1:9
	s_cmp_lt_i32 s5, 6
	s_cbranch_scc1 .LBB54_86
; %bb.84:
	v_add3_u32 v117, v62, 0, 0x50
	v_mov_b32_e32 v116, 4
	s_mov_b32 s6, 5
	s_set_inst_prefetch_distance 0x1
	.p2align	6
.LBB54_85:                              ; =>This Inner Loop Header: Depth=1
	ds_load_2addr_b64 v[118:121], v117 offset1:1
	s_waitcnt lgkmcnt(1)
	v_cmp_gt_f64_e32 vcc_lo, 0, v[112:113]
	v_xor_b32_e32 v28, 0x80000000, v113
	v_cmp_gt_f64_e64 s2, 0, v[114:115]
	v_xor_b32_e32 v30, 0x80000000, v115
	v_add_nc_u32_e32 v117, 16, v117
	s_waitcnt lgkmcnt(0)
	v_cmp_gt_f64_e64 s3, 0, v[118:119]
	v_mov_b32_e32 v44, v118
	v_dual_mov_b32 v46, v120 :: v_dual_cndmask_b32 v29, v113, v28
	v_xor_b32_e32 v28, 0x80000000, v119
	v_cndmask_b32_e64 v31, v115, v30, s2
	v_xor_b32_e32 v30, 0x80000000, v121
	s_delay_alu instid0(VALU_DEP_3) | instskip(SKIP_2) | instid1(VALU_DEP_2)
	v_cndmask_b32_e64 v45, v119, v28, s3
	v_cmp_gt_f64_e64 s3, 0, v[120:121]
	v_cndmask_b32_e32 v28, v112, v112, vcc_lo
	v_cndmask_b32_e64 v47, v121, v30, s3
	v_cndmask_b32_e64 v30, v114, v114, s2
	s_delay_alu instid0(VALU_DEP_2) | instskip(NEXT) | instid1(VALU_DEP_2)
	v_add_f64 v[44:45], v[44:45], v[46:47]
	v_add_f64 v[28:29], v[28:29], v[30:31]
	s_delay_alu instid0(VALU_DEP_1)
	v_cmp_lt_f64_e32 vcc_lo, v[28:29], v[44:45]
	v_cndmask_b32_e32 v115, v115, v121, vcc_lo
	v_dual_cndmask_b32 v113, v113, v119 :: v_dual_cndmask_b32 v112, v112, v118
	v_cndmask_b32_e32 v114, v114, v120, vcc_lo
	v_cndmask_b32_e64 v116, v116, s6, vcc_lo
	s_add_i32 s6, s6, 1
	s_delay_alu instid0(SALU_CYCLE_1)
	s_cmp_lg_u32 s5, s6
	s_cbranch_scc1 .LBB54_85
.LBB54_86:
	s_set_inst_prefetch_distance 0x2
	s_waitcnt lgkmcnt(0)
	v_cmp_eq_f64_e32 vcc_lo, 0, v[112:113]
	v_cmp_eq_f64_e64 s2, 0, v[114:115]
	s_delay_alu instid0(VALU_DEP_1) | instskip(NEXT) | instid1(SALU_CYCLE_1)
	s_and_b32 s2, vcc_lo, s2
	s_and_saveexec_b32 s3, s2
	s_delay_alu instid0(SALU_CYCLE_1)
	s_xor_b32 s2, exec_lo, s3
; %bb.87:
	v_cmp_ne_u32_e32 vcc_lo, 0, v232
	v_cndmask_b32_e32 v232, 5, v232, vcc_lo
; %bb.88:
	s_and_not1_saveexec_b32 s3, s2
	s_cbranch_execz .LBB54_94
; %bb.89:
	v_cmp_gt_f64_e32 vcc_lo, 0, v[112:113]
	v_cmp_gt_f64_e64 s2, 0, v[114:115]
	v_xor_b32_e32 v28, 0x80000000, v113
	v_xor_b32_e32 v30, 0x80000000, v115
	s_delay_alu instid0(VALU_DEP_2) | instskip(NEXT) | instid1(VALU_DEP_2)
	v_cndmask_b32_e32 v29, v113, v28, vcc_lo
	v_cndmask_b32_e64 v31, v115, v30, s2
	v_cndmask_b32_e32 v28, v112, v112, vcc_lo
	v_cndmask_b32_e64 v30, v114, v114, s2
	s_mov_b32 s2, exec_lo
	s_delay_alu instid0(VALU_DEP_1)
	v_cmpx_ngt_f64_e32 v[28:29], v[30:31]
	s_xor_b32 s2, exec_lo, s2
	s_cbranch_execz .LBB54_91
; %bb.90:
	v_div_scale_f64 v[28:29], null, v[114:115], v[114:115], v[112:113]
	v_div_scale_f64 v[46:47], vcc_lo, v[112:113], v[114:115], v[112:113]
	s_delay_alu instid0(VALU_DEP_2) | instskip(SKIP_2) | instid1(VALU_DEP_1)
	v_rcp_f64_e32 v[30:31], v[28:29]
	s_waitcnt_depctr 0xfff
	v_fma_f64 v[44:45], -v[28:29], v[30:31], 1.0
	v_fma_f64 v[30:31], v[30:31], v[44:45], v[30:31]
	s_delay_alu instid0(VALU_DEP_1) | instskip(NEXT) | instid1(VALU_DEP_1)
	v_fma_f64 v[44:45], -v[28:29], v[30:31], 1.0
	v_fma_f64 v[30:31], v[30:31], v[44:45], v[30:31]
	s_delay_alu instid0(VALU_DEP_1) | instskip(NEXT) | instid1(VALU_DEP_1)
	v_mul_f64 v[44:45], v[46:47], v[30:31]
	v_fma_f64 v[28:29], -v[28:29], v[44:45], v[46:47]
	s_delay_alu instid0(VALU_DEP_1) | instskip(NEXT) | instid1(VALU_DEP_1)
	v_div_fmas_f64 v[28:29], v[28:29], v[30:31], v[44:45]
	v_div_fixup_f64 v[28:29], v[28:29], v[114:115], v[112:113]
	s_delay_alu instid0(VALU_DEP_1) | instskip(NEXT) | instid1(VALU_DEP_1)
	v_fma_f64 v[30:31], v[112:113], v[28:29], v[114:115]
	v_div_scale_f64 v[44:45], null, v[30:31], v[30:31], 1.0
	s_delay_alu instid0(VALU_DEP_1) | instskip(SKIP_2) | instid1(VALU_DEP_1)
	v_rcp_f64_e32 v[46:47], v[44:45]
	s_waitcnt_depctr 0xfff
	v_fma_f64 v[92:93], -v[44:45], v[46:47], 1.0
	v_fma_f64 v[46:47], v[46:47], v[92:93], v[46:47]
	s_delay_alu instid0(VALU_DEP_1) | instskip(NEXT) | instid1(VALU_DEP_1)
	v_fma_f64 v[92:93], -v[44:45], v[46:47], 1.0
	v_fma_f64 v[46:47], v[46:47], v[92:93], v[46:47]
	v_div_scale_f64 v[92:93], vcc_lo, 1.0, v[30:31], 1.0
	s_delay_alu instid0(VALU_DEP_1) | instskip(NEXT) | instid1(VALU_DEP_1)
	v_mul_f64 v[94:95], v[92:93], v[46:47]
	v_fma_f64 v[44:45], -v[44:45], v[94:95], v[92:93]
	s_delay_alu instid0(VALU_DEP_1) | instskip(NEXT) | instid1(VALU_DEP_1)
	v_div_fmas_f64 v[44:45], v[44:45], v[46:47], v[94:95]
	v_div_fixup_f64 v[114:115], v[44:45], v[30:31], 1.0
	s_delay_alu instid0(VALU_DEP_1)
	v_mul_f64 v[112:113], v[28:29], v[114:115]
	v_xor_b32_e32 v115, 0x80000000, v115
.LBB54_91:
	s_and_not1_saveexec_b32 s2, s2
	s_cbranch_execz .LBB54_93
; %bb.92:
	s_delay_alu instid0(VALU_DEP_1) | instskip(SKIP_1) | instid1(VALU_DEP_2)
	v_div_scale_f64 v[28:29], null, v[112:113], v[112:113], v[114:115]
	v_div_scale_f64 v[46:47], vcc_lo, v[114:115], v[112:113], v[114:115]
	v_rcp_f64_e32 v[30:31], v[28:29]
	s_waitcnt_depctr 0xfff
	v_fma_f64 v[44:45], -v[28:29], v[30:31], 1.0
	s_delay_alu instid0(VALU_DEP_1) | instskip(NEXT) | instid1(VALU_DEP_1)
	v_fma_f64 v[30:31], v[30:31], v[44:45], v[30:31]
	v_fma_f64 v[44:45], -v[28:29], v[30:31], 1.0
	s_delay_alu instid0(VALU_DEP_1) | instskip(NEXT) | instid1(VALU_DEP_1)
	v_fma_f64 v[30:31], v[30:31], v[44:45], v[30:31]
	v_mul_f64 v[44:45], v[46:47], v[30:31]
	s_delay_alu instid0(VALU_DEP_1) | instskip(NEXT) | instid1(VALU_DEP_1)
	v_fma_f64 v[28:29], -v[28:29], v[44:45], v[46:47]
	v_div_fmas_f64 v[28:29], v[28:29], v[30:31], v[44:45]
	s_delay_alu instid0(VALU_DEP_1) | instskip(NEXT) | instid1(VALU_DEP_1)
	v_div_fixup_f64 v[28:29], v[28:29], v[112:113], v[114:115]
	v_fma_f64 v[30:31], v[114:115], v[28:29], v[112:113]
	s_delay_alu instid0(VALU_DEP_1) | instskip(NEXT) | instid1(VALU_DEP_1)
	v_div_scale_f64 v[44:45], null, v[30:31], v[30:31], 1.0
	v_rcp_f64_e32 v[46:47], v[44:45]
	s_waitcnt_depctr 0xfff
	v_fma_f64 v[92:93], -v[44:45], v[46:47], 1.0
	s_delay_alu instid0(VALU_DEP_1) | instskip(NEXT) | instid1(VALU_DEP_1)
	v_fma_f64 v[46:47], v[46:47], v[92:93], v[46:47]
	v_fma_f64 v[92:93], -v[44:45], v[46:47], 1.0
	s_delay_alu instid0(VALU_DEP_1) | instskip(SKIP_1) | instid1(VALU_DEP_1)
	v_fma_f64 v[46:47], v[46:47], v[92:93], v[46:47]
	v_div_scale_f64 v[92:93], vcc_lo, 1.0, v[30:31], 1.0
	v_mul_f64 v[94:95], v[92:93], v[46:47]
	s_delay_alu instid0(VALU_DEP_1) | instskip(NEXT) | instid1(VALU_DEP_1)
	v_fma_f64 v[44:45], -v[44:45], v[94:95], v[92:93]
	v_div_fmas_f64 v[44:45], v[44:45], v[46:47], v[94:95]
	s_delay_alu instid0(VALU_DEP_1) | instskip(NEXT) | instid1(VALU_DEP_1)
	v_div_fixup_f64 v[112:113], v[44:45], v[30:31], 1.0
	v_mul_f64 v[114:115], v[28:29], -v[112:113]
.LBB54_93:
	s_or_b32 exec_lo, exec_lo, s2
.LBB54_94:
	s_delay_alu instid0(SALU_CYCLE_1) | instskip(NEXT) | instid1(SALU_CYCLE_1)
	s_or_b32 exec_lo, exec_lo, s3
	s_mov_b32 s2, exec_lo
	v_cmpx_ne_u32_e64 v140, v116
	s_xor_b32 s2, exec_lo, s2
	s_cbranch_execz .LBB54_100
; %bb.95:
	s_mov_b32 s3, exec_lo
	v_cmpx_eq_u32_e32 4, v140
	s_cbranch_execz .LBB54_99
; %bb.96:
	v_cmp_ne_u32_e32 vcc_lo, 4, v116
	s_xor_b32 s6, s4, -1
	s_delay_alu instid0(SALU_CYCLE_1) | instskip(NEXT) | instid1(SALU_CYCLE_1)
	s_and_b32 s7, s6, vcc_lo
	s_and_saveexec_b32 s6, s7
	s_cbranch_execz .LBB54_98
; %bb.97:
	v_ashrrev_i32_e32 v117, 31, v116
	s_delay_alu instid0(VALU_DEP_1) | instskip(NEXT) | instid1(VALU_DEP_1)
	v_lshlrev_b64 v[28:29], 2, v[116:117]
	v_add_co_u32 v28, vcc_lo, v78, v28
	s_delay_alu instid0(VALU_DEP_2)
	v_add_co_ci_u32_e32 v29, vcc_lo, v79, v29, vcc_lo
	s_clause 0x1
	flat_load_b32 v30, v[28:29]
	flat_load_b32 v31, v[78:79] offset:16
	s_waitcnt vmcnt(1) lgkmcnt(1)
	flat_store_b32 v[78:79], v30 offset:16
	s_waitcnt vmcnt(0) lgkmcnt(1)
	flat_store_b32 v[28:29], v31
.LBB54_98:
	s_or_b32 exec_lo, exec_lo, s6
	v_mov_b32_e32 v140, v116
	v_mov_b32_e32 v231, v116
.LBB54_99:
	s_or_b32 exec_lo, exec_lo, s3
.LBB54_100:
	s_and_not1_saveexec_b32 s2, s2
	s_cbranch_execz .LBB54_102
; %bb.101:
	ds_store_2addr_b64 v138, v[80:81], v[82:83] offset0:10 offset1:11
	ds_store_2addr_b64 v138, v[223:224], v[225:226] offset0:12 offset1:13
	;; [unrolled: 1-line block ×5, first 2 shown]
	scratch_load_b128 v[0:3], off, off offset:16 ; 16-byte Folded Reload
	v_mov_b32_e32 v140, 4
	s_waitcnt vmcnt(0)
	ds_store_2addr_b64 v138, v[0:1], v[2:3] offset0:20 offset1:21
	scratch_load_b128 v[0:3], off, off      ; 16-byte Folded Reload
	s_waitcnt vmcnt(0)
	ds_store_2addr_b64 v138, v[0:1], v[2:3] offset0:22 offset1:23
	ds_store_2addr_b64 v138, v[64:65], v[66:67] offset0:24 offset1:25
	;; [unrolled: 1-line block ×17, first 2 shown]
.LBB54_102:
	s_or_b32 exec_lo, exec_lo, s2
	s_delay_alu instid0(SALU_CYCLE_1)
	s_mov_b32 s2, exec_lo
	s_waitcnt lgkmcnt(0)
	s_waitcnt_vscnt null, 0x0
	s_barrier
	buffer_gl0_inv
	v_cmpx_lt_i32_e32 4, v140
	s_cbranch_execz .LBB54_104
; %bb.103:
	v_mul_f64 v[30:31], v[112:113], v[239:240]
	v_mul_f64 v[28:29], v[114:115], v[239:240]
	s_delay_alu instid0(VALU_DEP_2) | instskip(NEXT) | instid1(VALU_DEP_2)
	v_fma_f64 v[239:240], v[114:115], v[237:238], v[30:31]
	v_fma_f64 v[28:29], v[112:113], v[237:238], -v[28:29]
	ds_load_2addr_b64 v[112:115], v138 offset0:10 offset1:11
	ds_load_2addr_b64 v[116:119], v138 offset0:12 offset1:13
	s_waitcnt lgkmcnt(1)
	v_mul_f64 v[30:31], v[114:115], v[239:240]
	v_mul_f64 v[44:45], v[112:113], v[239:240]
	s_waitcnt lgkmcnt(0)
	v_mul_f64 v[46:47], v[118:119], v[239:240]
	v_mul_f64 v[92:93], v[116:117], v[239:240]
	v_dual_mov_b32 v238, v29 :: v_dual_mov_b32 v237, v28
	v_fma_f64 v[30:31], v[112:113], v[28:29], -v[30:31]
	v_fma_f64 v[44:45], v[114:115], v[28:29], v[44:45]
	v_fma_f64 v[46:47], v[116:117], v[28:29], -v[46:47]
	v_fma_f64 v[92:93], v[118:119], v[28:29], v[92:93]
	ds_load_2addr_b64 v[112:115], v138 offset0:14 offset1:15
	ds_load_2addr_b64 v[116:119], v138 offset0:16 offset1:17
	s_waitcnt lgkmcnt(1)
	v_mul_f64 v[94:95], v[114:115], v[239:240]
	v_mul_f64 v[96:97], v[112:113], v[239:240]
	s_waitcnt lgkmcnt(0)
	v_mul_f64 v[98:99], v[118:119], v[239:240]
	v_mul_f64 v[100:101], v[116:117], v[239:240]
	v_add_f64 v[80:81], v[80:81], -v[30:31]
	v_add_f64 v[82:83], v[82:83], -v[44:45]
	;; [unrolled: 1-line block ×4, first 2 shown]
	v_fma_f64 v[94:95], v[112:113], v[28:29], -v[94:95]
	v_fma_f64 v[96:97], v[114:115], v[28:29], v[96:97]
	v_fma_f64 v[98:99], v[116:117], v[28:29], -v[98:99]
	v_fma_f64 v[100:101], v[118:119], v[28:29], v[100:101]
	ds_load_2addr_b64 v[112:115], v138 offset0:18 offset1:19
	ds_load_2addr_b64 v[116:119], v138 offset0:20 offset1:21
	s_waitcnt lgkmcnt(1)
	v_mul_f64 v[102:103], v[114:115], v[239:240]
	v_mul_f64 v[104:105], v[112:113], v[239:240]
	s_waitcnt lgkmcnt(0)
	v_mul_f64 v[106:107], v[118:119], v[239:240]
	v_mul_f64 v[108:109], v[116:117], v[239:240]
	v_add_f64 v[88:89], v[88:89], -v[94:95]
	v_add_f64 v[90:91], v[90:91], -v[96:97]
	;; [unrolled: 1-line block ×4, first 2 shown]
	v_fma_f64 v[102:103], v[112:113], v[28:29], -v[102:103]
	v_fma_f64 v[104:105], v[114:115], v[28:29], v[104:105]
	v_fma_f64 v[106:107], v[116:117], v[28:29], -v[106:107]
	v_fma_f64 v[108:109], v[118:119], v[28:29], v[108:109]
	ds_load_2addr_b64 v[112:115], v138 offset0:22 offset1:23
	ds_load_2addr_b64 v[116:119], v138 offset0:24 offset1:25
	s_waitcnt lgkmcnt(1)
	v_mul_f64 v[110:111], v[114:115], v[239:240]
	v_add_f64 v[219:220], v[219:220], -v[102:103]
	v_add_f64 v[221:222], v[221:222], -v[104:105]
	s_delay_alu instid0(VALU_DEP_3) | instskip(SKIP_1) | instid1(VALU_DEP_1)
	v_fma_f64 v[110:111], v[112:113], v[28:29], -v[110:111]
	v_mul_f64 v[112:113], v[112:113], v[239:240]
	v_fma_f64 v[120:121], v[114:115], v[28:29], v[112:113]
	s_waitcnt lgkmcnt(0)
	v_mul_f64 v[112:113], v[118:119], v[239:240]
	s_delay_alu instid0(VALU_DEP_1) | instskip(SKIP_1) | instid1(VALU_DEP_2)
	v_fma_f64 v[122:123], v[116:117], v[28:29], -v[112:113]
	v_mul_f64 v[112:113], v[116:117], v[239:240]
	v_add_f64 v[64:65], v[64:65], -v[122:123]
	s_delay_alu instid0(VALU_DEP_2)
	v_fma_f64 v[124:125], v[118:119], v[28:29], v[112:113]
	ds_load_2addr_b64 v[112:115], v138 offset0:26 offset1:27
	ds_load_2addr_b64 v[116:119], v138 offset0:28 offset1:29
	s_waitcnt lgkmcnt(1)
	v_mul_f64 v[126:127], v[114:115], v[239:240]
	v_add_f64 v[66:67], v[66:67], -v[124:125]
	s_delay_alu instid0(VALU_DEP_2) | instskip(SKIP_1) | instid1(VALU_DEP_2)
	v_fma_f64 v[126:127], v[112:113], v[28:29], -v[126:127]
	v_mul_f64 v[112:113], v[112:113], v[239:240]
	v_add_f64 v[48:49], v[48:49], -v[126:127]
	s_delay_alu instid0(VALU_DEP_2) | instskip(SKIP_2) | instid1(VALU_DEP_2)
	v_fma_f64 v[128:129], v[114:115], v[28:29], v[112:113]
	s_waitcnt lgkmcnt(0)
	v_mul_f64 v[112:113], v[118:119], v[239:240]
	v_add_f64 v[50:51], v[50:51], -v[128:129]
	s_delay_alu instid0(VALU_DEP_2) | instskip(SKIP_1) | instid1(VALU_DEP_2)
	v_fma_f64 v[130:131], v[116:117], v[28:29], -v[112:113]
	v_mul_f64 v[112:113], v[116:117], v[239:240]
	v_add_f64 v[72:73], v[72:73], -v[130:131]
	s_delay_alu instid0(VALU_DEP_2)
	v_fma_f64 v[132:133], v[118:119], v[28:29], v[112:113]
	ds_load_2addr_b64 v[112:115], v138 offset0:30 offset1:31
	ds_load_2addr_b64 v[116:119], v138 offset0:32 offset1:33
	s_waitcnt lgkmcnt(1)
	v_mul_f64 v[141:142], v[114:115], v[239:240]
	v_add_f64 v[74:75], v[74:75], -v[132:133]
	s_delay_alu instid0(VALU_DEP_2) | instskip(SKIP_1) | instid1(VALU_DEP_2)
	v_fma_f64 v[141:142], v[112:113], v[28:29], -v[141:142]
	v_mul_f64 v[112:113], v[112:113], v[239:240]
	v_add_f64 v[68:69], v[68:69], -v[141:142]
	s_delay_alu instid0(VALU_DEP_2) | instskip(SKIP_2) | instid1(VALU_DEP_2)
	v_fma_f64 v[143:144], v[114:115], v[28:29], v[112:113]
	s_waitcnt lgkmcnt(0)
	v_mul_f64 v[112:113], v[118:119], v[239:240]
	v_add_f64 v[70:71], v[70:71], -v[143:144]
	s_delay_alu instid0(VALU_DEP_2) | instskip(SKIP_1) | instid1(VALU_DEP_2)
	v_fma_f64 v[145:146], v[116:117], v[28:29], -v[112:113]
	v_mul_f64 v[112:113], v[116:117], v[239:240]
	v_add_f64 v[56:57], v[56:57], -v[145:146]
	s_delay_alu instid0(VALU_DEP_2)
	v_fma_f64 v[147:148], v[118:119], v[28:29], v[112:113]
	ds_load_2addr_b64 v[112:115], v138 offset0:34 offset1:35
	ds_load_2addr_b64 v[116:119], v138 offset0:36 offset1:37
	s_waitcnt lgkmcnt(1)
	v_mul_f64 v[149:150], v[114:115], v[239:240]
	v_add_f64 v[58:59], v[58:59], -v[147:148]
	s_delay_alu instid0(VALU_DEP_2) | instskip(SKIP_1) | instid1(VALU_DEP_2)
	v_fma_f64 v[149:150], v[112:113], v[28:29], -v[149:150]
	v_mul_f64 v[112:113], v[112:113], v[239:240]
	v_add_f64 v[52:53], v[52:53], -v[149:150]
	s_delay_alu instid0(VALU_DEP_2) | instskip(SKIP_2) | instid1(VALU_DEP_2)
	v_fma_f64 v[151:152], v[114:115], v[28:29], v[112:113]
	s_waitcnt lgkmcnt(0)
	v_mul_f64 v[112:113], v[118:119], v[239:240]
	v_add_f64 v[54:55], v[54:55], -v[151:152]
	s_delay_alu instid0(VALU_DEP_2) | instskip(SKIP_1) | instid1(VALU_DEP_2)
	v_fma_f64 v[153:154], v[116:117], v[28:29], -v[112:113]
	v_mul_f64 v[112:113], v[116:117], v[239:240]
	v_add_f64 v[40:41], v[40:41], -v[153:154]
	s_delay_alu instid0(VALU_DEP_2)
	v_fma_f64 v[155:156], v[118:119], v[28:29], v[112:113]
	ds_load_2addr_b64 v[112:115], v138 offset0:38 offset1:39
	ds_load_2addr_b64 v[116:119], v138 offset0:40 offset1:41
	s_waitcnt lgkmcnt(1)
	v_mul_f64 v[157:158], v[114:115], v[239:240]
	v_add_f64 v[42:43], v[42:43], -v[155:156]
	s_delay_alu instid0(VALU_DEP_2) | instskip(SKIP_1) | instid1(VALU_DEP_2)
	v_fma_f64 v[157:158], v[112:113], v[28:29], -v[157:158]
	v_mul_f64 v[112:113], v[112:113], v[239:240]
	v_add_f64 v[36:37], v[36:37], -v[157:158]
	s_delay_alu instid0(VALU_DEP_2) | instskip(SKIP_2) | instid1(VALU_DEP_2)
	v_fma_f64 v[159:160], v[114:115], v[28:29], v[112:113]
	s_waitcnt lgkmcnt(0)
	v_mul_f64 v[112:113], v[118:119], v[239:240]
	v_add_f64 v[38:39], v[38:39], -v[159:160]
	s_delay_alu instid0(VALU_DEP_2) | instskip(SKIP_1) | instid1(VALU_DEP_2)
	v_fma_f64 v[161:162], v[116:117], v[28:29], -v[112:113]
	v_mul_f64 v[112:113], v[116:117], v[239:240]
	v_add_f64 v[32:33], v[32:33], -v[161:162]
	s_delay_alu instid0(VALU_DEP_2)
	v_fma_f64 v[163:164], v[118:119], v[28:29], v[112:113]
	ds_load_2addr_b64 v[112:115], v138 offset0:42 offset1:43
	ds_load_2addr_b64 v[116:119], v138 offset0:44 offset1:45
	s_waitcnt lgkmcnt(1)
	v_mul_f64 v[165:166], v[114:115], v[239:240]
	v_add_f64 v[34:35], v[34:35], -v[163:164]
	s_delay_alu instid0(VALU_DEP_2) | instskip(SKIP_1) | instid1(VALU_DEP_2)
	v_fma_f64 v[165:166], v[112:113], v[28:29], -v[165:166]
	v_mul_f64 v[112:113], v[112:113], v[239:240]
	v_add_f64 v[24:25], v[24:25], -v[165:166]
	s_delay_alu instid0(VALU_DEP_2) | instskip(SKIP_2) | instid1(VALU_DEP_2)
	v_fma_f64 v[167:168], v[114:115], v[28:29], v[112:113]
	s_waitcnt lgkmcnt(0)
	v_mul_f64 v[112:113], v[118:119], v[239:240]
	v_add_f64 v[26:27], v[26:27], -v[167:168]
	s_delay_alu instid0(VALU_DEP_2) | instskip(SKIP_1) | instid1(VALU_DEP_2)
	v_fma_f64 v[169:170], v[116:117], v[28:29], -v[112:113]
	v_mul_f64 v[112:113], v[116:117], v[239:240]
	v_add_f64 v[20:21], v[20:21], -v[169:170]
	s_delay_alu instid0(VALU_DEP_2)
	v_fma_f64 v[171:172], v[118:119], v[28:29], v[112:113]
	ds_load_2addr_b64 v[112:115], v138 offset0:46 offset1:47
	ds_load_2addr_b64 v[116:119], v138 offset0:48 offset1:49
	s_waitcnt lgkmcnt(1)
	v_mul_f64 v[173:174], v[114:115], v[239:240]
	v_add_f64 v[22:23], v[22:23], -v[171:172]
	s_delay_alu instid0(VALU_DEP_2) | instskip(SKIP_1) | instid1(VALU_DEP_2)
	v_fma_f64 v[173:174], v[112:113], v[28:29], -v[173:174]
	v_mul_f64 v[112:113], v[112:113], v[239:240]
	v_add_f64 v[16:17], v[16:17], -v[173:174]
	s_delay_alu instid0(VALU_DEP_2) | instskip(SKIP_2) | instid1(VALU_DEP_2)
	v_fma_f64 v[175:176], v[114:115], v[28:29], v[112:113]
	s_waitcnt lgkmcnt(0)
	v_mul_f64 v[112:113], v[118:119], v[239:240]
	v_add_f64 v[18:19], v[18:19], -v[175:176]
	s_delay_alu instid0(VALU_DEP_2) | instskip(SKIP_1) | instid1(VALU_DEP_2)
	v_fma_f64 v[177:178], v[116:117], v[28:29], -v[112:113]
	v_mul_f64 v[112:113], v[116:117], v[239:240]
	v_add_f64 v[12:13], v[12:13], -v[177:178]
	s_delay_alu instid0(VALU_DEP_2)
	v_fma_f64 v[179:180], v[118:119], v[28:29], v[112:113]
	ds_load_2addr_b64 v[112:115], v138 offset0:50 offset1:51
	ds_load_2addr_b64 v[116:119], v138 offset0:52 offset1:53
	scratch_load_b128 v[0:3], off, off offset:16 ; 16-byte Folded Reload
	s_waitcnt lgkmcnt(1)
	v_mul_f64 v[181:182], v[114:115], v[239:240]
	v_add_f64 v[14:15], v[14:15], -v[179:180]
	s_delay_alu instid0(VALU_DEP_2) | instskip(SKIP_1) | instid1(VALU_DEP_2)
	v_fma_f64 v[181:182], v[112:113], v[28:29], -v[181:182]
	v_mul_f64 v[112:113], v[112:113], v[239:240]
	v_add_f64 v[8:9], v[8:9], -v[181:182]
	s_delay_alu instid0(VALU_DEP_2) | instskip(SKIP_2) | instid1(VALU_DEP_2)
	v_fma_f64 v[183:184], v[114:115], v[28:29], v[112:113]
	s_waitcnt lgkmcnt(0)
	v_mul_f64 v[112:113], v[118:119], v[239:240]
	v_add_f64 v[10:11], v[10:11], -v[183:184]
	s_delay_alu instid0(VALU_DEP_2) | instskip(SKIP_1) | instid1(VALU_DEP_2)
	v_fma_f64 v[185:186], v[116:117], v[28:29], -v[112:113]
	v_mul_f64 v[112:113], v[116:117], v[239:240]
	v_add_f64 v[4:5], v[4:5], -v[185:186]
	s_delay_alu instid0(VALU_DEP_2) | instskip(SKIP_4) | instid1(VALU_DEP_2)
	v_fma_f64 v[116:117], v[118:119], v[28:29], v[112:113]
	ds_load_2addr_b64 v[112:115], v138 offset0:54 offset1:55
	s_waitcnt lgkmcnt(0)
	v_mul_f64 v[118:119], v[114:115], v[239:240]
	v_add_f64 v[6:7], v[6:7], -v[116:117]
	v_fma_f64 v[118:119], v[112:113], v[28:29], -v[118:119]
	v_mul_f64 v[112:113], v[112:113], v[239:240]
	s_delay_alu instid0(VALU_DEP_2) | instskip(NEXT) | instid1(VALU_DEP_2)
	v_add_f64 v[134:135], v[134:135], -v[118:119]
	v_fma_f64 v[112:113], v[114:115], v[28:29], v[112:113]
	s_delay_alu instid0(VALU_DEP_1)
	v_add_f64 v[136:137], v[136:137], -v[112:113]
	s_waitcnt vmcnt(0)
	v_add_f64 v[0:1], v[0:1], -v[106:107]
	v_add_f64 v[2:3], v[2:3], -v[108:109]
	scratch_store_b128 off, v[0:3], off offset:16 ; 16-byte Folded Spill
	scratch_load_b128 v[0:3], off, off      ; 16-byte Folded Reload
	s_waitcnt vmcnt(0)
	v_add_f64 v[0:1], v[0:1], -v[110:111]
	v_add_f64 v[2:3], v[2:3], -v[120:121]
	scratch_store_b128 off, v[0:3], off     ; 16-byte Folded Spill
.LBB54_104:
	s_or_b32 exec_lo, exec_lo, s2
	v_lshl_add_u32 v28, v140, 4, v138
	s_waitcnt_vscnt null, 0x0
	s_barrier
	buffer_gl0_inv
	v_mov_b32_e32 v116, 5
	ds_store_2addr_b64 v28, v[80:81], v[82:83] offset1:1
	s_waitcnt lgkmcnt(0)
	s_barrier
	buffer_gl0_inv
	ds_load_2addr_b64 v[112:115], v138 offset0:10 offset1:11
	s_cmp_lt_i32 s5, 7
	s_cbranch_scc1 .LBB54_107
; %bb.105:
	v_add3_u32 v117, v62, 0, 0x60
	v_mov_b32_e32 v116, 5
	s_mov_b32 s6, 6
	s_set_inst_prefetch_distance 0x1
	.p2align	6
.LBB54_106:                             ; =>This Inner Loop Header: Depth=1
	ds_load_2addr_b64 v[118:121], v117 offset1:1
	s_waitcnt lgkmcnt(1)
	v_cmp_gt_f64_e32 vcc_lo, 0, v[112:113]
	v_xor_b32_e32 v28, 0x80000000, v113
	v_cmp_gt_f64_e64 s2, 0, v[114:115]
	v_xor_b32_e32 v30, 0x80000000, v115
	v_add_nc_u32_e32 v117, 16, v117
	s_waitcnt lgkmcnt(0)
	v_cmp_gt_f64_e64 s3, 0, v[118:119]
	v_mov_b32_e32 v44, v118
	v_dual_mov_b32 v46, v120 :: v_dual_cndmask_b32 v29, v113, v28
	v_xor_b32_e32 v28, 0x80000000, v119
	v_cndmask_b32_e64 v31, v115, v30, s2
	v_xor_b32_e32 v30, 0x80000000, v121
	s_delay_alu instid0(VALU_DEP_3) | instskip(SKIP_2) | instid1(VALU_DEP_2)
	v_cndmask_b32_e64 v45, v119, v28, s3
	v_cmp_gt_f64_e64 s3, 0, v[120:121]
	v_cndmask_b32_e32 v28, v112, v112, vcc_lo
	v_cndmask_b32_e64 v47, v121, v30, s3
	v_cndmask_b32_e64 v30, v114, v114, s2
	s_delay_alu instid0(VALU_DEP_2) | instskip(NEXT) | instid1(VALU_DEP_2)
	v_add_f64 v[44:45], v[44:45], v[46:47]
	v_add_f64 v[28:29], v[28:29], v[30:31]
	s_delay_alu instid0(VALU_DEP_1)
	v_cmp_lt_f64_e32 vcc_lo, v[28:29], v[44:45]
	v_cndmask_b32_e32 v115, v115, v121, vcc_lo
	v_dual_cndmask_b32 v113, v113, v119 :: v_dual_cndmask_b32 v112, v112, v118
	v_cndmask_b32_e32 v114, v114, v120, vcc_lo
	v_cndmask_b32_e64 v116, v116, s6, vcc_lo
	s_add_i32 s6, s6, 1
	s_delay_alu instid0(SALU_CYCLE_1)
	s_cmp_lg_u32 s5, s6
	s_cbranch_scc1 .LBB54_106
.LBB54_107:
	s_set_inst_prefetch_distance 0x2
	s_waitcnt lgkmcnt(0)
	v_cmp_eq_f64_e32 vcc_lo, 0, v[112:113]
	v_cmp_eq_f64_e64 s2, 0, v[114:115]
	s_delay_alu instid0(VALU_DEP_1) | instskip(NEXT) | instid1(SALU_CYCLE_1)
	s_and_b32 s2, vcc_lo, s2
	s_and_saveexec_b32 s3, s2
	s_delay_alu instid0(SALU_CYCLE_1)
	s_xor_b32 s2, exec_lo, s3
; %bb.108:
	v_cmp_ne_u32_e32 vcc_lo, 0, v232
	v_cndmask_b32_e32 v232, 6, v232, vcc_lo
; %bb.109:
	s_and_not1_saveexec_b32 s3, s2
	s_cbranch_execz .LBB54_115
; %bb.110:
	v_cmp_gt_f64_e32 vcc_lo, 0, v[112:113]
	v_cmp_gt_f64_e64 s2, 0, v[114:115]
	v_xor_b32_e32 v28, 0x80000000, v113
	v_xor_b32_e32 v30, 0x80000000, v115
	s_delay_alu instid0(VALU_DEP_2) | instskip(NEXT) | instid1(VALU_DEP_2)
	v_cndmask_b32_e32 v29, v113, v28, vcc_lo
	v_cndmask_b32_e64 v31, v115, v30, s2
	v_cndmask_b32_e32 v28, v112, v112, vcc_lo
	v_cndmask_b32_e64 v30, v114, v114, s2
	s_mov_b32 s2, exec_lo
	s_delay_alu instid0(VALU_DEP_1)
	v_cmpx_ngt_f64_e32 v[28:29], v[30:31]
	s_xor_b32 s2, exec_lo, s2
	s_cbranch_execz .LBB54_112
; %bb.111:
	v_div_scale_f64 v[28:29], null, v[114:115], v[114:115], v[112:113]
	v_div_scale_f64 v[46:47], vcc_lo, v[112:113], v[114:115], v[112:113]
	s_delay_alu instid0(VALU_DEP_2) | instskip(SKIP_2) | instid1(VALU_DEP_1)
	v_rcp_f64_e32 v[30:31], v[28:29]
	s_waitcnt_depctr 0xfff
	v_fma_f64 v[44:45], -v[28:29], v[30:31], 1.0
	v_fma_f64 v[30:31], v[30:31], v[44:45], v[30:31]
	s_delay_alu instid0(VALU_DEP_1) | instskip(NEXT) | instid1(VALU_DEP_1)
	v_fma_f64 v[44:45], -v[28:29], v[30:31], 1.0
	v_fma_f64 v[30:31], v[30:31], v[44:45], v[30:31]
	s_delay_alu instid0(VALU_DEP_1) | instskip(NEXT) | instid1(VALU_DEP_1)
	v_mul_f64 v[44:45], v[46:47], v[30:31]
	v_fma_f64 v[28:29], -v[28:29], v[44:45], v[46:47]
	s_delay_alu instid0(VALU_DEP_1) | instskip(NEXT) | instid1(VALU_DEP_1)
	v_div_fmas_f64 v[28:29], v[28:29], v[30:31], v[44:45]
	v_div_fixup_f64 v[28:29], v[28:29], v[114:115], v[112:113]
	s_delay_alu instid0(VALU_DEP_1) | instskip(NEXT) | instid1(VALU_DEP_1)
	v_fma_f64 v[30:31], v[112:113], v[28:29], v[114:115]
	v_div_scale_f64 v[44:45], null, v[30:31], v[30:31], 1.0
	s_delay_alu instid0(VALU_DEP_1) | instskip(SKIP_2) | instid1(VALU_DEP_1)
	v_rcp_f64_e32 v[46:47], v[44:45]
	s_waitcnt_depctr 0xfff
	v_fma_f64 v[92:93], -v[44:45], v[46:47], 1.0
	v_fma_f64 v[46:47], v[46:47], v[92:93], v[46:47]
	s_delay_alu instid0(VALU_DEP_1) | instskip(NEXT) | instid1(VALU_DEP_1)
	v_fma_f64 v[92:93], -v[44:45], v[46:47], 1.0
	v_fma_f64 v[46:47], v[46:47], v[92:93], v[46:47]
	v_div_scale_f64 v[92:93], vcc_lo, 1.0, v[30:31], 1.0
	s_delay_alu instid0(VALU_DEP_1) | instskip(NEXT) | instid1(VALU_DEP_1)
	v_mul_f64 v[94:95], v[92:93], v[46:47]
	v_fma_f64 v[44:45], -v[44:45], v[94:95], v[92:93]
	s_delay_alu instid0(VALU_DEP_1) | instskip(NEXT) | instid1(VALU_DEP_1)
	v_div_fmas_f64 v[44:45], v[44:45], v[46:47], v[94:95]
	v_div_fixup_f64 v[114:115], v[44:45], v[30:31], 1.0
	s_delay_alu instid0(VALU_DEP_1)
	v_mul_f64 v[112:113], v[28:29], v[114:115]
	v_xor_b32_e32 v115, 0x80000000, v115
.LBB54_112:
	s_and_not1_saveexec_b32 s2, s2
	s_cbranch_execz .LBB54_114
; %bb.113:
	s_delay_alu instid0(VALU_DEP_1) | instskip(SKIP_1) | instid1(VALU_DEP_2)
	v_div_scale_f64 v[28:29], null, v[112:113], v[112:113], v[114:115]
	v_div_scale_f64 v[46:47], vcc_lo, v[114:115], v[112:113], v[114:115]
	v_rcp_f64_e32 v[30:31], v[28:29]
	s_waitcnt_depctr 0xfff
	v_fma_f64 v[44:45], -v[28:29], v[30:31], 1.0
	s_delay_alu instid0(VALU_DEP_1) | instskip(NEXT) | instid1(VALU_DEP_1)
	v_fma_f64 v[30:31], v[30:31], v[44:45], v[30:31]
	v_fma_f64 v[44:45], -v[28:29], v[30:31], 1.0
	s_delay_alu instid0(VALU_DEP_1) | instskip(NEXT) | instid1(VALU_DEP_1)
	v_fma_f64 v[30:31], v[30:31], v[44:45], v[30:31]
	v_mul_f64 v[44:45], v[46:47], v[30:31]
	s_delay_alu instid0(VALU_DEP_1) | instskip(NEXT) | instid1(VALU_DEP_1)
	v_fma_f64 v[28:29], -v[28:29], v[44:45], v[46:47]
	v_div_fmas_f64 v[28:29], v[28:29], v[30:31], v[44:45]
	s_delay_alu instid0(VALU_DEP_1) | instskip(NEXT) | instid1(VALU_DEP_1)
	v_div_fixup_f64 v[28:29], v[28:29], v[112:113], v[114:115]
	v_fma_f64 v[30:31], v[114:115], v[28:29], v[112:113]
	s_delay_alu instid0(VALU_DEP_1) | instskip(NEXT) | instid1(VALU_DEP_1)
	v_div_scale_f64 v[44:45], null, v[30:31], v[30:31], 1.0
	v_rcp_f64_e32 v[46:47], v[44:45]
	s_waitcnt_depctr 0xfff
	v_fma_f64 v[92:93], -v[44:45], v[46:47], 1.0
	s_delay_alu instid0(VALU_DEP_1) | instskip(NEXT) | instid1(VALU_DEP_1)
	v_fma_f64 v[46:47], v[46:47], v[92:93], v[46:47]
	v_fma_f64 v[92:93], -v[44:45], v[46:47], 1.0
	s_delay_alu instid0(VALU_DEP_1) | instskip(SKIP_1) | instid1(VALU_DEP_1)
	v_fma_f64 v[46:47], v[46:47], v[92:93], v[46:47]
	v_div_scale_f64 v[92:93], vcc_lo, 1.0, v[30:31], 1.0
	v_mul_f64 v[94:95], v[92:93], v[46:47]
	s_delay_alu instid0(VALU_DEP_1) | instskip(NEXT) | instid1(VALU_DEP_1)
	v_fma_f64 v[44:45], -v[44:45], v[94:95], v[92:93]
	v_div_fmas_f64 v[44:45], v[44:45], v[46:47], v[94:95]
	s_delay_alu instid0(VALU_DEP_1) | instskip(NEXT) | instid1(VALU_DEP_1)
	v_div_fixup_f64 v[112:113], v[44:45], v[30:31], 1.0
	v_mul_f64 v[114:115], v[28:29], -v[112:113]
.LBB54_114:
	s_or_b32 exec_lo, exec_lo, s2
.LBB54_115:
	s_delay_alu instid0(SALU_CYCLE_1) | instskip(NEXT) | instid1(SALU_CYCLE_1)
	s_or_b32 exec_lo, exec_lo, s3
	s_mov_b32 s2, exec_lo
	v_cmpx_ne_u32_e64 v140, v116
	s_xor_b32 s2, exec_lo, s2
	s_cbranch_execz .LBB54_121
; %bb.116:
	s_mov_b32 s3, exec_lo
	v_cmpx_eq_u32_e32 5, v140
	s_cbranch_execz .LBB54_120
; %bb.117:
	v_cmp_ne_u32_e32 vcc_lo, 5, v116
	s_xor_b32 s6, s4, -1
	s_delay_alu instid0(SALU_CYCLE_1) | instskip(NEXT) | instid1(SALU_CYCLE_1)
	s_and_b32 s7, s6, vcc_lo
	s_and_saveexec_b32 s6, s7
	s_cbranch_execz .LBB54_119
; %bb.118:
	v_ashrrev_i32_e32 v117, 31, v116
	s_delay_alu instid0(VALU_DEP_1) | instskip(NEXT) | instid1(VALU_DEP_1)
	v_lshlrev_b64 v[28:29], 2, v[116:117]
	v_add_co_u32 v28, vcc_lo, v78, v28
	s_delay_alu instid0(VALU_DEP_2)
	v_add_co_ci_u32_e32 v29, vcc_lo, v79, v29, vcc_lo
	s_clause 0x1
	flat_load_b32 v30, v[28:29]
	flat_load_b32 v31, v[78:79] offset:20
	s_waitcnt vmcnt(1) lgkmcnt(1)
	flat_store_b32 v[78:79], v30 offset:20
	s_waitcnt vmcnt(0) lgkmcnt(1)
	flat_store_b32 v[28:29], v31
.LBB54_119:
	s_or_b32 exec_lo, exec_lo, s6
	v_mov_b32_e32 v140, v116
	v_mov_b32_e32 v231, v116
.LBB54_120:
	s_or_b32 exec_lo, exec_lo, s3
.LBB54_121:
	s_and_not1_saveexec_b32 s2, s2
	s_cbranch_execz .LBB54_123
; %bb.122:
	ds_store_2addr_b64 v138, v[223:224], v[225:226] offset0:12 offset1:13
	ds_store_2addr_b64 v138, v[88:89], v[90:91] offset0:14 offset1:15
	ds_store_2addr_b64 v138, v[249:250], v[251:252] offset0:16 offset1:17
	ds_store_2addr_b64 v138, v[219:220], v[221:222] offset0:18 offset1:19
	scratch_load_b128 v[0:3], off, off offset:16 ; 16-byte Folded Reload
	v_mov_b32_e32 v140, 5
	s_waitcnt vmcnt(0)
	ds_store_2addr_b64 v138, v[0:1], v[2:3] offset0:20 offset1:21
	scratch_load_b128 v[0:3], off, off      ; 16-byte Folded Reload
	s_waitcnt vmcnt(0)
	ds_store_2addr_b64 v138, v[0:1], v[2:3] offset0:22 offset1:23
	ds_store_2addr_b64 v138, v[64:65], v[66:67] offset0:24 offset1:25
	;; [unrolled: 1-line block ×17, first 2 shown]
.LBB54_123:
	s_or_b32 exec_lo, exec_lo, s2
	s_delay_alu instid0(SALU_CYCLE_1)
	s_mov_b32 s2, exec_lo
	s_waitcnt lgkmcnt(0)
	s_waitcnt_vscnt null, 0x0
	s_barrier
	buffer_gl0_inv
	v_cmpx_lt_i32_e32 5, v140
	s_cbranch_execz .LBB54_125
; %bb.124:
	v_mul_f64 v[30:31], v[112:113], v[82:83]
	v_mul_f64 v[28:29], v[114:115], v[82:83]
	s_delay_alu instid0(VALU_DEP_2) | instskip(NEXT) | instid1(VALU_DEP_2)
	v_fma_f64 v[82:83], v[114:115], v[80:81], v[30:31]
	v_fma_f64 v[28:29], v[112:113], v[80:81], -v[28:29]
	ds_load_2addr_b64 v[112:115], v138 offset0:12 offset1:13
	ds_load_2addr_b64 v[116:119], v138 offset0:14 offset1:15
	s_waitcnt lgkmcnt(1)
	v_mul_f64 v[30:31], v[114:115], v[82:83]
	v_mul_f64 v[44:45], v[112:113], v[82:83]
	s_waitcnt lgkmcnt(0)
	v_mul_f64 v[46:47], v[118:119], v[82:83]
	v_mul_f64 v[92:93], v[116:117], v[82:83]
	v_dual_mov_b32 v81, v29 :: v_dual_mov_b32 v80, v28
	v_fma_f64 v[30:31], v[112:113], v[28:29], -v[30:31]
	v_fma_f64 v[44:45], v[114:115], v[28:29], v[44:45]
	v_fma_f64 v[46:47], v[116:117], v[28:29], -v[46:47]
	v_fma_f64 v[92:93], v[118:119], v[28:29], v[92:93]
	ds_load_2addr_b64 v[112:115], v138 offset0:16 offset1:17
	ds_load_2addr_b64 v[116:119], v138 offset0:18 offset1:19
	s_waitcnt lgkmcnt(1)
	v_mul_f64 v[94:95], v[114:115], v[82:83]
	v_mul_f64 v[96:97], v[112:113], v[82:83]
	s_waitcnt lgkmcnt(0)
	v_mul_f64 v[98:99], v[118:119], v[82:83]
	v_mul_f64 v[100:101], v[116:117], v[82:83]
	v_add_f64 v[223:224], v[223:224], -v[30:31]
	v_add_f64 v[225:226], v[225:226], -v[44:45]
	;; [unrolled: 1-line block ×4, first 2 shown]
	v_fma_f64 v[94:95], v[112:113], v[28:29], -v[94:95]
	v_fma_f64 v[96:97], v[114:115], v[28:29], v[96:97]
	v_fma_f64 v[98:99], v[116:117], v[28:29], -v[98:99]
	v_fma_f64 v[100:101], v[118:119], v[28:29], v[100:101]
	ds_load_2addr_b64 v[112:115], v138 offset0:20 offset1:21
	ds_load_2addr_b64 v[116:119], v138 offset0:22 offset1:23
	s_waitcnt lgkmcnt(1)
	v_mul_f64 v[102:103], v[114:115], v[82:83]
	v_mul_f64 v[104:105], v[112:113], v[82:83]
	s_waitcnt lgkmcnt(0)
	v_mul_f64 v[106:107], v[118:119], v[82:83]
	v_mul_f64 v[108:109], v[116:117], v[82:83]
	v_add_f64 v[249:250], v[249:250], -v[94:95]
	v_add_f64 v[251:252], v[251:252], -v[96:97]
	;; [unrolled: 1-line block ×4, first 2 shown]
	v_fma_f64 v[102:103], v[112:113], v[28:29], -v[102:103]
	v_fma_f64 v[104:105], v[114:115], v[28:29], v[104:105]
	v_fma_f64 v[106:107], v[116:117], v[28:29], -v[106:107]
	v_fma_f64 v[108:109], v[118:119], v[28:29], v[108:109]
	ds_load_2addr_b64 v[112:115], v138 offset0:24 offset1:25
	ds_load_2addr_b64 v[116:119], v138 offset0:26 offset1:27
	s_waitcnt lgkmcnt(1)
	v_mul_f64 v[110:111], v[114:115], v[82:83]
	s_delay_alu instid0(VALU_DEP_1) | instskip(SKIP_1) | instid1(VALU_DEP_2)
	v_fma_f64 v[110:111], v[112:113], v[28:29], -v[110:111]
	v_mul_f64 v[112:113], v[112:113], v[82:83]
	v_add_f64 v[64:65], v[64:65], -v[110:111]
	s_delay_alu instid0(VALU_DEP_2) | instskip(SKIP_2) | instid1(VALU_DEP_2)
	v_fma_f64 v[120:121], v[114:115], v[28:29], v[112:113]
	s_waitcnt lgkmcnt(0)
	v_mul_f64 v[112:113], v[118:119], v[82:83]
	v_add_f64 v[66:67], v[66:67], -v[120:121]
	s_delay_alu instid0(VALU_DEP_2) | instskip(SKIP_1) | instid1(VALU_DEP_2)
	v_fma_f64 v[122:123], v[116:117], v[28:29], -v[112:113]
	v_mul_f64 v[112:113], v[116:117], v[82:83]
	v_add_f64 v[48:49], v[48:49], -v[122:123]
	s_delay_alu instid0(VALU_DEP_2)
	v_fma_f64 v[124:125], v[118:119], v[28:29], v[112:113]
	ds_load_2addr_b64 v[112:115], v138 offset0:28 offset1:29
	ds_load_2addr_b64 v[116:119], v138 offset0:30 offset1:31
	s_waitcnt lgkmcnt(1)
	v_mul_f64 v[126:127], v[114:115], v[82:83]
	v_add_f64 v[50:51], v[50:51], -v[124:125]
	s_delay_alu instid0(VALU_DEP_2) | instskip(SKIP_1) | instid1(VALU_DEP_2)
	v_fma_f64 v[126:127], v[112:113], v[28:29], -v[126:127]
	v_mul_f64 v[112:113], v[112:113], v[82:83]
	v_add_f64 v[72:73], v[72:73], -v[126:127]
	s_delay_alu instid0(VALU_DEP_2) | instskip(SKIP_2) | instid1(VALU_DEP_2)
	v_fma_f64 v[128:129], v[114:115], v[28:29], v[112:113]
	s_waitcnt lgkmcnt(0)
	v_mul_f64 v[112:113], v[118:119], v[82:83]
	v_add_f64 v[74:75], v[74:75], -v[128:129]
	s_delay_alu instid0(VALU_DEP_2) | instskip(SKIP_1) | instid1(VALU_DEP_2)
	v_fma_f64 v[130:131], v[116:117], v[28:29], -v[112:113]
	v_mul_f64 v[112:113], v[116:117], v[82:83]
	v_add_f64 v[68:69], v[68:69], -v[130:131]
	s_delay_alu instid0(VALU_DEP_2)
	v_fma_f64 v[132:133], v[118:119], v[28:29], v[112:113]
	ds_load_2addr_b64 v[112:115], v138 offset0:32 offset1:33
	ds_load_2addr_b64 v[116:119], v138 offset0:34 offset1:35
	s_waitcnt lgkmcnt(1)
	v_mul_f64 v[141:142], v[114:115], v[82:83]
	v_add_f64 v[70:71], v[70:71], -v[132:133]
	s_delay_alu instid0(VALU_DEP_2) | instskip(SKIP_1) | instid1(VALU_DEP_2)
	;; [unrolled: 20-line block ×6, first 2 shown]
	v_fma_f64 v[173:174], v[112:113], v[28:29], -v[173:174]
	v_mul_f64 v[112:113], v[112:113], v[82:83]
	v_add_f64 v[12:13], v[12:13], -v[173:174]
	s_delay_alu instid0(VALU_DEP_2) | instskip(SKIP_2) | instid1(VALU_DEP_2)
	v_fma_f64 v[175:176], v[114:115], v[28:29], v[112:113]
	s_waitcnt lgkmcnt(0)
	v_mul_f64 v[112:113], v[118:119], v[82:83]
	v_add_f64 v[14:15], v[14:15], -v[175:176]
	s_delay_alu instid0(VALU_DEP_2) | instskip(SKIP_1) | instid1(VALU_DEP_2)
	v_fma_f64 v[177:178], v[116:117], v[28:29], -v[112:113]
	v_mul_f64 v[112:113], v[116:117], v[82:83]
	v_add_f64 v[8:9], v[8:9], -v[177:178]
	s_delay_alu instid0(VALU_DEP_2)
	v_fma_f64 v[179:180], v[118:119], v[28:29], v[112:113]
	ds_load_2addr_b64 v[112:115], v138 offset0:52 offset1:53
	ds_load_2addr_b64 v[116:119], v138 offset0:54 offset1:55
	scratch_load_b128 v[0:3], off, off offset:16 ; 16-byte Folded Reload
	s_waitcnt lgkmcnt(1)
	v_mul_f64 v[181:182], v[114:115], v[82:83]
	v_add_f64 v[10:11], v[10:11], -v[179:180]
	s_delay_alu instid0(VALU_DEP_2) | instskip(SKIP_1) | instid1(VALU_DEP_2)
	v_fma_f64 v[181:182], v[112:113], v[28:29], -v[181:182]
	v_mul_f64 v[112:113], v[112:113], v[82:83]
	v_add_f64 v[4:5], v[4:5], -v[181:182]
	s_delay_alu instid0(VALU_DEP_2) | instskip(SKIP_2) | instid1(VALU_DEP_2)
	v_fma_f64 v[112:113], v[114:115], v[28:29], v[112:113]
	s_waitcnt lgkmcnt(0)
	v_mul_f64 v[114:115], v[118:119], v[82:83]
	v_add_f64 v[6:7], v[6:7], -v[112:113]
	s_delay_alu instid0(VALU_DEP_2) | instskip(SKIP_1) | instid1(VALU_DEP_2)
	v_fma_f64 v[114:115], v[116:117], v[28:29], -v[114:115]
	v_mul_f64 v[116:117], v[116:117], v[82:83]
	v_add_f64 v[134:135], v[134:135], -v[114:115]
	s_delay_alu instid0(VALU_DEP_2) | instskip(NEXT) | instid1(VALU_DEP_1)
	v_fma_f64 v[116:117], v[118:119], v[28:29], v[116:117]
	v_add_f64 v[136:137], v[136:137], -v[116:117]
	s_waitcnt vmcnt(0)
	v_add_f64 v[0:1], v[0:1], -v[102:103]
	v_add_f64 v[2:3], v[2:3], -v[104:105]
	scratch_store_b128 off, v[0:3], off offset:16 ; 16-byte Folded Spill
	scratch_load_b128 v[0:3], off, off      ; 16-byte Folded Reload
	s_waitcnt vmcnt(0)
	v_add_f64 v[0:1], v[0:1], -v[106:107]
	v_add_f64 v[2:3], v[2:3], -v[108:109]
	scratch_store_b128 off, v[0:3], off     ; 16-byte Folded Spill
.LBB54_125:
	s_or_b32 exec_lo, exec_lo, s2
	v_lshl_add_u32 v28, v140, 4, v138
	s_waitcnt_vscnt null, 0x0
	s_barrier
	buffer_gl0_inv
	v_mov_b32_e32 v116, 6
	ds_store_2addr_b64 v28, v[223:224], v[225:226] offset1:1
	s_waitcnt lgkmcnt(0)
	s_barrier
	buffer_gl0_inv
	ds_load_2addr_b64 v[112:115], v138 offset0:12 offset1:13
	s_cmp_lt_i32 s5, 8
	s_cbranch_scc1 .LBB54_128
; %bb.126:
	v_add3_u32 v117, v62, 0, 0x70
	v_mov_b32_e32 v116, 6
	s_mov_b32 s6, 7
	s_set_inst_prefetch_distance 0x1
	.p2align	6
.LBB54_127:                             ; =>This Inner Loop Header: Depth=1
	ds_load_2addr_b64 v[118:121], v117 offset1:1
	s_waitcnt lgkmcnt(1)
	v_cmp_gt_f64_e32 vcc_lo, 0, v[112:113]
	v_xor_b32_e32 v28, 0x80000000, v113
	v_cmp_gt_f64_e64 s2, 0, v[114:115]
	v_xor_b32_e32 v30, 0x80000000, v115
	v_add_nc_u32_e32 v117, 16, v117
	s_waitcnt lgkmcnt(0)
	v_cmp_gt_f64_e64 s3, 0, v[118:119]
	v_mov_b32_e32 v44, v118
	v_dual_mov_b32 v46, v120 :: v_dual_cndmask_b32 v29, v113, v28
	v_xor_b32_e32 v28, 0x80000000, v119
	v_cndmask_b32_e64 v31, v115, v30, s2
	v_xor_b32_e32 v30, 0x80000000, v121
	s_delay_alu instid0(VALU_DEP_3) | instskip(SKIP_2) | instid1(VALU_DEP_2)
	v_cndmask_b32_e64 v45, v119, v28, s3
	v_cmp_gt_f64_e64 s3, 0, v[120:121]
	v_cndmask_b32_e32 v28, v112, v112, vcc_lo
	v_cndmask_b32_e64 v47, v121, v30, s3
	v_cndmask_b32_e64 v30, v114, v114, s2
	s_delay_alu instid0(VALU_DEP_2) | instskip(NEXT) | instid1(VALU_DEP_2)
	v_add_f64 v[44:45], v[44:45], v[46:47]
	v_add_f64 v[28:29], v[28:29], v[30:31]
	s_delay_alu instid0(VALU_DEP_1)
	v_cmp_lt_f64_e32 vcc_lo, v[28:29], v[44:45]
	v_cndmask_b32_e32 v115, v115, v121, vcc_lo
	v_dual_cndmask_b32 v113, v113, v119 :: v_dual_cndmask_b32 v112, v112, v118
	v_cndmask_b32_e32 v114, v114, v120, vcc_lo
	v_cndmask_b32_e64 v116, v116, s6, vcc_lo
	s_add_i32 s6, s6, 1
	s_delay_alu instid0(SALU_CYCLE_1)
	s_cmp_lg_u32 s5, s6
	s_cbranch_scc1 .LBB54_127
.LBB54_128:
	s_set_inst_prefetch_distance 0x2
	s_waitcnt lgkmcnt(0)
	v_cmp_eq_f64_e32 vcc_lo, 0, v[112:113]
	v_cmp_eq_f64_e64 s2, 0, v[114:115]
	s_delay_alu instid0(VALU_DEP_1) | instskip(NEXT) | instid1(SALU_CYCLE_1)
	s_and_b32 s2, vcc_lo, s2
	s_and_saveexec_b32 s3, s2
	s_delay_alu instid0(SALU_CYCLE_1)
	s_xor_b32 s2, exec_lo, s3
; %bb.129:
	v_cmp_ne_u32_e32 vcc_lo, 0, v232
	v_cndmask_b32_e32 v232, 7, v232, vcc_lo
; %bb.130:
	s_and_not1_saveexec_b32 s3, s2
	s_cbranch_execz .LBB54_136
; %bb.131:
	v_cmp_gt_f64_e32 vcc_lo, 0, v[112:113]
	v_cmp_gt_f64_e64 s2, 0, v[114:115]
	v_xor_b32_e32 v28, 0x80000000, v113
	v_xor_b32_e32 v30, 0x80000000, v115
	s_delay_alu instid0(VALU_DEP_2) | instskip(NEXT) | instid1(VALU_DEP_2)
	v_cndmask_b32_e32 v29, v113, v28, vcc_lo
	v_cndmask_b32_e64 v31, v115, v30, s2
	v_cndmask_b32_e32 v28, v112, v112, vcc_lo
	v_cndmask_b32_e64 v30, v114, v114, s2
	s_mov_b32 s2, exec_lo
	s_delay_alu instid0(VALU_DEP_1)
	v_cmpx_ngt_f64_e32 v[28:29], v[30:31]
	s_xor_b32 s2, exec_lo, s2
	s_cbranch_execz .LBB54_133
; %bb.132:
	v_div_scale_f64 v[28:29], null, v[114:115], v[114:115], v[112:113]
	v_div_scale_f64 v[46:47], vcc_lo, v[112:113], v[114:115], v[112:113]
	s_delay_alu instid0(VALU_DEP_2) | instskip(SKIP_2) | instid1(VALU_DEP_1)
	v_rcp_f64_e32 v[30:31], v[28:29]
	s_waitcnt_depctr 0xfff
	v_fma_f64 v[44:45], -v[28:29], v[30:31], 1.0
	v_fma_f64 v[30:31], v[30:31], v[44:45], v[30:31]
	s_delay_alu instid0(VALU_DEP_1) | instskip(NEXT) | instid1(VALU_DEP_1)
	v_fma_f64 v[44:45], -v[28:29], v[30:31], 1.0
	v_fma_f64 v[30:31], v[30:31], v[44:45], v[30:31]
	s_delay_alu instid0(VALU_DEP_1) | instskip(NEXT) | instid1(VALU_DEP_1)
	v_mul_f64 v[44:45], v[46:47], v[30:31]
	v_fma_f64 v[28:29], -v[28:29], v[44:45], v[46:47]
	s_delay_alu instid0(VALU_DEP_1) | instskip(NEXT) | instid1(VALU_DEP_1)
	v_div_fmas_f64 v[28:29], v[28:29], v[30:31], v[44:45]
	v_div_fixup_f64 v[28:29], v[28:29], v[114:115], v[112:113]
	s_delay_alu instid0(VALU_DEP_1) | instskip(NEXT) | instid1(VALU_DEP_1)
	v_fma_f64 v[30:31], v[112:113], v[28:29], v[114:115]
	v_div_scale_f64 v[44:45], null, v[30:31], v[30:31], 1.0
	s_delay_alu instid0(VALU_DEP_1) | instskip(SKIP_2) | instid1(VALU_DEP_1)
	v_rcp_f64_e32 v[46:47], v[44:45]
	s_waitcnt_depctr 0xfff
	v_fma_f64 v[92:93], -v[44:45], v[46:47], 1.0
	v_fma_f64 v[46:47], v[46:47], v[92:93], v[46:47]
	s_delay_alu instid0(VALU_DEP_1) | instskip(NEXT) | instid1(VALU_DEP_1)
	v_fma_f64 v[92:93], -v[44:45], v[46:47], 1.0
	v_fma_f64 v[46:47], v[46:47], v[92:93], v[46:47]
	v_div_scale_f64 v[92:93], vcc_lo, 1.0, v[30:31], 1.0
	s_delay_alu instid0(VALU_DEP_1) | instskip(NEXT) | instid1(VALU_DEP_1)
	v_mul_f64 v[94:95], v[92:93], v[46:47]
	v_fma_f64 v[44:45], -v[44:45], v[94:95], v[92:93]
	s_delay_alu instid0(VALU_DEP_1) | instskip(NEXT) | instid1(VALU_DEP_1)
	v_div_fmas_f64 v[44:45], v[44:45], v[46:47], v[94:95]
	v_div_fixup_f64 v[114:115], v[44:45], v[30:31], 1.0
	s_delay_alu instid0(VALU_DEP_1)
	v_mul_f64 v[112:113], v[28:29], v[114:115]
	v_xor_b32_e32 v115, 0x80000000, v115
.LBB54_133:
	s_and_not1_saveexec_b32 s2, s2
	s_cbranch_execz .LBB54_135
; %bb.134:
	s_delay_alu instid0(VALU_DEP_1) | instskip(SKIP_1) | instid1(VALU_DEP_2)
	v_div_scale_f64 v[28:29], null, v[112:113], v[112:113], v[114:115]
	v_div_scale_f64 v[46:47], vcc_lo, v[114:115], v[112:113], v[114:115]
	v_rcp_f64_e32 v[30:31], v[28:29]
	s_waitcnt_depctr 0xfff
	v_fma_f64 v[44:45], -v[28:29], v[30:31], 1.0
	s_delay_alu instid0(VALU_DEP_1) | instskip(NEXT) | instid1(VALU_DEP_1)
	v_fma_f64 v[30:31], v[30:31], v[44:45], v[30:31]
	v_fma_f64 v[44:45], -v[28:29], v[30:31], 1.0
	s_delay_alu instid0(VALU_DEP_1) | instskip(NEXT) | instid1(VALU_DEP_1)
	v_fma_f64 v[30:31], v[30:31], v[44:45], v[30:31]
	v_mul_f64 v[44:45], v[46:47], v[30:31]
	s_delay_alu instid0(VALU_DEP_1) | instskip(NEXT) | instid1(VALU_DEP_1)
	v_fma_f64 v[28:29], -v[28:29], v[44:45], v[46:47]
	v_div_fmas_f64 v[28:29], v[28:29], v[30:31], v[44:45]
	s_delay_alu instid0(VALU_DEP_1) | instskip(NEXT) | instid1(VALU_DEP_1)
	v_div_fixup_f64 v[28:29], v[28:29], v[112:113], v[114:115]
	v_fma_f64 v[30:31], v[114:115], v[28:29], v[112:113]
	s_delay_alu instid0(VALU_DEP_1) | instskip(NEXT) | instid1(VALU_DEP_1)
	v_div_scale_f64 v[44:45], null, v[30:31], v[30:31], 1.0
	v_rcp_f64_e32 v[46:47], v[44:45]
	s_waitcnt_depctr 0xfff
	v_fma_f64 v[92:93], -v[44:45], v[46:47], 1.0
	s_delay_alu instid0(VALU_DEP_1) | instskip(NEXT) | instid1(VALU_DEP_1)
	v_fma_f64 v[46:47], v[46:47], v[92:93], v[46:47]
	v_fma_f64 v[92:93], -v[44:45], v[46:47], 1.0
	s_delay_alu instid0(VALU_DEP_1) | instskip(SKIP_1) | instid1(VALU_DEP_1)
	v_fma_f64 v[46:47], v[46:47], v[92:93], v[46:47]
	v_div_scale_f64 v[92:93], vcc_lo, 1.0, v[30:31], 1.0
	v_mul_f64 v[94:95], v[92:93], v[46:47]
	s_delay_alu instid0(VALU_DEP_1) | instskip(NEXT) | instid1(VALU_DEP_1)
	v_fma_f64 v[44:45], -v[44:45], v[94:95], v[92:93]
	v_div_fmas_f64 v[44:45], v[44:45], v[46:47], v[94:95]
	s_delay_alu instid0(VALU_DEP_1) | instskip(NEXT) | instid1(VALU_DEP_1)
	v_div_fixup_f64 v[112:113], v[44:45], v[30:31], 1.0
	v_mul_f64 v[114:115], v[28:29], -v[112:113]
.LBB54_135:
	s_or_b32 exec_lo, exec_lo, s2
.LBB54_136:
	s_delay_alu instid0(SALU_CYCLE_1) | instskip(NEXT) | instid1(SALU_CYCLE_1)
	s_or_b32 exec_lo, exec_lo, s3
	s_mov_b32 s2, exec_lo
	v_cmpx_ne_u32_e64 v140, v116
	s_xor_b32 s2, exec_lo, s2
	s_cbranch_execz .LBB54_142
; %bb.137:
	s_mov_b32 s3, exec_lo
	v_cmpx_eq_u32_e32 6, v140
	s_cbranch_execz .LBB54_141
; %bb.138:
	v_cmp_ne_u32_e32 vcc_lo, 6, v116
	s_xor_b32 s6, s4, -1
	s_delay_alu instid0(SALU_CYCLE_1) | instskip(NEXT) | instid1(SALU_CYCLE_1)
	s_and_b32 s7, s6, vcc_lo
	s_and_saveexec_b32 s6, s7
	s_cbranch_execz .LBB54_140
; %bb.139:
	v_ashrrev_i32_e32 v117, 31, v116
	s_delay_alu instid0(VALU_DEP_1) | instskip(NEXT) | instid1(VALU_DEP_1)
	v_lshlrev_b64 v[28:29], 2, v[116:117]
	v_add_co_u32 v28, vcc_lo, v78, v28
	s_delay_alu instid0(VALU_DEP_2)
	v_add_co_ci_u32_e32 v29, vcc_lo, v79, v29, vcc_lo
	s_clause 0x1
	flat_load_b32 v30, v[28:29]
	flat_load_b32 v31, v[78:79] offset:24
	s_waitcnt vmcnt(1) lgkmcnt(1)
	flat_store_b32 v[78:79], v30 offset:24
	s_waitcnt vmcnt(0) lgkmcnt(1)
	flat_store_b32 v[28:29], v31
.LBB54_140:
	s_or_b32 exec_lo, exec_lo, s6
	v_mov_b32_e32 v140, v116
	v_mov_b32_e32 v231, v116
.LBB54_141:
	s_or_b32 exec_lo, exec_lo, s3
.LBB54_142:
	s_and_not1_saveexec_b32 s2, s2
	s_cbranch_execz .LBB54_144
; %bb.143:
	ds_store_2addr_b64 v138, v[88:89], v[90:91] offset0:14 offset1:15
	ds_store_2addr_b64 v138, v[249:250], v[251:252] offset0:16 offset1:17
	;; [unrolled: 1-line block ×3, first 2 shown]
	scratch_load_b128 v[0:3], off, off offset:16 ; 16-byte Folded Reload
	v_mov_b32_e32 v140, 6
	s_waitcnt vmcnt(0)
	ds_store_2addr_b64 v138, v[0:1], v[2:3] offset0:20 offset1:21
	scratch_load_b128 v[0:3], off, off      ; 16-byte Folded Reload
	s_waitcnt vmcnt(0)
	ds_store_2addr_b64 v138, v[0:1], v[2:3] offset0:22 offset1:23
	ds_store_2addr_b64 v138, v[64:65], v[66:67] offset0:24 offset1:25
	;; [unrolled: 1-line block ×17, first 2 shown]
.LBB54_144:
	s_or_b32 exec_lo, exec_lo, s2
	s_delay_alu instid0(SALU_CYCLE_1)
	s_mov_b32 s2, exec_lo
	s_waitcnt lgkmcnt(0)
	s_waitcnt_vscnt null, 0x0
	s_barrier
	buffer_gl0_inv
	v_cmpx_lt_i32_e32 6, v140
	s_cbranch_execz .LBB54_146
; %bb.145:
	v_mul_f64 v[30:31], v[112:113], v[225:226]
	v_mul_f64 v[28:29], v[114:115], v[225:226]
	s_delay_alu instid0(VALU_DEP_2) | instskip(NEXT) | instid1(VALU_DEP_2)
	v_fma_f64 v[225:226], v[114:115], v[223:224], v[30:31]
	v_fma_f64 v[28:29], v[112:113], v[223:224], -v[28:29]
	ds_load_2addr_b64 v[112:115], v138 offset0:14 offset1:15
	ds_load_2addr_b64 v[116:119], v138 offset0:16 offset1:17
	s_waitcnt lgkmcnt(1)
	v_mul_f64 v[30:31], v[114:115], v[225:226]
	v_mul_f64 v[44:45], v[112:113], v[225:226]
	s_waitcnt lgkmcnt(0)
	v_mul_f64 v[46:47], v[118:119], v[225:226]
	v_mul_f64 v[92:93], v[116:117], v[225:226]
	v_dual_mov_b32 v224, v29 :: v_dual_mov_b32 v223, v28
	v_fma_f64 v[30:31], v[112:113], v[28:29], -v[30:31]
	v_fma_f64 v[44:45], v[114:115], v[28:29], v[44:45]
	v_fma_f64 v[46:47], v[116:117], v[28:29], -v[46:47]
	v_fma_f64 v[92:93], v[118:119], v[28:29], v[92:93]
	ds_load_2addr_b64 v[112:115], v138 offset0:18 offset1:19
	ds_load_2addr_b64 v[116:119], v138 offset0:20 offset1:21
	s_waitcnt lgkmcnt(1)
	v_mul_f64 v[94:95], v[114:115], v[225:226]
	v_mul_f64 v[96:97], v[112:113], v[225:226]
	s_waitcnt lgkmcnt(0)
	v_mul_f64 v[98:99], v[118:119], v[225:226]
	v_mul_f64 v[100:101], v[116:117], v[225:226]
	v_add_f64 v[88:89], v[88:89], -v[30:31]
	v_add_f64 v[90:91], v[90:91], -v[44:45]
	;; [unrolled: 1-line block ×4, first 2 shown]
	v_fma_f64 v[94:95], v[112:113], v[28:29], -v[94:95]
	v_fma_f64 v[96:97], v[114:115], v[28:29], v[96:97]
	v_fma_f64 v[98:99], v[116:117], v[28:29], -v[98:99]
	v_fma_f64 v[100:101], v[118:119], v[28:29], v[100:101]
	ds_load_2addr_b64 v[112:115], v138 offset0:22 offset1:23
	ds_load_2addr_b64 v[116:119], v138 offset0:24 offset1:25
	s_waitcnt lgkmcnt(1)
	v_mul_f64 v[102:103], v[114:115], v[225:226]
	v_mul_f64 v[104:105], v[112:113], v[225:226]
	s_waitcnt lgkmcnt(0)
	v_mul_f64 v[106:107], v[118:119], v[225:226]
	v_mul_f64 v[108:109], v[116:117], v[225:226]
	v_add_f64 v[219:220], v[219:220], -v[94:95]
	v_add_f64 v[221:222], v[221:222], -v[96:97]
	v_fma_f64 v[102:103], v[112:113], v[28:29], -v[102:103]
	v_fma_f64 v[104:105], v[114:115], v[28:29], v[104:105]
	v_fma_f64 v[106:107], v[116:117], v[28:29], -v[106:107]
	v_fma_f64 v[108:109], v[118:119], v[28:29], v[108:109]
	ds_load_2addr_b64 v[112:115], v138 offset0:26 offset1:27
	ds_load_2addr_b64 v[116:119], v138 offset0:28 offset1:29
	s_waitcnt lgkmcnt(1)
	v_mul_f64 v[110:111], v[114:115], v[225:226]
	v_add_f64 v[64:65], v[64:65], -v[106:107]
	v_add_f64 v[66:67], v[66:67], -v[108:109]
	s_delay_alu instid0(VALU_DEP_3) | instskip(SKIP_1) | instid1(VALU_DEP_2)
	v_fma_f64 v[110:111], v[112:113], v[28:29], -v[110:111]
	v_mul_f64 v[112:113], v[112:113], v[225:226]
	v_add_f64 v[48:49], v[48:49], -v[110:111]
	s_delay_alu instid0(VALU_DEP_2) | instskip(SKIP_2) | instid1(VALU_DEP_2)
	v_fma_f64 v[120:121], v[114:115], v[28:29], v[112:113]
	s_waitcnt lgkmcnt(0)
	v_mul_f64 v[112:113], v[118:119], v[225:226]
	v_add_f64 v[50:51], v[50:51], -v[120:121]
	s_delay_alu instid0(VALU_DEP_2) | instskip(SKIP_1) | instid1(VALU_DEP_2)
	v_fma_f64 v[122:123], v[116:117], v[28:29], -v[112:113]
	v_mul_f64 v[112:113], v[116:117], v[225:226]
	v_add_f64 v[72:73], v[72:73], -v[122:123]
	s_delay_alu instid0(VALU_DEP_2)
	v_fma_f64 v[124:125], v[118:119], v[28:29], v[112:113]
	ds_load_2addr_b64 v[112:115], v138 offset0:30 offset1:31
	ds_load_2addr_b64 v[116:119], v138 offset0:32 offset1:33
	s_waitcnt lgkmcnt(1)
	v_mul_f64 v[126:127], v[114:115], v[225:226]
	v_add_f64 v[74:75], v[74:75], -v[124:125]
	s_delay_alu instid0(VALU_DEP_2) | instskip(SKIP_1) | instid1(VALU_DEP_2)
	v_fma_f64 v[126:127], v[112:113], v[28:29], -v[126:127]
	v_mul_f64 v[112:113], v[112:113], v[225:226]
	v_add_f64 v[68:69], v[68:69], -v[126:127]
	s_delay_alu instid0(VALU_DEP_2) | instskip(SKIP_2) | instid1(VALU_DEP_2)
	v_fma_f64 v[128:129], v[114:115], v[28:29], v[112:113]
	s_waitcnt lgkmcnt(0)
	v_mul_f64 v[112:113], v[118:119], v[225:226]
	v_add_f64 v[70:71], v[70:71], -v[128:129]
	s_delay_alu instid0(VALU_DEP_2) | instskip(SKIP_1) | instid1(VALU_DEP_2)
	v_fma_f64 v[130:131], v[116:117], v[28:29], -v[112:113]
	v_mul_f64 v[112:113], v[116:117], v[225:226]
	v_add_f64 v[56:57], v[56:57], -v[130:131]
	s_delay_alu instid0(VALU_DEP_2)
	v_fma_f64 v[132:133], v[118:119], v[28:29], v[112:113]
	ds_load_2addr_b64 v[112:115], v138 offset0:34 offset1:35
	ds_load_2addr_b64 v[116:119], v138 offset0:36 offset1:37
	s_waitcnt lgkmcnt(1)
	v_mul_f64 v[141:142], v[114:115], v[225:226]
	v_add_f64 v[58:59], v[58:59], -v[132:133]
	s_delay_alu instid0(VALU_DEP_2) | instskip(SKIP_1) | instid1(VALU_DEP_2)
	;; [unrolled: 20-line block ×5, first 2 shown]
	v_fma_f64 v[165:166], v[112:113], v[28:29], -v[165:166]
	v_mul_f64 v[112:113], v[112:113], v[225:226]
	v_add_f64 v[16:17], v[16:17], -v[165:166]
	s_delay_alu instid0(VALU_DEP_2) | instskip(SKIP_2) | instid1(VALU_DEP_2)
	v_fma_f64 v[167:168], v[114:115], v[28:29], v[112:113]
	s_waitcnt lgkmcnt(0)
	v_mul_f64 v[112:113], v[118:119], v[225:226]
	v_add_f64 v[18:19], v[18:19], -v[167:168]
	s_delay_alu instid0(VALU_DEP_2) | instskip(SKIP_1) | instid1(VALU_DEP_2)
	v_fma_f64 v[169:170], v[116:117], v[28:29], -v[112:113]
	v_mul_f64 v[112:113], v[116:117], v[225:226]
	v_add_f64 v[12:13], v[12:13], -v[169:170]
	s_delay_alu instid0(VALU_DEP_2)
	v_fma_f64 v[171:172], v[118:119], v[28:29], v[112:113]
	ds_load_2addr_b64 v[112:115], v138 offset0:50 offset1:51
	ds_load_2addr_b64 v[116:119], v138 offset0:52 offset1:53
	scratch_load_b128 v[0:3], off, off offset:16 ; 16-byte Folded Reload
	s_waitcnt lgkmcnt(1)
	v_mul_f64 v[173:174], v[114:115], v[225:226]
	v_add_f64 v[14:15], v[14:15], -v[171:172]
	s_delay_alu instid0(VALU_DEP_2) | instskip(SKIP_1) | instid1(VALU_DEP_2)
	v_fma_f64 v[173:174], v[112:113], v[28:29], -v[173:174]
	v_mul_f64 v[112:113], v[112:113], v[225:226]
	v_add_f64 v[8:9], v[8:9], -v[173:174]
	s_delay_alu instid0(VALU_DEP_2) | instskip(SKIP_2) | instid1(VALU_DEP_2)
	v_fma_f64 v[175:176], v[114:115], v[28:29], v[112:113]
	s_waitcnt lgkmcnt(0)
	v_mul_f64 v[112:113], v[118:119], v[225:226]
	v_add_f64 v[10:11], v[10:11], -v[175:176]
	s_delay_alu instid0(VALU_DEP_2) | instskip(SKIP_1) | instid1(VALU_DEP_2)
	v_fma_f64 v[177:178], v[116:117], v[28:29], -v[112:113]
	v_mul_f64 v[112:113], v[116:117], v[225:226]
	v_add_f64 v[4:5], v[4:5], -v[177:178]
	s_delay_alu instid0(VALU_DEP_2) | instskip(SKIP_4) | instid1(VALU_DEP_2)
	v_fma_f64 v[116:117], v[118:119], v[28:29], v[112:113]
	ds_load_2addr_b64 v[112:115], v138 offset0:54 offset1:55
	s_waitcnt lgkmcnt(0)
	v_mul_f64 v[118:119], v[114:115], v[225:226]
	v_add_f64 v[6:7], v[6:7], -v[116:117]
	v_fma_f64 v[118:119], v[112:113], v[28:29], -v[118:119]
	v_mul_f64 v[112:113], v[112:113], v[225:226]
	s_delay_alu instid0(VALU_DEP_2) | instskip(NEXT) | instid1(VALU_DEP_2)
	v_add_f64 v[134:135], v[134:135], -v[118:119]
	v_fma_f64 v[112:113], v[114:115], v[28:29], v[112:113]
	s_delay_alu instid0(VALU_DEP_1)
	v_add_f64 v[136:137], v[136:137], -v[112:113]
	s_waitcnt vmcnt(0)
	v_add_f64 v[0:1], v[0:1], -v[98:99]
	v_add_f64 v[2:3], v[2:3], -v[100:101]
	scratch_store_b128 off, v[0:3], off offset:16 ; 16-byte Folded Spill
	scratch_load_b128 v[0:3], off, off      ; 16-byte Folded Reload
	s_waitcnt vmcnt(0)
	v_add_f64 v[0:1], v[0:1], -v[102:103]
	v_add_f64 v[2:3], v[2:3], -v[104:105]
	scratch_store_b128 off, v[0:3], off     ; 16-byte Folded Spill
.LBB54_146:
	s_or_b32 exec_lo, exec_lo, s2
	v_lshl_add_u32 v28, v140, 4, v138
	s_waitcnt_vscnt null, 0x0
	s_barrier
	buffer_gl0_inv
	v_mov_b32_e32 v116, 7
	ds_store_2addr_b64 v28, v[88:89], v[90:91] offset1:1
	s_waitcnt lgkmcnt(0)
	s_barrier
	buffer_gl0_inv
	ds_load_2addr_b64 v[112:115], v138 offset0:14 offset1:15
	s_cmp_lt_i32 s5, 9
	s_cbranch_scc1 .LBB54_149
; %bb.147:
	v_add3_u32 v117, v62, 0, 0x80
	v_mov_b32_e32 v116, 7
	s_mov_b32 s6, 8
	s_set_inst_prefetch_distance 0x1
	.p2align	6
.LBB54_148:                             ; =>This Inner Loop Header: Depth=1
	ds_load_2addr_b64 v[118:121], v117 offset1:1
	s_waitcnt lgkmcnt(1)
	v_cmp_gt_f64_e32 vcc_lo, 0, v[112:113]
	v_xor_b32_e32 v28, 0x80000000, v113
	v_cmp_gt_f64_e64 s2, 0, v[114:115]
	v_xor_b32_e32 v30, 0x80000000, v115
	v_add_nc_u32_e32 v117, 16, v117
	s_waitcnt lgkmcnt(0)
	v_cmp_gt_f64_e64 s3, 0, v[118:119]
	v_mov_b32_e32 v44, v118
	v_dual_mov_b32 v46, v120 :: v_dual_cndmask_b32 v29, v113, v28
	v_xor_b32_e32 v28, 0x80000000, v119
	v_cndmask_b32_e64 v31, v115, v30, s2
	v_xor_b32_e32 v30, 0x80000000, v121
	s_delay_alu instid0(VALU_DEP_3) | instskip(SKIP_2) | instid1(VALU_DEP_2)
	v_cndmask_b32_e64 v45, v119, v28, s3
	v_cmp_gt_f64_e64 s3, 0, v[120:121]
	v_cndmask_b32_e32 v28, v112, v112, vcc_lo
	v_cndmask_b32_e64 v47, v121, v30, s3
	v_cndmask_b32_e64 v30, v114, v114, s2
	s_delay_alu instid0(VALU_DEP_2) | instskip(NEXT) | instid1(VALU_DEP_2)
	v_add_f64 v[44:45], v[44:45], v[46:47]
	v_add_f64 v[28:29], v[28:29], v[30:31]
	s_delay_alu instid0(VALU_DEP_1)
	v_cmp_lt_f64_e32 vcc_lo, v[28:29], v[44:45]
	v_cndmask_b32_e32 v115, v115, v121, vcc_lo
	v_dual_cndmask_b32 v113, v113, v119 :: v_dual_cndmask_b32 v112, v112, v118
	v_cndmask_b32_e32 v114, v114, v120, vcc_lo
	v_cndmask_b32_e64 v116, v116, s6, vcc_lo
	s_add_i32 s6, s6, 1
	s_delay_alu instid0(SALU_CYCLE_1)
	s_cmp_lg_u32 s5, s6
	s_cbranch_scc1 .LBB54_148
.LBB54_149:
	s_set_inst_prefetch_distance 0x2
	s_waitcnt lgkmcnt(0)
	v_cmp_eq_f64_e32 vcc_lo, 0, v[112:113]
	v_cmp_eq_f64_e64 s2, 0, v[114:115]
	s_delay_alu instid0(VALU_DEP_1) | instskip(NEXT) | instid1(SALU_CYCLE_1)
	s_and_b32 s2, vcc_lo, s2
	s_and_saveexec_b32 s3, s2
	s_delay_alu instid0(SALU_CYCLE_1)
	s_xor_b32 s2, exec_lo, s3
; %bb.150:
	v_cmp_ne_u32_e32 vcc_lo, 0, v232
	v_cndmask_b32_e32 v232, 8, v232, vcc_lo
; %bb.151:
	s_and_not1_saveexec_b32 s3, s2
	s_cbranch_execz .LBB54_157
; %bb.152:
	v_cmp_gt_f64_e32 vcc_lo, 0, v[112:113]
	v_cmp_gt_f64_e64 s2, 0, v[114:115]
	v_xor_b32_e32 v28, 0x80000000, v113
	v_xor_b32_e32 v30, 0x80000000, v115
	s_delay_alu instid0(VALU_DEP_2) | instskip(NEXT) | instid1(VALU_DEP_2)
	v_cndmask_b32_e32 v29, v113, v28, vcc_lo
	v_cndmask_b32_e64 v31, v115, v30, s2
	v_cndmask_b32_e32 v28, v112, v112, vcc_lo
	v_cndmask_b32_e64 v30, v114, v114, s2
	s_mov_b32 s2, exec_lo
	s_delay_alu instid0(VALU_DEP_1)
	v_cmpx_ngt_f64_e32 v[28:29], v[30:31]
	s_xor_b32 s2, exec_lo, s2
	s_cbranch_execz .LBB54_154
; %bb.153:
	v_div_scale_f64 v[28:29], null, v[114:115], v[114:115], v[112:113]
	v_div_scale_f64 v[46:47], vcc_lo, v[112:113], v[114:115], v[112:113]
	s_delay_alu instid0(VALU_DEP_2) | instskip(SKIP_2) | instid1(VALU_DEP_1)
	v_rcp_f64_e32 v[30:31], v[28:29]
	s_waitcnt_depctr 0xfff
	v_fma_f64 v[44:45], -v[28:29], v[30:31], 1.0
	v_fma_f64 v[30:31], v[30:31], v[44:45], v[30:31]
	s_delay_alu instid0(VALU_DEP_1) | instskip(NEXT) | instid1(VALU_DEP_1)
	v_fma_f64 v[44:45], -v[28:29], v[30:31], 1.0
	v_fma_f64 v[30:31], v[30:31], v[44:45], v[30:31]
	s_delay_alu instid0(VALU_DEP_1) | instskip(NEXT) | instid1(VALU_DEP_1)
	v_mul_f64 v[44:45], v[46:47], v[30:31]
	v_fma_f64 v[28:29], -v[28:29], v[44:45], v[46:47]
	s_delay_alu instid0(VALU_DEP_1) | instskip(NEXT) | instid1(VALU_DEP_1)
	v_div_fmas_f64 v[28:29], v[28:29], v[30:31], v[44:45]
	v_div_fixup_f64 v[28:29], v[28:29], v[114:115], v[112:113]
	s_delay_alu instid0(VALU_DEP_1) | instskip(NEXT) | instid1(VALU_DEP_1)
	v_fma_f64 v[30:31], v[112:113], v[28:29], v[114:115]
	v_div_scale_f64 v[44:45], null, v[30:31], v[30:31], 1.0
	s_delay_alu instid0(VALU_DEP_1) | instskip(SKIP_2) | instid1(VALU_DEP_1)
	v_rcp_f64_e32 v[46:47], v[44:45]
	s_waitcnt_depctr 0xfff
	v_fma_f64 v[92:93], -v[44:45], v[46:47], 1.0
	v_fma_f64 v[46:47], v[46:47], v[92:93], v[46:47]
	s_delay_alu instid0(VALU_DEP_1) | instskip(NEXT) | instid1(VALU_DEP_1)
	v_fma_f64 v[92:93], -v[44:45], v[46:47], 1.0
	v_fma_f64 v[46:47], v[46:47], v[92:93], v[46:47]
	v_div_scale_f64 v[92:93], vcc_lo, 1.0, v[30:31], 1.0
	s_delay_alu instid0(VALU_DEP_1) | instskip(NEXT) | instid1(VALU_DEP_1)
	v_mul_f64 v[94:95], v[92:93], v[46:47]
	v_fma_f64 v[44:45], -v[44:45], v[94:95], v[92:93]
	s_delay_alu instid0(VALU_DEP_1) | instskip(NEXT) | instid1(VALU_DEP_1)
	v_div_fmas_f64 v[44:45], v[44:45], v[46:47], v[94:95]
	v_div_fixup_f64 v[114:115], v[44:45], v[30:31], 1.0
	s_delay_alu instid0(VALU_DEP_1)
	v_mul_f64 v[112:113], v[28:29], v[114:115]
	v_xor_b32_e32 v115, 0x80000000, v115
.LBB54_154:
	s_and_not1_saveexec_b32 s2, s2
	s_cbranch_execz .LBB54_156
; %bb.155:
	s_delay_alu instid0(VALU_DEP_1) | instskip(SKIP_1) | instid1(VALU_DEP_2)
	v_div_scale_f64 v[28:29], null, v[112:113], v[112:113], v[114:115]
	v_div_scale_f64 v[46:47], vcc_lo, v[114:115], v[112:113], v[114:115]
	v_rcp_f64_e32 v[30:31], v[28:29]
	s_waitcnt_depctr 0xfff
	v_fma_f64 v[44:45], -v[28:29], v[30:31], 1.0
	s_delay_alu instid0(VALU_DEP_1) | instskip(NEXT) | instid1(VALU_DEP_1)
	v_fma_f64 v[30:31], v[30:31], v[44:45], v[30:31]
	v_fma_f64 v[44:45], -v[28:29], v[30:31], 1.0
	s_delay_alu instid0(VALU_DEP_1) | instskip(NEXT) | instid1(VALU_DEP_1)
	v_fma_f64 v[30:31], v[30:31], v[44:45], v[30:31]
	v_mul_f64 v[44:45], v[46:47], v[30:31]
	s_delay_alu instid0(VALU_DEP_1) | instskip(NEXT) | instid1(VALU_DEP_1)
	v_fma_f64 v[28:29], -v[28:29], v[44:45], v[46:47]
	v_div_fmas_f64 v[28:29], v[28:29], v[30:31], v[44:45]
	s_delay_alu instid0(VALU_DEP_1) | instskip(NEXT) | instid1(VALU_DEP_1)
	v_div_fixup_f64 v[28:29], v[28:29], v[112:113], v[114:115]
	v_fma_f64 v[30:31], v[114:115], v[28:29], v[112:113]
	s_delay_alu instid0(VALU_DEP_1) | instskip(NEXT) | instid1(VALU_DEP_1)
	v_div_scale_f64 v[44:45], null, v[30:31], v[30:31], 1.0
	v_rcp_f64_e32 v[46:47], v[44:45]
	s_waitcnt_depctr 0xfff
	v_fma_f64 v[92:93], -v[44:45], v[46:47], 1.0
	s_delay_alu instid0(VALU_DEP_1) | instskip(NEXT) | instid1(VALU_DEP_1)
	v_fma_f64 v[46:47], v[46:47], v[92:93], v[46:47]
	v_fma_f64 v[92:93], -v[44:45], v[46:47], 1.0
	s_delay_alu instid0(VALU_DEP_1) | instskip(SKIP_1) | instid1(VALU_DEP_1)
	v_fma_f64 v[46:47], v[46:47], v[92:93], v[46:47]
	v_div_scale_f64 v[92:93], vcc_lo, 1.0, v[30:31], 1.0
	v_mul_f64 v[94:95], v[92:93], v[46:47]
	s_delay_alu instid0(VALU_DEP_1) | instskip(NEXT) | instid1(VALU_DEP_1)
	v_fma_f64 v[44:45], -v[44:45], v[94:95], v[92:93]
	v_div_fmas_f64 v[44:45], v[44:45], v[46:47], v[94:95]
	s_delay_alu instid0(VALU_DEP_1) | instskip(NEXT) | instid1(VALU_DEP_1)
	v_div_fixup_f64 v[112:113], v[44:45], v[30:31], 1.0
	v_mul_f64 v[114:115], v[28:29], -v[112:113]
.LBB54_156:
	s_or_b32 exec_lo, exec_lo, s2
.LBB54_157:
	s_delay_alu instid0(SALU_CYCLE_1) | instskip(NEXT) | instid1(SALU_CYCLE_1)
	s_or_b32 exec_lo, exec_lo, s3
	s_mov_b32 s2, exec_lo
	v_cmpx_ne_u32_e64 v140, v116
	s_xor_b32 s2, exec_lo, s2
	s_cbranch_execz .LBB54_163
; %bb.158:
	s_mov_b32 s3, exec_lo
	v_cmpx_eq_u32_e32 7, v140
	s_cbranch_execz .LBB54_162
; %bb.159:
	v_cmp_ne_u32_e32 vcc_lo, 7, v116
	s_xor_b32 s6, s4, -1
	s_delay_alu instid0(SALU_CYCLE_1) | instskip(NEXT) | instid1(SALU_CYCLE_1)
	s_and_b32 s7, s6, vcc_lo
	s_and_saveexec_b32 s6, s7
	s_cbranch_execz .LBB54_161
; %bb.160:
	v_ashrrev_i32_e32 v117, 31, v116
	s_delay_alu instid0(VALU_DEP_1) | instskip(NEXT) | instid1(VALU_DEP_1)
	v_lshlrev_b64 v[28:29], 2, v[116:117]
	v_add_co_u32 v28, vcc_lo, v78, v28
	s_delay_alu instid0(VALU_DEP_2)
	v_add_co_ci_u32_e32 v29, vcc_lo, v79, v29, vcc_lo
	s_clause 0x1
	flat_load_b32 v30, v[28:29]
	flat_load_b32 v31, v[78:79] offset:28
	s_waitcnt vmcnt(1) lgkmcnt(1)
	flat_store_b32 v[78:79], v30 offset:28
	s_waitcnt vmcnt(0) lgkmcnt(1)
	flat_store_b32 v[28:29], v31
.LBB54_161:
	s_or_b32 exec_lo, exec_lo, s6
	v_mov_b32_e32 v140, v116
	v_mov_b32_e32 v231, v116
.LBB54_162:
	s_or_b32 exec_lo, exec_lo, s3
.LBB54_163:
	s_and_not1_saveexec_b32 s2, s2
	s_cbranch_execz .LBB54_165
; %bb.164:
	ds_store_2addr_b64 v138, v[249:250], v[251:252] offset0:16 offset1:17
	ds_store_2addr_b64 v138, v[219:220], v[221:222] offset0:18 offset1:19
	scratch_load_b128 v[0:3], off, off offset:16 ; 16-byte Folded Reload
	v_mov_b32_e32 v140, 7
	s_waitcnt vmcnt(0)
	ds_store_2addr_b64 v138, v[0:1], v[2:3] offset0:20 offset1:21
	scratch_load_b128 v[0:3], off, off      ; 16-byte Folded Reload
	s_waitcnt vmcnt(0)
	ds_store_2addr_b64 v138, v[0:1], v[2:3] offset0:22 offset1:23
	ds_store_2addr_b64 v138, v[64:65], v[66:67] offset0:24 offset1:25
	;; [unrolled: 1-line block ×17, first 2 shown]
.LBB54_165:
	s_or_b32 exec_lo, exec_lo, s2
	s_delay_alu instid0(SALU_CYCLE_1)
	s_mov_b32 s2, exec_lo
	s_waitcnt lgkmcnt(0)
	s_waitcnt_vscnt null, 0x0
	s_barrier
	buffer_gl0_inv
	v_cmpx_lt_i32_e32 7, v140
	s_cbranch_execz .LBB54_167
; %bb.166:
	v_mul_f64 v[30:31], v[112:113], v[90:91]
	v_mul_f64 v[28:29], v[114:115], v[90:91]
	s_delay_alu instid0(VALU_DEP_2) | instskip(NEXT) | instid1(VALU_DEP_2)
	v_fma_f64 v[90:91], v[114:115], v[88:89], v[30:31]
	v_fma_f64 v[28:29], v[112:113], v[88:89], -v[28:29]
	ds_load_2addr_b64 v[112:115], v138 offset0:16 offset1:17
	ds_load_2addr_b64 v[116:119], v138 offset0:18 offset1:19
	s_waitcnt lgkmcnt(1)
	v_mul_f64 v[30:31], v[114:115], v[90:91]
	v_mul_f64 v[44:45], v[112:113], v[90:91]
	s_waitcnt lgkmcnt(0)
	v_mul_f64 v[46:47], v[118:119], v[90:91]
	v_mul_f64 v[88:89], v[116:117], v[90:91]
	s_delay_alu instid0(VALU_DEP_4) | instskip(NEXT) | instid1(VALU_DEP_4)
	v_fma_f64 v[30:31], v[112:113], v[28:29], -v[30:31]
	v_fma_f64 v[44:45], v[114:115], v[28:29], v[44:45]
	s_delay_alu instid0(VALU_DEP_4) | instskip(NEXT) | instid1(VALU_DEP_4)
	v_fma_f64 v[46:47], v[116:117], v[28:29], -v[46:47]
	v_fma_f64 v[88:89], v[118:119], v[28:29], v[88:89]
	ds_load_2addr_b64 v[112:115], v138 offset0:20 offset1:21
	ds_load_2addr_b64 v[116:119], v138 offset0:22 offset1:23
	s_waitcnt lgkmcnt(1)
	v_mul_f64 v[92:93], v[114:115], v[90:91]
	v_mul_f64 v[94:95], v[112:113], v[90:91]
	s_waitcnt lgkmcnt(0)
	v_mul_f64 v[96:97], v[118:119], v[90:91]
	v_mul_f64 v[98:99], v[116:117], v[90:91]
	v_add_f64 v[249:250], v[249:250], -v[30:31]
	v_add_f64 v[251:252], v[251:252], -v[44:45]
	;; [unrolled: 1-line block ×4, first 2 shown]
	v_dual_mov_b32 v89, v29 :: v_dual_mov_b32 v88, v28
	v_fma_f64 v[92:93], v[112:113], v[28:29], -v[92:93]
	v_fma_f64 v[94:95], v[114:115], v[28:29], v[94:95]
	v_fma_f64 v[96:97], v[116:117], v[28:29], -v[96:97]
	v_fma_f64 v[98:99], v[118:119], v[28:29], v[98:99]
	ds_load_2addr_b64 v[112:115], v138 offset0:24 offset1:25
	ds_load_2addr_b64 v[116:119], v138 offset0:26 offset1:27
	s_waitcnt lgkmcnt(1)
	v_mul_f64 v[100:101], v[114:115], v[90:91]
	v_mul_f64 v[102:103], v[112:113], v[90:91]
	s_waitcnt lgkmcnt(0)
	v_mul_f64 v[104:105], v[118:119], v[90:91]
	v_mul_f64 v[106:107], v[116:117], v[90:91]
	s_delay_alu instid0(VALU_DEP_4) | instskip(NEXT) | instid1(VALU_DEP_4)
	v_fma_f64 v[100:101], v[112:113], v[28:29], -v[100:101]
	v_fma_f64 v[102:103], v[114:115], v[28:29], v[102:103]
	s_delay_alu instid0(VALU_DEP_4) | instskip(NEXT) | instid1(VALU_DEP_4)
	v_fma_f64 v[104:105], v[116:117], v[28:29], -v[104:105]
	v_fma_f64 v[106:107], v[118:119], v[28:29], v[106:107]
	ds_load_2addr_b64 v[112:115], v138 offset0:28 offset1:29
	ds_load_2addr_b64 v[116:119], v138 offset0:30 offset1:31
	s_waitcnt lgkmcnt(1)
	v_mul_f64 v[108:109], v[114:115], v[90:91]
	v_mul_f64 v[110:111], v[112:113], v[90:91]
	v_add_f64 v[64:65], v[64:65], -v[100:101]
	v_add_f64 v[66:67], v[66:67], -v[102:103]
	;; [unrolled: 1-line block ×4, first 2 shown]
	v_fma_f64 v[108:109], v[112:113], v[28:29], -v[108:109]
	s_waitcnt lgkmcnt(0)
	v_mul_f64 v[112:113], v[118:119], v[90:91]
	v_fma_f64 v[110:111], v[114:115], v[28:29], v[110:111]
	s_delay_alu instid0(VALU_DEP_3) | instskip(NEXT) | instid1(VALU_DEP_3)
	v_add_f64 v[72:73], v[72:73], -v[108:109]
	v_fma_f64 v[120:121], v[116:117], v[28:29], -v[112:113]
	v_mul_f64 v[112:113], v[116:117], v[90:91]
	s_delay_alu instid0(VALU_DEP_4) | instskip(NEXT) | instid1(VALU_DEP_3)
	v_add_f64 v[74:75], v[74:75], -v[110:111]
	v_add_f64 v[68:69], v[68:69], -v[120:121]
	s_delay_alu instid0(VALU_DEP_3)
	v_fma_f64 v[122:123], v[118:119], v[28:29], v[112:113]
	ds_load_2addr_b64 v[112:115], v138 offset0:32 offset1:33
	ds_load_2addr_b64 v[116:119], v138 offset0:34 offset1:35
	s_waitcnt lgkmcnt(1)
	v_mul_f64 v[124:125], v[114:115], v[90:91]
	v_add_f64 v[70:71], v[70:71], -v[122:123]
	s_delay_alu instid0(VALU_DEP_2) | instskip(SKIP_1) | instid1(VALU_DEP_2)
	v_fma_f64 v[124:125], v[112:113], v[28:29], -v[124:125]
	v_mul_f64 v[112:113], v[112:113], v[90:91]
	v_add_f64 v[56:57], v[56:57], -v[124:125]
	s_delay_alu instid0(VALU_DEP_2) | instskip(SKIP_2) | instid1(VALU_DEP_2)
	v_fma_f64 v[126:127], v[114:115], v[28:29], v[112:113]
	s_waitcnt lgkmcnt(0)
	v_mul_f64 v[112:113], v[118:119], v[90:91]
	v_add_f64 v[58:59], v[58:59], -v[126:127]
	s_delay_alu instid0(VALU_DEP_2) | instskip(SKIP_1) | instid1(VALU_DEP_2)
	v_fma_f64 v[128:129], v[116:117], v[28:29], -v[112:113]
	v_mul_f64 v[112:113], v[116:117], v[90:91]
	v_add_f64 v[52:53], v[52:53], -v[128:129]
	s_delay_alu instid0(VALU_DEP_2)
	v_fma_f64 v[130:131], v[118:119], v[28:29], v[112:113]
	ds_load_2addr_b64 v[112:115], v138 offset0:36 offset1:37
	ds_load_2addr_b64 v[116:119], v138 offset0:38 offset1:39
	s_waitcnt lgkmcnt(1)
	v_mul_f64 v[132:133], v[114:115], v[90:91]
	v_add_f64 v[54:55], v[54:55], -v[130:131]
	s_delay_alu instid0(VALU_DEP_2) | instskip(SKIP_1) | instid1(VALU_DEP_2)
	v_fma_f64 v[132:133], v[112:113], v[28:29], -v[132:133]
	v_mul_f64 v[112:113], v[112:113], v[90:91]
	v_add_f64 v[40:41], v[40:41], -v[132:133]
	s_delay_alu instid0(VALU_DEP_2) | instskip(SKIP_2) | instid1(VALU_DEP_2)
	v_fma_f64 v[141:142], v[114:115], v[28:29], v[112:113]
	s_waitcnt lgkmcnt(0)
	v_mul_f64 v[112:113], v[118:119], v[90:91]
	v_add_f64 v[42:43], v[42:43], -v[141:142]
	s_delay_alu instid0(VALU_DEP_2) | instskip(SKIP_1) | instid1(VALU_DEP_2)
	v_fma_f64 v[143:144], v[116:117], v[28:29], -v[112:113]
	v_mul_f64 v[112:113], v[116:117], v[90:91]
	v_add_f64 v[36:37], v[36:37], -v[143:144]
	s_delay_alu instid0(VALU_DEP_2)
	;; [unrolled: 20-line block ×5, first 2 shown]
	v_fma_f64 v[169:170], v[118:119], v[28:29], v[112:113]
	ds_load_2addr_b64 v[112:115], v138 offset0:52 offset1:53
	ds_load_2addr_b64 v[116:119], v138 offset0:54 offset1:55
	scratch_load_b128 v[0:3], off, off offset:16 ; 16-byte Folded Reload
	s_waitcnt lgkmcnt(1)
	v_mul_f64 v[171:172], v[114:115], v[90:91]
	v_add_f64 v[10:11], v[10:11], -v[169:170]
	s_delay_alu instid0(VALU_DEP_2) | instskip(SKIP_1) | instid1(VALU_DEP_2)
	v_fma_f64 v[171:172], v[112:113], v[28:29], -v[171:172]
	v_mul_f64 v[112:113], v[112:113], v[90:91]
	v_add_f64 v[4:5], v[4:5], -v[171:172]
	s_delay_alu instid0(VALU_DEP_2) | instskip(SKIP_2) | instid1(VALU_DEP_2)
	v_fma_f64 v[112:113], v[114:115], v[28:29], v[112:113]
	s_waitcnt lgkmcnt(0)
	v_mul_f64 v[114:115], v[118:119], v[90:91]
	v_add_f64 v[6:7], v[6:7], -v[112:113]
	s_delay_alu instid0(VALU_DEP_2) | instskip(SKIP_1) | instid1(VALU_DEP_2)
	v_fma_f64 v[114:115], v[116:117], v[28:29], -v[114:115]
	v_mul_f64 v[116:117], v[116:117], v[90:91]
	v_add_f64 v[134:135], v[134:135], -v[114:115]
	s_delay_alu instid0(VALU_DEP_2) | instskip(NEXT) | instid1(VALU_DEP_1)
	v_fma_f64 v[116:117], v[118:119], v[28:29], v[116:117]
	v_add_f64 v[136:137], v[136:137], -v[116:117]
	s_waitcnt vmcnt(0)
	v_add_f64 v[0:1], v[0:1], -v[92:93]
	v_add_f64 v[2:3], v[2:3], -v[94:95]
	scratch_store_b128 off, v[0:3], off offset:16 ; 16-byte Folded Spill
	scratch_load_b128 v[0:3], off, off      ; 16-byte Folded Reload
	s_waitcnt vmcnt(0)
	v_add_f64 v[0:1], v[0:1], -v[96:97]
	v_add_f64 v[2:3], v[2:3], -v[98:99]
	scratch_store_b128 off, v[0:3], off     ; 16-byte Folded Spill
.LBB54_167:
	s_or_b32 exec_lo, exec_lo, s2
	v_lshl_add_u32 v28, v140, 4, v138
	s_waitcnt_vscnt null, 0x0
	s_barrier
	buffer_gl0_inv
	v_mov_b32_e32 v116, 8
	ds_store_2addr_b64 v28, v[249:250], v[251:252] offset1:1
	s_waitcnt lgkmcnt(0)
	s_barrier
	buffer_gl0_inv
	ds_load_2addr_b64 v[112:115], v138 offset0:16 offset1:17
	s_cmp_lt_i32 s5, 10
	s_cbranch_scc1 .LBB54_170
; %bb.168:
	v_add3_u32 v117, v62, 0, 0x90
	v_mov_b32_e32 v116, 8
	s_mov_b32 s6, 9
	s_set_inst_prefetch_distance 0x1
	.p2align	6
.LBB54_169:                             ; =>This Inner Loop Header: Depth=1
	ds_load_2addr_b64 v[118:121], v117 offset1:1
	s_waitcnt lgkmcnt(1)
	v_cmp_gt_f64_e32 vcc_lo, 0, v[112:113]
	v_xor_b32_e32 v28, 0x80000000, v113
	v_cmp_gt_f64_e64 s2, 0, v[114:115]
	v_xor_b32_e32 v30, 0x80000000, v115
	v_add_nc_u32_e32 v117, 16, v117
	s_waitcnt lgkmcnt(0)
	v_cmp_gt_f64_e64 s3, 0, v[118:119]
	v_mov_b32_e32 v44, v118
	v_dual_mov_b32 v46, v120 :: v_dual_cndmask_b32 v29, v113, v28
	v_xor_b32_e32 v28, 0x80000000, v119
	v_cndmask_b32_e64 v31, v115, v30, s2
	v_xor_b32_e32 v30, 0x80000000, v121
	s_delay_alu instid0(VALU_DEP_3) | instskip(SKIP_2) | instid1(VALU_DEP_2)
	v_cndmask_b32_e64 v45, v119, v28, s3
	v_cmp_gt_f64_e64 s3, 0, v[120:121]
	v_cndmask_b32_e32 v28, v112, v112, vcc_lo
	v_cndmask_b32_e64 v47, v121, v30, s3
	v_cndmask_b32_e64 v30, v114, v114, s2
	s_delay_alu instid0(VALU_DEP_2) | instskip(NEXT) | instid1(VALU_DEP_2)
	v_add_f64 v[44:45], v[44:45], v[46:47]
	v_add_f64 v[28:29], v[28:29], v[30:31]
	s_delay_alu instid0(VALU_DEP_1)
	v_cmp_lt_f64_e32 vcc_lo, v[28:29], v[44:45]
	v_cndmask_b32_e32 v115, v115, v121, vcc_lo
	v_dual_cndmask_b32 v113, v113, v119 :: v_dual_cndmask_b32 v112, v112, v118
	v_cndmask_b32_e32 v114, v114, v120, vcc_lo
	v_cndmask_b32_e64 v116, v116, s6, vcc_lo
	s_add_i32 s6, s6, 1
	s_delay_alu instid0(SALU_CYCLE_1)
	s_cmp_lg_u32 s5, s6
	s_cbranch_scc1 .LBB54_169
.LBB54_170:
	s_set_inst_prefetch_distance 0x2
	s_waitcnt lgkmcnt(0)
	v_cmp_eq_f64_e32 vcc_lo, 0, v[112:113]
	v_cmp_eq_f64_e64 s2, 0, v[114:115]
	s_delay_alu instid0(VALU_DEP_1) | instskip(NEXT) | instid1(SALU_CYCLE_1)
	s_and_b32 s2, vcc_lo, s2
	s_and_saveexec_b32 s3, s2
	s_delay_alu instid0(SALU_CYCLE_1)
	s_xor_b32 s2, exec_lo, s3
; %bb.171:
	v_cmp_ne_u32_e32 vcc_lo, 0, v232
	v_cndmask_b32_e32 v232, 9, v232, vcc_lo
; %bb.172:
	s_and_not1_saveexec_b32 s3, s2
	s_cbranch_execz .LBB54_178
; %bb.173:
	v_cmp_gt_f64_e32 vcc_lo, 0, v[112:113]
	v_cmp_gt_f64_e64 s2, 0, v[114:115]
	v_xor_b32_e32 v28, 0x80000000, v113
	v_xor_b32_e32 v30, 0x80000000, v115
	s_delay_alu instid0(VALU_DEP_2) | instskip(NEXT) | instid1(VALU_DEP_2)
	v_cndmask_b32_e32 v29, v113, v28, vcc_lo
	v_cndmask_b32_e64 v31, v115, v30, s2
	v_cndmask_b32_e32 v28, v112, v112, vcc_lo
	v_cndmask_b32_e64 v30, v114, v114, s2
	s_mov_b32 s2, exec_lo
	s_delay_alu instid0(VALU_DEP_1)
	v_cmpx_ngt_f64_e32 v[28:29], v[30:31]
	s_xor_b32 s2, exec_lo, s2
	s_cbranch_execz .LBB54_175
; %bb.174:
	v_div_scale_f64 v[28:29], null, v[114:115], v[114:115], v[112:113]
	v_div_scale_f64 v[46:47], vcc_lo, v[112:113], v[114:115], v[112:113]
	s_delay_alu instid0(VALU_DEP_2) | instskip(SKIP_2) | instid1(VALU_DEP_1)
	v_rcp_f64_e32 v[30:31], v[28:29]
	s_waitcnt_depctr 0xfff
	v_fma_f64 v[44:45], -v[28:29], v[30:31], 1.0
	v_fma_f64 v[30:31], v[30:31], v[44:45], v[30:31]
	s_delay_alu instid0(VALU_DEP_1) | instskip(NEXT) | instid1(VALU_DEP_1)
	v_fma_f64 v[44:45], -v[28:29], v[30:31], 1.0
	v_fma_f64 v[30:31], v[30:31], v[44:45], v[30:31]
	s_delay_alu instid0(VALU_DEP_1) | instskip(NEXT) | instid1(VALU_DEP_1)
	v_mul_f64 v[44:45], v[46:47], v[30:31]
	v_fma_f64 v[28:29], -v[28:29], v[44:45], v[46:47]
	s_delay_alu instid0(VALU_DEP_1) | instskip(NEXT) | instid1(VALU_DEP_1)
	v_div_fmas_f64 v[28:29], v[28:29], v[30:31], v[44:45]
	v_div_fixup_f64 v[28:29], v[28:29], v[114:115], v[112:113]
	s_delay_alu instid0(VALU_DEP_1) | instskip(NEXT) | instid1(VALU_DEP_1)
	v_fma_f64 v[30:31], v[112:113], v[28:29], v[114:115]
	v_div_scale_f64 v[44:45], null, v[30:31], v[30:31], 1.0
	s_delay_alu instid0(VALU_DEP_1) | instskip(SKIP_2) | instid1(VALU_DEP_1)
	v_rcp_f64_e32 v[46:47], v[44:45]
	s_waitcnt_depctr 0xfff
	v_fma_f64 v[92:93], -v[44:45], v[46:47], 1.0
	v_fma_f64 v[46:47], v[46:47], v[92:93], v[46:47]
	s_delay_alu instid0(VALU_DEP_1) | instskip(NEXT) | instid1(VALU_DEP_1)
	v_fma_f64 v[92:93], -v[44:45], v[46:47], 1.0
	v_fma_f64 v[46:47], v[46:47], v[92:93], v[46:47]
	v_div_scale_f64 v[92:93], vcc_lo, 1.0, v[30:31], 1.0
	s_delay_alu instid0(VALU_DEP_1) | instskip(NEXT) | instid1(VALU_DEP_1)
	v_mul_f64 v[94:95], v[92:93], v[46:47]
	v_fma_f64 v[44:45], -v[44:45], v[94:95], v[92:93]
	s_delay_alu instid0(VALU_DEP_1) | instskip(NEXT) | instid1(VALU_DEP_1)
	v_div_fmas_f64 v[44:45], v[44:45], v[46:47], v[94:95]
	v_div_fixup_f64 v[114:115], v[44:45], v[30:31], 1.0
	s_delay_alu instid0(VALU_DEP_1)
	v_mul_f64 v[112:113], v[28:29], v[114:115]
	v_xor_b32_e32 v115, 0x80000000, v115
.LBB54_175:
	s_and_not1_saveexec_b32 s2, s2
	s_cbranch_execz .LBB54_177
; %bb.176:
	s_delay_alu instid0(VALU_DEP_1) | instskip(SKIP_1) | instid1(VALU_DEP_2)
	v_div_scale_f64 v[28:29], null, v[112:113], v[112:113], v[114:115]
	v_div_scale_f64 v[46:47], vcc_lo, v[114:115], v[112:113], v[114:115]
	v_rcp_f64_e32 v[30:31], v[28:29]
	s_waitcnt_depctr 0xfff
	v_fma_f64 v[44:45], -v[28:29], v[30:31], 1.0
	s_delay_alu instid0(VALU_DEP_1) | instskip(NEXT) | instid1(VALU_DEP_1)
	v_fma_f64 v[30:31], v[30:31], v[44:45], v[30:31]
	v_fma_f64 v[44:45], -v[28:29], v[30:31], 1.0
	s_delay_alu instid0(VALU_DEP_1) | instskip(NEXT) | instid1(VALU_DEP_1)
	v_fma_f64 v[30:31], v[30:31], v[44:45], v[30:31]
	v_mul_f64 v[44:45], v[46:47], v[30:31]
	s_delay_alu instid0(VALU_DEP_1) | instskip(NEXT) | instid1(VALU_DEP_1)
	v_fma_f64 v[28:29], -v[28:29], v[44:45], v[46:47]
	v_div_fmas_f64 v[28:29], v[28:29], v[30:31], v[44:45]
	s_delay_alu instid0(VALU_DEP_1) | instskip(NEXT) | instid1(VALU_DEP_1)
	v_div_fixup_f64 v[28:29], v[28:29], v[112:113], v[114:115]
	v_fma_f64 v[30:31], v[114:115], v[28:29], v[112:113]
	s_delay_alu instid0(VALU_DEP_1) | instskip(NEXT) | instid1(VALU_DEP_1)
	v_div_scale_f64 v[44:45], null, v[30:31], v[30:31], 1.0
	v_rcp_f64_e32 v[46:47], v[44:45]
	s_waitcnt_depctr 0xfff
	v_fma_f64 v[92:93], -v[44:45], v[46:47], 1.0
	s_delay_alu instid0(VALU_DEP_1) | instskip(NEXT) | instid1(VALU_DEP_1)
	v_fma_f64 v[46:47], v[46:47], v[92:93], v[46:47]
	v_fma_f64 v[92:93], -v[44:45], v[46:47], 1.0
	s_delay_alu instid0(VALU_DEP_1) | instskip(SKIP_1) | instid1(VALU_DEP_1)
	v_fma_f64 v[46:47], v[46:47], v[92:93], v[46:47]
	v_div_scale_f64 v[92:93], vcc_lo, 1.0, v[30:31], 1.0
	v_mul_f64 v[94:95], v[92:93], v[46:47]
	s_delay_alu instid0(VALU_DEP_1) | instskip(NEXT) | instid1(VALU_DEP_1)
	v_fma_f64 v[44:45], -v[44:45], v[94:95], v[92:93]
	v_div_fmas_f64 v[44:45], v[44:45], v[46:47], v[94:95]
	s_delay_alu instid0(VALU_DEP_1) | instskip(NEXT) | instid1(VALU_DEP_1)
	v_div_fixup_f64 v[112:113], v[44:45], v[30:31], 1.0
	v_mul_f64 v[114:115], v[28:29], -v[112:113]
.LBB54_177:
	s_or_b32 exec_lo, exec_lo, s2
.LBB54_178:
	s_delay_alu instid0(SALU_CYCLE_1) | instskip(NEXT) | instid1(SALU_CYCLE_1)
	s_or_b32 exec_lo, exec_lo, s3
	s_mov_b32 s2, exec_lo
	v_cmpx_ne_u32_e64 v140, v116
	s_xor_b32 s2, exec_lo, s2
	s_cbranch_execz .LBB54_184
; %bb.179:
	s_mov_b32 s3, exec_lo
	v_cmpx_eq_u32_e32 8, v140
	s_cbranch_execz .LBB54_183
; %bb.180:
	v_cmp_ne_u32_e32 vcc_lo, 8, v116
	s_xor_b32 s6, s4, -1
	s_delay_alu instid0(SALU_CYCLE_1) | instskip(NEXT) | instid1(SALU_CYCLE_1)
	s_and_b32 s7, s6, vcc_lo
	s_and_saveexec_b32 s6, s7
	s_cbranch_execz .LBB54_182
; %bb.181:
	v_ashrrev_i32_e32 v117, 31, v116
	s_delay_alu instid0(VALU_DEP_1) | instskip(NEXT) | instid1(VALU_DEP_1)
	v_lshlrev_b64 v[28:29], 2, v[116:117]
	v_add_co_u32 v28, vcc_lo, v78, v28
	s_delay_alu instid0(VALU_DEP_2)
	v_add_co_ci_u32_e32 v29, vcc_lo, v79, v29, vcc_lo
	s_clause 0x1
	flat_load_b32 v30, v[28:29]
	flat_load_b32 v31, v[78:79] offset:32
	s_waitcnt vmcnt(1) lgkmcnt(1)
	flat_store_b32 v[78:79], v30 offset:32
	s_waitcnt vmcnt(0) lgkmcnt(1)
	flat_store_b32 v[28:29], v31
.LBB54_182:
	s_or_b32 exec_lo, exec_lo, s6
	v_mov_b32_e32 v140, v116
	v_mov_b32_e32 v231, v116
.LBB54_183:
	s_or_b32 exec_lo, exec_lo, s3
.LBB54_184:
	s_and_not1_saveexec_b32 s2, s2
	s_cbranch_execz .LBB54_186
; %bb.185:
	scratch_load_b128 v[0:3], off, off offset:16 ; 16-byte Folded Reload
	ds_store_2addr_b64 v138, v[219:220], v[221:222] offset0:18 offset1:19
	v_mov_b32_e32 v140, 8
	s_waitcnt vmcnt(0)
	ds_store_2addr_b64 v138, v[0:1], v[2:3] offset0:20 offset1:21
	scratch_load_b128 v[0:3], off, off      ; 16-byte Folded Reload
	s_waitcnt vmcnt(0)
	ds_store_2addr_b64 v138, v[0:1], v[2:3] offset0:22 offset1:23
	ds_store_2addr_b64 v138, v[64:65], v[66:67] offset0:24 offset1:25
	;; [unrolled: 1-line block ×17, first 2 shown]
.LBB54_186:
	s_or_b32 exec_lo, exec_lo, s2
	s_delay_alu instid0(SALU_CYCLE_1)
	s_mov_b32 s2, exec_lo
	s_waitcnt lgkmcnt(0)
	s_waitcnt_vscnt null, 0x0
	s_barrier
	buffer_gl0_inv
	v_cmpx_lt_i32_e32 8, v140
	s_cbranch_execz .LBB54_188
; %bb.187:
	v_mul_f64 v[30:31], v[112:113], v[251:252]
	v_mul_f64 v[28:29], v[114:115], v[251:252]
	v_dual_mov_b32 v0, v80 :: v_dual_mov_b32 v1, v81
	v_dual_mov_b32 v2, v82 :: v_dual_mov_b32 v3, v83
	s_delay_alu instid0(VALU_DEP_4) | instskip(NEXT) | instid1(VALU_DEP_4)
	v_fma_f64 v[251:252], v[114:115], v[249:250], v[30:31]
	v_fma_f64 v[28:29], v[112:113], v[249:250], -v[28:29]
	ds_load_2addr_b64 v[112:115], v138 offset0:18 offset1:19
	ds_load_2addr_b64 v[116:119], v138 offset0:20 offset1:21
	s_waitcnt lgkmcnt(1)
	v_mul_f64 v[30:31], v[114:115], v[251:252]
	v_mul_f64 v[44:45], v[112:113], v[251:252]
	s_waitcnt lgkmcnt(0)
	v_mul_f64 v[46:47], v[118:119], v[251:252]
	v_mul_f64 v[80:81], v[116:117], v[251:252]
	v_dual_mov_b32 v250, v29 :: v_dual_mov_b32 v249, v28
	v_fma_f64 v[30:31], v[112:113], v[28:29], -v[30:31]
	v_fma_f64 v[44:45], v[114:115], v[28:29], v[44:45]
	v_fma_f64 v[46:47], v[116:117], v[28:29], -v[46:47]
	v_fma_f64 v[80:81], v[118:119], v[28:29], v[80:81]
	ds_load_2addr_b64 v[112:115], v138 offset0:22 offset1:23
	ds_load_2addr_b64 v[116:119], v138 offset0:24 offset1:25
	s_waitcnt lgkmcnt(1)
	v_mul_f64 v[92:93], v[114:115], v[251:252]
	v_mul_f64 v[94:95], v[112:113], v[251:252]
	s_waitcnt lgkmcnt(0)
	v_mul_f64 v[96:97], v[118:119], v[251:252]
	v_mul_f64 v[98:99], v[116:117], v[251:252]
	v_add_f64 v[219:220], v[219:220], -v[30:31]
	v_add_f64 v[221:222], v[221:222], -v[44:45]
	v_fma_f64 v[92:93], v[112:113], v[28:29], -v[92:93]
	v_fma_f64 v[94:95], v[114:115], v[28:29], v[94:95]
	v_fma_f64 v[96:97], v[116:117], v[28:29], -v[96:97]
	v_fma_f64 v[98:99], v[118:119], v[28:29], v[98:99]
	ds_load_2addr_b64 v[112:115], v138 offset0:26 offset1:27
	ds_load_2addr_b64 v[116:119], v138 offset0:28 offset1:29
	s_waitcnt lgkmcnt(1)
	v_mul_f64 v[100:101], v[114:115], v[251:252]
	v_mul_f64 v[102:103], v[112:113], v[251:252]
	s_waitcnt lgkmcnt(0)
	v_mul_f64 v[104:105], v[118:119], v[251:252]
	v_mul_f64 v[106:107], v[116:117], v[251:252]
	v_add_f64 v[64:65], v[64:65], -v[96:97]
	v_add_f64 v[66:67], v[66:67], -v[98:99]
	v_fma_f64 v[100:101], v[112:113], v[28:29], -v[100:101]
	v_fma_f64 v[102:103], v[114:115], v[28:29], v[102:103]
	v_fma_f64 v[104:105], v[116:117], v[28:29], -v[104:105]
	v_fma_f64 v[106:107], v[118:119], v[28:29], v[106:107]
	ds_load_2addr_b64 v[112:115], v138 offset0:30 offset1:31
	ds_load_2addr_b64 v[116:119], v138 offset0:32 offset1:33
	s_waitcnt lgkmcnt(1)
	v_mul_f64 v[108:109], v[114:115], v[251:252]
	v_mul_f64 v[110:111], v[112:113], v[251:252]
	v_add_f64 v[48:49], v[48:49], -v[100:101]
	v_add_f64 v[50:51], v[50:51], -v[102:103]
	;; [unrolled: 1-line block ×4, first 2 shown]
	v_fma_f64 v[108:109], v[112:113], v[28:29], -v[108:109]
	s_waitcnt lgkmcnt(0)
	v_mul_f64 v[112:113], v[118:119], v[251:252]
	v_fma_f64 v[110:111], v[114:115], v[28:29], v[110:111]
	s_delay_alu instid0(VALU_DEP_3) | instskip(NEXT) | instid1(VALU_DEP_3)
	v_add_f64 v[68:69], v[68:69], -v[108:109]
	v_fma_f64 v[120:121], v[116:117], v[28:29], -v[112:113]
	v_mul_f64 v[112:113], v[116:117], v[251:252]
	s_delay_alu instid0(VALU_DEP_4) | instskip(NEXT) | instid1(VALU_DEP_3)
	v_add_f64 v[70:71], v[70:71], -v[110:111]
	v_add_f64 v[56:57], v[56:57], -v[120:121]
	s_delay_alu instid0(VALU_DEP_3)
	v_fma_f64 v[122:123], v[118:119], v[28:29], v[112:113]
	ds_load_2addr_b64 v[112:115], v138 offset0:34 offset1:35
	ds_load_2addr_b64 v[116:119], v138 offset0:36 offset1:37
	s_waitcnt lgkmcnt(1)
	v_mul_f64 v[124:125], v[114:115], v[251:252]
	v_add_f64 v[58:59], v[58:59], -v[122:123]
	s_delay_alu instid0(VALU_DEP_2) | instskip(SKIP_1) | instid1(VALU_DEP_2)
	v_fma_f64 v[124:125], v[112:113], v[28:29], -v[124:125]
	v_mul_f64 v[112:113], v[112:113], v[251:252]
	v_add_f64 v[52:53], v[52:53], -v[124:125]
	s_delay_alu instid0(VALU_DEP_2) | instskip(SKIP_2) | instid1(VALU_DEP_2)
	v_fma_f64 v[126:127], v[114:115], v[28:29], v[112:113]
	s_waitcnt lgkmcnt(0)
	v_mul_f64 v[112:113], v[118:119], v[251:252]
	v_add_f64 v[54:55], v[54:55], -v[126:127]
	s_delay_alu instid0(VALU_DEP_2) | instskip(SKIP_1) | instid1(VALU_DEP_2)
	v_fma_f64 v[128:129], v[116:117], v[28:29], -v[112:113]
	v_mul_f64 v[112:113], v[116:117], v[251:252]
	v_add_f64 v[40:41], v[40:41], -v[128:129]
	s_delay_alu instid0(VALU_DEP_2)
	v_fma_f64 v[130:131], v[118:119], v[28:29], v[112:113]
	ds_load_2addr_b64 v[112:115], v138 offset0:38 offset1:39
	ds_load_2addr_b64 v[116:119], v138 offset0:40 offset1:41
	s_waitcnt lgkmcnt(1)
	v_mul_f64 v[132:133], v[114:115], v[251:252]
	v_add_f64 v[42:43], v[42:43], -v[130:131]
	s_delay_alu instid0(VALU_DEP_2) | instskip(SKIP_1) | instid1(VALU_DEP_2)
	v_fma_f64 v[132:133], v[112:113], v[28:29], -v[132:133]
	v_mul_f64 v[112:113], v[112:113], v[251:252]
	v_add_f64 v[36:37], v[36:37], -v[132:133]
	s_delay_alu instid0(VALU_DEP_2) | instskip(SKIP_2) | instid1(VALU_DEP_2)
	v_fma_f64 v[141:142], v[114:115], v[28:29], v[112:113]
	s_waitcnt lgkmcnt(0)
	v_mul_f64 v[112:113], v[118:119], v[251:252]
	v_add_f64 v[38:39], v[38:39], -v[141:142]
	s_delay_alu instid0(VALU_DEP_2) | instskip(SKIP_1) | instid1(VALU_DEP_2)
	v_fma_f64 v[143:144], v[116:117], v[28:29], -v[112:113]
	v_mul_f64 v[112:113], v[116:117], v[251:252]
	v_add_f64 v[32:33], v[32:33], -v[143:144]
	s_delay_alu instid0(VALU_DEP_2)
	;; [unrolled: 20-line block ×4, first 2 shown]
	v_fma_f64 v[161:162], v[118:119], v[28:29], v[112:113]
	ds_load_2addr_b64 v[112:115], v138 offset0:50 offset1:51
	ds_load_2addr_b64 v[116:119], v138 offset0:52 offset1:53
	scratch_load_b128 v[82:85], off, off offset:16 ; 16-byte Folded Reload
	s_waitcnt lgkmcnt(1)
	v_mul_f64 v[163:164], v[114:115], v[251:252]
	v_add_f64 v[14:15], v[14:15], -v[161:162]
	s_delay_alu instid0(VALU_DEP_2) | instskip(SKIP_1) | instid1(VALU_DEP_2)
	v_fma_f64 v[163:164], v[112:113], v[28:29], -v[163:164]
	v_mul_f64 v[112:113], v[112:113], v[251:252]
	v_add_f64 v[8:9], v[8:9], -v[163:164]
	s_delay_alu instid0(VALU_DEP_2) | instskip(SKIP_2) | instid1(VALU_DEP_2)
	v_fma_f64 v[165:166], v[114:115], v[28:29], v[112:113]
	s_waitcnt lgkmcnt(0)
	v_mul_f64 v[112:113], v[118:119], v[251:252]
	v_add_f64 v[10:11], v[10:11], -v[165:166]
	s_delay_alu instid0(VALU_DEP_2) | instskip(SKIP_1) | instid1(VALU_DEP_2)
	v_fma_f64 v[167:168], v[116:117], v[28:29], -v[112:113]
	v_mul_f64 v[112:113], v[116:117], v[251:252]
	v_add_f64 v[4:5], v[4:5], -v[167:168]
	s_delay_alu instid0(VALU_DEP_2) | instskip(SKIP_4) | instid1(VALU_DEP_2)
	v_fma_f64 v[116:117], v[118:119], v[28:29], v[112:113]
	ds_load_2addr_b64 v[112:115], v138 offset0:54 offset1:55
	s_waitcnt lgkmcnt(0)
	v_mul_f64 v[118:119], v[114:115], v[251:252]
	v_add_f64 v[6:7], v[6:7], -v[116:117]
	v_fma_f64 v[118:119], v[112:113], v[28:29], -v[118:119]
	v_mul_f64 v[112:113], v[112:113], v[251:252]
	s_delay_alu instid0(VALU_DEP_2) | instskip(NEXT) | instid1(VALU_DEP_2)
	v_add_f64 v[134:135], v[134:135], -v[118:119]
	v_fma_f64 v[112:113], v[114:115], v[28:29], v[112:113]
	s_delay_alu instid0(VALU_DEP_1)
	v_add_f64 v[136:137], v[136:137], -v[112:113]
	s_waitcnt vmcnt(0)
	v_add_f64 v[82:83], v[82:83], -v[46:47]
	v_add_f64 v[84:85], v[84:85], -v[80:81]
	scratch_store_b128 off, v[82:85], off offset:16 ; 16-byte Folded Spill
	v_dual_mov_b32 v83, v3 :: v_dual_mov_b32 v82, v2
	v_dual_mov_b32 v81, v1 :: v_dual_mov_b32 v80, v0
	scratch_load_b128 v[0:3], off, off      ; 16-byte Folded Reload
	s_waitcnt vmcnt(0)
	v_add_f64 v[0:1], v[0:1], -v[92:93]
	v_add_f64 v[2:3], v[2:3], -v[94:95]
	scratch_store_b128 off, v[0:3], off     ; 16-byte Folded Spill
.LBB54_188:
	s_or_b32 exec_lo, exec_lo, s2
	v_lshl_add_u32 v28, v140, 4, v138
	s_waitcnt_vscnt null, 0x0
	s_barrier
	buffer_gl0_inv
	v_mov_b32_e32 v116, 9
	ds_store_2addr_b64 v28, v[219:220], v[221:222] offset1:1
	s_waitcnt lgkmcnt(0)
	s_barrier
	buffer_gl0_inv
	ds_load_2addr_b64 v[112:115], v138 offset0:18 offset1:19
	s_cmp_lt_i32 s5, 11
	s_cbranch_scc1 .LBB54_191
; %bb.189:
	v_add3_u32 v117, v62, 0, 0xa0
	v_mov_b32_e32 v116, 9
	s_mov_b32 s6, 10
	s_set_inst_prefetch_distance 0x1
	.p2align	6
.LBB54_190:                             ; =>This Inner Loop Header: Depth=1
	ds_load_2addr_b64 v[118:121], v117 offset1:1
	s_waitcnt lgkmcnt(1)
	v_cmp_gt_f64_e32 vcc_lo, 0, v[112:113]
	v_xor_b32_e32 v28, 0x80000000, v113
	v_cmp_gt_f64_e64 s2, 0, v[114:115]
	v_xor_b32_e32 v30, 0x80000000, v115
	v_add_nc_u32_e32 v117, 16, v117
	s_waitcnt lgkmcnt(0)
	v_cmp_gt_f64_e64 s3, 0, v[118:119]
	v_mov_b32_e32 v44, v118
	v_dual_mov_b32 v46, v120 :: v_dual_cndmask_b32 v29, v113, v28
	v_xor_b32_e32 v28, 0x80000000, v119
	v_cndmask_b32_e64 v31, v115, v30, s2
	v_xor_b32_e32 v30, 0x80000000, v121
	s_delay_alu instid0(VALU_DEP_3) | instskip(SKIP_2) | instid1(VALU_DEP_2)
	v_cndmask_b32_e64 v45, v119, v28, s3
	v_cmp_gt_f64_e64 s3, 0, v[120:121]
	v_cndmask_b32_e32 v28, v112, v112, vcc_lo
	v_cndmask_b32_e64 v47, v121, v30, s3
	v_cndmask_b32_e64 v30, v114, v114, s2
	s_delay_alu instid0(VALU_DEP_2) | instskip(NEXT) | instid1(VALU_DEP_2)
	v_add_f64 v[44:45], v[44:45], v[46:47]
	v_add_f64 v[28:29], v[28:29], v[30:31]
	s_delay_alu instid0(VALU_DEP_1)
	v_cmp_lt_f64_e32 vcc_lo, v[28:29], v[44:45]
	v_cndmask_b32_e32 v115, v115, v121, vcc_lo
	v_dual_cndmask_b32 v113, v113, v119 :: v_dual_cndmask_b32 v112, v112, v118
	v_cndmask_b32_e32 v114, v114, v120, vcc_lo
	v_cndmask_b32_e64 v116, v116, s6, vcc_lo
	s_add_i32 s6, s6, 1
	s_delay_alu instid0(SALU_CYCLE_1)
	s_cmp_lg_u32 s5, s6
	s_cbranch_scc1 .LBB54_190
.LBB54_191:
	s_set_inst_prefetch_distance 0x2
	s_waitcnt lgkmcnt(0)
	v_cmp_eq_f64_e32 vcc_lo, 0, v[112:113]
	v_cmp_eq_f64_e64 s2, 0, v[114:115]
	s_delay_alu instid0(VALU_DEP_1) | instskip(NEXT) | instid1(SALU_CYCLE_1)
	s_and_b32 s2, vcc_lo, s2
	s_and_saveexec_b32 s3, s2
	s_delay_alu instid0(SALU_CYCLE_1)
	s_xor_b32 s2, exec_lo, s3
; %bb.192:
	v_cmp_ne_u32_e32 vcc_lo, 0, v232
	v_cndmask_b32_e32 v232, 10, v232, vcc_lo
; %bb.193:
	s_and_not1_saveexec_b32 s3, s2
	s_cbranch_execz .LBB54_199
; %bb.194:
	v_cmp_gt_f64_e32 vcc_lo, 0, v[112:113]
	v_cmp_gt_f64_e64 s2, 0, v[114:115]
	v_xor_b32_e32 v28, 0x80000000, v113
	v_xor_b32_e32 v30, 0x80000000, v115
	s_delay_alu instid0(VALU_DEP_2) | instskip(NEXT) | instid1(VALU_DEP_2)
	v_cndmask_b32_e32 v29, v113, v28, vcc_lo
	v_cndmask_b32_e64 v31, v115, v30, s2
	v_cndmask_b32_e32 v28, v112, v112, vcc_lo
	v_cndmask_b32_e64 v30, v114, v114, s2
	s_mov_b32 s2, exec_lo
	s_delay_alu instid0(VALU_DEP_1)
	v_cmpx_ngt_f64_e32 v[28:29], v[30:31]
	s_xor_b32 s2, exec_lo, s2
	s_cbranch_execz .LBB54_196
; %bb.195:
	v_div_scale_f64 v[28:29], null, v[114:115], v[114:115], v[112:113]
	v_div_scale_f64 v[46:47], vcc_lo, v[112:113], v[114:115], v[112:113]
	s_delay_alu instid0(VALU_DEP_2) | instskip(SKIP_2) | instid1(VALU_DEP_1)
	v_rcp_f64_e32 v[30:31], v[28:29]
	s_waitcnt_depctr 0xfff
	v_fma_f64 v[44:45], -v[28:29], v[30:31], 1.0
	v_fma_f64 v[30:31], v[30:31], v[44:45], v[30:31]
	s_delay_alu instid0(VALU_DEP_1) | instskip(NEXT) | instid1(VALU_DEP_1)
	v_fma_f64 v[44:45], -v[28:29], v[30:31], 1.0
	v_fma_f64 v[30:31], v[30:31], v[44:45], v[30:31]
	s_delay_alu instid0(VALU_DEP_1) | instskip(NEXT) | instid1(VALU_DEP_1)
	v_mul_f64 v[44:45], v[46:47], v[30:31]
	v_fma_f64 v[28:29], -v[28:29], v[44:45], v[46:47]
	s_delay_alu instid0(VALU_DEP_1) | instskip(NEXT) | instid1(VALU_DEP_1)
	v_div_fmas_f64 v[28:29], v[28:29], v[30:31], v[44:45]
	v_div_fixup_f64 v[28:29], v[28:29], v[114:115], v[112:113]
	s_delay_alu instid0(VALU_DEP_1) | instskip(NEXT) | instid1(VALU_DEP_1)
	v_fma_f64 v[30:31], v[112:113], v[28:29], v[114:115]
	v_div_scale_f64 v[44:45], null, v[30:31], v[30:31], 1.0
	s_delay_alu instid0(VALU_DEP_1) | instskip(SKIP_2) | instid1(VALU_DEP_1)
	v_rcp_f64_e32 v[46:47], v[44:45]
	s_waitcnt_depctr 0xfff
	v_fma_f64 v[92:93], -v[44:45], v[46:47], 1.0
	v_fma_f64 v[46:47], v[46:47], v[92:93], v[46:47]
	s_delay_alu instid0(VALU_DEP_1) | instskip(NEXT) | instid1(VALU_DEP_1)
	v_fma_f64 v[92:93], -v[44:45], v[46:47], 1.0
	v_fma_f64 v[46:47], v[46:47], v[92:93], v[46:47]
	v_div_scale_f64 v[92:93], vcc_lo, 1.0, v[30:31], 1.0
	s_delay_alu instid0(VALU_DEP_1) | instskip(NEXT) | instid1(VALU_DEP_1)
	v_mul_f64 v[94:95], v[92:93], v[46:47]
	v_fma_f64 v[44:45], -v[44:45], v[94:95], v[92:93]
	s_delay_alu instid0(VALU_DEP_1) | instskip(NEXT) | instid1(VALU_DEP_1)
	v_div_fmas_f64 v[44:45], v[44:45], v[46:47], v[94:95]
	v_div_fixup_f64 v[114:115], v[44:45], v[30:31], 1.0
	s_delay_alu instid0(VALU_DEP_1)
	v_mul_f64 v[112:113], v[28:29], v[114:115]
	v_xor_b32_e32 v115, 0x80000000, v115
.LBB54_196:
	s_and_not1_saveexec_b32 s2, s2
	s_cbranch_execz .LBB54_198
; %bb.197:
	s_delay_alu instid0(VALU_DEP_1) | instskip(SKIP_1) | instid1(VALU_DEP_2)
	v_div_scale_f64 v[28:29], null, v[112:113], v[112:113], v[114:115]
	v_div_scale_f64 v[46:47], vcc_lo, v[114:115], v[112:113], v[114:115]
	v_rcp_f64_e32 v[30:31], v[28:29]
	s_waitcnt_depctr 0xfff
	v_fma_f64 v[44:45], -v[28:29], v[30:31], 1.0
	s_delay_alu instid0(VALU_DEP_1) | instskip(NEXT) | instid1(VALU_DEP_1)
	v_fma_f64 v[30:31], v[30:31], v[44:45], v[30:31]
	v_fma_f64 v[44:45], -v[28:29], v[30:31], 1.0
	s_delay_alu instid0(VALU_DEP_1) | instskip(NEXT) | instid1(VALU_DEP_1)
	v_fma_f64 v[30:31], v[30:31], v[44:45], v[30:31]
	v_mul_f64 v[44:45], v[46:47], v[30:31]
	s_delay_alu instid0(VALU_DEP_1) | instskip(NEXT) | instid1(VALU_DEP_1)
	v_fma_f64 v[28:29], -v[28:29], v[44:45], v[46:47]
	v_div_fmas_f64 v[28:29], v[28:29], v[30:31], v[44:45]
	s_delay_alu instid0(VALU_DEP_1) | instskip(NEXT) | instid1(VALU_DEP_1)
	v_div_fixup_f64 v[28:29], v[28:29], v[112:113], v[114:115]
	v_fma_f64 v[30:31], v[114:115], v[28:29], v[112:113]
	s_delay_alu instid0(VALU_DEP_1) | instskip(NEXT) | instid1(VALU_DEP_1)
	v_div_scale_f64 v[44:45], null, v[30:31], v[30:31], 1.0
	v_rcp_f64_e32 v[46:47], v[44:45]
	s_waitcnt_depctr 0xfff
	v_fma_f64 v[92:93], -v[44:45], v[46:47], 1.0
	s_delay_alu instid0(VALU_DEP_1) | instskip(NEXT) | instid1(VALU_DEP_1)
	v_fma_f64 v[46:47], v[46:47], v[92:93], v[46:47]
	v_fma_f64 v[92:93], -v[44:45], v[46:47], 1.0
	s_delay_alu instid0(VALU_DEP_1) | instskip(SKIP_1) | instid1(VALU_DEP_1)
	v_fma_f64 v[46:47], v[46:47], v[92:93], v[46:47]
	v_div_scale_f64 v[92:93], vcc_lo, 1.0, v[30:31], 1.0
	v_mul_f64 v[94:95], v[92:93], v[46:47]
	s_delay_alu instid0(VALU_DEP_1) | instskip(NEXT) | instid1(VALU_DEP_1)
	v_fma_f64 v[44:45], -v[44:45], v[94:95], v[92:93]
	v_div_fmas_f64 v[44:45], v[44:45], v[46:47], v[94:95]
	s_delay_alu instid0(VALU_DEP_1) | instskip(NEXT) | instid1(VALU_DEP_1)
	v_div_fixup_f64 v[112:113], v[44:45], v[30:31], 1.0
	v_mul_f64 v[114:115], v[28:29], -v[112:113]
.LBB54_198:
	s_or_b32 exec_lo, exec_lo, s2
.LBB54_199:
	s_delay_alu instid0(SALU_CYCLE_1) | instskip(NEXT) | instid1(SALU_CYCLE_1)
	s_or_b32 exec_lo, exec_lo, s3
	s_mov_b32 s2, exec_lo
	v_cmpx_ne_u32_e64 v140, v116
	s_xor_b32 s2, exec_lo, s2
	s_cbranch_execz .LBB54_205
; %bb.200:
	s_mov_b32 s3, exec_lo
	v_cmpx_eq_u32_e32 9, v140
	s_cbranch_execz .LBB54_204
; %bb.201:
	v_cmp_ne_u32_e32 vcc_lo, 9, v116
	s_xor_b32 s6, s4, -1
	s_delay_alu instid0(SALU_CYCLE_1) | instskip(NEXT) | instid1(SALU_CYCLE_1)
	s_and_b32 s7, s6, vcc_lo
	s_and_saveexec_b32 s6, s7
	s_cbranch_execz .LBB54_203
; %bb.202:
	v_ashrrev_i32_e32 v117, 31, v116
	s_delay_alu instid0(VALU_DEP_1) | instskip(NEXT) | instid1(VALU_DEP_1)
	v_lshlrev_b64 v[28:29], 2, v[116:117]
	v_add_co_u32 v28, vcc_lo, v78, v28
	s_delay_alu instid0(VALU_DEP_2)
	v_add_co_ci_u32_e32 v29, vcc_lo, v79, v29, vcc_lo
	s_clause 0x1
	flat_load_b32 v30, v[28:29]
	flat_load_b32 v31, v[78:79] offset:36
	s_waitcnt vmcnt(1) lgkmcnt(1)
	flat_store_b32 v[78:79], v30 offset:36
	s_waitcnt vmcnt(0) lgkmcnt(1)
	flat_store_b32 v[28:29], v31
.LBB54_203:
	s_or_b32 exec_lo, exec_lo, s6
	v_mov_b32_e32 v140, v116
	v_mov_b32_e32 v231, v116
.LBB54_204:
	s_or_b32 exec_lo, exec_lo, s3
.LBB54_205:
	s_and_not1_saveexec_b32 s2, s2
	s_cbranch_execz .LBB54_207
; %bb.206:
	scratch_load_b128 v[0:3], off, off offset:16 ; 16-byte Folded Reload
	v_mov_b32_e32 v140, 9
	s_waitcnt vmcnt(0)
	ds_store_2addr_b64 v138, v[0:1], v[2:3] offset0:20 offset1:21
	scratch_load_b128 v[0:3], off, off      ; 16-byte Folded Reload
	s_waitcnt vmcnt(0)
	ds_store_2addr_b64 v138, v[0:1], v[2:3] offset0:22 offset1:23
	ds_store_2addr_b64 v138, v[64:65], v[66:67] offset0:24 offset1:25
	;; [unrolled: 1-line block ×17, first 2 shown]
.LBB54_207:
	s_or_b32 exec_lo, exec_lo, s2
	s_delay_alu instid0(SALU_CYCLE_1)
	s_mov_b32 s2, exec_lo
	s_waitcnt lgkmcnt(0)
	s_waitcnt_vscnt null, 0x0
	s_barrier
	buffer_gl0_inv
	v_cmpx_lt_i32_e32 9, v140
	s_cbranch_execz .LBB54_209
; %bb.208:
	v_mul_f64 v[30:31], v[112:113], v[221:222]
	v_mul_f64 v[28:29], v[114:115], v[221:222]
	s_delay_alu instid0(VALU_DEP_2) | instskip(NEXT) | instid1(VALU_DEP_2)
	v_fma_f64 v[221:222], v[114:115], v[219:220], v[30:31]
	v_fma_f64 v[28:29], v[112:113], v[219:220], -v[28:29]
	ds_load_2addr_b64 v[112:115], v138 offset0:20 offset1:21
	ds_load_2addr_b64 v[116:119], v138 offset0:22 offset1:23
	s_waitcnt lgkmcnt(1)
	v_mul_f64 v[30:31], v[114:115], v[221:222]
	v_mul_f64 v[44:45], v[112:113], v[221:222]
	s_waitcnt lgkmcnt(0)
	v_mul_f64 v[46:47], v[118:119], v[221:222]
	v_mul_f64 v[76:77], v[116:117], v[221:222]
	v_dual_mov_b32 v220, v29 :: v_dual_mov_b32 v219, v28
	v_fma_f64 v[30:31], v[112:113], v[28:29], -v[30:31]
	v_fma_f64 v[44:45], v[114:115], v[28:29], v[44:45]
	v_fma_f64 v[46:47], v[116:117], v[28:29], -v[46:47]
	v_fma_f64 v[76:77], v[118:119], v[28:29], v[76:77]
	ds_load_2addr_b64 v[112:115], v138 offset0:24 offset1:25
	ds_load_2addr_b64 v[116:119], v138 offset0:26 offset1:27
	s_waitcnt lgkmcnt(1)
	v_mul_f64 v[92:93], v[114:115], v[221:222]
	v_mul_f64 v[94:95], v[112:113], v[221:222]
	s_waitcnt lgkmcnt(0)
	v_mul_f64 v[96:97], v[118:119], v[221:222]
	v_mul_f64 v[98:99], v[116:117], v[221:222]
	s_delay_alu instid0(VALU_DEP_4) | instskip(NEXT) | instid1(VALU_DEP_4)
	v_fma_f64 v[92:93], v[112:113], v[28:29], -v[92:93]
	v_fma_f64 v[94:95], v[114:115], v[28:29], v[94:95]
	s_delay_alu instid0(VALU_DEP_4) | instskip(NEXT) | instid1(VALU_DEP_4)
	v_fma_f64 v[96:97], v[116:117], v[28:29], -v[96:97]
	v_fma_f64 v[98:99], v[118:119], v[28:29], v[98:99]
	ds_load_2addr_b64 v[112:115], v138 offset0:28 offset1:29
	ds_load_2addr_b64 v[116:119], v138 offset0:30 offset1:31
	s_waitcnt lgkmcnt(1)
	v_mul_f64 v[100:101], v[114:115], v[221:222]
	v_mul_f64 v[102:103], v[112:113], v[221:222]
	s_waitcnt lgkmcnt(0)
	v_mul_f64 v[104:105], v[118:119], v[221:222]
	v_mul_f64 v[106:107], v[116:117], v[221:222]
	v_add_f64 v[64:65], v[64:65], -v[92:93]
	v_add_f64 v[66:67], v[66:67], -v[94:95]
	;; [unrolled: 1-line block ×4, first 2 shown]
	v_fma_f64 v[100:101], v[112:113], v[28:29], -v[100:101]
	v_fma_f64 v[102:103], v[114:115], v[28:29], v[102:103]
	v_fma_f64 v[104:105], v[116:117], v[28:29], -v[104:105]
	v_fma_f64 v[106:107], v[118:119], v[28:29], v[106:107]
	ds_load_2addr_b64 v[112:115], v138 offset0:32 offset1:33
	ds_load_2addr_b64 v[116:119], v138 offset0:34 offset1:35
	s_waitcnt lgkmcnt(1)
	v_mul_f64 v[108:109], v[114:115], v[221:222]
	v_mul_f64 v[110:111], v[112:113], v[221:222]
	v_add_f64 v[72:73], v[72:73], -v[100:101]
	v_add_f64 v[74:75], v[74:75], -v[102:103]
	;; [unrolled: 1-line block ×4, first 2 shown]
	v_fma_f64 v[108:109], v[112:113], v[28:29], -v[108:109]
	s_waitcnt lgkmcnt(0)
	v_mul_f64 v[112:113], v[118:119], v[221:222]
	v_fma_f64 v[110:111], v[114:115], v[28:29], v[110:111]
	s_delay_alu instid0(VALU_DEP_3) | instskip(NEXT) | instid1(VALU_DEP_3)
	v_add_f64 v[56:57], v[56:57], -v[108:109]
	v_fma_f64 v[120:121], v[116:117], v[28:29], -v[112:113]
	v_mul_f64 v[112:113], v[116:117], v[221:222]
	s_delay_alu instid0(VALU_DEP_4) | instskip(NEXT) | instid1(VALU_DEP_3)
	v_add_f64 v[58:59], v[58:59], -v[110:111]
	v_add_f64 v[52:53], v[52:53], -v[120:121]
	s_delay_alu instid0(VALU_DEP_3)
	v_fma_f64 v[122:123], v[118:119], v[28:29], v[112:113]
	ds_load_2addr_b64 v[112:115], v138 offset0:36 offset1:37
	ds_load_2addr_b64 v[116:119], v138 offset0:38 offset1:39
	s_waitcnt lgkmcnt(1)
	v_mul_f64 v[124:125], v[114:115], v[221:222]
	v_add_f64 v[54:55], v[54:55], -v[122:123]
	s_delay_alu instid0(VALU_DEP_2) | instskip(SKIP_1) | instid1(VALU_DEP_2)
	v_fma_f64 v[124:125], v[112:113], v[28:29], -v[124:125]
	v_mul_f64 v[112:113], v[112:113], v[221:222]
	v_add_f64 v[40:41], v[40:41], -v[124:125]
	s_delay_alu instid0(VALU_DEP_2) | instskip(SKIP_2) | instid1(VALU_DEP_2)
	v_fma_f64 v[126:127], v[114:115], v[28:29], v[112:113]
	s_waitcnt lgkmcnt(0)
	v_mul_f64 v[112:113], v[118:119], v[221:222]
	v_add_f64 v[42:43], v[42:43], -v[126:127]
	s_delay_alu instid0(VALU_DEP_2) | instskip(SKIP_1) | instid1(VALU_DEP_2)
	v_fma_f64 v[128:129], v[116:117], v[28:29], -v[112:113]
	v_mul_f64 v[112:113], v[116:117], v[221:222]
	v_add_f64 v[36:37], v[36:37], -v[128:129]
	s_delay_alu instid0(VALU_DEP_2)
	v_fma_f64 v[130:131], v[118:119], v[28:29], v[112:113]
	ds_load_2addr_b64 v[112:115], v138 offset0:40 offset1:41
	ds_load_2addr_b64 v[116:119], v138 offset0:42 offset1:43
	s_waitcnt lgkmcnt(1)
	v_mul_f64 v[132:133], v[114:115], v[221:222]
	v_add_f64 v[38:39], v[38:39], -v[130:131]
	s_delay_alu instid0(VALU_DEP_2) | instskip(SKIP_1) | instid1(VALU_DEP_2)
	v_fma_f64 v[132:133], v[112:113], v[28:29], -v[132:133]
	v_mul_f64 v[112:113], v[112:113], v[221:222]
	v_add_f64 v[32:33], v[32:33], -v[132:133]
	s_delay_alu instid0(VALU_DEP_2) | instskip(SKIP_2) | instid1(VALU_DEP_2)
	v_fma_f64 v[141:142], v[114:115], v[28:29], v[112:113]
	s_waitcnt lgkmcnt(0)
	v_mul_f64 v[112:113], v[118:119], v[221:222]
	v_add_f64 v[34:35], v[34:35], -v[141:142]
	s_delay_alu instid0(VALU_DEP_2) | instskip(SKIP_1) | instid1(VALU_DEP_2)
	v_fma_f64 v[143:144], v[116:117], v[28:29], -v[112:113]
	v_mul_f64 v[112:113], v[116:117], v[221:222]
	v_add_f64 v[24:25], v[24:25], -v[143:144]
	s_delay_alu instid0(VALU_DEP_2)
	;; [unrolled: 20-line block ×4, first 2 shown]
	v_fma_f64 v[161:162], v[118:119], v[28:29], v[112:113]
	ds_load_2addr_b64 v[112:115], v138 offset0:52 offset1:53
	ds_load_2addr_b64 v[116:119], v138 offset0:54 offset1:55
	scratch_load_b128 v[0:3], off, off offset:16 ; 16-byte Folded Reload
	s_waitcnt lgkmcnt(1)
	v_mul_f64 v[163:164], v[114:115], v[221:222]
	v_add_f64 v[10:11], v[10:11], -v[161:162]
	s_delay_alu instid0(VALU_DEP_2) | instskip(SKIP_1) | instid1(VALU_DEP_2)
	v_fma_f64 v[163:164], v[112:113], v[28:29], -v[163:164]
	v_mul_f64 v[112:113], v[112:113], v[221:222]
	v_add_f64 v[4:5], v[4:5], -v[163:164]
	s_delay_alu instid0(VALU_DEP_2) | instskip(SKIP_2) | instid1(VALU_DEP_2)
	v_fma_f64 v[112:113], v[114:115], v[28:29], v[112:113]
	s_waitcnt lgkmcnt(0)
	v_mul_f64 v[114:115], v[118:119], v[221:222]
	v_add_f64 v[6:7], v[6:7], -v[112:113]
	s_delay_alu instid0(VALU_DEP_2) | instskip(SKIP_1) | instid1(VALU_DEP_2)
	v_fma_f64 v[114:115], v[116:117], v[28:29], -v[114:115]
	v_mul_f64 v[116:117], v[116:117], v[221:222]
	v_add_f64 v[134:135], v[134:135], -v[114:115]
	s_delay_alu instid0(VALU_DEP_2) | instskip(NEXT) | instid1(VALU_DEP_1)
	v_fma_f64 v[116:117], v[118:119], v[28:29], v[116:117]
	v_add_f64 v[136:137], v[136:137], -v[116:117]
	s_waitcnt vmcnt(0)
	v_add_f64 v[0:1], v[0:1], -v[30:31]
	v_add_f64 v[2:3], v[2:3], -v[44:45]
	scratch_store_b128 off, v[0:3], off offset:16 ; 16-byte Folded Spill
	scratch_load_b128 v[0:3], off, off      ; 16-byte Folded Reload
	s_waitcnt vmcnt(0)
	v_add_f64 v[0:1], v[0:1], -v[46:47]
	v_add_f64 v[2:3], v[2:3], -v[76:77]
	scratch_store_b128 off, v[0:3], off     ; 16-byte Folded Spill
.LBB54_209:
	s_or_b32 exec_lo, exec_lo, s2
	s_waitcnt_vscnt null, 0x0
	s_barrier
	buffer_gl0_inv
	scratch_load_b128 v[0:3], off, off offset:16 ; 16-byte Folded Reload
	v_lshl_add_u32 v28, v140, 4, v138
	v_mov_b32_e32 v116, 10
	s_cmp_lt_i32 s5, 12
	s_waitcnt vmcnt(0)
	ds_store_2addr_b64 v28, v[0:1], v[2:3] offset1:1
	s_waitcnt lgkmcnt(0)
	s_barrier
	buffer_gl0_inv
	ds_load_2addr_b64 v[112:115], v138 offset0:20 offset1:21
	s_cbranch_scc1 .LBB54_212
; %bb.210:
	v_add3_u32 v117, v62, 0, 0xb0
	v_mov_b32_e32 v116, 10
	s_mov_b32 s6, 11
	s_set_inst_prefetch_distance 0x1
	.p2align	6
.LBB54_211:                             ; =>This Inner Loop Header: Depth=1
	ds_load_2addr_b64 v[118:121], v117 offset1:1
	s_waitcnt lgkmcnt(1)
	v_cmp_gt_f64_e32 vcc_lo, 0, v[112:113]
	v_xor_b32_e32 v28, 0x80000000, v113
	v_cmp_gt_f64_e64 s2, 0, v[114:115]
	v_xor_b32_e32 v30, 0x80000000, v115
	v_add_nc_u32_e32 v117, 16, v117
	s_waitcnt lgkmcnt(0)
	v_cmp_gt_f64_e64 s3, 0, v[118:119]
	v_mov_b32_e32 v44, v118
	v_dual_mov_b32 v46, v120 :: v_dual_cndmask_b32 v29, v113, v28
	v_xor_b32_e32 v28, 0x80000000, v119
	v_cndmask_b32_e64 v31, v115, v30, s2
	v_xor_b32_e32 v30, 0x80000000, v121
	s_delay_alu instid0(VALU_DEP_3) | instskip(SKIP_2) | instid1(VALU_DEP_2)
	v_cndmask_b32_e64 v45, v119, v28, s3
	v_cmp_gt_f64_e64 s3, 0, v[120:121]
	v_cndmask_b32_e32 v28, v112, v112, vcc_lo
	v_cndmask_b32_e64 v47, v121, v30, s3
	v_cndmask_b32_e64 v30, v114, v114, s2
	s_delay_alu instid0(VALU_DEP_2) | instskip(NEXT) | instid1(VALU_DEP_2)
	v_add_f64 v[44:45], v[44:45], v[46:47]
	v_add_f64 v[28:29], v[28:29], v[30:31]
	s_delay_alu instid0(VALU_DEP_1)
	v_cmp_lt_f64_e32 vcc_lo, v[28:29], v[44:45]
	v_cndmask_b32_e32 v115, v115, v121, vcc_lo
	v_dual_cndmask_b32 v113, v113, v119 :: v_dual_cndmask_b32 v112, v112, v118
	v_cndmask_b32_e32 v114, v114, v120, vcc_lo
	v_cndmask_b32_e64 v116, v116, s6, vcc_lo
	s_add_i32 s6, s6, 1
	s_delay_alu instid0(SALU_CYCLE_1)
	s_cmp_lg_u32 s5, s6
	s_cbranch_scc1 .LBB54_211
.LBB54_212:
	s_set_inst_prefetch_distance 0x2
	s_waitcnt lgkmcnt(0)
	v_cmp_eq_f64_e32 vcc_lo, 0, v[112:113]
	v_cmp_eq_f64_e64 s2, 0, v[114:115]
	s_delay_alu instid0(VALU_DEP_1) | instskip(NEXT) | instid1(SALU_CYCLE_1)
	s_and_b32 s2, vcc_lo, s2
	s_and_saveexec_b32 s3, s2
	s_delay_alu instid0(SALU_CYCLE_1)
	s_xor_b32 s2, exec_lo, s3
; %bb.213:
	v_cmp_ne_u32_e32 vcc_lo, 0, v232
	v_cndmask_b32_e32 v232, 11, v232, vcc_lo
; %bb.214:
	s_and_not1_saveexec_b32 s3, s2
	s_cbranch_execz .LBB54_220
; %bb.215:
	v_cmp_gt_f64_e32 vcc_lo, 0, v[112:113]
	v_cmp_gt_f64_e64 s2, 0, v[114:115]
	v_xor_b32_e32 v28, 0x80000000, v113
	v_xor_b32_e32 v30, 0x80000000, v115
	s_delay_alu instid0(VALU_DEP_2) | instskip(NEXT) | instid1(VALU_DEP_2)
	v_cndmask_b32_e32 v29, v113, v28, vcc_lo
	v_cndmask_b32_e64 v31, v115, v30, s2
	v_cndmask_b32_e32 v28, v112, v112, vcc_lo
	v_cndmask_b32_e64 v30, v114, v114, s2
	s_mov_b32 s2, exec_lo
	s_delay_alu instid0(VALU_DEP_1)
	v_cmpx_ngt_f64_e32 v[28:29], v[30:31]
	s_xor_b32 s2, exec_lo, s2
	s_cbranch_execz .LBB54_217
; %bb.216:
	v_div_scale_f64 v[28:29], null, v[114:115], v[114:115], v[112:113]
	v_div_scale_f64 v[46:47], vcc_lo, v[112:113], v[114:115], v[112:113]
	s_delay_alu instid0(VALU_DEP_2) | instskip(SKIP_2) | instid1(VALU_DEP_1)
	v_rcp_f64_e32 v[30:31], v[28:29]
	s_waitcnt_depctr 0xfff
	v_fma_f64 v[44:45], -v[28:29], v[30:31], 1.0
	v_fma_f64 v[30:31], v[30:31], v[44:45], v[30:31]
	s_delay_alu instid0(VALU_DEP_1) | instskip(NEXT) | instid1(VALU_DEP_1)
	v_fma_f64 v[44:45], -v[28:29], v[30:31], 1.0
	v_fma_f64 v[30:31], v[30:31], v[44:45], v[30:31]
	s_delay_alu instid0(VALU_DEP_1) | instskip(NEXT) | instid1(VALU_DEP_1)
	v_mul_f64 v[44:45], v[46:47], v[30:31]
	v_fma_f64 v[28:29], -v[28:29], v[44:45], v[46:47]
	s_delay_alu instid0(VALU_DEP_1) | instskip(NEXT) | instid1(VALU_DEP_1)
	v_div_fmas_f64 v[28:29], v[28:29], v[30:31], v[44:45]
	v_div_fixup_f64 v[28:29], v[28:29], v[114:115], v[112:113]
	s_delay_alu instid0(VALU_DEP_1) | instskip(NEXT) | instid1(VALU_DEP_1)
	v_fma_f64 v[30:31], v[112:113], v[28:29], v[114:115]
	v_div_scale_f64 v[44:45], null, v[30:31], v[30:31], 1.0
	s_delay_alu instid0(VALU_DEP_1) | instskip(SKIP_2) | instid1(VALU_DEP_1)
	v_rcp_f64_e32 v[46:47], v[44:45]
	s_waitcnt_depctr 0xfff
	v_fma_f64 v[92:93], -v[44:45], v[46:47], 1.0
	v_fma_f64 v[46:47], v[46:47], v[92:93], v[46:47]
	s_delay_alu instid0(VALU_DEP_1) | instskip(NEXT) | instid1(VALU_DEP_1)
	v_fma_f64 v[92:93], -v[44:45], v[46:47], 1.0
	v_fma_f64 v[46:47], v[46:47], v[92:93], v[46:47]
	v_div_scale_f64 v[92:93], vcc_lo, 1.0, v[30:31], 1.0
	s_delay_alu instid0(VALU_DEP_1) | instskip(NEXT) | instid1(VALU_DEP_1)
	v_mul_f64 v[94:95], v[92:93], v[46:47]
	v_fma_f64 v[44:45], -v[44:45], v[94:95], v[92:93]
	s_delay_alu instid0(VALU_DEP_1) | instskip(NEXT) | instid1(VALU_DEP_1)
	v_div_fmas_f64 v[44:45], v[44:45], v[46:47], v[94:95]
	v_div_fixup_f64 v[114:115], v[44:45], v[30:31], 1.0
	s_delay_alu instid0(VALU_DEP_1)
	v_mul_f64 v[112:113], v[28:29], v[114:115]
	v_xor_b32_e32 v115, 0x80000000, v115
.LBB54_217:
	s_and_not1_saveexec_b32 s2, s2
	s_cbranch_execz .LBB54_219
; %bb.218:
	s_delay_alu instid0(VALU_DEP_1) | instskip(SKIP_1) | instid1(VALU_DEP_2)
	v_div_scale_f64 v[28:29], null, v[112:113], v[112:113], v[114:115]
	v_div_scale_f64 v[46:47], vcc_lo, v[114:115], v[112:113], v[114:115]
	v_rcp_f64_e32 v[30:31], v[28:29]
	s_waitcnt_depctr 0xfff
	v_fma_f64 v[44:45], -v[28:29], v[30:31], 1.0
	s_delay_alu instid0(VALU_DEP_1) | instskip(NEXT) | instid1(VALU_DEP_1)
	v_fma_f64 v[30:31], v[30:31], v[44:45], v[30:31]
	v_fma_f64 v[44:45], -v[28:29], v[30:31], 1.0
	s_delay_alu instid0(VALU_DEP_1) | instskip(NEXT) | instid1(VALU_DEP_1)
	v_fma_f64 v[30:31], v[30:31], v[44:45], v[30:31]
	v_mul_f64 v[44:45], v[46:47], v[30:31]
	s_delay_alu instid0(VALU_DEP_1) | instskip(NEXT) | instid1(VALU_DEP_1)
	v_fma_f64 v[28:29], -v[28:29], v[44:45], v[46:47]
	v_div_fmas_f64 v[28:29], v[28:29], v[30:31], v[44:45]
	s_delay_alu instid0(VALU_DEP_1) | instskip(NEXT) | instid1(VALU_DEP_1)
	v_div_fixup_f64 v[28:29], v[28:29], v[112:113], v[114:115]
	v_fma_f64 v[30:31], v[114:115], v[28:29], v[112:113]
	s_delay_alu instid0(VALU_DEP_1) | instskip(NEXT) | instid1(VALU_DEP_1)
	v_div_scale_f64 v[44:45], null, v[30:31], v[30:31], 1.0
	v_rcp_f64_e32 v[46:47], v[44:45]
	s_waitcnt_depctr 0xfff
	v_fma_f64 v[92:93], -v[44:45], v[46:47], 1.0
	s_delay_alu instid0(VALU_DEP_1) | instskip(NEXT) | instid1(VALU_DEP_1)
	v_fma_f64 v[46:47], v[46:47], v[92:93], v[46:47]
	v_fma_f64 v[92:93], -v[44:45], v[46:47], 1.0
	s_delay_alu instid0(VALU_DEP_1) | instskip(SKIP_1) | instid1(VALU_DEP_1)
	v_fma_f64 v[46:47], v[46:47], v[92:93], v[46:47]
	v_div_scale_f64 v[92:93], vcc_lo, 1.0, v[30:31], 1.0
	v_mul_f64 v[94:95], v[92:93], v[46:47]
	s_delay_alu instid0(VALU_DEP_1) | instskip(NEXT) | instid1(VALU_DEP_1)
	v_fma_f64 v[44:45], -v[44:45], v[94:95], v[92:93]
	v_div_fmas_f64 v[44:45], v[44:45], v[46:47], v[94:95]
	s_delay_alu instid0(VALU_DEP_1) | instskip(NEXT) | instid1(VALU_DEP_1)
	v_div_fixup_f64 v[112:113], v[44:45], v[30:31], 1.0
	v_mul_f64 v[114:115], v[28:29], -v[112:113]
.LBB54_219:
	s_or_b32 exec_lo, exec_lo, s2
.LBB54_220:
	s_delay_alu instid0(SALU_CYCLE_1) | instskip(NEXT) | instid1(SALU_CYCLE_1)
	s_or_b32 exec_lo, exec_lo, s3
	s_mov_b32 s2, exec_lo
	v_cmpx_ne_u32_e64 v140, v116
	s_xor_b32 s2, exec_lo, s2
	s_cbranch_execz .LBB54_226
; %bb.221:
	s_mov_b32 s3, exec_lo
	v_cmpx_eq_u32_e32 10, v140
	s_cbranch_execz .LBB54_225
; %bb.222:
	v_cmp_ne_u32_e32 vcc_lo, 10, v116
	s_xor_b32 s6, s4, -1
	s_delay_alu instid0(SALU_CYCLE_1) | instskip(NEXT) | instid1(SALU_CYCLE_1)
	s_and_b32 s7, s6, vcc_lo
	s_and_saveexec_b32 s6, s7
	s_cbranch_execz .LBB54_224
; %bb.223:
	v_ashrrev_i32_e32 v117, 31, v116
	s_delay_alu instid0(VALU_DEP_1) | instskip(NEXT) | instid1(VALU_DEP_1)
	v_lshlrev_b64 v[28:29], 2, v[116:117]
	v_add_co_u32 v28, vcc_lo, v78, v28
	s_delay_alu instid0(VALU_DEP_2)
	v_add_co_ci_u32_e32 v29, vcc_lo, v79, v29, vcc_lo
	s_clause 0x1
	flat_load_b32 v30, v[28:29]
	flat_load_b32 v31, v[78:79] offset:40
	s_waitcnt vmcnt(1) lgkmcnt(1)
	flat_store_b32 v[78:79], v30 offset:40
	s_waitcnt vmcnt(0) lgkmcnt(1)
	flat_store_b32 v[28:29], v31
.LBB54_224:
	s_or_b32 exec_lo, exec_lo, s6
	v_mov_b32_e32 v140, v116
	v_mov_b32_e32 v231, v116
.LBB54_225:
	s_or_b32 exec_lo, exec_lo, s3
.LBB54_226:
	s_and_not1_saveexec_b32 s2, s2
	s_cbranch_execz .LBB54_228
; %bb.227:
	scratch_load_b128 v[0:3], off, off      ; 16-byte Folded Reload
	v_mov_b32_e32 v140, 10
	s_waitcnt vmcnt(0)
	ds_store_2addr_b64 v138, v[0:1], v[2:3] offset0:22 offset1:23
	ds_store_2addr_b64 v138, v[64:65], v[66:67] offset0:24 offset1:25
	;; [unrolled: 1-line block ×17, first 2 shown]
.LBB54_228:
	s_or_b32 exec_lo, exec_lo, s2
	s_delay_alu instid0(SALU_CYCLE_1)
	s_mov_b32 s2, exec_lo
	s_waitcnt lgkmcnt(0)
	s_waitcnt_vscnt null, 0x0
	s_barrier
	buffer_gl0_inv
	v_cmpx_lt_i32_e32 10, v140
	s_cbranch_execz .LBB54_230
; %bb.229:
	scratch_load_b128 v[84:87], off, off offset:16 ; 16-byte Folded Reload
	s_waitcnt vmcnt(0)
	v_mul_f64 v[30:31], v[112:113], v[86:87]
	v_mul_f64 v[28:29], v[114:115], v[86:87]
	s_delay_alu instid0(VALU_DEP_2) | instskip(NEXT) | instid1(VALU_DEP_2)
	v_fma_f64 v[86:87], v[114:115], v[84:85], v[30:31]
	v_fma_f64 v[28:29], v[112:113], v[84:85], -v[28:29]
	ds_load_2addr_b64 v[112:115], v138 offset0:22 offset1:23
	ds_load_2addr_b64 v[116:119], v138 offset0:24 offset1:25
	s_waitcnt lgkmcnt(1)
	v_mul_f64 v[30:31], v[114:115], v[86:87]
	v_mul_f64 v[44:45], v[112:113], v[86:87]
	s_waitcnt lgkmcnt(0)
	v_mul_f64 v[46:47], v[118:119], v[86:87]
	v_mul_f64 v[84:85], v[116:117], v[86:87]
	s_delay_alu instid0(VALU_DEP_4) | instskip(NEXT) | instid1(VALU_DEP_4)
	v_fma_f64 v[30:31], v[112:113], v[28:29], -v[30:31]
	v_fma_f64 v[44:45], v[114:115], v[28:29], v[44:45]
	s_delay_alu instid0(VALU_DEP_4) | instskip(NEXT) | instid1(VALU_DEP_4)
	v_fma_f64 v[46:47], v[116:117], v[28:29], -v[46:47]
	v_fma_f64 v[84:85], v[118:119], v[28:29], v[84:85]
	ds_load_2addr_b64 v[112:115], v138 offset0:26 offset1:27
	ds_load_2addr_b64 v[116:119], v138 offset0:28 offset1:29
	s_waitcnt lgkmcnt(1)
	v_mul_f64 v[92:93], v[114:115], v[86:87]
	v_mul_f64 v[94:95], v[112:113], v[86:87]
	s_waitcnt lgkmcnt(0)
	v_mul_f64 v[96:97], v[118:119], v[86:87]
	v_mul_f64 v[98:99], v[116:117], v[86:87]
	v_add_f64 v[64:65], v[64:65], -v[46:47]
	v_add_f64 v[66:67], v[66:67], -v[84:85]
	v_dual_mov_b32 v85, v29 :: v_dual_mov_b32 v84, v28
	v_fma_f64 v[92:93], v[112:113], v[28:29], -v[92:93]
	v_fma_f64 v[94:95], v[114:115], v[28:29], v[94:95]
	v_fma_f64 v[96:97], v[116:117], v[28:29], -v[96:97]
	v_fma_f64 v[98:99], v[118:119], v[28:29], v[98:99]
	ds_load_2addr_b64 v[112:115], v138 offset0:30 offset1:31
	ds_load_2addr_b64 v[116:119], v138 offset0:32 offset1:33
	s_waitcnt lgkmcnt(1)
	v_mul_f64 v[100:101], v[114:115], v[86:87]
	v_mul_f64 v[102:103], v[112:113], v[86:87]
	s_waitcnt lgkmcnt(0)
	v_mul_f64 v[104:105], v[118:119], v[86:87]
	v_mul_f64 v[106:107], v[116:117], v[86:87]
	v_add_f64 v[48:49], v[48:49], -v[92:93]
	v_add_f64 v[50:51], v[50:51], -v[94:95]
	;; [unrolled: 1-line block ×4, first 2 shown]
	v_fma_f64 v[100:101], v[112:113], v[28:29], -v[100:101]
	v_fma_f64 v[102:103], v[114:115], v[28:29], v[102:103]
	v_fma_f64 v[104:105], v[116:117], v[28:29], -v[104:105]
	v_fma_f64 v[106:107], v[118:119], v[28:29], v[106:107]
	ds_load_2addr_b64 v[112:115], v138 offset0:34 offset1:35
	ds_load_2addr_b64 v[116:119], v138 offset0:36 offset1:37
	s_waitcnt lgkmcnt(1)
	v_mul_f64 v[108:109], v[114:115], v[86:87]
	v_mul_f64 v[110:111], v[112:113], v[86:87]
	v_add_f64 v[68:69], v[68:69], -v[100:101]
	v_add_f64 v[70:71], v[70:71], -v[102:103]
	;; [unrolled: 1-line block ×4, first 2 shown]
	v_fma_f64 v[108:109], v[112:113], v[28:29], -v[108:109]
	s_waitcnt lgkmcnt(0)
	v_mul_f64 v[112:113], v[118:119], v[86:87]
	v_fma_f64 v[110:111], v[114:115], v[28:29], v[110:111]
	s_delay_alu instid0(VALU_DEP_3) | instskip(NEXT) | instid1(VALU_DEP_3)
	v_add_f64 v[52:53], v[52:53], -v[108:109]
	v_fma_f64 v[120:121], v[116:117], v[28:29], -v[112:113]
	v_mul_f64 v[112:113], v[116:117], v[86:87]
	s_delay_alu instid0(VALU_DEP_4) | instskip(NEXT) | instid1(VALU_DEP_3)
	v_add_f64 v[54:55], v[54:55], -v[110:111]
	v_add_f64 v[40:41], v[40:41], -v[120:121]
	s_delay_alu instid0(VALU_DEP_3)
	v_fma_f64 v[122:123], v[118:119], v[28:29], v[112:113]
	ds_load_2addr_b64 v[112:115], v138 offset0:38 offset1:39
	ds_load_2addr_b64 v[116:119], v138 offset0:40 offset1:41
	s_waitcnt lgkmcnt(1)
	v_mul_f64 v[124:125], v[114:115], v[86:87]
	v_add_f64 v[42:43], v[42:43], -v[122:123]
	s_delay_alu instid0(VALU_DEP_2) | instskip(SKIP_1) | instid1(VALU_DEP_2)
	v_fma_f64 v[124:125], v[112:113], v[28:29], -v[124:125]
	v_mul_f64 v[112:113], v[112:113], v[86:87]
	v_add_f64 v[36:37], v[36:37], -v[124:125]
	s_delay_alu instid0(VALU_DEP_2) | instskip(SKIP_2) | instid1(VALU_DEP_2)
	v_fma_f64 v[126:127], v[114:115], v[28:29], v[112:113]
	s_waitcnt lgkmcnt(0)
	v_mul_f64 v[112:113], v[118:119], v[86:87]
	v_add_f64 v[38:39], v[38:39], -v[126:127]
	s_delay_alu instid0(VALU_DEP_2) | instskip(SKIP_1) | instid1(VALU_DEP_2)
	v_fma_f64 v[128:129], v[116:117], v[28:29], -v[112:113]
	v_mul_f64 v[112:113], v[116:117], v[86:87]
	v_add_f64 v[32:33], v[32:33], -v[128:129]
	s_delay_alu instid0(VALU_DEP_2)
	v_fma_f64 v[130:131], v[118:119], v[28:29], v[112:113]
	ds_load_2addr_b64 v[112:115], v138 offset0:42 offset1:43
	ds_load_2addr_b64 v[116:119], v138 offset0:44 offset1:45
	s_waitcnt lgkmcnt(1)
	v_mul_f64 v[132:133], v[114:115], v[86:87]
	v_add_f64 v[34:35], v[34:35], -v[130:131]
	s_delay_alu instid0(VALU_DEP_2) | instskip(SKIP_1) | instid1(VALU_DEP_2)
	v_fma_f64 v[132:133], v[112:113], v[28:29], -v[132:133]
	v_mul_f64 v[112:113], v[112:113], v[86:87]
	v_add_f64 v[24:25], v[24:25], -v[132:133]
	s_delay_alu instid0(VALU_DEP_2) | instskip(SKIP_2) | instid1(VALU_DEP_2)
	v_fma_f64 v[141:142], v[114:115], v[28:29], v[112:113]
	s_waitcnt lgkmcnt(0)
	v_mul_f64 v[112:113], v[118:119], v[86:87]
	v_add_f64 v[26:27], v[26:27], -v[141:142]
	s_delay_alu instid0(VALU_DEP_2) | instskip(SKIP_1) | instid1(VALU_DEP_2)
	v_fma_f64 v[143:144], v[116:117], v[28:29], -v[112:113]
	v_mul_f64 v[112:113], v[116:117], v[86:87]
	v_add_f64 v[20:21], v[20:21], -v[143:144]
	s_delay_alu instid0(VALU_DEP_2)
	;; [unrolled: 20-line block ×3, first 2 shown]
	v_fma_f64 v[153:154], v[118:119], v[28:29], v[112:113]
	ds_load_2addr_b64 v[112:115], v138 offset0:50 offset1:51
	ds_load_2addr_b64 v[116:119], v138 offset0:52 offset1:53
	scratch_load_b128 v[0:3], off, off      ; 16-byte Folded Reload
	scratch_store_b128 off, v[84:87], off offset:16 ; 16-byte Folded Spill
	s_waitcnt lgkmcnt(1)
	v_mul_f64 v[155:156], v[114:115], v[86:87]
	v_add_f64 v[14:15], v[14:15], -v[153:154]
	s_delay_alu instid0(VALU_DEP_2) | instskip(SKIP_1) | instid1(VALU_DEP_2)
	v_fma_f64 v[155:156], v[112:113], v[28:29], -v[155:156]
	v_mul_f64 v[112:113], v[112:113], v[86:87]
	v_add_f64 v[8:9], v[8:9], -v[155:156]
	s_delay_alu instid0(VALU_DEP_2) | instskip(SKIP_2) | instid1(VALU_DEP_2)
	v_fma_f64 v[157:158], v[114:115], v[28:29], v[112:113]
	s_waitcnt lgkmcnt(0)
	v_mul_f64 v[112:113], v[118:119], v[86:87]
	v_add_f64 v[10:11], v[10:11], -v[157:158]
	s_delay_alu instid0(VALU_DEP_2) | instskip(SKIP_1) | instid1(VALU_DEP_2)
	v_fma_f64 v[159:160], v[116:117], v[28:29], -v[112:113]
	v_mul_f64 v[112:113], v[116:117], v[86:87]
	v_add_f64 v[4:5], v[4:5], -v[159:160]
	s_delay_alu instid0(VALU_DEP_2) | instskip(SKIP_4) | instid1(VALU_DEP_2)
	v_fma_f64 v[116:117], v[118:119], v[28:29], v[112:113]
	ds_load_2addr_b64 v[112:115], v138 offset0:54 offset1:55
	s_waitcnt lgkmcnt(0)
	v_mul_f64 v[118:119], v[114:115], v[86:87]
	v_add_f64 v[6:7], v[6:7], -v[116:117]
	v_fma_f64 v[118:119], v[112:113], v[28:29], -v[118:119]
	v_mul_f64 v[112:113], v[112:113], v[86:87]
	s_delay_alu instid0(VALU_DEP_2) | instskip(NEXT) | instid1(VALU_DEP_2)
	v_add_f64 v[134:135], v[134:135], -v[118:119]
	v_fma_f64 v[112:113], v[114:115], v[28:29], v[112:113]
	s_delay_alu instid0(VALU_DEP_1)
	v_add_f64 v[136:137], v[136:137], -v[112:113]
	s_waitcnt vmcnt(0)
	v_add_f64 v[0:1], v[0:1], -v[30:31]
	v_add_f64 v[2:3], v[2:3], -v[44:45]
	scratch_store_b128 off, v[0:3], off     ; 16-byte Folded Spill
.LBB54_230:
	s_or_b32 exec_lo, exec_lo, s2
	s_waitcnt_vscnt null, 0x0
	s_barrier
	buffer_gl0_inv
	scratch_load_b128 v[0:3], off, off      ; 16-byte Folded Reload
	v_lshl_add_u32 v28, v140, 4, v138
	v_mov_b32_e32 v116, 11
	s_cmp_lt_i32 s5, 13
	s_waitcnt vmcnt(0)
	ds_store_2addr_b64 v28, v[0:1], v[2:3] offset1:1
	s_waitcnt lgkmcnt(0)
	s_barrier
	buffer_gl0_inv
	ds_load_2addr_b64 v[112:115], v138 offset0:22 offset1:23
	s_cbranch_scc1 .LBB54_233
; %bb.231:
	v_add3_u32 v117, v62, 0, 0xc0
	v_mov_b32_e32 v116, 11
	s_mov_b32 s6, 12
	s_set_inst_prefetch_distance 0x1
	.p2align	6
.LBB54_232:                             ; =>This Inner Loop Header: Depth=1
	ds_load_2addr_b64 v[118:121], v117 offset1:1
	s_waitcnt lgkmcnt(1)
	v_cmp_gt_f64_e32 vcc_lo, 0, v[112:113]
	v_xor_b32_e32 v28, 0x80000000, v113
	v_cmp_gt_f64_e64 s2, 0, v[114:115]
	v_xor_b32_e32 v30, 0x80000000, v115
	v_add_nc_u32_e32 v117, 16, v117
	s_waitcnt lgkmcnt(0)
	v_cmp_gt_f64_e64 s3, 0, v[118:119]
	v_mov_b32_e32 v44, v118
	v_dual_mov_b32 v46, v120 :: v_dual_cndmask_b32 v29, v113, v28
	v_xor_b32_e32 v28, 0x80000000, v119
	v_cndmask_b32_e64 v31, v115, v30, s2
	v_xor_b32_e32 v30, 0x80000000, v121
	s_delay_alu instid0(VALU_DEP_3) | instskip(SKIP_2) | instid1(VALU_DEP_2)
	v_cndmask_b32_e64 v45, v119, v28, s3
	v_cmp_gt_f64_e64 s3, 0, v[120:121]
	v_cndmask_b32_e32 v28, v112, v112, vcc_lo
	v_cndmask_b32_e64 v47, v121, v30, s3
	v_cndmask_b32_e64 v30, v114, v114, s2
	s_delay_alu instid0(VALU_DEP_2) | instskip(NEXT) | instid1(VALU_DEP_2)
	v_add_f64 v[44:45], v[44:45], v[46:47]
	v_add_f64 v[28:29], v[28:29], v[30:31]
	s_delay_alu instid0(VALU_DEP_1)
	v_cmp_lt_f64_e32 vcc_lo, v[28:29], v[44:45]
	v_cndmask_b32_e32 v115, v115, v121, vcc_lo
	v_dual_cndmask_b32 v113, v113, v119 :: v_dual_cndmask_b32 v112, v112, v118
	v_cndmask_b32_e32 v114, v114, v120, vcc_lo
	v_cndmask_b32_e64 v116, v116, s6, vcc_lo
	s_add_i32 s6, s6, 1
	s_delay_alu instid0(SALU_CYCLE_1)
	s_cmp_lg_u32 s5, s6
	s_cbranch_scc1 .LBB54_232
.LBB54_233:
	s_set_inst_prefetch_distance 0x2
	s_waitcnt lgkmcnt(0)
	v_cmp_eq_f64_e32 vcc_lo, 0, v[112:113]
	v_cmp_eq_f64_e64 s2, 0, v[114:115]
	s_delay_alu instid0(VALU_DEP_1) | instskip(NEXT) | instid1(SALU_CYCLE_1)
	s_and_b32 s2, vcc_lo, s2
	s_and_saveexec_b32 s3, s2
	s_delay_alu instid0(SALU_CYCLE_1)
	s_xor_b32 s2, exec_lo, s3
; %bb.234:
	v_cmp_ne_u32_e32 vcc_lo, 0, v232
	v_cndmask_b32_e32 v232, 12, v232, vcc_lo
; %bb.235:
	s_and_not1_saveexec_b32 s3, s2
	s_cbranch_execz .LBB54_241
; %bb.236:
	v_cmp_gt_f64_e32 vcc_lo, 0, v[112:113]
	v_cmp_gt_f64_e64 s2, 0, v[114:115]
	v_xor_b32_e32 v28, 0x80000000, v113
	v_xor_b32_e32 v30, 0x80000000, v115
	s_delay_alu instid0(VALU_DEP_2) | instskip(NEXT) | instid1(VALU_DEP_2)
	v_cndmask_b32_e32 v29, v113, v28, vcc_lo
	v_cndmask_b32_e64 v31, v115, v30, s2
	v_cndmask_b32_e32 v28, v112, v112, vcc_lo
	v_cndmask_b32_e64 v30, v114, v114, s2
	s_mov_b32 s2, exec_lo
	s_delay_alu instid0(VALU_DEP_1)
	v_cmpx_ngt_f64_e32 v[28:29], v[30:31]
	s_xor_b32 s2, exec_lo, s2
	s_cbranch_execz .LBB54_238
; %bb.237:
	v_div_scale_f64 v[28:29], null, v[114:115], v[114:115], v[112:113]
	v_div_scale_f64 v[46:47], vcc_lo, v[112:113], v[114:115], v[112:113]
	s_delay_alu instid0(VALU_DEP_2) | instskip(SKIP_2) | instid1(VALU_DEP_1)
	v_rcp_f64_e32 v[30:31], v[28:29]
	s_waitcnt_depctr 0xfff
	v_fma_f64 v[44:45], -v[28:29], v[30:31], 1.0
	v_fma_f64 v[30:31], v[30:31], v[44:45], v[30:31]
	s_delay_alu instid0(VALU_DEP_1) | instskip(NEXT) | instid1(VALU_DEP_1)
	v_fma_f64 v[44:45], -v[28:29], v[30:31], 1.0
	v_fma_f64 v[30:31], v[30:31], v[44:45], v[30:31]
	s_delay_alu instid0(VALU_DEP_1) | instskip(NEXT) | instid1(VALU_DEP_1)
	v_mul_f64 v[44:45], v[46:47], v[30:31]
	v_fma_f64 v[28:29], -v[28:29], v[44:45], v[46:47]
	s_delay_alu instid0(VALU_DEP_1) | instskip(NEXT) | instid1(VALU_DEP_1)
	v_div_fmas_f64 v[28:29], v[28:29], v[30:31], v[44:45]
	v_div_fixup_f64 v[28:29], v[28:29], v[114:115], v[112:113]
	s_delay_alu instid0(VALU_DEP_1) | instskip(NEXT) | instid1(VALU_DEP_1)
	v_fma_f64 v[30:31], v[112:113], v[28:29], v[114:115]
	v_div_scale_f64 v[44:45], null, v[30:31], v[30:31], 1.0
	s_delay_alu instid0(VALU_DEP_1) | instskip(SKIP_2) | instid1(VALU_DEP_1)
	v_rcp_f64_e32 v[46:47], v[44:45]
	s_waitcnt_depctr 0xfff
	v_fma_f64 v[92:93], -v[44:45], v[46:47], 1.0
	v_fma_f64 v[46:47], v[46:47], v[92:93], v[46:47]
	s_delay_alu instid0(VALU_DEP_1) | instskip(NEXT) | instid1(VALU_DEP_1)
	v_fma_f64 v[92:93], -v[44:45], v[46:47], 1.0
	v_fma_f64 v[46:47], v[46:47], v[92:93], v[46:47]
	v_div_scale_f64 v[92:93], vcc_lo, 1.0, v[30:31], 1.0
	s_delay_alu instid0(VALU_DEP_1) | instskip(NEXT) | instid1(VALU_DEP_1)
	v_mul_f64 v[94:95], v[92:93], v[46:47]
	v_fma_f64 v[44:45], -v[44:45], v[94:95], v[92:93]
	s_delay_alu instid0(VALU_DEP_1) | instskip(NEXT) | instid1(VALU_DEP_1)
	v_div_fmas_f64 v[44:45], v[44:45], v[46:47], v[94:95]
	v_div_fixup_f64 v[114:115], v[44:45], v[30:31], 1.0
	s_delay_alu instid0(VALU_DEP_1)
	v_mul_f64 v[112:113], v[28:29], v[114:115]
	v_xor_b32_e32 v115, 0x80000000, v115
.LBB54_238:
	s_and_not1_saveexec_b32 s2, s2
	s_cbranch_execz .LBB54_240
; %bb.239:
	s_delay_alu instid0(VALU_DEP_1) | instskip(SKIP_1) | instid1(VALU_DEP_2)
	v_div_scale_f64 v[28:29], null, v[112:113], v[112:113], v[114:115]
	v_div_scale_f64 v[46:47], vcc_lo, v[114:115], v[112:113], v[114:115]
	v_rcp_f64_e32 v[30:31], v[28:29]
	s_waitcnt_depctr 0xfff
	v_fma_f64 v[44:45], -v[28:29], v[30:31], 1.0
	s_delay_alu instid0(VALU_DEP_1) | instskip(NEXT) | instid1(VALU_DEP_1)
	v_fma_f64 v[30:31], v[30:31], v[44:45], v[30:31]
	v_fma_f64 v[44:45], -v[28:29], v[30:31], 1.0
	s_delay_alu instid0(VALU_DEP_1) | instskip(NEXT) | instid1(VALU_DEP_1)
	v_fma_f64 v[30:31], v[30:31], v[44:45], v[30:31]
	v_mul_f64 v[44:45], v[46:47], v[30:31]
	s_delay_alu instid0(VALU_DEP_1) | instskip(NEXT) | instid1(VALU_DEP_1)
	v_fma_f64 v[28:29], -v[28:29], v[44:45], v[46:47]
	v_div_fmas_f64 v[28:29], v[28:29], v[30:31], v[44:45]
	s_delay_alu instid0(VALU_DEP_1) | instskip(NEXT) | instid1(VALU_DEP_1)
	v_div_fixup_f64 v[28:29], v[28:29], v[112:113], v[114:115]
	v_fma_f64 v[30:31], v[114:115], v[28:29], v[112:113]
	s_delay_alu instid0(VALU_DEP_1) | instskip(NEXT) | instid1(VALU_DEP_1)
	v_div_scale_f64 v[44:45], null, v[30:31], v[30:31], 1.0
	v_rcp_f64_e32 v[46:47], v[44:45]
	s_waitcnt_depctr 0xfff
	v_fma_f64 v[92:93], -v[44:45], v[46:47], 1.0
	s_delay_alu instid0(VALU_DEP_1) | instskip(NEXT) | instid1(VALU_DEP_1)
	v_fma_f64 v[46:47], v[46:47], v[92:93], v[46:47]
	v_fma_f64 v[92:93], -v[44:45], v[46:47], 1.0
	s_delay_alu instid0(VALU_DEP_1) | instskip(SKIP_1) | instid1(VALU_DEP_1)
	v_fma_f64 v[46:47], v[46:47], v[92:93], v[46:47]
	v_div_scale_f64 v[92:93], vcc_lo, 1.0, v[30:31], 1.0
	v_mul_f64 v[94:95], v[92:93], v[46:47]
	s_delay_alu instid0(VALU_DEP_1) | instskip(NEXT) | instid1(VALU_DEP_1)
	v_fma_f64 v[44:45], -v[44:45], v[94:95], v[92:93]
	v_div_fmas_f64 v[44:45], v[44:45], v[46:47], v[94:95]
	s_delay_alu instid0(VALU_DEP_1) | instskip(NEXT) | instid1(VALU_DEP_1)
	v_div_fixup_f64 v[112:113], v[44:45], v[30:31], 1.0
	v_mul_f64 v[114:115], v[28:29], -v[112:113]
.LBB54_240:
	s_or_b32 exec_lo, exec_lo, s2
.LBB54_241:
	s_delay_alu instid0(SALU_CYCLE_1) | instskip(NEXT) | instid1(SALU_CYCLE_1)
	s_or_b32 exec_lo, exec_lo, s3
	s_mov_b32 s2, exec_lo
	v_cmpx_ne_u32_e64 v140, v116
	s_xor_b32 s2, exec_lo, s2
	s_cbranch_execz .LBB54_247
; %bb.242:
	s_mov_b32 s3, exec_lo
	v_cmpx_eq_u32_e32 11, v140
	s_cbranch_execz .LBB54_246
; %bb.243:
	v_cmp_ne_u32_e32 vcc_lo, 11, v116
	s_xor_b32 s6, s4, -1
	s_delay_alu instid0(SALU_CYCLE_1) | instskip(NEXT) | instid1(SALU_CYCLE_1)
	s_and_b32 s7, s6, vcc_lo
	s_and_saveexec_b32 s6, s7
	s_cbranch_execz .LBB54_245
; %bb.244:
	v_ashrrev_i32_e32 v117, 31, v116
	s_delay_alu instid0(VALU_DEP_1) | instskip(NEXT) | instid1(VALU_DEP_1)
	v_lshlrev_b64 v[28:29], 2, v[116:117]
	v_add_co_u32 v28, vcc_lo, v78, v28
	s_delay_alu instid0(VALU_DEP_2)
	v_add_co_ci_u32_e32 v29, vcc_lo, v79, v29, vcc_lo
	s_clause 0x1
	flat_load_b32 v30, v[28:29]
	flat_load_b32 v31, v[78:79] offset:44
	s_waitcnt vmcnt(1) lgkmcnt(1)
	flat_store_b32 v[78:79], v30 offset:44
	s_waitcnt vmcnt(0) lgkmcnt(1)
	flat_store_b32 v[28:29], v31
.LBB54_245:
	s_or_b32 exec_lo, exec_lo, s6
	v_mov_b32_e32 v140, v116
	v_mov_b32_e32 v231, v116
.LBB54_246:
	s_or_b32 exec_lo, exec_lo, s3
.LBB54_247:
	s_and_not1_saveexec_b32 s2, s2
	s_cbranch_execz .LBB54_249
; %bb.248:
	v_mov_b32_e32 v140, 11
	ds_store_2addr_b64 v138, v[64:65], v[66:67] offset0:24 offset1:25
	ds_store_2addr_b64 v138, v[48:49], v[50:51] offset0:26 offset1:27
	;; [unrolled: 1-line block ×16, first 2 shown]
.LBB54_249:
	s_or_b32 exec_lo, exec_lo, s2
	s_delay_alu instid0(SALU_CYCLE_1)
	s_mov_b32 s2, exec_lo
	s_waitcnt lgkmcnt(0)
	s_waitcnt_vscnt null, 0x0
	s_barrier
	buffer_gl0_inv
	v_cmpx_lt_i32_e32 11, v140
	s_cbranch_execz .LBB54_251
; %bb.250:
	v_mov_b32_e32 v76, v62
	scratch_load_b128 v[60:63], off, off    ; 16-byte Folded Reload
	s_waitcnt vmcnt(0)
	v_mul_f64 v[28:29], v[112:113], v[62:63]
	v_mul_f64 v[30:31], v[114:115], v[62:63]
	s_delay_alu instid0(VALU_DEP_2)
	v_fma_f64 v[28:29], v[114:115], v[60:61], v[28:29]
	ds_load_2addr_b64 v[114:117], v138 offset0:24 offset1:25
	ds_load_2addr_b64 v[118:121], v138 offset0:26 offset1:27
	;; [unrolled: 1-line block ×16, first 2 shown]
	v_fma_f64 v[60:61], v[112:113], v[60:61], -v[30:31]
	s_waitcnt lgkmcnt(15)
	v_mul_f64 v[30:31], v[116:117], v[28:29]
	v_mul_f64 v[44:45], v[114:115], v[28:29]
	s_waitcnt lgkmcnt(14)
	v_mul_f64 v[46:47], v[120:121], v[28:29]
	v_mul_f64 v[62:63], v[118:119], v[28:29]
	;; [unrolled: 3-line block ×16, first 2 shown]
	v_fma_f64 v[30:31], v[114:115], v[60:61], -v[30:31]
	v_fma_f64 v[44:45], v[116:117], v[60:61], v[44:45]
	v_fma_f64 v[46:47], v[118:119], v[60:61], -v[46:47]
	v_fma_f64 v[62:63], v[120:121], v[60:61], v[62:63]
	;; [unrolled: 2-line block ×16, first 2 shown]
	v_add_f64 v[64:65], v[64:65], -v[30:31]
	v_add_f64 v[66:67], v[66:67], -v[44:45]
	;; [unrolled: 1-line block ×4, first 2 shown]
	v_mov_b32_e32 v63, v29
	v_add_f64 v[72:73], v[72:73], -v[92:93]
	v_add_f64 v[74:75], v[74:75], -v[94:95]
	;; [unrolled: 1-line block ×28, first 2 shown]
	v_mov_b32_e32 v62, v28
	scratch_store_b128 off, v[60:63], off   ; 16-byte Folded Spill
	v_mov_b32_e32 v62, v76
.LBB54_251:
	s_or_b32 exec_lo, exec_lo, s2
	v_lshl_add_u32 v28, v140, 4, v138
	s_waitcnt_vscnt null, 0x0
	s_barrier
	buffer_gl0_inv
	v_mov_b32_e32 v116, 12
	ds_store_2addr_b64 v28, v[64:65], v[66:67] offset1:1
	s_waitcnt lgkmcnt(0)
	s_barrier
	buffer_gl0_inv
	ds_load_2addr_b64 v[112:115], v138 offset0:24 offset1:25
	s_cmp_lt_i32 s5, 14
	s_cbranch_scc1 .LBB54_254
; %bb.252:
	v_add3_u32 v117, v62, 0, 0xd0
	v_mov_b32_e32 v116, 12
	s_mov_b32 s6, 13
	s_set_inst_prefetch_distance 0x1
	.p2align	6
.LBB54_253:                             ; =>This Inner Loop Header: Depth=1
	ds_load_2addr_b64 v[118:121], v117 offset1:1
	s_waitcnt lgkmcnt(1)
	v_cmp_gt_f64_e32 vcc_lo, 0, v[112:113]
	v_xor_b32_e32 v28, 0x80000000, v113
	v_cmp_gt_f64_e64 s2, 0, v[114:115]
	v_xor_b32_e32 v30, 0x80000000, v115
	v_add_nc_u32_e32 v117, 16, v117
	s_waitcnt lgkmcnt(0)
	v_cmp_gt_f64_e64 s3, 0, v[118:119]
	v_mov_b32_e32 v44, v118
	v_dual_mov_b32 v46, v120 :: v_dual_cndmask_b32 v29, v113, v28
	v_xor_b32_e32 v28, 0x80000000, v119
	v_cndmask_b32_e64 v31, v115, v30, s2
	v_xor_b32_e32 v30, 0x80000000, v121
	s_delay_alu instid0(VALU_DEP_3) | instskip(SKIP_2) | instid1(VALU_DEP_2)
	v_cndmask_b32_e64 v45, v119, v28, s3
	v_cmp_gt_f64_e64 s3, 0, v[120:121]
	v_cndmask_b32_e32 v28, v112, v112, vcc_lo
	v_cndmask_b32_e64 v47, v121, v30, s3
	v_cndmask_b32_e64 v30, v114, v114, s2
	s_delay_alu instid0(VALU_DEP_2) | instskip(NEXT) | instid1(VALU_DEP_2)
	v_add_f64 v[44:45], v[44:45], v[46:47]
	v_add_f64 v[28:29], v[28:29], v[30:31]
	s_delay_alu instid0(VALU_DEP_1)
	v_cmp_lt_f64_e32 vcc_lo, v[28:29], v[44:45]
	v_cndmask_b32_e32 v115, v115, v121, vcc_lo
	v_dual_cndmask_b32 v113, v113, v119 :: v_dual_cndmask_b32 v112, v112, v118
	v_cndmask_b32_e32 v114, v114, v120, vcc_lo
	v_cndmask_b32_e64 v116, v116, s6, vcc_lo
	s_add_i32 s6, s6, 1
	s_delay_alu instid0(SALU_CYCLE_1)
	s_cmp_lg_u32 s5, s6
	s_cbranch_scc1 .LBB54_253
.LBB54_254:
	s_set_inst_prefetch_distance 0x2
	s_waitcnt lgkmcnt(0)
	v_cmp_eq_f64_e32 vcc_lo, 0, v[112:113]
	v_cmp_eq_f64_e64 s2, 0, v[114:115]
	s_delay_alu instid0(VALU_DEP_1) | instskip(NEXT) | instid1(SALU_CYCLE_1)
	s_and_b32 s2, vcc_lo, s2
	s_and_saveexec_b32 s3, s2
	s_delay_alu instid0(SALU_CYCLE_1)
	s_xor_b32 s2, exec_lo, s3
; %bb.255:
	v_cmp_ne_u32_e32 vcc_lo, 0, v232
	v_cndmask_b32_e32 v232, 13, v232, vcc_lo
; %bb.256:
	s_and_not1_saveexec_b32 s3, s2
	s_cbranch_execz .LBB54_262
; %bb.257:
	v_cmp_gt_f64_e32 vcc_lo, 0, v[112:113]
	v_cmp_gt_f64_e64 s2, 0, v[114:115]
	v_xor_b32_e32 v28, 0x80000000, v113
	v_xor_b32_e32 v30, 0x80000000, v115
	s_delay_alu instid0(VALU_DEP_2) | instskip(NEXT) | instid1(VALU_DEP_2)
	v_cndmask_b32_e32 v29, v113, v28, vcc_lo
	v_cndmask_b32_e64 v31, v115, v30, s2
	v_cndmask_b32_e32 v28, v112, v112, vcc_lo
	v_cndmask_b32_e64 v30, v114, v114, s2
	s_mov_b32 s2, exec_lo
	s_delay_alu instid0(VALU_DEP_1)
	v_cmpx_ngt_f64_e32 v[28:29], v[30:31]
	s_xor_b32 s2, exec_lo, s2
	s_cbranch_execz .LBB54_259
; %bb.258:
	v_div_scale_f64 v[28:29], null, v[114:115], v[114:115], v[112:113]
	v_div_scale_f64 v[46:47], vcc_lo, v[112:113], v[114:115], v[112:113]
	s_delay_alu instid0(VALU_DEP_2) | instskip(SKIP_2) | instid1(VALU_DEP_1)
	v_rcp_f64_e32 v[30:31], v[28:29]
	s_waitcnt_depctr 0xfff
	v_fma_f64 v[44:45], -v[28:29], v[30:31], 1.0
	v_fma_f64 v[30:31], v[30:31], v[44:45], v[30:31]
	s_delay_alu instid0(VALU_DEP_1) | instskip(NEXT) | instid1(VALU_DEP_1)
	v_fma_f64 v[44:45], -v[28:29], v[30:31], 1.0
	v_fma_f64 v[30:31], v[30:31], v[44:45], v[30:31]
	s_delay_alu instid0(VALU_DEP_1) | instskip(NEXT) | instid1(VALU_DEP_1)
	v_mul_f64 v[44:45], v[46:47], v[30:31]
	v_fma_f64 v[28:29], -v[28:29], v[44:45], v[46:47]
	s_delay_alu instid0(VALU_DEP_1) | instskip(NEXT) | instid1(VALU_DEP_1)
	v_div_fmas_f64 v[28:29], v[28:29], v[30:31], v[44:45]
	v_div_fixup_f64 v[28:29], v[28:29], v[114:115], v[112:113]
	s_delay_alu instid0(VALU_DEP_1) | instskip(NEXT) | instid1(VALU_DEP_1)
	v_fma_f64 v[30:31], v[112:113], v[28:29], v[114:115]
	v_div_scale_f64 v[44:45], null, v[30:31], v[30:31], 1.0
	s_delay_alu instid0(VALU_DEP_1) | instskip(SKIP_2) | instid1(VALU_DEP_1)
	v_rcp_f64_e32 v[46:47], v[44:45]
	s_waitcnt_depctr 0xfff
	v_fma_f64 v[92:93], -v[44:45], v[46:47], 1.0
	v_fma_f64 v[46:47], v[46:47], v[92:93], v[46:47]
	s_delay_alu instid0(VALU_DEP_1) | instskip(NEXT) | instid1(VALU_DEP_1)
	v_fma_f64 v[92:93], -v[44:45], v[46:47], 1.0
	v_fma_f64 v[46:47], v[46:47], v[92:93], v[46:47]
	v_div_scale_f64 v[92:93], vcc_lo, 1.0, v[30:31], 1.0
	s_delay_alu instid0(VALU_DEP_1) | instskip(NEXT) | instid1(VALU_DEP_1)
	v_mul_f64 v[94:95], v[92:93], v[46:47]
	v_fma_f64 v[44:45], -v[44:45], v[94:95], v[92:93]
	s_delay_alu instid0(VALU_DEP_1) | instskip(NEXT) | instid1(VALU_DEP_1)
	v_div_fmas_f64 v[44:45], v[44:45], v[46:47], v[94:95]
	v_div_fixup_f64 v[114:115], v[44:45], v[30:31], 1.0
	s_delay_alu instid0(VALU_DEP_1)
	v_mul_f64 v[112:113], v[28:29], v[114:115]
	v_xor_b32_e32 v115, 0x80000000, v115
.LBB54_259:
	s_and_not1_saveexec_b32 s2, s2
	s_cbranch_execz .LBB54_261
; %bb.260:
	s_delay_alu instid0(VALU_DEP_1) | instskip(SKIP_1) | instid1(VALU_DEP_2)
	v_div_scale_f64 v[28:29], null, v[112:113], v[112:113], v[114:115]
	v_div_scale_f64 v[46:47], vcc_lo, v[114:115], v[112:113], v[114:115]
	v_rcp_f64_e32 v[30:31], v[28:29]
	s_waitcnt_depctr 0xfff
	v_fma_f64 v[44:45], -v[28:29], v[30:31], 1.0
	s_delay_alu instid0(VALU_DEP_1) | instskip(NEXT) | instid1(VALU_DEP_1)
	v_fma_f64 v[30:31], v[30:31], v[44:45], v[30:31]
	v_fma_f64 v[44:45], -v[28:29], v[30:31], 1.0
	s_delay_alu instid0(VALU_DEP_1) | instskip(NEXT) | instid1(VALU_DEP_1)
	v_fma_f64 v[30:31], v[30:31], v[44:45], v[30:31]
	v_mul_f64 v[44:45], v[46:47], v[30:31]
	s_delay_alu instid0(VALU_DEP_1) | instskip(NEXT) | instid1(VALU_DEP_1)
	v_fma_f64 v[28:29], -v[28:29], v[44:45], v[46:47]
	v_div_fmas_f64 v[28:29], v[28:29], v[30:31], v[44:45]
	s_delay_alu instid0(VALU_DEP_1) | instskip(NEXT) | instid1(VALU_DEP_1)
	v_div_fixup_f64 v[28:29], v[28:29], v[112:113], v[114:115]
	v_fma_f64 v[30:31], v[114:115], v[28:29], v[112:113]
	s_delay_alu instid0(VALU_DEP_1) | instskip(NEXT) | instid1(VALU_DEP_1)
	v_div_scale_f64 v[44:45], null, v[30:31], v[30:31], 1.0
	v_rcp_f64_e32 v[46:47], v[44:45]
	s_waitcnt_depctr 0xfff
	v_fma_f64 v[92:93], -v[44:45], v[46:47], 1.0
	s_delay_alu instid0(VALU_DEP_1) | instskip(NEXT) | instid1(VALU_DEP_1)
	v_fma_f64 v[46:47], v[46:47], v[92:93], v[46:47]
	v_fma_f64 v[92:93], -v[44:45], v[46:47], 1.0
	s_delay_alu instid0(VALU_DEP_1) | instskip(SKIP_1) | instid1(VALU_DEP_1)
	v_fma_f64 v[46:47], v[46:47], v[92:93], v[46:47]
	v_div_scale_f64 v[92:93], vcc_lo, 1.0, v[30:31], 1.0
	v_mul_f64 v[94:95], v[92:93], v[46:47]
	s_delay_alu instid0(VALU_DEP_1) | instskip(NEXT) | instid1(VALU_DEP_1)
	v_fma_f64 v[44:45], -v[44:45], v[94:95], v[92:93]
	v_div_fmas_f64 v[44:45], v[44:45], v[46:47], v[94:95]
	s_delay_alu instid0(VALU_DEP_1) | instskip(NEXT) | instid1(VALU_DEP_1)
	v_div_fixup_f64 v[112:113], v[44:45], v[30:31], 1.0
	v_mul_f64 v[114:115], v[28:29], -v[112:113]
.LBB54_261:
	s_or_b32 exec_lo, exec_lo, s2
.LBB54_262:
	s_delay_alu instid0(SALU_CYCLE_1) | instskip(NEXT) | instid1(SALU_CYCLE_1)
	s_or_b32 exec_lo, exec_lo, s3
	s_mov_b32 s2, exec_lo
	v_cmpx_ne_u32_e64 v140, v116
	s_xor_b32 s2, exec_lo, s2
	s_cbranch_execz .LBB54_268
; %bb.263:
	s_mov_b32 s3, exec_lo
	v_cmpx_eq_u32_e32 12, v140
	s_cbranch_execz .LBB54_267
; %bb.264:
	v_cmp_ne_u32_e32 vcc_lo, 12, v116
	s_xor_b32 s6, s4, -1
	s_delay_alu instid0(SALU_CYCLE_1) | instskip(NEXT) | instid1(SALU_CYCLE_1)
	s_and_b32 s7, s6, vcc_lo
	s_and_saveexec_b32 s6, s7
	s_cbranch_execz .LBB54_266
; %bb.265:
	v_ashrrev_i32_e32 v117, 31, v116
	s_delay_alu instid0(VALU_DEP_1) | instskip(NEXT) | instid1(VALU_DEP_1)
	v_lshlrev_b64 v[28:29], 2, v[116:117]
	v_add_co_u32 v28, vcc_lo, v78, v28
	s_delay_alu instid0(VALU_DEP_2)
	v_add_co_ci_u32_e32 v29, vcc_lo, v79, v29, vcc_lo
	s_clause 0x1
	flat_load_b32 v30, v[28:29]
	flat_load_b32 v31, v[78:79] offset:48
	s_waitcnt vmcnt(1) lgkmcnt(1)
	flat_store_b32 v[78:79], v30 offset:48
	s_waitcnt vmcnt(0) lgkmcnt(1)
	flat_store_b32 v[28:29], v31
.LBB54_266:
	s_or_b32 exec_lo, exec_lo, s6
	v_mov_b32_e32 v140, v116
	v_mov_b32_e32 v231, v116
.LBB54_267:
	s_or_b32 exec_lo, exec_lo, s3
.LBB54_268:
	s_and_not1_saveexec_b32 s2, s2
	s_cbranch_execz .LBB54_270
; %bb.269:
	v_mov_b32_e32 v140, 12
	ds_store_2addr_b64 v138, v[48:49], v[50:51] offset0:26 offset1:27
	ds_store_2addr_b64 v138, v[72:73], v[74:75] offset0:28 offset1:29
	;; [unrolled: 1-line block ×15, first 2 shown]
.LBB54_270:
	s_or_b32 exec_lo, exec_lo, s2
	s_delay_alu instid0(SALU_CYCLE_1)
	s_mov_b32 s2, exec_lo
	s_waitcnt lgkmcnt(0)
	s_waitcnt_vscnt null, 0x0
	s_barrier
	buffer_gl0_inv
	v_cmpx_lt_i32_e32 12, v140
	s_cbranch_execz .LBB54_272
; %bb.271:
	v_mul_f64 v[28:29], v[112:113], v[66:67]
	v_mul_f64 v[30:31], v[114:115], v[66:67]
	s_delay_alu instid0(VALU_DEP_2)
	v_fma_f64 v[28:29], v[114:115], v[64:65], v[28:29]
	ds_load_2addr_b64 v[114:117], v138 offset0:26 offset1:27
	ds_load_2addr_b64 v[118:121], v138 offset0:28 offset1:29
	;; [unrolled: 1-line block ×15, first 2 shown]
	v_fma_f64 v[64:65], v[112:113], v[64:65], -v[30:31]
	s_waitcnt lgkmcnt(14)
	v_mul_f64 v[30:31], v[116:117], v[28:29]
	v_mul_f64 v[44:45], v[114:115], v[28:29]
	s_waitcnt lgkmcnt(13)
	v_mul_f64 v[46:47], v[120:121], v[28:29]
	v_mul_f64 v[66:67], v[118:119], v[28:29]
	;; [unrolled: 3-line block ×15, first 2 shown]
	v_fma_f64 v[30:31], v[114:115], v[64:65], -v[30:31]
	v_fma_f64 v[44:45], v[116:117], v[64:65], v[44:45]
	v_fma_f64 v[46:47], v[118:119], v[64:65], -v[46:47]
	v_fma_f64 v[66:67], v[120:121], v[64:65], v[66:67]
	;; [unrolled: 2-line block ×15, first 2 shown]
	v_add_f64 v[48:49], v[48:49], -v[30:31]
	v_add_f64 v[50:51], v[50:51], -v[44:45]
	;; [unrolled: 1-line block ×30, first 2 shown]
	v_dual_mov_b32 v67, v29 :: v_dual_mov_b32 v66, v28
.LBB54_272:
	s_or_b32 exec_lo, exec_lo, s2
	v_lshl_add_u32 v28, v140, 4, v138
	s_barrier
	buffer_gl0_inv
	v_mov_b32_e32 v116, 13
	ds_store_2addr_b64 v28, v[48:49], v[50:51] offset1:1
	s_waitcnt lgkmcnt(0)
	s_barrier
	buffer_gl0_inv
	ds_load_2addr_b64 v[112:115], v138 offset0:26 offset1:27
	s_cmp_lt_i32 s5, 15
	s_cbranch_scc1 .LBB54_275
; %bb.273:
	v_add3_u32 v117, v62, 0, 0xe0
	v_mov_b32_e32 v116, 13
	s_mov_b32 s6, 14
	s_set_inst_prefetch_distance 0x1
	.p2align	6
.LBB54_274:                             ; =>This Inner Loop Header: Depth=1
	ds_load_2addr_b64 v[118:121], v117 offset1:1
	s_waitcnt lgkmcnt(1)
	v_cmp_gt_f64_e32 vcc_lo, 0, v[112:113]
	v_xor_b32_e32 v28, 0x80000000, v113
	v_cmp_gt_f64_e64 s2, 0, v[114:115]
	v_xor_b32_e32 v30, 0x80000000, v115
	v_add_nc_u32_e32 v117, 16, v117
	s_waitcnt lgkmcnt(0)
	v_cmp_gt_f64_e64 s3, 0, v[118:119]
	v_mov_b32_e32 v44, v118
	v_dual_mov_b32 v46, v120 :: v_dual_cndmask_b32 v29, v113, v28
	v_xor_b32_e32 v28, 0x80000000, v119
	v_cndmask_b32_e64 v31, v115, v30, s2
	v_xor_b32_e32 v30, 0x80000000, v121
	s_delay_alu instid0(VALU_DEP_3) | instskip(SKIP_2) | instid1(VALU_DEP_2)
	v_cndmask_b32_e64 v45, v119, v28, s3
	v_cmp_gt_f64_e64 s3, 0, v[120:121]
	v_cndmask_b32_e32 v28, v112, v112, vcc_lo
	v_cndmask_b32_e64 v47, v121, v30, s3
	v_cndmask_b32_e64 v30, v114, v114, s2
	s_delay_alu instid0(VALU_DEP_2) | instskip(NEXT) | instid1(VALU_DEP_2)
	v_add_f64 v[44:45], v[44:45], v[46:47]
	v_add_f64 v[28:29], v[28:29], v[30:31]
	s_delay_alu instid0(VALU_DEP_1)
	v_cmp_lt_f64_e32 vcc_lo, v[28:29], v[44:45]
	v_cndmask_b32_e32 v115, v115, v121, vcc_lo
	v_dual_cndmask_b32 v113, v113, v119 :: v_dual_cndmask_b32 v112, v112, v118
	v_cndmask_b32_e32 v114, v114, v120, vcc_lo
	v_cndmask_b32_e64 v116, v116, s6, vcc_lo
	s_add_i32 s6, s6, 1
	s_delay_alu instid0(SALU_CYCLE_1)
	s_cmp_lg_u32 s5, s6
	s_cbranch_scc1 .LBB54_274
.LBB54_275:
	s_set_inst_prefetch_distance 0x2
	s_waitcnt lgkmcnt(0)
	v_cmp_eq_f64_e32 vcc_lo, 0, v[112:113]
	v_cmp_eq_f64_e64 s2, 0, v[114:115]
	s_delay_alu instid0(VALU_DEP_1) | instskip(NEXT) | instid1(SALU_CYCLE_1)
	s_and_b32 s2, vcc_lo, s2
	s_and_saveexec_b32 s3, s2
	s_delay_alu instid0(SALU_CYCLE_1)
	s_xor_b32 s2, exec_lo, s3
; %bb.276:
	v_cmp_ne_u32_e32 vcc_lo, 0, v232
	v_cndmask_b32_e32 v232, 14, v232, vcc_lo
; %bb.277:
	s_and_not1_saveexec_b32 s3, s2
	s_cbranch_execz .LBB54_283
; %bb.278:
	v_cmp_gt_f64_e32 vcc_lo, 0, v[112:113]
	v_cmp_gt_f64_e64 s2, 0, v[114:115]
	v_xor_b32_e32 v28, 0x80000000, v113
	v_xor_b32_e32 v30, 0x80000000, v115
	s_delay_alu instid0(VALU_DEP_2) | instskip(NEXT) | instid1(VALU_DEP_2)
	v_cndmask_b32_e32 v29, v113, v28, vcc_lo
	v_cndmask_b32_e64 v31, v115, v30, s2
	v_cndmask_b32_e32 v28, v112, v112, vcc_lo
	v_cndmask_b32_e64 v30, v114, v114, s2
	s_mov_b32 s2, exec_lo
	s_delay_alu instid0(VALU_DEP_1)
	v_cmpx_ngt_f64_e32 v[28:29], v[30:31]
	s_xor_b32 s2, exec_lo, s2
	s_cbranch_execz .LBB54_280
; %bb.279:
	v_div_scale_f64 v[28:29], null, v[114:115], v[114:115], v[112:113]
	v_div_scale_f64 v[46:47], vcc_lo, v[112:113], v[114:115], v[112:113]
	s_delay_alu instid0(VALU_DEP_2) | instskip(SKIP_2) | instid1(VALU_DEP_1)
	v_rcp_f64_e32 v[30:31], v[28:29]
	s_waitcnt_depctr 0xfff
	v_fma_f64 v[44:45], -v[28:29], v[30:31], 1.0
	v_fma_f64 v[30:31], v[30:31], v[44:45], v[30:31]
	s_delay_alu instid0(VALU_DEP_1) | instskip(NEXT) | instid1(VALU_DEP_1)
	v_fma_f64 v[44:45], -v[28:29], v[30:31], 1.0
	v_fma_f64 v[30:31], v[30:31], v[44:45], v[30:31]
	s_delay_alu instid0(VALU_DEP_1) | instskip(NEXT) | instid1(VALU_DEP_1)
	v_mul_f64 v[44:45], v[46:47], v[30:31]
	v_fma_f64 v[28:29], -v[28:29], v[44:45], v[46:47]
	s_delay_alu instid0(VALU_DEP_1) | instskip(NEXT) | instid1(VALU_DEP_1)
	v_div_fmas_f64 v[28:29], v[28:29], v[30:31], v[44:45]
	v_div_fixup_f64 v[28:29], v[28:29], v[114:115], v[112:113]
	s_delay_alu instid0(VALU_DEP_1) | instskip(NEXT) | instid1(VALU_DEP_1)
	v_fma_f64 v[30:31], v[112:113], v[28:29], v[114:115]
	v_div_scale_f64 v[44:45], null, v[30:31], v[30:31], 1.0
	s_delay_alu instid0(VALU_DEP_1) | instskip(SKIP_2) | instid1(VALU_DEP_1)
	v_rcp_f64_e32 v[46:47], v[44:45]
	s_waitcnt_depctr 0xfff
	v_fma_f64 v[92:93], -v[44:45], v[46:47], 1.0
	v_fma_f64 v[46:47], v[46:47], v[92:93], v[46:47]
	s_delay_alu instid0(VALU_DEP_1) | instskip(NEXT) | instid1(VALU_DEP_1)
	v_fma_f64 v[92:93], -v[44:45], v[46:47], 1.0
	v_fma_f64 v[46:47], v[46:47], v[92:93], v[46:47]
	v_div_scale_f64 v[92:93], vcc_lo, 1.0, v[30:31], 1.0
	s_delay_alu instid0(VALU_DEP_1) | instskip(NEXT) | instid1(VALU_DEP_1)
	v_mul_f64 v[94:95], v[92:93], v[46:47]
	v_fma_f64 v[44:45], -v[44:45], v[94:95], v[92:93]
	s_delay_alu instid0(VALU_DEP_1) | instskip(NEXT) | instid1(VALU_DEP_1)
	v_div_fmas_f64 v[44:45], v[44:45], v[46:47], v[94:95]
	v_div_fixup_f64 v[114:115], v[44:45], v[30:31], 1.0
	s_delay_alu instid0(VALU_DEP_1)
	v_mul_f64 v[112:113], v[28:29], v[114:115]
	v_xor_b32_e32 v115, 0x80000000, v115
.LBB54_280:
	s_and_not1_saveexec_b32 s2, s2
	s_cbranch_execz .LBB54_282
; %bb.281:
	s_delay_alu instid0(VALU_DEP_1) | instskip(SKIP_1) | instid1(VALU_DEP_2)
	v_div_scale_f64 v[28:29], null, v[112:113], v[112:113], v[114:115]
	v_div_scale_f64 v[46:47], vcc_lo, v[114:115], v[112:113], v[114:115]
	v_rcp_f64_e32 v[30:31], v[28:29]
	s_waitcnt_depctr 0xfff
	v_fma_f64 v[44:45], -v[28:29], v[30:31], 1.0
	s_delay_alu instid0(VALU_DEP_1) | instskip(NEXT) | instid1(VALU_DEP_1)
	v_fma_f64 v[30:31], v[30:31], v[44:45], v[30:31]
	v_fma_f64 v[44:45], -v[28:29], v[30:31], 1.0
	s_delay_alu instid0(VALU_DEP_1) | instskip(NEXT) | instid1(VALU_DEP_1)
	v_fma_f64 v[30:31], v[30:31], v[44:45], v[30:31]
	v_mul_f64 v[44:45], v[46:47], v[30:31]
	s_delay_alu instid0(VALU_DEP_1) | instskip(NEXT) | instid1(VALU_DEP_1)
	v_fma_f64 v[28:29], -v[28:29], v[44:45], v[46:47]
	v_div_fmas_f64 v[28:29], v[28:29], v[30:31], v[44:45]
	s_delay_alu instid0(VALU_DEP_1) | instskip(NEXT) | instid1(VALU_DEP_1)
	v_div_fixup_f64 v[28:29], v[28:29], v[112:113], v[114:115]
	v_fma_f64 v[30:31], v[114:115], v[28:29], v[112:113]
	s_delay_alu instid0(VALU_DEP_1) | instskip(NEXT) | instid1(VALU_DEP_1)
	v_div_scale_f64 v[44:45], null, v[30:31], v[30:31], 1.0
	v_rcp_f64_e32 v[46:47], v[44:45]
	s_waitcnt_depctr 0xfff
	v_fma_f64 v[92:93], -v[44:45], v[46:47], 1.0
	s_delay_alu instid0(VALU_DEP_1) | instskip(NEXT) | instid1(VALU_DEP_1)
	v_fma_f64 v[46:47], v[46:47], v[92:93], v[46:47]
	v_fma_f64 v[92:93], -v[44:45], v[46:47], 1.0
	s_delay_alu instid0(VALU_DEP_1) | instskip(SKIP_1) | instid1(VALU_DEP_1)
	v_fma_f64 v[46:47], v[46:47], v[92:93], v[46:47]
	v_div_scale_f64 v[92:93], vcc_lo, 1.0, v[30:31], 1.0
	v_mul_f64 v[94:95], v[92:93], v[46:47]
	s_delay_alu instid0(VALU_DEP_1) | instskip(NEXT) | instid1(VALU_DEP_1)
	v_fma_f64 v[44:45], -v[44:45], v[94:95], v[92:93]
	v_div_fmas_f64 v[44:45], v[44:45], v[46:47], v[94:95]
	s_delay_alu instid0(VALU_DEP_1) | instskip(NEXT) | instid1(VALU_DEP_1)
	v_div_fixup_f64 v[112:113], v[44:45], v[30:31], 1.0
	v_mul_f64 v[114:115], v[28:29], -v[112:113]
.LBB54_282:
	s_or_b32 exec_lo, exec_lo, s2
.LBB54_283:
	s_delay_alu instid0(SALU_CYCLE_1) | instskip(NEXT) | instid1(SALU_CYCLE_1)
	s_or_b32 exec_lo, exec_lo, s3
	s_mov_b32 s2, exec_lo
	v_cmpx_ne_u32_e64 v140, v116
	s_xor_b32 s2, exec_lo, s2
	s_cbranch_execz .LBB54_289
; %bb.284:
	s_mov_b32 s3, exec_lo
	v_cmpx_eq_u32_e32 13, v140
	s_cbranch_execz .LBB54_288
; %bb.285:
	v_cmp_ne_u32_e32 vcc_lo, 13, v116
	s_xor_b32 s6, s4, -1
	s_delay_alu instid0(SALU_CYCLE_1) | instskip(NEXT) | instid1(SALU_CYCLE_1)
	s_and_b32 s7, s6, vcc_lo
	s_and_saveexec_b32 s6, s7
	s_cbranch_execz .LBB54_287
; %bb.286:
	v_ashrrev_i32_e32 v117, 31, v116
	s_delay_alu instid0(VALU_DEP_1) | instskip(NEXT) | instid1(VALU_DEP_1)
	v_lshlrev_b64 v[28:29], 2, v[116:117]
	v_add_co_u32 v28, vcc_lo, v78, v28
	s_delay_alu instid0(VALU_DEP_2)
	v_add_co_ci_u32_e32 v29, vcc_lo, v79, v29, vcc_lo
	s_clause 0x1
	flat_load_b32 v30, v[28:29]
	flat_load_b32 v31, v[78:79] offset:52
	s_waitcnt vmcnt(1) lgkmcnt(1)
	flat_store_b32 v[78:79], v30 offset:52
	s_waitcnt vmcnt(0) lgkmcnt(1)
	flat_store_b32 v[28:29], v31
.LBB54_287:
	s_or_b32 exec_lo, exec_lo, s6
	v_mov_b32_e32 v140, v116
	v_mov_b32_e32 v231, v116
.LBB54_288:
	s_or_b32 exec_lo, exec_lo, s3
.LBB54_289:
	s_and_not1_saveexec_b32 s2, s2
	s_cbranch_execz .LBB54_291
; %bb.290:
	v_mov_b32_e32 v140, 13
	ds_store_2addr_b64 v138, v[72:73], v[74:75] offset0:28 offset1:29
	ds_store_2addr_b64 v138, v[68:69], v[70:71] offset0:30 offset1:31
	;; [unrolled: 1-line block ×14, first 2 shown]
.LBB54_291:
	s_or_b32 exec_lo, exec_lo, s2
	s_delay_alu instid0(SALU_CYCLE_1)
	s_mov_b32 s2, exec_lo
	s_waitcnt lgkmcnt(0)
	s_waitcnt_vscnt null, 0x0
	s_barrier
	buffer_gl0_inv
	v_cmpx_lt_i32_e32 13, v140
	s_cbranch_execz .LBB54_293
; %bb.292:
	v_mul_f64 v[28:29], v[112:113], v[50:51]
	v_mul_f64 v[30:31], v[114:115], v[50:51]
	s_delay_alu instid0(VALU_DEP_2)
	v_fma_f64 v[28:29], v[114:115], v[48:49], v[28:29]
	ds_load_2addr_b64 v[114:117], v138 offset0:28 offset1:29
	ds_load_2addr_b64 v[118:121], v138 offset0:30 offset1:31
	;; [unrolled: 1-line block ×14, first 2 shown]
	v_fma_f64 v[48:49], v[112:113], v[48:49], -v[30:31]
	s_waitcnt lgkmcnt(13)
	v_mul_f64 v[30:31], v[116:117], v[28:29]
	v_mul_f64 v[44:45], v[114:115], v[28:29]
	s_waitcnt lgkmcnt(12)
	v_mul_f64 v[46:47], v[120:121], v[28:29]
	v_mul_f64 v[50:51], v[118:119], v[28:29]
	;; [unrolled: 3-line block ×14, first 2 shown]
	v_fma_f64 v[30:31], v[114:115], v[48:49], -v[30:31]
	v_fma_f64 v[44:45], v[116:117], v[48:49], v[44:45]
	v_fma_f64 v[46:47], v[118:119], v[48:49], -v[46:47]
	v_fma_f64 v[50:51], v[120:121], v[48:49], v[50:51]
	;; [unrolled: 2-line block ×14, first 2 shown]
	v_add_f64 v[72:73], v[72:73], -v[30:31]
	v_add_f64 v[74:75], v[74:75], -v[44:45]
	v_add_f64 v[68:69], v[68:69], -v[46:47]
	v_add_f64 v[70:71], v[70:71], -v[50:51]
	v_add_f64 v[56:57], v[56:57], -v[92:93]
	v_add_f64 v[58:59], v[58:59], -v[94:95]
	v_add_f64 v[52:53], v[52:53], -v[96:97]
	v_add_f64 v[54:55], v[54:55], -v[98:99]
	v_add_f64 v[40:41], v[40:41], -v[100:101]
	v_add_f64 v[42:43], v[42:43], -v[102:103]
	v_add_f64 v[36:37], v[36:37], -v[104:105]
	v_add_f64 v[38:39], v[38:39], -v[106:107]
	v_add_f64 v[32:33], v[32:33], -v[108:109]
	v_add_f64 v[34:35], v[34:35], -v[110:111]
	v_add_f64 v[24:25], v[24:25], -v[112:113]
	v_add_f64 v[26:27], v[26:27], -v[114:115]
	v_add_f64 v[20:21], v[20:21], -v[116:117]
	v_add_f64 v[22:23], v[22:23], -v[118:119]
	v_add_f64 v[16:17], v[16:17], -v[120:121]
	v_add_f64 v[18:19], v[18:19], -v[122:123]
	v_add_f64 v[12:13], v[12:13], -v[124:125]
	v_add_f64 v[14:15], v[14:15], -v[126:127]
	v_add_f64 v[8:9], v[8:9], -v[128:129]
	v_add_f64 v[10:11], v[10:11], -v[130:131]
	v_add_f64 v[4:5], v[4:5], -v[132:133]
	v_add_f64 v[6:7], v[6:7], -v[141:142]
	v_add_f64 v[134:135], v[134:135], -v[143:144]
	v_add_f64 v[136:137], v[136:137], -v[145:146]
	v_dual_mov_b32 v51, v29 :: v_dual_mov_b32 v50, v28
.LBB54_293:
	s_or_b32 exec_lo, exec_lo, s2
	v_lshl_add_u32 v28, v140, 4, v138
	s_barrier
	buffer_gl0_inv
	v_mov_b32_e32 v116, 14
	ds_store_2addr_b64 v28, v[72:73], v[74:75] offset1:1
	s_waitcnt lgkmcnt(0)
	s_barrier
	buffer_gl0_inv
	ds_load_2addr_b64 v[112:115], v138 offset0:28 offset1:29
	s_cmp_lt_i32 s5, 16
	s_cbranch_scc1 .LBB54_296
; %bb.294:
	v_add3_u32 v117, v62, 0, 0xf0
	v_mov_b32_e32 v116, 14
	s_mov_b32 s6, 15
	s_set_inst_prefetch_distance 0x1
	.p2align	6
.LBB54_295:                             ; =>This Inner Loop Header: Depth=1
	ds_load_2addr_b64 v[118:121], v117 offset1:1
	s_waitcnt lgkmcnt(1)
	v_cmp_gt_f64_e32 vcc_lo, 0, v[112:113]
	v_xor_b32_e32 v28, 0x80000000, v113
	v_cmp_gt_f64_e64 s2, 0, v[114:115]
	v_xor_b32_e32 v30, 0x80000000, v115
	v_add_nc_u32_e32 v117, 16, v117
	s_waitcnt lgkmcnt(0)
	v_cmp_gt_f64_e64 s3, 0, v[118:119]
	v_mov_b32_e32 v44, v118
	v_dual_mov_b32 v46, v120 :: v_dual_cndmask_b32 v29, v113, v28
	v_xor_b32_e32 v28, 0x80000000, v119
	v_cndmask_b32_e64 v31, v115, v30, s2
	v_xor_b32_e32 v30, 0x80000000, v121
	s_delay_alu instid0(VALU_DEP_3) | instskip(SKIP_2) | instid1(VALU_DEP_2)
	v_cndmask_b32_e64 v45, v119, v28, s3
	v_cmp_gt_f64_e64 s3, 0, v[120:121]
	v_cndmask_b32_e32 v28, v112, v112, vcc_lo
	v_cndmask_b32_e64 v47, v121, v30, s3
	v_cndmask_b32_e64 v30, v114, v114, s2
	s_delay_alu instid0(VALU_DEP_2) | instskip(NEXT) | instid1(VALU_DEP_2)
	v_add_f64 v[44:45], v[44:45], v[46:47]
	v_add_f64 v[28:29], v[28:29], v[30:31]
	s_delay_alu instid0(VALU_DEP_1)
	v_cmp_lt_f64_e32 vcc_lo, v[28:29], v[44:45]
	v_cndmask_b32_e32 v115, v115, v121, vcc_lo
	v_dual_cndmask_b32 v113, v113, v119 :: v_dual_cndmask_b32 v112, v112, v118
	v_cndmask_b32_e32 v114, v114, v120, vcc_lo
	v_cndmask_b32_e64 v116, v116, s6, vcc_lo
	s_add_i32 s6, s6, 1
	s_delay_alu instid0(SALU_CYCLE_1)
	s_cmp_lg_u32 s5, s6
	s_cbranch_scc1 .LBB54_295
.LBB54_296:
	s_set_inst_prefetch_distance 0x2
	s_waitcnt lgkmcnt(0)
	v_cmp_eq_f64_e32 vcc_lo, 0, v[112:113]
	v_cmp_eq_f64_e64 s2, 0, v[114:115]
	s_delay_alu instid0(VALU_DEP_1) | instskip(NEXT) | instid1(SALU_CYCLE_1)
	s_and_b32 s2, vcc_lo, s2
	s_and_saveexec_b32 s3, s2
	s_delay_alu instid0(SALU_CYCLE_1)
	s_xor_b32 s2, exec_lo, s3
; %bb.297:
	v_cmp_ne_u32_e32 vcc_lo, 0, v232
	v_cndmask_b32_e32 v232, 15, v232, vcc_lo
; %bb.298:
	s_and_not1_saveexec_b32 s3, s2
	s_cbranch_execz .LBB54_304
; %bb.299:
	v_cmp_gt_f64_e32 vcc_lo, 0, v[112:113]
	v_cmp_gt_f64_e64 s2, 0, v[114:115]
	v_xor_b32_e32 v28, 0x80000000, v113
	v_xor_b32_e32 v30, 0x80000000, v115
	s_delay_alu instid0(VALU_DEP_2) | instskip(NEXT) | instid1(VALU_DEP_2)
	v_cndmask_b32_e32 v29, v113, v28, vcc_lo
	v_cndmask_b32_e64 v31, v115, v30, s2
	v_cndmask_b32_e32 v28, v112, v112, vcc_lo
	v_cndmask_b32_e64 v30, v114, v114, s2
	s_mov_b32 s2, exec_lo
	s_delay_alu instid0(VALU_DEP_1)
	v_cmpx_ngt_f64_e32 v[28:29], v[30:31]
	s_xor_b32 s2, exec_lo, s2
	s_cbranch_execz .LBB54_301
; %bb.300:
	v_div_scale_f64 v[28:29], null, v[114:115], v[114:115], v[112:113]
	v_div_scale_f64 v[46:47], vcc_lo, v[112:113], v[114:115], v[112:113]
	s_delay_alu instid0(VALU_DEP_2) | instskip(SKIP_2) | instid1(VALU_DEP_1)
	v_rcp_f64_e32 v[30:31], v[28:29]
	s_waitcnt_depctr 0xfff
	v_fma_f64 v[44:45], -v[28:29], v[30:31], 1.0
	v_fma_f64 v[30:31], v[30:31], v[44:45], v[30:31]
	s_delay_alu instid0(VALU_DEP_1) | instskip(NEXT) | instid1(VALU_DEP_1)
	v_fma_f64 v[44:45], -v[28:29], v[30:31], 1.0
	v_fma_f64 v[30:31], v[30:31], v[44:45], v[30:31]
	s_delay_alu instid0(VALU_DEP_1) | instskip(NEXT) | instid1(VALU_DEP_1)
	v_mul_f64 v[44:45], v[46:47], v[30:31]
	v_fma_f64 v[28:29], -v[28:29], v[44:45], v[46:47]
	s_delay_alu instid0(VALU_DEP_1) | instskip(NEXT) | instid1(VALU_DEP_1)
	v_div_fmas_f64 v[28:29], v[28:29], v[30:31], v[44:45]
	v_div_fixup_f64 v[28:29], v[28:29], v[114:115], v[112:113]
	s_delay_alu instid0(VALU_DEP_1) | instskip(NEXT) | instid1(VALU_DEP_1)
	v_fma_f64 v[30:31], v[112:113], v[28:29], v[114:115]
	v_div_scale_f64 v[44:45], null, v[30:31], v[30:31], 1.0
	s_delay_alu instid0(VALU_DEP_1) | instskip(SKIP_2) | instid1(VALU_DEP_1)
	v_rcp_f64_e32 v[46:47], v[44:45]
	s_waitcnt_depctr 0xfff
	v_fma_f64 v[92:93], -v[44:45], v[46:47], 1.0
	v_fma_f64 v[46:47], v[46:47], v[92:93], v[46:47]
	s_delay_alu instid0(VALU_DEP_1) | instskip(NEXT) | instid1(VALU_DEP_1)
	v_fma_f64 v[92:93], -v[44:45], v[46:47], 1.0
	v_fma_f64 v[46:47], v[46:47], v[92:93], v[46:47]
	v_div_scale_f64 v[92:93], vcc_lo, 1.0, v[30:31], 1.0
	s_delay_alu instid0(VALU_DEP_1) | instskip(NEXT) | instid1(VALU_DEP_1)
	v_mul_f64 v[94:95], v[92:93], v[46:47]
	v_fma_f64 v[44:45], -v[44:45], v[94:95], v[92:93]
	s_delay_alu instid0(VALU_DEP_1) | instskip(NEXT) | instid1(VALU_DEP_1)
	v_div_fmas_f64 v[44:45], v[44:45], v[46:47], v[94:95]
	v_div_fixup_f64 v[114:115], v[44:45], v[30:31], 1.0
	s_delay_alu instid0(VALU_DEP_1)
	v_mul_f64 v[112:113], v[28:29], v[114:115]
	v_xor_b32_e32 v115, 0x80000000, v115
.LBB54_301:
	s_and_not1_saveexec_b32 s2, s2
	s_cbranch_execz .LBB54_303
; %bb.302:
	s_delay_alu instid0(VALU_DEP_1) | instskip(SKIP_1) | instid1(VALU_DEP_2)
	v_div_scale_f64 v[28:29], null, v[112:113], v[112:113], v[114:115]
	v_div_scale_f64 v[46:47], vcc_lo, v[114:115], v[112:113], v[114:115]
	v_rcp_f64_e32 v[30:31], v[28:29]
	s_waitcnt_depctr 0xfff
	v_fma_f64 v[44:45], -v[28:29], v[30:31], 1.0
	s_delay_alu instid0(VALU_DEP_1) | instskip(NEXT) | instid1(VALU_DEP_1)
	v_fma_f64 v[30:31], v[30:31], v[44:45], v[30:31]
	v_fma_f64 v[44:45], -v[28:29], v[30:31], 1.0
	s_delay_alu instid0(VALU_DEP_1) | instskip(NEXT) | instid1(VALU_DEP_1)
	v_fma_f64 v[30:31], v[30:31], v[44:45], v[30:31]
	v_mul_f64 v[44:45], v[46:47], v[30:31]
	s_delay_alu instid0(VALU_DEP_1) | instskip(NEXT) | instid1(VALU_DEP_1)
	v_fma_f64 v[28:29], -v[28:29], v[44:45], v[46:47]
	v_div_fmas_f64 v[28:29], v[28:29], v[30:31], v[44:45]
	s_delay_alu instid0(VALU_DEP_1) | instskip(NEXT) | instid1(VALU_DEP_1)
	v_div_fixup_f64 v[28:29], v[28:29], v[112:113], v[114:115]
	v_fma_f64 v[30:31], v[114:115], v[28:29], v[112:113]
	s_delay_alu instid0(VALU_DEP_1) | instskip(NEXT) | instid1(VALU_DEP_1)
	v_div_scale_f64 v[44:45], null, v[30:31], v[30:31], 1.0
	v_rcp_f64_e32 v[46:47], v[44:45]
	s_waitcnt_depctr 0xfff
	v_fma_f64 v[92:93], -v[44:45], v[46:47], 1.0
	s_delay_alu instid0(VALU_DEP_1) | instskip(NEXT) | instid1(VALU_DEP_1)
	v_fma_f64 v[46:47], v[46:47], v[92:93], v[46:47]
	v_fma_f64 v[92:93], -v[44:45], v[46:47], 1.0
	s_delay_alu instid0(VALU_DEP_1) | instskip(SKIP_1) | instid1(VALU_DEP_1)
	v_fma_f64 v[46:47], v[46:47], v[92:93], v[46:47]
	v_div_scale_f64 v[92:93], vcc_lo, 1.0, v[30:31], 1.0
	v_mul_f64 v[94:95], v[92:93], v[46:47]
	s_delay_alu instid0(VALU_DEP_1) | instskip(NEXT) | instid1(VALU_DEP_1)
	v_fma_f64 v[44:45], -v[44:45], v[94:95], v[92:93]
	v_div_fmas_f64 v[44:45], v[44:45], v[46:47], v[94:95]
	s_delay_alu instid0(VALU_DEP_1) | instskip(NEXT) | instid1(VALU_DEP_1)
	v_div_fixup_f64 v[112:113], v[44:45], v[30:31], 1.0
	v_mul_f64 v[114:115], v[28:29], -v[112:113]
.LBB54_303:
	s_or_b32 exec_lo, exec_lo, s2
.LBB54_304:
	s_delay_alu instid0(SALU_CYCLE_1) | instskip(NEXT) | instid1(SALU_CYCLE_1)
	s_or_b32 exec_lo, exec_lo, s3
	s_mov_b32 s2, exec_lo
	v_cmpx_ne_u32_e64 v140, v116
	s_xor_b32 s2, exec_lo, s2
	s_cbranch_execz .LBB54_310
; %bb.305:
	s_mov_b32 s3, exec_lo
	v_cmpx_eq_u32_e32 14, v140
	s_cbranch_execz .LBB54_309
; %bb.306:
	v_cmp_ne_u32_e32 vcc_lo, 14, v116
	s_xor_b32 s6, s4, -1
	s_delay_alu instid0(SALU_CYCLE_1) | instskip(NEXT) | instid1(SALU_CYCLE_1)
	s_and_b32 s7, s6, vcc_lo
	s_and_saveexec_b32 s6, s7
	s_cbranch_execz .LBB54_308
; %bb.307:
	v_ashrrev_i32_e32 v117, 31, v116
	s_delay_alu instid0(VALU_DEP_1) | instskip(NEXT) | instid1(VALU_DEP_1)
	v_lshlrev_b64 v[28:29], 2, v[116:117]
	v_add_co_u32 v28, vcc_lo, v78, v28
	s_delay_alu instid0(VALU_DEP_2)
	v_add_co_ci_u32_e32 v29, vcc_lo, v79, v29, vcc_lo
	s_clause 0x1
	flat_load_b32 v30, v[28:29]
	flat_load_b32 v31, v[78:79] offset:56
	s_waitcnt vmcnt(1) lgkmcnt(1)
	flat_store_b32 v[78:79], v30 offset:56
	s_waitcnt vmcnt(0) lgkmcnt(1)
	flat_store_b32 v[28:29], v31
.LBB54_308:
	s_or_b32 exec_lo, exec_lo, s6
	v_mov_b32_e32 v140, v116
	v_mov_b32_e32 v231, v116
.LBB54_309:
	s_or_b32 exec_lo, exec_lo, s3
.LBB54_310:
	s_and_not1_saveexec_b32 s2, s2
	s_cbranch_execz .LBB54_312
; %bb.311:
	v_mov_b32_e32 v140, 14
	ds_store_2addr_b64 v138, v[68:69], v[70:71] offset0:30 offset1:31
	ds_store_2addr_b64 v138, v[56:57], v[58:59] offset0:32 offset1:33
	;; [unrolled: 1-line block ×13, first 2 shown]
.LBB54_312:
	s_or_b32 exec_lo, exec_lo, s2
	s_delay_alu instid0(SALU_CYCLE_1)
	s_mov_b32 s2, exec_lo
	s_waitcnt lgkmcnt(0)
	s_waitcnt_vscnt null, 0x0
	s_barrier
	buffer_gl0_inv
	v_cmpx_lt_i32_e32 14, v140
	s_cbranch_execz .LBB54_314
; %bb.313:
	v_mul_f64 v[28:29], v[112:113], v[74:75]
	v_mul_f64 v[30:31], v[114:115], v[74:75]
	s_delay_alu instid0(VALU_DEP_2)
	v_fma_f64 v[28:29], v[114:115], v[72:73], v[28:29]
	ds_load_2addr_b64 v[114:117], v138 offset0:30 offset1:31
	ds_load_2addr_b64 v[118:121], v138 offset0:32 offset1:33
	;; [unrolled: 1-line block ×13, first 2 shown]
	v_fma_f64 v[72:73], v[112:113], v[72:73], -v[30:31]
	s_waitcnt lgkmcnt(12)
	v_mul_f64 v[30:31], v[116:117], v[28:29]
	v_mul_f64 v[44:45], v[114:115], v[28:29]
	s_waitcnt lgkmcnt(11)
	v_mul_f64 v[46:47], v[120:121], v[28:29]
	v_mul_f64 v[74:75], v[118:119], v[28:29]
	;; [unrolled: 3-line block ×13, first 2 shown]
	v_fma_f64 v[30:31], v[114:115], v[72:73], -v[30:31]
	v_fma_f64 v[44:45], v[116:117], v[72:73], v[44:45]
	v_fma_f64 v[46:47], v[118:119], v[72:73], -v[46:47]
	v_fma_f64 v[74:75], v[120:121], v[72:73], v[74:75]
	;; [unrolled: 2-line block ×13, first 2 shown]
	v_add_f64 v[68:69], v[68:69], -v[30:31]
	v_add_f64 v[70:71], v[70:71], -v[44:45]
	;; [unrolled: 1-line block ×26, first 2 shown]
	v_dual_mov_b32 v75, v29 :: v_dual_mov_b32 v74, v28
.LBB54_314:
	s_or_b32 exec_lo, exec_lo, s2
	v_lshl_add_u32 v28, v140, 4, v138
	s_barrier
	buffer_gl0_inv
	v_mov_b32_e32 v116, 15
	ds_store_2addr_b64 v28, v[68:69], v[70:71] offset1:1
	s_waitcnt lgkmcnt(0)
	s_barrier
	buffer_gl0_inv
	ds_load_2addr_b64 v[112:115], v138 offset0:30 offset1:31
	s_cmp_lt_i32 s5, 17
	s_cbranch_scc1 .LBB54_317
; %bb.315:
	v_add3_u32 v117, v62, 0, 0x100
	v_mov_b32_e32 v116, 15
	s_mov_b32 s6, 16
	s_set_inst_prefetch_distance 0x1
	.p2align	6
.LBB54_316:                             ; =>This Inner Loop Header: Depth=1
	ds_load_2addr_b64 v[118:121], v117 offset1:1
	s_waitcnt lgkmcnt(1)
	v_cmp_gt_f64_e32 vcc_lo, 0, v[112:113]
	v_xor_b32_e32 v28, 0x80000000, v113
	v_cmp_gt_f64_e64 s2, 0, v[114:115]
	v_xor_b32_e32 v30, 0x80000000, v115
	v_add_nc_u32_e32 v117, 16, v117
	s_waitcnt lgkmcnt(0)
	v_cmp_gt_f64_e64 s3, 0, v[118:119]
	v_mov_b32_e32 v44, v118
	v_dual_mov_b32 v46, v120 :: v_dual_cndmask_b32 v29, v113, v28
	v_xor_b32_e32 v28, 0x80000000, v119
	v_cndmask_b32_e64 v31, v115, v30, s2
	v_xor_b32_e32 v30, 0x80000000, v121
	s_delay_alu instid0(VALU_DEP_3) | instskip(SKIP_2) | instid1(VALU_DEP_2)
	v_cndmask_b32_e64 v45, v119, v28, s3
	v_cmp_gt_f64_e64 s3, 0, v[120:121]
	v_cndmask_b32_e32 v28, v112, v112, vcc_lo
	v_cndmask_b32_e64 v47, v121, v30, s3
	v_cndmask_b32_e64 v30, v114, v114, s2
	s_delay_alu instid0(VALU_DEP_2) | instskip(NEXT) | instid1(VALU_DEP_2)
	v_add_f64 v[44:45], v[44:45], v[46:47]
	v_add_f64 v[28:29], v[28:29], v[30:31]
	s_delay_alu instid0(VALU_DEP_1)
	v_cmp_lt_f64_e32 vcc_lo, v[28:29], v[44:45]
	v_cndmask_b32_e32 v115, v115, v121, vcc_lo
	v_dual_cndmask_b32 v113, v113, v119 :: v_dual_cndmask_b32 v112, v112, v118
	v_cndmask_b32_e32 v114, v114, v120, vcc_lo
	v_cndmask_b32_e64 v116, v116, s6, vcc_lo
	s_add_i32 s6, s6, 1
	s_delay_alu instid0(SALU_CYCLE_1)
	s_cmp_lg_u32 s5, s6
	s_cbranch_scc1 .LBB54_316
.LBB54_317:
	s_set_inst_prefetch_distance 0x2
	s_waitcnt lgkmcnt(0)
	v_cmp_eq_f64_e32 vcc_lo, 0, v[112:113]
	v_cmp_eq_f64_e64 s2, 0, v[114:115]
	s_delay_alu instid0(VALU_DEP_1) | instskip(NEXT) | instid1(SALU_CYCLE_1)
	s_and_b32 s2, vcc_lo, s2
	s_and_saveexec_b32 s3, s2
	s_delay_alu instid0(SALU_CYCLE_1)
	s_xor_b32 s2, exec_lo, s3
; %bb.318:
	v_cmp_ne_u32_e32 vcc_lo, 0, v232
	v_cndmask_b32_e32 v232, 16, v232, vcc_lo
; %bb.319:
	s_and_not1_saveexec_b32 s3, s2
	s_cbranch_execz .LBB54_325
; %bb.320:
	v_cmp_gt_f64_e32 vcc_lo, 0, v[112:113]
	v_cmp_gt_f64_e64 s2, 0, v[114:115]
	v_xor_b32_e32 v28, 0x80000000, v113
	v_xor_b32_e32 v30, 0x80000000, v115
	s_delay_alu instid0(VALU_DEP_2) | instskip(NEXT) | instid1(VALU_DEP_2)
	v_cndmask_b32_e32 v29, v113, v28, vcc_lo
	v_cndmask_b32_e64 v31, v115, v30, s2
	v_cndmask_b32_e32 v28, v112, v112, vcc_lo
	v_cndmask_b32_e64 v30, v114, v114, s2
	s_mov_b32 s2, exec_lo
	s_delay_alu instid0(VALU_DEP_1)
	v_cmpx_ngt_f64_e32 v[28:29], v[30:31]
	s_xor_b32 s2, exec_lo, s2
	s_cbranch_execz .LBB54_322
; %bb.321:
	v_div_scale_f64 v[28:29], null, v[114:115], v[114:115], v[112:113]
	v_div_scale_f64 v[46:47], vcc_lo, v[112:113], v[114:115], v[112:113]
	s_delay_alu instid0(VALU_DEP_2) | instskip(SKIP_2) | instid1(VALU_DEP_1)
	v_rcp_f64_e32 v[30:31], v[28:29]
	s_waitcnt_depctr 0xfff
	v_fma_f64 v[44:45], -v[28:29], v[30:31], 1.0
	v_fma_f64 v[30:31], v[30:31], v[44:45], v[30:31]
	s_delay_alu instid0(VALU_DEP_1) | instskip(NEXT) | instid1(VALU_DEP_1)
	v_fma_f64 v[44:45], -v[28:29], v[30:31], 1.0
	v_fma_f64 v[30:31], v[30:31], v[44:45], v[30:31]
	s_delay_alu instid0(VALU_DEP_1) | instskip(NEXT) | instid1(VALU_DEP_1)
	v_mul_f64 v[44:45], v[46:47], v[30:31]
	v_fma_f64 v[28:29], -v[28:29], v[44:45], v[46:47]
	s_delay_alu instid0(VALU_DEP_1) | instskip(NEXT) | instid1(VALU_DEP_1)
	v_div_fmas_f64 v[28:29], v[28:29], v[30:31], v[44:45]
	v_div_fixup_f64 v[28:29], v[28:29], v[114:115], v[112:113]
	s_delay_alu instid0(VALU_DEP_1) | instskip(NEXT) | instid1(VALU_DEP_1)
	v_fma_f64 v[30:31], v[112:113], v[28:29], v[114:115]
	v_div_scale_f64 v[44:45], null, v[30:31], v[30:31], 1.0
	s_delay_alu instid0(VALU_DEP_1) | instskip(SKIP_2) | instid1(VALU_DEP_1)
	v_rcp_f64_e32 v[46:47], v[44:45]
	s_waitcnt_depctr 0xfff
	v_fma_f64 v[92:93], -v[44:45], v[46:47], 1.0
	v_fma_f64 v[46:47], v[46:47], v[92:93], v[46:47]
	s_delay_alu instid0(VALU_DEP_1) | instskip(NEXT) | instid1(VALU_DEP_1)
	v_fma_f64 v[92:93], -v[44:45], v[46:47], 1.0
	v_fma_f64 v[46:47], v[46:47], v[92:93], v[46:47]
	v_div_scale_f64 v[92:93], vcc_lo, 1.0, v[30:31], 1.0
	s_delay_alu instid0(VALU_DEP_1) | instskip(NEXT) | instid1(VALU_DEP_1)
	v_mul_f64 v[94:95], v[92:93], v[46:47]
	v_fma_f64 v[44:45], -v[44:45], v[94:95], v[92:93]
	s_delay_alu instid0(VALU_DEP_1) | instskip(NEXT) | instid1(VALU_DEP_1)
	v_div_fmas_f64 v[44:45], v[44:45], v[46:47], v[94:95]
	v_div_fixup_f64 v[114:115], v[44:45], v[30:31], 1.0
	s_delay_alu instid0(VALU_DEP_1)
	v_mul_f64 v[112:113], v[28:29], v[114:115]
	v_xor_b32_e32 v115, 0x80000000, v115
.LBB54_322:
	s_and_not1_saveexec_b32 s2, s2
	s_cbranch_execz .LBB54_324
; %bb.323:
	s_delay_alu instid0(VALU_DEP_1) | instskip(SKIP_1) | instid1(VALU_DEP_2)
	v_div_scale_f64 v[28:29], null, v[112:113], v[112:113], v[114:115]
	v_div_scale_f64 v[46:47], vcc_lo, v[114:115], v[112:113], v[114:115]
	v_rcp_f64_e32 v[30:31], v[28:29]
	s_waitcnt_depctr 0xfff
	v_fma_f64 v[44:45], -v[28:29], v[30:31], 1.0
	s_delay_alu instid0(VALU_DEP_1) | instskip(NEXT) | instid1(VALU_DEP_1)
	v_fma_f64 v[30:31], v[30:31], v[44:45], v[30:31]
	v_fma_f64 v[44:45], -v[28:29], v[30:31], 1.0
	s_delay_alu instid0(VALU_DEP_1) | instskip(NEXT) | instid1(VALU_DEP_1)
	v_fma_f64 v[30:31], v[30:31], v[44:45], v[30:31]
	v_mul_f64 v[44:45], v[46:47], v[30:31]
	s_delay_alu instid0(VALU_DEP_1) | instskip(NEXT) | instid1(VALU_DEP_1)
	v_fma_f64 v[28:29], -v[28:29], v[44:45], v[46:47]
	v_div_fmas_f64 v[28:29], v[28:29], v[30:31], v[44:45]
	s_delay_alu instid0(VALU_DEP_1) | instskip(NEXT) | instid1(VALU_DEP_1)
	v_div_fixup_f64 v[28:29], v[28:29], v[112:113], v[114:115]
	v_fma_f64 v[30:31], v[114:115], v[28:29], v[112:113]
	s_delay_alu instid0(VALU_DEP_1) | instskip(NEXT) | instid1(VALU_DEP_1)
	v_div_scale_f64 v[44:45], null, v[30:31], v[30:31], 1.0
	v_rcp_f64_e32 v[46:47], v[44:45]
	s_waitcnt_depctr 0xfff
	v_fma_f64 v[92:93], -v[44:45], v[46:47], 1.0
	s_delay_alu instid0(VALU_DEP_1) | instskip(NEXT) | instid1(VALU_DEP_1)
	v_fma_f64 v[46:47], v[46:47], v[92:93], v[46:47]
	v_fma_f64 v[92:93], -v[44:45], v[46:47], 1.0
	s_delay_alu instid0(VALU_DEP_1) | instskip(SKIP_1) | instid1(VALU_DEP_1)
	v_fma_f64 v[46:47], v[46:47], v[92:93], v[46:47]
	v_div_scale_f64 v[92:93], vcc_lo, 1.0, v[30:31], 1.0
	v_mul_f64 v[94:95], v[92:93], v[46:47]
	s_delay_alu instid0(VALU_DEP_1) | instskip(NEXT) | instid1(VALU_DEP_1)
	v_fma_f64 v[44:45], -v[44:45], v[94:95], v[92:93]
	v_div_fmas_f64 v[44:45], v[44:45], v[46:47], v[94:95]
	s_delay_alu instid0(VALU_DEP_1) | instskip(NEXT) | instid1(VALU_DEP_1)
	v_div_fixup_f64 v[112:113], v[44:45], v[30:31], 1.0
	v_mul_f64 v[114:115], v[28:29], -v[112:113]
.LBB54_324:
	s_or_b32 exec_lo, exec_lo, s2
.LBB54_325:
	s_delay_alu instid0(SALU_CYCLE_1) | instskip(NEXT) | instid1(SALU_CYCLE_1)
	s_or_b32 exec_lo, exec_lo, s3
	s_mov_b32 s2, exec_lo
	v_cmpx_ne_u32_e64 v140, v116
	s_xor_b32 s2, exec_lo, s2
	s_cbranch_execz .LBB54_331
; %bb.326:
	s_mov_b32 s3, exec_lo
	v_cmpx_eq_u32_e32 15, v140
	s_cbranch_execz .LBB54_330
; %bb.327:
	v_cmp_ne_u32_e32 vcc_lo, 15, v116
	s_xor_b32 s6, s4, -1
	s_delay_alu instid0(SALU_CYCLE_1) | instskip(NEXT) | instid1(SALU_CYCLE_1)
	s_and_b32 s7, s6, vcc_lo
	s_and_saveexec_b32 s6, s7
	s_cbranch_execz .LBB54_329
; %bb.328:
	v_ashrrev_i32_e32 v117, 31, v116
	s_delay_alu instid0(VALU_DEP_1) | instskip(NEXT) | instid1(VALU_DEP_1)
	v_lshlrev_b64 v[28:29], 2, v[116:117]
	v_add_co_u32 v28, vcc_lo, v78, v28
	s_delay_alu instid0(VALU_DEP_2)
	v_add_co_ci_u32_e32 v29, vcc_lo, v79, v29, vcc_lo
	s_clause 0x1
	flat_load_b32 v30, v[28:29]
	flat_load_b32 v31, v[78:79] offset:60
	s_waitcnt vmcnt(1) lgkmcnt(1)
	flat_store_b32 v[78:79], v30 offset:60
	s_waitcnt vmcnt(0) lgkmcnt(1)
	flat_store_b32 v[28:29], v31
.LBB54_329:
	s_or_b32 exec_lo, exec_lo, s6
	v_mov_b32_e32 v140, v116
	v_mov_b32_e32 v231, v116
.LBB54_330:
	s_or_b32 exec_lo, exec_lo, s3
.LBB54_331:
	s_and_not1_saveexec_b32 s2, s2
	s_cbranch_execz .LBB54_333
; %bb.332:
	v_mov_b32_e32 v140, 15
	ds_store_2addr_b64 v138, v[56:57], v[58:59] offset0:32 offset1:33
	ds_store_2addr_b64 v138, v[52:53], v[54:55] offset0:34 offset1:35
	;; [unrolled: 1-line block ×12, first 2 shown]
.LBB54_333:
	s_or_b32 exec_lo, exec_lo, s2
	s_delay_alu instid0(SALU_CYCLE_1)
	s_mov_b32 s2, exec_lo
	s_waitcnt lgkmcnt(0)
	s_waitcnt_vscnt null, 0x0
	s_barrier
	buffer_gl0_inv
	v_cmpx_lt_i32_e32 15, v140
	s_cbranch_execz .LBB54_335
; %bb.334:
	v_mul_f64 v[28:29], v[112:113], v[70:71]
	v_mul_f64 v[30:31], v[114:115], v[70:71]
	s_delay_alu instid0(VALU_DEP_2)
	v_fma_f64 v[28:29], v[114:115], v[68:69], v[28:29]
	ds_load_2addr_b64 v[114:117], v138 offset0:32 offset1:33
	ds_load_2addr_b64 v[118:121], v138 offset0:34 offset1:35
	;; [unrolled: 1-line block ×12, first 2 shown]
	v_fma_f64 v[68:69], v[112:113], v[68:69], -v[30:31]
	s_waitcnt lgkmcnt(11)
	v_mul_f64 v[30:31], v[116:117], v[28:29]
	v_mul_f64 v[44:45], v[114:115], v[28:29]
	s_waitcnt lgkmcnt(10)
	v_mul_f64 v[46:47], v[120:121], v[28:29]
	v_mul_f64 v[70:71], v[118:119], v[28:29]
	;; [unrolled: 3-line block ×12, first 2 shown]
	v_fma_f64 v[30:31], v[114:115], v[68:69], -v[30:31]
	v_fma_f64 v[44:45], v[116:117], v[68:69], v[44:45]
	v_fma_f64 v[46:47], v[118:119], v[68:69], -v[46:47]
	v_fma_f64 v[70:71], v[120:121], v[68:69], v[70:71]
	;; [unrolled: 2-line block ×12, first 2 shown]
	v_add_f64 v[56:57], v[56:57], -v[30:31]
	v_add_f64 v[58:59], v[58:59], -v[44:45]
	;; [unrolled: 1-line block ×24, first 2 shown]
	v_dual_mov_b32 v71, v29 :: v_dual_mov_b32 v70, v28
.LBB54_335:
	s_or_b32 exec_lo, exec_lo, s2
	v_lshl_add_u32 v28, v140, 4, v138
	s_barrier
	buffer_gl0_inv
	v_mov_b32_e32 v116, 16
	ds_store_2addr_b64 v28, v[56:57], v[58:59] offset1:1
	s_waitcnt lgkmcnt(0)
	s_barrier
	buffer_gl0_inv
	ds_load_2addr_b64 v[112:115], v138 offset0:32 offset1:33
	s_cmp_lt_i32 s5, 18
	s_cbranch_scc1 .LBB54_338
; %bb.336:
	v_add3_u32 v117, v62, 0, 0x110
	v_mov_b32_e32 v116, 16
	s_mov_b32 s6, 17
	s_set_inst_prefetch_distance 0x1
	.p2align	6
.LBB54_337:                             ; =>This Inner Loop Header: Depth=1
	ds_load_2addr_b64 v[118:121], v117 offset1:1
	s_waitcnt lgkmcnt(1)
	v_cmp_gt_f64_e32 vcc_lo, 0, v[112:113]
	v_xor_b32_e32 v28, 0x80000000, v113
	v_cmp_gt_f64_e64 s2, 0, v[114:115]
	v_xor_b32_e32 v30, 0x80000000, v115
	v_add_nc_u32_e32 v117, 16, v117
	s_waitcnt lgkmcnt(0)
	v_cmp_gt_f64_e64 s3, 0, v[118:119]
	v_mov_b32_e32 v44, v118
	v_dual_mov_b32 v46, v120 :: v_dual_cndmask_b32 v29, v113, v28
	v_xor_b32_e32 v28, 0x80000000, v119
	v_cndmask_b32_e64 v31, v115, v30, s2
	v_xor_b32_e32 v30, 0x80000000, v121
	s_delay_alu instid0(VALU_DEP_3) | instskip(SKIP_2) | instid1(VALU_DEP_2)
	v_cndmask_b32_e64 v45, v119, v28, s3
	v_cmp_gt_f64_e64 s3, 0, v[120:121]
	v_cndmask_b32_e32 v28, v112, v112, vcc_lo
	v_cndmask_b32_e64 v47, v121, v30, s3
	v_cndmask_b32_e64 v30, v114, v114, s2
	s_delay_alu instid0(VALU_DEP_2) | instskip(NEXT) | instid1(VALU_DEP_2)
	v_add_f64 v[44:45], v[44:45], v[46:47]
	v_add_f64 v[28:29], v[28:29], v[30:31]
	s_delay_alu instid0(VALU_DEP_1)
	v_cmp_lt_f64_e32 vcc_lo, v[28:29], v[44:45]
	v_cndmask_b32_e32 v115, v115, v121, vcc_lo
	v_dual_cndmask_b32 v113, v113, v119 :: v_dual_cndmask_b32 v112, v112, v118
	v_cndmask_b32_e32 v114, v114, v120, vcc_lo
	v_cndmask_b32_e64 v116, v116, s6, vcc_lo
	s_add_i32 s6, s6, 1
	s_delay_alu instid0(SALU_CYCLE_1)
	s_cmp_lg_u32 s5, s6
	s_cbranch_scc1 .LBB54_337
.LBB54_338:
	s_set_inst_prefetch_distance 0x2
	s_waitcnt lgkmcnt(0)
	v_cmp_eq_f64_e32 vcc_lo, 0, v[112:113]
	v_cmp_eq_f64_e64 s2, 0, v[114:115]
	s_delay_alu instid0(VALU_DEP_1) | instskip(NEXT) | instid1(SALU_CYCLE_1)
	s_and_b32 s2, vcc_lo, s2
	s_and_saveexec_b32 s3, s2
	s_delay_alu instid0(SALU_CYCLE_1)
	s_xor_b32 s2, exec_lo, s3
; %bb.339:
	v_cmp_ne_u32_e32 vcc_lo, 0, v232
	v_cndmask_b32_e32 v232, 17, v232, vcc_lo
; %bb.340:
	s_and_not1_saveexec_b32 s3, s2
	s_cbranch_execz .LBB54_346
; %bb.341:
	v_cmp_gt_f64_e32 vcc_lo, 0, v[112:113]
	v_cmp_gt_f64_e64 s2, 0, v[114:115]
	v_xor_b32_e32 v28, 0x80000000, v113
	v_xor_b32_e32 v30, 0x80000000, v115
	s_delay_alu instid0(VALU_DEP_2) | instskip(NEXT) | instid1(VALU_DEP_2)
	v_cndmask_b32_e32 v29, v113, v28, vcc_lo
	v_cndmask_b32_e64 v31, v115, v30, s2
	v_cndmask_b32_e32 v28, v112, v112, vcc_lo
	v_cndmask_b32_e64 v30, v114, v114, s2
	s_mov_b32 s2, exec_lo
	s_delay_alu instid0(VALU_DEP_1)
	v_cmpx_ngt_f64_e32 v[28:29], v[30:31]
	s_xor_b32 s2, exec_lo, s2
	s_cbranch_execz .LBB54_343
; %bb.342:
	v_div_scale_f64 v[28:29], null, v[114:115], v[114:115], v[112:113]
	v_div_scale_f64 v[46:47], vcc_lo, v[112:113], v[114:115], v[112:113]
	s_delay_alu instid0(VALU_DEP_2) | instskip(SKIP_2) | instid1(VALU_DEP_1)
	v_rcp_f64_e32 v[30:31], v[28:29]
	s_waitcnt_depctr 0xfff
	v_fma_f64 v[44:45], -v[28:29], v[30:31], 1.0
	v_fma_f64 v[30:31], v[30:31], v[44:45], v[30:31]
	s_delay_alu instid0(VALU_DEP_1) | instskip(NEXT) | instid1(VALU_DEP_1)
	v_fma_f64 v[44:45], -v[28:29], v[30:31], 1.0
	v_fma_f64 v[30:31], v[30:31], v[44:45], v[30:31]
	s_delay_alu instid0(VALU_DEP_1) | instskip(NEXT) | instid1(VALU_DEP_1)
	v_mul_f64 v[44:45], v[46:47], v[30:31]
	v_fma_f64 v[28:29], -v[28:29], v[44:45], v[46:47]
	s_delay_alu instid0(VALU_DEP_1) | instskip(NEXT) | instid1(VALU_DEP_1)
	v_div_fmas_f64 v[28:29], v[28:29], v[30:31], v[44:45]
	v_div_fixup_f64 v[28:29], v[28:29], v[114:115], v[112:113]
	s_delay_alu instid0(VALU_DEP_1) | instskip(NEXT) | instid1(VALU_DEP_1)
	v_fma_f64 v[30:31], v[112:113], v[28:29], v[114:115]
	v_div_scale_f64 v[44:45], null, v[30:31], v[30:31], 1.0
	s_delay_alu instid0(VALU_DEP_1) | instskip(SKIP_2) | instid1(VALU_DEP_1)
	v_rcp_f64_e32 v[46:47], v[44:45]
	s_waitcnt_depctr 0xfff
	v_fma_f64 v[92:93], -v[44:45], v[46:47], 1.0
	v_fma_f64 v[46:47], v[46:47], v[92:93], v[46:47]
	s_delay_alu instid0(VALU_DEP_1) | instskip(NEXT) | instid1(VALU_DEP_1)
	v_fma_f64 v[92:93], -v[44:45], v[46:47], 1.0
	v_fma_f64 v[46:47], v[46:47], v[92:93], v[46:47]
	v_div_scale_f64 v[92:93], vcc_lo, 1.0, v[30:31], 1.0
	s_delay_alu instid0(VALU_DEP_1) | instskip(NEXT) | instid1(VALU_DEP_1)
	v_mul_f64 v[94:95], v[92:93], v[46:47]
	v_fma_f64 v[44:45], -v[44:45], v[94:95], v[92:93]
	s_delay_alu instid0(VALU_DEP_1) | instskip(NEXT) | instid1(VALU_DEP_1)
	v_div_fmas_f64 v[44:45], v[44:45], v[46:47], v[94:95]
	v_div_fixup_f64 v[114:115], v[44:45], v[30:31], 1.0
	s_delay_alu instid0(VALU_DEP_1)
	v_mul_f64 v[112:113], v[28:29], v[114:115]
	v_xor_b32_e32 v115, 0x80000000, v115
.LBB54_343:
	s_and_not1_saveexec_b32 s2, s2
	s_cbranch_execz .LBB54_345
; %bb.344:
	s_delay_alu instid0(VALU_DEP_1) | instskip(SKIP_1) | instid1(VALU_DEP_2)
	v_div_scale_f64 v[28:29], null, v[112:113], v[112:113], v[114:115]
	v_div_scale_f64 v[46:47], vcc_lo, v[114:115], v[112:113], v[114:115]
	v_rcp_f64_e32 v[30:31], v[28:29]
	s_waitcnt_depctr 0xfff
	v_fma_f64 v[44:45], -v[28:29], v[30:31], 1.0
	s_delay_alu instid0(VALU_DEP_1) | instskip(NEXT) | instid1(VALU_DEP_1)
	v_fma_f64 v[30:31], v[30:31], v[44:45], v[30:31]
	v_fma_f64 v[44:45], -v[28:29], v[30:31], 1.0
	s_delay_alu instid0(VALU_DEP_1) | instskip(NEXT) | instid1(VALU_DEP_1)
	v_fma_f64 v[30:31], v[30:31], v[44:45], v[30:31]
	v_mul_f64 v[44:45], v[46:47], v[30:31]
	s_delay_alu instid0(VALU_DEP_1) | instskip(NEXT) | instid1(VALU_DEP_1)
	v_fma_f64 v[28:29], -v[28:29], v[44:45], v[46:47]
	v_div_fmas_f64 v[28:29], v[28:29], v[30:31], v[44:45]
	s_delay_alu instid0(VALU_DEP_1) | instskip(NEXT) | instid1(VALU_DEP_1)
	v_div_fixup_f64 v[28:29], v[28:29], v[112:113], v[114:115]
	v_fma_f64 v[30:31], v[114:115], v[28:29], v[112:113]
	s_delay_alu instid0(VALU_DEP_1) | instskip(NEXT) | instid1(VALU_DEP_1)
	v_div_scale_f64 v[44:45], null, v[30:31], v[30:31], 1.0
	v_rcp_f64_e32 v[46:47], v[44:45]
	s_waitcnt_depctr 0xfff
	v_fma_f64 v[92:93], -v[44:45], v[46:47], 1.0
	s_delay_alu instid0(VALU_DEP_1) | instskip(NEXT) | instid1(VALU_DEP_1)
	v_fma_f64 v[46:47], v[46:47], v[92:93], v[46:47]
	v_fma_f64 v[92:93], -v[44:45], v[46:47], 1.0
	s_delay_alu instid0(VALU_DEP_1) | instskip(SKIP_1) | instid1(VALU_DEP_1)
	v_fma_f64 v[46:47], v[46:47], v[92:93], v[46:47]
	v_div_scale_f64 v[92:93], vcc_lo, 1.0, v[30:31], 1.0
	v_mul_f64 v[94:95], v[92:93], v[46:47]
	s_delay_alu instid0(VALU_DEP_1) | instskip(NEXT) | instid1(VALU_DEP_1)
	v_fma_f64 v[44:45], -v[44:45], v[94:95], v[92:93]
	v_div_fmas_f64 v[44:45], v[44:45], v[46:47], v[94:95]
	s_delay_alu instid0(VALU_DEP_1) | instskip(NEXT) | instid1(VALU_DEP_1)
	v_div_fixup_f64 v[112:113], v[44:45], v[30:31], 1.0
	v_mul_f64 v[114:115], v[28:29], -v[112:113]
.LBB54_345:
	s_or_b32 exec_lo, exec_lo, s2
.LBB54_346:
	s_delay_alu instid0(SALU_CYCLE_1) | instskip(NEXT) | instid1(SALU_CYCLE_1)
	s_or_b32 exec_lo, exec_lo, s3
	s_mov_b32 s2, exec_lo
	v_cmpx_ne_u32_e64 v140, v116
	s_xor_b32 s2, exec_lo, s2
	s_cbranch_execz .LBB54_352
; %bb.347:
	s_mov_b32 s3, exec_lo
	v_cmpx_eq_u32_e32 16, v140
	s_cbranch_execz .LBB54_351
; %bb.348:
	v_cmp_ne_u32_e32 vcc_lo, 16, v116
	s_xor_b32 s6, s4, -1
	s_delay_alu instid0(SALU_CYCLE_1) | instskip(NEXT) | instid1(SALU_CYCLE_1)
	s_and_b32 s7, s6, vcc_lo
	s_and_saveexec_b32 s6, s7
	s_cbranch_execz .LBB54_350
; %bb.349:
	v_ashrrev_i32_e32 v117, 31, v116
	s_delay_alu instid0(VALU_DEP_1) | instskip(NEXT) | instid1(VALU_DEP_1)
	v_lshlrev_b64 v[28:29], 2, v[116:117]
	v_add_co_u32 v28, vcc_lo, v78, v28
	s_delay_alu instid0(VALU_DEP_2)
	v_add_co_ci_u32_e32 v29, vcc_lo, v79, v29, vcc_lo
	s_clause 0x1
	flat_load_b32 v30, v[28:29]
	flat_load_b32 v31, v[78:79] offset:64
	s_waitcnt vmcnt(1) lgkmcnt(1)
	flat_store_b32 v[78:79], v30 offset:64
	s_waitcnt vmcnt(0) lgkmcnt(1)
	flat_store_b32 v[28:29], v31
.LBB54_350:
	s_or_b32 exec_lo, exec_lo, s6
	v_mov_b32_e32 v140, v116
	v_mov_b32_e32 v231, v116
.LBB54_351:
	s_or_b32 exec_lo, exec_lo, s3
.LBB54_352:
	s_and_not1_saveexec_b32 s2, s2
	s_cbranch_execz .LBB54_354
; %bb.353:
	v_mov_b32_e32 v140, 16
	ds_store_2addr_b64 v138, v[52:53], v[54:55] offset0:34 offset1:35
	ds_store_2addr_b64 v138, v[40:41], v[42:43] offset0:36 offset1:37
	;; [unrolled: 1-line block ×11, first 2 shown]
.LBB54_354:
	s_or_b32 exec_lo, exec_lo, s2
	s_delay_alu instid0(SALU_CYCLE_1)
	s_mov_b32 s2, exec_lo
	s_waitcnt lgkmcnt(0)
	s_waitcnt_vscnt null, 0x0
	s_barrier
	buffer_gl0_inv
	v_cmpx_lt_i32_e32 16, v140
	s_cbranch_execz .LBB54_356
; %bb.355:
	v_mul_f64 v[28:29], v[112:113], v[58:59]
	v_mul_f64 v[30:31], v[114:115], v[58:59]
	s_delay_alu instid0(VALU_DEP_2)
	v_fma_f64 v[28:29], v[114:115], v[56:57], v[28:29]
	ds_load_2addr_b64 v[114:117], v138 offset0:34 offset1:35
	ds_load_2addr_b64 v[118:121], v138 offset0:36 offset1:37
	;; [unrolled: 1-line block ×11, first 2 shown]
	v_fma_f64 v[56:57], v[112:113], v[56:57], -v[30:31]
	s_waitcnt lgkmcnt(10)
	v_mul_f64 v[30:31], v[116:117], v[28:29]
	v_mul_f64 v[44:45], v[114:115], v[28:29]
	s_waitcnt lgkmcnt(9)
	v_mul_f64 v[46:47], v[120:121], v[28:29]
	v_mul_f64 v[58:59], v[118:119], v[28:29]
	;; [unrolled: 3-line block ×11, first 2 shown]
	v_fma_f64 v[30:31], v[114:115], v[56:57], -v[30:31]
	v_fma_f64 v[44:45], v[116:117], v[56:57], v[44:45]
	v_fma_f64 v[46:47], v[118:119], v[56:57], -v[46:47]
	v_fma_f64 v[58:59], v[120:121], v[56:57], v[58:59]
	;; [unrolled: 2-line block ×11, first 2 shown]
	v_add_f64 v[52:53], v[52:53], -v[30:31]
	v_add_f64 v[54:55], v[54:55], -v[44:45]
	;; [unrolled: 1-line block ×22, first 2 shown]
	v_dual_mov_b32 v59, v29 :: v_dual_mov_b32 v58, v28
.LBB54_356:
	s_or_b32 exec_lo, exec_lo, s2
	v_lshl_add_u32 v28, v140, 4, v138
	s_barrier
	buffer_gl0_inv
	v_mov_b32_e32 v116, 17
	ds_store_2addr_b64 v28, v[52:53], v[54:55] offset1:1
	s_waitcnt lgkmcnt(0)
	s_barrier
	buffer_gl0_inv
	ds_load_2addr_b64 v[112:115], v138 offset0:34 offset1:35
	s_cmp_lt_i32 s5, 19
	s_cbranch_scc1 .LBB54_359
; %bb.357:
	v_add3_u32 v117, v62, 0, 0x120
	v_mov_b32_e32 v116, 17
	s_mov_b32 s6, 18
	s_set_inst_prefetch_distance 0x1
	.p2align	6
.LBB54_358:                             ; =>This Inner Loop Header: Depth=1
	ds_load_2addr_b64 v[118:121], v117 offset1:1
	s_waitcnt lgkmcnt(1)
	v_cmp_gt_f64_e32 vcc_lo, 0, v[112:113]
	v_xor_b32_e32 v28, 0x80000000, v113
	v_cmp_gt_f64_e64 s2, 0, v[114:115]
	v_xor_b32_e32 v30, 0x80000000, v115
	v_add_nc_u32_e32 v117, 16, v117
	s_waitcnt lgkmcnt(0)
	v_cmp_gt_f64_e64 s3, 0, v[118:119]
	v_mov_b32_e32 v44, v118
	v_dual_mov_b32 v46, v120 :: v_dual_cndmask_b32 v29, v113, v28
	v_xor_b32_e32 v28, 0x80000000, v119
	v_cndmask_b32_e64 v31, v115, v30, s2
	v_xor_b32_e32 v30, 0x80000000, v121
	s_delay_alu instid0(VALU_DEP_3) | instskip(SKIP_2) | instid1(VALU_DEP_2)
	v_cndmask_b32_e64 v45, v119, v28, s3
	v_cmp_gt_f64_e64 s3, 0, v[120:121]
	v_cndmask_b32_e32 v28, v112, v112, vcc_lo
	v_cndmask_b32_e64 v47, v121, v30, s3
	v_cndmask_b32_e64 v30, v114, v114, s2
	s_delay_alu instid0(VALU_DEP_2) | instskip(NEXT) | instid1(VALU_DEP_2)
	v_add_f64 v[44:45], v[44:45], v[46:47]
	v_add_f64 v[28:29], v[28:29], v[30:31]
	s_delay_alu instid0(VALU_DEP_1)
	v_cmp_lt_f64_e32 vcc_lo, v[28:29], v[44:45]
	v_cndmask_b32_e32 v115, v115, v121, vcc_lo
	v_dual_cndmask_b32 v113, v113, v119 :: v_dual_cndmask_b32 v112, v112, v118
	v_cndmask_b32_e32 v114, v114, v120, vcc_lo
	v_cndmask_b32_e64 v116, v116, s6, vcc_lo
	s_add_i32 s6, s6, 1
	s_delay_alu instid0(SALU_CYCLE_1)
	s_cmp_lg_u32 s5, s6
	s_cbranch_scc1 .LBB54_358
.LBB54_359:
	s_set_inst_prefetch_distance 0x2
	s_waitcnt lgkmcnt(0)
	v_cmp_eq_f64_e32 vcc_lo, 0, v[112:113]
	v_cmp_eq_f64_e64 s2, 0, v[114:115]
	s_delay_alu instid0(VALU_DEP_1) | instskip(NEXT) | instid1(SALU_CYCLE_1)
	s_and_b32 s2, vcc_lo, s2
	s_and_saveexec_b32 s3, s2
	s_delay_alu instid0(SALU_CYCLE_1)
	s_xor_b32 s2, exec_lo, s3
; %bb.360:
	v_cmp_ne_u32_e32 vcc_lo, 0, v232
	v_cndmask_b32_e32 v232, 18, v232, vcc_lo
; %bb.361:
	s_and_not1_saveexec_b32 s3, s2
	s_cbranch_execz .LBB54_367
; %bb.362:
	v_cmp_gt_f64_e32 vcc_lo, 0, v[112:113]
	v_cmp_gt_f64_e64 s2, 0, v[114:115]
	v_xor_b32_e32 v28, 0x80000000, v113
	v_xor_b32_e32 v30, 0x80000000, v115
	s_delay_alu instid0(VALU_DEP_2) | instskip(NEXT) | instid1(VALU_DEP_2)
	v_cndmask_b32_e32 v29, v113, v28, vcc_lo
	v_cndmask_b32_e64 v31, v115, v30, s2
	v_cndmask_b32_e32 v28, v112, v112, vcc_lo
	v_cndmask_b32_e64 v30, v114, v114, s2
	s_mov_b32 s2, exec_lo
	s_delay_alu instid0(VALU_DEP_1)
	v_cmpx_ngt_f64_e32 v[28:29], v[30:31]
	s_xor_b32 s2, exec_lo, s2
	s_cbranch_execz .LBB54_364
; %bb.363:
	v_div_scale_f64 v[28:29], null, v[114:115], v[114:115], v[112:113]
	v_div_scale_f64 v[46:47], vcc_lo, v[112:113], v[114:115], v[112:113]
	s_delay_alu instid0(VALU_DEP_2) | instskip(SKIP_2) | instid1(VALU_DEP_1)
	v_rcp_f64_e32 v[30:31], v[28:29]
	s_waitcnt_depctr 0xfff
	v_fma_f64 v[44:45], -v[28:29], v[30:31], 1.0
	v_fma_f64 v[30:31], v[30:31], v[44:45], v[30:31]
	s_delay_alu instid0(VALU_DEP_1) | instskip(NEXT) | instid1(VALU_DEP_1)
	v_fma_f64 v[44:45], -v[28:29], v[30:31], 1.0
	v_fma_f64 v[30:31], v[30:31], v[44:45], v[30:31]
	s_delay_alu instid0(VALU_DEP_1) | instskip(NEXT) | instid1(VALU_DEP_1)
	v_mul_f64 v[44:45], v[46:47], v[30:31]
	v_fma_f64 v[28:29], -v[28:29], v[44:45], v[46:47]
	s_delay_alu instid0(VALU_DEP_1) | instskip(NEXT) | instid1(VALU_DEP_1)
	v_div_fmas_f64 v[28:29], v[28:29], v[30:31], v[44:45]
	v_div_fixup_f64 v[28:29], v[28:29], v[114:115], v[112:113]
	s_delay_alu instid0(VALU_DEP_1) | instskip(NEXT) | instid1(VALU_DEP_1)
	v_fma_f64 v[30:31], v[112:113], v[28:29], v[114:115]
	v_div_scale_f64 v[44:45], null, v[30:31], v[30:31], 1.0
	s_delay_alu instid0(VALU_DEP_1) | instskip(SKIP_2) | instid1(VALU_DEP_1)
	v_rcp_f64_e32 v[46:47], v[44:45]
	s_waitcnt_depctr 0xfff
	v_fma_f64 v[92:93], -v[44:45], v[46:47], 1.0
	v_fma_f64 v[46:47], v[46:47], v[92:93], v[46:47]
	s_delay_alu instid0(VALU_DEP_1) | instskip(NEXT) | instid1(VALU_DEP_1)
	v_fma_f64 v[92:93], -v[44:45], v[46:47], 1.0
	v_fma_f64 v[46:47], v[46:47], v[92:93], v[46:47]
	v_div_scale_f64 v[92:93], vcc_lo, 1.0, v[30:31], 1.0
	s_delay_alu instid0(VALU_DEP_1) | instskip(NEXT) | instid1(VALU_DEP_1)
	v_mul_f64 v[94:95], v[92:93], v[46:47]
	v_fma_f64 v[44:45], -v[44:45], v[94:95], v[92:93]
	s_delay_alu instid0(VALU_DEP_1) | instskip(NEXT) | instid1(VALU_DEP_1)
	v_div_fmas_f64 v[44:45], v[44:45], v[46:47], v[94:95]
	v_div_fixup_f64 v[114:115], v[44:45], v[30:31], 1.0
	s_delay_alu instid0(VALU_DEP_1)
	v_mul_f64 v[112:113], v[28:29], v[114:115]
	v_xor_b32_e32 v115, 0x80000000, v115
.LBB54_364:
	s_and_not1_saveexec_b32 s2, s2
	s_cbranch_execz .LBB54_366
; %bb.365:
	s_delay_alu instid0(VALU_DEP_1) | instskip(SKIP_1) | instid1(VALU_DEP_2)
	v_div_scale_f64 v[28:29], null, v[112:113], v[112:113], v[114:115]
	v_div_scale_f64 v[46:47], vcc_lo, v[114:115], v[112:113], v[114:115]
	v_rcp_f64_e32 v[30:31], v[28:29]
	s_waitcnt_depctr 0xfff
	v_fma_f64 v[44:45], -v[28:29], v[30:31], 1.0
	s_delay_alu instid0(VALU_DEP_1) | instskip(NEXT) | instid1(VALU_DEP_1)
	v_fma_f64 v[30:31], v[30:31], v[44:45], v[30:31]
	v_fma_f64 v[44:45], -v[28:29], v[30:31], 1.0
	s_delay_alu instid0(VALU_DEP_1) | instskip(NEXT) | instid1(VALU_DEP_1)
	v_fma_f64 v[30:31], v[30:31], v[44:45], v[30:31]
	v_mul_f64 v[44:45], v[46:47], v[30:31]
	s_delay_alu instid0(VALU_DEP_1) | instskip(NEXT) | instid1(VALU_DEP_1)
	v_fma_f64 v[28:29], -v[28:29], v[44:45], v[46:47]
	v_div_fmas_f64 v[28:29], v[28:29], v[30:31], v[44:45]
	s_delay_alu instid0(VALU_DEP_1) | instskip(NEXT) | instid1(VALU_DEP_1)
	v_div_fixup_f64 v[28:29], v[28:29], v[112:113], v[114:115]
	v_fma_f64 v[30:31], v[114:115], v[28:29], v[112:113]
	s_delay_alu instid0(VALU_DEP_1) | instskip(NEXT) | instid1(VALU_DEP_1)
	v_div_scale_f64 v[44:45], null, v[30:31], v[30:31], 1.0
	v_rcp_f64_e32 v[46:47], v[44:45]
	s_waitcnt_depctr 0xfff
	v_fma_f64 v[92:93], -v[44:45], v[46:47], 1.0
	s_delay_alu instid0(VALU_DEP_1) | instskip(NEXT) | instid1(VALU_DEP_1)
	v_fma_f64 v[46:47], v[46:47], v[92:93], v[46:47]
	v_fma_f64 v[92:93], -v[44:45], v[46:47], 1.0
	s_delay_alu instid0(VALU_DEP_1) | instskip(SKIP_1) | instid1(VALU_DEP_1)
	v_fma_f64 v[46:47], v[46:47], v[92:93], v[46:47]
	v_div_scale_f64 v[92:93], vcc_lo, 1.0, v[30:31], 1.0
	v_mul_f64 v[94:95], v[92:93], v[46:47]
	s_delay_alu instid0(VALU_DEP_1) | instskip(NEXT) | instid1(VALU_DEP_1)
	v_fma_f64 v[44:45], -v[44:45], v[94:95], v[92:93]
	v_div_fmas_f64 v[44:45], v[44:45], v[46:47], v[94:95]
	s_delay_alu instid0(VALU_DEP_1) | instskip(NEXT) | instid1(VALU_DEP_1)
	v_div_fixup_f64 v[112:113], v[44:45], v[30:31], 1.0
	v_mul_f64 v[114:115], v[28:29], -v[112:113]
.LBB54_366:
	s_or_b32 exec_lo, exec_lo, s2
.LBB54_367:
	s_delay_alu instid0(SALU_CYCLE_1) | instskip(NEXT) | instid1(SALU_CYCLE_1)
	s_or_b32 exec_lo, exec_lo, s3
	s_mov_b32 s2, exec_lo
	v_cmpx_ne_u32_e64 v140, v116
	s_xor_b32 s2, exec_lo, s2
	s_cbranch_execz .LBB54_373
; %bb.368:
	s_mov_b32 s3, exec_lo
	v_cmpx_eq_u32_e32 17, v140
	s_cbranch_execz .LBB54_372
; %bb.369:
	v_cmp_ne_u32_e32 vcc_lo, 17, v116
	s_xor_b32 s6, s4, -1
	s_delay_alu instid0(SALU_CYCLE_1) | instskip(NEXT) | instid1(SALU_CYCLE_1)
	s_and_b32 s7, s6, vcc_lo
	s_and_saveexec_b32 s6, s7
	s_cbranch_execz .LBB54_371
; %bb.370:
	v_ashrrev_i32_e32 v117, 31, v116
	s_delay_alu instid0(VALU_DEP_1) | instskip(NEXT) | instid1(VALU_DEP_1)
	v_lshlrev_b64 v[28:29], 2, v[116:117]
	v_add_co_u32 v28, vcc_lo, v78, v28
	s_delay_alu instid0(VALU_DEP_2)
	v_add_co_ci_u32_e32 v29, vcc_lo, v79, v29, vcc_lo
	s_clause 0x1
	flat_load_b32 v30, v[28:29]
	flat_load_b32 v31, v[78:79] offset:68
	s_waitcnt vmcnt(1) lgkmcnt(1)
	flat_store_b32 v[78:79], v30 offset:68
	s_waitcnt vmcnt(0) lgkmcnt(1)
	flat_store_b32 v[28:29], v31
.LBB54_371:
	s_or_b32 exec_lo, exec_lo, s6
	v_mov_b32_e32 v140, v116
	v_mov_b32_e32 v231, v116
.LBB54_372:
	s_or_b32 exec_lo, exec_lo, s3
.LBB54_373:
	s_and_not1_saveexec_b32 s2, s2
	s_cbranch_execz .LBB54_375
; %bb.374:
	v_mov_b32_e32 v140, 17
	ds_store_2addr_b64 v138, v[40:41], v[42:43] offset0:36 offset1:37
	ds_store_2addr_b64 v138, v[36:37], v[38:39] offset0:38 offset1:39
	ds_store_2addr_b64 v138, v[32:33], v[34:35] offset0:40 offset1:41
	ds_store_2addr_b64 v138, v[24:25], v[26:27] offset0:42 offset1:43
	ds_store_2addr_b64 v138, v[20:21], v[22:23] offset0:44 offset1:45
	ds_store_2addr_b64 v138, v[16:17], v[18:19] offset0:46 offset1:47
	ds_store_2addr_b64 v138, v[12:13], v[14:15] offset0:48 offset1:49
	ds_store_2addr_b64 v138, v[8:9], v[10:11] offset0:50 offset1:51
	ds_store_2addr_b64 v138, v[4:5], v[6:7] offset0:52 offset1:53
	ds_store_2addr_b64 v138, v[134:135], v[136:137] offset0:54 offset1:55
.LBB54_375:
	s_or_b32 exec_lo, exec_lo, s2
	s_delay_alu instid0(SALU_CYCLE_1)
	s_mov_b32 s2, exec_lo
	s_waitcnt lgkmcnt(0)
	s_waitcnt_vscnt null, 0x0
	s_barrier
	buffer_gl0_inv
	v_cmpx_lt_i32_e32 17, v140
	s_cbranch_execz .LBB54_377
; %bb.376:
	v_mul_f64 v[28:29], v[112:113], v[54:55]
	v_mul_f64 v[30:31], v[114:115], v[54:55]
	s_delay_alu instid0(VALU_DEP_2)
	v_fma_f64 v[28:29], v[114:115], v[52:53], v[28:29]
	ds_load_2addr_b64 v[114:117], v138 offset0:36 offset1:37
	ds_load_2addr_b64 v[118:121], v138 offset0:38 offset1:39
	;; [unrolled: 1-line block ×10, first 2 shown]
	v_fma_f64 v[52:53], v[112:113], v[52:53], -v[30:31]
	s_waitcnt lgkmcnt(9)
	v_mul_f64 v[30:31], v[116:117], v[28:29]
	v_mul_f64 v[44:45], v[114:115], v[28:29]
	s_waitcnt lgkmcnt(8)
	v_mul_f64 v[46:47], v[120:121], v[28:29]
	v_mul_f64 v[54:55], v[118:119], v[28:29]
	s_waitcnt lgkmcnt(7)
	v_mul_f64 v[92:93], v[124:125], v[28:29]
	v_mul_f64 v[94:95], v[122:123], v[28:29]
	s_waitcnt lgkmcnt(6)
	v_mul_f64 v[96:97], v[128:129], v[28:29]
	v_mul_f64 v[98:99], v[126:127], v[28:29]
	s_waitcnt lgkmcnt(5)
	v_mul_f64 v[100:101], v[143:144], v[28:29]
	v_mul_f64 v[102:103], v[141:142], v[28:29]
	s_waitcnt lgkmcnt(4)
	v_mul_f64 v[104:105], v[147:148], v[28:29]
	v_mul_f64 v[106:107], v[145:146], v[28:29]
	s_waitcnt lgkmcnt(3)
	v_mul_f64 v[108:109], v[151:152], v[28:29]
	v_mul_f64 v[110:111], v[149:150], v[28:29]
	s_waitcnt lgkmcnt(2)
	v_mul_f64 v[112:113], v[155:156], v[28:29]
	v_mul_f64 v[130:131], v[153:154], v[28:29]
	s_waitcnt lgkmcnt(1)
	v_mul_f64 v[132:133], v[159:160], v[28:29]
	v_mul_f64 v[165:166], v[157:158], v[28:29]
	s_waitcnt lgkmcnt(0)
	v_mul_f64 v[167:168], v[163:164], v[28:29]
	v_mul_f64 v[169:170], v[161:162], v[28:29]
	v_fma_f64 v[30:31], v[114:115], v[52:53], -v[30:31]
	v_fma_f64 v[44:45], v[116:117], v[52:53], v[44:45]
	v_fma_f64 v[46:47], v[118:119], v[52:53], -v[46:47]
	v_fma_f64 v[54:55], v[120:121], v[52:53], v[54:55]
	;; [unrolled: 2-line block ×10, first 2 shown]
	v_add_f64 v[40:41], v[40:41], -v[30:31]
	v_add_f64 v[42:43], v[42:43], -v[44:45]
	v_add_f64 v[36:37], v[36:37], -v[46:47]
	v_add_f64 v[38:39], v[38:39], -v[54:55]
	v_add_f64 v[32:33], v[32:33], -v[92:93]
	v_add_f64 v[34:35], v[34:35], -v[94:95]
	v_add_f64 v[24:25], v[24:25], -v[96:97]
	v_add_f64 v[26:27], v[26:27], -v[98:99]
	v_add_f64 v[20:21], v[20:21], -v[100:101]
	v_add_f64 v[22:23], v[22:23], -v[102:103]
	v_add_f64 v[16:17], v[16:17], -v[104:105]
	v_add_f64 v[18:19], v[18:19], -v[106:107]
	v_add_f64 v[12:13], v[12:13], -v[108:109]
	v_add_f64 v[14:15], v[14:15], -v[110:111]
	v_add_f64 v[8:9], v[8:9], -v[112:113]
	v_add_f64 v[10:11], v[10:11], -v[114:115]
	v_add_f64 v[4:5], v[4:5], -v[116:117]
	v_add_f64 v[6:7], v[6:7], -v[118:119]
	v_add_f64 v[134:135], v[134:135], -v[120:121]
	v_add_f64 v[136:137], v[136:137], -v[122:123]
	v_dual_mov_b32 v55, v29 :: v_dual_mov_b32 v54, v28
.LBB54_377:
	s_or_b32 exec_lo, exec_lo, s2
	v_lshl_add_u32 v28, v140, 4, v138
	s_barrier
	buffer_gl0_inv
	v_mov_b32_e32 v116, 18
	ds_store_2addr_b64 v28, v[40:41], v[42:43] offset1:1
	s_waitcnt lgkmcnt(0)
	s_barrier
	buffer_gl0_inv
	ds_load_2addr_b64 v[112:115], v138 offset0:36 offset1:37
	s_cmp_lt_i32 s5, 20
	s_cbranch_scc1 .LBB54_380
; %bb.378:
	v_add3_u32 v117, v62, 0, 0x130
	v_mov_b32_e32 v116, 18
	s_mov_b32 s6, 19
	s_set_inst_prefetch_distance 0x1
	.p2align	6
.LBB54_379:                             ; =>This Inner Loop Header: Depth=1
	ds_load_2addr_b64 v[118:121], v117 offset1:1
	s_waitcnt lgkmcnt(1)
	v_cmp_gt_f64_e32 vcc_lo, 0, v[112:113]
	v_xor_b32_e32 v28, 0x80000000, v113
	v_cmp_gt_f64_e64 s2, 0, v[114:115]
	v_xor_b32_e32 v30, 0x80000000, v115
	v_add_nc_u32_e32 v117, 16, v117
	s_waitcnt lgkmcnt(0)
	v_cmp_gt_f64_e64 s3, 0, v[118:119]
	v_mov_b32_e32 v44, v118
	v_dual_mov_b32 v46, v120 :: v_dual_cndmask_b32 v29, v113, v28
	v_xor_b32_e32 v28, 0x80000000, v119
	v_cndmask_b32_e64 v31, v115, v30, s2
	v_xor_b32_e32 v30, 0x80000000, v121
	s_delay_alu instid0(VALU_DEP_3) | instskip(SKIP_2) | instid1(VALU_DEP_2)
	v_cndmask_b32_e64 v45, v119, v28, s3
	v_cmp_gt_f64_e64 s3, 0, v[120:121]
	v_cndmask_b32_e32 v28, v112, v112, vcc_lo
	v_cndmask_b32_e64 v47, v121, v30, s3
	v_cndmask_b32_e64 v30, v114, v114, s2
	s_delay_alu instid0(VALU_DEP_2) | instskip(NEXT) | instid1(VALU_DEP_2)
	v_add_f64 v[44:45], v[44:45], v[46:47]
	v_add_f64 v[28:29], v[28:29], v[30:31]
	s_delay_alu instid0(VALU_DEP_1)
	v_cmp_lt_f64_e32 vcc_lo, v[28:29], v[44:45]
	v_cndmask_b32_e32 v115, v115, v121, vcc_lo
	v_dual_cndmask_b32 v113, v113, v119 :: v_dual_cndmask_b32 v112, v112, v118
	v_cndmask_b32_e32 v114, v114, v120, vcc_lo
	v_cndmask_b32_e64 v116, v116, s6, vcc_lo
	s_add_i32 s6, s6, 1
	s_delay_alu instid0(SALU_CYCLE_1)
	s_cmp_lg_u32 s5, s6
	s_cbranch_scc1 .LBB54_379
.LBB54_380:
	s_set_inst_prefetch_distance 0x2
	s_waitcnt lgkmcnt(0)
	v_cmp_eq_f64_e32 vcc_lo, 0, v[112:113]
	v_cmp_eq_f64_e64 s2, 0, v[114:115]
	s_delay_alu instid0(VALU_DEP_1) | instskip(NEXT) | instid1(SALU_CYCLE_1)
	s_and_b32 s2, vcc_lo, s2
	s_and_saveexec_b32 s3, s2
	s_delay_alu instid0(SALU_CYCLE_1)
	s_xor_b32 s2, exec_lo, s3
; %bb.381:
	v_cmp_ne_u32_e32 vcc_lo, 0, v232
	v_cndmask_b32_e32 v232, 19, v232, vcc_lo
; %bb.382:
	s_and_not1_saveexec_b32 s3, s2
	s_cbranch_execz .LBB54_388
; %bb.383:
	v_cmp_gt_f64_e32 vcc_lo, 0, v[112:113]
	v_cmp_gt_f64_e64 s2, 0, v[114:115]
	v_xor_b32_e32 v28, 0x80000000, v113
	v_xor_b32_e32 v30, 0x80000000, v115
	s_delay_alu instid0(VALU_DEP_2) | instskip(NEXT) | instid1(VALU_DEP_2)
	v_cndmask_b32_e32 v29, v113, v28, vcc_lo
	v_cndmask_b32_e64 v31, v115, v30, s2
	v_cndmask_b32_e32 v28, v112, v112, vcc_lo
	v_cndmask_b32_e64 v30, v114, v114, s2
	s_mov_b32 s2, exec_lo
	s_delay_alu instid0(VALU_DEP_1)
	v_cmpx_ngt_f64_e32 v[28:29], v[30:31]
	s_xor_b32 s2, exec_lo, s2
	s_cbranch_execz .LBB54_385
; %bb.384:
	v_div_scale_f64 v[28:29], null, v[114:115], v[114:115], v[112:113]
	v_div_scale_f64 v[46:47], vcc_lo, v[112:113], v[114:115], v[112:113]
	s_delay_alu instid0(VALU_DEP_2) | instskip(SKIP_2) | instid1(VALU_DEP_1)
	v_rcp_f64_e32 v[30:31], v[28:29]
	s_waitcnt_depctr 0xfff
	v_fma_f64 v[44:45], -v[28:29], v[30:31], 1.0
	v_fma_f64 v[30:31], v[30:31], v[44:45], v[30:31]
	s_delay_alu instid0(VALU_DEP_1) | instskip(NEXT) | instid1(VALU_DEP_1)
	v_fma_f64 v[44:45], -v[28:29], v[30:31], 1.0
	v_fma_f64 v[30:31], v[30:31], v[44:45], v[30:31]
	s_delay_alu instid0(VALU_DEP_1) | instskip(NEXT) | instid1(VALU_DEP_1)
	v_mul_f64 v[44:45], v[46:47], v[30:31]
	v_fma_f64 v[28:29], -v[28:29], v[44:45], v[46:47]
	s_delay_alu instid0(VALU_DEP_1) | instskip(NEXT) | instid1(VALU_DEP_1)
	v_div_fmas_f64 v[28:29], v[28:29], v[30:31], v[44:45]
	v_div_fixup_f64 v[28:29], v[28:29], v[114:115], v[112:113]
	s_delay_alu instid0(VALU_DEP_1) | instskip(NEXT) | instid1(VALU_DEP_1)
	v_fma_f64 v[30:31], v[112:113], v[28:29], v[114:115]
	v_div_scale_f64 v[44:45], null, v[30:31], v[30:31], 1.0
	s_delay_alu instid0(VALU_DEP_1) | instskip(SKIP_2) | instid1(VALU_DEP_1)
	v_rcp_f64_e32 v[46:47], v[44:45]
	s_waitcnt_depctr 0xfff
	v_fma_f64 v[92:93], -v[44:45], v[46:47], 1.0
	v_fma_f64 v[46:47], v[46:47], v[92:93], v[46:47]
	s_delay_alu instid0(VALU_DEP_1) | instskip(NEXT) | instid1(VALU_DEP_1)
	v_fma_f64 v[92:93], -v[44:45], v[46:47], 1.0
	v_fma_f64 v[46:47], v[46:47], v[92:93], v[46:47]
	v_div_scale_f64 v[92:93], vcc_lo, 1.0, v[30:31], 1.0
	s_delay_alu instid0(VALU_DEP_1) | instskip(NEXT) | instid1(VALU_DEP_1)
	v_mul_f64 v[94:95], v[92:93], v[46:47]
	v_fma_f64 v[44:45], -v[44:45], v[94:95], v[92:93]
	s_delay_alu instid0(VALU_DEP_1) | instskip(NEXT) | instid1(VALU_DEP_1)
	v_div_fmas_f64 v[44:45], v[44:45], v[46:47], v[94:95]
	v_div_fixup_f64 v[114:115], v[44:45], v[30:31], 1.0
	s_delay_alu instid0(VALU_DEP_1)
	v_mul_f64 v[112:113], v[28:29], v[114:115]
	v_xor_b32_e32 v115, 0x80000000, v115
.LBB54_385:
	s_and_not1_saveexec_b32 s2, s2
	s_cbranch_execz .LBB54_387
; %bb.386:
	s_delay_alu instid0(VALU_DEP_1) | instskip(SKIP_1) | instid1(VALU_DEP_2)
	v_div_scale_f64 v[28:29], null, v[112:113], v[112:113], v[114:115]
	v_div_scale_f64 v[46:47], vcc_lo, v[114:115], v[112:113], v[114:115]
	v_rcp_f64_e32 v[30:31], v[28:29]
	s_waitcnt_depctr 0xfff
	v_fma_f64 v[44:45], -v[28:29], v[30:31], 1.0
	s_delay_alu instid0(VALU_DEP_1) | instskip(NEXT) | instid1(VALU_DEP_1)
	v_fma_f64 v[30:31], v[30:31], v[44:45], v[30:31]
	v_fma_f64 v[44:45], -v[28:29], v[30:31], 1.0
	s_delay_alu instid0(VALU_DEP_1) | instskip(NEXT) | instid1(VALU_DEP_1)
	v_fma_f64 v[30:31], v[30:31], v[44:45], v[30:31]
	v_mul_f64 v[44:45], v[46:47], v[30:31]
	s_delay_alu instid0(VALU_DEP_1) | instskip(NEXT) | instid1(VALU_DEP_1)
	v_fma_f64 v[28:29], -v[28:29], v[44:45], v[46:47]
	v_div_fmas_f64 v[28:29], v[28:29], v[30:31], v[44:45]
	s_delay_alu instid0(VALU_DEP_1) | instskip(NEXT) | instid1(VALU_DEP_1)
	v_div_fixup_f64 v[28:29], v[28:29], v[112:113], v[114:115]
	v_fma_f64 v[30:31], v[114:115], v[28:29], v[112:113]
	s_delay_alu instid0(VALU_DEP_1) | instskip(NEXT) | instid1(VALU_DEP_1)
	v_div_scale_f64 v[44:45], null, v[30:31], v[30:31], 1.0
	v_rcp_f64_e32 v[46:47], v[44:45]
	s_waitcnt_depctr 0xfff
	v_fma_f64 v[92:93], -v[44:45], v[46:47], 1.0
	s_delay_alu instid0(VALU_DEP_1) | instskip(NEXT) | instid1(VALU_DEP_1)
	v_fma_f64 v[46:47], v[46:47], v[92:93], v[46:47]
	v_fma_f64 v[92:93], -v[44:45], v[46:47], 1.0
	s_delay_alu instid0(VALU_DEP_1) | instskip(SKIP_1) | instid1(VALU_DEP_1)
	v_fma_f64 v[46:47], v[46:47], v[92:93], v[46:47]
	v_div_scale_f64 v[92:93], vcc_lo, 1.0, v[30:31], 1.0
	v_mul_f64 v[94:95], v[92:93], v[46:47]
	s_delay_alu instid0(VALU_DEP_1) | instskip(NEXT) | instid1(VALU_DEP_1)
	v_fma_f64 v[44:45], -v[44:45], v[94:95], v[92:93]
	v_div_fmas_f64 v[44:45], v[44:45], v[46:47], v[94:95]
	s_delay_alu instid0(VALU_DEP_1) | instskip(NEXT) | instid1(VALU_DEP_1)
	v_div_fixup_f64 v[112:113], v[44:45], v[30:31], 1.0
	v_mul_f64 v[114:115], v[28:29], -v[112:113]
.LBB54_387:
	s_or_b32 exec_lo, exec_lo, s2
.LBB54_388:
	s_delay_alu instid0(SALU_CYCLE_1) | instskip(NEXT) | instid1(SALU_CYCLE_1)
	s_or_b32 exec_lo, exec_lo, s3
	s_mov_b32 s2, exec_lo
	v_cmpx_ne_u32_e64 v140, v116
	s_xor_b32 s2, exec_lo, s2
	s_cbranch_execz .LBB54_394
; %bb.389:
	s_mov_b32 s3, exec_lo
	v_cmpx_eq_u32_e32 18, v140
	s_cbranch_execz .LBB54_393
; %bb.390:
	v_cmp_ne_u32_e32 vcc_lo, 18, v116
	s_xor_b32 s6, s4, -1
	s_delay_alu instid0(SALU_CYCLE_1) | instskip(NEXT) | instid1(SALU_CYCLE_1)
	s_and_b32 s7, s6, vcc_lo
	s_and_saveexec_b32 s6, s7
	s_cbranch_execz .LBB54_392
; %bb.391:
	v_ashrrev_i32_e32 v117, 31, v116
	s_delay_alu instid0(VALU_DEP_1) | instskip(NEXT) | instid1(VALU_DEP_1)
	v_lshlrev_b64 v[28:29], 2, v[116:117]
	v_add_co_u32 v28, vcc_lo, v78, v28
	s_delay_alu instid0(VALU_DEP_2)
	v_add_co_ci_u32_e32 v29, vcc_lo, v79, v29, vcc_lo
	s_clause 0x1
	flat_load_b32 v30, v[28:29]
	flat_load_b32 v31, v[78:79] offset:72
	s_waitcnt vmcnt(1) lgkmcnt(1)
	flat_store_b32 v[78:79], v30 offset:72
	s_waitcnt vmcnt(0) lgkmcnt(1)
	flat_store_b32 v[28:29], v31
.LBB54_392:
	s_or_b32 exec_lo, exec_lo, s6
	v_mov_b32_e32 v140, v116
	v_mov_b32_e32 v231, v116
.LBB54_393:
	s_or_b32 exec_lo, exec_lo, s3
.LBB54_394:
	s_and_not1_saveexec_b32 s2, s2
	s_cbranch_execz .LBB54_396
; %bb.395:
	v_mov_b32_e32 v140, 18
	ds_store_2addr_b64 v138, v[36:37], v[38:39] offset0:38 offset1:39
	ds_store_2addr_b64 v138, v[32:33], v[34:35] offset0:40 offset1:41
	;; [unrolled: 1-line block ×9, first 2 shown]
.LBB54_396:
	s_or_b32 exec_lo, exec_lo, s2
	s_delay_alu instid0(SALU_CYCLE_1)
	s_mov_b32 s2, exec_lo
	s_waitcnt lgkmcnt(0)
	s_waitcnt_vscnt null, 0x0
	s_barrier
	buffer_gl0_inv
	v_cmpx_lt_i32_e32 18, v140
	s_cbranch_execz .LBB54_398
; %bb.397:
	v_mul_f64 v[28:29], v[112:113], v[42:43]
	v_mul_f64 v[30:31], v[114:115], v[42:43]
	s_delay_alu instid0(VALU_DEP_2)
	v_fma_f64 v[28:29], v[114:115], v[40:41], v[28:29]
	ds_load_2addr_b64 v[114:117], v138 offset0:38 offset1:39
	ds_load_2addr_b64 v[118:121], v138 offset0:40 offset1:41
	;; [unrolled: 1-line block ×9, first 2 shown]
	v_fma_f64 v[40:41], v[112:113], v[40:41], -v[30:31]
	s_waitcnt lgkmcnt(8)
	v_mul_f64 v[30:31], v[116:117], v[28:29]
	v_mul_f64 v[42:43], v[114:115], v[28:29]
	s_waitcnt lgkmcnt(7)
	v_mul_f64 v[44:45], v[120:121], v[28:29]
	v_mul_f64 v[46:47], v[118:119], v[28:29]
	s_waitcnt lgkmcnt(6)
	v_mul_f64 v[92:93], v[124:125], v[28:29]
	v_mul_f64 v[94:95], v[122:123], v[28:29]
	s_waitcnt lgkmcnt(5)
	v_mul_f64 v[96:97], v[128:129], v[28:29]
	v_mul_f64 v[98:99], v[126:127], v[28:29]
	s_waitcnt lgkmcnt(4)
	v_mul_f64 v[100:101], v[143:144], v[28:29]
	v_mul_f64 v[102:103], v[141:142], v[28:29]
	s_waitcnt lgkmcnt(3)
	v_mul_f64 v[104:105], v[147:148], v[28:29]
	v_mul_f64 v[106:107], v[145:146], v[28:29]
	s_waitcnt lgkmcnt(2)
	v_mul_f64 v[108:109], v[151:152], v[28:29]
	v_mul_f64 v[110:111], v[149:150], v[28:29]
	s_waitcnt lgkmcnt(1)
	v_mul_f64 v[112:113], v[155:156], v[28:29]
	v_mul_f64 v[130:131], v[153:154], v[28:29]
	s_waitcnt lgkmcnt(0)
	v_mul_f64 v[132:133], v[159:160], v[28:29]
	v_mul_f64 v[161:162], v[157:158], v[28:29]
	v_fma_f64 v[30:31], v[114:115], v[40:41], -v[30:31]
	v_fma_f64 v[42:43], v[116:117], v[40:41], v[42:43]
	v_fma_f64 v[44:45], v[118:119], v[40:41], -v[44:45]
	v_fma_f64 v[46:47], v[120:121], v[40:41], v[46:47]
	;; [unrolled: 2-line block ×9, first 2 shown]
	v_add_f64 v[36:37], v[36:37], -v[30:31]
	v_add_f64 v[38:39], v[38:39], -v[42:43]
	;; [unrolled: 1-line block ×18, first 2 shown]
	v_dual_mov_b32 v43, v29 :: v_dual_mov_b32 v42, v28
.LBB54_398:
	s_or_b32 exec_lo, exec_lo, s2
	v_lshl_add_u32 v28, v140, 4, v138
	s_barrier
	buffer_gl0_inv
	v_mov_b32_e32 v116, 19
	ds_store_2addr_b64 v28, v[36:37], v[38:39] offset1:1
	s_waitcnt lgkmcnt(0)
	s_barrier
	buffer_gl0_inv
	ds_load_2addr_b64 v[112:115], v138 offset0:38 offset1:39
	s_cmp_lt_i32 s5, 21
	s_cbranch_scc1 .LBB54_401
; %bb.399:
	v_add3_u32 v117, v62, 0, 0x140
	v_mov_b32_e32 v116, 19
	s_mov_b32 s6, 20
	s_set_inst_prefetch_distance 0x1
	.p2align	6
.LBB54_400:                             ; =>This Inner Loop Header: Depth=1
	ds_load_2addr_b64 v[118:121], v117 offset1:1
	s_waitcnt lgkmcnt(1)
	v_cmp_gt_f64_e32 vcc_lo, 0, v[112:113]
	v_xor_b32_e32 v28, 0x80000000, v113
	v_cmp_gt_f64_e64 s2, 0, v[114:115]
	v_xor_b32_e32 v30, 0x80000000, v115
	v_add_nc_u32_e32 v117, 16, v117
	s_waitcnt lgkmcnt(0)
	v_cmp_gt_f64_e64 s3, 0, v[118:119]
	v_mov_b32_e32 v44, v118
	v_dual_mov_b32 v46, v120 :: v_dual_cndmask_b32 v29, v113, v28
	v_xor_b32_e32 v28, 0x80000000, v119
	v_cndmask_b32_e64 v31, v115, v30, s2
	v_xor_b32_e32 v30, 0x80000000, v121
	s_delay_alu instid0(VALU_DEP_3) | instskip(SKIP_2) | instid1(VALU_DEP_2)
	v_cndmask_b32_e64 v45, v119, v28, s3
	v_cmp_gt_f64_e64 s3, 0, v[120:121]
	v_cndmask_b32_e32 v28, v112, v112, vcc_lo
	v_cndmask_b32_e64 v47, v121, v30, s3
	v_cndmask_b32_e64 v30, v114, v114, s2
	s_delay_alu instid0(VALU_DEP_2) | instskip(NEXT) | instid1(VALU_DEP_2)
	v_add_f64 v[44:45], v[44:45], v[46:47]
	v_add_f64 v[28:29], v[28:29], v[30:31]
	s_delay_alu instid0(VALU_DEP_1)
	v_cmp_lt_f64_e32 vcc_lo, v[28:29], v[44:45]
	v_cndmask_b32_e32 v115, v115, v121, vcc_lo
	v_dual_cndmask_b32 v113, v113, v119 :: v_dual_cndmask_b32 v112, v112, v118
	v_cndmask_b32_e32 v114, v114, v120, vcc_lo
	v_cndmask_b32_e64 v116, v116, s6, vcc_lo
	s_add_i32 s6, s6, 1
	s_delay_alu instid0(SALU_CYCLE_1)
	s_cmp_lg_u32 s5, s6
	s_cbranch_scc1 .LBB54_400
.LBB54_401:
	s_set_inst_prefetch_distance 0x2
	s_waitcnt lgkmcnt(0)
	v_cmp_eq_f64_e32 vcc_lo, 0, v[112:113]
	v_cmp_eq_f64_e64 s2, 0, v[114:115]
	s_delay_alu instid0(VALU_DEP_1) | instskip(NEXT) | instid1(SALU_CYCLE_1)
	s_and_b32 s2, vcc_lo, s2
	s_and_saveexec_b32 s3, s2
	s_delay_alu instid0(SALU_CYCLE_1)
	s_xor_b32 s2, exec_lo, s3
; %bb.402:
	v_cmp_ne_u32_e32 vcc_lo, 0, v232
	v_cndmask_b32_e32 v232, 20, v232, vcc_lo
; %bb.403:
	s_and_not1_saveexec_b32 s3, s2
	s_cbranch_execz .LBB54_409
; %bb.404:
	v_cmp_gt_f64_e32 vcc_lo, 0, v[112:113]
	v_cmp_gt_f64_e64 s2, 0, v[114:115]
	v_xor_b32_e32 v28, 0x80000000, v113
	v_xor_b32_e32 v30, 0x80000000, v115
	s_delay_alu instid0(VALU_DEP_2) | instskip(NEXT) | instid1(VALU_DEP_2)
	v_cndmask_b32_e32 v29, v113, v28, vcc_lo
	v_cndmask_b32_e64 v31, v115, v30, s2
	v_cndmask_b32_e32 v28, v112, v112, vcc_lo
	v_cndmask_b32_e64 v30, v114, v114, s2
	s_mov_b32 s2, exec_lo
	s_delay_alu instid0(VALU_DEP_1)
	v_cmpx_ngt_f64_e32 v[28:29], v[30:31]
	s_xor_b32 s2, exec_lo, s2
	s_cbranch_execz .LBB54_406
; %bb.405:
	v_div_scale_f64 v[28:29], null, v[114:115], v[114:115], v[112:113]
	v_div_scale_f64 v[46:47], vcc_lo, v[112:113], v[114:115], v[112:113]
	s_delay_alu instid0(VALU_DEP_2) | instskip(SKIP_2) | instid1(VALU_DEP_1)
	v_rcp_f64_e32 v[30:31], v[28:29]
	s_waitcnt_depctr 0xfff
	v_fma_f64 v[44:45], -v[28:29], v[30:31], 1.0
	v_fma_f64 v[30:31], v[30:31], v[44:45], v[30:31]
	s_delay_alu instid0(VALU_DEP_1) | instskip(NEXT) | instid1(VALU_DEP_1)
	v_fma_f64 v[44:45], -v[28:29], v[30:31], 1.0
	v_fma_f64 v[30:31], v[30:31], v[44:45], v[30:31]
	s_delay_alu instid0(VALU_DEP_1) | instskip(NEXT) | instid1(VALU_DEP_1)
	v_mul_f64 v[44:45], v[46:47], v[30:31]
	v_fma_f64 v[28:29], -v[28:29], v[44:45], v[46:47]
	s_delay_alu instid0(VALU_DEP_1) | instskip(NEXT) | instid1(VALU_DEP_1)
	v_div_fmas_f64 v[28:29], v[28:29], v[30:31], v[44:45]
	v_div_fixup_f64 v[28:29], v[28:29], v[114:115], v[112:113]
	s_delay_alu instid0(VALU_DEP_1) | instskip(NEXT) | instid1(VALU_DEP_1)
	v_fma_f64 v[30:31], v[112:113], v[28:29], v[114:115]
	v_div_scale_f64 v[44:45], null, v[30:31], v[30:31], 1.0
	s_delay_alu instid0(VALU_DEP_1) | instskip(SKIP_2) | instid1(VALU_DEP_1)
	v_rcp_f64_e32 v[46:47], v[44:45]
	s_waitcnt_depctr 0xfff
	v_fma_f64 v[92:93], -v[44:45], v[46:47], 1.0
	v_fma_f64 v[46:47], v[46:47], v[92:93], v[46:47]
	s_delay_alu instid0(VALU_DEP_1) | instskip(NEXT) | instid1(VALU_DEP_1)
	v_fma_f64 v[92:93], -v[44:45], v[46:47], 1.0
	v_fma_f64 v[46:47], v[46:47], v[92:93], v[46:47]
	v_div_scale_f64 v[92:93], vcc_lo, 1.0, v[30:31], 1.0
	s_delay_alu instid0(VALU_DEP_1) | instskip(NEXT) | instid1(VALU_DEP_1)
	v_mul_f64 v[94:95], v[92:93], v[46:47]
	v_fma_f64 v[44:45], -v[44:45], v[94:95], v[92:93]
	s_delay_alu instid0(VALU_DEP_1) | instskip(NEXT) | instid1(VALU_DEP_1)
	v_div_fmas_f64 v[44:45], v[44:45], v[46:47], v[94:95]
	v_div_fixup_f64 v[114:115], v[44:45], v[30:31], 1.0
	s_delay_alu instid0(VALU_DEP_1)
	v_mul_f64 v[112:113], v[28:29], v[114:115]
	v_xor_b32_e32 v115, 0x80000000, v115
.LBB54_406:
	s_and_not1_saveexec_b32 s2, s2
	s_cbranch_execz .LBB54_408
; %bb.407:
	s_delay_alu instid0(VALU_DEP_1) | instskip(SKIP_1) | instid1(VALU_DEP_2)
	v_div_scale_f64 v[28:29], null, v[112:113], v[112:113], v[114:115]
	v_div_scale_f64 v[46:47], vcc_lo, v[114:115], v[112:113], v[114:115]
	v_rcp_f64_e32 v[30:31], v[28:29]
	s_waitcnt_depctr 0xfff
	v_fma_f64 v[44:45], -v[28:29], v[30:31], 1.0
	s_delay_alu instid0(VALU_DEP_1) | instskip(NEXT) | instid1(VALU_DEP_1)
	v_fma_f64 v[30:31], v[30:31], v[44:45], v[30:31]
	v_fma_f64 v[44:45], -v[28:29], v[30:31], 1.0
	s_delay_alu instid0(VALU_DEP_1) | instskip(NEXT) | instid1(VALU_DEP_1)
	v_fma_f64 v[30:31], v[30:31], v[44:45], v[30:31]
	v_mul_f64 v[44:45], v[46:47], v[30:31]
	s_delay_alu instid0(VALU_DEP_1) | instskip(NEXT) | instid1(VALU_DEP_1)
	v_fma_f64 v[28:29], -v[28:29], v[44:45], v[46:47]
	v_div_fmas_f64 v[28:29], v[28:29], v[30:31], v[44:45]
	s_delay_alu instid0(VALU_DEP_1) | instskip(NEXT) | instid1(VALU_DEP_1)
	v_div_fixup_f64 v[28:29], v[28:29], v[112:113], v[114:115]
	v_fma_f64 v[30:31], v[114:115], v[28:29], v[112:113]
	s_delay_alu instid0(VALU_DEP_1) | instskip(NEXT) | instid1(VALU_DEP_1)
	v_div_scale_f64 v[44:45], null, v[30:31], v[30:31], 1.0
	v_rcp_f64_e32 v[46:47], v[44:45]
	s_waitcnt_depctr 0xfff
	v_fma_f64 v[92:93], -v[44:45], v[46:47], 1.0
	s_delay_alu instid0(VALU_DEP_1) | instskip(NEXT) | instid1(VALU_DEP_1)
	v_fma_f64 v[46:47], v[46:47], v[92:93], v[46:47]
	v_fma_f64 v[92:93], -v[44:45], v[46:47], 1.0
	s_delay_alu instid0(VALU_DEP_1) | instskip(SKIP_1) | instid1(VALU_DEP_1)
	v_fma_f64 v[46:47], v[46:47], v[92:93], v[46:47]
	v_div_scale_f64 v[92:93], vcc_lo, 1.0, v[30:31], 1.0
	v_mul_f64 v[94:95], v[92:93], v[46:47]
	s_delay_alu instid0(VALU_DEP_1) | instskip(NEXT) | instid1(VALU_DEP_1)
	v_fma_f64 v[44:45], -v[44:45], v[94:95], v[92:93]
	v_div_fmas_f64 v[44:45], v[44:45], v[46:47], v[94:95]
	s_delay_alu instid0(VALU_DEP_1) | instskip(NEXT) | instid1(VALU_DEP_1)
	v_div_fixup_f64 v[112:113], v[44:45], v[30:31], 1.0
	v_mul_f64 v[114:115], v[28:29], -v[112:113]
.LBB54_408:
	s_or_b32 exec_lo, exec_lo, s2
.LBB54_409:
	s_delay_alu instid0(SALU_CYCLE_1) | instskip(NEXT) | instid1(SALU_CYCLE_1)
	s_or_b32 exec_lo, exec_lo, s3
	s_mov_b32 s2, exec_lo
	v_cmpx_ne_u32_e64 v140, v116
	s_xor_b32 s2, exec_lo, s2
	s_cbranch_execz .LBB54_415
; %bb.410:
	s_mov_b32 s3, exec_lo
	v_cmpx_eq_u32_e32 19, v140
	s_cbranch_execz .LBB54_414
; %bb.411:
	v_cmp_ne_u32_e32 vcc_lo, 19, v116
	s_xor_b32 s6, s4, -1
	s_delay_alu instid0(SALU_CYCLE_1) | instskip(NEXT) | instid1(SALU_CYCLE_1)
	s_and_b32 s7, s6, vcc_lo
	s_and_saveexec_b32 s6, s7
	s_cbranch_execz .LBB54_413
; %bb.412:
	v_ashrrev_i32_e32 v117, 31, v116
	s_delay_alu instid0(VALU_DEP_1) | instskip(NEXT) | instid1(VALU_DEP_1)
	v_lshlrev_b64 v[28:29], 2, v[116:117]
	v_add_co_u32 v28, vcc_lo, v78, v28
	s_delay_alu instid0(VALU_DEP_2)
	v_add_co_ci_u32_e32 v29, vcc_lo, v79, v29, vcc_lo
	s_clause 0x1
	flat_load_b32 v30, v[28:29]
	flat_load_b32 v31, v[78:79] offset:76
	s_waitcnt vmcnt(1) lgkmcnt(1)
	flat_store_b32 v[78:79], v30 offset:76
	s_waitcnt vmcnt(0) lgkmcnt(1)
	flat_store_b32 v[28:29], v31
.LBB54_413:
	s_or_b32 exec_lo, exec_lo, s6
	v_mov_b32_e32 v140, v116
	v_mov_b32_e32 v231, v116
.LBB54_414:
	s_or_b32 exec_lo, exec_lo, s3
.LBB54_415:
	s_and_not1_saveexec_b32 s2, s2
	s_cbranch_execz .LBB54_417
; %bb.416:
	v_mov_b32_e32 v140, 19
	ds_store_2addr_b64 v138, v[32:33], v[34:35] offset0:40 offset1:41
	ds_store_2addr_b64 v138, v[24:25], v[26:27] offset0:42 offset1:43
	;; [unrolled: 1-line block ×8, first 2 shown]
.LBB54_417:
	s_or_b32 exec_lo, exec_lo, s2
	s_delay_alu instid0(SALU_CYCLE_1)
	s_mov_b32 s2, exec_lo
	s_waitcnt lgkmcnt(0)
	s_waitcnt_vscnt null, 0x0
	s_barrier
	buffer_gl0_inv
	v_cmpx_lt_i32_e32 19, v140
	s_cbranch_execz .LBB54_419
; %bb.418:
	v_mul_f64 v[28:29], v[112:113], v[38:39]
	v_mul_f64 v[30:31], v[114:115], v[38:39]
	s_delay_alu instid0(VALU_DEP_2)
	v_fma_f64 v[28:29], v[114:115], v[36:37], v[28:29]
	ds_load_2addr_b64 v[114:117], v138 offset0:40 offset1:41
	ds_load_2addr_b64 v[118:121], v138 offset0:42 offset1:43
	;; [unrolled: 1-line block ×8, first 2 shown]
	v_fma_f64 v[36:37], v[112:113], v[36:37], -v[30:31]
	s_waitcnt lgkmcnt(7)
	v_mul_f64 v[30:31], v[116:117], v[28:29]
	v_mul_f64 v[38:39], v[114:115], v[28:29]
	s_waitcnt lgkmcnt(6)
	v_mul_f64 v[44:45], v[120:121], v[28:29]
	v_mul_f64 v[46:47], v[118:119], v[28:29]
	s_waitcnt lgkmcnt(5)
	v_mul_f64 v[92:93], v[124:125], v[28:29]
	v_mul_f64 v[94:95], v[122:123], v[28:29]
	s_waitcnt lgkmcnt(4)
	v_mul_f64 v[96:97], v[128:129], v[28:29]
	v_mul_f64 v[98:99], v[126:127], v[28:29]
	s_waitcnt lgkmcnt(3)
	v_mul_f64 v[100:101], v[143:144], v[28:29]
	v_mul_f64 v[102:103], v[141:142], v[28:29]
	s_waitcnt lgkmcnt(2)
	v_mul_f64 v[104:105], v[147:148], v[28:29]
	v_mul_f64 v[106:107], v[145:146], v[28:29]
	s_waitcnt lgkmcnt(1)
	v_mul_f64 v[108:109], v[151:152], v[28:29]
	v_mul_f64 v[110:111], v[149:150], v[28:29]
	s_waitcnt lgkmcnt(0)
	v_mul_f64 v[112:113], v[155:156], v[28:29]
	v_mul_f64 v[130:131], v[153:154], v[28:29]
	v_fma_f64 v[30:31], v[114:115], v[36:37], -v[30:31]
	v_fma_f64 v[38:39], v[116:117], v[36:37], v[38:39]
	v_fma_f64 v[44:45], v[118:119], v[36:37], -v[44:45]
	v_fma_f64 v[46:47], v[120:121], v[36:37], v[46:47]
	;; [unrolled: 2-line block ×8, first 2 shown]
	v_add_f64 v[32:33], v[32:33], -v[30:31]
	v_add_f64 v[34:35], v[34:35], -v[38:39]
	;; [unrolled: 1-line block ×16, first 2 shown]
	v_dual_mov_b32 v39, v29 :: v_dual_mov_b32 v38, v28
.LBB54_419:
	s_or_b32 exec_lo, exec_lo, s2
	v_lshl_add_u32 v28, v140, 4, v138
	s_barrier
	buffer_gl0_inv
	v_mov_b32_e32 v116, 20
	ds_store_2addr_b64 v28, v[32:33], v[34:35] offset1:1
	s_waitcnt lgkmcnt(0)
	s_barrier
	buffer_gl0_inv
	ds_load_2addr_b64 v[112:115], v138 offset0:40 offset1:41
	s_cmp_lt_i32 s5, 22
	s_cbranch_scc1 .LBB54_422
; %bb.420:
	v_add3_u32 v117, v62, 0, 0x150
	v_mov_b32_e32 v116, 20
	s_mov_b32 s6, 21
	s_set_inst_prefetch_distance 0x1
	.p2align	6
.LBB54_421:                             ; =>This Inner Loop Header: Depth=1
	ds_load_2addr_b64 v[118:121], v117 offset1:1
	s_waitcnt lgkmcnt(1)
	v_cmp_gt_f64_e32 vcc_lo, 0, v[112:113]
	v_xor_b32_e32 v28, 0x80000000, v113
	v_cmp_gt_f64_e64 s2, 0, v[114:115]
	v_xor_b32_e32 v30, 0x80000000, v115
	v_add_nc_u32_e32 v117, 16, v117
	s_waitcnt lgkmcnt(0)
	v_cmp_gt_f64_e64 s3, 0, v[118:119]
	v_mov_b32_e32 v44, v118
	v_dual_mov_b32 v46, v120 :: v_dual_cndmask_b32 v29, v113, v28
	v_xor_b32_e32 v28, 0x80000000, v119
	v_cndmask_b32_e64 v31, v115, v30, s2
	v_xor_b32_e32 v30, 0x80000000, v121
	s_delay_alu instid0(VALU_DEP_3) | instskip(SKIP_2) | instid1(VALU_DEP_2)
	v_cndmask_b32_e64 v45, v119, v28, s3
	v_cmp_gt_f64_e64 s3, 0, v[120:121]
	v_cndmask_b32_e32 v28, v112, v112, vcc_lo
	v_cndmask_b32_e64 v47, v121, v30, s3
	v_cndmask_b32_e64 v30, v114, v114, s2
	s_delay_alu instid0(VALU_DEP_2) | instskip(NEXT) | instid1(VALU_DEP_2)
	v_add_f64 v[44:45], v[44:45], v[46:47]
	v_add_f64 v[28:29], v[28:29], v[30:31]
	s_delay_alu instid0(VALU_DEP_1)
	v_cmp_lt_f64_e32 vcc_lo, v[28:29], v[44:45]
	v_cndmask_b32_e32 v115, v115, v121, vcc_lo
	v_dual_cndmask_b32 v113, v113, v119 :: v_dual_cndmask_b32 v112, v112, v118
	v_cndmask_b32_e32 v114, v114, v120, vcc_lo
	v_cndmask_b32_e64 v116, v116, s6, vcc_lo
	s_add_i32 s6, s6, 1
	s_delay_alu instid0(SALU_CYCLE_1)
	s_cmp_lg_u32 s5, s6
	s_cbranch_scc1 .LBB54_421
.LBB54_422:
	s_set_inst_prefetch_distance 0x2
	s_waitcnt lgkmcnt(0)
	v_cmp_eq_f64_e32 vcc_lo, 0, v[112:113]
	v_cmp_eq_f64_e64 s2, 0, v[114:115]
	s_delay_alu instid0(VALU_DEP_1) | instskip(NEXT) | instid1(SALU_CYCLE_1)
	s_and_b32 s2, vcc_lo, s2
	s_and_saveexec_b32 s3, s2
	s_delay_alu instid0(SALU_CYCLE_1)
	s_xor_b32 s2, exec_lo, s3
; %bb.423:
	v_cmp_ne_u32_e32 vcc_lo, 0, v232
	v_cndmask_b32_e32 v232, 21, v232, vcc_lo
; %bb.424:
	s_and_not1_saveexec_b32 s3, s2
	s_cbranch_execz .LBB54_430
; %bb.425:
	v_cmp_gt_f64_e32 vcc_lo, 0, v[112:113]
	v_cmp_gt_f64_e64 s2, 0, v[114:115]
	v_xor_b32_e32 v28, 0x80000000, v113
	v_xor_b32_e32 v30, 0x80000000, v115
	s_delay_alu instid0(VALU_DEP_2) | instskip(NEXT) | instid1(VALU_DEP_2)
	v_cndmask_b32_e32 v29, v113, v28, vcc_lo
	v_cndmask_b32_e64 v31, v115, v30, s2
	v_cndmask_b32_e32 v28, v112, v112, vcc_lo
	v_cndmask_b32_e64 v30, v114, v114, s2
	s_mov_b32 s2, exec_lo
	s_delay_alu instid0(VALU_DEP_1)
	v_cmpx_ngt_f64_e32 v[28:29], v[30:31]
	s_xor_b32 s2, exec_lo, s2
	s_cbranch_execz .LBB54_427
; %bb.426:
	v_div_scale_f64 v[28:29], null, v[114:115], v[114:115], v[112:113]
	v_div_scale_f64 v[46:47], vcc_lo, v[112:113], v[114:115], v[112:113]
	s_delay_alu instid0(VALU_DEP_2) | instskip(SKIP_2) | instid1(VALU_DEP_1)
	v_rcp_f64_e32 v[30:31], v[28:29]
	s_waitcnt_depctr 0xfff
	v_fma_f64 v[44:45], -v[28:29], v[30:31], 1.0
	v_fma_f64 v[30:31], v[30:31], v[44:45], v[30:31]
	s_delay_alu instid0(VALU_DEP_1) | instskip(NEXT) | instid1(VALU_DEP_1)
	v_fma_f64 v[44:45], -v[28:29], v[30:31], 1.0
	v_fma_f64 v[30:31], v[30:31], v[44:45], v[30:31]
	s_delay_alu instid0(VALU_DEP_1) | instskip(NEXT) | instid1(VALU_DEP_1)
	v_mul_f64 v[44:45], v[46:47], v[30:31]
	v_fma_f64 v[28:29], -v[28:29], v[44:45], v[46:47]
	s_delay_alu instid0(VALU_DEP_1) | instskip(NEXT) | instid1(VALU_DEP_1)
	v_div_fmas_f64 v[28:29], v[28:29], v[30:31], v[44:45]
	v_div_fixup_f64 v[28:29], v[28:29], v[114:115], v[112:113]
	s_delay_alu instid0(VALU_DEP_1) | instskip(NEXT) | instid1(VALU_DEP_1)
	v_fma_f64 v[30:31], v[112:113], v[28:29], v[114:115]
	v_div_scale_f64 v[44:45], null, v[30:31], v[30:31], 1.0
	s_delay_alu instid0(VALU_DEP_1) | instskip(SKIP_2) | instid1(VALU_DEP_1)
	v_rcp_f64_e32 v[46:47], v[44:45]
	s_waitcnt_depctr 0xfff
	v_fma_f64 v[92:93], -v[44:45], v[46:47], 1.0
	v_fma_f64 v[46:47], v[46:47], v[92:93], v[46:47]
	s_delay_alu instid0(VALU_DEP_1) | instskip(NEXT) | instid1(VALU_DEP_1)
	v_fma_f64 v[92:93], -v[44:45], v[46:47], 1.0
	v_fma_f64 v[46:47], v[46:47], v[92:93], v[46:47]
	v_div_scale_f64 v[92:93], vcc_lo, 1.0, v[30:31], 1.0
	s_delay_alu instid0(VALU_DEP_1) | instskip(NEXT) | instid1(VALU_DEP_1)
	v_mul_f64 v[94:95], v[92:93], v[46:47]
	v_fma_f64 v[44:45], -v[44:45], v[94:95], v[92:93]
	s_delay_alu instid0(VALU_DEP_1) | instskip(NEXT) | instid1(VALU_DEP_1)
	v_div_fmas_f64 v[44:45], v[44:45], v[46:47], v[94:95]
	v_div_fixup_f64 v[114:115], v[44:45], v[30:31], 1.0
	s_delay_alu instid0(VALU_DEP_1)
	v_mul_f64 v[112:113], v[28:29], v[114:115]
	v_xor_b32_e32 v115, 0x80000000, v115
.LBB54_427:
	s_and_not1_saveexec_b32 s2, s2
	s_cbranch_execz .LBB54_429
; %bb.428:
	s_delay_alu instid0(VALU_DEP_1) | instskip(SKIP_1) | instid1(VALU_DEP_2)
	v_div_scale_f64 v[28:29], null, v[112:113], v[112:113], v[114:115]
	v_div_scale_f64 v[46:47], vcc_lo, v[114:115], v[112:113], v[114:115]
	v_rcp_f64_e32 v[30:31], v[28:29]
	s_waitcnt_depctr 0xfff
	v_fma_f64 v[44:45], -v[28:29], v[30:31], 1.0
	s_delay_alu instid0(VALU_DEP_1) | instskip(NEXT) | instid1(VALU_DEP_1)
	v_fma_f64 v[30:31], v[30:31], v[44:45], v[30:31]
	v_fma_f64 v[44:45], -v[28:29], v[30:31], 1.0
	s_delay_alu instid0(VALU_DEP_1) | instskip(NEXT) | instid1(VALU_DEP_1)
	v_fma_f64 v[30:31], v[30:31], v[44:45], v[30:31]
	v_mul_f64 v[44:45], v[46:47], v[30:31]
	s_delay_alu instid0(VALU_DEP_1) | instskip(NEXT) | instid1(VALU_DEP_1)
	v_fma_f64 v[28:29], -v[28:29], v[44:45], v[46:47]
	v_div_fmas_f64 v[28:29], v[28:29], v[30:31], v[44:45]
	s_delay_alu instid0(VALU_DEP_1) | instskip(NEXT) | instid1(VALU_DEP_1)
	v_div_fixup_f64 v[28:29], v[28:29], v[112:113], v[114:115]
	v_fma_f64 v[30:31], v[114:115], v[28:29], v[112:113]
	s_delay_alu instid0(VALU_DEP_1) | instskip(NEXT) | instid1(VALU_DEP_1)
	v_div_scale_f64 v[44:45], null, v[30:31], v[30:31], 1.0
	v_rcp_f64_e32 v[46:47], v[44:45]
	s_waitcnt_depctr 0xfff
	v_fma_f64 v[92:93], -v[44:45], v[46:47], 1.0
	s_delay_alu instid0(VALU_DEP_1) | instskip(NEXT) | instid1(VALU_DEP_1)
	v_fma_f64 v[46:47], v[46:47], v[92:93], v[46:47]
	v_fma_f64 v[92:93], -v[44:45], v[46:47], 1.0
	s_delay_alu instid0(VALU_DEP_1) | instskip(SKIP_1) | instid1(VALU_DEP_1)
	v_fma_f64 v[46:47], v[46:47], v[92:93], v[46:47]
	v_div_scale_f64 v[92:93], vcc_lo, 1.0, v[30:31], 1.0
	v_mul_f64 v[94:95], v[92:93], v[46:47]
	s_delay_alu instid0(VALU_DEP_1) | instskip(NEXT) | instid1(VALU_DEP_1)
	v_fma_f64 v[44:45], -v[44:45], v[94:95], v[92:93]
	v_div_fmas_f64 v[44:45], v[44:45], v[46:47], v[94:95]
	s_delay_alu instid0(VALU_DEP_1) | instskip(NEXT) | instid1(VALU_DEP_1)
	v_div_fixup_f64 v[112:113], v[44:45], v[30:31], 1.0
	v_mul_f64 v[114:115], v[28:29], -v[112:113]
.LBB54_429:
	s_or_b32 exec_lo, exec_lo, s2
.LBB54_430:
	s_delay_alu instid0(SALU_CYCLE_1) | instskip(NEXT) | instid1(SALU_CYCLE_1)
	s_or_b32 exec_lo, exec_lo, s3
	s_mov_b32 s2, exec_lo
	v_cmpx_ne_u32_e64 v140, v116
	s_xor_b32 s2, exec_lo, s2
	s_cbranch_execz .LBB54_436
; %bb.431:
	s_mov_b32 s3, exec_lo
	v_cmpx_eq_u32_e32 20, v140
	s_cbranch_execz .LBB54_435
; %bb.432:
	v_cmp_ne_u32_e32 vcc_lo, 20, v116
	s_xor_b32 s6, s4, -1
	s_delay_alu instid0(SALU_CYCLE_1) | instskip(NEXT) | instid1(SALU_CYCLE_1)
	s_and_b32 s7, s6, vcc_lo
	s_and_saveexec_b32 s6, s7
	s_cbranch_execz .LBB54_434
; %bb.433:
	v_ashrrev_i32_e32 v117, 31, v116
	s_delay_alu instid0(VALU_DEP_1) | instskip(NEXT) | instid1(VALU_DEP_1)
	v_lshlrev_b64 v[28:29], 2, v[116:117]
	v_add_co_u32 v28, vcc_lo, v78, v28
	s_delay_alu instid0(VALU_DEP_2)
	v_add_co_ci_u32_e32 v29, vcc_lo, v79, v29, vcc_lo
	s_clause 0x1
	flat_load_b32 v30, v[28:29]
	flat_load_b32 v31, v[78:79] offset:80
	s_waitcnt vmcnt(1) lgkmcnt(1)
	flat_store_b32 v[78:79], v30 offset:80
	s_waitcnt vmcnt(0) lgkmcnt(1)
	flat_store_b32 v[28:29], v31
.LBB54_434:
	s_or_b32 exec_lo, exec_lo, s6
	v_mov_b32_e32 v140, v116
	v_mov_b32_e32 v231, v116
.LBB54_435:
	s_or_b32 exec_lo, exec_lo, s3
.LBB54_436:
	s_and_not1_saveexec_b32 s2, s2
	s_cbranch_execz .LBB54_438
; %bb.437:
	v_mov_b32_e32 v140, 20
	ds_store_2addr_b64 v138, v[24:25], v[26:27] offset0:42 offset1:43
	ds_store_2addr_b64 v138, v[20:21], v[22:23] offset0:44 offset1:45
	;; [unrolled: 1-line block ×7, first 2 shown]
.LBB54_438:
	s_or_b32 exec_lo, exec_lo, s2
	s_delay_alu instid0(SALU_CYCLE_1)
	s_mov_b32 s2, exec_lo
	s_waitcnt lgkmcnt(0)
	s_waitcnt_vscnt null, 0x0
	s_barrier
	buffer_gl0_inv
	v_cmpx_lt_i32_e32 20, v140
	s_cbranch_execz .LBB54_440
; %bb.439:
	v_mul_f64 v[28:29], v[112:113], v[34:35]
	v_mul_f64 v[30:31], v[114:115], v[34:35]
	s_delay_alu instid0(VALU_DEP_2)
	v_fma_f64 v[28:29], v[114:115], v[32:33], v[28:29]
	ds_load_2addr_b64 v[114:117], v138 offset0:42 offset1:43
	ds_load_2addr_b64 v[118:121], v138 offset0:44 offset1:45
	;; [unrolled: 1-line block ×7, first 2 shown]
	v_fma_f64 v[32:33], v[112:113], v[32:33], -v[30:31]
	s_waitcnt lgkmcnt(6)
	v_mul_f64 v[30:31], v[116:117], v[28:29]
	v_mul_f64 v[34:35], v[114:115], v[28:29]
	s_waitcnt lgkmcnt(5)
	v_mul_f64 v[44:45], v[120:121], v[28:29]
	v_mul_f64 v[46:47], v[118:119], v[28:29]
	;; [unrolled: 3-line block ×7, first 2 shown]
	v_fma_f64 v[30:31], v[114:115], v[32:33], -v[30:31]
	v_fma_f64 v[34:35], v[116:117], v[32:33], v[34:35]
	v_fma_f64 v[44:45], v[118:119], v[32:33], -v[44:45]
	v_fma_f64 v[46:47], v[120:121], v[32:33], v[46:47]
	;; [unrolled: 2-line block ×7, first 2 shown]
	v_add_f64 v[24:25], v[24:25], -v[30:31]
	v_add_f64 v[26:27], v[26:27], -v[34:35]
	;; [unrolled: 1-line block ×14, first 2 shown]
	v_dual_mov_b32 v35, v29 :: v_dual_mov_b32 v34, v28
.LBB54_440:
	s_or_b32 exec_lo, exec_lo, s2
	v_lshl_add_u32 v28, v140, 4, v138
	s_barrier
	buffer_gl0_inv
	v_mov_b32_e32 v116, 21
	ds_store_2addr_b64 v28, v[24:25], v[26:27] offset1:1
	s_waitcnt lgkmcnt(0)
	s_barrier
	buffer_gl0_inv
	ds_load_2addr_b64 v[112:115], v138 offset0:42 offset1:43
	s_cmp_lt_i32 s5, 23
	s_cbranch_scc1 .LBB54_443
; %bb.441:
	v_add3_u32 v117, v62, 0, 0x160
	v_mov_b32_e32 v116, 21
	s_mov_b32 s6, 22
	s_set_inst_prefetch_distance 0x1
	.p2align	6
.LBB54_442:                             ; =>This Inner Loop Header: Depth=1
	ds_load_2addr_b64 v[118:121], v117 offset1:1
	s_waitcnt lgkmcnt(1)
	v_cmp_gt_f64_e32 vcc_lo, 0, v[112:113]
	v_xor_b32_e32 v28, 0x80000000, v113
	v_cmp_gt_f64_e64 s2, 0, v[114:115]
	v_xor_b32_e32 v30, 0x80000000, v115
	v_add_nc_u32_e32 v117, 16, v117
	s_waitcnt lgkmcnt(0)
	v_cmp_gt_f64_e64 s3, 0, v[118:119]
	v_mov_b32_e32 v44, v118
	v_dual_mov_b32 v46, v120 :: v_dual_cndmask_b32 v29, v113, v28
	v_xor_b32_e32 v28, 0x80000000, v119
	v_cndmask_b32_e64 v31, v115, v30, s2
	v_xor_b32_e32 v30, 0x80000000, v121
	s_delay_alu instid0(VALU_DEP_3) | instskip(SKIP_2) | instid1(VALU_DEP_2)
	v_cndmask_b32_e64 v45, v119, v28, s3
	v_cmp_gt_f64_e64 s3, 0, v[120:121]
	v_cndmask_b32_e32 v28, v112, v112, vcc_lo
	v_cndmask_b32_e64 v47, v121, v30, s3
	v_cndmask_b32_e64 v30, v114, v114, s2
	s_delay_alu instid0(VALU_DEP_2) | instskip(NEXT) | instid1(VALU_DEP_2)
	v_add_f64 v[44:45], v[44:45], v[46:47]
	v_add_f64 v[28:29], v[28:29], v[30:31]
	s_delay_alu instid0(VALU_DEP_1)
	v_cmp_lt_f64_e32 vcc_lo, v[28:29], v[44:45]
	v_cndmask_b32_e32 v115, v115, v121, vcc_lo
	v_dual_cndmask_b32 v113, v113, v119 :: v_dual_cndmask_b32 v112, v112, v118
	v_cndmask_b32_e32 v114, v114, v120, vcc_lo
	v_cndmask_b32_e64 v116, v116, s6, vcc_lo
	s_add_i32 s6, s6, 1
	s_delay_alu instid0(SALU_CYCLE_1)
	s_cmp_lg_u32 s5, s6
	s_cbranch_scc1 .LBB54_442
.LBB54_443:
	s_set_inst_prefetch_distance 0x2
	s_waitcnt lgkmcnt(0)
	v_cmp_eq_f64_e32 vcc_lo, 0, v[112:113]
	v_cmp_eq_f64_e64 s2, 0, v[114:115]
	s_delay_alu instid0(VALU_DEP_1) | instskip(NEXT) | instid1(SALU_CYCLE_1)
	s_and_b32 s2, vcc_lo, s2
	s_and_saveexec_b32 s3, s2
	s_delay_alu instid0(SALU_CYCLE_1)
	s_xor_b32 s2, exec_lo, s3
; %bb.444:
	v_cmp_ne_u32_e32 vcc_lo, 0, v232
	v_cndmask_b32_e32 v232, 22, v232, vcc_lo
; %bb.445:
	s_and_not1_saveexec_b32 s3, s2
	s_cbranch_execz .LBB54_451
; %bb.446:
	v_cmp_gt_f64_e32 vcc_lo, 0, v[112:113]
	v_cmp_gt_f64_e64 s2, 0, v[114:115]
	v_xor_b32_e32 v28, 0x80000000, v113
	v_xor_b32_e32 v30, 0x80000000, v115
	s_delay_alu instid0(VALU_DEP_2) | instskip(NEXT) | instid1(VALU_DEP_2)
	v_cndmask_b32_e32 v29, v113, v28, vcc_lo
	v_cndmask_b32_e64 v31, v115, v30, s2
	v_cndmask_b32_e32 v28, v112, v112, vcc_lo
	v_cndmask_b32_e64 v30, v114, v114, s2
	s_mov_b32 s2, exec_lo
	s_delay_alu instid0(VALU_DEP_1)
	v_cmpx_ngt_f64_e32 v[28:29], v[30:31]
	s_xor_b32 s2, exec_lo, s2
	s_cbranch_execz .LBB54_448
; %bb.447:
	v_div_scale_f64 v[28:29], null, v[114:115], v[114:115], v[112:113]
	v_div_scale_f64 v[46:47], vcc_lo, v[112:113], v[114:115], v[112:113]
	s_delay_alu instid0(VALU_DEP_2) | instskip(SKIP_2) | instid1(VALU_DEP_1)
	v_rcp_f64_e32 v[30:31], v[28:29]
	s_waitcnt_depctr 0xfff
	v_fma_f64 v[44:45], -v[28:29], v[30:31], 1.0
	v_fma_f64 v[30:31], v[30:31], v[44:45], v[30:31]
	s_delay_alu instid0(VALU_DEP_1) | instskip(NEXT) | instid1(VALU_DEP_1)
	v_fma_f64 v[44:45], -v[28:29], v[30:31], 1.0
	v_fma_f64 v[30:31], v[30:31], v[44:45], v[30:31]
	s_delay_alu instid0(VALU_DEP_1) | instskip(NEXT) | instid1(VALU_DEP_1)
	v_mul_f64 v[44:45], v[46:47], v[30:31]
	v_fma_f64 v[28:29], -v[28:29], v[44:45], v[46:47]
	s_delay_alu instid0(VALU_DEP_1) | instskip(NEXT) | instid1(VALU_DEP_1)
	v_div_fmas_f64 v[28:29], v[28:29], v[30:31], v[44:45]
	v_div_fixup_f64 v[28:29], v[28:29], v[114:115], v[112:113]
	s_delay_alu instid0(VALU_DEP_1) | instskip(NEXT) | instid1(VALU_DEP_1)
	v_fma_f64 v[30:31], v[112:113], v[28:29], v[114:115]
	v_div_scale_f64 v[44:45], null, v[30:31], v[30:31], 1.0
	s_delay_alu instid0(VALU_DEP_1) | instskip(SKIP_2) | instid1(VALU_DEP_1)
	v_rcp_f64_e32 v[46:47], v[44:45]
	s_waitcnt_depctr 0xfff
	v_fma_f64 v[92:93], -v[44:45], v[46:47], 1.0
	v_fma_f64 v[46:47], v[46:47], v[92:93], v[46:47]
	s_delay_alu instid0(VALU_DEP_1) | instskip(NEXT) | instid1(VALU_DEP_1)
	v_fma_f64 v[92:93], -v[44:45], v[46:47], 1.0
	v_fma_f64 v[46:47], v[46:47], v[92:93], v[46:47]
	v_div_scale_f64 v[92:93], vcc_lo, 1.0, v[30:31], 1.0
	s_delay_alu instid0(VALU_DEP_1) | instskip(NEXT) | instid1(VALU_DEP_1)
	v_mul_f64 v[94:95], v[92:93], v[46:47]
	v_fma_f64 v[44:45], -v[44:45], v[94:95], v[92:93]
	s_delay_alu instid0(VALU_DEP_1) | instskip(NEXT) | instid1(VALU_DEP_1)
	v_div_fmas_f64 v[44:45], v[44:45], v[46:47], v[94:95]
	v_div_fixup_f64 v[114:115], v[44:45], v[30:31], 1.0
	s_delay_alu instid0(VALU_DEP_1)
	v_mul_f64 v[112:113], v[28:29], v[114:115]
	v_xor_b32_e32 v115, 0x80000000, v115
.LBB54_448:
	s_and_not1_saveexec_b32 s2, s2
	s_cbranch_execz .LBB54_450
; %bb.449:
	s_delay_alu instid0(VALU_DEP_1) | instskip(SKIP_1) | instid1(VALU_DEP_2)
	v_div_scale_f64 v[28:29], null, v[112:113], v[112:113], v[114:115]
	v_div_scale_f64 v[46:47], vcc_lo, v[114:115], v[112:113], v[114:115]
	v_rcp_f64_e32 v[30:31], v[28:29]
	s_waitcnt_depctr 0xfff
	v_fma_f64 v[44:45], -v[28:29], v[30:31], 1.0
	s_delay_alu instid0(VALU_DEP_1) | instskip(NEXT) | instid1(VALU_DEP_1)
	v_fma_f64 v[30:31], v[30:31], v[44:45], v[30:31]
	v_fma_f64 v[44:45], -v[28:29], v[30:31], 1.0
	s_delay_alu instid0(VALU_DEP_1) | instskip(NEXT) | instid1(VALU_DEP_1)
	v_fma_f64 v[30:31], v[30:31], v[44:45], v[30:31]
	v_mul_f64 v[44:45], v[46:47], v[30:31]
	s_delay_alu instid0(VALU_DEP_1) | instskip(NEXT) | instid1(VALU_DEP_1)
	v_fma_f64 v[28:29], -v[28:29], v[44:45], v[46:47]
	v_div_fmas_f64 v[28:29], v[28:29], v[30:31], v[44:45]
	s_delay_alu instid0(VALU_DEP_1) | instskip(NEXT) | instid1(VALU_DEP_1)
	v_div_fixup_f64 v[28:29], v[28:29], v[112:113], v[114:115]
	v_fma_f64 v[30:31], v[114:115], v[28:29], v[112:113]
	s_delay_alu instid0(VALU_DEP_1) | instskip(NEXT) | instid1(VALU_DEP_1)
	v_div_scale_f64 v[44:45], null, v[30:31], v[30:31], 1.0
	v_rcp_f64_e32 v[46:47], v[44:45]
	s_waitcnt_depctr 0xfff
	v_fma_f64 v[92:93], -v[44:45], v[46:47], 1.0
	s_delay_alu instid0(VALU_DEP_1) | instskip(NEXT) | instid1(VALU_DEP_1)
	v_fma_f64 v[46:47], v[46:47], v[92:93], v[46:47]
	v_fma_f64 v[92:93], -v[44:45], v[46:47], 1.0
	s_delay_alu instid0(VALU_DEP_1) | instskip(SKIP_1) | instid1(VALU_DEP_1)
	v_fma_f64 v[46:47], v[46:47], v[92:93], v[46:47]
	v_div_scale_f64 v[92:93], vcc_lo, 1.0, v[30:31], 1.0
	v_mul_f64 v[94:95], v[92:93], v[46:47]
	s_delay_alu instid0(VALU_DEP_1) | instskip(NEXT) | instid1(VALU_DEP_1)
	v_fma_f64 v[44:45], -v[44:45], v[94:95], v[92:93]
	v_div_fmas_f64 v[44:45], v[44:45], v[46:47], v[94:95]
	s_delay_alu instid0(VALU_DEP_1) | instskip(NEXT) | instid1(VALU_DEP_1)
	v_div_fixup_f64 v[112:113], v[44:45], v[30:31], 1.0
	v_mul_f64 v[114:115], v[28:29], -v[112:113]
.LBB54_450:
	s_or_b32 exec_lo, exec_lo, s2
.LBB54_451:
	s_delay_alu instid0(SALU_CYCLE_1) | instskip(NEXT) | instid1(SALU_CYCLE_1)
	s_or_b32 exec_lo, exec_lo, s3
	s_mov_b32 s2, exec_lo
	v_cmpx_ne_u32_e64 v140, v116
	s_xor_b32 s2, exec_lo, s2
	s_cbranch_execz .LBB54_457
; %bb.452:
	s_mov_b32 s3, exec_lo
	v_cmpx_eq_u32_e32 21, v140
	s_cbranch_execz .LBB54_456
; %bb.453:
	v_cmp_ne_u32_e32 vcc_lo, 21, v116
	s_xor_b32 s6, s4, -1
	s_delay_alu instid0(SALU_CYCLE_1) | instskip(NEXT) | instid1(SALU_CYCLE_1)
	s_and_b32 s7, s6, vcc_lo
	s_and_saveexec_b32 s6, s7
	s_cbranch_execz .LBB54_455
; %bb.454:
	v_ashrrev_i32_e32 v117, 31, v116
	s_delay_alu instid0(VALU_DEP_1) | instskip(NEXT) | instid1(VALU_DEP_1)
	v_lshlrev_b64 v[28:29], 2, v[116:117]
	v_add_co_u32 v28, vcc_lo, v78, v28
	s_delay_alu instid0(VALU_DEP_2)
	v_add_co_ci_u32_e32 v29, vcc_lo, v79, v29, vcc_lo
	s_clause 0x1
	flat_load_b32 v30, v[28:29]
	flat_load_b32 v31, v[78:79] offset:84
	s_waitcnt vmcnt(1) lgkmcnt(1)
	flat_store_b32 v[78:79], v30 offset:84
	s_waitcnt vmcnt(0) lgkmcnt(1)
	flat_store_b32 v[28:29], v31
.LBB54_455:
	s_or_b32 exec_lo, exec_lo, s6
	v_mov_b32_e32 v140, v116
	v_mov_b32_e32 v231, v116
.LBB54_456:
	s_or_b32 exec_lo, exec_lo, s3
.LBB54_457:
	s_and_not1_saveexec_b32 s2, s2
	s_cbranch_execz .LBB54_459
; %bb.458:
	v_mov_b32_e32 v140, 21
	ds_store_2addr_b64 v138, v[20:21], v[22:23] offset0:44 offset1:45
	ds_store_2addr_b64 v138, v[16:17], v[18:19] offset0:46 offset1:47
	;; [unrolled: 1-line block ×6, first 2 shown]
.LBB54_459:
	s_or_b32 exec_lo, exec_lo, s2
	s_delay_alu instid0(SALU_CYCLE_1)
	s_mov_b32 s2, exec_lo
	s_waitcnt lgkmcnt(0)
	s_waitcnt_vscnt null, 0x0
	s_barrier
	buffer_gl0_inv
	v_cmpx_lt_i32_e32 21, v140
	s_cbranch_execz .LBB54_461
; %bb.460:
	v_mul_f64 v[28:29], v[112:113], v[26:27]
	v_mul_f64 v[26:27], v[114:115], v[26:27]
	s_delay_alu instid0(VALU_DEP_2)
	v_fma_f64 v[28:29], v[114:115], v[24:25], v[28:29]
	ds_load_2addr_b64 v[114:117], v138 offset0:44 offset1:45
	ds_load_2addr_b64 v[118:121], v138 offset0:46 offset1:47
	;; [unrolled: 1-line block ×6, first 2 shown]
	v_fma_f64 v[24:25], v[112:113], v[24:25], -v[26:27]
	s_waitcnt lgkmcnt(5)
	v_mul_f64 v[26:27], v[116:117], v[28:29]
	v_mul_f64 v[30:31], v[114:115], v[28:29]
	s_waitcnt lgkmcnt(4)
	v_mul_f64 v[44:45], v[120:121], v[28:29]
	v_mul_f64 v[46:47], v[118:119], v[28:29]
	;; [unrolled: 3-line block ×6, first 2 shown]
	v_fma_f64 v[26:27], v[114:115], v[24:25], -v[26:27]
	v_fma_f64 v[30:31], v[116:117], v[24:25], v[30:31]
	v_fma_f64 v[44:45], v[118:119], v[24:25], -v[44:45]
	v_fma_f64 v[46:47], v[120:121], v[24:25], v[46:47]
	v_fma_f64 v[92:93], v[122:123], v[24:25], -v[92:93]
	v_fma_f64 v[94:95], v[124:125], v[24:25], v[94:95]
	v_fma_f64 v[96:97], v[126:127], v[24:25], -v[96:97]
	v_fma_f64 v[98:99], v[128:129], v[24:25], v[98:99]
	v_fma_f64 v[100:101], v[141:142], v[24:25], -v[100:101]
	v_fma_f64 v[102:103], v[143:144], v[24:25], v[102:103]
	v_fma_f64 v[104:105], v[145:146], v[24:25], -v[104:105]
	v_fma_f64 v[106:107], v[147:148], v[24:25], v[106:107]
	v_add_f64 v[20:21], v[20:21], -v[26:27]
	v_add_f64 v[22:23], v[22:23], -v[30:31]
	;; [unrolled: 1-line block ×12, first 2 shown]
	v_dual_mov_b32 v26, v28 :: v_dual_mov_b32 v27, v29
.LBB54_461:
	s_or_b32 exec_lo, exec_lo, s2
	v_lshl_add_u32 v28, v140, 4, v138
	s_barrier
	buffer_gl0_inv
	v_mov_b32_e32 v116, 22
	ds_store_2addr_b64 v28, v[20:21], v[22:23] offset1:1
	s_waitcnt lgkmcnt(0)
	s_barrier
	buffer_gl0_inv
	ds_load_2addr_b64 v[112:115], v138 offset0:44 offset1:45
	s_cmp_lt_i32 s5, 24
	s_cbranch_scc1 .LBB54_464
; %bb.462:
	v_add3_u32 v117, v62, 0, 0x170
	v_mov_b32_e32 v116, 22
	s_mov_b32 s6, 23
	s_set_inst_prefetch_distance 0x1
	.p2align	6
.LBB54_463:                             ; =>This Inner Loop Header: Depth=1
	ds_load_2addr_b64 v[118:121], v117 offset1:1
	s_waitcnt lgkmcnt(1)
	v_cmp_gt_f64_e32 vcc_lo, 0, v[112:113]
	v_xor_b32_e32 v28, 0x80000000, v113
	v_cmp_gt_f64_e64 s2, 0, v[114:115]
	v_xor_b32_e32 v30, 0x80000000, v115
	v_add_nc_u32_e32 v117, 16, v117
	s_waitcnt lgkmcnt(0)
	v_cmp_gt_f64_e64 s3, 0, v[118:119]
	v_mov_b32_e32 v44, v118
	v_dual_mov_b32 v46, v120 :: v_dual_cndmask_b32 v29, v113, v28
	v_xor_b32_e32 v28, 0x80000000, v119
	v_cndmask_b32_e64 v31, v115, v30, s2
	v_xor_b32_e32 v30, 0x80000000, v121
	s_delay_alu instid0(VALU_DEP_3) | instskip(SKIP_2) | instid1(VALU_DEP_2)
	v_cndmask_b32_e64 v45, v119, v28, s3
	v_cmp_gt_f64_e64 s3, 0, v[120:121]
	v_cndmask_b32_e32 v28, v112, v112, vcc_lo
	v_cndmask_b32_e64 v47, v121, v30, s3
	v_cndmask_b32_e64 v30, v114, v114, s2
	s_delay_alu instid0(VALU_DEP_2) | instskip(NEXT) | instid1(VALU_DEP_2)
	v_add_f64 v[44:45], v[44:45], v[46:47]
	v_add_f64 v[28:29], v[28:29], v[30:31]
	s_delay_alu instid0(VALU_DEP_1)
	v_cmp_lt_f64_e32 vcc_lo, v[28:29], v[44:45]
	v_cndmask_b32_e32 v115, v115, v121, vcc_lo
	v_dual_cndmask_b32 v113, v113, v119 :: v_dual_cndmask_b32 v112, v112, v118
	v_cndmask_b32_e32 v114, v114, v120, vcc_lo
	v_cndmask_b32_e64 v116, v116, s6, vcc_lo
	s_add_i32 s6, s6, 1
	s_delay_alu instid0(SALU_CYCLE_1)
	s_cmp_lg_u32 s5, s6
	s_cbranch_scc1 .LBB54_463
.LBB54_464:
	s_set_inst_prefetch_distance 0x2
	s_waitcnt lgkmcnt(0)
	v_cmp_eq_f64_e32 vcc_lo, 0, v[112:113]
	v_cmp_eq_f64_e64 s2, 0, v[114:115]
	s_delay_alu instid0(VALU_DEP_1) | instskip(NEXT) | instid1(SALU_CYCLE_1)
	s_and_b32 s2, vcc_lo, s2
	s_and_saveexec_b32 s3, s2
	s_delay_alu instid0(SALU_CYCLE_1)
	s_xor_b32 s2, exec_lo, s3
; %bb.465:
	v_cmp_ne_u32_e32 vcc_lo, 0, v232
	v_cndmask_b32_e32 v232, 23, v232, vcc_lo
; %bb.466:
	s_and_not1_saveexec_b32 s3, s2
	s_cbranch_execz .LBB54_472
; %bb.467:
	v_cmp_gt_f64_e32 vcc_lo, 0, v[112:113]
	v_cmp_gt_f64_e64 s2, 0, v[114:115]
	v_xor_b32_e32 v28, 0x80000000, v113
	v_xor_b32_e32 v30, 0x80000000, v115
	s_delay_alu instid0(VALU_DEP_2) | instskip(NEXT) | instid1(VALU_DEP_2)
	v_cndmask_b32_e32 v29, v113, v28, vcc_lo
	v_cndmask_b32_e64 v31, v115, v30, s2
	v_cndmask_b32_e32 v28, v112, v112, vcc_lo
	v_cndmask_b32_e64 v30, v114, v114, s2
	s_mov_b32 s2, exec_lo
	s_delay_alu instid0(VALU_DEP_1)
	v_cmpx_ngt_f64_e32 v[28:29], v[30:31]
	s_xor_b32 s2, exec_lo, s2
	s_cbranch_execz .LBB54_469
; %bb.468:
	v_div_scale_f64 v[28:29], null, v[114:115], v[114:115], v[112:113]
	v_div_scale_f64 v[46:47], vcc_lo, v[112:113], v[114:115], v[112:113]
	s_delay_alu instid0(VALU_DEP_2) | instskip(SKIP_2) | instid1(VALU_DEP_1)
	v_rcp_f64_e32 v[30:31], v[28:29]
	s_waitcnt_depctr 0xfff
	v_fma_f64 v[44:45], -v[28:29], v[30:31], 1.0
	v_fma_f64 v[30:31], v[30:31], v[44:45], v[30:31]
	s_delay_alu instid0(VALU_DEP_1) | instskip(NEXT) | instid1(VALU_DEP_1)
	v_fma_f64 v[44:45], -v[28:29], v[30:31], 1.0
	v_fma_f64 v[30:31], v[30:31], v[44:45], v[30:31]
	s_delay_alu instid0(VALU_DEP_1) | instskip(NEXT) | instid1(VALU_DEP_1)
	v_mul_f64 v[44:45], v[46:47], v[30:31]
	v_fma_f64 v[28:29], -v[28:29], v[44:45], v[46:47]
	s_delay_alu instid0(VALU_DEP_1) | instskip(NEXT) | instid1(VALU_DEP_1)
	v_div_fmas_f64 v[28:29], v[28:29], v[30:31], v[44:45]
	v_div_fixup_f64 v[28:29], v[28:29], v[114:115], v[112:113]
	s_delay_alu instid0(VALU_DEP_1) | instskip(NEXT) | instid1(VALU_DEP_1)
	v_fma_f64 v[30:31], v[112:113], v[28:29], v[114:115]
	v_div_scale_f64 v[44:45], null, v[30:31], v[30:31], 1.0
	s_delay_alu instid0(VALU_DEP_1) | instskip(SKIP_2) | instid1(VALU_DEP_1)
	v_rcp_f64_e32 v[46:47], v[44:45]
	s_waitcnt_depctr 0xfff
	v_fma_f64 v[92:93], -v[44:45], v[46:47], 1.0
	v_fma_f64 v[46:47], v[46:47], v[92:93], v[46:47]
	s_delay_alu instid0(VALU_DEP_1) | instskip(NEXT) | instid1(VALU_DEP_1)
	v_fma_f64 v[92:93], -v[44:45], v[46:47], 1.0
	v_fma_f64 v[46:47], v[46:47], v[92:93], v[46:47]
	v_div_scale_f64 v[92:93], vcc_lo, 1.0, v[30:31], 1.0
	s_delay_alu instid0(VALU_DEP_1) | instskip(NEXT) | instid1(VALU_DEP_1)
	v_mul_f64 v[94:95], v[92:93], v[46:47]
	v_fma_f64 v[44:45], -v[44:45], v[94:95], v[92:93]
	s_delay_alu instid0(VALU_DEP_1) | instskip(NEXT) | instid1(VALU_DEP_1)
	v_div_fmas_f64 v[44:45], v[44:45], v[46:47], v[94:95]
	v_div_fixup_f64 v[114:115], v[44:45], v[30:31], 1.0
	s_delay_alu instid0(VALU_DEP_1)
	v_mul_f64 v[112:113], v[28:29], v[114:115]
	v_xor_b32_e32 v115, 0x80000000, v115
.LBB54_469:
	s_and_not1_saveexec_b32 s2, s2
	s_cbranch_execz .LBB54_471
; %bb.470:
	s_delay_alu instid0(VALU_DEP_1) | instskip(SKIP_1) | instid1(VALU_DEP_2)
	v_div_scale_f64 v[28:29], null, v[112:113], v[112:113], v[114:115]
	v_div_scale_f64 v[46:47], vcc_lo, v[114:115], v[112:113], v[114:115]
	v_rcp_f64_e32 v[30:31], v[28:29]
	s_waitcnt_depctr 0xfff
	v_fma_f64 v[44:45], -v[28:29], v[30:31], 1.0
	s_delay_alu instid0(VALU_DEP_1) | instskip(NEXT) | instid1(VALU_DEP_1)
	v_fma_f64 v[30:31], v[30:31], v[44:45], v[30:31]
	v_fma_f64 v[44:45], -v[28:29], v[30:31], 1.0
	s_delay_alu instid0(VALU_DEP_1) | instskip(NEXT) | instid1(VALU_DEP_1)
	v_fma_f64 v[30:31], v[30:31], v[44:45], v[30:31]
	v_mul_f64 v[44:45], v[46:47], v[30:31]
	s_delay_alu instid0(VALU_DEP_1) | instskip(NEXT) | instid1(VALU_DEP_1)
	v_fma_f64 v[28:29], -v[28:29], v[44:45], v[46:47]
	v_div_fmas_f64 v[28:29], v[28:29], v[30:31], v[44:45]
	s_delay_alu instid0(VALU_DEP_1) | instskip(NEXT) | instid1(VALU_DEP_1)
	v_div_fixup_f64 v[28:29], v[28:29], v[112:113], v[114:115]
	v_fma_f64 v[30:31], v[114:115], v[28:29], v[112:113]
	s_delay_alu instid0(VALU_DEP_1) | instskip(NEXT) | instid1(VALU_DEP_1)
	v_div_scale_f64 v[44:45], null, v[30:31], v[30:31], 1.0
	v_rcp_f64_e32 v[46:47], v[44:45]
	s_waitcnt_depctr 0xfff
	v_fma_f64 v[92:93], -v[44:45], v[46:47], 1.0
	s_delay_alu instid0(VALU_DEP_1) | instskip(NEXT) | instid1(VALU_DEP_1)
	v_fma_f64 v[46:47], v[46:47], v[92:93], v[46:47]
	v_fma_f64 v[92:93], -v[44:45], v[46:47], 1.0
	s_delay_alu instid0(VALU_DEP_1) | instskip(SKIP_1) | instid1(VALU_DEP_1)
	v_fma_f64 v[46:47], v[46:47], v[92:93], v[46:47]
	v_div_scale_f64 v[92:93], vcc_lo, 1.0, v[30:31], 1.0
	v_mul_f64 v[94:95], v[92:93], v[46:47]
	s_delay_alu instid0(VALU_DEP_1) | instskip(NEXT) | instid1(VALU_DEP_1)
	v_fma_f64 v[44:45], -v[44:45], v[94:95], v[92:93]
	v_div_fmas_f64 v[44:45], v[44:45], v[46:47], v[94:95]
	s_delay_alu instid0(VALU_DEP_1) | instskip(NEXT) | instid1(VALU_DEP_1)
	v_div_fixup_f64 v[112:113], v[44:45], v[30:31], 1.0
	v_mul_f64 v[114:115], v[28:29], -v[112:113]
.LBB54_471:
	s_or_b32 exec_lo, exec_lo, s2
.LBB54_472:
	s_delay_alu instid0(SALU_CYCLE_1) | instskip(NEXT) | instid1(SALU_CYCLE_1)
	s_or_b32 exec_lo, exec_lo, s3
	s_mov_b32 s2, exec_lo
	v_cmpx_ne_u32_e64 v140, v116
	s_xor_b32 s2, exec_lo, s2
	s_cbranch_execz .LBB54_478
; %bb.473:
	s_mov_b32 s3, exec_lo
	v_cmpx_eq_u32_e32 22, v140
	s_cbranch_execz .LBB54_477
; %bb.474:
	v_cmp_ne_u32_e32 vcc_lo, 22, v116
	s_xor_b32 s6, s4, -1
	s_delay_alu instid0(SALU_CYCLE_1) | instskip(NEXT) | instid1(SALU_CYCLE_1)
	s_and_b32 s7, s6, vcc_lo
	s_and_saveexec_b32 s6, s7
	s_cbranch_execz .LBB54_476
; %bb.475:
	v_ashrrev_i32_e32 v117, 31, v116
	s_delay_alu instid0(VALU_DEP_1) | instskip(NEXT) | instid1(VALU_DEP_1)
	v_lshlrev_b64 v[28:29], 2, v[116:117]
	v_add_co_u32 v28, vcc_lo, v78, v28
	s_delay_alu instid0(VALU_DEP_2)
	v_add_co_ci_u32_e32 v29, vcc_lo, v79, v29, vcc_lo
	s_clause 0x1
	flat_load_b32 v30, v[28:29]
	flat_load_b32 v31, v[78:79] offset:88
	s_waitcnt vmcnt(1) lgkmcnt(1)
	flat_store_b32 v[78:79], v30 offset:88
	s_waitcnt vmcnt(0) lgkmcnt(1)
	flat_store_b32 v[28:29], v31
.LBB54_476:
	s_or_b32 exec_lo, exec_lo, s6
	v_mov_b32_e32 v140, v116
	v_mov_b32_e32 v231, v116
.LBB54_477:
	s_or_b32 exec_lo, exec_lo, s3
.LBB54_478:
	s_and_not1_saveexec_b32 s2, s2
	s_cbranch_execz .LBB54_480
; %bb.479:
	v_mov_b32_e32 v140, 22
	ds_store_2addr_b64 v138, v[16:17], v[18:19] offset0:46 offset1:47
	ds_store_2addr_b64 v138, v[12:13], v[14:15] offset0:48 offset1:49
	;; [unrolled: 1-line block ×5, first 2 shown]
.LBB54_480:
	s_or_b32 exec_lo, exec_lo, s2
	s_delay_alu instid0(SALU_CYCLE_1)
	s_mov_b32 s2, exec_lo
	s_waitcnt lgkmcnt(0)
	s_waitcnt_vscnt null, 0x0
	s_barrier
	buffer_gl0_inv
	v_cmpx_lt_i32_e32 22, v140
	s_cbranch_execz .LBB54_482
; %bb.481:
	v_mul_f64 v[28:29], v[112:113], v[22:23]
	v_mul_f64 v[22:23], v[114:115], v[22:23]
	s_delay_alu instid0(VALU_DEP_2)
	v_fma_f64 v[28:29], v[114:115], v[20:21], v[28:29]
	ds_load_2addr_b64 v[114:117], v138 offset0:46 offset1:47
	ds_load_2addr_b64 v[118:121], v138 offset0:48 offset1:49
	;; [unrolled: 1-line block ×5, first 2 shown]
	v_fma_f64 v[20:21], v[112:113], v[20:21], -v[22:23]
	s_waitcnt lgkmcnt(4)
	v_mul_f64 v[22:23], v[116:117], v[28:29]
	v_mul_f64 v[30:31], v[114:115], v[28:29]
	s_waitcnt lgkmcnt(3)
	v_mul_f64 v[44:45], v[120:121], v[28:29]
	v_mul_f64 v[46:47], v[118:119], v[28:29]
	;; [unrolled: 3-line block ×5, first 2 shown]
	v_fma_f64 v[22:23], v[114:115], v[20:21], -v[22:23]
	v_fma_f64 v[30:31], v[116:117], v[20:21], v[30:31]
	v_fma_f64 v[44:45], v[118:119], v[20:21], -v[44:45]
	v_fma_f64 v[46:47], v[120:121], v[20:21], v[46:47]
	;; [unrolled: 2-line block ×5, first 2 shown]
	v_add_f64 v[16:17], v[16:17], -v[22:23]
	v_add_f64 v[18:19], v[18:19], -v[30:31]
	;; [unrolled: 1-line block ×10, first 2 shown]
	v_dual_mov_b32 v22, v28 :: v_dual_mov_b32 v23, v29
.LBB54_482:
	s_or_b32 exec_lo, exec_lo, s2
	v_lshl_add_u32 v28, v140, 4, v138
	s_barrier
	buffer_gl0_inv
	v_mov_b32_e32 v116, 23
	ds_store_2addr_b64 v28, v[16:17], v[18:19] offset1:1
	s_waitcnt lgkmcnt(0)
	s_barrier
	buffer_gl0_inv
	ds_load_2addr_b64 v[112:115], v138 offset0:46 offset1:47
	s_cmp_lt_i32 s5, 25
	s_cbranch_scc1 .LBB54_485
; %bb.483:
	v_add3_u32 v117, v62, 0, 0x180
	v_mov_b32_e32 v116, 23
	s_mov_b32 s6, 24
	s_set_inst_prefetch_distance 0x1
	.p2align	6
.LBB54_484:                             ; =>This Inner Loop Header: Depth=1
	ds_load_2addr_b64 v[118:121], v117 offset1:1
	s_waitcnt lgkmcnt(1)
	v_cmp_gt_f64_e32 vcc_lo, 0, v[112:113]
	v_xor_b32_e32 v28, 0x80000000, v113
	v_cmp_gt_f64_e64 s2, 0, v[114:115]
	v_xor_b32_e32 v30, 0x80000000, v115
	v_add_nc_u32_e32 v117, 16, v117
	s_waitcnt lgkmcnt(0)
	v_cmp_gt_f64_e64 s3, 0, v[118:119]
	v_mov_b32_e32 v44, v118
	v_dual_mov_b32 v46, v120 :: v_dual_cndmask_b32 v29, v113, v28
	v_xor_b32_e32 v28, 0x80000000, v119
	v_cndmask_b32_e64 v31, v115, v30, s2
	v_xor_b32_e32 v30, 0x80000000, v121
	s_delay_alu instid0(VALU_DEP_3) | instskip(SKIP_2) | instid1(VALU_DEP_2)
	v_cndmask_b32_e64 v45, v119, v28, s3
	v_cmp_gt_f64_e64 s3, 0, v[120:121]
	v_cndmask_b32_e32 v28, v112, v112, vcc_lo
	v_cndmask_b32_e64 v47, v121, v30, s3
	v_cndmask_b32_e64 v30, v114, v114, s2
	s_delay_alu instid0(VALU_DEP_2) | instskip(NEXT) | instid1(VALU_DEP_2)
	v_add_f64 v[44:45], v[44:45], v[46:47]
	v_add_f64 v[28:29], v[28:29], v[30:31]
	s_delay_alu instid0(VALU_DEP_1)
	v_cmp_lt_f64_e32 vcc_lo, v[28:29], v[44:45]
	v_cndmask_b32_e32 v115, v115, v121, vcc_lo
	v_dual_cndmask_b32 v113, v113, v119 :: v_dual_cndmask_b32 v112, v112, v118
	v_cndmask_b32_e32 v114, v114, v120, vcc_lo
	v_cndmask_b32_e64 v116, v116, s6, vcc_lo
	s_add_i32 s6, s6, 1
	s_delay_alu instid0(SALU_CYCLE_1)
	s_cmp_lg_u32 s5, s6
	s_cbranch_scc1 .LBB54_484
.LBB54_485:
	s_set_inst_prefetch_distance 0x2
	s_waitcnt lgkmcnt(0)
	v_cmp_eq_f64_e32 vcc_lo, 0, v[112:113]
	v_cmp_eq_f64_e64 s2, 0, v[114:115]
	s_delay_alu instid0(VALU_DEP_1) | instskip(NEXT) | instid1(SALU_CYCLE_1)
	s_and_b32 s2, vcc_lo, s2
	s_and_saveexec_b32 s3, s2
	s_delay_alu instid0(SALU_CYCLE_1)
	s_xor_b32 s2, exec_lo, s3
; %bb.486:
	v_cmp_ne_u32_e32 vcc_lo, 0, v232
	v_cndmask_b32_e32 v232, 24, v232, vcc_lo
; %bb.487:
	s_and_not1_saveexec_b32 s3, s2
	s_cbranch_execz .LBB54_493
; %bb.488:
	v_cmp_gt_f64_e32 vcc_lo, 0, v[112:113]
	v_cmp_gt_f64_e64 s2, 0, v[114:115]
	v_xor_b32_e32 v28, 0x80000000, v113
	v_xor_b32_e32 v30, 0x80000000, v115
	s_delay_alu instid0(VALU_DEP_2) | instskip(NEXT) | instid1(VALU_DEP_2)
	v_cndmask_b32_e32 v29, v113, v28, vcc_lo
	v_cndmask_b32_e64 v31, v115, v30, s2
	v_cndmask_b32_e32 v28, v112, v112, vcc_lo
	v_cndmask_b32_e64 v30, v114, v114, s2
	s_mov_b32 s2, exec_lo
	s_delay_alu instid0(VALU_DEP_1)
	v_cmpx_ngt_f64_e32 v[28:29], v[30:31]
	s_xor_b32 s2, exec_lo, s2
	s_cbranch_execz .LBB54_490
; %bb.489:
	v_div_scale_f64 v[28:29], null, v[114:115], v[114:115], v[112:113]
	v_div_scale_f64 v[46:47], vcc_lo, v[112:113], v[114:115], v[112:113]
	s_delay_alu instid0(VALU_DEP_2) | instskip(SKIP_2) | instid1(VALU_DEP_1)
	v_rcp_f64_e32 v[30:31], v[28:29]
	s_waitcnt_depctr 0xfff
	v_fma_f64 v[44:45], -v[28:29], v[30:31], 1.0
	v_fma_f64 v[30:31], v[30:31], v[44:45], v[30:31]
	s_delay_alu instid0(VALU_DEP_1) | instskip(NEXT) | instid1(VALU_DEP_1)
	v_fma_f64 v[44:45], -v[28:29], v[30:31], 1.0
	v_fma_f64 v[30:31], v[30:31], v[44:45], v[30:31]
	s_delay_alu instid0(VALU_DEP_1) | instskip(NEXT) | instid1(VALU_DEP_1)
	v_mul_f64 v[44:45], v[46:47], v[30:31]
	v_fma_f64 v[28:29], -v[28:29], v[44:45], v[46:47]
	s_delay_alu instid0(VALU_DEP_1) | instskip(NEXT) | instid1(VALU_DEP_1)
	v_div_fmas_f64 v[28:29], v[28:29], v[30:31], v[44:45]
	v_div_fixup_f64 v[28:29], v[28:29], v[114:115], v[112:113]
	s_delay_alu instid0(VALU_DEP_1) | instskip(NEXT) | instid1(VALU_DEP_1)
	v_fma_f64 v[30:31], v[112:113], v[28:29], v[114:115]
	v_div_scale_f64 v[44:45], null, v[30:31], v[30:31], 1.0
	s_delay_alu instid0(VALU_DEP_1) | instskip(SKIP_2) | instid1(VALU_DEP_1)
	v_rcp_f64_e32 v[46:47], v[44:45]
	s_waitcnt_depctr 0xfff
	v_fma_f64 v[92:93], -v[44:45], v[46:47], 1.0
	v_fma_f64 v[46:47], v[46:47], v[92:93], v[46:47]
	s_delay_alu instid0(VALU_DEP_1) | instskip(NEXT) | instid1(VALU_DEP_1)
	v_fma_f64 v[92:93], -v[44:45], v[46:47], 1.0
	v_fma_f64 v[46:47], v[46:47], v[92:93], v[46:47]
	v_div_scale_f64 v[92:93], vcc_lo, 1.0, v[30:31], 1.0
	s_delay_alu instid0(VALU_DEP_1) | instskip(NEXT) | instid1(VALU_DEP_1)
	v_mul_f64 v[94:95], v[92:93], v[46:47]
	v_fma_f64 v[44:45], -v[44:45], v[94:95], v[92:93]
	s_delay_alu instid0(VALU_DEP_1) | instskip(NEXT) | instid1(VALU_DEP_1)
	v_div_fmas_f64 v[44:45], v[44:45], v[46:47], v[94:95]
	v_div_fixup_f64 v[114:115], v[44:45], v[30:31], 1.0
	s_delay_alu instid0(VALU_DEP_1)
	v_mul_f64 v[112:113], v[28:29], v[114:115]
	v_xor_b32_e32 v115, 0x80000000, v115
.LBB54_490:
	s_and_not1_saveexec_b32 s2, s2
	s_cbranch_execz .LBB54_492
; %bb.491:
	s_delay_alu instid0(VALU_DEP_1) | instskip(SKIP_1) | instid1(VALU_DEP_2)
	v_div_scale_f64 v[28:29], null, v[112:113], v[112:113], v[114:115]
	v_div_scale_f64 v[46:47], vcc_lo, v[114:115], v[112:113], v[114:115]
	v_rcp_f64_e32 v[30:31], v[28:29]
	s_waitcnt_depctr 0xfff
	v_fma_f64 v[44:45], -v[28:29], v[30:31], 1.0
	s_delay_alu instid0(VALU_DEP_1) | instskip(NEXT) | instid1(VALU_DEP_1)
	v_fma_f64 v[30:31], v[30:31], v[44:45], v[30:31]
	v_fma_f64 v[44:45], -v[28:29], v[30:31], 1.0
	s_delay_alu instid0(VALU_DEP_1) | instskip(NEXT) | instid1(VALU_DEP_1)
	v_fma_f64 v[30:31], v[30:31], v[44:45], v[30:31]
	v_mul_f64 v[44:45], v[46:47], v[30:31]
	s_delay_alu instid0(VALU_DEP_1) | instskip(NEXT) | instid1(VALU_DEP_1)
	v_fma_f64 v[28:29], -v[28:29], v[44:45], v[46:47]
	v_div_fmas_f64 v[28:29], v[28:29], v[30:31], v[44:45]
	s_delay_alu instid0(VALU_DEP_1) | instskip(NEXT) | instid1(VALU_DEP_1)
	v_div_fixup_f64 v[28:29], v[28:29], v[112:113], v[114:115]
	v_fma_f64 v[30:31], v[114:115], v[28:29], v[112:113]
	s_delay_alu instid0(VALU_DEP_1) | instskip(NEXT) | instid1(VALU_DEP_1)
	v_div_scale_f64 v[44:45], null, v[30:31], v[30:31], 1.0
	v_rcp_f64_e32 v[46:47], v[44:45]
	s_waitcnt_depctr 0xfff
	v_fma_f64 v[92:93], -v[44:45], v[46:47], 1.0
	s_delay_alu instid0(VALU_DEP_1) | instskip(NEXT) | instid1(VALU_DEP_1)
	v_fma_f64 v[46:47], v[46:47], v[92:93], v[46:47]
	v_fma_f64 v[92:93], -v[44:45], v[46:47], 1.0
	s_delay_alu instid0(VALU_DEP_1) | instskip(SKIP_1) | instid1(VALU_DEP_1)
	v_fma_f64 v[46:47], v[46:47], v[92:93], v[46:47]
	v_div_scale_f64 v[92:93], vcc_lo, 1.0, v[30:31], 1.0
	v_mul_f64 v[94:95], v[92:93], v[46:47]
	s_delay_alu instid0(VALU_DEP_1) | instskip(NEXT) | instid1(VALU_DEP_1)
	v_fma_f64 v[44:45], -v[44:45], v[94:95], v[92:93]
	v_div_fmas_f64 v[44:45], v[44:45], v[46:47], v[94:95]
	s_delay_alu instid0(VALU_DEP_1) | instskip(NEXT) | instid1(VALU_DEP_1)
	v_div_fixup_f64 v[112:113], v[44:45], v[30:31], 1.0
	v_mul_f64 v[114:115], v[28:29], -v[112:113]
.LBB54_492:
	s_or_b32 exec_lo, exec_lo, s2
.LBB54_493:
	s_delay_alu instid0(SALU_CYCLE_1) | instskip(NEXT) | instid1(SALU_CYCLE_1)
	s_or_b32 exec_lo, exec_lo, s3
	s_mov_b32 s2, exec_lo
	v_cmpx_ne_u32_e64 v140, v116
	s_xor_b32 s2, exec_lo, s2
	s_cbranch_execz .LBB54_499
; %bb.494:
	s_mov_b32 s3, exec_lo
	v_cmpx_eq_u32_e32 23, v140
	s_cbranch_execz .LBB54_498
; %bb.495:
	v_cmp_ne_u32_e32 vcc_lo, 23, v116
	s_xor_b32 s6, s4, -1
	s_delay_alu instid0(SALU_CYCLE_1) | instskip(NEXT) | instid1(SALU_CYCLE_1)
	s_and_b32 s7, s6, vcc_lo
	s_and_saveexec_b32 s6, s7
	s_cbranch_execz .LBB54_497
; %bb.496:
	v_ashrrev_i32_e32 v117, 31, v116
	s_delay_alu instid0(VALU_DEP_1) | instskip(NEXT) | instid1(VALU_DEP_1)
	v_lshlrev_b64 v[28:29], 2, v[116:117]
	v_add_co_u32 v28, vcc_lo, v78, v28
	s_delay_alu instid0(VALU_DEP_2)
	v_add_co_ci_u32_e32 v29, vcc_lo, v79, v29, vcc_lo
	s_clause 0x1
	flat_load_b32 v30, v[28:29]
	flat_load_b32 v31, v[78:79] offset:92
	s_waitcnt vmcnt(1) lgkmcnt(1)
	flat_store_b32 v[78:79], v30 offset:92
	s_waitcnt vmcnt(0) lgkmcnt(1)
	flat_store_b32 v[28:29], v31
.LBB54_497:
	s_or_b32 exec_lo, exec_lo, s6
	v_mov_b32_e32 v140, v116
	v_mov_b32_e32 v231, v116
.LBB54_498:
	s_or_b32 exec_lo, exec_lo, s3
.LBB54_499:
	s_and_not1_saveexec_b32 s2, s2
	s_cbranch_execz .LBB54_501
; %bb.500:
	v_mov_b32_e32 v140, 23
	ds_store_2addr_b64 v138, v[12:13], v[14:15] offset0:48 offset1:49
	ds_store_2addr_b64 v138, v[8:9], v[10:11] offset0:50 offset1:51
	;; [unrolled: 1-line block ×4, first 2 shown]
.LBB54_501:
	s_or_b32 exec_lo, exec_lo, s2
	s_delay_alu instid0(SALU_CYCLE_1)
	s_mov_b32 s2, exec_lo
	s_waitcnt lgkmcnt(0)
	s_waitcnt_vscnt null, 0x0
	s_barrier
	buffer_gl0_inv
	v_cmpx_lt_i32_e32 23, v140
	s_cbranch_execz .LBB54_503
; %bb.502:
	v_mul_f64 v[28:29], v[112:113], v[18:19]
	v_mul_f64 v[18:19], v[114:115], v[18:19]
	s_delay_alu instid0(VALU_DEP_2)
	v_fma_f64 v[28:29], v[114:115], v[16:17], v[28:29]
	ds_load_2addr_b64 v[114:117], v138 offset0:48 offset1:49
	ds_load_2addr_b64 v[118:121], v138 offset0:50 offset1:51
	;; [unrolled: 1-line block ×4, first 2 shown]
	v_fma_f64 v[16:17], v[112:113], v[16:17], -v[18:19]
	s_waitcnt lgkmcnt(3)
	v_mul_f64 v[18:19], v[116:117], v[28:29]
	v_mul_f64 v[30:31], v[114:115], v[28:29]
	s_waitcnt lgkmcnt(2)
	v_mul_f64 v[44:45], v[120:121], v[28:29]
	v_mul_f64 v[46:47], v[118:119], v[28:29]
	;; [unrolled: 3-line block ×4, first 2 shown]
	v_fma_f64 v[18:19], v[114:115], v[16:17], -v[18:19]
	v_fma_f64 v[30:31], v[116:117], v[16:17], v[30:31]
	v_fma_f64 v[44:45], v[118:119], v[16:17], -v[44:45]
	v_fma_f64 v[46:47], v[120:121], v[16:17], v[46:47]
	v_fma_f64 v[92:93], v[122:123], v[16:17], -v[92:93]
	v_fma_f64 v[94:95], v[124:125], v[16:17], v[94:95]
	v_fma_f64 v[96:97], v[126:127], v[16:17], -v[96:97]
	v_fma_f64 v[98:99], v[128:129], v[16:17], v[98:99]
	v_add_f64 v[12:13], v[12:13], -v[18:19]
	v_add_f64 v[14:15], v[14:15], -v[30:31]
	;; [unrolled: 1-line block ×8, first 2 shown]
	v_dual_mov_b32 v18, v28 :: v_dual_mov_b32 v19, v29
.LBB54_503:
	s_or_b32 exec_lo, exec_lo, s2
	v_lshl_add_u32 v28, v140, 4, v138
	s_barrier
	buffer_gl0_inv
	v_mov_b32_e32 v116, 24
	ds_store_2addr_b64 v28, v[12:13], v[14:15] offset1:1
	s_waitcnt lgkmcnt(0)
	s_barrier
	buffer_gl0_inv
	ds_load_2addr_b64 v[112:115], v138 offset0:48 offset1:49
	s_cmp_lt_i32 s5, 26
	s_cbranch_scc1 .LBB54_506
; %bb.504:
	v_add3_u32 v117, v62, 0, 0x190
	v_mov_b32_e32 v116, 24
	s_mov_b32 s6, 25
	s_set_inst_prefetch_distance 0x1
	.p2align	6
.LBB54_505:                             ; =>This Inner Loop Header: Depth=1
	ds_load_2addr_b64 v[118:121], v117 offset1:1
	s_waitcnt lgkmcnt(1)
	v_cmp_gt_f64_e32 vcc_lo, 0, v[112:113]
	v_xor_b32_e32 v28, 0x80000000, v113
	v_cmp_gt_f64_e64 s2, 0, v[114:115]
	v_xor_b32_e32 v30, 0x80000000, v115
	v_add_nc_u32_e32 v117, 16, v117
	s_waitcnt lgkmcnt(0)
	v_cmp_gt_f64_e64 s3, 0, v[118:119]
	v_mov_b32_e32 v44, v118
	v_dual_mov_b32 v46, v120 :: v_dual_cndmask_b32 v29, v113, v28
	v_xor_b32_e32 v28, 0x80000000, v119
	v_cndmask_b32_e64 v31, v115, v30, s2
	v_xor_b32_e32 v30, 0x80000000, v121
	s_delay_alu instid0(VALU_DEP_3) | instskip(SKIP_2) | instid1(VALU_DEP_2)
	v_cndmask_b32_e64 v45, v119, v28, s3
	v_cmp_gt_f64_e64 s3, 0, v[120:121]
	v_cndmask_b32_e32 v28, v112, v112, vcc_lo
	v_cndmask_b32_e64 v47, v121, v30, s3
	v_cndmask_b32_e64 v30, v114, v114, s2
	s_delay_alu instid0(VALU_DEP_2) | instskip(NEXT) | instid1(VALU_DEP_2)
	v_add_f64 v[44:45], v[44:45], v[46:47]
	v_add_f64 v[28:29], v[28:29], v[30:31]
	s_delay_alu instid0(VALU_DEP_1)
	v_cmp_lt_f64_e32 vcc_lo, v[28:29], v[44:45]
	v_cndmask_b32_e32 v115, v115, v121, vcc_lo
	v_dual_cndmask_b32 v113, v113, v119 :: v_dual_cndmask_b32 v112, v112, v118
	v_cndmask_b32_e32 v114, v114, v120, vcc_lo
	v_cndmask_b32_e64 v116, v116, s6, vcc_lo
	s_add_i32 s6, s6, 1
	s_delay_alu instid0(SALU_CYCLE_1)
	s_cmp_lg_u32 s5, s6
	s_cbranch_scc1 .LBB54_505
.LBB54_506:
	s_set_inst_prefetch_distance 0x2
	s_waitcnt lgkmcnt(0)
	v_cmp_eq_f64_e32 vcc_lo, 0, v[112:113]
	v_cmp_eq_f64_e64 s2, 0, v[114:115]
	s_delay_alu instid0(VALU_DEP_1) | instskip(NEXT) | instid1(SALU_CYCLE_1)
	s_and_b32 s2, vcc_lo, s2
	s_and_saveexec_b32 s3, s2
	s_delay_alu instid0(SALU_CYCLE_1)
	s_xor_b32 s2, exec_lo, s3
; %bb.507:
	v_cmp_ne_u32_e32 vcc_lo, 0, v232
	v_cndmask_b32_e32 v232, 25, v232, vcc_lo
; %bb.508:
	s_and_not1_saveexec_b32 s3, s2
	s_cbranch_execz .LBB54_514
; %bb.509:
	v_cmp_gt_f64_e32 vcc_lo, 0, v[112:113]
	v_cmp_gt_f64_e64 s2, 0, v[114:115]
	v_xor_b32_e32 v28, 0x80000000, v113
	v_xor_b32_e32 v30, 0x80000000, v115
	s_delay_alu instid0(VALU_DEP_2) | instskip(NEXT) | instid1(VALU_DEP_2)
	v_cndmask_b32_e32 v29, v113, v28, vcc_lo
	v_cndmask_b32_e64 v31, v115, v30, s2
	v_cndmask_b32_e32 v28, v112, v112, vcc_lo
	v_cndmask_b32_e64 v30, v114, v114, s2
	s_mov_b32 s2, exec_lo
	s_delay_alu instid0(VALU_DEP_1)
	v_cmpx_ngt_f64_e32 v[28:29], v[30:31]
	s_xor_b32 s2, exec_lo, s2
	s_cbranch_execz .LBB54_511
; %bb.510:
	v_div_scale_f64 v[28:29], null, v[114:115], v[114:115], v[112:113]
	v_div_scale_f64 v[46:47], vcc_lo, v[112:113], v[114:115], v[112:113]
	s_delay_alu instid0(VALU_DEP_2) | instskip(SKIP_2) | instid1(VALU_DEP_1)
	v_rcp_f64_e32 v[30:31], v[28:29]
	s_waitcnt_depctr 0xfff
	v_fma_f64 v[44:45], -v[28:29], v[30:31], 1.0
	v_fma_f64 v[30:31], v[30:31], v[44:45], v[30:31]
	s_delay_alu instid0(VALU_DEP_1) | instskip(NEXT) | instid1(VALU_DEP_1)
	v_fma_f64 v[44:45], -v[28:29], v[30:31], 1.0
	v_fma_f64 v[30:31], v[30:31], v[44:45], v[30:31]
	s_delay_alu instid0(VALU_DEP_1) | instskip(NEXT) | instid1(VALU_DEP_1)
	v_mul_f64 v[44:45], v[46:47], v[30:31]
	v_fma_f64 v[28:29], -v[28:29], v[44:45], v[46:47]
	s_delay_alu instid0(VALU_DEP_1) | instskip(NEXT) | instid1(VALU_DEP_1)
	v_div_fmas_f64 v[28:29], v[28:29], v[30:31], v[44:45]
	v_div_fixup_f64 v[28:29], v[28:29], v[114:115], v[112:113]
	s_delay_alu instid0(VALU_DEP_1) | instskip(NEXT) | instid1(VALU_DEP_1)
	v_fma_f64 v[30:31], v[112:113], v[28:29], v[114:115]
	v_div_scale_f64 v[44:45], null, v[30:31], v[30:31], 1.0
	s_delay_alu instid0(VALU_DEP_1) | instskip(SKIP_2) | instid1(VALU_DEP_1)
	v_rcp_f64_e32 v[46:47], v[44:45]
	s_waitcnt_depctr 0xfff
	v_fma_f64 v[92:93], -v[44:45], v[46:47], 1.0
	v_fma_f64 v[46:47], v[46:47], v[92:93], v[46:47]
	s_delay_alu instid0(VALU_DEP_1) | instskip(NEXT) | instid1(VALU_DEP_1)
	v_fma_f64 v[92:93], -v[44:45], v[46:47], 1.0
	v_fma_f64 v[46:47], v[46:47], v[92:93], v[46:47]
	v_div_scale_f64 v[92:93], vcc_lo, 1.0, v[30:31], 1.0
	s_delay_alu instid0(VALU_DEP_1) | instskip(NEXT) | instid1(VALU_DEP_1)
	v_mul_f64 v[94:95], v[92:93], v[46:47]
	v_fma_f64 v[44:45], -v[44:45], v[94:95], v[92:93]
	s_delay_alu instid0(VALU_DEP_1) | instskip(NEXT) | instid1(VALU_DEP_1)
	v_div_fmas_f64 v[44:45], v[44:45], v[46:47], v[94:95]
	v_div_fixup_f64 v[114:115], v[44:45], v[30:31], 1.0
	s_delay_alu instid0(VALU_DEP_1)
	v_mul_f64 v[112:113], v[28:29], v[114:115]
	v_xor_b32_e32 v115, 0x80000000, v115
.LBB54_511:
	s_and_not1_saveexec_b32 s2, s2
	s_cbranch_execz .LBB54_513
; %bb.512:
	s_delay_alu instid0(VALU_DEP_1) | instskip(SKIP_1) | instid1(VALU_DEP_2)
	v_div_scale_f64 v[28:29], null, v[112:113], v[112:113], v[114:115]
	v_div_scale_f64 v[46:47], vcc_lo, v[114:115], v[112:113], v[114:115]
	v_rcp_f64_e32 v[30:31], v[28:29]
	s_waitcnt_depctr 0xfff
	v_fma_f64 v[44:45], -v[28:29], v[30:31], 1.0
	s_delay_alu instid0(VALU_DEP_1) | instskip(NEXT) | instid1(VALU_DEP_1)
	v_fma_f64 v[30:31], v[30:31], v[44:45], v[30:31]
	v_fma_f64 v[44:45], -v[28:29], v[30:31], 1.0
	s_delay_alu instid0(VALU_DEP_1) | instskip(NEXT) | instid1(VALU_DEP_1)
	v_fma_f64 v[30:31], v[30:31], v[44:45], v[30:31]
	v_mul_f64 v[44:45], v[46:47], v[30:31]
	s_delay_alu instid0(VALU_DEP_1) | instskip(NEXT) | instid1(VALU_DEP_1)
	v_fma_f64 v[28:29], -v[28:29], v[44:45], v[46:47]
	v_div_fmas_f64 v[28:29], v[28:29], v[30:31], v[44:45]
	s_delay_alu instid0(VALU_DEP_1) | instskip(NEXT) | instid1(VALU_DEP_1)
	v_div_fixup_f64 v[28:29], v[28:29], v[112:113], v[114:115]
	v_fma_f64 v[30:31], v[114:115], v[28:29], v[112:113]
	s_delay_alu instid0(VALU_DEP_1) | instskip(NEXT) | instid1(VALU_DEP_1)
	v_div_scale_f64 v[44:45], null, v[30:31], v[30:31], 1.0
	v_rcp_f64_e32 v[46:47], v[44:45]
	s_waitcnt_depctr 0xfff
	v_fma_f64 v[92:93], -v[44:45], v[46:47], 1.0
	s_delay_alu instid0(VALU_DEP_1) | instskip(NEXT) | instid1(VALU_DEP_1)
	v_fma_f64 v[46:47], v[46:47], v[92:93], v[46:47]
	v_fma_f64 v[92:93], -v[44:45], v[46:47], 1.0
	s_delay_alu instid0(VALU_DEP_1) | instskip(SKIP_1) | instid1(VALU_DEP_1)
	v_fma_f64 v[46:47], v[46:47], v[92:93], v[46:47]
	v_div_scale_f64 v[92:93], vcc_lo, 1.0, v[30:31], 1.0
	v_mul_f64 v[94:95], v[92:93], v[46:47]
	s_delay_alu instid0(VALU_DEP_1) | instskip(NEXT) | instid1(VALU_DEP_1)
	v_fma_f64 v[44:45], -v[44:45], v[94:95], v[92:93]
	v_div_fmas_f64 v[44:45], v[44:45], v[46:47], v[94:95]
	s_delay_alu instid0(VALU_DEP_1) | instskip(NEXT) | instid1(VALU_DEP_1)
	v_div_fixup_f64 v[112:113], v[44:45], v[30:31], 1.0
	v_mul_f64 v[114:115], v[28:29], -v[112:113]
.LBB54_513:
	s_or_b32 exec_lo, exec_lo, s2
.LBB54_514:
	s_delay_alu instid0(SALU_CYCLE_1) | instskip(NEXT) | instid1(SALU_CYCLE_1)
	s_or_b32 exec_lo, exec_lo, s3
	s_mov_b32 s2, exec_lo
	v_cmpx_ne_u32_e64 v140, v116
	s_xor_b32 s2, exec_lo, s2
	s_cbranch_execz .LBB54_520
; %bb.515:
	s_mov_b32 s3, exec_lo
	v_cmpx_eq_u32_e32 24, v140
	s_cbranch_execz .LBB54_519
; %bb.516:
	v_cmp_ne_u32_e32 vcc_lo, 24, v116
	s_xor_b32 s6, s4, -1
	s_delay_alu instid0(SALU_CYCLE_1) | instskip(NEXT) | instid1(SALU_CYCLE_1)
	s_and_b32 s7, s6, vcc_lo
	s_and_saveexec_b32 s6, s7
	s_cbranch_execz .LBB54_518
; %bb.517:
	v_ashrrev_i32_e32 v117, 31, v116
	s_delay_alu instid0(VALU_DEP_1) | instskip(NEXT) | instid1(VALU_DEP_1)
	v_lshlrev_b64 v[28:29], 2, v[116:117]
	v_add_co_u32 v28, vcc_lo, v78, v28
	s_delay_alu instid0(VALU_DEP_2)
	v_add_co_ci_u32_e32 v29, vcc_lo, v79, v29, vcc_lo
	s_clause 0x1
	flat_load_b32 v30, v[28:29]
	flat_load_b32 v31, v[78:79] offset:96
	s_waitcnt vmcnt(1) lgkmcnt(1)
	flat_store_b32 v[78:79], v30 offset:96
	s_waitcnt vmcnt(0) lgkmcnt(1)
	flat_store_b32 v[28:29], v31
.LBB54_518:
	s_or_b32 exec_lo, exec_lo, s6
	v_mov_b32_e32 v140, v116
	v_mov_b32_e32 v231, v116
.LBB54_519:
	s_or_b32 exec_lo, exec_lo, s3
.LBB54_520:
	s_and_not1_saveexec_b32 s2, s2
	s_cbranch_execz .LBB54_522
; %bb.521:
	v_mov_b32_e32 v140, 24
	ds_store_2addr_b64 v138, v[8:9], v[10:11] offset0:50 offset1:51
	ds_store_2addr_b64 v138, v[4:5], v[6:7] offset0:52 offset1:53
	;; [unrolled: 1-line block ×3, first 2 shown]
.LBB54_522:
	s_or_b32 exec_lo, exec_lo, s2
	s_delay_alu instid0(SALU_CYCLE_1)
	s_mov_b32 s2, exec_lo
	s_waitcnt lgkmcnt(0)
	s_waitcnt_vscnt null, 0x0
	s_barrier
	buffer_gl0_inv
	v_cmpx_lt_i32_e32 24, v140
	s_cbranch_execz .LBB54_524
; %bb.523:
	v_mul_f64 v[28:29], v[112:113], v[14:15]
	v_mul_f64 v[14:15], v[114:115], v[14:15]
	s_delay_alu instid0(VALU_DEP_2)
	v_fma_f64 v[28:29], v[114:115], v[12:13], v[28:29]
	ds_load_2addr_b64 v[114:117], v138 offset0:50 offset1:51
	ds_load_2addr_b64 v[118:121], v138 offset0:52 offset1:53
	;; [unrolled: 1-line block ×3, first 2 shown]
	v_fma_f64 v[12:13], v[112:113], v[12:13], -v[14:15]
	s_waitcnt lgkmcnt(2)
	v_mul_f64 v[14:15], v[116:117], v[28:29]
	v_mul_f64 v[30:31], v[114:115], v[28:29]
	s_waitcnt lgkmcnt(1)
	v_mul_f64 v[44:45], v[120:121], v[28:29]
	v_mul_f64 v[46:47], v[118:119], v[28:29]
	;; [unrolled: 3-line block ×3, first 2 shown]
	v_fma_f64 v[14:15], v[114:115], v[12:13], -v[14:15]
	v_fma_f64 v[30:31], v[116:117], v[12:13], v[30:31]
	v_fma_f64 v[44:45], v[118:119], v[12:13], -v[44:45]
	v_fma_f64 v[46:47], v[120:121], v[12:13], v[46:47]
	;; [unrolled: 2-line block ×3, first 2 shown]
	v_add_f64 v[8:9], v[8:9], -v[14:15]
	v_add_f64 v[10:11], v[10:11], -v[30:31]
	;; [unrolled: 1-line block ×6, first 2 shown]
	v_dual_mov_b32 v14, v28 :: v_dual_mov_b32 v15, v29
.LBB54_524:
	s_or_b32 exec_lo, exec_lo, s2
	v_lshl_add_u32 v28, v140, 4, v138
	s_barrier
	buffer_gl0_inv
	v_mov_b32_e32 v116, 25
	ds_store_2addr_b64 v28, v[8:9], v[10:11] offset1:1
	s_waitcnt lgkmcnt(0)
	s_barrier
	buffer_gl0_inv
	ds_load_2addr_b64 v[112:115], v138 offset0:50 offset1:51
	s_cmp_lt_i32 s5, 27
	s_cbranch_scc1 .LBB54_527
; %bb.525:
	v_add3_u32 v117, v62, 0, 0x1a0
	v_mov_b32_e32 v116, 25
	s_mov_b32 s6, 26
	s_set_inst_prefetch_distance 0x1
	.p2align	6
.LBB54_526:                             ; =>This Inner Loop Header: Depth=1
	ds_load_2addr_b64 v[118:121], v117 offset1:1
	s_waitcnt lgkmcnt(1)
	v_cmp_gt_f64_e32 vcc_lo, 0, v[112:113]
	v_xor_b32_e32 v28, 0x80000000, v113
	v_cmp_gt_f64_e64 s2, 0, v[114:115]
	v_xor_b32_e32 v30, 0x80000000, v115
	v_add_nc_u32_e32 v117, 16, v117
	s_waitcnt lgkmcnt(0)
	v_cmp_gt_f64_e64 s3, 0, v[118:119]
	v_mov_b32_e32 v44, v118
	v_dual_mov_b32 v46, v120 :: v_dual_cndmask_b32 v29, v113, v28
	v_xor_b32_e32 v28, 0x80000000, v119
	v_cndmask_b32_e64 v31, v115, v30, s2
	v_xor_b32_e32 v30, 0x80000000, v121
	s_delay_alu instid0(VALU_DEP_3) | instskip(SKIP_2) | instid1(VALU_DEP_2)
	v_cndmask_b32_e64 v45, v119, v28, s3
	v_cmp_gt_f64_e64 s3, 0, v[120:121]
	v_cndmask_b32_e32 v28, v112, v112, vcc_lo
	v_cndmask_b32_e64 v47, v121, v30, s3
	v_cndmask_b32_e64 v30, v114, v114, s2
	s_delay_alu instid0(VALU_DEP_2) | instskip(NEXT) | instid1(VALU_DEP_2)
	v_add_f64 v[44:45], v[44:45], v[46:47]
	v_add_f64 v[28:29], v[28:29], v[30:31]
	s_delay_alu instid0(VALU_DEP_1)
	v_cmp_lt_f64_e32 vcc_lo, v[28:29], v[44:45]
	v_cndmask_b32_e32 v115, v115, v121, vcc_lo
	v_dual_cndmask_b32 v113, v113, v119 :: v_dual_cndmask_b32 v112, v112, v118
	v_cndmask_b32_e32 v114, v114, v120, vcc_lo
	v_cndmask_b32_e64 v116, v116, s6, vcc_lo
	s_add_i32 s6, s6, 1
	s_delay_alu instid0(SALU_CYCLE_1)
	s_cmp_lg_u32 s5, s6
	s_cbranch_scc1 .LBB54_526
.LBB54_527:
	s_set_inst_prefetch_distance 0x2
	s_waitcnt lgkmcnt(0)
	v_cmp_eq_f64_e32 vcc_lo, 0, v[112:113]
	v_cmp_eq_f64_e64 s2, 0, v[114:115]
	s_delay_alu instid0(VALU_DEP_1) | instskip(NEXT) | instid1(SALU_CYCLE_1)
	s_and_b32 s2, vcc_lo, s2
	s_and_saveexec_b32 s3, s2
	s_delay_alu instid0(SALU_CYCLE_1)
	s_xor_b32 s2, exec_lo, s3
; %bb.528:
	v_cmp_ne_u32_e32 vcc_lo, 0, v232
	v_cndmask_b32_e32 v232, 26, v232, vcc_lo
; %bb.529:
	s_and_not1_saveexec_b32 s3, s2
	s_cbranch_execz .LBB54_535
; %bb.530:
	v_cmp_gt_f64_e32 vcc_lo, 0, v[112:113]
	v_cmp_gt_f64_e64 s2, 0, v[114:115]
	v_xor_b32_e32 v28, 0x80000000, v113
	v_xor_b32_e32 v30, 0x80000000, v115
	s_delay_alu instid0(VALU_DEP_2) | instskip(NEXT) | instid1(VALU_DEP_2)
	v_cndmask_b32_e32 v29, v113, v28, vcc_lo
	v_cndmask_b32_e64 v31, v115, v30, s2
	v_cndmask_b32_e32 v28, v112, v112, vcc_lo
	v_cndmask_b32_e64 v30, v114, v114, s2
	s_mov_b32 s2, exec_lo
	s_delay_alu instid0(VALU_DEP_1)
	v_cmpx_ngt_f64_e32 v[28:29], v[30:31]
	s_xor_b32 s2, exec_lo, s2
	s_cbranch_execz .LBB54_532
; %bb.531:
	v_div_scale_f64 v[28:29], null, v[114:115], v[114:115], v[112:113]
	v_div_scale_f64 v[46:47], vcc_lo, v[112:113], v[114:115], v[112:113]
	s_delay_alu instid0(VALU_DEP_2) | instskip(SKIP_2) | instid1(VALU_DEP_1)
	v_rcp_f64_e32 v[30:31], v[28:29]
	s_waitcnt_depctr 0xfff
	v_fma_f64 v[44:45], -v[28:29], v[30:31], 1.0
	v_fma_f64 v[30:31], v[30:31], v[44:45], v[30:31]
	s_delay_alu instid0(VALU_DEP_1) | instskip(NEXT) | instid1(VALU_DEP_1)
	v_fma_f64 v[44:45], -v[28:29], v[30:31], 1.0
	v_fma_f64 v[30:31], v[30:31], v[44:45], v[30:31]
	s_delay_alu instid0(VALU_DEP_1) | instskip(NEXT) | instid1(VALU_DEP_1)
	v_mul_f64 v[44:45], v[46:47], v[30:31]
	v_fma_f64 v[28:29], -v[28:29], v[44:45], v[46:47]
	s_delay_alu instid0(VALU_DEP_1) | instskip(NEXT) | instid1(VALU_DEP_1)
	v_div_fmas_f64 v[28:29], v[28:29], v[30:31], v[44:45]
	v_div_fixup_f64 v[28:29], v[28:29], v[114:115], v[112:113]
	s_delay_alu instid0(VALU_DEP_1) | instskip(NEXT) | instid1(VALU_DEP_1)
	v_fma_f64 v[30:31], v[112:113], v[28:29], v[114:115]
	v_div_scale_f64 v[44:45], null, v[30:31], v[30:31], 1.0
	s_delay_alu instid0(VALU_DEP_1) | instskip(SKIP_2) | instid1(VALU_DEP_1)
	v_rcp_f64_e32 v[46:47], v[44:45]
	s_waitcnt_depctr 0xfff
	v_fma_f64 v[92:93], -v[44:45], v[46:47], 1.0
	v_fma_f64 v[46:47], v[46:47], v[92:93], v[46:47]
	s_delay_alu instid0(VALU_DEP_1) | instskip(NEXT) | instid1(VALU_DEP_1)
	v_fma_f64 v[92:93], -v[44:45], v[46:47], 1.0
	v_fma_f64 v[46:47], v[46:47], v[92:93], v[46:47]
	v_div_scale_f64 v[92:93], vcc_lo, 1.0, v[30:31], 1.0
	s_delay_alu instid0(VALU_DEP_1) | instskip(NEXT) | instid1(VALU_DEP_1)
	v_mul_f64 v[94:95], v[92:93], v[46:47]
	v_fma_f64 v[44:45], -v[44:45], v[94:95], v[92:93]
	s_delay_alu instid0(VALU_DEP_1) | instskip(NEXT) | instid1(VALU_DEP_1)
	v_div_fmas_f64 v[44:45], v[44:45], v[46:47], v[94:95]
	v_div_fixup_f64 v[114:115], v[44:45], v[30:31], 1.0
	s_delay_alu instid0(VALU_DEP_1)
	v_mul_f64 v[112:113], v[28:29], v[114:115]
	v_xor_b32_e32 v115, 0x80000000, v115
.LBB54_532:
	s_and_not1_saveexec_b32 s2, s2
	s_cbranch_execz .LBB54_534
; %bb.533:
	s_delay_alu instid0(VALU_DEP_1) | instskip(SKIP_1) | instid1(VALU_DEP_2)
	v_div_scale_f64 v[28:29], null, v[112:113], v[112:113], v[114:115]
	v_div_scale_f64 v[46:47], vcc_lo, v[114:115], v[112:113], v[114:115]
	v_rcp_f64_e32 v[30:31], v[28:29]
	s_waitcnt_depctr 0xfff
	v_fma_f64 v[44:45], -v[28:29], v[30:31], 1.0
	s_delay_alu instid0(VALU_DEP_1) | instskip(NEXT) | instid1(VALU_DEP_1)
	v_fma_f64 v[30:31], v[30:31], v[44:45], v[30:31]
	v_fma_f64 v[44:45], -v[28:29], v[30:31], 1.0
	s_delay_alu instid0(VALU_DEP_1) | instskip(NEXT) | instid1(VALU_DEP_1)
	v_fma_f64 v[30:31], v[30:31], v[44:45], v[30:31]
	v_mul_f64 v[44:45], v[46:47], v[30:31]
	s_delay_alu instid0(VALU_DEP_1) | instskip(NEXT) | instid1(VALU_DEP_1)
	v_fma_f64 v[28:29], -v[28:29], v[44:45], v[46:47]
	v_div_fmas_f64 v[28:29], v[28:29], v[30:31], v[44:45]
	s_delay_alu instid0(VALU_DEP_1) | instskip(NEXT) | instid1(VALU_DEP_1)
	v_div_fixup_f64 v[28:29], v[28:29], v[112:113], v[114:115]
	v_fma_f64 v[30:31], v[114:115], v[28:29], v[112:113]
	s_delay_alu instid0(VALU_DEP_1) | instskip(NEXT) | instid1(VALU_DEP_1)
	v_div_scale_f64 v[44:45], null, v[30:31], v[30:31], 1.0
	v_rcp_f64_e32 v[46:47], v[44:45]
	s_waitcnt_depctr 0xfff
	v_fma_f64 v[92:93], -v[44:45], v[46:47], 1.0
	s_delay_alu instid0(VALU_DEP_1) | instskip(NEXT) | instid1(VALU_DEP_1)
	v_fma_f64 v[46:47], v[46:47], v[92:93], v[46:47]
	v_fma_f64 v[92:93], -v[44:45], v[46:47], 1.0
	s_delay_alu instid0(VALU_DEP_1) | instskip(SKIP_1) | instid1(VALU_DEP_1)
	v_fma_f64 v[46:47], v[46:47], v[92:93], v[46:47]
	v_div_scale_f64 v[92:93], vcc_lo, 1.0, v[30:31], 1.0
	v_mul_f64 v[94:95], v[92:93], v[46:47]
	s_delay_alu instid0(VALU_DEP_1) | instskip(NEXT) | instid1(VALU_DEP_1)
	v_fma_f64 v[44:45], -v[44:45], v[94:95], v[92:93]
	v_div_fmas_f64 v[44:45], v[44:45], v[46:47], v[94:95]
	s_delay_alu instid0(VALU_DEP_1) | instskip(NEXT) | instid1(VALU_DEP_1)
	v_div_fixup_f64 v[112:113], v[44:45], v[30:31], 1.0
	v_mul_f64 v[114:115], v[28:29], -v[112:113]
.LBB54_534:
	s_or_b32 exec_lo, exec_lo, s2
.LBB54_535:
	s_delay_alu instid0(SALU_CYCLE_1) | instskip(NEXT) | instid1(SALU_CYCLE_1)
	s_or_b32 exec_lo, exec_lo, s3
	s_mov_b32 s2, exec_lo
	v_cmpx_ne_u32_e64 v140, v116
	s_xor_b32 s2, exec_lo, s2
	s_cbranch_execz .LBB54_541
; %bb.536:
	s_mov_b32 s3, exec_lo
	v_cmpx_eq_u32_e32 25, v140
	s_cbranch_execz .LBB54_540
; %bb.537:
	v_cmp_ne_u32_e32 vcc_lo, 25, v116
	s_xor_b32 s6, s4, -1
	s_delay_alu instid0(SALU_CYCLE_1) | instskip(NEXT) | instid1(SALU_CYCLE_1)
	s_and_b32 s7, s6, vcc_lo
	s_and_saveexec_b32 s6, s7
	s_cbranch_execz .LBB54_539
; %bb.538:
	v_ashrrev_i32_e32 v117, 31, v116
	s_delay_alu instid0(VALU_DEP_1) | instskip(NEXT) | instid1(VALU_DEP_1)
	v_lshlrev_b64 v[28:29], 2, v[116:117]
	v_add_co_u32 v28, vcc_lo, v78, v28
	s_delay_alu instid0(VALU_DEP_2)
	v_add_co_ci_u32_e32 v29, vcc_lo, v79, v29, vcc_lo
	s_clause 0x1
	flat_load_b32 v30, v[28:29]
	flat_load_b32 v31, v[78:79] offset:100
	s_waitcnt vmcnt(1) lgkmcnt(1)
	flat_store_b32 v[78:79], v30 offset:100
	s_waitcnt vmcnt(0) lgkmcnt(1)
	flat_store_b32 v[28:29], v31
.LBB54_539:
	s_or_b32 exec_lo, exec_lo, s6
	v_mov_b32_e32 v140, v116
	v_mov_b32_e32 v231, v116
.LBB54_540:
	s_or_b32 exec_lo, exec_lo, s3
.LBB54_541:
	s_and_not1_saveexec_b32 s2, s2
	s_cbranch_execz .LBB54_543
; %bb.542:
	v_mov_b32_e32 v140, 25
	ds_store_2addr_b64 v138, v[4:5], v[6:7] offset0:52 offset1:53
	ds_store_2addr_b64 v138, v[134:135], v[136:137] offset0:54 offset1:55
.LBB54_543:
	s_or_b32 exec_lo, exec_lo, s2
	s_delay_alu instid0(SALU_CYCLE_1)
	s_mov_b32 s2, exec_lo
	s_waitcnt lgkmcnt(0)
	s_waitcnt_vscnt null, 0x0
	s_barrier
	buffer_gl0_inv
	v_cmpx_lt_i32_e32 25, v140
	s_cbranch_execz .LBB54_545
; %bb.544:
	v_mul_f64 v[28:29], v[112:113], v[10:11]
	v_mul_f64 v[10:11], v[114:115], v[10:11]
	s_delay_alu instid0(VALU_DEP_2)
	v_fma_f64 v[28:29], v[114:115], v[8:9], v[28:29]
	ds_load_2addr_b64 v[114:117], v138 offset0:52 offset1:53
	ds_load_2addr_b64 v[118:121], v138 offset0:54 offset1:55
	v_fma_f64 v[8:9], v[112:113], v[8:9], -v[10:11]
	s_waitcnt lgkmcnt(1)
	v_mul_f64 v[10:11], v[116:117], v[28:29]
	v_mul_f64 v[30:31], v[114:115], v[28:29]
	s_waitcnt lgkmcnt(0)
	v_mul_f64 v[44:45], v[120:121], v[28:29]
	v_mul_f64 v[46:47], v[118:119], v[28:29]
	s_delay_alu instid0(VALU_DEP_4) | instskip(NEXT) | instid1(VALU_DEP_4)
	v_fma_f64 v[10:11], v[114:115], v[8:9], -v[10:11]
	v_fma_f64 v[30:31], v[116:117], v[8:9], v[30:31]
	s_delay_alu instid0(VALU_DEP_4) | instskip(NEXT) | instid1(VALU_DEP_4)
	v_fma_f64 v[44:45], v[118:119], v[8:9], -v[44:45]
	v_fma_f64 v[46:47], v[120:121], v[8:9], v[46:47]
	s_delay_alu instid0(VALU_DEP_4) | instskip(NEXT) | instid1(VALU_DEP_4)
	v_add_f64 v[4:5], v[4:5], -v[10:11]
	v_add_f64 v[6:7], v[6:7], -v[30:31]
	s_delay_alu instid0(VALU_DEP_4) | instskip(NEXT) | instid1(VALU_DEP_4)
	v_add_f64 v[134:135], v[134:135], -v[44:45]
	v_add_f64 v[136:137], v[136:137], -v[46:47]
	v_dual_mov_b32 v10, v28 :: v_dual_mov_b32 v11, v29
.LBB54_545:
	s_or_b32 exec_lo, exec_lo, s2
	v_lshl_add_u32 v28, v140, 4, v138
	s_barrier
	buffer_gl0_inv
	v_mov_b32_e32 v116, 26
	ds_store_2addr_b64 v28, v[4:5], v[6:7] offset1:1
	s_waitcnt lgkmcnt(0)
	s_barrier
	buffer_gl0_inv
	ds_load_2addr_b64 v[112:115], v138 offset0:52 offset1:53
	s_cmp_lt_i32 s5, 28
	s_cbranch_scc1 .LBB54_548
; %bb.546:
	v_add3_u32 v117, v62, 0, 0x1b0
	v_mov_b32_e32 v116, 26
	s_mov_b32 s6, 27
	s_set_inst_prefetch_distance 0x1
	.p2align	6
.LBB54_547:                             ; =>This Inner Loop Header: Depth=1
	ds_load_2addr_b64 v[118:121], v117 offset1:1
	s_waitcnt lgkmcnt(1)
	v_cmp_gt_f64_e32 vcc_lo, 0, v[112:113]
	v_xor_b32_e32 v28, 0x80000000, v113
	v_cmp_gt_f64_e64 s2, 0, v[114:115]
	v_xor_b32_e32 v30, 0x80000000, v115
	v_add_nc_u32_e32 v117, 16, v117
	s_waitcnt lgkmcnt(0)
	v_cmp_gt_f64_e64 s3, 0, v[118:119]
	v_mov_b32_e32 v44, v118
	v_dual_mov_b32 v46, v120 :: v_dual_cndmask_b32 v29, v113, v28
	v_xor_b32_e32 v28, 0x80000000, v119
	v_cndmask_b32_e64 v31, v115, v30, s2
	v_xor_b32_e32 v30, 0x80000000, v121
	s_delay_alu instid0(VALU_DEP_3) | instskip(SKIP_2) | instid1(VALU_DEP_2)
	v_cndmask_b32_e64 v45, v119, v28, s3
	v_cmp_gt_f64_e64 s3, 0, v[120:121]
	v_cndmask_b32_e32 v28, v112, v112, vcc_lo
	v_cndmask_b32_e64 v47, v121, v30, s3
	v_cndmask_b32_e64 v30, v114, v114, s2
	s_delay_alu instid0(VALU_DEP_2) | instskip(NEXT) | instid1(VALU_DEP_2)
	v_add_f64 v[44:45], v[44:45], v[46:47]
	v_add_f64 v[28:29], v[28:29], v[30:31]
	s_delay_alu instid0(VALU_DEP_1)
	v_cmp_lt_f64_e32 vcc_lo, v[28:29], v[44:45]
	v_cndmask_b32_e32 v115, v115, v121, vcc_lo
	v_dual_cndmask_b32 v113, v113, v119 :: v_dual_cndmask_b32 v112, v112, v118
	v_cndmask_b32_e32 v114, v114, v120, vcc_lo
	v_cndmask_b32_e64 v116, v116, s6, vcc_lo
	s_add_i32 s6, s6, 1
	s_delay_alu instid0(SALU_CYCLE_1)
	s_cmp_lg_u32 s5, s6
	s_cbranch_scc1 .LBB54_547
.LBB54_548:
	s_set_inst_prefetch_distance 0x2
	s_waitcnt lgkmcnt(0)
	v_cmp_eq_f64_e32 vcc_lo, 0, v[112:113]
	v_cmp_eq_f64_e64 s2, 0, v[114:115]
	s_delay_alu instid0(VALU_DEP_1) | instskip(NEXT) | instid1(SALU_CYCLE_1)
	s_and_b32 s2, vcc_lo, s2
	s_and_saveexec_b32 s3, s2
	s_delay_alu instid0(SALU_CYCLE_1)
	s_xor_b32 s2, exec_lo, s3
; %bb.549:
	v_cmp_ne_u32_e32 vcc_lo, 0, v232
	v_cndmask_b32_e32 v232, 27, v232, vcc_lo
; %bb.550:
	s_and_not1_saveexec_b32 s3, s2
	s_cbranch_execz .LBB54_556
; %bb.551:
	v_cmp_gt_f64_e32 vcc_lo, 0, v[112:113]
	v_cmp_gt_f64_e64 s2, 0, v[114:115]
	v_xor_b32_e32 v28, 0x80000000, v113
	v_xor_b32_e32 v30, 0x80000000, v115
	s_delay_alu instid0(VALU_DEP_2) | instskip(NEXT) | instid1(VALU_DEP_2)
	v_cndmask_b32_e32 v29, v113, v28, vcc_lo
	v_cndmask_b32_e64 v31, v115, v30, s2
	v_cndmask_b32_e32 v28, v112, v112, vcc_lo
	v_cndmask_b32_e64 v30, v114, v114, s2
	s_mov_b32 s2, exec_lo
	s_delay_alu instid0(VALU_DEP_1)
	v_cmpx_ngt_f64_e32 v[28:29], v[30:31]
	s_xor_b32 s2, exec_lo, s2
	s_cbranch_execz .LBB54_553
; %bb.552:
	v_div_scale_f64 v[28:29], null, v[114:115], v[114:115], v[112:113]
	v_div_scale_f64 v[46:47], vcc_lo, v[112:113], v[114:115], v[112:113]
	s_delay_alu instid0(VALU_DEP_2) | instskip(SKIP_2) | instid1(VALU_DEP_1)
	v_rcp_f64_e32 v[30:31], v[28:29]
	s_waitcnt_depctr 0xfff
	v_fma_f64 v[44:45], -v[28:29], v[30:31], 1.0
	v_fma_f64 v[30:31], v[30:31], v[44:45], v[30:31]
	s_delay_alu instid0(VALU_DEP_1) | instskip(NEXT) | instid1(VALU_DEP_1)
	v_fma_f64 v[44:45], -v[28:29], v[30:31], 1.0
	v_fma_f64 v[30:31], v[30:31], v[44:45], v[30:31]
	s_delay_alu instid0(VALU_DEP_1) | instskip(NEXT) | instid1(VALU_DEP_1)
	v_mul_f64 v[44:45], v[46:47], v[30:31]
	v_fma_f64 v[28:29], -v[28:29], v[44:45], v[46:47]
	s_delay_alu instid0(VALU_DEP_1) | instskip(NEXT) | instid1(VALU_DEP_1)
	v_div_fmas_f64 v[28:29], v[28:29], v[30:31], v[44:45]
	v_div_fixup_f64 v[28:29], v[28:29], v[114:115], v[112:113]
	s_delay_alu instid0(VALU_DEP_1) | instskip(NEXT) | instid1(VALU_DEP_1)
	v_fma_f64 v[30:31], v[112:113], v[28:29], v[114:115]
	v_div_scale_f64 v[44:45], null, v[30:31], v[30:31], 1.0
	s_delay_alu instid0(VALU_DEP_1) | instskip(SKIP_2) | instid1(VALU_DEP_1)
	v_rcp_f64_e32 v[46:47], v[44:45]
	s_waitcnt_depctr 0xfff
	v_fma_f64 v[92:93], -v[44:45], v[46:47], 1.0
	v_fma_f64 v[46:47], v[46:47], v[92:93], v[46:47]
	s_delay_alu instid0(VALU_DEP_1) | instskip(NEXT) | instid1(VALU_DEP_1)
	v_fma_f64 v[92:93], -v[44:45], v[46:47], 1.0
	v_fma_f64 v[46:47], v[46:47], v[92:93], v[46:47]
	v_div_scale_f64 v[92:93], vcc_lo, 1.0, v[30:31], 1.0
	s_delay_alu instid0(VALU_DEP_1) | instskip(NEXT) | instid1(VALU_DEP_1)
	v_mul_f64 v[94:95], v[92:93], v[46:47]
	v_fma_f64 v[44:45], -v[44:45], v[94:95], v[92:93]
	s_delay_alu instid0(VALU_DEP_1) | instskip(NEXT) | instid1(VALU_DEP_1)
	v_div_fmas_f64 v[44:45], v[44:45], v[46:47], v[94:95]
	v_div_fixup_f64 v[114:115], v[44:45], v[30:31], 1.0
	s_delay_alu instid0(VALU_DEP_1)
	v_mul_f64 v[112:113], v[28:29], v[114:115]
	v_xor_b32_e32 v115, 0x80000000, v115
.LBB54_553:
	s_and_not1_saveexec_b32 s2, s2
	s_cbranch_execz .LBB54_555
; %bb.554:
	s_delay_alu instid0(VALU_DEP_1) | instskip(SKIP_1) | instid1(VALU_DEP_2)
	v_div_scale_f64 v[28:29], null, v[112:113], v[112:113], v[114:115]
	v_div_scale_f64 v[46:47], vcc_lo, v[114:115], v[112:113], v[114:115]
	v_rcp_f64_e32 v[30:31], v[28:29]
	s_waitcnt_depctr 0xfff
	v_fma_f64 v[44:45], -v[28:29], v[30:31], 1.0
	s_delay_alu instid0(VALU_DEP_1) | instskip(NEXT) | instid1(VALU_DEP_1)
	v_fma_f64 v[30:31], v[30:31], v[44:45], v[30:31]
	v_fma_f64 v[44:45], -v[28:29], v[30:31], 1.0
	s_delay_alu instid0(VALU_DEP_1) | instskip(NEXT) | instid1(VALU_DEP_1)
	v_fma_f64 v[30:31], v[30:31], v[44:45], v[30:31]
	v_mul_f64 v[44:45], v[46:47], v[30:31]
	s_delay_alu instid0(VALU_DEP_1) | instskip(NEXT) | instid1(VALU_DEP_1)
	v_fma_f64 v[28:29], -v[28:29], v[44:45], v[46:47]
	v_div_fmas_f64 v[28:29], v[28:29], v[30:31], v[44:45]
	s_delay_alu instid0(VALU_DEP_1) | instskip(NEXT) | instid1(VALU_DEP_1)
	v_div_fixup_f64 v[28:29], v[28:29], v[112:113], v[114:115]
	v_fma_f64 v[30:31], v[114:115], v[28:29], v[112:113]
	s_delay_alu instid0(VALU_DEP_1) | instskip(NEXT) | instid1(VALU_DEP_1)
	v_div_scale_f64 v[44:45], null, v[30:31], v[30:31], 1.0
	v_rcp_f64_e32 v[46:47], v[44:45]
	s_waitcnt_depctr 0xfff
	v_fma_f64 v[92:93], -v[44:45], v[46:47], 1.0
	s_delay_alu instid0(VALU_DEP_1) | instskip(NEXT) | instid1(VALU_DEP_1)
	v_fma_f64 v[46:47], v[46:47], v[92:93], v[46:47]
	v_fma_f64 v[92:93], -v[44:45], v[46:47], 1.0
	s_delay_alu instid0(VALU_DEP_1) | instskip(SKIP_1) | instid1(VALU_DEP_1)
	v_fma_f64 v[46:47], v[46:47], v[92:93], v[46:47]
	v_div_scale_f64 v[92:93], vcc_lo, 1.0, v[30:31], 1.0
	v_mul_f64 v[94:95], v[92:93], v[46:47]
	s_delay_alu instid0(VALU_DEP_1) | instskip(NEXT) | instid1(VALU_DEP_1)
	v_fma_f64 v[44:45], -v[44:45], v[94:95], v[92:93]
	v_div_fmas_f64 v[44:45], v[44:45], v[46:47], v[94:95]
	s_delay_alu instid0(VALU_DEP_1) | instskip(NEXT) | instid1(VALU_DEP_1)
	v_div_fixup_f64 v[112:113], v[44:45], v[30:31], 1.0
	v_mul_f64 v[114:115], v[28:29], -v[112:113]
.LBB54_555:
	s_or_b32 exec_lo, exec_lo, s2
.LBB54_556:
	s_delay_alu instid0(SALU_CYCLE_1) | instskip(NEXT) | instid1(SALU_CYCLE_1)
	s_or_b32 exec_lo, exec_lo, s3
	s_mov_b32 s2, exec_lo
	v_cmpx_ne_u32_e64 v140, v116
	s_xor_b32 s2, exec_lo, s2
	s_cbranch_execz .LBB54_562
; %bb.557:
	s_mov_b32 s3, exec_lo
	v_cmpx_eq_u32_e32 26, v140
	s_cbranch_execz .LBB54_561
; %bb.558:
	v_cmp_ne_u32_e32 vcc_lo, 26, v116
	s_xor_b32 s6, s4, -1
	s_delay_alu instid0(SALU_CYCLE_1) | instskip(NEXT) | instid1(SALU_CYCLE_1)
	s_and_b32 s7, s6, vcc_lo
	s_and_saveexec_b32 s6, s7
	s_cbranch_execz .LBB54_560
; %bb.559:
	v_ashrrev_i32_e32 v117, 31, v116
	s_delay_alu instid0(VALU_DEP_1) | instskip(NEXT) | instid1(VALU_DEP_1)
	v_lshlrev_b64 v[28:29], 2, v[116:117]
	v_add_co_u32 v28, vcc_lo, v78, v28
	s_delay_alu instid0(VALU_DEP_2)
	v_add_co_ci_u32_e32 v29, vcc_lo, v79, v29, vcc_lo
	s_clause 0x1
	flat_load_b32 v30, v[28:29]
	flat_load_b32 v31, v[78:79] offset:104
	s_waitcnt vmcnt(1) lgkmcnt(1)
	flat_store_b32 v[78:79], v30 offset:104
	s_waitcnt vmcnt(0) lgkmcnt(1)
	flat_store_b32 v[28:29], v31
.LBB54_560:
	s_or_b32 exec_lo, exec_lo, s6
	v_mov_b32_e32 v140, v116
	v_mov_b32_e32 v231, v116
.LBB54_561:
	s_or_b32 exec_lo, exec_lo, s3
.LBB54_562:
	s_and_not1_saveexec_b32 s2, s2
	s_cbranch_execz .LBB54_564
; %bb.563:
	v_mov_b32_e32 v140, 26
	ds_store_2addr_b64 v138, v[134:135], v[136:137] offset0:54 offset1:55
.LBB54_564:
	s_or_b32 exec_lo, exec_lo, s2
	s_delay_alu instid0(SALU_CYCLE_1)
	s_mov_b32 s2, exec_lo
	s_waitcnt lgkmcnt(0)
	s_waitcnt_vscnt null, 0x0
	s_barrier
	buffer_gl0_inv
	v_cmpx_lt_i32_e32 26, v140
	s_cbranch_execz .LBB54_566
; %bb.565:
	v_mul_f64 v[28:29], v[112:113], v[6:7]
	v_mul_f64 v[6:7], v[114:115], v[6:7]
	s_delay_alu instid0(VALU_DEP_2)
	v_fma_f64 v[28:29], v[114:115], v[4:5], v[28:29]
	ds_load_2addr_b64 v[114:117], v138 offset0:54 offset1:55
	v_fma_f64 v[4:5], v[112:113], v[4:5], -v[6:7]
	s_waitcnt lgkmcnt(0)
	v_mul_f64 v[6:7], v[116:117], v[28:29]
	v_mul_f64 v[30:31], v[114:115], v[28:29]
	s_delay_alu instid0(VALU_DEP_2) | instskip(NEXT) | instid1(VALU_DEP_2)
	v_fma_f64 v[6:7], v[114:115], v[4:5], -v[6:7]
	v_fma_f64 v[30:31], v[116:117], v[4:5], v[30:31]
	s_delay_alu instid0(VALU_DEP_2) | instskip(NEXT) | instid1(VALU_DEP_2)
	v_add_f64 v[134:135], v[134:135], -v[6:7]
	v_add_f64 v[136:137], v[136:137], -v[30:31]
	v_dual_mov_b32 v6, v28 :: v_dual_mov_b32 v7, v29
.LBB54_566:
	s_or_b32 exec_lo, exec_lo, s2
	v_lshl_add_u32 v28, v140, 4, v138
	s_barrier
	buffer_gl0_inv
	v_mov_b32_e32 v116, 27
	ds_store_2addr_b64 v28, v[134:135], v[136:137] offset1:1
	s_waitcnt lgkmcnt(0)
	s_barrier
	buffer_gl0_inv
	ds_load_2addr_b64 v[112:115], v138 offset0:54 offset1:55
	s_cmp_lt_i32 s5, 29
	s_cbranch_scc1 .LBB54_569
; %bb.567:
	v_add3_u32 v117, v62, 0, 0x1c0
	v_mov_b32_e32 v116, 27
	s_mov_b32 s6, 28
	s_set_inst_prefetch_distance 0x1
	.p2align	6
.LBB54_568:                             ; =>This Inner Loop Header: Depth=1
	ds_load_2addr_b64 v[118:121], v117 offset1:1
	s_waitcnt lgkmcnt(1)
	v_cmp_gt_f64_e32 vcc_lo, 0, v[112:113]
	v_xor_b32_e32 v28, 0x80000000, v113
	v_cmp_gt_f64_e64 s2, 0, v[114:115]
	v_xor_b32_e32 v30, 0x80000000, v115
	v_add_nc_u32_e32 v117, 16, v117
	s_waitcnt lgkmcnt(0)
	v_cmp_gt_f64_e64 s3, 0, v[118:119]
	v_mov_b32_e32 v44, v118
	v_dual_mov_b32 v46, v120 :: v_dual_cndmask_b32 v29, v113, v28
	v_xor_b32_e32 v28, 0x80000000, v119
	v_cndmask_b32_e64 v31, v115, v30, s2
	v_xor_b32_e32 v30, 0x80000000, v121
	s_delay_alu instid0(VALU_DEP_3) | instskip(SKIP_2) | instid1(VALU_DEP_2)
	v_cndmask_b32_e64 v45, v119, v28, s3
	v_cmp_gt_f64_e64 s3, 0, v[120:121]
	v_cndmask_b32_e32 v28, v112, v112, vcc_lo
	v_cndmask_b32_e64 v47, v121, v30, s3
	v_cndmask_b32_e64 v30, v114, v114, s2
	s_delay_alu instid0(VALU_DEP_2) | instskip(NEXT) | instid1(VALU_DEP_2)
	v_add_f64 v[44:45], v[44:45], v[46:47]
	v_add_f64 v[28:29], v[28:29], v[30:31]
	s_delay_alu instid0(VALU_DEP_1)
	v_cmp_lt_f64_e32 vcc_lo, v[28:29], v[44:45]
	v_cndmask_b32_e32 v115, v115, v121, vcc_lo
	v_dual_cndmask_b32 v113, v113, v119 :: v_dual_cndmask_b32 v112, v112, v118
	v_cndmask_b32_e32 v114, v114, v120, vcc_lo
	v_cndmask_b32_e64 v116, v116, s6, vcc_lo
	s_add_i32 s6, s6, 1
	s_delay_alu instid0(SALU_CYCLE_1)
	s_cmp_lg_u32 s5, s6
	s_cbranch_scc1 .LBB54_568
.LBB54_569:
	s_set_inst_prefetch_distance 0x2
	s_waitcnt lgkmcnt(0)
	v_cmp_eq_f64_e32 vcc_lo, 0, v[112:113]
	v_cmp_eq_f64_e64 s2, 0, v[114:115]
	s_delay_alu instid0(VALU_DEP_1) | instskip(NEXT) | instid1(SALU_CYCLE_1)
	s_and_b32 s2, vcc_lo, s2
	s_and_saveexec_b32 s3, s2
	s_delay_alu instid0(SALU_CYCLE_1)
	s_xor_b32 s2, exec_lo, s3
; %bb.570:
	v_cmp_ne_u32_e32 vcc_lo, 0, v232
	v_cndmask_b32_e32 v232, 28, v232, vcc_lo
; %bb.571:
	s_and_not1_saveexec_b32 s3, s2
	s_cbranch_execz .LBB54_577
; %bb.572:
	v_cmp_gt_f64_e32 vcc_lo, 0, v[112:113]
	v_cmp_gt_f64_e64 s2, 0, v[114:115]
	v_xor_b32_e32 v28, 0x80000000, v113
	v_xor_b32_e32 v30, 0x80000000, v115
	s_delay_alu instid0(VALU_DEP_2) | instskip(NEXT) | instid1(VALU_DEP_2)
	v_cndmask_b32_e32 v29, v113, v28, vcc_lo
	v_cndmask_b32_e64 v31, v115, v30, s2
	v_cndmask_b32_e32 v28, v112, v112, vcc_lo
	v_cndmask_b32_e64 v30, v114, v114, s2
	s_mov_b32 s2, exec_lo
	s_delay_alu instid0(VALU_DEP_1)
	v_cmpx_ngt_f64_e32 v[28:29], v[30:31]
	s_xor_b32 s2, exec_lo, s2
	s_cbranch_execz .LBB54_574
; %bb.573:
	v_div_scale_f64 v[28:29], null, v[114:115], v[114:115], v[112:113]
	v_div_scale_f64 v[46:47], vcc_lo, v[112:113], v[114:115], v[112:113]
	s_delay_alu instid0(VALU_DEP_2) | instskip(SKIP_2) | instid1(VALU_DEP_1)
	v_rcp_f64_e32 v[30:31], v[28:29]
	s_waitcnt_depctr 0xfff
	v_fma_f64 v[44:45], -v[28:29], v[30:31], 1.0
	v_fma_f64 v[30:31], v[30:31], v[44:45], v[30:31]
	s_delay_alu instid0(VALU_DEP_1) | instskip(NEXT) | instid1(VALU_DEP_1)
	v_fma_f64 v[44:45], -v[28:29], v[30:31], 1.0
	v_fma_f64 v[30:31], v[30:31], v[44:45], v[30:31]
	s_delay_alu instid0(VALU_DEP_1) | instskip(NEXT) | instid1(VALU_DEP_1)
	v_mul_f64 v[44:45], v[46:47], v[30:31]
	v_fma_f64 v[28:29], -v[28:29], v[44:45], v[46:47]
	s_delay_alu instid0(VALU_DEP_1) | instskip(NEXT) | instid1(VALU_DEP_1)
	v_div_fmas_f64 v[28:29], v[28:29], v[30:31], v[44:45]
	v_div_fixup_f64 v[28:29], v[28:29], v[114:115], v[112:113]
	s_delay_alu instid0(VALU_DEP_1) | instskip(NEXT) | instid1(VALU_DEP_1)
	v_fma_f64 v[30:31], v[112:113], v[28:29], v[114:115]
	v_div_scale_f64 v[44:45], null, v[30:31], v[30:31], 1.0
	s_delay_alu instid0(VALU_DEP_1) | instskip(SKIP_2) | instid1(VALU_DEP_1)
	v_rcp_f64_e32 v[46:47], v[44:45]
	s_waitcnt_depctr 0xfff
	v_fma_f64 v[92:93], -v[44:45], v[46:47], 1.0
	v_fma_f64 v[46:47], v[46:47], v[92:93], v[46:47]
	s_delay_alu instid0(VALU_DEP_1) | instskip(NEXT) | instid1(VALU_DEP_1)
	v_fma_f64 v[92:93], -v[44:45], v[46:47], 1.0
	v_fma_f64 v[46:47], v[46:47], v[92:93], v[46:47]
	v_div_scale_f64 v[92:93], vcc_lo, 1.0, v[30:31], 1.0
	s_delay_alu instid0(VALU_DEP_1) | instskip(NEXT) | instid1(VALU_DEP_1)
	v_mul_f64 v[94:95], v[92:93], v[46:47]
	v_fma_f64 v[44:45], -v[44:45], v[94:95], v[92:93]
	s_delay_alu instid0(VALU_DEP_1) | instskip(NEXT) | instid1(VALU_DEP_1)
	v_div_fmas_f64 v[44:45], v[44:45], v[46:47], v[94:95]
	v_div_fixup_f64 v[114:115], v[44:45], v[30:31], 1.0
	s_delay_alu instid0(VALU_DEP_1)
	v_mul_f64 v[112:113], v[28:29], v[114:115]
	v_xor_b32_e32 v115, 0x80000000, v115
.LBB54_574:
	s_and_not1_saveexec_b32 s2, s2
	s_cbranch_execz .LBB54_576
; %bb.575:
	s_delay_alu instid0(VALU_DEP_1) | instskip(SKIP_1) | instid1(VALU_DEP_2)
	v_div_scale_f64 v[28:29], null, v[112:113], v[112:113], v[114:115]
	v_div_scale_f64 v[46:47], vcc_lo, v[114:115], v[112:113], v[114:115]
	v_rcp_f64_e32 v[30:31], v[28:29]
	s_waitcnt_depctr 0xfff
	v_fma_f64 v[44:45], -v[28:29], v[30:31], 1.0
	s_delay_alu instid0(VALU_DEP_1) | instskip(NEXT) | instid1(VALU_DEP_1)
	v_fma_f64 v[30:31], v[30:31], v[44:45], v[30:31]
	v_fma_f64 v[44:45], -v[28:29], v[30:31], 1.0
	s_delay_alu instid0(VALU_DEP_1) | instskip(NEXT) | instid1(VALU_DEP_1)
	v_fma_f64 v[30:31], v[30:31], v[44:45], v[30:31]
	v_mul_f64 v[44:45], v[46:47], v[30:31]
	s_delay_alu instid0(VALU_DEP_1) | instskip(NEXT) | instid1(VALU_DEP_1)
	v_fma_f64 v[28:29], -v[28:29], v[44:45], v[46:47]
	v_div_fmas_f64 v[28:29], v[28:29], v[30:31], v[44:45]
	s_delay_alu instid0(VALU_DEP_1) | instskip(NEXT) | instid1(VALU_DEP_1)
	v_div_fixup_f64 v[28:29], v[28:29], v[112:113], v[114:115]
	v_fma_f64 v[30:31], v[114:115], v[28:29], v[112:113]
	s_delay_alu instid0(VALU_DEP_1) | instskip(NEXT) | instid1(VALU_DEP_1)
	v_div_scale_f64 v[44:45], null, v[30:31], v[30:31], 1.0
	v_rcp_f64_e32 v[46:47], v[44:45]
	s_waitcnt_depctr 0xfff
	v_fma_f64 v[92:93], -v[44:45], v[46:47], 1.0
	s_delay_alu instid0(VALU_DEP_1) | instskip(NEXT) | instid1(VALU_DEP_1)
	v_fma_f64 v[46:47], v[46:47], v[92:93], v[46:47]
	v_fma_f64 v[92:93], -v[44:45], v[46:47], 1.0
	s_delay_alu instid0(VALU_DEP_1) | instskip(SKIP_1) | instid1(VALU_DEP_1)
	v_fma_f64 v[46:47], v[46:47], v[92:93], v[46:47]
	v_div_scale_f64 v[92:93], vcc_lo, 1.0, v[30:31], 1.0
	v_mul_f64 v[94:95], v[92:93], v[46:47]
	s_delay_alu instid0(VALU_DEP_1) | instskip(NEXT) | instid1(VALU_DEP_1)
	v_fma_f64 v[44:45], -v[44:45], v[94:95], v[92:93]
	v_div_fmas_f64 v[44:45], v[44:45], v[46:47], v[94:95]
	s_delay_alu instid0(VALU_DEP_1) | instskip(NEXT) | instid1(VALU_DEP_1)
	v_div_fixup_f64 v[112:113], v[44:45], v[30:31], 1.0
	v_mul_f64 v[114:115], v[28:29], -v[112:113]
.LBB54_576:
	s_or_b32 exec_lo, exec_lo, s2
.LBB54_577:
	s_delay_alu instid0(SALU_CYCLE_1)
	s_or_b32 exec_lo, exec_lo, s3
	v_mov_b32_e32 v117, 27
	s_mov_b32 s2, exec_lo
	v_cmpx_ne_u32_e64 v140, v116
	s_cbranch_execz .LBB54_583
; %bb.578:
	s_mov_b32 s3, exec_lo
	v_cmpx_eq_u32_e32 27, v140
	s_cbranch_execz .LBB54_582
; %bb.579:
	v_cmp_ne_u32_e32 vcc_lo, 27, v116
	s_xor_b32 s4, s4, -1
	s_delay_alu instid0(SALU_CYCLE_1) | instskip(NEXT) | instid1(SALU_CYCLE_1)
	s_and_b32 s5, s4, vcc_lo
	s_and_saveexec_b32 s4, s5
	s_cbranch_execz .LBB54_581
; %bb.580:
	v_ashrrev_i32_e32 v117, 31, v116
	s_delay_alu instid0(VALU_DEP_1) | instskip(NEXT) | instid1(VALU_DEP_1)
	v_lshlrev_b64 v[28:29], 2, v[116:117]
	v_add_co_u32 v28, vcc_lo, v78, v28
	s_delay_alu instid0(VALU_DEP_2)
	v_add_co_ci_u32_e32 v29, vcc_lo, v79, v29, vcc_lo
	s_clause 0x1
	flat_load_b32 v30, v[28:29]
	flat_load_b32 v31, v[78:79] offset:108
	s_waitcnt vmcnt(1) lgkmcnt(1)
	flat_store_b32 v[78:79], v30 offset:108
	s_waitcnt vmcnt(0) lgkmcnt(1)
	flat_store_b32 v[28:29], v31
.LBB54_581:
	s_or_b32 exec_lo, exec_lo, s4
	v_mov_b32_e32 v140, v116
	v_mov_b32_e32 v231, v116
.LBB54_582:
	s_or_b32 exec_lo, exec_lo, s3
	s_delay_alu instid0(VALU_DEP_2)
	v_mov_b32_e32 v117, v140
.LBB54_583:
	s_or_b32 exec_lo, exec_lo, s2
	s_delay_alu instid0(SALU_CYCLE_1)
	s_mov_b32 s2, exec_lo
	s_waitcnt lgkmcnt(0)
	s_waitcnt_vscnt null, 0x0
	s_barrier
	buffer_gl0_inv
	v_cmpx_lt_i32_e32 27, v117
; %bb.584:
	v_mul_f64 v[28:29], v[114:115], v[136:137]
	v_mul_f64 v[2:3], v[112:113], v[136:137]
	s_delay_alu instid0(VALU_DEP_2) | instskip(NEXT) | instid1(VALU_DEP_2)
	v_fma_f64 v[28:29], v[112:113], v[134:135], -v[28:29]
	v_fma_f64 v[136:137], v[114:115], v[134:135], v[2:3]
	s_delay_alu instid0(VALU_DEP_2)
	v_dual_mov_b32 v135, v29 :: v_dual_mov_b32 v134, v28
; %bb.585:
	s_or_b32 exec_lo, exec_lo, s2
	s_load_b256 s[0:7], s[0:1], 0x28
	v_ashrrev_i32_e32 v118, 31, v117
	s_mov_b32 s9, exec_lo
	s_waitcnt lgkmcnt(0)
	s_barrier
	buffer_gl0_inv
	v_cmpx_gt_i32_e32 28, v117
	s_cbranch_execz .LBB54_587
; %bb.586:
	scratch_load_b64 v[0:1], off, off offset:48 ; 8-byte Folded Reload
	s_lshl_b64 s[2:3], s[2:3], 2
	s_delay_alu instid0(SALU_CYCLE_1)
	s_add_u32 s0, s2, s0
	s_addc_u32 s1, s3, s1
	s_waitcnt vmcnt(0)
	v_mul_lo_u32 v30, v1, s4
	v_mul_lo_u32 v31, v0, s5
	v_mad_u64_u32 v[28:29], null, v0, s4, 0
	s_delay_alu instid0(VALU_DEP_1) | instskip(SKIP_1) | instid1(VALU_DEP_2)
	v_add3_u32 v29, v29, v31, v30
	v_lshlrev_b64 v[30:31], 2, v[117:118]
	v_lshlrev_b64 v[28:29], 2, v[28:29]
	s_delay_alu instid0(VALU_DEP_1) | instskip(NEXT) | instid1(VALU_DEP_2)
	v_add_co_u32 v28, vcc_lo, s0, v28
	v_add_co_ci_u32_e32 v29, vcc_lo, s1, v29, vcc_lo
	s_delay_alu instid0(VALU_DEP_2) | instskip(NEXT) | instid1(VALU_DEP_2)
	v_add_co_u32 v28, vcc_lo, v28, v30
	v_add_co_ci_u32_e32 v29, vcc_lo, v29, v31, vcc_lo
	v_add3_u32 v30, v231, s13, 1
	global_store_b32 v[28:29], v30, off
.LBB54_587:
	s_or_b32 exec_lo, exec_lo, s9
	s_delay_alu instid0(SALU_CYCLE_1)
	s_mov_b32 s1, exec_lo
	v_cmpx_eq_u32_e32 0, v117
	s_cbranch_execz .LBB54_590
; %bb.588:
	scratch_load_b64 v[0:1], off, off offset:48 ; 8-byte Folded Reload
	v_cmp_lt_i32_e64 s0, 0, v232
	s_waitcnt vmcnt(0)
	v_lshlrev_b64 v[28:29], 2, v[0:1]
	s_delay_alu instid0(VALU_DEP_1) | instskip(NEXT) | instid1(VALU_DEP_2)
	v_add_co_u32 v112, vcc_lo, s6, v28
	v_add_co_ci_u32_e32 v113, vcc_lo, s7, v29, vcc_lo
	global_load_b32 v28, v[112:113], off
	s_waitcnt vmcnt(0)
	v_cmp_eq_u32_e32 vcc_lo, 0, v28
	s_and_b32 s0, vcc_lo, s0
	s_delay_alu instid0(SALU_CYCLE_1)
	s_and_b32 exec_lo, exec_lo, s0
	s_cbranch_execz .LBB54_590
; %bb.589:
	v_add_nc_u32_e32 v28, s13, v232
	global_store_b32 v[112:113], v28, off
.LBB54_590:
	s_or_b32 exec_lo, exec_lo, s1
	scratch_load_b128 v[0:3], off, off offset:32 ; 16-byte Folded Reload
	v_add3_u32 v28, s8, s8, v117
	v_lshlrev_b64 v[30:31], 4, v[117:118]
	s_delay_alu instid0(VALU_DEP_2) | instskip(SKIP_1) | instid1(VALU_DEP_3)
	v_ashrrev_i32_e32 v29, 31, v28
	v_add_nc_u32_e32 v44, s8, v28
	v_add_co_u32 v30, vcc_lo, v255, v30
	s_delay_alu instid0(VALU_DEP_4) | instskip(NEXT) | instid1(VALU_DEP_4)
	v_add_co_ci_u32_e32 v31, vcc_lo, v139, v31, vcc_lo
	v_lshlrev_b64 v[28:29], 4, v[28:29]
	s_delay_alu instid0(VALU_DEP_4) | instskip(SKIP_1) | instid1(VALU_DEP_2)
	v_add_nc_u32_e32 v46, s8, v44
	v_ashrrev_i32_e32 v45, 31, v44
	v_add_nc_u32_e32 v92, s8, v46
	v_ashrrev_i32_e32 v47, 31, v46
	s_delay_alu instid0(VALU_DEP_3) | instskip(NEXT) | instid1(VALU_DEP_3)
	v_lshlrev_b64 v[44:45], 4, v[44:45]
	v_ashrrev_i32_e32 v93, 31, v92
	s_waitcnt vmcnt(0)
	global_store_b128 v[30:31], v[0:3], off
	v_add_co_u32 v30, vcc_lo, v30, s10
	v_add_co_ci_u32_e32 v31, vcc_lo, s11, v31, vcc_lo
	v_add_co_u32 v28, vcc_lo, v255, v28
	v_add_co_ci_u32_e32 v29, vcc_lo, v139, v29, vcc_lo
	s_clause 0x1
	global_store_b128 v[30:31], v[241:244], off
	global_store_b128 v[28:29], v[227:230], off
	v_lshlrev_b64 v[28:29], 4, v[46:47]
	v_add_nc_u32_e32 v46, s8, v92
	v_add_co_u32 v30, vcc_lo, v255, v44
	v_add_co_ci_u32_e32 v31, vcc_lo, v139, v45, vcc_lo
	v_lshlrev_b64 v[44:45], 4, v[92:93]
	s_delay_alu instid0(VALU_DEP_4)
	v_add_nc_u32_e32 v92, s8, v46
	v_add_co_u32 v28, vcc_lo, v255, v28
	v_ashrrev_i32_e32 v47, 31, v46
	v_add_co_ci_u32_e32 v29, vcc_lo, v139, v29, vcc_lo
	v_add_co_u32 v44, vcc_lo, v255, v44
	v_ashrrev_i32_e32 v93, 31, v92
	v_add_co_ci_u32_e32 v45, vcc_lo, v139, v45, vcc_lo
	global_store_b128 v[30:31], v[233:236], off
	v_lshlrev_b64 v[30:31], 4, v[46:47]
	s_clause 0x1
	global_store_b128 v[28:29], v[237:240], off
	global_store_b128 v[44:45], v[80:83], off
	v_lshlrev_b64 v[28:29], 4, v[92:93]
	v_add_nc_u32_e32 v44, s8, v92
	v_add_co_u32 v30, vcc_lo, v255, v30
	v_add_co_ci_u32_e32 v31, vcc_lo, v139, v31, vcc_lo
	s_delay_alu instid0(VALU_DEP_4)
	v_add_co_u32 v28, vcc_lo, v255, v28
	v_add_co_ci_u32_e32 v29, vcc_lo, v139, v29, vcc_lo
	s_clause 0x1
	global_store_b128 v[30:31], v[223:226], off
	global_store_b128 v[28:29], v[88:91], off
	scratch_load_b128 v[0:3], off, off offset:16 ; 16-byte Folded Reload
	v_add_nc_u32_e32 v46, s8, v44
	v_ashrrev_i32_e32 v45, 31, v44
	s_delay_alu instid0(VALU_DEP_2) | instskip(SKIP_1) | instid1(VALU_DEP_3)
	v_add_nc_u32_e32 v92, s8, v46
	v_ashrrev_i32_e32 v47, 31, v46
	v_lshlrev_b64 v[44:45], 4, v[44:45]
	s_delay_alu instid0(VALU_DEP_3) | instskip(NEXT) | instid1(VALU_DEP_3)
	v_ashrrev_i32_e32 v93, 31, v92
	v_lshlrev_b64 v[28:29], 4, v[46:47]
	v_add_nc_u32_e32 v46, s8, v92
	s_delay_alu instid0(VALU_DEP_4)
	v_add_co_u32 v30, vcc_lo, v255, v44
	v_add_co_ci_u32_e32 v31, vcc_lo, v139, v45, vcc_lo
	v_lshlrev_b64 v[44:45], 4, v[92:93]
	v_add_co_u32 v28, vcc_lo, v255, v28
	v_add_co_ci_u32_e32 v29, vcc_lo, v139, v29, vcc_lo
	global_store_b128 v[30:31], v[249:252], off
	v_add_co_u32 v44, vcc_lo, v255, v44
	v_add_co_ci_u32_e32 v45, vcc_lo, v139, v45, vcc_lo
	global_store_b128 v[28:29], v[219:222], off
	v_add_nc_u32_e32 v88, s8, v46
	v_ashrrev_i32_e32 v47, 31, v46
	s_delay_alu instid0(VALU_DEP_2) | instskip(NEXT) | instid1(VALU_DEP_2)
	v_ashrrev_i32_e32 v89, 31, v88
	v_lshlrev_b64 v[30:31], 4, v[46:47]
	s_delay_alu instid0(VALU_DEP_2) | instskip(NEXT) | instid1(VALU_DEP_2)
	v_lshlrev_b64 v[28:29], 4, v[88:89]
	v_add_co_u32 v30, vcc_lo, v255, v30
	s_delay_alu instid0(VALU_DEP_3) | instskip(NEXT) | instid1(VALU_DEP_3)
	v_add_co_ci_u32_e32 v31, vcc_lo, v139, v31, vcc_lo
	v_add_co_u32 v28, vcc_lo, v255, v28
	s_delay_alu instid0(VALU_DEP_4)
	v_add_co_ci_u32_e32 v29, vcc_lo, v139, v29, vcc_lo
	s_waitcnt vmcnt(0)
	global_store_b128 v[44:45], v[0:3], off
	scratch_load_b128 v[0:3], off, off      ; 16-byte Folded Reload
	v_add_nc_u32_e32 v44, s8, v88
	s_waitcnt vmcnt(0)
	s_clause 0x1
	global_store_b128 v[30:31], v[0:3], off
	global_store_b128 v[28:29], v[64:67], off
	v_add_nc_u32_e32 v46, s8, v44
	v_ashrrev_i32_e32 v45, 31, v44
	s_delay_alu instid0(VALU_DEP_2) | instskip(SKIP_1) | instid1(VALU_DEP_3)
	v_add_nc_u32_e32 v76, s8, v46
	v_ashrrev_i32_e32 v47, 31, v46
	v_lshlrev_b64 v[44:45], 4, v[44:45]
	s_delay_alu instid0(VALU_DEP_3) | instskip(NEXT) | instid1(VALU_DEP_3)
	v_ashrrev_i32_e32 v77, 31, v76
	v_lshlrev_b64 v[28:29], 4, v[46:47]
	v_add_nc_u32_e32 v46, s8, v76
	s_delay_alu instid0(VALU_DEP_4)
	v_add_co_u32 v30, vcc_lo, v255, v44
	v_add_co_ci_u32_e32 v31, vcc_lo, v139, v45, vcc_lo
	v_lshlrev_b64 v[44:45], 4, v[76:77]
	v_add_co_u32 v28, vcc_lo, v255, v28
	v_add_co_ci_u32_e32 v29, vcc_lo, v139, v29, vcc_lo
	v_add_nc_u32_e32 v60, s8, v46
	s_delay_alu instid0(VALU_DEP_4) | instskip(SKIP_2) | instid1(VALU_DEP_4)
	v_add_co_u32 v44, vcc_lo, v255, v44
	v_add_co_ci_u32_e32 v45, vcc_lo, v139, v45, vcc_lo
	v_ashrrev_i32_e32 v47, 31, v46
	v_ashrrev_i32_e32 v61, 31, v60
	s_clause 0x2
	global_store_b128 v[30:31], v[48:51], off
	global_store_b128 v[28:29], v[72:75], off
	;; [unrolled: 1-line block ×3, first 2 shown]
	v_add_nc_u32_e32 v44, s8, v60
	v_lshlrev_b64 v[30:31], 4, v[46:47]
	v_lshlrev_b64 v[28:29], 4, v[60:61]
	s_delay_alu instid0(VALU_DEP_3) | instskip(SKIP_1) | instid1(VALU_DEP_4)
	v_add_nc_u32_e32 v46, s8, v44
	v_ashrrev_i32_e32 v45, 31, v44
	v_add_co_u32 v30, vcc_lo, v255, v30
	v_add_co_ci_u32_e32 v31, vcc_lo, v139, v31, vcc_lo
	s_delay_alu instid0(VALU_DEP_4)
	v_add_nc_u32_e32 v48, s8, v46
	v_add_co_u32 v28, vcc_lo, v255, v28
	v_ashrrev_i32_e32 v47, 31, v46
	v_lshlrev_b64 v[44:45], 4, v[44:45]
	v_add_co_ci_u32_e32 v29, vcc_lo, v139, v29, vcc_lo
	v_ashrrev_i32_e32 v49, 31, v48
	s_clause 0x1
	global_store_b128 v[30:31], v[56:59], off
	global_store_b128 v[28:29], v[52:55], off
	v_lshlrev_b64 v[28:29], 4, v[46:47]
	v_add_co_u32 v30, vcc_lo, v255, v44
	v_add_nc_u32_e32 v46, s8, v48
	v_add_co_ci_u32_e32 v31, vcc_lo, v139, v45, vcc_lo
	v_lshlrev_b64 v[44:45], 4, v[48:49]
	v_add_co_u32 v28, vcc_lo, v255, v28
	s_delay_alu instid0(VALU_DEP_4)
	v_add_nc_u32_e32 v48, s8, v46
	v_add_co_ci_u32_e32 v29, vcc_lo, v139, v29, vcc_lo
	v_ashrrev_i32_e32 v47, 31, v46
	v_add_co_u32 v44, vcc_lo, v255, v44
	v_add_co_ci_u32_e32 v45, vcc_lo, v139, v45, vcc_lo
	v_ashrrev_i32_e32 v49, 31, v48
	global_store_b128 v[30:31], v[40:43], off
	v_lshlrev_b64 v[30:31], 4, v[46:47]
	s_clause 0x1
	global_store_b128 v[28:29], v[36:39], off
	global_store_b128 v[44:45], v[32:35], off
	v_add_nc_u32_e32 v32, s8, v48
	v_lshlrev_b64 v[28:29], 4, v[48:49]
	v_add_co_u32 v30, vcc_lo, v255, v30
	s_delay_alu instid0(VALU_DEP_3) | instskip(SKIP_1) | instid1(VALU_DEP_4)
	v_add_nc_u32_e32 v34, s8, v32
	v_add_co_ci_u32_e32 v31, vcc_lo, v139, v31, vcc_lo
	v_add_co_u32 v28, vcc_lo, v255, v28
	v_add_co_ci_u32_e32 v29, vcc_lo, v139, v29, vcc_lo
	s_delay_alu instid0(VALU_DEP_4)
	v_add_nc_u32_e32 v36, s8, v34
	v_ashrrev_i32_e32 v33, 31, v32
	s_clause 0x1
	global_store_b128 v[30:31], v[24:27], off
	global_store_b128 v[28:29], v[20:23], off
	v_ashrrev_i32_e32 v35, 31, v34
	v_add_nc_u32_e32 v22, s8, v36
	v_lshlrev_b64 v[24:25], 4, v[32:33]
	v_ashrrev_i32_e32 v37, 31, v36
	s_delay_alu instid0(VALU_DEP_4) | instskip(NEXT) | instid1(VALU_DEP_4)
	v_lshlrev_b64 v[20:21], 4, v[34:35]
	v_add_nc_u32_e32 v28, s8, v22
	v_ashrrev_i32_e32 v23, 31, v22
	v_add_co_u32 v24, vcc_lo, v255, v24
	v_lshlrev_b64 v[26:27], 4, v[36:37]
	s_delay_alu instid0(VALU_DEP_4)
	v_ashrrev_i32_e32 v29, 31, v28
	v_add_co_ci_u32_e32 v25, vcc_lo, v139, v25, vcc_lo
	v_add_co_u32 v20, vcc_lo, v255, v20
	v_lshlrev_b64 v[22:23], 4, v[22:23]
	v_add_co_ci_u32_e32 v21, vcc_lo, v139, v21, vcc_lo
	v_add_co_u32 v26, vcc_lo, v255, v26
	v_lshlrev_b64 v[28:29], 4, v[28:29]
	v_add_co_ci_u32_e32 v27, vcc_lo, v139, v27, vcc_lo
	v_add_co_u32 v22, vcc_lo, v255, v22
	v_add_co_ci_u32_e32 v23, vcc_lo, v139, v23, vcc_lo
	s_delay_alu instid0(VALU_DEP_4)
	v_add_co_u32 v28, vcc_lo, v255, v28
	v_add_co_ci_u32_e32 v29, vcc_lo, v139, v29, vcc_lo
	s_clause 0x4
	global_store_b128 v[24:25], v[16:19], off
	global_store_b128 v[20:21], v[12:15], off
	;; [unrolled: 1-line block ×5, first 2 shown]
.LBB54_591:
	s_nop 0
	s_sendmsg sendmsg(MSG_DEALLOC_VGPRS)
	s_endpgm
	.section	.rodata,"a",@progbits
	.p2align	6, 0x0
	.amdhsa_kernel _ZN9rocsolver6v33100L18getf2_small_kernelILi28E19rocblas_complex_numIdEiiPKPS3_EEvT1_T3_lS7_lPS7_llPT2_S7_S7_S9_l
		.amdhsa_group_segment_fixed_size 0
		.amdhsa_private_segment_fixed_size 124
		.amdhsa_kernarg_size 352
		.amdhsa_user_sgpr_count 14
		.amdhsa_user_sgpr_dispatch_ptr 0
		.amdhsa_user_sgpr_queue_ptr 0
		.amdhsa_user_sgpr_kernarg_segment_ptr 1
		.amdhsa_user_sgpr_dispatch_id 0
		.amdhsa_user_sgpr_private_segment_size 0
		.amdhsa_wavefront_size32 1
		.amdhsa_uses_dynamic_stack 0
		.amdhsa_enable_private_segment 1
		.amdhsa_system_sgpr_workgroup_id_x 1
		.amdhsa_system_sgpr_workgroup_id_y 1
		.amdhsa_system_sgpr_workgroup_id_z 0
		.amdhsa_system_sgpr_workgroup_info 0
		.amdhsa_system_vgpr_workitem_id 1
		.amdhsa_next_free_vgpr 256
		.amdhsa_next_free_sgpr 16
		.amdhsa_reserve_vcc 1
		.amdhsa_float_round_mode_32 0
		.amdhsa_float_round_mode_16_64 0
		.amdhsa_float_denorm_mode_32 3
		.amdhsa_float_denorm_mode_16_64 3
		.amdhsa_dx10_clamp 1
		.amdhsa_ieee_mode 1
		.amdhsa_fp16_overflow 0
		.amdhsa_workgroup_processor_mode 1
		.amdhsa_memory_ordered 1
		.amdhsa_forward_progress 0
		.amdhsa_shared_vgpr_count 0
		.amdhsa_exception_fp_ieee_invalid_op 0
		.amdhsa_exception_fp_denorm_src 0
		.amdhsa_exception_fp_ieee_div_zero 0
		.amdhsa_exception_fp_ieee_overflow 0
		.amdhsa_exception_fp_ieee_underflow 0
		.amdhsa_exception_fp_ieee_inexact 0
		.amdhsa_exception_int_div_zero 0
	.end_amdhsa_kernel
	.section	.text._ZN9rocsolver6v33100L18getf2_small_kernelILi28E19rocblas_complex_numIdEiiPKPS3_EEvT1_T3_lS7_lPS7_llPT2_S7_S7_S9_l,"axG",@progbits,_ZN9rocsolver6v33100L18getf2_small_kernelILi28E19rocblas_complex_numIdEiiPKPS3_EEvT1_T3_lS7_lPS7_llPT2_S7_S7_S9_l,comdat
.Lfunc_end54:
	.size	_ZN9rocsolver6v33100L18getf2_small_kernelILi28E19rocblas_complex_numIdEiiPKPS3_EEvT1_T3_lS7_lPS7_llPT2_S7_S7_S9_l, .Lfunc_end54-_ZN9rocsolver6v33100L18getf2_small_kernelILi28E19rocblas_complex_numIdEiiPKPS3_EEvT1_T3_lS7_lPS7_llPT2_S7_S7_S9_l
                                        ; -- End function
	.section	.AMDGPU.csdata,"",@progbits
; Kernel info:
; codeLenInByte = 63824
; NumSgprs: 18
; NumVgprs: 256
; ScratchSize: 124
; MemoryBound: 0
; FloatMode: 240
; IeeeMode: 1
; LDSByteSize: 0 bytes/workgroup (compile time only)
; SGPRBlocks: 2
; VGPRBlocks: 31
; NumSGPRsForWavesPerEU: 18
; NumVGPRsForWavesPerEU: 256
; Occupancy: 5
; WaveLimiterHint : 1
; COMPUTE_PGM_RSRC2:SCRATCH_EN: 1
; COMPUTE_PGM_RSRC2:USER_SGPR: 14
; COMPUTE_PGM_RSRC2:TRAP_HANDLER: 0
; COMPUTE_PGM_RSRC2:TGID_X_EN: 1
; COMPUTE_PGM_RSRC2:TGID_Y_EN: 1
; COMPUTE_PGM_RSRC2:TGID_Z_EN: 0
; COMPUTE_PGM_RSRC2:TIDIG_COMP_CNT: 1
	.section	.text._ZN9rocsolver6v33100L23getf2_npvt_small_kernelILi28E19rocblas_complex_numIdEiiPKPS3_EEvT1_T3_lS7_lPT2_S7_S7_,"axG",@progbits,_ZN9rocsolver6v33100L23getf2_npvt_small_kernelILi28E19rocblas_complex_numIdEiiPKPS3_EEvT1_T3_lS7_lPT2_S7_S7_,comdat
	.globl	_ZN9rocsolver6v33100L23getf2_npvt_small_kernelILi28E19rocblas_complex_numIdEiiPKPS3_EEvT1_T3_lS7_lPT2_S7_S7_ ; -- Begin function _ZN9rocsolver6v33100L23getf2_npvt_small_kernelILi28E19rocblas_complex_numIdEiiPKPS3_EEvT1_T3_lS7_lPT2_S7_S7_
	.p2align	8
	.type	_ZN9rocsolver6v33100L23getf2_npvt_small_kernelILi28E19rocblas_complex_numIdEiiPKPS3_EEvT1_T3_lS7_lPT2_S7_S7_,@function
_ZN9rocsolver6v33100L23getf2_npvt_small_kernelILi28E19rocblas_complex_numIdEiiPKPS3_EEvT1_T3_lS7_lPT2_S7_S7_: ; @_ZN9rocsolver6v33100L23getf2_npvt_small_kernelILi28E19rocblas_complex_numIdEiiPKPS3_EEvT1_T3_lS7_lPT2_S7_S7_
; %bb.0:
	s_clause 0x1
	s_load_b32 s2, s[0:1], 0x44
	s_load_b64 s[42:43], s[0:1], 0x30
	v_bfe_u32 v112, v0, 10, 10
	s_waitcnt lgkmcnt(0)
	s_lshr_b32 s8, s2, 16
	s_mov_b32 s2, exec_lo
	s_delay_alu instid0(VALU_DEP_1) | instskip(NEXT) | instid1(VALU_DEP_1)
	v_mad_u64_u32 v[244:245], null, s15, s8, v[112:113]
	v_cmpx_gt_i32_e64 s42, v244
	s_cbranch_execz .LBB55_257
; %bb.1:
	s_clause 0x1
	s_load_b128 s[4:7], s[0:1], 0x8
	s_load_b32 s2, s[0:1], 0x18
	v_ashrrev_i32_e32 v245, 31, v244
	v_and_b32_e32 v252, 0x3ff, v0
	v_lshlrev_b32_e32 v113, 4, v112
	s_mulk_i32 s8, 0x1c0
	v_mad_u32_u24 v254, 0x1c0, v112, 0
	v_lshlrev_b64 v[1:2], 3, v[244:245]
	v_lshlrev_b32_e32 v55, 4, v252
	v_add3_u32 v253, 0, s8, v113
	s_waitcnt lgkmcnt(0)
	s_delay_alu instid0(VALU_DEP_3) | instskip(NEXT) | instid1(VALU_DEP_4)
	v_add_co_u32 v1, vcc_lo, s4, v1
	v_add_co_ci_u32_e32 v2, vcc_lo, s5, v2, vcc_lo
	v_add3_u32 v3, s2, s2, v252
	s_lshl_b64 s[6:7], s[6:7], 4
	s_ashr_i32 s3, s2, 31
	global_load_b64 v[1:2], v[1:2], off
	s_lshl_b64 s[4:5], s[2:3], 4
	v_add_nc_u32_e32 v5, s2, v3
	v_ashrrev_i32_e32 v4, 31, v3
	v_cmp_ne_u32_e64 s3, 0, v252
	s_delay_alu instid0(VALU_DEP_3) | instskip(SKIP_1) | instid1(VALU_DEP_4)
	v_add_nc_u32_e32 v7, s2, v5
	v_ashrrev_i32_e32 v6, 31, v5
	v_lshlrev_b64 v[3:4], 4, v[3:4]
	s_delay_alu instid0(VALU_DEP_3) | instskip(SKIP_1) | instid1(VALU_DEP_4)
	v_add_nc_u32_e32 v9, s2, v7
	v_ashrrev_i32_e32 v8, 31, v7
	v_lshlrev_b64 v[5:6], 4, v[5:6]
	;; [unrolled: 4-line block ×24, first 2 shown]
	v_cmp_eq_u32_e64 s2, 0, v252
	s_delay_alu instid0(VALU_DEP_4) | instskip(NEXT) | instid1(VALU_DEP_4)
	v_ashrrev_i32_e32 v54, 31, v53
	v_lshlrev_b64 v[51:52], 4, v[51:52]
	s_waitcnt vmcnt(0)
	v_add_co_u32 v56, vcc_lo, v1, s6
	v_add_co_ci_u32_e32 v2, vcc_lo, s7, v2, vcc_lo
	v_lshlrev_b64 v[0:1], 4, v[53:54]
	s_delay_alu instid0(VALU_DEP_3) | instskip(NEXT) | instid1(VALU_DEP_3)
	v_add_co_u32 v248, vcc_lo, v56, v55
	v_add_co_ci_u32_e32 v249, vcc_lo, 0, v2, vcc_lo
	v_add_co_u32 v250, vcc_lo, v56, v3
	v_add_co_ci_u32_e32 v251, vcc_lo, v2, v4, vcc_lo
	;; [unrolled: 2-line block ×27, first 2 shown]
	v_add_co_u32 v226, vcc_lo, v248, s4
	s_clause 0x6
	global_load_b128 v[100:103], v[250:251], off
	global_load_b128 v[96:99], v[246:247], off
	global_load_b128 v[92:95], v[242:243], off
	global_load_b128 v[88:91], v[240:241], off
	global_load_b128 v[84:87], v[238:239], off
	global_load_b128 v[80:83], v[236:237], off
	global_load_b128 v[76:79], v[234:235], off
	v_add_co_ci_u32_e32 v227, vcc_lo, s5, v249, vcc_lo
	s_clause 0x2
	scratch_store_b64 off, v[61:62], off offset:152
	scratch_store_b64 off, v[57:58], off offset:144
	;; [unrolled: 1-line block ×3, first 2 shown]
	s_clause 0x3
	global_load_b128 v[72:75], v[61:62], off
	global_load_b128 v[68:71], v[57:58], off
	;; [unrolled: 1-line block ×4, first 2 shown]
	s_clause 0xc
	scratch_store_b64 off, v[53:54], off offset:112
	scratch_store_b64 off, v[27:28], off offset:104
	;; [unrolled: 1-line block ×13, first 2 shown]
	s_clause 0xe
	global_load_b128 v[56:59], v[53:54], off
	global_load_b128 v[52:55], v[27:28], off
	;; [unrolled: 1-line block ×15, first 2 shown]
	s_clause 0x1
	scratch_store_b64 off, v[3:4], off offset:8
	scratch_store_b64 off, v[0:1], off
	s_clause 0x1
	global_load_b128 v[4:7], v[3:4], off
	global_load_b128 v[0:3], v[0:1], off
	s_and_saveexec_b32 s5, s2
	s_cbranch_execz .LBB55_8
; %bb.2:
	s_waitcnt vmcnt(3)
	ds_store_2addr_b64 v253, v[108:109], v[110:111] offset1:1
	s_waitcnt vmcnt(2)
	ds_store_2addr_b64 v254, v[104:105], v[106:107] offset0:2 offset1:3
	ds_store_2addr_b64 v254, v[100:101], v[102:103] offset0:4 offset1:5
	;; [unrolled: 1-line block ×25, first 2 shown]
	s_waitcnt vmcnt(1)
	ds_store_2addr_b64 v254, v[4:5], v[6:7] offset0:52 offset1:53
	s_waitcnt vmcnt(0)
	ds_store_2addr_b64 v254, v[0:1], v[2:3] offset0:54 offset1:55
	ds_load_2addr_b64 v[112:115], v253 offset1:1
	s_waitcnt lgkmcnt(0)
	v_cmp_neq_f64_e32 vcc_lo, 0, v[112:113]
	v_cmp_neq_f64_e64 s4, 0, v[114:115]
	s_delay_alu instid0(VALU_DEP_1) | instskip(NEXT) | instid1(SALU_CYCLE_1)
	s_or_b32 s4, vcc_lo, s4
	s_and_b32 exec_lo, exec_lo, s4
	s_cbranch_execz .LBB55_8
; %bb.3:
	v_cmp_gt_f64_e32 vcc_lo, 0, v[112:113]
	v_cmp_gt_f64_e64 s4, 0, v[114:115]
	v_xor_b32_e32 v116, 0x80000000, v113
	v_xor_b32_e32 v118, 0x80000000, v115
                                        ; implicit-def: $vgpr120_vgpr121
	s_delay_alu instid0(VALU_DEP_2) | instskip(NEXT) | instid1(VALU_DEP_2)
	v_cndmask_b32_e32 v117, v113, v116, vcc_lo
	v_cndmask_b32_e64 v119, v115, v118, s4
	v_cndmask_b32_e32 v116, v112, v112, vcc_lo
	v_cndmask_b32_e64 v118, v114, v114, s4
	s_mov_b32 s4, exec_lo
	s_delay_alu instid0(VALU_DEP_1)
	v_cmpx_ngt_f64_e32 v[116:117], v[118:119]
	s_xor_b32 s4, exec_lo, s4
                                        ; implicit-def: $vgpr116_vgpr117_vgpr118_vgpr119
	s_cbranch_execz .LBB55_5
; %bb.4:
	v_div_scale_f64 v[116:117], null, v[114:115], v[114:115], v[112:113]
	v_div_scale_f64 v[122:123], vcc_lo, v[112:113], v[114:115], v[112:113]
	s_delay_alu instid0(VALU_DEP_2) | instskip(SKIP_2) | instid1(VALU_DEP_1)
	v_rcp_f64_e32 v[118:119], v[116:117]
	s_waitcnt_depctr 0xfff
	v_fma_f64 v[120:121], -v[116:117], v[118:119], 1.0
	v_fma_f64 v[118:119], v[118:119], v[120:121], v[118:119]
	s_delay_alu instid0(VALU_DEP_1) | instskip(NEXT) | instid1(VALU_DEP_1)
	v_fma_f64 v[120:121], -v[116:117], v[118:119], 1.0
	v_fma_f64 v[118:119], v[118:119], v[120:121], v[118:119]
	s_delay_alu instid0(VALU_DEP_1) | instskip(NEXT) | instid1(VALU_DEP_1)
	v_mul_f64 v[120:121], v[122:123], v[118:119]
	v_fma_f64 v[116:117], -v[116:117], v[120:121], v[122:123]
	s_delay_alu instid0(VALU_DEP_1) | instskip(NEXT) | instid1(VALU_DEP_1)
	v_div_fmas_f64 v[116:117], v[116:117], v[118:119], v[120:121]
	v_div_fixup_f64 v[116:117], v[116:117], v[114:115], v[112:113]
	s_delay_alu instid0(VALU_DEP_1) | instskip(NEXT) | instid1(VALU_DEP_1)
	v_fma_f64 v[112:113], v[112:113], v[116:117], v[114:115]
	v_div_scale_f64 v[114:115], null, v[112:113], v[112:113], 1.0
	s_delay_alu instid0(VALU_DEP_1) | instskip(SKIP_2) | instid1(VALU_DEP_1)
	v_rcp_f64_e32 v[118:119], v[114:115]
	s_waitcnt_depctr 0xfff
	v_fma_f64 v[120:121], -v[114:115], v[118:119], 1.0
	v_fma_f64 v[118:119], v[118:119], v[120:121], v[118:119]
	s_delay_alu instid0(VALU_DEP_1) | instskip(NEXT) | instid1(VALU_DEP_1)
	v_fma_f64 v[120:121], -v[114:115], v[118:119], 1.0
	v_fma_f64 v[118:119], v[118:119], v[120:121], v[118:119]
	v_div_scale_f64 v[120:121], vcc_lo, 1.0, v[112:113], 1.0
	s_delay_alu instid0(VALU_DEP_1) | instskip(NEXT) | instid1(VALU_DEP_1)
	v_mul_f64 v[122:123], v[120:121], v[118:119]
	v_fma_f64 v[114:115], -v[114:115], v[122:123], v[120:121]
	s_delay_alu instid0(VALU_DEP_1) | instskip(NEXT) | instid1(VALU_DEP_1)
	v_div_fmas_f64 v[114:115], v[114:115], v[118:119], v[122:123]
	v_div_fixup_f64 v[118:119], v[114:115], v[112:113], 1.0
                                        ; implicit-def: $vgpr112_vgpr113
	s_delay_alu instid0(VALU_DEP_1)
	v_mul_f64 v[120:121], v[116:117], v[118:119]
	v_xor_b32_e32 v119, 0x80000000, v119
.LBB55_5:
	s_and_not1_saveexec_b32 s4, s4
	s_cbranch_execz .LBB55_7
; %bb.6:
	v_div_scale_f64 v[116:117], null, v[112:113], v[112:113], v[114:115]
	v_div_scale_f64 v[122:123], vcc_lo, v[114:115], v[112:113], v[114:115]
	s_delay_alu instid0(VALU_DEP_2) | instskip(SKIP_2) | instid1(VALU_DEP_1)
	v_rcp_f64_e32 v[118:119], v[116:117]
	s_waitcnt_depctr 0xfff
	v_fma_f64 v[120:121], -v[116:117], v[118:119], 1.0
	v_fma_f64 v[118:119], v[118:119], v[120:121], v[118:119]
	s_delay_alu instid0(VALU_DEP_1) | instskip(NEXT) | instid1(VALU_DEP_1)
	v_fma_f64 v[120:121], -v[116:117], v[118:119], 1.0
	v_fma_f64 v[118:119], v[118:119], v[120:121], v[118:119]
	s_delay_alu instid0(VALU_DEP_1) | instskip(NEXT) | instid1(VALU_DEP_1)
	v_mul_f64 v[120:121], v[122:123], v[118:119]
	v_fma_f64 v[116:117], -v[116:117], v[120:121], v[122:123]
	s_delay_alu instid0(VALU_DEP_1) | instskip(NEXT) | instid1(VALU_DEP_1)
	v_div_fmas_f64 v[116:117], v[116:117], v[118:119], v[120:121]
	v_div_fixup_f64 v[116:117], v[116:117], v[112:113], v[114:115]
	s_delay_alu instid0(VALU_DEP_1) | instskip(NEXT) | instid1(VALU_DEP_1)
	v_fma_f64 v[112:113], v[114:115], v[116:117], v[112:113]
	v_div_scale_f64 v[114:115], null, v[112:113], v[112:113], 1.0
	s_delay_alu instid0(VALU_DEP_1) | instskip(SKIP_2) | instid1(VALU_DEP_1)
	v_rcp_f64_e32 v[118:119], v[114:115]
	s_waitcnt_depctr 0xfff
	v_fma_f64 v[120:121], -v[114:115], v[118:119], 1.0
	v_fma_f64 v[118:119], v[118:119], v[120:121], v[118:119]
	s_delay_alu instid0(VALU_DEP_1) | instskip(NEXT) | instid1(VALU_DEP_1)
	v_fma_f64 v[120:121], -v[114:115], v[118:119], 1.0
	v_fma_f64 v[118:119], v[118:119], v[120:121], v[118:119]
	v_div_scale_f64 v[120:121], vcc_lo, 1.0, v[112:113], 1.0
	s_delay_alu instid0(VALU_DEP_1) | instskip(NEXT) | instid1(VALU_DEP_1)
	v_mul_f64 v[122:123], v[120:121], v[118:119]
	v_fma_f64 v[114:115], -v[114:115], v[122:123], v[120:121]
	s_delay_alu instid0(VALU_DEP_1) | instskip(NEXT) | instid1(VALU_DEP_1)
	v_div_fmas_f64 v[114:115], v[114:115], v[118:119], v[122:123]
	v_div_fixup_f64 v[120:121], v[114:115], v[112:113], 1.0
	s_delay_alu instid0(VALU_DEP_1)
	v_mul_f64 v[118:119], v[116:117], -v[120:121]
.LBB55_7:
	s_or_b32 exec_lo, exec_lo, s4
	ds_store_2addr_b64 v253, v[120:121], v[118:119] offset1:1
.LBB55_8:
	s_or_b32 exec_lo, exec_lo, s5
	s_waitcnt vmcnt(0) lgkmcnt(0)
	s_waitcnt_vscnt null, 0x0
	s_barrier
	buffer_gl0_inv
	ds_load_2addr_b64 v[112:115], v253 offset1:1
	s_waitcnt lgkmcnt(0)
	scratch_store_b128 off, v[112:115], off offset:120 ; 16-byte Folded Spill
	s_and_saveexec_b32 s4, s3
	s_cbranch_execz .LBB55_10
; %bb.9:
	scratch_load_b128 v[118:121], off, off offset:120 ; 16-byte Folded Reload
	s_waitcnt vmcnt(0)
	v_mul_f64 v[112:113], v[120:121], v[110:111]
	v_mul_f64 v[110:111], v[118:119], v[110:111]
	s_delay_alu instid0(VALU_DEP_2) | instskip(NEXT) | instid1(VALU_DEP_2)
	v_fma_f64 v[116:117], v[118:119], v[108:109], -v[112:113]
	v_fma_f64 v[110:111], v[120:121], v[108:109], v[110:111]
	ds_load_2addr_b64 v[112:115], v254 offset0:2 offset1:3
	s_waitcnt lgkmcnt(0)
	v_mul_f64 v[108:109], v[114:115], v[110:111]
	s_delay_alu instid0(VALU_DEP_1) | instskip(SKIP_1) | instid1(VALU_DEP_2)
	v_fma_f64 v[108:109], v[112:113], v[116:117], -v[108:109]
	v_mul_f64 v[112:113], v[112:113], v[110:111]
	v_add_f64 v[104:105], v[104:105], -v[108:109]
	s_delay_alu instid0(VALU_DEP_2) | instskip(NEXT) | instid1(VALU_DEP_1)
	v_fma_f64 v[112:113], v[114:115], v[116:117], v[112:113]
	v_add_f64 v[106:107], v[106:107], -v[112:113]
	ds_load_2addr_b64 v[112:115], v254 offset0:4 offset1:5
	s_waitcnt lgkmcnt(0)
	v_mul_f64 v[108:109], v[114:115], v[110:111]
	s_delay_alu instid0(VALU_DEP_1) | instskip(SKIP_1) | instid1(VALU_DEP_2)
	v_fma_f64 v[108:109], v[112:113], v[116:117], -v[108:109]
	v_mul_f64 v[112:113], v[112:113], v[110:111]
	v_add_f64 v[100:101], v[100:101], -v[108:109]
	s_delay_alu instid0(VALU_DEP_2) | instskip(NEXT) | instid1(VALU_DEP_1)
	v_fma_f64 v[112:113], v[114:115], v[116:117], v[112:113]
	v_add_f64 v[102:103], v[102:103], -v[112:113]
	ds_load_2addr_b64 v[112:115], v254 offset0:6 offset1:7
	s_waitcnt lgkmcnt(0)
	v_mul_f64 v[108:109], v[114:115], v[110:111]
	s_delay_alu instid0(VALU_DEP_1) | instskip(SKIP_1) | instid1(VALU_DEP_2)
	v_fma_f64 v[108:109], v[112:113], v[116:117], -v[108:109]
	v_mul_f64 v[112:113], v[112:113], v[110:111]
	v_add_f64 v[96:97], v[96:97], -v[108:109]
	s_delay_alu instid0(VALU_DEP_2) | instskip(NEXT) | instid1(VALU_DEP_1)
	v_fma_f64 v[112:113], v[114:115], v[116:117], v[112:113]
	v_add_f64 v[98:99], v[98:99], -v[112:113]
	ds_load_2addr_b64 v[112:115], v254 offset0:8 offset1:9
	s_waitcnt lgkmcnt(0)
	v_mul_f64 v[108:109], v[114:115], v[110:111]
	s_delay_alu instid0(VALU_DEP_1) | instskip(SKIP_1) | instid1(VALU_DEP_2)
	v_fma_f64 v[108:109], v[112:113], v[116:117], -v[108:109]
	v_mul_f64 v[112:113], v[112:113], v[110:111]
	v_add_f64 v[92:93], v[92:93], -v[108:109]
	s_delay_alu instid0(VALU_DEP_2) | instskip(NEXT) | instid1(VALU_DEP_1)
	v_fma_f64 v[112:113], v[114:115], v[116:117], v[112:113]
	v_add_f64 v[94:95], v[94:95], -v[112:113]
	ds_load_2addr_b64 v[112:115], v254 offset0:10 offset1:11
	s_waitcnt lgkmcnt(0)
	v_mul_f64 v[108:109], v[114:115], v[110:111]
	s_delay_alu instid0(VALU_DEP_1) | instskip(SKIP_1) | instid1(VALU_DEP_2)
	v_fma_f64 v[108:109], v[112:113], v[116:117], -v[108:109]
	v_mul_f64 v[112:113], v[112:113], v[110:111]
	v_add_f64 v[88:89], v[88:89], -v[108:109]
	s_delay_alu instid0(VALU_DEP_2) | instskip(NEXT) | instid1(VALU_DEP_1)
	v_fma_f64 v[112:113], v[114:115], v[116:117], v[112:113]
	v_add_f64 v[90:91], v[90:91], -v[112:113]
	ds_load_2addr_b64 v[112:115], v254 offset0:12 offset1:13
	s_waitcnt lgkmcnt(0)
	v_mul_f64 v[108:109], v[114:115], v[110:111]
	s_delay_alu instid0(VALU_DEP_1) | instskip(SKIP_1) | instid1(VALU_DEP_2)
	v_fma_f64 v[108:109], v[112:113], v[116:117], -v[108:109]
	v_mul_f64 v[112:113], v[112:113], v[110:111]
	v_add_f64 v[84:85], v[84:85], -v[108:109]
	s_delay_alu instid0(VALU_DEP_2) | instskip(NEXT) | instid1(VALU_DEP_1)
	v_fma_f64 v[112:113], v[114:115], v[116:117], v[112:113]
	v_add_f64 v[86:87], v[86:87], -v[112:113]
	ds_load_2addr_b64 v[112:115], v254 offset0:14 offset1:15
	s_waitcnt lgkmcnt(0)
	v_mul_f64 v[108:109], v[114:115], v[110:111]
	s_delay_alu instid0(VALU_DEP_1) | instskip(SKIP_1) | instid1(VALU_DEP_2)
	v_fma_f64 v[108:109], v[112:113], v[116:117], -v[108:109]
	v_mul_f64 v[112:113], v[112:113], v[110:111]
	v_add_f64 v[80:81], v[80:81], -v[108:109]
	s_delay_alu instid0(VALU_DEP_2) | instskip(NEXT) | instid1(VALU_DEP_1)
	v_fma_f64 v[112:113], v[114:115], v[116:117], v[112:113]
	v_add_f64 v[82:83], v[82:83], -v[112:113]
	ds_load_2addr_b64 v[112:115], v254 offset0:16 offset1:17
	s_waitcnt lgkmcnt(0)
	v_mul_f64 v[108:109], v[114:115], v[110:111]
	s_delay_alu instid0(VALU_DEP_1) | instskip(SKIP_1) | instid1(VALU_DEP_2)
	v_fma_f64 v[108:109], v[112:113], v[116:117], -v[108:109]
	v_mul_f64 v[112:113], v[112:113], v[110:111]
	v_add_f64 v[76:77], v[76:77], -v[108:109]
	s_delay_alu instid0(VALU_DEP_2) | instskip(NEXT) | instid1(VALU_DEP_1)
	v_fma_f64 v[112:113], v[114:115], v[116:117], v[112:113]
	v_add_f64 v[78:79], v[78:79], -v[112:113]
	ds_load_2addr_b64 v[112:115], v254 offset0:18 offset1:19
	s_waitcnt lgkmcnt(0)
	v_mul_f64 v[108:109], v[114:115], v[110:111]
	s_delay_alu instid0(VALU_DEP_1) | instskip(SKIP_1) | instid1(VALU_DEP_2)
	v_fma_f64 v[108:109], v[112:113], v[116:117], -v[108:109]
	v_mul_f64 v[112:113], v[112:113], v[110:111]
	v_add_f64 v[72:73], v[72:73], -v[108:109]
	s_delay_alu instid0(VALU_DEP_2) | instskip(NEXT) | instid1(VALU_DEP_1)
	v_fma_f64 v[112:113], v[114:115], v[116:117], v[112:113]
	v_add_f64 v[74:75], v[74:75], -v[112:113]
	ds_load_2addr_b64 v[112:115], v254 offset0:20 offset1:21
	s_waitcnt lgkmcnt(0)
	v_mul_f64 v[108:109], v[114:115], v[110:111]
	s_delay_alu instid0(VALU_DEP_1) | instskip(SKIP_1) | instid1(VALU_DEP_2)
	v_fma_f64 v[108:109], v[112:113], v[116:117], -v[108:109]
	v_mul_f64 v[112:113], v[112:113], v[110:111]
	v_add_f64 v[68:69], v[68:69], -v[108:109]
	s_delay_alu instid0(VALU_DEP_2) | instskip(NEXT) | instid1(VALU_DEP_1)
	v_fma_f64 v[112:113], v[114:115], v[116:117], v[112:113]
	v_add_f64 v[70:71], v[70:71], -v[112:113]
	ds_load_2addr_b64 v[112:115], v254 offset0:22 offset1:23
	s_waitcnt lgkmcnt(0)
	v_mul_f64 v[108:109], v[114:115], v[110:111]
	s_delay_alu instid0(VALU_DEP_1) | instskip(SKIP_1) | instid1(VALU_DEP_2)
	v_fma_f64 v[108:109], v[112:113], v[116:117], -v[108:109]
	v_mul_f64 v[112:113], v[112:113], v[110:111]
	v_add_f64 v[64:65], v[64:65], -v[108:109]
	s_delay_alu instid0(VALU_DEP_2) | instskip(NEXT) | instid1(VALU_DEP_1)
	v_fma_f64 v[112:113], v[114:115], v[116:117], v[112:113]
	v_add_f64 v[66:67], v[66:67], -v[112:113]
	ds_load_2addr_b64 v[112:115], v254 offset0:24 offset1:25
	s_waitcnt lgkmcnt(0)
	v_mul_f64 v[108:109], v[114:115], v[110:111]
	s_delay_alu instid0(VALU_DEP_1) | instskip(SKIP_1) | instid1(VALU_DEP_2)
	v_fma_f64 v[108:109], v[112:113], v[116:117], -v[108:109]
	v_mul_f64 v[112:113], v[112:113], v[110:111]
	v_add_f64 v[60:61], v[60:61], -v[108:109]
	s_delay_alu instid0(VALU_DEP_2) | instskip(NEXT) | instid1(VALU_DEP_1)
	v_fma_f64 v[112:113], v[114:115], v[116:117], v[112:113]
	v_add_f64 v[62:63], v[62:63], -v[112:113]
	ds_load_2addr_b64 v[112:115], v254 offset0:26 offset1:27
	s_waitcnt lgkmcnt(0)
	v_mul_f64 v[108:109], v[114:115], v[110:111]
	s_delay_alu instid0(VALU_DEP_1) | instskip(SKIP_1) | instid1(VALU_DEP_2)
	v_fma_f64 v[108:109], v[112:113], v[116:117], -v[108:109]
	v_mul_f64 v[112:113], v[112:113], v[110:111]
	v_add_f64 v[56:57], v[56:57], -v[108:109]
	s_delay_alu instid0(VALU_DEP_2) | instskip(NEXT) | instid1(VALU_DEP_1)
	v_fma_f64 v[112:113], v[114:115], v[116:117], v[112:113]
	v_add_f64 v[58:59], v[58:59], -v[112:113]
	ds_load_2addr_b64 v[112:115], v254 offset0:28 offset1:29
	s_waitcnt lgkmcnt(0)
	v_mul_f64 v[108:109], v[114:115], v[110:111]
	s_delay_alu instid0(VALU_DEP_1) | instskip(SKIP_1) | instid1(VALU_DEP_2)
	v_fma_f64 v[108:109], v[112:113], v[116:117], -v[108:109]
	v_mul_f64 v[112:113], v[112:113], v[110:111]
	v_add_f64 v[52:53], v[52:53], -v[108:109]
	s_delay_alu instid0(VALU_DEP_2) | instskip(NEXT) | instid1(VALU_DEP_1)
	v_fma_f64 v[112:113], v[114:115], v[116:117], v[112:113]
	v_add_f64 v[54:55], v[54:55], -v[112:113]
	ds_load_2addr_b64 v[112:115], v254 offset0:30 offset1:31
	s_waitcnt lgkmcnt(0)
	v_mul_f64 v[108:109], v[114:115], v[110:111]
	s_delay_alu instid0(VALU_DEP_1) | instskip(SKIP_1) | instid1(VALU_DEP_2)
	v_fma_f64 v[108:109], v[112:113], v[116:117], -v[108:109]
	v_mul_f64 v[112:113], v[112:113], v[110:111]
	v_add_f64 v[48:49], v[48:49], -v[108:109]
	s_delay_alu instid0(VALU_DEP_2) | instskip(NEXT) | instid1(VALU_DEP_1)
	v_fma_f64 v[112:113], v[114:115], v[116:117], v[112:113]
	v_add_f64 v[50:51], v[50:51], -v[112:113]
	ds_load_2addr_b64 v[112:115], v254 offset0:32 offset1:33
	s_waitcnt lgkmcnt(0)
	v_mul_f64 v[108:109], v[114:115], v[110:111]
	s_delay_alu instid0(VALU_DEP_1) | instskip(SKIP_1) | instid1(VALU_DEP_2)
	v_fma_f64 v[108:109], v[112:113], v[116:117], -v[108:109]
	v_mul_f64 v[112:113], v[112:113], v[110:111]
	v_add_f64 v[44:45], v[44:45], -v[108:109]
	s_delay_alu instid0(VALU_DEP_2) | instskip(NEXT) | instid1(VALU_DEP_1)
	v_fma_f64 v[112:113], v[114:115], v[116:117], v[112:113]
	v_add_f64 v[46:47], v[46:47], -v[112:113]
	ds_load_2addr_b64 v[112:115], v254 offset0:34 offset1:35
	s_waitcnt lgkmcnt(0)
	v_mul_f64 v[108:109], v[114:115], v[110:111]
	s_delay_alu instid0(VALU_DEP_1) | instskip(SKIP_1) | instid1(VALU_DEP_2)
	v_fma_f64 v[108:109], v[112:113], v[116:117], -v[108:109]
	v_mul_f64 v[112:113], v[112:113], v[110:111]
	v_add_f64 v[40:41], v[40:41], -v[108:109]
	s_delay_alu instid0(VALU_DEP_2) | instskip(NEXT) | instid1(VALU_DEP_1)
	v_fma_f64 v[112:113], v[114:115], v[116:117], v[112:113]
	v_add_f64 v[42:43], v[42:43], -v[112:113]
	ds_load_2addr_b64 v[112:115], v254 offset0:36 offset1:37
	s_waitcnt lgkmcnt(0)
	v_mul_f64 v[108:109], v[114:115], v[110:111]
	s_delay_alu instid0(VALU_DEP_1) | instskip(SKIP_1) | instid1(VALU_DEP_2)
	v_fma_f64 v[108:109], v[112:113], v[116:117], -v[108:109]
	v_mul_f64 v[112:113], v[112:113], v[110:111]
	v_add_f64 v[36:37], v[36:37], -v[108:109]
	s_delay_alu instid0(VALU_DEP_2) | instskip(NEXT) | instid1(VALU_DEP_1)
	v_fma_f64 v[112:113], v[114:115], v[116:117], v[112:113]
	v_add_f64 v[38:39], v[38:39], -v[112:113]
	ds_load_2addr_b64 v[112:115], v254 offset0:38 offset1:39
	s_waitcnt lgkmcnt(0)
	v_mul_f64 v[108:109], v[114:115], v[110:111]
	s_delay_alu instid0(VALU_DEP_1) | instskip(SKIP_1) | instid1(VALU_DEP_2)
	v_fma_f64 v[108:109], v[112:113], v[116:117], -v[108:109]
	v_mul_f64 v[112:113], v[112:113], v[110:111]
	v_add_f64 v[32:33], v[32:33], -v[108:109]
	s_delay_alu instid0(VALU_DEP_2) | instskip(NEXT) | instid1(VALU_DEP_1)
	v_fma_f64 v[112:113], v[114:115], v[116:117], v[112:113]
	v_add_f64 v[34:35], v[34:35], -v[112:113]
	ds_load_2addr_b64 v[112:115], v254 offset0:40 offset1:41
	s_waitcnt lgkmcnt(0)
	v_mul_f64 v[108:109], v[114:115], v[110:111]
	s_delay_alu instid0(VALU_DEP_1) | instskip(SKIP_1) | instid1(VALU_DEP_2)
	v_fma_f64 v[108:109], v[112:113], v[116:117], -v[108:109]
	v_mul_f64 v[112:113], v[112:113], v[110:111]
	v_add_f64 v[28:29], v[28:29], -v[108:109]
	s_delay_alu instid0(VALU_DEP_2) | instskip(NEXT) | instid1(VALU_DEP_1)
	v_fma_f64 v[112:113], v[114:115], v[116:117], v[112:113]
	v_add_f64 v[30:31], v[30:31], -v[112:113]
	ds_load_2addr_b64 v[112:115], v254 offset0:42 offset1:43
	s_waitcnt lgkmcnt(0)
	v_mul_f64 v[108:109], v[114:115], v[110:111]
	s_delay_alu instid0(VALU_DEP_1) | instskip(SKIP_1) | instid1(VALU_DEP_2)
	v_fma_f64 v[108:109], v[112:113], v[116:117], -v[108:109]
	v_mul_f64 v[112:113], v[112:113], v[110:111]
	v_add_f64 v[24:25], v[24:25], -v[108:109]
	s_delay_alu instid0(VALU_DEP_2) | instskip(NEXT) | instid1(VALU_DEP_1)
	v_fma_f64 v[112:113], v[114:115], v[116:117], v[112:113]
	v_add_f64 v[26:27], v[26:27], -v[112:113]
	ds_load_2addr_b64 v[112:115], v254 offset0:44 offset1:45
	s_waitcnt lgkmcnt(0)
	v_mul_f64 v[108:109], v[114:115], v[110:111]
	s_delay_alu instid0(VALU_DEP_1) | instskip(SKIP_1) | instid1(VALU_DEP_2)
	v_fma_f64 v[108:109], v[112:113], v[116:117], -v[108:109]
	v_mul_f64 v[112:113], v[112:113], v[110:111]
	v_add_f64 v[20:21], v[20:21], -v[108:109]
	s_delay_alu instid0(VALU_DEP_2) | instskip(NEXT) | instid1(VALU_DEP_1)
	v_fma_f64 v[112:113], v[114:115], v[116:117], v[112:113]
	v_add_f64 v[22:23], v[22:23], -v[112:113]
	ds_load_2addr_b64 v[112:115], v254 offset0:46 offset1:47
	s_waitcnt lgkmcnt(0)
	v_mul_f64 v[108:109], v[114:115], v[110:111]
	s_delay_alu instid0(VALU_DEP_1) | instskip(SKIP_1) | instid1(VALU_DEP_2)
	v_fma_f64 v[108:109], v[112:113], v[116:117], -v[108:109]
	v_mul_f64 v[112:113], v[112:113], v[110:111]
	v_add_f64 v[16:17], v[16:17], -v[108:109]
	s_delay_alu instid0(VALU_DEP_2) | instskip(NEXT) | instid1(VALU_DEP_1)
	v_fma_f64 v[112:113], v[114:115], v[116:117], v[112:113]
	v_add_f64 v[18:19], v[18:19], -v[112:113]
	ds_load_2addr_b64 v[112:115], v254 offset0:48 offset1:49
	s_waitcnt lgkmcnt(0)
	v_mul_f64 v[108:109], v[114:115], v[110:111]
	s_delay_alu instid0(VALU_DEP_1) | instskip(SKIP_1) | instid1(VALU_DEP_2)
	v_fma_f64 v[108:109], v[112:113], v[116:117], -v[108:109]
	v_mul_f64 v[112:113], v[112:113], v[110:111]
	v_add_f64 v[12:13], v[12:13], -v[108:109]
	s_delay_alu instid0(VALU_DEP_2) | instskip(NEXT) | instid1(VALU_DEP_1)
	v_fma_f64 v[112:113], v[114:115], v[116:117], v[112:113]
	v_add_f64 v[14:15], v[14:15], -v[112:113]
	ds_load_2addr_b64 v[112:115], v254 offset0:50 offset1:51
	s_waitcnt lgkmcnt(0)
	v_mul_f64 v[108:109], v[114:115], v[110:111]
	s_delay_alu instid0(VALU_DEP_1) | instskip(SKIP_1) | instid1(VALU_DEP_2)
	v_fma_f64 v[108:109], v[112:113], v[116:117], -v[108:109]
	v_mul_f64 v[112:113], v[112:113], v[110:111]
	v_add_f64 v[8:9], v[8:9], -v[108:109]
	s_delay_alu instid0(VALU_DEP_2) | instskip(NEXT) | instid1(VALU_DEP_1)
	v_fma_f64 v[112:113], v[114:115], v[116:117], v[112:113]
	v_add_f64 v[10:11], v[10:11], -v[112:113]
	ds_load_2addr_b64 v[112:115], v254 offset0:52 offset1:53
	s_waitcnt lgkmcnt(0)
	v_mul_f64 v[108:109], v[114:115], v[110:111]
	s_delay_alu instid0(VALU_DEP_1) | instskip(SKIP_1) | instid1(VALU_DEP_2)
	v_fma_f64 v[108:109], v[112:113], v[116:117], -v[108:109]
	v_mul_f64 v[112:113], v[112:113], v[110:111]
	v_add_f64 v[4:5], v[4:5], -v[108:109]
	s_delay_alu instid0(VALU_DEP_2) | instskip(NEXT) | instid1(VALU_DEP_1)
	v_fma_f64 v[112:113], v[114:115], v[116:117], v[112:113]
	v_add_f64 v[6:7], v[6:7], -v[112:113]
	ds_load_2addr_b64 v[112:115], v254 offset0:54 offset1:55
	s_waitcnt lgkmcnt(0)
	v_mul_f64 v[108:109], v[114:115], v[110:111]
	s_delay_alu instid0(VALU_DEP_1) | instskip(SKIP_1) | instid1(VALU_DEP_2)
	v_fma_f64 v[108:109], v[112:113], v[116:117], -v[108:109]
	v_mul_f64 v[112:113], v[112:113], v[110:111]
	v_add_f64 v[0:1], v[0:1], -v[108:109]
	s_delay_alu instid0(VALU_DEP_2) | instskip(SKIP_1) | instid1(VALU_DEP_2)
	v_fma_f64 v[112:113], v[114:115], v[116:117], v[112:113]
	v_dual_mov_b32 v108, v116 :: v_dual_mov_b32 v109, v117
	v_add_f64 v[2:3], v[2:3], -v[112:113]
.LBB55_10:
	s_or_b32 exec_lo, exec_lo, s4
	s_delay_alu instid0(SALU_CYCLE_1)
	s_mov_b32 s4, exec_lo
	s_waitcnt_vscnt null, 0x0
	s_barrier
	buffer_gl0_inv
	v_cmpx_eq_u32_e32 1, v252
	s_cbranch_execz .LBB55_17
; %bb.11:
	ds_store_2addr_b64 v253, v[104:105], v[106:107] offset1:1
	ds_store_2addr_b64 v254, v[100:101], v[102:103] offset0:4 offset1:5
	ds_store_2addr_b64 v254, v[96:97], v[98:99] offset0:6 offset1:7
	;; [unrolled: 1-line block ×26, first 2 shown]
	ds_load_2addr_b64 v[116:119], v253 offset1:1
	s_waitcnt lgkmcnt(0)
	v_cmp_neq_f64_e32 vcc_lo, 0, v[116:117]
	v_cmp_neq_f64_e64 s3, 0, v[118:119]
	s_delay_alu instid0(VALU_DEP_1) | instskip(NEXT) | instid1(SALU_CYCLE_1)
	s_or_b32 s3, vcc_lo, s3
	s_and_b32 exec_lo, exec_lo, s3
	s_cbranch_execz .LBB55_17
; %bb.12:
	v_cmp_gt_f64_e32 vcc_lo, 0, v[116:117]
	v_cmp_gt_f64_e64 s3, 0, v[118:119]
	v_xor_b32_e32 v112, 0x80000000, v117
	v_xor_b32_e32 v114, 0x80000000, v119
	s_delay_alu instid0(VALU_DEP_2) | instskip(NEXT) | instid1(VALU_DEP_2)
	v_cndmask_b32_e32 v113, v117, v112, vcc_lo
	v_cndmask_b32_e64 v115, v119, v114, s3
	v_cndmask_b32_e32 v112, v116, v116, vcc_lo
	v_cndmask_b32_e64 v114, v118, v118, s3
	s_delay_alu instid0(VALU_DEP_1) | instskip(SKIP_1) | instid1(SALU_CYCLE_1)
	v_cmp_ngt_f64_e32 vcc_lo, v[112:113], v[114:115]
                                        ; implicit-def: $vgpr112_vgpr113
	s_and_saveexec_b32 s3, vcc_lo
	s_xor_b32 s3, exec_lo, s3
                                        ; implicit-def: $vgpr120_vgpr121_vgpr122_vgpr123
	s_cbranch_execz .LBB55_14
; %bb.13:
	v_div_scale_f64 v[112:113], null, v[118:119], v[118:119], v[116:117]
	v_div_scale_f64 v[122:123], vcc_lo, v[116:117], v[118:119], v[116:117]
	s_delay_alu instid0(VALU_DEP_2) | instskip(SKIP_2) | instid1(VALU_DEP_1)
	v_rcp_f64_e32 v[114:115], v[112:113]
	s_waitcnt_depctr 0xfff
	v_fma_f64 v[120:121], -v[112:113], v[114:115], 1.0
	v_fma_f64 v[114:115], v[114:115], v[120:121], v[114:115]
	s_delay_alu instid0(VALU_DEP_1) | instskip(NEXT) | instid1(VALU_DEP_1)
	v_fma_f64 v[120:121], -v[112:113], v[114:115], 1.0
	v_fma_f64 v[114:115], v[114:115], v[120:121], v[114:115]
	s_delay_alu instid0(VALU_DEP_1) | instskip(NEXT) | instid1(VALU_DEP_1)
	v_mul_f64 v[120:121], v[122:123], v[114:115]
	v_fma_f64 v[112:113], -v[112:113], v[120:121], v[122:123]
	s_delay_alu instid0(VALU_DEP_1) | instskip(NEXT) | instid1(VALU_DEP_1)
	v_div_fmas_f64 v[112:113], v[112:113], v[114:115], v[120:121]
	v_div_fixup_f64 v[112:113], v[112:113], v[118:119], v[116:117]
	s_delay_alu instid0(VALU_DEP_1) | instskip(NEXT) | instid1(VALU_DEP_1)
	v_fma_f64 v[114:115], v[116:117], v[112:113], v[118:119]
	v_div_scale_f64 v[116:117], null, v[114:115], v[114:115], 1.0
	s_delay_alu instid0(VALU_DEP_1) | instskip(SKIP_2) | instid1(VALU_DEP_1)
	v_rcp_f64_e32 v[118:119], v[116:117]
	s_waitcnt_depctr 0xfff
	v_fma_f64 v[120:121], -v[116:117], v[118:119], 1.0
	v_fma_f64 v[118:119], v[118:119], v[120:121], v[118:119]
	s_delay_alu instid0(VALU_DEP_1) | instskip(NEXT) | instid1(VALU_DEP_1)
	v_fma_f64 v[120:121], -v[116:117], v[118:119], 1.0
	v_fma_f64 v[118:119], v[118:119], v[120:121], v[118:119]
	v_div_scale_f64 v[120:121], vcc_lo, 1.0, v[114:115], 1.0
	s_delay_alu instid0(VALU_DEP_1) | instskip(NEXT) | instid1(VALU_DEP_1)
	v_mul_f64 v[122:123], v[120:121], v[118:119]
	v_fma_f64 v[116:117], -v[116:117], v[122:123], v[120:121]
	s_delay_alu instid0(VALU_DEP_1) | instskip(NEXT) | instid1(VALU_DEP_1)
	v_div_fmas_f64 v[116:117], v[116:117], v[118:119], v[122:123]
	v_div_fixup_f64 v[122:123], v[116:117], v[114:115], 1.0
                                        ; implicit-def: $vgpr116_vgpr117
	s_delay_alu instid0(VALU_DEP_1)
	v_mul_f64 v[112:113], v[112:113], v[122:123]
	v_xor_b32_e32 v123, 0x80000000, v123
.LBB55_14:
	s_and_not1_saveexec_b32 s3, s3
	s_cbranch_execz .LBB55_16
; %bb.15:
	v_div_scale_f64 v[112:113], null, v[116:117], v[116:117], v[118:119]
	v_div_scale_f64 v[122:123], vcc_lo, v[118:119], v[116:117], v[118:119]
	s_delay_alu instid0(VALU_DEP_2) | instskip(SKIP_2) | instid1(VALU_DEP_1)
	v_rcp_f64_e32 v[114:115], v[112:113]
	s_waitcnt_depctr 0xfff
	v_fma_f64 v[120:121], -v[112:113], v[114:115], 1.0
	v_fma_f64 v[114:115], v[114:115], v[120:121], v[114:115]
	s_delay_alu instid0(VALU_DEP_1) | instskip(NEXT) | instid1(VALU_DEP_1)
	v_fma_f64 v[120:121], -v[112:113], v[114:115], 1.0
	v_fma_f64 v[114:115], v[114:115], v[120:121], v[114:115]
	s_delay_alu instid0(VALU_DEP_1) | instskip(NEXT) | instid1(VALU_DEP_1)
	v_mul_f64 v[120:121], v[122:123], v[114:115]
	v_fma_f64 v[112:113], -v[112:113], v[120:121], v[122:123]
	s_delay_alu instid0(VALU_DEP_1) | instskip(NEXT) | instid1(VALU_DEP_1)
	v_div_fmas_f64 v[112:113], v[112:113], v[114:115], v[120:121]
	v_div_fixup_f64 v[114:115], v[112:113], v[116:117], v[118:119]
	s_delay_alu instid0(VALU_DEP_1) | instskip(NEXT) | instid1(VALU_DEP_1)
	v_fma_f64 v[112:113], v[118:119], v[114:115], v[116:117]
	v_div_scale_f64 v[116:117], null, v[112:113], v[112:113], 1.0
	s_delay_alu instid0(VALU_DEP_1) | instskip(SKIP_2) | instid1(VALU_DEP_1)
	v_rcp_f64_e32 v[118:119], v[116:117]
	s_waitcnt_depctr 0xfff
	v_fma_f64 v[120:121], -v[116:117], v[118:119], 1.0
	v_fma_f64 v[118:119], v[118:119], v[120:121], v[118:119]
	s_delay_alu instid0(VALU_DEP_1) | instskip(NEXT) | instid1(VALU_DEP_1)
	v_fma_f64 v[120:121], -v[116:117], v[118:119], 1.0
	v_fma_f64 v[118:119], v[118:119], v[120:121], v[118:119]
	v_div_scale_f64 v[120:121], vcc_lo, 1.0, v[112:113], 1.0
	s_delay_alu instid0(VALU_DEP_1) | instskip(NEXT) | instid1(VALU_DEP_1)
	v_mul_f64 v[122:123], v[120:121], v[118:119]
	v_fma_f64 v[116:117], -v[116:117], v[122:123], v[120:121]
	s_delay_alu instid0(VALU_DEP_1) | instskip(NEXT) | instid1(VALU_DEP_1)
	v_div_fmas_f64 v[116:117], v[116:117], v[118:119], v[122:123]
	v_div_fixup_f64 v[112:113], v[116:117], v[112:113], 1.0
	s_delay_alu instid0(VALU_DEP_1)
	v_mul_f64 v[122:123], v[114:115], -v[112:113]
.LBB55_16:
	s_or_b32 exec_lo, exec_lo, s3
	ds_store_2addr_b64 v253, v[112:113], v[122:123] offset1:1
.LBB55_17:
	s_or_b32 exec_lo, exec_lo, s4
	s_waitcnt lgkmcnt(0)
	s_barrier
	buffer_gl0_inv
	ds_load_2addr_b64 v[116:119], v253 offset1:1
	s_mov_b32 s3, exec_lo
	v_cmpx_lt_u32_e32 1, v252
	s_cbranch_execz .LBB55_19
; %bb.18:
	s_waitcnt lgkmcnt(0)
	v_mul_f64 v[112:113], v[118:119], v[106:107]
	v_mul_f64 v[106:107], v[116:117], v[106:107]
	s_delay_alu instid0(VALU_DEP_2) | instskip(NEXT) | instid1(VALU_DEP_2)
	v_fma_f64 v[120:121], v[116:117], v[104:105], -v[112:113]
	v_fma_f64 v[106:107], v[118:119], v[104:105], v[106:107]
	ds_load_2addr_b64 v[112:115], v254 offset0:4 offset1:5
	s_waitcnt lgkmcnt(0)
	v_mul_f64 v[104:105], v[114:115], v[106:107]
	s_delay_alu instid0(VALU_DEP_1) | instskip(SKIP_1) | instid1(VALU_DEP_2)
	v_fma_f64 v[104:105], v[112:113], v[120:121], -v[104:105]
	v_mul_f64 v[112:113], v[112:113], v[106:107]
	v_add_f64 v[100:101], v[100:101], -v[104:105]
	s_delay_alu instid0(VALU_DEP_2) | instskip(NEXT) | instid1(VALU_DEP_1)
	v_fma_f64 v[112:113], v[114:115], v[120:121], v[112:113]
	v_add_f64 v[102:103], v[102:103], -v[112:113]
	ds_load_2addr_b64 v[112:115], v254 offset0:6 offset1:7
	s_waitcnt lgkmcnt(0)
	v_mul_f64 v[104:105], v[114:115], v[106:107]
	s_delay_alu instid0(VALU_DEP_1) | instskip(SKIP_1) | instid1(VALU_DEP_2)
	v_fma_f64 v[104:105], v[112:113], v[120:121], -v[104:105]
	v_mul_f64 v[112:113], v[112:113], v[106:107]
	v_add_f64 v[96:97], v[96:97], -v[104:105]
	s_delay_alu instid0(VALU_DEP_2) | instskip(NEXT) | instid1(VALU_DEP_1)
	v_fma_f64 v[112:113], v[114:115], v[120:121], v[112:113]
	v_add_f64 v[98:99], v[98:99], -v[112:113]
	;; [unrolled: 10-line block ×25, first 2 shown]
	ds_load_2addr_b64 v[112:115], v254 offset0:54 offset1:55
	s_waitcnt lgkmcnt(0)
	v_mul_f64 v[104:105], v[114:115], v[106:107]
	s_delay_alu instid0(VALU_DEP_1) | instskip(SKIP_1) | instid1(VALU_DEP_2)
	v_fma_f64 v[104:105], v[112:113], v[120:121], -v[104:105]
	v_mul_f64 v[112:113], v[112:113], v[106:107]
	v_add_f64 v[0:1], v[0:1], -v[104:105]
	s_delay_alu instid0(VALU_DEP_2) | instskip(SKIP_1) | instid1(VALU_DEP_2)
	v_fma_f64 v[112:113], v[114:115], v[120:121], v[112:113]
	v_dual_mov_b32 v104, v120 :: v_dual_mov_b32 v105, v121
	v_add_f64 v[2:3], v[2:3], -v[112:113]
.LBB55_19:
	s_or_b32 exec_lo, exec_lo, s3
	s_delay_alu instid0(SALU_CYCLE_1)
	s_mov_b32 s4, exec_lo
	s_waitcnt lgkmcnt(0)
	s_barrier
	buffer_gl0_inv
	v_cmpx_eq_u32_e32 2, v252
	s_cbranch_execz .LBB55_26
; %bb.20:
	ds_store_2addr_b64 v253, v[100:101], v[102:103] offset1:1
	ds_store_2addr_b64 v254, v[96:97], v[98:99] offset0:6 offset1:7
	ds_store_2addr_b64 v254, v[92:93], v[94:95] offset0:8 offset1:9
	;; [unrolled: 1-line block ×25, first 2 shown]
	ds_load_2addr_b64 v[120:123], v253 offset1:1
	s_waitcnt lgkmcnt(0)
	v_cmp_neq_f64_e32 vcc_lo, 0, v[120:121]
	v_cmp_neq_f64_e64 s3, 0, v[122:123]
	s_delay_alu instid0(VALU_DEP_1) | instskip(NEXT) | instid1(SALU_CYCLE_1)
	s_or_b32 s3, vcc_lo, s3
	s_and_b32 exec_lo, exec_lo, s3
	s_cbranch_execz .LBB55_26
; %bb.21:
	v_cmp_gt_f64_e32 vcc_lo, 0, v[120:121]
	v_cmp_gt_f64_e64 s3, 0, v[122:123]
	v_xor_b32_e32 v112, 0x80000000, v121
	v_xor_b32_e32 v114, 0x80000000, v123
	s_delay_alu instid0(VALU_DEP_2) | instskip(NEXT) | instid1(VALU_DEP_2)
	v_cndmask_b32_e32 v113, v121, v112, vcc_lo
	v_cndmask_b32_e64 v115, v123, v114, s3
	v_cndmask_b32_e32 v112, v120, v120, vcc_lo
	v_cndmask_b32_e64 v114, v122, v122, s3
	s_delay_alu instid0(VALU_DEP_1) | instskip(SKIP_1) | instid1(SALU_CYCLE_1)
	v_cmp_ngt_f64_e32 vcc_lo, v[112:113], v[114:115]
                                        ; implicit-def: $vgpr112_vgpr113
	s_and_saveexec_b32 s3, vcc_lo
	s_xor_b32 s3, exec_lo, s3
                                        ; implicit-def: $vgpr124_vgpr125_vgpr126_vgpr127
	s_cbranch_execz .LBB55_23
; %bb.22:
	v_div_scale_f64 v[112:113], null, v[122:123], v[122:123], v[120:121]
	v_div_scale_f64 v[126:127], vcc_lo, v[120:121], v[122:123], v[120:121]
	s_delay_alu instid0(VALU_DEP_2) | instskip(SKIP_2) | instid1(VALU_DEP_1)
	v_rcp_f64_e32 v[114:115], v[112:113]
	s_waitcnt_depctr 0xfff
	v_fma_f64 v[124:125], -v[112:113], v[114:115], 1.0
	v_fma_f64 v[114:115], v[114:115], v[124:125], v[114:115]
	s_delay_alu instid0(VALU_DEP_1) | instskip(NEXT) | instid1(VALU_DEP_1)
	v_fma_f64 v[124:125], -v[112:113], v[114:115], 1.0
	v_fma_f64 v[114:115], v[114:115], v[124:125], v[114:115]
	s_delay_alu instid0(VALU_DEP_1) | instskip(NEXT) | instid1(VALU_DEP_1)
	v_mul_f64 v[124:125], v[126:127], v[114:115]
	v_fma_f64 v[112:113], -v[112:113], v[124:125], v[126:127]
	s_delay_alu instid0(VALU_DEP_1) | instskip(NEXT) | instid1(VALU_DEP_1)
	v_div_fmas_f64 v[112:113], v[112:113], v[114:115], v[124:125]
	v_div_fixup_f64 v[112:113], v[112:113], v[122:123], v[120:121]
	s_delay_alu instid0(VALU_DEP_1) | instskip(NEXT) | instid1(VALU_DEP_1)
	v_fma_f64 v[114:115], v[120:121], v[112:113], v[122:123]
	v_div_scale_f64 v[120:121], null, v[114:115], v[114:115], 1.0
	s_delay_alu instid0(VALU_DEP_1) | instskip(SKIP_2) | instid1(VALU_DEP_1)
	v_rcp_f64_e32 v[122:123], v[120:121]
	s_waitcnt_depctr 0xfff
	v_fma_f64 v[124:125], -v[120:121], v[122:123], 1.0
	v_fma_f64 v[122:123], v[122:123], v[124:125], v[122:123]
	s_delay_alu instid0(VALU_DEP_1) | instskip(NEXT) | instid1(VALU_DEP_1)
	v_fma_f64 v[124:125], -v[120:121], v[122:123], 1.0
	v_fma_f64 v[122:123], v[122:123], v[124:125], v[122:123]
	v_div_scale_f64 v[124:125], vcc_lo, 1.0, v[114:115], 1.0
	s_delay_alu instid0(VALU_DEP_1) | instskip(NEXT) | instid1(VALU_DEP_1)
	v_mul_f64 v[126:127], v[124:125], v[122:123]
	v_fma_f64 v[120:121], -v[120:121], v[126:127], v[124:125]
	s_delay_alu instid0(VALU_DEP_1) | instskip(NEXT) | instid1(VALU_DEP_1)
	v_div_fmas_f64 v[120:121], v[120:121], v[122:123], v[126:127]
	v_div_fixup_f64 v[126:127], v[120:121], v[114:115], 1.0
                                        ; implicit-def: $vgpr120_vgpr121
	s_delay_alu instid0(VALU_DEP_1)
	v_mul_f64 v[112:113], v[112:113], v[126:127]
	v_xor_b32_e32 v127, 0x80000000, v127
.LBB55_23:
	s_and_not1_saveexec_b32 s3, s3
	s_cbranch_execz .LBB55_25
; %bb.24:
	v_div_scale_f64 v[112:113], null, v[120:121], v[120:121], v[122:123]
	v_div_scale_f64 v[126:127], vcc_lo, v[122:123], v[120:121], v[122:123]
	s_delay_alu instid0(VALU_DEP_2) | instskip(SKIP_2) | instid1(VALU_DEP_1)
	v_rcp_f64_e32 v[114:115], v[112:113]
	s_waitcnt_depctr 0xfff
	v_fma_f64 v[124:125], -v[112:113], v[114:115], 1.0
	v_fma_f64 v[114:115], v[114:115], v[124:125], v[114:115]
	s_delay_alu instid0(VALU_DEP_1) | instskip(NEXT) | instid1(VALU_DEP_1)
	v_fma_f64 v[124:125], -v[112:113], v[114:115], 1.0
	v_fma_f64 v[114:115], v[114:115], v[124:125], v[114:115]
	s_delay_alu instid0(VALU_DEP_1) | instskip(NEXT) | instid1(VALU_DEP_1)
	v_mul_f64 v[124:125], v[126:127], v[114:115]
	v_fma_f64 v[112:113], -v[112:113], v[124:125], v[126:127]
	s_delay_alu instid0(VALU_DEP_1) | instskip(NEXT) | instid1(VALU_DEP_1)
	v_div_fmas_f64 v[112:113], v[112:113], v[114:115], v[124:125]
	v_div_fixup_f64 v[114:115], v[112:113], v[120:121], v[122:123]
	s_delay_alu instid0(VALU_DEP_1) | instskip(NEXT) | instid1(VALU_DEP_1)
	v_fma_f64 v[112:113], v[122:123], v[114:115], v[120:121]
	v_div_scale_f64 v[120:121], null, v[112:113], v[112:113], 1.0
	s_delay_alu instid0(VALU_DEP_1) | instskip(SKIP_2) | instid1(VALU_DEP_1)
	v_rcp_f64_e32 v[122:123], v[120:121]
	s_waitcnt_depctr 0xfff
	v_fma_f64 v[124:125], -v[120:121], v[122:123], 1.0
	v_fma_f64 v[122:123], v[122:123], v[124:125], v[122:123]
	s_delay_alu instid0(VALU_DEP_1) | instskip(NEXT) | instid1(VALU_DEP_1)
	v_fma_f64 v[124:125], -v[120:121], v[122:123], 1.0
	v_fma_f64 v[122:123], v[122:123], v[124:125], v[122:123]
	v_div_scale_f64 v[124:125], vcc_lo, 1.0, v[112:113], 1.0
	s_delay_alu instid0(VALU_DEP_1) | instskip(NEXT) | instid1(VALU_DEP_1)
	v_mul_f64 v[126:127], v[124:125], v[122:123]
	v_fma_f64 v[120:121], -v[120:121], v[126:127], v[124:125]
	s_delay_alu instid0(VALU_DEP_1) | instskip(NEXT) | instid1(VALU_DEP_1)
	v_div_fmas_f64 v[120:121], v[120:121], v[122:123], v[126:127]
	v_div_fixup_f64 v[112:113], v[120:121], v[112:113], 1.0
	s_delay_alu instid0(VALU_DEP_1)
	v_mul_f64 v[126:127], v[114:115], -v[112:113]
.LBB55_25:
	s_or_b32 exec_lo, exec_lo, s3
	ds_store_2addr_b64 v253, v[112:113], v[126:127] offset1:1
.LBB55_26:
	s_or_b32 exec_lo, exec_lo, s4
	s_waitcnt lgkmcnt(0)
	s_barrier
	buffer_gl0_inv
	ds_load_2addr_b64 v[120:123], v253 offset1:1
	s_mov_b32 s3, exec_lo
	v_cmpx_lt_u32_e32 2, v252
	s_cbranch_execz .LBB55_28
; %bb.27:
	s_waitcnt lgkmcnt(0)
	v_mul_f64 v[112:113], v[122:123], v[102:103]
	v_mul_f64 v[102:103], v[120:121], v[102:103]
	s_delay_alu instid0(VALU_DEP_2) | instskip(NEXT) | instid1(VALU_DEP_2)
	v_fma_f64 v[124:125], v[120:121], v[100:101], -v[112:113]
	v_fma_f64 v[102:103], v[122:123], v[100:101], v[102:103]
	ds_load_2addr_b64 v[112:115], v254 offset0:6 offset1:7
	s_waitcnt lgkmcnt(0)
	v_mul_f64 v[100:101], v[114:115], v[102:103]
	s_delay_alu instid0(VALU_DEP_1) | instskip(SKIP_1) | instid1(VALU_DEP_2)
	v_fma_f64 v[100:101], v[112:113], v[124:125], -v[100:101]
	v_mul_f64 v[112:113], v[112:113], v[102:103]
	v_add_f64 v[96:97], v[96:97], -v[100:101]
	s_delay_alu instid0(VALU_DEP_2) | instskip(NEXT) | instid1(VALU_DEP_1)
	v_fma_f64 v[112:113], v[114:115], v[124:125], v[112:113]
	v_add_f64 v[98:99], v[98:99], -v[112:113]
	ds_load_2addr_b64 v[112:115], v254 offset0:8 offset1:9
	s_waitcnt lgkmcnt(0)
	v_mul_f64 v[100:101], v[114:115], v[102:103]
	s_delay_alu instid0(VALU_DEP_1) | instskip(SKIP_1) | instid1(VALU_DEP_2)
	v_fma_f64 v[100:101], v[112:113], v[124:125], -v[100:101]
	v_mul_f64 v[112:113], v[112:113], v[102:103]
	v_add_f64 v[92:93], v[92:93], -v[100:101]
	s_delay_alu instid0(VALU_DEP_2) | instskip(NEXT) | instid1(VALU_DEP_1)
	v_fma_f64 v[112:113], v[114:115], v[124:125], v[112:113]
	v_add_f64 v[94:95], v[94:95], -v[112:113]
	;; [unrolled: 10-line block ×24, first 2 shown]
	ds_load_2addr_b64 v[112:115], v254 offset0:54 offset1:55
	s_waitcnt lgkmcnt(0)
	v_mul_f64 v[100:101], v[114:115], v[102:103]
	s_delay_alu instid0(VALU_DEP_1) | instskip(SKIP_1) | instid1(VALU_DEP_2)
	v_fma_f64 v[100:101], v[112:113], v[124:125], -v[100:101]
	v_mul_f64 v[112:113], v[112:113], v[102:103]
	v_add_f64 v[0:1], v[0:1], -v[100:101]
	s_delay_alu instid0(VALU_DEP_2) | instskip(SKIP_1) | instid1(VALU_DEP_2)
	v_fma_f64 v[112:113], v[114:115], v[124:125], v[112:113]
	v_dual_mov_b32 v100, v124 :: v_dual_mov_b32 v101, v125
	v_add_f64 v[2:3], v[2:3], -v[112:113]
.LBB55_28:
	s_or_b32 exec_lo, exec_lo, s3
	s_delay_alu instid0(SALU_CYCLE_1)
	s_mov_b32 s4, exec_lo
	s_waitcnt lgkmcnt(0)
	s_barrier
	buffer_gl0_inv
	v_cmpx_eq_u32_e32 3, v252
	s_cbranch_execz .LBB55_35
; %bb.29:
	ds_store_2addr_b64 v253, v[96:97], v[98:99] offset1:1
	ds_store_2addr_b64 v254, v[92:93], v[94:95] offset0:8 offset1:9
	ds_store_2addr_b64 v254, v[88:89], v[90:91] offset0:10 offset1:11
	;; [unrolled: 1-line block ×24, first 2 shown]
	ds_load_2addr_b64 v[124:127], v253 offset1:1
	s_waitcnt lgkmcnt(0)
	v_cmp_neq_f64_e32 vcc_lo, 0, v[124:125]
	v_cmp_neq_f64_e64 s3, 0, v[126:127]
	s_delay_alu instid0(VALU_DEP_1) | instskip(NEXT) | instid1(SALU_CYCLE_1)
	s_or_b32 s3, vcc_lo, s3
	s_and_b32 exec_lo, exec_lo, s3
	s_cbranch_execz .LBB55_35
; %bb.30:
	v_cmp_gt_f64_e32 vcc_lo, 0, v[124:125]
	v_cmp_gt_f64_e64 s3, 0, v[126:127]
	v_xor_b32_e32 v112, 0x80000000, v125
	v_xor_b32_e32 v114, 0x80000000, v127
	s_delay_alu instid0(VALU_DEP_2) | instskip(NEXT) | instid1(VALU_DEP_2)
	v_cndmask_b32_e32 v113, v125, v112, vcc_lo
	v_cndmask_b32_e64 v115, v127, v114, s3
	v_cndmask_b32_e32 v112, v124, v124, vcc_lo
	v_cndmask_b32_e64 v114, v126, v126, s3
	s_delay_alu instid0(VALU_DEP_1) | instskip(SKIP_1) | instid1(SALU_CYCLE_1)
	v_cmp_ngt_f64_e32 vcc_lo, v[112:113], v[114:115]
                                        ; implicit-def: $vgpr112_vgpr113
	s_and_saveexec_b32 s3, vcc_lo
	s_xor_b32 s3, exec_lo, s3
                                        ; implicit-def: $vgpr128_vgpr129_vgpr130_vgpr131
	s_cbranch_execz .LBB55_32
; %bb.31:
	v_div_scale_f64 v[112:113], null, v[126:127], v[126:127], v[124:125]
	v_div_scale_f64 v[130:131], vcc_lo, v[124:125], v[126:127], v[124:125]
	s_delay_alu instid0(VALU_DEP_2) | instskip(SKIP_2) | instid1(VALU_DEP_1)
	v_rcp_f64_e32 v[114:115], v[112:113]
	s_waitcnt_depctr 0xfff
	v_fma_f64 v[128:129], -v[112:113], v[114:115], 1.0
	v_fma_f64 v[114:115], v[114:115], v[128:129], v[114:115]
	s_delay_alu instid0(VALU_DEP_1) | instskip(NEXT) | instid1(VALU_DEP_1)
	v_fma_f64 v[128:129], -v[112:113], v[114:115], 1.0
	v_fma_f64 v[114:115], v[114:115], v[128:129], v[114:115]
	s_delay_alu instid0(VALU_DEP_1) | instskip(NEXT) | instid1(VALU_DEP_1)
	v_mul_f64 v[128:129], v[130:131], v[114:115]
	v_fma_f64 v[112:113], -v[112:113], v[128:129], v[130:131]
	s_delay_alu instid0(VALU_DEP_1) | instskip(NEXT) | instid1(VALU_DEP_1)
	v_div_fmas_f64 v[112:113], v[112:113], v[114:115], v[128:129]
	v_div_fixup_f64 v[112:113], v[112:113], v[126:127], v[124:125]
	s_delay_alu instid0(VALU_DEP_1) | instskip(NEXT) | instid1(VALU_DEP_1)
	v_fma_f64 v[114:115], v[124:125], v[112:113], v[126:127]
	v_div_scale_f64 v[124:125], null, v[114:115], v[114:115], 1.0
	s_delay_alu instid0(VALU_DEP_1) | instskip(SKIP_2) | instid1(VALU_DEP_1)
	v_rcp_f64_e32 v[126:127], v[124:125]
	s_waitcnt_depctr 0xfff
	v_fma_f64 v[128:129], -v[124:125], v[126:127], 1.0
	v_fma_f64 v[126:127], v[126:127], v[128:129], v[126:127]
	s_delay_alu instid0(VALU_DEP_1) | instskip(NEXT) | instid1(VALU_DEP_1)
	v_fma_f64 v[128:129], -v[124:125], v[126:127], 1.0
	v_fma_f64 v[126:127], v[126:127], v[128:129], v[126:127]
	v_div_scale_f64 v[128:129], vcc_lo, 1.0, v[114:115], 1.0
	s_delay_alu instid0(VALU_DEP_1) | instskip(NEXT) | instid1(VALU_DEP_1)
	v_mul_f64 v[130:131], v[128:129], v[126:127]
	v_fma_f64 v[124:125], -v[124:125], v[130:131], v[128:129]
	s_delay_alu instid0(VALU_DEP_1) | instskip(NEXT) | instid1(VALU_DEP_1)
	v_div_fmas_f64 v[124:125], v[124:125], v[126:127], v[130:131]
	v_div_fixup_f64 v[130:131], v[124:125], v[114:115], 1.0
                                        ; implicit-def: $vgpr124_vgpr125
	s_delay_alu instid0(VALU_DEP_1)
	v_mul_f64 v[112:113], v[112:113], v[130:131]
	v_xor_b32_e32 v131, 0x80000000, v131
.LBB55_32:
	s_and_not1_saveexec_b32 s3, s3
	s_cbranch_execz .LBB55_34
; %bb.33:
	v_div_scale_f64 v[112:113], null, v[124:125], v[124:125], v[126:127]
	v_div_scale_f64 v[130:131], vcc_lo, v[126:127], v[124:125], v[126:127]
	s_delay_alu instid0(VALU_DEP_2) | instskip(SKIP_2) | instid1(VALU_DEP_1)
	v_rcp_f64_e32 v[114:115], v[112:113]
	s_waitcnt_depctr 0xfff
	v_fma_f64 v[128:129], -v[112:113], v[114:115], 1.0
	v_fma_f64 v[114:115], v[114:115], v[128:129], v[114:115]
	s_delay_alu instid0(VALU_DEP_1) | instskip(NEXT) | instid1(VALU_DEP_1)
	v_fma_f64 v[128:129], -v[112:113], v[114:115], 1.0
	v_fma_f64 v[114:115], v[114:115], v[128:129], v[114:115]
	s_delay_alu instid0(VALU_DEP_1) | instskip(NEXT) | instid1(VALU_DEP_1)
	v_mul_f64 v[128:129], v[130:131], v[114:115]
	v_fma_f64 v[112:113], -v[112:113], v[128:129], v[130:131]
	s_delay_alu instid0(VALU_DEP_1) | instskip(NEXT) | instid1(VALU_DEP_1)
	v_div_fmas_f64 v[112:113], v[112:113], v[114:115], v[128:129]
	v_div_fixup_f64 v[114:115], v[112:113], v[124:125], v[126:127]
	s_delay_alu instid0(VALU_DEP_1) | instskip(NEXT) | instid1(VALU_DEP_1)
	v_fma_f64 v[112:113], v[126:127], v[114:115], v[124:125]
	v_div_scale_f64 v[124:125], null, v[112:113], v[112:113], 1.0
	s_delay_alu instid0(VALU_DEP_1) | instskip(SKIP_2) | instid1(VALU_DEP_1)
	v_rcp_f64_e32 v[126:127], v[124:125]
	s_waitcnt_depctr 0xfff
	v_fma_f64 v[128:129], -v[124:125], v[126:127], 1.0
	v_fma_f64 v[126:127], v[126:127], v[128:129], v[126:127]
	s_delay_alu instid0(VALU_DEP_1) | instskip(NEXT) | instid1(VALU_DEP_1)
	v_fma_f64 v[128:129], -v[124:125], v[126:127], 1.0
	v_fma_f64 v[126:127], v[126:127], v[128:129], v[126:127]
	v_div_scale_f64 v[128:129], vcc_lo, 1.0, v[112:113], 1.0
	s_delay_alu instid0(VALU_DEP_1) | instskip(NEXT) | instid1(VALU_DEP_1)
	v_mul_f64 v[130:131], v[128:129], v[126:127]
	v_fma_f64 v[124:125], -v[124:125], v[130:131], v[128:129]
	s_delay_alu instid0(VALU_DEP_1) | instskip(NEXT) | instid1(VALU_DEP_1)
	v_div_fmas_f64 v[124:125], v[124:125], v[126:127], v[130:131]
	v_div_fixup_f64 v[112:113], v[124:125], v[112:113], 1.0
	s_delay_alu instid0(VALU_DEP_1)
	v_mul_f64 v[130:131], v[114:115], -v[112:113]
.LBB55_34:
	s_or_b32 exec_lo, exec_lo, s3
	ds_store_2addr_b64 v253, v[112:113], v[130:131] offset1:1
.LBB55_35:
	s_or_b32 exec_lo, exec_lo, s4
	s_waitcnt lgkmcnt(0)
	s_barrier
	buffer_gl0_inv
	ds_load_2addr_b64 v[124:127], v253 offset1:1
	s_mov_b32 s3, exec_lo
	v_cmpx_lt_u32_e32 3, v252
	s_cbranch_execz .LBB55_37
; %bb.36:
	s_waitcnt lgkmcnt(0)
	v_mul_f64 v[112:113], v[126:127], v[98:99]
	v_mul_f64 v[98:99], v[124:125], v[98:99]
	s_delay_alu instid0(VALU_DEP_2) | instskip(NEXT) | instid1(VALU_DEP_2)
	v_fma_f64 v[128:129], v[124:125], v[96:97], -v[112:113]
	v_fma_f64 v[98:99], v[126:127], v[96:97], v[98:99]
	ds_load_2addr_b64 v[112:115], v254 offset0:8 offset1:9
	s_waitcnt lgkmcnt(0)
	v_mul_f64 v[96:97], v[114:115], v[98:99]
	s_delay_alu instid0(VALU_DEP_1) | instskip(SKIP_1) | instid1(VALU_DEP_2)
	v_fma_f64 v[96:97], v[112:113], v[128:129], -v[96:97]
	v_mul_f64 v[112:113], v[112:113], v[98:99]
	v_add_f64 v[92:93], v[92:93], -v[96:97]
	s_delay_alu instid0(VALU_DEP_2) | instskip(NEXT) | instid1(VALU_DEP_1)
	v_fma_f64 v[112:113], v[114:115], v[128:129], v[112:113]
	v_add_f64 v[94:95], v[94:95], -v[112:113]
	ds_load_2addr_b64 v[112:115], v254 offset0:10 offset1:11
	s_waitcnt lgkmcnt(0)
	v_mul_f64 v[96:97], v[114:115], v[98:99]
	s_delay_alu instid0(VALU_DEP_1) | instskip(SKIP_1) | instid1(VALU_DEP_2)
	v_fma_f64 v[96:97], v[112:113], v[128:129], -v[96:97]
	v_mul_f64 v[112:113], v[112:113], v[98:99]
	v_add_f64 v[88:89], v[88:89], -v[96:97]
	s_delay_alu instid0(VALU_DEP_2) | instskip(NEXT) | instid1(VALU_DEP_1)
	v_fma_f64 v[112:113], v[114:115], v[128:129], v[112:113]
	v_add_f64 v[90:91], v[90:91], -v[112:113]
	;; [unrolled: 10-line block ×23, first 2 shown]
	ds_load_2addr_b64 v[112:115], v254 offset0:54 offset1:55
	s_waitcnt lgkmcnt(0)
	v_mul_f64 v[96:97], v[114:115], v[98:99]
	s_delay_alu instid0(VALU_DEP_1) | instskip(SKIP_1) | instid1(VALU_DEP_2)
	v_fma_f64 v[96:97], v[112:113], v[128:129], -v[96:97]
	v_mul_f64 v[112:113], v[112:113], v[98:99]
	v_add_f64 v[0:1], v[0:1], -v[96:97]
	s_delay_alu instid0(VALU_DEP_2) | instskip(SKIP_1) | instid1(VALU_DEP_2)
	v_fma_f64 v[112:113], v[114:115], v[128:129], v[112:113]
	v_dual_mov_b32 v96, v128 :: v_dual_mov_b32 v97, v129
	v_add_f64 v[2:3], v[2:3], -v[112:113]
.LBB55_37:
	s_or_b32 exec_lo, exec_lo, s3
	s_delay_alu instid0(SALU_CYCLE_1)
	s_mov_b32 s4, exec_lo
	s_waitcnt lgkmcnt(0)
	s_barrier
	buffer_gl0_inv
	v_cmpx_eq_u32_e32 4, v252
	s_cbranch_execz .LBB55_44
; %bb.38:
	ds_store_2addr_b64 v253, v[92:93], v[94:95] offset1:1
	ds_store_2addr_b64 v254, v[88:89], v[90:91] offset0:10 offset1:11
	ds_store_2addr_b64 v254, v[84:85], v[86:87] offset0:12 offset1:13
	;; [unrolled: 1-line block ×23, first 2 shown]
	ds_load_2addr_b64 v[128:131], v253 offset1:1
	s_waitcnt lgkmcnt(0)
	v_cmp_neq_f64_e32 vcc_lo, 0, v[128:129]
	v_cmp_neq_f64_e64 s3, 0, v[130:131]
	s_delay_alu instid0(VALU_DEP_1) | instskip(NEXT) | instid1(SALU_CYCLE_1)
	s_or_b32 s3, vcc_lo, s3
	s_and_b32 exec_lo, exec_lo, s3
	s_cbranch_execz .LBB55_44
; %bb.39:
	v_cmp_gt_f64_e32 vcc_lo, 0, v[128:129]
	v_cmp_gt_f64_e64 s3, 0, v[130:131]
	v_xor_b32_e32 v112, 0x80000000, v129
	v_xor_b32_e32 v114, 0x80000000, v131
	s_delay_alu instid0(VALU_DEP_2) | instskip(NEXT) | instid1(VALU_DEP_2)
	v_cndmask_b32_e32 v113, v129, v112, vcc_lo
	v_cndmask_b32_e64 v115, v131, v114, s3
	v_cndmask_b32_e32 v112, v128, v128, vcc_lo
	v_cndmask_b32_e64 v114, v130, v130, s3
	s_delay_alu instid0(VALU_DEP_1) | instskip(SKIP_1) | instid1(SALU_CYCLE_1)
	v_cmp_ngt_f64_e32 vcc_lo, v[112:113], v[114:115]
                                        ; implicit-def: $vgpr112_vgpr113
	s_and_saveexec_b32 s3, vcc_lo
	s_xor_b32 s3, exec_lo, s3
                                        ; implicit-def: $vgpr132_vgpr133_vgpr134_vgpr135
	s_cbranch_execz .LBB55_41
; %bb.40:
	v_div_scale_f64 v[112:113], null, v[130:131], v[130:131], v[128:129]
	v_div_scale_f64 v[134:135], vcc_lo, v[128:129], v[130:131], v[128:129]
	s_delay_alu instid0(VALU_DEP_2) | instskip(SKIP_2) | instid1(VALU_DEP_1)
	v_rcp_f64_e32 v[114:115], v[112:113]
	s_waitcnt_depctr 0xfff
	v_fma_f64 v[132:133], -v[112:113], v[114:115], 1.0
	v_fma_f64 v[114:115], v[114:115], v[132:133], v[114:115]
	s_delay_alu instid0(VALU_DEP_1) | instskip(NEXT) | instid1(VALU_DEP_1)
	v_fma_f64 v[132:133], -v[112:113], v[114:115], 1.0
	v_fma_f64 v[114:115], v[114:115], v[132:133], v[114:115]
	s_delay_alu instid0(VALU_DEP_1) | instskip(NEXT) | instid1(VALU_DEP_1)
	v_mul_f64 v[132:133], v[134:135], v[114:115]
	v_fma_f64 v[112:113], -v[112:113], v[132:133], v[134:135]
	s_delay_alu instid0(VALU_DEP_1) | instskip(NEXT) | instid1(VALU_DEP_1)
	v_div_fmas_f64 v[112:113], v[112:113], v[114:115], v[132:133]
	v_div_fixup_f64 v[112:113], v[112:113], v[130:131], v[128:129]
	s_delay_alu instid0(VALU_DEP_1) | instskip(NEXT) | instid1(VALU_DEP_1)
	v_fma_f64 v[114:115], v[128:129], v[112:113], v[130:131]
	v_div_scale_f64 v[128:129], null, v[114:115], v[114:115], 1.0
	s_delay_alu instid0(VALU_DEP_1) | instskip(SKIP_2) | instid1(VALU_DEP_1)
	v_rcp_f64_e32 v[130:131], v[128:129]
	s_waitcnt_depctr 0xfff
	v_fma_f64 v[132:133], -v[128:129], v[130:131], 1.0
	v_fma_f64 v[130:131], v[130:131], v[132:133], v[130:131]
	s_delay_alu instid0(VALU_DEP_1) | instskip(NEXT) | instid1(VALU_DEP_1)
	v_fma_f64 v[132:133], -v[128:129], v[130:131], 1.0
	v_fma_f64 v[130:131], v[130:131], v[132:133], v[130:131]
	v_div_scale_f64 v[132:133], vcc_lo, 1.0, v[114:115], 1.0
	s_delay_alu instid0(VALU_DEP_1) | instskip(NEXT) | instid1(VALU_DEP_1)
	v_mul_f64 v[134:135], v[132:133], v[130:131]
	v_fma_f64 v[128:129], -v[128:129], v[134:135], v[132:133]
	s_delay_alu instid0(VALU_DEP_1) | instskip(NEXT) | instid1(VALU_DEP_1)
	v_div_fmas_f64 v[128:129], v[128:129], v[130:131], v[134:135]
	v_div_fixup_f64 v[134:135], v[128:129], v[114:115], 1.0
                                        ; implicit-def: $vgpr128_vgpr129
	s_delay_alu instid0(VALU_DEP_1)
	v_mul_f64 v[112:113], v[112:113], v[134:135]
	v_xor_b32_e32 v135, 0x80000000, v135
.LBB55_41:
	s_and_not1_saveexec_b32 s3, s3
	s_cbranch_execz .LBB55_43
; %bb.42:
	v_div_scale_f64 v[112:113], null, v[128:129], v[128:129], v[130:131]
	v_div_scale_f64 v[134:135], vcc_lo, v[130:131], v[128:129], v[130:131]
	s_delay_alu instid0(VALU_DEP_2) | instskip(SKIP_2) | instid1(VALU_DEP_1)
	v_rcp_f64_e32 v[114:115], v[112:113]
	s_waitcnt_depctr 0xfff
	v_fma_f64 v[132:133], -v[112:113], v[114:115], 1.0
	v_fma_f64 v[114:115], v[114:115], v[132:133], v[114:115]
	s_delay_alu instid0(VALU_DEP_1) | instskip(NEXT) | instid1(VALU_DEP_1)
	v_fma_f64 v[132:133], -v[112:113], v[114:115], 1.0
	v_fma_f64 v[114:115], v[114:115], v[132:133], v[114:115]
	s_delay_alu instid0(VALU_DEP_1) | instskip(NEXT) | instid1(VALU_DEP_1)
	v_mul_f64 v[132:133], v[134:135], v[114:115]
	v_fma_f64 v[112:113], -v[112:113], v[132:133], v[134:135]
	s_delay_alu instid0(VALU_DEP_1) | instskip(NEXT) | instid1(VALU_DEP_1)
	v_div_fmas_f64 v[112:113], v[112:113], v[114:115], v[132:133]
	v_div_fixup_f64 v[114:115], v[112:113], v[128:129], v[130:131]
	s_delay_alu instid0(VALU_DEP_1) | instskip(NEXT) | instid1(VALU_DEP_1)
	v_fma_f64 v[112:113], v[130:131], v[114:115], v[128:129]
	v_div_scale_f64 v[128:129], null, v[112:113], v[112:113], 1.0
	s_delay_alu instid0(VALU_DEP_1) | instskip(SKIP_2) | instid1(VALU_DEP_1)
	v_rcp_f64_e32 v[130:131], v[128:129]
	s_waitcnt_depctr 0xfff
	v_fma_f64 v[132:133], -v[128:129], v[130:131], 1.0
	v_fma_f64 v[130:131], v[130:131], v[132:133], v[130:131]
	s_delay_alu instid0(VALU_DEP_1) | instskip(NEXT) | instid1(VALU_DEP_1)
	v_fma_f64 v[132:133], -v[128:129], v[130:131], 1.0
	v_fma_f64 v[130:131], v[130:131], v[132:133], v[130:131]
	v_div_scale_f64 v[132:133], vcc_lo, 1.0, v[112:113], 1.0
	s_delay_alu instid0(VALU_DEP_1) | instskip(NEXT) | instid1(VALU_DEP_1)
	v_mul_f64 v[134:135], v[132:133], v[130:131]
	v_fma_f64 v[128:129], -v[128:129], v[134:135], v[132:133]
	s_delay_alu instid0(VALU_DEP_1) | instskip(NEXT) | instid1(VALU_DEP_1)
	v_div_fmas_f64 v[128:129], v[128:129], v[130:131], v[134:135]
	v_div_fixup_f64 v[112:113], v[128:129], v[112:113], 1.0
	s_delay_alu instid0(VALU_DEP_1)
	v_mul_f64 v[134:135], v[114:115], -v[112:113]
.LBB55_43:
	s_or_b32 exec_lo, exec_lo, s3
	ds_store_2addr_b64 v253, v[112:113], v[134:135] offset1:1
.LBB55_44:
	s_or_b32 exec_lo, exec_lo, s4
	s_waitcnt lgkmcnt(0)
	s_barrier
	buffer_gl0_inv
	ds_load_2addr_b64 v[128:131], v253 offset1:1
	s_mov_b32 s3, exec_lo
	v_cmpx_lt_u32_e32 4, v252
	s_cbranch_execz .LBB55_46
; %bb.45:
	s_waitcnt lgkmcnt(0)
	v_mul_f64 v[112:113], v[130:131], v[94:95]
	v_mul_f64 v[94:95], v[128:129], v[94:95]
	s_delay_alu instid0(VALU_DEP_2) | instskip(NEXT) | instid1(VALU_DEP_2)
	v_fma_f64 v[132:133], v[128:129], v[92:93], -v[112:113]
	v_fma_f64 v[94:95], v[130:131], v[92:93], v[94:95]
	ds_load_2addr_b64 v[112:115], v254 offset0:10 offset1:11
	s_waitcnt lgkmcnt(0)
	v_mul_f64 v[92:93], v[114:115], v[94:95]
	s_delay_alu instid0(VALU_DEP_1) | instskip(SKIP_1) | instid1(VALU_DEP_2)
	v_fma_f64 v[92:93], v[112:113], v[132:133], -v[92:93]
	v_mul_f64 v[112:113], v[112:113], v[94:95]
	v_add_f64 v[88:89], v[88:89], -v[92:93]
	s_delay_alu instid0(VALU_DEP_2) | instskip(NEXT) | instid1(VALU_DEP_1)
	v_fma_f64 v[112:113], v[114:115], v[132:133], v[112:113]
	v_add_f64 v[90:91], v[90:91], -v[112:113]
	ds_load_2addr_b64 v[112:115], v254 offset0:12 offset1:13
	s_waitcnt lgkmcnt(0)
	v_mul_f64 v[92:93], v[114:115], v[94:95]
	s_delay_alu instid0(VALU_DEP_1) | instskip(SKIP_1) | instid1(VALU_DEP_2)
	v_fma_f64 v[92:93], v[112:113], v[132:133], -v[92:93]
	v_mul_f64 v[112:113], v[112:113], v[94:95]
	v_add_f64 v[84:85], v[84:85], -v[92:93]
	s_delay_alu instid0(VALU_DEP_2) | instskip(NEXT) | instid1(VALU_DEP_1)
	v_fma_f64 v[112:113], v[114:115], v[132:133], v[112:113]
	v_add_f64 v[86:87], v[86:87], -v[112:113]
	;; [unrolled: 10-line block ×22, first 2 shown]
	ds_load_2addr_b64 v[112:115], v254 offset0:54 offset1:55
	s_waitcnt lgkmcnt(0)
	v_mul_f64 v[92:93], v[114:115], v[94:95]
	s_delay_alu instid0(VALU_DEP_1) | instskip(SKIP_1) | instid1(VALU_DEP_2)
	v_fma_f64 v[92:93], v[112:113], v[132:133], -v[92:93]
	v_mul_f64 v[112:113], v[112:113], v[94:95]
	v_add_f64 v[0:1], v[0:1], -v[92:93]
	s_delay_alu instid0(VALU_DEP_2) | instskip(SKIP_1) | instid1(VALU_DEP_2)
	v_fma_f64 v[112:113], v[114:115], v[132:133], v[112:113]
	v_dual_mov_b32 v92, v132 :: v_dual_mov_b32 v93, v133
	v_add_f64 v[2:3], v[2:3], -v[112:113]
.LBB55_46:
	s_or_b32 exec_lo, exec_lo, s3
	s_delay_alu instid0(SALU_CYCLE_1)
	s_mov_b32 s4, exec_lo
	s_waitcnt lgkmcnt(0)
	s_barrier
	buffer_gl0_inv
	v_cmpx_eq_u32_e32 5, v252
	s_cbranch_execz .LBB55_53
; %bb.47:
	ds_store_2addr_b64 v253, v[88:89], v[90:91] offset1:1
	ds_store_2addr_b64 v254, v[84:85], v[86:87] offset0:12 offset1:13
	ds_store_2addr_b64 v254, v[80:81], v[82:83] offset0:14 offset1:15
	;; [unrolled: 1-line block ×22, first 2 shown]
	ds_load_2addr_b64 v[132:135], v253 offset1:1
	s_waitcnt lgkmcnt(0)
	v_cmp_neq_f64_e32 vcc_lo, 0, v[132:133]
	v_cmp_neq_f64_e64 s3, 0, v[134:135]
	s_delay_alu instid0(VALU_DEP_1) | instskip(NEXT) | instid1(SALU_CYCLE_1)
	s_or_b32 s3, vcc_lo, s3
	s_and_b32 exec_lo, exec_lo, s3
	s_cbranch_execz .LBB55_53
; %bb.48:
	v_cmp_gt_f64_e32 vcc_lo, 0, v[132:133]
	v_cmp_gt_f64_e64 s3, 0, v[134:135]
	v_xor_b32_e32 v112, 0x80000000, v133
	v_xor_b32_e32 v114, 0x80000000, v135
	s_delay_alu instid0(VALU_DEP_2) | instskip(NEXT) | instid1(VALU_DEP_2)
	v_cndmask_b32_e32 v113, v133, v112, vcc_lo
	v_cndmask_b32_e64 v115, v135, v114, s3
	v_cndmask_b32_e32 v112, v132, v132, vcc_lo
	v_cndmask_b32_e64 v114, v134, v134, s3
	s_delay_alu instid0(VALU_DEP_1) | instskip(SKIP_1) | instid1(SALU_CYCLE_1)
	v_cmp_ngt_f64_e32 vcc_lo, v[112:113], v[114:115]
                                        ; implicit-def: $vgpr112_vgpr113
	s_and_saveexec_b32 s3, vcc_lo
	s_xor_b32 s3, exec_lo, s3
                                        ; implicit-def: $vgpr136_vgpr137_vgpr138_vgpr139
	s_cbranch_execz .LBB55_50
; %bb.49:
	v_div_scale_f64 v[112:113], null, v[134:135], v[134:135], v[132:133]
	v_div_scale_f64 v[138:139], vcc_lo, v[132:133], v[134:135], v[132:133]
	s_delay_alu instid0(VALU_DEP_2) | instskip(SKIP_2) | instid1(VALU_DEP_1)
	v_rcp_f64_e32 v[114:115], v[112:113]
	s_waitcnt_depctr 0xfff
	v_fma_f64 v[136:137], -v[112:113], v[114:115], 1.0
	v_fma_f64 v[114:115], v[114:115], v[136:137], v[114:115]
	s_delay_alu instid0(VALU_DEP_1) | instskip(NEXT) | instid1(VALU_DEP_1)
	v_fma_f64 v[136:137], -v[112:113], v[114:115], 1.0
	v_fma_f64 v[114:115], v[114:115], v[136:137], v[114:115]
	s_delay_alu instid0(VALU_DEP_1) | instskip(NEXT) | instid1(VALU_DEP_1)
	v_mul_f64 v[136:137], v[138:139], v[114:115]
	v_fma_f64 v[112:113], -v[112:113], v[136:137], v[138:139]
	s_delay_alu instid0(VALU_DEP_1) | instskip(NEXT) | instid1(VALU_DEP_1)
	v_div_fmas_f64 v[112:113], v[112:113], v[114:115], v[136:137]
	v_div_fixup_f64 v[112:113], v[112:113], v[134:135], v[132:133]
	s_delay_alu instid0(VALU_DEP_1) | instskip(NEXT) | instid1(VALU_DEP_1)
	v_fma_f64 v[114:115], v[132:133], v[112:113], v[134:135]
	v_div_scale_f64 v[132:133], null, v[114:115], v[114:115], 1.0
	s_delay_alu instid0(VALU_DEP_1) | instskip(SKIP_2) | instid1(VALU_DEP_1)
	v_rcp_f64_e32 v[134:135], v[132:133]
	s_waitcnt_depctr 0xfff
	v_fma_f64 v[136:137], -v[132:133], v[134:135], 1.0
	v_fma_f64 v[134:135], v[134:135], v[136:137], v[134:135]
	s_delay_alu instid0(VALU_DEP_1) | instskip(NEXT) | instid1(VALU_DEP_1)
	v_fma_f64 v[136:137], -v[132:133], v[134:135], 1.0
	v_fma_f64 v[134:135], v[134:135], v[136:137], v[134:135]
	v_div_scale_f64 v[136:137], vcc_lo, 1.0, v[114:115], 1.0
	s_delay_alu instid0(VALU_DEP_1) | instskip(NEXT) | instid1(VALU_DEP_1)
	v_mul_f64 v[138:139], v[136:137], v[134:135]
	v_fma_f64 v[132:133], -v[132:133], v[138:139], v[136:137]
	s_delay_alu instid0(VALU_DEP_1) | instskip(NEXT) | instid1(VALU_DEP_1)
	v_div_fmas_f64 v[132:133], v[132:133], v[134:135], v[138:139]
	v_div_fixup_f64 v[138:139], v[132:133], v[114:115], 1.0
                                        ; implicit-def: $vgpr132_vgpr133
	s_delay_alu instid0(VALU_DEP_1)
	v_mul_f64 v[112:113], v[112:113], v[138:139]
	v_xor_b32_e32 v139, 0x80000000, v139
.LBB55_50:
	s_and_not1_saveexec_b32 s3, s3
	s_cbranch_execz .LBB55_52
; %bb.51:
	v_div_scale_f64 v[112:113], null, v[132:133], v[132:133], v[134:135]
	v_div_scale_f64 v[138:139], vcc_lo, v[134:135], v[132:133], v[134:135]
	s_delay_alu instid0(VALU_DEP_2) | instskip(SKIP_2) | instid1(VALU_DEP_1)
	v_rcp_f64_e32 v[114:115], v[112:113]
	s_waitcnt_depctr 0xfff
	v_fma_f64 v[136:137], -v[112:113], v[114:115], 1.0
	v_fma_f64 v[114:115], v[114:115], v[136:137], v[114:115]
	s_delay_alu instid0(VALU_DEP_1) | instskip(NEXT) | instid1(VALU_DEP_1)
	v_fma_f64 v[136:137], -v[112:113], v[114:115], 1.0
	v_fma_f64 v[114:115], v[114:115], v[136:137], v[114:115]
	s_delay_alu instid0(VALU_DEP_1) | instskip(NEXT) | instid1(VALU_DEP_1)
	v_mul_f64 v[136:137], v[138:139], v[114:115]
	v_fma_f64 v[112:113], -v[112:113], v[136:137], v[138:139]
	s_delay_alu instid0(VALU_DEP_1) | instskip(NEXT) | instid1(VALU_DEP_1)
	v_div_fmas_f64 v[112:113], v[112:113], v[114:115], v[136:137]
	v_div_fixup_f64 v[114:115], v[112:113], v[132:133], v[134:135]
	s_delay_alu instid0(VALU_DEP_1) | instskip(NEXT) | instid1(VALU_DEP_1)
	v_fma_f64 v[112:113], v[134:135], v[114:115], v[132:133]
	v_div_scale_f64 v[132:133], null, v[112:113], v[112:113], 1.0
	s_delay_alu instid0(VALU_DEP_1) | instskip(SKIP_2) | instid1(VALU_DEP_1)
	v_rcp_f64_e32 v[134:135], v[132:133]
	s_waitcnt_depctr 0xfff
	v_fma_f64 v[136:137], -v[132:133], v[134:135], 1.0
	v_fma_f64 v[134:135], v[134:135], v[136:137], v[134:135]
	s_delay_alu instid0(VALU_DEP_1) | instskip(NEXT) | instid1(VALU_DEP_1)
	v_fma_f64 v[136:137], -v[132:133], v[134:135], 1.0
	v_fma_f64 v[134:135], v[134:135], v[136:137], v[134:135]
	v_div_scale_f64 v[136:137], vcc_lo, 1.0, v[112:113], 1.0
	s_delay_alu instid0(VALU_DEP_1) | instskip(NEXT) | instid1(VALU_DEP_1)
	v_mul_f64 v[138:139], v[136:137], v[134:135]
	v_fma_f64 v[132:133], -v[132:133], v[138:139], v[136:137]
	s_delay_alu instid0(VALU_DEP_1) | instskip(NEXT) | instid1(VALU_DEP_1)
	v_div_fmas_f64 v[132:133], v[132:133], v[134:135], v[138:139]
	v_div_fixup_f64 v[112:113], v[132:133], v[112:113], 1.0
	s_delay_alu instid0(VALU_DEP_1)
	v_mul_f64 v[138:139], v[114:115], -v[112:113]
.LBB55_52:
	s_or_b32 exec_lo, exec_lo, s3
	ds_store_2addr_b64 v253, v[112:113], v[138:139] offset1:1
.LBB55_53:
	s_or_b32 exec_lo, exec_lo, s4
	s_waitcnt lgkmcnt(0)
	s_barrier
	buffer_gl0_inv
	ds_load_2addr_b64 v[132:135], v253 offset1:1
	s_mov_b32 s3, exec_lo
	v_cmpx_lt_u32_e32 5, v252
	s_cbranch_execz .LBB55_55
; %bb.54:
	s_waitcnt lgkmcnt(0)
	v_mul_f64 v[112:113], v[134:135], v[90:91]
	v_mul_f64 v[90:91], v[132:133], v[90:91]
	s_delay_alu instid0(VALU_DEP_2) | instskip(NEXT) | instid1(VALU_DEP_2)
	v_fma_f64 v[136:137], v[132:133], v[88:89], -v[112:113]
	v_fma_f64 v[90:91], v[134:135], v[88:89], v[90:91]
	ds_load_2addr_b64 v[112:115], v254 offset0:12 offset1:13
	s_waitcnt lgkmcnt(0)
	v_mul_f64 v[88:89], v[114:115], v[90:91]
	s_delay_alu instid0(VALU_DEP_1) | instskip(SKIP_1) | instid1(VALU_DEP_2)
	v_fma_f64 v[88:89], v[112:113], v[136:137], -v[88:89]
	v_mul_f64 v[112:113], v[112:113], v[90:91]
	v_add_f64 v[84:85], v[84:85], -v[88:89]
	s_delay_alu instid0(VALU_DEP_2) | instskip(NEXT) | instid1(VALU_DEP_1)
	v_fma_f64 v[112:113], v[114:115], v[136:137], v[112:113]
	v_add_f64 v[86:87], v[86:87], -v[112:113]
	ds_load_2addr_b64 v[112:115], v254 offset0:14 offset1:15
	s_waitcnt lgkmcnt(0)
	v_mul_f64 v[88:89], v[114:115], v[90:91]
	s_delay_alu instid0(VALU_DEP_1) | instskip(SKIP_1) | instid1(VALU_DEP_2)
	v_fma_f64 v[88:89], v[112:113], v[136:137], -v[88:89]
	v_mul_f64 v[112:113], v[112:113], v[90:91]
	v_add_f64 v[80:81], v[80:81], -v[88:89]
	s_delay_alu instid0(VALU_DEP_2) | instskip(NEXT) | instid1(VALU_DEP_1)
	v_fma_f64 v[112:113], v[114:115], v[136:137], v[112:113]
	v_add_f64 v[82:83], v[82:83], -v[112:113]
	;; [unrolled: 10-line block ×21, first 2 shown]
	ds_load_2addr_b64 v[112:115], v254 offset0:54 offset1:55
	s_waitcnt lgkmcnt(0)
	v_mul_f64 v[88:89], v[114:115], v[90:91]
	s_delay_alu instid0(VALU_DEP_1) | instskip(SKIP_1) | instid1(VALU_DEP_2)
	v_fma_f64 v[88:89], v[112:113], v[136:137], -v[88:89]
	v_mul_f64 v[112:113], v[112:113], v[90:91]
	v_add_f64 v[0:1], v[0:1], -v[88:89]
	s_delay_alu instid0(VALU_DEP_2) | instskip(SKIP_1) | instid1(VALU_DEP_2)
	v_fma_f64 v[112:113], v[114:115], v[136:137], v[112:113]
	v_dual_mov_b32 v88, v136 :: v_dual_mov_b32 v89, v137
	v_add_f64 v[2:3], v[2:3], -v[112:113]
.LBB55_55:
	s_or_b32 exec_lo, exec_lo, s3
	s_delay_alu instid0(SALU_CYCLE_1)
	s_mov_b32 s4, exec_lo
	s_waitcnt lgkmcnt(0)
	s_barrier
	buffer_gl0_inv
	v_cmpx_eq_u32_e32 6, v252
	s_cbranch_execz .LBB55_62
; %bb.56:
	ds_store_2addr_b64 v253, v[84:85], v[86:87] offset1:1
	ds_store_2addr_b64 v254, v[80:81], v[82:83] offset0:14 offset1:15
	ds_store_2addr_b64 v254, v[76:77], v[78:79] offset0:16 offset1:17
	;; [unrolled: 1-line block ×21, first 2 shown]
	ds_load_2addr_b64 v[136:139], v253 offset1:1
	s_waitcnt lgkmcnt(0)
	v_cmp_neq_f64_e32 vcc_lo, 0, v[136:137]
	v_cmp_neq_f64_e64 s3, 0, v[138:139]
	s_delay_alu instid0(VALU_DEP_1) | instskip(NEXT) | instid1(SALU_CYCLE_1)
	s_or_b32 s3, vcc_lo, s3
	s_and_b32 exec_lo, exec_lo, s3
	s_cbranch_execz .LBB55_62
; %bb.57:
	v_cmp_gt_f64_e32 vcc_lo, 0, v[136:137]
	v_cmp_gt_f64_e64 s3, 0, v[138:139]
	v_xor_b32_e32 v112, 0x80000000, v137
	v_xor_b32_e32 v114, 0x80000000, v139
	s_delay_alu instid0(VALU_DEP_2) | instskip(NEXT) | instid1(VALU_DEP_2)
	v_cndmask_b32_e32 v113, v137, v112, vcc_lo
	v_cndmask_b32_e64 v115, v139, v114, s3
	v_cndmask_b32_e32 v112, v136, v136, vcc_lo
	v_cndmask_b32_e64 v114, v138, v138, s3
	s_delay_alu instid0(VALU_DEP_1) | instskip(SKIP_1) | instid1(SALU_CYCLE_1)
	v_cmp_ngt_f64_e32 vcc_lo, v[112:113], v[114:115]
                                        ; implicit-def: $vgpr112_vgpr113
	s_and_saveexec_b32 s3, vcc_lo
	s_xor_b32 s3, exec_lo, s3
                                        ; implicit-def: $vgpr140_vgpr141_vgpr142_vgpr143
	s_cbranch_execz .LBB55_59
; %bb.58:
	v_div_scale_f64 v[112:113], null, v[138:139], v[138:139], v[136:137]
	v_div_scale_f64 v[142:143], vcc_lo, v[136:137], v[138:139], v[136:137]
	s_delay_alu instid0(VALU_DEP_2) | instskip(SKIP_2) | instid1(VALU_DEP_1)
	v_rcp_f64_e32 v[114:115], v[112:113]
	s_waitcnt_depctr 0xfff
	v_fma_f64 v[140:141], -v[112:113], v[114:115], 1.0
	v_fma_f64 v[114:115], v[114:115], v[140:141], v[114:115]
	s_delay_alu instid0(VALU_DEP_1) | instskip(NEXT) | instid1(VALU_DEP_1)
	v_fma_f64 v[140:141], -v[112:113], v[114:115], 1.0
	v_fma_f64 v[114:115], v[114:115], v[140:141], v[114:115]
	s_delay_alu instid0(VALU_DEP_1) | instskip(NEXT) | instid1(VALU_DEP_1)
	v_mul_f64 v[140:141], v[142:143], v[114:115]
	v_fma_f64 v[112:113], -v[112:113], v[140:141], v[142:143]
	s_delay_alu instid0(VALU_DEP_1) | instskip(NEXT) | instid1(VALU_DEP_1)
	v_div_fmas_f64 v[112:113], v[112:113], v[114:115], v[140:141]
	v_div_fixup_f64 v[112:113], v[112:113], v[138:139], v[136:137]
	s_delay_alu instid0(VALU_DEP_1) | instskip(NEXT) | instid1(VALU_DEP_1)
	v_fma_f64 v[114:115], v[136:137], v[112:113], v[138:139]
	v_div_scale_f64 v[136:137], null, v[114:115], v[114:115], 1.0
	s_delay_alu instid0(VALU_DEP_1) | instskip(SKIP_2) | instid1(VALU_DEP_1)
	v_rcp_f64_e32 v[138:139], v[136:137]
	s_waitcnt_depctr 0xfff
	v_fma_f64 v[140:141], -v[136:137], v[138:139], 1.0
	v_fma_f64 v[138:139], v[138:139], v[140:141], v[138:139]
	s_delay_alu instid0(VALU_DEP_1) | instskip(NEXT) | instid1(VALU_DEP_1)
	v_fma_f64 v[140:141], -v[136:137], v[138:139], 1.0
	v_fma_f64 v[138:139], v[138:139], v[140:141], v[138:139]
	v_div_scale_f64 v[140:141], vcc_lo, 1.0, v[114:115], 1.0
	s_delay_alu instid0(VALU_DEP_1) | instskip(NEXT) | instid1(VALU_DEP_1)
	v_mul_f64 v[142:143], v[140:141], v[138:139]
	v_fma_f64 v[136:137], -v[136:137], v[142:143], v[140:141]
	s_delay_alu instid0(VALU_DEP_1) | instskip(NEXT) | instid1(VALU_DEP_1)
	v_div_fmas_f64 v[136:137], v[136:137], v[138:139], v[142:143]
	v_div_fixup_f64 v[142:143], v[136:137], v[114:115], 1.0
                                        ; implicit-def: $vgpr136_vgpr137
	s_delay_alu instid0(VALU_DEP_1)
	v_mul_f64 v[112:113], v[112:113], v[142:143]
	v_xor_b32_e32 v143, 0x80000000, v143
.LBB55_59:
	s_and_not1_saveexec_b32 s3, s3
	s_cbranch_execz .LBB55_61
; %bb.60:
	v_div_scale_f64 v[112:113], null, v[136:137], v[136:137], v[138:139]
	v_div_scale_f64 v[142:143], vcc_lo, v[138:139], v[136:137], v[138:139]
	s_delay_alu instid0(VALU_DEP_2) | instskip(SKIP_2) | instid1(VALU_DEP_1)
	v_rcp_f64_e32 v[114:115], v[112:113]
	s_waitcnt_depctr 0xfff
	v_fma_f64 v[140:141], -v[112:113], v[114:115], 1.0
	v_fma_f64 v[114:115], v[114:115], v[140:141], v[114:115]
	s_delay_alu instid0(VALU_DEP_1) | instskip(NEXT) | instid1(VALU_DEP_1)
	v_fma_f64 v[140:141], -v[112:113], v[114:115], 1.0
	v_fma_f64 v[114:115], v[114:115], v[140:141], v[114:115]
	s_delay_alu instid0(VALU_DEP_1) | instskip(NEXT) | instid1(VALU_DEP_1)
	v_mul_f64 v[140:141], v[142:143], v[114:115]
	v_fma_f64 v[112:113], -v[112:113], v[140:141], v[142:143]
	s_delay_alu instid0(VALU_DEP_1) | instskip(NEXT) | instid1(VALU_DEP_1)
	v_div_fmas_f64 v[112:113], v[112:113], v[114:115], v[140:141]
	v_div_fixup_f64 v[114:115], v[112:113], v[136:137], v[138:139]
	s_delay_alu instid0(VALU_DEP_1) | instskip(NEXT) | instid1(VALU_DEP_1)
	v_fma_f64 v[112:113], v[138:139], v[114:115], v[136:137]
	v_div_scale_f64 v[136:137], null, v[112:113], v[112:113], 1.0
	s_delay_alu instid0(VALU_DEP_1) | instskip(SKIP_2) | instid1(VALU_DEP_1)
	v_rcp_f64_e32 v[138:139], v[136:137]
	s_waitcnt_depctr 0xfff
	v_fma_f64 v[140:141], -v[136:137], v[138:139], 1.0
	v_fma_f64 v[138:139], v[138:139], v[140:141], v[138:139]
	s_delay_alu instid0(VALU_DEP_1) | instskip(NEXT) | instid1(VALU_DEP_1)
	v_fma_f64 v[140:141], -v[136:137], v[138:139], 1.0
	v_fma_f64 v[138:139], v[138:139], v[140:141], v[138:139]
	v_div_scale_f64 v[140:141], vcc_lo, 1.0, v[112:113], 1.0
	s_delay_alu instid0(VALU_DEP_1) | instskip(NEXT) | instid1(VALU_DEP_1)
	v_mul_f64 v[142:143], v[140:141], v[138:139]
	v_fma_f64 v[136:137], -v[136:137], v[142:143], v[140:141]
	s_delay_alu instid0(VALU_DEP_1) | instskip(NEXT) | instid1(VALU_DEP_1)
	v_div_fmas_f64 v[136:137], v[136:137], v[138:139], v[142:143]
	v_div_fixup_f64 v[112:113], v[136:137], v[112:113], 1.0
	s_delay_alu instid0(VALU_DEP_1)
	v_mul_f64 v[142:143], v[114:115], -v[112:113]
.LBB55_61:
	s_or_b32 exec_lo, exec_lo, s3
	ds_store_2addr_b64 v253, v[112:113], v[142:143] offset1:1
.LBB55_62:
	s_or_b32 exec_lo, exec_lo, s4
	s_waitcnt lgkmcnt(0)
	s_barrier
	buffer_gl0_inv
	ds_load_2addr_b64 v[136:139], v253 offset1:1
	s_mov_b32 s3, exec_lo
	v_cmpx_lt_u32_e32 6, v252
	s_cbranch_execz .LBB55_64
; %bb.63:
	s_waitcnt lgkmcnt(0)
	v_mul_f64 v[112:113], v[138:139], v[86:87]
	v_mul_f64 v[86:87], v[136:137], v[86:87]
	s_delay_alu instid0(VALU_DEP_2) | instskip(NEXT) | instid1(VALU_DEP_2)
	v_fma_f64 v[140:141], v[136:137], v[84:85], -v[112:113]
	v_fma_f64 v[86:87], v[138:139], v[84:85], v[86:87]
	ds_load_2addr_b64 v[112:115], v254 offset0:14 offset1:15
	s_waitcnt lgkmcnt(0)
	v_mul_f64 v[84:85], v[114:115], v[86:87]
	s_delay_alu instid0(VALU_DEP_1) | instskip(SKIP_1) | instid1(VALU_DEP_2)
	v_fma_f64 v[84:85], v[112:113], v[140:141], -v[84:85]
	v_mul_f64 v[112:113], v[112:113], v[86:87]
	v_add_f64 v[80:81], v[80:81], -v[84:85]
	s_delay_alu instid0(VALU_DEP_2) | instskip(NEXT) | instid1(VALU_DEP_1)
	v_fma_f64 v[112:113], v[114:115], v[140:141], v[112:113]
	v_add_f64 v[82:83], v[82:83], -v[112:113]
	ds_load_2addr_b64 v[112:115], v254 offset0:16 offset1:17
	s_waitcnt lgkmcnt(0)
	v_mul_f64 v[84:85], v[114:115], v[86:87]
	s_delay_alu instid0(VALU_DEP_1) | instskip(SKIP_1) | instid1(VALU_DEP_2)
	v_fma_f64 v[84:85], v[112:113], v[140:141], -v[84:85]
	v_mul_f64 v[112:113], v[112:113], v[86:87]
	v_add_f64 v[76:77], v[76:77], -v[84:85]
	s_delay_alu instid0(VALU_DEP_2) | instskip(NEXT) | instid1(VALU_DEP_1)
	v_fma_f64 v[112:113], v[114:115], v[140:141], v[112:113]
	v_add_f64 v[78:79], v[78:79], -v[112:113]
	;; [unrolled: 10-line block ×20, first 2 shown]
	ds_load_2addr_b64 v[112:115], v254 offset0:54 offset1:55
	s_waitcnt lgkmcnt(0)
	v_mul_f64 v[84:85], v[114:115], v[86:87]
	s_delay_alu instid0(VALU_DEP_1) | instskip(SKIP_1) | instid1(VALU_DEP_2)
	v_fma_f64 v[84:85], v[112:113], v[140:141], -v[84:85]
	v_mul_f64 v[112:113], v[112:113], v[86:87]
	v_add_f64 v[0:1], v[0:1], -v[84:85]
	s_delay_alu instid0(VALU_DEP_2) | instskip(SKIP_1) | instid1(VALU_DEP_2)
	v_fma_f64 v[112:113], v[114:115], v[140:141], v[112:113]
	v_dual_mov_b32 v84, v140 :: v_dual_mov_b32 v85, v141
	v_add_f64 v[2:3], v[2:3], -v[112:113]
.LBB55_64:
	s_or_b32 exec_lo, exec_lo, s3
	s_delay_alu instid0(SALU_CYCLE_1)
	s_mov_b32 s4, exec_lo
	s_waitcnt lgkmcnt(0)
	s_barrier
	buffer_gl0_inv
	v_cmpx_eq_u32_e32 7, v252
	s_cbranch_execz .LBB55_71
; %bb.65:
	ds_store_2addr_b64 v253, v[80:81], v[82:83] offset1:1
	ds_store_2addr_b64 v254, v[76:77], v[78:79] offset0:16 offset1:17
	ds_store_2addr_b64 v254, v[72:73], v[74:75] offset0:18 offset1:19
	ds_store_2addr_b64 v254, v[68:69], v[70:71] offset0:20 offset1:21
	ds_store_2addr_b64 v254, v[64:65], v[66:67] offset0:22 offset1:23
	ds_store_2addr_b64 v254, v[60:61], v[62:63] offset0:24 offset1:25
	ds_store_2addr_b64 v254, v[56:57], v[58:59] offset0:26 offset1:27
	ds_store_2addr_b64 v254, v[52:53], v[54:55] offset0:28 offset1:29
	ds_store_2addr_b64 v254, v[48:49], v[50:51] offset0:30 offset1:31
	ds_store_2addr_b64 v254, v[44:45], v[46:47] offset0:32 offset1:33
	ds_store_2addr_b64 v254, v[40:41], v[42:43] offset0:34 offset1:35
	ds_store_2addr_b64 v254, v[36:37], v[38:39] offset0:36 offset1:37
	ds_store_2addr_b64 v254, v[32:33], v[34:35] offset0:38 offset1:39
	ds_store_2addr_b64 v254, v[28:29], v[30:31] offset0:40 offset1:41
	ds_store_2addr_b64 v254, v[24:25], v[26:27] offset0:42 offset1:43
	ds_store_2addr_b64 v254, v[20:21], v[22:23] offset0:44 offset1:45
	ds_store_2addr_b64 v254, v[16:17], v[18:19] offset0:46 offset1:47
	ds_store_2addr_b64 v254, v[12:13], v[14:15] offset0:48 offset1:49
	ds_store_2addr_b64 v254, v[8:9], v[10:11] offset0:50 offset1:51
	ds_store_2addr_b64 v254, v[4:5], v[6:7] offset0:52 offset1:53
	ds_store_2addr_b64 v254, v[0:1], v[2:3] offset0:54 offset1:55
	ds_load_2addr_b64 v[140:143], v253 offset1:1
	s_waitcnt lgkmcnt(0)
	v_cmp_neq_f64_e32 vcc_lo, 0, v[140:141]
	v_cmp_neq_f64_e64 s3, 0, v[142:143]
	s_delay_alu instid0(VALU_DEP_1) | instskip(NEXT) | instid1(SALU_CYCLE_1)
	s_or_b32 s3, vcc_lo, s3
	s_and_b32 exec_lo, exec_lo, s3
	s_cbranch_execz .LBB55_71
; %bb.66:
	v_cmp_gt_f64_e32 vcc_lo, 0, v[140:141]
	v_cmp_gt_f64_e64 s3, 0, v[142:143]
	v_xor_b32_e32 v112, 0x80000000, v141
	v_xor_b32_e32 v114, 0x80000000, v143
	s_delay_alu instid0(VALU_DEP_2) | instskip(NEXT) | instid1(VALU_DEP_2)
	v_cndmask_b32_e32 v113, v141, v112, vcc_lo
	v_cndmask_b32_e64 v115, v143, v114, s3
	v_cndmask_b32_e32 v112, v140, v140, vcc_lo
	v_cndmask_b32_e64 v114, v142, v142, s3
	s_delay_alu instid0(VALU_DEP_1) | instskip(SKIP_1) | instid1(SALU_CYCLE_1)
	v_cmp_ngt_f64_e32 vcc_lo, v[112:113], v[114:115]
                                        ; implicit-def: $vgpr112_vgpr113
	s_and_saveexec_b32 s3, vcc_lo
	s_xor_b32 s3, exec_lo, s3
                                        ; implicit-def: $vgpr144_vgpr145_vgpr146_vgpr147
	s_cbranch_execz .LBB55_68
; %bb.67:
	v_div_scale_f64 v[112:113], null, v[142:143], v[142:143], v[140:141]
	v_div_scale_f64 v[146:147], vcc_lo, v[140:141], v[142:143], v[140:141]
	s_delay_alu instid0(VALU_DEP_2) | instskip(SKIP_2) | instid1(VALU_DEP_1)
	v_rcp_f64_e32 v[114:115], v[112:113]
	s_waitcnt_depctr 0xfff
	v_fma_f64 v[144:145], -v[112:113], v[114:115], 1.0
	v_fma_f64 v[114:115], v[114:115], v[144:145], v[114:115]
	s_delay_alu instid0(VALU_DEP_1) | instskip(NEXT) | instid1(VALU_DEP_1)
	v_fma_f64 v[144:145], -v[112:113], v[114:115], 1.0
	v_fma_f64 v[114:115], v[114:115], v[144:145], v[114:115]
	s_delay_alu instid0(VALU_DEP_1) | instskip(NEXT) | instid1(VALU_DEP_1)
	v_mul_f64 v[144:145], v[146:147], v[114:115]
	v_fma_f64 v[112:113], -v[112:113], v[144:145], v[146:147]
	s_delay_alu instid0(VALU_DEP_1) | instskip(NEXT) | instid1(VALU_DEP_1)
	v_div_fmas_f64 v[112:113], v[112:113], v[114:115], v[144:145]
	v_div_fixup_f64 v[112:113], v[112:113], v[142:143], v[140:141]
	s_delay_alu instid0(VALU_DEP_1) | instskip(NEXT) | instid1(VALU_DEP_1)
	v_fma_f64 v[114:115], v[140:141], v[112:113], v[142:143]
	v_div_scale_f64 v[140:141], null, v[114:115], v[114:115], 1.0
	s_delay_alu instid0(VALU_DEP_1) | instskip(SKIP_2) | instid1(VALU_DEP_1)
	v_rcp_f64_e32 v[142:143], v[140:141]
	s_waitcnt_depctr 0xfff
	v_fma_f64 v[144:145], -v[140:141], v[142:143], 1.0
	v_fma_f64 v[142:143], v[142:143], v[144:145], v[142:143]
	s_delay_alu instid0(VALU_DEP_1) | instskip(NEXT) | instid1(VALU_DEP_1)
	v_fma_f64 v[144:145], -v[140:141], v[142:143], 1.0
	v_fma_f64 v[142:143], v[142:143], v[144:145], v[142:143]
	v_div_scale_f64 v[144:145], vcc_lo, 1.0, v[114:115], 1.0
	s_delay_alu instid0(VALU_DEP_1) | instskip(NEXT) | instid1(VALU_DEP_1)
	v_mul_f64 v[146:147], v[144:145], v[142:143]
	v_fma_f64 v[140:141], -v[140:141], v[146:147], v[144:145]
	s_delay_alu instid0(VALU_DEP_1) | instskip(NEXT) | instid1(VALU_DEP_1)
	v_div_fmas_f64 v[140:141], v[140:141], v[142:143], v[146:147]
	v_div_fixup_f64 v[146:147], v[140:141], v[114:115], 1.0
                                        ; implicit-def: $vgpr140_vgpr141
	s_delay_alu instid0(VALU_DEP_1)
	v_mul_f64 v[112:113], v[112:113], v[146:147]
	v_xor_b32_e32 v147, 0x80000000, v147
.LBB55_68:
	s_and_not1_saveexec_b32 s3, s3
	s_cbranch_execz .LBB55_70
; %bb.69:
	v_div_scale_f64 v[112:113], null, v[140:141], v[140:141], v[142:143]
	v_div_scale_f64 v[146:147], vcc_lo, v[142:143], v[140:141], v[142:143]
	s_delay_alu instid0(VALU_DEP_2) | instskip(SKIP_2) | instid1(VALU_DEP_1)
	v_rcp_f64_e32 v[114:115], v[112:113]
	s_waitcnt_depctr 0xfff
	v_fma_f64 v[144:145], -v[112:113], v[114:115], 1.0
	v_fma_f64 v[114:115], v[114:115], v[144:145], v[114:115]
	s_delay_alu instid0(VALU_DEP_1) | instskip(NEXT) | instid1(VALU_DEP_1)
	v_fma_f64 v[144:145], -v[112:113], v[114:115], 1.0
	v_fma_f64 v[114:115], v[114:115], v[144:145], v[114:115]
	s_delay_alu instid0(VALU_DEP_1) | instskip(NEXT) | instid1(VALU_DEP_1)
	v_mul_f64 v[144:145], v[146:147], v[114:115]
	v_fma_f64 v[112:113], -v[112:113], v[144:145], v[146:147]
	s_delay_alu instid0(VALU_DEP_1) | instskip(NEXT) | instid1(VALU_DEP_1)
	v_div_fmas_f64 v[112:113], v[112:113], v[114:115], v[144:145]
	v_div_fixup_f64 v[114:115], v[112:113], v[140:141], v[142:143]
	s_delay_alu instid0(VALU_DEP_1) | instskip(NEXT) | instid1(VALU_DEP_1)
	v_fma_f64 v[112:113], v[142:143], v[114:115], v[140:141]
	v_div_scale_f64 v[140:141], null, v[112:113], v[112:113], 1.0
	s_delay_alu instid0(VALU_DEP_1) | instskip(SKIP_2) | instid1(VALU_DEP_1)
	v_rcp_f64_e32 v[142:143], v[140:141]
	s_waitcnt_depctr 0xfff
	v_fma_f64 v[144:145], -v[140:141], v[142:143], 1.0
	v_fma_f64 v[142:143], v[142:143], v[144:145], v[142:143]
	s_delay_alu instid0(VALU_DEP_1) | instskip(NEXT) | instid1(VALU_DEP_1)
	v_fma_f64 v[144:145], -v[140:141], v[142:143], 1.0
	v_fma_f64 v[142:143], v[142:143], v[144:145], v[142:143]
	v_div_scale_f64 v[144:145], vcc_lo, 1.0, v[112:113], 1.0
	s_delay_alu instid0(VALU_DEP_1) | instskip(NEXT) | instid1(VALU_DEP_1)
	v_mul_f64 v[146:147], v[144:145], v[142:143]
	v_fma_f64 v[140:141], -v[140:141], v[146:147], v[144:145]
	s_delay_alu instid0(VALU_DEP_1) | instskip(NEXT) | instid1(VALU_DEP_1)
	v_div_fmas_f64 v[140:141], v[140:141], v[142:143], v[146:147]
	v_div_fixup_f64 v[112:113], v[140:141], v[112:113], 1.0
	s_delay_alu instid0(VALU_DEP_1)
	v_mul_f64 v[146:147], v[114:115], -v[112:113]
.LBB55_70:
	s_or_b32 exec_lo, exec_lo, s3
	ds_store_2addr_b64 v253, v[112:113], v[146:147] offset1:1
.LBB55_71:
	s_or_b32 exec_lo, exec_lo, s4
	s_waitcnt lgkmcnt(0)
	s_barrier
	buffer_gl0_inv
	ds_load_2addr_b64 v[140:143], v253 offset1:1
	s_mov_b32 s3, exec_lo
	v_cmpx_lt_u32_e32 7, v252
	s_cbranch_execz .LBB55_73
; %bb.72:
	s_waitcnt lgkmcnt(0)
	v_mul_f64 v[112:113], v[142:143], v[82:83]
	v_mul_f64 v[82:83], v[140:141], v[82:83]
	s_delay_alu instid0(VALU_DEP_2) | instskip(NEXT) | instid1(VALU_DEP_2)
	v_fma_f64 v[144:145], v[140:141], v[80:81], -v[112:113]
	v_fma_f64 v[82:83], v[142:143], v[80:81], v[82:83]
	ds_load_2addr_b64 v[112:115], v254 offset0:16 offset1:17
	s_waitcnt lgkmcnt(0)
	v_mul_f64 v[80:81], v[114:115], v[82:83]
	s_delay_alu instid0(VALU_DEP_1) | instskip(SKIP_1) | instid1(VALU_DEP_2)
	v_fma_f64 v[80:81], v[112:113], v[144:145], -v[80:81]
	v_mul_f64 v[112:113], v[112:113], v[82:83]
	v_add_f64 v[76:77], v[76:77], -v[80:81]
	s_delay_alu instid0(VALU_DEP_2) | instskip(NEXT) | instid1(VALU_DEP_1)
	v_fma_f64 v[112:113], v[114:115], v[144:145], v[112:113]
	v_add_f64 v[78:79], v[78:79], -v[112:113]
	ds_load_2addr_b64 v[112:115], v254 offset0:18 offset1:19
	s_waitcnt lgkmcnt(0)
	v_mul_f64 v[80:81], v[114:115], v[82:83]
	s_delay_alu instid0(VALU_DEP_1) | instskip(SKIP_1) | instid1(VALU_DEP_2)
	v_fma_f64 v[80:81], v[112:113], v[144:145], -v[80:81]
	v_mul_f64 v[112:113], v[112:113], v[82:83]
	v_add_f64 v[72:73], v[72:73], -v[80:81]
	s_delay_alu instid0(VALU_DEP_2) | instskip(NEXT) | instid1(VALU_DEP_1)
	v_fma_f64 v[112:113], v[114:115], v[144:145], v[112:113]
	v_add_f64 v[74:75], v[74:75], -v[112:113]
	;; [unrolled: 10-line block ×19, first 2 shown]
	ds_load_2addr_b64 v[112:115], v254 offset0:54 offset1:55
	s_waitcnt lgkmcnt(0)
	v_mul_f64 v[80:81], v[114:115], v[82:83]
	s_delay_alu instid0(VALU_DEP_1) | instskip(SKIP_1) | instid1(VALU_DEP_2)
	v_fma_f64 v[80:81], v[112:113], v[144:145], -v[80:81]
	v_mul_f64 v[112:113], v[112:113], v[82:83]
	v_add_f64 v[0:1], v[0:1], -v[80:81]
	s_delay_alu instid0(VALU_DEP_2) | instskip(SKIP_1) | instid1(VALU_DEP_2)
	v_fma_f64 v[112:113], v[114:115], v[144:145], v[112:113]
	v_dual_mov_b32 v80, v144 :: v_dual_mov_b32 v81, v145
	v_add_f64 v[2:3], v[2:3], -v[112:113]
.LBB55_73:
	s_or_b32 exec_lo, exec_lo, s3
	s_delay_alu instid0(SALU_CYCLE_1)
	s_mov_b32 s4, exec_lo
	s_waitcnt lgkmcnt(0)
	s_barrier
	buffer_gl0_inv
	v_cmpx_eq_u32_e32 8, v252
	s_cbranch_execz .LBB55_80
; %bb.74:
	ds_store_2addr_b64 v253, v[76:77], v[78:79] offset1:1
	ds_store_2addr_b64 v254, v[72:73], v[74:75] offset0:18 offset1:19
	ds_store_2addr_b64 v254, v[68:69], v[70:71] offset0:20 offset1:21
	;; [unrolled: 1-line block ×19, first 2 shown]
	ds_load_2addr_b64 v[144:147], v253 offset1:1
	s_waitcnt lgkmcnt(0)
	v_cmp_neq_f64_e32 vcc_lo, 0, v[144:145]
	v_cmp_neq_f64_e64 s3, 0, v[146:147]
	s_delay_alu instid0(VALU_DEP_1) | instskip(NEXT) | instid1(SALU_CYCLE_1)
	s_or_b32 s3, vcc_lo, s3
	s_and_b32 exec_lo, exec_lo, s3
	s_cbranch_execz .LBB55_80
; %bb.75:
	v_cmp_gt_f64_e32 vcc_lo, 0, v[144:145]
	v_cmp_gt_f64_e64 s3, 0, v[146:147]
	v_xor_b32_e32 v112, 0x80000000, v145
	v_xor_b32_e32 v114, 0x80000000, v147
	s_delay_alu instid0(VALU_DEP_2) | instskip(NEXT) | instid1(VALU_DEP_2)
	v_cndmask_b32_e32 v113, v145, v112, vcc_lo
	v_cndmask_b32_e64 v115, v147, v114, s3
	v_cndmask_b32_e32 v112, v144, v144, vcc_lo
	v_cndmask_b32_e64 v114, v146, v146, s3
	s_delay_alu instid0(VALU_DEP_1) | instskip(SKIP_1) | instid1(SALU_CYCLE_1)
	v_cmp_ngt_f64_e32 vcc_lo, v[112:113], v[114:115]
                                        ; implicit-def: $vgpr112_vgpr113
	s_and_saveexec_b32 s3, vcc_lo
	s_xor_b32 s3, exec_lo, s3
                                        ; implicit-def: $vgpr148_vgpr149_vgpr150_vgpr151
	s_cbranch_execz .LBB55_77
; %bb.76:
	v_div_scale_f64 v[112:113], null, v[146:147], v[146:147], v[144:145]
	v_div_scale_f64 v[150:151], vcc_lo, v[144:145], v[146:147], v[144:145]
	s_delay_alu instid0(VALU_DEP_2) | instskip(SKIP_2) | instid1(VALU_DEP_1)
	v_rcp_f64_e32 v[114:115], v[112:113]
	s_waitcnt_depctr 0xfff
	v_fma_f64 v[148:149], -v[112:113], v[114:115], 1.0
	v_fma_f64 v[114:115], v[114:115], v[148:149], v[114:115]
	s_delay_alu instid0(VALU_DEP_1) | instskip(NEXT) | instid1(VALU_DEP_1)
	v_fma_f64 v[148:149], -v[112:113], v[114:115], 1.0
	v_fma_f64 v[114:115], v[114:115], v[148:149], v[114:115]
	s_delay_alu instid0(VALU_DEP_1) | instskip(NEXT) | instid1(VALU_DEP_1)
	v_mul_f64 v[148:149], v[150:151], v[114:115]
	v_fma_f64 v[112:113], -v[112:113], v[148:149], v[150:151]
	s_delay_alu instid0(VALU_DEP_1) | instskip(NEXT) | instid1(VALU_DEP_1)
	v_div_fmas_f64 v[112:113], v[112:113], v[114:115], v[148:149]
	v_div_fixup_f64 v[112:113], v[112:113], v[146:147], v[144:145]
	s_delay_alu instid0(VALU_DEP_1) | instskip(NEXT) | instid1(VALU_DEP_1)
	v_fma_f64 v[114:115], v[144:145], v[112:113], v[146:147]
	v_div_scale_f64 v[144:145], null, v[114:115], v[114:115], 1.0
	s_delay_alu instid0(VALU_DEP_1) | instskip(SKIP_2) | instid1(VALU_DEP_1)
	v_rcp_f64_e32 v[146:147], v[144:145]
	s_waitcnt_depctr 0xfff
	v_fma_f64 v[148:149], -v[144:145], v[146:147], 1.0
	v_fma_f64 v[146:147], v[146:147], v[148:149], v[146:147]
	s_delay_alu instid0(VALU_DEP_1) | instskip(NEXT) | instid1(VALU_DEP_1)
	v_fma_f64 v[148:149], -v[144:145], v[146:147], 1.0
	v_fma_f64 v[146:147], v[146:147], v[148:149], v[146:147]
	v_div_scale_f64 v[148:149], vcc_lo, 1.0, v[114:115], 1.0
	s_delay_alu instid0(VALU_DEP_1) | instskip(NEXT) | instid1(VALU_DEP_1)
	v_mul_f64 v[150:151], v[148:149], v[146:147]
	v_fma_f64 v[144:145], -v[144:145], v[150:151], v[148:149]
	s_delay_alu instid0(VALU_DEP_1) | instskip(NEXT) | instid1(VALU_DEP_1)
	v_div_fmas_f64 v[144:145], v[144:145], v[146:147], v[150:151]
	v_div_fixup_f64 v[150:151], v[144:145], v[114:115], 1.0
                                        ; implicit-def: $vgpr144_vgpr145
	s_delay_alu instid0(VALU_DEP_1)
	v_mul_f64 v[112:113], v[112:113], v[150:151]
	v_xor_b32_e32 v151, 0x80000000, v151
.LBB55_77:
	s_and_not1_saveexec_b32 s3, s3
	s_cbranch_execz .LBB55_79
; %bb.78:
	v_div_scale_f64 v[112:113], null, v[144:145], v[144:145], v[146:147]
	v_div_scale_f64 v[150:151], vcc_lo, v[146:147], v[144:145], v[146:147]
	s_delay_alu instid0(VALU_DEP_2) | instskip(SKIP_2) | instid1(VALU_DEP_1)
	v_rcp_f64_e32 v[114:115], v[112:113]
	s_waitcnt_depctr 0xfff
	v_fma_f64 v[148:149], -v[112:113], v[114:115], 1.0
	v_fma_f64 v[114:115], v[114:115], v[148:149], v[114:115]
	s_delay_alu instid0(VALU_DEP_1) | instskip(NEXT) | instid1(VALU_DEP_1)
	v_fma_f64 v[148:149], -v[112:113], v[114:115], 1.0
	v_fma_f64 v[114:115], v[114:115], v[148:149], v[114:115]
	s_delay_alu instid0(VALU_DEP_1) | instskip(NEXT) | instid1(VALU_DEP_1)
	v_mul_f64 v[148:149], v[150:151], v[114:115]
	v_fma_f64 v[112:113], -v[112:113], v[148:149], v[150:151]
	s_delay_alu instid0(VALU_DEP_1) | instskip(NEXT) | instid1(VALU_DEP_1)
	v_div_fmas_f64 v[112:113], v[112:113], v[114:115], v[148:149]
	v_div_fixup_f64 v[114:115], v[112:113], v[144:145], v[146:147]
	s_delay_alu instid0(VALU_DEP_1) | instskip(NEXT) | instid1(VALU_DEP_1)
	v_fma_f64 v[112:113], v[146:147], v[114:115], v[144:145]
	v_div_scale_f64 v[144:145], null, v[112:113], v[112:113], 1.0
	s_delay_alu instid0(VALU_DEP_1) | instskip(SKIP_2) | instid1(VALU_DEP_1)
	v_rcp_f64_e32 v[146:147], v[144:145]
	s_waitcnt_depctr 0xfff
	v_fma_f64 v[148:149], -v[144:145], v[146:147], 1.0
	v_fma_f64 v[146:147], v[146:147], v[148:149], v[146:147]
	s_delay_alu instid0(VALU_DEP_1) | instskip(NEXT) | instid1(VALU_DEP_1)
	v_fma_f64 v[148:149], -v[144:145], v[146:147], 1.0
	v_fma_f64 v[146:147], v[146:147], v[148:149], v[146:147]
	v_div_scale_f64 v[148:149], vcc_lo, 1.0, v[112:113], 1.0
	s_delay_alu instid0(VALU_DEP_1) | instskip(NEXT) | instid1(VALU_DEP_1)
	v_mul_f64 v[150:151], v[148:149], v[146:147]
	v_fma_f64 v[144:145], -v[144:145], v[150:151], v[148:149]
	s_delay_alu instid0(VALU_DEP_1) | instskip(NEXT) | instid1(VALU_DEP_1)
	v_div_fmas_f64 v[144:145], v[144:145], v[146:147], v[150:151]
	v_div_fixup_f64 v[112:113], v[144:145], v[112:113], 1.0
	s_delay_alu instid0(VALU_DEP_1)
	v_mul_f64 v[150:151], v[114:115], -v[112:113]
.LBB55_79:
	s_or_b32 exec_lo, exec_lo, s3
	ds_store_2addr_b64 v253, v[112:113], v[150:151] offset1:1
.LBB55_80:
	s_or_b32 exec_lo, exec_lo, s4
	s_waitcnt lgkmcnt(0)
	s_barrier
	buffer_gl0_inv
	ds_load_2addr_b64 v[144:147], v253 offset1:1
	s_mov_b32 s3, exec_lo
	v_cmpx_lt_u32_e32 8, v252
	s_cbranch_execz .LBB55_82
; %bb.81:
	s_waitcnt lgkmcnt(0)
	v_mul_f64 v[112:113], v[146:147], v[78:79]
	v_mul_f64 v[78:79], v[144:145], v[78:79]
	s_delay_alu instid0(VALU_DEP_2) | instskip(NEXT) | instid1(VALU_DEP_2)
	v_fma_f64 v[148:149], v[144:145], v[76:77], -v[112:113]
	v_fma_f64 v[78:79], v[146:147], v[76:77], v[78:79]
	ds_load_2addr_b64 v[112:115], v254 offset0:18 offset1:19
	s_waitcnt lgkmcnt(0)
	v_mul_f64 v[76:77], v[114:115], v[78:79]
	s_delay_alu instid0(VALU_DEP_1) | instskip(SKIP_1) | instid1(VALU_DEP_2)
	v_fma_f64 v[76:77], v[112:113], v[148:149], -v[76:77]
	v_mul_f64 v[112:113], v[112:113], v[78:79]
	v_add_f64 v[72:73], v[72:73], -v[76:77]
	s_delay_alu instid0(VALU_DEP_2) | instskip(NEXT) | instid1(VALU_DEP_1)
	v_fma_f64 v[112:113], v[114:115], v[148:149], v[112:113]
	v_add_f64 v[74:75], v[74:75], -v[112:113]
	ds_load_2addr_b64 v[112:115], v254 offset0:20 offset1:21
	s_waitcnt lgkmcnt(0)
	v_mul_f64 v[76:77], v[114:115], v[78:79]
	s_delay_alu instid0(VALU_DEP_1) | instskip(SKIP_1) | instid1(VALU_DEP_2)
	v_fma_f64 v[76:77], v[112:113], v[148:149], -v[76:77]
	v_mul_f64 v[112:113], v[112:113], v[78:79]
	v_add_f64 v[68:69], v[68:69], -v[76:77]
	s_delay_alu instid0(VALU_DEP_2) | instskip(NEXT) | instid1(VALU_DEP_1)
	v_fma_f64 v[112:113], v[114:115], v[148:149], v[112:113]
	v_add_f64 v[70:71], v[70:71], -v[112:113]
	;; [unrolled: 10-line block ×18, first 2 shown]
	ds_load_2addr_b64 v[112:115], v254 offset0:54 offset1:55
	s_waitcnt lgkmcnt(0)
	v_mul_f64 v[76:77], v[114:115], v[78:79]
	s_delay_alu instid0(VALU_DEP_1) | instskip(SKIP_1) | instid1(VALU_DEP_2)
	v_fma_f64 v[76:77], v[112:113], v[148:149], -v[76:77]
	v_mul_f64 v[112:113], v[112:113], v[78:79]
	v_add_f64 v[0:1], v[0:1], -v[76:77]
	s_delay_alu instid0(VALU_DEP_2) | instskip(SKIP_1) | instid1(VALU_DEP_2)
	v_fma_f64 v[112:113], v[114:115], v[148:149], v[112:113]
	v_dual_mov_b32 v76, v148 :: v_dual_mov_b32 v77, v149
	v_add_f64 v[2:3], v[2:3], -v[112:113]
.LBB55_82:
	s_or_b32 exec_lo, exec_lo, s3
	s_delay_alu instid0(SALU_CYCLE_1)
	s_mov_b32 s4, exec_lo
	s_waitcnt lgkmcnt(0)
	s_barrier
	buffer_gl0_inv
	v_cmpx_eq_u32_e32 9, v252
	s_cbranch_execz .LBB55_89
; %bb.83:
	ds_store_2addr_b64 v253, v[72:73], v[74:75] offset1:1
	ds_store_2addr_b64 v254, v[68:69], v[70:71] offset0:20 offset1:21
	ds_store_2addr_b64 v254, v[64:65], v[66:67] offset0:22 offset1:23
	ds_store_2addr_b64 v254, v[60:61], v[62:63] offset0:24 offset1:25
	ds_store_2addr_b64 v254, v[56:57], v[58:59] offset0:26 offset1:27
	ds_store_2addr_b64 v254, v[52:53], v[54:55] offset0:28 offset1:29
	ds_store_2addr_b64 v254, v[48:49], v[50:51] offset0:30 offset1:31
	ds_store_2addr_b64 v254, v[44:45], v[46:47] offset0:32 offset1:33
	ds_store_2addr_b64 v254, v[40:41], v[42:43] offset0:34 offset1:35
	ds_store_2addr_b64 v254, v[36:37], v[38:39] offset0:36 offset1:37
	ds_store_2addr_b64 v254, v[32:33], v[34:35] offset0:38 offset1:39
	ds_store_2addr_b64 v254, v[28:29], v[30:31] offset0:40 offset1:41
	ds_store_2addr_b64 v254, v[24:25], v[26:27] offset0:42 offset1:43
	ds_store_2addr_b64 v254, v[20:21], v[22:23] offset0:44 offset1:45
	ds_store_2addr_b64 v254, v[16:17], v[18:19] offset0:46 offset1:47
	ds_store_2addr_b64 v254, v[12:13], v[14:15] offset0:48 offset1:49
	ds_store_2addr_b64 v254, v[8:9], v[10:11] offset0:50 offset1:51
	ds_store_2addr_b64 v254, v[4:5], v[6:7] offset0:52 offset1:53
	ds_store_2addr_b64 v254, v[0:1], v[2:3] offset0:54 offset1:55
	ds_load_2addr_b64 v[148:151], v253 offset1:1
	s_waitcnt lgkmcnt(0)
	v_cmp_neq_f64_e32 vcc_lo, 0, v[148:149]
	v_cmp_neq_f64_e64 s3, 0, v[150:151]
	s_delay_alu instid0(VALU_DEP_1) | instskip(NEXT) | instid1(SALU_CYCLE_1)
	s_or_b32 s3, vcc_lo, s3
	s_and_b32 exec_lo, exec_lo, s3
	s_cbranch_execz .LBB55_89
; %bb.84:
	v_cmp_gt_f64_e32 vcc_lo, 0, v[148:149]
	v_cmp_gt_f64_e64 s3, 0, v[150:151]
	v_xor_b32_e32 v112, 0x80000000, v149
	v_xor_b32_e32 v114, 0x80000000, v151
	s_delay_alu instid0(VALU_DEP_2) | instskip(NEXT) | instid1(VALU_DEP_2)
	v_cndmask_b32_e32 v113, v149, v112, vcc_lo
	v_cndmask_b32_e64 v115, v151, v114, s3
	v_cndmask_b32_e32 v112, v148, v148, vcc_lo
	v_cndmask_b32_e64 v114, v150, v150, s3
	s_delay_alu instid0(VALU_DEP_1) | instskip(SKIP_1) | instid1(SALU_CYCLE_1)
	v_cmp_ngt_f64_e32 vcc_lo, v[112:113], v[114:115]
                                        ; implicit-def: $vgpr112_vgpr113
	s_and_saveexec_b32 s3, vcc_lo
	s_xor_b32 s3, exec_lo, s3
                                        ; implicit-def: $vgpr152_vgpr153_vgpr154_vgpr155
	s_cbranch_execz .LBB55_86
; %bb.85:
	v_div_scale_f64 v[112:113], null, v[150:151], v[150:151], v[148:149]
	v_div_scale_f64 v[154:155], vcc_lo, v[148:149], v[150:151], v[148:149]
	s_delay_alu instid0(VALU_DEP_2) | instskip(SKIP_2) | instid1(VALU_DEP_1)
	v_rcp_f64_e32 v[114:115], v[112:113]
	s_waitcnt_depctr 0xfff
	v_fma_f64 v[152:153], -v[112:113], v[114:115], 1.0
	v_fma_f64 v[114:115], v[114:115], v[152:153], v[114:115]
	s_delay_alu instid0(VALU_DEP_1) | instskip(NEXT) | instid1(VALU_DEP_1)
	v_fma_f64 v[152:153], -v[112:113], v[114:115], 1.0
	v_fma_f64 v[114:115], v[114:115], v[152:153], v[114:115]
	s_delay_alu instid0(VALU_DEP_1) | instskip(NEXT) | instid1(VALU_DEP_1)
	v_mul_f64 v[152:153], v[154:155], v[114:115]
	v_fma_f64 v[112:113], -v[112:113], v[152:153], v[154:155]
	s_delay_alu instid0(VALU_DEP_1) | instskip(NEXT) | instid1(VALU_DEP_1)
	v_div_fmas_f64 v[112:113], v[112:113], v[114:115], v[152:153]
	v_div_fixup_f64 v[112:113], v[112:113], v[150:151], v[148:149]
	s_delay_alu instid0(VALU_DEP_1) | instskip(NEXT) | instid1(VALU_DEP_1)
	v_fma_f64 v[114:115], v[148:149], v[112:113], v[150:151]
	v_div_scale_f64 v[148:149], null, v[114:115], v[114:115], 1.0
	s_delay_alu instid0(VALU_DEP_1) | instskip(SKIP_2) | instid1(VALU_DEP_1)
	v_rcp_f64_e32 v[150:151], v[148:149]
	s_waitcnt_depctr 0xfff
	v_fma_f64 v[152:153], -v[148:149], v[150:151], 1.0
	v_fma_f64 v[150:151], v[150:151], v[152:153], v[150:151]
	s_delay_alu instid0(VALU_DEP_1) | instskip(NEXT) | instid1(VALU_DEP_1)
	v_fma_f64 v[152:153], -v[148:149], v[150:151], 1.0
	v_fma_f64 v[150:151], v[150:151], v[152:153], v[150:151]
	v_div_scale_f64 v[152:153], vcc_lo, 1.0, v[114:115], 1.0
	s_delay_alu instid0(VALU_DEP_1) | instskip(NEXT) | instid1(VALU_DEP_1)
	v_mul_f64 v[154:155], v[152:153], v[150:151]
	v_fma_f64 v[148:149], -v[148:149], v[154:155], v[152:153]
	s_delay_alu instid0(VALU_DEP_1) | instskip(NEXT) | instid1(VALU_DEP_1)
	v_div_fmas_f64 v[148:149], v[148:149], v[150:151], v[154:155]
	v_div_fixup_f64 v[154:155], v[148:149], v[114:115], 1.0
                                        ; implicit-def: $vgpr148_vgpr149
	s_delay_alu instid0(VALU_DEP_1)
	v_mul_f64 v[112:113], v[112:113], v[154:155]
	v_xor_b32_e32 v155, 0x80000000, v155
.LBB55_86:
	s_and_not1_saveexec_b32 s3, s3
	s_cbranch_execz .LBB55_88
; %bb.87:
	v_div_scale_f64 v[112:113], null, v[148:149], v[148:149], v[150:151]
	v_div_scale_f64 v[154:155], vcc_lo, v[150:151], v[148:149], v[150:151]
	s_delay_alu instid0(VALU_DEP_2) | instskip(SKIP_2) | instid1(VALU_DEP_1)
	v_rcp_f64_e32 v[114:115], v[112:113]
	s_waitcnt_depctr 0xfff
	v_fma_f64 v[152:153], -v[112:113], v[114:115], 1.0
	v_fma_f64 v[114:115], v[114:115], v[152:153], v[114:115]
	s_delay_alu instid0(VALU_DEP_1) | instskip(NEXT) | instid1(VALU_DEP_1)
	v_fma_f64 v[152:153], -v[112:113], v[114:115], 1.0
	v_fma_f64 v[114:115], v[114:115], v[152:153], v[114:115]
	s_delay_alu instid0(VALU_DEP_1) | instskip(NEXT) | instid1(VALU_DEP_1)
	v_mul_f64 v[152:153], v[154:155], v[114:115]
	v_fma_f64 v[112:113], -v[112:113], v[152:153], v[154:155]
	s_delay_alu instid0(VALU_DEP_1) | instskip(NEXT) | instid1(VALU_DEP_1)
	v_div_fmas_f64 v[112:113], v[112:113], v[114:115], v[152:153]
	v_div_fixup_f64 v[114:115], v[112:113], v[148:149], v[150:151]
	s_delay_alu instid0(VALU_DEP_1) | instskip(NEXT) | instid1(VALU_DEP_1)
	v_fma_f64 v[112:113], v[150:151], v[114:115], v[148:149]
	v_div_scale_f64 v[148:149], null, v[112:113], v[112:113], 1.0
	s_delay_alu instid0(VALU_DEP_1) | instskip(SKIP_2) | instid1(VALU_DEP_1)
	v_rcp_f64_e32 v[150:151], v[148:149]
	s_waitcnt_depctr 0xfff
	v_fma_f64 v[152:153], -v[148:149], v[150:151], 1.0
	v_fma_f64 v[150:151], v[150:151], v[152:153], v[150:151]
	s_delay_alu instid0(VALU_DEP_1) | instskip(NEXT) | instid1(VALU_DEP_1)
	v_fma_f64 v[152:153], -v[148:149], v[150:151], 1.0
	v_fma_f64 v[150:151], v[150:151], v[152:153], v[150:151]
	v_div_scale_f64 v[152:153], vcc_lo, 1.0, v[112:113], 1.0
	s_delay_alu instid0(VALU_DEP_1) | instskip(NEXT) | instid1(VALU_DEP_1)
	v_mul_f64 v[154:155], v[152:153], v[150:151]
	v_fma_f64 v[148:149], -v[148:149], v[154:155], v[152:153]
	s_delay_alu instid0(VALU_DEP_1) | instskip(NEXT) | instid1(VALU_DEP_1)
	v_div_fmas_f64 v[148:149], v[148:149], v[150:151], v[154:155]
	v_div_fixup_f64 v[112:113], v[148:149], v[112:113], 1.0
	s_delay_alu instid0(VALU_DEP_1)
	v_mul_f64 v[154:155], v[114:115], -v[112:113]
.LBB55_88:
	s_or_b32 exec_lo, exec_lo, s3
	ds_store_2addr_b64 v253, v[112:113], v[154:155] offset1:1
.LBB55_89:
	s_or_b32 exec_lo, exec_lo, s4
	s_waitcnt lgkmcnt(0)
	s_barrier
	buffer_gl0_inv
	ds_load_2addr_b64 v[148:151], v253 offset1:1
	s_mov_b32 s3, exec_lo
	v_cmpx_lt_u32_e32 9, v252
	s_cbranch_execz .LBB55_91
; %bb.90:
	s_waitcnt lgkmcnt(0)
	v_mul_f64 v[112:113], v[150:151], v[74:75]
	v_mul_f64 v[74:75], v[148:149], v[74:75]
	s_delay_alu instid0(VALU_DEP_2) | instskip(NEXT) | instid1(VALU_DEP_2)
	v_fma_f64 v[152:153], v[148:149], v[72:73], -v[112:113]
	v_fma_f64 v[74:75], v[150:151], v[72:73], v[74:75]
	ds_load_2addr_b64 v[112:115], v254 offset0:20 offset1:21
	s_waitcnt lgkmcnt(0)
	v_mul_f64 v[72:73], v[114:115], v[74:75]
	s_delay_alu instid0(VALU_DEP_1) | instskip(SKIP_1) | instid1(VALU_DEP_2)
	v_fma_f64 v[72:73], v[112:113], v[152:153], -v[72:73]
	v_mul_f64 v[112:113], v[112:113], v[74:75]
	v_add_f64 v[68:69], v[68:69], -v[72:73]
	s_delay_alu instid0(VALU_DEP_2) | instskip(NEXT) | instid1(VALU_DEP_1)
	v_fma_f64 v[112:113], v[114:115], v[152:153], v[112:113]
	v_add_f64 v[70:71], v[70:71], -v[112:113]
	ds_load_2addr_b64 v[112:115], v254 offset0:22 offset1:23
	s_waitcnt lgkmcnt(0)
	v_mul_f64 v[72:73], v[114:115], v[74:75]
	s_delay_alu instid0(VALU_DEP_1) | instskip(SKIP_1) | instid1(VALU_DEP_2)
	v_fma_f64 v[72:73], v[112:113], v[152:153], -v[72:73]
	v_mul_f64 v[112:113], v[112:113], v[74:75]
	v_add_f64 v[64:65], v[64:65], -v[72:73]
	s_delay_alu instid0(VALU_DEP_2) | instskip(NEXT) | instid1(VALU_DEP_1)
	v_fma_f64 v[112:113], v[114:115], v[152:153], v[112:113]
	v_add_f64 v[66:67], v[66:67], -v[112:113]
	;; [unrolled: 10-line block ×17, first 2 shown]
	ds_load_2addr_b64 v[112:115], v254 offset0:54 offset1:55
	s_waitcnt lgkmcnt(0)
	v_mul_f64 v[72:73], v[114:115], v[74:75]
	s_delay_alu instid0(VALU_DEP_1) | instskip(SKIP_1) | instid1(VALU_DEP_2)
	v_fma_f64 v[72:73], v[112:113], v[152:153], -v[72:73]
	v_mul_f64 v[112:113], v[112:113], v[74:75]
	v_add_f64 v[0:1], v[0:1], -v[72:73]
	s_delay_alu instid0(VALU_DEP_2) | instskip(SKIP_1) | instid1(VALU_DEP_2)
	v_fma_f64 v[112:113], v[114:115], v[152:153], v[112:113]
	v_dual_mov_b32 v72, v152 :: v_dual_mov_b32 v73, v153
	v_add_f64 v[2:3], v[2:3], -v[112:113]
.LBB55_91:
	s_or_b32 exec_lo, exec_lo, s3
	s_delay_alu instid0(SALU_CYCLE_1)
	s_mov_b32 s4, exec_lo
	s_waitcnt lgkmcnt(0)
	s_barrier
	buffer_gl0_inv
	v_cmpx_eq_u32_e32 10, v252
	s_cbranch_execz .LBB55_98
; %bb.92:
	ds_store_2addr_b64 v253, v[68:69], v[70:71] offset1:1
	ds_store_2addr_b64 v254, v[64:65], v[66:67] offset0:22 offset1:23
	ds_store_2addr_b64 v254, v[60:61], v[62:63] offset0:24 offset1:25
	;; [unrolled: 1-line block ×17, first 2 shown]
	ds_load_2addr_b64 v[152:155], v253 offset1:1
	s_waitcnt lgkmcnt(0)
	v_cmp_neq_f64_e32 vcc_lo, 0, v[152:153]
	v_cmp_neq_f64_e64 s3, 0, v[154:155]
	s_delay_alu instid0(VALU_DEP_1) | instskip(NEXT) | instid1(SALU_CYCLE_1)
	s_or_b32 s3, vcc_lo, s3
	s_and_b32 exec_lo, exec_lo, s3
	s_cbranch_execz .LBB55_98
; %bb.93:
	v_cmp_gt_f64_e32 vcc_lo, 0, v[152:153]
	v_cmp_gt_f64_e64 s3, 0, v[154:155]
	v_xor_b32_e32 v112, 0x80000000, v153
	v_xor_b32_e32 v114, 0x80000000, v155
	s_delay_alu instid0(VALU_DEP_2) | instskip(NEXT) | instid1(VALU_DEP_2)
	v_cndmask_b32_e32 v113, v153, v112, vcc_lo
	v_cndmask_b32_e64 v115, v155, v114, s3
	v_cndmask_b32_e32 v112, v152, v152, vcc_lo
	v_cndmask_b32_e64 v114, v154, v154, s3
	s_delay_alu instid0(VALU_DEP_1) | instskip(SKIP_1) | instid1(SALU_CYCLE_1)
	v_cmp_ngt_f64_e32 vcc_lo, v[112:113], v[114:115]
                                        ; implicit-def: $vgpr112_vgpr113
	s_and_saveexec_b32 s3, vcc_lo
	s_xor_b32 s3, exec_lo, s3
                                        ; implicit-def: $vgpr156_vgpr157_vgpr158_vgpr159
	s_cbranch_execz .LBB55_95
; %bb.94:
	v_div_scale_f64 v[112:113], null, v[154:155], v[154:155], v[152:153]
	v_div_scale_f64 v[158:159], vcc_lo, v[152:153], v[154:155], v[152:153]
	s_delay_alu instid0(VALU_DEP_2) | instskip(SKIP_2) | instid1(VALU_DEP_1)
	v_rcp_f64_e32 v[114:115], v[112:113]
	s_waitcnt_depctr 0xfff
	v_fma_f64 v[156:157], -v[112:113], v[114:115], 1.0
	v_fma_f64 v[114:115], v[114:115], v[156:157], v[114:115]
	s_delay_alu instid0(VALU_DEP_1) | instskip(NEXT) | instid1(VALU_DEP_1)
	v_fma_f64 v[156:157], -v[112:113], v[114:115], 1.0
	v_fma_f64 v[114:115], v[114:115], v[156:157], v[114:115]
	s_delay_alu instid0(VALU_DEP_1) | instskip(NEXT) | instid1(VALU_DEP_1)
	v_mul_f64 v[156:157], v[158:159], v[114:115]
	v_fma_f64 v[112:113], -v[112:113], v[156:157], v[158:159]
	s_delay_alu instid0(VALU_DEP_1) | instskip(NEXT) | instid1(VALU_DEP_1)
	v_div_fmas_f64 v[112:113], v[112:113], v[114:115], v[156:157]
	v_div_fixup_f64 v[112:113], v[112:113], v[154:155], v[152:153]
	s_delay_alu instid0(VALU_DEP_1) | instskip(NEXT) | instid1(VALU_DEP_1)
	v_fma_f64 v[114:115], v[152:153], v[112:113], v[154:155]
	v_div_scale_f64 v[152:153], null, v[114:115], v[114:115], 1.0
	s_delay_alu instid0(VALU_DEP_1) | instskip(SKIP_2) | instid1(VALU_DEP_1)
	v_rcp_f64_e32 v[154:155], v[152:153]
	s_waitcnt_depctr 0xfff
	v_fma_f64 v[156:157], -v[152:153], v[154:155], 1.0
	v_fma_f64 v[154:155], v[154:155], v[156:157], v[154:155]
	s_delay_alu instid0(VALU_DEP_1) | instskip(NEXT) | instid1(VALU_DEP_1)
	v_fma_f64 v[156:157], -v[152:153], v[154:155], 1.0
	v_fma_f64 v[154:155], v[154:155], v[156:157], v[154:155]
	v_div_scale_f64 v[156:157], vcc_lo, 1.0, v[114:115], 1.0
	s_delay_alu instid0(VALU_DEP_1) | instskip(NEXT) | instid1(VALU_DEP_1)
	v_mul_f64 v[158:159], v[156:157], v[154:155]
	v_fma_f64 v[152:153], -v[152:153], v[158:159], v[156:157]
	s_delay_alu instid0(VALU_DEP_1) | instskip(NEXT) | instid1(VALU_DEP_1)
	v_div_fmas_f64 v[152:153], v[152:153], v[154:155], v[158:159]
	v_div_fixup_f64 v[158:159], v[152:153], v[114:115], 1.0
                                        ; implicit-def: $vgpr152_vgpr153
	s_delay_alu instid0(VALU_DEP_1)
	v_mul_f64 v[112:113], v[112:113], v[158:159]
	v_xor_b32_e32 v159, 0x80000000, v159
.LBB55_95:
	s_and_not1_saveexec_b32 s3, s3
	s_cbranch_execz .LBB55_97
; %bb.96:
	v_div_scale_f64 v[112:113], null, v[152:153], v[152:153], v[154:155]
	v_div_scale_f64 v[158:159], vcc_lo, v[154:155], v[152:153], v[154:155]
	s_delay_alu instid0(VALU_DEP_2) | instskip(SKIP_2) | instid1(VALU_DEP_1)
	v_rcp_f64_e32 v[114:115], v[112:113]
	s_waitcnt_depctr 0xfff
	v_fma_f64 v[156:157], -v[112:113], v[114:115], 1.0
	v_fma_f64 v[114:115], v[114:115], v[156:157], v[114:115]
	s_delay_alu instid0(VALU_DEP_1) | instskip(NEXT) | instid1(VALU_DEP_1)
	v_fma_f64 v[156:157], -v[112:113], v[114:115], 1.0
	v_fma_f64 v[114:115], v[114:115], v[156:157], v[114:115]
	s_delay_alu instid0(VALU_DEP_1) | instskip(NEXT) | instid1(VALU_DEP_1)
	v_mul_f64 v[156:157], v[158:159], v[114:115]
	v_fma_f64 v[112:113], -v[112:113], v[156:157], v[158:159]
	s_delay_alu instid0(VALU_DEP_1) | instskip(NEXT) | instid1(VALU_DEP_1)
	v_div_fmas_f64 v[112:113], v[112:113], v[114:115], v[156:157]
	v_div_fixup_f64 v[114:115], v[112:113], v[152:153], v[154:155]
	s_delay_alu instid0(VALU_DEP_1) | instskip(NEXT) | instid1(VALU_DEP_1)
	v_fma_f64 v[112:113], v[154:155], v[114:115], v[152:153]
	v_div_scale_f64 v[152:153], null, v[112:113], v[112:113], 1.0
	s_delay_alu instid0(VALU_DEP_1) | instskip(SKIP_2) | instid1(VALU_DEP_1)
	v_rcp_f64_e32 v[154:155], v[152:153]
	s_waitcnt_depctr 0xfff
	v_fma_f64 v[156:157], -v[152:153], v[154:155], 1.0
	v_fma_f64 v[154:155], v[154:155], v[156:157], v[154:155]
	s_delay_alu instid0(VALU_DEP_1) | instskip(NEXT) | instid1(VALU_DEP_1)
	v_fma_f64 v[156:157], -v[152:153], v[154:155], 1.0
	v_fma_f64 v[154:155], v[154:155], v[156:157], v[154:155]
	v_div_scale_f64 v[156:157], vcc_lo, 1.0, v[112:113], 1.0
	s_delay_alu instid0(VALU_DEP_1) | instskip(NEXT) | instid1(VALU_DEP_1)
	v_mul_f64 v[158:159], v[156:157], v[154:155]
	v_fma_f64 v[152:153], -v[152:153], v[158:159], v[156:157]
	s_delay_alu instid0(VALU_DEP_1) | instskip(NEXT) | instid1(VALU_DEP_1)
	v_div_fmas_f64 v[152:153], v[152:153], v[154:155], v[158:159]
	v_div_fixup_f64 v[112:113], v[152:153], v[112:113], 1.0
	s_delay_alu instid0(VALU_DEP_1)
	v_mul_f64 v[158:159], v[114:115], -v[112:113]
.LBB55_97:
	s_or_b32 exec_lo, exec_lo, s3
	ds_store_2addr_b64 v253, v[112:113], v[158:159] offset1:1
.LBB55_98:
	s_or_b32 exec_lo, exec_lo, s4
	s_waitcnt lgkmcnt(0)
	s_barrier
	buffer_gl0_inv
	ds_load_2addr_b64 v[152:155], v253 offset1:1
	s_mov_b32 s3, exec_lo
	v_cmpx_lt_u32_e32 10, v252
	s_cbranch_execz .LBB55_100
; %bb.99:
	s_waitcnt lgkmcnt(0)
	v_mul_f64 v[112:113], v[154:155], v[70:71]
	v_mul_f64 v[70:71], v[152:153], v[70:71]
	s_delay_alu instid0(VALU_DEP_2) | instskip(NEXT) | instid1(VALU_DEP_2)
	v_fma_f64 v[156:157], v[152:153], v[68:69], -v[112:113]
	v_fma_f64 v[70:71], v[154:155], v[68:69], v[70:71]
	ds_load_2addr_b64 v[112:115], v254 offset0:22 offset1:23
	s_waitcnt lgkmcnt(0)
	v_mul_f64 v[68:69], v[114:115], v[70:71]
	s_delay_alu instid0(VALU_DEP_1) | instskip(SKIP_1) | instid1(VALU_DEP_2)
	v_fma_f64 v[68:69], v[112:113], v[156:157], -v[68:69]
	v_mul_f64 v[112:113], v[112:113], v[70:71]
	v_add_f64 v[64:65], v[64:65], -v[68:69]
	s_delay_alu instid0(VALU_DEP_2) | instskip(NEXT) | instid1(VALU_DEP_1)
	v_fma_f64 v[112:113], v[114:115], v[156:157], v[112:113]
	v_add_f64 v[66:67], v[66:67], -v[112:113]
	ds_load_2addr_b64 v[112:115], v254 offset0:24 offset1:25
	s_waitcnt lgkmcnt(0)
	v_mul_f64 v[68:69], v[114:115], v[70:71]
	s_delay_alu instid0(VALU_DEP_1) | instskip(SKIP_1) | instid1(VALU_DEP_2)
	v_fma_f64 v[68:69], v[112:113], v[156:157], -v[68:69]
	v_mul_f64 v[112:113], v[112:113], v[70:71]
	v_add_f64 v[60:61], v[60:61], -v[68:69]
	s_delay_alu instid0(VALU_DEP_2) | instskip(NEXT) | instid1(VALU_DEP_1)
	v_fma_f64 v[112:113], v[114:115], v[156:157], v[112:113]
	v_add_f64 v[62:63], v[62:63], -v[112:113]
	;; [unrolled: 10-line block ×16, first 2 shown]
	ds_load_2addr_b64 v[112:115], v254 offset0:54 offset1:55
	s_waitcnt lgkmcnt(0)
	v_mul_f64 v[68:69], v[114:115], v[70:71]
	s_delay_alu instid0(VALU_DEP_1) | instskip(SKIP_1) | instid1(VALU_DEP_2)
	v_fma_f64 v[68:69], v[112:113], v[156:157], -v[68:69]
	v_mul_f64 v[112:113], v[112:113], v[70:71]
	v_add_f64 v[0:1], v[0:1], -v[68:69]
	s_delay_alu instid0(VALU_DEP_2) | instskip(SKIP_1) | instid1(VALU_DEP_2)
	v_fma_f64 v[112:113], v[114:115], v[156:157], v[112:113]
	v_dual_mov_b32 v68, v156 :: v_dual_mov_b32 v69, v157
	v_add_f64 v[2:3], v[2:3], -v[112:113]
.LBB55_100:
	s_or_b32 exec_lo, exec_lo, s3
	s_delay_alu instid0(SALU_CYCLE_1)
	s_mov_b32 s4, exec_lo
	s_waitcnt lgkmcnt(0)
	s_barrier
	buffer_gl0_inv
	v_cmpx_eq_u32_e32 11, v252
	s_cbranch_execz .LBB55_107
; %bb.101:
	ds_store_2addr_b64 v253, v[64:65], v[66:67] offset1:1
	ds_store_2addr_b64 v254, v[60:61], v[62:63] offset0:24 offset1:25
	ds_store_2addr_b64 v254, v[56:57], v[58:59] offset0:26 offset1:27
	;; [unrolled: 1-line block ×16, first 2 shown]
	ds_load_2addr_b64 v[156:159], v253 offset1:1
	s_waitcnt lgkmcnt(0)
	v_cmp_neq_f64_e32 vcc_lo, 0, v[156:157]
	v_cmp_neq_f64_e64 s3, 0, v[158:159]
	s_delay_alu instid0(VALU_DEP_1) | instskip(NEXT) | instid1(SALU_CYCLE_1)
	s_or_b32 s3, vcc_lo, s3
	s_and_b32 exec_lo, exec_lo, s3
	s_cbranch_execz .LBB55_107
; %bb.102:
	v_cmp_gt_f64_e32 vcc_lo, 0, v[156:157]
	v_cmp_gt_f64_e64 s3, 0, v[158:159]
	v_xor_b32_e32 v112, 0x80000000, v157
	v_xor_b32_e32 v114, 0x80000000, v159
	s_delay_alu instid0(VALU_DEP_2) | instskip(NEXT) | instid1(VALU_DEP_2)
	v_cndmask_b32_e32 v113, v157, v112, vcc_lo
	v_cndmask_b32_e64 v115, v159, v114, s3
	v_cndmask_b32_e32 v112, v156, v156, vcc_lo
	v_cndmask_b32_e64 v114, v158, v158, s3
	s_delay_alu instid0(VALU_DEP_1) | instskip(SKIP_1) | instid1(SALU_CYCLE_1)
	v_cmp_ngt_f64_e32 vcc_lo, v[112:113], v[114:115]
                                        ; implicit-def: $vgpr112_vgpr113
	s_and_saveexec_b32 s3, vcc_lo
	s_xor_b32 s3, exec_lo, s3
                                        ; implicit-def: $vgpr160_vgpr161_vgpr162_vgpr163
	s_cbranch_execz .LBB55_104
; %bb.103:
	v_div_scale_f64 v[112:113], null, v[158:159], v[158:159], v[156:157]
	v_div_scale_f64 v[162:163], vcc_lo, v[156:157], v[158:159], v[156:157]
	s_delay_alu instid0(VALU_DEP_2) | instskip(SKIP_2) | instid1(VALU_DEP_1)
	v_rcp_f64_e32 v[114:115], v[112:113]
	s_waitcnt_depctr 0xfff
	v_fma_f64 v[160:161], -v[112:113], v[114:115], 1.0
	v_fma_f64 v[114:115], v[114:115], v[160:161], v[114:115]
	s_delay_alu instid0(VALU_DEP_1) | instskip(NEXT) | instid1(VALU_DEP_1)
	v_fma_f64 v[160:161], -v[112:113], v[114:115], 1.0
	v_fma_f64 v[114:115], v[114:115], v[160:161], v[114:115]
	s_delay_alu instid0(VALU_DEP_1) | instskip(NEXT) | instid1(VALU_DEP_1)
	v_mul_f64 v[160:161], v[162:163], v[114:115]
	v_fma_f64 v[112:113], -v[112:113], v[160:161], v[162:163]
	s_delay_alu instid0(VALU_DEP_1) | instskip(NEXT) | instid1(VALU_DEP_1)
	v_div_fmas_f64 v[112:113], v[112:113], v[114:115], v[160:161]
	v_div_fixup_f64 v[112:113], v[112:113], v[158:159], v[156:157]
	s_delay_alu instid0(VALU_DEP_1) | instskip(NEXT) | instid1(VALU_DEP_1)
	v_fma_f64 v[114:115], v[156:157], v[112:113], v[158:159]
	v_div_scale_f64 v[156:157], null, v[114:115], v[114:115], 1.0
	s_delay_alu instid0(VALU_DEP_1) | instskip(SKIP_2) | instid1(VALU_DEP_1)
	v_rcp_f64_e32 v[158:159], v[156:157]
	s_waitcnt_depctr 0xfff
	v_fma_f64 v[160:161], -v[156:157], v[158:159], 1.0
	v_fma_f64 v[158:159], v[158:159], v[160:161], v[158:159]
	s_delay_alu instid0(VALU_DEP_1) | instskip(NEXT) | instid1(VALU_DEP_1)
	v_fma_f64 v[160:161], -v[156:157], v[158:159], 1.0
	v_fma_f64 v[158:159], v[158:159], v[160:161], v[158:159]
	v_div_scale_f64 v[160:161], vcc_lo, 1.0, v[114:115], 1.0
	s_delay_alu instid0(VALU_DEP_1) | instskip(NEXT) | instid1(VALU_DEP_1)
	v_mul_f64 v[162:163], v[160:161], v[158:159]
	v_fma_f64 v[156:157], -v[156:157], v[162:163], v[160:161]
	s_delay_alu instid0(VALU_DEP_1) | instskip(NEXT) | instid1(VALU_DEP_1)
	v_div_fmas_f64 v[156:157], v[156:157], v[158:159], v[162:163]
	v_div_fixup_f64 v[162:163], v[156:157], v[114:115], 1.0
                                        ; implicit-def: $vgpr156_vgpr157
	s_delay_alu instid0(VALU_DEP_1)
	v_mul_f64 v[112:113], v[112:113], v[162:163]
	v_xor_b32_e32 v163, 0x80000000, v163
.LBB55_104:
	s_and_not1_saveexec_b32 s3, s3
	s_cbranch_execz .LBB55_106
; %bb.105:
	v_div_scale_f64 v[112:113], null, v[156:157], v[156:157], v[158:159]
	v_div_scale_f64 v[162:163], vcc_lo, v[158:159], v[156:157], v[158:159]
	s_delay_alu instid0(VALU_DEP_2) | instskip(SKIP_2) | instid1(VALU_DEP_1)
	v_rcp_f64_e32 v[114:115], v[112:113]
	s_waitcnt_depctr 0xfff
	v_fma_f64 v[160:161], -v[112:113], v[114:115], 1.0
	v_fma_f64 v[114:115], v[114:115], v[160:161], v[114:115]
	s_delay_alu instid0(VALU_DEP_1) | instskip(NEXT) | instid1(VALU_DEP_1)
	v_fma_f64 v[160:161], -v[112:113], v[114:115], 1.0
	v_fma_f64 v[114:115], v[114:115], v[160:161], v[114:115]
	s_delay_alu instid0(VALU_DEP_1) | instskip(NEXT) | instid1(VALU_DEP_1)
	v_mul_f64 v[160:161], v[162:163], v[114:115]
	v_fma_f64 v[112:113], -v[112:113], v[160:161], v[162:163]
	s_delay_alu instid0(VALU_DEP_1) | instskip(NEXT) | instid1(VALU_DEP_1)
	v_div_fmas_f64 v[112:113], v[112:113], v[114:115], v[160:161]
	v_div_fixup_f64 v[114:115], v[112:113], v[156:157], v[158:159]
	s_delay_alu instid0(VALU_DEP_1) | instskip(NEXT) | instid1(VALU_DEP_1)
	v_fma_f64 v[112:113], v[158:159], v[114:115], v[156:157]
	v_div_scale_f64 v[156:157], null, v[112:113], v[112:113], 1.0
	s_delay_alu instid0(VALU_DEP_1) | instskip(SKIP_2) | instid1(VALU_DEP_1)
	v_rcp_f64_e32 v[158:159], v[156:157]
	s_waitcnt_depctr 0xfff
	v_fma_f64 v[160:161], -v[156:157], v[158:159], 1.0
	v_fma_f64 v[158:159], v[158:159], v[160:161], v[158:159]
	s_delay_alu instid0(VALU_DEP_1) | instskip(NEXT) | instid1(VALU_DEP_1)
	v_fma_f64 v[160:161], -v[156:157], v[158:159], 1.0
	v_fma_f64 v[158:159], v[158:159], v[160:161], v[158:159]
	v_div_scale_f64 v[160:161], vcc_lo, 1.0, v[112:113], 1.0
	s_delay_alu instid0(VALU_DEP_1) | instskip(NEXT) | instid1(VALU_DEP_1)
	v_mul_f64 v[162:163], v[160:161], v[158:159]
	v_fma_f64 v[156:157], -v[156:157], v[162:163], v[160:161]
	s_delay_alu instid0(VALU_DEP_1) | instskip(NEXT) | instid1(VALU_DEP_1)
	v_div_fmas_f64 v[156:157], v[156:157], v[158:159], v[162:163]
	v_div_fixup_f64 v[112:113], v[156:157], v[112:113], 1.0
	s_delay_alu instid0(VALU_DEP_1)
	v_mul_f64 v[162:163], v[114:115], -v[112:113]
.LBB55_106:
	s_or_b32 exec_lo, exec_lo, s3
	ds_store_2addr_b64 v253, v[112:113], v[162:163] offset1:1
.LBB55_107:
	s_or_b32 exec_lo, exec_lo, s4
	s_waitcnt lgkmcnt(0)
	s_barrier
	buffer_gl0_inv
	ds_load_2addr_b64 v[156:159], v253 offset1:1
	s_mov_b32 s3, exec_lo
	v_cmpx_lt_u32_e32 11, v252
	s_cbranch_execz .LBB55_109
; %bb.108:
	s_waitcnt lgkmcnt(0)
	v_mul_f64 v[112:113], v[156:157], v[66:67]
	v_mul_f64 v[66:67], v[158:159], v[66:67]
	s_delay_alu instid0(VALU_DEP_2) | instskip(SKIP_4) | instid1(VALU_DEP_1)
	v_fma_f64 v[160:161], v[158:159], v[64:65], v[112:113]
	ds_load_2addr_b64 v[112:115], v254 offset0:24 offset1:25
	v_fma_f64 v[64:65], v[156:157], v[64:65], -v[66:67]
	s_waitcnt lgkmcnt(0)
	v_mul_f64 v[66:67], v[114:115], v[160:161]
	v_fma_f64 v[66:67], v[112:113], v[64:65], -v[66:67]
	v_mul_f64 v[112:113], v[112:113], v[160:161]
	s_delay_alu instid0(VALU_DEP_2) | instskip(NEXT) | instid1(VALU_DEP_2)
	v_add_f64 v[60:61], v[60:61], -v[66:67]
	v_fma_f64 v[112:113], v[114:115], v[64:65], v[112:113]
	s_delay_alu instid0(VALU_DEP_1) | instskip(SKIP_3) | instid1(VALU_DEP_1)
	v_add_f64 v[62:63], v[62:63], -v[112:113]
	ds_load_2addr_b64 v[112:115], v254 offset0:26 offset1:27
	s_waitcnt lgkmcnt(0)
	v_mul_f64 v[66:67], v[114:115], v[160:161]
	v_fma_f64 v[66:67], v[112:113], v[64:65], -v[66:67]
	v_mul_f64 v[112:113], v[112:113], v[160:161]
	s_delay_alu instid0(VALU_DEP_2) | instskip(NEXT) | instid1(VALU_DEP_2)
	v_add_f64 v[56:57], v[56:57], -v[66:67]
	v_fma_f64 v[112:113], v[114:115], v[64:65], v[112:113]
	s_delay_alu instid0(VALU_DEP_1) | instskip(SKIP_3) | instid1(VALU_DEP_1)
	v_add_f64 v[58:59], v[58:59], -v[112:113]
	ds_load_2addr_b64 v[112:115], v254 offset0:28 offset1:29
	;; [unrolled: 10-line block ×15, first 2 shown]
	s_waitcnt lgkmcnt(0)
	v_mul_f64 v[66:67], v[114:115], v[160:161]
	v_fma_f64 v[66:67], v[112:113], v[64:65], -v[66:67]
	v_mul_f64 v[112:113], v[112:113], v[160:161]
	s_delay_alu instid0(VALU_DEP_2) | instskip(NEXT) | instid1(VALU_DEP_2)
	v_add_f64 v[0:1], v[0:1], -v[66:67]
	v_fma_f64 v[112:113], v[114:115], v[64:65], v[112:113]
	v_dual_mov_b32 v66, v160 :: v_dual_mov_b32 v67, v161
	s_delay_alu instid0(VALU_DEP_2)
	v_add_f64 v[2:3], v[2:3], -v[112:113]
.LBB55_109:
	s_or_b32 exec_lo, exec_lo, s3
	s_delay_alu instid0(SALU_CYCLE_1)
	s_mov_b32 s4, exec_lo
	s_waitcnt lgkmcnt(0)
	s_barrier
	buffer_gl0_inv
	v_cmpx_eq_u32_e32 12, v252
	s_cbranch_execz .LBB55_116
; %bb.110:
	ds_store_2addr_b64 v253, v[60:61], v[62:63] offset1:1
	ds_store_2addr_b64 v254, v[56:57], v[58:59] offset0:26 offset1:27
	ds_store_2addr_b64 v254, v[52:53], v[54:55] offset0:28 offset1:29
	;; [unrolled: 1-line block ×15, first 2 shown]
	ds_load_2addr_b64 v[160:163], v253 offset1:1
	s_waitcnt lgkmcnt(0)
	v_cmp_neq_f64_e32 vcc_lo, 0, v[160:161]
	v_cmp_neq_f64_e64 s3, 0, v[162:163]
	s_delay_alu instid0(VALU_DEP_1) | instskip(NEXT) | instid1(SALU_CYCLE_1)
	s_or_b32 s3, vcc_lo, s3
	s_and_b32 exec_lo, exec_lo, s3
	s_cbranch_execz .LBB55_116
; %bb.111:
	v_cmp_gt_f64_e32 vcc_lo, 0, v[160:161]
	v_cmp_gt_f64_e64 s3, 0, v[162:163]
	v_xor_b32_e32 v112, 0x80000000, v161
	v_xor_b32_e32 v114, 0x80000000, v163
	s_delay_alu instid0(VALU_DEP_2) | instskip(NEXT) | instid1(VALU_DEP_2)
	v_cndmask_b32_e32 v113, v161, v112, vcc_lo
	v_cndmask_b32_e64 v115, v163, v114, s3
	v_cndmask_b32_e32 v112, v160, v160, vcc_lo
	v_cndmask_b32_e64 v114, v162, v162, s3
	s_delay_alu instid0(VALU_DEP_1) | instskip(SKIP_1) | instid1(SALU_CYCLE_1)
	v_cmp_ngt_f64_e32 vcc_lo, v[112:113], v[114:115]
                                        ; implicit-def: $vgpr112_vgpr113
	s_and_saveexec_b32 s3, vcc_lo
	s_xor_b32 s3, exec_lo, s3
                                        ; implicit-def: $vgpr164_vgpr165_vgpr166_vgpr167
	s_cbranch_execz .LBB55_113
; %bb.112:
	v_div_scale_f64 v[112:113], null, v[162:163], v[162:163], v[160:161]
	v_div_scale_f64 v[166:167], vcc_lo, v[160:161], v[162:163], v[160:161]
	s_delay_alu instid0(VALU_DEP_2) | instskip(SKIP_2) | instid1(VALU_DEP_1)
	v_rcp_f64_e32 v[114:115], v[112:113]
	s_waitcnt_depctr 0xfff
	v_fma_f64 v[164:165], -v[112:113], v[114:115], 1.0
	v_fma_f64 v[114:115], v[114:115], v[164:165], v[114:115]
	s_delay_alu instid0(VALU_DEP_1) | instskip(NEXT) | instid1(VALU_DEP_1)
	v_fma_f64 v[164:165], -v[112:113], v[114:115], 1.0
	v_fma_f64 v[114:115], v[114:115], v[164:165], v[114:115]
	s_delay_alu instid0(VALU_DEP_1) | instskip(NEXT) | instid1(VALU_DEP_1)
	v_mul_f64 v[164:165], v[166:167], v[114:115]
	v_fma_f64 v[112:113], -v[112:113], v[164:165], v[166:167]
	s_delay_alu instid0(VALU_DEP_1) | instskip(NEXT) | instid1(VALU_DEP_1)
	v_div_fmas_f64 v[112:113], v[112:113], v[114:115], v[164:165]
	v_div_fixup_f64 v[112:113], v[112:113], v[162:163], v[160:161]
	s_delay_alu instid0(VALU_DEP_1) | instskip(NEXT) | instid1(VALU_DEP_1)
	v_fma_f64 v[114:115], v[160:161], v[112:113], v[162:163]
	v_div_scale_f64 v[160:161], null, v[114:115], v[114:115], 1.0
	s_delay_alu instid0(VALU_DEP_1) | instskip(SKIP_2) | instid1(VALU_DEP_1)
	v_rcp_f64_e32 v[162:163], v[160:161]
	s_waitcnt_depctr 0xfff
	v_fma_f64 v[164:165], -v[160:161], v[162:163], 1.0
	v_fma_f64 v[162:163], v[162:163], v[164:165], v[162:163]
	s_delay_alu instid0(VALU_DEP_1) | instskip(NEXT) | instid1(VALU_DEP_1)
	v_fma_f64 v[164:165], -v[160:161], v[162:163], 1.0
	v_fma_f64 v[162:163], v[162:163], v[164:165], v[162:163]
	v_div_scale_f64 v[164:165], vcc_lo, 1.0, v[114:115], 1.0
	s_delay_alu instid0(VALU_DEP_1) | instskip(NEXT) | instid1(VALU_DEP_1)
	v_mul_f64 v[166:167], v[164:165], v[162:163]
	v_fma_f64 v[160:161], -v[160:161], v[166:167], v[164:165]
	s_delay_alu instid0(VALU_DEP_1) | instskip(NEXT) | instid1(VALU_DEP_1)
	v_div_fmas_f64 v[160:161], v[160:161], v[162:163], v[166:167]
	v_div_fixup_f64 v[166:167], v[160:161], v[114:115], 1.0
                                        ; implicit-def: $vgpr160_vgpr161
	s_delay_alu instid0(VALU_DEP_1)
	v_mul_f64 v[112:113], v[112:113], v[166:167]
	v_xor_b32_e32 v167, 0x80000000, v167
.LBB55_113:
	s_and_not1_saveexec_b32 s3, s3
	s_cbranch_execz .LBB55_115
; %bb.114:
	v_div_scale_f64 v[112:113], null, v[160:161], v[160:161], v[162:163]
	v_div_scale_f64 v[166:167], vcc_lo, v[162:163], v[160:161], v[162:163]
	s_delay_alu instid0(VALU_DEP_2) | instskip(SKIP_2) | instid1(VALU_DEP_1)
	v_rcp_f64_e32 v[114:115], v[112:113]
	s_waitcnt_depctr 0xfff
	v_fma_f64 v[164:165], -v[112:113], v[114:115], 1.0
	v_fma_f64 v[114:115], v[114:115], v[164:165], v[114:115]
	s_delay_alu instid0(VALU_DEP_1) | instskip(NEXT) | instid1(VALU_DEP_1)
	v_fma_f64 v[164:165], -v[112:113], v[114:115], 1.0
	v_fma_f64 v[114:115], v[114:115], v[164:165], v[114:115]
	s_delay_alu instid0(VALU_DEP_1) | instskip(NEXT) | instid1(VALU_DEP_1)
	v_mul_f64 v[164:165], v[166:167], v[114:115]
	v_fma_f64 v[112:113], -v[112:113], v[164:165], v[166:167]
	s_delay_alu instid0(VALU_DEP_1) | instskip(NEXT) | instid1(VALU_DEP_1)
	v_div_fmas_f64 v[112:113], v[112:113], v[114:115], v[164:165]
	v_div_fixup_f64 v[114:115], v[112:113], v[160:161], v[162:163]
	s_delay_alu instid0(VALU_DEP_1) | instskip(NEXT) | instid1(VALU_DEP_1)
	v_fma_f64 v[112:113], v[162:163], v[114:115], v[160:161]
	v_div_scale_f64 v[160:161], null, v[112:113], v[112:113], 1.0
	s_delay_alu instid0(VALU_DEP_1) | instskip(SKIP_2) | instid1(VALU_DEP_1)
	v_rcp_f64_e32 v[162:163], v[160:161]
	s_waitcnt_depctr 0xfff
	v_fma_f64 v[164:165], -v[160:161], v[162:163], 1.0
	v_fma_f64 v[162:163], v[162:163], v[164:165], v[162:163]
	s_delay_alu instid0(VALU_DEP_1) | instskip(NEXT) | instid1(VALU_DEP_1)
	v_fma_f64 v[164:165], -v[160:161], v[162:163], 1.0
	v_fma_f64 v[162:163], v[162:163], v[164:165], v[162:163]
	v_div_scale_f64 v[164:165], vcc_lo, 1.0, v[112:113], 1.0
	s_delay_alu instid0(VALU_DEP_1) | instskip(NEXT) | instid1(VALU_DEP_1)
	v_mul_f64 v[166:167], v[164:165], v[162:163]
	v_fma_f64 v[160:161], -v[160:161], v[166:167], v[164:165]
	s_delay_alu instid0(VALU_DEP_1) | instskip(NEXT) | instid1(VALU_DEP_1)
	v_div_fmas_f64 v[160:161], v[160:161], v[162:163], v[166:167]
	v_div_fixup_f64 v[112:113], v[160:161], v[112:113], 1.0
	s_delay_alu instid0(VALU_DEP_1)
	v_mul_f64 v[166:167], v[114:115], -v[112:113]
.LBB55_115:
	s_or_b32 exec_lo, exec_lo, s3
	ds_store_2addr_b64 v253, v[112:113], v[166:167] offset1:1
.LBB55_116:
	s_or_b32 exec_lo, exec_lo, s4
	s_waitcnt lgkmcnt(0)
	s_barrier
	buffer_gl0_inv
	ds_load_2addr_b64 v[160:163], v253 offset1:1
	s_mov_b32 s3, exec_lo
	v_cmpx_lt_u32_e32 12, v252
	s_cbranch_execz .LBB55_118
; %bb.117:
	s_waitcnt lgkmcnt(0)
	v_mul_f64 v[112:113], v[160:161], v[62:63]
	v_mul_f64 v[62:63], v[162:163], v[62:63]
	s_delay_alu instid0(VALU_DEP_2) | instskip(SKIP_4) | instid1(VALU_DEP_1)
	v_fma_f64 v[164:165], v[162:163], v[60:61], v[112:113]
	ds_load_2addr_b64 v[112:115], v254 offset0:26 offset1:27
	v_fma_f64 v[60:61], v[160:161], v[60:61], -v[62:63]
	s_waitcnt lgkmcnt(0)
	v_mul_f64 v[62:63], v[114:115], v[164:165]
	v_fma_f64 v[62:63], v[112:113], v[60:61], -v[62:63]
	v_mul_f64 v[112:113], v[112:113], v[164:165]
	s_delay_alu instid0(VALU_DEP_2) | instskip(NEXT) | instid1(VALU_DEP_2)
	v_add_f64 v[56:57], v[56:57], -v[62:63]
	v_fma_f64 v[112:113], v[114:115], v[60:61], v[112:113]
	s_delay_alu instid0(VALU_DEP_1) | instskip(SKIP_3) | instid1(VALU_DEP_1)
	v_add_f64 v[58:59], v[58:59], -v[112:113]
	ds_load_2addr_b64 v[112:115], v254 offset0:28 offset1:29
	s_waitcnt lgkmcnt(0)
	v_mul_f64 v[62:63], v[114:115], v[164:165]
	v_fma_f64 v[62:63], v[112:113], v[60:61], -v[62:63]
	v_mul_f64 v[112:113], v[112:113], v[164:165]
	s_delay_alu instid0(VALU_DEP_2) | instskip(NEXT) | instid1(VALU_DEP_2)
	v_add_f64 v[52:53], v[52:53], -v[62:63]
	v_fma_f64 v[112:113], v[114:115], v[60:61], v[112:113]
	s_delay_alu instid0(VALU_DEP_1) | instskip(SKIP_3) | instid1(VALU_DEP_1)
	v_add_f64 v[54:55], v[54:55], -v[112:113]
	ds_load_2addr_b64 v[112:115], v254 offset0:30 offset1:31
	;; [unrolled: 10-line block ×14, first 2 shown]
	s_waitcnt lgkmcnt(0)
	v_mul_f64 v[62:63], v[114:115], v[164:165]
	v_fma_f64 v[62:63], v[112:113], v[60:61], -v[62:63]
	v_mul_f64 v[112:113], v[112:113], v[164:165]
	s_delay_alu instid0(VALU_DEP_2) | instskip(NEXT) | instid1(VALU_DEP_2)
	v_add_f64 v[0:1], v[0:1], -v[62:63]
	v_fma_f64 v[112:113], v[114:115], v[60:61], v[112:113]
	v_dual_mov_b32 v62, v164 :: v_dual_mov_b32 v63, v165
	s_delay_alu instid0(VALU_DEP_2)
	v_add_f64 v[2:3], v[2:3], -v[112:113]
.LBB55_118:
	s_or_b32 exec_lo, exec_lo, s3
	s_delay_alu instid0(SALU_CYCLE_1)
	s_mov_b32 s4, exec_lo
	s_waitcnt lgkmcnt(0)
	s_barrier
	buffer_gl0_inv
	v_cmpx_eq_u32_e32 13, v252
	s_cbranch_execz .LBB55_125
; %bb.119:
	ds_store_2addr_b64 v253, v[56:57], v[58:59] offset1:1
	ds_store_2addr_b64 v254, v[52:53], v[54:55] offset0:28 offset1:29
	ds_store_2addr_b64 v254, v[48:49], v[50:51] offset0:30 offset1:31
	;; [unrolled: 1-line block ×14, first 2 shown]
	ds_load_2addr_b64 v[164:167], v253 offset1:1
	s_waitcnt lgkmcnt(0)
	v_cmp_neq_f64_e32 vcc_lo, 0, v[164:165]
	v_cmp_neq_f64_e64 s3, 0, v[166:167]
	s_delay_alu instid0(VALU_DEP_1) | instskip(NEXT) | instid1(SALU_CYCLE_1)
	s_or_b32 s3, vcc_lo, s3
	s_and_b32 exec_lo, exec_lo, s3
	s_cbranch_execz .LBB55_125
; %bb.120:
	v_cmp_gt_f64_e32 vcc_lo, 0, v[164:165]
	v_cmp_gt_f64_e64 s3, 0, v[166:167]
	v_xor_b32_e32 v112, 0x80000000, v165
	v_xor_b32_e32 v114, 0x80000000, v167
	s_delay_alu instid0(VALU_DEP_2) | instskip(NEXT) | instid1(VALU_DEP_2)
	v_cndmask_b32_e32 v113, v165, v112, vcc_lo
	v_cndmask_b32_e64 v115, v167, v114, s3
	v_cndmask_b32_e32 v112, v164, v164, vcc_lo
	v_cndmask_b32_e64 v114, v166, v166, s3
	s_delay_alu instid0(VALU_DEP_1) | instskip(SKIP_1) | instid1(SALU_CYCLE_1)
	v_cmp_ngt_f64_e32 vcc_lo, v[112:113], v[114:115]
                                        ; implicit-def: $vgpr112_vgpr113
	s_and_saveexec_b32 s3, vcc_lo
	s_xor_b32 s3, exec_lo, s3
                                        ; implicit-def: $vgpr168_vgpr169_vgpr170_vgpr171
	s_cbranch_execz .LBB55_122
; %bb.121:
	v_div_scale_f64 v[112:113], null, v[166:167], v[166:167], v[164:165]
	v_div_scale_f64 v[170:171], vcc_lo, v[164:165], v[166:167], v[164:165]
	s_delay_alu instid0(VALU_DEP_2) | instskip(SKIP_2) | instid1(VALU_DEP_1)
	v_rcp_f64_e32 v[114:115], v[112:113]
	s_waitcnt_depctr 0xfff
	v_fma_f64 v[168:169], -v[112:113], v[114:115], 1.0
	v_fma_f64 v[114:115], v[114:115], v[168:169], v[114:115]
	s_delay_alu instid0(VALU_DEP_1) | instskip(NEXT) | instid1(VALU_DEP_1)
	v_fma_f64 v[168:169], -v[112:113], v[114:115], 1.0
	v_fma_f64 v[114:115], v[114:115], v[168:169], v[114:115]
	s_delay_alu instid0(VALU_DEP_1) | instskip(NEXT) | instid1(VALU_DEP_1)
	v_mul_f64 v[168:169], v[170:171], v[114:115]
	v_fma_f64 v[112:113], -v[112:113], v[168:169], v[170:171]
	s_delay_alu instid0(VALU_DEP_1) | instskip(NEXT) | instid1(VALU_DEP_1)
	v_div_fmas_f64 v[112:113], v[112:113], v[114:115], v[168:169]
	v_div_fixup_f64 v[112:113], v[112:113], v[166:167], v[164:165]
	s_delay_alu instid0(VALU_DEP_1) | instskip(NEXT) | instid1(VALU_DEP_1)
	v_fma_f64 v[114:115], v[164:165], v[112:113], v[166:167]
	v_div_scale_f64 v[164:165], null, v[114:115], v[114:115], 1.0
	s_delay_alu instid0(VALU_DEP_1) | instskip(SKIP_2) | instid1(VALU_DEP_1)
	v_rcp_f64_e32 v[166:167], v[164:165]
	s_waitcnt_depctr 0xfff
	v_fma_f64 v[168:169], -v[164:165], v[166:167], 1.0
	v_fma_f64 v[166:167], v[166:167], v[168:169], v[166:167]
	s_delay_alu instid0(VALU_DEP_1) | instskip(NEXT) | instid1(VALU_DEP_1)
	v_fma_f64 v[168:169], -v[164:165], v[166:167], 1.0
	v_fma_f64 v[166:167], v[166:167], v[168:169], v[166:167]
	v_div_scale_f64 v[168:169], vcc_lo, 1.0, v[114:115], 1.0
	s_delay_alu instid0(VALU_DEP_1) | instskip(NEXT) | instid1(VALU_DEP_1)
	v_mul_f64 v[170:171], v[168:169], v[166:167]
	v_fma_f64 v[164:165], -v[164:165], v[170:171], v[168:169]
	s_delay_alu instid0(VALU_DEP_1) | instskip(NEXT) | instid1(VALU_DEP_1)
	v_div_fmas_f64 v[164:165], v[164:165], v[166:167], v[170:171]
	v_div_fixup_f64 v[170:171], v[164:165], v[114:115], 1.0
                                        ; implicit-def: $vgpr164_vgpr165
	s_delay_alu instid0(VALU_DEP_1)
	v_mul_f64 v[112:113], v[112:113], v[170:171]
	v_xor_b32_e32 v171, 0x80000000, v171
.LBB55_122:
	s_and_not1_saveexec_b32 s3, s3
	s_cbranch_execz .LBB55_124
; %bb.123:
	v_div_scale_f64 v[112:113], null, v[164:165], v[164:165], v[166:167]
	v_div_scale_f64 v[170:171], vcc_lo, v[166:167], v[164:165], v[166:167]
	s_delay_alu instid0(VALU_DEP_2) | instskip(SKIP_2) | instid1(VALU_DEP_1)
	v_rcp_f64_e32 v[114:115], v[112:113]
	s_waitcnt_depctr 0xfff
	v_fma_f64 v[168:169], -v[112:113], v[114:115], 1.0
	v_fma_f64 v[114:115], v[114:115], v[168:169], v[114:115]
	s_delay_alu instid0(VALU_DEP_1) | instskip(NEXT) | instid1(VALU_DEP_1)
	v_fma_f64 v[168:169], -v[112:113], v[114:115], 1.0
	v_fma_f64 v[114:115], v[114:115], v[168:169], v[114:115]
	s_delay_alu instid0(VALU_DEP_1) | instskip(NEXT) | instid1(VALU_DEP_1)
	v_mul_f64 v[168:169], v[170:171], v[114:115]
	v_fma_f64 v[112:113], -v[112:113], v[168:169], v[170:171]
	s_delay_alu instid0(VALU_DEP_1) | instskip(NEXT) | instid1(VALU_DEP_1)
	v_div_fmas_f64 v[112:113], v[112:113], v[114:115], v[168:169]
	v_div_fixup_f64 v[114:115], v[112:113], v[164:165], v[166:167]
	s_delay_alu instid0(VALU_DEP_1) | instskip(NEXT) | instid1(VALU_DEP_1)
	v_fma_f64 v[112:113], v[166:167], v[114:115], v[164:165]
	v_div_scale_f64 v[164:165], null, v[112:113], v[112:113], 1.0
	s_delay_alu instid0(VALU_DEP_1) | instskip(SKIP_2) | instid1(VALU_DEP_1)
	v_rcp_f64_e32 v[166:167], v[164:165]
	s_waitcnt_depctr 0xfff
	v_fma_f64 v[168:169], -v[164:165], v[166:167], 1.0
	v_fma_f64 v[166:167], v[166:167], v[168:169], v[166:167]
	s_delay_alu instid0(VALU_DEP_1) | instskip(NEXT) | instid1(VALU_DEP_1)
	v_fma_f64 v[168:169], -v[164:165], v[166:167], 1.0
	v_fma_f64 v[166:167], v[166:167], v[168:169], v[166:167]
	v_div_scale_f64 v[168:169], vcc_lo, 1.0, v[112:113], 1.0
	s_delay_alu instid0(VALU_DEP_1) | instskip(NEXT) | instid1(VALU_DEP_1)
	v_mul_f64 v[170:171], v[168:169], v[166:167]
	v_fma_f64 v[164:165], -v[164:165], v[170:171], v[168:169]
	s_delay_alu instid0(VALU_DEP_1) | instskip(NEXT) | instid1(VALU_DEP_1)
	v_div_fmas_f64 v[164:165], v[164:165], v[166:167], v[170:171]
	v_div_fixup_f64 v[112:113], v[164:165], v[112:113], 1.0
	s_delay_alu instid0(VALU_DEP_1)
	v_mul_f64 v[170:171], v[114:115], -v[112:113]
.LBB55_124:
	s_or_b32 exec_lo, exec_lo, s3
	ds_store_2addr_b64 v253, v[112:113], v[170:171] offset1:1
.LBB55_125:
	s_or_b32 exec_lo, exec_lo, s4
	s_waitcnt lgkmcnt(0)
	s_barrier
	buffer_gl0_inv
	ds_load_2addr_b64 v[164:167], v253 offset1:1
	s_mov_b32 s3, exec_lo
	v_cmpx_lt_u32_e32 13, v252
	s_cbranch_execz .LBB55_127
; %bb.126:
	s_waitcnt lgkmcnt(0)
	v_mul_f64 v[112:113], v[164:165], v[58:59]
	v_mul_f64 v[58:59], v[166:167], v[58:59]
	s_delay_alu instid0(VALU_DEP_2) | instskip(SKIP_4) | instid1(VALU_DEP_1)
	v_fma_f64 v[168:169], v[166:167], v[56:57], v[112:113]
	ds_load_2addr_b64 v[112:115], v254 offset0:28 offset1:29
	v_fma_f64 v[56:57], v[164:165], v[56:57], -v[58:59]
	s_waitcnt lgkmcnt(0)
	v_mul_f64 v[58:59], v[114:115], v[168:169]
	v_fma_f64 v[58:59], v[112:113], v[56:57], -v[58:59]
	v_mul_f64 v[112:113], v[112:113], v[168:169]
	s_delay_alu instid0(VALU_DEP_2) | instskip(NEXT) | instid1(VALU_DEP_2)
	v_add_f64 v[52:53], v[52:53], -v[58:59]
	v_fma_f64 v[112:113], v[114:115], v[56:57], v[112:113]
	s_delay_alu instid0(VALU_DEP_1) | instskip(SKIP_3) | instid1(VALU_DEP_1)
	v_add_f64 v[54:55], v[54:55], -v[112:113]
	ds_load_2addr_b64 v[112:115], v254 offset0:30 offset1:31
	s_waitcnt lgkmcnt(0)
	v_mul_f64 v[58:59], v[114:115], v[168:169]
	v_fma_f64 v[58:59], v[112:113], v[56:57], -v[58:59]
	v_mul_f64 v[112:113], v[112:113], v[168:169]
	s_delay_alu instid0(VALU_DEP_2) | instskip(NEXT) | instid1(VALU_DEP_2)
	v_add_f64 v[48:49], v[48:49], -v[58:59]
	v_fma_f64 v[112:113], v[114:115], v[56:57], v[112:113]
	s_delay_alu instid0(VALU_DEP_1) | instskip(SKIP_3) | instid1(VALU_DEP_1)
	v_add_f64 v[50:51], v[50:51], -v[112:113]
	ds_load_2addr_b64 v[112:115], v254 offset0:32 offset1:33
	;; [unrolled: 10-line block ×13, first 2 shown]
	s_waitcnt lgkmcnt(0)
	v_mul_f64 v[58:59], v[114:115], v[168:169]
	v_fma_f64 v[58:59], v[112:113], v[56:57], -v[58:59]
	v_mul_f64 v[112:113], v[112:113], v[168:169]
	s_delay_alu instid0(VALU_DEP_2) | instskip(NEXT) | instid1(VALU_DEP_2)
	v_add_f64 v[0:1], v[0:1], -v[58:59]
	v_fma_f64 v[112:113], v[114:115], v[56:57], v[112:113]
	v_dual_mov_b32 v58, v168 :: v_dual_mov_b32 v59, v169
	s_delay_alu instid0(VALU_DEP_2)
	v_add_f64 v[2:3], v[2:3], -v[112:113]
.LBB55_127:
	s_or_b32 exec_lo, exec_lo, s3
	s_delay_alu instid0(SALU_CYCLE_1)
	s_mov_b32 s4, exec_lo
	s_waitcnt lgkmcnt(0)
	s_barrier
	buffer_gl0_inv
	v_cmpx_eq_u32_e32 14, v252
	s_cbranch_execz .LBB55_134
; %bb.128:
	ds_store_2addr_b64 v253, v[52:53], v[54:55] offset1:1
	ds_store_2addr_b64 v254, v[48:49], v[50:51] offset0:30 offset1:31
	ds_store_2addr_b64 v254, v[44:45], v[46:47] offset0:32 offset1:33
	;; [unrolled: 1-line block ×13, first 2 shown]
	ds_load_2addr_b64 v[168:171], v253 offset1:1
	s_waitcnt lgkmcnt(0)
	v_cmp_neq_f64_e32 vcc_lo, 0, v[168:169]
	v_cmp_neq_f64_e64 s3, 0, v[170:171]
	s_delay_alu instid0(VALU_DEP_1) | instskip(NEXT) | instid1(SALU_CYCLE_1)
	s_or_b32 s3, vcc_lo, s3
	s_and_b32 exec_lo, exec_lo, s3
	s_cbranch_execz .LBB55_134
; %bb.129:
	v_cmp_gt_f64_e32 vcc_lo, 0, v[168:169]
	v_cmp_gt_f64_e64 s3, 0, v[170:171]
	v_xor_b32_e32 v112, 0x80000000, v169
	v_xor_b32_e32 v114, 0x80000000, v171
	s_delay_alu instid0(VALU_DEP_2) | instskip(NEXT) | instid1(VALU_DEP_2)
	v_cndmask_b32_e32 v113, v169, v112, vcc_lo
	v_cndmask_b32_e64 v115, v171, v114, s3
	v_cndmask_b32_e32 v112, v168, v168, vcc_lo
	v_cndmask_b32_e64 v114, v170, v170, s3
	s_delay_alu instid0(VALU_DEP_1) | instskip(SKIP_1) | instid1(SALU_CYCLE_1)
	v_cmp_ngt_f64_e32 vcc_lo, v[112:113], v[114:115]
                                        ; implicit-def: $vgpr112_vgpr113
	s_and_saveexec_b32 s3, vcc_lo
	s_xor_b32 s3, exec_lo, s3
                                        ; implicit-def: $vgpr172_vgpr173_vgpr174_vgpr175
	s_cbranch_execz .LBB55_131
; %bb.130:
	v_div_scale_f64 v[112:113], null, v[170:171], v[170:171], v[168:169]
	v_div_scale_f64 v[174:175], vcc_lo, v[168:169], v[170:171], v[168:169]
	s_delay_alu instid0(VALU_DEP_2) | instskip(SKIP_2) | instid1(VALU_DEP_1)
	v_rcp_f64_e32 v[114:115], v[112:113]
	s_waitcnt_depctr 0xfff
	v_fma_f64 v[172:173], -v[112:113], v[114:115], 1.0
	v_fma_f64 v[114:115], v[114:115], v[172:173], v[114:115]
	s_delay_alu instid0(VALU_DEP_1) | instskip(NEXT) | instid1(VALU_DEP_1)
	v_fma_f64 v[172:173], -v[112:113], v[114:115], 1.0
	v_fma_f64 v[114:115], v[114:115], v[172:173], v[114:115]
	s_delay_alu instid0(VALU_DEP_1) | instskip(NEXT) | instid1(VALU_DEP_1)
	v_mul_f64 v[172:173], v[174:175], v[114:115]
	v_fma_f64 v[112:113], -v[112:113], v[172:173], v[174:175]
	s_delay_alu instid0(VALU_DEP_1) | instskip(NEXT) | instid1(VALU_DEP_1)
	v_div_fmas_f64 v[112:113], v[112:113], v[114:115], v[172:173]
	v_div_fixup_f64 v[112:113], v[112:113], v[170:171], v[168:169]
	s_delay_alu instid0(VALU_DEP_1) | instskip(NEXT) | instid1(VALU_DEP_1)
	v_fma_f64 v[114:115], v[168:169], v[112:113], v[170:171]
	v_div_scale_f64 v[168:169], null, v[114:115], v[114:115], 1.0
	s_delay_alu instid0(VALU_DEP_1) | instskip(SKIP_2) | instid1(VALU_DEP_1)
	v_rcp_f64_e32 v[170:171], v[168:169]
	s_waitcnt_depctr 0xfff
	v_fma_f64 v[172:173], -v[168:169], v[170:171], 1.0
	v_fma_f64 v[170:171], v[170:171], v[172:173], v[170:171]
	s_delay_alu instid0(VALU_DEP_1) | instskip(NEXT) | instid1(VALU_DEP_1)
	v_fma_f64 v[172:173], -v[168:169], v[170:171], 1.0
	v_fma_f64 v[170:171], v[170:171], v[172:173], v[170:171]
	v_div_scale_f64 v[172:173], vcc_lo, 1.0, v[114:115], 1.0
	s_delay_alu instid0(VALU_DEP_1) | instskip(NEXT) | instid1(VALU_DEP_1)
	v_mul_f64 v[174:175], v[172:173], v[170:171]
	v_fma_f64 v[168:169], -v[168:169], v[174:175], v[172:173]
	s_delay_alu instid0(VALU_DEP_1) | instskip(NEXT) | instid1(VALU_DEP_1)
	v_div_fmas_f64 v[168:169], v[168:169], v[170:171], v[174:175]
	v_div_fixup_f64 v[174:175], v[168:169], v[114:115], 1.0
                                        ; implicit-def: $vgpr168_vgpr169
	s_delay_alu instid0(VALU_DEP_1)
	v_mul_f64 v[112:113], v[112:113], v[174:175]
	v_xor_b32_e32 v175, 0x80000000, v175
.LBB55_131:
	s_and_not1_saveexec_b32 s3, s3
	s_cbranch_execz .LBB55_133
; %bb.132:
	v_div_scale_f64 v[112:113], null, v[168:169], v[168:169], v[170:171]
	v_div_scale_f64 v[174:175], vcc_lo, v[170:171], v[168:169], v[170:171]
	s_delay_alu instid0(VALU_DEP_2) | instskip(SKIP_2) | instid1(VALU_DEP_1)
	v_rcp_f64_e32 v[114:115], v[112:113]
	s_waitcnt_depctr 0xfff
	v_fma_f64 v[172:173], -v[112:113], v[114:115], 1.0
	v_fma_f64 v[114:115], v[114:115], v[172:173], v[114:115]
	s_delay_alu instid0(VALU_DEP_1) | instskip(NEXT) | instid1(VALU_DEP_1)
	v_fma_f64 v[172:173], -v[112:113], v[114:115], 1.0
	v_fma_f64 v[114:115], v[114:115], v[172:173], v[114:115]
	s_delay_alu instid0(VALU_DEP_1) | instskip(NEXT) | instid1(VALU_DEP_1)
	v_mul_f64 v[172:173], v[174:175], v[114:115]
	v_fma_f64 v[112:113], -v[112:113], v[172:173], v[174:175]
	s_delay_alu instid0(VALU_DEP_1) | instskip(NEXT) | instid1(VALU_DEP_1)
	v_div_fmas_f64 v[112:113], v[112:113], v[114:115], v[172:173]
	v_div_fixup_f64 v[114:115], v[112:113], v[168:169], v[170:171]
	s_delay_alu instid0(VALU_DEP_1) | instskip(NEXT) | instid1(VALU_DEP_1)
	v_fma_f64 v[112:113], v[170:171], v[114:115], v[168:169]
	v_div_scale_f64 v[168:169], null, v[112:113], v[112:113], 1.0
	s_delay_alu instid0(VALU_DEP_1) | instskip(SKIP_2) | instid1(VALU_DEP_1)
	v_rcp_f64_e32 v[170:171], v[168:169]
	s_waitcnt_depctr 0xfff
	v_fma_f64 v[172:173], -v[168:169], v[170:171], 1.0
	v_fma_f64 v[170:171], v[170:171], v[172:173], v[170:171]
	s_delay_alu instid0(VALU_DEP_1) | instskip(NEXT) | instid1(VALU_DEP_1)
	v_fma_f64 v[172:173], -v[168:169], v[170:171], 1.0
	v_fma_f64 v[170:171], v[170:171], v[172:173], v[170:171]
	v_div_scale_f64 v[172:173], vcc_lo, 1.0, v[112:113], 1.0
	s_delay_alu instid0(VALU_DEP_1) | instskip(NEXT) | instid1(VALU_DEP_1)
	v_mul_f64 v[174:175], v[172:173], v[170:171]
	v_fma_f64 v[168:169], -v[168:169], v[174:175], v[172:173]
	s_delay_alu instid0(VALU_DEP_1) | instskip(NEXT) | instid1(VALU_DEP_1)
	v_div_fmas_f64 v[168:169], v[168:169], v[170:171], v[174:175]
	v_div_fixup_f64 v[112:113], v[168:169], v[112:113], 1.0
	s_delay_alu instid0(VALU_DEP_1)
	v_mul_f64 v[174:175], v[114:115], -v[112:113]
.LBB55_133:
	s_or_b32 exec_lo, exec_lo, s3
	ds_store_2addr_b64 v253, v[112:113], v[174:175] offset1:1
.LBB55_134:
	s_or_b32 exec_lo, exec_lo, s4
	s_waitcnt lgkmcnt(0)
	s_barrier
	buffer_gl0_inv
	ds_load_2addr_b64 v[168:171], v253 offset1:1
	s_mov_b32 s3, exec_lo
	v_cmpx_lt_u32_e32 14, v252
	s_cbranch_execz .LBB55_136
; %bb.135:
	s_waitcnt lgkmcnt(0)
	v_mul_f64 v[112:113], v[168:169], v[54:55]
	v_mul_f64 v[54:55], v[170:171], v[54:55]
	s_delay_alu instid0(VALU_DEP_2) | instskip(SKIP_4) | instid1(VALU_DEP_1)
	v_fma_f64 v[172:173], v[170:171], v[52:53], v[112:113]
	ds_load_2addr_b64 v[112:115], v254 offset0:30 offset1:31
	v_fma_f64 v[52:53], v[168:169], v[52:53], -v[54:55]
	s_waitcnt lgkmcnt(0)
	v_mul_f64 v[54:55], v[114:115], v[172:173]
	v_fma_f64 v[54:55], v[112:113], v[52:53], -v[54:55]
	v_mul_f64 v[112:113], v[112:113], v[172:173]
	s_delay_alu instid0(VALU_DEP_2) | instskip(NEXT) | instid1(VALU_DEP_2)
	v_add_f64 v[48:49], v[48:49], -v[54:55]
	v_fma_f64 v[112:113], v[114:115], v[52:53], v[112:113]
	s_delay_alu instid0(VALU_DEP_1) | instskip(SKIP_3) | instid1(VALU_DEP_1)
	v_add_f64 v[50:51], v[50:51], -v[112:113]
	ds_load_2addr_b64 v[112:115], v254 offset0:32 offset1:33
	s_waitcnt lgkmcnt(0)
	v_mul_f64 v[54:55], v[114:115], v[172:173]
	v_fma_f64 v[54:55], v[112:113], v[52:53], -v[54:55]
	v_mul_f64 v[112:113], v[112:113], v[172:173]
	s_delay_alu instid0(VALU_DEP_2) | instskip(NEXT) | instid1(VALU_DEP_2)
	v_add_f64 v[44:45], v[44:45], -v[54:55]
	v_fma_f64 v[112:113], v[114:115], v[52:53], v[112:113]
	s_delay_alu instid0(VALU_DEP_1) | instskip(SKIP_3) | instid1(VALU_DEP_1)
	v_add_f64 v[46:47], v[46:47], -v[112:113]
	ds_load_2addr_b64 v[112:115], v254 offset0:34 offset1:35
	;; [unrolled: 10-line block ×12, first 2 shown]
	s_waitcnt lgkmcnt(0)
	v_mul_f64 v[54:55], v[114:115], v[172:173]
	v_fma_f64 v[54:55], v[112:113], v[52:53], -v[54:55]
	v_mul_f64 v[112:113], v[112:113], v[172:173]
	s_delay_alu instid0(VALU_DEP_2) | instskip(NEXT) | instid1(VALU_DEP_2)
	v_add_f64 v[0:1], v[0:1], -v[54:55]
	v_fma_f64 v[112:113], v[114:115], v[52:53], v[112:113]
	v_dual_mov_b32 v54, v172 :: v_dual_mov_b32 v55, v173
	s_delay_alu instid0(VALU_DEP_2)
	v_add_f64 v[2:3], v[2:3], -v[112:113]
.LBB55_136:
	s_or_b32 exec_lo, exec_lo, s3
	s_delay_alu instid0(SALU_CYCLE_1)
	s_mov_b32 s4, exec_lo
	s_waitcnt lgkmcnt(0)
	s_barrier
	buffer_gl0_inv
	v_cmpx_eq_u32_e32 15, v252
	s_cbranch_execz .LBB55_143
; %bb.137:
	ds_store_2addr_b64 v253, v[48:49], v[50:51] offset1:1
	ds_store_2addr_b64 v254, v[44:45], v[46:47] offset0:32 offset1:33
	ds_store_2addr_b64 v254, v[40:41], v[42:43] offset0:34 offset1:35
	ds_store_2addr_b64 v254, v[36:37], v[38:39] offset0:36 offset1:37
	ds_store_2addr_b64 v254, v[32:33], v[34:35] offset0:38 offset1:39
	ds_store_2addr_b64 v254, v[28:29], v[30:31] offset0:40 offset1:41
	ds_store_2addr_b64 v254, v[24:25], v[26:27] offset0:42 offset1:43
	ds_store_2addr_b64 v254, v[20:21], v[22:23] offset0:44 offset1:45
	ds_store_2addr_b64 v254, v[16:17], v[18:19] offset0:46 offset1:47
	ds_store_2addr_b64 v254, v[12:13], v[14:15] offset0:48 offset1:49
	ds_store_2addr_b64 v254, v[8:9], v[10:11] offset0:50 offset1:51
	ds_store_2addr_b64 v254, v[4:5], v[6:7] offset0:52 offset1:53
	ds_store_2addr_b64 v254, v[0:1], v[2:3] offset0:54 offset1:55
	ds_load_2addr_b64 v[172:175], v253 offset1:1
	s_waitcnt lgkmcnt(0)
	v_cmp_neq_f64_e32 vcc_lo, 0, v[172:173]
	v_cmp_neq_f64_e64 s3, 0, v[174:175]
	s_delay_alu instid0(VALU_DEP_1) | instskip(NEXT) | instid1(SALU_CYCLE_1)
	s_or_b32 s3, vcc_lo, s3
	s_and_b32 exec_lo, exec_lo, s3
	s_cbranch_execz .LBB55_143
; %bb.138:
	v_cmp_gt_f64_e32 vcc_lo, 0, v[172:173]
	v_cmp_gt_f64_e64 s3, 0, v[174:175]
	v_xor_b32_e32 v112, 0x80000000, v173
	v_xor_b32_e32 v114, 0x80000000, v175
	s_delay_alu instid0(VALU_DEP_2) | instskip(NEXT) | instid1(VALU_DEP_2)
	v_cndmask_b32_e32 v113, v173, v112, vcc_lo
	v_cndmask_b32_e64 v115, v175, v114, s3
	v_cndmask_b32_e32 v112, v172, v172, vcc_lo
	v_cndmask_b32_e64 v114, v174, v174, s3
	s_delay_alu instid0(VALU_DEP_1) | instskip(SKIP_1) | instid1(SALU_CYCLE_1)
	v_cmp_ngt_f64_e32 vcc_lo, v[112:113], v[114:115]
                                        ; implicit-def: $vgpr112_vgpr113
	s_and_saveexec_b32 s3, vcc_lo
	s_xor_b32 s3, exec_lo, s3
                                        ; implicit-def: $vgpr176_vgpr177_vgpr178_vgpr179
	s_cbranch_execz .LBB55_140
; %bb.139:
	v_div_scale_f64 v[112:113], null, v[174:175], v[174:175], v[172:173]
	v_div_scale_f64 v[178:179], vcc_lo, v[172:173], v[174:175], v[172:173]
	s_delay_alu instid0(VALU_DEP_2) | instskip(SKIP_2) | instid1(VALU_DEP_1)
	v_rcp_f64_e32 v[114:115], v[112:113]
	s_waitcnt_depctr 0xfff
	v_fma_f64 v[176:177], -v[112:113], v[114:115], 1.0
	v_fma_f64 v[114:115], v[114:115], v[176:177], v[114:115]
	s_delay_alu instid0(VALU_DEP_1) | instskip(NEXT) | instid1(VALU_DEP_1)
	v_fma_f64 v[176:177], -v[112:113], v[114:115], 1.0
	v_fma_f64 v[114:115], v[114:115], v[176:177], v[114:115]
	s_delay_alu instid0(VALU_DEP_1) | instskip(NEXT) | instid1(VALU_DEP_1)
	v_mul_f64 v[176:177], v[178:179], v[114:115]
	v_fma_f64 v[112:113], -v[112:113], v[176:177], v[178:179]
	s_delay_alu instid0(VALU_DEP_1) | instskip(NEXT) | instid1(VALU_DEP_1)
	v_div_fmas_f64 v[112:113], v[112:113], v[114:115], v[176:177]
	v_div_fixup_f64 v[112:113], v[112:113], v[174:175], v[172:173]
	s_delay_alu instid0(VALU_DEP_1) | instskip(NEXT) | instid1(VALU_DEP_1)
	v_fma_f64 v[114:115], v[172:173], v[112:113], v[174:175]
	v_div_scale_f64 v[172:173], null, v[114:115], v[114:115], 1.0
	s_delay_alu instid0(VALU_DEP_1) | instskip(SKIP_2) | instid1(VALU_DEP_1)
	v_rcp_f64_e32 v[174:175], v[172:173]
	s_waitcnt_depctr 0xfff
	v_fma_f64 v[176:177], -v[172:173], v[174:175], 1.0
	v_fma_f64 v[174:175], v[174:175], v[176:177], v[174:175]
	s_delay_alu instid0(VALU_DEP_1) | instskip(NEXT) | instid1(VALU_DEP_1)
	v_fma_f64 v[176:177], -v[172:173], v[174:175], 1.0
	v_fma_f64 v[174:175], v[174:175], v[176:177], v[174:175]
	v_div_scale_f64 v[176:177], vcc_lo, 1.0, v[114:115], 1.0
	s_delay_alu instid0(VALU_DEP_1) | instskip(NEXT) | instid1(VALU_DEP_1)
	v_mul_f64 v[178:179], v[176:177], v[174:175]
	v_fma_f64 v[172:173], -v[172:173], v[178:179], v[176:177]
	s_delay_alu instid0(VALU_DEP_1) | instskip(NEXT) | instid1(VALU_DEP_1)
	v_div_fmas_f64 v[172:173], v[172:173], v[174:175], v[178:179]
	v_div_fixup_f64 v[178:179], v[172:173], v[114:115], 1.0
                                        ; implicit-def: $vgpr172_vgpr173
	s_delay_alu instid0(VALU_DEP_1)
	v_mul_f64 v[112:113], v[112:113], v[178:179]
	v_xor_b32_e32 v179, 0x80000000, v179
.LBB55_140:
	s_and_not1_saveexec_b32 s3, s3
	s_cbranch_execz .LBB55_142
; %bb.141:
	v_div_scale_f64 v[112:113], null, v[172:173], v[172:173], v[174:175]
	v_div_scale_f64 v[178:179], vcc_lo, v[174:175], v[172:173], v[174:175]
	s_delay_alu instid0(VALU_DEP_2) | instskip(SKIP_2) | instid1(VALU_DEP_1)
	v_rcp_f64_e32 v[114:115], v[112:113]
	s_waitcnt_depctr 0xfff
	v_fma_f64 v[176:177], -v[112:113], v[114:115], 1.0
	v_fma_f64 v[114:115], v[114:115], v[176:177], v[114:115]
	s_delay_alu instid0(VALU_DEP_1) | instskip(NEXT) | instid1(VALU_DEP_1)
	v_fma_f64 v[176:177], -v[112:113], v[114:115], 1.0
	v_fma_f64 v[114:115], v[114:115], v[176:177], v[114:115]
	s_delay_alu instid0(VALU_DEP_1) | instskip(NEXT) | instid1(VALU_DEP_1)
	v_mul_f64 v[176:177], v[178:179], v[114:115]
	v_fma_f64 v[112:113], -v[112:113], v[176:177], v[178:179]
	s_delay_alu instid0(VALU_DEP_1) | instskip(NEXT) | instid1(VALU_DEP_1)
	v_div_fmas_f64 v[112:113], v[112:113], v[114:115], v[176:177]
	v_div_fixup_f64 v[114:115], v[112:113], v[172:173], v[174:175]
	s_delay_alu instid0(VALU_DEP_1) | instskip(NEXT) | instid1(VALU_DEP_1)
	v_fma_f64 v[112:113], v[174:175], v[114:115], v[172:173]
	v_div_scale_f64 v[172:173], null, v[112:113], v[112:113], 1.0
	s_delay_alu instid0(VALU_DEP_1) | instskip(SKIP_2) | instid1(VALU_DEP_1)
	v_rcp_f64_e32 v[174:175], v[172:173]
	s_waitcnt_depctr 0xfff
	v_fma_f64 v[176:177], -v[172:173], v[174:175], 1.0
	v_fma_f64 v[174:175], v[174:175], v[176:177], v[174:175]
	s_delay_alu instid0(VALU_DEP_1) | instskip(NEXT) | instid1(VALU_DEP_1)
	v_fma_f64 v[176:177], -v[172:173], v[174:175], 1.0
	v_fma_f64 v[174:175], v[174:175], v[176:177], v[174:175]
	v_div_scale_f64 v[176:177], vcc_lo, 1.0, v[112:113], 1.0
	s_delay_alu instid0(VALU_DEP_1) | instskip(NEXT) | instid1(VALU_DEP_1)
	v_mul_f64 v[178:179], v[176:177], v[174:175]
	v_fma_f64 v[172:173], -v[172:173], v[178:179], v[176:177]
	s_delay_alu instid0(VALU_DEP_1) | instskip(NEXT) | instid1(VALU_DEP_1)
	v_div_fmas_f64 v[172:173], v[172:173], v[174:175], v[178:179]
	v_div_fixup_f64 v[112:113], v[172:173], v[112:113], 1.0
	s_delay_alu instid0(VALU_DEP_1)
	v_mul_f64 v[178:179], v[114:115], -v[112:113]
.LBB55_142:
	s_or_b32 exec_lo, exec_lo, s3
	ds_store_2addr_b64 v253, v[112:113], v[178:179] offset1:1
.LBB55_143:
	s_or_b32 exec_lo, exec_lo, s4
	s_waitcnt lgkmcnt(0)
	s_barrier
	buffer_gl0_inv
	ds_load_2addr_b64 v[172:175], v253 offset1:1
	s_mov_b32 s3, exec_lo
	v_cmpx_lt_u32_e32 15, v252
	s_cbranch_execz .LBB55_145
; %bb.144:
	s_waitcnt lgkmcnt(0)
	v_mul_f64 v[112:113], v[172:173], v[50:51]
	v_mul_f64 v[50:51], v[174:175], v[50:51]
	s_delay_alu instid0(VALU_DEP_2) | instskip(SKIP_4) | instid1(VALU_DEP_1)
	v_fma_f64 v[176:177], v[174:175], v[48:49], v[112:113]
	ds_load_2addr_b64 v[112:115], v254 offset0:32 offset1:33
	v_fma_f64 v[48:49], v[172:173], v[48:49], -v[50:51]
	s_waitcnt lgkmcnt(0)
	v_mul_f64 v[50:51], v[114:115], v[176:177]
	v_fma_f64 v[50:51], v[112:113], v[48:49], -v[50:51]
	v_mul_f64 v[112:113], v[112:113], v[176:177]
	s_delay_alu instid0(VALU_DEP_2) | instskip(NEXT) | instid1(VALU_DEP_2)
	v_add_f64 v[44:45], v[44:45], -v[50:51]
	v_fma_f64 v[112:113], v[114:115], v[48:49], v[112:113]
	s_delay_alu instid0(VALU_DEP_1) | instskip(SKIP_3) | instid1(VALU_DEP_1)
	v_add_f64 v[46:47], v[46:47], -v[112:113]
	ds_load_2addr_b64 v[112:115], v254 offset0:34 offset1:35
	s_waitcnt lgkmcnt(0)
	v_mul_f64 v[50:51], v[114:115], v[176:177]
	v_fma_f64 v[50:51], v[112:113], v[48:49], -v[50:51]
	v_mul_f64 v[112:113], v[112:113], v[176:177]
	s_delay_alu instid0(VALU_DEP_2) | instskip(NEXT) | instid1(VALU_DEP_2)
	v_add_f64 v[40:41], v[40:41], -v[50:51]
	v_fma_f64 v[112:113], v[114:115], v[48:49], v[112:113]
	s_delay_alu instid0(VALU_DEP_1) | instskip(SKIP_3) | instid1(VALU_DEP_1)
	v_add_f64 v[42:43], v[42:43], -v[112:113]
	ds_load_2addr_b64 v[112:115], v254 offset0:36 offset1:37
	;; [unrolled: 10-line block ×11, first 2 shown]
	s_waitcnt lgkmcnt(0)
	v_mul_f64 v[50:51], v[114:115], v[176:177]
	v_fma_f64 v[50:51], v[112:113], v[48:49], -v[50:51]
	v_mul_f64 v[112:113], v[112:113], v[176:177]
	s_delay_alu instid0(VALU_DEP_2) | instskip(NEXT) | instid1(VALU_DEP_2)
	v_add_f64 v[0:1], v[0:1], -v[50:51]
	v_fma_f64 v[112:113], v[114:115], v[48:49], v[112:113]
	v_dual_mov_b32 v50, v176 :: v_dual_mov_b32 v51, v177
	s_delay_alu instid0(VALU_DEP_2)
	v_add_f64 v[2:3], v[2:3], -v[112:113]
.LBB55_145:
	s_or_b32 exec_lo, exec_lo, s3
	s_delay_alu instid0(SALU_CYCLE_1)
	s_mov_b32 s4, exec_lo
	s_waitcnt lgkmcnt(0)
	s_barrier
	buffer_gl0_inv
	v_cmpx_eq_u32_e32 16, v252
	s_cbranch_execz .LBB55_152
; %bb.146:
	ds_store_2addr_b64 v253, v[44:45], v[46:47] offset1:1
	ds_store_2addr_b64 v254, v[40:41], v[42:43] offset0:34 offset1:35
	ds_store_2addr_b64 v254, v[36:37], v[38:39] offset0:36 offset1:37
	ds_store_2addr_b64 v254, v[32:33], v[34:35] offset0:38 offset1:39
	ds_store_2addr_b64 v254, v[28:29], v[30:31] offset0:40 offset1:41
	ds_store_2addr_b64 v254, v[24:25], v[26:27] offset0:42 offset1:43
	ds_store_2addr_b64 v254, v[20:21], v[22:23] offset0:44 offset1:45
	ds_store_2addr_b64 v254, v[16:17], v[18:19] offset0:46 offset1:47
	ds_store_2addr_b64 v254, v[12:13], v[14:15] offset0:48 offset1:49
	ds_store_2addr_b64 v254, v[8:9], v[10:11] offset0:50 offset1:51
	ds_store_2addr_b64 v254, v[4:5], v[6:7] offset0:52 offset1:53
	ds_store_2addr_b64 v254, v[0:1], v[2:3] offset0:54 offset1:55
	ds_load_2addr_b64 v[176:179], v253 offset1:1
	s_waitcnt lgkmcnt(0)
	v_cmp_neq_f64_e32 vcc_lo, 0, v[176:177]
	v_cmp_neq_f64_e64 s3, 0, v[178:179]
	s_delay_alu instid0(VALU_DEP_1) | instskip(NEXT) | instid1(SALU_CYCLE_1)
	s_or_b32 s3, vcc_lo, s3
	s_and_b32 exec_lo, exec_lo, s3
	s_cbranch_execz .LBB55_152
; %bb.147:
	v_cmp_gt_f64_e32 vcc_lo, 0, v[176:177]
	v_cmp_gt_f64_e64 s3, 0, v[178:179]
	v_xor_b32_e32 v112, 0x80000000, v177
	v_xor_b32_e32 v114, 0x80000000, v179
	s_delay_alu instid0(VALU_DEP_2) | instskip(NEXT) | instid1(VALU_DEP_2)
	v_cndmask_b32_e32 v113, v177, v112, vcc_lo
	v_cndmask_b32_e64 v115, v179, v114, s3
	v_cndmask_b32_e32 v112, v176, v176, vcc_lo
	v_cndmask_b32_e64 v114, v178, v178, s3
	s_delay_alu instid0(VALU_DEP_1) | instskip(SKIP_1) | instid1(SALU_CYCLE_1)
	v_cmp_ngt_f64_e32 vcc_lo, v[112:113], v[114:115]
                                        ; implicit-def: $vgpr112_vgpr113
	s_and_saveexec_b32 s3, vcc_lo
	s_xor_b32 s3, exec_lo, s3
                                        ; implicit-def: $vgpr180_vgpr181_vgpr182_vgpr183
	s_cbranch_execz .LBB55_149
; %bb.148:
	v_div_scale_f64 v[112:113], null, v[178:179], v[178:179], v[176:177]
	v_div_scale_f64 v[182:183], vcc_lo, v[176:177], v[178:179], v[176:177]
	s_delay_alu instid0(VALU_DEP_2) | instskip(SKIP_2) | instid1(VALU_DEP_1)
	v_rcp_f64_e32 v[114:115], v[112:113]
	s_waitcnt_depctr 0xfff
	v_fma_f64 v[180:181], -v[112:113], v[114:115], 1.0
	v_fma_f64 v[114:115], v[114:115], v[180:181], v[114:115]
	s_delay_alu instid0(VALU_DEP_1) | instskip(NEXT) | instid1(VALU_DEP_1)
	v_fma_f64 v[180:181], -v[112:113], v[114:115], 1.0
	v_fma_f64 v[114:115], v[114:115], v[180:181], v[114:115]
	s_delay_alu instid0(VALU_DEP_1) | instskip(NEXT) | instid1(VALU_DEP_1)
	v_mul_f64 v[180:181], v[182:183], v[114:115]
	v_fma_f64 v[112:113], -v[112:113], v[180:181], v[182:183]
	s_delay_alu instid0(VALU_DEP_1) | instskip(NEXT) | instid1(VALU_DEP_1)
	v_div_fmas_f64 v[112:113], v[112:113], v[114:115], v[180:181]
	v_div_fixup_f64 v[112:113], v[112:113], v[178:179], v[176:177]
	s_delay_alu instid0(VALU_DEP_1) | instskip(NEXT) | instid1(VALU_DEP_1)
	v_fma_f64 v[114:115], v[176:177], v[112:113], v[178:179]
	v_div_scale_f64 v[176:177], null, v[114:115], v[114:115], 1.0
	s_delay_alu instid0(VALU_DEP_1) | instskip(SKIP_2) | instid1(VALU_DEP_1)
	v_rcp_f64_e32 v[178:179], v[176:177]
	s_waitcnt_depctr 0xfff
	v_fma_f64 v[180:181], -v[176:177], v[178:179], 1.0
	v_fma_f64 v[178:179], v[178:179], v[180:181], v[178:179]
	s_delay_alu instid0(VALU_DEP_1) | instskip(NEXT) | instid1(VALU_DEP_1)
	v_fma_f64 v[180:181], -v[176:177], v[178:179], 1.0
	v_fma_f64 v[178:179], v[178:179], v[180:181], v[178:179]
	v_div_scale_f64 v[180:181], vcc_lo, 1.0, v[114:115], 1.0
	s_delay_alu instid0(VALU_DEP_1) | instskip(NEXT) | instid1(VALU_DEP_1)
	v_mul_f64 v[182:183], v[180:181], v[178:179]
	v_fma_f64 v[176:177], -v[176:177], v[182:183], v[180:181]
	s_delay_alu instid0(VALU_DEP_1) | instskip(NEXT) | instid1(VALU_DEP_1)
	v_div_fmas_f64 v[176:177], v[176:177], v[178:179], v[182:183]
	v_div_fixup_f64 v[182:183], v[176:177], v[114:115], 1.0
                                        ; implicit-def: $vgpr176_vgpr177
	s_delay_alu instid0(VALU_DEP_1)
	v_mul_f64 v[112:113], v[112:113], v[182:183]
	v_xor_b32_e32 v183, 0x80000000, v183
.LBB55_149:
	s_and_not1_saveexec_b32 s3, s3
	s_cbranch_execz .LBB55_151
; %bb.150:
	v_div_scale_f64 v[112:113], null, v[176:177], v[176:177], v[178:179]
	v_div_scale_f64 v[182:183], vcc_lo, v[178:179], v[176:177], v[178:179]
	s_delay_alu instid0(VALU_DEP_2) | instskip(SKIP_2) | instid1(VALU_DEP_1)
	v_rcp_f64_e32 v[114:115], v[112:113]
	s_waitcnt_depctr 0xfff
	v_fma_f64 v[180:181], -v[112:113], v[114:115], 1.0
	v_fma_f64 v[114:115], v[114:115], v[180:181], v[114:115]
	s_delay_alu instid0(VALU_DEP_1) | instskip(NEXT) | instid1(VALU_DEP_1)
	v_fma_f64 v[180:181], -v[112:113], v[114:115], 1.0
	v_fma_f64 v[114:115], v[114:115], v[180:181], v[114:115]
	s_delay_alu instid0(VALU_DEP_1) | instskip(NEXT) | instid1(VALU_DEP_1)
	v_mul_f64 v[180:181], v[182:183], v[114:115]
	v_fma_f64 v[112:113], -v[112:113], v[180:181], v[182:183]
	s_delay_alu instid0(VALU_DEP_1) | instskip(NEXT) | instid1(VALU_DEP_1)
	v_div_fmas_f64 v[112:113], v[112:113], v[114:115], v[180:181]
	v_div_fixup_f64 v[114:115], v[112:113], v[176:177], v[178:179]
	s_delay_alu instid0(VALU_DEP_1) | instskip(NEXT) | instid1(VALU_DEP_1)
	v_fma_f64 v[112:113], v[178:179], v[114:115], v[176:177]
	v_div_scale_f64 v[176:177], null, v[112:113], v[112:113], 1.0
	s_delay_alu instid0(VALU_DEP_1) | instskip(SKIP_2) | instid1(VALU_DEP_1)
	v_rcp_f64_e32 v[178:179], v[176:177]
	s_waitcnt_depctr 0xfff
	v_fma_f64 v[180:181], -v[176:177], v[178:179], 1.0
	v_fma_f64 v[178:179], v[178:179], v[180:181], v[178:179]
	s_delay_alu instid0(VALU_DEP_1) | instskip(NEXT) | instid1(VALU_DEP_1)
	v_fma_f64 v[180:181], -v[176:177], v[178:179], 1.0
	v_fma_f64 v[178:179], v[178:179], v[180:181], v[178:179]
	v_div_scale_f64 v[180:181], vcc_lo, 1.0, v[112:113], 1.0
	s_delay_alu instid0(VALU_DEP_1) | instskip(NEXT) | instid1(VALU_DEP_1)
	v_mul_f64 v[182:183], v[180:181], v[178:179]
	v_fma_f64 v[176:177], -v[176:177], v[182:183], v[180:181]
	s_delay_alu instid0(VALU_DEP_1) | instskip(NEXT) | instid1(VALU_DEP_1)
	v_div_fmas_f64 v[176:177], v[176:177], v[178:179], v[182:183]
	v_div_fixup_f64 v[112:113], v[176:177], v[112:113], 1.0
	s_delay_alu instid0(VALU_DEP_1)
	v_mul_f64 v[182:183], v[114:115], -v[112:113]
.LBB55_151:
	s_or_b32 exec_lo, exec_lo, s3
	ds_store_2addr_b64 v253, v[112:113], v[182:183] offset1:1
.LBB55_152:
	s_or_b32 exec_lo, exec_lo, s4
	s_waitcnt lgkmcnt(0)
	s_barrier
	buffer_gl0_inv
	ds_load_2addr_b64 v[176:179], v253 offset1:1
	s_mov_b32 s3, exec_lo
	v_cmpx_lt_u32_e32 16, v252
	s_cbranch_execz .LBB55_154
; %bb.153:
	s_waitcnt lgkmcnt(0)
	v_mul_f64 v[112:113], v[176:177], v[46:47]
	v_mul_f64 v[46:47], v[178:179], v[46:47]
	s_delay_alu instid0(VALU_DEP_2) | instskip(SKIP_4) | instid1(VALU_DEP_1)
	v_fma_f64 v[180:181], v[178:179], v[44:45], v[112:113]
	ds_load_2addr_b64 v[112:115], v254 offset0:34 offset1:35
	v_fma_f64 v[44:45], v[176:177], v[44:45], -v[46:47]
	s_waitcnt lgkmcnt(0)
	v_mul_f64 v[46:47], v[114:115], v[180:181]
	v_fma_f64 v[46:47], v[112:113], v[44:45], -v[46:47]
	v_mul_f64 v[112:113], v[112:113], v[180:181]
	s_delay_alu instid0(VALU_DEP_2) | instskip(NEXT) | instid1(VALU_DEP_2)
	v_add_f64 v[40:41], v[40:41], -v[46:47]
	v_fma_f64 v[112:113], v[114:115], v[44:45], v[112:113]
	s_delay_alu instid0(VALU_DEP_1) | instskip(SKIP_3) | instid1(VALU_DEP_1)
	v_add_f64 v[42:43], v[42:43], -v[112:113]
	ds_load_2addr_b64 v[112:115], v254 offset0:36 offset1:37
	s_waitcnt lgkmcnt(0)
	v_mul_f64 v[46:47], v[114:115], v[180:181]
	v_fma_f64 v[46:47], v[112:113], v[44:45], -v[46:47]
	v_mul_f64 v[112:113], v[112:113], v[180:181]
	s_delay_alu instid0(VALU_DEP_2) | instskip(NEXT) | instid1(VALU_DEP_2)
	v_add_f64 v[36:37], v[36:37], -v[46:47]
	v_fma_f64 v[112:113], v[114:115], v[44:45], v[112:113]
	s_delay_alu instid0(VALU_DEP_1) | instskip(SKIP_3) | instid1(VALU_DEP_1)
	v_add_f64 v[38:39], v[38:39], -v[112:113]
	ds_load_2addr_b64 v[112:115], v254 offset0:38 offset1:39
	;; [unrolled: 10-line block ×10, first 2 shown]
	s_waitcnt lgkmcnt(0)
	v_mul_f64 v[46:47], v[114:115], v[180:181]
	v_fma_f64 v[46:47], v[112:113], v[44:45], -v[46:47]
	v_mul_f64 v[112:113], v[112:113], v[180:181]
	s_delay_alu instid0(VALU_DEP_2) | instskip(NEXT) | instid1(VALU_DEP_2)
	v_add_f64 v[0:1], v[0:1], -v[46:47]
	v_fma_f64 v[112:113], v[114:115], v[44:45], v[112:113]
	v_dual_mov_b32 v46, v180 :: v_dual_mov_b32 v47, v181
	s_delay_alu instid0(VALU_DEP_2)
	v_add_f64 v[2:3], v[2:3], -v[112:113]
.LBB55_154:
	s_or_b32 exec_lo, exec_lo, s3
	s_delay_alu instid0(SALU_CYCLE_1)
	s_mov_b32 s4, exec_lo
	s_waitcnt lgkmcnt(0)
	s_barrier
	buffer_gl0_inv
	v_cmpx_eq_u32_e32 17, v252
	s_cbranch_execz .LBB55_161
; %bb.155:
	ds_store_2addr_b64 v253, v[40:41], v[42:43] offset1:1
	ds_store_2addr_b64 v254, v[36:37], v[38:39] offset0:36 offset1:37
	ds_store_2addr_b64 v254, v[32:33], v[34:35] offset0:38 offset1:39
	;; [unrolled: 1-line block ×10, first 2 shown]
	ds_load_2addr_b64 v[180:183], v253 offset1:1
	s_waitcnt lgkmcnt(0)
	v_cmp_neq_f64_e32 vcc_lo, 0, v[180:181]
	v_cmp_neq_f64_e64 s3, 0, v[182:183]
	s_delay_alu instid0(VALU_DEP_1) | instskip(NEXT) | instid1(SALU_CYCLE_1)
	s_or_b32 s3, vcc_lo, s3
	s_and_b32 exec_lo, exec_lo, s3
	s_cbranch_execz .LBB55_161
; %bb.156:
	v_cmp_gt_f64_e32 vcc_lo, 0, v[180:181]
	v_cmp_gt_f64_e64 s3, 0, v[182:183]
	v_xor_b32_e32 v112, 0x80000000, v181
	v_xor_b32_e32 v114, 0x80000000, v183
	s_delay_alu instid0(VALU_DEP_2) | instskip(NEXT) | instid1(VALU_DEP_2)
	v_cndmask_b32_e32 v113, v181, v112, vcc_lo
	v_cndmask_b32_e64 v115, v183, v114, s3
	v_cndmask_b32_e32 v112, v180, v180, vcc_lo
	v_cndmask_b32_e64 v114, v182, v182, s3
	s_delay_alu instid0(VALU_DEP_1) | instskip(SKIP_1) | instid1(SALU_CYCLE_1)
	v_cmp_ngt_f64_e32 vcc_lo, v[112:113], v[114:115]
                                        ; implicit-def: $vgpr112_vgpr113
	s_and_saveexec_b32 s3, vcc_lo
	s_xor_b32 s3, exec_lo, s3
                                        ; implicit-def: $vgpr184_vgpr185_vgpr186_vgpr187
	s_cbranch_execz .LBB55_158
; %bb.157:
	v_div_scale_f64 v[112:113], null, v[182:183], v[182:183], v[180:181]
	v_div_scale_f64 v[186:187], vcc_lo, v[180:181], v[182:183], v[180:181]
	s_delay_alu instid0(VALU_DEP_2) | instskip(SKIP_2) | instid1(VALU_DEP_1)
	v_rcp_f64_e32 v[114:115], v[112:113]
	s_waitcnt_depctr 0xfff
	v_fma_f64 v[184:185], -v[112:113], v[114:115], 1.0
	v_fma_f64 v[114:115], v[114:115], v[184:185], v[114:115]
	s_delay_alu instid0(VALU_DEP_1) | instskip(NEXT) | instid1(VALU_DEP_1)
	v_fma_f64 v[184:185], -v[112:113], v[114:115], 1.0
	v_fma_f64 v[114:115], v[114:115], v[184:185], v[114:115]
	s_delay_alu instid0(VALU_DEP_1) | instskip(NEXT) | instid1(VALU_DEP_1)
	v_mul_f64 v[184:185], v[186:187], v[114:115]
	v_fma_f64 v[112:113], -v[112:113], v[184:185], v[186:187]
	s_delay_alu instid0(VALU_DEP_1) | instskip(NEXT) | instid1(VALU_DEP_1)
	v_div_fmas_f64 v[112:113], v[112:113], v[114:115], v[184:185]
	v_div_fixup_f64 v[112:113], v[112:113], v[182:183], v[180:181]
	s_delay_alu instid0(VALU_DEP_1) | instskip(NEXT) | instid1(VALU_DEP_1)
	v_fma_f64 v[114:115], v[180:181], v[112:113], v[182:183]
	v_div_scale_f64 v[180:181], null, v[114:115], v[114:115], 1.0
	s_delay_alu instid0(VALU_DEP_1) | instskip(SKIP_2) | instid1(VALU_DEP_1)
	v_rcp_f64_e32 v[182:183], v[180:181]
	s_waitcnt_depctr 0xfff
	v_fma_f64 v[184:185], -v[180:181], v[182:183], 1.0
	v_fma_f64 v[182:183], v[182:183], v[184:185], v[182:183]
	s_delay_alu instid0(VALU_DEP_1) | instskip(NEXT) | instid1(VALU_DEP_1)
	v_fma_f64 v[184:185], -v[180:181], v[182:183], 1.0
	v_fma_f64 v[182:183], v[182:183], v[184:185], v[182:183]
	v_div_scale_f64 v[184:185], vcc_lo, 1.0, v[114:115], 1.0
	s_delay_alu instid0(VALU_DEP_1) | instskip(NEXT) | instid1(VALU_DEP_1)
	v_mul_f64 v[186:187], v[184:185], v[182:183]
	v_fma_f64 v[180:181], -v[180:181], v[186:187], v[184:185]
	s_delay_alu instid0(VALU_DEP_1) | instskip(NEXT) | instid1(VALU_DEP_1)
	v_div_fmas_f64 v[180:181], v[180:181], v[182:183], v[186:187]
	v_div_fixup_f64 v[186:187], v[180:181], v[114:115], 1.0
                                        ; implicit-def: $vgpr180_vgpr181
	s_delay_alu instid0(VALU_DEP_1)
	v_mul_f64 v[112:113], v[112:113], v[186:187]
	v_xor_b32_e32 v187, 0x80000000, v187
.LBB55_158:
	s_and_not1_saveexec_b32 s3, s3
	s_cbranch_execz .LBB55_160
; %bb.159:
	v_div_scale_f64 v[112:113], null, v[180:181], v[180:181], v[182:183]
	v_div_scale_f64 v[186:187], vcc_lo, v[182:183], v[180:181], v[182:183]
	s_delay_alu instid0(VALU_DEP_2) | instskip(SKIP_2) | instid1(VALU_DEP_1)
	v_rcp_f64_e32 v[114:115], v[112:113]
	s_waitcnt_depctr 0xfff
	v_fma_f64 v[184:185], -v[112:113], v[114:115], 1.0
	v_fma_f64 v[114:115], v[114:115], v[184:185], v[114:115]
	s_delay_alu instid0(VALU_DEP_1) | instskip(NEXT) | instid1(VALU_DEP_1)
	v_fma_f64 v[184:185], -v[112:113], v[114:115], 1.0
	v_fma_f64 v[114:115], v[114:115], v[184:185], v[114:115]
	s_delay_alu instid0(VALU_DEP_1) | instskip(NEXT) | instid1(VALU_DEP_1)
	v_mul_f64 v[184:185], v[186:187], v[114:115]
	v_fma_f64 v[112:113], -v[112:113], v[184:185], v[186:187]
	s_delay_alu instid0(VALU_DEP_1) | instskip(NEXT) | instid1(VALU_DEP_1)
	v_div_fmas_f64 v[112:113], v[112:113], v[114:115], v[184:185]
	v_div_fixup_f64 v[114:115], v[112:113], v[180:181], v[182:183]
	s_delay_alu instid0(VALU_DEP_1) | instskip(NEXT) | instid1(VALU_DEP_1)
	v_fma_f64 v[112:113], v[182:183], v[114:115], v[180:181]
	v_div_scale_f64 v[180:181], null, v[112:113], v[112:113], 1.0
	s_delay_alu instid0(VALU_DEP_1) | instskip(SKIP_2) | instid1(VALU_DEP_1)
	v_rcp_f64_e32 v[182:183], v[180:181]
	s_waitcnt_depctr 0xfff
	v_fma_f64 v[184:185], -v[180:181], v[182:183], 1.0
	v_fma_f64 v[182:183], v[182:183], v[184:185], v[182:183]
	s_delay_alu instid0(VALU_DEP_1) | instskip(NEXT) | instid1(VALU_DEP_1)
	v_fma_f64 v[184:185], -v[180:181], v[182:183], 1.0
	v_fma_f64 v[182:183], v[182:183], v[184:185], v[182:183]
	v_div_scale_f64 v[184:185], vcc_lo, 1.0, v[112:113], 1.0
	s_delay_alu instid0(VALU_DEP_1) | instskip(NEXT) | instid1(VALU_DEP_1)
	v_mul_f64 v[186:187], v[184:185], v[182:183]
	v_fma_f64 v[180:181], -v[180:181], v[186:187], v[184:185]
	s_delay_alu instid0(VALU_DEP_1) | instskip(NEXT) | instid1(VALU_DEP_1)
	v_div_fmas_f64 v[180:181], v[180:181], v[182:183], v[186:187]
	v_div_fixup_f64 v[112:113], v[180:181], v[112:113], 1.0
	s_delay_alu instid0(VALU_DEP_1)
	v_mul_f64 v[186:187], v[114:115], -v[112:113]
.LBB55_160:
	s_or_b32 exec_lo, exec_lo, s3
	ds_store_2addr_b64 v253, v[112:113], v[186:187] offset1:1
.LBB55_161:
	s_or_b32 exec_lo, exec_lo, s4
	s_waitcnt lgkmcnt(0)
	s_barrier
	buffer_gl0_inv
	ds_load_2addr_b64 v[180:183], v253 offset1:1
	s_mov_b32 s3, exec_lo
	v_cmpx_lt_u32_e32 17, v252
	s_cbranch_execz .LBB55_163
; %bb.162:
	s_waitcnt lgkmcnt(0)
	v_mul_f64 v[112:113], v[180:181], v[42:43]
	v_mul_f64 v[42:43], v[182:183], v[42:43]
	s_delay_alu instid0(VALU_DEP_2) | instskip(SKIP_4) | instid1(VALU_DEP_1)
	v_fma_f64 v[184:185], v[182:183], v[40:41], v[112:113]
	ds_load_2addr_b64 v[112:115], v254 offset0:36 offset1:37
	v_fma_f64 v[40:41], v[180:181], v[40:41], -v[42:43]
	s_waitcnt lgkmcnt(0)
	v_mul_f64 v[42:43], v[114:115], v[184:185]
	v_fma_f64 v[42:43], v[112:113], v[40:41], -v[42:43]
	v_mul_f64 v[112:113], v[112:113], v[184:185]
	s_delay_alu instid0(VALU_DEP_2) | instskip(NEXT) | instid1(VALU_DEP_2)
	v_add_f64 v[36:37], v[36:37], -v[42:43]
	v_fma_f64 v[112:113], v[114:115], v[40:41], v[112:113]
	s_delay_alu instid0(VALU_DEP_1) | instskip(SKIP_3) | instid1(VALU_DEP_1)
	v_add_f64 v[38:39], v[38:39], -v[112:113]
	ds_load_2addr_b64 v[112:115], v254 offset0:38 offset1:39
	s_waitcnt lgkmcnt(0)
	v_mul_f64 v[42:43], v[114:115], v[184:185]
	v_fma_f64 v[42:43], v[112:113], v[40:41], -v[42:43]
	v_mul_f64 v[112:113], v[112:113], v[184:185]
	s_delay_alu instid0(VALU_DEP_2) | instskip(NEXT) | instid1(VALU_DEP_2)
	v_add_f64 v[32:33], v[32:33], -v[42:43]
	v_fma_f64 v[112:113], v[114:115], v[40:41], v[112:113]
	s_delay_alu instid0(VALU_DEP_1) | instskip(SKIP_3) | instid1(VALU_DEP_1)
	v_add_f64 v[34:35], v[34:35], -v[112:113]
	ds_load_2addr_b64 v[112:115], v254 offset0:40 offset1:41
	;; [unrolled: 10-line block ×9, first 2 shown]
	s_waitcnt lgkmcnt(0)
	v_mul_f64 v[42:43], v[114:115], v[184:185]
	v_fma_f64 v[42:43], v[112:113], v[40:41], -v[42:43]
	v_mul_f64 v[112:113], v[112:113], v[184:185]
	s_delay_alu instid0(VALU_DEP_2) | instskip(NEXT) | instid1(VALU_DEP_2)
	v_add_f64 v[0:1], v[0:1], -v[42:43]
	v_fma_f64 v[112:113], v[114:115], v[40:41], v[112:113]
	v_dual_mov_b32 v42, v184 :: v_dual_mov_b32 v43, v185
	s_delay_alu instid0(VALU_DEP_2)
	v_add_f64 v[2:3], v[2:3], -v[112:113]
.LBB55_163:
	s_or_b32 exec_lo, exec_lo, s3
	s_delay_alu instid0(SALU_CYCLE_1)
	s_mov_b32 s4, exec_lo
	s_waitcnt lgkmcnt(0)
	s_barrier
	buffer_gl0_inv
	v_cmpx_eq_u32_e32 18, v252
	s_cbranch_execz .LBB55_170
; %bb.164:
	ds_store_2addr_b64 v253, v[36:37], v[38:39] offset1:1
	ds_store_2addr_b64 v254, v[32:33], v[34:35] offset0:38 offset1:39
	ds_store_2addr_b64 v254, v[28:29], v[30:31] offset0:40 offset1:41
	;; [unrolled: 1-line block ×9, first 2 shown]
	ds_load_2addr_b64 v[184:187], v253 offset1:1
	s_waitcnt lgkmcnt(0)
	v_cmp_neq_f64_e32 vcc_lo, 0, v[184:185]
	v_cmp_neq_f64_e64 s3, 0, v[186:187]
	s_delay_alu instid0(VALU_DEP_1) | instskip(NEXT) | instid1(SALU_CYCLE_1)
	s_or_b32 s3, vcc_lo, s3
	s_and_b32 exec_lo, exec_lo, s3
	s_cbranch_execz .LBB55_170
; %bb.165:
	v_cmp_gt_f64_e32 vcc_lo, 0, v[184:185]
	v_cmp_gt_f64_e64 s3, 0, v[186:187]
	v_xor_b32_e32 v112, 0x80000000, v185
	v_xor_b32_e32 v114, 0x80000000, v187
	s_delay_alu instid0(VALU_DEP_2) | instskip(NEXT) | instid1(VALU_DEP_2)
	v_cndmask_b32_e32 v113, v185, v112, vcc_lo
	v_cndmask_b32_e64 v115, v187, v114, s3
	v_cndmask_b32_e32 v112, v184, v184, vcc_lo
	v_cndmask_b32_e64 v114, v186, v186, s3
	s_delay_alu instid0(VALU_DEP_1) | instskip(SKIP_1) | instid1(SALU_CYCLE_1)
	v_cmp_ngt_f64_e32 vcc_lo, v[112:113], v[114:115]
                                        ; implicit-def: $vgpr112_vgpr113
	s_and_saveexec_b32 s3, vcc_lo
	s_xor_b32 s3, exec_lo, s3
                                        ; implicit-def: $vgpr188_vgpr189_vgpr190_vgpr191
	s_cbranch_execz .LBB55_167
; %bb.166:
	v_div_scale_f64 v[112:113], null, v[186:187], v[186:187], v[184:185]
	v_div_scale_f64 v[190:191], vcc_lo, v[184:185], v[186:187], v[184:185]
	s_delay_alu instid0(VALU_DEP_2) | instskip(SKIP_2) | instid1(VALU_DEP_1)
	v_rcp_f64_e32 v[114:115], v[112:113]
	s_waitcnt_depctr 0xfff
	v_fma_f64 v[188:189], -v[112:113], v[114:115], 1.0
	v_fma_f64 v[114:115], v[114:115], v[188:189], v[114:115]
	s_delay_alu instid0(VALU_DEP_1) | instskip(NEXT) | instid1(VALU_DEP_1)
	v_fma_f64 v[188:189], -v[112:113], v[114:115], 1.0
	v_fma_f64 v[114:115], v[114:115], v[188:189], v[114:115]
	s_delay_alu instid0(VALU_DEP_1) | instskip(NEXT) | instid1(VALU_DEP_1)
	v_mul_f64 v[188:189], v[190:191], v[114:115]
	v_fma_f64 v[112:113], -v[112:113], v[188:189], v[190:191]
	s_delay_alu instid0(VALU_DEP_1) | instskip(NEXT) | instid1(VALU_DEP_1)
	v_div_fmas_f64 v[112:113], v[112:113], v[114:115], v[188:189]
	v_div_fixup_f64 v[112:113], v[112:113], v[186:187], v[184:185]
	s_delay_alu instid0(VALU_DEP_1) | instskip(NEXT) | instid1(VALU_DEP_1)
	v_fma_f64 v[114:115], v[184:185], v[112:113], v[186:187]
	v_div_scale_f64 v[184:185], null, v[114:115], v[114:115], 1.0
	s_delay_alu instid0(VALU_DEP_1) | instskip(SKIP_2) | instid1(VALU_DEP_1)
	v_rcp_f64_e32 v[186:187], v[184:185]
	s_waitcnt_depctr 0xfff
	v_fma_f64 v[188:189], -v[184:185], v[186:187], 1.0
	v_fma_f64 v[186:187], v[186:187], v[188:189], v[186:187]
	s_delay_alu instid0(VALU_DEP_1) | instskip(NEXT) | instid1(VALU_DEP_1)
	v_fma_f64 v[188:189], -v[184:185], v[186:187], 1.0
	v_fma_f64 v[186:187], v[186:187], v[188:189], v[186:187]
	v_div_scale_f64 v[188:189], vcc_lo, 1.0, v[114:115], 1.0
	s_delay_alu instid0(VALU_DEP_1) | instskip(NEXT) | instid1(VALU_DEP_1)
	v_mul_f64 v[190:191], v[188:189], v[186:187]
	v_fma_f64 v[184:185], -v[184:185], v[190:191], v[188:189]
	s_delay_alu instid0(VALU_DEP_1) | instskip(NEXT) | instid1(VALU_DEP_1)
	v_div_fmas_f64 v[184:185], v[184:185], v[186:187], v[190:191]
	v_div_fixup_f64 v[190:191], v[184:185], v[114:115], 1.0
                                        ; implicit-def: $vgpr184_vgpr185
	s_delay_alu instid0(VALU_DEP_1)
	v_mul_f64 v[112:113], v[112:113], v[190:191]
	v_xor_b32_e32 v191, 0x80000000, v191
.LBB55_167:
	s_and_not1_saveexec_b32 s3, s3
	s_cbranch_execz .LBB55_169
; %bb.168:
	v_div_scale_f64 v[112:113], null, v[184:185], v[184:185], v[186:187]
	v_div_scale_f64 v[190:191], vcc_lo, v[186:187], v[184:185], v[186:187]
	s_delay_alu instid0(VALU_DEP_2) | instskip(SKIP_2) | instid1(VALU_DEP_1)
	v_rcp_f64_e32 v[114:115], v[112:113]
	s_waitcnt_depctr 0xfff
	v_fma_f64 v[188:189], -v[112:113], v[114:115], 1.0
	v_fma_f64 v[114:115], v[114:115], v[188:189], v[114:115]
	s_delay_alu instid0(VALU_DEP_1) | instskip(NEXT) | instid1(VALU_DEP_1)
	v_fma_f64 v[188:189], -v[112:113], v[114:115], 1.0
	v_fma_f64 v[114:115], v[114:115], v[188:189], v[114:115]
	s_delay_alu instid0(VALU_DEP_1) | instskip(NEXT) | instid1(VALU_DEP_1)
	v_mul_f64 v[188:189], v[190:191], v[114:115]
	v_fma_f64 v[112:113], -v[112:113], v[188:189], v[190:191]
	s_delay_alu instid0(VALU_DEP_1) | instskip(NEXT) | instid1(VALU_DEP_1)
	v_div_fmas_f64 v[112:113], v[112:113], v[114:115], v[188:189]
	v_div_fixup_f64 v[114:115], v[112:113], v[184:185], v[186:187]
	s_delay_alu instid0(VALU_DEP_1) | instskip(NEXT) | instid1(VALU_DEP_1)
	v_fma_f64 v[112:113], v[186:187], v[114:115], v[184:185]
	v_div_scale_f64 v[184:185], null, v[112:113], v[112:113], 1.0
	s_delay_alu instid0(VALU_DEP_1) | instskip(SKIP_2) | instid1(VALU_DEP_1)
	v_rcp_f64_e32 v[186:187], v[184:185]
	s_waitcnt_depctr 0xfff
	v_fma_f64 v[188:189], -v[184:185], v[186:187], 1.0
	v_fma_f64 v[186:187], v[186:187], v[188:189], v[186:187]
	s_delay_alu instid0(VALU_DEP_1) | instskip(NEXT) | instid1(VALU_DEP_1)
	v_fma_f64 v[188:189], -v[184:185], v[186:187], 1.0
	v_fma_f64 v[186:187], v[186:187], v[188:189], v[186:187]
	v_div_scale_f64 v[188:189], vcc_lo, 1.0, v[112:113], 1.0
	s_delay_alu instid0(VALU_DEP_1) | instskip(NEXT) | instid1(VALU_DEP_1)
	v_mul_f64 v[190:191], v[188:189], v[186:187]
	v_fma_f64 v[184:185], -v[184:185], v[190:191], v[188:189]
	s_delay_alu instid0(VALU_DEP_1) | instskip(NEXT) | instid1(VALU_DEP_1)
	v_div_fmas_f64 v[184:185], v[184:185], v[186:187], v[190:191]
	v_div_fixup_f64 v[112:113], v[184:185], v[112:113], 1.0
	s_delay_alu instid0(VALU_DEP_1)
	v_mul_f64 v[190:191], v[114:115], -v[112:113]
.LBB55_169:
	s_or_b32 exec_lo, exec_lo, s3
	ds_store_2addr_b64 v253, v[112:113], v[190:191] offset1:1
.LBB55_170:
	s_or_b32 exec_lo, exec_lo, s4
	s_waitcnt lgkmcnt(0)
	s_barrier
	buffer_gl0_inv
	ds_load_2addr_b64 v[184:187], v253 offset1:1
	s_mov_b32 s3, exec_lo
	v_cmpx_lt_u32_e32 18, v252
	s_cbranch_execz .LBB55_172
; %bb.171:
	s_waitcnt lgkmcnt(0)
	v_mul_f64 v[112:113], v[184:185], v[38:39]
	v_mul_f64 v[38:39], v[186:187], v[38:39]
	s_delay_alu instid0(VALU_DEP_2) | instskip(SKIP_4) | instid1(VALU_DEP_1)
	v_fma_f64 v[188:189], v[186:187], v[36:37], v[112:113]
	ds_load_2addr_b64 v[112:115], v254 offset0:38 offset1:39
	v_fma_f64 v[36:37], v[184:185], v[36:37], -v[38:39]
	s_waitcnt lgkmcnt(0)
	v_mul_f64 v[38:39], v[114:115], v[188:189]
	v_fma_f64 v[38:39], v[112:113], v[36:37], -v[38:39]
	v_mul_f64 v[112:113], v[112:113], v[188:189]
	s_delay_alu instid0(VALU_DEP_2) | instskip(NEXT) | instid1(VALU_DEP_2)
	v_add_f64 v[32:33], v[32:33], -v[38:39]
	v_fma_f64 v[112:113], v[114:115], v[36:37], v[112:113]
	s_delay_alu instid0(VALU_DEP_1) | instskip(SKIP_3) | instid1(VALU_DEP_1)
	v_add_f64 v[34:35], v[34:35], -v[112:113]
	ds_load_2addr_b64 v[112:115], v254 offset0:40 offset1:41
	s_waitcnt lgkmcnt(0)
	v_mul_f64 v[38:39], v[114:115], v[188:189]
	v_fma_f64 v[38:39], v[112:113], v[36:37], -v[38:39]
	v_mul_f64 v[112:113], v[112:113], v[188:189]
	s_delay_alu instid0(VALU_DEP_2) | instskip(NEXT) | instid1(VALU_DEP_2)
	v_add_f64 v[28:29], v[28:29], -v[38:39]
	v_fma_f64 v[112:113], v[114:115], v[36:37], v[112:113]
	s_delay_alu instid0(VALU_DEP_1) | instskip(SKIP_3) | instid1(VALU_DEP_1)
	v_add_f64 v[30:31], v[30:31], -v[112:113]
	ds_load_2addr_b64 v[112:115], v254 offset0:42 offset1:43
	;; [unrolled: 10-line block ×8, first 2 shown]
	s_waitcnt lgkmcnt(0)
	v_mul_f64 v[38:39], v[114:115], v[188:189]
	v_fma_f64 v[38:39], v[112:113], v[36:37], -v[38:39]
	v_mul_f64 v[112:113], v[112:113], v[188:189]
	s_delay_alu instid0(VALU_DEP_2) | instskip(NEXT) | instid1(VALU_DEP_2)
	v_add_f64 v[0:1], v[0:1], -v[38:39]
	v_fma_f64 v[112:113], v[114:115], v[36:37], v[112:113]
	v_dual_mov_b32 v38, v188 :: v_dual_mov_b32 v39, v189
	s_delay_alu instid0(VALU_DEP_2)
	v_add_f64 v[2:3], v[2:3], -v[112:113]
.LBB55_172:
	s_or_b32 exec_lo, exec_lo, s3
	s_delay_alu instid0(SALU_CYCLE_1)
	s_mov_b32 s4, exec_lo
	s_waitcnt lgkmcnt(0)
	s_barrier
	buffer_gl0_inv
	v_cmpx_eq_u32_e32 19, v252
	s_cbranch_execz .LBB55_179
; %bb.173:
	ds_store_2addr_b64 v253, v[32:33], v[34:35] offset1:1
	ds_store_2addr_b64 v254, v[28:29], v[30:31] offset0:40 offset1:41
	ds_store_2addr_b64 v254, v[24:25], v[26:27] offset0:42 offset1:43
	;; [unrolled: 1-line block ×8, first 2 shown]
	ds_load_2addr_b64 v[188:191], v253 offset1:1
	s_waitcnt lgkmcnt(0)
	v_cmp_neq_f64_e32 vcc_lo, 0, v[188:189]
	v_cmp_neq_f64_e64 s3, 0, v[190:191]
	s_delay_alu instid0(VALU_DEP_1) | instskip(NEXT) | instid1(SALU_CYCLE_1)
	s_or_b32 s3, vcc_lo, s3
	s_and_b32 exec_lo, exec_lo, s3
	s_cbranch_execz .LBB55_179
; %bb.174:
	v_cmp_gt_f64_e32 vcc_lo, 0, v[188:189]
	v_xor_b32_e32 v112, 0x80000000, v189
	v_xor_b32_e32 v114, 0x80000000, v191
	s_delay_alu instid0(VALU_DEP_2) | instskip(SKIP_2) | instid1(VALU_DEP_4)
	v_cndmask_b32_e32 v113, v189, v112, vcc_lo
	v_cndmask_b32_e32 v112, v188, v188, vcc_lo
	v_cmp_gt_f64_e32 vcc_lo, 0, v[190:191]
	v_cndmask_b32_e32 v115, v191, v114, vcc_lo
	v_cndmask_b32_e32 v114, v190, v190, vcc_lo
	s_delay_alu instid0(VALU_DEP_1) | instskip(SKIP_1) | instid1(SALU_CYCLE_1)
	v_cmp_ngt_f64_e32 vcc_lo, v[112:113], v[114:115]
                                        ; implicit-def: $vgpr112_vgpr113
	s_and_saveexec_b32 s3, vcc_lo
	s_xor_b32 s3, exec_lo, s3
                                        ; implicit-def: $vgpr192_vgpr193_vgpr194_vgpr195
	s_cbranch_execz .LBB55_176
; %bb.175:
	v_div_scale_f64 v[112:113], null, v[190:191], v[190:191], v[188:189]
	v_div_scale_f64 v[194:195], vcc_lo, v[188:189], v[190:191], v[188:189]
	s_delay_alu instid0(VALU_DEP_2) | instskip(SKIP_2) | instid1(VALU_DEP_1)
	v_rcp_f64_e32 v[114:115], v[112:113]
	s_waitcnt_depctr 0xfff
	v_fma_f64 v[192:193], -v[112:113], v[114:115], 1.0
	v_fma_f64 v[114:115], v[114:115], v[192:193], v[114:115]
	s_delay_alu instid0(VALU_DEP_1) | instskip(NEXT) | instid1(VALU_DEP_1)
	v_fma_f64 v[192:193], -v[112:113], v[114:115], 1.0
	v_fma_f64 v[114:115], v[114:115], v[192:193], v[114:115]
	s_delay_alu instid0(VALU_DEP_1) | instskip(NEXT) | instid1(VALU_DEP_1)
	v_mul_f64 v[192:193], v[194:195], v[114:115]
	v_fma_f64 v[112:113], -v[112:113], v[192:193], v[194:195]
	s_delay_alu instid0(VALU_DEP_1) | instskip(NEXT) | instid1(VALU_DEP_1)
	v_div_fmas_f64 v[112:113], v[112:113], v[114:115], v[192:193]
	v_div_fixup_f64 v[112:113], v[112:113], v[190:191], v[188:189]
	s_delay_alu instid0(VALU_DEP_1) | instskip(NEXT) | instid1(VALU_DEP_1)
	v_fma_f64 v[114:115], v[188:189], v[112:113], v[190:191]
	v_div_scale_f64 v[188:189], null, v[114:115], v[114:115], 1.0
	s_delay_alu instid0(VALU_DEP_1) | instskip(SKIP_2) | instid1(VALU_DEP_1)
	v_rcp_f64_e32 v[190:191], v[188:189]
	s_waitcnt_depctr 0xfff
	v_fma_f64 v[192:193], -v[188:189], v[190:191], 1.0
	v_fma_f64 v[190:191], v[190:191], v[192:193], v[190:191]
	s_delay_alu instid0(VALU_DEP_1) | instskip(NEXT) | instid1(VALU_DEP_1)
	v_fma_f64 v[192:193], -v[188:189], v[190:191], 1.0
	v_fma_f64 v[190:191], v[190:191], v[192:193], v[190:191]
	v_div_scale_f64 v[192:193], vcc_lo, 1.0, v[114:115], 1.0
	s_delay_alu instid0(VALU_DEP_1) | instskip(NEXT) | instid1(VALU_DEP_1)
	v_mul_f64 v[194:195], v[192:193], v[190:191]
	v_fma_f64 v[188:189], -v[188:189], v[194:195], v[192:193]
	s_delay_alu instid0(VALU_DEP_1) | instskip(NEXT) | instid1(VALU_DEP_1)
	v_div_fmas_f64 v[188:189], v[188:189], v[190:191], v[194:195]
	v_div_fixup_f64 v[194:195], v[188:189], v[114:115], 1.0
                                        ; implicit-def: $vgpr188_vgpr189
	s_delay_alu instid0(VALU_DEP_1)
	v_mul_f64 v[112:113], v[112:113], v[194:195]
	v_xor_b32_e32 v195, 0x80000000, v195
.LBB55_176:
	s_and_not1_saveexec_b32 s3, s3
	s_cbranch_execz .LBB55_178
; %bb.177:
	v_div_scale_f64 v[112:113], null, v[188:189], v[188:189], v[190:191]
	v_div_scale_f64 v[194:195], vcc_lo, v[190:191], v[188:189], v[190:191]
	s_delay_alu instid0(VALU_DEP_2) | instskip(SKIP_2) | instid1(VALU_DEP_1)
	v_rcp_f64_e32 v[114:115], v[112:113]
	s_waitcnt_depctr 0xfff
	v_fma_f64 v[192:193], -v[112:113], v[114:115], 1.0
	v_fma_f64 v[114:115], v[114:115], v[192:193], v[114:115]
	s_delay_alu instid0(VALU_DEP_1) | instskip(NEXT) | instid1(VALU_DEP_1)
	v_fma_f64 v[192:193], -v[112:113], v[114:115], 1.0
	v_fma_f64 v[114:115], v[114:115], v[192:193], v[114:115]
	s_delay_alu instid0(VALU_DEP_1) | instskip(NEXT) | instid1(VALU_DEP_1)
	v_mul_f64 v[192:193], v[194:195], v[114:115]
	v_fma_f64 v[112:113], -v[112:113], v[192:193], v[194:195]
	s_delay_alu instid0(VALU_DEP_1) | instskip(NEXT) | instid1(VALU_DEP_1)
	v_div_fmas_f64 v[112:113], v[112:113], v[114:115], v[192:193]
	v_div_fixup_f64 v[114:115], v[112:113], v[188:189], v[190:191]
	s_delay_alu instid0(VALU_DEP_1) | instskip(NEXT) | instid1(VALU_DEP_1)
	v_fma_f64 v[112:113], v[190:191], v[114:115], v[188:189]
	v_div_scale_f64 v[188:189], null, v[112:113], v[112:113], 1.0
	s_delay_alu instid0(VALU_DEP_1) | instskip(SKIP_2) | instid1(VALU_DEP_1)
	v_rcp_f64_e32 v[190:191], v[188:189]
	s_waitcnt_depctr 0xfff
	v_fma_f64 v[192:193], -v[188:189], v[190:191], 1.0
	v_fma_f64 v[190:191], v[190:191], v[192:193], v[190:191]
	s_delay_alu instid0(VALU_DEP_1) | instskip(NEXT) | instid1(VALU_DEP_1)
	v_fma_f64 v[192:193], -v[188:189], v[190:191], 1.0
	v_fma_f64 v[190:191], v[190:191], v[192:193], v[190:191]
	v_div_scale_f64 v[192:193], vcc_lo, 1.0, v[112:113], 1.0
	s_delay_alu instid0(VALU_DEP_1) | instskip(NEXT) | instid1(VALU_DEP_1)
	v_mul_f64 v[194:195], v[192:193], v[190:191]
	v_fma_f64 v[188:189], -v[188:189], v[194:195], v[192:193]
	s_delay_alu instid0(VALU_DEP_1) | instskip(NEXT) | instid1(VALU_DEP_1)
	v_div_fmas_f64 v[188:189], v[188:189], v[190:191], v[194:195]
	v_div_fixup_f64 v[112:113], v[188:189], v[112:113], 1.0
	s_delay_alu instid0(VALU_DEP_1)
	v_mul_f64 v[194:195], v[114:115], -v[112:113]
.LBB55_178:
	s_or_b32 exec_lo, exec_lo, s3
	ds_store_2addr_b64 v253, v[112:113], v[194:195] offset1:1
.LBB55_179:
	s_or_b32 exec_lo, exec_lo, s4
	s_waitcnt lgkmcnt(0)
	s_barrier
	buffer_gl0_inv
	ds_load_2addr_b64 v[188:191], v253 offset1:1
	s_mov_b32 s3, exec_lo
	v_cmpx_lt_u32_e32 19, v252
	s_cbranch_execz .LBB55_181
; %bb.180:
	s_waitcnt lgkmcnt(0)
	v_mul_f64 v[112:113], v[188:189], v[34:35]
	v_mul_f64 v[34:35], v[190:191], v[34:35]
	s_delay_alu instid0(VALU_DEP_2) | instskip(SKIP_4) | instid1(VALU_DEP_1)
	v_fma_f64 v[192:193], v[190:191], v[32:33], v[112:113]
	ds_load_2addr_b64 v[112:115], v254 offset0:40 offset1:41
	v_fma_f64 v[32:33], v[188:189], v[32:33], -v[34:35]
	s_waitcnt lgkmcnt(0)
	v_mul_f64 v[34:35], v[114:115], v[192:193]
	v_fma_f64 v[34:35], v[112:113], v[32:33], -v[34:35]
	v_mul_f64 v[112:113], v[112:113], v[192:193]
	s_delay_alu instid0(VALU_DEP_2) | instskip(NEXT) | instid1(VALU_DEP_2)
	v_add_f64 v[28:29], v[28:29], -v[34:35]
	v_fma_f64 v[112:113], v[114:115], v[32:33], v[112:113]
	s_delay_alu instid0(VALU_DEP_1) | instskip(SKIP_3) | instid1(VALU_DEP_1)
	v_add_f64 v[30:31], v[30:31], -v[112:113]
	ds_load_2addr_b64 v[112:115], v254 offset0:42 offset1:43
	s_waitcnt lgkmcnt(0)
	v_mul_f64 v[34:35], v[114:115], v[192:193]
	v_fma_f64 v[34:35], v[112:113], v[32:33], -v[34:35]
	v_mul_f64 v[112:113], v[112:113], v[192:193]
	s_delay_alu instid0(VALU_DEP_2) | instskip(NEXT) | instid1(VALU_DEP_2)
	v_add_f64 v[24:25], v[24:25], -v[34:35]
	v_fma_f64 v[112:113], v[114:115], v[32:33], v[112:113]
	s_delay_alu instid0(VALU_DEP_1) | instskip(SKIP_3) | instid1(VALU_DEP_1)
	v_add_f64 v[26:27], v[26:27], -v[112:113]
	ds_load_2addr_b64 v[112:115], v254 offset0:44 offset1:45
	;; [unrolled: 10-line block ×7, first 2 shown]
	s_waitcnt lgkmcnt(0)
	v_mul_f64 v[34:35], v[114:115], v[192:193]
	v_fma_f64 v[34:35], v[112:113], v[32:33], -v[34:35]
	v_mul_f64 v[112:113], v[112:113], v[192:193]
	s_delay_alu instid0(VALU_DEP_2) | instskip(NEXT) | instid1(VALU_DEP_2)
	v_add_f64 v[0:1], v[0:1], -v[34:35]
	v_fma_f64 v[112:113], v[114:115], v[32:33], v[112:113]
	v_dual_mov_b32 v34, v192 :: v_dual_mov_b32 v35, v193
	s_delay_alu instid0(VALU_DEP_2)
	v_add_f64 v[2:3], v[2:3], -v[112:113]
.LBB55_181:
	s_or_b32 exec_lo, exec_lo, s3
	s_delay_alu instid0(SALU_CYCLE_1)
	s_mov_b32 s4, exec_lo
	s_waitcnt lgkmcnt(0)
	s_barrier
	buffer_gl0_inv
	v_cmpx_eq_u32_e32 20, v252
	s_cbranch_execz .LBB55_188
; %bb.182:
	ds_store_2addr_b64 v253, v[28:29], v[30:31] offset1:1
	ds_store_2addr_b64 v254, v[24:25], v[26:27] offset0:42 offset1:43
	ds_store_2addr_b64 v254, v[20:21], v[22:23] offset0:44 offset1:45
	ds_store_2addr_b64 v254, v[16:17], v[18:19] offset0:46 offset1:47
	ds_store_2addr_b64 v254, v[12:13], v[14:15] offset0:48 offset1:49
	ds_store_2addr_b64 v254, v[8:9], v[10:11] offset0:50 offset1:51
	ds_store_2addr_b64 v254, v[4:5], v[6:7] offset0:52 offset1:53
	ds_store_2addr_b64 v254, v[0:1], v[2:3] offset0:54 offset1:55
	ds_load_2addr_b64 v[192:195], v253 offset1:1
	s_waitcnt lgkmcnt(0)
	v_cmp_neq_f64_e32 vcc_lo, 0, v[192:193]
	v_cmp_neq_f64_e64 s3, 0, v[194:195]
	s_delay_alu instid0(VALU_DEP_1) | instskip(NEXT) | instid1(SALU_CYCLE_1)
	s_or_b32 s3, vcc_lo, s3
	s_and_b32 exec_lo, exec_lo, s3
	s_cbranch_execz .LBB55_188
; %bb.183:
	v_cmp_gt_f64_e32 vcc_lo, 0, v[192:193]
	v_xor_b32_e32 v112, 0x80000000, v193
	v_xor_b32_e32 v114, 0x80000000, v195
	s_delay_alu instid0(VALU_DEP_2) | instskip(SKIP_2) | instid1(VALU_DEP_4)
	v_cndmask_b32_e32 v113, v193, v112, vcc_lo
	v_cndmask_b32_e32 v112, v192, v192, vcc_lo
	v_cmp_gt_f64_e32 vcc_lo, 0, v[194:195]
	v_cndmask_b32_e32 v115, v195, v114, vcc_lo
	v_cndmask_b32_e32 v114, v194, v194, vcc_lo
	s_delay_alu instid0(VALU_DEP_1) | instskip(SKIP_1) | instid1(SALU_CYCLE_1)
	v_cmp_ngt_f64_e32 vcc_lo, v[112:113], v[114:115]
                                        ; implicit-def: $vgpr112_vgpr113
	s_and_saveexec_b32 s3, vcc_lo
	s_xor_b32 s3, exec_lo, s3
                                        ; implicit-def: $vgpr196_vgpr197_vgpr198_vgpr199
	s_cbranch_execz .LBB55_185
; %bb.184:
	v_div_scale_f64 v[112:113], null, v[194:195], v[194:195], v[192:193]
	v_div_scale_f64 v[198:199], vcc_lo, v[192:193], v[194:195], v[192:193]
	s_delay_alu instid0(VALU_DEP_2) | instskip(SKIP_2) | instid1(VALU_DEP_1)
	v_rcp_f64_e32 v[114:115], v[112:113]
	s_waitcnt_depctr 0xfff
	v_fma_f64 v[196:197], -v[112:113], v[114:115], 1.0
	v_fma_f64 v[114:115], v[114:115], v[196:197], v[114:115]
	s_delay_alu instid0(VALU_DEP_1) | instskip(NEXT) | instid1(VALU_DEP_1)
	v_fma_f64 v[196:197], -v[112:113], v[114:115], 1.0
	v_fma_f64 v[114:115], v[114:115], v[196:197], v[114:115]
	s_delay_alu instid0(VALU_DEP_1) | instskip(NEXT) | instid1(VALU_DEP_1)
	v_mul_f64 v[196:197], v[198:199], v[114:115]
	v_fma_f64 v[112:113], -v[112:113], v[196:197], v[198:199]
	s_delay_alu instid0(VALU_DEP_1) | instskip(NEXT) | instid1(VALU_DEP_1)
	v_div_fmas_f64 v[112:113], v[112:113], v[114:115], v[196:197]
	v_div_fixup_f64 v[112:113], v[112:113], v[194:195], v[192:193]
	s_delay_alu instid0(VALU_DEP_1) | instskip(NEXT) | instid1(VALU_DEP_1)
	v_fma_f64 v[114:115], v[192:193], v[112:113], v[194:195]
	v_div_scale_f64 v[192:193], null, v[114:115], v[114:115], 1.0
	s_delay_alu instid0(VALU_DEP_1) | instskip(SKIP_2) | instid1(VALU_DEP_1)
	v_rcp_f64_e32 v[194:195], v[192:193]
	s_waitcnt_depctr 0xfff
	v_fma_f64 v[196:197], -v[192:193], v[194:195], 1.0
	v_fma_f64 v[194:195], v[194:195], v[196:197], v[194:195]
	s_delay_alu instid0(VALU_DEP_1) | instskip(NEXT) | instid1(VALU_DEP_1)
	v_fma_f64 v[196:197], -v[192:193], v[194:195], 1.0
	v_fma_f64 v[194:195], v[194:195], v[196:197], v[194:195]
	v_div_scale_f64 v[196:197], vcc_lo, 1.0, v[114:115], 1.0
	s_delay_alu instid0(VALU_DEP_1) | instskip(NEXT) | instid1(VALU_DEP_1)
	v_mul_f64 v[198:199], v[196:197], v[194:195]
	v_fma_f64 v[192:193], -v[192:193], v[198:199], v[196:197]
	s_delay_alu instid0(VALU_DEP_1) | instskip(NEXT) | instid1(VALU_DEP_1)
	v_div_fmas_f64 v[192:193], v[192:193], v[194:195], v[198:199]
	v_div_fixup_f64 v[198:199], v[192:193], v[114:115], 1.0
                                        ; implicit-def: $vgpr192_vgpr193
	s_delay_alu instid0(VALU_DEP_1)
	v_mul_f64 v[112:113], v[112:113], v[198:199]
	v_xor_b32_e32 v199, 0x80000000, v199
.LBB55_185:
	s_and_not1_saveexec_b32 s3, s3
	s_cbranch_execz .LBB55_187
; %bb.186:
	v_div_scale_f64 v[112:113], null, v[192:193], v[192:193], v[194:195]
	v_div_scale_f64 v[198:199], vcc_lo, v[194:195], v[192:193], v[194:195]
	s_delay_alu instid0(VALU_DEP_2) | instskip(SKIP_2) | instid1(VALU_DEP_1)
	v_rcp_f64_e32 v[114:115], v[112:113]
	s_waitcnt_depctr 0xfff
	v_fma_f64 v[196:197], -v[112:113], v[114:115], 1.0
	v_fma_f64 v[114:115], v[114:115], v[196:197], v[114:115]
	s_delay_alu instid0(VALU_DEP_1) | instskip(NEXT) | instid1(VALU_DEP_1)
	v_fma_f64 v[196:197], -v[112:113], v[114:115], 1.0
	v_fma_f64 v[114:115], v[114:115], v[196:197], v[114:115]
	s_delay_alu instid0(VALU_DEP_1) | instskip(NEXT) | instid1(VALU_DEP_1)
	v_mul_f64 v[196:197], v[198:199], v[114:115]
	v_fma_f64 v[112:113], -v[112:113], v[196:197], v[198:199]
	s_delay_alu instid0(VALU_DEP_1) | instskip(NEXT) | instid1(VALU_DEP_1)
	v_div_fmas_f64 v[112:113], v[112:113], v[114:115], v[196:197]
	v_div_fixup_f64 v[114:115], v[112:113], v[192:193], v[194:195]
	s_delay_alu instid0(VALU_DEP_1) | instskip(NEXT) | instid1(VALU_DEP_1)
	v_fma_f64 v[112:113], v[194:195], v[114:115], v[192:193]
	v_div_scale_f64 v[192:193], null, v[112:113], v[112:113], 1.0
	s_delay_alu instid0(VALU_DEP_1) | instskip(SKIP_2) | instid1(VALU_DEP_1)
	v_rcp_f64_e32 v[194:195], v[192:193]
	s_waitcnt_depctr 0xfff
	v_fma_f64 v[196:197], -v[192:193], v[194:195], 1.0
	v_fma_f64 v[194:195], v[194:195], v[196:197], v[194:195]
	s_delay_alu instid0(VALU_DEP_1) | instskip(NEXT) | instid1(VALU_DEP_1)
	v_fma_f64 v[196:197], -v[192:193], v[194:195], 1.0
	v_fma_f64 v[194:195], v[194:195], v[196:197], v[194:195]
	v_div_scale_f64 v[196:197], vcc_lo, 1.0, v[112:113], 1.0
	s_delay_alu instid0(VALU_DEP_1) | instskip(NEXT) | instid1(VALU_DEP_1)
	v_mul_f64 v[198:199], v[196:197], v[194:195]
	v_fma_f64 v[192:193], -v[192:193], v[198:199], v[196:197]
	s_delay_alu instid0(VALU_DEP_1) | instskip(NEXT) | instid1(VALU_DEP_1)
	v_div_fmas_f64 v[192:193], v[192:193], v[194:195], v[198:199]
	v_div_fixup_f64 v[112:113], v[192:193], v[112:113], 1.0
	s_delay_alu instid0(VALU_DEP_1)
	v_mul_f64 v[198:199], v[114:115], -v[112:113]
.LBB55_187:
	s_or_b32 exec_lo, exec_lo, s3
	ds_store_2addr_b64 v253, v[112:113], v[198:199] offset1:1
.LBB55_188:
	s_or_b32 exec_lo, exec_lo, s4
	s_waitcnt lgkmcnt(0)
	s_barrier
	buffer_gl0_inv
	ds_load_2addr_b64 v[192:195], v253 offset1:1
	s_mov_b32 s3, exec_lo
	v_cmpx_lt_u32_e32 20, v252
	s_cbranch_execz .LBB55_190
; %bb.189:
	s_waitcnt lgkmcnt(0)
	v_mul_f64 v[112:113], v[192:193], v[30:31]
	v_mul_f64 v[30:31], v[194:195], v[30:31]
	s_delay_alu instid0(VALU_DEP_2) | instskip(SKIP_4) | instid1(VALU_DEP_1)
	v_fma_f64 v[196:197], v[194:195], v[28:29], v[112:113]
	ds_load_2addr_b64 v[112:115], v254 offset0:42 offset1:43
	v_fma_f64 v[28:29], v[192:193], v[28:29], -v[30:31]
	s_waitcnt lgkmcnt(0)
	v_mul_f64 v[30:31], v[114:115], v[196:197]
	v_fma_f64 v[30:31], v[112:113], v[28:29], -v[30:31]
	v_mul_f64 v[112:113], v[112:113], v[196:197]
	s_delay_alu instid0(VALU_DEP_2) | instskip(NEXT) | instid1(VALU_DEP_2)
	v_add_f64 v[24:25], v[24:25], -v[30:31]
	v_fma_f64 v[112:113], v[114:115], v[28:29], v[112:113]
	s_delay_alu instid0(VALU_DEP_1) | instskip(SKIP_3) | instid1(VALU_DEP_1)
	v_add_f64 v[26:27], v[26:27], -v[112:113]
	ds_load_2addr_b64 v[112:115], v254 offset0:44 offset1:45
	s_waitcnt lgkmcnt(0)
	v_mul_f64 v[30:31], v[114:115], v[196:197]
	v_fma_f64 v[30:31], v[112:113], v[28:29], -v[30:31]
	v_mul_f64 v[112:113], v[112:113], v[196:197]
	s_delay_alu instid0(VALU_DEP_2) | instskip(NEXT) | instid1(VALU_DEP_2)
	v_add_f64 v[20:21], v[20:21], -v[30:31]
	v_fma_f64 v[112:113], v[114:115], v[28:29], v[112:113]
	s_delay_alu instid0(VALU_DEP_1) | instskip(SKIP_3) | instid1(VALU_DEP_1)
	v_add_f64 v[22:23], v[22:23], -v[112:113]
	ds_load_2addr_b64 v[112:115], v254 offset0:46 offset1:47
	;; [unrolled: 10-line block ×6, first 2 shown]
	s_waitcnt lgkmcnt(0)
	v_mul_f64 v[30:31], v[114:115], v[196:197]
	v_fma_f64 v[30:31], v[112:113], v[28:29], -v[30:31]
	v_mul_f64 v[112:113], v[112:113], v[196:197]
	s_delay_alu instid0(VALU_DEP_2) | instskip(NEXT) | instid1(VALU_DEP_2)
	v_add_f64 v[0:1], v[0:1], -v[30:31]
	v_fma_f64 v[112:113], v[114:115], v[28:29], v[112:113]
	v_dual_mov_b32 v30, v196 :: v_dual_mov_b32 v31, v197
	s_delay_alu instid0(VALU_DEP_2)
	v_add_f64 v[2:3], v[2:3], -v[112:113]
.LBB55_190:
	s_or_b32 exec_lo, exec_lo, s3
	s_delay_alu instid0(SALU_CYCLE_1)
	s_mov_b32 s4, exec_lo
	s_waitcnt lgkmcnt(0)
	s_barrier
	buffer_gl0_inv
	v_cmpx_eq_u32_e32 21, v252
	s_cbranch_execz .LBB55_197
; %bb.191:
	ds_store_2addr_b64 v253, v[24:25], v[26:27] offset1:1
	ds_store_2addr_b64 v254, v[20:21], v[22:23] offset0:44 offset1:45
	ds_store_2addr_b64 v254, v[16:17], v[18:19] offset0:46 offset1:47
	ds_store_2addr_b64 v254, v[12:13], v[14:15] offset0:48 offset1:49
	ds_store_2addr_b64 v254, v[8:9], v[10:11] offset0:50 offset1:51
	ds_store_2addr_b64 v254, v[4:5], v[6:7] offset0:52 offset1:53
	ds_store_2addr_b64 v254, v[0:1], v[2:3] offset0:54 offset1:55
	ds_load_2addr_b64 v[196:199], v253 offset1:1
	s_waitcnt lgkmcnt(0)
	v_cmp_neq_f64_e32 vcc_lo, 0, v[196:197]
	v_cmp_neq_f64_e64 s3, 0, v[198:199]
	s_delay_alu instid0(VALU_DEP_1) | instskip(NEXT) | instid1(SALU_CYCLE_1)
	s_or_b32 s3, vcc_lo, s3
	s_and_b32 exec_lo, exec_lo, s3
	s_cbranch_execz .LBB55_197
; %bb.192:
	v_cmp_gt_f64_e32 vcc_lo, 0, v[196:197]
	v_xor_b32_e32 v112, 0x80000000, v197
	v_xor_b32_e32 v114, 0x80000000, v199
	s_delay_alu instid0(VALU_DEP_2) | instskip(SKIP_2) | instid1(VALU_DEP_4)
	v_cndmask_b32_e32 v113, v197, v112, vcc_lo
	v_cndmask_b32_e32 v112, v196, v196, vcc_lo
	v_cmp_gt_f64_e32 vcc_lo, 0, v[198:199]
	v_cndmask_b32_e32 v115, v199, v114, vcc_lo
	v_cndmask_b32_e32 v114, v198, v198, vcc_lo
	s_delay_alu instid0(VALU_DEP_1) | instskip(SKIP_1) | instid1(SALU_CYCLE_1)
	v_cmp_ngt_f64_e32 vcc_lo, v[112:113], v[114:115]
                                        ; implicit-def: $vgpr112_vgpr113
	s_and_saveexec_b32 s3, vcc_lo
	s_xor_b32 s3, exec_lo, s3
                                        ; implicit-def: $vgpr200_vgpr201_vgpr202_vgpr203
	s_cbranch_execz .LBB55_194
; %bb.193:
	v_div_scale_f64 v[112:113], null, v[198:199], v[198:199], v[196:197]
	v_div_scale_f64 v[202:203], vcc_lo, v[196:197], v[198:199], v[196:197]
	s_delay_alu instid0(VALU_DEP_2) | instskip(SKIP_2) | instid1(VALU_DEP_1)
	v_rcp_f64_e32 v[114:115], v[112:113]
	s_waitcnt_depctr 0xfff
	v_fma_f64 v[200:201], -v[112:113], v[114:115], 1.0
	v_fma_f64 v[114:115], v[114:115], v[200:201], v[114:115]
	s_delay_alu instid0(VALU_DEP_1) | instskip(NEXT) | instid1(VALU_DEP_1)
	v_fma_f64 v[200:201], -v[112:113], v[114:115], 1.0
	v_fma_f64 v[114:115], v[114:115], v[200:201], v[114:115]
	s_delay_alu instid0(VALU_DEP_1) | instskip(NEXT) | instid1(VALU_DEP_1)
	v_mul_f64 v[200:201], v[202:203], v[114:115]
	v_fma_f64 v[112:113], -v[112:113], v[200:201], v[202:203]
	s_delay_alu instid0(VALU_DEP_1) | instskip(NEXT) | instid1(VALU_DEP_1)
	v_div_fmas_f64 v[112:113], v[112:113], v[114:115], v[200:201]
	v_div_fixup_f64 v[112:113], v[112:113], v[198:199], v[196:197]
	s_delay_alu instid0(VALU_DEP_1) | instskip(NEXT) | instid1(VALU_DEP_1)
	v_fma_f64 v[114:115], v[196:197], v[112:113], v[198:199]
	v_div_scale_f64 v[196:197], null, v[114:115], v[114:115], 1.0
	s_delay_alu instid0(VALU_DEP_1) | instskip(SKIP_2) | instid1(VALU_DEP_1)
	v_rcp_f64_e32 v[198:199], v[196:197]
	s_waitcnt_depctr 0xfff
	v_fma_f64 v[200:201], -v[196:197], v[198:199], 1.0
	v_fma_f64 v[198:199], v[198:199], v[200:201], v[198:199]
	s_delay_alu instid0(VALU_DEP_1) | instskip(NEXT) | instid1(VALU_DEP_1)
	v_fma_f64 v[200:201], -v[196:197], v[198:199], 1.0
	v_fma_f64 v[198:199], v[198:199], v[200:201], v[198:199]
	v_div_scale_f64 v[200:201], vcc_lo, 1.0, v[114:115], 1.0
	s_delay_alu instid0(VALU_DEP_1) | instskip(NEXT) | instid1(VALU_DEP_1)
	v_mul_f64 v[202:203], v[200:201], v[198:199]
	v_fma_f64 v[196:197], -v[196:197], v[202:203], v[200:201]
	s_delay_alu instid0(VALU_DEP_1) | instskip(NEXT) | instid1(VALU_DEP_1)
	v_div_fmas_f64 v[196:197], v[196:197], v[198:199], v[202:203]
	v_div_fixup_f64 v[202:203], v[196:197], v[114:115], 1.0
                                        ; implicit-def: $vgpr196_vgpr197
	s_delay_alu instid0(VALU_DEP_1)
	v_mul_f64 v[112:113], v[112:113], v[202:203]
	v_xor_b32_e32 v203, 0x80000000, v203
.LBB55_194:
	s_and_not1_saveexec_b32 s3, s3
	s_cbranch_execz .LBB55_196
; %bb.195:
	v_div_scale_f64 v[112:113], null, v[196:197], v[196:197], v[198:199]
	v_div_scale_f64 v[202:203], vcc_lo, v[198:199], v[196:197], v[198:199]
	s_delay_alu instid0(VALU_DEP_2) | instskip(SKIP_2) | instid1(VALU_DEP_1)
	v_rcp_f64_e32 v[114:115], v[112:113]
	s_waitcnt_depctr 0xfff
	v_fma_f64 v[200:201], -v[112:113], v[114:115], 1.0
	v_fma_f64 v[114:115], v[114:115], v[200:201], v[114:115]
	s_delay_alu instid0(VALU_DEP_1) | instskip(NEXT) | instid1(VALU_DEP_1)
	v_fma_f64 v[200:201], -v[112:113], v[114:115], 1.0
	v_fma_f64 v[114:115], v[114:115], v[200:201], v[114:115]
	s_delay_alu instid0(VALU_DEP_1) | instskip(NEXT) | instid1(VALU_DEP_1)
	v_mul_f64 v[200:201], v[202:203], v[114:115]
	v_fma_f64 v[112:113], -v[112:113], v[200:201], v[202:203]
	s_delay_alu instid0(VALU_DEP_1) | instskip(NEXT) | instid1(VALU_DEP_1)
	v_div_fmas_f64 v[112:113], v[112:113], v[114:115], v[200:201]
	v_div_fixup_f64 v[114:115], v[112:113], v[196:197], v[198:199]
	s_delay_alu instid0(VALU_DEP_1) | instskip(NEXT) | instid1(VALU_DEP_1)
	v_fma_f64 v[112:113], v[198:199], v[114:115], v[196:197]
	v_div_scale_f64 v[196:197], null, v[112:113], v[112:113], 1.0
	s_delay_alu instid0(VALU_DEP_1) | instskip(SKIP_2) | instid1(VALU_DEP_1)
	v_rcp_f64_e32 v[198:199], v[196:197]
	s_waitcnt_depctr 0xfff
	v_fma_f64 v[200:201], -v[196:197], v[198:199], 1.0
	v_fma_f64 v[198:199], v[198:199], v[200:201], v[198:199]
	s_delay_alu instid0(VALU_DEP_1) | instskip(NEXT) | instid1(VALU_DEP_1)
	v_fma_f64 v[200:201], -v[196:197], v[198:199], 1.0
	v_fma_f64 v[198:199], v[198:199], v[200:201], v[198:199]
	v_div_scale_f64 v[200:201], vcc_lo, 1.0, v[112:113], 1.0
	s_delay_alu instid0(VALU_DEP_1) | instskip(NEXT) | instid1(VALU_DEP_1)
	v_mul_f64 v[202:203], v[200:201], v[198:199]
	v_fma_f64 v[196:197], -v[196:197], v[202:203], v[200:201]
	s_delay_alu instid0(VALU_DEP_1) | instskip(NEXT) | instid1(VALU_DEP_1)
	v_div_fmas_f64 v[196:197], v[196:197], v[198:199], v[202:203]
	v_div_fixup_f64 v[112:113], v[196:197], v[112:113], 1.0
	s_delay_alu instid0(VALU_DEP_1)
	v_mul_f64 v[202:203], v[114:115], -v[112:113]
.LBB55_196:
	s_or_b32 exec_lo, exec_lo, s3
	ds_store_2addr_b64 v253, v[112:113], v[202:203] offset1:1
.LBB55_197:
	s_or_b32 exec_lo, exec_lo, s4
	s_waitcnt lgkmcnt(0)
	s_barrier
	buffer_gl0_inv
	ds_load_2addr_b64 v[196:199], v253 offset1:1
	s_mov_b32 s3, exec_lo
	v_cmpx_lt_u32_e32 21, v252
	s_cbranch_execz .LBB55_199
; %bb.198:
	s_waitcnt lgkmcnt(0)
	v_mul_f64 v[112:113], v[196:197], v[26:27]
	v_mul_f64 v[26:27], v[198:199], v[26:27]
	s_delay_alu instid0(VALU_DEP_2) | instskip(SKIP_4) | instid1(VALU_DEP_1)
	v_fma_f64 v[200:201], v[198:199], v[24:25], v[112:113]
	ds_load_2addr_b64 v[112:115], v254 offset0:44 offset1:45
	v_fma_f64 v[24:25], v[196:197], v[24:25], -v[26:27]
	s_waitcnt lgkmcnt(0)
	v_mul_f64 v[26:27], v[114:115], v[200:201]
	v_fma_f64 v[26:27], v[112:113], v[24:25], -v[26:27]
	v_mul_f64 v[112:113], v[112:113], v[200:201]
	s_delay_alu instid0(VALU_DEP_2) | instskip(NEXT) | instid1(VALU_DEP_2)
	v_add_f64 v[20:21], v[20:21], -v[26:27]
	v_fma_f64 v[112:113], v[114:115], v[24:25], v[112:113]
	s_delay_alu instid0(VALU_DEP_1) | instskip(SKIP_3) | instid1(VALU_DEP_1)
	v_add_f64 v[22:23], v[22:23], -v[112:113]
	ds_load_2addr_b64 v[112:115], v254 offset0:46 offset1:47
	s_waitcnt lgkmcnt(0)
	v_mul_f64 v[26:27], v[114:115], v[200:201]
	v_fma_f64 v[26:27], v[112:113], v[24:25], -v[26:27]
	v_mul_f64 v[112:113], v[112:113], v[200:201]
	s_delay_alu instid0(VALU_DEP_2) | instskip(NEXT) | instid1(VALU_DEP_2)
	v_add_f64 v[16:17], v[16:17], -v[26:27]
	v_fma_f64 v[112:113], v[114:115], v[24:25], v[112:113]
	s_delay_alu instid0(VALU_DEP_1) | instskip(SKIP_3) | instid1(VALU_DEP_1)
	v_add_f64 v[18:19], v[18:19], -v[112:113]
	ds_load_2addr_b64 v[112:115], v254 offset0:48 offset1:49
	;; [unrolled: 10-line block ×5, first 2 shown]
	s_waitcnt lgkmcnt(0)
	v_mul_f64 v[26:27], v[114:115], v[200:201]
	v_fma_f64 v[26:27], v[112:113], v[24:25], -v[26:27]
	v_mul_f64 v[112:113], v[112:113], v[200:201]
	s_delay_alu instid0(VALU_DEP_2) | instskip(NEXT) | instid1(VALU_DEP_2)
	v_add_f64 v[0:1], v[0:1], -v[26:27]
	v_fma_f64 v[112:113], v[114:115], v[24:25], v[112:113]
	v_dual_mov_b32 v26, v200 :: v_dual_mov_b32 v27, v201
	s_delay_alu instid0(VALU_DEP_2)
	v_add_f64 v[2:3], v[2:3], -v[112:113]
.LBB55_199:
	s_or_b32 exec_lo, exec_lo, s3
	s_delay_alu instid0(SALU_CYCLE_1)
	s_mov_b32 s4, exec_lo
	s_waitcnt lgkmcnt(0)
	s_barrier
	buffer_gl0_inv
	v_cmpx_eq_u32_e32 22, v252
	s_cbranch_execz .LBB55_206
; %bb.200:
	ds_store_2addr_b64 v253, v[20:21], v[22:23] offset1:1
	ds_store_2addr_b64 v254, v[16:17], v[18:19] offset0:46 offset1:47
	ds_store_2addr_b64 v254, v[12:13], v[14:15] offset0:48 offset1:49
	;; [unrolled: 1-line block ×5, first 2 shown]
	ds_load_2addr_b64 v[200:203], v253 offset1:1
	s_waitcnt lgkmcnt(0)
	v_cmp_neq_f64_e32 vcc_lo, 0, v[200:201]
	v_cmp_neq_f64_e64 s3, 0, v[202:203]
	s_delay_alu instid0(VALU_DEP_1) | instskip(NEXT) | instid1(SALU_CYCLE_1)
	s_or_b32 s3, vcc_lo, s3
	s_and_b32 exec_lo, exec_lo, s3
	s_cbranch_execz .LBB55_206
; %bb.201:
	v_cmp_gt_f64_e32 vcc_lo, 0, v[200:201]
	v_xor_b32_e32 v112, 0x80000000, v201
	v_xor_b32_e32 v114, 0x80000000, v203
	s_delay_alu instid0(VALU_DEP_2) | instskip(SKIP_2) | instid1(VALU_DEP_4)
	v_cndmask_b32_e32 v113, v201, v112, vcc_lo
	v_cndmask_b32_e32 v112, v200, v200, vcc_lo
	v_cmp_gt_f64_e32 vcc_lo, 0, v[202:203]
	v_cndmask_b32_e32 v115, v203, v114, vcc_lo
	v_cndmask_b32_e32 v114, v202, v202, vcc_lo
	s_delay_alu instid0(VALU_DEP_1) | instskip(SKIP_1) | instid1(SALU_CYCLE_1)
	v_cmp_ngt_f64_e32 vcc_lo, v[112:113], v[114:115]
                                        ; implicit-def: $vgpr112_vgpr113
	s_and_saveexec_b32 s3, vcc_lo
	s_xor_b32 s3, exec_lo, s3
                                        ; implicit-def: $vgpr204_vgpr205_vgpr206_vgpr207
	s_cbranch_execz .LBB55_203
; %bb.202:
	v_div_scale_f64 v[112:113], null, v[202:203], v[202:203], v[200:201]
	v_div_scale_f64 v[206:207], vcc_lo, v[200:201], v[202:203], v[200:201]
	s_delay_alu instid0(VALU_DEP_2) | instskip(SKIP_2) | instid1(VALU_DEP_1)
	v_rcp_f64_e32 v[114:115], v[112:113]
	s_waitcnt_depctr 0xfff
	v_fma_f64 v[204:205], -v[112:113], v[114:115], 1.0
	v_fma_f64 v[114:115], v[114:115], v[204:205], v[114:115]
	s_delay_alu instid0(VALU_DEP_1) | instskip(NEXT) | instid1(VALU_DEP_1)
	v_fma_f64 v[204:205], -v[112:113], v[114:115], 1.0
	v_fma_f64 v[114:115], v[114:115], v[204:205], v[114:115]
	s_delay_alu instid0(VALU_DEP_1) | instskip(NEXT) | instid1(VALU_DEP_1)
	v_mul_f64 v[204:205], v[206:207], v[114:115]
	v_fma_f64 v[112:113], -v[112:113], v[204:205], v[206:207]
	s_delay_alu instid0(VALU_DEP_1) | instskip(NEXT) | instid1(VALU_DEP_1)
	v_div_fmas_f64 v[112:113], v[112:113], v[114:115], v[204:205]
	v_div_fixup_f64 v[112:113], v[112:113], v[202:203], v[200:201]
	s_delay_alu instid0(VALU_DEP_1) | instskip(NEXT) | instid1(VALU_DEP_1)
	v_fma_f64 v[114:115], v[200:201], v[112:113], v[202:203]
	v_div_scale_f64 v[200:201], null, v[114:115], v[114:115], 1.0
	s_delay_alu instid0(VALU_DEP_1) | instskip(SKIP_2) | instid1(VALU_DEP_1)
	v_rcp_f64_e32 v[202:203], v[200:201]
	s_waitcnt_depctr 0xfff
	v_fma_f64 v[204:205], -v[200:201], v[202:203], 1.0
	v_fma_f64 v[202:203], v[202:203], v[204:205], v[202:203]
	s_delay_alu instid0(VALU_DEP_1) | instskip(NEXT) | instid1(VALU_DEP_1)
	v_fma_f64 v[204:205], -v[200:201], v[202:203], 1.0
	v_fma_f64 v[202:203], v[202:203], v[204:205], v[202:203]
	v_div_scale_f64 v[204:205], vcc_lo, 1.0, v[114:115], 1.0
	s_delay_alu instid0(VALU_DEP_1) | instskip(NEXT) | instid1(VALU_DEP_1)
	v_mul_f64 v[206:207], v[204:205], v[202:203]
	v_fma_f64 v[200:201], -v[200:201], v[206:207], v[204:205]
	s_delay_alu instid0(VALU_DEP_1) | instskip(NEXT) | instid1(VALU_DEP_1)
	v_div_fmas_f64 v[200:201], v[200:201], v[202:203], v[206:207]
	v_div_fixup_f64 v[206:207], v[200:201], v[114:115], 1.0
                                        ; implicit-def: $vgpr200_vgpr201
	s_delay_alu instid0(VALU_DEP_1)
	v_mul_f64 v[112:113], v[112:113], v[206:207]
	v_xor_b32_e32 v207, 0x80000000, v207
.LBB55_203:
	s_and_not1_saveexec_b32 s3, s3
	s_cbranch_execz .LBB55_205
; %bb.204:
	v_div_scale_f64 v[112:113], null, v[200:201], v[200:201], v[202:203]
	v_div_scale_f64 v[206:207], vcc_lo, v[202:203], v[200:201], v[202:203]
	s_delay_alu instid0(VALU_DEP_2) | instskip(SKIP_2) | instid1(VALU_DEP_1)
	v_rcp_f64_e32 v[114:115], v[112:113]
	s_waitcnt_depctr 0xfff
	v_fma_f64 v[204:205], -v[112:113], v[114:115], 1.0
	v_fma_f64 v[114:115], v[114:115], v[204:205], v[114:115]
	s_delay_alu instid0(VALU_DEP_1) | instskip(NEXT) | instid1(VALU_DEP_1)
	v_fma_f64 v[204:205], -v[112:113], v[114:115], 1.0
	v_fma_f64 v[114:115], v[114:115], v[204:205], v[114:115]
	s_delay_alu instid0(VALU_DEP_1) | instskip(NEXT) | instid1(VALU_DEP_1)
	v_mul_f64 v[204:205], v[206:207], v[114:115]
	v_fma_f64 v[112:113], -v[112:113], v[204:205], v[206:207]
	s_delay_alu instid0(VALU_DEP_1) | instskip(NEXT) | instid1(VALU_DEP_1)
	v_div_fmas_f64 v[112:113], v[112:113], v[114:115], v[204:205]
	v_div_fixup_f64 v[114:115], v[112:113], v[200:201], v[202:203]
	s_delay_alu instid0(VALU_DEP_1) | instskip(NEXT) | instid1(VALU_DEP_1)
	v_fma_f64 v[112:113], v[202:203], v[114:115], v[200:201]
	v_div_scale_f64 v[200:201], null, v[112:113], v[112:113], 1.0
	s_delay_alu instid0(VALU_DEP_1) | instskip(SKIP_2) | instid1(VALU_DEP_1)
	v_rcp_f64_e32 v[202:203], v[200:201]
	s_waitcnt_depctr 0xfff
	v_fma_f64 v[204:205], -v[200:201], v[202:203], 1.0
	v_fma_f64 v[202:203], v[202:203], v[204:205], v[202:203]
	s_delay_alu instid0(VALU_DEP_1) | instskip(NEXT) | instid1(VALU_DEP_1)
	v_fma_f64 v[204:205], -v[200:201], v[202:203], 1.0
	v_fma_f64 v[202:203], v[202:203], v[204:205], v[202:203]
	v_div_scale_f64 v[204:205], vcc_lo, 1.0, v[112:113], 1.0
	s_delay_alu instid0(VALU_DEP_1) | instskip(NEXT) | instid1(VALU_DEP_1)
	v_mul_f64 v[206:207], v[204:205], v[202:203]
	v_fma_f64 v[200:201], -v[200:201], v[206:207], v[204:205]
	s_delay_alu instid0(VALU_DEP_1) | instskip(NEXT) | instid1(VALU_DEP_1)
	v_div_fmas_f64 v[200:201], v[200:201], v[202:203], v[206:207]
	v_div_fixup_f64 v[112:113], v[200:201], v[112:113], 1.0
	s_delay_alu instid0(VALU_DEP_1)
	v_mul_f64 v[206:207], v[114:115], -v[112:113]
.LBB55_205:
	s_or_b32 exec_lo, exec_lo, s3
	ds_store_2addr_b64 v253, v[112:113], v[206:207] offset1:1
.LBB55_206:
	s_or_b32 exec_lo, exec_lo, s4
	s_waitcnt lgkmcnt(0)
	s_barrier
	buffer_gl0_inv
	ds_load_2addr_b64 v[200:203], v253 offset1:1
	s_mov_b32 s3, exec_lo
	v_cmpx_lt_u32_e32 22, v252
	s_cbranch_execz .LBB55_208
; %bb.207:
	s_waitcnt lgkmcnt(0)
	v_mul_f64 v[112:113], v[200:201], v[22:23]
	v_mul_f64 v[22:23], v[202:203], v[22:23]
	s_delay_alu instid0(VALU_DEP_2) | instskip(SKIP_4) | instid1(VALU_DEP_1)
	v_fma_f64 v[204:205], v[202:203], v[20:21], v[112:113]
	ds_load_2addr_b64 v[112:115], v254 offset0:46 offset1:47
	v_fma_f64 v[20:21], v[200:201], v[20:21], -v[22:23]
	s_waitcnt lgkmcnt(0)
	v_mul_f64 v[22:23], v[114:115], v[204:205]
	v_fma_f64 v[22:23], v[112:113], v[20:21], -v[22:23]
	v_mul_f64 v[112:113], v[112:113], v[204:205]
	s_delay_alu instid0(VALU_DEP_2) | instskip(NEXT) | instid1(VALU_DEP_2)
	v_add_f64 v[16:17], v[16:17], -v[22:23]
	v_fma_f64 v[112:113], v[114:115], v[20:21], v[112:113]
	s_delay_alu instid0(VALU_DEP_1) | instskip(SKIP_3) | instid1(VALU_DEP_1)
	v_add_f64 v[18:19], v[18:19], -v[112:113]
	ds_load_2addr_b64 v[112:115], v254 offset0:48 offset1:49
	s_waitcnt lgkmcnt(0)
	v_mul_f64 v[22:23], v[114:115], v[204:205]
	v_fma_f64 v[22:23], v[112:113], v[20:21], -v[22:23]
	v_mul_f64 v[112:113], v[112:113], v[204:205]
	s_delay_alu instid0(VALU_DEP_2) | instskip(NEXT) | instid1(VALU_DEP_2)
	v_add_f64 v[12:13], v[12:13], -v[22:23]
	v_fma_f64 v[112:113], v[114:115], v[20:21], v[112:113]
	s_delay_alu instid0(VALU_DEP_1) | instskip(SKIP_3) | instid1(VALU_DEP_1)
	v_add_f64 v[14:15], v[14:15], -v[112:113]
	ds_load_2addr_b64 v[112:115], v254 offset0:50 offset1:51
	;; [unrolled: 10-line block ×4, first 2 shown]
	s_waitcnt lgkmcnt(0)
	v_mul_f64 v[22:23], v[114:115], v[204:205]
	v_fma_f64 v[22:23], v[112:113], v[20:21], -v[22:23]
	v_mul_f64 v[112:113], v[112:113], v[204:205]
	s_delay_alu instid0(VALU_DEP_2) | instskip(NEXT) | instid1(VALU_DEP_2)
	v_add_f64 v[0:1], v[0:1], -v[22:23]
	v_fma_f64 v[112:113], v[114:115], v[20:21], v[112:113]
	v_dual_mov_b32 v22, v204 :: v_dual_mov_b32 v23, v205
	s_delay_alu instid0(VALU_DEP_2)
	v_add_f64 v[2:3], v[2:3], -v[112:113]
.LBB55_208:
	s_or_b32 exec_lo, exec_lo, s3
	s_delay_alu instid0(SALU_CYCLE_1)
	s_mov_b32 s4, exec_lo
	s_waitcnt lgkmcnt(0)
	s_barrier
	buffer_gl0_inv
	v_cmpx_eq_u32_e32 23, v252
	s_cbranch_execz .LBB55_215
; %bb.209:
	ds_store_2addr_b64 v253, v[16:17], v[18:19] offset1:1
	ds_store_2addr_b64 v254, v[12:13], v[14:15] offset0:48 offset1:49
	ds_store_2addr_b64 v254, v[8:9], v[10:11] offset0:50 offset1:51
	;; [unrolled: 1-line block ×4, first 2 shown]
	ds_load_2addr_b64 v[204:207], v253 offset1:1
	s_waitcnt lgkmcnt(0)
	v_cmp_neq_f64_e32 vcc_lo, 0, v[204:205]
	v_cmp_neq_f64_e64 s3, 0, v[206:207]
	s_delay_alu instid0(VALU_DEP_1) | instskip(NEXT) | instid1(SALU_CYCLE_1)
	s_or_b32 s3, vcc_lo, s3
	s_and_b32 exec_lo, exec_lo, s3
	s_cbranch_execz .LBB55_215
; %bb.210:
	v_cmp_gt_f64_e32 vcc_lo, 0, v[204:205]
	v_xor_b32_e32 v112, 0x80000000, v205
	v_xor_b32_e32 v114, 0x80000000, v207
	s_delay_alu instid0(VALU_DEP_2) | instskip(SKIP_2) | instid1(VALU_DEP_4)
	v_cndmask_b32_e32 v113, v205, v112, vcc_lo
	v_cndmask_b32_e32 v112, v204, v204, vcc_lo
	v_cmp_gt_f64_e32 vcc_lo, 0, v[206:207]
	v_cndmask_b32_e32 v115, v207, v114, vcc_lo
	v_cndmask_b32_e32 v114, v206, v206, vcc_lo
	s_delay_alu instid0(VALU_DEP_1) | instskip(SKIP_1) | instid1(SALU_CYCLE_1)
	v_cmp_ngt_f64_e32 vcc_lo, v[112:113], v[114:115]
                                        ; implicit-def: $vgpr112_vgpr113
	s_and_saveexec_b32 s3, vcc_lo
	s_xor_b32 s3, exec_lo, s3
                                        ; implicit-def: $vgpr208_vgpr209_vgpr210_vgpr211
	s_cbranch_execz .LBB55_212
; %bb.211:
	v_div_scale_f64 v[112:113], null, v[206:207], v[206:207], v[204:205]
	v_div_scale_f64 v[210:211], vcc_lo, v[204:205], v[206:207], v[204:205]
	s_delay_alu instid0(VALU_DEP_2) | instskip(SKIP_2) | instid1(VALU_DEP_1)
	v_rcp_f64_e32 v[114:115], v[112:113]
	s_waitcnt_depctr 0xfff
	v_fma_f64 v[208:209], -v[112:113], v[114:115], 1.0
	v_fma_f64 v[114:115], v[114:115], v[208:209], v[114:115]
	s_delay_alu instid0(VALU_DEP_1) | instskip(NEXT) | instid1(VALU_DEP_1)
	v_fma_f64 v[208:209], -v[112:113], v[114:115], 1.0
	v_fma_f64 v[114:115], v[114:115], v[208:209], v[114:115]
	s_delay_alu instid0(VALU_DEP_1) | instskip(NEXT) | instid1(VALU_DEP_1)
	v_mul_f64 v[208:209], v[210:211], v[114:115]
	v_fma_f64 v[112:113], -v[112:113], v[208:209], v[210:211]
	s_delay_alu instid0(VALU_DEP_1) | instskip(NEXT) | instid1(VALU_DEP_1)
	v_div_fmas_f64 v[112:113], v[112:113], v[114:115], v[208:209]
	v_div_fixup_f64 v[112:113], v[112:113], v[206:207], v[204:205]
	s_delay_alu instid0(VALU_DEP_1) | instskip(NEXT) | instid1(VALU_DEP_1)
	v_fma_f64 v[114:115], v[204:205], v[112:113], v[206:207]
	v_div_scale_f64 v[204:205], null, v[114:115], v[114:115], 1.0
	s_delay_alu instid0(VALU_DEP_1) | instskip(SKIP_2) | instid1(VALU_DEP_1)
	v_rcp_f64_e32 v[206:207], v[204:205]
	s_waitcnt_depctr 0xfff
	v_fma_f64 v[208:209], -v[204:205], v[206:207], 1.0
	v_fma_f64 v[206:207], v[206:207], v[208:209], v[206:207]
	s_delay_alu instid0(VALU_DEP_1) | instskip(NEXT) | instid1(VALU_DEP_1)
	v_fma_f64 v[208:209], -v[204:205], v[206:207], 1.0
	v_fma_f64 v[206:207], v[206:207], v[208:209], v[206:207]
	v_div_scale_f64 v[208:209], vcc_lo, 1.0, v[114:115], 1.0
	s_delay_alu instid0(VALU_DEP_1) | instskip(NEXT) | instid1(VALU_DEP_1)
	v_mul_f64 v[210:211], v[208:209], v[206:207]
	v_fma_f64 v[204:205], -v[204:205], v[210:211], v[208:209]
	s_delay_alu instid0(VALU_DEP_1) | instskip(NEXT) | instid1(VALU_DEP_1)
	v_div_fmas_f64 v[204:205], v[204:205], v[206:207], v[210:211]
	v_div_fixup_f64 v[210:211], v[204:205], v[114:115], 1.0
                                        ; implicit-def: $vgpr204_vgpr205
	s_delay_alu instid0(VALU_DEP_1)
	v_mul_f64 v[112:113], v[112:113], v[210:211]
	v_xor_b32_e32 v211, 0x80000000, v211
.LBB55_212:
	s_and_not1_saveexec_b32 s3, s3
	s_cbranch_execz .LBB55_214
; %bb.213:
	v_div_scale_f64 v[112:113], null, v[204:205], v[204:205], v[206:207]
	v_div_scale_f64 v[210:211], vcc_lo, v[206:207], v[204:205], v[206:207]
	s_delay_alu instid0(VALU_DEP_2) | instskip(SKIP_2) | instid1(VALU_DEP_1)
	v_rcp_f64_e32 v[114:115], v[112:113]
	s_waitcnt_depctr 0xfff
	v_fma_f64 v[208:209], -v[112:113], v[114:115], 1.0
	v_fma_f64 v[114:115], v[114:115], v[208:209], v[114:115]
	s_delay_alu instid0(VALU_DEP_1) | instskip(NEXT) | instid1(VALU_DEP_1)
	v_fma_f64 v[208:209], -v[112:113], v[114:115], 1.0
	v_fma_f64 v[114:115], v[114:115], v[208:209], v[114:115]
	s_delay_alu instid0(VALU_DEP_1) | instskip(NEXT) | instid1(VALU_DEP_1)
	v_mul_f64 v[208:209], v[210:211], v[114:115]
	v_fma_f64 v[112:113], -v[112:113], v[208:209], v[210:211]
	s_delay_alu instid0(VALU_DEP_1) | instskip(NEXT) | instid1(VALU_DEP_1)
	v_div_fmas_f64 v[112:113], v[112:113], v[114:115], v[208:209]
	v_div_fixup_f64 v[114:115], v[112:113], v[204:205], v[206:207]
	s_delay_alu instid0(VALU_DEP_1) | instskip(NEXT) | instid1(VALU_DEP_1)
	v_fma_f64 v[112:113], v[206:207], v[114:115], v[204:205]
	v_div_scale_f64 v[204:205], null, v[112:113], v[112:113], 1.0
	s_delay_alu instid0(VALU_DEP_1) | instskip(SKIP_2) | instid1(VALU_DEP_1)
	v_rcp_f64_e32 v[206:207], v[204:205]
	s_waitcnt_depctr 0xfff
	v_fma_f64 v[208:209], -v[204:205], v[206:207], 1.0
	v_fma_f64 v[206:207], v[206:207], v[208:209], v[206:207]
	s_delay_alu instid0(VALU_DEP_1) | instskip(NEXT) | instid1(VALU_DEP_1)
	v_fma_f64 v[208:209], -v[204:205], v[206:207], 1.0
	v_fma_f64 v[206:207], v[206:207], v[208:209], v[206:207]
	v_div_scale_f64 v[208:209], vcc_lo, 1.0, v[112:113], 1.0
	s_delay_alu instid0(VALU_DEP_1) | instskip(NEXT) | instid1(VALU_DEP_1)
	v_mul_f64 v[210:211], v[208:209], v[206:207]
	v_fma_f64 v[204:205], -v[204:205], v[210:211], v[208:209]
	s_delay_alu instid0(VALU_DEP_1) | instskip(NEXT) | instid1(VALU_DEP_1)
	v_div_fmas_f64 v[204:205], v[204:205], v[206:207], v[210:211]
	v_div_fixup_f64 v[112:113], v[204:205], v[112:113], 1.0
	s_delay_alu instid0(VALU_DEP_1)
	v_mul_f64 v[210:211], v[114:115], -v[112:113]
.LBB55_214:
	s_or_b32 exec_lo, exec_lo, s3
	ds_store_2addr_b64 v253, v[112:113], v[210:211] offset1:1
.LBB55_215:
	s_or_b32 exec_lo, exec_lo, s4
	s_waitcnt lgkmcnt(0)
	s_barrier
	buffer_gl0_inv
	ds_load_2addr_b64 v[204:207], v253 offset1:1
	s_mov_b32 s3, exec_lo
	v_cmpx_lt_u32_e32 23, v252
	s_cbranch_execz .LBB55_217
; %bb.216:
	s_waitcnt lgkmcnt(0)
	v_mul_f64 v[112:113], v[204:205], v[18:19]
	v_mul_f64 v[18:19], v[206:207], v[18:19]
	s_delay_alu instid0(VALU_DEP_2) | instskip(SKIP_4) | instid1(VALU_DEP_1)
	v_fma_f64 v[208:209], v[206:207], v[16:17], v[112:113]
	ds_load_2addr_b64 v[112:115], v254 offset0:48 offset1:49
	v_fma_f64 v[16:17], v[204:205], v[16:17], -v[18:19]
	s_waitcnt lgkmcnt(0)
	v_mul_f64 v[18:19], v[114:115], v[208:209]
	v_fma_f64 v[18:19], v[112:113], v[16:17], -v[18:19]
	v_mul_f64 v[112:113], v[112:113], v[208:209]
	s_delay_alu instid0(VALU_DEP_2) | instskip(NEXT) | instid1(VALU_DEP_2)
	v_add_f64 v[12:13], v[12:13], -v[18:19]
	v_fma_f64 v[112:113], v[114:115], v[16:17], v[112:113]
	s_delay_alu instid0(VALU_DEP_1) | instskip(SKIP_3) | instid1(VALU_DEP_1)
	v_add_f64 v[14:15], v[14:15], -v[112:113]
	ds_load_2addr_b64 v[112:115], v254 offset0:50 offset1:51
	s_waitcnt lgkmcnt(0)
	v_mul_f64 v[18:19], v[114:115], v[208:209]
	v_fma_f64 v[18:19], v[112:113], v[16:17], -v[18:19]
	v_mul_f64 v[112:113], v[112:113], v[208:209]
	s_delay_alu instid0(VALU_DEP_2) | instskip(NEXT) | instid1(VALU_DEP_2)
	v_add_f64 v[8:9], v[8:9], -v[18:19]
	v_fma_f64 v[112:113], v[114:115], v[16:17], v[112:113]
	s_delay_alu instid0(VALU_DEP_1) | instskip(SKIP_3) | instid1(VALU_DEP_1)
	v_add_f64 v[10:11], v[10:11], -v[112:113]
	ds_load_2addr_b64 v[112:115], v254 offset0:52 offset1:53
	;; [unrolled: 10-line block ×3, first 2 shown]
	s_waitcnt lgkmcnt(0)
	v_mul_f64 v[18:19], v[114:115], v[208:209]
	v_fma_f64 v[18:19], v[112:113], v[16:17], -v[18:19]
	v_mul_f64 v[112:113], v[112:113], v[208:209]
	s_delay_alu instid0(VALU_DEP_2) | instskip(NEXT) | instid1(VALU_DEP_2)
	v_add_f64 v[0:1], v[0:1], -v[18:19]
	v_fma_f64 v[112:113], v[114:115], v[16:17], v[112:113]
	v_dual_mov_b32 v18, v208 :: v_dual_mov_b32 v19, v209
	s_delay_alu instid0(VALU_DEP_2)
	v_add_f64 v[2:3], v[2:3], -v[112:113]
.LBB55_217:
	s_or_b32 exec_lo, exec_lo, s3
	s_delay_alu instid0(SALU_CYCLE_1)
	s_mov_b32 s4, exec_lo
	s_waitcnt lgkmcnt(0)
	s_barrier
	buffer_gl0_inv
	v_cmpx_eq_u32_e32 24, v252
	s_cbranch_execz .LBB55_224
; %bb.218:
	ds_store_2addr_b64 v253, v[12:13], v[14:15] offset1:1
	ds_store_2addr_b64 v254, v[8:9], v[10:11] offset0:50 offset1:51
	ds_store_2addr_b64 v254, v[4:5], v[6:7] offset0:52 offset1:53
	;; [unrolled: 1-line block ×3, first 2 shown]
	ds_load_2addr_b64 v[208:211], v253 offset1:1
	s_waitcnt lgkmcnt(0)
	v_cmp_neq_f64_e32 vcc_lo, 0, v[208:209]
	v_cmp_neq_f64_e64 s3, 0, v[210:211]
	s_delay_alu instid0(VALU_DEP_1) | instskip(NEXT) | instid1(SALU_CYCLE_1)
	s_or_b32 s3, vcc_lo, s3
	s_and_b32 exec_lo, exec_lo, s3
	s_cbranch_execz .LBB55_224
; %bb.219:
	v_cmp_gt_f64_e32 vcc_lo, 0, v[208:209]
	v_xor_b32_e32 v112, 0x80000000, v209
	v_xor_b32_e32 v114, 0x80000000, v211
	s_delay_alu instid0(VALU_DEP_2) | instskip(SKIP_2) | instid1(VALU_DEP_4)
	v_cndmask_b32_e32 v113, v209, v112, vcc_lo
	v_cndmask_b32_e32 v112, v208, v208, vcc_lo
	v_cmp_gt_f64_e32 vcc_lo, 0, v[210:211]
	v_cndmask_b32_e32 v115, v211, v114, vcc_lo
	v_cndmask_b32_e32 v114, v210, v210, vcc_lo
	s_delay_alu instid0(VALU_DEP_1) | instskip(SKIP_1) | instid1(SALU_CYCLE_1)
	v_cmp_ngt_f64_e32 vcc_lo, v[112:113], v[114:115]
                                        ; implicit-def: $vgpr112_vgpr113
	s_and_saveexec_b32 s3, vcc_lo
	s_xor_b32 s3, exec_lo, s3
                                        ; implicit-def: $vgpr212_vgpr213_vgpr214_vgpr215
	s_cbranch_execz .LBB55_221
; %bb.220:
	v_div_scale_f64 v[112:113], null, v[210:211], v[210:211], v[208:209]
	v_div_scale_f64 v[214:215], vcc_lo, v[208:209], v[210:211], v[208:209]
	s_delay_alu instid0(VALU_DEP_2) | instskip(SKIP_2) | instid1(VALU_DEP_1)
	v_rcp_f64_e32 v[114:115], v[112:113]
	s_waitcnt_depctr 0xfff
	v_fma_f64 v[212:213], -v[112:113], v[114:115], 1.0
	v_fma_f64 v[114:115], v[114:115], v[212:213], v[114:115]
	s_delay_alu instid0(VALU_DEP_1) | instskip(NEXT) | instid1(VALU_DEP_1)
	v_fma_f64 v[212:213], -v[112:113], v[114:115], 1.0
	v_fma_f64 v[114:115], v[114:115], v[212:213], v[114:115]
	s_delay_alu instid0(VALU_DEP_1) | instskip(NEXT) | instid1(VALU_DEP_1)
	v_mul_f64 v[212:213], v[214:215], v[114:115]
	v_fma_f64 v[112:113], -v[112:113], v[212:213], v[214:215]
	s_delay_alu instid0(VALU_DEP_1) | instskip(NEXT) | instid1(VALU_DEP_1)
	v_div_fmas_f64 v[112:113], v[112:113], v[114:115], v[212:213]
	v_div_fixup_f64 v[112:113], v[112:113], v[210:211], v[208:209]
	s_delay_alu instid0(VALU_DEP_1) | instskip(NEXT) | instid1(VALU_DEP_1)
	v_fma_f64 v[114:115], v[208:209], v[112:113], v[210:211]
	v_div_scale_f64 v[208:209], null, v[114:115], v[114:115], 1.0
	s_delay_alu instid0(VALU_DEP_1) | instskip(SKIP_2) | instid1(VALU_DEP_1)
	v_rcp_f64_e32 v[210:211], v[208:209]
	s_waitcnt_depctr 0xfff
	v_fma_f64 v[212:213], -v[208:209], v[210:211], 1.0
	v_fma_f64 v[210:211], v[210:211], v[212:213], v[210:211]
	s_delay_alu instid0(VALU_DEP_1) | instskip(NEXT) | instid1(VALU_DEP_1)
	v_fma_f64 v[212:213], -v[208:209], v[210:211], 1.0
	v_fma_f64 v[210:211], v[210:211], v[212:213], v[210:211]
	v_div_scale_f64 v[212:213], vcc_lo, 1.0, v[114:115], 1.0
	s_delay_alu instid0(VALU_DEP_1) | instskip(NEXT) | instid1(VALU_DEP_1)
	v_mul_f64 v[214:215], v[212:213], v[210:211]
	v_fma_f64 v[208:209], -v[208:209], v[214:215], v[212:213]
	s_delay_alu instid0(VALU_DEP_1) | instskip(NEXT) | instid1(VALU_DEP_1)
	v_div_fmas_f64 v[208:209], v[208:209], v[210:211], v[214:215]
	v_div_fixup_f64 v[214:215], v[208:209], v[114:115], 1.0
                                        ; implicit-def: $vgpr208_vgpr209
	s_delay_alu instid0(VALU_DEP_1)
	v_mul_f64 v[112:113], v[112:113], v[214:215]
	v_xor_b32_e32 v215, 0x80000000, v215
.LBB55_221:
	s_and_not1_saveexec_b32 s3, s3
	s_cbranch_execz .LBB55_223
; %bb.222:
	v_div_scale_f64 v[112:113], null, v[208:209], v[208:209], v[210:211]
	v_div_scale_f64 v[214:215], vcc_lo, v[210:211], v[208:209], v[210:211]
	s_delay_alu instid0(VALU_DEP_2) | instskip(SKIP_2) | instid1(VALU_DEP_1)
	v_rcp_f64_e32 v[114:115], v[112:113]
	s_waitcnt_depctr 0xfff
	v_fma_f64 v[212:213], -v[112:113], v[114:115], 1.0
	v_fma_f64 v[114:115], v[114:115], v[212:213], v[114:115]
	s_delay_alu instid0(VALU_DEP_1) | instskip(NEXT) | instid1(VALU_DEP_1)
	v_fma_f64 v[212:213], -v[112:113], v[114:115], 1.0
	v_fma_f64 v[114:115], v[114:115], v[212:213], v[114:115]
	s_delay_alu instid0(VALU_DEP_1) | instskip(NEXT) | instid1(VALU_DEP_1)
	v_mul_f64 v[212:213], v[214:215], v[114:115]
	v_fma_f64 v[112:113], -v[112:113], v[212:213], v[214:215]
	s_delay_alu instid0(VALU_DEP_1) | instskip(NEXT) | instid1(VALU_DEP_1)
	v_div_fmas_f64 v[112:113], v[112:113], v[114:115], v[212:213]
	v_div_fixup_f64 v[114:115], v[112:113], v[208:209], v[210:211]
	s_delay_alu instid0(VALU_DEP_1) | instskip(NEXT) | instid1(VALU_DEP_1)
	v_fma_f64 v[112:113], v[210:211], v[114:115], v[208:209]
	v_div_scale_f64 v[208:209], null, v[112:113], v[112:113], 1.0
	s_delay_alu instid0(VALU_DEP_1) | instskip(SKIP_2) | instid1(VALU_DEP_1)
	v_rcp_f64_e32 v[210:211], v[208:209]
	s_waitcnt_depctr 0xfff
	v_fma_f64 v[212:213], -v[208:209], v[210:211], 1.0
	v_fma_f64 v[210:211], v[210:211], v[212:213], v[210:211]
	s_delay_alu instid0(VALU_DEP_1) | instskip(NEXT) | instid1(VALU_DEP_1)
	v_fma_f64 v[212:213], -v[208:209], v[210:211], 1.0
	v_fma_f64 v[210:211], v[210:211], v[212:213], v[210:211]
	v_div_scale_f64 v[212:213], vcc_lo, 1.0, v[112:113], 1.0
	s_delay_alu instid0(VALU_DEP_1) | instskip(NEXT) | instid1(VALU_DEP_1)
	v_mul_f64 v[214:215], v[212:213], v[210:211]
	v_fma_f64 v[208:209], -v[208:209], v[214:215], v[212:213]
	s_delay_alu instid0(VALU_DEP_1) | instskip(NEXT) | instid1(VALU_DEP_1)
	v_div_fmas_f64 v[208:209], v[208:209], v[210:211], v[214:215]
	v_div_fixup_f64 v[112:113], v[208:209], v[112:113], 1.0
	s_delay_alu instid0(VALU_DEP_1)
	v_mul_f64 v[214:215], v[114:115], -v[112:113]
.LBB55_223:
	s_or_b32 exec_lo, exec_lo, s3
	ds_store_2addr_b64 v253, v[112:113], v[214:215] offset1:1
.LBB55_224:
	s_or_b32 exec_lo, exec_lo, s4
	s_waitcnt lgkmcnt(0)
	s_barrier
	buffer_gl0_inv
	ds_load_2addr_b64 v[208:211], v253 offset1:1
	s_mov_b32 s3, exec_lo
	v_cmpx_lt_u32_e32 24, v252
	s_cbranch_execz .LBB55_226
; %bb.225:
	s_waitcnt lgkmcnt(0)
	v_mul_f64 v[112:113], v[208:209], v[14:15]
	v_mul_f64 v[14:15], v[210:211], v[14:15]
	s_delay_alu instid0(VALU_DEP_2) | instskip(SKIP_4) | instid1(VALU_DEP_1)
	v_fma_f64 v[212:213], v[210:211], v[12:13], v[112:113]
	ds_load_2addr_b64 v[112:115], v254 offset0:50 offset1:51
	v_fma_f64 v[12:13], v[208:209], v[12:13], -v[14:15]
	s_waitcnt lgkmcnt(0)
	v_mul_f64 v[14:15], v[114:115], v[212:213]
	v_fma_f64 v[14:15], v[112:113], v[12:13], -v[14:15]
	v_mul_f64 v[112:113], v[112:113], v[212:213]
	s_delay_alu instid0(VALU_DEP_2) | instskip(NEXT) | instid1(VALU_DEP_2)
	v_add_f64 v[8:9], v[8:9], -v[14:15]
	v_fma_f64 v[112:113], v[114:115], v[12:13], v[112:113]
	s_delay_alu instid0(VALU_DEP_1) | instskip(SKIP_3) | instid1(VALU_DEP_1)
	v_add_f64 v[10:11], v[10:11], -v[112:113]
	ds_load_2addr_b64 v[112:115], v254 offset0:52 offset1:53
	s_waitcnt lgkmcnt(0)
	v_mul_f64 v[14:15], v[114:115], v[212:213]
	v_fma_f64 v[14:15], v[112:113], v[12:13], -v[14:15]
	v_mul_f64 v[112:113], v[112:113], v[212:213]
	s_delay_alu instid0(VALU_DEP_2) | instskip(NEXT) | instid1(VALU_DEP_2)
	v_add_f64 v[4:5], v[4:5], -v[14:15]
	v_fma_f64 v[112:113], v[114:115], v[12:13], v[112:113]
	s_delay_alu instid0(VALU_DEP_1) | instskip(SKIP_3) | instid1(VALU_DEP_1)
	v_add_f64 v[6:7], v[6:7], -v[112:113]
	ds_load_2addr_b64 v[112:115], v254 offset0:54 offset1:55
	s_waitcnt lgkmcnt(0)
	v_mul_f64 v[14:15], v[114:115], v[212:213]
	v_fma_f64 v[14:15], v[112:113], v[12:13], -v[14:15]
	v_mul_f64 v[112:113], v[112:113], v[212:213]
	s_delay_alu instid0(VALU_DEP_2) | instskip(NEXT) | instid1(VALU_DEP_2)
	v_add_f64 v[0:1], v[0:1], -v[14:15]
	v_fma_f64 v[112:113], v[114:115], v[12:13], v[112:113]
	v_dual_mov_b32 v14, v212 :: v_dual_mov_b32 v15, v213
	s_delay_alu instid0(VALU_DEP_2)
	v_add_f64 v[2:3], v[2:3], -v[112:113]
.LBB55_226:
	s_or_b32 exec_lo, exec_lo, s3
	s_delay_alu instid0(SALU_CYCLE_1)
	s_mov_b32 s4, exec_lo
	s_waitcnt lgkmcnt(0)
	s_barrier
	buffer_gl0_inv
	v_cmpx_eq_u32_e32 25, v252
	s_cbranch_execz .LBB55_233
; %bb.227:
	ds_store_2addr_b64 v253, v[8:9], v[10:11] offset1:1
	ds_store_2addr_b64 v254, v[4:5], v[6:7] offset0:52 offset1:53
	ds_store_2addr_b64 v254, v[0:1], v[2:3] offset0:54 offset1:55
	ds_load_2addr_b64 v[212:215], v253 offset1:1
	s_waitcnt lgkmcnt(0)
	v_cmp_neq_f64_e32 vcc_lo, 0, v[212:213]
	v_cmp_neq_f64_e64 s3, 0, v[214:215]
	s_delay_alu instid0(VALU_DEP_1) | instskip(NEXT) | instid1(SALU_CYCLE_1)
	s_or_b32 s3, vcc_lo, s3
	s_and_b32 exec_lo, exec_lo, s3
	s_cbranch_execz .LBB55_233
; %bb.228:
	v_cmp_gt_f64_e32 vcc_lo, 0, v[212:213]
	v_xor_b32_e32 v112, 0x80000000, v213
	v_xor_b32_e32 v114, 0x80000000, v215
	s_delay_alu instid0(VALU_DEP_2) | instskip(SKIP_2) | instid1(VALU_DEP_4)
	v_cndmask_b32_e32 v113, v213, v112, vcc_lo
	v_cndmask_b32_e32 v112, v212, v212, vcc_lo
	v_cmp_gt_f64_e32 vcc_lo, 0, v[214:215]
	v_cndmask_b32_e32 v115, v215, v114, vcc_lo
	v_cndmask_b32_e32 v114, v214, v214, vcc_lo
	s_delay_alu instid0(VALU_DEP_1) | instskip(SKIP_1) | instid1(SALU_CYCLE_1)
	v_cmp_ngt_f64_e32 vcc_lo, v[112:113], v[114:115]
                                        ; implicit-def: $vgpr112_vgpr113
	s_and_saveexec_b32 s3, vcc_lo
	s_xor_b32 s3, exec_lo, s3
                                        ; implicit-def: $vgpr216_vgpr217_vgpr218_vgpr219
	s_cbranch_execz .LBB55_230
; %bb.229:
	v_div_scale_f64 v[112:113], null, v[214:215], v[214:215], v[212:213]
	v_div_scale_f64 v[218:219], vcc_lo, v[212:213], v[214:215], v[212:213]
	s_delay_alu instid0(VALU_DEP_2) | instskip(SKIP_2) | instid1(VALU_DEP_1)
	v_rcp_f64_e32 v[114:115], v[112:113]
	s_waitcnt_depctr 0xfff
	v_fma_f64 v[216:217], -v[112:113], v[114:115], 1.0
	v_fma_f64 v[114:115], v[114:115], v[216:217], v[114:115]
	s_delay_alu instid0(VALU_DEP_1) | instskip(NEXT) | instid1(VALU_DEP_1)
	v_fma_f64 v[216:217], -v[112:113], v[114:115], 1.0
	v_fma_f64 v[114:115], v[114:115], v[216:217], v[114:115]
	s_delay_alu instid0(VALU_DEP_1) | instskip(NEXT) | instid1(VALU_DEP_1)
	v_mul_f64 v[216:217], v[218:219], v[114:115]
	v_fma_f64 v[112:113], -v[112:113], v[216:217], v[218:219]
	s_delay_alu instid0(VALU_DEP_1) | instskip(NEXT) | instid1(VALU_DEP_1)
	v_div_fmas_f64 v[112:113], v[112:113], v[114:115], v[216:217]
	v_div_fixup_f64 v[112:113], v[112:113], v[214:215], v[212:213]
	s_delay_alu instid0(VALU_DEP_1) | instskip(NEXT) | instid1(VALU_DEP_1)
	v_fma_f64 v[114:115], v[212:213], v[112:113], v[214:215]
	v_div_scale_f64 v[212:213], null, v[114:115], v[114:115], 1.0
	s_delay_alu instid0(VALU_DEP_1) | instskip(SKIP_2) | instid1(VALU_DEP_1)
	v_rcp_f64_e32 v[214:215], v[212:213]
	s_waitcnt_depctr 0xfff
	v_fma_f64 v[216:217], -v[212:213], v[214:215], 1.0
	v_fma_f64 v[214:215], v[214:215], v[216:217], v[214:215]
	s_delay_alu instid0(VALU_DEP_1) | instskip(NEXT) | instid1(VALU_DEP_1)
	v_fma_f64 v[216:217], -v[212:213], v[214:215], 1.0
	v_fma_f64 v[214:215], v[214:215], v[216:217], v[214:215]
	v_div_scale_f64 v[216:217], vcc_lo, 1.0, v[114:115], 1.0
	s_delay_alu instid0(VALU_DEP_1) | instskip(NEXT) | instid1(VALU_DEP_1)
	v_mul_f64 v[218:219], v[216:217], v[214:215]
	v_fma_f64 v[212:213], -v[212:213], v[218:219], v[216:217]
	s_delay_alu instid0(VALU_DEP_1) | instskip(NEXT) | instid1(VALU_DEP_1)
	v_div_fmas_f64 v[212:213], v[212:213], v[214:215], v[218:219]
	v_div_fixup_f64 v[218:219], v[212:213], v[114:115], 1.0
                                        ; implicit-def: $vgpr212_vgpr213
	s_delay_alu instid0(VALU_DEP_1)
	v_mul_f64 v[112:113], v[112:113], v[218:219]
	v_xor_b32_e32 v219, 0x80000000, v219
.LBB55_230:
	s_and_not1_saveexec_b32 s3, s3
	s_cbranch_execz .LBB55_232
; %bb.231:
	v_div_scale_f64 v[112:113], null, v[212:213], v[212:213], v[214:215]
	v_div_scale_f64 v[218:219], vcc_lo, v[214:215], v[212:213], v[214:215]
	s_delay_alu instid0(VALU_DEP_2) | instskip(SKIP_2) | instid1(VALU_DEP_1)
	v_rcp_f64_e32 v[114:115], v[112:113]
	s_waitcnt_depctr 0xfff
	v_fma_f64 v[216:217], -v[112:113], v[114:115], 1.0
	v_fma_f64 v[114:115], v[114:115], v[216:217], v[114:115]
	s_delay_alu instid0(VALU_DEP_1) | instskip(NEXT) | instid1(VALU_DEP_1)
	v_fma_f64 v[216:217], -v[112:113], v[114:115], 1.0
	v_fma_f64 v[114:115], v[114:115], v[216:217], v[114:115]
	s_delay_alu instid0(VALU_DEP_1) | instskip(NEXT) | instid1(VALU_DEP_1)
	v_mul_f64 v[216:217], v[218:219], v[114:115]
	v_fma_f64 v[112:113], -v[112:113], v[216:217], v[218:219]
	s_delay_alu instid0(VALU_DEP_1) | instskip(NEXT) | instid1(VALU_DEP_1)
	v_div_fmas_f64 v[112:113], v[112:113], v[114:115], v[216:217]
	v_div_fixup_f64 v[114:115], v[112:113], v[212:213], v[214:215]
	s_delay_alu instid0(VALU_DEP_1) | instskip(NEXT) | instid1(VALU_DEP_1)
	v_fma_f64 v[112:113], v[214:215], v[114:115], v[212:213]
	v_div_scale_f64 v[212:213], null, v[112:113], v[112:113], 1.0
	s_delay_alu instid0(VALU_DEP_1) | instskip(SKIP_2) | instid1(VALU_DEP_1)
	v_rcp_f64_e32 v[214:215], v[212:213]
	s_waitcnt_depctr 0xfff
	v_fma_f64 v[216:217], -v[212:213], v[214:215], 1.0
	v_fma_f64 v[214:215], v[214:215], v[216:217], v[214:215]
	s_delay_alu instid0(VALU_DEP_1) | instskip(NEXT) | instid1(VALU_DEP_1)
	v_fma_f64 v[216:217], -v[212:213], v[214:215], 1.0
	v_fma_f64 v[214:215], v[214:215], v[216:217], v[214:215]
	v_div_scale_f64 v[216:217], vcc_lo, 1.0, v[112:113], 1.0
	s_delay_alu instid0(VALU_DEP_1) | instskip(NEXT) | instid1(VALU_DEP_1)
	v_mul_f64 v[218:219], v[216:217], v[214:215]
	v_fma_f64 v[212:213], -v[212:213], v[218:219], v[216:217]
	s_delay_alu instid0(VALU_DEP_1) | instskip(NEXT) | instid1(VALU_DEP_1)
	v_div_fmas_f64 v[212:213], v[212:213], v[214:215], v[218:219]
	v_div_fixup_f64 v[112:113], v[212:213], v[112:113], 1.0
	s_delay_alu instid0(VALU_DEP_1)
	v_mul_f64 v[218:219], v[114:115], -v[112:113]
.LBB55_232:
	s_or_b32 exec_lo, exec_lo, s3
	ds_store_2addr_b64 v253, v[112:113], v[218:219] offset1:1
.LBB55_233:
	s_or_b32 exec_lo, exec_lo, s4
	s_waitcnt lgkmcnt(0)
	s_barrier
	buffer_gl0_inv
	ds_load_2addr_b64 v[212:215], v253 offset1:1
	s_mov_b32 s3, exec_lo
	v_cmpx_lt_u32_e32 25, v252
	s_cbranch_execz .LBB55_235
; %bb.234:
	s_waitcnt lgkmcnt(0)
	v_mul_f64 v[112:113], v[212:213], v[10:11]
	v_mul_f64 v[10:11], v[214:215], v[10:11]
	s_delay_alu instid0(VALU_DEP_2) | instskip(SKIP_4) | instid1(VALU_DEP_1)
	v_fma_f64 v[216:217], v[214:215], v[8:9], v[112:113]
	ds_load_2addr_b64 v[112:115], v254 offset0:52 offset1:53
	v_fma_f64 v[8:9], v[212:213], v[8:9], -v[10:11]
	s_waitcnt lgkmcnt(0)
	v_mul_f64 v[10:11], v[114:115], v[216:217]
	v_fma_f64 v[10:11], v[112:113], v[8:9], -v[10:11]
	v_mul_f64 v[112:113], v[112:113], v[216:217]
	s_delay_alu instid0(VALU_DEP_2) | instskip(NEXT) | instid1(VALU_DEP_2)
	v_add_f64 v[4:5], v[4:5], -v[10:11]
	v_fma_f64 v[112:113], v[114:115], v[8:9], v[112:113]
	s_delay_alu instid0(VALU_DEP_1) | instskip(SKIP_3) | instid1(VALU_DEP_1)
	v_add_f64 v[6:7], v[6:7], -v[112:113]
	ds_load_2addr_b64 v[112:115], v254 offset0:54 offset1:55
	s_waitcnt lgkmcnt(0)
	v_mul_f64 v[10:11], v[114:115], v[216:217]
	v_fma_f64 v[10:11], v[112:113], v[8:9], -v[10:11]
	v_mul_f64 v[112:113], v[112:113], v[216:217]
	s_delay_alu instid0(VALU_DEP_2) | instskip(NEXT) | instid1(VALU_DEP_2)
	v_add_f64 v[0:1], v[0:1], -v[10:11]
	v_fma_f64 v[112:113], v[114:115], v[8:9], v[112:113]
	v_dual_mov_b32 v10, v216 :: v_dual_mov_b32 v11, v217
	s_delay_alu instid0(VALU_DEP_2)
	v_add_f64 v[2:3], v[2:3], -v[112:113]
.LBB55_235:
	s_or_b32 exec_lo, exec_lo, s3
	s_delay_alu instid0(SALU_CYCLE_1)
	s_mov_b32 s4, exec_lo
	s_waitcnt lgkmcnt(0)
	s_barrier
	buffer_gl0_inv
	v_cmpx_eq_u32_e32 26, v252
	s_cbranch_execz .LBB55_242
; %bb.236:
	ds_store_2addr_b64 v253, v[4:5], v[6:7] offset1:1
	ds_store_2addr_b64 v254, v[0:1], v[2:3] offset0:54 offset1:55
	ds_load_2addr_b64 v[216:219], v253 offset1:1
	s_waitcnt lgkmcnt(0)
	v_cmp_neq_f64_e32 vcc_lo, 0, v[216:217]
	v_cmp_neq_f64_e64 s3, 0, v[218:219]
	s_delay_alu instid0(VALU_DEP_1) | instskip(NEXT) | instid1(SALU_CYCLE_1)
	s_or_b32 s3, vcc_lo, s3
	s_and_b32 exec_lo, exec_lo, s3
	s_cbranch_execz .LBB55_242
; %bb.237:
	v_cmp_gt_f64_e32 vcc_lo, 0, v[216:217]
	v_xor_b32_e32 v112, 0x80000000, v217
	v_xor_b32_e32 v114, 0x80000000, v219
	s_delay_alu instid0(VALU_DEP_2) | instskip(SKIP_2) | instid1(VALU_DEP_4)
	v_cndmask_b32_e32 v113, v217, v112, vcc_lo
	v_cndmask_b32_e32 v112, v216, v216, vcc_lo
	v_cmp_gt_f64_e32 vcc_lo, 0, v[218:219]
	v_cndmask_b32_e32 v115, v219, v114, vcc_lo
	v_cndmask_b32_e32 v114, v218, v218, vcc_lo
	s_delay_alu instid0(VALU_DEP_1) | instskip(SKIP_1) | instid1(SALU_CYCLE_1)
	v_cmp_ngt_f64_e32 vcc_lo, v[112:113], v[114:115]
                                        ; implicit-def: $vgpr112_vgpr113
	s_and_saveexec_b32 s3, vcc_lo
	s_xor_b32 s3, exec_lo, s3
                                        ; implicit-def: $vgpr220_vgpr221_vgpr222_vgpr223
	s_cbranch_execz .LBB55_239
; %bb.238:
	v_div_scale_f64 v[112:113], null, v[218:219], v[218:219], v[216:217]
	v_div_scale_f64 v[222:223], vcc_lo, v[216:217], v[218:219], v[216:217]
	s_delay_alu instid0(VALU_DEP_2) | instskip(SKIP_2) | instid1(VALU_DEP_1)
	v_rcp_f64_e32 v[114:115], v[112:113]
	s_waitcnt_depctr 0xfff
	v_fma_f64 v[220:221], -v[112:113], v[114:115], 1.0
	v_fma_f64 v[114:115], v[114:115], v[220:221], v[114:115]
	s_delay_alu instid0(VALU_DEP_1) | instskip(NEXT) | instid1(VALU_DEP_1)
	v_fma_f64 v[220:221], -v[112:113], v[114:115], 1.0
	v_fma_f64 v[114:115], v[114:115], v[220:221], v[114:115]
	s_delay_alu instid0(VALU_DEP_1) | instskip(NEXT) | instid1(VALU_DEP_1)
	v_mul_f64 v[220:221], v[222:223], v[114:115]
	v_fma_f64 v[112:113], -v[112:113], v[220:221], v[222:223]
	s_delay_alu instid0(VALU_DEP_1) | instskip(NEXT) | instid1(VALU_DEP_1)
	v_div_fmas_f64 v[112:113], v[112:113], v[114:115], v[220:221]
	v_div_fixup_f64 v[112:113], v[112:113], v[218:219], v[216:217]
	s_delay_alu instid0(VALU_DEP_1) | instskip(NEXT) | instid1(VALU_DEP_1)
	v_fma_f64 v[114:115], v[216:217], v[112:113], v[218:219]
	v_div_scale_f64 v[216:217], null, v[114:115], v[114:115], 1.0
	s_delay_alu instid0(VALU_DEP_1) | instskip(SKIP_2) | instid1(VALU_DEP_1)
	v_rcp_f64_e32 v[218:219], v[216:217]
	s_waitcnt_depctr 0xfff
	v_fma_f64 v[220:221], -v[216:217], v[218:219], 1.0
	v_fma_f64 v[218:219], v[218:219], v[220:221], v[218:219]
	s_delay_alu instid0(VALU_DEP_1) | instskip(NEXT) | instid1(VALU_DEP_1)
	v_fma_f64 v[220:221], -v[216:217], v[218:219], 1.0
	v_fma_f64 v[218:219], v[218:219], v[220:221], v[218:219]
	v_div_scale_f64 v[220:221], vcc_lo, 1.0, v[114:115], 1.0
	s_delay_alu instid0(VALU_DEP_1) | instskip(NEXT) | instid1(VALU_DEP_1)
	v_mul_f64 v[222:223], v[220:221], v[218:219]
	v_fma_f64 v[216:217], -v[216:217], v[222:223], v[220:221]
	s_delay_alu instid0(VALU_DEP_1) | instskip(NEXT) | instid1(VALU_DEP_1)
	v_div_fmas_f64 v[216:217], v[216:217], v[218:219], v[222:223]
	v_div_fixup_f64 v[222:223], v[216:217], v[114:115], 1.0
                                        ; implicit-def: $vgpr216_vgpr217
	s_delay_alu instid0(VALU_DEP_1)
	v_mul_f64 v[112:113], v[112:113], v[222:223]
	v_xor_b32_e32 v223, 0x80000000, v223
.LBB55_239:
	s_and_not1_saveexec_b32 s3, s3
	s_cbranch_execz .LBB55_241
; %bb.240:
	v_div_scale_f64 v[112:113], null, v[216:217], v[216:217], v[218:219]
	v_div_scale_f64 v[222:223], vcc_lo, v[218:219], v[216:217], v[218:219]
	s_delay_alu instid0(VALU_DEP_2) | instskip(SKIP_2) | instid1(VALU_DEP_1)
	v_rcp_f64_e32 v[114:115], v[112:113]
	s_waitcnt_depctr 0xfff
	v_fma_f64 v[220:221], -v[112:113], v[114:115], 1.0
	v_fma_f64 v[114:115], v[114:115], v[220:221], v[114:115]
	s_delay_alu instid0(VALU_DEP_1) | instskip(NEXT) | instid1(VALU_DEP_1)
	v_fma_f64 v[220:221], -v[112:113], v[114:115], 1.0
	v_fma_f64 v[114:115], v[114:115], v[220:221], v[114:115]
	s_delay_alu instid0(VALU_DEP_1) | instskip(NEXT) | instid1(VALU_DEP_1)
	v_mul_f64 v[220:221], v[222:223], v[114:115]
	v_fma_f64 v[112:113], -v[112:113], v[220:221], v[222:223]
	s_delay_alu instid0(VALU_DEP_1) | instskip(NEXT) | instid1(VALU_DEP_1)
	v_div_fmas_f64 v[112:113], v[112:113], v[114:115], v[220:221]
	v_div_fixup_f64 v[114:115], v[112:113], v[216:217], v[218:219]
	s_delay_alu instid0(VALU_DEP_1) | instskip(NEXT) | instid1(VALU_DEP_1)
	v_fma_f64 v[112:113], v[218:219], v[114:115], v[216:217]
	v_div_scale_f64 v[216:217], null, v[112:113], v[112:113], 1.0
	s_delay_alu instid0(VALU_DEP_1) | instskip(SKIP_2) | instid1(VALU_DEP_1)
	v_rcp_f64_e32 v[218:219], v[216:217]
	s_waitcnt_depctr 0xfff
	v_fma_f64 v[220:221], -v[216:217], v[218:219], 1.0
	v_fma_f64 v[218:219], v[218:219], v[220:221], v[218:219]
	s_delay_alu instid0(VALU_DEP_1) | instskip(NEXT) | instid1(VALU_DEP_1)
	v_fma_f64 v[220:221], -v[216:217], v[218:219], 1.0
	v_fma_f64 v[218:219], v[218:219], v[220:221], v[218:219]
	v_div_scale_f64 v[220:221], vcc_lo, 1.0, v[112:113], 1.0
	s_delay_alu instid0(VALU_DEP_1) | instskip(NEXT) | instid1(VALU_DEP_1)
	v_mul_f64 v[222:223], v[220:221], v[218:219]
	v_fma_f64 v[216:217], -v[216:217], v[222:223], v[220:221]
	s_delay_alu instid0(VALU_DEP_1) | instskip(NEXT) | instid1(VALU_DEP_1)
	v_div_fmas_f64 v[216:217], v[216:217], v[218:219], v[222:223]
	v_div_fixup_f64 v[112:113], v[216:217], v[112:113], 1.0
	s_delay_alu instid0(VALU_DEP_1)
	v_mul_f64 v[222:223], v[114:115], -v[112:113]
.LBB55_241:
	s_or_b32 exec_lo, exec_lo, s3
	ds_store_2addr_b64 v253, v[112:113], v[222:223] offset1:1
.LBB55_242:
	s_or_b32 exec_lo, exec_lo, s4
	s_waitcnt lgkmcnt(0)
	s_barrier
	buffer_gl0_inv
	ds_load_2addr_b64 v[216:219], v253 offset1:1
	s_mov_b32 s3, exec_lo
	v_cmpx_lt_u32_e32 26, v252
	s_cbranch_execz .LBB55_244
; %bb.243:
	s_waitcnt lgkmcnt(0)
	v_mul_f64 v[112:113], v[216:217], v[6:7]
	v_mul_f64 v[6:7], v[218:219], v[6:7]
	s_delay_alu instid0(VALU_DEP_2) | instskip(SKIP_4) | instid1(VALU_DEP_1)
	v_fma_f64 v[220:221], v[218:219], v[4:5], v[112:113]
	ds_load_2addr_b64 v[112:115], v254 offset0:54 offset1:55
	v_fma_f64 v[4:5], v[216:217], v[4:5], -v[6:7]
	s_waitcnt lgkmcnt(0)
	v_mul_f64 v[6:7], v[114:115], v[220:221]
	v_fma_f64 v[6:7], v[112:113], v[4:5], -v[6:7]
	v_mul_f64 v[112:113], v[112:113], v[220:221]
	s_delay_alu instid0(VALU_DEP_2) | instskip(NEXT) | instid1(VALU_DEP_2)
	v_add_f64 v[0:1], v[0:1], -v[6:7]
	v_fma_f64 v[112:113], v[114:115], v[4:5], v[112:113]
	v_dual_mov_b32 v6, v220 :: v_dual_mov_b32 v7, v221
	s_delay_alu instid0(VALU_DEP_2)
	v_add_f64 v[2:3], v[2:3], -v[112:113]
.LBB55_244:
	s_or_b32 exec_lo, exec_lo, s3
	s_delay_alu instid0(SALU_CYCLE_1)
	s_mov_b32 s4, exec_lo
	s_waitcnt lgkmcnt(0)
	s_barrier
	buffer_gl0_inv
	v_cmpx_eq_u32_e32 27, v252
	s_cbranch_execz .LBB55_251
; %bb.245:
	v_cmp_neq_f64_e32 vcc_lo, 0, v[0:1]
	v_cmp_neq_f64_e64 s3, 0, v[2:3]
	ds_store_2addr_b64 v253, v[0:1], v[2:3] offset1:1
	s_or_b32 s3, vcc_lo, s3
	s_delay_alu instid0(SALU_CYCLE_1)
	s_and_b32 exec_lo, exec_lo, s3
	s_cbranch_execz .LBB55_251
; %bb.246:
	v_cmp_gt_f64_e32 vcc_lo, 0, v[0:1]
	v_xor_b32_e32 v112, 0x80000000, v1
	v_xor_b32_e32 v114, 0x80000000, v3
	s_delay_alu instid0(VALU_DEP_2) | instskip(SKIP_2) | instid1(VALU_DEP_4)
	v_cndmask_b32_e32 v113, v1, v112, vcc_lo
	v_cndmask_b32_e32 v112, v0, v0, vcc_lo
	v_cmp_gt_f64_e32 vcc_lo, 0, v[2:3]
	v_cndmask_b32_e32 v115, v3, v114, vcc_lo
	v_cndmask_b32_e32 v114, v2, v2, vcc_lo
	s_delay_alu instid0(VALU_DEP_1) | instskip(SKIP_1) | instid1(SALU_CYCLE_1)
	v_cmp_ngt_f64_e32 vcc_lo, v[112:113], v[114:115]
                                        ; implicit-def: $vgpr112_vgpr113
	s_and_saveexec_b32 s3, vcc_lo
	s_xor_b32 s3, exec_lo, s3
                                        ; implicit-def: $vgpr220_vgpr221_vgpr222_vgpr223
	s_cbranch_execz .LBB55_248
; %bb.247:
	v_div_scale_f64 v[112:113], null, v[2:3], v[2:3], v[0:1]
	v_div_scale_f64 v[222:223], vcc_lo, v[0:1], v[2:3], v[0:1]
	v_dual_mov_b32 v233, v131 :: v_dual_mov_b32 v232, v130
	v_dual_mov_b32 v231, v129 :: v_dual_mov_b32 v230, v128
	;; [unrolled: 1-line block ×14, first 2 shown]
	s_delay_alu instid0(VALU_DEP_1) | instskip(SKIP_1) | instid1(VALU_DEP_3)
	v_dual_mov_b32 v238, v240 :: v_dual_mov_b32 v239, v241
	v_rcp_f64_e32 v[114:115], v[112:113]
	v_dual_mov_b32 v240, v242 :: v_dual_mov_b32 v241, v243
	v_dual_mov_b32 v242, v246 :: v_dual_mov_b32 v243, v247
	;; [unrolled: 1-line block ×4, first 2 shown]
	s_waitcnt_depctr 0xfff
	v_fma_f64 v[220:221], -v[112:113], v[114:115], 1.0
	s_delay_alu instid0(VALU_DEP_1) | instskip(NEXT) | instid1(VALU_DEP_1)
	v_fma_f64 v[114:115], v[114:115], v[220:221], v[114:115]
	v_fma_f64 v[220:221], -v[112:113], v[114:115], 1.0
	s_delay_alu instid0(VALU_DEP_1) | instskip(NEXT) | instid1(VALU_DEP_1)
	v_fma_f64 v[114:115], v[114:115], v[220:221], v[114:115]
	v_mul_f64 v[220:221], v[222:223], v[114:115]
	s_delay_alu instid0(VALU_DEP_1) | instskip(NEXT) | instid1(VALU_DEP_1)
	v_fma_f64 v[112:113], -v[112:113], v[220:221], v[222:223]
	v_div_fmas_f64 v[112:113], v[112:113], v[114:115], v[220:221]
	s_delay_alu instid0(VALU_DEP_1) | instskip(NEXT) | instid1(VALU_DEP_1)
	v_div_fixup_f64 v[112:113], v[112:113], v[2:3], v[0:1]
	v_fma_f64 v[114:115], v[0:1], v[112:113], v[2:3]
	s_delay_alu instid0(VALU_DEP_1) | instskip(NEXT) | instid1(VALU_DEP_1)
	v_div_scale_f64 v[220:221], null, v[114:115], v[114:115], 1.0
	v_rcp_f64_e32 v[222:223], v[220:221]
	s_waitcnt_depctr 0xfff
	v_fma_f64 v[254:255], -v[220:221], v[222:223], 1.0
	s_delay_alu instid0(VALU_DEP_1) | instskip(NEXT) | instid1(VALU_DEP_1)
	v_fma_f64 v[222:223], v[222:223], v[254:255], v[222:223]
	v_fma_f64 v[254:255], -v[220:221], v[222:223], 1.0
	s_delay_alu instid0(VALU_DEP_1) | instskip(SKIP_1) | instid1(VALU_DEP_1)
	v_fma_f64 v[222:223], v[222:223], v[254:255], v[222:223]
	v_div_scale_f64 v[254:255], vcc_lo, 1.0, v[114:115], 1.0
	v_mul_f64 v[116:117], v[254:255], v[222:223]
	s_delay_alu instid0(VALU_DEP_1) | instskip(NEXT) | instid1(VALU_DEP_1)
	v_fma_f64 v[118:119], -v[220:221], v[116:117], v[254:255]
	v_div_fmas_f64 v[116:117], v[118:119], v[222:223], v[116:117]
	s_delay_alu instid0(VALU_DEP_1)
	v_div_fixup_f64 v[222:223], v[116:117], v[114:115], 1.0
	v_dual_mov_b32 v116, v120 :: v_dual_mov_b32 v117, v121
	v_dual_mov_b32 v118, v122 :: v_dual_mov_b32 v119, v123
	;; [unrolled: 1-line block ×9, first 2 shown]
	v_mul_f64 v[112:113], v[112:113], v[222:223]
	v_xor_b32_e32 v223, 0x80000000, v223
.LBB55_248:
	s_and_not1_saveexec_b32 s3, s3
	s_cbranch_execz .LBB55_250
; %bb.249:
	v_div_scale_f64 v[112:113], null, v[0:1], v[0:1], v[2:3]
	v_dual_mov_b32 v255, v229 :: v_dual_mov_b32 v254, v228
	v_dual_mov_b32 v231, v127 :: v_dual_mov_b32 v230, v126
	;; [unrolled: 1-line block ×8, first 2 shown]
	v_div_scale_f64 v[118:119], vcc_lo, v[2:3], v[0:1], v[2:3]
	v_rcp_f64_e32 v[114:115], v[112:113]
	s_waitcnt_depctr 0xfff
	v_fma_f64 v[116:117], -v[112:113], v[114:115], 1.0
	s_delay_alu instid0(VALU_DEP_1) | instskip(NEXT) | instid1(VALU_DEP_1)
	v_fma_f64 v[114:115], v[114:115], v[116:117], v[114:115]
	v_fma_f64 v[116:117], -v[112:113], v[114:115], 1.0
	s_delay_alu instid0(VALU_DEP_1) | instskip(NEXT) | instid1(VALU_DEP_1)
	v_fma_f64 v[114:115], v[114:115], v[116:117], v[114:115]
	v_mul_f64 v[116:117], v[118:119], v[114:115]
	s_delay_alu instid0(VALU_DEP_1) | instskip(NEXT) | instid1(VALU_DEP_1)
	v_fma_f64 v[112:113], -v[112:113], v[116:117], v[118:119]
	v_div_fmas_f64 v[112:113], v[112:113], v[114:115], v[116:117]
	s_delay_alu instid0(VALU_DEP_1) | instskip(NEXT) | instid1(VALU_DEP_1)
	v_div_fixup_f64 v[114:115], v[112:113], v[0:1], v[2:3]
	v_fma_f64 v[112:113], v[2:3], v[114:115], v[0:1]
	s_delay_alu instid0(VALU_DEP_1) | instskip(NEXT) | instid1(VALU_DEP_1)
	v_div_scale_f64 v[116:117], null, v[112:113], v[112:113], 1.0
	v_rcp_f64_e32 v[118:119], v[116:117]
	s_waitcnt_depctr 0xfff
	v_fma_f64 v[220:221], -v[116:117], v[118:119], 1.0
	s_delay_alu instid0(VALU_DEP_1) | instskip(NEXT) | instid1(VALU_DEP_1)
	v_fma_f64 v[118:119], v[118:119], v[220:221], v[118:119]
	v_fma_f64 v[220:221], -v[116:117], v[118:119], 1.0
	s_delay_alu instid0(VALU_DEP_1) | instskip(SKIP_1) | instid1(VALU_DEP_1)
	v_fma_f64 v[118:119], v[118:119], v[220:221], v[118:119]
	v_div_scale_f64 v[220:221], vcc_lo, 1.0, v[112:113], 1.0
	v_mul_f64 v[222:223], v[220:221], v[118:119]
	s_delay_alu instid0(VALU_DEP_1) | instskip(NEXT) | instid1(VALU_DEP_1)
	v_fma_f64 v[116:117], -v[116:117], v[222:223], v[220:221]
	v_div_fmas_f64 v[116:117], v[116:117], v[118:119], v[222:223]
	s_delay_alu instid0(VALU_DEP_1)
	v_div_fixup_f64 v[112:113], v[116:117], v[112:113], 1.0
	v_dual_mov_b32 v116, v120 :: v_dual_mov_b32 v117, v121
	v_dual_mov_b32 v118, v122 :: v_dual_mov_b32 v119, v123
	v_dual_mov_b32 v120, v224 :: v_dual_mov_b32 v121, v225
	v_dual_mov_b32 v122, v226 :: v_dual_mov_b32 v123, v227
	v_dual_mov_b32 v227, v125 :: v_dual_mov_b32 v226, v124
	v_dual_mov_b32 v124, v228 :: v_dual_mov_b32 v125, v229
	v_dual_mov_b32 v126, v230 :: v_dual_mov_b32 v127, v231
	v_dual_mov_b32 v228, v254 :: v_dual_mov_b32 v229, v255
	v_mul_f64 v[222:223], v[114:115], -v[112:113]
.LBB55_250:
	s_or_b32 exec_lo, exec_lo, s3
	ds_store_2addr_b64 v253, v[112:113], v[222:223] offset1:1
.LBB55_251:
	s_or_b32 exec_lo, exec_lo, s4
	s_waitcnt lgkmcnt(0)
	s_barrier
	buffer_gl0_inv
	ds_load_2addr_b64 v[220:223], v253 offset1:1
	s_mov_b32 s3, exec_lo
	v_cmpx_lt_u32_e32 27, v252
	s_cbranch_execz .LBB55_253
; %bb.252:
	s_waitcnt lgkmcnt(0)
	v_mul_f64 v[112:113], v[222:223], v[2:3]
	v_mul_f64 v[2:3], v[220:221], v[2:3]
	s_delay_alu instid0(VALU_DEP_2) | instskip(NEXT) | instid1(VALU_DEP_2)
	v_fma_f64 v[112:113], v[220:221], v[0:1], -v[112:113]
	v_fma_f64 v[2:3], v[222:223], v[0:1], v[2:3]
	s_delay_alu instid0(VALU_DEP_2)
	v_dual_mov_b32 v0, v112 :: v_dual_mov_b32 v1, v113
.LBB55_253:
	s_or_b32 exec_lo, exec_lo, s3
	s_waitcnt lgkmcnt(0)
	s_barrier
	buffer_gl0_inv
	s_and_saveexec_b32 s42, s2
	s_cbranch_execz .LBB55_256
; %bb.254:
	scratch_load_b128 v[112:115], off, off offset:120 ; 16-byte Folded Reload
	v_cmp_neq_f64_e64 s40, 0, v[116:117]
	v_cmp_neq_f64_e64 s41, 0, v[118:119]
	v_cmp_eq_f64_e32 vcc_lo, 0, v[120:121]
	v_cmp_eq_f64_e64 s2, 0, v[122:123]
	s_load_b64 s[0:1], s[0:1], 0x28
	v_cmp_eq_f64_e64 s3, 0, v[124:125]
	v_cmp_eq_f64_e64 s4, 0, v[126:127]
	;; [unrolled: 1-line block ×34, first 2 shown]
	s_waitcnt vmcnt(0)
	v_cmp_eq_f64_e64 s38, 0, v[112:113]
	v_cmp_eq_f64_e64 s39, 0, v[114:115]
	v_lshlrev_b64 v[112:113], 2, v[244:245]
	s_waitcnt lgkmcnt(0)
	s_delay_alu instid0(VALU_DEP_1) | instskip(NEXT) | instid1(VALU_DEP_1)
	v_add_co_u32 v112, s0, s0, v112
	v_add_co_ci_u32_e64 v113, s0, s1, v113, s0
	s_or_b32 s1, s40, s41
	global_load_b32 v115, v[112:113], off
	s_and_b32 s0, s38, s39
	s_delay_alu instid0(SALU_CYCLE_1) | instskip(SKIP_3) | instid1(VALU_DEP_1)
	v_cndmask_b32_e64 v114, 0, 1, s0
	s_or_b32 s0, s1, s0
	s_and_b32 s1, vcc_lo, s2
	s_and_b32 s2, s28, s30
	v_cndmask_b32_e64 v114, 2, v114, s0
	s_delay_alu instid0(VALU_DEP_1) | instskip(NEXT) | instid1(VALU_DEP_1)
	v_cmp_eq_u32_e64 s0, 0, v114
	s_and_b32 s0, s1, s0
	v_cmp_eq_f64_e64 s1, 0, v[194:195]
	v_cndmask_b32_e64 v114, v114, 3, s0
	s_and_b32 s0, s3, s4
	v_cmp_eq_f64_e64 s3, 0, v[198:199]
	s_and_b32 s4, s20, s22
	s_delay_alu instid0(VALU_DEP_2) | instskip(SKIP_1) | instid1(SALU_CYCLE_1)
	v_cmp_eq_u32_e32 vcc_lo, 0, v114
	s_and_b32 s0, s0, vcc_lo
	v_cndmask_b32_e64 v114, v114, 4, s0
	s_and_b32 s0, s5, s6
	v_cmp_eq_f64_e64 s5, 0, v[202:203]
	s_and_b32 s6, s12, s14
	s_delay_alu instid0(VALU_DEP_2) | instskip(SKIP_1) | instid1(SALU_CYCLE_1)
	v_cmp_eq_u32_e32 vcc_lo, 0, v114
	s_and_b32 s0, s0, vcc_lo
	v_cndmask_b32_e64 v114, v114, 5, s0
	s_and_b32 s0, s7, s8
	v_cmp_eq_f64_e64 s7, 0, v[206:207]
	s_delay_alu instid0(VALU_DEP_2) | instskip(SKIP_1) | instid1(SALU_CYCLE_1)
	v_cmp_eq_u32_e32 vcc_lo, 0, v114
	s_and_b32 s0, s0, vcc_lo
	v_cndmask_b32_e64 v114, v114, 6, s0
	s_and_b32 s0, s9, s10
	s_delay_alu instid0(VALU_DEP_1) | instskip(SKIP_1) | instid1(SALU_CYCLE_1)
	v_cmp_eq_u32_e32 vcc_lo, 0, v114
	s_and_b32 s0, s0, vcc_lo
	v_cndmask_b32_e64 v114, v114, 7, s0
	s_and_b32 s0, s11, s13
	s_delay_alu instid0(VALU_DEP_1) | instskip(SKIP_1) | instid1(SALU_CYCLE_1)
	;; [unrolled: 5-line block ×10, first 2 shown]
	v_cmp_eq_u32_e32 vcc_lo, 0, v114
	s_and_b32 s0, s0, vcc_lo
	v_cndmask_b32_e64 v114, v114, 16, s0
	s_and_b32 s0, s34, s37
	s_delay_alu instid0(VALU_DEP_1) | instskip(SKIP_3) | instid1(VALU_DEP_1)
	v_cmp_eq_u32_e32 vcc_lo, 0, v114
	s_and_b32 s0, s0, vcc_lo
	v_cmp_eq_f64_e32 vcc_lo, 0, v[192:193]
	v_cndmask_b32_e64 v114, v114, 17, s0
	v_cmp_eq_u32_e64 s0, 0, v114
	s_delay_alu instid0(VALU_DEP_1) | instskip(NEXT) | instid1(SALU_CYCLE_1)
	s_and_b32 s0, s2, s0
	v_cndmask_b32_e64 v114, v114, 18, s0
	v_cmp_eq_f64_e64 s0, 0, v[196:197]
	s_delay_alu instid0(VALU_DEP_2) | instskip(NEXT) | instid1(VALU_DEP_1)
	v_cmp_eq_u32_e64 s2, 0, v114
	s_and_b32 s2, s4, s2
	s_delay_alu instid0(SALU_CYCLE_1) | instskip(SKIP_1) | instid1(VALU_DEP_2)
	v_cndmask_b32_e64 v114, v114, 19, s2
	v_cmp_eq_f64_e64 s2, 0, v[200:201]
	v_cmp_eq_u32_e64 s4, 0, v114
	s_delay_alu instid0(VALU_DEP_1) | instskip(NEXT) | instid1(SALU_CYCLE_1)
	s_and_b32 s4, s6, s4
	v_cndmask_b32_e64 v114, v114, 20, s4
	v_cmp_eq_f64_e64 s4, 0, v[204:205]
	s_and_b32 s1, vcc_lo, s1
	s_delay_alu instid0(VALU_DEP_2) | instskip(NEXT) | instid1(VALU_DEP_1)
	v_cmp_eq_u32_e64 s6, 0, v114
	s_and_b32 s1, s1, s6
	v_cmp_eq_f64_e64 s6, 0, v[210:211]
	v_cndmask_b32_e64 v114, v114, 21, s1
	v_cmp_eq_f64_e64 s1, 0, v[208:209]
	s_and_b32 s0, s0, s3
	v_cmp_eq_f64_e64 s3, 0, v[214:215]
	s_delay_alu instid0(VALU_DEP_3) | instskip(SKIP_1) | instid1(SALU_CYCLE_1)
	v_cmp_eq_u32_e32 vcc_lo, 0, v114
	s_and_b32 s0, s0, vcc_lo
	v_cndmask_b32_e64 v114, v114, 22, s0
	v_cmp_eq_f64_e64 s0, 0, v[212:213]
	s_and_b32 s2, s2, s5
	v_cmp_eq_f64_e64 s5, 0, v[218:219]
	s_delay_alu instid0(VALU_DEP_3) | instskip(SKIP_1) | instid1(SALU_CYCLE_1)
	v_cmp_eq_u32_e32 vcc_lo, 0, v114
	s_and_b32 s2, s2, vcc_lo
	;; [unrolled: 7-line block ×3, first 2 shown]
	v_cndmask_b32_e64 v114, v114, 24, s4
	v_cmp_eq_f64_e64 s4, 0, v[220:221]
	s_and_b32 s1, s1, s6
	s_delay_alu instid0(VALU_DEP_2) | instskip(SKIP_1) | instid1(SALU_CYCLE_1)
	v_cmp_eq_u32_e32 vcc_lo, 0, v114
	s_and_b32 s1, s1, vcc_lo
	v_cndmask_b32_e64 v114, v114, 25, s1
	s_and_b32 s0, s0, s3
	s_delay_alu instid0(VALU_DEP_1) | instskip(SKIP_1) | instid1(SALU_CYCLE_1)
	v_cmp_eq_u32_e32 vcc_lo, 0, v114
	s_and_b32 s0, s0, vcc_lo
	v_cndmask_b32_e64 v114, v114, 26, s0
	s_and_b32 s0, s2, s5
	s_delay_alu instid0(VALU_DEP_1) | instskip(SKIP_1) | instid1(SALU_CYCLE_1)
	v_cmp_eq_u32_e32 vcc_lo, 0, v114
	s_and_b32 s0, s0, vcc_lo
	v_cndmask_b32_e64 v114, v114, 27, s0
	s_and_b32 s0, s4, s7
	s_delay_alu instid0(VALU_DEP_1) | instskip(SKIP_4) | instid1(VALU_DEP_1)
	v_cmp_eq_u32_e32 vcc_lo, 0, v114
	s_and_b32 s0, s0, vcc_lo
	s_waitcnt vmcnt(0)
	v_cmp_eq_u32_e32 vcc_lo, 0, v115
	v_cndmask_b32_e64 v114, v114, 28, s0
	v_cmp_ne_u32_e64 s0, 0, v114
	s_delay_alu instid0(VALU_DEP_1) | instskip(NEXT) | instid1(SALU_CYCLE_1)
	s_and_b32 s0, vcc_lo, s0
	s_and_b32 exec_lo, exec_lo, s0
	s_cbranch_execz .LBB55_256
; %bb.255:
	v_add_nc_u32_e32 v114, s43, v114
	global_store_b32 v[112:113], v114, off
.LBB55_256:
	s_or_b32 exec_lo, exec_lo, s42
	s_clause 0x8
	global_store_b128 v[248:249], v[108:111], off
	global_store_b128 v[226:227], v[104:107], off
	;; [unrolled: 1-line block ×9, first 2 shown]
	scratch_load_b64 v[76:77], off, off offset:152 ; 8-byte Folded Reload
	s_waitcnt vmcnt(0)
	global_store_b128 v[76:77], v[72:75], off
	scratch_load_b64 v[72:73], off, off offset:144 ; 8-byte Folded Reload
	s_waitcnt vmcnt(0)
	global_store_b128 v[72:73], v[68:71], off
	scratch_load_b64 v[68:69], off, off offset:136 ; 8-byte Folded Reload
	s_waitcnt vmcnt(0)
	s_clause 0x1
	global_store_b128 v[68:69], v[64:67], off
	global_store_b128 v[228:229], v[60:63], off
	scratch_load_b64 v[60:61], off, off offset:112 ; 8-byte Folded Reload
	s_waitcnt vmcnt(0)
	global_store_b128 v[60:61], v[56:59], off
	scratch_load_b64 v[56:57], off, off offset:104 ; 8-byte Folded Reload
	s_waitcnt vmcnt(0)
	;; [unrolled: 3-line block ×14, first 2 shown]
	global_store_b128 v[8:9], v[4:7], off
	scratch_load_b64 v[4:5], off, off       ; 8-byte Folded Reload
	s_waitcnt vmcnt(0)
	global_store_b128 v[4:5], v[0:3], off
.LBB55_257:
	s_nop 0
	s_sendmsg sendmsg(MSG_DEALLOC_VGPRS)
	s_endpgm
	.section	.rodata,"a",@progbits
	.p2align	6, 0x0
	.amdhsa_kernel _ZN9rocsolver6v33100L23getf2_npvt_small_kernelILi28E19rocblas_complex_numIdEiiPKPS3_EEvT1_T3_lS7_lPT2_S7_S7_
		.amdhsa_group_segment_fixed_size 0
		.amdhsa_private_segment_fixed_size 164
		.amdhsa_kernarg_size 312
		.amdhsa_user_sgpr_count 14
		.amdhsa_user_sgpr_dispatch_ptr 0
		.amdhsa_user_sgpr_queue_ptr 0
		.amdhsa_user_sgpr_kernarg_segment_ptr 1
		.amdhsa_user_sgpr_dispatch_id 0
		.amdhsa_user_sgpr_private_segment_size 0
		.amdhsa_wavefront_size32 1
		.amdhsa_uses_dynamic_stack 0
		.amdhsa_enable_private_segment 1
		.amdhsa_system_sgpr_workgroup_id_x 1
		.amdhsa_system_sgpr_workgroup_id_y 1
		.amdhsa_system_sgpr_workgroup_id_z 0
		.amdhsa_system_sgpr_workgroup_info 0
		.amdhsa_system_vgpr_workitem_id 1
		.amdhsa_next_free_vgpr 256
		.amdhsa_next_free_sgpr 44
		.amdhsa_reserve_vcc 1
		.amdhsa_float_round_mode_32 0
		.amdhsa_float_round_mode_16_64 0
		.amdhsa_float_denorm_mode_32 3
		.amdhsa_float_denorm_mode_16_64 3
		.amdhsa_dx10_clamp 1
		.amdhsa_ieee_mode 1
		.amdhsa_fp16_overflow 0
		.amdhsa_workgroup_processor_mode 1
		.amdhsa_memory_ordered 1
		.amdhsa_forward_progress 0
		.amdhsa_shared_vgpr_count 0
		.amdhsa_exception_fp_ieee_invalid_op 0
		.amdhsa_exception_fp_denorm_src 0
		.amdhsa_exception_fp_ieee_div_zero 0
		.amdhsa_exception_fp_ieee_overflow 0
		.amdhsa_exception_fp_ieee_underflow 0
		.amdhsa_exception_fp_ieee_inexact 0
		.amdhsa_exception_int_div_zero 0
	.end_amdhsa_kernel
	.section	.text._ZN9rocsolver6v33100L23getf2_npvt_small_kernelILi28E19rocblas_complex_numIdEiiPKPS3_EEvT1_T3_lS7_lPT2_S7_S7_,"axG",@progbits,_ZN9rocsolver6v33100L23getf2_npvt_small_kernelILi28E19rocblas_complex_numIdEiiPKPS3_EEvT1_T3_lS7_lPT2_S7_S7_,comdat
.Lfunc_end55:
	.size	_ZN9rocsolver6v33100L23getf2_npvt_small_kernelILi28E19rocblas_complex_numIdEiiPKPS3_EEvT1_T3_lS7_lPT2_S7_S7_, .Lfunc_end55-_ZN9rocsolver6v33100L23getf2_npvt_small_kernelILi28E19rocblas_complex_numIdEiiPKPS3_EEvT1_T3_lS7_lPT2_S7_S7_
                                        ; -- End function
	.section	.AMDGPU.csdata,"",@progbits
; Kernel info:
; codeLenInByte = 52868
; NumSgprs: 46
; NumVgprs: 256
; ScratchSize: 164
; MemoryBound: 1
; FloatMode: 240
; IeeeMode: 1
; LDSByteSize: 0 bytes/workgroup (compile time only)
; SGPRBlocks: 5
; VGPRBlocks: 31
; NumSGPRsForWavesPerEU: 46
; NumVGPRsForWavesPerEU: 256
; Occupancy: 5
; WaveLimiterHint : 1
; COMPUTE_PGM_RSRC2:SCRATCH_EN: 1
; COMPUTE_PGM_RSRC2:USER_SGPR: 14
; COMPUTE_PGM_RSRC2:TRAP_HANDLER: 0
; COMPUTE_PGM_RSRC2:TGID_X_EN: 1
; COMPUTE_PGM_RSRC2:TGID_Y_EN: 1
; COMPUTE_PGM_RSRC2:TGID_Z_EN: 0
; COMPUTE_PGM_RSRC2:TIDIG_COMP_CNT: 1
	.section	.text._ZN9rocsolver6v33100L18getf2_small_kernelILi29E19rocblas_complex_numIdEiiPKPS3_EEvT1_T3_lS7_lPS7_llPT2_S7_S7_S9_l,"axG",@progbits,_ZN9rocsolver6v33100L18getf2_small_kernelILi29E19rocblas_complex_numIdEiiPKPS3_EEvT1_T3_lS7_lPS7_llPT2_S7_S7_S9_l,comdat
	.globl	_ZN9rocsolver6v33100L18getf2_small_kernelILi29E19rocblas_complex_numIdEiiPKPS3_EEvT1_T3_lS7_lPS7_llPT2_S7_S7_S9_l ; -- Begin function _ZN9rocsolver6v33100L18getf2_small_kernelILi29E19rocblas_complex_numIdEiiPKPS3_EEvT1_T3_lS7_lPS7_llPT2_S7_S7_S9_l
	.p2align	8
	.type	_ZN9rocsolver6v33100L18getf2_small_kernelILi29E19rocblas_complex_numIdEiiPKPS3_EEvT1_T3_lS7_lPS7_llPT2_S7_S7_S9_l,@function
_ZN9rocsolver6v33100L18getf2_small_kernelILi29E19rocblas_complex_numIdEiiPKPS3_EEvT1_T3_lS7_lPS7_llPT2_S7_S7_S9_l: ; @_ZN9rocsolver6v33100L18getf2_small_kernelILi29E19rocblas_complex_numIdEiiPKPS3_EEvT1_T3_lS7_lPS7_llPT2_S7_S7_S9_l
; %bb.0:
	s_clause 0x1
	s_load_b32 s2, s[0:1], 0x6c
	s_load_b64 s[12:13], s[0:1], 0x48
	v_bfe_u32 v116, v0, 10, 10
	s_waitcnt lgkmcnt(0)
	s_lshr_b32 s2, s2, 16
	s_delay_alu instid0(VALU_DEP_1) | instid1(SALU_CYCLE_1)
	v_mad_u64_u32 v[231:232], null, s15, s2, v[116:117]
	s_mov_b32 s2, exec_lo
	s_delay_alu instid0(VALU_DEP_1)
	v_cmpx_gt_i32_e64 s12, v231
	s_cbranch_execz .LBB56_612
; %bb.1:
	s_clause 0x1
	s_load_b128 s[4:7], s[0:1], 0x8
	s_load_b128 s[8:11], s[0:1], 0x50
	v_ashrrev_i32_e32 v232, 31, v231
	v_mov_b32_e32 v102, 0
	v_mov_b32_e32 v103, 0
	s_delay_alu instid0(VALU_DEP_3) | instskip(SKIP_1) | instid1(VALU_DEP_1)
	v_lshlrev_b64 v[1:2], 3, v[231:232]
	s_waitcnt lgkmcnt(0)
	v_add_co_u32 v1, vcc_lo, s4, v1
	s_delay_alu instid0(VALU_DEP_2)
	v_add_co_ci_u32_e32 v2, vcc_lo, s5, v2, vcc_lo
	s_cmp_eq_u64 s[8:9], 0
	s_cselect_b32 s4, -1, 0
	global_load_b64 v[1:2], v[1:2], off
	s_and_b32 vcc_lo, exec_lo, s4
	s_cbranch_vccnz .LBB56_3
; %bb.2:
	v_mul_lo_u32 v5, v232, s10
	v_mul_lo_u32 v6, v231, s11
	v_mad_u64_u32 v[3:4], null, v231, s10, 0
	s_delay_alu instid0(VALU_DEP_1) | instskip(NEXT) | instid1(VALU_DEP_1)
	v_add3_u32 v4, v4, v6, v5
	v_lshlrev_b64 v[3:4], 2, v[3:4]
	s_delay_alu instid0(VALU_DEP_1) | instskip(NEXT) | instid1(VALU_DEP_2)
	v_add_co_u32 v102, vcc_lo, s8, v3
	v_add_co_ci_u32_e32 v103, vcc_lo, s9, v4, vcc_lo
.LBB56_3:
	s_clause 0x1
	s_load_b32 s8, s[0:1], 0x18
	s_load_b32 s5, s[0:1], 0x0
	v_and_b32_e32 v255, 0x3ff, v0
	s_lshl_b64 s[2:3], s[6:7], 4
	s_waitcnt vmcnt(0)
	v_add_co_u32 v128, vcc_lo, v1, s2
	s_delay_alu instid0(VALU_DEP_2) | instskip(SKIP_1) | instid1(VALU_DEP_2)
	v_lshlrev_b32_e32 v40, 4, v255
	v_add_co_ci_u32_e32 v98, vcc_lo, s3, v2, vcc_lo
	v_add_co_u32 v2, vcc_lo, v128, v40
	s_delay_alu instid0(VALU_DEP_2)
	v_add_co_ci_u32_e32 v3, vcc_lo, 0, v98, vcc_lo
	s_waitcnt lgkmcnt(0)
	v_add3_u32 v0, s8, s8, v255
	s_ashr_i32 s9, s8, 31
	s_max_i32 s2, s5, 29
	s_lshl_b64 s[10:11], s[8:9], 4
	v_mul_lo_u32 v41, s2, v116
	v_add_nc_u32_e32 v4, s8, v0
	v_add_co_u32 v6, vcc_lo, v2, s10
	v_ashrrev_i32_e32 v1, 31, v0
	v_add_co_ci_u32_e32 v7, vcc_lo, s11, v3, vcc_lo
	s_delay_alu instid0(VALU_DEP_4) | instskip(SKIP_1) | instid1(VALU_DEP_4)
	v_ashrrev_i32_e32 v5, 31, v4
	v_add_nc_u32_e32 v8, s8, v4
	v_lshlrev_b64 v[0:1], 4, v[0:1]
	s_clause 0x1
	global_load_b128 v[233:236], v[2:3], off
	global_load_b128 v[239:242], v[6:7], off
	v_lshlrev_b32_e32 v130, 4, v41
	v_lshlrev_b64 v[2:3], 4, v[4:5]
	v_ashrrev_i32_e32 v9, 31, v8
	v_add_nc_u32_e32 v4, s8, v8
	v_add_co_u32 v0, vcc_lo, v128, v0
	v_add_co_ci_u32_e32 v1, vcc_lo, v98, v1, vcc_lo
	s_delay_alu instid0(VALU_DEP_4) | instskip(NEXT) | instid1(VALU_DEP_4)
	v_lshlrev_b64 v[6:7], 4, v[8:9]
	v_add_nc_u32_e32 v8, s8, v4
	v_ashrrev_i32_e32 v5, 31, v4
	v_add_co_u32 v2, vcc_lo, v128, v2
	v_add_co_ci_u32_e32 v3, vcc_lo, v98, v3, vcc_lo
	s_delay_alu instid0(VALU_DEP_4) | instskip(NEXT) | instid1(VALU_DEP_4)
	v_add_nc_u32_e32 v10, s8, v8
	v_lshlrev_b64 v[4:5], 4, v[4:5]
	v_ashrrev_i32_e32 v9, 31, v8
	s_clause 0x1
	global_load_b128 v[108:111], v[0:1], off
	global_load_b128 v[104:107], v[2:3], off
	v_add_co_u32 v0, vcc_lo, v128, v6
	v_ashrrev_i32_e32 v11, 31, v10
	v_add_nc_u32_e32 v6, s8, v10
	v_add_co_ci_u32_e32 v1, vcc_lo, v98, v7, vcc_lo
	v_lshlrev_b64 v[2:3], 4, v[8:9]
	v_add_co_u32 v4, vcc_lo, v128, v4
	v_add_co_ci_u32_e32 v5, vcc_lo, v98, v5, vcc_lo
	v_lshlrev_b64 v[8:9], 4, v[10:11]
	v_add_nc_u32_e32 v10, s8, v6
	v_ashrrev_i32_e32 v7, 31, v6
	s_clause 0x1
	global_load_b128 v[243:246], v[0:1], off
	global_load_b128 v[247:250], v[4:5], off
	v_add_co_u32 v0, vcc_lo, v128, v2
	v_ashrrev_i32_e32 v11, 31, v10
	v_add_nc_u32_e32 v4, s8, v10
	v_add_co_ci_u32_e32 v1, vcc_lo, v98, v3, vcc_lo
	v_lshlrev_b64 v[2:3], 4, v[6:7]
	v_add_co_u32 v6, vcc_lo, v128, v8
	v_add_co_ci_u32_e32 v7, vcc_lo, v98, v9, vcc_lo
	v_lshlrev_b64 v[8:9], 4, v[10:11]
	v_ashrrev_i32_e32 v5, 31, v4
	v_add_nc_u32_e32 v10, s8, v4
	s_clause 0x1
	global_load_b128 v[251:254], v[0:1], off
	global_load_b128 v[88:91], v[6:7], off
	v_add_co_u32 v0, vcc_lo, v128, v2
	v_add_co_ci_u32_e32 v1, vcc_lo, v98, v3, vcc_lo
	v_lshlrev_b64 v[2:3], 4, v[4:5]
	v_ashrrev_i32_e32 v11, 31, v10
	v_add_nc_u32_e32 v4, s8, v10
	v_add_co_u32 v6, vcc_lo, v128, v8
	v_add_co_ci_u32_e32 v7, vcc_lo, v98, v9, vcc_lo
	s_delay_alu instid0(VALU_DEP_4) | instskip(NEXT) | instid1(VALU_DEP_4)
	v_lshlrev_b64 v[8:9], 4, v[10:11]
	v_ashrrev_i32_e32 v5, 31, v4
	v_add_nc_u32_e32 v10, s8, v4
	s_clause 0x1
	global_load_b128 v[92:95], v[0:1], off
	global_load_b128 v[68:71], v[6:7], off
	v_add_co_u32 v0, vcc_lo, v128, v2
	v_add_co_ci_u32_e32 v1, vcc_lo, v98, v3, vcc_lo
	v_lshlrev_b64 v[2:3], 4, v[4:5]
	v_ashrrev_i32_e32 v11, 31, v10
	v_add_nc_u32_e32 v4, s8, v10
	v_add_co_u32 v6, vcc_lo, v128, v8
	v_add_co_ci_u32_e32 v7, vcc_lo, v98, v9, vcc_lo
	s_delay_alu instid0(VALU_DEP_4) | instskip(NEXT) | instid1(VALU_DEP_4)
	;; [unrolled: 14-line block ×3, first 2 shown]
	v_lshlrev_b64 v[8:9], 4, v[10:11]
	v_add_nc_u32_e32 v10, s8, v4
	v_ashrrev_i32_e32 v5, 31, v4
	v_add_co_u32 v2, vcc_lo, v128, v2
	v_add_co_ci_u32_e32 v3, vcc_lo, v98, v3, vcc_lo
	s_delay_alu instid0(VALU_DEP_4) | instskip(SKIP_3) | instid1(VALU_DEP_4)
	v_add_nc_u32_e32 v12, s8, v10
	v_ashrrev_i32_e32 v11, 31, v10
	v_lshlrev_b64 v[4:5], 4, v[4:5]
	v_add_co_u32 v8, vcc_lo, v128, v8
	v_add_nc_u32_e32 v14, s8, v12
	v_ashrrev_i32_e32 v13, 31, v12
	v_lshlrev_b64 v[10:11], 4, v[10:11]
	v_add_co_ci_u32_e32 v9, vcc_lo, v98, v9, vcc_lo
	s_delay_alu instid0(VALU_DEP_4) | instskip(SKIP_3) | instid1(VALU_DEP_4)
	v_add_nc_u32_e32 v16, s8, v14
	v_ashrrev_i32_e32 v15, 31, v14
	v_add_co_u32 v4, vcc_lo, v128, v4
	v_lshlrev_b64 v[12:13], 4, v[12:13]
	v_add_nc_u32_e32 v18, s8, v16
	v_ashrrev_i32_e32 v17, 31, v16
	v_add_co_ci_u32_e32 v5, vcc_lo, v98, v5, vcc_lo
	v_add_co_u32 v10, vcc_lo, v128, v10
	s_delay_alu instid0(VALU_DEP_4) | instskip(SKIP_3) | instid1(VALU_DEP_4)
	v_add_nc_u32_e32 v20, s8, v18
	v_lshlrev_b64 v[14:15], 4, v[14:15]
	v_ashrrev_i32_e32 v19, 31, v18
	v_add_co_ci_u32_e32 v11, vcc_lo, v98, v11, vcc_lo
	v_add_nc_u32_e32 v22, s8, v20
	v_add_co_u32 v12, vcc_lo, v128, v12
	v_lshlrev_b64 v[16:17], 4, v[16:17]
	v_ashrrev_i32_e32 v21, 31, v20
	s_delay_alu instid0(VALU_DEP_4)
	v_add_nc_u32_e32 v24, s8, v22
	v_add_co_ci_u32_e32 v13, vcc_lo, v98, v13, vcc_lo
	v_add_co_u32 v14, vcc_lo, v128, v14
	v_lshlrev_b64 v[18:19], 4, v[18:19]
	v_ashrrev_i32_e32 v23, 31, v22
	v_add_co_ci_u32_e32 v15, vcc_lo, v98, v15, vcc_lo
	v_add_nc_u32_e32 v26, s8, v24
	v_add_co_u32 v16, vcc_lo, v128, v16
	v_lshlrev_b64 v[20:21], 4, v[20:21]
	v_ashrrev_i32_e32 v25, 31, v24
	v_add_co_ci_u32_e32 v17, vcc_lo, v98, v17, vcc_lo
	v_add_co_u32 v18, vcc_lo, v128, v18
	v_lshlrev_b64 v[22:23], 4, v[22:23]
	v_add_nc_u32_e32 v28, s8, v26
	v_add_co_ci_u32_e32 v19, vcc_lo, v98, v19, vcc_lo
	v_add_co_u32 v20, vcc_lo, v128, v20
	v_lshlrev_b64 v[24:25], 4, v[24:25]
	v_add_co_ci_u32_e32 v21, vcc_lo, v98, v21, vcc_lo
	v_ashrrev_i32_e32 v27, 31, v26
	v_add_co_u32 v22, vcc_lo, v128, v22
	v_ashrrev_i32_e32 v29, 31, v28
	v_add_nc_u32_e32 v30, s8, v28
	v_add_co_ci_u32_e32 v23, vcc_lo, v98, v23, vcc_lo
	v_add_co_u32 v117, vcc_lo, v128, v24
	v_lshlrev_b64 v[26:27], 4, v[26:27]
	v_add_co_ci_u32_e32 v118, vcc_lo, v98, v25, vcc_lo
	v_lshlrev_b64 v[24:25], 4, v[28:29]
	v_add_nc_u32_e32 v28, s8, v30
	v_ashrrev_i32_e32 v31, 31, v30
	v_add_co_u32 v124, vcc_lo, v128, v26
	v_add_co_ci_u32_e32 v125, vcc_lo, v98, v27, vcc_lo
	s_delay_alu instid0(VALU_DEP_4) | instskip(NEXT) | instid1(VALU_DEP_4)
	v_ashrrev_i32_e32 v29, 31, v28
	v_lshlrev_b64 v[26:27], 4, v[30:31]
	v_add_co_u32 v126, vcc_lo, v128, v24
	v_add_co_ci_u32_e32 v127, vcc_lo, v98, v25, vcc_lo
	s_delay_alu instid0(VALU_DEP_4) | instskip(NEXT) | instid1(VALU_DEP_4)
	v_lshlrev_b64 v[24:25], 4, v[28:29]
	v_add_co_u32 v131, vcc_lo, v128, v26
	v_add_co_ci_u32_e32 v132, vcc_lo, v98, v27, vcc_lo
	s_cmp_lt_i32 s5, 2
	s_delay_alu instid0(VALU_DEP_3) | instskip(NEXT) | instid1(VALU_DEP_4)
	v_add_co_u32 v133, vcc_lo, v128, v24
	v_add_co_ci_u32_e32 v134, vcc_lo, v98, v25, vcc_lo
	s_clause 0x10
	global_load_b128 v[84:87], v[0:1], off
	global_load_b128 v[80:83], v[6:7], off
	;; [unrolled: 1-line block ×17, first 2 shown]
	v_mov_b32_e32 v124, 0
	v_lshl_add_u32 v132, v41, 4, 0
	s_delay_alu instid0(VALU_DEP_1)
	v_add_nc_u32_e32 v40, v132, v40
	s_waitcnt vmcnt(28)
	ds_store_2addr_b64 v40, v[233:234], v[235:236] offset1:1
	s_waitcnt vmcnt(0) lgkmcnt(0)
	s_barrier
	buffer_gl0_inv
	ds_load_2addr_b64 v[116:119], v132 offset1:1
	s_cbranch_scc1 .LBB56_6
; %bb.4:
	v_add3_u32 v125, v130, 0, 16
	v_mov_b32_e32 v124, 0
	s_mov_b32 s6, 1
	s_set_inst_prefetch_distance 0x1
	.p2align	6
.LBB56_5:                               ; =>This Inner Loop Header: Depth=1
	ds_load_2addr_b64 v[134:137], v125 offset1:1
	s_waitcnt lgkmcnt(1)
	v_cmp_gt_f64_e32 vcc_lo, 0, v[116:117]
	v_xor_b32_e32 v40, 0x80000000, v117
	v_cmp_gt_f64_e64 s2, 0, v[118:119]
	v_xor_b32_e32 v41, 0x80000000, v119
	v_add_nc_u32_e32 v125, 16, v125
	s_waitcnt lgkmcnt(0)
	v_cmp_gt_f64_e64 s3, 0, v[134:135]
	v_mov_b32_e32 v140, v134
	v_dual_mov_b32 v142, v136 :: v_dual_cndmask_b32 v127, v117, v40
	v_xor_b32_e32 v40, 0x80000000, v135
	v_cndmask_b32_e64 v139, v119, v41, s2
	v_xor_b32_e32 v41, 0x80000000, v137
	v_cndmask_b32_e32 v126, v116, v116, vcc_lo
	v_cndmask_b32_e64 v138, v118, v118, s2
	s_delay_alu instid0(VALU_DEP_1) | instskip(SKIP_2) | instid1(VALU_DEP_1)
	v_add_f64 v[126:127], v[126:127], v[138:139]
	v_cndmask_b32_e64 v141, v135, v40, s3
	v_cmp_gt_f64_e64 s3, 0, v[136:137]
	v_cndmask_b32_e64 v143, v137, v41, s3
	s_delay_alu instid0(VALU_DEP_1) | instskip(NEXT) | instid1(VALU_DEP_1)
	v_add_f64 v[140:141], v[140:141], v[142:143]
	v_cmp_lt_f64_e32 vcc_lo, v[126:127], v[140:141]
	v_cndmask_b32_e32 v119, v119, v137, vcc_lo
	v_dual_cndmask_b32 v117, v117, v135 :: v_dual_cndmask_b32 v116, v116, v134
	v_cndmask_b32_e32 v118, v118, v136, vcc_lo
	v_cndmask_b32_e64 v124, v124, s6, vcc_lo
	s_add_i32 s6, s6, 1
	s_delay_alu instid0(SALU_CYCLE_1)
	s_cmp_eq_u32 s5, s6
	s_cbranch_scc0 .LBB56_5
.LBB56_6:
	s_set_inst_prefetch_distance 0x2
	s_waitcnt lgkmcnt(0)
	v_cmp_neq_f64_e32 vcc_lo, 0, v[116:117]
	v_cmp_neq_f64_e64 s2, 0, v[118:119]
	v_dual_mov_b32 v129, 1 :: v_dual_mov_b32 v56, 1
	s_delay_alu instid0(VALU_DEP_2) | instskip(NEXT) | instid1(SALU_CYCLE_1)
	s_or_b32 s2, vcc_lo, s2
	s_and_saveexec_b32 s3, s2
	s_cbranch_execz .LBB56_12
; %bb.7:
	v_cmp_gt_f64_e32 vcc_lo, 0, v[116:117]
	v_cmp_gt_f64_e64 s2, 0, v[118:119]
	v_xor_b32_e32 v40, 0x80000000, v117
	v_xor_b32_e32 v41, 0x80000000, v119
                                        ; implicit-def: $sgpr6
                                        ; implicit-def: $sgpr7
	s_delay_alu instid0(VALU_DEP_2) | instskip(NEXT) | instid1(VALU_DEP_2)
	v_cndmask_b32_e32 v126, v117, v40, vcc_lo
	v_cndmask_b32_e64 v135, v119, v41, s2
	v_cndmask_b32_e32 v125, v116, v116, vcc_lo
	v_cndmask_b32_e64 v134, v118, v118, s2
	s_mov_b32 s2, exec_lo
	s_delay_alu instid0(VALU_DEP_1)
	v_cmpx_ngt_f64_e32 v[125:126], v[134:135]
	s_xor_b32 s2, exec_lo, s2
	s_cbranch_execz .LBB56_9
; %bb.8:
	v_div_scale_f64 v[125:126], null, v[118:119], v[118:119], v[116:117]
	v_div_scale_f64 v[138:139], vcc_lo, v[116:117], v[118:119], v[116:117]
	s_mov_b32 s7, 2
	s_mov_b32 s6, 0
	s_delay_alu instid0(VALU_DEP_2) | instskip(SKIP_2) | instid1(VALU_DEP_1)
	v_rcp_f64_e32 v[134:135], v[125:126]
	s_waitcnt_depctr 0xfff
	v_fma_f64 v[136:137], -v[125:126], v[134:135], 1.0
	v_fma_f64 v[134:135], v[134:135], v[136:137], v[134:135]
	s_delay_alu instid0(VALU_DEP_1) | instskip(NEXT) | instid1(VALU_DEP_1)
	v_fma_f64 v[136:137], -v[125:126], v[134:135], 1.0
	v_fma_f64 v[134:135], v[134:135], v[136:137], v[134:135]
	s_delay_alu instid0(VALU_DEP_1) | instskip(NEXT) | instid1(VALU_DEP_1)
	v_mul_f64 v[136:137], v[138:139], v[134:135]
	v_fma_f64 v[125:126], -v[125:126], v[136:137], v[138:139]
	s_delay_alu instid0(VALU_DEP_1) | instskip(NEXT) | instid1(VALU_DEP_1)
	v_div_fmas_f64 v[125:126], v[125:126], v[134:135], v[136:137]
	v_div_fixup_f64 v[125:126], v[125:126], v[118:119], v[116:117]
	s_delay_alu instid0(VALU_DEP_1) | instskip(NEXT) | instid1(VALU_DEP_1)
	v_fma_f64 v[116:117], v[116:117], v[125:126], v[118:119]
	v_div_scale_f64 v[118:119], null, v[116:117], v[116:117], 1.0
	s_delay_alu instid0(VALU_DEP_1) | instskip(SKIP_2) | instid1(VALU_DEP_1)
	v_rcp_f64_e32 v[134:135], v[118:119]
	s_waitcnt_depctr 0xfff
	v_fma_f64 v[136:137], -v[118:119], v[134:135], 1.0
	v_fma_f64 v[134:135], v[134:135], v[136:137], v[134:135]
	s_delay_alu instid0(VALU_DEP_1) | instskip(NEXT) | instid1(VALU_DEP_1)
	v_fma_f64 v[136:137], -v[118:119], v[134:135], 1.0
	v_fma_f64 v[134:135], v[134:135], v[136:137], v[134:135]
	v_div_scale_f64 v[136:137], vcc_lo, 1.0, v[116:117], 1.0
	s_delay_alu instid0(VALU_DEP_1) | instskip(NEXT) | instid1(VALU_DEP_1)
	v_mul_f64 v[138:139], v[136:137], v[134:135]
	v_fma_f64 v[118:119], -v[118:119], v[138:139], v[136:137]
	s_delay_alu instid0(VALU_DEP_1) | instskip(NEXT) | instid1(VALU_DEP_1)
	v_div_fmas_f64 v[118:119], v[118:119], v[134:135], v[138:139]
	v_div_fixup_f64 v[118:119], v[118:119], v[116:117], 1.0
	s_delay_alu instid0(VALU_DEP_1)
	v_mul_f64 v[116:117], v[125:126], v[118:119]
	v_xor_b32_e32 v119, 0x80000000, v119
.LBB56_9:
	s_or_saveexec_b32 s2, s2
	v_dual_mov_b32 v56, s6 :: v_dual_mov_b32 v129, s7
	s_xor_b32 exec_lo, exec_lo, s2
	s_cbranch_execz .LBB56_11
; %bb.10:
	s_delay_alu instid0(VALU_DEP_3) | instskip(SKIP_2) | instid1(VALU_DEP_3)
	v_div_scale_f64 v[125:126], null, v[116:117], v[116:117], v[118:119]
	v_div_scale_f64 v[138:139], vcc_lo, v[118:119], v[116:117], v[118:119]
	v_dual_mov_b32 v56, 0 :: v_dual_mov_b32 v129, 2
	v_rcp_f64_e32 v[134:135], v[125:126]
	s_waitcnt_depctr 0xfff
	v_fma_f64 v[136:137], -v[125:126], v[134:135], 1.0
	s_delay_alu instid0(VALU_DEP_1) | instskip(NEXT) | instid1(VALU_DEP_1)
	v_fma_f64 v[134:135], v[134:135], v[136:137], v[134:135]
	v_fma_f64 v[136:137], -v[125:126], v[134:135], 1.0
	s_delay_alu instid0(VALU_DEP_1) | instskip(NEXT) | instid1(VALU_DEP_1)
	v_fma_f64 v[134:135], v[134:135], v[136:137], v[134:135]
	v_mul_f64 v[136:137], v[138:139], v[134:135]
	s_delay_alu instid0(VALU_DEP_1) | instskip(NEXT) | instid1(VALU_DEP_1)
	v_fma_f64 v[125:126], -v[125:126], v[136:137], v[138:139]
	v_div_fmas_f64 v[125:126], v[125:126], v[134:135], v[136:137]
	s_delay_alu instid0(VALU_DEP_1) | instskip(NEXT) | instid1(VALU_DEP_1)
	v_div_fixup_f64 v[125:126], v[125:126], v[116:117], v[118:119]
	v_fma_f64 v[116:117], v[118:119], v[125:126], v[116:117]
	s_delay_alu instid0(VALU_DEP_1) | instskip(NEXT) | instid1(VALU_DEP_1)
	v_div_scale_f64 v[118:119], null, v[116:117], v[116:117], 1.0
	v_rcp_f64_e32 v[134:135], v[118:119]
	s_waitcnt_depctr 0xfff
	v_fma_f64 v[136:137], -v[118:119], v[134:135], 1.0
	s_delay_alu instid0(VALU_DEP_1) | instskip(NEXT) | instid1(VALU_DEP_1)
	v_fma_f64 v[134:135], v[134:135], v[136:137], v[134:135]
	v_fma_f64 v[136:137], -v[118:119], v[134:135], 1.0
	s_delay_alu instid0(VALU_DEP_1) | instskip(SKIP_1) | instid1(VALU_DEP_1)
	v_fma_f64 v[134:135], v[134:135], v[136:137], v[134:135]
	v_div_scale_f64 v[136:137], vcc_lo, 1.0, v[116:117], 1.0
	v_mul_f64 v[138:139], v[136:137], v[134:135]
	s_delay_alu instid0(VALU_DEP_1) | instskip(NEXT) | instid1(VALU_DEP_1)
	v_fma_f64 v[118:119], -v[118:119], v[138:139], v[136:137]
	v_div_fmas_f64 v[118:119], v[118:119], v[134:135], v[138:139]
	s_delay_alu instid0(VALU_DEP_1) | instskip(NEXT) | instid1(VALU_DEP_1)
	v_div_fixup_f64 v[116:117], v[118:119], v[116:117], 1.0
	v_mul_f64 v[118:119], v[125:126], -v[116:117]
.LBB56_11:
	s_or_b32 exec_lo, exec_lo, s2
.LBB56_12:
	s_delay_alu instid0(SALU_CYCLE_1) | instskip(NEXT) | instid1(SALU_CYCLE_1)
	s_or_b32 exec_lo, exec_lo, s3
	s_mov_b32 s2, exec_lo
	v_cmpx_ne_u32_e64 v255, v124
	s_xor_b32 s2, exec_lo, s2
	s_cbranch_execz .LBB56_18
; %bb.13:
	s_mov_b32 s3, exec_lo
	v_cmpx_eq_u32_e32 0, v255
	s_cbranch_execz .LBB56_17
; %bb.14:
	v_cmp_ne_u32_e32 vcc_lo, 0, v124
	s_xor_b32 s6, s4, -1
	s_delay_alu instid0(SALU_CYCLE_1) | instskip(NEXT) | instid1(SALU_CYCLE_1)
	s_and_b32 s7, s6, vcc_lo
	s_and_saveexec_b32 s6, s7
	s_cbranch_execz .LBB56_16
; %bb.15:
	v_ashrrev_i32_e32 v125, 31, v124
	s_delay_alu instid0(VALU_DEP_1) | instskip(NEXT) | instid1(VALU_DEP_1)
	v_lshlrev_b64 v[134:135], 2, v[124:125]
	v_add_co_u32 v134, vcc_lo, v102, v134
	s_delay_alu instid0(VALU_DEP_2)
	v_add_co_ci_u32_e32 v135, vcc_lo, v103, v135, vcc_lo
	s_clause 0x1
	flat_load_b32 v40, v[134:135]
	flat_load_b32 v41, v[102:103]
	s_waitcnt vmcnt(1) lgkmcnt(1)
	flat_store_b32 v[102:103], v40
	s_waitcnt vmcnt(0) lgkmcnt(1)
	flat_store_b32 v[134:135], v41
.LBB56_16:
	s_or_b32 exec_lo, exec_lo, s6
	v_mov_b32_e32 v255, v124
.LBB56_17:
	s_or_b32 exec_lo, exec_lo, s3
.LBB56_18:
	s_or_saveexec_b32 s2, s2
	s_delay_alu instid0(VALU_DEP_1)
	v_mov_b32_e32 v134, v255
	s_xor_b32 exec_lo, exec_lo, s2
	s_cbranch_execz .LBB56_20
; %bb.19:
	v_mov_b32_e32 v134, 0
	ds_store_2addr_b64 v132, v[239:240], v[241:242] offset0:2 offset1:3
	ds_store_2addr_b64 v132, v[108:109], v[110:111] offset0:4 offset1:5
	;; [unrolled: 1-line block ×28, first 2 shown]
.LBB56_20:
	s_or_b32 exec_lo, exec_lo, s2
	s_delay_alu instid0(SALU_CYCLE_1)
	s_mov_b32 s2, exec_lo
	s_waitcnt lgkmcnt(0)
	s_waitcnt_vscnt null, 0x0
	s_barrier
	buffer_gl0_inv
	v_cmpx_lt_i32_e32 0, v134
	s_cbranch_execz .LBB56_22
; %bb.21:
	v_mul_f64 v[124:125], v[116:117], v[235:236]
	v_mul_f64 v[159:160], v[118:119], v[235:236]
	ds_load_2addr_b64 v[135:138], v132 offset0:2 offset1:3
	ds_load_2addr_b64 v[139:142], v132 offset0:4 offset1:5
	;; [unrolled: 1-line block ×6, first 2 shown]
	v_dual_mov_b32 v133, v98 :: v_dual_mov_b32 v96, v243
	v_dual_mov_b32 v98, v245 :: v_dual_mov_b32 v97, v244
	;; [unrolled: 1-line block ×4, first 2 shown]
	v_mov_b32_e32 v63, v107
	v_mov_b32_e32 v104, v247
	v_dual_mov_b32 v106, v249 :: v_dual_mov_b32 v107, v250
	v_mov_b32_e32 v105, v248
	v_fma_f64 v[235:236], v[118:119], v[233:234], v[124:125]
	v_fma_f64 v[44:45], v[116:117], v[233:234], -v[159:160]
	ds_load_2addr_b64 v[116:119], v132 offset0:14 offset1:15
	ds_load_2addr_b64 v[159:162], v132 offset0:16 offset1:17
	scratch_store_b128 off, v[223:226], off offset:8 ; 16-byte Folded Spill
	ds_load_2addr_b64 v[163:166], v132 offset0:18 offset1:19
	ds_load_2addr_b64 v[167:170], v132 offset0:20 offset1:21
	s_clause 0x1
	scratch_store_b128 off, v[36:39], off offset:24
	scratch_store_b128 off, v[48:51], off offset:40
	v_mov_b32_e32 v38, v130
	v_dual_mov_b32 v48, v52 :: v_dual_mov_b32 v49, v53
	v_mov_b32_e32 v39, v56
	v_dual_mov_b32 v56, v108 :: v_dual_mov_b32 v57, v109
	v_dual_mov_b32 v50, v54 :: v_dual_mov_b32 v51, v55
	;; [unrolled: 1-line block ×6, first 2 shown]
	ds_load_2addr_b64 v[171:174], v132 offset0:22 offset1:23
	ds_load_2addr_b64 v[175:178], v132 offset0:24 offset1:25
	scratch_store_b64 off, v[231:232], off  ; 8-byte Folded Spill
	v_dual_mov_b32 v111, v242 :: v_dual_mov_b32 v110, v241
	ds_load_2addr_b64 v[179:182], v132 offset0:26 offset1:27
	ds_load_2addr_b64 v[183:186], v132 offset0:28 offset1:29
	;; [unrolled: 1-line block ×10, first 2 shown]
	s_waitcnt lgkmcnt(19)
	v_mul_f64 v[225:226], v[145:146], v[235:236]
	v_mul_f64 v[227:228], v[143:144], v[235:236]
	s_waitcnt lgkmcnt(18)
	v_mul_f64 v[229:230], v[149:150], v[235:236]
	v_mul_f64 v[231:232], v[147:148], v[235:236]
	;; [unrolled: 3-line block ×3, first 2 shown]
	s_waitcnt lgkmcnt(16)
	v_mul_f64 v[237:238], v[157:158], v[235:236]
	s_waitcnt lgkmcnt(15)
	v_mul_f64 v[241:242], v[118:119], v[235:236]
	v_mul_f64 v[243:244], v[116:117], v[235:236]
	;; [unrolled: 1-line block ×3, first 2 shown]
	s_waitcnt lgkmcnt(12)
	v_mul_f64 v[120:121], v[167:168], v[235:236]
	v_mul_f64 v[124:125], v[137:138], v[235:236]
	;; [unrolled: 1-line block ×5, first 2 shown]
	s_waitcnt lgkmcnt(9)
	v_mul_f64 v[112:113], v[179:180], v[235:236]
	v_mul_f64 v[245:246], v[161:162], v[235:236]
	v_mul_f64 v[36:37], v[169:170], v[235:236]
	v_mul_f64 v[247:248], v[159:160], v[235:236]
	v_mul_f64 v[126:127], v[181:182], v[235:236]
	v_mul_f64 v[249:250], v[165:166], v[235:236]
	v_mul_f64 v[130:131], v[163:164], v[235:236]
	v_mul_f64 v[122:123], v[173:174], v[235:236]
	v_mul_f64 v[46:47], v[171:172], v[235:236]
	v_mul_f64 v[40:41], v[177:178], v[235:236]
	v_mul_f64 v[42:43], v[175:176], v[235:236]
	v_fma_f64 v[114:115], v[143:144], v[44:45], -v[225:226]
	v_fma_f64 v[225:226], v[145:146], v[44:45], v[227:228]
	v_fma_f64 v[227:228], v[147:148], v[44:45], -v[229:230]
	v_fma_f64 v[229:230], v[149:150], v[44:45], v[231:232]
	v_fma_f64 v[231:232], v[151:152], v[44:45], -v[233:234]
	v_mov_b32_e32 v234, v103
	s_waitcnt lgkmcnt(8)
	v_mul_f64 v[143:144], v[185:186], v[235:236]
	v_mul_f64 v[145:146], v[183:184], v[235:236]
	v_fma_f64 v[100:101], v[153:154], v[44:45], v[100:101]
	v_fma_f64 v[155:156], v[155:156], v[44:45], -v[237:238]
	s_waitcnt lgkmcnt(7)
	v_mul_f64 v[147:148], v[189:190], v[235:236]
	v_mul_f64 v[149:150], v[187:188], v[235:236]
	v_mov_b32_e32 v233, v102
	v_fma_f64 v[102:103], v[116:117], v[44:45], -v[241:242]
	v_fma_f64 v[237:238], v[118:119], v[44:45], v[243:244]
	s_waitcnt lgkmcnt(6)
	v_mul_f64 v[116:117], v[193:194], v[235:236]
	v_mul_f64 v[118:119], v[191:192], v[235:236]
	s_waitcnt lgkmcnt(5)
	v_mul_f64 v[151:152], v[197:198], v[235:236]
	v_mul_f64 v[153:154], v[195:196], v[235:236]
	v_fma_f64 v[157:158], v[157:158], v[44:45], v[239:240]
	s_waitcnt lgkmcnt(4)
	v_mul_f64 v[239:240], v[201:202], v[235:236]
	v_mul_f64 v[241:242], v[199:200], v[235:236]
	v_fma_f64 v[120:121], v[169:170], v[44:45], v[120:121]
	s_waitcnt lgkmcnt(3)
	v_mul_f64 v[169:170], v[205:206], v[235:236]
	v_mul_f64 v[243:244], v[203:204], v[235:236]
	v_fma_f64 v[124:125], v[135:136], v[44:45], -v[124:125]
	v_fma_f64 v[219:220], v[137:138], v[44:45], v[219:220]
	v_fma_f64 v[221:222], v[139:140], v[44:45], -v[221:222]
	v_fma_f64 v[223:224], v[141:142], v[44:45], v[223:224]
	ds_load_2addr_b64 v[135:138], v132 offset0:46 offset1:47
	ds_load_2addr_b64 v[139:142], v132 offset0:48 offset1:49
	v_fma_f64 v[112:113], v[181:182], v[44:45], v[112:113]
	s_waitcnt lgkmcnt(2)
	v_mul_f64 v[181:182], v[215:216], v[235:236]
	v_fma_f64 v[159:160], v[159:160], v[44:45], -v[245:246]
	v_fma_f64 v[161:162], v[161:162], v[44:45], v[247:248]
	v_fma_f64 v[126:127], v[179:180], v[44:45], -v[126:127]
	v_mul_f64 v[179:180], v[217:218], v[235:236]
	v_fma_f64 v[163:164], v[163:164], v[44:45], -v[249:250]
	v_fma_f64 v[165:166], v[165:166], v[44:45], v[130:131]
	v_mov_b32_e32 v130, v38
	v_fma_f64 v[167:168], v[167:168], v[44:45], -v[36:37]
	v_fma_f64 v[122:123], v[171:172], v[44:45], -v[122:123]
	v_fma_f64 v[46:47], v[173:174], v[44:45], v[46:47]
	v_mul_f64 v[171:172], v[209:210], v[235:236]
	v_mul_f64 v[173:174], v[207:208], v[235:236]
	v_fma_f64 v[183:184], v[183:184], v[44:45], -v[143:144]
	v_fma_f64 v[185:186], v[185:186], v[44:45], v[145:146]
	v_fma_f64 v[40:41], v[175:176], v[44:45], -v[40:41]
	v_fma_f64 v[42:43], v[177:178], v[44:45], v[42:43]
	;; [unrolled: 2-line block ×3, first 2 shown]
	s_waitcnt lgkmcnt(1)
	v_mul_f64 v[245:246], v[137:138], v[235:236]
	v_mul_f64 v[247:248], v[135:136], v[235:236]
	;; [unrolled: 1-line block ×3, first 2 shown]
	v_fma_f64 v[191:192], v[191:192], v[44:45], -v[116:117]
	v_fma_f64 v[193:194], v[193:194], v[44:45], v[118:119]
	ds_load_2addr_b64 v[116:119], v132 offset0:50 offset1:51
	ds_load_2addr_b64 v[143:146], v132 offset0:52 offset1:53
	v_fma_f64 v[195:196], v[195:196], v[44:45], -v[151:152]
	v_fma_f64 v[197:198], v[197:198], v[44:45], v[153:154]
	ds_load_2addr_b64 v[147:150], v132 offset0:54 offset1:55
	ds_load_2addr_b64 v[151:154], v132 offset0:56 offset1:57
	v_fma_f64 v[199:200], v[199:200], v[44:45], -v[239:240]
	v_fma_f64 v[201:202], v[201:202], v[44:45], v[241:242]
	v_fma_f64 v[169:170], v[203:204], v[44:45], -v[169:170]
	v_fma_f64 v[203:204], v[205:206], v[44:45], v[243:244]
	v_mul_f64 v[177:178], v[211:212], v[235:236]
	s_waitcnt lgkmcnt(4)
	v_mul_f64 v[205:206], v[141:142], v[235:236]
	v_add_f64 v[88:89], v[88:89], -v[102:103]
	v_add_f64 v[251:252], v[251:252], -v[155:156]
	;; [unrolled: 1-line block ×3, first 2 shown]
	v_fma_f64 v[181:182], v[217:218], v[44:45], v[181:182]
	v_add_f64 v[90:91], v[90:91], -v[237:238]
	v_add_f64 v[92:93], v[92:93], -v[159:160]
	;; [unrolled: 1-line block ×3, first 2 shown]
	v_fma_f64 v[179:180], v[215:216], v[44:45], -v[179:180]
	v_add_f64 v[68:69], v[68:69], -v[163:164]
	s_waitcnt lgkmcnt(2)
	v_mul_f64 v[215:216], v[143:144], v[235:236]
	v_add_f64 v[70:71], v[70:71], -v[165:166]
	v_add_f64 v[76:77], v[76:77], -v[167:168]
	s_waitcnt lgkmcnt(1)
	v_mul_f64 v[239:240], v[147:148], v[235:236]
	s_waitcnt lgkmcnt(0)
	v_mul_f64 v[241:242], v[153:154], v[235:236]
	v_mul_f64 v[243:244], v[151:152], v[235:236]
	;; [unrolled: 1-line block ×3, first 2 shown]
	v_fma_f64 v[171:172], v[207:208], v[44:45], -v[171:172]
	v_fma_f64 v[173:174], v[209:210], v[44:45], v[173:174]
	v_mul_f64 v[207:208], v[139:140], v[235:236]
	v_mul_f64 v[209:210], v[118:119], v[235:236]
	v_add_f64 v[78:79], v[78:79], -v[120:121]
	v_add_f64 v[72:73], v[72:73], -v[122:123]
	v_fma_f64 v[135:136], v[135:136], v[44:45], -v[245:246]
	v_fma_f64 v[137:138], v[137:138], v[44:45], v[247:248]
	v_dual_mov_b32 v250, v107 :: v_dual_mov_b32 v249, v106
	v_dual_mov_b32 v248, v105 :: v_dual_mov_b32 v247, v104
	;; [unrolled: 1-line block ×3, first 2 shown]
	v_fma_f64 v[175:176], v[211:212], v[44:45], -v[175:176]
	v_mul_f64 v[211:212], v[116:117], v[235:236]
	s_delay_alu instid0(VALU_DEP_4)
	v_add_f64 v[247:248], v[247:248], -v[231:232]
	v_dual_mov_b32 v105, v61 :: v_dual_mov_b32 v104, v60
	v_add_f64 v[106:107], v[106:107], -v[225:226]
	v_fma_f64 v[177:178], v[213:214], v[44:45], v[177:178]
	v_mul_f64 v[213:214], v[145:146], v[235:236]
	v_fma_f64 v[139:140], v[139:140], v[44:45], -v[205:206]
	v_dual_mov_b32 v102, v233 :: v_dual_mov_b32 v103, v234
	v_mov_b32_e32 v234, v45
	v_add_f64 v[104:105], v[104:105], -v[114:115]
	v_add_f64 v[249:250], v[249:250], -v[100:101]
	;; [unrolled: 1-line block ×5, first 2 shown]
	v_fma_f64 v[145:146], v[145:146], v[44:45], v[215:216]
	v_add_f64 v[80:81], v[80:81], -v[126:127]
	v_add_f64 v[82:83], v[82:83], -v[112:113]
	v_fma_f64 v[149:150], v[149:150], v[44:45], v[239:240]
	v_fma_f64 v[151:152], v[151:152], v[44:45], -v[241:242]
	v_dual_mov_b32 v242, v111 :: v_dual_mov_b32 v241, v110
	v_dual_mov_b32 v240, v109 :: v_dual_mov_b32 v239, v108
	v_dual_mov_b32 v111, v59 :: v_dual_mov_b32 v110, v58
	v_fma_f64 v[153:154], v[153:154], v[44:45], v[243:244]
	v_dual_mov_b32 v246, v99 :: v_dual_mov_b32 v243, v96
	v_dual_mov_b32 v109, v57 :: v_dual_mov_b32 v108, v56
	;; [unrolled: 1-line block ×3, first 2 shown]
	v_mov_b32_e32 v244, v97
	v_mov_b32_e32 v98, v133
	v_add_f64 v[110:111], v[110:111], -v[223:224]
	scratch_load_b128 v[223:226], off, off offset:8 ; 16-byte Folded Reload
	v_add_f64 v[245:246], v[245:246], -v[229:230]
	v_add_f64 v[243:244], v[243:244], -v[227:228]
	v_dual_mov_b32 v230, v55 :: v_dual_mov_b32 v229, v54
	v_dual_mov_b32 v228, v53 :: v_dual_mov_b32 v227, v52
	;; [unrolled: 1-line block ×3, first 2 shown]
	v_mov_b32_e32 v233, v44
	v_dual_mov_b32 v53, v49 :: v_dual_mov_b32 v52, v48
	s_clause 0x2
	scratch_load_b128 v[48:51], off, off offset:40
	scratch_load_b128 v[36:39], off, off offset:24
	scratch_load_b64 v[231:232], off, off
	v_fma_f64 v[141:142], v[141:142], v[44:45], v[207:208]
	v_fma_f64 v[116:117], v[116:117], v[44:45], -v[209:210]
	v_fma_f64 v[118:119], v[118:119], v[44:45], v[211:212]
	v_fma_f64 v[143:144], v[143:144], v[44:45], -v[213:214]
	v_fma_f64 v[147:148], v[147:148], v[44:45], -v[217:218]
	v_add_f64 v[239:240], v[239:240], -v[124:125]
	v_add_f64 v[241:242], v[241:242], -v[219:220]
	;; [unrolled: 1-line block ×27, first 2 shown]
	s_waitcnt vmcnt(3)
	v_add_f64 v[223:224], v[223:224], -v[187:188]
	v_add_f64 v[225:226], v[225:226], -v[189:190]
	s_waitcnt vmcnt(2)
	v_add_f64 v[48:49], v[48:49], -v[199:200]
	v_add_f64 v[50:51], v[50:51], -v[201:202]
	;; [unrolled: 3-line block ×3, first 2 shown]
.LBB56_22:
	s_or_b32 exec_lo, exec_lo, s2
	v_lshl_add_u32 v40, v134, 4, v132
	s_waitcnt vmcnt(0)
	s_waitcnt_vscnt null, 0x0
	s_barrier
	buffer_gl0_inv
	v_mov_b32_e32 v124, 1
	ds_store_2addr_b64 v40, v[239:240], v[241:242] offset1:1
	s_waitcnt lgkmcnt(0)
	s_barrier
	buffer_gl0_inv
	ds_load_2addr_b64 v[116:119], v132 offset0:2 offset1:3
	s_cmp_lt_i32 s5, 3
	s_cbranch_scc1 .LBB56_25
; %bb.23:
	v_add3_u32 v125, v130, 0, 32
	v_mov_b32_e32 v124, 1
	s_mov_b32 s6, 2
	s_set_inst_prefetch_distance 0x1
	.p2align	6
.LBB56_24:                              ; =>This Inner Loop Header: Depth=1
	ds_load_2addr_b64 v[135:138], v125 offset1:1
	s_waitcnt lgkmcnt(1)
	v_cmp_gt_f64_e32 vcc_lo, 0, v[116:117]
	v_xor_b32_e32 v40, 0x80000000, v117
	v_cmp_gt_f64_e64 s2, 0, v[118:119]
	v_xor_b32_e32 v42, 0x80000000, v119
	v_add_nc_u32_e32 v125, 16, v125
	s_waitcnt lgkmcnt(0)
	v_cmp_gt_f64_e64 s3, 0, v[135:136]
	v_mov_b32_e32 v44, v135
	v_mov_b32_e32 v46, v137
	v_cndmask_b32_e32 v41, v117, v40, vcc_lo
	v_xor_b32_e32 v40, 0x80000000, v136
	v_cndmask_b32_e64 v43, v119, v42, s2
	v_xor_b32_e32 v42, 0x80000000, v138
	s_delay_alu instid0(VALU_DEP_3) | instskip(SKIP_2) | instid1(VALU_DEP_2)
	v_cndmask_b32_e64 v45, v136, v40, s3
	v_cmp_gt_f64_e64 s3, 0, v[137:138]
	v_cndmask_b32_e32 v40, v116, v116, vcc_lo
	v_cndmask_b32_e64 v47, v138, v42, s3
	v_cndmask_b32_e64 v42, v118, v118, s2
	s_delay_alu instid0(VALU_DEP_2) | instskip(NEXT) | instid1(VALU_DEP_2)
	v_add_f64 v[44:45], v[44:45], v[46:47]
	v_add_f64 v[40:41], v[40:41], v[42:43]
	s_delay_alu instid0(VALU_DEP_1) | instskip(SKIP_4) | instid1(SALU_CYCLE_1)
	v_cmp_lt_f64_e32 vcc_lo, v[40:41], v[44:45]
	v_dual_cndmask_b32 v117, v117, v136 :: v_dual_cndmask_b32 v116, v116, v135
	v_dual_cndmask_b32 v119, v119, v138 :: v_dual_cndmask_b32 v118, v118, v137
	v_cndmask_b32_e64 v124, v124, s6, vcc_lo
	s_add_i32 s6, s6, 1
	s_cmp_lg_u32 s5, s6
	s_cbranch_scc1 .LBB56_24
.LBB56_25:
	s_set_inst_prefetch_distance 0x2
	s_waitcnt lgkmcnt(0)
	v_cmp_neq_f64_e32 vcc_lo, 0, v[116:117]
	v_cmp_neq_f64_e64 s2, 0, v[118:119]
	s_delay_alu instid0(VALU_DEP_1) | instskip(NEXT) | instid1(SALU_CYCLE_1)
	s_or_b32 s2, vcc_lo, s2
	s_and_saveexec_b32 s3, s2
	s_cbranch_execz .LBB56_31
; %bb.26:
	v_cmp_gt_f64_e32 vcc_lo, 0, v[116:117]
	v_cmp_gt_f64_e64 s2, 0, v[118:119]
	v_xor_b32_e32 v40, 0x80000000, v117
	v_xor_b32_e32 v42, 0x80000000, v119
	s_delay_alu instid0(VALU_DEP_2) | instskip(NEXT) | instid1(VALU_DEP_2)
	v_cndmask_b32_e32 v41, v117, v40, vcc_lo
	v_cndmask_b32_e64 v43, v119, v42, s2
	v_cndmask_b32_e32 v40, v116, v116, vcc_lo
	v_cndmask_b32_e64 v42, v118, v118, s2
	s_mov_b32 s2, exec_lo
	s_delay_alu instid0(VALU_DEP_1)
	v_cmpx_ngt_f64_e32 v[40:41], v[42:43]
	s_xor_b32 s2, exec_lo, s2
	s_cbranch_execz .LBB56_28
; %bb.27:
	v_div_scale_f64 v[40:41], null, v[118:119], v[118:119], v[116:117]
	v_div_scale_f64 v[46:47], vcc_lo, v[116:117], v[118:119], v[116:117]
	s_delay_alu instid0(VALU_DEP_2) | instskip(SKIP_2) | instid1(VALU_DEP_1)
	v_rcp_f64_e32 v[42:43], v[40:41]
	s_waitcnt_depctr 0xfff
	v_fma_f64 v[44:45], -v[40:41], v[42:43], 1.0
	v_fma_f64 v[42:43], v[42:43], v[44:45], v[42:43]
	s_delay_alu instid0(VALU_DEP_1) | instskip(NEXT) | instid1(VALU_DEP_1)
	v_fma_f64 v[44:45], -v[40:41], v[42:43], 1.0
	v_fma_f64 v[42:43], v[42:43], v[44:45], v[42:43]
	s_delay_alu instid0(VALU_DEP_1) | instskip(NEXT) | instid1(VALU_DEP_1)
	v_mul_f64 v[44:45], v[46:47], v[42:43]
	v_fma_f64 v[40:41], -v[40:41], v[44:45], v[46:47]
	s_delay_alu instid0(VALU_DEP_1) | instskip(NEXT) | instid1(VALU_DEP_1)
	v_div_fmas_f64 v[40:41], v[40:41], v[42:43], v[44:45]
	v_div_fixup_f64 v[40:41], v[40:41], v[118:119], v[116:117]
	s_delay_alu instid0(VALU_DEP_1) | instskip(NEXT) | instid1(VALU_DEP_1)
	v_fma_f64 v[42:43], v[116:117], v[40:41], v[118:119]
	v_div_scale_f64 v[44:45], null, v[42:43], v[42:43], 1.0
	s_delay_alu instid0(VALU_DEP_1) | instskip(SKIP_2) | instid1(VALU_DEP_1)
	v_rcp_f64_e32 v[46:47], v[44:45]
	s_waitcnt_depctr 0xfff
	v_fma_f64 v[112:113], -v[44:45], v[46:47], 1.0
	v_fma_f64 v[46:47], v[46:47], v[112:113], v[46:47]
	s_delay_alu instid0(VALU_DEP_1) | instskip(NEXT) | instid1(VALU_DEP_1)
	v_fma_f64 v[112:113], -v[44:45], v[46:47], 1.0
	v_fma_f64 v[46:47], v[46:47], v[112:113], v[46:47]
	v_div_scale_f64 v[112:113], vcc_lo, 1.0, v[42:43], 1.0
	s_delay_alu instid0(VALU_DEP_1) | instskip(NEXT) | instid1(VALU_DEP_1)
	v_mul_f64 v[114:115], v[112:113], v[46:47]
	v_fma_f64 v[44:45], -v[44:45], v[114:115], v[112:113]
	s_delay_alu instid0(VALU_DEP_1) | instskip(NEXT) | instid1(VALU_DEP_1)
	v_div_fmas_f64 v[44:45], v[44:45], v[46:47], v[114:115]
	v_div_fixup_f64 v[118:119], v[44:45], v[42:43], 1.0
	s_delay_alu instid0(VALU_DEP_1)
	v_mul_f64 v[116:117], v[40:41], v[118:119]
	v_xor_b32_e32 v119, 0x80000000, v119
.LBB56_28:
	s_and_not1_saveexec_b32 s2, s2
	s_cbranch_execz .LBB56_30
; %bb.29:
	s_delay_alu instid0(VALU_DEP_1) | instskip(SKIP_1) | instid1(VALU_DEP_2)
	v_div_scale_f64 v[40:41], null, v[116:117], v[116:117], v[118:119]
	v_div_scale_f64 v[46:47], vcc_lo, v[118:119], v[116:117], v[118:119]
	v_rcp_f64_e32 v[42:43], v[40:41]
	s_waitcnt_depctr 0xfff
	v_fma_f64 v[44:45], -v[40:41], v[42:43], 1.0
	s_delay_alu instid0(VALU_DEP_1) | instskip(NEXT) | instid1(VALU_DEP_1)
	v_fma_f64 v[42:43], v[42:43], v[44:45], v[42:43]
	v_fma_f64 v[44:45], -v[40:41], v[42:43], 1.0
	s_delay_alu instid0(VALU_DEP_1) | instskip(NEXT) | instid1(VALU_DEP_1)
	v_fma_f64 v[42:43], v[42:43], v[44:45], v[42:43]
	v_mul_f64 v[44:45], v[46:47], v[42:43]
	s_delay_alu instid0(VALU_DEP_1) | instskip(NEXT) | instid1(VALU_DEP_1)
	v_fma_f64 v[40:41], -v[40:41], v[44:45], v[46:47]
	v_div_fmas_f64 v[40:41], v[40:41], v[42:43], v[44:45]
	s_delay_alu instid0(VALU_DEP_1) | instskip(NEXT) | instid1(VALU_DEP_1)
	v_div_fixup_f64 v[40:41], v[40:41], v[116:117], v[118:119]
	v_fma_f64 v[42:43], v[118:119], v[40:41], v[116:117]
	s_delay_alu instid0(VALU_DEP_1) | instskip(NEXT) | instid1(VALU_DEP_1)
	v_div_scale_f64 v[44:45], null, v[42:43], v[42:43], 1.0
	v_rcp_f64_e32 v[46:47], v[44:45]
	s_waitcnt_depctr 0xfff
	v_fma_f64 v[112:113], -v[44:45], v[46:47], 1.0
	s_delay_alu instid0(VALU_DEP_1) | instskip(NEXT) | instid1(VALU_DEP_1)
	v_fma_f64 v[46:47], v[46:47], v[112:113], v[46:47]
	v_fma_f64 v[112:113], -v[44:45], v[46:47], 1.0
	s_delay_alu instid0(VALU_DEP_1) | instskip(SKIP_1) | instid1(VALU_DEP_1)
	v_fma_f64 v[46:47], v[46:47], v[112:113], v[46:47]
	v_div_scale_f64 v[112:113], vcc_lo, 1.0, v[42:43], 1.0
	v_mul_f64 v[114:115], v[112:113], v[46:47]
	s_delay_alu instid0(VALU_DEP_1) | instskip(NEXT) | instid1(VALU_DEP_1)
	v_fma_f64 v[44:45], -v[44:45], v[114:115], v[112:113]
	v_div_fmas_f64 v[44:45], v[44:45], v[46:47], v[114:115]
	s_delay_alu instid0(VALU_DEP_1) | instskip(NEXT) | instid1(VALU_DEP_1)
	v_div_fixup_f64 v[116:117], v[44:45], v[42:43], 1.0
	v_mul_f64 v[118:119], v[40:41], -v[116:117]
.LBB56_30:
	s_or_b32 exec_lo, exec_lo, s2
	v_mov_b32_e32 v129, v56
.LBB56_31:
	s_or_b32 exec_lo, exec_lo, s3
	s_delay_alu instid0(SALU_CYCLE_1)
	s_mov_b32 s2, exec_lo
	v_cmpx_ne_u32_e64 v134, v124
	s_xor_b32 s2, exec_lo, s2
	s_cbranch_execz .LBB56_37
; %bb.32:
	s_mov_b32 s3, exec_lo
	v_cmpx_eq_u32_e32 1, v134
	s_cbranch_execz .LBB56_36
; %bb.33:
	v_cmp_ne_u32_e32 vcc_lo, 1, v124
	s_xor_b32 s6, s4, -1
	s_delay_alu instid0(SALU_CYCLE_1) | instskip(NEXT) | instid1(SALU_CYCLE_1)
	s_and_b32 s7, s6, vcc_lo
	s_and_saveexec_b32 s6, s7
	s_cbranch_execz .LBB56_35
; %bb.34:
	v_ashrrev_i32_e32 v125, 31, v124
	s_delay_alu instid0(VALU_DEP_1) | instskip(NEXT) | instid1(VALU_DEP_1)
	v_lshlrev_b64 v[40:41], 2, v[124:125]
	v_add_co_u32 v40, vcc_lo, v102, v40
	s_delay_alu instid0(VALU_DEP_2)
	v_add_co_ci_u32_e32 v41, vcc_lo, v103, v41, vcc_lo
	s_clause 0x1
	flat_load_b32 v42, v[40:41]
	flat_load_b32 v43, v[102:103] offset:4
	s_waitcnt vmcnt(1) lgkmcnt(1)
	flat_store_b32 v[102:103], v42 offset:4
	s_waitcnt vmcnt(0) lgkmcnt(1)
	flat_store_b32 v[40:41], v43
.LBB56_35:
	s_or_b32 exec_lo, exec_lo, s6
	v_mov_b32_e32 v134, v124
	v_mov_b32_e32 v255, v124
.LBB56_36:
	s_or_b32 exec_lo, exec_lo, s3
.LBB56_37:
	s_and_not1_saveexec_b32 s2, s2
	s_cbranch_execz .LBB56_39
; %bb.38:
	v_mov_b32_e32 v134, 1
	ds_store_2addr_b64 v132, v[108:109], v[110:111] offset0:4 offset1:5
	ds_store_2addr_b64 v132, v[104:105], v[106:107] offset0:6 offset1:7
	;; [unrolled: 1-line block ×27, first 2 shown]
.LBB56_39:
	s_or_b32 exec_lo, exec_lo, s2
	s_delay_alu instid0(SALU_CYCLE_1)
	s_mov_b32 s2, exec_lo
	s_waitcnt lgkmcnt(0)
	s_waitcnt_vscnt null, 0x0
	s_barrier
	buffer_gl0_inv
	v_cmpx_lt_i32_e32 1, v134
	s_cbranch_execz .LBB56_41
; %bb.40:
	v_mul_f64 v[40:41], v[118:119], v[241:242]
	s_delay_alu instid0(VALU_DEP_1) | instskip(SKIP_1) | instid1(VALU_DEP_1)
	v_fma_f64 v[124:125], v[116:117], v[239:240], -v[40:41]
	v_mul_f64 v[40:41], v[116:117], v[241:242]
	v_fma_f64 v[241:242], v[118:119], v[239:240], v[40:41]
	ds_load_2addr_b64 v[116:119], v132 offset0:4 offset1:5
	ds_load_2addr_b64 v[135:138], v132 offset0:6 offset1:7
	v_dual_mov_b32 v240, v125 :: v_dual_mov_b32 v239, v124
	s_waitcnt lgkmcnt(1)
	v_mul_f64 v[40:41], v[118:119], v[241:242]
	v_mul_f64 v[42:43], v[116:117], v[241:242]
	s_waitcnt lgkmcnt(0)
	v_mul_f64 v[44:45], v[137:138], v[241:242]
	v_mul_f64 v[46:47], v[135:136], v[241:242]
	s_delay_alu instid0(VALU_DEP_4) | instskip(NEXT) | instid1(VALU_DEP_4)
	v_fma_f64 v[40:41], v[116:117], v[124:125], -v[40:41]
	v_fma_f64 v[42:43], v[118:119], v[124:125], v[42:43]
	s_delay_alu instid0(VALU_DEP_4) | instskip(NEXT) | instid1(VALU_DEP_4)
	v_fma_f64 v[44:45], v[135:136], v[124:125], -v[44:45]
	v_fma_f64 v[46:47], v[137:138], v[124:125], v[46:47]
	ds_load_2addr_b64 v[116:119], v132 offset0:8 offset1:9
	ds_load_2addr_b64 v[135:138], v132 offset0:10 offset1:11
	s_waitcnt lgkmcnt(1)
	v_mul_f64 v[112:113], v[118:119], v[241:242]
	v_mul_f64 v[114:115], v[116:117], v[241:242]
	v_add_f64 v[108:109], v[108:109], -v[40:41]
	v_add_f64 v[110:111], v[110:111], -v[42:43]
	v_add_f64 v[104:105], v[104:105], -v[44:45]
	v_add_f64 v[106:107], v[106:107], -v[46:47]
	v_fma_f64 v[112:113], v[116:117], v[124:125], -v[112:113]
	s_waitcnt lgkmcnt(0)
	v_mul_f64 v[116:117], v[137:138], v[241:242]
	v_fma_f64 v[114:115], v[118:119], v[124:125], v[114:115]
	s_delay_alu instid0(VALU_DEP_3) | instskip(NEXT) | instid1(VALU_DEP_3)
	v_add_f64 v[243:244], v[243:244], -v[112:113]
	v_fma_f64 v[120:121], v[135:136], v[124:125], -v[116:117]
	v_mul_f64 v[116:117], v[135:136], v[241:242]
	s_delay_alu instid0(VALU_DEP_4) | instskip(NEXT) | instid1(VALU_DEP_3)
	v_add_f64 v[245:246], v[245:246], -v[114:115]
	v_add_f64 v[247:248], v[247:248], -v[120:121]
	s_delay_alu instid0(VALU_DEP_3)
	v_fma_f64 v[122:123], v[137:138], v[124:125], v[116:117]
	ds_load_2addr_b64 v[116:119], v132 offset0:12 offset1:13
	ds_load_2addr_b64 v[135:138], v132 offset0:14 offset1:15
	s_waitcnt lgkmcnt(1)
	v_mul_f64 v[126:127], v[118:119], v[241:242]
	v_add_f64 v[249:250], v[249:250], -v[122:123]
	s_delay_alu instid0(VALU_DEP_2) | instskip(SKIP_1) | instid1(VALU_DEP_2)
	v_fma_f64 v[126:127], v[116:117], v[124:125], -v[126:127]
	v_mul_f64 v[116:117], v[116:117], v[241:242]
	v_add_f64 v[251:252], v[251:252], -v[126:127]
	s_delay_alu instid0(VALU_DEP_2) | instskip(SKIP_2) | instid1(VALU_DEP_2)
	v_fma_f64 v[139:140], v[118:119], v[124:125], v[116:117]
	s_waitcnt lgkmcnt(0)
	v_mul_f64 v[116:117], v[137:138], v[241:242]
	v_add_f64 v[253:254], v[253:254], -v[139:140]
	s_delay_alu instid0(VALU_DEP_2) | instskip(SKIP_1) | instid1(VALU_DEP_2)
	v_fma_f64 v[141:142], v[135:136], v[124:125], -v[116:117]
	v_mul_f64 v[116:117], v[135:136], v[241:242]
	v_add_f64 v[88:89], v[88:89], -v[141:142]
	s_delay_alu instid0(VALU_DEP_2)
	v_fma_f64 v[143:144], v[137:138], v[124:125], v[116:117]
	ds_load_2addr_b64 v[116:119], v132 offset0:16 offset1:17
	ds_load_2addr_b64 v[135:138], v132 offset0:18 offset1:19
	s_waitcnt lgkmcnt(1)
	v_mul_f64 v[145:146], v[118:119], v[241:242]
	v_add_f64 v[90:91], v[90:91], -v[143:144]
	s_delay_alu instid0(VALU_DEP_2) | instskip(SKIP_1) | instid1(VALU_DEP_2)
	v_fma_f64 v[145:146], v[116:117], v[124:125], -v[145:146]
	v_mul_f64 v[116:117], v[116:117], v[241:242]
	v_add_f64 v[92:93], v[92:93], -v[145:146]
	s_delay_alu instid0(VALU_DEP_2) | instskip(SKIP_2) | instid1(VALU_DEP_2)
	v_fma_f64 v[147:148], v[118:119], v[124:125], v[116:117]
	s_waitcnt lgkmcnt(0)
	v_mul_f64 v[116:117], v[137:138], v[241:242]
	v_add_f64 v[94:95], v[94:95], -v[147:148]
	s_delay_alu instid0(VALU_DEP_2) | instskip(SKIP_1) | instid1(VALU_DEP_2)
	v_fma_f64 v[149:150], v[135:136], v[124:125], -v[116:117]
	v_mul_f64 v[116:117], v[135:136], v[241:242]
	v_add_f64 v[68:69], v[68:69], -v[149:150]
	s_delay_alu instid0(VALU_DEP_2)
	;; [unrolled: 20-line block ×10, first 2 shown]
	v_fma_f64 v[215:216], v[137:138], v[124:125], v[116:117]
	ds_load_2addr_b64 v[116:119], v132 offset0:52 offset1:53
	ds_load_2addr_b64 v[135:138], v132 offset0:54 offset1:55
	s_waitcnt lgkmcnt(1)
	v_mul_f64 v[217:218], v[118:119], v[241:242]
	v_add_f64 v[14:15], v[14:15], -v[215:216]
	s_delay_alu instid0(VALU_DEP_2) | instskip(SKIP_1) | instid1(VALU_DEP_2)
	v_fma_f64 v[217:218], v[116:117], v[124:125], -v[217:218]
	v_mul_f64 v[116:117], v[116:117], v[241:242]
	v_add_f64 v[8:9], v[8:9], -v[217:218]
	s_delay_alu instid0(VALU_DEP_2) | instskip(SKIP_2) | instid1(VALU_DEP_2)
	v_fma_f64 v[219:220], v[118:119], v[124:125], v[116:117]
	s_waitcnt lgkmcnt(0)
	v_mul_f64 v[116:117], v[137:138], v[241:242]
	v_add_f64 v[10:11], v[10:11], -v[219:220]
	s_delay_alu instid0(VALU_DEP_2) | instskip(SKIP_1) | instid1(VALU_DEP_2)
	v_fma_f64 v[221:222], v[135:136], v[124:125], -v[116:117]
	v_mul_f64 v[116:117], v[135:136], v[241:242]
	v_add_f64 v[4:5], v[4:5], -v[221:222]
	s_delay_alu instid0(VALU_DEP_2) | instskip(SKIP_4) | instid1(VALU_DEP_2)
	v_fma_f64 v[135:136], v[137:138], v[124:125], v[116:117]
	ds_load_2addr_b64 v[116:119], v132 offset0:56 offset1:57
	s_waitcnt lgkmcnt(0)
	v_mul_f64 v[137:138], v[118:119], v[241:242]
	v_add_f64 v[6:7], v[6:7], -v[135:136]
	v_fma_f64 v[137:138], v[116:117], v[124:125], -v[137:138]
	v_mul_f64 v[116:117], v[116:117], v[241:242]
	s_delay_alu instid0(VALU_DEP_2) | instskip(NEXT) | instid1(VALU_DEP_2)
	v_add_f64 v[0:1], v[0:1], -v[137:138]
	v_fma_f64 v[116:117], v[118:119], v[124:125], v[116:117]
	s_delay_alu instid0(VALU_DEP_1)
	v_add_f64 v[2:3], v[2:3], -v[116:117]
.LBB56_41:
	s_or_b32 exec_lo, exec_lo, s2
	v_lshl_add_u32 v40, v134, 4, v132
	s_barrier
	buffer_gl0_inv
	v_mov_b32_e32 v124, 2
	ds_store_2addr_b64 v40, v[108:109], v[110:111] offset1:1
	s_waitcnt lgkmcnt(0)
	s_barrier
	buffer_gl0_inv
	ds_load_2addr_b64 v[116:119], v132 offset0:4 offset1:5
	s_cmp_lt_i32 s5, 4
	s_cbranch_scc1 .LBB56_44
; %bb.42:
	v_add3_u32 v125, v130, 0, 48
	v_mov_b32_e32 v124, 2
	s_mov_b32 s6, 3
	s_set_inst_prefetch_distance 0x1
	.p2align	6
.LBB56_43:                              ; =>This Inner Loop Header: Depth=1
	ds_load_2addr_b64 v[135:138], v125 offset1:1
	s_waitcnt lgkmcnt(1)
	v_cmp_gt_f64_e32 vcc_lo, 0, v[116:117]
	v_xor_b32_e32 v40, 0x80000000, v117
	v_cmp_gt_f64_e64 s2, 0, v[118:119]
	v_xor_b32_e32 v42, 0x80000000, v119
	v_add_nc_u32_e32 v125, 16, v125
	s_waitcnt lgkmcnt(0)
	v_cmp_gt_f64_e64 s3, 0, v[135:136]
	v_mov_b32_e32 v44, v135
	v_mov_b32_e32 v46, v137
	v_cndmask_b32_e32 v41, v117, v40, vcc_lo
	v_xor_b32_e32 v40, 0x80000000, v136
	v_cndmask_b32_e64 v43, v119, v42, s2
	v_xor_b32_e32 v42, 0x80000000, v138
	s_delay_alu instid0(VALU_DEP_3) | instskip(SKIP_2) | instid1(VALU_DEP_2)
	v_cndmask_b32_e64 v45, v136, v40, s3
	v_cmp_gt_f64_e64 s3, 0, v[137:138]
	v_cndmask_b32_e32 v40, v116, v116, vcc_lo
	v_cndmask_b32_e64 v47, v138, v42, s3
	v_cndmask_b32_e64 v42, v118, v118, s2
	s_delay_alu instid0(VALU_DEP_2) | instskip(NEXT) | instid1(VALU_DEP_2)
	v_add_f64 v[44:45], v[44:45], v[46:47]
	v_add_f64 v[40:41], v[40:41], v[42:43]
	s_delay_alu instid0(VALU_DEP_1) | instskip(SKIP_4) | instid1(SALU_CYCLE_1)
	v_cmp_lt_f64_e32 vcc_lo, v[40:41], v[44:45]
	v_dual_cndmask_b32 v117, v117, v136 :: v_dual_cndmask_b32 v116, v116, v135
	v_dual_cndmask_b32 v119, v119, v138 :: v_dual_cndmask_b32 v118, v118, v137
	v_cndmask_b32_e64 v124, v124, s6, vcc_lo
	s_add_i32 s6, s6, 1
	s_cmp_lg_u32 s5, s6
	s_cbranch_scc1 .LBB56_43
.LBB56_44:
	s_set_inst_prefetch_distance 0x2
	s_waitcnt lgkmcnt(0)
	v_cmp_eq_f64_e32 vcc_lo, 0, v[116:117]
	v_cmp_eq_f64_e64 s2, 0, v[118:119]
	s_delay_alu instid0(VALU_DEP_1) | instskip(NEXT) | instid1(SALU_CYCLE_1)
	s_and_b32 s2, vcc_lo, s2
	s_and_saveexec_b32 s3, s2
	s_delay_alu instid0(SALU_CYCLE_1)
	s_xor_b32 s2, exec_lo, s3
; %bb.45:
	v_cmp_ne_u32_e32 vcc_lo, 0, v129
	v_cndmask_b32_e32 v129, 3, v129, vcc_lo
; %bb.46:
	s_and_not1_saveexec_b32 s3, s2
	s_cbranch_execz .LBB56_52
; %bb.47:
	v_cmp_gt_f64_e32 vcc_lo, 0, v[116:117]
	v_cmp_gt_f64_e64 s2, 0, v[118:119]
	v_xor_b32_e32 v40, 0x80000000, v117
	v_xor_b32_e32 v42, 0x80000000, v119
	s_delay_alu instid0(VALU_DEP_2) | instskip(NEXT) | instid1(VALU_DEP_2)
	v_cndmask_b32_e32 v41, v117, v40, vcc_lo
	v_cndmask_b32_e64 v43, v119, v42, s2
	v_cndmask_b32_e32 v40, v116, v116, vcc_lo
	v_cndmask_b32_e64 v42, v118, v118, s2
	s_mov_b32 s2, exec_lo
	s_delay_alu instid0(VALU_DEP_1)
	v_cmpx_ngt_f64_e32 v[40:41], v[42:43]
	s_xor_b32 s2, exec_lo, s2
	s_cbranch_execz .LBB56_49
; %bb.48:
	v_div_scale_f64 v[40:41], null, v[118:119], v[118:119], v[116:117]
	v_div_scale_f64 v[46:47], vcc_lo, v[116:117], v[118:119], v[116:117]
	s_delay_alu instid0(VALU_DEP_2) | instskip(SKIP_2) | instid1(VALU_DEP_1)
	v_rcp_f64_e32 v[42:43], v[40:41]
	s_waitcnt_depctr 0xfff
	v_fma_f64 v[44:45], -v[40:41], v[42:43], 1.0
	v_fma_f64 v[42:43], v[42:43], v[44:45], v[42:43]
	s_delay_alu instid0(VALU_DEP_1) | instskip(NEXT) | instid1(VALU_DEP_1)
	v_fma_f64 v[44:45], -v[40:41], v[42:43], 1.0
	v_fma_f64 v[42:43], v[42:43], v[44:45], v[42:43]
	s_delay_alu instid0(VALU_DEP_1) | instskip(NEXT) | instid1(VALU_DEP_1)
	v_mul_f64 v[44:45], v[46:47], v[42:43]
	v_fma_f64 v[40:41], -v[40:41], v[44:45], v[46:47]
	s_delay_alu instid0(VALU_DEP_1) | instskip(NEXT) | instid1(VALU_DEP_1)
	v_div_fmas_f64 v[40:41], v[40:41], v[42:43], v[44:45]
	v_div_fixup_f64 v[40:41], v[40:41], v[118:119], v[116:117]
	s_delay_alu instid0(VALU_DEP_1) | instskip(NEXT) | instid1(VALU_DEP_1)
	v_fma_f64 v[42:43], v[116:117], v[40:41], v[118:119]
	v_div_scale_f64 v[44:45], null, v[42:43], v[42:43], 1.0
	s_delay_alu instid0(VALU_DEP_1) | instskip(SKIP_2) | instid1(VALU_DEP_1)
	v_rcp_f64_e32 v[46:47], v[44:45]
	s_waitcnt_depctr 0xfff
	v_fma_f64 v[112:113], -v[44:45], v[46:47], 1.0
	v_fma_f64 v[46:47], v[46:47], v[112:113], v[46:47]
	s_delay_alu instid0(VALU_DEP_1) | instskip(NEXT) | instid1(VALU_DEP_1)
	v_fma_f64 v[112:113], -v[44:45], v[46:47], 1.0
	v_fma_f64 v[46:47], v[46:47], v[112:113], v[46:47]
	v_div_scale_f64 v[112:113], vcc_lo, 1.0, v[42:43], 1.0
	s_delay_alu instid0(VALU_DEP_1) | instskip(NEXT) | instid1(VALU_DEP_1)
	v_mul_f64 v[114:115], v[112:113], v[46:47]
	v_fma_f64 v[44:45], -v[44:45], v[114:115], v[112:113]
	s_delay_alu instid0(VALU_DEP_1) | instskip(NEXT) | instid1(VALU_DEP_1)
	v_div_fmas_f64 v[44:45], v[44:45], v[46:47], v[114:115]
	v_div_fixup_f64 v[118:119], v[44:45], v[42:43], 1.0
	s_delay_alu instid0(VALU_DEP_1)
	v_mul_f64 v[116:117], v[40:41], v[118:119]
	v_xor_b32_e32 v119, 0x80000000, v119
.LBB56_49:
	s_and_not1_saveexec_b32 s2, s2
	s_cbranch_execz .LBB56_51
; %bb.50:
	s_delay_alu instid0(VALU_DEP_1) | instskip(SKIP_1) | instid1(VALU_DEP_2)
	v_div_scale_f64 v[40:41], null, v[116:117], v[116:117], v[118:119]
	v_div_scale_f64 v[46:47], vcc_lo, v[118:119], v[116:117], v[118:119]
	v_rcp_f64_e32 v[42:43], v[40:41]
	s_waitcnt_depctr 0xfff
	v_fma_f64 v[44:45], -v[40:41], v[42:43], 1.0
	s_delay_alu instid0(VALU_DEP_1) | instskip(NEXT) | instid1(VALU_DEP_1)
	v_fma_f64 v[42:43], v[42:43], v[44:45], v[42:43]
	v_fma_f64 v[44:45], -v[40:41], v[42:43], 1.0
	s_delay_alu instid0(VALU_DEP_1) | instskip(NEXT) | instid1(VALU_DEP_1)
	v_fma_f64 v[42:43], v[42:43], v[44:45], v[42:43]
	v_mul_f64 v[44:45], v[46:47], v[42:43]
	s_delay_alu instid0(VALU_DEP_1) | instskip(NEXT) | instid1(VALU_DEP_1)
	v_fma_f64 v[40:41], -v[40:41], v[44:45], v[46:47]
	v_div_fmas_f64 v[40:41], v[40:41], v[42:43], v[44:45]
	s_delay_alu instid0(VALU_DEP_1) | instskip(NEXT) | instid1(VALU_DEP_1)
	v_div_fixup_f64 v[40:41], v[40:41], v[116:117], v[118:119]
	v_fma_f64 v[42:43], v[118:119], v[40:41], v[116:117]
	s_delay_alu instid0(VALU_DEP_1) | instskip(NEXT) | instid1(VALU_DEP_1)
	v_div_scale_f64 v[44:45], null, v[42:43], v[42:43], 1.0
	v_rcp_f64_e32 v[46:47], v[44:45]
	s_waitcnt_depctr 0xfff
	v_fma_f64 v[112:113], -v[44:45], v[46:47], 1.0
	s_delay_alu instid0(VALU_DEP_1) | instskip(NEXT) | instid1(VALU_DEP_1)
	v_fma_f64 v[46:47], v[46:47], v[112:113], v[46:47]
	v_fma_f64 v[112:113], -v[44:45], v[46:47], 1.0
	s_delay_alu instid0(VALU_DEP_1) | instskip(SKIP_1) | instid1(VALU_DEP_1)
	v_fma_f64 v[46:47], v[46:47], v[112:113], v[46:47]
	v_div_scale_f64 v[112:113], vcc_lo, 1.0, v[42:43], 1.0
	v_mul_f64 v[114:115], v[112:113], v[46:47]
	s_delay_alu instid0(VALU_DEP_1) | instskip(NEXT) | instid1(VALU_DEP_1)
	v_fma_f64 v[44:45], -v[44:45], v[114:115], v[112:113]
	v_div_fmas_f64 v[44:45], v[44:45], v[46:47], v[114:115]
	s_delay_alu instid0(VALU_DEP_1) | instskip(NEXT) | instid1(VALU_DEP_1)
	v_div_fixup_f64 v[116:117], v[44:45], v[42:43], 1.0
	v_mul_f64 v[118:119], v[40:41], -v[116:117]
.LBB56_51:
	s_or_b32 exec_lo, exec_lo, s2
.LBB56_52:
	s_delay_alu instid0(SALU_CYCLE_1) | instskip(NEXT) | instid1(SALU_CYCLE_1)
	s_or_b32 exec_lo, exec_lo, s3
	s_mov_b32 s2, exec_lo
	v_cmpx_ne_u32_e64 v134, v124
	s_xor_b32 s2, exec_lo, s2
	s_cbranch_execz .LBB56_58
; %bb.53:
	s_mov_b32 s3, exec_lo
	v_cmpx_eq_u32_e32 2, v134
	s_cbranch_execz .LBB56_57
; %bb.54:
	v_cmp_ne_u32_e32 vcc_lo, 2, v124
	s_xor_b32 s6, s4, -1
	s_delay_alu instid0(SALU_CYCLE_1) | instskip(NEXT) | instid1(SALU_CYCLE_1)
	s_and_b32 s7, s6, vcc_lo
	s_and_saveexec_b32 s6, s7
	s_cbranch_execz .LBB56_56
; %bb.55:
	v_ashrrev_i32_e32 v125, 31, v124
	s_delay_alu instid0(VALU_DEP_1) | instskip(NEXT) | instid1(VALU_DEP_1)
	v_lshlrev_b64 v[40:41], 2, v[124:125]
	v_add_co_u32 v40, vcc_lo, v102, v40
	s_delay_alu instid0(VALU_DEP_2)
	v_add_co_ci_u32_e32 v41, vcc_lo, v103, v41, vcc_lo
	s_clause 0x1
	flat_load_b32 v42, v[40:41]
	flat_load_b32 v43, v[102:103] offset:8
	s_waitcnt vmcnt(1) lgkmcnt(1)
	flat_store_b32 v[102:103], v42 offset:8
	s_waitcnt vmcnt(0) lgkmcnt(1)
	flat_store_b32 v[40:41], v43
.LBB56_56:
	s_or_b32 exec_lo, exec_lo, s6
	v_mov_b32_e32 v134, v124
	v_mov_b32_e32 v255, v124
.LBB56_57:
	s_or_b32 exec_lo, exec_lo, s3
.LBB56_58:
	s_and_not1_saveexec_b32 s2, s2
	s_cbranch_execz .LBB56_60
; %bb.59:
	v_mov_b32_e32 v134, 2
	ds_store_2addr_b64 v132, v[104:105], v[106:107] offset0:6 offset1:7
	ds_store_2addr_b64 v132, v[243:244], v[245:246] offset0:8 offset1:9
	;; [unrolled: 1-line block ×26, first 2 shown]
.LBB56_60:
	s_or_b32 exec_lo, exec_lo, s2
	s_delay_alu instid0(SALU_CYCLE_1)
	s_mov_b32 s2, exec_lo
	s_waitcnt lgkmcnt(0)
	s_waitcnt_vscnt null, 0x0
	s_barrier
	buffer_gl0_inv
	v_cmpx_lt_i32_e32 2, v134
	s_cbranch_execz .LBB56_62
; %bb.61:
	v_mul_f64 v[40:41], v[118:119], v[110:111]
	s_delay_alu instid0(VALU_DEP_1) | instskip(SKIP_1) | instid1(VALU_DEP_1)
	v_fma_f64 v[124:125], v[116:117], v[108:109], -v[40:41]
	v_mul_f64 v[40:41], v[116:117], v[110:111]
	v_fma_f64 v[110:111], v[118:119], v[108:109], v[40:41]
	ds_load_2addr_b64 v[116:119], v132 offset0:6 offset1:7
	ds_load_2addr_b64 v[135:138], v132 offset0:8 offset1:9
	v_dual_mov_b32 v108, v124 :: v_dual_mov_b32 v109, v125
	s_waitcnt lgkmcnt(1)
	v_mul_f64 v[40:41], v[118:119], v[110:111]
	v_mul_f64 v[42:43], v[116:117], v[110:111]
	s_waitcnt lgkmcnt(0)
	v_mul_f64 v[44:45], v[137:138], v[110:111]
	v_mul_f64 v[46:47], v[135:136], v[110:111]
	s_delay_alu instid0(VALU_DEP_4) | instskip(NEXT) | instid1(VALU_DEP_4)
	v_fma_f64 v[40:41], v[116:117], v[124:125], -v[40:41]
	v_fma_f64 v[42:43], v[118:119], v[124:125], v[42:43]
	s_delay_alu instid0(VALU_DEP_4) | instskip(NEXT) | instid1(VALU_DEP_4)
	v_fma_f64 v[44:45], v[135:136], v[124:125], -v[44:45]
	v_fma_f64 v[46:47], v[137:138], v[124:125], v[46:47]
	ds_load_2addr_b64 v[116:119], v132 offset0:10 offset1:11
	ds_load_2addr_b64 v[135:138], v132 offset0:12 offset1:13
	s_waitcnt lgkmcnt(1)
	v_mul_f64 v[112:113], v[118:119], v[110:111]
	v_mul_f64 v[114:115], v[116:117], v[110:111]
	v_add_f64 v[104:105], v[104:105], -v[40:41]
	v_add_f64 v[106:107], v[106:107], -v[42:43]
	;; [unrolled: 1-line block ×4, first 2 shown]
	v_fma_f64 v[112:113], v[116:117], v[124:125], -v[112:113]
	s_waitcnt lgkmcnt(0)
	v_mul_f64 v[116:117], v[137:138], v[110:111]
	v_fma_f64 v[114:115], v[118:119], v[124:125], v[114:115]
	s_delay_alu instid0(VALU_DEP_3) | instskip(NEXT) | instid1(VALU_DEP_3)
	v_add_f64 v[247:248], v[247:248], -v[112:113]
	v_fma_f64 v[120:121], v[135:136], v[124:125], -v[116:117]
	v_mul_f64 v[116:117], v[135:136], v[110:111]
	s_delay_alu instid0(VALU_DEP_4) | instskip(NEXT) | instid1(VALU_DEP_3)
	v_add_f64 v[249:250], v[249:250], -v[114:115]
	v_add_f64 v[251:252], v[251:252], -v[120:121]
	s_delay_alu instid0(VALU_DEP_3)
	v_fma_f64 v[122:123], v[137:138], v[124:125], v[116:117]
	ds_load_2addr_b64 v[116:119], v132 offset0:14 offset1:15
	ds_load_2addr_b64 v[135:138], v132 offset0:16 offset1:17
	s_waitcnt lgkmcnt(1)
	v_mul_f64 v[126:127], v[118:119], v[110:111]
	v_add_f64 v[253:254], v[253:254], -v[122:123]
	s_delay_alu instid0(VALU_DEP_2) | instskip(SKIP_1) | instid1(VALU_DEP_2)
	v_fma_f64 v[126:127], v[116:117], v[124:125], -v[126:127]
	v_mul_f64 v[116:117], v[116:117], v[110:111]
	v_add_f64 v[88:89], v[88:89], -v[126:127]
	s_delay_alu instid0(VALU_DEP_2) | instskip(SKIP_2) | instid1(VALU_DEP_2)
	v_fma_f64 v[139:140], v[118:119], v[124:125], v[116:117]
	s_waitcnt lgkmcnt(0)
	v_mul_f64 v[116:117], v[137:138], v[110:111]
	v_add_f64 v[90:91], v[90:91], -v[139:140]
	s_delay_alu instid0(VALU_DEP_2) | instskip(SKIP_1) | instid1(VALU_DEP_2)
	v_fma_f64 v[141:142], v[135:136], v[124:125], -v[116:117]
	v_mul_f64 v[116:117], v[135:136], v[110:111]
	v_add_f64 v[92:93], v[92:93], -v[141:142]
	s_delay_alu instid0(VALU_DEP_2)
	v_fma_f64 v[143:144], v[137:138], v[124:125], v[116:117]
	ds_load_2addr_b64 v[116:119], v132 offset0:18 offset1:19
	ds_load_2addr_b64 v[135:138], v132 offset0:20 offset1:21
	s_waitcnt lgkmcnt(1)
	v_mul_f64 v[145:146], v[118:119], v[110:111]
	v_add_f64 v[94:95], v[94:95], -v[143:144]
	s_delay_alu instid0(VALU_DEP_2) | instskip(SKIP_1) | instid1(VALU_DEP_2)
	v_fma_f64 v[145:146], v[116:117], v[124:125], -v[145:146]
	v_mul_f64 v[116:117], v[116:117], v[110:111]
	v_add_f64 v[68:69], v[68:69], -v[145:146]
	s_delay_alu instid0(VALU_DEP_2) | instskip(SKIP_2) | instid1(VALU_DEP_2)
	v_fma_f64 v[147:148], v[118:119], v[124:125], v[116:117]
	s_waitcnt lgkmcnt(0)
	v_mul_f64 v[116:117], v[137:138], v[110:111]
	v_add_f64 v[70:71], v[70:71], -v[147:148]
	s_delay_alu instid0(VALU_DEP_2) | instskip(SKIP_1) | instid1(VALU_DEP_2)
	v_fma_f64 v[149:150], v[135:136], v[124:125], -v[116:117]
	v_mul_f64 v[116:117], v[135:136], v[110:111]
	v_add_f64 v[76:77], v[76:77], -v[149:150]
	s_delay_alu instid0(VALU_DEP_2)
	;; [unrolled: 20-line block ×10, first 2 shown]
	v_fma_f64 v[215:216], v[137:138], v[124:125], v[116:117]
	ds_load_2addr_b64 v[116:119], v132 offset0:54 offset1:55
	ds_load_2addr_b64 v[135:138], v132 offset0:56 offset1:57
	s_waitcnt lgkmcnt(1)
	v_mul_f64 v[217:218], v[118:119], v[110:111]
	v_add_f64 v[10:11], v[10:11], -v[215:216]
	s_delay_alu instid0(VALU_DEP_2) | instskip(SKIP_1) | instid1(VALU_DEP_2)
	v_fma_f64 v[217:218], v[116:117], v[124:125], -v[217:218]
	v_mul_f64 v[116:117], v[116:117], v[110:111]
	v_add_f64 v[4:5], v[4:5], -v[217:218]
	s_delay_alu instid0(VALU_DEP_2) | instskip(SKIP_2) | instid1(VALU_DEP_2)
	v_fma_f64 v[116:117], v[118:119], v[124:125], v[116:117]
	s_waitcnt lgkmcnt(0)
	v_mul_f64 v[118:119], v[137:138], v[110:111]
	v_add_f64 v[6:7], v[6:7], -v[116:117]
	s_delay_alu instid0(VALU_DEP_2) | instskip(SKIP_1) | instid1(VALU_DEP_2)
	v_fma_f64 v[118:119], v[135:136], v[124:125], -v[118:119]
	v_mul_f64 v[135:136], v[135:136], v[110:111]
	v_add_f64 v[0:1], v[0:1], -v[118:119]
	s_delay_alu instid0(VALU_DEP_2) | instskip(NEXT) | instid1(VALU_DEP_1)
	v_fma_f64 v[135:136], v[137:138], v[124:125], v[135:136]
	v_add_f64 v[2:3], v[2:3], -v[135:136]
.LBB56_62:
	s_or_b32 exec_lo, exec_lo, s2
	v_lshl_add_u32 v40, v134, 4, v132
	s_barrier
	buffer_gl0_inv
	v_mov_b32_e32 v124, 3
	ds_store_2addr_b64 v40, v[104:105], v[106:107] offset1:1
	s_waitcnt lgkmcnt(0)
	s_barrier
	buffer_gl0_inv
	ds_load_2addr_b64 v[116:119], v132 offset0:6 offset1:7
	s_cmp_lt_i32 s5, 5
	s_mov_b32 s6, 4
	s_cbranch_scc1 .LBB56_65
; %bb.63:
	v_add3_u32 v125, v130, 0, 64
	v_mov_b32_e32 v124, 3
	s_set_inst_prefetch_distance 0x1
	.p2align	6
.LBB56_64:                              ; =>This Inner Loop Header: Depth=1
	ds_load_2addr_b64 v[135:138], v125 offset1:1
	s_waitcnt lgkmcnt(1)
	v_cmp_gt_f64_e32 vcc_lo, 0, v[116:117]
	v_xor_b32_e32 v40, 0x80000000, v117
	v_cmp_gt_f64_e64 s2, 0, v[118:119]
	v_xor_b32_e32 v42, 0x80000000, v119
	v_add_nc_u32_e32 v125, 16, v125
	s_waitcnt lgkmcnt(0)
	v_cmp_gt_f64_e64 s3, 0, v[135:136]
	v_mov_b32_e32 v44, v135
	v_mov_b32_e32 v46, v137
	v_cndmask_b32_e32 v41, v117, v40, vcc_lo
	v_xor_b32_e32 v40, 0x80000000, v136
	v_cndmask_b32_e64 v43, v119, v42, s2
	v_xor_b32_e32 v42, 0x80000000, v138
	s_delay_alu instid0(VALU_DEP_3) | instskip(SKIP_2) | instid1(VALU_DEP_2)
	v_cndmask_b32_e64 v45, v136, v40, s3
	v_cmp_gt_f64_e64 s3, 0, v[137:138]
	v_cndmask_b32_e32 v40, v116, v116, vcc_lo
	v_cndmask_b32_e64 v47, v138, v42, s3
	v_cndmask_b32_e64 v42, v118, v118, s2
	s_delay_alu instid0(VALU_DEP_2) | instskip(NEXT) | instid1(VALU_DEP_2)
	v_add_f64 v[44:45], v[44:45], v[46:47]
	v_add_f64 v[40:41], v[40:41], v[42:43]
	s_delay_alu instid0(VALU_DEP_1) | instskip(SKIP_4) | instid1(SALU_CYCLE_1)
	v_cmp_lt_f64_e32 vcc_lo, v[40:41], v[44:45]
	v_dual_cndmask_b32 v117, v117, v136 :: v_dual_cndmask_b32 v116, v116, v135
	v_dual_cndmask_b32 v119, v119, v138 :: v_dual_cndmask_b32 v118, v118, v137
	v_cndmask_b32_e64 v124, v124, s6, vcc_lo
	s_add_i32 s6, s6, 1
	s_cmp_lg_u32 s5, s6
	s_cbranch_scc1 .LBB56_64
.LBB56_65:
	s_set_inst_prefetch_distance 0x2
	s_waitcnt lgkmcnt(0)
	v_cmp_eq_f64_e32 vcc_lo, 0, v[116:117]
	v_cmp_eq_f64_e64 s2, 0, v[118:119]
	s_delay_alu instid0(VALU_DEP_1) | instskip(NEXT) | instid1(SALU_CYCLE_1)
	s_and_b32 s2, vcc_lo, s2
	s_and_saveexec_b32 s3, s2
	s_delay_alu instid0(SALU_CYCLE_1)
	s_xor_b32 s2, exec_lo, s3
; %bb.66:
	v_cmp_ne_u32_e32 vcc_lo, 0, v129
	v_cndmask_b32_e32 v129, 4, v129, vcc_lo
; %bb.67:
	s_and_not1_saveexec_b32 s3, s2
	s_cbranch_execz .LBB56_73
; %bb.68:
	v_cmp_gt_f64_e32 vcc_lo, 0, v[116:117]
	v_cmp_gt_f64_e64 s2, 0, v[118:119]
	v_xor_b32_e32 v40, 0x80000000, v117
	v_xor_b32_e32 v42, 0x80000000, v119
	s_delay_alu instid0(VALU_DEP_2) | instskip(NEXT) | instid1(VALU_DEP_2)
	v_cndmask_b32_e32 v41, v117, v40, vcc_lo
	v_cndmask_b32_e64 v43, v119, v42, s2
	v_cndmask_b32_e32 v40, v116, v116, vcc_lo
	v_cndmask_b32_e64 v42, v118, v118, s2
	s_mov_b32 s2, exec_lo
	s_delay_alu instid0(VALU_DEP_1)
	v_cmpx_ngt_f64_e32 v[40:41], v[42:43]
	s_xor_b32 s2, exec_lo, s2
	s_cbranch_execz .LBB56_70
; %bb.69:
	v_div_scale_f64 v[40:41], null, v[118:119], v[118:119], v[116:117]
	v_div_scale_f64 v[46:47], vcc_lo, v[116:117], v[118:119], v[116:117]
	s_delay_alu instid0(VALU_DEP_2) | instskip(SKIP_2) | instid1(VALU_DEP_1)
	v_rcp_f64_e32 v[42:43], v[40:41]
	s_waitcnt_depctr 0xfff
	v_fma_f64 v[44:45], -v[40:41], v[42:43], 1.0
	v_fma_f64 v[42:43], v[42:43], v[44:45], v[42:43]
	s_delay_alu instid0(VALU_DEP_1) | instskip(NEXT) | instid1(VALU_DEP_1)
	v_fma_f64 v[44:45], -v[40:41], v[42:43], 1.0
	v_fma_f64 v[42:43], v[42:43], v[44:45], v[42:43]
	s_delay_alu instid0(VALU_DEP_1) | instskip(NEXT) | instid1(VALU_DEP_1)
	v_mul_f64 v[44:45], v[46:47], v[42:43]
	v_fma_f64 v[40:41], -v[40:41], v[44:45], v[46:47]
	s_delay_alu instid0(VALU_DEP_1) | instskip(NEXT) | instid1(VALU_DEP_1)
	v_div_fmas_f64 v[40:41], v[40:41], v[42:43], v[44:45]
	v_div_fixup_f64 v[40:41], v[40:41], v[118:119], v[116:117]
	s_delay_alu instid0(VALU_DEP_1) | instskip(NEXT) | instid1(VALU_DEP_1)
	v_fma_f64 v[42:43], v[116:117], v[40:41], v[118:119]
	v_div_scale_f64 v[44:45], null, v[42:43], v[42:43], 1.0
	s_delay_alu instid0(VALU_DEP_1) | instskip(SKIP_2) | instid1(VALU_DEP_1)
	v_rcp_f64_e32 v[46:47], v[44:45]
	s_waitcnt_depctr 0xfff
	v_fma_f64 v[112:113], -v[44:45], v[46:47], 1.0
	v_fma_f64 v[46:47], v[46:47], v[112:113], v[46:47]
	s_delay_alu instid0(VALU_DEP_1) | instskip(NEXT) | instid1(VALU_DEP_1)
	v_fma_f64 v[112:113], -v[44:45], v[46:47], 1.0
	v_fma_f64 v[46:47], v[46:47], v[112:113], v[46:47]
	v_div_scale_f64 v[112:113], vcc_lo, 1.0, v[42:43], 1.0
	s_delay_alu instid0(VALU_DEP_1) | instskip(NEXT) | instid1(VALU_DEP_1)
	v_mul_f64 v[114:115], v[112:113], v[46:47]
	v_fma_f64 v[44:45], -v[44:45], v[114:115], v[112:113]
	s_delay_alu instid0(VALU_DEP_1) | instskip(NEXT) | instid1(VALU_DEP_1)
	v_div_fmas_f64 v[44:45], v[44:45], v[46:47], v[114:115]
	v_div_fixup_f64 v[118:119], v[44:45], v[42:43], 1.0
	s_delay_alu instid0(VALU_DEP_1)
	v_mul_f64 v[116:117], v[40:41], v[118:119]
	v_xor_b32_e32 v119, 0x80000000, v119
.LBB56_70:
	s_and_not1_saveexec_b32 s2, s2
	s_cbranch_execz .LBB56_72
; %bb.71:
	s_delay_alu instid0(VALU_DEP_1) | instskip(SKIP_1) | instid1(VALU_DEP_2)
	v_div_scale_f64 v[40:41], null, v[116:117], v[116:117], v[118:119]
	v_div_scale_f64 v[46:47], vcc_lo, v[118:119], v[116:117], v[118:119]
	v_rcp_f64_e32 v[42:43], v[40:41]
	s_waitcnt_depctr 0xfff
	v_fma_f64 v[44:45], -v[40:41], v[42:43], 1.0
	s_delay_alu instid0(VALU_DEP_1) | instskip(NEXT) | instid1(VALU_DEP_1)
	v_fma_f64 v[42:43], v[42:43], v[44:45], v[42:43]
	v_fma_f64 v[44:45], -v[40:41], v[42:43], 1.0
	s_delay_alu instid0(VALU_DEP_1) | instskip(NEXT) | instid1(VALU_DEP_1)
	v_fma_f64 v[42:43], v[42:43], v[44:45], v[42:43]
	v_mul_f64 v[44:45], v[46:47], v[42:43]
	s_delay_alu instid0(VALU_DEP_1) | instskip(NEXT) | instid1(VALU_DEP_1)
	v_fma_f64 v[40:41], -v[40:41], v[44:45], v[46:47]
	v_div_fmas_f64 v[40:41], v[40:41], v[42:43], v[44:45]
	s_delay_alu instid0(VALU_DEP_1) | instskip(NEXT) | instid1(VALU_DEP_1)
	v_div_fixup_f64 v[40:41], v[40:41], v[116:117], v[118:119]
	v_fma_f64 v[42:43], v[118:119], v[40:41], v[116:117]
	s_delay_alu instid0(VALU_DEP_1) | instskip(NEXT) | instid1(VALU_DEP_1)
	v_div_scale_f64 v[44:45], null, v[42:43], v[42:43], 1.0
	v_rcp_f64_e32 v[46:47], v[44:45]
	s_waitcnt_depctr 0xfff
	v_fma_f64 v[112:113], -v[44:45], v[46:47], 1.0
	s_delay_alu instid0(VALU_DEP_1) | instskip(NEXT) | instid1(VALU_DEP_1)
	v_fma_f64 v[46:47], v[46:47], v[112:113], v[46:47]
	v_fma_f64 v[112:113], -v[44:45], v[46:47], 1.0
	s_delay_alu instid0(VALU_DEP_1) | instskip(SKIP_1) | instid1(VALU_DEP_1)
	v_fma_f64 v[46:47], v[46:47], v[112:113], v[46:47]
	v_div_scale_f64 v[112:113], vcc_lo, 1.0, v[42:43], 1.0
	v_mul_f64 v[114:115], v[112:113], v[46:47]
	s_delay_alu instid0(VALU_DEP_1) | instskip(NEXT) | instid1(VALU_DEP_1)
	v_fma_f64 v[44:45], -v[44:45], v[114:115], v[112:113]
	v_div_fmas_f64 v[44:45], v[44:45], v[46:47], v[114:115]
	s_delay_alu instid0(VALU_DEP_1) | instskip(NEXT) | instid1(VALU_DEP_1)
	v_div_fixup_f64 v[116:117], v[44:45], v[42:43], 1.0
	v_mul_f64 v[118:119], v[40:41], -v[116:117]
.LBB56_72:
	s_or_b32 exec_lo, exec_lo, s2
.LBB56_73:
	s_delay_alu instid0(SALU_CYCLE_1) | instskip(NEXT) | instid1(SALU_CYCLE_1)
	s_or_b32 exec_lo, exec_lo, s3
	s_mov_b32 s2, exec_lo
	v_cmpx_ne_u32_e64 v134, v124
	s_xor_b32 s2, exec_lo, s2
	s_cbranch_execz .LBB56_79
; %bb.74:
	s_mov_b32 s3, exec_lo
	v_cmpx_eq_u32_e32 3, v134
	s_cbranch_execz .LBB56_78
; %bb.75:
	v_cmp_ne_u32_e32 vcc_lo, 3, v124
	s_xor_b32 s6, s4, -1
	s_delay_alu instid0(SALU_CYCLE_1) | instskip(NEXT) | instid1(SALU_CYCLE_1)
	s_and_b32 s7, s6, vcc_lo
	s_and_saveexec_b32 s6, s7
	s_cbranch_execz .LBB56_77
; %bb.76:
	v_ashrrev_i32_e32 v125, 31, v124
	s_delay_alu instid0(VALU_DEP_1) | instskip(NEXT) | instid1(VALU_DEP_1)
	v_lshlrev_b64 v[40:41], 2, v[124:125]
	v_add_co_u32 v40, vcc_lo, v102, v40
	s_delay_alu instid0(VALU_DEP_2)
	v_add_co_ci_u32_e32 v41, vcc_lo, v103, v41, vcc_lo
	s_clause 0x1
	flat_load_b32 v42, v[40:41]
	flat_load_b32 v43, v[102:103] offset:12
	s_waitcnt vmcnt(1) lgkmcnt(1)
	flat_store_b32 v[102:103], v42 offset:12
	s_waitcnt vmcnt(0) lgkmcnt(1)
	flat_store_b32 v[40:41], v43
.LBB56_77:
	s_or_b32 exec_lo, exec_lo, s6
	v_mov_b32_e32 v134, v124
	v_mov_b32_e32 v255, v124
.LBB56_78:
	s_or_b32 exec_lo, exec_lo, s3
.LBB56_79:
	s_and_not1_saveexec_b32 s2, s2
	s_cbranch_execz .LBB56_81
; %bb.80:
	v_mov_b32_e32 v134, 3
	ds_store_2addr_b64 v132, v[243:244], v[245:246] offset0:8 offset1:9
	ds_store_2addr_b64 v132, v[247:248], v[249:250] offset0:10 offset1:11
	;; [unrolled: 1-line block ×25, first 2 shown]
.LBB56_81:
	s_or_b32 exec_lo, exec_lo, s2
	s_delay_alu instid0(SALU_CYCLE_1)
	s_mov_b32 s2, exec_lo
	s_waitcnt lgkmcnt(0)
	s_waitcnt_vscnt null, 0x0
	s_barrier
	buffer_gl0_inv
	v_cmpx_lt_i32_e32 3, v134
	s_cbranch_execz .LBB56_83
; %bb.82:
	v_mul_f64 v[40:41], v[118:119], v[106:107]
	v_dual_mov_b32 v56, v108 :: v_dual_mov_b32 v57, v109
	v_dual_mov_b32 v58, v110 :: v_dual_mov_b32 v59, v111
	s_delay_alu instid0(VALU_DEP_3) | instskip(SKIP_1) | instid1(VALU_DEP_1)
	v_fma_f64 v[124:125], v[116:117], v[104:105], -v[40:41]
	v_mul_f64 v[40:41], v[116:117], v[106:107]
	v_fma_f64 v[106:107], v[118:119], v[104:105], v[40:41]
	ds_load_2addr_b64 v[116:119], v132 offset0:8 offset1:9
	ds_load_2addr_b64 v[135:138], v132 offset0:10 offset1:11
	v_dual_mov_b32 v104, v124 :: v_dual_mov_b32 v105, v125
	s_waitcnt lgkmcnt(1)
	v_mul_f64 v[40:41], v[118:119], v[106:107]
	v_mul_f64 v[42:43], v[116:117], v[106:107]
	s_waitcnt lgkmcnt(0)
	v_mul_f64 v[44:45], v[137:138], v[106:107]
	v_mul_f64 v[46:47], v[135:136], v[106:107]
	s_delay_alu instid0(VALU_DEP_4) | instskip(NEXT) | instid1(VALU_DEP_4)
	v_fma_f64 v[40:41], v[116:117], v[124:125], -v[40:41]
	v_fma_f64 v[42:43], v[118:119], v[124:125], v[42:43]
	s_delay_alu instid0(VALU_DEP_4) | instskip(NEXT) | instid1(VALU_DEP_4)
	v_fma_f64 v[44:45], v[135:136], v[124:125], -v[44:45]
	v_fma_f64 v[46:47], v[137:138], v[124:125], v[46:47]
	ds_load_2addr_b64 v[116:119], v132 offset0:12 offset1:13
	ds_load_2addr_b64 v[135:138], v132 offset0:14 offset1:15
	s_waitcnt lgkmcnt(1)
	v_mul_f64 v[108:109], v[118:119], v[106:107]
	v_mul_f64 v[112:113], v[116:117], v[106:107]
	s_waitcnt lgkmcnt(0)
	v_mul_f64 v[114:115], v[137:138], v[106:107]
	v_add_f64 v[243:244], v[243:244], -v[40:41]
	v_add_f64 v[245:246], v[245:246], -v[42:43]
	;; [unrolled: 1-line block ×4, first 2 shown]
	v_fma_f64 v[108:109], v[116:117], v[124:125], -v[108:109]
	v_mul_f64 v[116:117], v[135:136], v[106:107]
	v_fma_f64 v[112:113], v[118:119], v[124:125], v[112:113]
	v_fma_f64 v[114:115], v[135:136], v[124:125], -v[114:115]
	s_delay_alu instid0(VALU_DEP_4) | instskip(NEXT) | instid1(VALU_DEP_4)
	v_add_f64 v[251:252], v[251:252], -v[108:109]
	v_fma_f64 v[120:121], v[137:138], v[124:125], v[116:117]
	ds_load_2addr_b64 v[116:119], v132 offset0:16 offset1:17
	ds_load_2addr_b64 v[135:138], v132 offset0:18 offset1:19
	v_add_f64 v[253:254], v[253:254], -v[112:113]
	v_add_f64 v[88:89], v[88:89], -v[114:115]
	v_dual_mov_b32 v111, v59 :: v_dual_mov_b32 v110, v58
	v_dual_mov_b32 v109, v57 :: v_dual_mov_b32 v108, v56
	s_waitcnt lgkmcnt(1)
	v_mul_f64 v[122:123], v[118:119], v[106:107]
	v_add_f64 v[90:91], v[90:91], -v[120:121]
	s_delay_alu instid0(VALU_DEP_2) | instskip(SKIP_1) | instid1(VALU_DEP_2)
	v_fma_f64 v[122:123], v[116:117], v[124:125], -v[122:123]
	v_mul_f64 v[116:117], v[116:117], v[106:107]
	v_add_f64 v[92:93], v[92:93], -v[122:123]
	s_delay_alu instid0(VALU_DEP_2) | instskip(SKIP_2) | instid1(VALU_DEP_2)
	v_fma_f64 v[126:127], v[118:119], v[124:125], v[116:117]
	s_waitcnt lgkmcnt(0)
	v_mul_f64 v[116:117], v[137:138], v[106:107]
	v_add_f64 v[94:95], v[94:95], -v[126:127]
	s_delay_alu instid0(VALU_DEP_2) | instskip(SKIP_1) | instid1(VALU_DEP_2)
	v_fma_f64 v[139:140], v[135:136], v[124:125], -v[116:117]
	v_mul_f64 v[116:117], v[135:136], v[106:107]
	v_add_f64 v[68:69], v[68:69], -v[139:140]
	s_delay_alu instid0(VALU_DEP_2)
	v_fma_f64 v[141:142], v[137:138], v[124:125], v[116:117]
	ds_load_2addr_b64 v[116:119], v132 offset0:20 offset1:21
	ds_load_2addr_b64 v[135:138], v132 offset0:22 offset1:23
	s_waitcnt lgkmcnt(1)
	v_mul_f64 v[143:144], v[118:119], v[106:107]
	v_add_f64 v[70:71], v[70:71], -v[141:142]
	s_delay_alu instid0(VALU_DEP_2) | instskip(SKIP_1) | instid1(VALU_DEP_2)
	v_fma_f64 v[143:144], v[116:117], v[124:125], -v[143:144]
	v_mul_f64 v[116:117], v[116:117], v[106:107]
	v_add_f64 v[76:77], v[76:77], -v[143:144]
	s_delay_alu instid0(VALU_DEP_2) | instskip(SKIP_2) | instid1(VALU_DEP_2)
	v_fma_f64 v[145:146], v[118:119], v[124:125], v[116:117]
	s_waitcnt lgkmcnt(0)
	v_mul_f64 v[116:117], v[137:138], v[106:107]
	v_add_f64 v[78:79], v[78:79], -v[145:146]
	s_delay_alu instid0(VALU_DEP_2) | instskip(SKIP_1) | instid1(VALU_DEP_2)
	v_fma_f64 v[147:148], v[135:136], v[124:125], -v[116:117]
	v_mul_f64 v[116:117], v[135:136], v[106:107]
	v_add_f64 v[72:73], v[72:73], -v[147:148]
	s_delay_alu instid0(VALU_DEP_2)
	v_fma_f64 v[149:150], v[137:138], v[124:125], v[116:117]
	ds_load_2addr_b64 v[116:119], v132 offset0:24 offset1:25
	ds_load_2addr_b64 v[135:138], v132 offset0:26 offset1:27
	;; [unrolled: 20-line block ×9, first 2 shown]
	s_waitcnt lgkmcnt(1)
	v_mul_f64 v[207:208], v[118:119], v[106:107]
	v_add_f64 v[14:15], v[14:15], -v[205:206]
	s_delay_alu instid0(VALU_DEP_2) | instskip(SKIP_1) | instid1(VALU_DEP_2)
	v_fma_f64 v[207:208], v[116:117], v[124:125], -v[207:208]
	v_mul_f64 v[116:117], v[116:117], v[106:107]
	v_add_f64 v[8:9], v[8:9], -v[207:208]
	s_delay_alu instid0(VALU_DEP_2) | instskip(SKIP_2) | instid1(VALU_DEP_2)
	v_fma_f64 v[209:210], v[118:119], v[124:125], v[116:117]
	s_waitcnt lgkmcnt(0)
	v_mul_f64 v[116:117], v[137:138], v[106:107]
	v_add_f64 v[10:11], v[10:11], -v[209:210]
	s_delay_alu instid0(VALU_DEP_2) | instskip(SKIP_1) | instid1(VALU_DEP_2)
	v_fma_f64 v[211:212], v[135:136], v[124:125], -v[116:117]
	v_mul_f64 v[116:117], v[135:136], v[106:107]
	v_add_f64 v[4:5], v[4:5], -v[211:212]
	s_delay_alu instid0(VALU_DEP_2) | instskip(SKIP_4) | instid1(VALU_DEP_2)
	v_fma_f64 v[135:136], v[137:138], v[124:125], v[116:117]
	ds_load_2addr_b64 v[116:119], v132 offset0:56 offset1:57
	s_waitcnt lgkmcnt(0)
	v_mul_f64 v[137:138], v[118:119], v[106:107]
	v_add_f64 v[6:7], v[6:7], -v[135:136]
	v_fma_f64 v[137:138], v[116:117], v[124:125], -v[137:138]
	v_mul_f64 v[116:117], v[116:117], v[106:107]
	s_delay_alu instid0(VALU_DEP_2) | instskip(NEXT) | instid1(VALU_DEP_2)
	v_add_f64 v[0:1], v[0:1], -v[137:138]
	v_fma_f64 v[116:117], v[118:119], v[124:125], v[116:117]
	s_delay_alu instid0(VALU_DEP_1)
	v_add_f64 v[2:3], v[2:3], -v[116:117]
.LBB56_83:
	s_or_b32 exec_lo, exec_lo, s2
	v_lshl_add_u32 v40, v134, 4, v132
	s_barrier
	buffer_gl0_inv
	v_mov_b32_e32 v124, 4
	ds_store_2addr_b64 v40, v[243:244], v[245:246] offset1:1
	s_waitcnt lgkmcnt(0)
	s_barrier
	buffer_gl0_inv
	ds_load_2addr_b64 v[116:119], v132 offset0:8 offset1:9
	s_cmp_lt_i32 s5, 6
	s_cbranch_scc1 .LBB56_86
; %bb.84:
	v_add3_u32 v125, v130, 0, 0x50
	v_mov_b32_e32 v124, 4
	s_mov_b32 s6, 5
	s_set_inst_prefetch_distance 0x1
	.p2align	6
.LBB56_85:                              ; =>This Inner Loop Header: Depth=1
	ds_load_2addr_b64 v[135:138], v125 offset1:1
	s_waitcnt lgkmcnt(1)
	v_cmp_gt_f64_e32 vcc_lo, 0, v[116:117]
	v_xor_b32_e32 v40, 0x80000000, v117
	v_cmp_gt_f64_e64 s2, 0, v[118:119]
	v_xor_b32_e32 v42, 0x80000000, v119
	v_add_nc_u32_e32 v125, 16, v125
	s_waitcnt lgkmcnt(0)
	v_cmp_gt_f64_e64 s3, 0, v[135:136]
	v_mov_b32_e32 v44, v135
	v_mov_b32_e32 v46, v137
	v_cndmask_b32_e32 v41, v117, v40, vcc_lo
	v_xor_b32_e32 v40, 0x80000000, v136
	v_cndmask_b32_e64 v43, v119, v42, s2
	v_xor_b32_e32 v42, 0x80000000, v138
	s_delay_alu instid0(VALU_DEP_3) | instskip(SKIP_2) | instid1(VALU_DEP_2)
	v_cndmask_b32_e64 v45, v136, v40, s3
	v_cmp_gt_f64_e64 s3, 0, v[137:138]
	v_cndmask_b32_e32 v40, v116, v116, vcc_lo
	v_cndmask_b32_e64 v47, v138, v42, s3
	v_cndmask_b32_e64 v42, v118, v118, s2
	s_delay_alu instid0(VALU_DEP_2) | instskip(NEXT) | instid1(VALU_DEP_2)
	v_add_f64 v[44:45], v[44:45], v[46:47]
	v_add_f64 v[40:41], v[40:41], v[42:43]
	s_delay_alu instid0(VALU_DEP_1) | instskip(SKIP_4) | instid1(SALU_CYCLE_1)
	v_cmp_lt_f64_e32 vcc_lo, v[40:41], v[44:45]
	v_dual_cndmask_b32 v117, v117, v136 :: v_dual_cndmask_b32 v116, v116, v135
	v_dual_cndmask_b32 v119, v119, v138 :: v_dual_cndmask_b32 v118, v118, v137
	v_cndmask_b32_e64 v124, v124, s6, vcc_lo
	s_add_i32 s6, s6, 1
	s_cmp_lg_u32 s5, s6
	s_cbranch_scc1 .LBB56_85
.LBB56_86:
	s_set_inst_prefetch_distance 0x2
	s_waitcnt lgkmcnt(0)
	v_cmp_eq_f64_e32 vcc_lo, 0, v[116:117]
	v_cmp_eq_f64_e64 s2, 0, v[118:119]
	s_delay_alu instid0(VALU_DEP_1) | instskip(NEXT) | instid1(SALU_CYCLE_1)
	s_and_b32 s2, vcc_lo, s2
	s_and_saveexec_b32 s3, s2
	s_delay_alu instid0(SALU_CYCLE_1)
	s_xor_b32 s2, exec_lo, s3
; %bb.87:
	v_cmp_ne_u32_e32 vcc_lo, 0, v129
	v_cndmask_b32_e32 v129, 5, v129, vcc_lo
; %bb.88:
	s_and_not1_saveexec_b32 s3, s2
	s_cbranch_execz .LBB56_94
; %bb.89:
	v_cmp_gt_f64_e32 vcc_lo, 0, v[116:117]
	v_cmp_gt_f64_e64 s2, 0, v[118:119]
	v_xor_b32_e32 v40, 0x80000000, v117
	v_xor_b32_e32 v42, 0x80000000, v119
	s_delay_alu instid0(VALU_DEP_2) | instskip(NEXT) | instid1(VALU_DEP_2)
	v_cndmask_b32_e32 v41, v117, v40, vcc_lo
	v_cndmask_b32_e64 v43, v119, v42, s2
	v_cndmask_b32_e32 v40, v116, v116, vcc_lo
	v_cndmask_b32_e64 v42, v118, v118, s2
	s_mov_b32 s2, exec_lo
	s_delay_alu instid0(VALU_DEP_1)
	v_cmpx_ngt_f64_e32 v[40:41], v[42:43]
	s_xor_b32 s2, exec_lo, s2
	s_cbranch_execz .LBB56_91
; %bb.90:
	v_div_scale_f64 v[40:41], null, v[118:119], v[118:119], v[116:117]
	v_div_scale_f64 v[46:47], vcc_lo, v[116:117], v[118:119], v[116:117]
	s_delay_alu instid0(VALU_DEP_2) | instskip(SKIP_2) | instid1(VALU_DEP_1)
	v_rcp_f64_e32 v[42:43], v[40:41]
	s_waitcnt_depctr 0xfff
	v_fma_f64 v[44:45], -v[40:41], v[42:43], 1.0
	v_fma_f64 v[42:43], v[42:43], v[44:45], v[42:43]
	s_delay_alu instid0(VALU_DEP_1) | instskip(NEXT) | instid1(VALU_DEP_1)
	v_fma_f64 v[44:45], -v[40:41], v[42:43], 1.0
	v_fma_f64 v[42:43], v[42:43], v[44:45], v[42:43]
	s_delay_alu instid0(VALU_DEP_1) | instskip(NEXT) | instid1(VALU_DEP_1)
	v_mul_f64 v[44:45], v[46:47], v[42:43]
	v_fma_f64 v[40:41], -v[40:41], v[44:45], v[46:47]
	s_delay_alu instid0(VALU_DEP_1) | instskip(NEXT) | instid1(VALU_DEP_1)
	v_div_fmas_f64 v[40:41], v[40:41], v[42:43], v[44:45]
	v_div_fixup_f64 v[40:41], v[40:41], v[118:119], v[116:117]
	s_delay_alu instid0(VALU_DEP_1) | instskip(NEXT) | instid1(VALU_DEP_1)
	v_fma_f64 v[42:43], v[116:117], v[40:41], v[118:119]
	v_div_scale_f64 v[44:45], null, v[42:43], v[42:43], 1.0
	s_delay_alu instid0(VALU_DEP_1) | instskip(SKIP_2) | instid1(VALU_DEP_1)
	v_rcp_f64_e32 v[46:47], v[44:45]
	s_waitcnt_depctr 0xfff
	v_fma_f64 v[112:113], -v[44:45], v[46:47], 1.0
	v_fma_f64 v[46:47], v[46:47], v[112:113], v[46:47]
	s_delay_alu instid0(VALU_DEP_1) | instskip(NEXT) | instid1(VALU_DEP_1)
	v_fma_f64 v[112:113], -v[44:45], v[46:47], 1.0
	v_fma_f64 v[46:47], v[46:47], v[112:113], v[46:47]
	v_div_scale_f64 v[112:113], vcc_lo, 1.0, v[42:43], 1.0
	s_delay_alu instid0(VALU_DEP_1) | instskip(NEXT) | instid1(VALU_DEP_1)
	v_mul_f64 v[114:115], v[112:113], v[46:47]
	v_fma_f64 v[44:45], -v[44:45], v[114:115], v[112:113]
	s_delay_alu instid0(VALU_DEP_1) | instskip(NEXT) | instid1(VALU_DEP_1)
	v_div_fmas_f64 v[44:45], v[44:45], v[46:47], v[114:115]
	v_div_fixup_f64 v[118:119], v[44:45], v[42:43], 1.0
	s_delay_alu instid0(VALU_DEP_1)
	v_mul_f64 v[116:117], v[40:41], v[118:119]
	v_xor_b32_e32 v119, 0x80000000, v119
.LBB56_91:
	s_and_not1_saveexec_b32 s2, s2
	s_cbranch_execz .LBB56_93
; %bb.92:
	s_delay_alu instid0(VALU_DEP_1) | instskip(SKIP_1) | instid1(VALU_DEP_2)
	v_div_scale_f64 v[40:41], null, v[116:117], v[116:117], v[118:119]
	v_div_scale_f64 v[46:47], vcc_lo, v[118:119], v[116:117], v[118:119]
	v_rcp_f64_e32 v[42:43], v[40:41]
	s_waitcnt_depctr 0xfff
	v_fma_f64 v[44:45], -v[40:41], v[42:43], 1.0
	s_delay_alu instid0(VALU_DEP_1) | instskip(NEXT) | instid1(VALU_DEP_1)
	v_fma_f64 v[42:43], v[42:43], v[44:45], v[42:43]
	v_fma_f64 v[44:45], -v[40:41], v[42:43], 1.0
	s_delay_alu instid0(VALU_DEP_1) | instskip(NEXT) | instid1(VALU_DEP_1)
	v_fma_f64 v[42:43], v[42:43], v[44:45], v[42:43]
	v_mul_f64 v[44:45], v[46:47], v[42:43]
	s_delay_alu instid0(VALU_DEP_1) | instskip(NEXT) | instid1(VALU_DEP_1)
	v_fma_f64 v[40:41], -v[40:41], v[44:45], v[46:47]
	v_div_fmas_f64 v[40:41], v[40:41], v[42:43], v[44:45]
	s_delay_alu instid0(VALU_DEP_1) | instskip(NEXT) | instid1(VALU_DEP_1)
	v_div_fixup_f64 v[40:41], v[40:41], v[116:117], v[118:119]
	v_fma_f64 v[42:43], v[118:119], v[40:41], v[116:117]
	s_delay_alu instid0(VALU_DEP_1) | instskip(NEXT) | instid1(VALU_DEP_1)
	v_div_scale_f64 v[44:45], null, v[42:43], v[42:43], 1.0
	v_rcp_f64_e32 v[46:47], v[44:45]
	s_waitcnt_depctr 0xfff
	v_fma_f64 v[112:113], -v[44:45], v[46:47], 1.0
	s_delay_alu instid0(VALU_DEP_1) | instskip(NEXT) | instid1(VALU_DEP_1)
	v_fma_f64 v[46:47], v[46:47], v[112:113], v[46:47]
	v_fma_f64 v[112:113], -v[44:45], v[46:47], 1.0
	s_delay_alu instid0(VALU_DEP_1) | instskip(SKIP_1) | instid1(VALU_DEP_1)
	v_fma_f64 v[46:47], v[46:47], v[112:113], v[46:47]
	v_div_scale_f64 v[112:113], vcc_lo, 1.0, v[42:43], 1.0
	v_mul_f64 v[114:115], v[112:113], v[46:47]
	s_delay_alu instid0(VALU_DEP_1) | instskip(NEXT) | instid1(VALU_DEP_1)
	v_fma_f64 v[44:45], -v[44:45], v[114:115], v[112:113]
	v_div_fmas_f64 v[44:45], v[44:45], v[46:47], v[114:115]
	s_delay_alu instid0(VALU_DEP_1) | instskip(NEXT) | instid1(VALU_DEP_1)
	v_div_fixup_f64 v[116:117], v[44:45], v[42:43], 1.0
	v_mul_f64 v[118:119], v[40:41], -v[116:117]
.LBB56_93:
	s_or_b32 exec_lo, exec_lo, s2
.LBB56_94:
	s_delay_alu instid0(SALU_CYCLE_1) | instskip(NEXT) | instid1(SALU_CYCLE_1)
	s_or_b32 exec_lo, exec_lo, s3
	s_mov_b32 s2, exec_lo
	v_cmpx_ne_u32_e64 v134, v124
	s_xor_b32 s2, exec_lo, s2
	s_cbranch_execz .LBB56_100
; %bb.95:
	s_mov_b32 s3, exec_lo
	v_cmpx_eq_u32_e32 4, v134
	s_cbranch_execz .LBB56_99
; %bb.96:
	v_cmp_ne_u32_e32 vcc_lo, 4, v124
	s_xor_b32 s6, s4, -1
	s_delay_alu instid0(SALU_CYCLE_1) | instskip(NEXT) | instid1(SALU_CYCLE_1)
	s_and_b32 s7, s6, vcc_lo
	s_and_saveexec_b32 s6, s7
	s_cbranch_execz .LBB56_98
; %bb.97:
	v_ashrrev_i32_e32 v125, 31, v124
	s_delay_alu instid0(VALU_DEP_1) | instskip(NEXT) | instid1(VALU_DEP_1)
	v_lshlrev_b64 v[40:41], 2, v[124:125]
	v_add_co_u32 v40, vcc_lo, v102, v40
	s_delay_alu instid0(VALU_DEP_2)
	v_add_co_ci_u32_e32 v41, vcc_lo, v103, v41, vcc_lo
	s_clause 0x1
	flat_load_b32 v42, v[40:41]
	flat_load_b32 v43, v[102:103] offset:16
	s_waitcnt vmcnt(1) lgkmcnt(1)
	flat_store_b32 v[102:103], v42 offset:16
	s_waitcnt vmcnt(0) lgkmcnt(1)
	flat_store_b32 v[40:41], v43
.LBB56_98:
	s_or_b32 exec_lo, exec_lo, s6
	v_mov_b32_e32 v134, v124
	v_mov_b32_e32 v255, v124
.LBB56_99:
	s_or_b32 exec_lo, exec_lo, s3
.LBB56_100:
	s_and_not1_saveexec_b32 s2, s2
	s_cbranch_execz .LBB56_102
; %bb.101:
	v_mov_b32_e32 v134, 4
	ds_store_2addr_b64 v132, v[247:248], v[249:250] offset0:10 offset1:11
	ds_store_2addr_b64 v132, v[251:252], v[253:254] offset0:12 offset1:13
	;; [unrolled: 1-line block ×24, first 2 shown]
.LBB56_102:
	s_or_b32 exec_lo, exec_lo, s2
	s_delay_alu instid0(SALU_CYCLE_1)
	s_mov_b32 s2, exec_lo
	s_waitcnt lgkmcnt(0)
	s_waitcnt_vscnt null, 0x0
	s_barrier
	buffer_gl0_inv
	v_cmpx_lt_i32_e32 4, v134
	s_cbranch_execz .LBB56_104
; %bb.103:
	v_mul_f64 v[42:43], v[116:117], v[245:246]
	v_mul_f64 v[40:41], v[118:119], v[245:246]
	s_delay_alu instid0(VALU_DEP_2) | instskip(NEXT) | instid1(VALU_DEP_2)
	v_fma_f64 v[245:246], v[118:119], v[243:244], v[42:43]
	v_fma_f64 v[40:41], v[116:117], v[243:244], -v[40:41]
	ds_load_2addr_b64 v[116:119], v132 offset0:10 offset1:11
	ds_load_2addr_b64 v[124:127], v132 offset0:12 offset1:13
	s_waitcnt lgkmcnt(1)
	v_mul_f64 v[42:43], v[118:119], v[245:246]
	v_mul_f64 v[44:45], v[116:117], v[245:246]
	s_waitcnt lgkmcnt(0)
	v_mul_f64 v[46:47], v[126:127], v[245:246]
	v_mul_f64 v[100:101], v[124:125], v[245:246]
	v_dual_mov_b32 v244, v41 :: v_dual_mov_b32 v243, v40
	v_fma_f64 v[42:43], v[116:117], v[40:41], -v[42:43]
	v_fma_f64 v[44:45], v[118:119], v[40:41], v[44:45]
	v_fma_f64 v[46:47], v[124:125], v[40:41], -v[46:47]
	v_fma_f64 v[100:101], v[126:127], v[40:41], v[100:101]
	ds_load_2addr_b64 v[116:119], v132 offset0:14 offset1:15
	ds_load_2addr_b64 v[124:127], v132 offset0:16 offset1:17
	s_waitcnt lgkmcnt(1)
	v_mul_f64 v[112:113], v[118:119], v[245:246]
	v_mul_f64 v[114:115], v[116:117], v[245:246]
	v_add_f64 v[247:248], v[247:248], -v[42:43]
	v_add_f64 v[249:250], v[249:250], -v[44:45]
	;; [unrolled: 1-line block ×4, first 2 shown]
	v_fma_f64 v[112:113], v[116:117], v[40:41], -v[112:113]
	s_waitcnt lgkmcnt(0)
	v_mul_f64 v[116:117], v[126:127], v[245:246]
	v_fma_f64 v[114:115], v[118:119], v[40:41], v[114:115]
	s_delay_alu instid0(VALU_DEP_3) | instskip(NEXT) | instid1(VALU_DEP_3)
	v_add_f64 v[88:89], v[88:89], -v[112:113]
	v_fma_f64 v[120:121], v[124:125], v[40:41], -v[116:117]
	v_mul_f64 v[116:117], v[124:125], v[245:246]
	s_delay_alu instid0(VALU_DEP_4) | instskip(NEXT) | instid1(VALU_DEP_3)
	v_add_f64 v[90:91], v[90:91], -v[114:115]
	v_add_f64 v[92:93], v[92:93], -v[120:121]
	s_delay_alu instid0(VALU_DEP_3)
	v_fma_f64 v[122:123], v[126:127], v[40:41], v[116:117]
	ds_load_2addr_b64 v[116:119], v132 offset0:18 offset1:19
	ds_load_2addr_b64 v[124:127], v132 offset0:20 offset1:21
	s_waitcnt lgkmcnt(1)
	v_mul_f64 v[135:136], v[118:119], v[245:246]
	v_add_f64 v[94:95], v[94:95], -v[122:123]
	s_delay_alu instid0(VALU_DEP_2) | instskip(SKIP_1) | instid1(VALU_DEP_2)
	v_fma_f64 v[135:136], v[116:117], v[40:41], -v[135:136]
	v_mul_f64 v[116:117], v[116:117], v[245:246]
	v_add_f64 v[68:69], v[68:69], -v[135:136]
	s_delay_alu instid0(VALU_DEP_2) | instskip(SKIP_2) | instid1(VALU_DEP_2)
	v_fma_f64 v[137:138], v[118:119], v[40:41], v[116:117]
	s_waitcnt lgkmcnt(0)
	v_mul_f64 v[116:117], v[126:127], v[245:246]
	v_add_f64 v[70:71], v[70:71], -v[137:138]
	s_delay_alu instid0(VALU_DEP_2) | instskip(SKIP_1) | instid1(VALU_DEP_2)
	v_fma_f64 v[139:140], v[124:125], v[40:41], -v[116:117]
	v_mul_f64 v[116:117], v[124:125], v[245:246]
	v_add_f64 v[76:77], v[76:77], -v[139:140]
	s_delay_alu instid0(VALU_DEP_2)
	v_fma_f64 v[141:142], v[126:127], v[40:41], v[116:117]
	ds_load_2addr_b64 v[116:119], v132 offset0:22 offset1:23
	ds_load_2addr_b64 v[124:127], v132 offset0:24 offset1:25
	s_waitcnt lgkmcnt(1)
	v_mul_f64 v[143:144], v[118:119], v[245:246]
	v_add_f64 v[78:79], v[78:79], -v[141:142]
	s_delay_alu instid0(VALU_DEP_2) | instskip(SKIP_1) | instid1(VALU_DEP_2)
	v_fma_f64 v[143:144], v[116:117], v[40:41], -v[143:144]
	v_mul_f64 v[116:117], v[116:117], v[245:246]
	v_add_f64 v[72:73], v[72:73], -v[143:144]
	s_delay_alu instid0(VALU_DEP_2) | instskip(SKIP_2) | instid1(VALU_DEP_2)
	v_fma_f64 v[145:146], v[118:119], v[40:41], v[116:117]
	s_waitcnt lgkmcnt(0)
	v_mul_f64 v[116:117], v[126:127], v[245:246]
	v_add_f64 v[74:75], v[74:75], -v[145:146]
	s_delay_alu instid0(VALU_DEP_2) | instskip(SKIP_1) | instid1(VALU_DEP_2)
	v_fma_f64 v[147:148], v[124:125], v[40:41], -v[116:117]
	v_mul_f64 v[116:117], v[124:125], v[245:246]
	v_add_f64 v[84:85], v[84:85], -v[147:148]
	s_delay_alu instid0(VALU_DEP_2)
	;; [unrolled: 20-line block ×9, first 2 shown]
	v_fma_f64 v[205:206], v[126:127], v[40:41], v[116:117]
	ds_load_2addr_b64 v[116:119], v132 offset0:54 offset1:55
	ds_load_2addr_b64 v[124:127], v132 offset0:56 offset1:57
	s_waitcnt lgkmcnt(1)
	v_mul_f64 v[207:208], v[118:119], v[245:246]
	v_add_f64 v[10:11], v[10:11], -v[205:206]
	s_delay_alu instid0(VALU_DEP_2) | instskip(SKIP_1) | instid1(VALU_DEP_2)
	v_fma_f64 v[207:208], v[116:117], v[40:41], -v[207:208]
	v_mul_f64 v[116:117], v[116:117], v[245:246]
	v_add_f64 v[4:5], v[4:5], -v[207:208]
	s_delay_alu instid0(VALU_DEP_2) | instskip(SKIP_2) | instid1(VALU_DEP_2)
	v_fma_f64 v[116:117], v[118:119], v[40:41], v[116:117]
	s_waitcnt lgkmcnt(0)
	v_mul_f64 v[118:119], v[126:127], v[245:246]
	v_add_f64 v[6:7], v[6:7], -v[116:117]
	s_delay_alu instid0(VALU_DEP_2) | instskip(SKIP_1) | instid1(VALU_DEP_2)
	v_fma_f64 v[118:119], v[124:125], v[40:41], -v[118:119]
	v_mul_f64 v[124:125], v[124:125], v[245:246]
	v_add_f64 v[0:1], v[0:1], -v[118:119]
	s_delay_alu instid0(VALU_DEP_2) | instskip(NEXT) | instid1(VALU_DEP_1)
	v_fma_f64 v[124:125], v[126:127], v[40:41], v[124:125]
	v_add_f64 v[2:3], v[2:3], -v[124:125]
.LBB56_104:
	s_or_b32 exec_lo, exec_lo, s2
	v_lshl_add_u32 v40, v134, 4, v132
	s_barrier
	buffer_gl0_inv
	v_mov_b32_e32 v124, 5
	ds_store_2addr_b64 v40, v[247:248], v[249:250] offset1:1
	s_waitcnt lgkmcnt(0)
	s_barrier
	buffer_gl0_inv
	ds_load_2addr_b64 v[116:119], v132 offset0:10 offset1:11
	s_cmp_lt_i32 s5, 7
	s_cbranch_scc1 .LBB56_107
; %bb.105:
	v_add3_u32 v125, v130, 0, 0x60
	v_mov_b32_e32 v124, 5
	s_mov_b32 s6, 6
	s_set_inst_prefetch_distance 0x1
	.p2align	6
.LBB56_106:                             ; =>This Inner Loop Header: Depth=1
	ds_load_2addr_b64 v[135:138], v125 offset1:1
	s_waitcnt lgkmcnt(1)
	v_cmp_gt_f64_e32 vcc_lo, 0, v[116:117]
	v_xor_b32_e32 v40, 0x80000000, v117
	v_cmp_gt_f64_e64 s2, 0, v[118:119]
	v_xor_b32_e32 v42, 0x80000000, v119
	v_add_nc_u32_e32 v125, 16, v125
	s_waitcnt lgkmcnt(0)
	v_cmp_gt_f64_e64 s3, 0, v[135:136]
	v_mov_b32_e32 v44, v135
	v_mov_b32_e32 v46, v137
	v_cndmask_b32_e32 v41, v117, v40, vcc_lo
	v_xor_b32_e32 v40, 0x80000000, v136
	v_cndmask_b32_e64 v43, v119, v42, s2
	v_xor_b32_e32 v42, 0x80000000, v138
	s_delay_alu instid0(VALU_DEP_3) | instskip(SKIP_2) | instid1(VALU_DEP_2)
	v_cndmask_b32_e64 v45, v136, v40, s3
	v_cmp_gt_f64_e64 s3, 0, v[137:138]
	v_cndmask_b32_e32 v40, v116, v116, vcc_lo
	v_cndmask_b32_e64 v47, v138, v42, s3
	v_cndmask_b32_e64 v42, v118, v118, s2
	s_delay_alu instid0(VALU_DEP_2) | instskip(NEXT) | instid1(VALU_DEP_2)
	v_add_f64 v[44:45], v[44:45], v[46:47]
	v_add_f64 v[40:41], v[40:41], v[42:43]
	s_delay_alu instid0(VALU_DEP_1) | instskip(SKIP_4) | instid1(SALU_CYCLE_1)
	v_cmp_lt_f64_e32 vcc_lo, v[40:41], v[44:45]
	v_dual_cndmask_b32 v117, v117, v136 :: v_dual_cndmask_b32 v116, v116, v135
	v_dual_cndmask_b32 v119, v119, v138 :: v_dual_cndmask_b32 v118, v118, v137
	v_cndmask_b32_e64 v124, v124, s6, vcc_lo
	s_add_i32 s6, s6, 1
	s_cmp_lg_u32 s5, s6
	s_cbranch_scc1 .LBB56_106
.LBB56_107:
	s_set_inst_prefetch_distance 0x2
	s_waitcnt lgkmcnt(0)
	v_cmp_eq_f64_e32 vcc_lo, 0, v[116:117]
	v_cmp_eq_f64_e64 s2, 0, v[118:119]
	s_delay_alu instid0(VALU_DEP_1) | instskip(NEXT) | instid1(SALU_CYCLE_1)
	s_and_b32 s2, vcc_lo, s2
	s_and_saveexec_b32 s3, s2
	s_delay_alu instid0(SALU_CYCLE_1)
	s_xor_b32 s2, exec_lo, s3
; %bb.108:
	v_cmp_ne_u32_e32 vcc_lo, 0, v129
	v_cndmask_b32_e32 v129, 6, v129, vcc_lo
; %bb.109:
	s_and_not1_saveexec_b32 s3, s2
	s_cbranch_execz .LBB56_115
; %bb.110:
	v_cmp_gt_f64_e32 vcc_lo, 0, v[116:117]
	v_cmp_gt_f64_e64 s2, 0, v[118:119]
	v_xor_b32_e32 v40, 0x80000000, v117
	v_xor_b32_e32 v42, 0x80000000, v119
	s_delay_alu instid0(VALU_DEP_2) | instskip(NEXT) | instid1(VALU_DEP_2)
	v_cndmask_b32_e32 v41, v117, v40, vcc_lo
	v_cndmask_b32_e64 v43, v119, v42, s2
	v_cndmask_b32_e32 v40, v116, v116, vcc_lo
	v_cndmask_b32_e64 v42, v118, v118, s2
	s_mov_b32 s2, exec_lo
	s_delay_alu instid0(VALU_DEP_1)
	v_cmpx_ngt_f64_e32 v[40:41], v[42:43]
	s_xor_b32 s2, exec_lo, s2
	s_cbranch_execz .LBB56_112
; %bb.111:
	v_div_scale_f64 v[40:41], null, v[118:119], v[118:119], v[116:117]
	v_div_scale_f64 v[46:47], vcc_lo, v[116:117], v[118:119], v[116:117]
	s_delay_alu instid0(VALU_DEP_2) | instskip(SKIP_2) | instid1(VALU_DEP_1)
	v_rcp_f64_e32 v[42:43], v[40:41]
	s_waitcnt_depctr 0xfff
	v_fma_f64 v[44:45], -v[40:41], v[42:43], 1.0
	v_fma_f64 v[42:43], v[42:43], v[44:45], v[42:43]
	s_delay_alu instid0(VALU_DEP_1) | instskip(NEXT) | instid1(VALU_DEP_1)
	v_fma_f64 v[44:45], -v[40:41], v[42:43], 1.0
	v_fma_f64 v[42:43], v[42:43], v[44:45], v[42:43]
	s_delay_alu instid0(VALU_DEP_1) | instskip(NEXT) | instid1(VALU_DEP_1)
	v_mul_f64 v[44:45], v[46:47], v[42:43]
	v_fma_f64 v[40:41], -v[40:41], v[44:45], v[46:47]
	s_delay_alu instid0(VALU_DEP_1) | instskip(NEXT) | instid1(VALU_DEP_1)
	v_div_fmas_f64 v[40:41], v[40:41], v[42:43], v[44:45]
	v_div_fixup_f64 v[40:41], v[40:41], v[118:119], v[116:117]
	s_delay_alu instid0(VALU_DEP_1) | instskip(NEXT) | instid1(VALU_DEP_1)
	v_fma_f64 v[42:43], v[116:117], v[40:41], v[118:119]
	v_div_scale_f64 v[44:45], null, v[42:43], v[42:43], 1.0
	s_delay_alu instid0(VALU_DEP_1) | instskip(SKIP_2) | instid1(VALU_DEP_1)
	v_rcp_f64_e32 v[46:47], v[44:45]
	s_waitcnt_depctr 0xfff
	v_fma_f64 v[112:113], -v[44:45], v[46:47], 1.0
	v_fma_f64 v[46:47], v[46:47], v[112:113], v[46:47]
	s_delay_alu instid0(VALU_DEP_1) | instskip(NEXT) | instid1(VALU_DEP_1)
	v_fma_f64 v[112:113], -v[44:45], v[46:47], 1.0
	v_fma_f64 v[46:47], v[46:47], v[112:113], v[46:47]
	v_div_scale_f64 v[112:113], vcc_lo, 1.0, v[42:43], 1.0
	s_delay_alu instid0(VALU_DEP_1) | instskip(NEXT) | instid1(VALU_DEP_1)
	v_mul_f64 v[114:115], v[112:113], v[46:47]
	v_fma_f64 v[44:45], -v[44:45], v[114:115], v[112:113]
	s_delay_alu instid0(VALU_DEP_1) | instskip(NEXT) | instid1(VALU_DEP_1)
	v_div_fmas_f64 v[44:45], v[44:45], v[46:47], v[114:115]
	v_div_fixup_f64 v[118:119], v[44:45], v[42:43], 1.0
	s_delay_alu instid0(VALU_DEP_1)
	v_mul_f64 v[116:117], v[40:41], v[118:119]
	v_xor_b32_e32 v119, 0x80000000, v119
.LBB56_112:
	s_and_not1_saveexec_b32 s2, s2
	s_cbranch_execz .LBB56_114
; %bb.113:
	s_delay_alu instid0(VALU_DEP_1) | instskip(SKIP_1) | instid1(VALU_DEP_2)
	v_div_scale_f64 v[40:41], null, v[116:117], v[116:117], v[118:119]
	v_div_scale_f64 v[46:47], vcc_lo, v[118:119], v[116:117], v[118:119]
	v_rcp_f64_e32 v[42:43], v[40:41]
	s_waitcnt_depctr 0xfff
	v_fma_f64 v[44:45], -v[40:41], v[42:43], 1.0
	s_delay_alu instid0(VALU_DEP_1) | instskip(NEXT) | instid1(VALU_DEP_1)
	v_fma_f64 v[42:43], v[42:43], v[44:45], v[42:43]
	v_fma_f64 v[44:45], -v[40:41], v[42:43], 1.0
	s_delay_alu instid0(VALU_DEP_1) | instskip(NEXT) | instid1(VALU_DEP_1)
	v_fma_f64 v[42:43], v[42:43], v[44:45], v[42:43]
	v_mul_f64 v[44:45], v[46:47], v[42:43]
	s_delay_alu instid0(VALU_DEP_1) | instskip(NEXT) | instid1(VALU_DEP_1)
	v_fma_f64 v[40:41], -v[40:41], v[44:45], v[46:47]
	v_div_fmas_f64 v[40:41], v[40:41], v[42:43], v[44:45]
	s_delay_alu instid0(VALU_DEP_1) | instskip(NEXT) | instid1(VALU_DEP_1)
	v_div_fixup_f64 v[40:41], v[40:41], v[116:117], v[118:119]
	v_fma_f64 v[42:43], v[118:119], v[40:41], v[116:117]
	s_delay_alu instid0(VALU_DEP_1) | instskip(NEXT) | instid1(VALU_DEP_1)
	v_div_scale_f64 v[44:45], null, v[42:43], v[42:43], 1.0
	v_rcp_f64_e32 v[46:47], v[44:45]
	s_waitcnt_depctr 0xfff
	v_fma_f64 v[112:113], -v[44:45], v[46:47], 1.0
	s_delay_alu instid0(VALU_DEP_1) | instskip(NEXT) | instid1(VALU_DEP_1)
	v_fma_f64 v[46:47], v[46:47], v[112:113], v[46:47]
	v_fma_f64 v[112:113], -v[44:45], v[46:47], 1.0
	s_delay_alu instid0(VALU_DEP_1) | instskip(SKIP_1) | instid1(VALU_DEP_1)
	v_fma_f64 v[46:47], v[46:47], v[112:113], v[46:47]
	v_div_scale_f64 v[112:113], vcc_lo, 1.0, v[42:43], 1.0
	v_mul_f64 v[114:115], v[112:113], v[46:47]
	s_delay_alu instid0(VALU_DEP_1) | instskip(NEXT) | instid1(VALU_DEP_1)
	v_fma_f64 v[44:45], -v[44:45], v[114:115], v[112:113]
	v_div_fmas_f64 v[44:45], v[44:45], v[46:47], v[114:115]
	s_delay_alu instid0(VALU_DEP_1) | instskip(NEXT) | instid1(VALU_DEP_1)
	v_div_fixup_f64 v[116:117], v[44:45], v[42:43], 1.0
	v_mul_f64 v[118:119], v[40:41], -v[116:117]
.LBB56_114:
	s_or_b32 exec_lo, exec_lo, s2
.LBB56_115:
	s_delay_alu instid0(SALU_CYCLE_1) | instskip(NEXT) | instid1(SALU_CYCLE_1)
	s_or_b32 exec_lo, exec_lo, s3
	s_mov_b32 s2, exec_lo
	v_cmpx_ne_u32_e64 v134, v124
	s_xor_b32 s2, exec_lo, s2
	s_cbranch_execz .LBB56_121
; %bb.116:
	s_mov_b32 s3, exec_lo
	v_cmpx_eq_u32_e32 5, v134
	s_cbranch_execz .LBB56_120
; %bb.117:
	v_cmp_ne_u32_e32 vcc_lo, 5, v124
	s_xor_b32 s6, s4, -1
	s_delay_alu instid0(SALU_CYCLE_1) | instskip(NEXT) | instid1(SALU_CYCLE_1)
	s_and_b32 s7, s6, vcc_lo
	s_and_saveexec_b32 s6, s7
	s_cbranch_execz .LBB56_119
; %bb.118:
	v_ashrrev_i32_e32 v125, 31, v124
	s_delay_alu instid0(VALU_DEP_1) | instskip(NEXT) | instid1(VALU_DEP_1)
	v_lshlrev_b64 v[40:41], 2, v[124:125]
	v_add_co_u32 v40, vcc_lo, v102, v40
	s_delay_alu instid0(VALU_DEP_2)
	v_add_co_ci_u32_e32 v41, vcc_lo, v103, v41, vcc_lo
	s_clause 0x1
	flat_load_b32 v42, v[40:41]
	flat_load_b32 v43, v[102:103] offset:20
	s_waitcnt vmcnt(1) lgkmcnt(1)
	flat_store_b32 v[102:103], v42 offset:20
	s_waitcnt vmcnt(0) lgkmcnt(1)
	flat_store_b32 v[40:41], v43
.LBB56_119:
	s_or_b32 exec_lo, exec_lo, s6
	v_mov_b32_e32 v134, v124
	v_mov_b32_e32 v255, v124
.LBB56_120:
	s_or_b32 exec_lo, exec_lo, s3
.LBB56_121:
	s_and_not1_saveexec_b32 s2, s2
	s_cbranch_execz .LBB56_123
; %bb.122:
	v_mov_b32_e32 v134, 5
	ds_store_2addr_b64 v132, v[251:252], v[253:254] offset0:12 offset1:13
	ds_store_2addr_b64 v132, v[88:89], v[90:91] offset0:14 offset1:15
	;; [unrolled: 1-line block ×23, first 2 shown]
.LBB56_123:
	s_or_b32 exec_lo, exec_lo, s2
	s_delay_alu instid0(SALU_CYCLE_1)
	s_mov_b32 s2, exec_lo
	s_waitcnt lgkmcnt(0)
	s_waitcnt_vscnt null, 0x0
	s_barrier
	buffer_gl0_inv
	v_cmpx_lt_i32_e32 5, v134
	s_cbranch_execz .LBB56_125
; %bb.124:
	v_mul_f64 v[42:43], v[116:117], v[249:250]
	v_mul_f64 v[40:41], v[118:119], v[249:250]
	s_delay_alu instid0(VALU_DEP_2) | instskip(NEXT) | instid1(VALU_DEP_2)
	v_fma_f64 v[249:250], v[118:119], v[247:248], v[42:43]
	v_fma_f64 v[40:41], v[116:117], v[247:248], -v[40:41]
	ds_load_2addr_b64 v[116:119], v132 offset0:12 offset1:13
	ds_load_2addr_b64 v[124:127], v132 offset0:14 offset1:15
	s_waitcnt lgkmcnt(1)
	v_mul_f64 v[42:43], v[118:119], v[249:250]
	v_mul_f64 v[44:45], v[116:117], v[249:250]
	s_waitcnt lgkmcnt(0)
	v_mul_f64 v[46:47], v[126:127], v[249:250]
	v_mul_f64 v[96:97], v[124:125], v[249:250]
	v_dual_mov_b32 v248, v41 :: v_dual_mov_b32 v247, v40
	v_fma_f64 v[42:43], v[116:117], v[40:41], -v[42:43]
	v_fma_f64 v[44:45], v[118:119], v[40:41], v[44:45]
	v_fma_f64 v[46:47], v[124:125], v[40:41], -v[46:47]
	v_fma_f64 v[96:97], v[126:127], v[40:41], v[96:97]
	ds_load_2addr_b64 v[116:119], v132 offset0:16 offset1:17
	ds_load_2addr_b64 v[124:127], v132 offset0:18 offset1:19
	s_waitcnt lgkmcnt(1)
	v_mul_f64 v[112:113], v[118:119], v[249:250]
	v_mul_f64 v[114:115], v[116:117], v[249:250]
	v_add_f64 v[251:252], v[251:252], -v[42:43]
	v_add_f64 v[253:254], v[253:254], -v[44:45]
	;; [unrolled: 1-line block ×4, first 2 shown]
	v_fma_f64 v[112:113], v[116:117], v[40:41], -v[112:113]
	s_waitcnt lgkmcnt(0)
	v_mul_f64 v[116:117], v[126:127], v[249:250]
	v_fma_f64 v[114:115], v[118:119], v[40:41], v[114:115]
	s_delay_alu instid0(VALU_DEP_3) | instskip(NEXT) | instid1(VALU_DEP_3)
	v_add_f64 v[92:93], v[92:93], -v[112:113]
	v_fma_f64 v[120:121], v[124:125], v[40:41], -v[116:117]
	v_mul_f64 v[116:117], v[124:125], v[249:250]
	s_delay_alu instid0(VALU_DEP_4) | instskip(NEXT) | instid1(VALU_DEP_3)
	v_add_f64 v[94:95], v[94:95], -v[114:115]
	v_add_f64 v[68:69], v[68:69], -v[120:121]
	s_delay_alu instid0(VALU_DEP_3)
	v_fma_f64 v[122:123], v[126:127], v[40:41], v[116:117]
	ds_load_2addr_b64 v[116:119], v132 offset0:20 offset1:21
	ds_load_2addr_b64 v[124:127], v132 offset0:22 offset1:23
	s_waitcnt lgkmcnt(1)
	v_mul_f64 v[135:136], v[118:119], v[249:250]
	v_add_f64 v[70:71], v[70:71], -v[122:123]
	s_delay_alu instid0(VALU_DEP_2) | instskip(SKIP_1) | instid1(VALU_DEP_2)
	v_fma_f64 v[135:136], v[116:117], v[40:41], -v[135:136]
	v_mul_f64 v[116:117], v[116:117], v[249:250]
	v_add_f64 v[76:77], v[76:77], -v[135:136]
	s_delay_alu instid0(VALU_DEP_2) | instskip(SKIP_2) | instid1(VALU_DEP_2)
	v_fma_f64 v[137:138], v[118:119], v[40:41], v[116:117]
	s_waitcnt lgkmcnt(0)
	v_mul_f64 v[116:117], v[126:127], v[249:250]
	v_add_f64 v[78:79], v[78:79], -v[137:138]
	s_delay_alu instid0(VALU_DEP_2) | instskip(SKIP_1) | instid1(VALU_DEP_2)
	v_fma_f64 v[139:140], v[124:125], v[40:41], -v[116:117]
	v_mul_f64 v[116:117], v[124:125], v[249:250]
	v_add_f64 v[72:73], v[72:73], -v[139:140]
	s_delay_alu instid0(VALU_DEP_2)
	v_fma_f64 v[141:142], v[126:127], v[40:41], v[116:117]
	ds_load_2addr_b64 v[116:119], v132 offset0:24 offset1:25
	ds_load_2addr_b64 v[124:127], v132 offset0:26 offset1:27
	s_waitcnt lgkmcnt(1)
	v_mul_f64 v[143:144], v[118:119], v[249:250]
	v_add_f64 v[74:75], v[74:75], -v[141:142]
	s_delay_alu instid0(VALU_DEP_2) | instskip(SKIP_1) | instid1(VALU_DEP_2)
	v_fma_f64 v[143:144], v[116:117], v[40:41], -v[143:144]
	v_mul_f64 v[116:117], v[116:117], v[249:250]
	v_add_f64 v[84:85], v[84:85], -v[143:144]
	s_delay_alu instid0(VALU_DEP_2) | instskip(SKIP_2) | instid1(VALU_DEP_2)
	v_fma_f64 v[145:146], v[118:119], v[40:41], v[116:117]
	s_waitcnt lgkmcnt(0)
	v_mul_f64 v[116:117], v[126:127], v[249:250]
	v_add_f64 v[86:87], v[86:87], -v[145:146]
	s_delay_alu instid0(VALU_DEP_2) | instskip(SKIP_1) | instid1(VALU_DEP_2)
	v_fma_f64 v[147:148], v[124:125], v[40:41], -v[116:117]
	v_mul_f64 v[116:117], v[124:125], v[249:250]
	v_add_f64 v[80:81], v[80:81], -v[147:148]
	s_delay_alu instid0(VALU_DEP_2)
	;; [unrolled: 20-line block ×8, first 2 shown]
	v_fma_f64 v[197:198], v[126:127], v[40:41], v[116:117]
	ds_load_2addr_b64 v[116:119], v132 offset0:52 offset1:53
	ds_load_2addr_b64 v[124:127], v132 offset0:54 offset1:55
	s_waitcnt lgkmcnt(1)
	v_mul_f64 v[199:200], v[118:119], v[249:250]
	v_add_f64 v[14:15], v[14:15], -v[197:198]
	s_delay_alu instid0(VALU_DEP_2) | instskip(SKIP_1) | instid1(VALU_DEP_2)
	v_fma_f64 v[199:200], v[116:117], v[40:41], -v[199:200]
	v_mul_f64 v[116:117], v[116:117], v[249:250]
	v_add_f64 v[8:9], v[8:9], -v[199:200]
	s_delay_alu instid0(VALU_DEP_2) | instskip(SKIP_2) | instid1(VALU_DEP_2)
	v_fma_f64 v[201:202], v[118:119], v[40:41], v[116:117]
	s_waitcnt lgkmcnt(0)
	v_mul_f64 v[116:117], v[126:127], v[249:250]
	v_add_f64 v[10:11], v[10:11], -v[201:202]
	s_delay_alu instid0(VALU_DEP_2) | instskip(SKIP_1) | instid1(VALU_DEP_2)
	v_fma_f64 v[203:204], v[124:125], v[40:41], -v[116:117]
	v_mul_f64 v[116:117], v[124:125], v[249:250]
	v_add_f64 v[4:5], v[4:5], -v[203:204]
	s_delay_alu instid0(VALU_DEP_2) | instskip(SKIP_4) | instid1(VALU_DEP_2)
	v_fma_f64 v[124:125], v[126:127], v[40:41], v[116:117]
	ds_load_2addr_b64 v[116:119], v132 offset0:56 offset1:57
	s_waitcnt lgkmcnt(0)
	v_mul_f64 v[126:127], v[118:119], v[249:250]
	v_add_f64 v[6:7], v[6:7], -v[124:125]
	v_fma_f64 v[126:127], v[116:117], v[40:41], -v[126:127]
	v_mul_f64 v[116:117], v[116:117], v[249:250]
	s_delay_alu instid0(VALU_DEP_2) | instskip(NEXT) | instid1(VALU_DEP_2)
	v_add_f64 v[0:1], v[0:1], -v[126:127]
	v_fma_f64 v[116:117], v[118:119], v[40:41], v[116:117]
	s_delay_alu instid0(VALU_DEP_1)
	v_add_f64 v[2:3], v[2:3], -v[116:117]
.LBB56_125:
	s_or_b32 exec_lo, exec_lo, s2
	v_lshl_add_u32 v40, v134, 4, v132
	s_barrier
	buffer_gl0_inv
	v_mov_b32_e32 v124, 6
	ds_store_2addr_b64 v40, v[251:252], v[253:254] offset1:1
	s_waitcnt lgkmcnt(0)
	s_barrier
	buffer_gl0_inv
	ds_load_2addr_b64 v[116:119], v132 offset0:12 offset1:13
	s_cmp_lt_i32 s5, 8
	s_cbranch_scc1 .LBB56_128
; %bb.126:
	v_add3_u32 v125, v130, 0, 0x70
	v_mov_b32_e32 v124, 6
	s_mov_b32 s6, 7
	s_set_inst_prefetch_distance 0x1
	.p2align	6
.LBB56_127:                             ; =>This Inner Loop Header: Depth=1
	ds_load_2addr_b64 v[135:138], v125 offset1:1
	s_waitcnt lgkmcnt(1)
	v_cmp_gt_f64_e32 vcc_lo, 0, v[116:117]
	v_xor_b32_e32 v40, 0x80000000, v117
	v_cmp_gt_f64_e64 s2, 0, v[118:119]
	v_xor_b32_e32 v42, 0x80000000, v119
	v_add_nc_u32_e32 v125, 16, v125
	s_waitcnt lgkmcnt(0)
	v_cmp_gt_f64_e64 s3, 0, v[135:136]
	v_mov_b32_e32 v44, v135
	v_mov_b32_e32 v46, v137
	v_cndmask_b32_e32 v41, v117, v40, vcc_lo
	v_xor_b32_e32 v40, 0x80000000, v136
	v_cndmask_b32_e64 v43, v119, v42, s2
	v_xor_b32_e32 v42, 0x80000000, v138
	s_delay_alu instid0(VALU_DEP_3) | instskip(SKIP_2) | instid1(VALU_DEP_2)
	v_cndmask_b32_e64 v45, v136, v40, s3
	v_cmp_gt_f64_e64 s3, 0, v[137:138]
	v_cndmask_b32_e32 v40, v116, v116, vcc_lo
	v_cndmask_b32_e64 v47, v138, v42, s3
	v_cndmask_b32_e64 v42, v118, v118, s2
	s_delay_alu instid0(VALU_DEP_2) | instskip(NEXT) | instid1(VALU_DEP_2)
	v_add_f64 v[44:45], v[44:45], v[46:47]
	v_add_f64 v[40:41], v[40:41], v[42:43]
	s_delay_alu instid0(VALU_DEP_1) | instskip(SKIP_4) | instid1(SALU_CYCLE_1)
	v_cmp_lt_f64_e32 vcc_lo, v[40:41], v[44:45]
	v_dual_cndmask_b32 v117, v117, v136 :: v_dual_cndmask_b32 v116, v116, v135
	v_dual_cndmask_b32 v119, v119, v138 :: v_dual_cndmask_b32 v118, v118, v137
	v_cndmask_b32_e64 v124, v124, s6, vcc_lo
	s_add_i32 s6, s6, 1
	s_cmp_lg_u32 s5, s6
	s_cbranch_scc1 .LBB56_127
.LBB56_128:
	s_set_inst_prefetch_distance 0x2
	s_waitcnt lgkmcnt(0)
	v_cmp_eq_f64_e32 vcc_lo, 0, v[116:117]
	v_cmp_eq_f64_e64 s2, 0, v[118:119]
	s_delay_alu instid0(VALU_DEP_1) | instskip(NEXT) | instid1(SALU_CYCLE_1)
	s_and_b32 s2, vcc_lo, s2
	s_and_saveexec_b32 s3, s2
	s_delay_alu instid0(SALU_CYCLE_1)
	s_xor_b32 s2, exec_lo, s3
; %bb.129:
	v_cmp_ne_u32_e32 vcc_lo, 0, v129
	v_cndmask_b32_e32 v129, 7, v129, vcc_lo
; %bb.130:
	s_and_not1_saveexec_b32 s3, s2
	s_cbranch_execz .LBB56_136
; %bb.131:
	v_cmp_gt_f64_e32 vcc_lo, 0, v[116:117]
	v_cmp_gt_f64_e64 s2, 0, v[118:119]
	v_xor_b32_e32 v40, 0x80000000, v117
	v_xor_b32_e32 v42, 0x80000000, v119
	s_delay_alu instid0(VALU_DEP_2) | instskip(NEXT) | instid1(VALU_DEP_2)
	v_cndmask_b32_e32 v41, v117, v40, vcc_lo
	v_cndmask_b32_e64 v43, v119, v42, s2
	v_cndmask_b32_e32 v40, v116, v116, vcc_lo
	v_cndmask_b32_e64 v42, v118, v118, s2
	s_mov_b32 s2, exec_lo
	s_delay_alu instid0(VALU_DEP_1)
	v_cmpx_ngt_f64_e32 v[40:41], v[42:43]
	s_xor_b32 s2, exec_lo, s2
	s_cbranch_execz .LBB56_133
; %bb.132:
	v_div_scale_f64 v[40:41], null, v[118:119], v[118:119], v[116:117]
	v_div_scale_f64 v[46:47], vcc_lo, v[116:117], v[118:119], v[116:117]
	s_delay_alu instid0(VALU_DEP_2) | instskip(SKIP_2) | instid1(VALU_DEP_1)
	v_rcp_f64_e32 v[42:43], v[40:41]
	s_waitcnt_depctr 0xfff
	v_fma_f64 v[44:45], -v[40:41], v[42:43], 1.0
	v_fma_f64 v[42:43], v[42:43], v[44:45], v[42:43]
	s_delay_alu instid0(VALU_DEP_1) | instskip(NEXT) | instid1(VALU_DEP_1)
	v_fma_f64 v[44:45], -v[40:41], v[42:43], 1.0
	v_fma_f64 v[42:43], v[42:43], v[44:45], v[42:43]
	s_delay_alu instid0(VALU_DEP_1) | instskip(NEXT) | instid1(VALU_DEP_1)
	v_mul_f64 v[44:45], v[46:47], v[42:43]
	v_fma_f64 v[40:41], -v[40:41], v[44:45], v[46:47]
	s_delay_alu instid0(VALU_DEP_1) | instskip(NEXT) | instid1(VALU_DEP_1)
	v_div_fmas_f64 v[40:41], v[40:41], v[42:43], v[44:45]
	v_div_fixup_f64 v[40:41], v[40:41], v[118:119], v[116:117]
	s_delay_alu instid0(VALU_DEP_1) | instskip(NEXT) | instid1(VALU_DEP_1)
	v_fma_f64 v[42:43], v[116:117], v[40:41], v[118:119]
	v_div_scale_f64 v[44:45], null, v[42:43], v[42:43], 1.0
	s_delay_alu instid0(VALU_DEP_1) | instskip(SKIP_2) | instid1(VALU_DEP_1)
	v_rcp_f64_e32 v[46:47], v[44:45]
	s_waitcnt_depctr 0xfff
	v_fma_f64 v[112:113], -v[44:45], v[46:47], 1.0
	v_fma_f64 v[46:47], v[46:47], v[112:113], v[46:47]
	s_delay_alu instid0(VALU_DEP_1) | instskip(NEXT) | instid1(VALU_DEP_1)
	v_fma_f64 v[112:113], -v[44:45], v[46:47], 1.0
	v_fma_f64 v[46:47], v[46:47], v[112:113], v[46:47]
	v_div_scale_f64 v[112:113], vcc_lo, 1.0, v[42:43], 1.0
	s_delay_alu instid0(VALU_DEP_1) | instskip(NEXT) | instid1(VALU_DEP_1)
	v_mul_f64 v[114:115], v[112:113], v[46:47]
	v_fma_f64 v[44:45], -v[44:45], v[114:115], v[112:113]
	s_delay_alu instid0(VALU_DEP_1) | instskip(NEXT) | instid1(VALU_DEP_1)
	v_div_fmas_f64 v[44:45], v[44:45], v[46:47], v[114:115]
	v_div_fixup_f64 v[118:119], v[44:45], v[42:43], 1.0
	s_delay_alu instid0(VALU_DEP_1)
	v_mul_f64 v[116:117], v[40:41], v[118:119]
	v_xor_b32_e32 v119, 0x80000000, v119
.LBB56_133:
	s_and_not1_saveexec_b32 s2, s2
	s_cbranch_execz .LBB56_135
; %bb.134:
	s_delay_alu instid0(VALU_DEP_1) | instskip(SKIP_1) | instid1(VALU_DEP_2)
	v_div_scale_f64 v[40:41], null, v[116:117], v[116:117], v[118:119]
	v_div_scale_f64 v[46:47], vcc_lo, v[118:119], v[116:117], v[118:119]
	v_rcp_f64_e32 v[42:43], v[40:41]
	s_waitcnt_depctr 0xfff
	v_fma_f64 v[44:45], -v[40:41], v[42:43], 1.0
	s_delay_alu instid0(VALU_DEP_1) | instskip(NEXT) | instid1(VALU_DEP_1)
	v_fma_f64 v[42:43], v[42:43], v[44:45], v[42:43]
	v_fma_f64 v[44:45], -v[40:41], v[42:43], 1.0
	s_delay_alu instid0(VALU_DEP_1) | instskip(NEXT) | instid1(VALU_DEP_1)
	v_fma_f64 v[42:43], v[42:43], v[44:45], v[42:43]
	v_mul_f64 v[44:45], v[46:47], v[42:43]
	s_delay_alu instid0(VALU_DEP_1) | instskip(NEXT) | instid1(VALU_DEP_1)
	v_fma_f64 v[40:41], -v[40:41], v[44:45], v[46:47]
	v_div_fmas_f64 v[40:41], v[40:41], v[42:43], v[44:45]
	s_delay_alu instid0(VALU_DEP_1) | instskip(NEXT) | instid1(VALU_DEP_1)
	v_div_fixup_f64 v[40:41], v[40:41], v[116:117], v[118:119]
	v_fma_f64 v[42:43], v[118:119], v[40:41], v[116:117]
	s_delay_alu instid0(VALU_DEP_1) | instskip(NEXT) | instid1(VALU_DEP_1)
	v_div_scale_f64 v[44:45], null, v[42:43], v[42:43], 1.0
	v_rcp_f64_e32 v[46:47], v[44:45]
	s_waitcnt_depctr 0xfff
	v_fma_f64 v[112:113], -v[44:45], v[46:47], 1.0
	s_delay_alu instid0(VALU_DEP_1) | instskip(NEXT) | instid1(VALU_DEP_1)
	v_fma_f64 v[46:47], v[46:47], v[112:113], v[46:47]
	v_fma_f64 v[112:113], -v[44:45], v[46:47], 1.0
	s_delay_alu instid0(VALU_DEP_1) | instskip(SKIP_1) | instid1(VALU_DEP_1)
	v_fma_f64 v[46:47], v[46:47], v[112:113], v[46:47]
	v_div_scale_f64 v[112:113], vcc_lo, 1.0, v[42:43], 1.0
	v_mul_f64 v[114:115], v[112:113], v[46:47]
	s_delay_alu instid0(VALU_DEP_1) | instskip(NEXT) | instid1(VALU_DEP_1)
	v_fma_f64 v[44:45], -v[44:45], v[114:115], v[112:113]
	v_div_fmas_f64 v[44:45], v[44:45], v[46:47], v[114:115]
	s_delay_alu instid0(VALU_DEP_1) | instskip(NEXT) | instid1(VALU_DEP_1)
	v_div_fixup_f64 v[116:117], v[44:45], v[42:43], 1.0
	v_mul_f64 v[118:119], v[40:41], -v[116:117]
.LBB56_135:
	s_or_b32 exec_lo, exec_lo, s2
.LBB56_136:
	s_delay_alu instid0(SALU_CYCLE_1) | instskip(NEXT) | instid1(SALU_CYCLE_1)
	s_or_b32 exec_lo, exec_lo, s3
	s_mov_b32 s2, exec_lo
	v_cmpx_ne_u32_e64 v134, v124
	s_xor_b32 s2, exec_lo, s2
	s_cbranch_execz .LBB56_142
; %bb.137:
	s_mov_b32 s3, exec_lo
	v_cmpx_eq_u32_e32 6, v134
	s_cbranch_execz .LBB56_141
; %bb.138:
	v_cmp_ne_u32_e32 vcc_lo, 6, v124
	s_xor_b32 s6, s4, -1
	s_delay_alu instid0(SALU_CYCLE_1) | instskip(NEXT) | instid1(SALU_CYCLE_1)
	s_and_b32 s7, s6, vcc_lo
	s_and_saveexec_b32 s6, s7
	s_cbranch_execz .LBB56_140
; %bb.139:
	v_ashrrev_i32_e32 v125, 31, v124
	s_delay_alu instid0(VALU_DEP_1) | instskip(NEXT) | instid1(VALU_DEP_1)
	v_lshlrev_b64 v[40:41], 2, v[124:125]
	v_add_co_u32 v40, vcc_lo, v102, v40
	s_delay_alu instid0(VALU_DEP_2)
	v_add_co_ci_u32_e32 v41, vcc_lo, v103, v41, vcc_lo
	s_clause 0x1
	flat_load_b32 v42, v[40:41]
	flat_load_b32 v43, v[102:103] offset:24
	s_waitcnt vmcnt(1) lgkmcnt(1)
	flat_store_b32 v[102:103], v42 offset:24
	s_waitcnt vmcnt(0) lgkmcnt(1)
	flat_store_b32 v[40:41], v43
.LBB56_140:
	s_or_b32 exec_lo, exec_lo, s6
	v_mov_b32_e32 v134, v124
	v_mov_b32_e32 v255, v124
.LBB56_141:
	s_or_b32 exec_lo, exec_lo, s3
.LBB56_142:
	s_and_not1_saveexec_b32 s2, s2
	s_cbranch_execz .LBB56_144
; %bb.143:
	v_mov_b32_e32 v134, 6
	ds_store_2addr_b64 v132, v[88:89], v[90:91] offset0:14 offset1:15
	ds_store_2addr_b64 v132, v[92:93], v[94:95] offset0:16 offset1:17
	;; [unrolled: 1-line block ×22, first 2 shown]
.LBB56_144:
	s_or_b32 exec_lo, exec_lo, s2
	s_delay_alu instid0(SALU_CYCLE_1)
	s_mov_b32 s2, exec_lo
	s_waitcnt lgkmcnt(0)
	s_waitcnt_vscnt null, 0x0
	s_barrier
	buffer_gl0_inv
	v_cmpx_lt_i32_e32 6, v134
	s_cbranch_execz .LBB56_146
; %bb.145:
	v_mul_f64 v[42:43], v[116:117], v[253:254]
	v_mul_f64 v[40:41], v[118:119], v[253:254]
	v_dual_mov_b32 v60, v104 :: v_dual_mov_b32 v61, v105
	v_dual_mov_b32 v62, v106 :: v_dual_mov_b32 v63, v107
	s_delay_alu instid0(VALU_DEP_4) | instskip(NEXT) | instid1(VALU_DEP_4)
	v_fma_f64 v[253:254], v[118:119], v[251:252], v[42:43]
	v_fma_f64 v[40:41], v[116:117], v[251:252], -v[40:41]
	ds_load_2addr_b64 v[116:119], v132 offset0:14 offset1:15
	ds_load_2addr_b64 v[124:127], v132 offset0:16 offset1:17
	s_waitcnt lgkmcnt(1)
	v_mul_f64 v[42:43], v[118:119], v[253:254]
	v_mul_f64 v[44:45], v[116:117], v[253:254]
	s_waitcnt lgkmcnt(0)
	v_mul_f64 v[46:47], v[126:127], v[253:254]
	v_mul_f64 v[104:105], v[124:125], v[253:254]
	v_dual_mov_b32 v252, v41 :: v_dual_mov_b32 v251, v40
	v_fma_f64 v[42:43], v[116:117], v[40:41], -v[42:43]
	v_fma_f64 v[44:45], v[118:119], v[40:41], v[44:45]
	v_fma_f64 v[46:47], v[124:125], v[40:41], -v[46:47]
	v_fma_f64 v[104:105], v[126:127], v[40:41], v[104:105]
	ds_load_2addr_b64 v[116:119], v132 offset0:18 offset1:19
	ds_load_2addr_b64 v[124:127], v132 offset0:20 offset1:21
	s_waitcnt lgkmcnt(1)
	v_mul_f64 v[112:113], v[118:119], v[253:254]
	v_mul_f64 v[114:115], v[116:117], v[253:254]
	v_add_f64 v[88:89], v[88:89], -v[42:43]
	v_add_f64 v[90:91], v[90:91], -v[44:45]
	;; [unrolled: 1-line block ×4, first 2 shown]
	v_dual_mov_b32 v107, v63 :: v_dual_mov_b32 v106, v62
	v_dual_mov_b32 v105, v61 :: v_dual_mov_b32 v104, v60
	v_fma_f64 v[112:113], v[116:117], v[40:41], -v[112:113]
	s_waitcnt lgkmcnt(0)
	v_mul_f64 v[116:117], v[126:127], v[253:254]
	v_fma_f64 v[114:115], v[118:119], v[40:41], v[114:115]
	s_delay_alu instid0(VALU_DEP_3) | instskip(NEXT) | instid1(VALU_DEP_3)
	v_add_f64 v[68:69], v[68:69], -v[112:113]
	v_fma_f64 v[120:121], v[124:125], v[40:41], -v[116:117]
	v_mul_f64 v[116:117], v[124:125], v[253:254]
	s_delay_alu instid0(VALU_DEP_4) | instskip(NEXT) | instid1(VALU_DEP_3)
	v_add_f64 v[70:71], v[70:71], -v[114:115]
	v_add_f64 v[76:77], v[76:77], -v[120:121]
	s_delay_alu instid0(VALU_DEP_3)
	v_fma_f64 v[122:123], v[126:127], v[40:41], v[116:117]
	ds_load_2addr_b64 v[116:119], v132 offset0:22 offset1:23
	ds_load_2addr_b64 v[124:127], v132 offset0:24 offset1:25
	s_waitcnt lgkmcnt(1)
	v_mul_f64 v[135:136], v[118:119], v[253:254]
	v_add_f64 v[78:79], v[78:79], -v[122:123]
	s_delay_alu instid0(VALU_DEP_2) | instskip(SKIP_1) | instid1(VALU_DEP_2)
	v_fma_f64 v[135:136], v[116:117], v[40:41], -v[135:136]
	v_mul_f64 v[116:117], v[116:117], v[253:254]
	v_add_f64 v[72:73], v[72:73], -v[135:136]
	s_delay_alu instid0(VALU_DEP_2) | instskip(SKIP_2) | instid1(VALU_DEP_2)
	v_fma_f64 v[137:138], v[118:119], v[40:41], v[116:117]
	s_waitcnt lgkmcnt(0)
	v_mul_f64 v[116:117], v[126:127], v[253:254]
	v_add_f64 v[74:75], v[74:75], -v[137:138]
	s_delay_alu instid0(VALU_DEP_2) | instskip(SKIP_1) | instid1(VALU_DEP_2)
	v_fma_f64 v[139:140], v[124:125], v[40:41], -v[116:117]
	v_mul_f64 v[116:117], v[124:125], v[253:254]
	v_add_f64 v[84:85], v[84:85], -v[139:140]
	s_delay_alu instid0(VALU_DEP_2)
	v_fma_f64 v[141:142], v[126:127], v[40:41], v[116:117]
	ds_load_2addr_b64 v[116:119], v132 offset0:26 offset1:27
	ds_load_2addr_b64 v[124:127], v132 offset0:28 offset1:29
	s_waitcnt lgkmcnt(1)
	v_mul_f64 v[143:144], v[118:119], v[253:254]
	v_add_f64 v[86:87], v[86:87], -v[141:142]
	s_delay_alu instid0(VALU_DEP_2) | instskip(SKIP_1) | instid1(VALU_DEP_2)
	v_fma_f64 v[143:144], v[116:117], v[40:41], -v[143:144]
	v_mul_f64 v[116:117], v[116:117], v[253:254]
	v_add_f64 v[80:81], v[80:81], -v[143:144]
	s_delay_alu instid0(VALU_DEP_2) | instskip(SKIP_2) | instid1(VALU_DEP_2)
	v_fma_f64 v[145:146], v[118:119], v[40:41], v[116:117]
	s_waitcnt lgkmcnt(0)
	v_mul_f64 v[116:117], v[126:127], v[253:254]
	v_add_f64 v[82:83], v[82:83], -v[145:146]
	s_delay_alu instid0(VALU_DEP_2) | instskip(SKIP_1) | instid1(VALU_DEP_2)
	v_fma_f64 v[147:148], v[124:125], v[40:41], -v[116:117]
	v_mul_f64 v[116:117], v[124:125], v[253:254]
	v_add_f64 v[64:65], v[64:65], -v[147:148]
	s_delay_alu instid0(VALU_DEP_2)
	;; [unrolled: 20-line block ×8, first 2 shown]
	v_fma_f64 v[197:198], v[126:127], v[40:41], v[116:117]
	ds_load_2addr_b64 v[116:119], v132 offset0:54 offset1:55
	ds_load_2addr_b64 v[124:127], v132 offset0:56 offset1:57
	s_waitcnt lgkmcnt(1)
	v_mul_f64 v[199:200], v[118:119], v[253:254]
	v_add_f64 v[10:11], v[10:11], -v[197:198]
	s_delay_alu instid0(VALU_DEP_2) | instskip(SKIP_1) | instid1(VALU_DEP_2)
	v_fma_f64 v[199:200], v[116:117], v[40:41], -v[199:200]
	v_mul_f64 v[116:117], v[116:117], v[253:254]
	v_add_f64 v[4:5], v[4:5], -v[199:200]
	s_delay_alu instid0(VALU_DEP_2) | instskip(SKIP_2) | instid1(VALU_DEP_2)
	v_fma_f64 v[116:117], v[118:119], v[40:41], v[116:117]
	s_waitcnt lgkmcnt(0)
	v_mul_f64 v[118:119], v[126:127], v[253:254]
	v_add_f64 v[6:7], v[6:7], -v[116:117]
	s_delay_alu instid0(VALU_DEP_2) | instskip(SKIP_1) | instid1(VALU_DEP_2)
	v_fma_f64 v[118:119], v[124:125], v[40:41], -v[118:119]
	v_mul_f64 v[124:125], v[124:125], v[253:254]
	v_add_f64 v[0:1], v[0:1], -v[118:119]
	s_delay_alu instid0(VALU_DEP_2) | instskip(NEXT) | instid1(VALU_DEP_1)
	v_fma_f64 v[124:125], v[126:127], v[40:41], v[124:125]
	v_add_f64 v[2:3], v[2:3], -v[124:125]
.LBB56_146:
	s_or_b32 exec_lo, exec_lo, s2
	v_lshl_add_u32 v40, v134, 4, v132
	s_barrier
	buffer_gl0_inv
	v_mov_b32_e32 v124, 7
	ds_store_2addr_b64 v40, v[88:89], v[90:91] offset1:1
	s_waitcnt lgkmcnt(0)
	s_barrier
	buffer_gl0_inv
	ds_load_2addr_b64 v[116:119], v132 offset0:14 offset1:15
	s_cmp_lt_i32 s5, 9
	s_cbranch_scc1 .LBB56_149
; %bb.147:
	v_add3_u32 v125, v130, 0, 0x80
	v_mov_b32_e32 v124, 7
	s_mov_b32 s6, 8
	s_set_inst_prefetch_distance 0x1
	.p2align	6
.LBB56_148:                             ; =>This Inner Loop Header: Depth=1
	ds_load_2addr_b64 v[135:138], v125 offset1:1
	s_waitcnt lgkmcnt(1)
	v_cmp_gt_f64_e32 vcc_lo, 0, v[116:117]
	v_xor_b32_e32 v40, 0x80000000, v117
	v_cmp_gt_f64_e64 s2, 0, v[118:119]
	v_xor_b32_e32 v42, 0x80000000, v119
	v_add_nc_u32_e32 v125, 16, v125
	s_waitcnt lgkmcnt(0)
	v_cmp_gt_f64_e64 s3, 0, v[135:136]
	v_mov_b32_e32 v44, v135
	v_mov_b32_e32 v46, v137
	v_cndmask_b32_e32 v41, v117, v40, vcc_lo
	v_xor_b32_e32 v40, 0x80000000, v136
	v_cndmask_b32_e64 v43, v119, v42, s2
	v_xor_b32_e32 v42, 0x80000000, v138
	s_delay_alu instid0(VALU_DEP_3) | instskip(SKIP_2) | instid1(VALU_DEP_2)
	v_cndmask_b32_e64 v45, v136, v40, s3
	v_cmp_gt_f64_e64 s3, 0, v[137:138]
	v_cndmask_b32_e32 v40, v116, v116, vcc_lo
	v_cndmask_b32_e64 v47, v138, v42, s3
	v_cndmask_b32_e64 v42, v118, v118, s2
	s_delay_alu instid0(VALU_DEP_2) | instskip(NEXT) | instid1(VALU_DEP_2)
	v_add_f64 v[44:45], v[44:45], v[46:47]
	v_add_f64 v[40:41], v[40:41], v[42:43]
	s_delay_alu instid0(VALU_DEP_1) | instskip(SKIP_4) | instid1(SALU_CYCLE_1)
	v_cmp_lt_f64_e32 vcc_lo, v[40:41], v[44:45]
	v_dual_cndmask_b32 v117, v117, v136 :: v_dual_cndmask_b32 v116, v116, v135
	v_dual_cndmask_b32 v119, v119, v138 :: v_dual_cndmask_b32 v118, v118, v137
	v_cndmask_b32_e64 v124, v124, s6, vcc_lo
	s_add_i32 s6, s6, 1
	s_cmp_lg_u32 s5, s6
	s_cbranch_scc1 .LBB56_148
.LBB56_149:
	s_set_inst_prefetch_distance 0x2
	s_waitcnt lgkmcnt(0)
	v_cmp_eq_f64_e32 vcc_lo, 0, v[116:117]
	v_cmp_eq_f64_e64 s2, 0, v[118:119]
	s_delay_alu instid0(VALU_DEP_1) | instskip(NEXT) | instid1(SALU_CYCLE_1)
	s_and_b32 s2, vcc_lo, s2
	s_and_saveexec_b32 s3, s2
	s_delay_alu instid0(SALU_CYCLE_1)
	s_xor_b32 s2, exec_lo, s3
; %bb.150:
	v_cmp_ne_u32_e32 vcc_lo, 0, v129
	v_cndmask_b32_e32 v129, 8, v129, vcc_lo
; %bb.151:
	s_and_not1_saveexec_b32 s3, s2
	s_cbranch_execz .LBB56_157
; %bb.152:
	v_cmp_gt_f64_e32 vcc_lo, 0, v[116:117]
	v_cmp_gt_f64_e64 s2, 0, v[118:119]
	v_xor_b32_e32 v40, 0x80000000, v117
	v_xor_b32_e32 v42, 0x80000000, v119
	s_delay_alu instid0(VALU_DEP_2) | instskip(NEXT) | instid1(VALU_DEP_2)
	v_cndmask_b32_e32 v41, v117, v40, vcc_lo
	v_cndmask_b32_e64 v43, v119, v42, s2
	v_cndmask_b32_e32 v40, v116, v116, vcc_lo
	v_cndmask_b32_e64 v42, v118, v118, s2
	s_mov_b32 s2, exec_lo
	s_delay_alu instid0(VALU_DEP_1)
	v_cmpx_ngt_f64_e32 v[40:41], v[42:43]
	s_xor_b32 s2, exec_lo, s2
	s_cbranch_execz .LBB56_154
; %bb.153:
	v_div_scale_f64 v[40:41], null, v[118:119], v[118:119], v[116:117]
	v_div_scale_f64 v[46:47], vcc_lo, v[116:117], v[118:119], v[116:117]
	s_delay_alu instid0(VALU_DEP_2) | instskip(SKIP_2) | instid1(VALU_DEP_1)
	v_rcp_f64_e32 v[42:43], v[40:41]
	s_waitcnt_depctr 0xfff
	v_fma_f64 v[44:45], -v[40:41], v[42:43], 1.0
	v_fma_f64 v[42:43], v[42:43], v[44:45], v[42:43]
	s_delay_alu instid0(VALU_DEP_1) | instskip(NEXT) | instid1(VALU_DEP_1)
	v_fma_f64 v[44:45], -v[40:41], v[42:43], 1.0
	v_fma_f64 v[42:43], v[42:43], v[44:45], v[42:43]
	s_delay_alu instid0(VALU_DEP_1) | instskip(NEXT) | instid1(VALU_DEP_1)
	v_mul_f64 v[44:45], v[46:47], v[42:43]
	v_fma_f64 v[40:41], -v[40:41], v[44:45], v[46:47]
	s_delay_alu instid0(VALU_DEP_1) | instskip(NEXT) | instid1(VALU_DEP_1)
	v_div_fmas_f64 v[40:41], v[40:41], v[42:43], v[44:45]
	v_div_fixup_f64 v[40:41], v[40:41], v[118:119], v[116:117]
	s_delay_alu instid0(VALU_DEP_1) | instskip(NEXT) | instid1(VALU_DEP_1)
	v_fma_f64 v[42:43], v[116:117], v[40:41], v[118:119]
	v_div_scale_f64 v[44:45], null, v[42:43], v[42:43], 1.0
	s_delay_alu instid0(VALU_DEP_1) | instskip(SKIP_2) | instid1(VALU_DEP_1)
	v_rcp_f64_e32 v[46:47], v[44:45]
	s_waitcnt_depctr 0xfff
	v_fma_f64 v[112:113], -v[44:45], v[46:47], 1.0
	v_fma_f64 v[46:47], v[46:47], v[112:113], v[46:47]
	s_delay_alu instid0(VALU_DEP_1) | instskip(NEXT) | instid1(VALU_DEP_1)
	v_fma_f64 v[112:113], -v[44:45], v[46:47], 1.0
	v_fma_f64 v[46:47], v[46:47], v[112:113], v[46:47]
	v_div_scale_f64 v[112:113], vcc_lo, 1.0, v[42:43], 1.0
	s_delay_alu instid0(VALU_DEP_1) | instskip(NEXT) | instid1(VALU_DEP_1)
	v_mul_f64 v[114:115], v[112:113], v[46:47]
	v_fma_f64 v[44:45], -v[44:45], v[114:115], v[112:113]
	s_delay_alu instid0(VALU_DEP_1) | instskip(NEXT) | instid1(VALU_DEP_1)
	v_div_fmas_f64 v[44:45], v[44:45], v[46:47], v[114:115]
	v_div_fixup_f64 v[118:119], v[44:45], v[42:43], 1.0
	s_delay_alu instid0(VALU_DEP_1)
	v_mul_f64 v[116:117], v[40:41], v[118:119]
	v_xor_b32_e32 v119, 0x80000000, v119
.LBB56_154:
	s_and_not1_saveexec_b32 s2, s2
	s_cbranch_execz .LBB56_156
; %bb.155:
	s_delay_alu instid0(VALU_DEP_1) | instskip(SKIP_1) | instid1(VALU_DEP_2)
	v_div_scale_f64 v[40:41], null, v[116:117], v[116:117], v[118:119]
	v_div_scale_f64 v[46:47], vcc_lo, v[118:119], v[116:117], v[118:119]
	v_rcp_f64_e32 v[42:43], v[40:41]
	s_waitcnt_depctr 0xfff
	v_fma_f64 v[44:45], -v[40:41], v[42:43], 1.0
	s_delay_alu instid0(VALU_DEP_1) | instskip(NEXT) | instid1(VALU_DEP_1)
	v_fma_f64 v[42:43], v[42:43], v[44:45], v[42:43]
	v_fma_f64 v[44:45], -v[40:41], v[42:43], 1.0
	s_delay_alu instid0(VALU_DEP_1) | instskip(NEXT) | instid1(VALU_DEP_1)
	v_fma_f64 v[42:43], v[42:43], v[44:45], v[42:43]
	v_mul_f64 v[44:45], v[46:47], v[42:43]
	s_delay_alu instid0(VALU_DEP_1) | instskip(NEXT) | instid1(VALU_DEP_1)
	v_fma_f64 v[40:41], -v[40:41], v[44:45], v[46:47]
	v_div_fmas_f64 v[40:41], v[40:41], v[42:43], v[44:45]
	s_delay_alu instid0(VALU_DEP_1) | instskip(NEXT) | instid1(VALU_DEP_1)
	v_div_fixup_f64 v[40:41], v[40:41], v[116:117], v[118:119]
	v_fma_f64 v[42:43], v[118:119], v[40:41], v[116:117]
	s_delay_alu instid0(VALU_DEP_1) | instskip(NEXT) | instid1(VALU_DEP_1)
	v_div_scale_f64 v[44:45], null, v[42:43], v[42:43], 1.0
	v_rcp_f64_e32 v[46:47], v[44:45]
	s_waitcnt_depctr 0xfff
	v_fma_f64 v[112:113], -v[44:45], v[46:47], 1.0
	s_delay_alu instid0(VALU_DEP_1) | instskip(NEXT) | instid1(VALU_DEP_1)
	v_fma_f64 v[46:47], v[46:47], v[112:113], v[46:47]
	v_fma_f64 v[112:113], -v[44:45], v[46:47], 1.0
	s_delay_alu instid0(VALU_DEP_1) | instskip(SKIP_1) | instid1(VALU_DEP_1)
	v_fma_f64 v[46:47], v[46:47], v[112:113], v[46:47]
	v_div_scale_f64 v[112:113], vcc_lo, 1.0, v[42:43], 1.0
	v_mul_f64 v[114:115], v[112:113], v[46:47]
	s_delay_alu instid0(VALU_DEP_1) | instskip(NEXT) | instid1(VALU_DEP_1)
	v_fma_f64 v[44:45], -v[44:45], v[114:115], v[112:113]
	v_div_fmas_f64 v[44:45], v[44:45], v[46:47], v[114:115]
	s_delay_alu instid0(VALU_DEP_1) | instskip(NEXT) | instid1(VALU_DEP_1)
	v_div_fixup_f64 v[116:117], v[44:45], v[42:43], 1.0
	v_mul_f64 v[118:119], v[40:41], -v[116:117]
.LBB56_156:
	s_or_b32 exec_lo, exec_lo, s2
.LBB56_157:
	s_delay_alu instid0(SALU_CYCLE_1) | instskip(NEXT) | instid1(SALU_CYCLE_1)
	s_or_b32 exec_lo, exec_lo, s3
	s_mov_b32 s2, exec_lo
	v_cmpx_ne_u32_e64 v134, v124
	s_xor_b32 s2, exec_lo, s2
	s_cbranch_execz .LBB56_163
; %bb.158:
	s_mov_b32 s3, exec_lo
	v_cmpx_eq_u32_e32 7, v134
	s_cbranch_execz .LBB56_162
; %bb.159:
	v_cmp_ne_u32_e32 vcc_lo, 7, v124
	s_xor_b32 s6, s4, -1
	s_delay_alu instid0(SALU_CYCLE_1) | instskip(NEXT) | instid1(SALU_CYCLE_1)
	s_and_b32 s7, s6, vcc_lo
	s_and_saveexec_b32 s6, s7
	s_cbranch_execz .LBB56_161
; %bb.160:
	v_ashrrev_i32_e32 v125, 31, v124
	s_delay_alu instid0(VALU_DEP_1) | instskip(NEXT) | instid1(VALU_DEP_1)
	v_lshlrev_b64 v[40:41], 2, v[124:125]
	v_add_co_u32 v40, vcc_lo, v102, v40
	s_delay_alu instid0(VALU_DEP_2)
	v_add_co_ci_u32_e32 v41, vcc_lo, v103, v41, vcc_lo
	s_clause 0x1
	flat_load_b32 v42, v[40:41]
	flat_load_b32 v43, v[102:103] offset:28
	s_waitcnt vmcnt(1) lgkmcnt(1)
	flat_store_b32 v[102:103], v42 offset:28
	s_waitcnt vmcnt(0) lgkmcnt(1)
	flat_store_b32 v[40:41], v43
.LBB56_161:
	s_or_b32 exec_lo, exec_lo, s6
	v_mov_b32_e32 v134, v124
	v_mov_b32_e32 v255, v124
.LBB56_162:
	s_or_b32 exec_lo, exec_lo, s3
.LBB56_163:
	s_and_not1_saveexec_b32 s2, s2
	s_cbranch_execz .LBB56_165
; %bb.164:
	v_mov_b32_e32 v134, 7
	ds_store_2addr_b64 v132, v[92:93], v[94:95] offset0:16 offset1:17
	ds_store_2addr_b64 v132, v[68:69], v[70:71] offset0:18 offset1:19
	;; [unrolled: 1-line block ×21, first 2 shown]
.LBB56_165:
	s_or_b32 exec_lo, exec_lo, s2
	s_delay_alu instid0(SALU_CYCLE_1)
	s_mov_b32 s2, exec_lo
	s_waitcnt lgkmcnt(0)
	s_waitcnt_vscnt null, 0x0
	s_barrier
	buffer_gl0_inv
	v_cmpx_lt_i32_e32 7, v134
	s_cbranch_execz .LBB56_167
; %bb.166:
	v_mul_f64 v[40:41], v[118:119], v[90:91]
	s_delay_alu instid0(VALU_DEP_1) | instskip(SKIP_1) | instid1(VALU_DEP_1)
	v_fma_f64 v[124:125], v[116:117], v[88:89], -v[40:41]
	v_mul_f64 v[40:41], v[116:117], v[90:91]
	v_fma_f64 v[90:91], v[118:119], v[88:89], v[40:41]
	ds_load_2addr_b64 v[116:119], v132 offset0:16 offset1:17
	ds_load_2addr_b64 v[135:138], v132 offset0:18 offset1:19
	s_waitcnt lgkmcnt(1)
	v_mul_f64 v[40:41], v[118:119], v[90:91]
	s_delay_alu instid0(VALU_DEP_1) | instskip(SKIP_1) | instid1(VALU_DEP_2)
	v_fma_f64 v[88:89], v[116:117], v[124:125], -v[40:41]
	v_mul_f64 v[40:41], v[116:117], v[90:91]
	v_add_f64 v[92:93], v[92:93], -v[88:89]
	s_delay_alu instid0(VALU_DEP_2) | instskip(SKIP_3) | instid1(VALU_DEP_3)
	v_fma_f64 v[116:117], v[118:119], v[124:125], v[40:41]
	s_waitcnt lgkmcnt(0)
	v_mul_f64 v[40:41], v[137:138], v[90:91]
	v_dual_mov_b32 v88, v124 :: v_dual_mov_b32 v89, v125
	v_add_f64 v[94:95], v[94:95], -v[116:117]
	s_delay_alu instid0(VALU_DEP_3) | instskip(SKIP_1) | instid1(VALU_DEP_2)
	v_fma_f64 v[118:119], v[135:136], v[124:125], -v[40:41]
	v_mul_f64 v[40:41], v[135:136], v[90:91]
	v_add_f64 v[68:69], v[68:69], -v[118:119]
	s_delay_alu instid0(VALU_DEP_2)
	v_fma_f64 v[126:127], v[137:138], v[124:125], v[40:41]
	ds_load_2addr_b64 v[135:138], v132 offset0:20 offset1:21
	ds_load_2addr_b64 v[139:142], v132 offset0:22 offset1:23
	s_waitcnt lgkmcnt(1)
	v_mul_f64 v[40:41], v[137:138], v[90:91]
	v_mul_f64 v[42:43], v[135:136], v[90:91]
	s_waitcnt lgkmcnt(0)
	v_mul_f64 v[44:45], v[141:142], v[90:91]
	v_mul_f64 v[46:47], v[139:140], v[90:91]
	v_add_f64 v[70:71], v[70:71], -v[126:127]
	v_fma_f64 v[40:41], v[135:136], v[124:125], -v[40:41]
	v_fma_f64 v[42:43], v[137:138], v[124:125], v[42:43]
	v_fma_f64 v[44:45], v[139:140], v[124:125], -v[44:45]
	v_fma_f64 v[46:47], v[141:142], v[124:125], v[46:47]
	ds_load_2addr_b64 v[135:138], v132 offset0:24 offset1:25
	ds_load_2addr_b64 v[139:142], v132 offset0:26 offset1:27
	s_waitcnt lgkmcnt(1)
	v_mul_f64 v[112:113], v[137:138], v[90:91]
	v_mul_f64 v[114:115], v[135:136], v[90:91]
	s_waitcnt lgkmcnt(0)
	v_mul_f64 v[120:121], v[141:142], v[90:91]
	v_mul_f64 v[122:123], v[139:140], v[90:91]
	v_add_f64 v[76:77], v[76:77], -v[40:41]
	v_add_f64 v[78:79], v[78:79], -v[42:43]
	;; [unrolled: 1-line block ×4, first 2 shown]
	v_fma_f64 v[112:113], v[135:136], v[124:125], -v[112:113]
	v_fma_f64 v[114:115], v[137:138], v[124:125], v[114:115]
	v_fma_f64 v[120:121], v[139:140], v[124:125], -v[120:121]
	v_fma_f64 v[122:123], v[141:142], v[124:125], v[122:123]
	ds_load_2addr_b64 v[135:138], v132 offset0:28 offset1:29
	ds_load_2addr_b64 v[139:142], v132 offset0:30 offset1:31
	s_waitcnt lgkmcnt(1)
	v_mul_f64 v[143:144], v[137:138], v[90:91]
	v_add_f64 v[84:85], v[84:85], -v[112:113]
	v_add_f64 v[86:87], v[86:87], -v[114:115]
	v_add_f64 v[80:81], v[80:81], -v[120:121]
	v_add_f64 v[82:83], v[82:83], -v[122:123]
	v_fma_f64 v[143:144], v[135:136], v[124:125], -v[143:144]
	v_mul_f64 v[135:136], v[135:136], v[90:91]
	s_delay_alu instid0(VALU_DEP_2) | instskip(NEXT) | instid1(VALU_DEP_2)
	v_add_f64 v[64:65], v[64:65], -v[143:144]
	v_fma_f64 v[145:146], v[137:138], v[124:125], v[135:136]
	s_waitcnt lgkmcnt(0)
	v_mul_f64 v[135:136], v[141:142], v[90:91]
	s_delay_alu instid0(VALU_DEP_2) | instskip(NEXT) | instid1(VALU_DEP_2)
	v_add_f64 v[66:67], v[66:67], -v[145:146]
	v_fma_f64 v[147:148], v[139:140], v[124:125], -v[135:136]
	v_mul_f64 v[135:136], v[139:140], v[90:91]
	s_delay_alu instid0(VALU_DEP_2) | instskip(NEXT) | instid1(VALU_DEP_2)
	v_add_f64 v[223:224], v[223:224], -v[147:148]
	v_fma_f64 v[149:150], v[141:142], v[124:125], v[135:136]
	ds_load_2addr_b64 v[135:138], v132 offset0:32 offset1:33
	ds_load_2addr_b64 v[139:142], v132 offset0:34 offset1:35
	s_waitcnt lgkmcnt(1)
	v_mul_f64 v[151:152], v[137:138], v[90:91]
	v_add_f64 v[225:226], v[225:226], -v[149:150]
	s_delay_alu instid0(VALU_DEP_2) | instskip(SKIP_1) | instid1(VALU_DEP_2)
	v_fma_f64 v[151:152], v[135:136], v[124:125], -v[151:152]
	v_mul_f64 v[135:136], v[135:136], v[90:91]
	v_add_f64 v[227:228], v[227:228], -v[151:152]
	s_delay_alu instid0(VALU_DEP_2) | instskip(SKIP_2) | instid1(VALU_DEP_2)
	v_fma_f64 v[153:154], v[137:138], v[124:125], v[135:136]
	s_waitcnt lgkmcnt(0)
	v_mul_f64 v[135:136], v[141:142], v[90:91]
	v_add_f64 v[229:230], v[229:230], -v[153:154]
	s_delay_alu instid0(VALU_DEP_2) | instskip(SKIP_1) | instid1(VALU_DEP_2)
	v_fma_f64 v[155:156], v[139:140], v[124:125], -v[135:136]
	v_mul_f64 v[135:136], v[139:140], v[90:91]
	v_add_f64 v[52:53], v[52:53], -v[155:156]
	s_delay_alu instid0(VALU_DEP_2)
	v_fma_f64 v[157:158], v[141:142], v[124:125], v[135:136]
	ds_load_2addr_b64 v[135:138], v132 offset0:36 offset1:37
	ds_load_2addr_b64 v[139:142], v132 offset0:38 offset1:39
	s_waitcnt lgkmcnt(1)
	v_mul_f64 v[159:160], v[137:138], v[90:91]
	v_add_f64 v[54:55], v[54:55], -v[157:158]
	s_delay_alu instid0(VALU_DEP_2) | instskip(SKIP_1) | instid1(VALU_DEP_2)
	v_fma_f64 v[159:160], v[135:136], v[124:125], -v[159:160]
	v_mul_f64 v[135:136], v[135:136], v[90:91]
	v_add_f64 v[48:49], v[48:49], -v[159:160]
	s_delay_alu instid0(VALU_DEP_2) | instskip(SKIP_2) | instid1(VALU_DEP_2)
	v_fma_f64 v[161:162], v[137:138], v[124:125], v[135:136]
	s_waitcnt lgkmcnt(0)
	v_mul_f64 v[135:136], v[141:142], v[90:91]
	v_add_f64 v[50:51], v[50:51], -v[161:162]
	s_delay_alu instid0(VALU_DEP_2) | instskip(SKIP_1) | instid1(VALU_DEP_2)
	v_fma_f64 v[163:164], v[139:140], v[124:125], -v[135:136]
	v_mul_f64 v[135:136], v[139:140], v[90:91]
	v_add_f64 v[36:37], v[36:37], -v[163:164]
	s_delay_alu instid0(VALU_DEP_2)
	;; [unrolled: 20-line block ×5, first 2 shown]
	v_fma_f64 v[189:190], v[141:142], v[124:125], v[135:136]
	ds_load_2addr_b64 v[135:138], v132 offset0:52 offset1:53
	ds_load_2addr_b64 v[139:142], v132 offset0:54 offset1:55
	s_waitcnt lgkmcnt(1)
	v_mul_f64 v[191:192], v[137:138], v[90:91]
	v_add_f64 v[14:15], v[14:15], -v[189:190]
	s_delay_alu instid0(VALU_DEP_2) | instskip(SKIP_1) | instid1(VALU_DEP_2)
	v_fma_f64 v[191:192], v[135:136], v[124:125], -v[191:192]
	v_mul_f64 v[135:136], v[135:136], v[90:91]
	v_add_f64 v[8:9], v[8:9], -v[191:192]
	s_delay_alu instid0(VALU_DEP_2) | instskip(SKIP_2) | instid1(VALU_DEP_2)
	v_fma_f64 v[193:194], v[137:138], v[124:125], v[135:136]
	s_waitcnt lgkmcnt(0)
	v_mul_f64 v[135:136], v[141:142], v[90:91]
	v_add_f64 v[10:11], v[10:11], -v[193:194]
	s_delay_alu instid0(VALU_DEP_2) | instskip(SKIP_1) | instid1(VALU_DEP_2)
	v_fma_f64 v[195:196], v[139:140], v[124:125], -v[135:136]
	v_mul_f64 v[135:136], v[139:140], v[90:91]
	v_add_f64 v[4:5], v[4:5], -v[195:196]
	s_delay_alu instid0(VALU_DEP_2) | instskip(SKIP_4) | instid1(VALU_DEP_2)
	v_fma_f64 v[139:140], v[141:142], v[124:125], v[135:136]
	ds_load_2addr_b64 v[135:138], v132 offset0:56 offset1:57
	s_waitcnt lgkmcnt(0)
	v_mul_f64 v[141:142], v[137:138], v[90:91]
	v_add_f64 v[6:7], v[6:7], -v[139:140]
	v_fma_f64 v[141:142], v[135:136], v[124:125], -v[141:142]
	v_mul_f64 v[135:136], v[135:136], v[90:91]
	s_delay_alu instid0(VALU_DEP_2) | instskip(NEXT) | instid1(VALU_DEP_2)
	v_add_f64 v[0:1], v[0:1], -v[141:142]
	v_fma_f64 v[135:136], v[137:138], v[124:125], v[135:136]
	s_delay_alu instid0(VALU_DEP_1)
	v_add_f64 v[2:3], v[2:3], -v[135:136]
.LBB56_167:
	s_or_b32 exec_lo, exec_lo, s2
	v_lshl_add_u32 v40, v134, 4, v132
	s_barrier
	buffer_gl0_inv
	v_mov_b32_e32 v124, 8
	ds_store_2addr_b64 v40, v[92:93], v[94:95] offset1:1
	s_waitcnt lgkmcnt(0)
	s_barrier
	buffer_gl0_inv
	ds_load_2addr_b64 v[116:119], v132 offset0:16 offset1:17
	s_cmp_lt_i32 s5, 10
	s_cbranch_scc1 .LBB56_170
; %bb.168:
	v_add3_u32 v125, v130, 0, 0x90
	v_mov_b32_e32 v124, 8
	s_mov_b32 s6, 9
	s_set_inst_prefetch_distance 0x1
	.p2align	6
.LBB56_169:                             ; =>This Inner Loop Header: Depth=1
	ds_load_2addr_b64 v[135:138], v125 offset1:1
	s_waitcnt lgkmcnt(1)
	v_cmp_gt_f64_e32 vcc_lo, 0, v[116:117]
	v_xor_b32_e32 v40, 0x80000000, v117
	v_cmp_gt_f64_e64 s2, 0, v[118:119]
	v_xor_b32_e32 v42, 0x80000000, v119
	v_add_nc_u32_e32 v125, 16, v125
	s_waitcnt lgkmcnt(0)
	v_cmp_gt_f64_e64 s3, 0, v[135:136]
	v_mov_b32_e32 v44, v135
	v_mov_b32_e32 v46, v137
	v_cndmask_b32_e32 v41, v117, v40, vcc_lo
	v_xor_b32_e32 v40, 0x80000000, v136
	v_cndmask_b32_e64 v43, v119, v42, s2
	v_xor_b32_e32 v42, 0x80000000, v138
	s_delay_alu instid0(VALU_DEP_3) | instskip(SKIP_2) | instid1(VALU_DEP_2)
	v_cndmask_b32_e64 v45, v136, v40, s3
	v_cmp_gt_f64_e64 s3, 0, v[137:138]
	v_cndmask_b32_e32 v40, v116, v116, vcc_lo
	v_cndmask_b32_e64 v47, v138, v42, s3
	v_cndmask_b32_e64 v42, v118, v118, s2
	s_delay_alu instid0(VALU_DEP_2) | instskip(NEXT) | instid1(VALU_DEP_2)
	v_add_f64 v[44:45], v[44:45], v[46:47]
	v_add_f64 v[40:41], v[40:41], v[42:43]
	s_delay_alu instid0(VALU_DEP_1) | instskip(SKIP_4) | instid1(SALU_CYCLE_1)
	v_cmp_lt_f64_e32 vcc_lo, v[40:41], v[44:45]
	v_dual_cndmask_b32 v117, v117, v136 :: v_dual_cndmask_b32 v116, v116, v135
	v_dual_cndmask_b32 v119, v119, v138 :: v_dual_cndmask_b32 v118, v118, v137
	v_cndmask_b32_e64 v124, v124, s6, vcc_lo
	s_add_i32 s6, s6, 1
	s_cmp_lg_u32 s5, s6
	s_cbranch_scc1 .LBB56_169
.LBB56_170:
	s_set_inst_prefetch_distance 0x2
	s_waitcnt lgkmcnt(0)
	v_cmp_eq_f64_e32 vcc_lo, 0, v[116:117]
	v_cmp_eq_f64_e64 s2, 0, v[118:119]
	s_delay_alu instid0(VALU_DEP_1) | instskip(NEXT) | instid1(SALU_CYCLE_1)
	s_and_b32 s2, vcc_lo, s2
	s_and_saveexec_b32 s3, s2
	s_delay_alu instid0(SALU_CYCLE_1)
	s_xor_b32 s2, exec_lo, s3
; %bb.171:
	v_cmp_ne_u32_e32 vcc_lo, 0, v129
	v_cndmask_b32_e32 v129, 9, v129, vcc_lo
; %bb.172:
	s_and_not1_saveexec_b32 s3, s2
	s_cbranch_execz .LBB56_178
; %bb.173:
	v_cmp_gt_f64_e32 vcc_lo, 0, v[116:117]
	v_cmp_gt_f64_e64 s2, 0, v[118:119]
	v_xor_b32_e32 v40, 0x80000000, v117
	v_xor_b32_e32 v42, 0x80000000, v119
	s_delay_alu instid0(VALU_DEP_2) | instskip(NEXT) | instid1(VALU_DEP_2)
	v_cndmask_b32_e32 v41, v117, v40, vcc_lo
	v_cndmask_b32_e64 v43, v119, v42, s2
	v_cndmask_b32_e32 v40, v116, v116, vcc_lo
	v_cndmask_b32_e64 v42, v118, v118, s2
	s_mov_b32 s2, exec_lo
	s_delay_alu instid0(VALU_DEP_1)
	v_cmpx_ngt_f64_e32 v[40:41], v[42:43]
	s_xor_b32 s2, exec_lo, s2
	s_cbranch_execz .LBB56_175
; %bb.174:
	v_div_scale_f64 v[40:41], null, v[118:119], v[118:119], v[116:117]
	v_div_scale_f64 v[46:47], vcc_lo, v[116:117], v[118:119], v[116:117]
	s_delay_alu instid0(VALU_DEP_2) | instskip(SKIP_2) | instid1(VALU_DEP_1)
	v_rcp_f64_e32 v[42:43], v[40:41]
	s_waitcnt_depctr 0xfff
	v_fma_f64 v[44:45], -v[40:41], v[42:43], 1.0
	v_fma_f64 v[42:43], v[42:43], v[44:45], v[42:43]
	s_delay_alu instid0(VALU_DEP_1) | instskip(NEXT) | instid1(VALU_DEP_1)
	v_fma_f64 v[44:45], -v[40:41], v[42:43], 1.0
	v_fma_f64 v[42:43], v[42:43], v[44:45], v[42:43]
	s_delay_alu instid0(VALU_DEP_1) | instskip(NEXT) | instid1(VALU_DEP_1)
	v_mul_f64 v[44:45], v[46:47], v[42:43]
	v_fma_f64 v[40:41], -v[40:41], v[44:45], v[46:47]
	s_delay_alu instid0(VALU_DEP_1) | instskip(NEXT) | instid1(VALU_DEP_1)
	v_div_fmas_f64 v[40:41], v[40:41], v[42:43], v[44:45]
	v_div_fixup_f64 v[40:41], v[40:41], v[118:119], v[116:117]
	s_delay_alu instid0(VALU_DEP_1) | instskip(NEXT) | instid1(VALU_DEP_1)
	v_fma_f64 v[42:43], v[116:117], v[40:41], v[118:119]
	v_div_scale_f64 v[44:45], null, v[42:43], v[42:43], 1.0
	s_delay_alu instid0(VALU_DEP_1) | instskip(SKIP_2) | instid1(VALU_DEP_1)
	v_rcp_f64_e32 v[46:47], v[44:45]
	s_waitcnt_depctr 0xfff
	v_fma_f64 v[112:113], -v[44:45], v[46:47], 1.0
	v_fma_f64 v[46:47], v[46:47], v[112:113], v[46:47]
	s_delay_alu instid0(VALU_DEP_1) | instskip(NEXT) | instid1(VALU_DEP_1)
	v_fma_f64 v[112:113], -v[44:45], v[46:47], 1.0
	v_fma_f64 v[46:47], v[46:47], v[112:113], v[46:47]
	v_div_scale_f64 v[112:113], vcc_lo, 1.0, v[42:43], 1.0
	s_delay_alu instid0(VALU_DEP_1) | instskip(NEXT) | instid1(VALU_DEP_1)
	v_mul_f64 v[114:115], v[112:113], v[46:47]
	v_fma_f64 v[44:45], -v[44:45], v[114:115], v[112:113]
	s_delay_alu instid0(VALU_DEP_1) | instskip(NEXT) | instid1(VALU_DEP_1)
	v_div_fmas_f64 v[44:45], v[44:45], v[46:47], v[114:115]
	v_div_fixup_f64 v[118:119], v[44:45], v[42:43], 1.0
	s_delay_alu instid0(VALU_DEP_1)
	v_mul_f64 v[116:117], v[40:41], v[118:119]
	v_xor_b32_e32 v119, 0x80000000, v119
.LBB56_175:
	s_and_not1_saveexec_b32 s2, s2
	s_cbranch_execz .LBB56_177
; %bb.176:
	s_delay_alu instid0(VALU_DEP_1) | instskip(SKIP_1) | instid1(VALU_DEP_2)
	v_div_scale_f64 v[40:41], null, v[116:117], v[116:117], v[118:119]
	v_div_scale_f64 v[46:47], vcc_lo, v[118:119], v[116:117], v[118:119]
	v_rcp_f64_e32 v[42:43], v[40:41]
	s_waitcnt_depctr 0xfff
	v_fma_f64 v[44:45], -v[40:41], v[42:43], 1.0
	s_delay_alu instid0(VALU_DEP_1) | instskip(NEXT) | instid1(VALU_DEP_1)
	v_fma_f64 v[42:43], v[42:43], v[44:45], v[42:43]
	v_fma_f64 v[44:45], -v[40:41], v[42:43], 1.0
	s_delay_alu instid0(VALU_DEP_1) | instskip(NEXT) | instid1(VALU_DEP_1)
	v_fma_f64 v[42:43], v[42:43], v[44:45], v[42:43]
	v_mul_f64 v[44:45], v[46:47], v[42:43]
	s_delay_alu instid0(VALU_DEP_1) | instskip(NEXT) | instid1(VALU_DEP_1)
	v_fma_f64 v[40:41], -v[40:41], v[44:45], v[46:47]
	v_div_fmas_f64 v[40:41], v[40:41], v[42:43], v[44:45]
	s_delay_alu instid0(VALU_DEP_1) | instskip(NEXT) | instid1(VALU_DEP_1)
	v_div_fixup_f64 v[40:41], v[40:41], v[116:117], v[118:119]
	v_fma_f64 v[42:43], v[118:119], v[40:41], v[116:117]
	s_delay_alu instid0(VALU_DEP_1) | instskip(NEXT) | instid1(VALU_DEP_1)
	v_div_scale_f64 v[44:45], null, v[42:43], v[42:43], 1.0
	v_rcp_f64_e32 v[46:47], v[44:45]
	s_waitcnt_depctr 0xfff
	v_fma_f64 v[112:113], -v[44:45], v[46:47], 1.0
	s_delay_alu instid0(VALU_DEP_1) | instskip(NEXT) | instid1(VALU_DEP_1)
	v_fma_f64 v[46:47], v[46:47], v[112:113], v[46:47]
	v_fma_f64 v[112:113], -v[44:45], v[46:47], 1.0
	s_delay_alu instid0(VALU_DEP_1) | instskip(SKIP_1) | instid1(VALU_DEP_1)
	v_fma_f64 v[46:47], v[46:47], v[112:113], v[46:47]
	v_div_scale_f64 v[112:113], vcc_lo, 1.0, v[42:43], 1.0
	v_mul_f64 v[114:115], v[112:113], v[46:47]
	s_delay_alu instid0(VALU_DEP_1) | instskip(NEXT) | instid1(VALU_DEP_1)
	v_fma_f64 v[44:45], -v[44:45], v[114:115], v[112:113]
	v_div_fmas_f64 v[44:45], v[44:45], v[46:47], v[114:115]
	s_delay_alu instid0(VALU_DEP_1) | instskip(NEXT) | instid1(VALU_DEP_1)
	v_div_fixup_f64 v[116:117], v[44:45], v[42:43], 1.0
	v_mul_f64 v[118:119], v[40:41], -v[116:117]
.LBB56_177:
	s_or_b32 exec_lo, exec_lo, s2
.LBB56_178:
	s_delay_alu instid0(SALU_CYCLE_1) | instskip(NEXT) | instid1(SALU_CYCLE_1)
	s_or_b32 exec_lo, exec_lo, s3
	s_mov_b32 s2, exec_lo
	v_cmpx_ne_u32_e64 v134, v124
	s_xor_b32 s2, exec_lo, s2
	s_cbranch_execz .LBB56_184
; %bb.179:
	s_mov_b32 s3, exec_lo
	v_cmpx_eq_u32_e32 8, v134
	s_cbranch_execz .LBB56_183
; %bb.180:
	v_cmp_ne_u32_e32 vcc_lo, 8, v124
	s_xor_b32 s6, s4, -1
	s_delay_alu instid0(SALU_CYCLE_1) | instskip(NEXT) | instid1(SALU_CYCLE_1)
	s_and_b32 s7, s6, vcc_lo
	s_and_saveexec_b32 s6, s7
	s_cbranch_execz .LBB56_182
; %bb.181:
	v_ashrrev_i32_e32 v125, 31, v124
	s_delay_alu instid0(VALU_DEP_1) | instskip(NEXT) | instid1(VALU_DEP_1)
	v_lshlrev_b64 v[40:41], 2, v[124:125]
	v_add_co_u32 v40, vcc_lo, v102, v40
	s_delay_alu instid0(VALU_DEP_2)
	v_add_co_ci_u32_e32 v41, vcc_lo, v103, v41, vcc_lo
	s_clause 0x1
	flat_load_b32 v42, v[40:41]
	flat_load_b32 v43, v[102:103] offset:32
	s_waitcnt vmcnt(1) lgkmcnt(1)
	flat_store_b32 v[102:103], v42 offset:32
	s_waitcnt vmcnt(0) lgkmcnt(1)
	flat_store_b32 v[40:41], v43
.LBB56_182:
	s_or_b32 exec_lo, exec_lo, s6
	v_mov_b32_e32 v134, v124
	v_mov_b32_e32 v255, v124
.LBB56_183:
	s_or_b32 exec_lo, exec_lo, s3
.LBB56_184:
	s_and_not1_saveexec_b32 s2, s2
	s_cbranch_execz .LBB56_186
; %bb.185:
	v_mov_b32_e32 v134, 8
	ds_store_2addr_b64 v132, v[68:69], v[70:71] offset0:18 offset1:19
	ds_store_2addr_b64 v132, v[76:77], v[78:79] offset0:20 offset1:21
	;; [unrolled: 1-line block ×20, first 2 shown]
.LBB56_186:
	s_or_b32 exec_lo, exec_lo, s2
	s_delay_alu instid0(SALU_CYCLE_1)
	s_mov_b32 s2, exec_lo
	s_waitcnt lgkmcnt(0)
	s_waitcnt_vscnt null, 0x0
	s_barrier
	buffer_gl0_inv
	v_cmpx_lt_i32_e32 8, v134
	s_cbranch_execz .LBB56_188
; %bb.187:
	v_mul_f64 v[40:41], v[118:119], v[94:95]
	s_delay_alu instid0(VALU_DEP_1) | instskip(SKIP_1) | instid1(VALU_DEP_1)
	v_fma_f64 v[124:125], v[116:117], v[92:93], -v[40:41]
	v_mul_f64 v[40:41], v[116:117], v[94:95]
	v_fma_f64 v[94:95], v[118:119], v[92:93], v[40:41]
	ds_load_2addr_b64 v[116:119], v132 offset0:18 offset1:19
	ds_load_2addr_b64 v[135:138], v132 offset0:20 offset1:21
	s_waitcnt lgkmcnt(1)
	v_mul_f64 v[40:41], v[118:119], v[94:95]
	v_mul_f64 v[42:43], v[116:117], v[94:95]
	s_waitcnt lgkmcnt(0)
	v_mul_f64 v[44:45], v[137:138], v[94:95]
	v_mul_f64 v[46:47], v[135:136], v[94:95]
	s_delay_alu instid0(VALU_DEP_4) | instskip(NEXT) | instid1(VALU_DEP_4)
	v_fma_f64 v[40:41], v[116:117], v[124:125], -v[40:41]
	v_fma_f64 v[42:43], v[118:119], v[124:125], v[42:43]
	s_delay_alu instid0(VALU_DEP_4) | instskip(NEXT) | instid1(VALU_DEP_4)
	v_fma_f64 v[44:45], v[135:136], v[124:125], -v[44:45]
	v_fma_f64 v[46:47], v[137:138], v[124:125], v[46:47]
	ds_load_2addr_b64 v[116:119], v132 offset0:22 offset1:23
	ds_load_2addr_b64 v[135:138], v132 offset0:24 offset1:25
	s_waitcnt lgkmcnt(1)
	v_mul_f64 v[92:93], v[118:119], v[94:95]
	v_mul_f64 v[112:113], v[116:117], v[94:95]
	s_waitcnt lgkmcnt(0)
	v_mul_f64 v[114:115], v[137:138], v[94:95]
	v_add_f64 v[68:69], v[68:69], -v[40:41]
	v_add_f64 v[70:71], v[70:71], -v[42:43]
	v_add_f64 v[76:77], v[76:77], -v[44:45]
	v_add_f64 v[78:79], v[78:79], -v[46:47]
	v_fma_f64 v[92:93], v[116:117], v[124:125], -v[92:93]
	v_mul_f64 v[116:117], v[135:136], v[94:95]
	v_fma_f64 v[112:113], v[118:119], v[124:125], v[112:113]
	v_fma_f64 v[114:115], v[135:136], v[124:125], -v[114:115]
	s_delay_alu instid0(VALU_DEP_4) | instskip(NEXT) | instid1(VALU_DEP_4)
	v_add_f64 v[72:73], v[72:73], -v[92:93]
	v_fma_f64 v[120:121], v[137:138], v[124:125], v[116:117]
	ds_load_2addr_b64 v[116:119], v132 offset0:26 offset1:27
	ds_load_2addr_b64 v[135:138], v132 offset0:28 offset1:29
	v_add_f64 v[74:75], v[74:75], -v[112:113]
	v_add_f64 v[84:85], v[84:85], -v[114:115]
	v_dual_mov_b32 v92, v124 :: v_dual_mov_b32 v93, v125
	s_waitcnt lgkmcnt(1)
	v_mul_f64 v[122:123], v[118:119], v[94:95]
	v_add_f64 v[86:87], v[86:87], -v[120:121]
	s_delay_alu instid0(VALU_DEP_2) | instskip(SKIP_1) | instid1(VALU_DEP_2)
	v_fma_f64 v[122:123], v[116:117], v[124:125], -v[122:123]
	v_mul_f64 v[116:117], v[116:117], v[94:95]
	v_add_f64 v[80:81], v[80:81], -v[122:123]
	s_delay_alu instid0(VALU_DEP_2) | instskip(SKIP_2) | instid1(VALU_DEP_2)
	v_fma_f64 v[126:127], v[118:119], v[124:125], v[116:117]
	s_waitcnt lgkmcnt(0)
	v_mul_f64 v[116:117], v[137:138], v[94:95]
	v_add_f64 v[82:83], v[82:83], -v[126:127]
	s_delay_alu instid0(VALU_DEP_2) | instskip(SKIP_1) | instid1(VALU_DEP_2)
	v_fma_f64 v[139:140], v[135:136], v[124:125], -v[116:117]
	v_mul_f64 v[116:117], v[135:136], v[94:95]
	v_add_f64 v[64:65], v[64:65], -v[139:140]
	s_delay_alu instid0(VALU_DEP_2)
	v_fma_f64 v[141:142], v[137:138], v[124:125], v[116:117]
	ds_load_2addr_b64 v[116:119], v132 offset0:30 offset1:31
	ds_load_2addr_b64 v[135:138], v132 offset0:32 offset1:33
	s_waitcnt lgkmcnt(1)
	v_mul_f64 v[143:144], v[118:119], v[94:95]
	v_add_f64 v[66:67], v[66:67], -v[141:142]
	s_delay_alu instid0(VALU_DEP_2) | instskip(SKIP_1) | instid1(VALU_DEP_2)
	v_fma_f64 v[143:144], v[116:117], v[124:125], -v[143:144]
	v_mul_f64 v[116:117], v[116:117], v[94:95]
	v_add_f64 v[223:224], v[223:224], -v[143:144]
	s_delay_alu instid0(VALU_DEP_2) | instskip(SKIP_2) | instid1(VALU_DEP_2)
	v_fma_f64 v[145:146], v[118:119], v[124:125], v[116:117]
	s_waitcnt lgkmcnt(0)
	v_mul_f64 v[116:117], v[137:138], v[94:95]
	v_add_f64 v[225:226], v[225:226], -v[145:146]
	s_delay_alu instid0(VALU_DEP_2) | instskip(SKIP_1) | instid1(VALU_DEP_2)
	v_fma_f64 v[147:148], v[135:136], v[124:125], -v[116:117]
	v_mul_f64 v[116:117], v[135:136], v[94:95]
	v_add_f64 v[227:228], v[227:228], -v[147:148]
	s_delay_alu instid0(VALU_DEP_2)
	v_fma_f64 v[149:150], v[137:138], v[124:125], v[116:117]
	ds_load_2addr_b64 v[116:119], v132 offset0:34 offset1:35
	ds_load_2addr_b64 v[135:138], v132 offset0:36 offset1:37
	;; [unrolled: 20-line block ×7, first 2 shown]
	s_waitcnt lgkmcnt(1)
	v_mul_f64 v[191:192], v[118:119], v[94:95]
	v_add_f64 v[10:11], v[10:11], -v[189:190]
	s_delay_alu instid0(VALU_DEP_2) | instskip(SKIP_1) | instid1(VALU_DEP_2)
	v_fma_f64 v[191:192], v[116:117], v[124:125], -v[191:192]
	v_mul_f64 v[116:117], v[116:117], v[94:95]
	v_add_f64 v[4:5], v[4:5], -v[191:192]
	s_delay_alu instid0(VALU_DEP_2) | instskip(SKIP_2) | instid1(VALU_DEP_2)
	v_fma_f64 v[116:117], v[118:119], v[124:125], v[116:117]
	s_waitcnt lgkmcnt(0)
	v_mul_f64 v[118:119], v[137:138], v[94:95]
	v_add_f64 v[6:7], v[6:7], -v[116:117]
	s_delay_alu instid0(VALU_DEP_2) | instskip(SKIP_1) | instid1(VALU_DEP_2)
	v_fma_f64 v[118:119], v[135:136], v[124:125], -v[118:119]
	v_mul_f64 v[135:136], v[135:136], v[94:95]
	v_add_f64 v[0:1], v[0:1], -v[118:119]
	s_delay_alu instid0(VALU_DEP_2) | instskip(NEXT) | instid1(VALU_DEP_1)
	v_fma_f64 v[135:136], v[137:138], v[124:125], v[135:136]
	v_add_f64 v[2:3], v[2:3], -v[135:136]
.LBB56_188:
	s_or_b32 exec_lo, exec_lo, s2
	v_lshl_add_u32 v40, v134, 4, v132
	s_barrier
	buffer_gl0_inv
	v_mov_b32_e32 v124, 9
	ds_store_2addr_b64 v40, v[68:69], v[70:71] offset1:1
	s_waitcnt lgkmcnt(0)
	s_barrier
	buffer_gl0_inv
	ds_load_2addr_b64 v[116:119], v132 offset0:18 offset1:19
	s_cmp_lt_i32 s5, 11
	s_cbranch_scc1 .LBB56_191
; %bb.189:
	v_add3_u32 v125, v130, 0, 0xa0
	v_mov_b32_e32 v124, 9
	s_mov_b32 s6, 10
	s_set_inst_prefetch_distance 0x1
	.p2align	6
.LBB56_190:                             ; =>This Inner Loop Header: Depth=1
	ds_load_2addr_b64 v[135:138], v125 offset1:1
	s_waitcnt lgkmcnt(1)
	v_cmp_gt_f64_e32 vcc_lo, 0, v[116:117]
	v_xor_b32_e32 v40, 0x80000000, v117
	v_cmp_gt_f64_e64 s2, 0, v[118:119]
	v_xor_b32_e32 v42, 0x80000000, v119
	v_add_nc_u32_e32 v125, 16, v125
	s_waitcnt lgkmcnt(0)
	v_cmp_gt_f64_e64 s3, 0, v[135:136]
	v_mov_b32_e32 v44, v135
	v_mov_b32_e32 v46, v137
	v_cndmask_b32_e32 v41, v117, v40, vcc_lo
	v_xor_b32_e32 v40, 0x80000000, v136
	v_cndmask_b32_e64 v43, v119, v42, s2
	v_xor_b32_e32 v42, 0x80000000, v138
	s_delay_alu instid0(VALU_DEP_3) | instskip(SKIP_2) | instid1(VALU_DEP_2)
	v_cndmask_b32_e64 v45, v136, v40, s3
	v_cmp_gt_f64_e64 s3, 0, v[137:138]
	v_cndmask_b32_e32 v40, v116, v116, vcc_lo
	v_cndmask_b32_e64 v47, v138, v42, s3
	v_cndmask_b32_e64 v42, v118, v118, s2
	s_delay_alu instid0(VALU_DEP_2) | instskip(NEXT) | instid1(VALU_DEP_2)
	v_add_f64 v[44:45], v[44:45], v[46:47]
	v_add_f64 v[40:41], v[40:41], v[42:43]
	s_delay_alu instid0(VALU_DEP_1) | instskip(SKIP_4) | instid1(SALU_CYCLE_1)
	v_cmp_lt_f64_e32 vcc_lo, v[40:41], v[44:45]
	v_dual_cndmask_b32 v117, v117, v136 :: v_dual_cndmask_b32 v116, v116, v135
	v_dual_cndmask_b32 v119, v119, v138 :: v_dual_cndmask_b32 v118, v118, v137
	v_cndmask_b32_e64 v124, v124, s6, vcc_lo
	s_add_i32 s6, s6, 1
	s_cmp_lg_u32 s5, s6
	s_cbranch_scc1 .LBB56_190
.LBB56_191:
	s_set_inst_prefetch_distance 0x2
	s_waitcnt lgkmcnt(0)
	v_cmp_eq_f64_e32 vcc_lo, 0, v[116:117]
	v_cmp_eq_f64_e64 s2, 0, v[118:119]
	s_delay_alu instid0(VALU_DEP_1) | instskip(NEXT) | instid1(SALU_CYCLE_1)
	s_and_b32 s2, vcc_lo, s2
	s_and_saveexec_b32 s3, s2
	s_delay_alu instid0(SALU_CYCLE_1)
	s_xor_b32 s2, exec_lo, s3
; %bb.192:
	v_cmp_ne_u32_e32 vcc_lo, 0, v129
	v_cndmask_b32_e32 v129, 10, v129, vcc_lo
; %bb.193:
	s_and_not1_saveexec_b32 s3, s2
	s_cbranch_execz .LBB56_199
; %bb.194:
	v_cmp_gt_f64_e32 vcc_lo, 0, v[116:117]
	v_cmp_gt_f64_e64 s2, 0, v[118:119]
	v_xor_b32_e32 v40, 0x80000000, v117
	v_xor_b32_e32 v42, 0x80000000, v119
	s_delay_alu instid0(VALU_DEP_2) | instskip(NEXT) | instid1(VALU_DEP_2)
	v_cndmask_b32_e32 v41, v117, v40, vcc_lo
	v_cndmask_b32_e64 v43, v119, v42, s2
	v_cndmask_b32_e32 v40, v116, v116, vcc_lo
	v_cndmask_b32_e64 v42, v118, v118, s2
	s_mov_b32 s2, exec_lo
	s_delay_alu instid0(VALU_DEP_1)
	v_cmpx_ngt_f64_e32 v[40:41], v[42:43]
	s_xor_b32 s2, exec_lo, s2
	s_cbranch_execz .LBB56_196
; %bb.195:
	v_div_scale_f64 v[40:41], null, v[118:119], v[118:119], v[116:117]
	v_div_scale_f64 v[46:47], vcc_lo, v[116:117], v[118:119], v[116:117]
	s_delay_alu instid0(VALU_DEP_2) | instskip(SKIP_2) | instid1(VALU_DEP_1)
	v_rcp_f64_e32 v[42:43], v[40:41]
	s_waitcnt_depctr 0xfff
	v_fma_f64 v[44:45], -v[40:41], v[42:43], 1.0
	v_fma_f64 v[42:43], v[42:43], v[44:45], v[42:43]
	s_delay_alu instid0(VALU_DEP_1) | instskip(NEXT) | instid1(VALU_DEP_1)
	v_fma_f64 v[44:45], -v[40:41], v[42:43], 1.0
	v_fma_f64 v[42:43], v[42:43], v[44:45], v[42:43]
	s_delay_alu instid0(VALU_DEP_1) | instskip(NEXT) | instid1(VALU_DEP_1)
	v_mul_f64 v[44:45], v[46:47], v[42:43]
	v_fma_f64 v[40:41], -v[40:41], v[44:45], v[46:47]
	s_delay_alu instid0(VALU_DEP_1) | instskip(NEXT) | instid1(VALU_DEP_1)
	v_div_fmas_f64 v[40:41], v[40:41], v[42:43], v[44:45]
	v_div_fixup_f64 v[40:41], v[40:41], v[118:119], v[116:117]
	s_delay_alu instid0(VALU_DEP_1) | instskip(NEXT) | instid1(VALU_DEP_1)
	v_fma_f64 v[42:43], v[116:117], v[40:41], v[118:119]
	v_div_scale_f64 v[44:45], null, v[42:43], v[42:43], 1.0
	s_delay_alu instid0(VALU_DEP_1) | instskip(SKIP_2) | instid1(VALU_DEP_1)
	v_rcp_f64_e32 v[46:47], v[44:45]
	s_waitcnt_depctr 0xfff
	v_fma_f64 v[112:113], -v[44:45], v[46:47], 1.0
	v_fma_f64 v[46:47], v[46:47], v[112:113], v[46:47]
	s_delay_alu instid0(VALU_DEP_1) | instskip(NEXT) | instid1(VALU_DEP_1)
	v_fma_f64 v[112:113], -v[44:45], v[46:47], 1.0
	v_fma_f64 v[46:47], v[46:47], v[112:113], v[46:47]
	v_div_scale_f64 v[112:113], vcc_lo, 1.0, v[42:43], 1.0
	s_delay_alu instid0(VALU_DEP_1) | instskip(NEXT) | instid1(VALU_DEP_1)
	v_mul_f64 v[114:115], v[112:113], v[46:47]
	v_fma_f64 v[44:45], -v[44:45], v[114:115], v[112:113]
	s_delay_alu instid0(VALU_DEP_1) | instskip(NEXT) | instid1(VALU_DEP_1)
	v_div_fmas_f64 v[44:45], v[44:45], v[46:47], v[114:115]
	v_div_fixup_f64 v[118:119], v[44:45], v[42:43], 1.0
	s_delay_alu instid0(VALU_DEP_1)
	v_mul_f64 v[116:117], v[40:41], v[118:119]
	v_xor_b32_e32 v119, 0x80000000, v119
.LBB56_196:
	s_and_not1_saveexec_b32 s2, s2
	s_cbranch_execz .LBB56_198
; %bb.197:
	s_delay_alu instid0(VALU_DEP_1) | instskip(SKIP_1) | instid1(VALU_DEP_2)
	v_div_scale_f64 v[40:41], null, v[116:117], v[116:117], v[118:119]
	v_div_scale_f64 v[46:47], vcc_lo, v[118:119], v[116:117], v[118:119]
	v_rcp_f64_e32 v[42:43], v[40:41]
	s_waitcnt_depctr 0xfff
	v_fma_f64 v[44:45], -v[40:41], v[42:43], 1.0
	s_delay_alu instid0(VALU_DEP_1) | instskip(NEXT) | instid1(VALU_DEP_1)
	v_fma_f64 v[42:43], v[42:43], v[44:45], v[42:43]
	v_fma_f64 v[44:45], -v[40:41], v[42:43], 1.0
	s_delay_alu instid0(VALU_DEP_1) | instskip(NEXT) | instid1(VALU_DEP_1)
	v_fma_f64 v[42:43], v[42:43], v[44:45], v[42:43]
	v_mul_f64 v[44:45], v[46:47], v[42:43]
	s_delay_alu instid0(VALU_DEP_1) | instskip(NEXT) | instid1(VALU_DEP_1)
	v_fma_f64 v[40:41], -v[40:41], v[44:45], v[46:47]
	v_div_fmas_f64 v[40:41], v[40:41], v[42:43], v[44:45]
	s_delay_alu instid0(VALU_DEP_1) | instskip(NEXT) | instid1(VALU_DEP_1)
	v_div_fixup_f64 v[40:41], v[40:41], v[116:117], v[118:119]
	v_fma_f64 v[42:43], v[118:119], v[40:41], v[116:117]
	s_delay_alu instid0(VALU_DEP_1) | instskip(NEXT) | instid1(VALU_DEP_1)
	v_div_scale_f64 v[44:45], null, v[42:43], v[42:43], 1.0
	v_rcp_f64_e32 v[46:47], v[44:45]
	s_waitcnt_depctr 0xfff
	v_fma_f64 v[112:113], -v[44:45], v[46:47], 1.0
	s_delay_alu instid0(VALU_DEP_1) | instskip(NEXT) | instid1(VALU_DEP_1)
	v_fma_f64 v[46:47], v[46:47], v[112:113], v[46:47]
	v_fma_f64 v[112:113], -v[44:45], v[46:47], 1.0
	s_delay_alu instid0(VALU_DEP_1) | instskip(SKIP_1) | instid1(VALU_DEP_1)
	v_fma_f64 v[46:47], v[46:47], v[112:113], v[46:47]
	v_div_scale_f64 v[112:113], vcc_lo, 1.0, v[42:43], 1.0
	v_mul_f64 v[114:115], v[112:113], v[46:47]
	s_delay_alu instid0(VALU_DEP_1) | instskip(NEXT) | instid1(VALU_DEP_1)
	v_fma_f64 v[44:45], -v[44:45], v[114:115], v[112:113]
	v_div_fmas_f64 v[44:45], v[44:45], v[46:47], v[114:115]
	s_delay_alu instid0(VALU_DEP_1) | instskip(NEXT) | instid1(VALU_DEP_1)
	v_div_fixup_f64 v[116:117], v[44:45], v[42:43], 1.0
	v_mul_f64 v[118:119], v[40:41], -v[116:117]
.LBB56_198:
	s_or_b32 exec_lo, exec_lo, s2
.LBB56_199:
	s_delay_alu instid0(SALU_CYCLE_1) | instskip(NEXT) | instid1(SALU_CYCLE_1)
	s_or_b32 exec_lo, exec_lo, s3
	s_mov_b32 s2, exec_lo
	v_cmpx_ne_u32_e64 v134, v124
	s_xor_b32 s2, exec_lo, s2
	s_cbranch_execz .LBB56_205
; %bb.200:
	s_mov_b32 s3, exec_lo
	v_cmpx_eq_u32_e32 9, v134
	s_cbranch_execz .LBB56_204
; %bb.201:
	v_cmp_ne_u32_e32 vcc_lo, 9, v124
	s_xor_b32 s6, s4, -1
	s_delay_alu instid0(SALU_CYCLE_1) | instskip(NEXT) | instid1(SALU_CYCLE_1)
	s_and_b32 s7, s6, vcc_lo
	s_and_saveexec_b32 s6, s7
	s_cbranch_execz .LBB56_203
; %bb.202:
	v_ashrrev_i32_e32 v125, 31, v124
	s_delay_alu instid0(VALU_DEP_1) | instskip(NEXT) | instid1(VALU_DEP_1)
	v_lshlrev_b64 v[40:41], 2, v[124:125]
	v_add_co_u32 v40, vcc_lo, v102, v40
	s_delay_alu instid0(VALU_DEP_2)
	v_add_co_ci_u32_e32 v41, vcc_lo, v103, v41, vcc_lo
	s_clause 0x1
	flat_load_b32 v42, v[40:41]
	flat_load_b32 v43, v[102:103] offset:36
	s_waitcnt vmcnt(1) lgkmcnt(1)
	flat_store_b32 v[102:103], v42 offset:36
	s_waitcnt vmcnt(0) lgkmcnt(1)
	flat_store_b32 v[40:41], v43
.LBB56_203:
	s_or_b32 exec_lo, exec_lo, s6
	v_mov_b32_e32 v134, v124
	v_mov_b32_e32 v255, v124
.LBB56_204:
	s_or_b32 exec_lo, exec_lo, s3
.LBB56_205:
	s_and_not1_saveexec_b32 s2, s2
	s_cbranch_execz .LBB56_207
; %bb.206:
	v_mov_b32_e32 v134, 9
	ds_store_2addr_b64 v132, v[76:77], v[78:79] offset0:20 offset1:21
	ds_store_2addr_b64 v132, v[72:73], v[74:75] offset0:22 offset1:23
	;; [unrolled: 1-line block ×19, first 2 shown]
.LBB56_207:
	s_or_b32 exec_lo, exec_lo, s2
	s_delay_alu instid0(SALU_CYCLE_1)
	s_mov_b32 s2, exec_lo
	s_waitcnt lgkmcnt(0)
	s_waitcnt_vscnt null, 0x0
	s_barrier
	buffer_gl0_inv
	v_cmpx_lt_i32_e32 9, v134
	s_cbranch_execz .LBB56_209
; %bb.208:
	v_mul_f64 v[40:41], v[118:119], v[70:71]
	s_delay_alu instid0(VALU_DEP_1) | instskip(SKIP_1) | instid1(VALU_DEP_1)
	v_fma_f64 v[124:125], v[116:117], v[68:69], -v[40:41]
	v_mul_f64 v[40:41], v[116:117], v[70:71]
	v_fma_f64 v[70:71], v[118:119], v[68:69], v[40:41]
	ds_load_2addr_b64 v[116:119], v132 offset0:20 offset1:21
	ds_load_2addr_b64 v[135:138], v132 offset0:22 offset1:23
	s_waitcnt lgkmcnt(1)
	v_mul_f64 v[40:41], v[118:119], v[70:71]
	v_mul_f64 v[42:43], v[116:117], v[70:71]
	s_waitcnt lgkmcnt(0)
	v_mul_f64 v[44:45], v[137:138], v[70:71]
	v_mul_f64 v[46:47], v[135:136], v[70:71]
	s_delay_alu instid0(VALU_DEP_4) | instskip(NEXT) | instid1(VALU_DEP_4)
	v_fma_f64 v[40:41], v[116:117], v[124:125], -v[40:41]
	v_fma_f64 v[42:43], v[118:119], v[124:125], v[42:43]
	s_delay_alu instid0(VALU_DEP_4) | instskip(NEXT) | instid1(VALU_DEP_4)
	v_fma_f64 v[44:45], v[135:136], v[124:125], -v[44:45]
	v_fma_f64 v[46:47], v[137:138], v[124:125], v[46:47]
	ds_load_2addr_b64 v[116:119], v132 offset0:24 offset1:25
	ds_load_2addr_b64 v[135:138], v132 offset0:26 offset1:27
	s_waitcnt lgkmcnt(1)
	v_mul_f64 v[68:69], v[118:119], v[70:71]
	v_mul_f64 v[112:113], v[116:117], v[70:71]
	s_waitcnt lgkmcnt(0)
	v_mul_f64 v[114:115], v[137:138], v[70:71]
	v_add_f64 v[76:77], v[76:77], -v[40:41]
	v_add_f64 v[78:79], v[78:79], -v[42:43]
	;; [unrolled: 1-line block ×4, first 2 shown]
	v_fma_f64 v[68:69], v[116:117], v[124:125], -v[68:69]
	v_mul_f64 v[116:117], v[135:136], v[70:71]
	v_fma_f64 v[112:113], v[118:119], v[124:125], v[112:113]
	v_fma_f64 v[114:115], v[135:136], v[124:125], -v[114:115]
	s_delay_alu instid0(VALU_DEP_4) | instskip(NEXT) | instid1(VALU_DEP_4)
	v_add_f64 v[84:85], v[84:85], -v[68:69]
	v_fma_f64 v[120:121], v[137:138], v[124:125], v[116:117]
	ds_load_2addr_b64 v[116:119], v132 offset0:28 offset1:29
	ds_load_2addr_b64 v[135:138], v132 offset0:30 offset1:31
	v_add_f64 v[86:87], v[86:87], -v[112:113]
	v_add_f64 v[80:81], v[80:81], -v[114:115]
	v_dual_mov_b32 v68, v124 :: v_dual_mov_b32 v69, v125
	s_waitcnt lgkmcnt(1)
	v_mul_f64 v[122:123], v[118:119], v[70:71]
	v_add_f64 v[82:83], v[82:83], -v[120:121]
	s_delay_alu instid0(VALU_DEP_2) | instskip(SKIP_1) | instid1(VALU_DEP_2)
	v_fma_f64 v[122:123], v[116:117], v[124:125], -v[122:123]
	v_mul_f64 v[116:117], v[116:117], v[70:71]
	v_add_f64 v[64:65], v[64:65], -v[122:123]
	s_delay_alu instid0(VALU_DEP_2) | instskip(SKIP_2) | instid1(VALU_DEP_2)
	v_fma_f64 v[126:127], v[118:119], v[124:125], v[116:117]
	s_waitcnt lgkmcnt(0)
	v_mul_f64 v[116:117], v[137:138], v[70:71]
	v_add_f64 v[66:67], v[66:67], -v[126:127]
	s_delay_alu instid0(VALU_DEP_2) | instskip(SKIP_1) | instid1(VALU_DEP_2)
	v_fma_f64 v[139:140], v[135:136], v[124:125], -v[116:117]
	v_mul_f64 v[116:117], v[135:136], v[70:71]
	v_add_f64 v[223:224], v[223:224], -v[139:140]
	s_delay_alu instid0(VALU_DEP_2)
	v_fma_f64 v[141:142], v[137:138], v[124:125], v[116:117]
	ds_load_2addr_b64 v[116:119], v132 offset0:32 offset1:33
	ds_load_2addr_b64 v[135:138], v132 offset0:34 offset1:35
	s_waitcnt lgkmcnt(1)
	v_mul_f64 v[143:144], v[118:119], v[70:71]
	v_add_f64 v[225:226], v[225:226], -v[141:142]
	s_delay_alu instid0(VALU_DEP_2) | instskip(SKIP_1) | instid1(VALU_DEP_2)
	v_fma_f64 v[143:144], v[116:117], v[124:125], -v[143:144]
	v_mul_f64 v[116:117], v[116:117], v[70:71]
	v_add_f64 v[227:228], v[227:228], -v[143:144]
	s_delay_alu instid0(VALU_DEP_2) | instskip(SKIP_2) | instid1(VALU_DEP_2)
	v_fma_f64 v[145:146], v[118:119], v[124:125], v[116:117]
	s_waitcnt lgkmcnt(0)
	v_mul_f64 v[116:117], v[137:138], v[70:71]
	v_add_f64 v[229:230], v[229:230], -v[145:146]
	s_delay_alu instid0(VALU_DEP_2) | instskip(SKIP_1) | instid1(VALU_DEP_2)
	v_fma_f64 v[147:148], v[135:136], v[124:125], -v[116:117]
	v_mul_f64 v[116:117], v[135:136], v[70:71]
	v_add_f64 v[52:53], v[52:53], -v[147:148]
	s_delay_alu instid0(VALU_DEP_2)
	v_fma_f64 v[149:150], v[137:138], v[124:125], v[116:117]
	ds_load_2addr_b64 v[116:119], v132 offset0:36 offset1:37
	ds_load_2addr_b64 v[135:138], v132 offset0:38 offset1:39
	;; [unrolled: 20-line block ×6, first 2 shown]
	s_waitcnt lgkmcnt(1)
	v_mul_f64 v[183:184], v[118:119], v[70:71]
	v_add_f64 v[14:15], v[14:15], -v[181:182]
	s_delay_alu instid0(VALU_DEP_2) | instskip(SKIP_1) | instid1(VALU_DEP_2)
	v_fma_f64 v[183:184], v[116:117], v[124:125], -v[183:184]
	v_mul_f64 v[116:117], v[116:117], v[70:71]
	v_add_f64 v[8:9], v[8:9], -v[183:184]
	s_delay_alu instid0(VALU_DEP_2) | instskip(SKIP_2) | instid1(VALU_DEP_2)
	v_fma_f64 v[185:186], v[118:119], v[124:125], v[116:117]
	s_waitcnt lgkmcnt(0)
	v_mul_f64 v[116:117], v[137:138], v[70:71]
	v_add_f64 v[10:11], v[10:11], -v[185:186]
	s_delay_alu instid0(VALU_DEP_2) | instskip(SKIP_1) | instid1(VALU_DEP_2)
	v_fma_f64 v[187:188], v[135:136], v[124:125], -v[116:117]
	v_mul_f64 v[116:117], v[135:136], v[70:71]
	v_add_f64 v[4:5], v[4:5], -v[187:188]
	s_delay_alu instid0(VALU_DEP_2) | instskip(SKIP_4) | instid1(VALU_DEP_2)
	v_fma_f64 v[135:136], v[137:138], v[124:125], v[116:117]
	ds_load_2addr_b64 v[116:119], v132 offset0:56 offset1:57
	s_waitcnt lgkmcnt(0)
	v_mul_f64 v[137:138], v[118:119], v[70:71]
	v_add_f64 v[6:7], v[6:7], -v[135:136]
	v_fma_f64 v[137:138], v[116:117], v[124:125], -v[137:138]
	v_mul_f64 v[116:117], v[116:117], v[70:71]
	s_delay_alu instid0(VALU_DEP_2) | instskip(NEXT) | instid1(VALU_DEP_2)
	v_add_f64 v[0:1], v[0:1], -v[137:138]
	v_fma_f64 v[116:117], v[118:119], v[124:125], v[116:117]
	s_delay_alu instid0(VALU_DEP_1)
	v_add_f64 v[2:3], v[2:3], -v[116:117]
.LBB56_209:
	s_or_b32 exec_lo, exec_lo, s2
	v_lshl_add_u32 v40, v134, 4, v132
	s_barrier
	buffer_gl0_inv
	v_mov_b32_e32 v124, 10
	ds_store_2addr_b64 v40, v[76:77], v[78:79] offset1:1
	s_waitcnt lgkmcnt(0)
	s_barrier
	buffer_gl0_inv
	ds_load_2addr_b64 v[116:119], v132 offset0:20 offset1:21
	s_cmp_lt_i32 s5, 12
	s_cbranch_scc1 .LBB56_212
; %bb.210:
	v_add3_u32 v125, v130, 0, 0xb0
	v_mov_b32_e32 v124, 10
	s_mov_b32 s6, 11
	s_set_inst_prefetch_distance 0x1
	.p2align	6
.LBB56_211:                             ; =>This Inner Loop Header: Depth=1
	ds_load_2addr_b64 v[135:138], v125 offset1:1
	s_waitcnt lgkmcnt(1)
	v_cmp_gt_f64_e32 vcc_lo, 0, v[116:117]
	v_xor_b32_e32 v40, 0x80000000, v117
	v_cmp_gt_f64_e64 s2, 0, v[118:119]
	v_xor_b32_e32 v42, 0x80000000, v119
	v_add_nc_u32_e32 v125, 16, v125
	s_waitcnt lgkmcnt(0)
	v_cmp_gt_f64_e64 s3, 0, v[135:136]
	v_mov_b32_e32 v44, v135
	v_mov_b32_e32 v46, v137
	v_cndmask_b32_e32 v41, v117, v40, vcc_lo
	v_xor_b32_e32 v40, 0x80000000, v136
	v_cndmask_b32_e64 v43, v119, v42, s2
	v_xor_b32_e32 v42, 0x80000000, v138
	s_delay_alu instid0(VALU_DEP_3) | instskip(SKIP_2) | instid1(VALU_DEP_2)
	v_cndmask_b32_e64 v45, v136, v40, s3
	v_cmp_gt_f64_e64 s3, 0, v[137:138]
	v_cndmask_b32_e32 v40, v116, v116, vcc_lo
	v_cndmask_b32_e64 v47, v138, v42, s3
	v_cndmask_b32_e64 v42, v118, v118, s2
	s_delay_alu instid0(VALU_DEP_2) | instskip(NEXT) | instid1(VALU_DEP_2)
	v_add_f64 v[44:45], v[44:45], v[46:47]
	v_add_f64 v[40:41], v[40:41], v[42:43]
	s_delay_alu instid0(VALU_DEP_1) | instskip(SKIP_4) | instid1(SALU_CYCLE_1)
	v_cmp_lt_f64_e32 vcc_lo, v[40:41], v[44:45]
	v_dual_cndmask_b32 v117, v117, v136 :: v_dual_cndmask_b32 v116, v116, v135
	v_dual_cndmask_b32 v119, v119, v138 :: v_dual_cndmask_b32 v118, v118, v137
	v_cndmask_b32_e64 v124, v124, s6, vcc_lo
	s_add_i32 s6, s6, 1
	s_cmp_lg_u32 s5, s6
	s_cbranch_scc1 .LBB56_211
.LBB56_212:
	s_set_inst_prefetch_distance 0x2
	s_waitcnt lgkmcnt(0)
	v_cmp_eq_f64_e32 vcc_lo, 0, v[116:117]
	v_cmp_eq_f64_e64 s2, 0, v[118:119]
	s_delay_alu instid0(VALU_DEP_1) | instskip(NEXT) | instid1(SALU_CYCLE_1)
	s_and_b32 s2, vcc_lo, s2
	s_and_saveexec_b32 s3, s2
	s_delay_alu instid0(SALU_CYCLE_1)
	s_xor_b32 s2, exec_lo, s3
; %bb.213:
	v_cmp_ne_u32_e32 vcc_lo, 0, v129
	v_cndmask_b32_e32 v129, 11, v129, vcc_lo
; %bb.214:
	s_and_not1_saveexec_b32 s3, s2
	s_cbranch_execz .LBB56_220
; %bb.215:
	v_cmp_gt_f64_e32 vcc_lo, 0, v[116:117]
	v_cmp_gt_f64_e64 s2, 0, v[118:119]
	v_xor_b32_e32 v40, 0x80000000, v117
	v_xor_b32_e32 v42, 0x80000000, v119
	s_delay_alu instid0(VALU_DEP_2) | instskip(NEXT) | instid1(VALU_DEP_2)
	v_cndmask_b32_e32 v41, v117, v40, vcc_lo
	v_cndmask_b32_e64 v43, v119, v42, s2
	v_cndmask_b32_e32 v40, v116, v116, vcc_lo
	v_cndmask_b32_e64 v42, v118, v118, s2
	s_mov_b32 s2, exec_lo
	s_delay_alu instid0(VALU_DEP_1)
	v_cmpx_ngt_f64_e32 v[40:41], v[42:43]
	s_xor_b32 s2, exec_lo, s2
	s_cbranch_execz .LBB56_217
; %bb.216:
	v_div_scale_f64 v[40:41], null, v[118:119], v[118:119], v[116:117]
	v_div_scale_f64 v[46:47], vcc_lo, v[116:117], v[118:119], v[116:117]
	s_delay_alu instid0(VALU_DEP_2) | instskip(SKIP_2) | instid1(VALU_DEP_1)
	v_rcp_f64_e32 v[42:43], v[40:41]
	s_waitcnt_depctr 0xfff
	v_fma_f64 v[44:45], -v[40:41], v[42:43], 1.0
	v_fma_f64 v[42:43], v[42:43], v[44:45], v[42:43]
	s_delay_alu instid0(VALU_DEP_1) | instskip(NEXT) | instid1(VALU_DEP_1)
	v_fma_f64 v[44:45], -v[40:41], v[42:43], 1.0
	v_fma_f64 v[42:43], v[42:43], v[44:45], v[42:43]
	s_delay_alu instid0(VALU_DEP_1) | instskip(NEXT) | instid1(VALU_DEP_1)
	v_mul_f64 v[44:45], v[46:47], v[42:43]
	v_fma_f64 v[40:41], -v[40:41], v[44:45], v[46:47]
	s_delay_alu instid0(VALU_DEP_1) | instskip(NEXT) | instid1(VALU_DEP_1)
	v_div_fmas_f64 v[40:41], v[40:41], v[42:43], v[44:45]
	v_div_fixup_f64 v[40:41], v[40:41], v[118:119], v[116:117]
	s_delay_alu instid0(VALU_DEP_1) | instskip(NEXT) | instid1(VALU_DEP_1)
	v_fma_f64 v[42:43], v[116:117], v[40:41], v[118:119]
	v_div_scale_f64 v[44:45], null, v[42:43], v[42:43], 1.0
	s_delay_alu instid0(VALU_DEP_1) | instskip(SKIP_2) | instid1(VALU_DEP_1)
	v_rcp_f64_e32 v[46:47], v[44:45]
	s_waitcnt_depctr 0xfff
	v_fma_f64 v[112:113], -v[44:45], v[46:47], 1.0
	v_fma_f64 v[46:47], v[46:47], v[112:113], v[46:47]
	s_delay_alu instid0(VALU_DEP_1) | instskip(NEXT) | instid1(VALU_DEP_1)
	v_fma_f64 v[112:113], -v[44:45], v[46:47], 1.0
	v_fma_f64 v[46:47], v[46:47], v[112:113], v[46:47]
	v_div_scale_f64 v[112:113], vcc_lo, 1.0, v[42:43], 1.0
	s_delay_alu instid0(VALU_DEP_1) | instskip(NEXT) | instid1(VALU_DEP_1)
	v_mul_f64 v[114:115], v[112:113], v[46:47]
	v_fma_f64 v[44:45], -v[44:45], v[114:115], v[112:113]
	s_delay_alu instid0(VALU_DEP_1) | instskip(NEXT) | instid1(VALU_DEP_1)
	v_div_fmas_f64 v[44:45], v[44:45], v[46:47], v[114:115]
	v_div_fixup_f64 v[118:119], v[44:45], v[42:43], 1.0
	s_delay_alu instid0(VALU_DEP_1)
	v_mul_f64 v[116:117], v[40:41], v[118:119]
	v_xor_b32_e32 v119, 0x80000000, v119
.LBB56_217:
	s_and_not1_saveexec_b32 s2, s2
	s_cbranch_execz .LBB56_219
; %bb.218:
	s_delay_alu instid0(VALU_DEP_1) | instskip(SKIP_1) | instid1(VALU_DEP_2)
	v_div_scale_f64 v[40:41], null, v[116:117], v[116:117], v[118:119]
	v_div_scale_f64 v[46:47], vcc_lo, v[118:119], v[116:117], v[118:119]
	v_rcp_f64_e32 v[42:43], v[40:41]
	s_waitcnt_depctr 0xfff
	v_fma_f64 v[44:45], -v[40:41], v[42:43], 1.0
	s_delay_alu instid0(VALU_DEP_1) | instskip(NEXT) | instid1(VALU_DEP_1)
	v_fma_f64 v[42:43], v[42:43], v[44:45], v[42:43]
	v_fma_f64 v[44:45], -v[40:41], v[42:43], 1.0
	s_delay_alu instid0(VALU_DEP_1) | instskip(NEXT) | instid1(VALU_DEP_1)
	v_fma_f64 v[42:43], v[42:43], v[44:45], v[42:43]
	v_mul_f64 v[44:45], v[46:47], v[42:43]
	s_delay_alu instid0(VALU_DEP_1) | instskip(NEXT) | instid1(VALU_DEP_1)
	v_fma_f64 v[40:41], -v[40:41], v[44:45], v[46:47]
	v_div_fmas_f64 v[40:41], v[40:41], v[42:43], v[44:45]
	s_delay_alu instid0(VALU_DEP_1) | instskip(NEXT) | instid1(VALU_DEP_1)
	v_div_fixup_f64 v[40:41], v[40:41], v[116:117], v[118:119]
	v_fma_f64 v[42:43], v[118:119], v[40:41], v[116:117]
	s_delay_alu instid0(VALU_DEP_1) | instskip(NEXT) | instid1(VALU_DEP_1)
	v_div_scale_f64 v[44:45], null, v[42:43], v[42:43], 1.0
	v_rcp_f64_e32 v[46:47], v[44:45]
	s_waitcnt_depctr 0xfff
	v_fma_f64 v[112:113], -v[44:45], v[46:47], 1.0
	s_delay_alu instid0(VALU_DEP_1) | instskip(NEXT) | instid1(VALU_DEP_1)
	v_fma_f64 v[46:47], v[46:47], v[112:113], v[46:47]
	v_fma_f64 v[112:113], -v[44:45], v[46:47], 1.0
	s_delay_alu instid0(VALU_DEP_1) | instskip(SKIP_1) | instid1(VALU_DEP_1)
	v_fma_f64 v[46:47], v[46:47], v[112:113], v[46:47]
	v_div_scale_f64 v[112:113], vcc_lo, 1.0, v[42:43], 1.0
	v_mul_f64 v[114:115], v[112:113], v[46:47]
	s_delay_alu instid0(VALU_DEP_1) | instskip(NEXT) | instid1(VALU_DEP_1)
	v_fma_f64 v[44:45], -v[44:45], v[114:115], v[112:113]
	v_div_fmas_f64 v[44:45], v[44:45], v[46:47], v[114:115]
	s_delay_alu instid0(VALU_DEP_1) | instskip(NEXT) | instid1(VALU_DEP_1)
	v_div_fixup_f64 v[116:117], v[44:45], v[42:43], 1.0
	v_mul_f64 v[118:119], v[40:41], -v[116:117]
.LBB56_219:
	s_or_b32 exec_lo, exec_lo, s2
.LBB56_220:
	s_delay_alu instid0(SALU_CYCLE_1) | instskip(NEXT) | instid1(SALU_CYCLE_1)
	s_or_b32 exec_lo, exec_lo, s3
	s_mov_b32 s2, exec_lo
	v_cmpx_ne_u32_e64 v134, v124
	s_xor_b32 s2, exec_lo, s2
	s_cbranch_execz .LBB56_226
; %bb.221:
	s_mov_b32 s3, exec_lo
	v_cmpx_eq_u32_e32 10, v134
	s_cbranch_execz .LBB56_225
; %bb.222:
	v_cmp_ne_u32_e32 vcc_lo, 10, v124
	s_xor_b32 s6, s4, -1
	s_delay_alu instid0(SALU_CYCLE_1) | instskip(NEXT) | instid1(SALU_CYCLE_1)
	s_and_b32 s7, s6, vcc_lo
	s_and_saveexec_b32 s6, s7
	s_cbranch_execz .LBB56_224
; %bb.223:
	v_ashrrev_i32_e32 v125, 31, v124
	s_delay_alu instid0(VALU_DEP_1) | instskip(NEXT) | instid1(VALU_DEP_1)
	v_lshlrev_b64 v[40:41], 2, v[124:125]
	v_add_co_u32 v40, vcc_lo, v102, v40
	s_delay_alu instid0(VALU_DEP_2)
	v_add_co_ci_u32_e32 v41, vcc_lo, v103, v41, vcc_lo
	s_clause 0x1
	flat_load_b32 v42, v[40:41]
	flat_load_b32 v43, v[102:103] offset:40
	s_waitcnt vmcnt(1) lgkmcnt(1)
	flat_store_b32 v[102:103], v42 offset:40
	s_waitcnt vmcnt(0) lgkmcnt(1)
	flat_store_b32 v[40:41], v43
.LBB56_224:
	s_or_b32 exec_lo, exec_lo, s6
	v_mov_b32_e32 v134, v124
	v_mov_b32_e32 v255, v124
.LBB56_225:
	s_or_b32 exec_lo, exec_lo, s3
.LBB56_226:
	s_and_not1_saveexec_b32 s2, s2
	s_cbranch_execz .LBB56_228
; %bb.227:
	v_mov_b32_e32 v134, 10
	ds_store_2addr_b64 v132, v[72:73], v[74:75] offset0:22 offset1:23
	ds_store_2addr_b64 v132, v[84:85], v[86:87] offset0:24 offset1:25
	;; [unrolled: 1-line block ×18, first 2 shown]
.LBB56_228:
	s_or_b32 exec_lo, exec_lo, s2
	s_delay_alu instid0(SALU_CYCLE_1)
	s_mov_b32 s2, exec_lo
	s_waitcnt lgkmcnt(0)
	s_waitcnt_vscnt null, 0x0
	s_barrier
	buffer_gl0_inv
	v_cmpx_lt_i32_e32 10, v134
	s_cbranch_execz .LBB56_230
; %bb.229:
	v_mul_f64 v[40:41], v[118:119], v[78:79]
	s_delay_alu instid0(VALU_DEP_1) | instskip(SKIP_1) | instid1(VALU_DEP_1)
	v_fma_f64 v[124:125], v[116:117], v[76:77], -v[40:41]
	v_mul_f64 v[40:41], v[116:117], v[78:79]
	v_fma_f64 v[78:79], v[118:119], v[76:77], v[40:41]
	ds_load_2addr_b64 v[116:119], v132 offset0:22 offset1:23
	ds_load_2addr_b64 v[135:138], v132 offset0:24 offset1:25
	s_waitcnt lgkmcnt(1)
	v_mul_f64 v[40:41], v[118:119], v[78:79]
	v_mul_f64 v[42:43], v[116:117], v[78:79]
	s_waitcnt lgkmcnt(0)
	v_mul_f64 v[44:45], v[137:138], v[78:79]
	v_mul_f64 v[46:47], v[135:136], v[78:79]
	s_delay_alu instid0(VALU_DEP_4) | instskip(NEXT) | instid1(VALU_DEP_4)
	v_fma_f64 v[40:41], v[116:117], v[124:125], -v[40:41]
	v_fma_f64 v[42:43], v[118:119], v[124:125], v[42:43]
	s_delay_alu instid0(VALU_DEP_4) | instskip(NEXT) | instid1(VALU_DEP_4)
	v_fma_f64 v[44:45], v[135:136], v[124:125], -v[44:45]
	v_fma_f64 v[46:47], v[137:138], v[124:125], v[46:47]
	ds_load_2addr_b64 v[116:119], v132 offset0:26 offset1:27
	ds_load_2addr_b64 v[135:138], v132 offset0:28 offset1:29
	s_waitcnt lgkmcnt(1)
	v_mul_f64 v[76:77], v[118:119], v[78:79]
	v_mul_f64 v[112:113], v[116:117], v[78:79]
	s_waitcnt lgkmcnt(0)
	v_mul_f64 v[114:115], v[137:138], v[78:79]
	v_add_f64 v[72:73], v[72:73], -v[40:41]
	v_add_f64 v[74:75], v[74:75], -v[42:43]
	;; [unrolled: 1-line block ×4, first 2 shown]
	v_fma_f64 v[76:77], v[116:117], v[124:125], -v[76:77]
	v_mul_f64 v[116:117], v[135:136], v[78:79]
	v_fma_f64 v[112:113], v[118:119], v[124:125], v[112:113]
	v_fma_f64 v[114:115], v[135:136], v[124:125], -v[114:115]
	s_delay_alu instid0(VALU_DEP_4) | instskip(NEXT) | instid1(VALU_DEP_4)
	v_add_f64 v[80:81], v[80:81], -v[76:77]
	v_fma_f64 v[120:121], v[137:138], v[124:125], v[116:117]
	ds_load_2addr_b64 v[116:119], v132 offset0:30 offset1:31
	ds_load_2addr_b64 v[135:138], v132 offset0:32 offset1:33
	v_add_f64 v[82:83], v[82:83], -v[112:113]
	v_add_f64 v[64:65], v[64:65], -v[114:115]
	v_dual_mov_b32 v76, v124 :: v_dual_mov_b32 v77, v125
	s_waitcnt lgkmcnt(1)
	v_mul_f64 v[122:123], v[118:119], v[78:79]
	v_add_f64 v[66:67], v[66:67], -v[120:121]
	s_delay_alu instid0(VALU_DEP_2) | instskip(SKIP_1) | instid1(VALU_DEP_2)
	v_fma_f64 v[122:123], v[116:117], v[124:125], -v[122:123]
	v_mul_f64 v[116:117], v[116:117], v[78:79]
	v_add_f64 v[223:224], v[223:224], -v[122:123]
	s_delay_alu instid0(VALU_DEP_2) | instskip(SKIP_2) | instid1(VALU_DEP_2)
	v_fma_f64 v[126:127], v[118:119], v[124:125], v[116:117]
	s_waitcnt lgkmcnt(0)
	v_mul_f64 v[116:117], v[137:138], v[78:79]
	v_add_f64 v[225:226], v[225:226], -v[126:127]
	s_delay_alu instid0(VALU_DEP_2) | instskip(SKIP_1) | instid1(VALU_DEP_2)
	v_fma_f64 v[139:140], v[135:136], v[124:125], -v[116:117]
	v_mul_f64 v[116:117], v[135:136], v[78:79]
	v_add_f64 v[227:228], v[227:228], -v[139:140]
	s_delay_alu instid0(VALU_DEP_2)
	v_fma_f64 v[141:142], v[137:138], v[124:125], v[116:117]
	ds_load_2addr_b64 v[116:119], v132 offset0:34 offset1:35
	ds_load_2addr_b64 v[135:138], v132 offset0:36 offset1:37
	s_waitcnt lgkmcnt(1)
	v_mul_f64 v[143:144], v[118:119], v[78:79]
	v_add_f64 v[229:230], v[229:230], -v[141:142]
	s_delay_alu instid0(VALU_DEP_2) | instskip(SKIP_1) | instid1(VALU_DEP_2)
	v_fma_f64 v[143:144], v[116:117], v[124:125], -v[143:144]
	v_mul_f64 v[116:117], v[116:117], v[78:79]
	v_add_f64 v[52:53], v[52:53], -v[143:144]
	s_delay_alu instid0(VALU_DEP_2) | instskip(SKIP_2) | instid1(VALU_DEP_2)
	v_fma_f64 v[145:146], v[118:119], v[124:125], v[116:117]
	s_waitcnt lgkmcnt(0)
	v_mul_f64 v[116:117], v[137:138], v[78:79]
	v_add_f64 v[54:55], v[54:55], -v[145:146]
	s_delay_alu instid0(VALU_DEP_2) | instskip(SKIP_1) | instid1(VALU_DEP_2)
	v_fma_f64 v[147:148], v[135:136], v[124:125], -v[116:117]
	v_mul_f64 v[116:117], v[135:136], v[78:79]
	v_add_f64 v[48:49], v[48:49], -v[147:148]
	s_delay_alu instid0(VALU_DEP_2)
	v_fma_f64 v[149:150], v[137:138], v[124:125], v[116:117]
	ds_load_2addr_b64 v[116:119], v132 offset0:38 offset1:39
	ds_load_2addr_b64 v[135:138], v132 offset0:40 offset1:41
	;; [unrolled: 20-line block ×6, first 2 shown]
	s_waitcnt lgkmcnt(1)
	v_mul_f64 v[183:184], v[118:119], v[78:79]
	v_add_f64 v[10:11], v[10:11], -v[181:182]
	s_delay_alu instid0(VALU_DEP_2) | instskip(SKIP_1) | instid1(VALU_DEP_2)
	v_fma_f64 v[183:184], v[116:117], v[124:125], -v[183:184]
	v_mul_f64 v[116:117], v[116:117], v[78:79]
	v_add_f64 v[4:5], v[4:5], -v[183:184]
	s_delay_alu instid0(VALU_DEP_2) | instskip(SKIP_2) | instid1(VALU_DEP_2)
	v_fma_f64 v[116:117], v[118:119], v[124:125], v[116:117]
	s_waitcnt lgkmcnt(0)
	v_mul_f64 v[118:119], v[137:138], v[78:79]
	v_add_f64 v[6:7], v[6:7], -v[116:117]
	s_delay_alu instid0(VALU_DEP_2) | instskip(SKIP_1) | instid1(VALU_DEP_2)
	v_fma_f64 v[118:119], v[135:136], v[124:125], -v[118:119]
	v_mul_f64 v[135:136], v[135:136], v[78:79]
	v_add_f64 v[0:1], v[0:1], -v[118:119]
	s_delay_alu instid0(VALU_DEP_2) | instskip(NEXT) | instid1(VALU_DEP_1)
	v_fma_f64 v[135:136], v[137:138], v[124:125], v[135:136]
	v_add_f64 v[2:3], v[2:3], -v[135:136]
.LBB56_230:
	s_or_b32 exec_lo, exec_lo, s2
	v_lshl_add_u32 v40, v134, 4, v132
	s_barrier
	buffer_gl0_inv
	v_mov_b32_e32 v124, 11
	ds_store_2addr_b64 v40, v[72:73], v[74:75] offset1:1
	s_waitcnt lgkmcnt(0)
	s_barrier
	buffer_gl0_inv
	ds_load_2addr_b64 v[116:119], v132 offset0:22 offset1:23
	s_cmp_lt_i32 s5, 13
	s_cbranch_scc1 .LBB56_233
; %bb.231:
	v_add3_u32 v125, v130, 0, 0xc0
	v_mov_b32_e32 v124, 11
	s_mov_b32 s6, 12
	s_set_inst_prefetch_distance 0x1
	.p2align	6
.LBB56_232:                             ; =>This Inner Loop Header: Depth=1
	ds_load_2addr_b64 v[135:138], v125 offset1:1
	s_waitcnt lgkmcnt(1)
	v_cmp_gt_f64_e32 vcc_lo, 0, v[116:117]
	v_xor_b32_e32 v40, 0x80000000, v117
	v_cmp_gt_f64_e64 s2, 0, v[118:119]
	v_xor_b32_e32 v42, 0x80000000, v119
	v_add_nc_u32_e32 v125, 16, v125
	s_waitcnt lgkmcnt(0)
	v_cmp_gt_f64_e64 s3, 0, v[135:136]
	v_mov_b32_e32 v44, v135
	v_mov_b32_e32 v46, v137
	v_cndmask_b32_e32 v41, v117, v40, vcc_lo
	v_xor_b32_e32 v40, 0x80000000, v136
	v_cndmask_b32_e64 v43, v119, v42, s2
	v_xor_b32_e32 v42, 0x80000000, v138
	s_delay_alu instid0(VALU_DEP_3) | instskip(SKIP_2) | instid1(VALU_DEP_2)
	v_cndmask_b32_e64 v45, v136, v40, s3
	v_cmp_gt_f64_e64 s3, 0, v[137:138]
	v_cndmask_b32_e32 v40, v116, v116, vcc_lo
	v_cndmask_b32_e64 v47, v138, v42, s3
	v_cndmask_b32_e64 v42, v118, v118, s2
	s_delay_alu instid0(VALU_DEP_2) | instskip(NEXT) | instid1(VALU_DEP_2)
	v_add_f64 v[44:45], v[44:45], v[46:47]
	v_add_f64 v[40:41], v[40:41], v[42:43]
	s_delay_alu instid0(VALU_DEP_1) | instskip(SKIP_4) | instid1(SALU_CYCLE_1)
	v_cmp_lt_f64_e32 vcc_lo, v[40:41], v[44:45]
	v_dual_cndmask_b32 v117, v117, v136 :: v_dual_cndmask_b32 v116, v116, v135
	v_dual_cndmask_b32 v119, v119, v138 :: v_dual_cndmask_b32 v118, v118, v137
	v_cndmask_b32_e64 v124, v124, s6, vcc_lo
	s_add_i32 s6, s6, 1
	s_cmp_lg_u32 s5, s6
	s_cbranch_scc1 .LBB56_232
.LBB56_233:
	s_set_inst_prefetch_distance 0x2
	s_waitcnt lgkmcnt(0)
	v_cmp_eq_f64_e32 vcc_lo, 0, v[116:117]
	v_cmp_eq_f64_e64 s2, 0, v[118:119]
	s_delay_alu instid0(VALU_DEP_1) | instskip(NEXT) | instid1(SALU_CYCLE_1)
	s_and_b32 s2, vcc_lo, s2
	s_and_saveexec_b32 s3, s2
	s_delay_alu instid0(SALU_CYCLE_1)
	s_xor_b32 s2, exec_lo, s3
; %bb.234:
	v_cmp_ne_u32_e32 vcc_lo, 0, v129
	v_cndmask_b32_e32 v129, 12, v129, vcc_lo
; %bb.235:
	s_and_not1_saveexec_b32 s3, s2
	s_cbranch_execz .LBB56_241
; %bb.236:
	v_cmp_gt_f64_e32 vcc_lo, 0, v[116:117]
	v_cmp_gt_f64_e64 s2, 0, v[118:119]
	v_xor_b32_e32 v40, 0x80000000, v117
	v_xor_b32_e32 v42, 0x80000000, v119
	s_delay_alu instid0(VALU_DEP_2) | instskip(NEXT) | instid1(VALU_DEP_2)
	v_cndmask_b32_e32 v41, v117, v40, vcc_lo
	v_cndmask_b32_e64 v43, v119, v42, s2
	v_cndmask_b32_e32 v40, v116, v116, vcc_lo
	v_cndmask_b32_e64 v42, v118, v118, s2
	s_mov_b32 s2, exec_lo
	s_delay_alu instid0(VALU_DEP_1)
	v_cmpx_ngt_f64_e32 v[40:41], v[42:43]
	s_xor_b32 s2, exec_lo, s2
	s_cbranch_execz .LBB56_238
; %bb.237:
	v_div_scale_f64 v[40:41], null, v[118:119], v[118:119], v[116:117]
	v_div_scale_f64 v[46:47], vcc_lo, v[116:117], v[118:119], v[116:117]
	s_delay_alu instid0(VALU_DEP_2) | instskip(SKIP_2) | instid1(VALU_DEP_1)
	v_rcp_f64_e32 v[42:43], v[40:41]
	s_waitcnt_depctr 0xfff
	v_fma_f64 v[44:45], -v[40:41], v[42:43], 1.0
	v_fma_f64 v[42:43], v[42:43], v[44:45], v[42:43]
	s_delay_alu instid0(VALU_DEP_1) | instskip(NEXT) | instid1(VALU_DEP_1)
	v_fma_f64 v[44:45], -v[40:41], v[42:43], 1.0
	v_fma_f64 v[42:43], v[42:43], v[44:45], v[42:43]
	s_delay_alu instid0(VALU_DEP_1) | instskip(NEXT) | instid1(VALU_DEP_1)
	v_mul_f64 v[44:45], v[46:47], v[42:43]
	v_fma_f64 v[40:41], -v[40:41], v[44:45], v[46:47]
	s_delay_alu instid0(VALU_DEP_1) | instskip(NEXT) | instid1(VALU_DEP_1)
	v_div_fmas_f64 v[40:41], v[40:41], v[42:43], v[44:45]
	v_div_fixup_f64 v[40:41], v[40:41], v[118:119], v[116:117]
	s_delay_alu instid0(VALU_DEP_1) | instskip(NEXT) | instid1(VALU_DEP_1)
	v_fma_f64 v[42:43], v[116:117], v[40:41], v[118:119]
	v_div_scale_f64 v[44:45], null, v[42:43], v[42:43], 1.0
	s_delay_alu instid0(VALU_DEP_1) | instskip(SKIP_2) | instid1(VALU_DEP_1)
	v_rcp_f64_e32 v[46:47], v[44:45]
	s_waitcnt_depctr 0xfff
	v_fma_f64 v[112:113], -v[44:45], v[46:47], 1.0
	v_fma_f64 v[46:47], v[46:47], v[112:113], v[46:47]
	s_delay_alu instid0(VALU_DEP_1) | instskip(NEXT) | instid1(VALU_DEP_1)
	v_fma_f64 v[112:113], -v[44:45], v[46:47], 1.0
	v_fma_f64 v[46:47], v[46:47], v[112:113], v[46:47]
	v_div_scale_f64 v[112:113], vcc_lo, 1.0, v[42:43], 1.0
	s_delay_alu instid0(VALU_DEP_1) | instskip(NEXT) | instid1(VALU_DEP_1)
	v_mul_f64 v[114:115], v[112:113], v[46:47]
	v_fma_f64 v[44:45], -v[44:45], v[114:115], v[112:113]
	s_delay_alu instid0(VALU_DEP_1) | instskip(NEXT) | instid1(VALU_DEP_1)
	v_div_fmas_f64 v[44:45], v[44:45], v[46:47], v[114:115]
	v_div_fixup_f64 v[118:119], v[44:45], v[42:43], 1.0
	s_delay_alu instid0(VALU_DEP_1)
	v_mul_f64 v[116:117], v[40:41], v[118:119]
	v_xor_b32_e32 v119, 0x80000000, v119
.LBB56_238:
	s_and_not1_saveexec_b32 s2, s2
	s_cbranch_execz .LBB56_240
; %bb.239:
	s_delay_alu instid0(VALU_DEP_1) | instskip(SKIP_1) | instid1(VALU_DEP_2)
	v_div_scale_f64 v[40:41], null, v[116:117], v[116:117], v[118:119]
	v_div_scale_f64 v[46:47], vcc_lo, v[118:119], v[116:117], v[118:119]
	v_rcp_f64_e32 v[42:43], v[40:41]
	s_waitcnt_depctr 0xfff
	v_fma_f64 v[44:45], -v[40:41], v[42:43], 1.0
	s_delay_alu instid0(VALU_DEP_1) | instskip(NEXT) | instid1(VALU_DEP_1)
	v_fma_f64 v[42:43], v[42:43], v[44:45], v[42:43]
	v_fma_f64 v[44:45], -v[40:41], v[42:43], 1.0
	s_delay_alu instid0(VALU_DEP_1) | instskip(NEXT) | instid1(VALU_DEP_1)
	v_fma_f64 v[42:43], v[42:43], v[44:45], v[42:43]
	v_mul_f64 v[44:45], v[46:47], v[42:43]
	s_delay_alu instid0(VALU_DEP_1) | instskip(NEXT) | instid1(VALU_DEP_1)
	v_fma_f64 v[40:41], -v[40:41], v[44:45], v[46:47]
	v_div_fmas_f64 v[40:41], v[40:41], v[42:43], v[44:45]
	s_delay_alu instid0(VALU_DEP_1) | instskip(NEXT) | instid1(VALU_DEP_1)
	v_div_fixup_f64 v[40:41], v[40:41], v[116:117], v[118:119]
	v_fma_f64 v[42:43], v[118:119], v[40:41], v[116:117]
	s_delay_alu instid0(VALU_DEP_1) | instskip(NEXT) | instid1(VALU_DEP_1)
	v_div_scale_f64 v[44:45], null, v[42:43], v[42:43], 1.0
	v_rcp_f64_e32 v[46:47], v[44:45]
	s_waitcnt_depctr 0xfff
	v_fma_f64 v[112:113], -v[44:45], v[46:47], 1.0
	s_delay_alu instid0(VALU_DEP_1) | instskip(NEXT) | instid1(VALU_DEP_1)
	v_fma_f64 v[46:47], v[46:47], v[112:113], v[46:47]
	v_fma_f64 v[112:113], -v[44:45], v[46:47], 1.0
	s_delay_alu instid0(VALU_DEP_1) | instskip(SKIP_1) | instid1(VALU_DEP_1)
	v_fma_f64 v[46:47], v[46:47], v[112:113], v[46:47]
	v_div_scale_f64 v[112:113], vcc_lo, 1.0, v[42:43], 1.0
	v_mul_f64 v[114:115], v[112:113], v[46:47]
	s_delay_alu instid0(VALU_DEP_1) | instskip(NEXT) | instid1(VALU_DEP_1)
	v_fma_f64 v[44:45], -v[44:45], v[114:115], v[112:113]
	v_div_fmas_f64 v[44:45], v[44:45], v[46:47], v[114:115]
	s_delay_alu instid0(VALU_DEP_1) | instskip(NEXT) | instid1(VALU_DEP_1)
	v_div_fixup_f64 v[116:117], v[44:45], v[42:43], 1.0
	v_mul_f64 v[118:119], v[40:41], -v[116:117]
.LBB56_240:
	s_or_b32 exec_lo, exec_lo, s2
.LBB56_241:
	s_delay_alu instid0(SALU_CYCLE_1) | instskip(NEXT) | instid1(SALU_CYCLE_1)
	s_or_b32 exec_lo, exec_lo, s3
	s_mov_b32 s2, exec_lo
	v_cmpx_ne_u32_e64 v134, v124
	s_xor_b32 s2, exec_lo, s2
	s_cbranch_execz .LBB56_247
; %bb.242:
	s_mov_b32 s3, exec_lo
	v_cmpx_eq_u32_e32 11, v134
	s_cbranch_execz .LBB56_246
; %bb.243:
	v_cmp_ne_u32_e32 vcc_lo, 11, v124
	s_xor_b32 s6, s4, -1
	s_delay_alu instid0(SALU_CYCLE_1) | instskip(NEXT) | instid1(SALU_CYCLE_1)
	s_and_b32 s7, s6, vcc_lo
	s_and_saveexec_b32 s6, s7
	s_cbranch_execz .LBB56_245
; %bb.244:
	v_ashrrev_i32_e32 v125, 31, v124
	s_delay_alu instid0(VALU_DEP_1) | instskip(NEXT) | instid1(VALU_DEP_1)
	v_lshlrev_b64 v[40:41], 2, v[124:125]
	v_add_co_u32 v40, vcc_lo, v102, v40
	s_delay_alu instid0(VALU_DEP_2)
	v_add_co_ci_u32_e32 v41, vcc_lo, v103, v41, vcc_lo
	s_clause 0x1
	flat_load_b32 v42, v[40:41]
	flat_load_b32 v43, v[102:103] offset:44
	s_waitcnt vmcnt(1) lgkmcnt(1)
	flat_store_b32 v[102:103], v42 offset:44
	s_waitcnt vmcnt(0) lgkmcnt(1)
	flat_store_b32 v[40:41], v43
.LBB56_245:
	s_or_b32 exec_lo, exec_lo, s6
	v_mov_b32_e32 v134, v124
	v_mov_b32_e32 v255, v124
.LBB56_246:
	s_or_b32 exec_lo, exec_lo, s3
.LBB56_247:
	s_and_not1_saveexec_b32 s2, s2
	s_cbranch_execz .LBB56_249
; %bb.248:
	v_mov_b32_e32 v134, 11
	ds_store_2addr_b64 v132, v[84:85], v[86:87] offset0:24 offset1:25
	ds_store_2addr_b64 v132, v[80:81], v[82:83] offset0:26 offset1:27
	ds_store_2addr_b64 v132, v[64:65], v[66:67] offset0:28 offset1:29
	ds_store_2addr_b64 v132, v[223:224], v[225:226] offset0:30 offset1:31
	ds_store_2addr_b64 v132, v[227:228], v[229:230] offset0:32 offset1:33
	ds_store_2addr_b64 v132, v[52:53], v[54:55] offset0:34 offset1:35
	ds_store_2addr_b64 v132, v[48:49], v[50:51] offset0:36 offset1:37
	ds_store_2addr_b64 v132, v[36:37], v[38:39] offset0:38 offset1:39
	ds_store_2addr_b64 v132, v[32:33], v[34:35] offset0:40 offset1:41
	ds_store_2addr_b64 v132, v[28:29], v[30:31] offset0:42 offset1:43
	ds_store_2addr_b64 v132, v[24:25], v[26:27] offset0:44 offset1:45
	ds_store_2addr_b64 v132, v[20:21], v[22:23] offset0:46 offset1:47
	ds_store_2addr_b64 v132, v[16:17], v[18:19] offset0:48 offset1:49
	ds_store_2addr_b64 v132, v[12:13], v[14:15] offset0:50 offset1:51
	ds_store_2addr_b64 v132, v[8:9], v[10:11] offset0:52 offset1:53
	ds_store_2addr_b64 v132, v[4:5], v[6:7] offset0:54 offset1:55
	ds_store_2addr_b64 v132, v[0:1], v[2:3] offset0:56 offset1:57
.LBB56_249:
	s_or_b32 exec_lo, exec_lo, s2
	s_delay_alu instid0(SALU_CYCLE_1)
	s_mov_b32 s2, exec_lo
	s_waitcnt lgkmcnt(0)
	s_waitcnt_vscnt null, 0x0
	s_barrier
	buffer_gl0_inv
	v_cmpx_lt_i32_e32 11, v134
	s_cbranch_execz .LBB56_251
; %bb.250:
	v_mul_f64 v[40:41], v[118:119], v[74:75]
	s_delay_alu instid0(VALU_DEP_1) | instskip(SKIP_1) | instid1(VALU_DEP_1)
	v_fma_f64 v[124:125], v[116:117], v[72:73], -v[40:41]
	v_mul_f64 v[40:41], v[116:117], v[74:75]
	v_fma_f64 v[74:75], v[118:119], v[72:73], v[40:41]
	ds_load_2addr_b64 v[116:119], v132 offset0:24 offset1:25
	ds_load_2addr_b64 v[135:138], v132 offset0:26 offset1:27
	s_waitcnt lgkmcnt(1)
	v_mul_f64 v[40:41], v[118:119], v[74:75]
	v_mul_f64 v[42:43], v[116:117], v[74:75]
	s_waitcnt lgkmcnt(0)
	v_mul_f64 v[44:45], v[137:138], v[74:75]
	v_mul_f64 v[46:47], v[135:136], v[74:75]
	s_delay_alu instid0(VALU_DEP_4) | instskip(NEXT) | instid1(VALU_DEP_4)
	v_fma_f64 v[40:41], v[116:117], v[124:125], -v[40:41]
	v_fma_f64 v[42:43], v[118:119], v[124:125], v[42:43]
	s_delay_alu instid0(VALU_DEP_4) | instskip(NEXT) | instid1(VALU_DEP_4)
	v_fma_f64 v[44:45], v[135:136], v[124:125], -v[44:45]
	v_fma_f64 v[46:47], v[137:138], v[124:125], v[46:47]
	ds_load_2addr_b64 v[116:119], v132 offset0:28 offset1:29
	ds_load_2addr_b64 v[135:138], v132 offset0:30 offset1:31
	s_waitcnt lgkmcnt(1)
	v_mul_f64 v[72:73], v[118:119], v[74:75]
	v_mul_f64 v[112:113], v[116:117], v[74:75]
	s_waitcnt lgkmcnt(0)
	v_mul_f64 v[114:115], v[137:138], v[74:75]
	v_add_f64 v[84:85], v[84:85], -v[40:41]
	v_add_f64 v[86:87], v[86:87], -v[42:43]
	;; [unrolled: 1-line block ×4, first 2 shown]
	v_fma_f64 v[72:73], v[116:117], v[124:125], -v[72:73]
	v_mul_f64 v[116:117], v[135:136], v[74:75]
	v_fma_f64 v[112:113], v[118:119], v[124:125], v[112:113]
	v_fma_f64 v[114:115], v[135:136], v[124:125], -v[114:115]
	s_delay_alu instid0(VALU_DEP_4) | instskip(NEXT) | instid1(VALU_DEP_4)
	v_add_f64 v[64:65], v[64:65], -v[72:73]
	v_fma_f64 v[120:121], v[137:138], v[124:125], v[116:117]
	ds_load_2addr_b64 v[116:119], v132 offset0:32 offset1:33
	ds_load_2addr_b64 v[135:138], v132 offset0:34 offset1:35
	v_add_f64 v[66:67], v[66:67], -v[112:113]
	v_add_f64 v[223:224], v[223:224], -v[114:115]
	v_dual_mov_b32 v72, v124 :: v_dual_mov_b32 v73, v125
	s_waitcnt lgkmcnt(1)
	v_mul_f64 v[122:123], v[118:119], v[74:75]
	v_add_f64 v[225:226], v[225:226], -v[120:121]
	s_delay_alu instid0(VALU_DEP_2) | instskip(SKIP_1) | instid1(VALU_DEP_2)
	v_fma_f64 v[122:123], v[116:117], v[124:125], -v[122:123]
	v_mul_f64 v[116:117], v[116:117], v[74:75]
	v_add_f64 v[227:228], v[227:228], -v[122:123]
	s_delay_alu instid0(VALU_DEP_2) | instskip(SKIP_2) | instid1(VALU_DEP_2)
	v_fma_f64 v[126:127], v[118:119], v[124:125], v[116:117]
	s_waitcnt lgkmcnt(0)
	v_mul_f64 v[116:117], v[137:138], v[74:75]
	v_add_f64 v[229:230], v[229:230], -v[126:127]
	s_delay_alu instid0(VALU_DEP_2) | instskip(SKIP_1) | instid1(VALU_DEP_2)
	v_fma_f64 v[139:140], v[135:136], v[124:125], -v[116:117]
	v_mul_f64 v[116:117], v[135:136], v[74:75]
	v_add_f64 v[52:53], v[52:53], -v[139:140]
	s_delay_alu instid0(VALU_DEP_2)
	v_fma_f64 v[141:142], v[137:138], v[124:125], v[116:117]
	ds_load_2addr_b64 v[116:119], v132 offset0:36 offset1:37
	ds_load_2addr_b64 v[135:138], v132 offset0:38 offset1:39
	s_waitcnt lgkmcnt(1)
	v_mul_f64 v[143:144], v[118:119], v[74:75]
	v_add_f64 v[54:55], v[54:55], -v[141:142]
	s_delay_alu instid0(VALU_DEP_2) | instskip(SKIP_1) | instid1(VALU_DEP_2)
	v_fma_f64 v[143:144], v[116:117], v[124:125], -v[143:144]
	v_mul_f64 v[116:117], v[116:117], v[74:75]
	v_add_f64 v[48:49], v[48:49], -v[143:144]
	s_delay_alu instid0(VALU_DEP_2) | instskip(SKIP_2) | instid1(VALU_DEP_2)
	v_fma_f64 v[145:146], v[118:119], v[124:125], v[116:117]
	s_waitcnt lgkmcnt(0)
	v_mul_f64 v[116:117], v[137:138], v[74:75]
	v_add_f64 v[50:51], v[50:51], -v[145:146]
	s_delay_alu instid0(VALU_DEP_2) | instskip(SKIP_1) | instid1(VALU_DEP_2)
	v_fma_f64 v[147:148], v[135:136], v[124:125], -v[116:117]
	v_mul_f64 v[116:117], v[135:136], v[74:75]
	v_add_f64 v[36:37], v[36:37], -v[147:148]
	s_delay_alu instid0(VALU_DEP_2)
	v_fma_f64 v[149:150], v[137:138], v[124:125], v[116:117]
	ds_load_2addr_b64 v[116:119], v132 offset0:40 offset1:41
	ds_load_2addr_b64 v[135:138], v132 offset0:42 offset1:43
	;; [unrolled: 20-line block ×5, first 2 shown]
	s_waitcnt lgkmcnt(1)
	v_mul_f64 v[175:176], v[118:119], v[74:75]
	v_add_f64 v[14:15], v[14:15], -v[173:174]
	s_delay_alu instid0(VALU_DEP_2) | instskip(SKIP_1) | instid1(VALU_DEP_2)
	v_fma_f64 v[175:176], v[116:117], v[124:125], -v[175:176]
	v_mul_f64 v[116:117], v[116:117], v[74:75]
	v_add_f64 v[8:9], v[8:9], -v[175:176]
	s_delay_alu instid0(VALU_DEP_2) | instskip(SKIP_2) | instid1(VALU_DEP_2)
	v_fma_f64 v[177:178], v[118:119], v[124:125], v[116:117]
	s_waitcnt lgkmcnt(0)
	v_mul_f64 v[116:117], v[137:138], v[74:75]
	v_add_f64 v[10:11], v[10:11], -v[177:178]
	s_delay_alu instid0(VALU_DEP_2) | instskip(SKIP_1) | instid1(VALU_DEP_2)
	v_fma_f64 v[179:180], v[135:136], v[124:125], -v[116:117]
	v_mul_f64 v[116:117], v[135:136], v[74:75]
	v_add_f64 v[4:5], v[4:5], -v[179:180]
	s_delay_alu instid0(VALU_DEP_2) | instskip(SKIP_4) | instid1(VALU_DEP_2)
	v_fma_f64 v[135:136], v[137:138], v[124:125], v[116:117]
	ds_load_2addr_b64 v[116:119], v132 offset0:56 offset1:57
	s_waitcnt lgkmcnt(0)
	v_mul_f64 v[137:138], v[118:119], v[74:75]
	v_add_f64 v[6:7], v[6:7], -v[135:136]
	v_fma_f64 v[137:138], v[116:117], v[124:125], -v[137:138]
	v_mul_f64 v[116:117], v[116:117], v[74:75]
	s_delay_alu instid0(VALU_DEP_2) | instskip(NEXT) | instid1(VALU_DEP_2)
	v_add_f64 v[0:1], v[0:1], -v[137:138]
	v_fma_f64 v[116:117], v[118:119], v[124:125], v[116:117]
	s_delay_alu instid0(VALU_DEP_1)
	v_add_f64 v[2:3], v[2:3], -v[116:117]
.LBB56_251:
	s_or_b32 exec_lo, exec_lo, s2
	v_lshl_add_u32 v40, v134, 4, v132
	s_barrier
	buffer_gl0_inv
	v_mov_b32_e32 v124, 12
	ds_store_2addr_b64 v40, v[84:85], v[86:87] offset1:1
	s_waitcnt lgkmcnt(0)
	s_barrier
	buffer_gl0_inv
	ds_load_2addr_b64 v[116:119], v132 offset0:24 offset1:25
	s_cmp_lt_i32 s5, 14
	s_cbranch_scc1 .LBB56_254
; %bb.252:
	v_add3_u32 v125, v130, 0, 0xd0
	v_mov_b32_e32 v124, 12
	s_mov_b32 s6, 13
	s_set_inst_prefetch_distance 0x1
	.p2align	6
.LBB56_253:                             ; =>This Inner Loop Header: Depth=1
	ds_load_2addr_b64 v[135:138], v125 offset1:1
	s_waitcnt lgkmcnt(1)
	v_cmp_gt_f64_e32 vcc_lo, 0, v[116:117]
	v_xor_b32_e32 v40, 0x80000000, v117
	v_cmp_gt_f64_e64 s2, 0, v[118:119]
	v_xor_b32_e32 v42, 0x80000000, v119
	v_add_nc_u32_e32 v125, 16, v125
	s_waitcnt lgkmcnt(0)
	v_cmp_gt_f64_e64 s3, 0, v[135:136]
	v_mov_b32_e32 v44, v135
	v_mov_b32_e32 v46, v137
	v_cndmask_b32_e32 v41, v117, v40, vcc_lo
	v_xor_b32_e32 v40, 0x80000000, v136
	v_cndmask_b32_e64 v43, v119, v42, s2
	v_xor_b32_e32 v42, 0x80000000, v138
	s_delay_alu instid0(VALU_DEP_3) | instskip(SKIP_2) | instid1(VALU_DEP_2)
	v_cndmask_b32_e64 v45, v136, v40, s3
	v_cmp_gt_f64_e64 s3, 0, v[137:138]
	v_cndmask_b32_e32 v40, v116, v116, vcc_lo
	v_cndmask_b32_e64 v47, v138, v42, s3
	v_cndmask_b32_e64 v42, v118, v118, s2
	s_delay_alu instid0(VALU_DEP_2) | instskip(NEXT) | instid1(VALU_DEP_2)
	v_add_f64 v[44:45], v[44:45], v[46:47]
	v_add_f64 v[40:41], v[40:41], v[42:43]
	s_delay_alu instid0(VALU_DEP_1) | instskip(SKIP_4) | instid1(SALU_CYCLE_1)
	v_cmp_lt_f64_e32 vcc_lo, v[40:41], v[44:45]
	v_dual_cndmask_b32 v117, v117, v136 :: v_dual_cndmask_b32 v116, v116, v135
	v_dual_cndmask_b32 v119, v119, v138 :: v_dual_cndmask_b32 v118, v118, v137
	v_cndmask_b32_e64 v124, v124, s6, vcc_lo
	s_add_i32 s6, s6, 1
	s_cmp_lg_u32 s5, s6
	s_cbranch_scc1 .LBB56_253
.LBB56_254:
	s_set_inst_prefetch_distance 0x2
	s_waitcnt lgkmcnt(0)
	v_cmp_eq_f64_e32 vcc_lo, 0, v[116:117]
	v_cmp_eq_f64_e64 s2, 0, v[118:119]
	s_delay_alu instid0(VALU_DEP_1) | instskip(NEXT) | instid1(SALU_CYCLE_1)
	s_and_b32 s2, vcc_lo, s2
	s_and_saveexec_b32 s3, s2
	s_delay_alu instid0(SALU_CYCLE_1)
	s_xor_b32 s2, exec_lo, s3
; %bb.255:
	v_cmp_ne_u32_e32 vcc_lo, 0, v129
	v_cndmask_b32_e32 v129, 13, v129, vcc_lo
; %bb.256:
	s_and_not1_saveexec_b32 s3, s2
	s_cbranch_execz .LBB56_262
; %bb.257:
	v_cmp_gt_f64_e32 vcc_lo, 0, v[116:117]
	v_cmp_gt_f64_e64 s2, 0, v[118:119]
	v_xor_b32_e32 v40, 0x80000000, v117
	v_xor_b32_e32 v42, 0x80000000, v119
	s_delay_alu instid0(VALU_DEP_2) | instskip(NEXT) | instid1(VALU_DEP_2)
	v_cndmask_b32_e32 v41, v117, v40, vcc_lo
	v_cndmask_b32_e64 v43, v119, v42, s2
	v_cndmask_b32_e32 v40, v116, v116, vcc_lo
	v_cndmask_b32_e64 v42, v118, v118, s2
	s_mov_b32 s2, exec_lo
	s_delay_alu instid0(VALU_DEP_1)
	v_cmpx_ngt_f64_e32 v[40:41], v[42:43]
	s_xor_b32 s2, exec_lo, s2
	s_cbranch_execz .LBB56_259
; %bb.258:
	v_div_scale_f64 v[40:41], null, v[118:119], v[118:119], v[116:117]
	v_div_scale_f64 v[46:47], vcc_lo, v[116:117], v[118:119], v[116:117]
	s_delay_alu instid0(VALU_DEP_2) | instskip(SKIP_2) | instid1(VALU_DEP_1)
	v_rcp_f64_e32 v[42:43], v[40:41]
	s_waitcnt_depctr 0xfff
	v_fma_f64 v[44:45], -v[40:41], v[42:43], 1.0
	v_fma_f64 v[42:43], v[42:43], v[44:45], v[42:43]
	s_delay_alu instid0(VALU_DEP_1) | instskip(NEXT) | instid1(VALU_DEP_1)
	v_fma_f64 v[44:45], -v[40:41], v[42:43], 1.0
	v_fma_f64 v[42:43], v[42:43], v[44:45], v[42:43]
	s_delay_alu instid0(VALU_DEP_1) | instskip(NEXT) | instid1(VALU_DEP_1)
	v_mul_f64 v[44:45], v[46:47], v[42:43]
	v_fma_f64 v[40:41], -v[40:41], v[44:45], v[46:47]
	s_delay_alu instid0(VALU_DEP_1) | instskip(NEXT) | instid1(VALU_DEP_1)
	v_div_fmas_f64 v[40:41], v[40:41], v[42:43], v[44:45]
	v_div_fixup_f64 v[40:41], v[40:41], v[118:119], v[116:117]
	s_delay_alu instid0(VALU_DEP_1) | instskip(NEXT) | instid1(VALU_DEP_1)
	v_fma_f64 v[42:43], v[116:117], v[40:41], v[118:119]
	v_div_scale_f64 v[44:45], null, v[42:43], v[42:43], 1.0
	s_delay_alu instid0(VALU_DEP_1) | instskip(SKIP_2) | instid1(VALU_DEP_1)
	v_rcp_f64_e32 v[46:47], v[44:45]
	s_waitcnt_depctr 0xfff
	v_fma_f64 v[112:113], -v[44:45], v[46:47], 1.0
	v_fma_f64 v[46:47], v[46:47], v[112:113], v[46:47]
	s_delay_alu instid0(VALU_DEP_1) | instskip(NEXT) | instid1(VALU_DEP_1)
	v_fma_f64 v[112:113], -v[44:45], v[46:47], 1.0
	v_fma_f64 v[46:47], v[46:47], v[112:113], v[46:47]
	v_div_scale_f64 v[112:113], vcc_lo, 1.0, v[42:43], 1.0
	s_delay_alu instid0(VALU_DEP_1) | instskip(NEXT) | instid1(VALU_DEP_1)
	v_mul_f64 v[114:115], v[112:113], v[46:47]
	v_fma_f64 v[44:45], -v[44:45], v[114:115], v[112:113]
	s_delay_alu instid0(VALU_DEP_1) | instskip(NEXT) | instid1(VALU_DEP_1)
	v_div_fmas_f64 v[44:45], v[44:45], v[46:47], v[114:115]
	v_div_fixup_f64 v[118:119], v[44:45], v[42:43], 1.0
	s_delay_alu instid0(VALU_DEP_1)
	v_mul_f64 v[116:117], v[40:41], v[118:119]
	v_xor_b32_e32 v119, 0x80000000, v119
.LBB56_259:
	s_and_not1_saveexec_b32 s2, s2
	s_cbranch_execz .LBB56_261
; %bb.260:
	s_delay_alu instid0(VALU_DEP_1) | instskip(SKIP_1) | instid1(VALU_DEP_2)
	v_div_scale_f64 v[40:41], null, v[116:117], v[116:117], v[118:119]
	v_div_scale_f64 v[46:47], vcc_lo, v[118:119], v[116:117], v[118:119]
	v_rcp_f64_e32 v[42:43], v[40:41]
	s_waitcnt_depctr 0xfff
	v_fma_f64 v[44:45], -v[40:41], v[42:43], 1.0
	s_delay_alu instid0(VALU_DEP_1) | instskip(NEXT) | instid1(VALU_DEP_1)
	v_fma_f64 v[42:43], v[42:43], v[44:45], v[42:43]
	v_fma_f64 v[44:45], -v[40:41], v[42:43], 1.0
	s_delay_alu instid0(VALU_DEP_1) | instskip(NEXT) | instid1(VALU_DEP_1)
	v_fma_f64 v[42:43], v[42:43], v[44:45], v[42:43]
	v_mul_f64 v[44:45], v[46:47], v[42:43]
	s_delay_alu instid0(VALU_DEP_1) | instskip(NEXT) | instid1(VALU_DEP_1)
	v_fma_f64 v[40:41], -v[40:41], v[44:45], v[46:47]
	v_div_fmas_f64 v[40:41], v[40:41], v[42:43], v[44:45]
	s_delay_alu instid0(VALU_DEP_1) | instskip(NEXT) | instid1(VALU_DEP_1)
	v_div_fixup_f64 v[40:41], v[40:41], v[116:117], v[118:119]
	v_fma_f64 v[42:43], v[118:119], v[40:41], v[116:117]
	s_delay_alu instid0(VALU_DEP_1) | instskip(NEXT) | instid1(VALU_DEP_1)
	v_div_scale_f64 v[44:45], null, v[42:43], v[42:43], 1.0
	v_rcp_f64_e32 v[46:47], v[44:45]
	s_waitcnt_depctr 0xfff
	v_fma_f64 v[112:113], -v[44:45], v[46:47], 1.0
	s_delay_alu instid0(VALU_DEP_1) | instskip(NEXT) | instid1(VALU_DEP_1)
	v_fma_f64 v[46:47], v[46:47], v[112:113], v[46:47]
	v_fma_f64 v[112:113], -v[44:45], v[46:47], 1.0
	s_delay_alu instid0(VALU_DEP_1) | instskip(SKIP_1) | instid1(VALU_DEP_1)
	v_fma_f64 v[46:47], v[46:47], v[112:113], v[46:47]
	v_div_scale_f64 v[112:113], vcc_lo, 1.0, v[42:43], 1.0
	v_mul_f64 v[114:115], v[112:113], v[46:47]
	s_delay_alu instid0(VALU_DEP_1) | instskip(NEXT) | instid1(VALU_DEP_1)
	v_fma_f64 v[44:45], -v[44:45], v[114:115], v[112:113]
	v_div_fmas_f64 v[44:45], v[44:45], v[46:47], v[114:115]
	s_delay_alu instid0(VALU_DEP_1) | instskip(NEXT) | instid1(VALU_DEP_1)
	v_div_fixup_f64 v[116:117], v[44:45], v[42:43], 1.0
	v_mul_f64 v[118:119], v[40:41], -v[116:117]
.LBB56_261:
	s_or_b32 exec_lo, exec_lo, s2
.LBB56_262:
	s_delay_alu instid0(SALU_CYCLE_1) | instskip(NEXT) | instid1(SALU_CYCLE_1)
	s_or_b32 exec_lo, exec_lo, s3
	s_mov_b32 s2, exec_lo
	v_cmpx_ne_u32_e64 v134, v124
	s_xor_b32 s2, exec_lo, s2
	s_cbranch_execz .LBB56_268
; %bb.263:
	s_mov_b32 s3, exec_lo
	v_cmpx_eq_u32_e32 12, v134
	s_cbranch_execz .LBB56_267
; %bb.264:
	v_cmp_ne_u32_e32 vcc_lo, 12, v124
	s_xor_b32 s6, s4, -1
	s_delay_alu instid0(SALU_CYCLE_1) | instskip(NEXT) | instid1(SALU_CYCLE_1)
	s_and_b32 s7, s6, vcc_lo
	s_and_saveexec_b32 s6, s7
	s_cbranch_execz .LBB56_266
; %bb.265:
	v_ashrrev_i32_e32 v125, 31, v124
	s_delay_alu instid0(VALU_DEP_1) | instskip(NEXT) | instid1(VALU_DEP_1)
	v_lshlrev_b64 v[40:41], 2, v[124:125]
	v_add_co_u32 v40, vcc_lo, v102, v40
	s_delay_alu instid0(VALU_DEP_2)
	v_add_co_ci_u32_e32 v41, vcc_lo, v103, v41, vcc_lo
	s_clause 0x1
	flat_load_b32 v42, v[40:41]
	flat_load_b32 v43, v[102:103] offset:48
	s_waitcnt vmcnt(1) lgkmcnt(1)
	flat_store_b32 v[102:103], v42 offset:48
	s_waitcnt vmcnt(0) lgkmcnt(1)
	flat_store_b32 v[40:41], v43
.LBB56_266:
	s_or_b32 exec_lo, exec_lo, s6
	v_mov_b32_e32 v134, v124
	v_mov_b32_e32 v255, v124
.LBB56_267:
	s_or_b32 exec_lo, exec_lo, s3
.LBB56_268:
	s_and_not1_saveexec_b32 s2, s2
	s_cbranch_execz .LBB56_270
; %bb.269:
	v_mov_b32_e32 v134, 12
	ds_store_2addr_b64 v132, v[80:81], v[82:83] offset0:26 offset1:27
	ds_store_2addr_b64 v132, v[64:65], v[66:67] offset0:28 offset1:29
	;; [unrolled: 1-line block ×16, first 2 shown]
.LBB56_270:
	s_or_b32 exec_lo, exec_lo, s2
	s_delay_alu instid0(SALU_CYCLE_1)
	s_mov_b32 s2, exec_lo
	s_waitcnt lgkmcnt(0)
	s_waitcnt_vscnt null, 0x0
	s_barrier
	buffer_gl0_inv
	v_cmpx_lt_i32_e32 12, v134
	s_cbranch_execz .LBB56_272
; %bb.271:
	v_mul_f64 v[40:41], v[116:117], v[86:87]
	s_delay_alu instid0(VALU_DEP_1) | instskip(SKIP_1) | instid1(VALU_DEP_1)
	v_fma_f64 v[124:125], v[118:119], v[84:85], v[40:41]
	v_mul_f64 v[40:41], v[118:119], v[86:87]
	v_fma_f64 v[84:85], v[116:117], v[84:85], -v[40:41]
	ds_load_2addr_b64 v[116:119], v132 offset0:26 offset1:27
	ds_load_2addr_b64 v[135:138], v132 offset0:28 offset1:29
	s_waitcnt lgkmcnt(1)
	v_mul_f64 v[40:41], v[118:119], v[124:125]
	v_mul_f64 v[42:43], v[116:117], v[124:125]
	s_waitcnt lgkmcnt(0)
	v_mul_f64 v[44:45], v[137:138], v[124:125]
	v_mul_f64 v[46:47], v[135:136], v[124:125]
	s_delay_alu instid0(VALU_DEP_4) | instskip(NEXT) | instid1(VALU_DEP_4)
	v_fma_f64 v[40:41], v[116:117], v[84:85], -v[40:41]
	v_fma_f64 v[42:43], v[118:119], v[84:85], v[42:43]
	s_delay_alu instid0(VALU_DEP_4) | instskip(NEXT) | instid1(VALU_DEP_4)
	v_fma_f64 v[44:45], v[135:136], v[84:85], -v[44:45]
	v_fma_f64 v[46:47], v[137:138], v[84:85], v[46:47]
	ds_load_2addr_b64 v[116:119], v132 offset0:30 offset1:31
	ds_load_2addr_b64 v[135:138], v132 offset0:32 offset1:33
	s_waitcnt lgkmcnt(1)
	v_mul_f64 v[86:87], v[118:119], v[124:125]
	v_mul_f64 v[112:113], v[116:117], v[124:125]
	s_waitcnt lgkmcnt(0)
	v_mul_f64 v[114:115], v[137:138], v[124:125]
	v_add_f64 v[80:81], v[80:81], -v[40:41]
	v_add_f64 v[82:83], v[82:83], -v[42:43]
	;; [unrolled: 1-line block ×4, first 2 shown]
	v_fma_f64 v[86:87], v[116:117], v[84:85], -v[86:87]
	v_mul_f64 v[116:117], v[135:136], v[124:125]
	v_fma_f64 v[112:113], v[118:119], v[84:85], v[112:113]
	v_fma_f64 v[114:115], v[135:136], v[84:85], -v[114:115]
	s_delay_alu instid0(VALU_DEP_4) | instskip(NEXT) | instid1(VALU_DEP_4)
	v_add_f64 v[223:224], v[223:224], -v[86:87]
	v_fma_f64 v[120:121], v[137:138], v[84:85], v[116:117]
	ds_load_2addr_b64 v[116:119], v132 offset0:34 offset1:35
	ds_load_2addr_b64 v[135:138], v132 offset0:36 offset1:37
	v_add_f64 v[225:226], v[225:226], -v[112:113]
	v_add_f64 v[227:228], v[227:228], -v[114:115]
	v_dual_mov_b32 v86, v124 :: v_dual_mov_b32 v87, v125
	s_waitcnt lgkmcnt(1)
	v_mul_f64 v[122:123], v[118:119], v[124:125]
	v_add_f64 v[229:230], v[229:230], -v[120:121]
	s_delay_alu instid0(VALU_DEP_2) | instskip(SKIP_1) | instid1(VALU_DEP_2)
	v_fma_f64 v[122:123], v[116:117], v[84:85], -v[122:123]
	v_mul_f64 v[116:117], v[116:117], v[124:125]
	v_add_f64 v[52:53], v[52:53], -v[122:123]
	s_delay_alu instid0(VALU_DEP_2) | instskip(SKIP_2) | instid1(VALU_DEP_2)
	v_fma_f64 v[126:127], v[118:119], v[84:85], v[116:117]
	s_waitcnt lgkmcnt(0)
	v_mul_f64 v[116:117], v[137:138], v[124:125]
	v_add_f64 v[54:55], v[54:55], -v[126:127]
	s_delay_alu instid0(VALU_DEP_2) | instskip(SKIP_1) | instid1(VALU_DEP_2)
	v_fma_f64 v[139:140], v[135:136], v[84:85], -v[116:117]
	v_mul_f64 v[116:117], v[135:136], v[124:125]
	v_add_f64 v[48:49], v[48:49], -v[139:140]
	s_delay_alu instid0(VALU_DEP_2)
	v_fma_f64 v[141:142], v[137:138], v[84:85], v[116:117]
	ds_load_2addr_b64 v[116:119], v132 offset0:38 offset1:39
	ds_load_2addr_b64 v[135:138], v132 offset0:40 offset1:41
	s_waitcnt lgkmcnt(1)
	v_mul_f64 v[143:144], v[118:119], v[124:125]
	v_add_f64 v[50:51], v[50:51], -v[141:142]
	s_delay_alu instid0(VALU_DEP_2) | instskip(SKIP_1) | instid1(VALU_DEP_2)
	v_fma_f64 v[143:144], v[116:117], v[84:85], -v[143:144]
	v_mul_f64 v[116:117], v[116:117], v[124:125]
	v_add_f64 v[36:37], v[36:37], -v[143:144]
	s_delay_alu instid0(VALU_DEP_2) | instskip(SKIP_2) | instid1(VALU_DEP_2)
	v_fma_f64 v[145:146], v[118:119], v[84:85], v[116:117]
	s_waitcnt lgkmcnt(0)
	v_mul_f64 v[116:117], v[137:138], v[124:125]
	v_add_f64 v[38:39], v[38:39], -v[145:146]
	s_delay_alu instid0(VALU_DEP_2) | instskip(SKIP_1) | instid1(VALU_DEP_2)
	v_fma_f64 v[147:148], v[135:136], v[84:85], -v[116:117]
	v_mul_f64 v[116:117], v[135:136], v[124:125]
	v_add_f64 v[32:33], v[32:33], -v[147:148]
	s_delay_alu instid0(VALU_DEP_2)
	v_fma_f64 v[149:150], v[137:138], v[84:85], v[116:117]
	ds_load_2addr_b64 v[116:119], v132 offset0:42 offset1:43
	ds_load_2addr_b64 v[135:138], v132 offset0:44 offset1:45
	;; [unrolled: 20-line block ×5, first 2 shown]
	s_waitcnt lgkmcnt(1)
	v_mul_f64 v[175:176], v[118:119], v[124:125]
	v_add_f64 v[10:11], v[10:11], -v[173:174]
	s_delay_alu instid0(VALU_DEP_2) | instskip(SKIP_1) | instid1(VALU_DEP_2)
	v_fma_f64 v[175:176], v[116:117], v[84:85], -v[175:176]
	v_mul_f64 v[116:117], v[116:117], v[124:125]
	v_add_f64 v[4:5], v[4:5], -v[175:176]
	s_delay_alu instid0(VALU_DEP_2) | instskip(SKIP_2) | instid1(VALU_DEP_2)
	v_fma_f64 v[116:117], v[118:119], v[84:85], v[116:117]
	s_waitcnt lgkmcnt(0)
	v_mul_f64 v[118:119], v[137:138], v[124:125]
	v_add_f64 v[6:7], v[6:7], -v[116:117]
	s_delay_alu instid0(VALU_DEP_2) | instskip(SKIP_1) | instid1(VALU_DEP_2)
	v_fma_f64 v[118:119], v[135:136], v[84:85], -v[118:119]
	v_mul_f64 v[135:136], v[135:136], v[124:125]
	v_add_f64 v[0:1], v[0:1], -v[118:119]
	s_delay_alu instid0(VALU_DEP_2) | instskip(NEXT) | instid1(VALU_DEP_1)
	v_fma_f64 v[135:136], v[137:138], v[84:85], v[135:136]
	v_add_f64 v[2:3], v[2:3], -v[135:136]
.LBB56_272:
	s_or_b32 exec_lo, exec_lo, s2
	v_lshl_add_u32 v40, v134, 4, v132
	s_barrier
	buffer_gl0_inv
	v_mov_b32_e32 v124, 13
	ds_store_2addr_b64 v40, v[80:81], v[82:83] offset1:1
	s_waitcnt lgkmcnt(0)
	s_barrier
	buffer_gl0_inv
	ds_load_2addr_b64 v[116:119], v132 offset0:26 offset1:27
	s_cmp_lt_i32 s5, 15
	s_cbranch_scc1 .LBB56_275
; %bb.273:
	v_add3_u32 v125, v130, 0, 0xe0
	v_mov_b32_e32 v124, 13
	s_mov_b32 s6, 14
	s_set_inst_prefetch_distance 0x1
	.p2align	6
.LBB56_274:                             ; =>This Inner Loop Header: Depth=1
	ds_load_2addr_b64 v[135:138], v125 offset1:1
	s_waitcnt lgkmcnt(1)
	v_cmp_gt_f64_e32 vcc_lo, 0, v[116:117]
	v_xor_b32_e32 v40, 0x80000000, v117
	v_cmp_gt_f64_e64 s2, 0, v[118:119]
	v_xor_b32_e32 v42, 0x80000000, v119
	v_add_nc_u32_e32 v125, 16, v125
	s_waitcnt lgkmcnt(0)
	v_cmp_gt_f64_e64 s3, 0, v[135:136]
	v_mov_b32_e32 v44, v135
	v_mov_b32_e32 v46, v137
	v_cndmask_b32_e32 v41, v117, v40, vcc_lo
	v_xor_b32_e32 v40, 0x80000000, v136
	v_cndmask_b32_e64 v43, v119, v42, s2
	v_xor_b32_e32 v42, 0x80000000, v138
	s_delay_alu instid0(VALU_DEP_3) | instskip(SKIP_2) | instid1(VALU_DEP_2)
	v_cndmask_b32_e64 v45, v136, v40, s3
	v_cmp_gt_f64_e64 s3, 0, v[137:138]
	v_cndmask_b32_e32 v40, v116, v116, vcc_lo
	v_cndmask_b32_e64 v47, v138, v42, s3
	v_cndmask_b32_e64 v42, v118, v118, s2
	s_delay_alu instid0(VALU_DEP_2) | instskip(NEXT) | instid1(VALU_DEP_2)
	v_add_f64 v[44:45], v[44:45], v[46:47]
	v_add_f64 v[40:41], v[40:41], v[42:43]
	s_delay_alu instid0(VALU_DEP_1) | instskip(SKIP_4) | instid1(SALU_CYCLE_1)
	v_cmp_lt_f64_e32 vcc_lo, v[40:41], v[44:45]
	v_dual_cndmask_b32 v117, v117, v136 :: v_dual_cndmask_b32 v116, v116, v135
	v_dual_cndmask_b32 v119, v119, v138 :: v_dual_cndmask_b32 v118, v118, v137
	v_cndmask_b32_e64 v124, v124, s6, vcc_lo
	s_add_i32 s6, s6, 1
	s_cmp_lg_u32 s5, s6
	s_cbranch_scc1 .LBB56_274
.LBB56_275:
	s_set_inst_prefetch_distance 0x2
	s_waitcnt lgkmcnt(0)
	v_cmp_eq_f64_e32 vcc_lo, 0, v[116:117]
	v_cmp_eq_f64_e64 s2, 0, v[118:119]
	s_delay_alu instid0(VALU_DEP_1) | instskip(NEXT) | instid1(SALU_CYCLE_1)
	s_and_b32 s2, vcc_lo, s2
	s_and_saveexec_b32 s3, s2
	s_delay_alu instid0(SALU_CYCLE_1)
	s_xor_b32 s2, exec_lo, s3
; %bb.276:
	v_cmp_ne_u32_e32 vcc_lo, 0, v129
	v_cndmask_b32_e32 v129, 14, v129, vcc_lo
; %bb.277:
	s_and_not1_saveexec_b32 s3, s2
	s_cbranch_execz .LBB56_283
; %bb.278:
	v_cmp_gt_f64_e32 vcc_lo, 0, v[116:117]
	v_cmp_gt_f64_e64 s2, 0, v[118:119]
	v_xor_b32_e32 v40, 0x80000000, v117
	v_xor_b32_e32 v42, 0x80000000, v119
	s_delay_alu instid0(VALU_DEP_2) | instskip(NEXT) | instid1(VALU_DEP_2)
	v_cndmask_b32_e32 v41, v117, v40, vcc_lo
	v_cndmask_b32_e64 v43, v119, v42, s2
	v_cndmask_b32_e32 v40, v116, v116, vcc_lo
	v_cndmask_b32_e64 v42, v118, v118, s2
	s_mov_b32 s2, exec_lo
	s_delay_alu instid0(VALU_DEP_1)
	v_cmpx_ngt_f64_e32 v[40:41], v[42:43]
	s_xor_b32 s2, exec_lo, s2
	s_cbranch_execz .LBB56_280
; %bb.279:
	v_div_scale_f64 v[40:41], null, v[118:119], v[118:119], v[116:117]
	v_div_scale_f64 v[46:47], vcc_lo, v[116:117], v[118:119], v[116:117]
	s_delay_alu instid0(VALU_DEP_2) | instskip(SKIP_2) | instid1(VALU_DEP_1)
	v_rcp_f64_e32 v[42:43], v[40:41]
	s_waitcnt_depctr 0xfff
	v_fma_f64 v[44:45], -v[40:41], v[42:43], 1.0
	v_fma_f64 v[42:43], v[42:43], v[44:45], v[42:43]
	s_delay_alu instid0(VALU_DEP_1) | instskip(NEXT) | instid1(VALU_DEP_1)
	v_fma_f64 v[44:45], -v[40:41], v[42:43], 1.0
	v_fma_f64 v[42:43], v[42:43], v[44:45], v[42:43]
	s_delay_alu instid0(VALU_DEP_1) | instskip(NEXT) | instid1(VALU_DEP_1)
	v_mul_f64 v[44:45], v[46:47], v[42:43]
	v_fma_f64 v[40:41], -v[40:41], v[44:45], v[46:47]
	s_delay_alu instid0(VALU_DEP_1) | instskip(NEXT) | instid1(VALU_DEP_1)
	v_div_fmas_f64 v[40:41], v[40:41], v[42:43], v[44:45]
	v_div_fixup_f64 v[40:41], v[40:41], v[118:119], v[116:117]
	s_delay_alu instid0(VALU_DEP_1) | instskip(NEXT) | instid1(VALU_DEP_1)
	v_fma_f64 v[42:43], v[116:117], v[40:41], v[118:119]
	v_div_scale_f64 v[44:45], null, v[42:43], v[42:43], 1.0
	s_delay_alu instid0(VALU_DEP_1) | instskip(SKIP_2) | instid1(VALU_DEP_1)
	v_rcp_f64_e32 v[46:47], v[44:45]
	s_waitcnt_depctr 0xfff
	v_fma_f64 v[112:113], -v[44:45], v[46:47], 1.0
	v_fma_f64 v[46:47], v[46:47], v[112:113], v[46:47]
	s_delay_alu instid0(VALU_DEP_1) | instskip(NEXT) | instid1(VALU_DEP_1)
	v_fma_f64 v[112:113], -v[44:45], v[46:47], 1.0
	v_fma_f64 v[46:47], v[46:47], v[112:113], v[46:47]
	v_div_scale_f64 v[112:113], vcc_lo, 1.0, v[42:43], 1.0
	s_delay_alu instid0(VALU_DEP_1) | instskip(NEXT) | instid1(VALU_DEP_1)
	v_mul_f64 v[114:115], v[112:113], v[46:47]
	v_fma_f64 v[44:45], -v[44:45], v[114:115], v[112:113]
	s_delay_alu instid0(VALU_DEP_1) | instskip(NEXT) | instid1(VALU_DEP_1)
	v_div_fmas_f64 v[44:45], v[44:45], v[46:47], v[114:115]
	v_div_fixup_f64 v[118:119], v[44:45], v[42:43], 1.0
	s_delay_alu instid0(VALU_DEP_1)
	v_mul_f64 v[116:117], v[40:41], v[118:119]
	v_xor_b32_e32 v119, 0x80000000, v119
.LBB56_280:
	s_and_not1_saveexec_b32 s2, s2
	s_cbranch_execz .LBB56_282
; %bb.281:
	s_delay_alu instid0(VALU_DEP_1) | instskip(SKIP_1) | instid1(VALU_DEP_2)
	v_div_scale_f64 v[40:41], null, v[116:117], v[116:117], v[118:119]
	v_div_scale_f64 v[46:47], vcc_lo, v[118:119], v[116:117], v[118:119]
	v_rcp_f64_e32 v[42:43], v[40:41]
	s_waitcnt_depctr 0xfff
	v_fma_f64 v[44:45], -v[40:41], v[42:43], 1.0
	s_delay_alu instid0(VALU_DEP_1) | instskip(NEXT) | instid1(VALU_DEP_1)
	v_fma_f64 v[42:43], v[42:43], v[44:45], v[42:43]
	v_fma_f64 v[44:45], -v[40:41], v[42:43], 1.0
	s_delay_alu instid0(VALU_DEP_1) | instskip(NEXT) | instid1(VALU_DEP_1)
	v_fma_f64 v[42:43], v[42:43], v[44:45], v[42:43]
	v_mul_f64 v[44:45], v[46:47], v[42:43]
	s_delay_alu instid0(VALU_DEP_1) | instskip(NEXT) | instid1(VALU_DEP_1)
	v_fma_f64 v[40:41], -v[40:41], v[44:45], v[46:47]
	v_div_fmas_f64 v[40:41], v[40:41], v[42:43], v[44:45]
	s_delay_alu instid0(VALU_DEP_1) | instskip(NEXT) | instid1(VALU_DEP_1)
	v_div_fixup_f64 v[40:41], v[40:41], v[116:117], v[118:119]
	v_fma_f64 v[42:43], v[118:119], v[40:41], v[116:117]
	s_delay_alu instid0(VALU_DEP_1) | instskip(NEXT) | instid1(VALU_DEP_1)
	v_div_scale_f64 v[44:45], null, v[42:43], v[42:43], 1.0
	v_rcp_f64_e32 v[46:47], v[44:45]
	s_waitcnt_depctr 0xfff
	v_fma_f64 v[112:113], -v[44:45], v[46:47], 1.0
	s_delay_alu instid0(VALU_DEP_1) | instskip(NEXT) | instid1(VALU_DEP_1)
	v_fma_f64 v[46:47], v[46:47], v[112:113], v[46:47]
	v_fma_f64 v[112:113], -v[44:45], v[46:47], 1.0
	s_delay_alu instid0(VALU_DEP_1) | instskip(SKIP_1) | instid1(VALU_DEP_1)
	v_fma_f64 v[46:47], v[46:47], v[112:113], v[46:47]
	v_div_scale_f64 v[112:113], vcc_lo, 1.0, v[42:43], 1.0
	v_mul_f64 v[114:115], v[112:113], v[46:47]
	s_delay_alu instid0(VALU_DEP_1) | instskip(NEXT) | instid1(VALU_DEP_1)
	v_fma_f64 v[44:45], -v[44:45], v[114:115], v[112:113]
	v_div_fmas_f64 v[44:45], v[44:45], v[46:47], v[114:115]
	s_delay_alu instid0(VALU_DEP_1) | instskip(NEXT) | instid1(VALU_DEP_1)
	v_div_fixup_f64 v[116:117], v[44:45], v[42:43], 1.0
	v_mul_f64 v[118:119], v[40:41], -v[116:117]
.LBB56_282:
	s_or_b32 exec_lo, exec_lo, s2
.LBB56_283:
	s_delay_alu instid0(SALU_CYCLE_1) | instskip(NEXT) | instid1(SALU_CYCLE_1)
	s_or_b32 exec_lo, exec_lo, s3
	s_mov_b32 s2, exec_lo
	v_cmpx_ne_u32_e64 v134, v124
	s_xor_b32 s2, exec_lo, s2
	s_cbranch_execz .LBB56_289
; %bb.284:
	s_mov_b32 s3, exec_lo
	v_cmpx_eq_u32_e32 13, v134
	s_cbranch_execz .LBB56_288
; %bb.285:
	v_cmp_ne_u32_e32 vcc_lo, 13, v124
	s_xor_b32 s6, s4, -1
	s_delay_alu instid0(SALU_CYCLE_1) | instskip(NEXT) | instid1(SALU_CYCLE_1)
	s_and_b32 s7, s6, vcc_lo
	s_and_saveexec_b32 s6, s7
	s_cbranch_execz .LBB56_287
; %bb.286:
	v_ashrrev_i32_e32 v125, 31, v124
	s_delay_alu instid0(VALU_DEP_1) | instskip(NEXT) | instid1(VALU_DEP_1)
	v_lshlrev_b64 v[40:41], 2, v[124:125]
	v_add_co_u32 v40, vcc_lo, v102, v40
	s_delay_alu instid0(VALU_DEP_2)
	v_add_co_ci_u32_e32 v41, vcc_lo, v103, v41, vcc_lo
	s_clause 0x1
	flat_load_b32 v42, v[40:41]
	flat_load_b32 v43, v[102:103] offset:52
	s_waitcnt vmcnt(1) lgkmcnt(1)
	flat_store_b32 v[102:103], v42 offset:52
	s_waitcnt vmcnt(0) lgkmcnt(1)
	flat_store_b32 v[40:41], v43
.LBB56_287:
	s_or_b32 exec_lo, exec_lo, s6
	v_mov_b32_e32 v134, v124
	v_mov_b32_e32 v255, v124
.LBB56_288:
	s_or_b32 exec_lo, exec_lo, s3
.LBB56_289:
	s_and_not1_saveexec_b32 s2, s2
	s_cbranch_execz .LBB56_291
; %bb.290:
	v_mov_b32_e32 v134, 13
	ds_store_2addr_b64 v132, v[64:65], v[66:67] offset0:28 offset1:29
	ds_store_2addr_b64 v132, v[223:224], v[225:226] offset0:30 offset1:31
	;; [unrolled: 1-line block ×15, first 2 shown]
.LBB56_291:
	s_or_b32 exec_lo, exec_lo, s2
	s_delay_alu instid0(SALU_CYCLE_1)
	s_mov_b32 s2, exec_lo
	s_waitcnt lgkmcnt(0)
	s_waitcnt_vscnt null, 0x0
	s_barrier
	buffer_gl0_inv
	v_cmpx_lt_i32_e32 13, v134
	s_cbranch_execz .LBB56_293
; %bb.292:
	v_mul_f64 v[40:41], v[116:117], v[82:83]
	v_mul_f64 v[42:43], v[118:119], v[82:83]
	ds_load_2addr_b64 v[124:127], v132 offset0:28 offset1:29
	ds_load_2addr_b64 v[135:138], v132 offset0:30 offset1:31
	;; [unrolled: 1-line block ×15, first 2 shown]
	v_dual_mov_b32 v59, v39 :: v_dual_mov_b32 v58, v38
	v_dual_mov_b32 v57, v37 :: v_dual_mov_b32 v56, v36
	;; [unrolled: 1-line block ×10, first 2 shown]
	v_fma_f64 v[40:41], v[118:119], v[80:81], v[40:41]
	v_fma_f64 v[80:81], v[116:117], v[80:81], -v[42:43]
	s_waitcnt lgkmcnt(14)
	s_delay_alu instid0(VALU_DEP_2)
	v_mul_f64 v[42:43], v[126:127], v[40:41]
	v_mul_f64 v[44:45], v[124:125], v[40:41]
	s_waitcnt lgkmcnt(13)
	v_mul_f64 v[46:47], v[137:138], v[40:41]
	v_mul_f64 v[82:83], v[135:136], v[40:41]
	s_waitcnt lgkmcnt(12)
	;; [unrolled: 3-line block ×14, first 2 shown]
	v_mul_f64 v[227:228], v[189:190], v[40:41]
	v_mul_f64 v[229:230], v[187:188], v[40:41]
	v_fma_f64 v[42:43], v[124:125], v[80:81], -v[42:43]
	v_fma_f64 v[44:45], v[126:127], v[80:81], v[44:45]
	v_fma_f64 v[46:47], v[135:136], v[80:81], -v[46:47]
	v_fma_f64 v[82:83], v[137:138], v[80:81], v[82:83]
	;; [unrolled: 2-line block ×15, first 2 shown]
	v_dual_mov_b32 v230, v55 :: v_dual_mov_b32 v229, v54
	v_dual_mov_b32 v228, v53 :: v_dual_mov_b32 v227, v52
	;; [unrolled: 1-line block ×10, first 2 shown]
	v_add_f64 v[64:65], v[64:65], -v[42:43]
	v_add_f64 v[66:67], v[66:67], -v[44:45]
	s_delay_alu instid0(VALU_DEP_4)
	v_add_f64 v[223:224], v[223:224], -v[46:47]
	v_add_f64 v[225:226], v[225:226], -v[82:83]
	;; [unrolled: 1-line block ×28, first 2 shown]
	v_dual_mov_b32 v83, v41 :: v_dual_mov_b32 v82, v40
.LBB56_293:
	s_or_b32 exec_lo, exec_lo, s2
	v_lshl_add_u32 v40, v134, 4, v132
	s_barrier
	buffer_gl0_inv
	v_mov_b32_e32 v124, 14
	ds_store_2addr_b64 v40, v[64:65], v[66:67] offset1:1
	s_waitcnt lgkmcnt(0)
	s_barrier
	buffer_gl0_inv
	ds_load_2addr_b64 v[116:119], v132 offset0:28 offset1:29
	s_cmp_lt_i32 s5, 16
	s_cbranch_scc1 .LBB56_296
; %bb.294:
	v_add3_u32 v125, v130, 0, 0xf0
	v_mov_b32_e32 v124, 14
	s_mov_b32 s6, 15
	s_set_inst_prefetch_distance 0x1
	.p2align	6
.LBB56_295:                             ; =>This Inner Loop Header: Depth=1
	ds_load_2addr_b64 v[135:138], v125 offset1:1
	s_waitcnt lgkmcnt(1)
	v_cmp_gt_f64_e32 vcc_lo, 0, v[116:117]
	v_xor_b32_e32 v40, 0x80000000, v117
	v_cmp_gt_f64_e64 s2, 0, v[118:119]
	v_xor_b32_e32 v42, 0x80000000, v119
	v_add_nc_u32_e32 v125, 16, v125
	s_waitcnt lgkmcnt(0)
	v_cmp_gt_f64_e64 s3, 0, v[135:136]
	v_mov_b32_e32 v44, v135
	v_mov_b32_e32 v46, v137
	v_cndmask_b32_e32 v41, v117, v40, vcc_lo
	v_xor_b32_e32 v40, 0x80000000, v136
	v_cndmask_b32_e64 v43, v119, v42, s2
	v_xor_b32_e32 v42, 0x80000000, v138
	s_delay_alu instid0(VALU_DEP_3) | instskip(SKIP_2) | instid1(VALU_DEP_2)
	v_cndmask_b32_e64 v45, v136, v40, s3
	v_cmp_gt_f64_e64 s3, 0, v[137:138]
	v_cndmask_b32_e32 v40, v116, v116, vcc_lo
	v_cndmask_b32_e64 v47, v138, v42, s3
	v_cndmask_b32_e64 v42, v118, v118, s2
	s_delay_alu instid0(VALU_DEP_2) | instskip(NEXT) | instid1(VALU_DEP_2)
	v_add_f64 v[44:45], v[44:45], v[46:47]
	v_add_f64 v[40:41], v[40:41], v[42:43]
	s_delay_alu instid0(VALU_DEP_1) | instskip(SKIP_4) | instid1(SALU_CYCLE_1)
	v_cmp_lt_f64_e32 vcc_lo, v[40:41], v[44:45]
	v_dual_cndmask_b32 v117, v117, v136 :: v_dual_cndmask_b32 v116, v116, v135
	v_dual_cndmask_b32 v119, v119, v138 :: v_dual_cndmask_b32 v118, v118, v137
	v_cndmask_b32_e64 v124, v124, s6, vcc_lo
	s_add_i32 s6, s6, 1
	s_cmp_lg_u32 s5, s6
	s_cbranch_scc1 .LBB56_295
.LBB56_296:
	s_set_inst_prefetch_distance 0x2
	s_waitcnt lgkmcnt(0)
	v_cmp_eq_f64_e32 vcc_lo, 0, v[116:117]
	v_cmp_eq_f64_e64 s2, 0, v[118:119]
	s_delay_alu instid0(VALU_DEP_1) | instskip(NEXT) | instid1(SALU_CYCLE_1)
	s_and_b32 s2, vcc_lo, s2
	s_and_saveexec_b32 s3, s2
	s_delay_alu instid0(SALU_CYCLE_1)
	s_xor_b32 s2, exec_lo, s3
; %bb.297:
	v_cmp_ne_u32_e32 vcc_lo, 0, v129
	v_cndmask_b32_e32 v129, 15, v129, vcc_lo
; %bb.298:
	s_and_not1_saveexec_b32 s3, s2
	s_cbranch_execz .LBB56_304
; %bb.299:
	v_cmp_gt_f64_e32 vcc_lo, 0, v[116:117]
	v_cmp_gt_f64_e64 s2, 0, v[118:119]
	v_xor_b32_e32 v40, 0x80000000, v117
	v_xor_b32_e32 v42, 0x80000000, v119
	s_delay_alu instid0(VALU_DEP_2) | instskip(NEXT) | instid1(VALU_DEP_2)
	v_cndmask_b32_e32 v41, v117, v40, vcc_lo
	v_cndmask_b32_e64 v43, v119, v42, s2
	v_cndmask_b32_e32 v40, v116, v116, vcc_lo
	v_cndmask_b32_e64 v42, v118, v118, s2
	s_mov_b32 s2, exec_lo
	s_delay_alu instid0(VALU_DEP_1)
	v_cmpx_ngt_f64_e32 v[40:41], v[42:43]
	s_xor_b32 s2, exec_lo, s2
	s_cbranch_execz .LBB56_301
; %bb.300:
	v_div_scale_f64 v[40:41], null, v[118:119], v[118:119], v[116:117]
	v_div_scale_f64 v[46:47], vcc_lo, v[116:117], v[118:119], v[116:117]
	s_delay_alu instid0(VALU_DEP_2) | instskip(SKIP_2) | instid1(VALU_DEP_1)
	v_rcp_f64_e32 v[42:43], v[40:41]
	s_waitcnt_depctr 0xfff
	v_fma_f64 v[44:45], -v[40:41], v[42:43], 1.0
	v_fma_f64 v[42:43], v[42:43], v[44:45], v[42:43]
	s_delay_alu instid0(VALU_DEP_1) | instskip(NEXT) | instid1(VALU_DEP_1)
	v_fma_f64 v[44:45], -v[40:41], v[42:43], 1.0
	v_fma_f64 v[42:43], v[42:43], v[44:45], v[42:43]
	s_delay_alu instid0(VALU_DEP_1) | instskip(NEXT) | instid1(VALU_DEP_1)
	v_mul_f64 v[44:45], v[46:47], v[42:43]
	v_fma_f64 v[40:41], -v[40:41], v[44:45], v[46:47]
	s_delay_alu instid0(VALU_DEP_1) | instskip(NEXT) | instid1(VALU_DEP_1)
	v_div_fmas_f64 v[40:41], v[40:41], v[42:43], v[44:45]
	v_div_fixup_f64 v[40:41], v[40:41], v[118:119], v[116:117]
	s_delay_alu instid0(VALU_DEP_1) | instskip(NEXT) | instid1(VALU_DEP_1)
	v_fma_f64 v[42:43], v[116:117], v[40:41], v[118:119]
	v_div_scale_f64 v[44:45], null, v[42:43], v[42:43], 1.0
	s_delay_alu instid0(VALU_DEP_1) | instskip(SKIP_2) | instid1(VALU_DEP_1)
	v_rcp_f64_e32 v[46:47], v[44:45]
	s_waitcnt_depctr 0xfff
	v_fma_f64 v[112:113], -v[44:45], v[46:47], 1.0
	v_fma_f64 v[46:47], v[46:47], v[112:113], v[46:47]
	s_delay_alu instid0(VALU_DEP_1) | instskip(NEXT) | instid1(VALU_DEP_1)
	v_fma_f64 v[112:113], -v[44:45], v[46:47], 1.0
	v_fma_f64 v[46:47], v[46:47], v[112:113], v[46:47]
	v_div_scale_f64 v[112:113], vcc_lo, 1.0, v[42:43], 1.0
	s_delay_alu instid0(VALU_DEP_1) | instskip(NEXT) | instid1(VALU_DEP_1)
	v_mul_f64 v[114:115], v[112:113], v[46:47]
	v_fma_f64 v[44:45], -v[44:45], v[114:115], v[112:113]
	s_delay_alu instid0(VALU_DEP_1) | instskip(NEXT) | instid1(VALU_DEP_1)
	v_div_fmas_f64 v[44:45], v[44:45], v[46:47], v[114:115]
	v_div_fixup_f64 v[118:119], v[44:45], v[42:43], 1.0
	s_delay_alu instid0(VALU_DEP_1)
	v_mul_f64 v[116:117], v[40:41], v[118:119]
	v_xor_b32_e32 v119, 0x80000000, v119
.LBB56_301:
	s_and_not1_saveexec_b32 s2, s2
	s_cbranch_execz .LBB56_303
; %bb.302:
	s_delay_alu instid0(VALU_DEP_1) | instskip(SKIP_1) | instid1(VALU_DEP_2)
	v_div_scale_f64 v[40:41], null, v[116:117], v[116:117], v[118:119]
	v_div_scale_f64 v[46:47], vcc_lo, v[118:119], v[116:117], v[118:119]
	v_rcp_f64_e32 v[42:43], v[40:41]
	s_waitcnt_depctr 0xfff
	v_fma_f64 v[44:45], -v[40:41], v[42:43], 1.0
	s_delay_alu instid0(VALU_DEP_1) | instskip(NEXT) | instid1(VALU_DEP_1)
	v_fma_f64 v[42:43], v[42:43], v[44:45], v[42:43]
	v_fma_f64 v[44:45], -v[40:41], v[42:43], 1.0
	s_delay_alu instid0(VALU_DEP_1) | instskip(NEXT) | instid1(VALU_DEP_1)
	v_fma_f64 v[42:43], v[42:43], v[44:45], v[42:43]
	v_mul_f64 v[44:45], v[46:47], v[42:43]
	s_delay_alu instid0(VALU_DEP_1) | instskip(NEXT) | instid1(VALU_DEP_1)
	v_fma_f64 v[40:41], -v[40:41], v[44:45], v[46:47]
	v_div_fmas_f64 v[40:41], v[40:41], v[42:43], v[44:45]
	s_delay_alu instid0(VALU_DEP_1) | instskip(NEXT) | instid1(VALU_DEP_1)
	v_div_fixup_f64 v[40:41], v[40:41], v[116:117], v[118:119]
	v_fma_f64 v[42:43], v[118:119], v[40:41], v[116:117]
	s_delay_alu instid0(VALU_DEP_1) | instskip(NEXT) | instid1(VALU_DEP_1)
	v_div_scale_f64 v[44:45], null, v[42:43], v[42:43], 1.0
	v_rcp_f64_e32 v[46:47], v[44:45]
	s_waitcnt_depctr 0xfff
	v_fma_f64 v[112:113], -v[44:45], v[46:47], 1.0
	s_delay_alu instid0(VALU_DEP_1) | instskip(NEXT) | instid1(VALU_DEP_1)
	v_fma_f64 v[46:47], v[46:47], v[112:113], v[46:47]
	v_fma_f64 v[112:113], -v[44:45], v[46:47], 1.0
	s_delay_alu instid0(VALU_DEP_1) | instskip(SKIP_1) | instid1(VALU_DEP_1)
	v_fma_f64 v[46:47], v[46:47], v[112:113], v[46:47]
	v_div_scale_f64 v[112:113], vcc_lo, 1.0, v[42:43], 1.0
	v_mul_f64 v[114:115], v[112:113], v[46:47]
	s_delay_alu instid0(VALU_DEP_1) | instskip(NEXT) | instid1(VALU_DEP_1)
	v_fma_f64 v[44:45], -v[44:45], v[114:115], v[112:113]
	v_div_fmas_f64 v[44:45], v[44:45], v[46:47], v[114:115]
	s_delay_alu instid0(VALU_DEP_1) | instskip(NEXT) | instid1(VALU_DEP_1)
	v_div_fixup_f64 v[116:117], v[44:45], v[42:43], 1.0
	v_mul_f64 v[118:119], v[40:41], -v[116:117]
.LBB56_303:
	s_or_b32 exec_lo, exec_lo, s2
.LBB56_304:
	s_delay_alu instid0(SALU_CYCLE_1) | instskip(NEXT) | instid1(SALU_CYCLE_1)
	s_or_b32 exec_lo, exec_lo, s3
	s_mov_b32 s2, exec_lo
	v_cmpx_ne_u32_e64 v134, v124
	s_xor_b32 s2, exec_lo, s2
	s_cbranch_execz .LBB56_310
; %bb.305:
	s_mov_b32 s3, exec_lo
	v_cmpx_eq_u32_e32 14, v134
	s_cbranch_execz .LBB56_309
; %bb.306:
	v_cmp_ne_u32_e32 vcc_lo, 14, v124
	s_xor_b32 s6, s4, -1
	s_delay_alu instid0(SALU_CYCLE_1) | instskip(NEXT) | instid1(SALU_CYCLE_1)
	s_and_b32 s7, s6, vcc_lo
	s_and_saveexec_b32 s6, s7
	s_cbranch_execz .LBB56_308
; %bb.307:
	v_ashrrev_i32_e32 v125, 31, v124
	s_delay_alu instid0(VALU_DEP_1) | instskip(NEXT) | instid1(VALU_DEP_1)
	v_lshlrev_b64 v[40:41], 2, v[124:125]
	v_add_co_u32 v40, vcc_lo, v102, v40
	s_delay_alu instid0(VALU_DEP_2)
	v_add_co_ci_u32_e32 v41, vcc_lo, v103, v41, vcc_lo
	s_clause 0x1
	flat_load_b32 v42, v[40:41]
	flat_load_b32 v43, v[102:103] offset:56
	s_waitcnt vmcnt(1) lgkmcnt(1)
	flat_store_b32 v[102:103], v42 offset:56
	s_waitcnt vmcnt(0) lgkmcnt(1)
	flat_store_b32 v[40:41], v43
.LBB56_308:
	s_or_b32 exec_lo, exec_lo, s6
	v_mov_b32_e32 v134, v124
	v_mov_b32_e32 v255, v124
.LBB56_309:
	s_or_b32 exec_lo, exec_lo, s3
.LBB56_310:
	s_and_not1_saveexec_b32 s2, s2
	s_cbranch_execz .LBB56_312
; %bb.311:
	v_mov_b32_e32 v134, 14
	ds_store_2addr_b64 v132, v[223:224], v[225:226] offset0:30 offset1:31
	ds_store_2addr_b64 v132, v[227:228], v[229:230] offset0:32 offset1:33
	;; [unrolled: 1-line block ×14, first 2 shown]
.LBB56_312:
	s_or_b32 exec_lo, exec_lo, s2
	s_delay_alu instid0(SALU_CYCLE_1)
	s_mov_b32 s2, exec_lo
	s_waitcnt lgkmcnt(0)
	s_waitcnt_vscnt null, 0x0
	s_barrier
	buffer_gl0_inv
	v_cmpx_lt_i32_e32 14, v134
	s_cbranch_execz .LBB56_314
; %bb.313:
	v_mul_f64 v[40:41], v[116:117], v[66:67]
	v_mul_f64 v[42:43], v[118:119], v[66:67]
	ds_load_2addr_b64 v[124:127], v132 offset0:30 offset1:31
	ds_load_2addr_b64 v[135:138], v132 offset0:32 offset1:33
	;; [unrolled: 1-line block ×14, first 2 shown]
	v_fma_f64 v[40:41], v[118:119], v[64:65], v[40:41]
	v_fma_f64 v[64:65], v[116:117], v[64:65], -v[42:43]
	s_waitcnt lgkmcnt(13)
	s_delay_alu instid0(VALU_DEP_2)
	v_mul_f64 v[42:43], v[126:127], v[40:41]
	v_mul_f64 v[44:45], v[124:125], v[40:41]
	s_waitcnt lgkmcnt(12)
	v_mul_f64 v[46:47], v[137:138], v[40:41]
	v_mul_f64 v[66:67], v[135:136], v[40:41]
	s_waitcnt lgkmcnt(11)
	;; [unrolled: 3-line block ×13, first 2 shown]
	v_mul_f64 v[219:220], v[185:186], v[40:41]
	v_mul_f64 v[221:222], v[183:184], v[40:41]
	v_fma_f64 v[42:43], v[124:125], v[64:65], -v[42:43]
	v_fma_f64 v[44:45], v[126:127], v[64:65], v[44:45]
	v_fma_f64 v[46:47], v[135:136], v[64:65], -v[46:47]
	v_fma_f64 v[66:67], v[137:138], v[64:65], v[66:67]
	;; [unrolled: 2-line block ×14, first 2 shown]
	v_add_f64 v[223:224], v[223:224], -v[42:43]
	v_add_f64 v[225:226], v[225:226], -v[44:45]
	;; [unrolled: 1-line block ×28, first 2 shown]
	v_dual_mov_b32 v67, v41 :: v_dual_mov_b32 v66, v40
.LBB56_314:
	s_or_b32 exec_lo, exec_lo, s2
	v_lshl_add_u32 v40, v134, 4, v132
	s_barrier
	buffer_gl0_inv
	v_mov_b32_e32 v124, 15
	ds_store_2addr_b64 v40, v[223:224], v[225:226] offset1:1
	s_waitcnt lgkmcnt(0)
	s_barrier
	buffer_gl0_inv
	ds_load_2addr_b64 v[116:119], v132 offset0:30 offset1:31
	s_cmp_lt_i32 s5, 17
	s_cbranch_scc1 .LBB56_317
; %bb.315:
	v_add3_u32 v125, v130, 0, 0x100
	v_mov_b32_e32 v124, 15
	s_mov_b32 s6, 16
	s_set_inst_prefetch_distance 0x1
	.p2align	6
.LBB56_316:                             ; =>This Inner Loop Header: Depth=1
	ds_load_2addr_b64 v[135:138], v125 offset1:1
	s_waitcnt lgkmcnt(1)
	v_cmp_gt_f64_e32 vcc_lo, 0, v[116:117]
	v_xor_b32_e32 v40, 0x80000000, v117
	v_cmp_gt_f64_e64 s2, 0, v[118:119]
	v_xor_b32_e32 v42, 0x80000000, v119
	v_add_nc_u32_e32 v125, 16, v125
	s_waitcnt lgkmcnt(0)
	v_cmp_gt_f64_e64 s3, 0, v[135:136]
	v_mov_b32_e32 v44, v135
	v_mov_b32_e32 v46, v137
	v_cndmask_b32_e32 v41, v117, v40, vcc_lo
	v_xor_b32_e32 v40, 0x80000000, v136
	v_cndmask_b32_e64 v43, v119, v42, s2
	v_xor_b32_e32 v42, 0x80000000, v138
	s_delay_alu instid0(VALU_DEP_3) | instskip(SKIP_2) | instid1(VALU_DEP_2)
	v_cndmask_b32_e64 v45, v136, v40, s3
	v_cmp_gt_f64_e64 s3, 0, v[137:138]
	v_cndmask_b32_e32 v40, v116, v116, vcc_lo
	v_cndmask_b32_e64 v47, v138, v42, s3
	v_cndmask_b32_e64 v42, v118, v118, s2
	s_delay_alu instid0(VALU_DEP_2) | instskip(NEXT) | instid1(VALU_DEP_2)
	v_add_f64 v[44:45], v[44:45], v[46:47]
	v_add_f64 v[40:41], v[40:41], v[42:43]
	s_delay_alu instid0(VALU_DEP_1) | instskip(SKIP_4) | instid1(SALU_CYCLE_1)
	v_cmp_lt_f64_e32 vcc_lo, v[40:41], v[44:45]
	v_dual_cndmask_b32 v117, v117, v136 :: v_dual_cndmask_b32 v116, v116, v135
	v_dual_cndmask_b32 v119, v119, v138 :: v_dual_cndmask_b32 v118, v118, v137
	v_cndmask_b32_e64 v124, v124, s6, vcc_lo
	s_add_i32 s6, s6, 1
	s_cmp_lg_u32 s5, s6
	s_cbranch_scc1 .LBB56_316
.LBB56_317:
	s_set_inst_prefetch_distance 0x2
	s_waitcnt lgkmcnt(0)
	v_cmp_eq_f64_e32 vcc_lo, 0, v[116:117]
	v_cmp_eq_f64_e64 s2, 0, v[118:119]
	s_delay_alu instid0(VALU_DEP_1) | instskip(NEXT) | instid1(SALU_CYCLE_1)
	s_and_b32 s2, vcc_lo, s2
	s_and_saveexec_b32 s3, s2
	s_delay_alu instid0(SALU_CYCLE_1)
	s_xor_b32 s2, exec_lo, s3
; %bb.318:
	v_cmp_ne_u32_e32 vcc_lo, 0, v129
	v_cndmask_b32_e32 v129, 16, v129, vcc_lo
; %bb.319:
	s_and_not1_saveexec_b32 s3, s2
	s_cbranch_execz .LBB56_325
; %bb.320:
	v_cmp_gt_f64_e32 vcc_lo, 0, v[116:117]
	v_cmp_gt_f64_e64 s2, 0, v[118:119]
	v_xor_b32_e32 v40, 0x80000000, v117
	v_xor_b32_e32 v42, 0x80000000, v119
	s_delay_alu instid0(VALU_DEP_2) | instskip(NEXT) | instid1(VALU_DEP_2)
	v_cndmask_b32_e32 v41, v117, v40, vcc_lo
	v_cndmask_b32_e64 v43, v119, v42, s2
	v_cndmask_b32_e32 v40, v116, v116, vcc_lo
	v_cndmask_b32_e64 v42, v118, v118, s2
	s_mov_b32 s2, exec_lo
	s_delay_alu instid0(VALU_DEP_1)
	v_cmpx_ngt_f64_e32 v[40:41], v[42:43]
	s_xor_b32 s2, exec_lo, s2
	s_cbranch_execz .LBB56_322
; %bb.321:
	v_div_scale_f64 v[40:41], null, v[118:119], v[118:119], v[116:117]
	v_div_scale_f64 v[46:47], vcc_lo, v[116:117], v[118:119], v[116:117]
	s_delay_alu instid0(VALU_DEP_2) | instskip(SKIP_2) | instid1(VALU_DEP_1)
	v_rcp_f64_e32 v[42:43], v[40:41]
	s_waitcnt_depctr 0xfff
	v_fma_f64 v[44:45], -v[40:41], v[42:43], 1.0
	v_fma_f64 v[42:43], v[42:43], v[44:45], v[42:43]
	s_delay_alu instid0(VALU_DEP_1) | instskip(NEXT) | instid1(VALU_DEP_1)
	v_fma_f64 v[44:45], -v[40:41], v[42:43], 1.0
	v_fma_f64 v[42:43], v[42:43], v[44:45], v[42:43]
	s_delay_alu instid0(VALU_DEP_1) | instskip(NEXT) | instid1(VALU_DEP_1)
	v_mul_f64 v[44:45], v[46:47], v[42:43]
	v_fma_f64 v[40:41], -v[40:41], v[44:45], v[46:47]
	s_delay_alu instid0(VALU_DEP_1) | instskip(NEXT) | instid1(VALU_DEP_1)
	v_div_fmas_f64 v[40:41], v[40:41], v[42:43], v[44:45]
	v_div_fixup_f64 v[40:41], v[40:41], v[118:119], v[116:117]
	s_delay_alu instid0(VALU_DEP_1) | instskip(NEXT) | instid1(VALU_DEP_1)
	v_fma_f64 v[42:43], v[116:117], v[40:41], v[118:119]
	v_div_scale_f64 v[44:45], null, v[42:43], v[42:43], 1.0
	s_delay_alu instid0(VALU_DEP_1) | instskip(SKIP_2) | instid1(VALU_DEP_1)
	v_rcp_f64_e32 v[46:47], v[44:45]
	s_waitcnt_depctr 0xfff
	v_fma_f64 v[112:113], -v[44:45], v[46:47], 1.0
	v_fma_f64 v[46:47], v[46:47], v[112:113], v[46:47]
	s_delay_alu instid0(VALU_DEP_1) | instskip(NEXT) | instid1(VALU_DEP_1)
	v_fma_f64 v[112:113], -v[44:45], v[46:47], 1.0
	v_fma_f64 v[46:47], v[46:47], v[112:113], v[46:47]
	v_div_scale_f64 v[112:113], vcc_lo, 1.0, v[42:43], 1.0
	s_delay_alu instid0(VALU_DEP_1) | instskip(NEXT) | instid1(VALU_DEP_1)
	v_mul_f64 v[114:115], v[112:113], v[46:47]
	v_fma_f64 v[44:45], -v[44:45], v[114:115], v[112:113]
	s_delay_alu instid0(VALU_DEP_1) | instskip(NEXT) | instid1(VALU_DEP_1)
	v_div_fmas_f64 v[44:45], v[44:45], v[46:47], v[114:115]
	v_div_fixup_f64 v[118:119], v[44:45], v[42:43], 1.0
	s_delay_alu instid0(VALU_DEP_1)
	v_mul_f64 v[116:117], v[40:41], v[118:119]
	v_xor_b32_e32 v119, 0x80000000, v119
.LBB56_322:
	s_and_not1_saveexec_b32 s2, s2
	s_cbranch_execz .LBB56_324
; %bb.323:
	s_delay_alu instid0(VALU_DEP_1) | instskip(SKIP_1) | instid1(VALU_DEP_2)
	v_div_scale_f64 v[40:41], null, v[116:117], v[116:117], v[118:119]
	v_div_scale_f64 v[46:47], vcc_lo, v[118:119], v[116:117], v[118:119]
	v_rcp_f64_e32 v[42:43], v[40:41]
	s_waitcnt_depctr 0xfff
	v_fma_f64 v[44:45], -v[40:41], v[42:43], 1.0
	s_delay_alu instid0(VALU_DEP_1) | instskip(NEXT) | instid1(VALU_DEP_1)
	v_fma_f64 v[42:43], v[42:43], v[44:45], v[42:43]
	v_fma_f64 v[44:45], -v[40:41], v[42:43], 1.0
	s_delay_alu instid0(VALU_DEP_1) | instskip(NEXT) | instid1(VALU_DEP_1)
	v_fma_f64 v[42:43], v[42:43], v[44:45], v[42:43]
	v_mul_f64 v[44:45], v[46:47], v[42:43]
	s_delay_alu instid0(VALU_DEP_1) | instskip(NEXT) | instid1(VALU_DEP_1)
	v_fma_f64 v[40:41], -v[40:41], v[44:45], v[46:47]
	v_div_fmas_f64 v[40:41], v[40:41], v[42:43], v[44:45]
	s_delay_alu instid0(VALU_DEP_1) | instskip(NEXT) | instid1(VALU_DEP_1)
	v_div_fixup_f64 v[40:41], v[40:41], v[116:117], v[118:119]
	v_fma_f64 v[42:43], v[118:119], v[40:41], v[116:117]
	s_delay_alu instid0(VALU_DEP_1) | instskip(NEXT) | instid1(VALU_DEP_1)
	v_div_scale_f64 v[44:45], null, v[42:43], v[42:43], 1.0
	v_rcp_f64_e32 v[46:47], v[44:45]
	s_waitcnt_depctr 0xfff
	v_fma_f64 v[112:113], -v[44:45], v[46:47], 1.0
	s_delay_alu instid0(VALU_DEP_1) | instskip(NEXT) | instid1(VALU_DEP_1)
	v_fma_f64 v[46:47], v[46:47], v[112:113], v[46:47]
	v_fma_f64 v[112:113], -v[44:45], v[46:47], 1.0
	s_delay_alu instid0(VALU_DEP_1) | instskip(SKIP_1) | instid1(VALU_DEP_1)
	v_fma_f64 v[46:47], v[46:47], v[112:113], v[46:47]
	v_div_scale_f64 v[112:113], vcc_lo, 1.0, v[42:43], 1.0
	v_mul_f64 v[114:115], v[112:113], v[46:47]
	s_delay_alu instid0(VALU_DEP_1) | instskip(NEXT) | instid1(VALU_DEP_1)
	v_fma_f64 v[44:45], -v[44:45], v[114:115], v[112:113]
	v_div_fmas_f64 v[44:45], v[44:45], v[46:47], v[114:115]
	s_delay_alu instid0(VALU_DEP_1) | instskip(NEXT) | instid1(VALU_DEP_1)
	v_div_fixup_f64 v[116:117], v[44:45], v[42:43], 1.0
	v_mul_f64 v[118:119], v[40:41], -v[116:117]
.LBB56_324:
	s_or_b32 exec_lo, exec_lo, s2
.LBB56_325:
	s_delay_alu instid0(SALU_CYCLE_1) | instskip(NEXT) | instid1(SALU_CYCLE_1)
	s_or_b32 exec_lo, exec_lo, s3
	s_mov_b32 s2, exec_lo
	v_cmpx_ne_u32_e64 v134, v124
	s_xor_b32 s2, exec_lo, s2
	s_cbranch_execz .LBB56_331
; %bb.326:
	s_mov_b32 s3, exec_lo
	v_cmpx_eq_u32_e32 15, v134
	s_cbranch_execz .LBB56_330
; %bb.327:
	v_cmp_ne_u32_e32 vcc_lo, 15, v124
	s_xor_b32 s6, s4, -1
	s_delay_alu instid0(SALU_CYCLE_1) | instskip(NEXT) | instid1(SALU_CYCLE_1)
	s_and_b32 s7, s6, vcc_lo
	s_and_saveexec_b32 s6, s7
	s_cbranch_execz .LBB56_329
; %bb.328:
	v_ashrrev_i32_e32 v125, 31, v124
	s_delay_alu instid0(VALU_DEP_1) | instskip(NEXT) | instid1(VALU_DEP_1)
	v_lshlrev_b64 v[40:41], 2, v[124:125]
	v_add_co_u32 v40, vcc_lo, v102, v40
	s_delay_alu instid0(VALU_DEP_2)
	v_add_co_ci_u32_e32 v41, vcc_lo, v103, v41, vcc_lo
	s_clause 0x1
	flat_load_b32 v42, v[40:41]
	flat_load_b32 v43, v[102:103] offset:60
	s_waitcnt vmcnt(1) lgkmcnt(1)
	flat_store_b32 v[102:103], v42 offset:60
	s_waitcnt vmcnt(0) lgkmcnt(1)
	flat_store_b32 v[40:41], v43
.LBB56_329:
	s_or_b32 exec_lo, exec_lo, s6
	v_mov_b32_e32 v134, v124
	v_mov_b32_e32 v255, v124
.LBB56_330:
	s_or_b32 exec_lo, exec_lo, s3
.LBB56_331:
	s_and_not1_saveexec_b32 s2, s2
	s_cbranch_execz .LBB56_333
; %bb.332:
	v_mov_b32_e32 v134, 15
	ds_store_2addr_b64 v132, v[227:228], v[229:230] offset0:32 offset1:33
	ds_store_2addr_b64 v132, v[52:53], v[54:55] offset0:34 offset1:35
	;; [unrolled: 1-line block ×13, first 2 shown]
.LBB56_333:
	s_or_b32 exec_lo, exec_lo, s2
	s_delay_alu instid0(SALU_CYCLE_1)
	s_mov_b32 s2, exec_lo
	s_waitcnt lgkmcnt(0)
	s_waitcnt_vscnt null, 0x0
	s_barrier
	buffer_gl0_inv
	v_cmpx_lt_i32_e32 15, v134
	s_cbranch_execz .LBB56_335
; %bb.334:
	v_mul_f64 v[40:41], v[116:117], v[225:226]
	v_mul_f64 v[42:43], v[118:119], v[225:226]
	ds_load_2addr_b64 v[124:127], v132 offset0:32 offset1:33
	ds_load_2addr_b64 v[135:138], v132 offset0:34 offset1:35
	;; [unrolled: 1-line block ×13, first 2 shown]
	v_fma_f64 v[40:41], v[118:119], v[223:224], v[40:41]
	v_fma_f64 v[223:224], v[116:117], v[223:224], -v[42:43]
	s_waitcnt lgkmcnt(12)
	s_delay_alu instid0(VALU_DEP_2)
	v_mul_f64 v[42:43], v[126:127], v[40:41]
	v_mul_f64 v[44:45], v[124:125], v[40:41]
	s_waitcnt lgkmcnt(11)
	v_mul_f64 v[46:47], v[137:138], v[40:41]
	v_mul_f64 v[62:63], v[135:136], v[40:41]
	s_waitcnt lgkmcnt(10)
	;; [unrolled: 3-line block ×12, first 2 shown]
	v_mul_f64 v[211:212], v[181:182], v[40:41]
	v_mul_f64 v[213:214], v[179:180], v[40:41]
	v_dual_mov_b32 v226, v41 :: v_dual_mov_b32 v225, v40
	v_fma_f64 v[42:43], v[124:125], v[223:224], -v[42:43]
	v_fma_f64 v[44:45], v[126:127], v[223:224], v[44:45]
	v_fma_f64 v[46:47], v[135:136], v[223:224], -v[46:47]
	v_fma_f64 v[62:63], v[137:138], v[223:224], v[62:63]
	;; [unrolled: 2-line block ×13, first 2 shown]
	v_add_f64 v[227:228], v[227:228], -v[42:43]
	v_add_f64 v[229:230], v[229:230], -v[44:45]
	;; [unrolled: 1-line block ×26, first 2 shown]
.LBB56_335:
	s_or_b32 exec_lo, exec_lo, s2
	v_lshl_add_u32 v40, v134, 4, v132
	s_barrier
	buffer_gl0_inv
	v_mov_b32_e32 v124, 16
	ds_store_2addr_b64 v40, v[227:228], v[229:230] offset1:1
	s_waitcnt lgkmcnt(0)
	s_barrier
	buffer_gl0_inv
	ds_load_2addr_b64 v[116:119], v132 offset0:32 offset1:33
	s_cmp_lt_i32 s5, 18
	s_cbranch_scc1 .LBB56_338
; %bb.336:
	v_add3_u32 v125, v130, 0, 0x110
	v_mov_b32_e32 v124, 16
	s_mov_b32 s6, 17
	s_set_inst_prefetch_distance 0x1
	.p2align	6
.LBB56_337:                             ; =>This Inner Loop Header: Depth=1
	ds_load_2addr_b64 v[135:138], v125 offset1:1
	s_waitcnt lgkmcnt(1)
	v_cmp_gt_f64_e32 vcc_lo, 0, v[116:117]
	v_xor_b32_e32 v40, 0x80000000, v117
	v_cmp_gt_f64_e64 s2, 0, v[118:119]
	v_xor_b32_e32 v42, 0x80000000, v119
	v_add_nc_u32_e32 v125, 16, v125
	s_waitcnt lgkmcnt(0)
	v_cmp_gt_f64_e64 s3, 0, v[135:136]
	v_mov_b32_e32 v44, v135
	v_mov_b32_e32 v46, v137
	v_cndmask_b32_e32 v41, v117, v40, vcc_lo
	v_xor_b32_e32 v40, 0x80000000, v136
	v_cndmask_b32_e64 v43, v119, v42, s2
	v_xor_b32_e32 v42, 0x80000000, v138
	s_delay_alu instid0(VALU_DEP_3) | instskip(SKIP_2) | instid1(VALU_DEP_2)
	v_cndmask_b32_e64 v45, v136, v40, s3
	v_cmp_gt_f64_e64 s3, 0, v[137:138]
	v_cndmask_b32_e32 v40, v116, v116, vcc_lo
	v_cndmask_b32_e64 v47, v138, v42, s3
	v_cndmask_b32_e64 v42, v118, v118, s2
	s_delay_alu instid0(VALU_DEP_2) | instskip(NEXT) | instid1(VALU_DEP_2)
	v_add_f64 v[44:45], v[44:45], v[46:47]
	v_add_f64 v[40:41], v[40:41], v[42:43]
	s_delay_alu instid0(VALU_DEP_1) | instskip(SKIP_4) | instid1(SALU_CYCLE_1)
	v_cmp_lt_f64_e32 vcc_lo, v[40:41], v[44:45]
	v_dual_cndmask_b32 v117, v117, v136 :: v_dual_cndmask_b32 v116, v116, v135
	v_dual_cndmask_b32 v119, v119, v138 :: v_dual_cndmask_b32 v118, v118, v137
	v_cndmask_b32_e64 v124, v124, s6, vcc_lo
	s_add_i32 s6, s6, 1
	s_cmp_lg_u32 s5, s6
	s_cbranch_scc1 .LBB56_337
.LBB56_338:
	s_set_inst_prefetch_distance 0x2
	s_waitcnt lgkmcnt(0)
	v_cmp_eq_f64_e32 vcc_lo, 0, v[116:117]
	v_cmp_eq_f64_e64 s2, 0, v[118:119]
	s_delay_alu instid0(VALU_DEP_1) | instskip(NEXT) | instid1(SALU_CYCLE_1)
	s_and_b32 s2, vcc_lo, s2
	s_and_saveexec_b32 s3, s2
	s_delay_alu instid0(SALU_CYCLE_1)
	s_xor_b32 s2, exec_lo, s3
; %bb.339:
	v_cmp_ne_u32_e32 vcc_lo, 0, v129
	v_cndmask_b32_e32 v129, 17, v129, vcc_lo
; %bb.340:
	s_and_not1_saveexec_b32 s3, s2
	s_cbranch_execz .LBB56_346
; %bb.341:
	v_cmp_gt_f64_e32 vcc_lo, 0, v[116:117]
	v_cmp_gt_f64_e64 s2, 0, v[118:119]
	v_xor_b32_e32 v40, 0x80000000, v117
	v_xor_b32_e32 v42, 0x80000000, v119
	s_delay_alu instid0(VALU_DEP_2) | instskip(NEXT) | instid1(VALU_DEP_2)
	v_cndmask_b32_e32 v41, v117, v40, vcc_lo
	v_cndmask_b32_e64 v43, v119, v42, s2
	v_cndmask_b32_e32 v40, v116, v116, vcc_lo
	v_cndmask_b32_e64 v42, v118, v118, s2
	s_mov_b32 s2, exec_lo
	s_delay_alu instid0(VALU_DEP_1)
	v_cmpx_ngt_f64_e32 v[40:41], v[42:43]
	s_xor_b32 s2, exec_lo, s2
	s_cbranch_execz .LBB56_343
; %bb.342:
	v_div_scale_f64 v[40:41], null, v[118:119], v[118:119], v[116:117]
	v_div_scale_f64 v[46:47], vcc_lo, v[116:117], v[118:119], v[116:117]
	s_delay_alu instid0(VALU_DEP_2) | instskip(SKIP_2) | instid1(VALU_DEP_1)
	v_rcp_f64_e32 v[42:43], v[40:41]
	s_waitcnt_depctr 0xfff
	v_fma_f64 v[44:45], -v[40:41], v[42:43], 1.0
	v_fma_f64 v[42:43], v[42:43], v[44:45], v[42:43]
	s_delay_alu instid0(VALU_DEP_1) | instskip(NEXT) | instid1(VALU_DEP_1)
	v_fma_f64 v[44:45], -v[40:41], v[42:43], 1.0
	v_fma_f64 v[42:43], v[42:43], v[44:45], v[42:43]
	s_delay_alu instid0(VALU_DEP_1) | instskip(NEXT) | instid1(VALU_DEP_1)
	v_mul_f64 v[44:45], v[46:47], v[42:43]
	v_fma_f64 v[40:41], -v[40:41], v[44:45], v[46:47]
	s_delay_alu instid0(VALU_DEP_1) | instskip(NEXT) | instid1(VALU_DEP_1)
	v_div_fmas_f64 v[40:41], v[40:41], v[42:43], v[44:45]
	v_div_fixup_f64 v[40:41], v[40:41], v[118:119], v[116:117]
	s_delay_alu instid0(VALU_DEP_1) | instskip(NEXT) | instid1(VALU_DEP_1)
	v_fma_f64 v[42:43], v[116:117], v[40:41], v[118:119]
	v_div_scale_f64 v[44:45], null, v[42:43], v[42:43], 1.0
	s_delay_alu instid0(VALU_DEP_1) | instskip(SKIP_2) | instid1(VALU_DEP_1)
	v_rcp_f64_e32 v[46:47], v[44:45]
	s_waitcnt_depctr 0xfff
	v_fma_f64 v[112:113], -v[44:45], v[46:47], 1.0
	v_fma_f64 v[46:47], v[46:47], v[112:113], v[46:47]
	s_delay_alu instid0(VALU_DEP_1) | instskip(NEXT) | instid1(VALU_DEP_1)
	v_fma_f64 v[112:113], -v[44:45], v[46:47], 1.0
	v_fma_f64 v[46:47], v[46:47], v[112:113], v[46:47]
	v_div_scale_f64 v[112:113], vcc_lo, 1.0, v[42:43], 1.0
	s_delay_alu instid0(VALU_DEP_1) | instskip(NEXT) | instid1(VALU_DEP_1)
	v_mul_f64 v[114:115], v[112:113], v[46:47]
	v_fma_f64 v[44:45], -v[44:45], v[114:115], v[112:113]
	s_delay_alu instid0(VALU_DEP_1) | instskip(NEXT) | instid1(VALU_DEP_1)
	v_div_fmas_f64 v[44:45], v[44:45], v[46:47], v[114:115]
	v_div_fixup_f64 v[118:119], v[44:45], v[42:43], 1.0
	s_delay_alu instid0(VALU_DEP_1)
	v_mul_f64 v[116:117], v[40:41], v[118:119]
	v_xor_b32_e32 v119, 0x80000000, v119
.LBB56_343:
	s_and_not1_saveexec_b32 s2, s2
	s_cbranch_execz .LBB56_345
; %bb.344:
	s_delay_alu instid0(VALU_DEP_1) | instskip(SKIP_1) | instid1(VALU_DEP_2)
	v_div_scale_f64 v[40:41], null, v[116:117], v[116:117], v[118:119]
	v_div_scale_f64 v[46:47], vcc_lo, v[118:119], v[116:117], v[118:119]
	v_rcp_f64_e32 v[42:43], v[40:41]
	s_waitcnt_depctr 0xfff
	v_fma_f64 v[44:45], -v[40:41], v[42:43], 1.0
	s_delay_alu instid0(VALU_DEP_1) | instskip(NEXT) | instid1(VALU_DEP_1)
	v_fma_f64 v[42:43], v[42:43], v[44:45], v[42:43]
	v_fma_f64 v[44:45], -v[40:41], v[42:43], 1.0
	s_delay_alu instid0(VALU_DEP_1) | instskip(NEXT) | instid1(VALU_DEP_1)
	v_fma_f64 v[42:43], v[42:43], v[44:45], v[42:43]
	v_mul_f64 v[44:45], v[46:47], v[42:43]
	s_delay_alu instid0(VALU_DEP_1) | instskip(NEXT) | instid1(VALU_DEP_1)
	v_fma_f64 v[40:41], -v[40:41], v[44:45], v[46:47]
	v_div_fmas_f64 v[40:41], v[40:41], v[42:43], v[44:45]
	s_delay_alu instid0(VALU_DEP_1) | instskip(NEXT) | instid1(VALU_DEP_1)
	v_div_fixup_f64 v[40:41], v[40:41], v[116:117], v[118:119]
	v_fma_f64 v[42:43], v[118:119], v[40:41], v[116:117]
	s_delay_alu instid0(VALU_DEP_1) | instskip(NEXT) | instid1(VALU_DEP_1)
	v_div_scale_f64 v[44:45], null, v[42:43], v[42:43], 1.0
	v_rcp_f64_e32 v[46:47], v[44:45]
	s_waitcnt_depctr 0xfff
	v_fma_f64 v[112:113], -v[44:45], v[46:47], 1.0
	s_delay_alu instid0(VALU_DEP_1) | instskip(NEXT) | instid1(VALU_DEP_1)
	v_fma_f64 v[46:47], v[46:47], v[112:113], v[46:47]
	v_fma_f64 v[112:113], -v[44:45], v[46:47], 1.0
	s_delay_alu instid0(VALU_DEP_1) | instskip(SKIP_1) | instid1(VALU_DEP_1)
	v_fma_f64 v[46:47], v[46:47], v[112:113], v[46:47]
	v_div_scale_f64 v[112:113], vcc_lo, 1.0, v[42:43], 1.0
	v_mul_f64 v[114:115], v[112:113], v[46:47]
	s_delay_alu instid0(VALU_DEP_1) | instskip(NEXT) | instid1(VALU_DEP_1)
	v_fma_f64 v[44:45], -v[44:45], v[114:115], v[112:113]
	v_div_fmas_f64 v[44:45], v[44:45], v[46:47], v[114:115]
	s_delay_alu instid0(VALU_DEP_1) | instskip(NEXT) | instid1(VALU_DEP_1)
	v_div_fixup_f64 v[116:117], v[44:45], v[42:43], 1.0
	v_mul_f64 v[118:119], v[40:41], -v[116:117]
.LBB56_345:
	s_or_b32 exec_lo, exec_lo, s2
.LBB56_346:
	s_delay_alu instid0(SALU_CYCLE_1) | instskip(NEXT) | instid1(SALU_CYCLE_1)
	s_or_b32 exec_lo, exec_lo, s3
	s_mov_b32 s2, exec_lo
	v_cmpx_ne_u32_e64 v134, v124
	s_xor_b32 s2, exec_lo, s2
	s_cbranch_execz .LBB56_352
; %bb.347:
	s_mov_b32 s3, exec_lo
	v_cmpx_eq_u32_e32 16, v134
	s_cbranch_execz .LBB56_351
; %bb.348:
	v_cmp_ne_u32_e32 vcc_lo, 16, v124
	s_xor_b32 s6, s4, -1
	s_delay_alu instid0(SALU_CYCLE_1) | instskip(NEXT) | instid1(SALU_CYCLE_1)
	s_and_b32 s7, s6, vcc_lo
	s_and_saveexec_b32 s6, s7
	s_cbranch_execz .LBB56_350
; %bb.349:
	v_ashrrev_i32_e32 v125, 31, v124
	s_delay_alu instid0(VALU_DEP_1) | instskip(NEXT) | instid1(VALU_DEP_1)
	v_lshlrev_b64 v[40:41], 2, v[124:125]
	v_add_co_u32 v40, vcc_lo, v102, v40
	s_delay_alu instid0(VALU_DEP_2)
	v_add_co_ci_u32_e32 v41, vcc_lo, v103, v41, vcc_lo
	s_clause 0x1
	flat_load_b32 v42, v[40:41]
	flat_load_b32 v43, v[102:103] offset:64
	s_waitcnt vmcnt(1) lgkmcnt(1)
	flat_store_b32 v[102:103], v42 offset:64
	s_waitcnt vmcnt(0) lgkmcnt(1)
	flat_store_b32 v[40:41], v43
.LBB56_350:
	s_or_b32 exec_lo, exec_lo, s6
	v_mov_b32_e32 v134, v124
	v_mov_b32_e32 v255, v124
.LBB56_351:
	s_or_b32 exec_lo, exec_lo, s3
.LBB56_352:
	s_and_not1_saveexec_b32 s2, s2
	s_cbranch_execz .LBB56_354
; %bb.353:
	v_mov_b32_e32 v134, 16
	ds_store_2addr_b64 v132, v[52:53], v[54:55] offset0:34 offset1:35
	ds_store_2addr_b64 v132, v[48:49], v[50:51] offset0:36 offset1:37
	ds_store_2addr_b64 v132, v[36:37], v[38:39] offset0:38 offset1:39
	ds_store_2addr_b64 v132, v[32:33], v[34:35] offset0:40 offset1:41
	ds_store_2addr_b64 v132, v[28:29], v[30:31] offset0:42 offset1:43
	ds_store_2addr_b64 v132, v[24:25], v[26:27] offset0:44 offset1:45
	ds_store_2addr_b64 v132, v[20:21], v[22:23] offset0:46 offset1:47
	ds_store_2addr_b64 v132, v[16:17], v[18:19] offset0:48 offset1:49
	ds_store_2addr_b64 v132, v[12:13], v[14:15] offset0:50 offset1:51
	ds_store_2addr_b64 v132, v[8:9], v[10:11] offset0:52 offset1:53
	ds_store_2addr_b64 v132, v[4:5], v[6:7] offset0:54 offset1:55
	ds_store_2addr_b64 v132, v[0:1], v[2:3] offset0:56 offset1:57
.LBB56_354:
	s_or_b32 exec_lo, exec_lo, s2
	s_delay_alu instid0(SALU_CYCLE_1)
	s_mov_b32 s2, exec_lo
	s_waitcnt lgkmcnt(0)
	s_waitcnt_vscnt null, 0x0
	s_barrier
	buffer_gl0_inv
	v_cmpx_lt_i32_e32 16, v134
	s_cbranch_execz .LBB56_356
; %bb.355:
	v_mul_f64 v[40:41], v[116:117], v[229:230]
	v_mul_f64 v[42:43], v[118:119], v[229:230]
	ds_load_2addr_b64 v[124:127], v132 offset0:34 offset1:35
	ds_load_2addr_b64 v[135:138], v132 offset0:36 offset1:37
	;; [unrolled: 1-line block ×12, first 2 shown]
	v_fma_f64 v[40:41], v[118:119], v[227:228], v[40:41]
	v_fma_f64 v[227:228], v[116:117], v[227:228], -v[42:43]
	s_waitcnt lgkmcnt(11)
	s_delay_alu instid0(VALU_DEP_2)
	v_mul_f64 v[42:43], v[126:127], v[40:41]
	v_mul_f64 v[44:45], v[124:125], v[40:41]
	s_waitcnt lgkmcnt(10)
	v_mul_f64 v[46:47], v[137:138], v[40:41]
	v_mul_f64 v[58:59], v[135:136], v[40:41]
	s_waitcnt lgkmcnt(9)
	;; [unrolled: 3-line block ×11, first 2 shown]
	v_mul_f64 v[203:204], v[177:178], v[40:41]
	v_mul_f64 v[205:206], v[175:176], v[40:41]
	v_dual_mov_b32 v230, v41 :: v_dual_mov_b32 v229, v40
	v_fma_f64 v[42:43], v[124:125], v[227:228], -v[42:43]
	v_fma_f64 v[44:45], v[126:127], v[227:228], v[44:45]
	v_fma_f64 v[46:47], v[135:136], v[227:228], -v[46:47]
	v_fma_f64 v[58:59], v[137:138], v[227:228], v[58:59]
	;; [unrolled: 2-line block ×12, first 2 shown]
	v_add_f64 v[52:53], v[52:53], -v[42:43]
	v_add_f64 v[54:55], v[54:55], -v[44:45]
	;; [unrolled: 1-line block ×24, first 2 shown]
.LBB56_356:
	s_or_b32 exec_lo, exec_lo, s2
	v_lshl_add_u32 v40, v134, 4, v132
	s_barrier
	buffer_gl0_inv
	v_mov_b32_e32 v124, 17
	ds_store_2addr_b64 v40, v[52:53], v[54:55] offset1:1
	s_waitcnt lgkmcnt(0)
	s_barrier
	buffer_gl0_inv
	ds_load_2addr_b64 v[116:119], v132 offset0:34 offset1:35
	s_cmp_lt_i32 s5, 19
	s_cbranch_scc1 .LBB56_359
; %bb.357:
	v_add3_u32 v125, v130, 0, 0x120
	v_mov_b32_e32 v124, 17
	s_mov_b32 s6, 18
	s_set_inst_prefetch_distance 0x1
	.p2align	6
.LBB56_358:                             ; =>This Inner Loop Header: Depth=1
	ds_load_2addr_b64 v[135:138], v125 offset1:1
	s_waitcnt lgkmcnt(1)
	v_cmp_gt_f64_e32 vcc_lo, 0, v[116:117]
	v_xor_b32_e32 v40, 0x80000000, v117
	v_cmp_gt_f64_e64 s2, 0, v[118:119]
	v_xor_b32_e32 v42, 0x80000000, v119
	v_add_nc_u32_e32 v125, 16, v125
	s_waitcnt lgkmcnt(0)
	v_cmp_gt_f64_e64 s3, 0, v[135:136]
	v_mov_b32_e32 v44, v135
	v_mov_b32_e32 v46, v137
	v_cndmask_b32_e32 v41, v117, v40, vcc_lo
	v_xor_b32_e32 v40, 0x80000000, v136
	v_cndmask_b32_e64 v43, v119, v42, s2
	v_xor_b32_e32 v42, 0x80000000, v138
	s_delay_alu instid0(VALU_DEP_3) | instskip(SKIP_2) | instid1(VALU_DEP_2)
	v_cndmask_b32_e64 v45, v136, v40, s3
	v_cmp_gt_f64_e64 s3, 0, v[137:138]
	v_cndmask_b32_e32 v40, v116, v116, vcc_lo
	v_cndmask_b32_e64 v47, v138, v42, s3
	v_cndmask_b32_e64 v42, v118, v118, s2
	s_delay_alu instid0(VALU_DEP_2) | instskip(NEXT) | instid1(VALU_DEP_2)
	v_add_f64 v[44:45], v[44:45], v[46:47]
	v_add_f64 v[40:41], v[40:41], v[42:43]
	s_delay_alu instid0(VALU_DEP_1) | instskip(SKIP_4) | instid1(SALU_CYCLE_1)
	v_cmp_lt_f64_e32 vcc_lo, v[40:41], v[44:45]
	v_dual_cndmask_b32 v117, v117, v136 :: v_dual_cndmask_b32 v116, v116, v135
	v_dual_cndmask_b32 v119, v119, v138 :: v_dual_cndmask_b32 v118, v118, v137
	v_cndmask_b32_e64 v124, v124, s6, vcc_lo
	s_add_i32 s6, s6, 1
	s_cmp_lg_u32 s5, s6
	s_cbranch_scc1 .LBB56_358
.LBB56_359:
	s_set_inst_prefetch_distance 0x2
	s_waitcnt lgkmcnt(0)
	v_cmp_eq_f64_e32 vcc_lo, 0, v[116:117]
	v_cmp_eq_f64_e64 s2, 0, v[118:119]
	s_delay_alu instid0(VALU_DEP_1) | instskip(NEXT) | instid1(SALU_CYCLE_1)
	s_and_b32 s2, vcc_lo, s2
	s_and_saveexec_b32 s3, s2
	s_delay_alu instid0(SALU_CYCLE_1)
	s_xor_b32 s2, exec_lo, s3
; %bb.360:
	v_cmp_ne_u32_e32 vcc_lo, 0, v129
	v_cndmask_b32_e32 v129, 18, v129, vcc_lo
; %bb.361:
	s_and_not1_saveexec_b32 s3, s2
	s_cbranch_execz .LBB56_367
; %bb.362:
	v_cmp_gt_f64_e32 vcc_lo, 0, v[116:117]
	v_cmp_gt_f64_e64 s2, 0, v[118:119]
	v_xor_b32_e32 v40, 0x80000000, v117
	v_xor_b32_e32 v42, 0x80000000, v119
	s_delay_alu instid0(VALU_DEP_2) | instskip(NEXT) | instid1(VALU_DEP_2)
	v_cndmask_b32_e32 v41, v117, v40, vcc_lo
	v_cndmask_b32_e64 v43, v119, v42, s2
	v_cndmask_b32_e32 v40, v116, v116, vcc_lo
	v_cndmask_b32_e64 v42, v118, v118, s2
	s_mov_b32 s2, exec_lo
	s_delay_alu instid0(VALU_DEP_1)
	v_cmpx_ngt_f64_e32 v[40:41], v[42:43]
	s_xor_b32 s2, exec_lo, s2
	s_cbranch_execz .LBB56_364
; %bb.363:
	v_div_scale_f64 v[40:41], null, v[118:119], v[118:119], v[116:117]
	v_div_scale_f64 v[46:47], vcc_lo, v[116:117], v[118:119], v[116:117]
	s_delay_alu instid0(VALU_DEP_2) | instskip(SKIP_2) | instid1(VALU_DEP_1)
	v_rcp_f64_e32 v[42:43], v[40:41]
	s_waitcnt_depctr 0xfff
	v_fma_f64 v[44:45], -v[40:41], v[42:43], 1.0
	v_fma_f64 v[42:43], v[42:43], v[44:45], v[42:43]
	s_delay_alu instid0(VALU_DEP_1) | instskip(NEXT) | instid1(VALU_DEP_1)
	v_fma_f64 v[44:45], -v[40:41], v[42:43], 1.0
	v_fma_f64 v[42:43], v[42:43], v[44:45], v[42:43]
	s_delay_alu instid0(VALU_DEP_1) | instskip(NEXT) | instid1(VALU_DEP_1)
	v_mul_f64 v[44:45], v[46:47], v[42:43]
	v_fma_f64 v[40:41], -v[40:41], v[44:45], v[46:47]
	s_delay_alu instid0(VALU_DEP_1) | instskip(NEXT) | instid1(VALU_DEP_1)
	v_div_fmas_f64 v[40:41], v[40:41], v[42:43], v[44:45]
	v_div_fixup_f64 v[40:41], v[40:41], v[118:119], v[116:117]
	s_delay_alu instid0(VALU_DEP_1) | instskip(NEXT) | instid1(VALU_DEP_1)
	v_fma_f64 v[42:43], v[116:117], v[40:41], v[118:119]
	v_div_scale_f64 v[44:45], null, v[42:43], v[42:43], 1.0
	s_delay_alu instid0(VALU_DEP_1) | instskip(SKIP_2) | instid1(VALU_DEP_1)
	v_rcp_f64_e32 v[46:47], v[44:45]
	s_waitcnt_depctr 0xfff
	v_fma_f64 v[112:113], -v[44:45], v[46:47], 1.0
	v_fma_f64 v[46:47], v[46:47], v[112:113], v[46:47]
	s_delay_alu instid0(VALU_DEP_1) | instskip(NEXT) | instid1(VALU_DEP_1)
	v_fma_f64 v[112:113], -v[44:45], v[46:47], 1.0
	v_fma_f64 v[46:47], v[46:47], v[112:113], v[46:47]
	v_div_scale_f64 v[112:113], vcc_lo, 1.0, v[42:43], 1.0
	s_delay_alu instid0(VALU_DEP_1) | instskip(NEXT) | instid1(VALU_DEP_1)
	v_mul_f64 v[114:115], v[112:113], v[46:47]
	v_fma_f64 v[44:45], -v[44:45], v[114:115], v[112:113]
	s_delay_alu instid0(VALU_DEP_1) | instskip(NEXT) | instid1(VALU_DEP_1)
	v_div_fmas_f64 v[44:45], v[44:45], v[46:47], v[114:115]
	v_div_fixup_f64 v[118:119], v[44:45], v[42:43], 1.0
	s_delay_alu instid0(VALU_DEP_1)
	v_mul_f64 v[116:117], v[40:41], v[118:119]
	v_xor_b32_e32 v119, 0x80000000, v119
.LBB56_364:
	s_and_not1_saveexec_b32 s2, s2
	s_cbranch_execz .LBB56_366
; %bb.365:
	s_delay_alu instid0(VALU_DEP_1) | instskip(SKIP_1) | instid1(VALU_DEP_2)
	v_div_scale_f64 v[40:41], null, v[116:117], v[116:117], v[118:119]
	v_div_scale_f64 v[46:47], vcc_lo, v[118:119], v[116:117], v[118:119]
	v_rcp_f64_e32 v[42:43], v[40:41]
	s_waitcnt_depctr 0xfff
	v_fma_f64 v[44:45], -v[40:41], v[42:43], 1.0
	s_delay_alu instid0(VALU_DEP_1) | instskip(NEXT) | instid1(VALU_DEP_1)
	v_fma_f64 v[42:43], v[42:43], v[44:45], v[42:43]
	v_fma_f64 v[44:45], -v[40:41], v[42:43], 1.0
	s_delay_alu instid0(VALU_DEP_1) | instskip(NEXT) | instid1(VALU_DEP_1)
	v_fma_f64 v[42:43], v[42:43], v[44:45], v[42:43]
	v_mul_f64 v[44:45], v[46:47], v[42:43]
	s_delay_alu instid0(VALU_DEP_1) | instskip(NEXT) | instid1(VALU_DEP_1)
	v_fma_f64 v[40:41], -v[40:41], v[44:45], v[46:47]
	v_div_fmas_f64 v[40:41], v[40:41], v[42:43], v[44:45]
	s_delay_alu instid0(VALU_DEP_1) | instskip(NEXT) | instid1(VALU_DEP_1)
	v_div_fixup_f64 v[40:41], v[40:41], v[116:117], v[118:119]
	v_fma_f64 v[42:43], v[118:119], v[40:41], v[116:117]
	s_delay_alu instid0(VALU_DEP_1) | instskip(NEXT) | instid1(VALU_DEP_1)
	v_div_scale_f64 v[44:45], null, v[42:43], v[42:43], 1.0
	v_rcp_f64_e32 v[46:47], v[44:45]
	s_waitcnt_depctr 0xfff
	v_fma_f64 v[112:113], -v[44:45], v[46:47], 1.0
	s_delay_alu instid0(VALU_DEP_1) | instskip(NEXT) | instid1(VALU_DEP_1)
	v_fma_f64 v[46:47], v[46:47], v[112:113], v[46:47]
	v_fma_f64 v[112:113], -v[44:45], v[46:47], 1.0
	s_delay_alu instid0(VALU_DEP_1) | instskip(SKIP_1) | instid1(VALU_DEP_1)
	v_fma_f64 v[46:47], v[46:47], v[112:113], v[46:47]
	v_div_scale_f64 v[112:113], vcc_lo, 1.0, v[42:43], 1.0
	v_mul_f64 v[114:115], v[112:113], v[46:47]
	s_delay_alu instid0(VALU_DEP_1) | instskip(NEXT) | instid1(VALU_DEP_1)
	v_fma_f64 v[44:45], -v[44:45], v[114:115], v[112:113]
	v_div_fmas_f64 v[44:45], v[44:45], v[46:47], v[114:115]
	s_delay_alu instid0(VALU_DEP_1) | instskip(NEXT) | instid1(VALU_DEP_1)
	v_div_fixup_f64 v[116:117], v[44:45], v[42:43], 1.0
	v_mul_f64 v[118:119], v[40:41], -v[116:117]
.LBB56_366:
	s_or_b32 exec_lo, exec_lo, s2
.LBB56_367:
	s_delay_alu instid0(SALU_CYCLE_1) | instskip(NEXT) | instid1(SALU_CYCLE_1)
	s_or_b32 exec_lo, exec_lo, s3
	s_mov_b32 s2, exec_lo
	v_cmpx_ne_u32_e64 v134, v124
	s_xor_b32 s2, exec_lo, s2
	s_cbranch_execz .LBB56_373
; %bb.368:
	s_mov_b32 s3, exec_lo
	v_cmpx_eq_u32_e32 17, v134
	s_cbranch_execz .LBB56_372
; %bb.369:
	v_cmp_ne_u32_e32 vcc_lo, 17, v124
	s_xor_b32 s6, s4, -1
	s_delay_alu instid0(SALU_CYCLE_1) | instskip(NEXT) | instid1(SALU_CYCLE_1)
	s_and_b32 s7, s6, vcc_lo
	s_and_saveexec_b32 s6, s7
	s_cbranch_execz .LBB56_371
; %bb.370:
	v_ashrrev_i32_e32 v125, 31, v124
	s_delay_alu instid0(VALU_DEP_1) | instskip(NEXT) | instid1(VALU_DEP_1)
	v_lshlrev_b64 v[40:41], 2, v[124:125]
	v_add_co_u32 v40, vcc_lo, v102, v40
	s_delay_alu instid0(VALU_DEP_2)
	v_add_co_ci_u32_e32 v41, vcc_lo, v103, v41, vcc_lo
	s_clause 0x1
	flat_load_b32 v42, v[40:41]
	flat_load_b32 v43, v[102:103] offset:68
	s_waitcnt vmcnt(1) lgkmcnt(1)
	flat_store_b32 v[102:103], v42 offset:68
	s_waitcnt vmcnt(0) lgkmcnt(1)
	flat_store_b32 v[40:41], v43
.LBB56_371:
	s_or_b32 exec_lo, exec_lo, s6
	v_mov_b32_e32 v134, v124
	v_mov_b32_e32 v255, v124
.LBB56_372:
	s_or_b32 exec_lo, exec_lo, s3
.LBB56_373:
	s_and_not1_saveexec_b32 s2, s2
	s_cbranch_execz .LBB56_375
; %bb.374:
	v_mov_b32_e32 v134, 17
	ds_store_2addr_b64 v132, v[48:49], v[50:51] offset0:36 offset1:37
	ds_store_2addr_b64 v132, v[36:37], v[38:39] offset0:38 offset1:39
	ds_store_2addr_b64 v132, v[32:33], v[34:35] offset0:40 offset1:41
	ds_store_2addr_b64 v132, v[28:29], v[30:31] offset0:42 offset1:43
	ds_store_2addr_b64 v132, v[24:25], v[26:27] offset0:44 offset1:45
	ds_store_2addr_b64 v132, v[20:21], v[22:23] offset0:46 offset1:47
	ds_store_2addr_b64 v132, v[16:17], v[18:19] offset0:48 offset1:49
	ds_store_2addr_b64 v132, v[12:13], v[14:15] offset0:50 offset1:51
	ds_store_2addr_b64 v132, v[8:9], v[10:11] offset0:52 offset1:53
	ds_store_2addr_b64 v132, v[4:5], v[6:7] offset0:54 offset1:55
	ds_store_2addr_b64 v132, v[0:1], v[2:3] offset0:56 offset1:57
.LBB56_375:
	s_or_b32 exec_lo, exec_lo, s2
	s_delay_alu instid0(SALU_CYCLE_1)
	s_mov_b32 s2, exec_lo
	s_waitcnt lgkmcnt(0)
	s_waitcnt_vscnt null, 0x0
	s_barrier
	buffer_gl0_inv
	v_cmpx_lt_i32_e32 17, v134
	s_cbranch_execz .LBB56_377
; %bb.376:
	v_mul_f64 v[40:41], v[116:117], v[54:55]
	v_mul_f64 v[42:43], v[118:119], v[54:55]
	ds_load_2addr_b64 v[124:127], v132 offset0:36 offset1:37
	ds_load_2addr_b64 v[135:138], v132 offset0:38 offset1:39
	;; [unrolled: 1-line block ×11, first 2 shown]
	v_fma_f64 v[40:41], v[118:119], v[52:53], v[40:41]
	v_fma_f64 v[52:53], v[116:117], v[52:53], -v[42:43]
	s_waitcnt lgkmcnt(10)
	s_delay_alu instid0(VALU_DEP_2)
	v_mul_f64 v[42:43], v[126:127], v[40:41]
	v_mul_f64 v[44:45], v[124:125], v[40:41]
	s_waitcnt lgkmcnt(9)
	v_mul_f64 v[46:47], v[137:138], v[40:41]
	v_mul_f64 v[54:55], v[135:136], v[40:41]
	s_waitcnt lgkmcnt(8)
	;; [unrolled: 3-line block ×10, first 2 shown]
	v_mul_f64 v[195:196], v[173:174], v[40:41]
	v_mul_f64 v[197:198], v[171:172], v[40:41]
	v_fma_f64 v[42:43], v[124:125], v[52:53], -v[42:43]
	v_fma_f64 v[44:45], v[126:127], v[52:53], v[44:45]
	v_fma_f64 v[46:47], v[135:136], v[52:53], -v[46:47]
	v_fma_f64 v[54:55], v[137:138], v[52:53], v[54:55]
	;; [unrolled: 2-line block ×11, first 2 shown]
	v_add_f64 v[48:49], v[48:49], -v[42:43]
	v_add_f64 v[50:51], v[50:51], -v[44:45]
	;; [unrolled: 1-line block ×22, first 2 shown]
	v_dual_mov_b32 v55, v41 :: v_dual_mov_b32 v54, v40
.LBB56_377:
	s_or_b32 exec_lo, exec_lo, s2
	v_lshl_add_u32 v40, v134, 4, v132
	s_barrier
	buffer_gl0_inv
	v_mov_b32_e32 v124, 18
	ds_store_2addr_b64 v40, v[48:49], v[50:51] offset1:1
	s_waitcnt lgkmcnt(0)
	s_barrier
	buffer_gl0_inv
	ds_load_2addr_b64 v[116:119], v132 offset0:36 offset1:37
	s_cmp_lt_i32 s5, 20
	s_cbranch_scc1 .LBB56_380
; %bb.378:
	v_add3_u32 v125, v130, 0, 0x130
	v_mov_b32_e32 v124, 18
	s_mov_b32 s6, 19
	s_set_inst_prefetch_distance 0x1
	.p2align	6
.LBB56_379:                             ; =>This Inner Loop Header: Depth=1
	ds_load_2addr_b64 v[135:138], v125 offset1:1
	s_waitcnt lgkmcnt(1)
	v_cmp_gt_f64_e32 vcc_lo, 0, v[116:117]
	v_xor_b32_e32 v40, 0x80000000, v117
	v_cmp_gt_f64_e64 s2, 0, v[118:119]
	v_xor_b32_e32 v42, 0x80000000, v119
	v_add_nc_u32_e32 v125, 16, v125
	s_waitcnt lgkmcnt(0)
	v_cmp_gt_f64_e64 s3, 0, v[135:136]
	v_mov_b32_e32 v44, v135
	v_mov_b32_e32 v46, v137
	v_cndmask_b32_e32 v41, v117, v40, vcc_lo
	v_xor_b32_e32 v40, 0x80000000, v136
	v_cndmask_b32_e64 v43, v119, v42, s2
	v_xor_b32_e32 v42, 0x80000000, v138
	s_delay_alu instid0(VALU_DEP_3) | instskip(SKIP_2) | instid1(VALU_DEP_2)
	v_cndmask_b32_e64 v45, v136, v40, s3
	v_cmp_gt_f64_e64 s3, 0, v[137:138]
	v_cndmask_b32_e32 v40, v116, v116, vcc_lo
	v_cndmask_b32_e64 v47, v138, v42, s3
	v_cndmask_b32_e64 v42, v118, v118, s2
	s_delay_alu instid0(VALU_DEP_2) | instskip(NEXT) | instid1(VALU_DEP_2)
	v_add_f64 v[44:45], v[44:45], v[46:47]
	v_add_f64 v[40:41], v[40:41], v[42:43]
	s_delay_alu instid0(VALU_DEP_1) | instskip(SKIP_4) | instid1(SALU_CYCLE_1)
	v_cmp_lt_f64_e32 vcc_lo, v[40:41], v[44:45]
	v_dual_cndmask_b32 v117, v117, v136 :: v_dual_cndmask_b32 v116, v116, v135
	v_dual_cndmask_b32 v119, v119, v138 :: v_dual_cndmask_b32 v118, v118, v137
	v_cndmask_b32_e64 v124, v124, s6, vcc_lo
	s_add_i32 s6, s6, 1
	s_cmp_lg_u32 s5, s6
	s_cbranch_scc1 .LBB56_379
.LBB56_380:
	s_set_inst_prefetch_distance 0x2
	s_waitcnt lgkmcnt(0)
	v_cmp_eq_f64_e32 vcc_lo, 0, v[116:117]
	v_cmp_eq_f64_e64 s2, 0, v[118:119]
	s_delay_alu instid0(VALU_DEP_1) | instskip(NEXT) | instid1(SALU_CYCLE_1)
	s_and_b32 s2, vcc_lo, s2
	s_and_saveexec_b32 s3, s2
	s_delay_alu instid0(SALU_CYCLE_1)
	s_xor_b32 s2, exec_lo, s3
; %bb.381:
	v_cmp_ne_u32_e32 vcc_lo, 0, v129
	v_cndmask_b32_e32 v129, 19, v129, vcc_lo
; %bb.382:
	s_and_not1_saveexec_b32 s3, s2
	s_cbranch_execz .LBB56_388
; %bb.383:
	v_cmp_gt_f64_e32 vcc_lo, 0, v[116:117]
	v_cmp_gt_f64_e64 s2, 0, v[118:119]
	v_xor_b32_e32 v40, 0x80000000, v117
	v_xor_b32_e32 v42, 0x80000000, v119
	s_delay_alu instid0(VALU_DEP_2) | instskip(NEXT) | instid1(VALU_DEP_2)
	v_cndmask_b32_e32 v41, v117, v40, vcc_lo
	v_cndmask_b32_e64 v43, v119, v42, s2
	v_cndmask_b32_e32 v40, v116, v116, vcc_lo
	v_cndmask_b32_e64 v42, v118, v118, s2
	s_mov_b32 s2, exec_lo
	s_delay_alu instid0(VALU_DEP_1)
	v_cmpx_ngt_f64_e32 v[40:41], v[42:43]
	s_xor_b32 s2, exec_lo, s2
	s_cbranch_execz .LBB56_385
; %bb.384:
	v_div_scale_f64 v[40:41], null, v[118:119], v[118:119], v[116:117]
	v_div_scale_f64 v[46:47], vcc_lo, v[116:117], v[118:119], v[116:117]
	s_delay_alu instid0(VALU_DEP_2) | instskip(SKIP_2) | instid1(VALU_DEP_1)
	v_rcp_f64_e32 v[42:43], v[40:41]
	s_waitcnt_depctr 0xfff
	v_fma_f64 v[44:45], -v[40:41], v[42:43], 1.0
	v_fma_f64 v[42:43], v[42:43], v[44:45], v[42:43]
	s_delay_alu instid0(VALU_DEP_1) | instskip(NEXT) | instid1(VALU_DEP_1)
	v_fma_f64 v[44:45], -v[40:41], v[42:43], 1.0
	v_fma_f64 v[42:43], v[42:43], v[44:45], v[42:43]
	s_delay_alu instid0(VALU_DEP_1) | instskip(NEXT) | instid1(VALU_DEP_1)
	v_mul_f64 v[44:45], v[46:47], v[42:43]
	v_fma_f64 v[40:41], -v[40:41], v[44:45], v[46:47]
	s_delay_alu instid0(VALU_DEP_1) | instskip(NEXT) | instid1(VALU_DEP_1)
	v_div_fmas_f64 v[40:41], v[40:41], v[42:43], v[44:45]
	v_div_fixup_f64 v[40:41], v[40:41], v[118:119], v[116:117]
	s_delay_alu instid0(VALU_DEP_1) | instskip(NEXT) | instid1(VALU_DEP_1)
	v_fma_f64 v[42:43], v[116:117], v[40:41], v[118:119]
	v_div_scale_f64 v[44:45], null, v[42:43], v[42:43], 1.0
	s_delay_alu instid0(VALU_DEP_1) | instskip(SKIP_2) | instid1(VALU_DEP_1)
	v_rcp_f64_e32 v[46:47], v[44:45]
	s_waitcnt_depctr 0xfff
	v_fma_f64 v[112:113], -v[44:45], v[46:47], 1.0
	v_fma_f64 v[46:47], v[46:47], v[112:113], v[46:47]
	s_delay_alu instid0(VALU_DEP_1) | instskip(NEXT) | instid1(VALU_DEP_1)
	v_fma_f64 v[112:113], -v[44:45], v[46:47], 1.0
	v_fma_f64 v[46:47], v[46:47], v[112:113], v[46:47]
	v_div_scale_f64 v[112:113], vcc_lo, 1.0, v[42:43], 1.0
	s_delay_alu instid0(VALU_DEP_1) | instskip(NEXT) | instid1(VALU_DEP_1)
	v_mul_f64 v[114:115], v[112:113], v[46:47]
	v_fma_f64 v[44:45], -v[44:45], v[114:115], v[112:113]
	s_delay_alu instid0(VALU_DEP_1) | instskip(NEXT) | instid1(VALU_DEP_1)
	v_div_fmas_f64 v[44:45], v[44:45], v[46:47], v[114:115]
	v_div_fixup_f64 v[118:119], v[44:45], v[42:43], 1.0
	s_delay_alu instid0(VALU_DEP_1)
	v_mul_f64 v[116:117], v[40:41], v[118:119]
	v_xor_b32_e32 v119, 0x80000000, v119
.LBB56_385:
	s_and_not1_saveexec_b32 s2, s2
	s_cbranch_execz .LBB56_387
; %bb.386:
	s_delay_alu instid0(VALU_DEP_1) | instskip(SKIP_1) | instid1(VALU_DEP_2)
	v_div_scale_f64 v[40:41], null, v[116:117], v[116:117], v[118:119]
	v_div_scale_f64 v[46:47], vcc_lo, v[118:119], v[116:117], v[118:119]
	v_rcp_f64_e32 v[42:43], v[40:41]
	s_waitcnt_depctr 0xfff
	v_fma_f64 v[44:45], -v[40:41], v[42:43], 1.0
	s_delay_alu instid0(VALU_DEP_1) | instskip(NEXT) | instid1(VALU_DEP_1)
	v_fma_f64 v[42:43], v[42:43], v[44:45], v[42:43]
	v_fma_f64 v[44:45], -v[40:41], v[42:43], 1.0
	s_delay_alu instid0(VALU_DEP_1) | instskip(NEXT) | instid1(VALU_DEP_1)
	v_fma_f64 v[42:43], v[42:43], v[44:45], v[42:43]
	v_mul_f64 v[44:45], v[46:47], v[42:43]
	s_delay_alu instid0(VALU_DEP_1) | instskip(NEXT) | instid1(VALU_DEP_1)
	v_fma_f64 v[40:41], -v[40:41], v[44:45], v[46:47]
	v_div_fmas_f64 v[40:41], v[40:41], v[42:43], v[44:45]
	s_delay_alu instid0(VALU_DEP_1) | instskip(NEXT) | instid1(VALU_DEP_1)
	v_div_fixup_f64 v[40:41], v[40:41], v[116:117], v[118:119]
	v_fma_f64 v[42:43], v[118:119], v[40:41], v[116:117]
	s_delay_alu instid0(VALU_DEP_1) | instskip(NEXT) | instid1(VALU_DEP_1)
	v_div_scale_f64 v[44:45], null, v[42:43], v[42:43], 1.0
	v_rcp_f64_e32 v[46:47], v[44:45]
	s_waitcnt_depctr 0xfff
	v_fma_f64 v[112:113], -v[44:45], v[46:47], 1.0
	s_delay_alu instid0(VALU_DEP_1) | instskip(NEXT) | instid1(VALU_DEP_1)
	v_fma_f64 v[46:47], v[46:47], v[112:113], v[46:47]
	v_fma_f64 v[112:113], -v[44:45], v[46:47], 1.0
	s_delay_alu instid0(VALU_DEP_1) | instskip(SKIP_1) | instid1(VALU_DEP_1)
	v_fma_f64 v[46:47], v[46:47], v[112:113], v[46:47]
	v_div_scale_f64 v[112:113], vcc_lo, 1.0, v[42:43], 1.0
	v_mul_f64 v[114:115], v[112:113], v[46:47]
	s_delay_alu instid0(VALU_DEP_1) | instskip(NEXT) | instid1(VALU_DEP_1)
	v_fma_f64 v[44:45], -v[44:45], v[114:115], v[112:113]
	v_div_fmas_f64 v[44:45], v[44:45], v[46:47], v[114:115]
	s_delay_alu instid0(VALU_DEP_1) | instskip(NEXT) | instid1(VALU_DEP_1)
	v_div_fixup_f64 v[116:117], v[44:45], v[42:43], 1.0
	v_mul_f64 v[118:119], v[40:41], -v[116:117]
.LBB56_387:
	s_or_b32 exec_lo, exec_lo, s2
.LBB56_388:
	s_delay_alu instid0(SALU_CYCLE_1) | instskip(NEXT) | instid1(SALU_CYCLE_1)
	s_or_b32 exec_lo, exec_lo, s3
	s_mov_b32 s2, exec_lo
	v_cmpx_ne_u32_e64 v134, v124
	s_xor_b32 s2, exec_lo, s2
	s_cbranch_execz .LBB56_394
; %bb.389:
	s_mov_b32 s3, exec_lo
	v_cmpx_eq_u32_e32 18, v134
	s_cbranch_execz .LBB56_393
; %bb.390:
	v_cmp_ne_u32_e32 vcc_lo, 18, v124
	s_xor_b32 s6, s4, -1
	s_delay_alu instid0(SALU_CYCLE_1) | instskip(NEXT) | instid1(SALU_CYCLE_1)
	s_and_b32 s7, s6, vcc_lo
	s_and_saveexec_b32 s6, s7
	s_cbranch_execz .LBB56_392
; %bb.391:
	v_ashrrev_i32_e32 v125, 31, v124
	s_delay_alu instid0(VALU_DEP_1) | instskip(NEXT) | instid1(VALU_DEP_1)
	v_lshlrev_b64 v[40:41], 2, v[124:125]
	v_add_co_u32 v40, vcc_lo, v102, v40
	s_delay_alu instid0(VALU_DEP_2)
	v_add_co_ci_u32_e32 v41, vcc_lo, v103, v41, vcc_lo
	s_clause 0x1
	flat_load_b32 v42, v[40:41]
	flat_load_b32 v43, v[102:103] offset:72
	s_waitcnt vmcnt(1) lgkmcnt(1)
	flat_store_b32 v[102:103], v42 offset:72
	s_waitcnt vmcnt(0) lgkmcnt(1)
	flat_store_b32 v[40:41], v43
.LBB56_392:
	s_or_b32 exec_lo, exec_lo, s6
	v_mov_b32_e32 v134, v124
	v_mov_b32_e32 v255, v124
.LBB56_393:
	s_or_b32 exec_lo, exec_lo, s3
.LBB56_394:
	s_and_not1_saveexec_b32 s2, s2
	s_cbranch_execz .LBB56_396
; %bb.395:
	v_mov_b32_e32 v134, 18
	ds_store_2addr_b64 v132, v[36:37], v[38:39] offset0:38 offset1:39
	ds_store_2addr_b64 v132, v[32:33], v[34:35] offset0:40 offset1:41
	;; [unrolled: 1-line block ×10, first 2 shown]
.LBB56_396:
	s_or_b32 exec_lo, exec_lo, s2
	s_delay_alu instid0(SALU_CYCLE_1)
	s_mov_b32 s2, exec_lo
	s_waitcnt lgkmcnt(0)
	s_waitcnt_vscnt null, 0x0
	s_barrier
	buffer_gl0_inv
	v_cmpx_lt_i32_e32 18, v134
	s_cbranch_execz .LBB56_398
; %bb.397:
	v_mul_f64 v[40:41], v[116:117], v[50:51]
	v_mul_f64 v[42:43], v[118:119], v[50:51]
	ds_load_2addr_b64 v[124:127], v132 offset0:38 offset1:39
	ds_load_2addr_b64 v[135:138], v132 offset0:40 offset1:41
	ds_load_2addr_b64 v[139:142], v132 offset0:42 offset1:43
	ds_load_2addr_b64 v[143:146], v132 offset0:44 offset1:45
	ds_load_2addr_b64 v[147:150], v132 offset0:46 offset1:47
	ds_load_2addr_b64 v[151:154], v132 offset0:48 offset1:49
	ds_load_2addr_b64 v[155:158], v132 offset0:50 offset1:51
	ds_load_2addr_b64 v[159:162], v132 offset0:52 offset1:53
	ds_load_2addr_b64 v[163:166], v132 offset0:54 offset1:55
	ds_load_2addr_b64 v[167:170], v132 offset0:56 offset1:57
	v_fma_f64 v[40:41], v[118:119], v[48:49], v[40:41]
	v_fma_f64 v[48:49], v[116:117], v[48:49], -v[42:43]
	s_waitcnt lgkmcnt(9)
	s_delay_alu instid0(VALU_DEP_2)
	v_mul_f64 v[42:43], v[126:127], v[40:41]
	v_mul_f64 v[44:45], v[124:125], v[40:41]
	s_waitcnt lgkmcnt(8)
	v_mul_f64 v[46:47], v[137:138], v[40:41]
	v_mul_f64 v[50:51], v[135:136], v[40:41]
	s_waitcnt lgkmcnt(7)
	;; [unrolled: 3-line block ×9, first 2 shown]
	v_mul_f64 v[187:188], v[169:170], v[40:41]
	v_mul_f64 v[189:190], v[167:168], v[40:41]
	v_fma_f64 v[42:43], v[124:125], v[48:49], -v[42:43]
	v_fma_f64 v[44:45], v[126:127], v[48:49], v[44:45]
	v_fma_f64 v[46:47], v[135:136], v[48:49], -v[46:47]
	v_fma_f64 v[50:51], v[137:138], v[48:49], v[50:51]
	v_fma_f64 v[112:113], v[139:140], v[48:49], -v[112:113]
	v_fma_f64 v[114:115], v[141:142], v[48:49], v[114:115]
	v_fma_f64 v[116:117], v[143:144], v[48:49], -v[116:117]
	v_fma_f64 v[118:119], v[145:146], v[48:49], v[118:119]
	v_fma_f64 v[120:121], v[147:148], v[48:49], -v[120:121]
	v_fma_f64 v[122:123], v[149:150], v[48:49], v[122:123]
	v_fma_f64 v[124:125], v[151:152], v[48:49], -v[171:172]
	v_fma_f64 v[126:127], v[153:154], v[48:49], v[173:174]
	v_fma_f64 v[135:136], v[155:156], v[48:49], -v[175:176]
	v_fma_f64 v[137:138], v[157:158], v[48:49], v[177:178]
	v_fma_f64 v[139:140], v[159:160], v[48:49], -v[179:180]
	v_fma_f64 v[141:142], v[161:162], v[48:49], v[181:182]
	v_fma_f64 v[143:144], v[163:164], v[48:49], -v[183:184]
	v_fma_f64 v[145:146], v[165:166], v[48:49], v[185:186]
	v_fma_f64 v[147:148], v[167:168], v[48:49], -v[187:188]
	v_fma_f64 v[149:150], v[169:170], v[48:49], v[189:190]
	v_add_f64 v[36:37], v[36:37], -v[42:43]
	v_add_f64 v[38:39], v[38:39], -v[44:45]
	;; [unrolled: 1-line block ×20, first 2 shown]
	v_dual_mov_b32 v51, v41 :: v_dual_mov_b32 v50, v40
.LBB56_398:
	s_or_b32 exec_lo, exec_lo, s2
	v_lshl_add_u32 v40, v134, 4, v132
	s_barrier
	buffer_gl0_inv
	v_mov_b32_e32 v124, 19
	ds_store_2addr_b64 v40, v[36:37], v[38:39] offset1:1
	s_waitcnt lgkmcnt(0)
	s_barrier
	buffer_gl0_inv
	ds_load_2addr_b64 v[116:119], v132 offset0:38 offset1:39
	s_cmp_lt_i32 s5, 21
	s_cbranch_scc1 .LBB56_401
; %bb.399:
	v_add3_u32 v125, v130, 0, 0x140
	v_mov_b32_e32 v124, 19
	s_mov_b32 s6, 20
	s_set_inst_prefetch_distance 0x1
	.p2align	6
.LBB56_400:                             ; =>This Inner Loop Header: Depth=1
	ds_load_2addr_b64 v[135:138], v125 offset1:1
	s_waitcnt lgkmcnt(1)
	v_cmp_gt_f64_e32 vcc_lo, 0, v[116:117]
	v_xor_b32_e32 v40, 0x80000000, v117
	v_cmp_gt_f64_e64 s2, 0, v[118:119]
	v_xor_b32_e32 v42, 0x80000000, v119
	v_add_nc_u32_e32 v125, 16, v125
	s_waitcnt lgkmcnt(0)
	v_cmp_gt_f64_e64 s3, 0, v[135:136]
	v_mov_b32_e32 v44, v135
	v_mov_b32_e32 v46, v137
	v_cndmask_b32_e32 v41, v117, v40, vcc_lo
	v_xor_b32_e32 v40, 0x80000000, v136
	v_cndmask_b32_e64 v43, v119, v42, s2
	v_xor_b32_e32 v42, 0x80000000, v138
	s_delay_alu instid0(VALU_DEP_3) | instskip(SKIP_2) | instid1(VALU_DEP_2)
	v_cndmask_b32_e64 v45, v136, v40, s3
	v_cmp_gt_f64_e64 s3, 0, v[137:138]
	v_cndmask_b32_e32 v40, v116, v116, vcc_lo
	v_cndmask_b32_e64 v47, v138, v42, s3
	v_cndmask_b32_e64 v42, v118, v118, s2
	s_delay_alu instid0(VALU_DEP_2) | instskip(NEXT) | instid1(VALU_DEP_2)
	v_add_f64 v[44:45], v[44:45], v[46:47]
	v_add_f64 v[40:41], v[40:41], v[42:43]
	s_delay_alu instid0(VALU_DEP_1) | instskip(SKIP_4) | instid1(SALU_CYCLE_1)
	v_cmp_lt_f64_e32 vcc_lo, v[40:41], v[44:45]
	v_dual_cndmask_b32 v117, v117, v136 :: v_dual_cndmask_b32 v116, v116, v135
	v_dual_cndmask_b32 v119, v119, v138 :: v_dual_cndmask_b32 v118, v118, v137
	v_cndmask_b32_e64 v124, v124, s6, vcc_lo
	s_add_i32 s6, s6, 1
	s_cmp_lg_u32 s5, s6
	s_cbranch_scc1 .LBB56_400
.LBB56_401:
	s_set_inst_prefetch_distance 0x2
	s_waitcnt lgkmcnt(0)
	v_cmp_eq_f64_e32 vcc_lo, 0, v[116:117]
	v_cmp_eq_f64_e64 s2, 0, v[118:119]
	s_delay_alu instid0(VALU_DEP_1) | instskip(NEXT) | instid1(SALU_CYCLE_1)
	s_and_b32 s2, vcc_lo, s2
	s_and_saveexec_b32 s3, s2
	s_delay_alu instid0(SALU_CYCLE_1)
	s_xor_b32 s2, exec_lo, s3
; %bb.402:
	v_cmp_ne_u32_e32 vcc_lo, 0, v129
	v_cndmask_b32_e32 v129, 20, v129, vcc_lo
; %bb.403:
	s_and_not1_saveexec_b32 s3, s2
	s_cbranch_execz .LBB56_409
; %bb.404:
	v_cmp_gt_f64_e32 vcc_lo, 0, v[116:117]
	v_cmp_gt_f64_e64 s2, 0, v[118:119]
	v_xor_b32_e32 v40, 0x80000000, v117
	v_xor_b32_e32 v42, 0x80000000, v119
	s_delay_alu instid0(VALU_DEP_2) | instskip(NEXT) | instid1(VALU_DEP_2)
	v_cndmask_b32_e32 v41, v117, v40, vcc_lo
	v_cndmask_b32_e64 v43, v119, v42, s2
	v_cndmask_b32_e32 v40, v116, v116, vcc_lo
	v_cndmask_b32_e64 v42, v118, v118, s2
	s_mov_b32 s2, exec_lo
	s_delay_alu instid0(VALU_DEP_1)
	v_cmpx_ngt_f64_e32 v[40:41], v[42:43]
	s_xor_b32 s2, exec_lo, s2
	s_cbranch_execz .LBB56_406
; %bb.405:
	v_div_scale_f64 v[40:41], null, v[118:119], v[118:119], v[116:117]
	v_div_scale_f64 v[46:47], vcc_lo, v[116:117], v[118:119], v[116:117]
	s_delay_alu instid0(VALU_DEP_2) | instskip(SKIP_2) | instid1(VALU_DEP_1)
	v_rcp_f64_e32 v[42:43], v[40:41]
	s_waitcnt_depctr 0xfff
	v_fma_f64 v[44:45], -v[40:41], v[42:43], 1.0
	v_fma_f64 v[42:43], v[42:43], v[44:45], v[42:43]
	s_delay_alu instid0(VALU_DEP_1) | instskip(NEXT) | instid1(VALU_DEP_1)
	v_fma_f64 v[44:45], -v[40:41], v[42:43], 1.0
	v_fma_f64 v[42:43], v[42:43], v[44:45], v[42:43]
	s_delay_alu instid0(VALU_DEP_1) | instskip(NEXT) | instid1(VALU_DEP_1)
	v_mul_f64 v[44:45], v[46:47], v[42:43]
	v_fma_f64 v[40:41], -v[40:41], v[44:45], v[46:47]
	s_delay_alu instid0(VALU_DEP_1) | instskip(NEXT) | instid1(VALU_DEP_1)
	v_div_fmas_f64 v[40:41], v[40:41], v[42:43], v[44:45]
	v_div_fixup_f64 v[40:41], v[40:41], v[118:119], v[116:117]
	s_delay_alu instid0(VALU_DEP_1) | instskip(NEXT) | instid1(VALU_DEP_1)
	v_fma_f64 v[42:43], v[116:117], v[40:41], v[118:119]
	v_div_scale_f64 v[44:45], null, v[42:43], v[42:43], 1.0
	s_delay_alu instid0(VALU_DEP_1) | instskip(SKIP_2) | instid1(VALU_DEP_1)
	v_rcp_f64_e32 v[46:47], v[44:45]
	s_waitcnt_depctr 0xfff
	v_fma_f64 v[112:113], -v[44:45], v[46:47], 1.0
	v_fma_f64 v[46:47], v[46:47], v[112:113], v[46:47]
	s_delay_alu instid0(VALU_DEP_1) | instskip(NEXT) | instid1(VALU_DEP_1)
	v_fma_f64 v[112:113], -v[44:45], v[46:47], 1.0
	v_fma_f64 v[46:47], v[46:47], v[112:113], v[46:47]
	v_div_scale_f64 v[112:113], vcc_lo, 1.0, v[42:43], 1.0
	s_delay_alu instid0(VALU_DEP_1) | instskip(NEXT) | instid1(VALU_DEP_1)
	v_mul_f64 v[114:115], v[112:113], v[46:47]
	v_fma_f64 v[44:45], -v[44:45], v[114:115], v[112:113]
	s_delay_alu instid0(VALU_DEP_1) | instskip(NEXT) | instid1(VALU_DEP_1)
	v_div_fmas_f64 v[44:45], v[44:45], v[46:47], v[114:115]
	v_div_fixup_f64 v[118:119], v[44:45], v[42:43], 1.0
	s_delay_alu instid0(VALU_DEP_1)
	v_mul_f64 v[116:117], v[40:41], v[118:119]
	v_xor_b32_e32 v119, 0x80000000, v119
.LBB56_406:
	s_and_not1_saveexec_b32 s2, s2
	s_cbranch_execz .LBB56_408
; %bb.407:
	s_delay_alu instid0(VALU_DEP_1) | instskip(SKIP_1) | instid1(VALU_DEP_2)
	v_div_scale_f64 v[40:41], null, v[116:117], v[116:117], v[118:119]
	v_div_scale_f64 v[46:47], vcc_lo, v[118:119], v[116:117], v[118:119]
	v_rcp_f64_e32 v[42:43], v[40:41]
	s_waitcnt_depctr 0xfff
	v_fma_f64 v[44:45], -v[40:41], v[42:43], 1.0
	s_delay_alu instid0(VALU_DEP_1) | instskip(NEXT) | instid1(VALU_DEP_1)
	v_fma_f64 v[42:43], v[42:43], v[44:45], v[42:43]
	v_fma_f64 v[44:45], -v[40:41], v[42:43], 1.0
	s_delay_alu instid0(VALU_DEP_1) | instskip(NEXT) | instid1(VALU_DEP_1)
	v_fma_f64 v[42:43], v[42:43], v[44:45], v[42:43]
	v_mul_f64 v[44:45], v[46:47], v[42:43]
	s_delay_alu instid0(VALU_DEP_1) | instskip(NEXT) | instid1(VALU_DEP_1)
	v_fma_f64 v[40:41], -v[40:41], v[44:45], v[46:47]
	v_div_fmas_f64 v[40:41], v[40:41], v[42:43], v[44:45]
	s_delay_alu instid0(VALU_DEP_1) | instskip(NEXT) | instid1(VALU_DEP_1)
	v_div_fixup_f64 v[40:41], v[40:41], v[116:117], v[118:119]
	v_fma_f64 v[42:43], v[118:119], v[40:41], v[116:117]
	s_delay_alu instid0(VALU_DEP_1) | instskip(NEXT) | instid1(VALU_DEP_1)
	v_div_scale_f64 v[44:45], null, v[42:43], v[42:43], 1.0
	v_rcp_f64_e32 v[46:47], v[44:45]
	s_waitcnt_depctr 0xfff
	v_fma_f64 v[112:113], -v[44:45], v[46:47], 1.0
	s_delay_alu instid0(VALU_DEP_1) | instskip(NEXT) | instid1(VALU_DEP_1)
	v_fma_f64 v[46:47], v[46:47], v[112:113], v[46:47]
	v_fma_f64 v[112:113], -v[44:45], v[46:47], 1.0
	s_delay_alu instid0(VALU_DEP_1) | instskip(SKIP_1) | instid1(VALU_DEP_1)
	v_fma_f64 v[46:47], v[46:47], v[112:113], v[46:47]
	v_div_scale_f64 v[112:113], vcc_lo, 1.0, v[42:43], 1.0
	v_mul_f64 v[114:115], v[112:113], v[46:47]
	s_delay_alu instid0(VALU_DEP_1) | instskip(NEXT) | instid1(VALU_DEP_1)
	v_fma_f64 v[44:45], -v[44:45], v[114:115], v[112:113]
	v_div_fmas_f64 v[44:45], v[44:45], v[46:47], v[114:115]
	s_delay_alu instid0(VALU_DEP_1) | instskip(NEXT) | instid1(VALU_DEP_1)
	v_div_fixup_f64 v[116:117], v[44:45], v[42:43], 1.0
	v_mul_f64 v[118:119], v[40:41], -v[116:117]
.LBB56_408:
	s_or_b32 exec_lo, exec_lo, s2
.LBB56_409:
	s_delay_alu instid0(SALU_CYCLE_1) | instskip(NEXT) | instid1(SALU_CYCLE_1)
	s_or_b32 exec_lo, exec_lo, s3
	s_mov_b32 s2, exec_lo
	v_cmpx_ne_u32_e64 v134, v124
	s_xor_b32 s2, exec_lo, s2
	s_cbranch_execz .LBB56_415
; %bb.410:
	s_mov_b32 s3, exec_lo
	v_cmpx_eq_u32_e32 19, v134
	s_cbranch_execz .LBB56_414
; %bb.411:
	v_cmp_ne_u32_e32 vcc_lo, 19, v124
	s_xor_b32 s6, s4, -1
	s_delay_alu instid0(SALU_CYCLE_1) | instskip(NEXT) | instid1(SALU_CYCLE_1)
	s_and_b32 s7, s6, vcc_lo
	s_and_saveexec_b32 s6, s7
	s_cbranch_execz .LBB56_413
; %bb.412:
	v_ashrrev_i32_e32 v125, 31, v124
	s_delay_alu instid0(VALU_DEP_1) | instskip(NEXT) | instid1(VALU_DEP_1)
	v_lshlrev_b64 v[40:41], 2, v[124:125]
	v_add_co_u32 v40, vcc_lo, v102, v40
	s_delay_alu instid0(VALU_DEP_2)
	v_add_co_ci_u32_e32 v41, vcc_lo, v103, v41, vcc_lo
	s_clause 0x1
	flat_load_b32 v42, v[40:41]
	flat_load_b32 v43, v[102:103] offset:76
	s_waitcnt vmcnt(1) lgkmcnt(1)
	flat_store_b32 v[102:103], v42 offset:76
	s_waitcnt vmcnt(0) lgkmcnt(1)
	flat_store_b32 v[40:41], v43
.LBB56_413:
	s_or_b32 exec_lo, exec_lo, s6
	v_mov_b32_e32 v134, v124
	v_mov_b32_e32 v255, v124
.LBB56_414:
	s_or_b32 exec_lo, exec_lo, s3
.LBB56_415:
	s_and_not1_saveexec_b32 s2, s2
	s_cbranch_execz .LBB56_417
; %bb.416:
	v_mov_b32_e32 v134, 19
	ds_store_2addr_b64 v132, v[32:33], v[34:35] offset0:40 offset1:41
	ds_store_2addr_b64 v132, v[28:29], v[30:31] offset0:42 offset1:43
	;; [unrolled: 1-line block ×9, first 2 shown]
.LBB56_417:
	s_or_b32 exec_lo, exec_lo, s2
	s_delay_alu instid0(SALU_CYCLE_1)
	s_mov_b32 s2, exec_lo
	s_waitcnt lgkmcnt(0)
	s_waitcnt_vscnt null, 0x0
	s_barrier
	buffer_gl0_inv
	v_cmpx_lt_i32_e32 19, v134
	s_cbranch_execz .LBB56_419
; %bb.418:
	v_mul_f64 v[40:41], v[116:117], v[38:39]
	v_mul_f64 v[38:39], v[118:119], v[38:39]
	ds_load_2addr_b64 v[124:127], v132 offset0:40 offset1:41
	ds_load_2addr_b64 v[135:138], v132 offset0:42 offset1:43
	ds_load_2addr_b64 v[139:142], v132 offset0:44 offset1:45
	ds_load_2addr_b64 v[143:146], v132 offset0:46 offset1:47
	ds_load_2addr_b64 v[147:150], v132 offset0:48 offset1:49
	ds_load_2addr_b64 v[151:154], v132 offset0:50 offset1:51
	ds_load_2addr_b64 v[155:158], v132 offset0:52 offset1:53
	ds_load_2addr_b64 v[159:162], v132 offset0:54 offset1:55
	ds_load_2addr_b64 v[163:166], v132 offset0:56 offset1:57
	v_fma_f64 v[40:41], v[118:119], v[36:37], v[40:41]
	v_fma_f64 v[36:37], v[116:117], v[36:37], -v[38:39]
	s_waitcnt lgkmcnt(8)
	s_delay_alu instid0(VALU_DEP_2)
	v_mul_f64 v[38:39], v[126:127], v[40:41]
	v_mul_f64 v[42:43], v[124:125], v[40:41]
	s_waitcnt lgkmcnt(7)
	v_mul_f64 v[44:45], v[137:138], v[40:41]
	v_mul_f64 v[46:47], v[135:136], v[40:41]
	s_waitcnt lgkmcnt(6)
	;; [unrolled: 3-line block ×8, first 2 shown]
	v_mul_f64 v[179:180], v[165:166], v[40:41]
	v_mul_f64 v[181:182], v[163:164], v[40:41]
	v_fma_f64 v[38:39], v[124:125], v[36:37], -v[38:39]
	v_fma_f64 v[42:43], v[126:127], v[36:37], v[42:43]
	v_fma_f64 v[44:45], v[135:136], v[36:37], -v[44:45]
	v_fma_f64 v[46:47], v[137:138], v[36:37], v[46:47]
	v_fma_f64 v[112:113], v[139:140], v[36:37], -v[112:113]
	v_fma_f64 v[114:115], v[141:142], v[36:37], v[114:115]
	v_fma_f64 v[116:117], v[143:144], v[36:37], -v[116:117]
	v_fma_f64 v[118:119], v[145:146], v[36:37], v[118:119]
	v_fma_f64 v[120:121], v[147:148], v[36:37], -v[120:121]
	v_fma_f64 v[122:123], v[149:150], v[36:37], v[122:123]
	v_fma_f64 v[124:125], v[151:152], v[36:37], -v[167:168]
	v_fma_f64 v[126:127], v[153:154], v[36:37], v[169:170]
	v_fma_f64 v[135:136], v[155:156], v[36:37], -v[171:172]
	v_fma_f64 v[137:138], v[157:158], v[36:37], v[173:174]
	v_fma_f64 v[139:140], v[159:160], v[36:37], -v[175:176]
	v_fma_f64 v[141:142], v[161:162], v[36:37], v[177:178]
	v_fma_f64 v[143:144], v[163:164], v[36:37], -v[179:180]
	v_fma_f64 v[145:146], v[165:166], v[36:37], v[181:182]
	v_add_f64 v[32:33], v[32:33], -v[38:39]
	v_add_f64 v[34:35], v[34:35], -v[42:43]
	;; [unrolled: 1-line block ×18, first 2 shown]
	v_dual_mov_b32 v38, v40 :: v_dual_mov_b32 v39, v41
.LBB56_419:
	s_or_b32 exec_lo, exec_lo, s2
	v_lshl_add_u32 v40, v134, 4, v132
	s_barrier
	buffer_gl0_inv
	v_mov_b32_e32 v124, 20
	ds_store_2addr_b64 v40, v[32:33], v[34:35] offset1:1
	s_waitcnt lgkmcnt(0)
	s_barrier
	buffer_gl0_inv
	ds_load_2addr_b64 v[116:119], v132 offset0:40 offset1:41
	s_cmp_lt_i32 s5, 22
	s_cbranch_scc1 .LBB56_422
; %bb.420:
	v_add3_u32 v125, v130, 0, 0x150
	v_mov_b32_e32 v124, 20
	s_mov_b32 s6, 21
	s_set_inst_prefetch_distance 0x1
	.p2align	6
.LBB56_421:                             ; =>This Inner Loop Header: Depth=1
	ds_load_2addr_b64 v[135:138], v125 offset1:1
	s_waitcnt lgkmcnt(1)
	v_cmp_gt_f64_e32 vcc_lo, 0, v[116:117]
	v_xor_b32_e32 v40, 0x80000000, v117
	v_cmp_gt_f64_e64 s2, 0, v[118:119]
	v_xor_b32_e32 v42, 0x80000000, v119
	v_add_nc_u32_e32 v125, 16, v125
	s_waitcnt lgkmcnt(0)
	v_cmp_gt_f64_e64 s3, 0, v[135:136]
	v_mov_b32_e32 v44, v135
	v_mov_b32_e32 v46, v137
	v_cndmask_b32_e32 v41, v117, v40, vcc_lo
	v_xor_b32_e32 v40, 0x80000000, v136
	v_cndmask_b32_e64 v43, v119, v42, s2
	v_xor_b32_e32 v42, 0x80000000, v138
	s_delay_alu instid0(VALU_DEP_3) | instskip(SKIP_2) | instid1(VALU_DEP_2)
	v_cndmask_b32_e64 v45, v136, v40, s3
	v_cmp_gt_f64_e64 s3, 0, v[137:138]
	v_cndmask_b32_e32 v40, v116, v116, vcc_lo
	v_cndmask_b32_e64 v47, v138, v42, s3
	v_cndmask_b32_e64 v42, v118, v118, s2
	s_delay_alu instid0(VALU_DEP_2) | instskip(NEXT) | instid1(VALU_DEP_2)
	v_add_f64 v[44:45], v[44:45], v[46:47]
	v_add_f64 v[40:41], v[40:41], v[42:43]
	s_delay_alu instid0(VALU_DEP_1) | instskip(SKIP_4) | instid1(SALU_CYCLE_1)
	v_cmp_lt_f64_e32 vcc_lo, v[40:41], v[44:45]
	v_dual_cndmask_b32 v117, v117, v136 :: v_dual_cndmask_b32 v116, v116, v135
	v_dual_cndmask_b32 v119, v119, v138 :: v_dual_cndmask_b32 v118, v118, v137
	v_cndmask_b32_e64 v124, v124, s6, vcc_lo
	s_add_i32 s6, s6, 1
	s_cmp_lg_u32 s5, s6
	s_cbranch_scc1 .LBB56_421
.LBB56_422:
	s_set_inst_prefetch_distance 0x2
	s_waitcnt lgkmcnt(0)
	v_cmp_eq_f64_e32 vcc_lo, 0, v[116:117]
	v_cmp_eq_f64_e64 s2, 0, v[118:119]
	s_delay_alu instid0(VALU_DEP_1) | instskip(NEXT) | instid1(SALU_CYCLE_1)
	s_and_b32 s2, vcc_lo, s2
	s_and_saveexec_b32 s3, s2
	s_delay_alu instid0(SALU_CYCLE_1)
	s_xor_b32 s2, exec_lo, s3
; %bb.423:
	v_cmp_ne_u32_e32 vcc_lo, 0, v129
	v_cndmask_b32_e32 v129, 21, v129, vcc_lo
; %bb.424:
	s_and_not1_saveexec_b32 s3, s2
	s_cbranch_execz .LBB56_430
; %bb.425:
	v_cmp_gt_f64_e32 vcc_lo, 0, v[116:117]
	v_cmp_gt_f64_e64 s2, 0, v[118:119]
	v_xor_b32_e32 v40, 0x80000000, v117
	v_xor_b32_e32 v42, 0x80000000, v119
	s_delay_alu instid0(VALU_DEP_2) | instskip(NEXT) | instid1(VALU_DEP_2)
	v_cndmask_b32_e32 v41, v117, v40, vcc_lo
	v_cndmask_b32_e64 v43, v119, v42, s2
	v_cndmask_b32_e32 v40, v116, v116, vcc_lo
	v_cndmask_b32_e64 v42, v118, v118, s2
	s_mov_b32 s2, exec_lo
	s_delay_alu instid0(VALU_DEP_1)
	v_cmpx_ngt_f64_e32 v[40:41], v[42:43]
	s_xor_b32 s2, exec_lo, s2
	s_cbranch_execz .LBB56_427
; %bb.426:
	v_div_scale_f64 v[40:41], null, v[118:119], v[118:119], v[116:117]
	v_div_scale_f64 v[46:47], vcc_lo, v[116:117], v[118:119], v[116:117]
	s_delay_alu instid0(VALU_DEP_2) | instskip(SKIP_2) | instid1(VALU_DEP_1)
	v_rcp_f64_e32 v[42:43], v[40:41]
	s_waitcnt_depctr 0xfff
	v_fma_f64 v[44:45], -v[40:41], v[42:43], 1.0
	v_fma_f64 v[42:43], v[42:43], v[44:45], v[42:43]
	s_delay_alu instid0(VALU_DEP_1) | instskip(NEXT) | instid1(VALU_DEP_1)
	v_fma_f64 v[44:45], -v[40:41], v[42:43], 1.0
	v_fma_f64 v[42:43], v[42:43], v[44:45], v[42:43]
	s_delay_alu instid0(VALU_DEP_1) | instskip(NEXT) | instid1(VALU_DEP_1)
	v_mul_f64 v[44:45], v[46:47], v[42:43]
	v_fma_f64 v[40:41], -v[40:41], v[44:45], v[46:47]
	s_delay_alu instid0(VALU_DEP_1) | instskip(NEXT) | instid1(VALU_DEP_1)
	v_div_fmas_f64 v[40:41], v[40:41], v[42:43], v[44:45]
	v_div_fixup_f64 v[40:41], v[40:41], v[118:119], v[116:117]
	s_delay_alu instid0(VALU_DEP_1) | instskip(NEXT) | instid1(VALU_DEP_1)
	v_fma_f64 v[42:43], v[116:117], v[40:41], v[118:119]
	v_div_scale_f64 v[44:45], null, v[42:43], v[42:43], 1.0
	s_delay_alu instid0(VALU_DEP_1) | instskip(SKIP_2) | instid1(VALU_DEP_1)
	v_rcp_f64_e32 v[46:47], v[44:45]
	s_waitcnt_depctr 0xfff
	v_fma_f64 v[112:113], -v[44:45], v[46:47], 1.0
	v_fma_f64 v[46:47], v[46:47], v[112:113], v[46:47]
	s_delay_alu instid0(VALU_DEP_1) | instskip(NEXT) | instid1(VALU_DEP_1)
	v_fma_f64 v[112:113], -v[44:45], v[46:47], 1.0
	v_fma_f64 v[46:47], v[46:47], v[112:113], v[46:47]
	v_div_scale_f64 v[112:113], vcc_lo, 1.0, v[42:43], 1.0
	s_delay_alu instid0(VALU_DEP_1) | instskip(NEXT) | instid1(VALU_DEP_1)
	v_mul_f64 v[114:115], v[112:113], v[46:47]
	v_fma_f64 v[44:45], -v[44:45], v[114:115], v[112:113]
	s_delay_alu instid0(VALU_DEP_1) | instskip(NEXT) | instid1(VALU_DEP_1)
	v_div_fmas_f64 v[44:45], v[44:45], v[46:47], v[114:115]
	v_div_fixup_f64 v[118:119], v[44:45], v[42:43], 1.0
	s_delay_alu instid0(VALU_DEP_1)
	v_mul_f64 v[116:117], v[40:41], v[118:119]
	v_xor_b32_e32 v119, 0x80000000, v119
.LBB56_427:
	s_and_not1_saveexec_b32 s2, s2
	s_cbranch_execz .LBB56_429
; %bb.428:
	s_delay_alu instid0(VALU_DEP_1) | instskip(SKIP_1) | instid1(VALU_DEP_2)
	v_div_scale_f64 v[40:41], null, v[116:117], v[116:117], v[118:119]
	v_div_scale_f64 v[46:47], vcc_lo, v[118:119], v[116:117], v[118:119]
	v_rcp_f64_e32 v[42:43], v[40:41]
	s_waitcnt_depctr 0xfff
	v_fma_f64 v[44:45], -v[40:41], v[42:43], 1.0
	s_delay_alu instid0(VALU_DEP_1) | instskip(NEXT) | instid1(VALU_DEP_1)
	v_fma_f64 v[42:43], v[42:43], v[44:45], v[42:43]
	v_fma_f64 v[44:45], -v[40:41], v[42:43], 1.0
	s_delay_alu instid0(VALU_DEP_1) | instskip(NEXT) | instid1(VALU_DEP_1)
	v_fma_f64 v[42:43], v[42:43], v[44:45], v[42:43]
	v_mul_f64 v[44:45], v[46:47], v[42:43]
	s_delay_alu instid0(VALU_DEP_1) | instskip(NEXT) | instid1(VALU_DEP_1)
	v_fma_f64 v[40:41], -v[40:41], v[44:45], v[46:47]
	v_div_fmas_f64 v[40:41], v[40:41], v[42:43], v[44:45]
	s_delay_alu instid0(VALU_DEP_1) | instskip(NEXT) | instid1(VALU_DEP_1)
	v_div_fixup_f64 v[40:41], v[40:41], v[116:117], v[118:119]
	v_fma_f64 v[42:43], v[118:119], v[40:41], v[116:117]
	s_delay_alu instid0(VALU_DEP_1) | instskip(NEXT) | instid1(VALU_DEP_1)
	v_div_scale_f64 v[44:45], null, v[42:43], v[42:43], 1.0
	v_rcp_f64_e32 v[46:47], v[44:45]
	s_waitcnt_depctr 0xfff
	v_fma_f64 v[112:113], -v[44:45], v[46:47], 1.0
	s_delay_alu instid0(VALU_DEP_1) | instskip(NEXT) | instid1(VALU_DEP_1)
	v_fma_f64 v[46:47], v[46:47], v[112:113], v[46:47]
	v_fma_f64 v[112:113], -v[44:45], v[46:47], 1.0
	s_delay_alu instid0(VALU_DEP_1) | instskip(SKIP_1) | instid1(VALU_DEP_1)
	v_fma_f64 v[46:47], v[46:47], v[112:113], v[46:47]
	v_div_scale_f64 v[112:113], vcc_lo, 1.0, v[42:43], 1.0
	v_mul_f64 v[114:115], v[112:113], v[46:47]
	s_delay_alu instid0(VALU_DEP_1) | instskip(NEXT) | instid1(VALU_DEP_1)
	v_fma_f64 v[44:45], -v[44:45], v[114:115], v[112:113]
	v_div_fmas_f64 v[44:45], v[44:45], v[46:47], v[114:115]
	s_delay_alu instid0(VALU_DEP_1) | instskip(NEXT) | instid1(VALU_DEP_1)
	v_div_fixup_f64 v[116:117], v[44:45], v[42:43], 1.0
	v_mul_f64 v[118:119], v[40:41], -v[116:117]
.LBB56_429:
	s_or_b32 exec_lo, exec_lo, s2
.LBB56_430:
	s_delay_alu instid0(SALU_CYCLE_1) | instskip(NEXT) | instid1(SALU_CYCLE_1)
	s_or_b32 exec_lo, exec_lo, s3
	s_mov_b32 s2, exec_lo
	v_cmpx_ne_u32_e64 v134, v124
	s_xor_b32 s2, exec_lo, s2
	s_cbranch_execz .LBB56_436
; %bb.431:
	s_mov_b32 s3, exec_lo
	v_cmpx_eq_u32_e32 20, v134
	s_cbranch_execz .LBB56_435
; %bb.432:
	v_cmp_ne_u32_e32 vcc_lo, 20, v124
	s_xor_b32 s6, s4, -1
	s_delay_alu instid0(SALU_CYCLE_1) | instskip(NEXT) | instid1(SALU_CYCLE_1)
	s_and_b32 s7, s6, vcc_lo
	s_and_saveexec_b32 s6, s7
	s_cbranch_execz .LBB56_434
; %bb.433:
	v_ashrrev_i32_e32 v125, 31, v124
	s_delay_alu instid0(VALU_DEP_1) | instskip(NEXT) | instid1(VALU_DEP_1)
	v_lshlrev_b64 v[40:41], 2, v[124:125]
	v_add_co_u32 v40, vcc_lo, v102, v40
	s_delay_alu instid0(VALU_DEP_2)
	v_add_co_ci_u32_e32 v41, vcc_lo, v103, v41, vcc_lo
	s_clause 0x1
	flat_load_b32 v42, v[40:41]
	flat_load_b32 v43, v[102:103] offset:80
	s_waitcnt vmcnt(1) lgkmcnt(1)
	flat_store_b32 v[102:103], v42 offset:80
	s_waitcnt vmcnt(0) lgkmcnt(1)
	flat_store_b32 v[40:41], v43
.LBB56_434:
	s_or_b32 exec_lo, exec_lo, s6
	v_mov_b32_e32 v134, v124
	v_mov_b32_e32 v255, v124
.LBB56_435:
	s_or_b32 exec_lo, exec_lo, s3
.LBB56_436:
	s_and_not1_saveexec_b32 s2, s2
	s_cbranch_execz .LBB56_438
; %bb.437:
	v_mov_b32_e32 v134, 20
	ds_store_2addr_b64 v132, v[28:29], v[30:31] offset0:42 offset1:43
	ds_store_2addr_b64 v132, v[24:25], v[26:27] offset0:44 offset1:45
	;; [unrolled: 1-line block ×8, first 2 shown]
.LBB56_438:
	s_or_b32 exec_lo, exec_lo, s2
	s_delay_alu instid0(SALU_CYCLE_1)
	s_mov_b32 s2, exec_lo
	s_waitcnt lgkmcnt(0)
	s_waitcnt_vscnt null, 0x0
	s_barrier
	buffer_gl0_inv
	v_cmpx_lt_i32_e32 20, v134
	s_cbranch_execz .LBB56_440
; %bb.439:
	v_mul_f64 v[40:41], v[116:117], v[34:35]
	v_mul_f64 v[34:35], v[118:119], v[34:35]
	ds_load_2addr_b64 v[124:127], v132 offset0:42 offset1:43
	ds_load_2addr_b64 v[135:138], v132 offset0:44 offset1:45
	;; [unrolled: 1-line block ×8, first 2 shown]
	v_fma_f64 v[40:41], v[118:119], v[32:33], v[40:41]
	v_fma_f64 v[32:33], v[116:117], v[32:33], -v[34:35]
	s_waitcnt lgkmcnt(7)
	s_delay_alu instid0(VALU_DEP_2)
	v_mul_f64 v[34:35], v[126:127], v[40:41]
	v_mul_f64 v[42:43], v[124:125], v[40:41]
	s_waitcnt lgkmcnt(6)
	v_mul_f64 v[44:45], v[137:138], v[40:41]
	v_mul_f64 v[46:47], v[135:136], v[40:41]
	s_waitcnt lgkmcnt(5)
	;; [unrolled: 3-line block ×7, first 2 shown]
	v_mul_f64 v[171:172], v[161:162], v[40:41]
	v_mul_f64 v[173:174], v[159:160], v[40:41]
	v_fma_f64 v[34:35], v[124:125], v[32:33], -v[34:35]
	v_fma_f64 v[42:43], v[126:127], v[32:33], v[42:43]
	v_fma_f64 v[44:45], v[135:136], v[32:33], -v[44:45]
	v_fma_f64 v[46:47], v[137:138], v[32:33], v[46:47]
	;; [unrolled: 2-line block ×8, first 2 shown]
	v_add_f64 v[28:29], v[28:29], -v[34:35]
	v_add_f64 v[30:31], v[30:31], -v[42:43]
	;; [unrolled: 1-line block ×16, first 2 shown]
	v_dual_mov_b32 v34, v40 :: v_dual_mov_b32 v35, v41
.LBB56_440:
	s_or_b32 exec_lo, exec_lo, s2
	v_lshl_add_u32 v40, v134, 4, v132
	s_barrier
	buffer_gl0_inv
	v_mov_b32_e32 v124, 21
	ds_store_2addr_b64 v40, v[28:29], v[30:31] offset1:1
	s_waitcnt lgkmcnt(0)
	s_barrier
	buffer_gl0_inv
	ds_load_2addr_b64 v[116:119], v132 offset0:42 offset1:43
	s_cmp_lt_i32 s5, 23
	s_cbranch_scc1 .LBB56_443
; %bb.441:
	v_add3_u32 v125, v130, 0, 0x160
	v_mov_b32_e32 v124, 21
	s_mov_b32 s6, 22
	s_set_inst_prefetch_distance 0x1
	.p2align	6
.LBB56_442:                             ; =>This Inner Loop Header: Depth=1
	ds_load_2addr_b64 v[135:138], v125 offset1:1
	s_waitcnt lgkmcnt(1)
	v_cmp_gt_f64_e32 vcc_lo, 0, v[116:117]
	v_xor_b32_e32 v40, 0x80000000, v117
	v_cmp_gt_f64_e64 s2, 0, v[118:119]
	v_xor_b32_e32 v42, 0x80000000, v119
	v_add_nc_u32_e32 v125, 16, v125
	s_waitcnt lgkmcnt(0)
	v_cmp_gt_f64_e64 s3, 0, v[135:136]
	v_mov_b32_e32 v44, v135
	v_mov_b32_e32 v46, v137
	v_cndmask_b32_e32 v41, v117, v40, vcc_lo
	v_xor_b32_e32 v40, 0x80000000, v136
	v_cndmask_b32_e64 v43, v119, v42, s2
	v_xor_b32_e32 v42, 0x80000000, v138
	s_delay_alu instid0(VALU_DEP_3) | instskip(SKIP_2) | instid1(VALU_DEP_2)
	v_cndmask_b32_e64 v45, v136, v40, s3
	v_cmp_gt_f64_e64 s3, 0, v[137:138]
	v_cndmask_b32_e32 v40, v116, v116, vcc_lo
	v_cndmask_b32_e64 v47, v138, v42, s3
	v_cndmask_b32_e64 v42, v118, v118, s2
	s_delay_alu instid0(VALU_DEP_2) | instskip(NEXT) | instid1(VALU_DEP_2)
	v_add_f64 v[44:45], v[44:45], v[46:47]
	v_add_f64 v[40:41], v[40:41], v[42:43]
	s_delay_alu instid0(VALU_DEP_1) | instskip(SKIP_4) | instid1(SALU_CYCLE_1)
	v_cmp_lt_f64_e32 vcc_lo, v[40:41], v[44:45]
	v_dual_cndmask_b32 v117, v117, v136 :: v_dual_cndmask_b32 v116, v116, v135
	v_dual_cndmask_b32 v119, v119, v138 :: v_dual_cndmask_b32 v118, v118, v137
	v_cndmask_b32_e64 v124, v124, s6, vcc_lo
	s_add_i32 s6, s6, 1
	s_cmp_lg_u32 s5, s6
	s_cbranch_scc1 .LBB56_442
.LBB56_443:
	s_set_inst_prefetch_distance 0x2
	s_waitcnt lgkmcnt(0)
	v_cmp_eq_f64_e32 vcc_lo, 0, v[116:117]
	v_cmp_eq_f64_e64 s2, 0, v[118:119]
	s_delay_alu instid0(VALU_DEP_1) | instskip(NEXT) | instid1(SALU_CYCLE_1)
	s_and_b32 s2, vcc_lo, s2
	s_and_saveexec_b32 s3, s2
	s_delay_alu instid0(SALU_CYCLE_1)
	s_xor_b32 s2, exec_lo, s3
; %bb.444:
	v_cmp_ne_u32_e32 vcc_lo, 0, v129
	v_cndmask_b32_e32 v129, 22, v129, vcc_lo
; %bb.445:
	s_and_not1_saveexec_b32 s3, s2
	s_cbranch_execz .LBB56_451
; %bb.446:
	v_cmp_gt_f64_e32 vcc_lo, 0, v[116:117]
	v_cmp_gt_f64_e64 s2, 0, v[118:119]
	v_xor_b32_e32 v40, 0x80000000, v117
	v_xor_b32_e32 v42, 0x80000000, v119
	s_delay_alu instid0(VALU_DEP_2) | instskip(NEXT) | instid1(VALU_DEP_2)
	v_cndmask_b32_e32 v41, v117, v40, vcc_lo
	v_cndmask_b32_e64 v43, v119, v42, s2
	v_cndmask_b32_e32 v40, v116, v116, vcc_lo
	v_cndmask_b32_e64 v42, v118, v118, s2
	s_mov_b32 s2, exec_lo
	s_delay_alu instid0(VALU_DEP_1)
	v_cmpx_ngt_f64_e32 v[40:41], v[42:43]
	s_xor_b32 s2, exec_lo, s2
	s_cbranch_execz .LBB56_448
; %bb.447:
	v_div_scale_f64 v[40:41], null, v[118:119], v[118:119], v[116:117]
	v_div_scale_f64 v[46:47], vcc_lo, v[116:117], v[118:119], v[116:117]
	s_delay_alu instid0(VALU_DEP_2) | instskip(SKIP_2) | instid1(VALU_DEP_1)
	v_rcp_f64_e32 v[42:43], v[40:41]
	s_waitcnt_depctr 0xfff
	v_fma_f64 v[44:45], -v[40:41], v[42:43], 1.0
	v_fma_f64 v[42:43], v[42:43], v[44:45], v[42:43]
	s_delay_alu instid0(VALU_DEP_1) | instskip(NEXT) | instid1(VALU_DEP_1)
	v_fma_f64 v[44:45], -v[40:41], v[42:43], 1.0
	v_fma_f64 v[42:43], v[42:43], v[44:45], v[42:43]
	s_delay_alu instid0(VALU_DEP_1) | instskip(NEXT) | instid1(VALU_DEP_1)
	v_mul_f64 v[44:45], v[46:47], v[42:43]
	v_fma_f64 v[40:41], -v[40:41], v[44:45], v[46:47]
	s_delay_alu instid0(VALU_DEP_1) | instskip(NEXT) | instid1(VALU_DEP_1)
	v_div_fmas_f64 v[40:41], v[40:41], v[42:43], v[44:45]
	v_div_fixup_f64 v[40:41], v[40:41], v[118:119], v[116:117]
	s_delay_alu instid0(VALU_DEP_1) | instskip(NEXT) | instid1(VALU_DEP_1)
	v_fma_f64 v[42:43], v[116:117], v[40:41], v[118:119]
	v_div_scale_f64 v[44:45], null, v[42:43], v[42:43], 1.0
	s_delay_alu instid0(VALU_DEP_1) | instskip(SKIP_2) | instid1(VALU_DEP_1)
	v_rcp_f64_e32 v[46:47], v[44:45]
	s_waitcnt_depctr 0xfff
	v_fma_f64 v[112:113], -v[44:45], v[46:47], 1.0
	v_fma_f64 v[46:47], v[46:47], v[112:113], v[46:47]
	s_delay_alu instid0(VALU_DEP_1) | instskip(NEXT) | instid1(VALU_DEP_1)
	v_fma_f64 v[112:113], -v[44:45], v[46:47], 1.0
	v_fma_f64 v[46:47], v[46:47], v[112:113], v[46:47]
	v_div_scale_f64 v[112:113], vcc_lo, 1.0, v[42:43], 1.0
	s_delay_alu instid0(VALU_DEP_1) | instskip(NEXT) | instid1(VALU_DEP_1)
	v_mul_f64 v[114:115], v[112:113], v[46:47]
	v_fma_f64 v[44:45], -v[44:45], v[114:115], v[112:113]
	s_delay_alu instid0(VALU_DEP_1) | instskip(NEXT) | instid1(VALU_DEP_1)
	v_div_fmas_f64 v[44:45], v[44:45], v[46:47], v[114:115]
	v_div_fixup_f64 v[118:119], v[44:45], v[42:43], 1.0
	s_delay_alu instid0(VALU_DEP_1)
	v_mul_f64 v[116:117], v[40:41], v[118:119]
	v_xor_b32_e32 v119, 0x80000000, v119
.LBB56_448:
	s_and_not1_saveexec_b32 s2, s2
	s_cbranch_execz .LBB56_450
; %bb.449:
	s_delay_alu instid0(VALU_DEP_1) | instskip(SKIP_1) | instid1(VALU_DEP_2)
	v_div_scale_f64 v[40:41], null, v[116:117], v[116:117], v[118:119]
	v_div_scale_f64 v[46:47], vcc_lo, v[118:119], v[116:117], v[118:119]
	v_rcp_f64_e32 v[42:43], v[40:41]
	s_waitcnt_depctr 0xfff
	v_fma_f64 v[44:45], -v[40:41], v[42:43], 1.0
	s_delay_alu instid0(VALU_DEP_1) | instskip(NEXT) | instid1(VALU_DEP_1)
	v_fma_f64 v[42:43], v[42:43], v[44:45], v[42:43]
	v_fma_f64 v[44:45], -v[40:41], v[42:43], 1.0
	s_delay_alu instid0(VALU_DEP_1) | instskip(NEXT) | instid1(VALU_DEP_1)
	v_fma_f64 v[42:43], v[42:43], v[44:45], v[42:43]
	v_mul_f64 v[44:45], v[46:47], v[42:43]
	s_delay_alu instid0(VALU_DEP_1) | instskip(NEXT) | instid1(VALU_DEP_1)
	v_fma_f64 v[40:41], -v[40:41], v[44:45], v[46:47]
	v_div_fmas_f64 v[40:41], v[40:41], v[42:43], v[44:45]
	s_delay_alu instid0(VALU_DEP_1) | instskip(NEXT) | instid1(VALU_DEP_1)
	v_div_fixup_f64 v[40:41], v[40:41], v[116:117], v[118:119]
	v_fma_f64 v[42:43], v[118:119], v[40:41], v[116:117]
	s_delay_alu instid0(VALU_DEP_1) | instskip(NEXT) | instid1(VALU_DEP_1)
	v_div_scale_f64 v[44:45], null, v[42:43], v[42:43], 1.0
	v_rcp_f64_e32 v[46:47], v[44:45]
	s_waitcnt_depctr 0xfff
	v_fma_f64 v[112:113], -v[44:45], v[46:47], 1.0
	s_delay_alu instid0(VALU_DEP_1) | instskip(NEXT) | instid1(VALU_DEP_1)
	v_fma_f64 v[46:47], v[46:47], v[112:113], v[46:47]
	v_fma_f64 v[112:113], -v[44:45], v[46:47], 1.0
	s_delay_alu instid0(VALU_DEP_1) | instskip(SKIP_1) | instid1(VALU_DEP_1)
	v_fma_f64 v[46:47], v[46:47], v[112:113], v[46:47]
	v_div_scale_f64 v[112:113], vcc_lo, 1.0, v[42:43], 1.0
	v_mul_f64 v[114:115], v[112:113], v[46:47]
	s_delay_alu instid0(VALU_DEP_1) | instskip(NEXT) | instid1(VALU_DEP_1)
	v_fma_f64 v[44:45], -v[44:45], v[114:115], v[112:113]
	v_div_fmas_f64 v[44:45], v[44:45], v[46:47], v[114:115]
	s_delay_alu instid0(VALU_DEP_1) | instskip(NEXT) | instid1(VALU_DEP_1)
	v_div_fixup_f64 v[116:117], v[44:45], v[42:43], 1.0
	v_mul_f64 v[118:119], v[40:41], -v[116:117]
.LBB56_450:
	s_or_b32 exec_lo, exec_lo, s2
.LBB56_451:
	s_delay_alu instid0(SALU_CYCLE_1) | instskip(NEXT) | instid1(SALU_CYCLE_1)
	s_or_b32 exec_lo, exec_lo, s3
	s_mov_b32 s2, exec_lo
	v_cmpx_ne_u32_e64 v134, v124
	s_xor_b32 s2, exec_lo, s2
	s_cbranch_execz .LBB56_457
; %bb.452:
	s_mov_b32 s3, exec_lo
	v_cmpx_eq_u32_e32 21, v134
	s_cbranch_execz .LBB56_456
; %bb.453:
	v_cmp_ne_u32_e32 vcc_lo, 21, v124
	s_xor_b32 s6, s4, -1
	s_delay_alu instid0(SALU_CYCLE_1) | instskip(NEXT) | instid1(SALU_CYCLE_1)
	s_and_b32 s7, s6, vcc_lo
	s_and_saveexec_b32 s6, s7
	s_cbranch_execz .LBB56_455
; %bb.454:
	v_ashrrev_i32_e32 v125, 31, v124
	s_delay_alu instid0(VALU_DEP_1) | instskip(NEXT) | instid1(VALU_DEP_1)
	v_lshlrev_b64 v[40:41], 2, v[124:125]
	v_add_co_u32 v40, vcc_lo, v102, v40
	s_delay_alu instid0(VALU_DEP_2)
	v_add_co_ci_u32_e32 v41, vcc_lo, v103, v41, vcc_lo
	s_clause 0x1
	flat_load_b32 v42, v[40:41]
	flat_load_b32 v43, v[102:103] offset:84
	s_waitcnt vmcnt(1) lgkmcnt(1)
	flat_store_b32 v[102:103], v42 offset:84
	s_waitcnt vmcnt(0) lgkmcnt(1)
	flat_store_b32 v[40:41], v43
.LBB56_455:
	s_or_b32 exec_lo, exec_lo, s6
	v_mov_b32_e32 v134, v124
	v_mov_b32_e32 v255, v124
.LBB56_456:
	s_or_b32 exec_lo, exec_lo, s3
.LBB56_457:
	s_and_not1_saveexec_b32 s2, s2
	s_cbranch_execz .LBB56_459
; %bb.458:
	v_mov_b32_e32 v134, 21
	ds_store_2addr_b64 v132, v[24:25], v[26:27] offset0:44 offset1:45
	ds_store_2addr_b64 v132, v[20:21], v[22:23] offset0:46 offset1:47
	;; [unrolled: 1-line block ×7, first 2 shown]
.LBB56_459:
	s_or_b32 exec_lo, exec_lo, s2
	s_delay_alu instid0(SALU_CYCLE_1)
	s_mov_b32 s2, exec_lo
	s_waitcnt lgkmcnt(0)
	s_waitcnt_vscnt null, 0x0
	s_barrier
	buffer_gl0_inv
	v_cmpx_lt_i32_e32 21, v134
	s_cbranch_execz .LBB56_461
; %bb.460:
	v_mul_f64 v[40:41], v[116:117], v[30:31]
	v_mul_f64 v[30:31], v[118:119], v[30:31]
	ds_load_2addr_b64 v[124:127], v132 offset0:44 offset1:45
	ds_load_2addr_b64 v[135:138], v132 offset0:46 offset1:47
	;; [unrolled: 1-line block ×7, first 2 shown]
	v_fma_f64 v[40:41], v[118:119], v[28:29], v[40:41]
	v_fma_f64 v[28:29], v[116:117], v[28:29], -v[30:31]
	s_waitcnt lgkmcnt(6)
	s_delay_alu instid0(VALU_DEP_2)
	v_mul_f64 v[30:31], v[126:127], v[40:41]
	v_mul_f64 v[42:43], v[124:125], v[40:41]
	s_waitcnt lgkmcnt(5)
	v_mul_f64 v[44:45], v[137:138], v[40:41]
	v_mul_f64 v[46:47], v[135:136], v[40:41]
	s_waitcnt lgkmcnt(4)
	;; [unrolled: 3-line block ×6, first 2 shown]
	v_mul_f64 v[163:164], v[157:158], v[40:41]
	v_mul_f64 v[165:166], v[155:156], v[40:41]
	v_fma_f64 v[30:31], v[124:125], v[28:29], -v[30:31]
	v_fma_f64 v[42:43], v[126:127], v[28:29], v[42:43]
	v_fma_f64 v[44:45], v[135:136], v[28:29], -v[44:45]
	v_fma_f64 v[46:47], v[137:138], v[28:29], v[46:47]
	;; [unrolled: 2-line block ×7, first 2 shown]
	v_add_f64 v[24:25], v[24:25], -v[30:31]
	v_add_f64 v[26:27], v[26:27], -v[42:43]
	;; [unrolled: 1-line block ×14, first 2 shown]
	v_dual_mov_b32 v30, v40 :: v_dual_mov_b32 v31, v41
.LBB56_461:
	s_or_b32 exec_lo, exec_lo, s2
	v_lshl_add_u32 v40, v134, 4, v132
	s_barrier
	buffer_gl0_inv
	v_mov_b32_e32 v124, 22
	ds_store_2addr_b64 v40, v[24:25], v[26:27] offset1:1
	s_waitcnt lgkmcnt(0)
	s_barrier
	buffer_gl0_inv
	ds_load_2addr_b64 v[116:119], v132 offset0:44 offset1:45
	s_cmp_lt_i32 s5, 24
	s_cbranch_scc1 .LBB56_464
; %bb.462:
	v_add3_u32 v125, v130, 0, 0x170
	v_mov_b32_e32 v124, 22
	s_mov_b32 s6, 23
	s_set_inst_prefetch_distance 0x1
	.p2align	6
.LBB56_463:                             ; =>This Inner Loop Header: Depth=1
	ds_load_2addr_b64 v[135:138], v125 offset1:1
	s_waitcnt lgkmcnt(1)
	v_cmp_gt_f64_e32 vcc_lo, 0, v[116:117]
	v_xor_b32_e32 v40, 0x80000000, v117
	v_cmp_gt_f64_e64 s2, 0, v[118:119]
	v_xor_b32_e32 v42, 0x80000000, v119
	v_add_nc_u32_e32 v125, 16, v125
	s_waitcnt lgkmcnt(0)
	v_cmp_gt_f64_e64 s3, 0, v[135:136]
	v_mov_b32_e32 v44, v135
	v_mov_b32_e32 v46, v137
	v_cndmask_b32_e32 v41, v117, v40, vcc_lo
	v_xor_b32_e32 v40, 0x80000000, v136
	v_cndmask_b32_e64 v43, v119, v42, s2
	v_xor_b32_e32 v42, 0x80000000, v138
	s_delay_alu instid0(VALU_DEP_3) | instskip(SKIP_2) | instid1(VALU_DEP_2)
	v_cndmask_b32_e64 v45, v136, v40, s3
	v_cmp_gt_f64_e64 s3, 0, v[137:138]
	v_cndmask_b32_e32 v40, v116, v116, vcc_lo
	v_cndmask_b32_e64 v47, v138, v42, s3
	v_cndmask_b32_e64 v42, v118, v118, s2
	s_delay_alu instid0(VALU_DEP_2) | instskip(NEXT) | instid1(VALU_DEP_2)
	v_add_f64 v[44:45], v[44:45], v[46:47]
	v_add_f64 v[40:41], v[40:41], v[42:43]
	s_delay_alu instid0(VALU_DEP_1) | instskip(SKIP_4) | instid1(SALU_CYCLE_1)
	v_cmp_lt_f64_e32 vcc_lo, v[40:41], v[44:45]
	v_dual_cndmask_b32 v117, v117, v136 :: v_dual_cndmask_b32 v116, v116, v135
	v_dual_cndmask_b32 v119, v119, v138 :: v_dual_cndmask_b32 v118, v118, v137
	v_cndmask_b32_e64 v124, v124, s6, vcc_lo
	s_add_i32 s6, s6, 1
	s_cmp_lg_u32 s5, s6
	s_cbranch_scc1 .LBB56_463
.LBB56_464:
	s_set_inst_prefetch_distance 0x2
	s_waitcnt lgkmcnt(0)
	v_cmp_eq_f64_e32 vcc_lo, 0, v[116:117]
	v_cmp_eq_f64_e64 s2, 0, v[118:119]
	s_delay_alu instid0(VALU_DEP_1) | instskip(NEXT) | instid1(SALU_CYCLE_1)
	s_and_b32 s2, vcc_lo, s2
	s_and_saveexec_b32 s3, s2
	s_delay_alu instid0(SALU_CYCLE_1)
	s_xor_b32 s2, exec_lo, s3
; %bb.465:
	v_cmp_ne_u32_e32 vcc_lo, 0, v129
	v_cndmask_b32_e32 v129, 23, v129, vcc_lo
; %bb.466:
	s_and_not1_saveexec_b32 s3, s2
	s_cbranch_execz .LBB56_472
; %bb.467:
	v_cmp_gt_f64_e32 vcc_lo, 0, v[116:117]
	v_cmp_gt_f64_e64 s2, 0, v[118:119]
	v_xor_b32_e32 v40, 0x80000000, v117
	v_xor_b32_e32 v42, 0x80000000, v119
	s_delay_alu instid0(VALU_DEP_2) | instskip(NEXT) | instid1(VALU_DEP_2)
	v_cndmask_b32_e32 v41, v117, v40, vcc_lo
	v_cndmask_b32_e64 v43, v119, v42, s2
	v_cndmask_b32_e32 v40, v116, v116, vcc_lo
	v_cndmask_b32_e64 v42, v118, v118, s2
	s_mov_b32 s2, exec_lo
	s_delay_alu instid0(VALU_DEP_1)
	v_cmpx_ngt_f64_e32 v[40:41], v[42:43]
	s_xor_b32 s2, exec_lo, s2
	s_cbranch_execz .LBB56_469
; %bb.468:
	v_div_scale_f64 v[40:41], null, v[118:119], v[118:119], v[116:117]
	v_div_scale_f64 v[46:47], vcc_lo, v[116:117], v[118:119], v[116:117]
	s_delay_alu instid0(VALU_DEP_2) | instskip(SKIP_2) | instid1(VALU_DEP_1)
	v_rcp_f64_e32 v[42:43], v[40:41]
	s_waitcnt_depctr 0xfff
	v_fma_f64 v[44:45], -v[40:41], v[42:43], 1.0
	v_fma_f64 v[42:43], v[42:43], v[44:45], v[42:43]
	s_delay_alu instid0(VALU_DEP_1) | instskip(NEXT) | instid1(VALU_DEP_1)
	v_fma_f64 v[44:45], -v[40:41], v[42:43], 1.0
	v_fma_f64 v[42:43], v[42:43], v[44:45], v[42:43]
	s_delay_alu instid0(VALU_DEP_1) | instskip(NEXT) | instid1(VALU_DEP_1)
	v_mul_f64 v[44:45], v[46:47], v[42:43]
	v_fma_f64 v[40:41], -v[40:41], v[44:45], v[46:47]
	s_delay_alu instid0(VALU_DEP_1) | instskip(NEXT) | instid1(VALU_DEP_1)
	v_div_fmas_f64 v[40:41], v[40:41], v[42:43], v[44:45]
	v_div_fixup_f64 v[40:41], v[40:41], v[118:119], v[116:117]
	s_delay_alu instid0(VALU_DEP_1) | instskip(NEXT) | instid1(VALU_DEP_1)
	v_fma_f64 v[42:43], v[116:117], v[40:41], v[118:119]
	v_div_scale_f64 v[44:45], null, v[42:43], v[42:43], 1.0
	s_delay_alu instid0(VALU_DEP_1) | instskip(SKIP_2) | instid1(VALU_DEP_1)
	v_rcp_f64_e32 v[46:47], v[44:45]
	s_waitcnt_depctr 0xfff
	v_fma_f64 v[112:113], -v[44:45], v[46:47], 1.0
	v_fma_f64 v[46:47], v[46:47], v[112:113], v[46:47]
	s_delay_alu instid0(VALU_DEP_1) | instskip(NEXT) | instid1(VALU_DEP_1)
	v_fma_f64 v[112:113], -v[44:45], v[46:47], 1.0
	v_fma_f64 v[46:47], v[46:47], v[112:113], v[46:47]
	v_div_scale_f64 v[112:113], vcc_lo, 1.0, v[42:43], 1.0
	s_delay_alu instid0(VALU_DEP_1) | instskip(NEXT) | instid1(VALU_DEP_1)
	v_mul_f64 v[114:115], v[112:113], v[46:47]
	v_fma_f64 v[44:45], -v[44:45], v[114:115], v[112:113]
	s_delay_alu instid0(VALU_DEP_1) | instskip(NEXT) | instid1(VALU_DEP_1)
	v_div_fmas_f64 v[44:45], v[44:45], v[46:47], v[114:115]
	v_div_fixup_f64 v[118:119], v[44:45], v[42:43], 1.0
	s_delay_alu instid0(VALU_DEP_1)
	v_mul_f64 v[116:117], v[40:41], v[118:119]
	v_xor_b32_e32 v119, 0x80000000, v119
.LBB56_469:
	s_and_not1_saveexec_b32 s2, s2
	s_cbranch_execz .LBB56_471
; %bb.470:
	s_delay_alu instid0(VALU_DEP_1) | instskip(SKIP_1) | instid1(VALU_DEP_2)
	v_div_scale_f64 v[40:41], null, v[116:117], v[116:117], v[118:119]
	v_div_scale_f64 v[46:47], vcc_lo, v[118:119], v[116:117], v[118:119]
	v_rcp_f64_e32 v[42:43], v[40:41]
	s_waitcnt_depctr 0xfff
	v_fma_f64 v[44:45], -v[40:41], v[42:43], 1.0
	s_delay_alu instid0(VALU_DEP_1) | instskip(NEXT) | instid1(VALU_DEP_1)
	v_fma_f64 v[42:43], v[42:43], v[44:45], v[42:43]
	v_fma_f64 v[44:45], -v[40:41], v[42:43], 1.0
	s_delay_alu instid0(VALU_DEP_1) | instskip(NEXT) | instid1(VALU_DEP_1)
	v_fma_f64 v[42:43], v[42:43], v[44:45], v[42:43]
	v_mul_f64 v[44:45], v[46:47], v[42:43]
	s_delay_alu instid0(VALU_DEP_1) | instskip(NEXT) | instid1(VALU_DEP_1)
	v_fma_f64 v[40:41], -v[40:41], v[44:45], v[46:47]
	v_div_fmas_f64 v[40:41], v[40:41], v[42:43], v[44:45]
	s_delay_alu instid0(VALU_DEP_1) | instskip(NEXT) | instid1(VALU_DEP_1)
	v_div_fixup_f64 v[40:41], v[40:41], v[116:117], v[118:119]
	v_fma_f64 v[42:43], v[118:119], v[40:41], v[116:117]
	s_delay_alu instid0(VALU_DEP_1) | instskip(NEXT) | instid1(VALU_DEP_1)
	v_div_scale_f64 v[44:45], null, v[42:43], v[42:43], 1.0
	v_rcp_f64_e32 v[46:47], v[44:45]
	s_waitcnt_depctr 0xfff
	v_fma_f64 v[112:113], -v[44:45], v[46:47], 1.0
	s_delay_alu instid0(VALU_DEP_1) | instskip(NEXT) | instid1(VALU_DEP_1)
	v_fma_f64 v[46:47], v[46:47], v[112:113], v[46:47]
	v_fma_f64 v[112:113], -v[44:45], v[46:47], 1.0
	s_delay_alu instid0(VALU_DEP_1) | instskip(SKIP_1) | instid1(VALU_DEP_1)
	v_fma_f64 v[46:47], v[46:47], v[112:113], v[46:47]
	v_div_scale_f64 v[112:113], vcc_lo, 1.0, v[42:43], 1.0
	v_mul_f64 v[114:115], v[112:113], v[46:47]
	s_delay_alu instid0(VALU_DEP_1) | instskip(NEXT) | instid1(VALU_DEP_1)
	v_fma_f64 v[44:45], -v[44:45], v[114:115], v[112:113]
	v_div_fmas_f64 v[44:45], v[44:45], v[46:47], v[114:115]
	s_delay_alu instid0(VALU_DEP_1) | instskip(NEXT) | instid1(VALU_DEP_1)
	v_div_fixup_f64 v[116:117], v[44:45], v[42:43], 1.0
	v_mul_f64 v[118:119], v[40:41], -v[116:117]
.LBB56_471:
	s_or_b32 exec_lo, exec_lo, s2
.LBB56_472:
	s_delay_alu instid0(SALU_CYCLE_1) | instskip(NEXT) | instid1(SALU_CYCLE_1)
	s_or_b32 exec_lo, exec_lo, s3
	s_mov_b32 s2, exec_lo
	v_cmpx_ne_u32_e64 v134, v124
	s_xor_b32 s2, exec_lo, s2
	s_cbranch_execz .LBB56_478
; %bb.473:
	s_mov_b32 s3, exec_lo
	v_cmpx_eq_u32_e32 22, v134
	s_cbranch_execz .LBB56_477
; %bb.474:
	v_cmp_ne_u32_e32 vcc_lo, 22, v124
	s_xor_b32 s6, s4, -1
	s_delay_alu instid0(SALU_CYCLE_1) | instskip(NEXT) | instid1(SALU_CYCLE_1)
	s_and_b32 s7, s6, vcc_lo
	s_and_saveexec_b32 s6, s7
	s_cbranch_execz .LBB56_476
; %bb.475:
	v_ashrrev_i32_e32 v125, 31, v124
	s_delay_alu instid0(VALU_DEP_1) | instskip(NEXT) | instid1(VALU_DEP_1)
	v_lshlrev_b64 v[40:41], 2, v[124:125]
	v_add_co_u32 v40, vcc_lo, v102, v40
	s_delay_alu instid0(VALU_DEP_2)
	v_add_co_ci_u32_e32 v41, vcc_lo, v103, v41, vcc_lo
	s_clause 0x1
	flat_load_b32 v42, v[40:41]
	flat_load_b32 v43, v[102:103] offset:88
	s_waitcnt vmcnt(1) lgkmcnt(1)
	flat_store_b32 v[102:103], v42 offset:88
	s_waitcnt vmcnt(0) lgkmcnt(1)
	flat_store_b32 v[40:41], v43
.LBB56_476:
	s_or_b32 exec_lo, exec_lo, s6
	v_mov_b32_e32 v134, v124
	v_mov_b32_e32 v255, v124
.LBB56_477:
	s_or_b32 exec_lo, exec_lo, s3
.LBB56_478:
	s_and_not1_saveexec_b32 s2, s2
	s_cbranch_execz .LBB56_480
; %bb.479:
	v_mov_b32_e32 v134, 22
	ds_store_2addr_b64 v132, v[20:21], v[22:23] offset0:46 offset1:47
	ds_store_2addr_b64 v132, v[16:17], v[18:19] offset0:48 offset1:49
	;; [unrolled: 1-line block ×6, first 2 shown]
.LBB56_480:
	s_or_b32 exec_lo, exec_lo, s2
	s_delay_alu instid0(SALU_CYCLE_1)
	s_mov_b32 s2, exec_lo
	s_waitcnt lgkmcnt(0)
	s_waitcnt_vscnt null, 0x0
	s_barrier
	buffer_gl0_inv
	v_cmpx_lt_i32_e32 22, v134
	s_cbranch_execz .LBB56_482
; %bb.481:
	v_mul_f64 v[40:41], v[116:117], v[26:27]
	v_mul_f64 v[26:27], v[118:119], v[26:27]
	ds_load_2addr_b64 v[124:127], v132 offset0:46 offset1:47
	ds_load_2addr_b64 v[135:138], v132 offset0:48 offset1:49
	;; [unrolled: 1-line block ×6, first 2 shown]
	v_fma_f64 v[40:41], v[118:119], v[24:25], v[40:41]
	v_fma_f64 v[24:25], v[116:117], v[24:25], -v[26:27]
	s_waitcnt lgkmcnt(5)
	s_delay_alu instid0(VALU_DEP_2)
	v_mul_f64 v[26:27], v[126:127], v[40:41]
	v_mul_f64 v[42:43], v[124:125], v[40:41]
	s_waitcnt lgkmcnt(4)
	v_mul_f64 v[44:45], v[137:138], v[40:41]
	v_mul_f64 v[46:47], v[135:136], v[40:41]
	s_waitcnt lgkmcnt(3)
	;; [unrolled: 3-line block ×5, first 2 shown]
	v_mul_f64 v[155:156], v[153:154], v[40:41]
	v_mul_f64 v[157:158], v[151:152], v[40:41]
	v_fma_f64 v[26:27], v[124:125], v[24:25], -v[26:27]
	v_fma_f64 v[42:43], v[126:127], v[24:25], v[42:43]
	v_fma_f64 v[44:45], v[135:136], v[24:25], -v[44:45]
	v_fma_f64 v[46:47], v[137:138], v[24:25], v[46:47]
	v_fma_f64 v[112:113], v[139:140], v[24:25], -v[112:113]
	v_fma_f64 v[114:115], v[141:142], v[24:25], v[114:115]
	v_fma_f64 v[116:117], v[143:144], v[24:25], -v[116:117]
	v_fma_f64 v[118:119], v[145:146], v[24:25], v[118:119]
	v_fma_f64 v[120:121], v[147:148], v[24:25], -v[120:121]
	v_fma_f64 v[122:123], v[149:150], v[24:25], v[122:123]
	v_fma_f64 v[124:125], v[151:152], v[24:25], -v[155:156]
	v_fma_f64 v[126:127], v[153:154], v[24:25], v[157:158]
	v_add_f64 v[20:21], v[20:21], -v[26:27]
	v_add_f64 v[22:23], v[22:23], -v[42:43]
	;; [unrolled: 1-line block ×12, first 2 shown]
	v_dual_mov_b32 v26, v40 :: v_dual_mov_b32 v27, v41
.LBB56_482:
	s_or_b32 exec_lo, exec_lo, s2
	v_lshl_add_u32 v40, v134, 4, v132
	s_barrier
	buffer_gl0_inv
	v_mov_b32_e32 v124, 23
	ds_store_2addr_b64 v40, v[20:21], v[22:23] offset1:1
	s_waitcnt lgkmcnt(0)
	s_barrier
	buffer_gl0_inv
	ds_load_2addr_b64 v[116:119], v132 offset0:46 offset1:47
	s_cmp_lt_i32 s5, 25
	s_cbranch_scc1 .LBB56_485
; %bb.483:
	v_add3_u32 v125, v130, 0, 0x180
	v_mov_b32_e32 v124, 23
	s_mov_b32 s6, 24
	s_set_inst_prefetch_distance 0x1
	.p2align	6
.LBB56_484:                             ; =>This Inner Loop Header: Depth=1
	ds_load_2addr_b64 v[135:138], v125 offset1:1
	s_waitcnt lgkmcnt(1)
	v_cmp_gt_f64_e32 vcc_lo, 0, v[116:117]
	v_xor_b32_e32 v40, 0x80000000, v117
	v_cmp_gt_f64_e64 s2, 0, v[118:119]
	v_xor_b32_e32 v42, 0x80000000, v119
	v_add_nc_u32_e32 v125, 16, v125
	s_waitcnt lgkmcnt(0)
	v_cmp_gt_f64_e64 s3, 0, v[135:136]
	v_mov_b32_e32 v44, v135
	v_mov_b32_e32 v46, v137
	v_cndmask_b32_e32 v41, v117, v40, vcc_lo
	v_xor_b32_e32 v40, 0x80000000, v136
	v_cndmask_b32_e64 v43, v119, v42, s2
	v_xor_b32_e32 v42, 0x80000000, v138
	s_delay_alu instid0(VALU_DEP_3) | instskip(SKIP_2) | instid1(VALU_DEP_2)
	v_cndmask_b32_e64 v45, v136, v40, s3
	v_cmp_gt_f64_e64 s3, 0, v[137:138]
	v_cndmask_b32_e32 v40, v116, v116, vcc_lo
	v_cndmask_b32_e64 v47, v138, v42, s3
	v_cndmask_b32_e64 v42, v118, v118, s2
	s_delay_alu instid0(VALU_DEP_2) | instskip(NEXT) | instid1(VALU_DEP_2)
	v_add_f64 v[44:45], v[44:45], v[46:47]
	v_add_f64 v[40:41], v[40:41], v[42:43]
	s_delay_alu instid0(VALU_DEP_1) | instskip(SKIP_4) | instid1(SALU_CYCLE_1)
	v_cmp_lt_f64_e32 vcc_lo, v[40:41], v[44:45]
	v_dual_cndmask_b32 v117, v117, v136 :: v_dual_cndmask_b32 v116, v116, v135
	v_dual_cndmask_b32 v119, v119, v138 :: v_dual_cndmask_b32 v118, v118, v137
	v_cndmask_b32_e64 v124, v124, s6, vcc_lo
	s_add_i32 s6, s6, 1
	s_cmp_lg_u32 s5, s6
	s_cbranch_scc1 .LBB56_484
.LBB56_485:
	s_set_inst_prefetch_distance 0x2
	s_waitcnt lgkmcnt(0)
	v_cmp_eq_f64_e32 vcc_lo, 0, v[116:117]
	v_cmp_eq_f64_e64 s2, 0, v[118:119]
	s_delay_alu instid0(VALU_DEP_1) | instskip(NEXT) | instid1(SALU_CYCLE_1)
	s_and_b32 s2, vcc_lo, s2
	s_and_saveexec_b32 s3, s2
	s_delay_alu instid0(SALU_CYCLE_1)
	s_xor_b32 s2, exec_lo, s3
; %bb.486:
	v_cmp_ne_u32_e32 vcc_lo, 0, v129
	v_cndmask_b32_e32 v129, 24, v129, vcc_lo
; %bb.487:
	s_and_not1_saveexec_b32 s3, s2
	s_cbranch_execz .LBB56_493
; %bb.488:
	v_cmp_gt_f64_e32 vcc_lo, 0, v[116:117]
	v_cmp_gt_f64_e64 s2, 0, v[118:119]
	v_xor_b32_e32 v40, 0x80000000, v117
	v_xor_b32_e32 v42, 0x80000000, v119
	s_delay_alu instid0(VALU_DEP_2) | instskip(NEXT) | instid1(VALU_DEP_2)
	v_cndmask_b32_e32 v41, v117, v40, vcc_lo
	v_cndmask_b32_e64 v43, v119, v42, s2
	v_cndmask_b32_e32 v40, v116, v116, vcc_lo
	v_cndmask_b32_e64 v42, v118, v118, s2
	s_mov_b32 s2, exec_lo
	s_delay_alu instid0(VALU_DEP_1)
	v_cmpx_ngt_f64_e32 v[40:41], v[42:43]
	s_xor_b32 s2, exec_lo, s2
	s_cbranch_execz .LBB56_490
; %bb.489:
	v_div_scale_f64 v[40:41], null, v[118:119], v[118:119], v[116:117]
	v_div_scale_f64 v[46:47], vcc_lo, v[116:117], v[118:119], v[116:117]
	s_delay_alu instid0(VALU_DEP_2) | instskip(SKIP_2) | instid1(VALU_DEP_1)
	v_rcp_f64_e32 v[42:43], v[40:41]
	s_waitcnt_depctr 0xfff
	v_fma_f64 v[44:45], -v[40:41], v[42:43], 1.0
	v_fma_f64 v[42:43], v[42:43], v[44:45], v[42:43]
	s_delay_alu instid0(VALU_DEP_1) | instskip(NEXT) | instid1(VALU_DEP_1)
	v_fma_f64 v[44:45], -v[40:41], v[42:43], 1.0
	v_fma_f64 v[42:43], v[42:43], v[44:45], v[42:43]
	s_delay_alu instid0(VALU_DEP_1) | instskip(NEXT) | instid1(VALU_DEP_1)
	v_mul_f64 v[44:45], v[46:47], v[42:43]
	v_fma_f64 v[40:41], -v[40:41], v[44:45], v[46:47]
	s_delay_alu instid0(VALU_DEP_1) | instskip(NEXT) | instid1(VALU_DEP_1)
	v_div_fmas_f64 v[40:41], v[40:41], v[42:43], v[44:45]
	v_div_fixup_f64 v[40:41], v[40:41], v[118:119], v[116:117]
	s_delay_alu instid0(VALU_DEP_1) | instskip(NEXT) | instid1(VALU_DEP_1)
	v_fma_f64 v[42:43], v[116:117], v[40:41], v[118:119]
	v_div_scale_f64 v[44:45], null, v[42:43], v[42:43], 1.0
	s_delay_alu instid0(VALU_DEP_1) | instskip(SKIP_2) | instid1(VALU_DEP_1)
	v_rcp_f64_e32 v[46:47], v[44:45]
	s_waitcnt_depctr 0xfff
	v_fma_f64 v[112:113], -v[44:45], v[46:47], 1.0
	v_fma_f64 v[46:47], v[46:47], v[112:113], v[46:47]
	s_delay_alu instid0(VALU_DEP_1) | instskip(NEXT) | instid1(VALU_DEP_1)
	v_fma_f64 v[112:113], -v[44:45], v[46:47], 1.0
	v_fma_f64 v[46:47], v[46:47], v[112:113], v[46:47]
	v_div_scale_f64 v[112:113], vcc_lo, 1.0, v[42:43], 1.0
	s_delay_alu instid0(VALU_DEP_1) | instskip(NEXT) | instid1(VALU_DEP_1)
	v_mul_f64 v[114:115], v[112:113], v[46:47]
	v_fma_f64 v[44:45], -v[44:45], v[114:115], v[112:113]
	s_delay_alu instid0(VALU_DEP_1) | instskip(NEXT) | instid1(VALU_DEP_1)
	v_div_fmas_f64 v[44:45], v[44:45], v[46:47], v[114:115]
	v_div_fixup_f64 v[118:119], v[44:45], v[42:43], 1.0
	s_delay_alu instid0(VALU_DEP_1)
	v_mul_f64 v[116:117], v[40:41], v[118:119]
	v_xor_b32_e32 v119, 0x80000000, v119
.LBB56_490:
	s_and_not1_saveexec_b32 s2, s2
	s_cbranch_execz .LBB56_492
; %bb.491:
	s_delay_alu instid0(VALU_DEP_1) | instskip(SKIP_1) | instid1(VALU_DEP_2)
	v_div_scale_f64 v[40:41], null, v[116:117], v[116:117], v[118:119]
	v_div_scale_f64 v[46:47], vcc_lo, v[118:119], v[116:117], v[118:119]
	v_rcp_f64_e32 v[42:43], v[40:41]
	s_waitcnt_depctr 0xfff
	v_fma_f64 v[44:45], -v[40:41], v[42:43], 1.0
	s_delay_alu instid0(VALU_DEP_1) | instskip(NEXT) | instid1(VALU_DEP_1)
	v_fma_f64 v[42:43], v[42:43], v[44:45], v[42:43]
	v_fma_f64 v[44:45], -v[40:41], v[42:43], 1.0
	s_delay_alu instid0(VALU_DEP_1) | instskip(NEXT) | instid1(VALU_DEP_1)
	v_fma_f64 v[42:43], v[42:43], v[44:45], v[42:43]
	v_mul_f64 v[44:45], v[46:47], v[42:43]
	s_delay_alu instid0(VALU_DEP_1) | instskip(NEXT) | instid1(VALU_DEP_1)
	v_fma_f64 v[40:41], -v[40:41], v[44:45], v[46:47]
	v_div_fmas_f64 v[40:41], v[40:41], v[42:43], v[44:45]
	s_delay_alu instid0(VALU_DEP_1) | instskip(NEXT) | instid1(VALU_DEP_1)
	v_div_fixup_f64 v[40:41], v[40:41], v[116:117], v[118:119]
	v_fma_f64 v[42:43], v[118:119], v[40:41], v[116:117]
	s_delay_alu instid0(VALU_DEP_1) | instskip(NEXT) | instid1(VALU_DEP_1)
	v_div_scale_f64 v[44:45], null, v[42:43], v[42:43], 1.0
	v_rcp_f64_e32 v[46:47], v[44:45]
	s_waitcnt_depctr 0xfff
	v_fma_f64 v[112:113], -v[44:45], v[46:47], 1.0
	s_delay_alu instid0(VALU_DEP_1) | instskip(NEXT) | instid1(VALU_DEP_1)
	v_fma_f64 v[46:47], v[46:47], v[112:113], v[46:47]
	v_fma_f64 v[112:113], -v[44:45], v[46:47], 1.0
	s_delay_alu instid0(VALU_DEP_1) | instskip(SKIP_1) | instid1(VALU_DEP_1)
	v_fma_f64 v[46:47], v[46:47], v[112:113], v[46:47]
	v_div_scale_f64 v[112:113], vcc_lo, 1.0, v[42:43], 1.0
	v_mul_f64 v[114:115], v[112:113], v[46:47]
	s_delay_alu instid0(VALU_DEP_1) | instskip(NEXT) | instid1(VALU_DEP_1)
	v_fma_f64 v[44:45], -v[44:45], v[114:115], v[112:113]
	v_div_fmas_f64 v[44:45], v[44:45], v[46:47], v[114:115]
	s_delay_alu instid0(VALU_DEP_1) | instskip(NEXT) | instid1(VALU_DEP_1)
	v_div_fixup_f64 v[116:117], v[44:45], v[42:43], 1.0
	v_mul_f64 v[118:119], v[40:41], -v[116:117]
.LBB56_492:
	s_or_b32 exec_lo, exec_lo, s2
.LBB56_493:
	s_delay_alu instid0(SALU_CYCLE_1) | instskip(NEXT) | instid1(SALU_CYCLE_1)
	s_or_b32 exec_lo, exec_lo, s3
	s_mov_b32 s2, exec_lo
	v_cmpx_ne_u32_e64 v134, v124
	s_xor_b32 s2, exec_lo, s2
	s_cbranch_execz .LBB56_499
; %bb.494:
	s_mov_b32 s3, exec_lo
	v_cmpx_eq_u32_e32 23, v134
	s_cbranch_execz .LBB56_498
; %bb.495:
	v_cmp_ne_u32_e32 vcc_lo, 23, v124
	s_xor_b32 s6, s4, -1
	s_delay_alu instid0(SALU_CYCLE_1) | instskip(NEXT) | instid1(SALU_CYCLE_1)
	s_and_b32 s7, s6, vcc_lo
	s_and_saveexec_b32 s6, s7
	s_cbranch_execz .LBB56_497
; %bb.496:
	v_ashrrev_i32_e32 v125, 31, v124
	s_delay_alu instid0(VALU_DEP_1) | instskip(NEXT) | instid1(VALU_DEP_1)
	v_lshlrev_b64 v[40:41], 2, v[124:125]
	v_add_co_u32 v40, vcc_lo, v102, v40
	s_delay_alu instid0(VALU_DEP_2)
	v_add_co_ci_u32_e32 v41, vcc_lo, v103, v41, vcc_lo
	s_clause 0x1
	flat_load_b32 v42, v[40:41]
	flat_load_b32 v43, v[102:103] offset:92
	s_waitcnt vmcnt(1) lgkmcnt(1)
	flat_store_b32 v[102:103], v42 offset:92
	s_waitcnt vmcnt(0) lgkmcnt(1)
	flat_store_b32 v[40:41], v43
.LBB56_497:
	s_or_b32 exec_lo, exec_lo, s6
	v_mov_b32_e32 v134, v124
	v_mov_b32_e32 v255, v124
.LBB56_498:
	s_or_b32 exec_lo, exec_lo, s3
.LBB56_499:
	s_and_not1_saveexec_b32 s2, s2
	s_cbranch_execz .LBB56_501
; %bb.500:
	v_mov_b32_e32 v134, 23
	ds_store_2addr_b64 v132, v[16:17], v[18:19] offset0:48 offset1:49
	ds_store_2addr_b64 v132, v[12:13], v[14:15] offset0:50 offset1:51
	;; [unrolled: 1-line block ×5, first 2 shown]
.LBB56_501:
	s_or_b32 exec_lo, exec_lo, s2
	s_delay_alu instid0(SALU_CYCLE_1)
	s_mov_b32 s2, exec_lo
	s_waitcnt lgkmcnt(0)
	s_waitcnt_vscnt null, 0x0
	s_barrier
	buffer_gl0_inv
	v_cmpx_lt_i32_e32 23, v134
	s_cbranch_execz .LBB56_503
; %bb.502:
	v_mul_f64 v[40:41], v[116:117], v[22:23]
	v_mul_f64 v[22:23], v[118:119], v[22:23]
	ds_load_2addr_b64 v[124:127], v132 offset0:48 offset1:49
	ds_load_2addr_b64 v[135:138], v132 offset0:50 offset1:51
	;; [unrolled: 1-line block ×5, first 2 shown]
	v_fma_f64 v[40:41], v[118:119], v[20:21], v[40:41]
	v_fma_f64 v[20:21], v[116:117], v[20:21], -v[22:23]
	s_waitcnt lgkmcnt(4)
	s_delay_alu instid0(VALU_DEP_2)
	v_mul_f64 v[22:23], v[126:127], v[40:41]
	v_mul_f64 v[42:43], v[124:125], v[40:41]
	s_waitcnt lgkmcnt(3)
	v_mul_f64 v[44:45], v[137:138], v[40:41]
	v_mul_f64 v[46:47], v[135:136], v[40:41]
	s_waitcnt lgkmcnt(2)
	;; [unrolled: 3-line block ×4, first 2 shown]
	v_mul_f64 v[120:121], v[149:150], v[40:41]
	v_mul_f64 v[122:123], v[147:148], v[40:41]
	v_fma_f64 v[22:23], v[124:125], v[20:21], -v[22:23]
	v_fma_f64 v[42:43], v[126:127], v[20:21], v[42:43]
	v_fma_f64 v[44:45], v[135:136], v[20:21], -v[44:45]
	v_fma_f64 v[46:47], v[137:138], v[20:21], v[46:47]
	;; [unrolled: 2-line block ×5, first 2 shown]
	v_add_f64 v[16:17], v[16:17], -v[22:23]
	v_add_f64 v[18:19], v[18:19], -v[42:43]
	;; [unrolled: 1-line block ×10, first 2 shown]
	v_dual_mov_b32 v22, v40 :: v_dual_mov_b32 v23, v41
.LBB56_503:
	s_or_b32 exec_lo, exec_lo, s2
	v_lshl_add_u32 v40, v134, 4, v132
	s_barrier
	buffer_gl0_inv
	v_mov_b32_e32 v124, 24
	ds_store_2addr_b64 v40, v[16:17], v[18:19] offset1:1
	s_waitcnt lgkmcnt(0)
	s_barrier
	buffer_gl0_inv
	ds_load_2addr_b64 v[116:119], v132 offset0:48 offset1:49
	s_cmp_lt_i32 s5, 26
	s_cbranch_scc1 .LBB56_506
; %bb.504:
	v_add3_u32 v125, v130, 0, 0x190
	v_mov_b32_e32 v124, 24
	s_mov_b32 s6, 25
	s_set_inst_prefetch_distance 0x1
	.p2align	6
.LBB56_505:                             ; =>This Inner Loop Header: Depth=1
	ds_load_2addr_b64 v[135:138], v125 offset1:1
	s_waitcnt lgkmcnt(1)
	v_cmp_gt_f64_e32 vcc_lo, 0, v[116:117]
	v_xor_b32_e32 v40, 0x80000000, v117
	v_cmp_gt_f64_e64 s2, 0, v[118:119]
	v_xor_b32_e32 v42, 0x80000000, v119
	v_add_nc_u32_e32 v125, 16, v125
	s_waitcnt lgkmcnt(0)
	v_cmp_gt_f64_e64 s3, 0, v[135:136]
	v_mov_b32_e32 v44, v135
	v_mov_b32_e32 v46, v137
	v_cndmask_b32_e32 v41, v117, v40, vcc_lo
	v_xor_b32_e32 v40, 0x80000000, v136
	v_cndmask_b32_e64 v43, v119, v42, s2
	v_xor_b32_e32 v42, 0x80000000, v138
	s_delay_alu instid0(VALU_DEP_3) | instskip(SKIP_2) | instid1(VALU_DEP_2)
	v_cndmask_b32_e64 v45, v136, v40, s3
	v_cmp_gt_f64_e64 s3, 0, v[137:138]
	v_cndmask_b32_e32 v40, v116, v116, vcc_lo
	v_cndmask_b32_e64 v47, v138, v42, s3
	v_cndmask_b32_e64 v42, v118, v118, s2
	s_delay_alu instid0(VALU_DEP_2) | instskip(NEXT) | instid1(VALU_DEP_2)
	v_add_f64 v[44:45], v[44:45], v[46:47]
	v_add_f64 v[40:41], v[40:41], v[42:43]
	s_delay_alu instid0(VALU_DEP_1) | instskip(SKIP_4) | instid1(SALU_CYCLE_1)
	v_cmp_lt_f64_e32 vcc_lo, v[40:41], v[44:45]
	v_dual_cndmask_b32 v117, v117, v136 :: v_dual_cndmask_b32 v116, v116, v135
	v_dual_cndmask_b32 v119, v119, v138 :: v_dual_cndmask_b32 v118, v118, v137
	v_cndmask_b32_e64 v124, v124, s6, vcc_lo
	s_add_i32 s6, s6, 1
	s_cmp_lg_u32 s5, s6
	s_cbranch_scc1 .LBB56_505
.LBB56_506:
	s_set_inst_prefetch_distance 0x2
	s_waitcnt lgkmcnt(0)
	v_cmp_eq_f64_e32 vcc_lo, 0, v[116:117]
	v_cmp_eq_f64_e64 s2, 0, v[118:119]
	s_delay_alu instid0(VALU_DEP_1) | instskip(NEXT) | instid1(SALU_CYCLE_1)
	s_and_b32 s2, vcc_lo, s2
	s_and_saveexec_b32 s3, s2
	s_delay_alu instid0(SALU_CYCLE_1)
	s_xor_b32 s2, exec_lo, s3
; %bb.507:
	v_cmp_ne_u32_e32 vcc_lo, 0, v129
	v_cndmask_b32_e32 v129, 25, v129, vcc_lo
; %bb.508:
	s_and_not1_saveexec_b32 s3, s2
	s_cbranch_execz .LBB56_514
; %bb.509:
	v_cmp_gt_f64_e32 vcc_lo, 0, v[116:117]
	v_cmp_gt_f64_e64 s2, 0, v[118:119]
	v_xor_b32_e32 v40, 0x80000000, v117
	v_xor_b32_e32 v42, 0x80000000, v119
	s_delay_alu instid0(VALU_DEP_2) | instskip(NEXT) | instid1(VALU_DEP_2)
	v_cndmask_b32_e32 v41, v117, v40, vcc_lo
	v_cndmask_b32_e64 v43, v119, v42, s2
	v_cndmask_b32_e32 v40, v116, v116, vcc_lo
	v_cndmask_b32_e64 v42, v118, v118, s2
	s_mov_b32 s2, exec_lo
	s_delay_alu instid0(VALU_DEP_1)
	v_cmpx_ngt_f64_e32 v[40:41], v[42:43]
	s_xor_b32 s2, exec_lo, s2
	s_cbranch_execz .LBB56_511
; %bb.510:
	v_div_scale_f64 v[40:41], null, v[118:119], v[118:119], v[116:117]
	v_div_scale_f64 v[46:47], vcc_lo, v[116:117], v[118:119], v[116:117]
	s_delay_alu instid0(VALU_DEP_2) | instskip(SKIP_2) | instid1(VALU_DEP_1)
	v_rcp_f64_e32 v[42:43], v[40:41]
	s_waitcnt_depctr 0xfff
	v_fma_f64 v[44:45], -v[40:41], v[42:43], 1.0
	v_fma_f64 v[42:43], v[42:43], v[44:45], v[42:43]
	s_delay_alu instid0(VALU_DEP_1) | instskip(NEXT) | instid1(VALU_DEP_1)
	v_fma_f64 v[44:45], -v[40:41], v[42:43], 1.0
	v_fma_f64 v[42:43], v[42:43], v[44:45], v[42:43]
	s_delay_alu instid0(VALU_DEP_1) | instskip(NEXT) | instid1(VALU_DEP_1)
	v_mul_f64 v[44:45], v[46:47], v[42:43]
	v_fma_f64 v[40:41], -v[40:41], v[44:45], v[46:47]
	s_delay_alu instid0(VALU_DEP_1) | instskip(NEXT) | instid1(VALU_DEP_1)
	v_div_fmas_f64 v[40:41], v[40:41], v[42:43], v[44:45]
	v_div_fixup_f64 v[40:41], v[40:41], v[118:119], v[116:117]
	s_delay_alu instid0(VALU_DEP_1) | instskip(NEXT) | instid1(VALU_DEP_1)
	v_fma_f64 v[42:43], v[116:117], v[40:41], v[118:119]
	v_div_scale_f64 v[44:45], null, v[42:43], v[42:43], 1.0
	s_delay_alu instid0(VALU_DEP_1) | instskip(SKIP_2) | instid1(VALU_DEP_1)
	v_rcp_f64_e32 v[46:47], v[44:45]
	s_waitcnt_depctr 0xfff
	v_fma_f64 v[112:113], -v[44:45], v[46:47], 1.0
	v_fma_f64 v[46:47], v[46:47], v[112:113], v[46:47]
	s_delay_alu instid0(VALU_DEP_1) | instskip(NEXT) | instid1(VALU_DEP_1)
	v_fma_f64 v[112:113], -v[44:45], v[46:47], 1.0
	v_fma_f64 v[46:47], v[46:47], v[112:113], v[46:47]
	v_div_scale_f64 v[112:113], vcc_lo, 1.0, v[42:43], 1.0
	s_delay_alu instid0(VALU_DEP_1) | instskip(NEXT) | instid1(VALU_DEP_1)
	v_mul_f64 v[114:115], v[112:113], v[46:47]
	v_fma_f64 v[44:45], -v[44:45], v[114:115], v[112:113]
	s_delay_alu instid0(VALU_DEP_1) | instskip(NEXT) | instid1(VALU_DEP_1)
	v_div_fmas_f64 v[44:45], v[44:45], v[46:47], v[114:115]
	v_div_fixup_f64 v[118:119], v[44:45], v[42:43], 1.0
	s_delay_alu instid0(VALU_DEP_1)
	v_mul_f64 v[116:117], v[40:41], v[118:119]
	v_xor_b32_e32 v119, 0x80000000, v119
.LBB56_511:
	s_and_not1_saveexec_b32 s2, s2
	s_cbranch_execz .LBB56_513
; %bb.512:
	s_delay_alu instid0(VALU_DEP_1) | instskip(SKIP_1) | instid1(VALU_DEP_2)
	v_div_scale_f64 v[40:41], null, v[116:117], v[116:117], v[118:119]
	v_div_scale_f64 v[46:47], vcc_lo, v[118:119], v[116:117], v[118:119]
	v_rcp_f64_e32 v[42:43], v[40:41]
	s_waitcnt_depctr 0xfff
	v_fma_f64 v[44:45], -v[40:41], v[42:43], 1.0
	s_delay_alu instid0(VALU_DEP_1) | instskip(NEXT) | instid1(VALU_DEP_1)
	v_fma_f64 v[42:43], v[42:43], v[44:45], v[42:43]
	v_fma_f64 v[44:45], -v[40:41], v[42:43], 1.0
	s_delay_alu instid0(VALU_DEP_1) | instskip(NEXT) | instid1(VALU_DEP_1)
	v_fma_f64 v[42:43], v[42:43], v[44:45], v[42:43]
	v_mul_f64 v[44:45], v[46:47], v[42:43]
	s_delay_alu instid0(VALU_DEP_1) | instskip(NEXT) | instid1(VALU_DEP_1)
	v_fma_f64 v[40:41], -v[40:41], v[44:45], v[46:47]
	v_div_fmas_f64 v[40:41], v[40:41], v[42:43], v[44:45]
	s_delay_alu instid0(VALU_DEP_1) | instskip(NEXT) | instid1(VALU_DEP_1)
	v_div_fixup_f64 v[40:41], v[40:41], v[116:117], v[118:119]
	v_fma_f64 v[42:43], v[118:119], v[40:41], v[116:117]
	s_delay_alu instid0(VALU_DEP_1) | instskip(NEXT) | instid1(VALU_DEP_1)
	v_div_scale_f64 v[44:45], null, v[42:43], v[42:43], 1.0
	v_rcp_f64_e32 v[46:47], v[44:45]
	s_waitcnt_depctr 0xfff
	v_fma_f64 v[112:113], -v[44:45], v[46:47], 1.0
	s_delay_alu instid0(VALU_DEP_1) | instskip(NEXT) | instid1(VALU_DEP_1)
	v_fma_f64 v[46:47], v[46:47], v[112:113], v[46:47]
	v_fma_f64 v[112:113], -v[44:45], v[46:47], 1.0
	s_delay_alu instid0(VALU_DEP_1) | instskip(SKIP_1) | instid1(VALU_DEP_1)
	v_fma_f64 v[46:47], v[46:47], v[112:113], v[46:47]
	v_div_scale_f64 v[112:113], vcc_lo, 1.0, v[42:43], 1.0
	v_mul_f64 v[114:115], v[112:113], v[46:47]
	s_delay_alu instid0(VALU_DEP_1) | instskip(NEXT) | instid1(VALU_DEP_1)
	v_fma_f64 v[44:45], -v[44:45], v[114:115], v[112:113]
	v_div_fmas_f64 v[44:45], v[44:45], v[46:47], v[114:115]
	s_delay_alu instid0(VALU_DEP_1) | instskip(NEXT) | instid1(VALU_DEP_1)
	v_div_fixup_f64 v[116:117], v[44:45], v[42:43], 1.0
	v_mul_f64 v[118:119], v[40:41], -v[116:117]
.LBB56_513:
	s_or_b32 exec_lo, exec_lo, s2
.LBB56_514:
	s_delay_alu instid0(SALU_CYCLE_1) | instskip(NEXT) | instid1(SALU_CYCLE_1)
	s_or_b32 exec_lo, exec_lo, s3
	s_mov_b32 s2, exec_lo
	v_cmpx_ne_u32_e64 v134, v124
	s_xor_b32 s2, exec_lo, s2
	s_cbranch_execz .LBB56_520
; %bb.515:
	s_mov_b32 s3, exec_lo
	v_cmpx_eq_u32_e32 24, v134
	s_cbranch_execz .LBB56_519
; %bb.516:
	v_cmp_ne_u32_e32 vcc_lo, 24, v124
	s_xor_b32 s6, s4, -1
	s_delay_alu instid0(SALU_CYCLE_1) | instskip(NEXT) | instid1(SALU_CYCLE_1)
	s_and_b32 s7, s6, vcc_lo
	s_and_saveexec_b32 s6, s7
	s_cbranch_execz .LBB56_518
; %bb.517:
	v_ashrrev_i32_e32 v125, 31, v124
	s_delay_alu instid0(VALU_DEP_1) | instskip(NEXT) | instid1(VALU_DEP_1)
	v_lshlrev_b64 v[40:41], 2, v[124:125]
	v_add_co_u32 v40, vcc_lo, v102, v40
	s_delay_alu instid0(VALU_DEP_2)
	v_add_co_ci_u32_e32 v41, vcc_lo, v103, v41, vcc_lo
	s_clause 0x1
	flat_load_b32 v42, v[40:41]
	flat_load_b32 v43, v[102:103] offset:96
	s_waitcnt vmcnt(1) lgkmcnt(1)
	flat_store_b32 v[102:103], v42 offset:96
	s_waitcnt vmcnt(0) lgkmcnt(1)
	flat_store_b32 v[40:41], v43
.LBB56_518:
	s_or_b32 exec_lo, exec_lo, s6
	v_mov_b32_e32 v134, v124
	v_mov_b32_e32 v255, v124
.LBB56_519:
	s_or_b32 exec_lo, exec_lo, s3
.LBB56_520:
	s_and_not1_saveexec_b32 s2, s2
	s_cbranch_execz .LBB56_522
; %bb.521:
	v_mov_b32_e32 v134, 24
	ds_store_2addr_b64 v132, v[12:13], v[14:15] offset0:50 offset1:51
	ds_store_2addr_b64 v132, v[8:9], v[10:11] offset0:52 offset1:53
	;; [unrolled: 1-line block ×4, first 2 shown]
.LBB56_522:
	s_or_b32 exec_lo, exec_lo, s2
	s_delay_alu instid0(SALU_CYCLE_1)
	s_mov_b32 s2, exec_lo
	s_waitcnt lgkmcnt(0)
	s_waitcnt_vscnt null, 0x0
	s_barrier
	buffer_gl0_inv
	v_cmpx_lt_i32_e32 24, v134
	s_cbranch_execz .LBB56_524
; %bb.523:
	v_mul_f64 v[40:41], v[116:117], v[18:19]
	v_mul_f64 v[18:19], v[118:119], v[18:19]
	ds_load_2addr_b64 v[124:127], v132 offset0:50 offset1:51
	ds_load_2addr_b64 v[135:138], v132 offset0:52 offset1:53
	ds_load_2addr_b64 v[139:142], v132 offset0:54 offset1:55
	ds_load_2addr_b64 v[143:146], v132 offset0:56 offset1:57
	v_fma_f64 v[40:41], v[118:119], v[16:17], v[40:41]
	v_fma_f64 v[16:17], v[116:117], v[16:17], -v[18:19]
	s_waitcnt lgkmcnt(3)
	s_delay_alu instid0(VALU_DEP_2)
	v_mul_f64 v[18:19], v[126:127], v[40:41]
	v_mul_f64 v[42:43], v[124:125], v[40:41]
	s_waitcnt lgkmcnt(2)
	v_mul_f64 v[44:45], v[137:138], v[40:41]
	v_mul_f64 v[46:47], v[135:136], v[40:41]
	s_waitcnt lgkmcnt(1)
	;; [unrolled: 3-line block ×3, first 2 shown]
	v_mul_f64 v[116:117], v[145:146], v[40:41]
	v_mul_f64 v[118:119], v[143:144], v[40:41]
	v_fma_f64 v[18:19], v[124:125], v[16:17], -v[18:19]
	v_fma_f64 v[42:43], v[126:127], v[16:17], v[42:43]
	v_fma_f64 v[44:45], v[135:136], v[16:17], -v[44:45]
	v_fma_f64 v[46:47], v[137:138], v[16:17], v[46:47]
	;; [unrolled: 2-line block ×4, first 2 shown]
	v_add_f64 v[12:13], v[12:13], -v[18:19]
	v_add_f64 v[14:15], v[14:15], -v[42:43]
	v_add_f64 v[8:9], v[8:9], -v[44:45]
	v_add_f64 v[10:11], v[10:11], -v[46:47]
	v_add_f64 v[4:5], v[4:5], -v[112:113]
	v_add_f64 v[6:7], v[6:7], -v[114:115]
	v_add_f64 v[0:1], v[0:1], -v[116:117]
	v_add_f64 v[2:3], v[2:3], -v[118:119]
	v_dual_mov_b32 v18, v40 :: v_dual_mov_b32 v19, v41
.LBB56_524:
	s_or_b32 exec_lo, exec_lo, s2
	v_lshl_add_u32 v40, v134, 4, v132
	s_barrier
	buffer_gl0_inv
	v_mov_b32_e32 v124, 25
	ds_store_2addr_b64 v40, v[12:13], v[14:15] offset1:1
	s_waitcnt lgkmcnt(0)
	s_barrier
	buffer_gl0_inv
	ds_load_2addr_b64 v[116:119], v132 offset0:50 offset1:51
	s_cmp_lt_i32 s5, 27
	s_cbranch_scc1 .LBB56_527
; %bb.525:
	v_add3_u32 v125, v130, 0, 0x1a0
	v_mov_b32_e32 v124, 25
	s_mov_b32 s6, 26
	s_set_inst_prefetch_distance 0x1
	.p2align	6
.LBB56_526:                             ; =>This Inner Loop Header: Depth=1
	ds_load_2addr_b64 v[135:138], v125 offset1:1
	s_waitcnt lgkmcnt(1)
	v_cmp_gt_f64_e32 vcc_lo, 0, v[116:117]
	v_xor_b32_e32 v40, 0x80000000, v117
	v_cmp_gt_f64_e64 s2, 0, v[118:119]
	v_xor_b32_e32 v42, 0x80000000, v119
	v_add_nc_u32_e32 v125, 16, v125
	s_waitcnt lgkmcnt(0)
	v_cmp_gt_f64_e64 s3, 0, v[135:136]
	v_mov_b32_e32 v44, v135
	v_mov_b32_e32 v46, v137
	v_cndmask_b32_e32 v41, v117, v40, vcc_lo
	v_xor_b32_e32 v40, 0x80000000, v136
	v_cndmask_b32_e64 v43, v119, v42, s2
	v_xor_b32_e32 v42, 0x80000000, v138
	s_delay_alu instid0(VALU_DEP_3) | instskip(SKIP_2) | instid1(VALU_DEP_2)
	v_cndmask_b32_e64 v45, v136, v40, s3
	v_cmp_gt_f64_e64 s3, 0, v[137:138]
	v_cndmask_b32_e32 v40, v116, v116, vcc_lo
	v_cndmask_b32_e64 v47, v138, v42, s3
	v_cndmask_b32_e64 v42, v118, v118, s2
	s_delay_alu instid0(VALU_DEP_2) | instskip(NEXT) | instid1(VALU_DEP_2)
	v_add_f64 v[44:45], v[44:45], v[46:47]
	v_add_f64 v[40:41], v[40:41], v[42:43]
	s_delay_alu instid0(VALU_DEP_1) | instskip(SKIP_4) | instid1(SALU_CYCLE_1)
	v_cmp_lt_f64_e32 vcc_lo, v[40:41], v[44:45]
	v_dual_cndmask_b32 v117, v117, v136 :: v_dual_cndmask_b32 v116, v116, v135
	v_dual_cndmask_b32 v119, v119, v138 :: v_dual_cndmask_b32 v118, v118, v137
	v_cndmask_b32_e64 v124, v124, s6, vcc_lo
	s_add_i32 s6, s6, 1
	s_cmp_lg_u32 s5, s6
	s_cbranch_scc1 .LBB56_526
.LBB56_527:
	s_set_inst_prefetch_distance 0x2
	s_waitcnt lgkmcnt(0)
	v_cmp_eq_f64_e32 vcc_lo, 0, v[116:117]
	v_cmp_eq_f64_e64 s2, 0, v[118:119]
	s_delay_alu instid0(VALU_DEP_1) | instskip(NEXT) | instid1(SALU_CYCLE_1)
	s_and_b32 s2, vcc_lo, s2
	s_and_saveexec_b32 s3, s2
	s_delay_alu instid0(SALU_CYCLE_1)
	s_xor_b32 s2, exec_lo, s3
; %bb.528:
	v_cmp_ne_u32_e32 vcc_lo, 0, v129
	v_cndmask_b32_e32 v129, 26, v129, vcc_lo
; %bb.529:
	s_and_not1_saveexec_b32 s3, s2
	s_cbranch_execz .LBB56_535
; %bb.530:
	v_cmp_gt_f64_e32 vcc_lo, 0, v[116:117]
	v_cmp_gt_f64_e64 s2, 0, v[118:119]
	v_xor_b32_e32 v40, 0x80000000, v117
	v_xor_b32_e32 v42, 0x80000000, v119
	s_delay_alu instid0(VALU_DEP_2) | instskip(NEXT) | instid1(VALU_DEP_2)
	v_cndmask_b32_e32 v41, v117, v40, vcc_lo
	v_cndmask_b32_e64 v43, v119, v42, s2
	v_cndmask_b32_e32 v40, v116, v116, vcc_lo
	v_cndmask_b32_e64 v42, v118, v118, s2
	s_mov_b32 s2, exec_lo
	s_delay_alu instid0(VALU_DEP_1)
	v_cmpx_ngt_f64_e32 v[40:41], v[42:43]
	s_xor_b32 s2, exec_lo, s2
	s_cbranch_execz .LBB56_532
; %bb.531:
	v_div_scale_f64 v[40:41], null, v[118:119], v[118:119], v[116:117]
	v_div_scale_f64 v[46:47], vcc_lo, v[116:117], v[118:119], v[116:117]
	s_delay_alu instid0(VALU_DEP_2) | instskip(SKIP_2) | instid1(VALU_DEP_1)
	v_rcp_f64_e32 v[42:43], v[40:41]
	s_waitcnt_depctr 0xfff
	v_fma_f64 v[44:45], -v[40:41], v[42:43], 1.0
	v_fma_f64 v[42:43], v[42:43], v[44:45], v[42:43]
	s_delay_alu instid0(VALU_DEP_1) | instskip(NEXT) | instid1(VALU_DEP_1)
	v_fma_f64 v[44:45], -v[40:41], v[42:43], 1.0
	v_fma_f64 v[42:43], v[42:43], v[44:45], v[42:43]
	s_delay_alu instid0(VALU_DEP_1) | instskip(NEXT) | instid1(VALU_DEP_1)
	v_mul_f64 v[44:45], v[46:47], v[42:43]
	v_fma_f64 v[40:41], -v[40:41], v[44:45], v[46:47]
	s_delay_alu instid0(VALU_DEP_1) | instskip(NEXT) | instid1(VALU_DEP_1)
	v_div_fmas_f64 v[40:41], v[40:41], v[42:43], v[44:45]
	v_div_fixup_f64 v[40:41], v[40:41], v[118:119], v[116:117]
	s_delay_alu instid0(VALU_DEP_1) | instskip(NEXT) | instid1(VALU_DEP_1)
	v_fma_f64 v[42:43], v[116:117], v[40:41], v[118:119]
	v_div_scale_f64 v[44:45], null, v[42:43], v[42:43], 1.0
	s_delay_alu instid0(VALU_DEP_1) | instskip(SKIP_2) | instid1(VALU_DEP_1)
	v_rcp_f64_e32 v[46:47], v[44:45]
	s_waitcnt_depctr 0xfff
	v_fma_f64 v[112:113], -v[44:45], v[46:47], 1.0
	v_fma_f64 v[46:47], v[46:47], v[112:113], v[46:47]
	s_delay_alu instid0(VALU_DEP_1) | instskip(NEXT) | instid1(VALU_DEP_1)
	v_fma_f64 v[112:113], -v[44:45], v[46:47], 1.0
	v_fma_f64 v[46:47], v[46:47], v[112:113], v[46:47]
	v_div_scale_f64 v[112:113], vcc_lo, 1.0, v[42:43], 1.0
	s_delay_alu instid0(VALU_DEP_1) | instskip(NEXT) | instid1(VALU_DEP_1)
	v_mul_f64 v[114:115], v[112:113], v[46:47]
	v_fma_f64 v[44:45], -v[44:45], v[114:115], v[112:113]
	s_delay_alu instid0(VALU_DEP_1) | instskip(NEXT) | instid1(VALU_DEP_1)
	v_div_fmas_f64 v[44:45], v[44:45], v[46:47], v[114:115]
	v_div_fixup_f64 v[118:119], v[44:45], v[42:43], 1.0
	s_delay_alu instid0(VALU_DEP_1)
	v_mul_f64 v[116:117], v[40:41], v[118:119]
	v_xor_b32_e32 v119, 0x80000000, v119
.LBB56_532:
	s_and_not1_saveexec_b32 s2, s2
	s_cbranch_execz .LBB56_534
; %bb.533:
	s_delay_alu instid0(VALU_DEP_1) | instskip(SKIP_1) | instid1(VALU_DEP_2)
	v_div_scale_f64 v[40:41], null, v[116:117], v[116:117], v[118:119]
	v_div_scale_f64 v[46:47], vcc_lo, v[118:119], v[116:117], v[118:119]
	v_rcp_f64_e32 v[42:43], v[40:41]
	s_waitcnt_depctr 0xfff
	v_fma_f64 v[44:45], -v[40:41], v[42:43], 1.0
	s_delay_alu instid0(VALU_DEP_1) | instskip(NEXT) | instid1(VALU_DEP_1)
	v_fma_f64 v[42:43], v[42:43], v[44:45], v[42:43]
	v_fma_f64 v[44:45], -v[40:41], v[42:43], 1.0
	s_delay_alu instid0(VALU_DEP_1) | instskip(NEXT) | instid1(VALU_DEP_1)
	v_fma_f64 v[42:43], v[42:43], v[44:45], v[42:43]
	v_mul_f64 v[44:45], v[46:47], v[42:43]
	s_delay_alu instid0(VALU_DEP_1) | instskip(NEXT) | instid1(VALU_DEP_1)
	v_fma_f64 v[40:41], -v[40:41], v[44:45], v[46:47]
	v_div_fmas_f64 v[40:41], v[40:41], v[42:43], v[44:45]
	s_delay_alu instid0(VALU_DEP_1) | instskip(NEXT) | instid1(VALU_DEP_1)
	v_div_fixup_f64 v[40:41], v[40:41], v[116:117], v[118:119]
	v_fma_f64 v[42:43], v[118:119], v[40:41], v[116:117]
	s_delay_alu instid0(VALU_DEP_1) | instskip(NEXT) | instid1(VALU_DEP_1)
	v_div_scale_f64 v[44:45], null, v[42:43], v[42:43], 1.0
	v_rcp_f64_e32 v[46:47], v[44:45]
	s_waitcnt_depctr 0xfff
	v_fma_f64 v[112:113], -v[44:45], v[46:47], 1.0
	s_delay_alu instid0(VALU_DEP_1) | instskip(NEXT) | instid1(VALU_DEP_1)
	v_fma_f64 v[46:47], v[46:47], v[112:113], v[46:47]
	v_fma_f64 v[112:113], -v[44:45], v[46:47], 1.0
	s_delay_alu instid0(VALU_DEP_1) | instskip(SKIP_1) | instid1(VALU_DEP_1)
	v_fma_f64 v[46:47], v[46:47], v[112:113], v[46:47]
	v_div_scale_f64 v[112:113], vcc_lo, 1.0, v[42:43], 1.0
	v_mul_f64 v[114:115], v[112:113], v[46:47]
	s_delay_alu instid0(VALU_DEP_1) | instskip(NEXT) | instid1(VALU_DEP_1)
	v_fma_f64 v[44:45], -v[44:45], v[114:115], v[112:113]
	v_div_fmas_f64 v[44:45], v[44:45], v[46:47], v[114:115]
	s_delay_alu instid0(VALU_DEP_1) | instskip(NEXT) | instid1(VALU_DEP_1)
	v_div_fixup_f64 v[116:117], v[44:45], v[42:43], 1.0
	v_mul_f64 v[118:119], v[40:41], -v[116:117]
.LBB56_534:
	s_or_b32 exec_lo, exec_lo, s2
.LBB56_535:
	s_delay_alu instid0(SALU_CYCLE_1) | instskip(NEXT) | instid1(SALU_CYCLE_1)
	s_or_b32 exec_lo, exec_lo, s3
	s_mov_b32 s2, exec_lo
	v_cmpx_ne_u32_e64 v134, v124
	s_xor_b32 s2, exec_lo, s2
	s_cbranch_execz .LBB56_541
; %bb.536:
	s_mov_b32 s3, exec_lo
	v_cmpx_eq_u32_e32 25, v134
	s_cbranch_execz .LBB56_540
; %bb.537:
	v_cmp_ne_u32_e32 vcc_lo, 25, v124
	s_xor_b32 s6, s4, -1
	s_delay_alu instid0(SALU_CYCLE_1) | instskip(NEXT) | instid1(SALU_CYCLE_1)
	s_and_b32 s7, s6, vcc_lo
	s_and_saveexec_b32 s6, s7
	s_cbranch_execz .LBB56_539
; %bb.538:
	v_ashrrev_i32_e32 v125, 31, v124
	s_delay_alu instid0(VALU_DEP_1) | instskip(NEXT) | instid1(VALU_DEP_1)
	v_lshlrev_b64 v[40:41], 2, v[124:125]
	v_add_co_u32 v40, vcc_lo, v102, v40
	s_delay_alu instid0(VALU_DEP_2)
	v_add_co_ci_u32_e32 v41, vcc_lo, v103, v41, vcc_lo
	s_clause 0x1
	flat_load_b32 v42, v[40:41]
	flat_load_b32 v43, v[102:103] offset:100
	s_waitcnt vmcnt(1) lgkmcnt(1)
	flat_store_b32 v[102:103], v42 offset:100
	s_waitcnt vmcnt(0) lgkmcnt(1)
	flat_store_b32 v[40:41], v43
.LBB56_539:
	s_or_b32 exec_lo, exec_lo, s6
	v_mov_b32_e32 v134, v124
	v_mov_b32_e32 v255, v124
.LBB56_540:
	s_or_b32 exec_lo, exec_lo, s3
.LBB56_541:
	s_and_not1_saveexec_b32 s2, s2
	s_cbranch_execz .LBB56_543
; %bb.542:
	v_mov_b32_e32 v134, 25
	ds_store_2addr_b64 v132, v[8:9], v[10:11] offset0:52 offset1:53
	ds_store_2addr_b64 v132, v[4:5], v[6:7] offset0:54 offset1:55
	ds_store_2addr_b64 v132, v[0:1], v[2:3] offset0:56 offset1:57
.LBB56_543:
	s_or_b32 exec_lo, exec_lo, s2
	s_delay_alu instid0(SALU_CYCLE_1)
	s_mov_b32 s2, exec_lo
	s_waitcnt lgkmcnt(0)
	s_waitcnt_vscnt null, 0x0
	s_barrier
	buffer_gl0_inv
	v_cmpx_lt_i32_e32 25, v134
	s_cbranch_execz .LBB56_545
; %bb.544:
	v_mul_f64 v[40:41], v[116:117], v[14:15]
	v_mul_f64 v[14:15], v[118:119], v[14:15]
	ds_load_2addr_b64 v[124:127], v132 offset0:52 offset1:53
	ds_load_2addr_b64 v[135:138], v132 offset0:54 offset1:55
	;; [unrolled: 1-line block ×3, first 2 shown]
	v_fma_f64 v[40:41], v[118:119], v[12:13], v[40:41]
	v_fma_f64 v[12:13], v[116:117], v[12:13], -v[14:15]
	s_waitcnt lgkmcnt(2)
	s_delay_alu instid0(VALU_DEP_2)
	v_mul_f64 v[14:15], v[126:127], v[40:41]
	v_mul_f64 v[42:43], v[124:125], v[40:41]
	s_waitcnt lgkmcnt(1)
	v_mul_f64 v[44:45], v[137:138], v[40:41]
	v_mul_f64 v[46:47], v[135:136], v[40:41]
	s_waitcnt lgkmcnt(0)
	v_mul_f64 v[112:113], v[141:142], v[40:41]
	v_mul_f64 v[114:115], v[139:140], v[40:41]
	v_fma_f64 v[14:15], v[124:125], v[12:13], -v[14:15]
	v_fma_f64 v[42:43], v[126:127], v[12:13], v[42:43]
	v_fma_f64 v[44:45], v[135:136], v[12:13], -v[44:45]
	v_fma_f64 v[46:47], v[137:138], v[12:13], v[46:47]
	;; [unrolled: 2-line block ×3, first 2 shown]
	v_add_f64 v[8:9], v[8:9], -v[14:15]
	v_add_f64 v[10:11], v[10:11], -v[42:43]
	;; [unrolled: 1-line block ×6, first 2 shown]
	v_dual_mov_b32 v14, v40 :: v_dual_mov_b32 v15, v41
.LBB56_545:
	s_or_b32 exec_lo, exec_lo, s2
	v_lshl_add_u32 v40, v134, 4, v132
	s_barrier
	buffer_gl0_inv
	v_mov_b32_e32 v124, 26
	ds_store_2addr_b64 v40, v[8:9], v[10:11] offset1:1
	s_waitcnt lgkmcnt(0)
	s_barrier
	buffer_gl0_inv
	ds_load_2addr_b64 v[116:119], v132 offset0:52 offset1:53
	s_cmp_lt_i32 s5, 28
	s_cbranch_scc1 .LBB56_548
; %bb.546:
	v_add3_u32 v125, v130, 0, 0x1b0
	v_mov_b32_e32 v124, 26
	s_mov_b32 s6, 27
	s_set_inst_prefetch_distance 0x1
	.p2align	6
.LBB56_547:                             ; =>This Inner Loop Header: Depth=1
	ds_load_2addr_b64 v[135:138], v125 offset1:1
	s_waitcnt lgkmcnt(1)
	v_cmp_gt_f64_e32 vcc_lo, 0, v[116:117]
	v_xor_b32_e32 v40, 0x80000000, v117
	v_cmp_gt_f64_e64 s2, 0, v[118:119]
	v_xor_b32_e32 v42, 0x80000000, v119
	v_add_nc_u32_e32 v125, 16, v125
	s_waitcnt lgkmcnt(0)
	v_cmp_gt_f64_e64 s3, 0, v[135:136]
	v_mov_b32_e32 v44, v135
	v_mov_b32_e32 v46, v137
	v_cndmask_b32_e32 v41, v117, v40, vcc_lo
	v_xor_b32_e32 v40, 0x80000000, v136
	v_cndmask_b32_e64 v43, v119, v42, s2
	v_xor_b32_e32 v42, 0x80000000, v138
	s_delay_alu instid0(VALU_DEP_3) | instskip(SKIP_2) | instid1(VALU_DEP_2)
	v_cndmask_b32_e64 v45, v136, v40, s3
	v_cmp_gt_f64_e64 s3, 0, v[137:138]
	v_cndmask_b32_e32 v40, v116, v116, vcc_lo
	v_cndmask_b32_e64 v47, v138, v42, s3
	v_cndmask_b32_e64 v42, v118, v118, s2
	s_delay_alu instid0(VALU_DEP_2) | instskip(NEXT) | instid1(VALU_DEP_2)
	v_add_f64 v[44:45], v[44:45], v[46:47]
	v_add_f64 v[40:41], v[40:41], v[42:43]
	s_delay_alu instid0(VALU_DEP_1) | instskip(SKIP_4) | instid1(SALU_CYCLE_1)
	v_cmp_lt_f64_e32 vcc_lo, v[40:41], v[44:45]
	v_dual_cndmask_b32 v117, v117, v136 :: v_dual_cndmask_b32 v116, v116, v135
	v_dual_cndmask_b32 v119, v119, v138 :: v_dual_cndmask_b32 v118, v118, v137
	v_cndmask_b32_e64 v124, v124, s6, vcc_lo
	s_add_i32 s6, s6, 1
	s_cmp_lg_u32 s5, s6
	s_cbranch_scc1 .LBB56_547
.LBB56_548:
	s_set_inst_prefetch_distance 0x2
	s_waitcnt lgkmcnt(0)
	v_cmp_eq_f64_e32 vcc_lo, 0, v[116:117]
	v_cmp_eq_f64_e64 s2, 0, v[118:119]
	s_delay_alu instid0(VALU_DEP_1) | instskip(NEXT) | instid1(SALU_CYCLE_1)
	s_and_b32 s2, vcc_lo, s2
	s_and_saveexec_b32 s3, s2
	s_delay_alu instid0(SALU_CYCLE_1)
	s_xor_b32 s2, exec_lo, s3
; %bb.549:
	v_cmp_ne_u32_e32 vcc_lo, 0, v129
	v_cndmask_b32_e32 v129, 27, v129, vcc_lo
; %bb.550:
	s_and_not1_saveexec_b32 s3, s2
	s_cbranch_execz .LBB56_556
; %bb.551:
	v_cmp_gt_f64_e32 vcc_lo, 0, v[116:117]
	v_cmp_gt_f64_e64 s2, 0, v[118:119]
	v_xor_b32_e32 v40, 0x80000000, v117
	v_xor_b32_e32 v42, 0x80000000, v119
	s_delay_alu instid0(VALU_DEP_2) | instskip(NEXT) | instid1(VALU_DEP_2)
	v_cndmask_b32_e32 v41, v117, v40, vcc_lo
	v_cndmask_b32_e64 v43, v119, v42, s2
	v_cndmask_b32_e32 v40, v116, v116, vcc_lo
	v_cndmask_b32_e64 v42, v118, v118, s2
	s_mov_b32 s2, exec_lo
	s_delay_alu instid0(VALU_DEP_1)
	v_cmpx_ngt_f64_e32 v[40:41], v[42:43]
	s_xor_b32 s2, exec_lo, s2
	s_cbranch_execz .LBB56_553
; %bb.552:
	v_div_scale_f64 v[40:41], null, v[118:119], v[118:119], v[116:117]
	v_div_scale_f64 v[46:47], vcc_lo, v[116:117], v[118:119], v[116:117]
	s_delay_alu instid0(VALU_DEP_2) | instskip(SKIP_2) | instid1(VALU_DEP_1)
	v_rcp_f64_e32 v[42:43], v[40:41]
	s_waitcnt_depctr 0xfff
	v_fma_f64 v[44:45], -v[40:41], v[42:43], 1.0
	v_fma_f64 v[42:43], v[42:43], v[44:45], v[42:43]
	s_delay_alu instid0(VALU_DEP_1) | instskip(NEXT) | instid1(VALU_DEP_1)
	v_fma_f64 v[44:45], -v[40:41], v[42:43], 1.0
	v_fma_f64 v[42:43], v[42:43], v[44:45], v[42:43]
	s_delay_alu instid0(VALU_DEP_1) | instskip(NEXT) | instid1(VALU_DEP_1)
	v_mul_f64 v[44:45], v[46:47], v[42:43]
	v_fma_f64 v[40:41], -v[40:41], v[44:45], v[46:47]
	s_delay_alu instid0(VALU_DEP_1) | instskip(NEXT) | instid1(VALU_DEP_1)
	v_div_fmas_f64 v[40:41], v[40:41], v[42:43], v[44:45]
	v_div_fixup_f64 v[40:41], v[40:41], v[118:119], v[116:117]
	s_delay_alu instid0(VALU_DEP_1) | instskip(NEXT) | instid1(VALU_DEP_1)
	v_fma_f64 v[42:43], v[116:117], v[40:41], v[118:119]
	v_div_scale_f64 v[44:45], null, v[42:43], v[42:43], 1.0
	s_delay_alu instid0(VALU_DEP_1) | instskip(SKIP_2) | instid1(VALU_DEP_1)
	v_rcp_f64_e32 v[46:47], v[44:45]
	s_waitcnt_depctr 0xfff
	v_fma_f64 v[112:113], -v[44:45], v[46:47], 1.0
	v_fma_f64 v[46:47], v[46:47], v[112:113], v[46:47]
	s_delay_alu instid0(VALU_DEP_1) | instskip(NEXT) | instid1(VALU_DEP_1)
	v_fma_f64 v[112:113], -v[44:45], v[46:47], 1.0
	v_fma_f64 v[46:47], v[46:47], v[112:113], v[46:47]
	v_div_scale_f64 v[112:113], vcc_lo, 1.0, v[42:43], 1.0
	s_delay_alu instid0(VALU_DEP_1) | instskip(NEXT) | instid1(VALU_DEP_1)
	v_mul_f64 v[114:115], v[112:113], v[46:47]
	v_fma_f64 v[44:45], -v[44:45], v[114:115], v[112:113]
	s_delay_alu instid0(VALU_DEP_1) | instskip(NEXT) | instid1(VALU_DEP_1)
	v_div_fmas_f64 v[44:45], v[44:45], v[46:47], v[114:115]
	v_div_fixup_f64 v[118:119], v[44:45], v[42:43], 1.0
	s_delay_alu instid0(VALU_DEP_1)
	v_mul_f64 v[116:117], v[40:41], v[118:119]
	v_xor_b32_e32 v119, 0x80000000, v119
.LBB56_553:
	s_and_not1_saveexec_b32 s2, s2
	s_cbranch_execz .LBB56_555
; %bb.554:
	s_delay_alu instid0(VALU_DEP_1) | instskip(SKIP_1) | instid1(VALU_DEP_2)
	v_div_scale_f64 v[40:41], null, v[116:117], v[116:117], v[118:119]
	v_div_scale_f64 v[46:47], vcc_lo, v[118:119], v[116:117], v[118:119]
	v_rcp_f64_e32 v[42:43], v[40:41]
	s_waitcnt_depctr 0xfff
	v_fma_f64 v[44:45], -v[40:41], v[42:43], 1.0
	s_delay_alu instid0(VALU_DEP_1) | instskip(NEXT) | instid1(VALU_DEP_1)
	v_fma_f64 v[42:43], v[42:43], v[44:45], v[42:43]
	v_fma_f64 v[44:45], -v[40:41], v[42:43], 1.0
	s_delay_alu instid0(VALU_DEP_1) | instskip(NEXT) | instid1(VALU_DEP_1)
	v_fma_f64 v[42:43], v[42:43], v[44:45], v[42:43]
	v_mul_f64 v[44:45], v[46:47], v[42:43]
	s_delay_alu instid0(VALU_DEP_1) | instskip(NEXT) | instid1(VALU_DEP_1)
	v_fma_f64 v[40:41], -v[40:41], v[44:45], v[46:47]
	v_div_fmas_f64 v[40:41], v[40:41], v[42:43], v[44:45]
	s_delay_alu instid0(VALU_DEP_1) | instskip(NEXT) | instid1(VALU_DEP_1)
	v_div_fixup_f64 v[40:41], v[40:41], v[116:117], v[118:119]
	v_fma_f64 v[42:43], v[118:119], v[40:41], v[116:117]
	s_delay_alu instid0(VALU_DEP_1) | instskip(NEXT) | instid1(VALU_DEP_1)
	v_div_scale_f64 v[44:45], null, v[42:43], v[42:43], 1.0
	v_rcp_f64_e32 v[46:47], v[44:45]
	s_waitcnt_depctr 0xfff
	v_fma_f64 v[112:113], -v[44:45], v[46:47], 1.0
	s_delay_alu instid0(VALU_DEP_1) | instskip(NEXT) | instid1(VALU_DEP_1)
	v_fma_f64 v[46:47], v[46:47], v[112:113], v[46:47]
	v_fma_f64 v[112:113], -v[44:45], v[46:47], 1.0
	s_delay_alu instid0(VALU_DEP_1) | instskip(SKIP_1) | instid1(VALU_DEP_1)
	v_fma_f64 v[46:47], v[46:47], v[112:113], v[46:47]
	v_div_scale_f64 v[112:113], vcc_lo, 1.0, v[42:43], 1.0
	v_mul_f64 v[114:115], v[112:113], v[46:47]
	s_delay_alu instid0(VALU_DEP_1) | instskip(NEXT) | instid1(VALU_DEP_1)
	v_fma_f64 v[44:45], -v[44:45], v[114:115], v[112:113]
	v_div_fmas_f64 v[44:45], v[44:45], v[46:47], v[114:115]
	s_delay_alu instid0(VALU_DEP_1) | instskip(NEXT) | instid1(VALU_DEP_1)
	v_div_fixup_f64 v[116:117], v[44:45], v[42:43], 1.0
	v_mul_f64 v[118:119], v[40:41], -v[116:117]
.LBB56_555:
	s_or_b32 exec_lo, exec_lo, s2
.LBB56_556:
	s_delay_alu instid0(SALU_CYCLE_1) | instskip(NEXT) | instid1(SALU_CYCLE_1)
	s_or_b32 exec_lo, exec_lo, s3
	s_mov_b32 s2, exec_lo
	v_cmpx_ne_u32_e64 v134, v124
	s_xor_b32 s2, exec_lo, s2
	s_cbranch_execz .LBB56_562
; %bb.557:
	s_mov_b32 s3, exec_lo
	v_cmpx_eq_u32_e32 26, v134
	s_cbranch_execz .LBB56_561
; %bb.558:
	v_cmp_ne_u32_e32 vcc_lo, 26, v124
	s_xor_b32 s6, s4, -1
	s_delay_alu instid0(SALU_CYCLE_1) | instskip(NEXT) | instid1(SALU_CYCLE_1)
	s_and_b32 s7, s6, vcc_lo
	s_and_saveexec_b32 s6, s7
	s_cbranch_execz .LBB56_560
; %bb.559:
	v_ashrrev_i32_e32 v125, 31, v124
	s_delay_alu instid0(VALU_DEP_1) | instskip(NEXT) | instid1(VALU_DEP_1)
	v_lshlrev_b64 v[40:41], 2, v[124:125]
	v_add_co_u32 v40, vcc_lo, v102, v40
	s_delay_alu instid0(VALU_DEP_2)
	v_add_co_ci_u32_e32 v41, vcc_lo, v103, v41, vcc_lo
	s_clause 0x1
	flat_load_b32 v42, v[40:41]
	flat_load_b32 v43, v[102:103] offset:104
	s_waitcnt vmcnt(1) lgkmcnt(1)
	flat_store_b32 v[102:103], v42 offset:104
	s_waitcnt vmcnt(0) lgkmcnt(1)
	flat_store_b32 v[40:41], v43
.LBB56_560:
	s_or_b32 exec_lo, exec_lo, s6
	v_mov_b32_e32 v134, v124
	v_mov_b32_e32 v255, v124
.LBB56_561:
	s_or_b32 exec_lo, exec_lo, s3
.LBB56_562:
	s_and_not1_saveexec_b32 s2, s2
	s_cbranch_execz .LBB56_564
; %bb.563:
	v_mov_b32_e32 v134, 26
	ds_store_2addr_b64 v132, v[4:5], v[6:7] offset0:54 offset1:55
	ds_store_2addr_b64 v132, v[0:1], v[2:3] offset0:56 offset1:57
.LBB56_564:
	s_or_b32 exec_lo, exec_lo, s2
	s_delay_alu instid0(SALU_CYCLE_1)
	s_mov_b32 s2, exec_lo
	s_waitcnt lgkmcnt(0)
	s_waitcnt_vscnt null, 0x0
	s_barrier
	buffer_gl0_inv
	v_cmpx_lt_i32_e32 26, v134
	s_cbranch_execz .LBB56_566
; %bb.565:
	v_mul_f64 v[40:41], v[116:117], v[10:11]
	v_mul_f64 v[10:11], v[118:119], v[10:11]
	ds_load_2addr_b64 v[124:127], v132 offset0:54 offset1:55
	ds_load_2addr_b64 v[135:138], v132 offset0:56 offset1:57
	v_fma_f64 v[40:41], v[118:119], v[8:9], v[40:41]
	v_fma_f64 v[8:9], v[116:117], v[8:9], -v[10:11]
	s_waitcnt lgkmcnt(1)
	s_delay_alu instid0(VALU_DEP_2) | instskip(SKIP_4) | instid1(VALU_DEP_4)
	v_mul_f64 v[10:11], v[126:127], v[40:41]
	v_mul_f64 v[42:43], v[124:125], v[40:41]
	s_waitcnt lgkmcnt(0)
	v_mul_f64 v[44:45], v[137:138], v[40:41]
	v_mul_f64 v[46:47], v[135:136], v[40:41]
	v_fma_f64 v[10:11], v[124:125], v[8:9], -v[10:11]
	s_delay_alu instid0(VALU_DEP_4) | instskip(NEXT) | instid1(VALU_DEP_4)
	v_fma_f64 v[42:43], v[126:127], v[8:9], v[42:43]
	v_fma_f64 v[44:45], v[135:136], v[8:9], -v[44:45]
	s_delay_alu instid0(VALU_DEP_4) | instskip(NEXT) | instid1(VALU_DEP_4)
	v_fma_f64 v[46:47], v[137:138], v[8:9], v[46:47]
	v_add_f64 v[4:5], v[4:5], -v[10:11]
	s_delay_alu instid0(VALU_DEP_4) | instskip(NEXT) | instid1(VALU_DEP_4)
	v_add_f64 v[6:7], v[6:7], -v[42:43]
	v_add_f64 v[0:1], v[0:1], -v[44:45]
	s_delay_alu instid0(VALU_DEP_4)
	v_add_f64 v[2:3], v[2:3], -v[46:47]
	v_dual_mov_b32 v10, v40 :: v_dual_mov_b32 v11, v41
.LBB56_566:
	s_or_b32 exec_lo, exec_lo, s2
	v_lshl_add_u32 v40, v134, 4, v132
	s_barrier
	buffer_gl0_inv
	v_mov_b32_e32 v124, 27
	ds_store_2addr_b64 v40, v[4:5], v[6:7] offset1:1
	s_waitcnt lgkmcnt(0)
	s_barrier
	buffer_gl0_inv
	ds_load_2addr_b64 v[116:119], v132 offset0:54 offset1:55
	s_cmp_lt_i32 s5, 29
	s_cbranch_scc1 .LBB56_569
; %bb.567:
	v_add3_u32 v125, v130, 0, 0x1c0
	v_mov_b32_e32 v124, 27
	s_mov_b32 s6, 28
	s_set_inst_prefetch_distance 0x1
	.p2align	6
.LBB56_568:                             ; =>This Inner Loop Header: Depth=1
	ds_load_2addr_b64 v[135:138], v125 offset1:1
	s_waitcnt lgkmcnt(1)
	v_cmp_gt_f64_e32 vcc_lo, 0, v[116:117]
	v_xor_b32_e32 v40, 0x80000000, v117
	v_cmp_gt_f64_e64 s2, 0, v[118:119]
	v_xor_b32_e32 v42, 0x80000000, v119
	v_add_nc_u32_e32 v125, 16, v125
	s_waitcnt lgkmcnt(0)
	v_cmp_gt_f64_e64 s3, 0, v[135:136]
	v_mov_b32_e32 v44, v135
	v_mov_b32_e32 v46, v137
	v_cndmask_b32_e32 v41, v117, v40, vcc_lo
	v_xor_b32_e32 v40, 0x80000000, v136
	v_cndmask_b32_e64 v43, v119, v42, s2
	v_xor_b32_e32 v42, 0x80000000, v138
	s_delay_alu instid0(VALU_DEP_3) | instskip(SKIP_2) | instid1(VALU_DEP_2)
	v_cndmask_b32_e64 v45, v136, v40, s3
	v_cmp_gt_f64_e64 s3, 0, v[137:138]
	v_cndmask_b32_e32 v40, v116, v116, vcc_lo
	v_cndmask_b32_e64 v47, v138, v42, s3
	v_cndmask_b32_e64 v42, v118, v118, s2
	s_delay_alu instid0(VALU_DEP_2) | instskip(NEXT) | instid1(VALU_DEP_2)
	v_add_f64 v[44:45], v[44:45], v[46:47]
	v_add_f64 v[40:41], v[40:41], v[42:43]
	s_delay_alu instid0(VALU_DEP_1) | instskip(SKIP_4) | instid1(SALU_CYCLE_1)
	v_cmp_lt_f64_e32 vcc_lo, v[40:41], v[44:45]
	v_dual_cndmask_b32 v117, v117, v136 :: v_dual_cndmask_b32 v116, v116, v135
	v_dual_cndmask_b32 v119, v119, v138 :: v_dual_cndmask_b32 v118, v118, v137
	v_cndmask_b32_e64 v124, v124, s6, vcc_lo
	s_add_i32 s6, s6, 1
	s_cmp_lg_u32 s5, s6
	s_cbranch_scc1 .LBB56_568
.LBB56_569:
	s_set_inst_prefetch_distance 0x2
	s_waitcnt lgkmcnt(0)
	v_cmp_eq_f64_e32 vcc_lo, 0, v[116:117]
	v_cmp_eq_f64_e64 s2, 0, v[118:119]
	s_delay_alu instid0(VALU_DEP_1) | instskip(NEXT) | instid1(SALU_CYCLE_1)
	s_and_b32 s2, vcc_lo, s2
	s_and_saveexec_b32 s3, s2
	s_delay_alu instid0(SALU_CYCLE_1)
	s_xor_b32 s2, exec_lo, s3
; %bb.570:
	v_cmp_ne_u32_e32 vcc_lo, 0, v129
	v_cndmask_b32_e32 v129, 28, v129, vcc_lo
; %bb.571:
	s_and_not1_saveexec_b32 s3, s2
	s_cbranch_execz .LBB56_577
; %bb.572:
	v_cmp_gt_f64_e32 vcc_lo, 0, v[116:117]
	v_cmp_gt_f64_e64 s2, 0, v[118:119]
	v_xor_b32_e32 v40, 0x80000000, v117
	v_xor_b32_e32 v42, 0x80000000, v119
	s_delay_alu instid0(VALU_DEP_2) | instskip(NEXT) | instid1(VALU_DEP_2)
	v_cndmask_b32_e32 v41, v117, v40, vcc_lo
	v_cndmask_b32_e64 v43, v119, v42, s2
	v_cndmask_b32_e32 v40, v116, v116, vcc_lo
	v_cndmask_b32_e64 v42, v118, v118, s2
	s_mov_b32 s2, exec_lo
	s_delay_alu instid0(VALU_DEP_1)
	v_cmpx_ngt_f64_e32 v[40:41], v[42:43]
	s_xor_b32 s2, exec_lo, s2
	s_cbranch_execz .LBB56_574
; %bb.573:
	v_div_scale_f64 v[40:41], null, v[118:119], v[118:119], v[116:117]
	v_div_scale_f64 v[46:47], vcc_lo, v[116:117], v[118:119], v[116:117]
	s_delay_alu instid0(VALU_DEP_2) | instskip(SKIP_2) | instid1(VALU_DEP_1)
	v_rcp_f64_e32 v[42:43], v[40:41]
	s_waitcnt_depctr 0xfff
	v_fma_f64 v[44:45], -v[40:41], v[42:43], 1.0
	v_fma_f64 v[42:43], v[42:43], v[44:45], v[42:43]
	s_delay_alu instid0(VALU_DEP_1) | instskip(NEXT) | instid1(VALU_DEP_1)
	v_fma_f64 v[44:45], -v[40:41], v[42:43], 1.0
	v_fma_f64 v[42:43], v[42:43], v[44:45], v[42:43]
	s_delay_alu instid0(VALU_DEP_1) | instskip(NEXT) | instid1(VALU_DEP_1)
	v_mul_f64 v[44:45], v[46:47], v[42:43]
	v_fma_f64 v[40:41], -v[40:41], v[44:45], v[46:47]
	s_delay_alu instid0(VALU_DEP_1) | instskip(NEXT) | instid1(VALU_DEP_1)
	v_div_fmas_f64 v[40:41], v[40:41], v[42:43], v[44:45]
	v_div_fixup_f64 v[40:41], v[40:41], v[118:119], v[116:117]
	s_delay_alu instid0(VALU_DEP_1) | instskip(NEXT) | instid1(VALU_DEP_1)
	v_fma_f64 v[42:43], v[116:117], v[40:41], v[118:119]
	v_div_scale_f64 v[44:45], null, v[42:43], v[42:43], 1.0
	s_delay_alu instid0(VALU_DEP_1) | instskip(SKIP_2) | instid1(VALU_DEP_1)
	v_rcp_f64_e32 v[46:47], v[44:45]
	s_waitcnt_depctr 0xfff
	v_fma_f64 v[112:113], -v[44:45], v[46:47], 1.0
	v_fma_f64 v[46:47], v[46:47], v[112:113], v[46:47]
	s_delay_alu instid0(VALU_DEP_1) | instskip(NEXT) | instid1(VALU_DEP_1)
	v_fma_f64 v[112:113], -v[44:45], v[46:47], 1.0
	v_fma_f64 v[46:47], v[46:47], v[112:113], v[46:47]
	v_div_scale_f64 v[112:113], vcc_lo, 1.0, v[42:43], 1.0
	s_delay_alu instid0(VALU_DEP_1) | instskip(NEXT) | instid1(VALU_DEP_1)
	v_mul_f64 v[114:115], v[112:113], v[46:47]
	v_fma_f64 v[44:45], -v[44:45], v[114:115], v[112:113]
	s_delay_alu instid0(VALU_DEP_1) | instskip(NEXT) | instid1(VALU_DEP_1)
	v_div_fmas_f64 v[44:45], v[44:45], v[46:47], v[114:115]
	v_div_fixup_f64 v[118:119], v[44:45], v[42:43], 1.0
	s_delay_alu instid0(VALU_DEP_1)
	v_mul_f64 v[116:117], v[40:41], v[118:119]
	v_xor_b32_e32 v119, 0x80000000, v119
.LBB56_574:
	s_and_not1_saveexec_b32 s2, s2
	s_cbranch_execz .LBB56_576
; %bb.575:
	s_delay_alu instid0(VALU_DEP_1) | instskip(SKIP_1) | instid1(VALU_DEP_2)
	v_div_scale_f64 v[40:41], null, v[116:117], v[116:117], v[118:119]
	v_div_scale_f64 v[46:47], vcc_lo, v[118:119], v[116:117], v[118:119]
	v_rcp_f64_e32 v[42:43], v[40:41]
	s_waitcnt_depctr 0xfff
	v_fma_f64 v[44:45], -v[40:41], v[42:43], 1.0
	s_delay_alu instid0(VALU_DEP_1) | instskip(NEXT) | instid1(VALU_DEP_1)
	v_fma_f64 v[42:43], v[42:43], v[44:45], v[42:43]
	v_fma_f64 v[44:45], -v[40:41], v[42:43], 1.0
	s_delay_alu instid0(VALU_DEP_1) | instskip(NEXT) | instid1(VALU_DEP_1)
	v_fma_f64 v[42:43], v[42:43], v[44:45], v[42:43]
	v_mul_f64 v[44:45], v[46:47], v[42:43]
	s_delay_alu instid0(VALU_DEP_1) | instskip(NEXT) | instid1(VALU_DEP_1)
	v_fma_f64 v[40:41], -v[40:41], v[44:45], v[46:47]
	v_div_fmas_f64 v[40:41], v[40:41], v[42:43], v[44:45]
	s_delay_alu instid0(VALU_DEP_1) | instskip(NEXT) | instid1(VALU_DEP_1)
	v_div_fixup_f64 v[40:41], v[40:41], v[116:117], v[118:119]
	v_fma_f64 v[42:43], v[118:119], v[40:41], v[116:117]
	s_delay_alu instid0(VALU_DEP_1) | instskip(NEXT) | instid1(VALU_DEP_1)
	v_div_scale_f64 v[44:45], null, v[42:43], v[42:43], 1.0
	v_rcp_f64_e32 v[46:47], v[44:45]
	s_waitcnt_depctr 0xfff
	v_fma_f64 v[112:113], -v[44:45], v[46:47], 1.0
	s_delay_alu instid0(VALU_DEP_1) | instskip(NEXT) | instid1(VALU_DEP_1)
	v_fma_f64 v[46:47], v[46:47], v[112:113], v[46:47]
	v_fma_f64 v[112:113], -v[44:45], v[46:47], 1.0
	s_delay_alu instid0(VALU_DEP_1) | instskip(SKIP_1) | instid1(VALU_DEP_1)
	v_fma_f64 v[46:47], v[46:47], v[112:113], v[46:47]
	v_div_scale_f64 v[112:113], vcc_lo, 1.0, v[42:43], 1.0
	v_mul_f64 v[114:115], v[112:113], v[46:47]
	s_delay_alu instid0(VALU_DEP_1) | instskip(NEXT) | instid1(VALU_DEP_1)
	v_fma_f64 v[44:45], -v[44:45], v[114:115], v[112:113]
	v_div_fmas_f64 v[44:45], v[44:45], v[46:47], v[114:115]
	s_delay_alu instid0(VALU_DEP_1) | instskip(NEXT) | instid1(VALU_DEP_1)
	v_div_fixup_f64 v[116:117], v[44:45], v[42:43], 1.0
	v_mul_f64 v[118:119], v[40:41], -v[116:117]
.LBB56_576:
	s_or_b32 exec_lo, exec_lo, s2
.LBB56_577:
	s_delay_alu instid0(SALU_CYCLE_1) | instskip(NEXT) | instid1(SALU_CYCLE_1)
	s_or_b32 exec_lo, exec_lo, s3
	s_mov_b32 s2, exec_lo
	v_cmpx_ne_u32_e64 v134, v124
	s_xor_b32 s2, exec_lo, s2
	s_cbranch_execz .LBB56_583
; %bb.578:
	s_mov_b32 s3, exec_lo
	v_cmpx_eq_u32_e32 27, v134
	s_cbranch_execz .LBB56_582
; %bb.579:
	v_cmp_ne_u32_e32 vcc_lo, 27, v124
	s_xor_b32 s6, s4, -1
	s_delay_alu instid0(SALU_CYCLE_1) | instskip(NEXT) | instid1(SALU_CYCLE_1)
	s_and_b32 s7, s6, vcc_lo
	s_and_saveexec_b32 s6, s7
	s_cbranch_execz .LBB56_581
; %bb.580:
	v_ashrrev_i32_e32 v125, 31, v124
	s_delay_alu instid0(VALU_DEP_1) | instskip(NEXT) | instid1(VALU_DEP_1)
	v_lshlrev_b64 v[40:41], 2, v[124:125]
	v_add_co_u32 v40, vcc_lo, v102, v40
	s_delay_alu instid0(VALU_DEP_2)
	v_add_co_ci_u32_e32 v41, vcc_lo, v103, v41, vcc_lo
	s_clause 0x1
	flat_load_b32 v42, v[40:41]
	flat_load_b32 v43, v[102:103] offset:108
	s_waitcnt vmcnt(1) lgkmcnt(1)
	flat_store_b32 v[102:103], v42 offset:108
	s_waitcnt vmcnt(0) lgkmcnt(1)
	flat_store_b32 v[40:41], v43
.LBB56_581:
	s_or_b32 exec_lo, exec_lo, s6
	v_mov_b32_e32 v134, v124
	v_mov_b32_e32 v255, v124
.LBB56_582:
	s_or_b32 exec_lo, exec_lo, s3
.LBB56_583:
	s_and_not1_saveexec_b32 s2, s2
	s_cbranch_execz .LBB56_585
; %bb.584:
	v_mov_b32_e32 v134, 27
	ds_store_2addr_b64 v132, v[0:1], v[2:3] offset0:56 offset1:57
.LBB56_585:
	s_or_b32 exec_lo, exec_lo, s2
	s_delay_alu instid0(SALU_CYCLE_1)
	s_mov_b32 s2, exec_lo
	s_waitcnt lgkmcnt(0)
	s_waitcnt_vscnt null, 0x0
	s_barrier
	buffer_gl0_inv
	v_cmpx_lt_i32_e32 27, v134
	s_cbranch_execz .LBB56_587
; %bb.586:
	v_mul_f64 v[40:41], v[116:117], v[6:7]
	v_mul_f64 v[6:7], v[118:119], v[6:7]
	ds_load_2addr_b64 v[124:127], v132 offset0:56 offset1:57
	v_fma_f64 v[40:41], v[118:119], v[4:5], v[40:41]
	v_fma_f64 v[4:5], v[116:117], v[4:5], -v[6:7]
	s_waitcnt lgkmcnt(0)
	s_delay_alu instid0(VALU_DEP_2) | instskip(SKIP_1) | instid1(VALU_DEP_2)
	v_mul_f64 v[6:7], v[126:127], v[40:41]
	v_mul_f64 v[42:43], v[124:125], v[40:41]
	v_fma_f64 v[6:7], v[124:125], v[4:5], -v[6:7]
	s_delay_alu instid0(VALU_DEP_2) | instskip(NEXT) | instid1(VALU_DEP_2)
	v_fma_f64 v[42:43], v[126:127], v[4:5], v[42:43]
	v_add_f64 v[0:1], v[0:1], -v[6:7]
	s_delay_alu instid0(VALU_DEP_2)
	v_add_f64 v[2:3], v[2:3], -v[42:43]
	v_dual_mov_b32 v6, v40 :: v_dual_mov_b32 v7, v41
.LBB56_587:
	s_or_b32 exec_lo, exec_lo, s2
	v_lshl_add_u32 v40, v134, 4, v132
	s_barrier
	buffer_gl0_inv
	v_mov_b32_e32 v124, 28
	ds_store_2addr_b64 v40, v[0:1], v[2:3] offset1:1
	s_waitcnt lgkmcnt(0)
	s_barrier
	buffer_gl0_inv
	ds_load_2addr_b64 v[116:119], v132 offset0:56 offset1:57
	s_cmp_lt_i32 s5, 30
	s_cbranch_scc1 .LBB56_590
; %bb.588:
	v_add3_u32 v125, v130, 0, 0x1d0
	v_mov_b32_e32 v124, 28
	s_mov_b32 s6, 29
	s_set_inst_prefetch_distance 0x1
	.p2align	6
.LBB56_589:                             ; =>This Inner Loop Header: Depth=1
	ds_load_2addr_b64 v[135:138], v125 offset1:1
	s_waitcnt lgkmcnt(1)
	v_cmp_gt_f64_e32 vcc_lo, 0, v[116:117]
	v_xor_b32_e32 v40, 0x80000000, v117
	v_cmp_gt_f64_e64 s2, 0, v[118:119]
	v_xor_b32_e32 v42, 0x80000000, v119
	v_add_nc_u32_e32 v125, 16, v125
	s_waitcnt lgkmcnt(0)
	v_cmp_gt_f64_e64 s3, 0, v[135:136]
	v_mov_b32_e32 v44, v135
	v_mov_b32_e32 v46, v137
	v_cndmask_b32_e32 v41, v117, v40, vcc_lo
	v_xor_b32_e32 v40, 0x80000000, v136
	v_cndmask_b32_e64 v43, v119, v42, s2
	v_xor_b32_e32 v42, 0x80000000, v138
	s_delay_alu instid0(VALU_DEP_3) | instskip(SKIP_2) | instid1(VALU_DEP_2)
	v_cndmask_b32_e64 v45, v136, v40, s3
	v_cmp_gt_f64_e64 s3, 0, v[137:138]
	v_cndmask_b32_e32 v40, v116, v116, vcc_lo
	v_cndmask_b32_e64 v47, v138, v42, s3
	v_cndmask_b32_e64 v42, v118, v118, s2
	s_delay_alu instid0(VALU_DEP_2) | instskip(NEXT) | instid1(VALU_DEP_2)
	v_add_f64 v[44:45], v[44:45], v[46:47]
	v_add_f64 v[40:41], v[40:41], v[42:43]
	s_delay_alu instid0(VALU_DEP_1) | instskip(SKIP_4) | instid1(SALU_CYCLE_1)
	v_cmp_lt_f64_e32 vcc_lo, v[40:41], v[44:45]
	v_dual_cndmask_b32 v117, v117, v136 :: v_dual_cndmask_b32 v116, v116, v135
	v_dual_cndmask_b32 v119, v119, v138 :: v_dual_cndmask_b32 v118, v118, v137
	v_cndmask_b32_e64 v124, v124, s6, vcc_lo
	s_add_i32 s6, s6, 1
	s_cmp_lg_u32 s5, s6
	s_cbranch_scc1 .LBB56_589
.LBB56_590:
	s_set_inst_prefetch_distance 0x2
	s_waitcnt lgkmcnt(0)
	v_cmp_eq_f64_e32 vcc_lo, 0, v[116:117]
	v_cmp_eq_f64_e64 s2, 0, v[118:119]
	s_delay_alu instid0(VALU_DEP_1) | instskip(NEXT) | instid1(SALU_CYCLE_1)
	s_and_b32 s2, vcc_lo, s2
	s_and_saveexec_b32 s3, s2
	s_delay_alu instid0(SALU_CYCLE_1)
	s_xor_b32 s2, exec_lo, s3
; %bb.591:
	v_cmp_ne_u32_e32 vcc_lo, 0, v129
	v_cndmask_b32_e32 v129, 29, v129, vcc_lo
; %bb.592:
	s_and_not1_saveexec_b32 s3, s2
	s_cbranch_execz .LBB56_598
; %bb.593:
	v_cmp_gt_f64_e32 vcc_lo, 0, v[116:117]
	v_cmp_gt_f64_e64 s2, 0, v[118:119]
	v_xor_b32_e32 v40, 0x80000000, v117
	v_xor_b32_e32 v42, 0x80000000, v119
	s_delay_alu instid0(VALU_DEP_2) | instskip(NEXT) | instid1(VALU_DEP_2)
	v_cndmask_b32_e32 v41, v117, v40, vcc_lo
	v_cndmask_b32_e64 v43, v119, v42, s2
	v_cndmask_b32_e32 v40, v116, v116, vcc_lo
	v_cndmask_b32_e64 v42, v118, v118, s2
	s_mov_b32 s2, exec_lo
	s_delay_alu instid0(VALU_DEP_1)
	v_cmpx_ngt_f64_e32 v[40:41], v[42:43]
	s_xor_b32 s2, exec_lo, s2
	s_cbranch_execz .LBB56_595
; %bb.594:
	v_div_scale_f64 v[40:41], null, v[118:119], v[118:119], v[116:117]
	v_div_scale_f64 v[46:47], vcc_lo, v[116:117], v[118:119], v[116:117]
	s_delay_alu instid0(VALU_DEP_2) | instskip(SKIP_2) | instid1(VALU_DEP_1)
	v_rcp_f64_e32 v[42:43], v[40:41]
	s_waitcnt_depctr 0xfff
	v_fma_f64 v[44:45], -v[40:41], v[42:43], 1.0
	v_fma_f64 v[42:43], v[42:43], v[44:45], v[42:43]
	s_delay_alu instid0(VALU_DEP_1) | instskip(NEXT) | instid1(VALU_DEP_1)
	v_fma_f64 v[44:45], -v[40:41], v[42:43], 1.0
	v_fma_f64 v[42:43], v[42:43], v[44:45], v[42:43]
	s_delay_alu instid0(VALU_DEP_1) | instskip(NEXT) | instid1(VALU_DEP_1)
	v_mul_f64 v[44:45], v[46:47], v[42:43]
	v_fma_f64 v[40:41], -v[40:41], v[44:45], v[46:47]
	s_delay_alu instid0(VALU_DEP_1) | instskip(NEXT) | instid1(VALU_DEP_1)
	v_div_fmas_f64 v[40:41], v[40:41], v[42:43], v[44:45]
	v_div_fixup_f64 v[40:41], v[40:41], v[118:119], v[116:117]
	s_delay_alu instid0(VALU_DEP_1) | instskip(NEXT) | instid1(VALU_DEP_1)
	v_fma_f64 v[42:43], v[116:117], v[40:41], v[118:119]
	v_div_scale_f64 v[44:45], null, v[42:43], v[42:43], 1.0
	s_delay_alu instid0(VALU_DEP_1) | instskip(SKIP_2) | instid1(VALU_DEP_1)
	v_rcp_f64_e32 v[46:47], v[44:45]
	s_waitcnt_depctr 0xfff
	v_fma_f64 v[112:113], -v[44:45], v[46:47], 1.0
	v_fma_f64 v[46:47], v[46:47], v[112:113], v[46:47]
	s_delay_alu instid0(VALU_DEP_1) | instskip(NEXT) | instid1(VALU_DEP_1)
	v_fma_f64 v[112:113], -v[44:45], v[46:47], 1.0
	v_fma_f64 v[46:47], v[46:47], v[112:113], v[46:47]
	v_div_scale_f64 v[112:113], vcc_lo, 1.0, v[42:43], 1.0
	s_delay_alu instid0(VALU_DEP_1) | instskip(NEXT) | instid1(VALU_DEP_1)
	v_mul_f64 v[114:115], v[112:113], v[46:47]
	v_fma_f64 v[44:45], -v[44:45], v[114:115], v[112:113]
	s_delay_alu instid0(VALU_DEP_1) | instskip(NEXT) | instid1(VALU_DEP_1)
	v_div_fmas_f64 v[44:45], v[44:45], v[46:47], v[114:115]
	v_div_fixup_f64 v[118:119], v[44:45], v[42:43], 1.0
	s_delay_alu instid0(VALU_DEP_1)
	v_mul_f64 v[116:117], v[40:41], v[118:119]
	v_xor_b32_e32 v119, 0x80000000, v119
.LBB56_595:
	s_and_not1_saveexec_b32 s2, s2
	s_cbranch_execz .LBB56_597
; %bb.596:
	s_delay_alu instid0(VALU_DEP_1) | instskip(SKIP_1) | instid1(VALU_DEP_2)
	v_div_scale_f64 v[40:41], null, v[116:117], v[116:117], v[118:119]
	v_div_scale_f64 v[46:47], vcc_lo, v[118:119], v[116:117], v[118:119]
	v_rcp_f64_e32 v[42:43], v[40:41]
	s_waitcnt_depctr 0xfff
	v_fma_f64 v[44:45], -v[40:41], v[42:43], 1.0
	s_delay_alu instid0(VALU_DEP_1) | instskip(NEXT) | instid1(VALU_DEP_1)
	v_fma_f64 v[42:43], v[42:43], v[44:45], v[42:43]
	v_fma_f64 v[44:45], -v[40:41], v[42:43], 1.0
	s_delay_alu instid0(VALU_DEP_1) | instskip(NEXT) | instid1(VALU_DEP_1)
	v_fma_f64 v[42:43], v[42:43], v[44:45], v[42:43]
	v_mul_f64 v[44:45], v[46:47], v[42:43]
	s_delay_alu instid0(VALU_DEP_1) | instskip(NEXT) | instid1(VALU_DEP_1)
	v_fma_f64 v[40:41], -v[40:41], v[44:45], v[46:47]
	v_div_fmas_f64 v[40:41], v[40:41], v[42:43], v[44:45]
	s_delay_alu instid0(VALU_DEP_1) | instskip(NEXT) | instid1(VALU_DEP_1)
	v_div_fixup_f64 v[40:41], v[40:41], v[116:117], v[118:119]
	v_fma_f64 v[42:43], v[118:119], v[40:41], v[116:117]
	s_delay_alu instid0(VALU_DEP_1) | instskip(NEXT) | instid1(VALU_DEP_1)
	v_div_scale_f64 v[44:45], null, v[42:43], v[42:43], 1.0
	v_rcp_f64_e32 v[46:47], v[44:45]
	s_waitcnt_depctr 0xfff
	v_fma_f64 v[112:113], -v[44:45], v[46:47], 1.0
	s_delay_alu instid0(VALU_DEP_1) | instskip(NEXT) | instid1(VALU_DEP_1)
	v_fma_f64 v[46:47], v[46:47], v[112:113], v[46:47]
	v_fma_f64 v[112:113], -v[44:45], v[46:47], 1.0
	s_delay_alu instid0(VALU_DEP_1) | instskip(SKIP_1) | instid1(VALU_DEP_1)
	v_fma_f64 v[46:47], v[46:47], v[112:113], v[46:47]
	v_div_scale_f64 v[112:113], vcc_lo, 1.0, v[42:43], 1.0
	v_mul_f64 v[114:115], v[112:113], v[46:47]
	s_delay_alu instid0(VALU_DEP_1) | instskip(NEXT) | instid1(VALU_DEP_1)
	v_fma_f64 v[44:45], -v[44:45], v[114:115], v[112:113]
	v_div_fmas_f64 v[44:45], v[44:45], v[46:47], v[114:115]
	s_delay_alu instid0(VALU_DEP_1) | instskip(NEXT) | instid1(VALU_DEP_1)
	v_div_fixup_f64 v[116:117], v[44:45], v[42:43], 1.0
	v_mul_f64 v[118:119], v[40:41], -v[116:117]
.LBB56_597:
	s_or_b32 exec_lo, exec_lo, s2
.LBB56_598:
	s_delay_alu instid0(SALU_CYCLE_1)
	s_or_b32 exec_lo, exec_lo, s3
	v_mov_b32_e32 v125, 28
	s_mov_b32 s2, exec_lo
	v_cmpx_ne_u32_e64 v134, v124
	s_cbranch_execz .LBB56_604
; %bb.599:
	s_mov_b32 s3, exec_lo
	v_cmpx_eq_u32_e32 28, v134
	s_cbranch_execz .LBB56_603
; %bb.600:
	v_cmp_ne_u32_e32 vcc_lo, 28, v124
	s_xor_b32 s4, s4, -1
	s_delay_alu instid0(SALU_CYCLE_1) | instskip(NEXT) | instid1(SALU_CYCLE_1)
	s_and_b32 s5, s4, vcc_lo
	s_and_saveexec_b32 s4, s5
	s_cbranch_execz .LBB56_602
; %bb.601:
	v_ashrrev_i32_e32 v125, 31, v124
	s_delay_alu instid0(VALU_DEP_1) | instskip(NEXT) | instid1(VALU_DEP_1)
	v_lshlrev_b64 v[40:41], 2, v[124:125]
	v_add_co_u32 v40, vcc_lo, v102, v40
	s_delay_alu instid0(VALU_DEP_2)
	v_add_co_ci_u32_e32 v41, vcc_lo, v103, v41, vcc_lo
	s_clause 0x1
	flat_load_b32 v42, v[40:41]
	flat_load_b32 v43, v[102:103] offset:112
	s_waitcnt vmcnt(1) lgkmcnt(1)
	flat_store_b32 v[102:103], v42 offset:112
	s_waitcnt vmcnt(0) lgkmcnt(1)
	flat_store_b32 v[40:41], v43
.LBB56_602:
	s_or_b32 exec_lo, exec_lo, s4
	v_mov_b32_e32 v134, v124
	v_mov_b32_e32 v255, v124
.LBB56_603:
	s_or_b32 exec_lo, exec_lo, s3
	s_delay_alu instid0(VALU_DEP_2)
	v_mov_b32_e32 v125, v134
.LBB56_604:
	s_or_b32 exec_lo, exec_lo, s2
	s_delay_alu instid0(SALU_CYCLE_1)
	s_mov_b32 s2, exec_lo
	s_waitcnt lgkmcnt(0)
	s_waitcnt_vscnt null, 0x0
	s_barrier
	buffer_gl0_inv
	v_cmpx_lt_i32_e32 28, v125
; %bb.605:
	v_mul_f64 v[40:41], v[118:119], v[2:3]
	v_mul_f64 v[2:3], v[116:117], v[2:3]
	s_delay_alu instid0(VALU_DEP_2) | instskip(NEXT) | instid1(VALU_DEP_2)
	v_fma_f64 v[40:41], v[116:117], v[0:1], -v[40:41]
	v_fma_f64 v[2:3], v[118:119], v[0:1], v[2:3]
	s_delay_alu instid0(VALU_DEP_2)
	v_dual_mov_b32 v0, v40 :: v_dual_mov_b32 v1, v41
; %bb.606:
	s_or_b32 exec_lo, exec_lo, s2
	s_load_b256 s[0:7], s[0:1], 0x28
	v_ashrrev_i32_e32 v126, 31, v125
	s_mov_b32 s9, exec_lo
	s_waitcnt lgkmcnt(0)
	s_barrier
	buffer_gl0_inv
	v_cmpx_gt_i32_e32 29, v125
	s_cbranch_execz .LBB56_608
; %bb.607:
	v_mul_lo_u32 v42, v232, s4
	v_mul_lo_u32 v43, v231, s5
	v_mad_u64_u32 v[40:41], null, v231, s4, 0
	s_lshl_b64 s[2:3], s[2:3], 2
	s_delay_alu instid0(SALU_CYCLE_1) | instskip(SKIP_1) | instid1(VALU_DEP_1)
	s_add_u32 s0, s2, s0
	s_addc_u32 s1, s3, s1
	v_add3_u32 v41, v41, v43, v42
	v_lshlrev_b64 v[42:43], 2, v[125:126]
	s_delay_alu instid0(VALU_DEP_2) | instskip(NEXT) | instid1(VALU_DEP_1)
	v_lshlrev_b64 v[40:41], 2, v[40:41]
	v_add_co_u32 v40, vcc_lo, s0, v40
	s_delay_alu instid0(VALU_DEP_2) | instskip(NEXT) | instid1(VALU_DEP_2)
	v_add_co_ci_u32_e32 v41, vcc_lo, s1, v41, vcc_lo
	v_add_co_u32 v40, vcc_lo, v40, v42
	s_delay_alu instid0(VALU_DEP_2)
	v_add_co_ci_u32_e32 v41, vcc_lo, v41, v43, vcc_lo
	v_add3_u32 v42, v255, s13, 1
	global_store_b32 v[40:41], v42, off
.LBB56_608:
	s_or_b32 exec_lo, exec_lo, s9
	s_delay_alu instid0(SALU_CYCLE_1)
	s_mov_b32 s1, exec_lo
	v_cmpx_eq_u32_e32 0, v125
	s_cbranch_execz .LBB56_611
; %bb.609:
	v_lshlrev_b64 v[40:41], 2, v[231:232]
	v_cmp_lt_i32_e64 s0, 0, v129
	s_delay_alu instid0(VALU_DEP_2) | instskip(NEXT) | instid1(VALU_DEP_3)
	v_add_co_u32 v116, vcc_lo, s6, v40
	v_add_co_ci_u32_e32 v117, vcc_lo, s7, v41, vcc_lo
	global_load_b32 v40, v[116:117], off
	s_waitcnt vmcnt(0)
	v_cmp_eq_u32_e32 vcc_lo, 0, v40
	s_and_b32 s0, vcc_lo, s0
	s_delay_alu instid0(SALU_CYCLE_1)
	s_and_b32 exec_lo, exec_lo, s0
	s_cbranch_execz .LBB56_611
; %bb.610:
	v_add_nc_u32_e32 v40, s13, v129
	global_store_b32 v[116:117], v40, off
.LBB56_611:
	s_or_b32 exec_lo, exec_lo, s1
	v_add3_u32 v40, s8, s8, v125
	v_lshlrev_b64 v[42:43], 4, v[125:126]
	s_delay_alu instid0(VALU_DEP_2) | instskip(SKIP_1) | instid1(VALU_DEP_3)
	v_add_nc_u32_e32 v44, s8, v40
	v_ashrrev_i32_e32 v41, 31, v40
	v_add_co_u32 v42, vcc_lo, v128, v42
	s_delay_alu instid0(VALU_DEP_4) | instskip(NEXT) | instid1(VALU_DEP_4)
	v_add_co_ci_u32_e32 v43, vcc_lo, v98, v43, vcc_lo
	v_ashrrev_i32_e32 v45, 31, v44
	s_delay_alu instid0(VALU_DEP_3) | instskip(NEXT) | instid1(VALU_DEP_3)
	v_add_co_u32 v46, vcc_lo, v42, s10
	v_add_co_ci_u32_e32 v47, vcc_lo, s11, v43, vcc_lo
	global_store_b128 v[42:43], v[233:236], off
	v_lshlrev_b64 v[42:43], 4, v[44:45]
	v_add_nc_u32_e32 v44, s8, v44
	v_lshlrev_b64 v[40:41], 4, v[40:41]
	global_store_b128 v[46:47], v[239:242], off
	v_add_nc_u32_e32 v46, s8, v44
	v_ashrrev_i32_e32 v45, 31, v44
	v_add_co_u32 v40, vcc_lo, v128, v40
	v_add_co_ci_u32_e32 v41, vcc_lo, v98, v41, vcc_lo
	s_delay_alu instid0(VALU_DEP_4)
	v_add_nc_u32_e32 v112, s8, v46
	v_add_co_u32 v42, vcc_lo, v128, v42
	v_ashrrev_i32_e32 v47, 31, v46
	v_lshlrev_b64 v[44:45], 4, v[44:45]
	v_add_co_ci_u32_e32 v43, vcc_lo, v98, v43, vcc_lo
	v_ashrrev_i32_e32 v113, 31, v112
	s_clause 0x1
	global_store_b128 v[40:41], v[108:111], off
	global_store_b128 v[42:43], v[104:107], off
	v_lshlrev_b64 v[40:41], 4, v[46:47]
	v_add_co_u32 v42, vcc_lo, v128, v44
	v_add_co_ci_u32_e32 v43, vcc_lo, v98, v45, vcc_lo
	v_lshlrev_b64 v[44:45], 4, v[112:113]
	v_add_nc_u32_e32 v46, s8, v112
	v_add_co_u32 v40, vcc_lo, v128, v40
	v_add_co_ci_u32_e32 v41, vcc_lo, v98, v41, vcc_lo
	s_delay_alu instid0(VALU_DEP_4) | instskip(NEXT) | instid1(VALU_DEP_4)
	v_add_co_u32 v44, vcc_lo, v128, v44
	v_add_nc_u32_e32 v108, s8, v46
	v_add_co_ci_u32_e32 v45, vcc_lo, v98, v45, vcc_lo
	v_ashrrev_i32_e32 v47, 31, v46
	global_store_b128 v[42:43], v[243:246], off
	v_ashrrev_i32_e32 v109, 31, v108
	s_clause 0x1
	global_store_b128 v[40:41], v[247:250], off
	global_store_b128 v[44:45], v[251:254], off
	v_add_nc_u32_e32 v44, s8, v108
	v_lshlrev_b64 v[42:43], 4, v[46:47]
	v_lshlrev_b64 v[40:41], 4, v[108:109]
	s_delay_alu instid0(VALU_DEP_3) | instskip(SKIP_1) | instid1(VALU_DEP_4)
	v_add_nc_u32_e32 v46, s8, v44
	v_ashrrev_i32_e32 v45, 31, v44
	v_add_co_u32 v42, vcc_lo, v128, v42
	v_add_co_ci_u32_e32 v43, vcc_lo, v98, v43, vcc_lo
	s_delay_alu instid0(VALU_DEP_4)
	v_add_nc_u32_e32 v96, s8, v46
	v_add_co_u32 v40, vcc_lo, v128, v40
	v_ashrrev_i32_e32 v47, 31, v46
	v_lshlrev_b64 v[44:45], 4, v[44:45]
	v_add_co_ci_u32_e32 v41, vcc_lo, v98, v41, vcc_lo
	v_ashrrev_i32_e32 v97, 31, v96
	s_clause 0x1
	global_store_b128 v[42:43], v[88:91], off
	global_store_b128 v[40:41], v[92:95], off
	v_lshlrev_b64 v[40:41], 4, v[46:47]
	v_add_co_u32 v42, vcc_lo, v128, v44
	v_add_co_ci_u32_e32 v43, vcc_lo, v98, v45, vcc_lo
	v_lshlrev_b64 v[44:45], 4, v[96:97]
	v_add_nc_u32_e32 v46, s8, v96
	v_add_co_u32 v40, vcc_lo, v128, v40
	v_add_co_ci_u32_e32 v41, vcc_lo, v98, v41, vcc_lo
	s_delay_alu instid0(VALU_DEP_4) | instskip(NEXT) | instid1(VALU_DEP_4)
	v_add_co_u32 v44, vcc_lo, v128, v44
	v_add_nc_u32_e32 v88, s8, v46
	v_add_co_ci_u32_e32 v45, vcc_lo, v98, v45, vcc_lo
	v_ashrrev_i32_e32 v47, 31, v46
	global_store_b128 v[42:43], v[68:71], off
	v_ashrrev_i32_e32 v89, 31, v88
	s_clause 0x1
	global_store_b128 v[40:41], v[76:79], off
	global_store_b128 v[44:45], v[72:75], off
	v_add_nc_u32_e32 v44, s8, v88
	v_lshlrev_b64 v[42:43], 4, v[46:47]
	v_lshlrev_b64 v[40:41], 4, v[88:89]
	s_delay_alu instid0(VALU_DEP_3) | instskip(SKIP_1) | instid1(VALU_DEP_4)
	;; [unrolled: 35-line block ×3, first 2 shown]
	v_add_nc_u32_e32 v46, s8, v44
	v_ashrrev_i32_e32 v45, 31, v44
	v_add_co_u32 v42, vcc_lo, v128, v42
	v_add_co_ci_u32_e32 v43, vcc_lo, v98, v43, vcc_lo
	s_delay_alu instid0(VALU_DEP_4)
	v_add_nc_u32_e32 v56, s8, v46
	v_add_co_u32 v40, vcc_lo, v128, v40
	v_ashrrev_i32_e32 v47, 31, v46
	v_lshlrev_b64 v[44:45], 4, v[44:45]
	v_add_co_ci_u32_e32 v41, vcc_lo, v98, v41, vcc_lo
	v_ashrrev_i32_e32 v57, 31, v56
	s_clause 0x1
	global_store_b128 v[42:43], v[52:55], off
	global_store_b128 v[40:41], v[48:51], off
	v_lshlrev_b64 v[40:41], 4, v[46:47]
	v_add_co_u32 v42, vcc_lo, v128, v44
	v_add_nc_u32_e32 v46, s8, v56
	v_add_co_ci_u32_e32 v43, vcc_lo, v98, v45, vcc_lo
	v_lshlrev_b64 v[44:45], 4, v[56:57]
	v_add_co_u32 v40, vcc_lo, v128, v40
	s_delay_alu instid0(VALU_DEP_4)
	v_add_nc_u32_e32 v48, s8, v46
	v_add_co_ci_u32_e32 v41, vcc_lo, v98, v41, vcc_lo
	v_ashrrev_i32_e32 v47, 31, v46
	v_add_co_u32 v44, vcc_lo, v128, v44
	v_add_co_ci_u32_e32 v45, vcc_lo, v98, v45, vcc_lo
	v_ashrrev_i32_e32 v49, 31, v48
	global_store_b128 v[42:43], v[36:39], off
	v_lshlrev_b64 v[36:37], 4, v[46:47]
	s_clause 0x1
	global_store_b128 v[40:41], v[32:35], off
	global_store_b128 v[44:45], v[28:31], off
	v_add_nc_u32_e32 v30, s8, v48
	v_lshlrev_b64 v[28:29], 4, v[48:49]
	v_add_co_u32 v32, vcc_lo, v128, v36
	s_delay_alu instid0(VALU_DEP_3) | instskip(SKIP_1) | instid1(VALU_DEP_4)
	v_add_nc_u32_e32 v34, s8, v30
	v_add_co_ci_u32_e32 v33, vcc_lo, v98, v37, vcc_lo
	v_add_co_u32 v28, vcc_lo, v128, v28
	v_add_co_ci_u32_e32 v29, vcc_lo, v98, v29, vcc_lo
	s_delay_alu instid0(VALU_DEP_4)
	v_add_nc_u32_e32 v36, s8, v34
	v_ashrrev_i32_e32 v31, 31, v30
	s_clause 0x1
	global_store_b128 v[32:33], v[24:27], off
	global_store_b128 v[28:29], v[20:23], off
	v_ashrrev_i32_e32 v35, 31, v34
	v_add_nc_u32_e32 v22, s8, v36
	v_lshlrev_b64 v[24:25], 4, v[30:31]
	v_ashrrev_i32_e32 v37, 31, v36
	s_delay_alu instid0(VALU_DEP_4) | instskip(NEXT) | instid1(VALU_DEP_4)
	v_lshlrev_b64 v[20:21], 4, v[34:35]
	v_add_nc_u32_e32 v28, s8, v22
	v_ashrrev_i32_e32 v23, 31, v22
	v_add_co_u32 v24, vcc_lo, v128, v24
	v_lshlrev_b64 v[26:27], 4, v[36:37]
	s_delay_alu instid0(VALU_DEP_4)
	v_ashrrev_i32_e32 v29, 31, v28
	v_add_co_ci_u32_e32 v25, vcc_lo, v98, v25, vcc_lo
	v_add_co_u32 v20, vcc_lo, v128, v20
	v_lshlrev_b64 v[22:23], 4, v[22:23]
	v_add_co_ci_u32_e32 v21, vcc_lo, v98, v21, vcc_lo
	v_add_co_u32 v26, vcc_lo, v128, v26
	v_lshlrev_b64 v[28:29], 4, v[28:29]
	v_add_co_ci_u32_e32 v27, vcc_lo, v98, v27, vcc_lo
	v_add_co_u32 v22, vcc_lo, v128, v22
	v_add_co_ci_u32_e32 v23, vcc_lo, v98, v23, vcc_lo
	s_delay_alu instid0(VALU_DEP_4)
	v_add_co_u32 v28, vcc_lo, v128, v28
	v_add_co_ci_u32_e32 v29, vcc_lo, v98, v29, vcc_lo
	s_clause 0x4
	global_store_b128 v[24:25], v[16:19], off
	global_store_b128 v[20:21], v[12:15], off
	;; [unrolled: 1-line block ×5, first 2 shown]
.LBB56_612:
	s_nop 0
	s_sendmsg sendmsg(MSG_DEALLOC_VGPRS)
	s_endpgm
	.section	.rodata,"a",@progbits
	.p2align	6, 0x0
	.amdhsa_kernel _ZN9rocsolver6v33100L18getf2_small_kernelILi29E19rocblas_complex_numIdEiiPKPS3_EEvT1_T3_lS7_lPS7_llPT2_S7_S7_S9_l
		.amdhsa_group_segment_fixed_size 0
		.amdhsa_private_segment_fixed_size 60
		.amdhsa_kernarg_size 352
		.amdhsa_user_sgpr_count 14
		.amdhsa_user_sgpr_dispatch_ptr 0
		.amdhsa_user_sgpr_queue_ptr 0
		.amdhsa_user_sgpr_kernarg_segment_ptr 1
		.amdhsa_user_sgpr_dispatch_id 0
		.amdhsa_user_sgpr_private_segment_size 0
		.amdhsa_wavefront_size32 1
		.amdhsa_uses_dynamic_stack 0
		.amdhsa_enable_private_segment 1
		.amdhsa_system_sgpr_workgroup_id_x 1
		.amdhsa_system_sgpr_workgroup_id_y 1
		.amdhsa_system_sgpr_workgroup_id_z 0
		.amdhsa_system_sgpr_workgroup_info 0
		.amdhsa_system_vgpr_workitem_id 1
		.amdhsa_next_free_vgpr 256
		.amdhsa_next_free_sgpr 16
		.amdhsa_reserve_vcc 1
		.amdhsa_float_round_mode_32 0
		.amdhsa_float_round_mode_16_64 0
		.amdhsa_float_denorm_mode_32 3
		.amdhsa_float_denorm_mode_16_64 3
		.amdhsa_dx10_clamp 1
		.amdhsa_ieee_mode 1
		.amdhsa_fp16_overflow 0
		.amdhsa_workgroup_processor_mode 1
		.amdhsa_memory_ordered 1
		.amdhsa_forward_progress 0
		.amdhsa_shared_vgpr_count 0
		.amdhsa_exception_fp_ieee_invalid_op 0
		.amdhsa_exception_fp_denorm_src 0
		.amdhsa_exception_fp_ieee_div_zero 0
		.amdhsa_exception_fp_ieee_overflow 0
		.amdhsa_exception_fp_ieee_underflow 0
		.amdhsa_exception_fp_ieee_inexact 0
		.amdhsa_exception_int_div_zero 0
	.end_amdhsa_kernel
	.section	.text._ZN9rocsolver6v33100L18getf2_small_kernelILi29E19rocblas_complex_numIdEiiPKPS3_EEvT1_T3_lS7_lPS7_llPT2_S7_S7_S9_l,"axG",@progbits,_ZN9rocsolver6v33100L18getf2_small_kernelILi29E19rocblas_complex_numIdEiiPKPS3_EEvT1_T3_lS7_lPS7_llPT2_S7_S7_S9_l,comdat
.Lfunc_end56:
	.size	_ZN9rocsolver6v33100L18getf2_small_kernelILi29E19rocblas_complex_numIdEiiPKPS3_EEvT1_T3_lS7_lPS7_llPT2_S7_S7_S9_l, .Lfunc_end56-_ZN9rocsolver6v33100L18getf2_small_kernelILi29E19rocblas_complex_numIdEiiPKPS3_EEvT1_T3_lS7_lPS7_llPT2_S7_S7_S9_l
                                        ; -- End function
	.section	.AMDGPU.csdata,"",@progbits
; Kernel info:
; codeLenInByte = 66324
; NumSgprs: 18
; NumVgprs: 256
; ScratchSize: 60
; MemoryBound: 0
; FloatMode: 240
; IeeeMode: 1
; LDSByteSize: 0 bytes/workgroup (compile time only)
; SGPRBlocks: 2
; VGPRBlocks: 31
; NumSGPRsForWavesPerEU: 18
; NumVGPRsForWavesPerEU: 256
; Occupancy: 5
; WaveLimiterHint : 1
; COMPUTE_PGM_RSRC2:SCRATCH_EN: 1
; COMPUTE_PGM_RSRC2:USER_SGPR: 14
; COMPUTE_PGM_RSRC2:TRAP_HANDLER: 0
; COMPUTE_PGM_RSRC2:TGID_X_EN: 1
; COMPUTE_PGM_RSRC2:TGID_Y_EN: 1
; COMPUTE_PGM_RSRC2:TGID_Z_EN: 0
; COMPUTE_PGM_RSRC2:TIDIG_COMP_CNT: 1
	.section	.text._ZN9rocsolver6v33100L23getf2_npvt_small_kernelILi29E19rocblas_complex_numIdEiiPKPS3_EEvT1_T3_lS7_lPT2_S7_S7_,"axG",@progbits,_ZN9rocsolver6v33100L23getf2_npvt_small_kernelILi29E19rocblas_complex_numIdEiiPKPS3_EEvT1_T3_lS7_lPT2_S7_S7_,comdat
	.globl	_ZN9rocsolver6v33100L23getf2_npvt_small_kernelILi29E19rocblas_complex_numIdEiiPKPS3_EEvT1_T3_lS7_lPT2_S7_S7_ ; -- Begin function _ZN9rocsolver6v33100L23getf2_npvt_small_kernelILi29E19rocblas_complex_numIdEiiPKPS3_EEvT1_T3_lS7_lPT2_S7_S7_
	.p2align	8
	.type	_ZN9rocsolver6v33100L23getf2_npvt_small_kernelILi29E19rocblas_complex_numIdEiiPKPS3_EEvT1_T3_lS7_lPT2_S7_S7_,@function
_ZN9rocsolver6v33100L23getf2_npvt_small_kernelILi29E19rocblas_complex_numIdEiiPKPS3_EEvT1_T3_lS7_lPT2_S7_S7_: ; @_ZN9rocsolver6v33100L23getf2_npvt_small_kernelILi29E19rocblas_complex_numIdEiiPKPS3_EEvT1_T3_lS7_lPT2_S7_S7_
; %bb.0:
	s_clause 0x1
	s_load_b32 s2, s[0:1], 0x44
	s_load_b64 s[8:9], s[0:1], 0x30
	v_bfe_u32 v116, v0, 10, 10
	s_waitcnt lgkmcnt(0)
	s_lshr_b32 s10, s2, 16
	s_mov_b32 s2, exec_lo
	s_delay_alu instid0(VALU_DEP_1) | instskip(NEXT) | instid1(VALU_DEP_1)
	v_mad_u64_u32 v[236:237], null, s15, s10, v[116:117]
	v_cmpx_gt_i32_e64 s8, v236
	s_cbranch_execz .LBB57_266
; %bb.1:
	s_clause 0x1
	s_load_b128 s[4:7], s[0:1], 0x8
	s_load_b32 s2, s[0:1], 0x18
	v_ashrrev_i32_e32 v237, 31, v236
	v_and_b32_e32 v244, 0x3ff, v0
	v_lshlrev_b32_e32 v117, 4, v116
	s_mulk_i32 s10, 0x1d0
	v_mad_u32_u24 v246, 0x1d0, v116, 0
	v_lshlrev_b64 v[1:2], 3, v[236:237]
	v_lshlrev_b32_e32 v57, 4, v244
	v_add3_u32 v245, 0, s10, v117
	s_waitcnt lgkmcnt(0)
	s_delay_alu instid0(VALU_DEP_3) | instskip(NEXT) | instid1(VALU_DEP_4)
	v_add_co_u32 v1, vcc_lo, s4, v1
	v_add_co_ci_u32_e32 v2, vcc_lo, s5, v2, vcc_lo
	v_add3_u32 v3, s2, s2, v244
	s_lshl_b64 s[6:7], s[6:7], 4
	s_ashr_i32 s3, s2, 31
	global_load_b64 v[1:2], v[1:2], off
	s_lshl_b64 s[4:5], s[2:3], 4
	v_add_nc_u32_e32 v5, s2, v3
	v_ashrrev_i32_e32 v4, 31, v3
	v_cmp_ne_u32_e64 s3, 0, v244
	s_delay_alu instid0(VALU_DEP_3) | instskip(SKIP_1) | instid1(VALU_DEP_4)
	v_add_nc_u32_e32 v7, s2, v5
	v_ashrrev_i32_e32 v6, 31, v5
	v_lshlrev_b64 v[3:4], 4, v[3:4]
	s_delay_alu instid0(VALU_DEP_3) | instskip(SKIP_1) | instid1(VALU_DEP_4)
	v_add_nc_u32_e32 v9, s2, v7
	v_ashrrev_i32_e32 v8, 31, v7
	v_lshlrev_b64 v[5:6], 4, v[5:6]
	s_delay_alu instid0(VALU_DEP_3) | instskip(SKIP_1) | instid1(VALU_DEP_4)
	v_add_nc_u32_e32 v11, s2, v9
	v_ashrrev_i32_e32 v10, 31, v9
	v_lshlrev_b64 v[7:8], 4, v[7:8]
	s_delay_alu instid0(VALU_DEP_3) | instskip(SKIP_1) | instid1(VALU_DEP_4)
	v_add_nc_u32_e32 v13, s2, v11
	v_ashrrev_i32_e32 v12, 31, v11
	v_lshlrev_b64 v[9:10], 4, v[9:10]
	s_delay_alu instid0(VALU_DEP_3) | instskip(SKIP_1) | instid1(VALU_DEP_4)
	v_add_nc_u32_e32 v15, s2, v13
	v_ashrrev_i32_e32 v14, 31, v13
	v_lshlrev_b64 v[11:12], 4, v[11:12]
	s_delay_alu instid0(VALU_DEP_3) | instskip(SKIP_1) | instid1(VALU_DEP_4)
	v_add_nc_u32_e32 v17, s2, v15
	v_ashrrev_i32_e32 v16, 31, v15
	v_lshlrev_b64 v[13:14], 4, v[13:14]
	s_delay_alu instid0(VALU_DEP_3) | instskip(SKIP_1) | instid1(VALU_DEP_4)
	v_add_nc_u32_e32 v19, s2, v17
	v_ashrrev_i32_e32 v18, 31, v17
	v_lshlrev_b64 v[15:16], 4, v[15:16]
	s_delay_alu instid0(VALU_DEP_3) | instskip(SKIP_1) | instid1(VALU_DEP_4)
	v_add_nc_u32_e32 v21, s2, v19
	v_ashrrev_i32_e32 v20, 31, v19
	v_lshlrev_b64 v[17:18], 4, v[17:18]
	s_delay_alu instid0(VALU_DEP_3) | instskip(SKIP_1) | instid1(VALU_DEP_4)
	v_add_nc_u32_e32 v23, s2, v21
	v_ashrrev_i32_e32 v22, 31, v21
	v_lshlrev_b64 v[19:20], 4, v[19:20]
	s_delay_alu instid0(VALU_DEP_3) | instskip(SKIP_1) | instid1(VALU_DEP_4)
	v_add_nc_u32_e32 v25, s2, v23
	v_ashrrev_i32_e32 v24, 31, v23
	v_lshlrev_b64 v[21:22], 4, v[21:22]
	s_delay_alu instid0(VALU_DEP_3) | instskip(SKIP_1) | instid1(VALU_DEP_4)
	v_add_nc_u32_e32 v27, s2, v25
	v_ashrrev_i32_e32 v26, 31, v25
	v_lshlrev_b64 v[23:24], 4, v[23:24]
	s_delay_alu instid0(VALU_DEP_3) | instskip(SKIP_1) | instid1(VALU_DEP_4)
	v_add_nc_u32_e32 v29, s2, v27
	v_ashrrev_i32_e32 v28, 31, v27
	v_lshlrev_b64 v[25:26], 4, v[25:26]
	s_delay_alu instid0(VALU_DEP_3) | instskip(SKIP_1) | instid1(VALU_DEP_4)
	v_add_nc_u32_e32 v31, s2, v29
	v_ashrrev_i32_e32 v30, 31, v29
	v_lshlrev_b64 v[27:28], 4, v[27:28]
	s_delay_alu instid0(VALU_DEP_3) | instskip(SKIP_1) | instid1(VALU_DEP_4)
	v_add_nc_u32_e32 v33, s2, v31
	v_ashrrev_i32_e32 v32, 31, v31
	v_lshlrev_b64 v[29:30], 4, v[29:30]
	s_delay_alu instid0(VALU_DEP_3) | instskip(SKIP_1) | instid1(VALU_DEP_4)
	v_add_nc_u32_e32 v35, s2, v33
	v_ashrrev_i32_e32 v34, 31, v33
	v_lshlrev_b64 v[31:32], 4, v[31:32]
	s_delay_alu instid0(VALU_DEP_3) | instskip(SKIP_1) | instid1(VALU_DEP_4)
	v_add_nc_u32_e32 v37, s2, v35
	v_ashrrev_i32_e32 v36, 31, v35
	v_lshlrev_b64 v[33:34], 4, v[33:34]
	s_delay_alu instid0(VALU_DEP_3) | instskip(SKIP_1) | instid1(VALU_DEP_4)
	v_add_nc_u32_e32 v39, s2, v37
	v_ashrrev_i32_e32 v38, 31, v37
	v_lshlrev_b64 v[35:36], 4, v[35:36]
	s_delay_alu instid0(VALU_DEP_3) | instskip(SKIP_1) | instid1(VALU_DEP_4)
	v_add_nc_u32_e32 v41, s2, v39
	v_ashrrev_i32_e32 v40, 31, v39
	v_lshlrev_b64 v[37:38], 4, v[37:38]
	s_delay_alu instid0(VALU_DEP_3) | instskip(SKIP_1) | instid1(VALU_DEP_4)
	v_add_nc_u32_e32 v43, s2, v41
	v_ashrrev_i32_e32 v42, 31, v41
	v_lshlrev_b64 v[39:40], 4, v[39:40]
	s_delay_alu instid0(VALU_DEP_3) | instskip(SKIP_1) | instid1(VALU_DEP_4)
	v_add_nc_u32_e32 v45, s2, v43
	v_ashrrev_i32_e32 v44, 31, v43
	v_lshlrev_b64 v[41:42], 4, v[41:42]
	s_delay_alu instid0(VALU_DEP_3) | instskip(SKIP_1) | instid1(VALU_DEP_4)
	v_add_nc_u32_e32 v47, s2, v45
	v_ashrrev_i32_e32 v46, 31, v45
	v_lshlrev_b64 v[43:44], 4, v[43:44]
	s_delay_alu instid0(VALU_DEP_3) | instskip(SKIP_1) | instid1(VALU_DEP_4)
	v_add_nc_u32_e32 v49, s2, v47
	v_ashrrev_i32_e32 v48, 31, v47
	v_lshlrev_b64 v[45:46], 4, v[45:46]
	s_delay_alu instid0(VALU_DEP_3) | instskip(SKIP_1) | instid1(VALU_DEP_4)
	v_add_nc_u32_e32 v51, s2, v49
	v_ashrrev_i32_e32 v50, 31, v49
	v_lshlrev_b64 v[47:48], 4, v[47:48]
	s_delay_alu instid0(VALU_DEP_3) | instskip(SKIP_1) | instid1(VALU_DEP_4)
	v_add_nc_u32_e32 v53, s2, v51
	v_ashrrev_i32_e32 v52, 31, v51
	v_lshlrev_b64 v[49:50], 4, v[49:50]
	s_delay_alu instid0(VALU_DEP_3) | instskip(SKIP_1) | instid1(VALU_DEP_4)
	v_add_nc_u32_e32 v55, s2, v53
	v_ashrrev_i32_e32 v54, 31, v53
	v_lshlrev_b64 v[51:52], 4, v[51:52]
	v_cmp_eq_u32_e64 s2, 0, v244
	s_delay_alu instid0(VALU_DEP_4) | instskip(NEXT) | instid1(VALU_DEP_4)
	v_ashrrev_i32_e32 v56, 31, v55
	v_lshlrev_b64 v[53:54], 4, v[53:54]
	s_waitcnt vmcnt(0)
	v_add_co_u32 v58, vcc_lo, v1, s6
	v_add_co_ci_u32_e32 v2, vcc_lo, s7, v2, vcc_lo
	v_lshlrev_b64 v[0:1], 4, v[55:56]
	s_delay_alu instid0(VALU_DEP_3) | instskip(NEXT) | instid1(VALU_DEP_3)
	v_add_co_u32 v240, vcc_lo, v58, v57
	v_add_co_ci_u32_e32 v241, vcc_lo, 0, v2, vcc_lo
	v_add_co_u32 v242, vcc_lo, v58, v3
	v_add_co_ci_u32_e32 v243, vcc_lo, v2, v4, vcc_lo
	;; [unrolled: 2-line block ×29, first 2 shown]
	s_clause 0x2
	global_load_b128 v[104:107], v[242:243], off
	global_load_b128 v[100:103], v[238:239], off
	;; [unrolled: 1-line block ×3, first 2 shown]
	s_clause 0x16
	scratch_store_b64 off, v[69:70], off offset:184
	scratch_store_b64 off, v[75:76], off offset:192
	;; [unrolled: 1-line block ×23, first 2 shown]
	s_clause 0x18
	global_load_b128 v[92:95], v[69:70], off
	global_load_b128 v[88:91], v[73:74], off
	;; [unrolled: 1-line block ×25, first 2 shown]
	scratch_store_b64 off, v[0:1], off      ; 8-byte Folded Spill
	global_load_b128 v[0:3], v[0:1], off
	s_and_saveexec_b32 s5, s2
	s_cbranch_execz .LBB57_8
; %bb.2:
	s_waitcnt vmcnt(2)
	ds_store_2addr_b64 v245, v[112:113], v[114:115] offset1:1
	s_waitcnt vmcnt(1)
	ds_store_2addr_b64 v246, v[108:109], v[110:111] offset0:2 offset1:3
	ds_store_2addr_b64 v246, v[104:105], v[106:107] offset0:4 offset1:5
	;; [unrolled: 1-line block ×27, first 2 shown]
	s_waitcnt vmcnt(0)
	ds_store_2addr_b64 v246, v[0:1], v[2:3] offset0:56 offset1:57
	ds_load_2addr_b64 v[116:119], v245 offset1:1
	s_waitcnt lgkmcnt(0)
	v_cmp_neq_f64_e32 vcc_lo, 0, v[116:117]
	v_cmp_neq_f64_e64 s4, 0, v[118:119]
	s_delay_alu instid0(VALU_DEP_1) | instskip(NEXT) | instid1(SALU_CYCLE_1)
	s_or_b32 s4, vcc_lo, s4
	s_and_b32 exec_lo, exec_lo, s4
	s_cbranch_execz .LBB57_8
; %bb.3:
	v_cmp_gt_f64_e32 vcc_lo, 0, v[116:117]
	v_cmp_gt_f64_e64 s4, 0, v[118:119]
	v_xor_b32_e32 v120, 0x80000000, v117
	v_xor_b32_e32 v122, 0x80000000, v119
                                        ; implicit-def: $vgpr124_vgpr125
	s_delay_alu instid0(VALU_DEP_2) | instskip(NEXT) | instid1(VALU_DEP_2)
	v_cndmask_b32_e32 v121, v117, v120, vcc_lo
	v_cndmask_b32_e64 v123, v119, v122, s4
	v_cndmask_b32_e32 v120, v116, v116, vcc_lo
	v_cndmask_b32_e64 v122, v118, v118, s4
	s_mov_b32 s4, exec_lo
	s_delay_alu instid0(VALU_DEP_1)
	v_cmpx_ngt_f64_e32 v[120:121], v[122:123]
	s_xor_b32 s4, exec_lo, s4
                                        ; implicit-def: $vgpr120_vgpr121_vgpr122_vgpr123
	s_cbranch_execz .LBB57_5
; %bb.4:
	v_div_scale_f64 v[120:121], null, v[118:119], v[118:119], v[116:117]
	v_div_scale_f64 v[126:127], vcc_lo, v[116:117], v[118:119], v[116:117]
	s_delay_alu instid0(VALU_DEP_2) | instskip(SKIP_2) | instid1(VALU_DEP_1)
	v_rcp_f64_e32 v[122:123], v[120:121]
	s_waitcnt_depctr 0xfff
	v_fma_f64 v[124:125], -v[120:121], v[122:123], 1.0
	v_fma_f64 v[122:123], v[122:123], v[124:125], v[122:123]
	s_delay_alu instid0(VALU_DEP_1) | instskip(NEXT) | instid1(VALU_DEP_1)
	v_fma_f64 v[124:125], -v[120:121], v[122:123], 1.0
	v_fma_f64 v[122:123], v[122:123], v[124:125], v[122:123]
	s_delay_alu instid0(VALU_DEP_1) | instskip(NEXT) | instid1(VALU_DEP_1)
	v_mul_f64 v[124:125], v[126:127], v[122:123]
	v_fma_f64 v[120:121], -v[120:121], v[124:125], v[126:127]
	s_delay_alu instid0(VALU_DEP_1) | instskip(NEXT) | instid1(VALU_DEP_1)
	v_div_fmas_f64 v[120:121], v[120:121], v[122:123], v[124:125]
	v_div_fixup_f64 v[120:121], v[120:121], v[118:119], v[116:117]
	s_delay_alu instid0(VALU_DEP_1) | instskip(NEXT) | instid1(VALU_DEP_1)
	v_fma_f64 v[116:117], v[116:117], v[120:121], v[118:119]
	v_div_scale_f64 v[118:119], null, v[116:117], v[116:117], 1.0
	s_delay_alu instid0(VALU_DEP_1) | instskip(SKIP_2) | instid1(VALU_DEP_1)
	v_rcp_f64_e32 v[122:123], v[118:119]
	s_waitcnt_depctr 0xfff
	v_fma_f64 v[124:125], -v[118:119], v[122:123], 1.0
	v_fma_f64 v[122:123], v[122:123], v[124:125], v[122:123]
	s_delay_alu instid0(VALU_DEP_1) | instskip(NEXT) | instid1(VALU_DEP_1)
	v_fma_f64 v[124:125], -v[118:119], v[122:123], 1.0
	v_fma_f64 v[122:123], v[122:123], v[124:125], v[122:123]
	v_div_scale_f64 v[124:125], vcc_lo, 1.0, v[116:117], 1.0
	s_delay_alu instid0(VALU_DEP_1) | instskip(NEXT) | instid1(VALU_DEP_1)
	v_mul_f64 v[126:127], v[124:125], v[122:123]
	v_fma_f64 v[118:119], -v[118:119], v[126:127], v[124:125]
	s_delay_alu instid0(VALU_DEP_1) | instskip(NEXT) | instid1(VALU_DEP_1)
	v_div_fmas_f64 v[118:119], v[118:119], v[122:123], v[126:127]
	v_div_fixup_f64 v[122:123], v[118:119], v[116:117], 1.0
                                        ; implicit-def: $vgpr116_vgpr117
	s_delay_alu instid0(VALU_DEP_1)
	v_mul_f64 v[124:125], v[120:121], v[122:123]
	v_xor_b32_e32 v123, 0x80000000, v123
.LBB57_5:
	s_and_not1_saveexec_b32 s4, s4
	s_cbranch_execz .LBB57_7
; %bb.6:
	v_div_scale_f64 v[120:121], null, v[116:117], v[116:117], v[118:119]
	v_div_scale_f64 v[126:127], vcc_lo, v[118:119], v[116:117], v[118:119]
	s_delay_alu instid0(VALU_DEP_2) | instskip(SKIP_2) | instid1(VALU_DEP_1)
	v_rcp_f64_e32 v[122:123], v[120:121]
	s_waitcnt_depctr 0xfff
	v_fma_f64 v[124:125], -v[120:121], v[122:123], 1.0
	v_fma_f64 v[122:123], v[122:123], v[124:125], v[122:123]
	s_delay_alu instid0(VALU_DEP_1) | instskip(NEXT) | instid1(VALU_DEP_1)
	v_fma_f64 v[124:125], -v[120:121], v[122:123], 1.0
	v_fma_f64 v[122:123], v[122:123], v[124:125], v[122:123]
	s_delay_alu instid0(VALU_DEP_1) | instskip(NEXT) | instid1(VALU_DEP_1)
	v_mul_f64 v[124:125], v[126:127], v[122:123]
	v_fma_f64 v[120:121], -v[120:121], v[124:125], v[126:127]
	s_delay_alu instid0(VALU_DEP_1) | instskip(NEXT) | instid1(VALU_DEP_1)
	v_div_fmas_f64 v[120:121], v[120:121], v[122:123], v[124:125]
	v_div_fixup_f64 v[120:121], v[120:121], v[116:117], v[118:119]
	s_delay_alu instid0(VALU_DEP_1) | instskip(NEXT) | instid1(VALU_DEP_1)
	v_fma_f64 v[116:117], v[118:119], v[120:121], v[116:117]
	v_div_scale_f64 v[118:119], null, v[116:117], v[116:117], 1.0
	s_delay_alu instid0(VALU_DEP_1) | instskip(SKIP_2) | instid1(VALU_DEP_1)
	v_rcp_f64_e32 v[122:123], v[118:119]
	s_waitcnt_depctr 0xfff
	v_fma_f64 v[124:125], -v[118:119], v[122:123], 1.0
	v_fma_f64 v[122:123], v[122:123], v[124:125], v[122:123]
	s_delay_alu instid0(VALU_DEP_1) | instskip(NEXT) | instid1(VALU_DEP_1)
	v_fma_f64 v[124:125], -v[118:119], v[122:123], 1.0
	v_fma_f64 v[122:123], v[122:123], v[124:125], v[122:123]
	v_div_scale_f64 v[124:125], vcc_lo, 1.0, v[116:117], 1.0
	s_delay_alu instid0(VALU_DEP_1) | instskip(NEXT) | instid1(VALU_DEP_1)
	v_mul_f64 v[126:127], v[124:125], v[122:123]
	v_fma_f64 v[118:119], -v[118:119], v[126:127], v[124:125]
	s_delay_alu instid0(VALU_DEP_1) | instskip(NEXT) | instid1(VALU_DEP_1)
	v_div_fmas_f64 v[118:119], v[118:119], v[122:123], v[126:127]
	v_div_fixup_f64 v[124:125], v[118:119], v[116:117], 1.0
	s_delay_alu instid0(VALU_DEP_1)
	v_mul_f64 v[122:123], v[120:121], -v[124:125]
.LBB57_7:
	s_or_b32 exec_lo, exec_lo, s4
	ds_store_2addr_b64 v245, v[124:125], v[122:123] offset1:1
.LBB57_8:
	s_or_b32 exec_lo, exec_lo, s5
	s_waitcnt vmcnt(0) lgkmcnt(0)
	s_waitcnt_vscnt null, 0x0
	s_barrier
	buffer_gl0_inv
	ds_load_2addr_b64 v[116:119], v245 offset1:1
	s_waitcnt lgkmcnt(0)
	scratch_store_b128 off, v[116:119], off offset:160 ; 16-byte Folded Spill
	s_and_saveexec_b32 s4, s3
	s_cbranch_execz .LBB57_10
; %bb.9:
	scratch_load_b128 v[122:125], off, off offset:160 ; 16-byte Folded Reload
	s_waitcnt vmcnt(0)
	v_mul_f64 v[116:117], v[124:125], v[114:115]
	v_mul_f64 v[114:115], v[122:123], v[114:115]
	s_delay_alu instid0(VALU_DEP_2) | instskip(NEXT) | instid1(VALU_DEP_2)
	v_fma_f64 v[120:121], v[122:123], v[112:113], -v[116:117]
	v_fma_f64 v[114:115], v[124:125], v[112:113], v[114:115]
	ds_load_2addr_b64 v[116:119], v246 offset0:2 offset1:3
	s_waitcnt lgkmcnt(0)
	v_mul_f64 v[112:113], v[118:119], v[114:115]
	s_delay_alu instid0(VALU_DEP_1) | instskip(SKIP_1) | instid1(VALU_DEP_2)
	v_fma_f64 v[112:113], v[116:117], v[120:121], -v[112:113]
	v_mul_f64 v[116:117], v[116:117], v[114:115]
	v_add_f64 v[108:109], v[108:109], -v[112:113]
	s_delay_alu instid0(VALU_DEP_2) | instskip(NEXT) | instid1(VALU_DEP_1)
	v_fma_f64 v[116:117], v[118:119], v[120:121], v[116:117]
	v_add_f64 v[110:111], v[110:111], -v[116:117]
	ds_load_2addr_b64 v[116:119], v246 offset0:4 offset1:5
	s_waitcnt lgkmcnt(0)
	v_mul_f64 v[112:113], v[118:119], v[114:115]
	s_delay_alu instid0(VALU_DEP_1) | instskip(SKIP_1) | instid1(VALU_DEP_2)
	v_fma_f64 v[112:113], v[116:117], v[120:121], -v[112:113]
	v_mul_f64 v[116:117], v[116:117], v[114:115]
	v_add_f64 v[104:105], v[104:105], -v[112:113]
	s_delay_alu instid0(VALU_DEP_2) | instskip(NEXT) | instid1(VALU_DEP_1)
	v_fma_f64 v[116:117], v[118:119], v[120:121], v[116:117]
	v_add_f64 v[106:107], v[106:107], -v[116:117]
	;; [unrolled: 10-line block ×27, first 2 shown]
	ds_load_2addr_b64 v[116:119], v246 offset0:56 offset1:57
	s_waitcnt lgkmcnt(0)
	v_mul_f64 v[112:113], v[118:119], v[114:115]
	s_delay_alu instid0(VALU_DEP_1) | instskip(SKIP_1) | instid1(VALU_DEP_2)
	v_fma_f64 v[112:113], v[116:117], v[120:121], -v[112:113]
	v_mul_f64 v[116:117], v[116:117], v[114:115]
	v_add_f64 v[0:1], v[0:1], -v[112:113]
	s_delay_alu instid0(VALU_DEP_2) | instskip(SKIP_1) | instid1(VALU_DEP_2)
	v_fma_f64 v[116:117], v[118:119], v[120:121], v[116:117]
	v_dual_mov_b32 v112, v120 :: v_dual_mov_b32 v113, v121
	v_add_f64 v[2:3], v[2:3], -v[116:117]
.LBB57_10:
	s_or_b32 exec_lo, exec_lo, s4
	s_delay_alu instid0(SALU_CYCLE_1)
	s_mov_b32 s4, exec_lo
	s_waitcnt_vscnt null, 0x0
	s_barrier
	buffer_gl0_inv
	v_cmpx_eq_u32_e32 1, v244
	s_cbranch_execz .LBB57_17
; %bb.11:
	ds_store_2addr_b64 v245, v[108:109], v[110:111] offset1:1
	ds_store_2addr_b64 v246, v[104:105], v[106:107] offset0:4 offset1:5
	ds_store_2addr_b64 v246, v[100:101], v[102:103] offset0:6 offset1:7
	;; [unrolled: 1-line block ×27, first 2 shown]
	ds_load_2addr_b64 v[120:123], v245 offset1:1
	s_waitcnt lgkmcnt(0)
	v_cmp_neq_f64_e32 vcc_lo, 0, v[120:121]
	v_cmp_neq_f64_e64 s3, 0, v[122:123]
	s_delay_alu instid0(VALU_DEP_1) | instskip(NEXT) | instid1(SALU_CYCLE_1)
	s_or_b32 s3, vcc_lo, s3
	s_and_b32 exec_lo, exec_lo, s3
	s_cbranch_execz .LBB57_17
; %bb.12:
	v_cmp_gt_f64_e32 vcc_lo, 0, v[120:121]
	v_cmp_gt_f64_e64 s3, 0, v[122:123]
	v_xor_b32_e32 v116, 0x80000000, v121
	v_xor_b32_e32 v118, 0x80000000, v123
	s_delay_alu instid0(VALU_DEP_2) | instskip(NEXT) | instid1(VALU_DEP_2)
	v_cndmask_b32_e32 v117, v121, v116, vcc_lo
	v_cndmask_b32_e64 v119, v123, v118, s3
	v_cndmask_b32_e32 v116, v120, v120, vcc_lo
	v_cndmask_b32_e64 v118, v122, v122, s3
	s_delay_alu instid0(VALU_DEP_1) | instskip(SKIP_1) | instid1(SALU_CYCLE_1)
	v_cmp_ngt_f64_e32 vcc_lo, v[116:117], v[118:119]
                                        ; implicit-def: $vgpr116_vgpr117
	s_and_saveexec_b32 s3, vcc_lo
	s_xor_b32 s3, exec_lo, s3
                                        ; implicit-def: $vgpr124_vgpr125_vgpr126_vgpr127
	s_cbranch_execz .LBB57_14
; %bb.13:
	v_div_scale_f64 v[116:117], null, v[122:123], v[122:123], v[120:121]
	v_div_scale_f64 v[126:127], vcc_lo, v[120:121], v[122:123], v[120:121]
	s_delay_alu instid0(VALU_DEP_2) | instskip(SKIP_2) | instid1(VALU_DEP_1)
	v_rcp_f64_e32 v[118:119], v[116:117]
	s_waitcnt_depctr 0xfff
	v_fma_f64 v[124:125], -v[116:117], v[118:119], 1.0
	v_fma_f64 v[118:119], v[118:119], v[124:125], v[118:119]
	s_delay_alu instid0(VALU_DEP_1) | instskip(NEXT) | instid1(VALU_DEP_1)
	v_fma_f64 v[124:125], -v[116:117], v[118:119], 1.0
	v_fma_f64 v[118:119], v[118:119], v[124:125], v[118:119]
	s_delay_alu instid0(VALU_DEP_1) | instskip(NEXT) | instid1(VALU_DEP_1)
	v_mul_f64 v[124:125], v[126:127], v[118:119]
	v_fma_f64 v[116:117], -v[116:117], v[124:125], v[126:127]
	s_delay_alu instid0(VALU_DEP_1) | instskip(NEXT) | instid1(VALU_DEP_1)
	v_div_fmas_f64 v[116:117], v[116:117], v[118:119], v[124:125]
	v_div_fixup_f64 v[116:117], v[116:117], v[122:123], v[120:121]
	s_delay_alu instid0(VALU_DEP_1) | instskip(NEXT) | instid1(VALU_DEP_1)
	v_fma_f64 v[118:119], v[120:121], v[116:117], v[122:123]
	v_div_scale_f64 v[120:121], null, v[118:119], v[118:119], 1.0
	s_delay_alu instid0(VALU_DEP_1) | instskip(SKIP_2) | instid1(VALU_DEP_1)
	v_rcp_f64_e32 v[122:123], v[120:121]
	s_waitcnt_depctr 0xfff
	v_fma_f64 v[124:125], -v[120:121], v[122:123], 1.0
	v_fma_f64 v[122:123], v[122:123], v[124:125], v[122:123]
	s_delay_alu instid0(VALU_DEP_1) | instskip(NEXT) | instid1(VALU_DEP_1)
	v_fma_f64 v[124:125], -v[120:121], v[122:123], 1.0
	v_fma_f64 v[122:123], v[122:123], v[124:125], v[122:123]
	v_div_scale_f64 v[124:125], vcc_lo, 1.0, v[118:119], 1.0
	s_delay_alu instid0(VALU_DEP_1) | instskip(NEXT) | instid1(VALU_DEP_1)
	v_mul_f64 v[126:127], v[124:125], v[122:123]
	v_fma_f64 v[120:121], -v[120:121], v[126:127], v[124:125]
	s_delay_alu instid0(VALU_DEP_1) | instskip(NEXT) | instid1(VALU_DEP_1)
	v_div_fmas_f64 v[120:121], v[120:121], v[122:123], v[126:127]
	v_div_fixup_f64 v[126:127], v[120:121], v[118:119], 1.0
                                        ; implicit-def: $vgpr120_vgpr121
	s_delay_alu instid0(VALU_DEP_1)
	v_mul_f64 v[116:117], v[116:117], v[126:127]
	v_xor_b32_e32 v127, 0x80000000, v127
.LBB57_14:
	s_and_not1_saveexec_b32 s3, s3
	s_cbranch_execz .LBB57_16
; %bb.15:
	v_div_scale_f64 v[116:117], null, v[120:121], v[120:121], v[122:123]
	v_div_scale_f64 v[126:127], vcc_lo, v[122:123], v[120:121], v[122:123]
	s_delay_alu instid0(VALU_DEP_2) | instskip(SKIP_2) | instid1(VALU_DEP_1)
	v_rcp_f64_e32 v[118:119], v[116:117]
	s_waitcnt_depctr 0xfff
	v_fma_f64 v[124:125], -v[116:117], v[118:119], 1.0
	v_fma_f64 v[118:119], v[118:119], v[124:125], v[118:119]
	s_delay_alu instid0(VALU_DEP_1) | instskip(NEXT) | instid1(VALU_DEP_1)
	v_fma_f64 v[124:125], -v[116:117], v[118:119], 1.0
	v_fma_f64 v[118:119], v[118:119], v[124:125], v[118:119]
	s_delay_alu instid0(VALU_DEP_1) | instskip(NEXT) | instid1(VALU_DEP_1)
	v_mul_f64 v[124:125], v[126:127], v[118:119]
	v_fma_f64 v[116:117], -v[116:117], v[124:125], v[126:127]
	s_delay_alu instid0(VALU_DEP_1) | instskip(NEXT) | instid1(VALU_DEP_1)
	v_div_fmas_f64 v[116:117], v[116:117], v[118:119], v[124:125]
	v_div_fixup_f64 v[118:119], v[116:117], v[120:121], v[122:123]
	s_delay_alu instid0(VALU_DEP_1) | instskip(NEXT) | instid1(VALU_DEP_1)
	v_fma_f64 v[116:117], v[122:123], v[118:119], v[120:121]
	v_div_scale_f64 v[120:121], null, v[116:117], v[116:117], 1.0
	s_delay_alu instid0(VALU_DEP_1) | instskip(SKIP_2) | instid1(VALU_DEP_1)
	v_rcp_f64_e32 v[122:123], v[120:121]
	s_waitcnt_depctr 0xfff
	v_fma_f64 v[124:125], -v[120:121], v[122:123], 1.0
	v_fma_f64 v[122:123], v[122:123], v[124:125], v[122:123]
	s_delay_alu instid0(VALU_DEP_1) | instskip(NEXT) | instid1(VALU_DEP_1)
	v_fma_f64 v[124:125], -v[120:121], v[122:123], 1.0
	v_fma_f64 v[122:123], v[122:123], v[124:125], v[122:123]
	v_div_scale_f64 v[124:125], vcc_lo, 1.0, v[116:117], 1.0
	s_delay_alu instid0(VALU_DEP_1) | instskip(NEXT) | instid1(VALU_DEP_1)
	v_mul_f64 v[126:127], v[124:125], v[122:123]
	v_fma_f64 v[120:121], -v[120:121], v[126:127], v[124:125]
	s_delay_alu instid0(VALU_DEP_1) | instskip(NEXT) | instid1(VALU_DEP_1)
	v_div_fmas_f64 v[120:121], v[120:121], v[122:123], v[126:127]
	v_div_fixup_f64 v[116:117], v[120:121], v[116:117], 1.0
	s_delay_alu instid0(VALU_DEP_1)
	v_mul_f64 v[126:127], v[118:119], -v[116:117]
.LBB57_16:
	s_or_b32 exec_lo, exec_lo, s3
	ds_store_2addr_b64 v245, v[116:117], v[126:127] offset1:1
.LBB57_17:
	s_or_b32 exec_lo, exec_lo, s4
	s_waitcnt lgkmcnt(0)
	s_barrier
	buffer_gl0_inv
	ds_load_2addr_b64 v[120:123], v245 offset1:1
	s_mov_b32 s3, exec_lo
	v_cmpx_lt_u32_e32 1, v244
	s_cbranch_execz .LBB57_19
; %bb.18:
	s_waitcnt lgkmcnt(0)
	v_mul_f64 v[116:117], v[122:123], v[110:111]
	v_mul_f64 v[110:111], v[120:121], v[110:111]
	s_delay_alu instid0(VALU_DEP_2) | instskip(NEXT) | instid1(VALU_DEP_2)
	v_fma_f64 v[124:125], v[120:121], v[108:109], -v[116:117]
	v_fma_f64 v[110:111], v[122:123], v[108:109], v[110:111]
	ds_load_2addr_b64 v[116:119], v246 offset0:4 offset1:5
	s_waitcnt lgkmcnt(0)
	v_mul_f64 v[108:109], v[118:119], v[110:111]
	s_delay_alu instid0(VALU_DEP_1) | instskip(SKIP_1) | instid1(VALU_DEP_2)
	v_fma_f64 v[108:109], v[116:117], v[124:125], -v[108:109]
	v_mul_f64 v[116:117], v[116:117], v[110:111]
	v_add_f64 v[104:105], v[104:105], -v[108:109]
	s_delay_alu instid0(VALU_DEP_2) | instskip(NEXT) | instid1(VALU_DEP_1)
	v_fma_f64 v[116:117], v[118:119], v[124:125], v[116:117]
	v_add_f64 v[106:107], v[106:107], -v[116:117]
	ds_load_2addr_b64 v[116:119], v246 offset0:6 offset1:7
	s_waitcnt lgkmcnt(0)
	v_mul_f64 v[108:109], v[118:119], v[110:111]
	s_delay_alu instid0(VALU_DEP_1) | instskip(SKIP_1) | instid1(VALU_DEP_2)
	v_fma_f64 v[108:109], v[116:117], v[124:125], -v[108:109]
	v_mul_f64 v[116:117], v[116:117], v[110:111]
	v_add_f64 v[100:101], v[100:101], -v[108:109]
	s_delay_alu instid0(VALU_DEP_2) | instskip(NEXT) | instid1(VALU_DEP_1)
	v_fma_f64 v[116:117], v[118:119], v[124:125], v[116:117]
	v_add_f64 v[102:103], v[102:103], -v[116:117]
	;; [unrolled: 10-line block ×26, first 2 shown]
	ds_load_2addr_b64 v[116:119], v246 offset0:56 offset1:57
	s_waitcnt lgkmcnt(0)
	v_mul_f64 v[108:109], v[118:119], v[110:111]
	s_delay_alu instid0(VALU_DEP_1) | instskip(SKIP_1) | instid1(VALU_DEP_2)
	v_fma_f64 v[108:109], v[116:117], v[124:125], -v[108:109]
	v_mul_f64 v[116:117], v[116:117], v[110:111]
	v_add_f64 v[0:1], v[0:1], -v[108:109]
	s_delay_alu instid0(VALU_DEP_2) | instskip(SKIP_1) | instid1(VALU_DEP_2)
	v_fma_f64 v[116:117], v[118:119], v[124:125], v[116:117]
	v_dual_mov_b32 v108, v124 :: v_dual_mov_b32 v109, v125
	v_add_f64 v[2:3], v[2:3], -v[116:117]
.LBB57_19:
	s_or_b32 exec_lo, exec_lo, s3
	s_delay_alu instid0(SALU_CYCLE_1)
	s_mov_b32 s4, exec_lo
	s_waitcnt lgkmcnt(0)
	s_barrier
	buffer_gl0_inv
	v_cmpx_eq_u32_e32 2, v244
	s_cbranch_execz .LBB57_26
; %bb.20:
	ds_store_2addr_b64 v245, v[104:105], v[106:107] offset1:1
	ds_store_2addr_b64 v246, v[100:101], v[102:103] offset0:6 offset1:7
	ds_store_2addr_b64 v246, v[96:97], v[98:99] offset0:8 offset1:9
	;; [unrolled: 1-line block ×26, first 2 shown]
	ds_load_2addr_b64 v[124:127], v245 offset1:1
	s_waitcnt lgkmcnt(0)
	v_cmp_neq_f64_e32 vcc_lo, 0, v[124:125]
	v_cmp_neq_f64_e64 s3, 0, v[126:127]
	s_delay_alu instid0(VALU_DEP_1) | instskip(NEXT) | instid1(SALU_CYCLE_1)
	s_or_b32 s3, vcc_lo, s3
	s_and_b32 exec_lo, exec_lo, s3
	s_cbranch_execz .LBB57_26
; %bb.21:
	v_cmp_gt_f64_e32 vcc_lo, 0, v[124:125]
	v_cmp_gt_f64_e64 s3, 0, v[126:127]
	v_xor_b32_e32 v116, 0x80000000, v125
	v_xor_b32_e32 v118, 0x80000000, v127
	s_delay_alu instid0(VALU_DEP_2) | instskip(NEXT) | instid1(VALU_DEP_2)
	v_cndmask_b32_e32 v117, v125, v116, vcc_lo
	v_cndmask_b32_e64 v119, v127, v118, s3
	v_cndmask_b32_e32 v116, v124, v124, vcc_lo
	v_cndmask_b32_e64 v118, v126, v126, s3
	s_delay_alu instid0(VALU_DEP_1) | instskip(SKIP_1) | instid1(SALU_CYCLE_1)
	v_cmp_ngt_f64_e32 vcc_lo, v[116:117], v[118:119]
                                        ; implicit-def: $vgpr116_vgpr117
	s_and_saveexec_b32 s3, vcc_lo
	s_xor_b32 s3, exec_lo, s3
                                        ; implicit-def: $vgpr128_vgpr129_vgpr130_vgpr131
	s_cbranch_execz .LBB57_23
; %bb.22:
	v_div_scale_f64 v[116:117], null, v[126:127], v[126:127], v[124:125]
	v_div_scale_f64 v[130:131], vcc_lo, v[124:125], v[126:127], v[124:125]
	s_delay_alu instid0(VALU_DEP_2) | instskip(SKIP_2) | instid1(VALU_DEP_1)
	v_rcp_f64_e32 v[118:119], v[116:117]
	s_waitcnt_depctr 0xfff
	v_fma_f64 v[128:129], -v[116:117], v[118:119], 1.0
	v_fma_f64 v[118:119], v[118:119], v[128:129], v[118:119]
	s_delay_alu instid0(VALU_DEP_1) | instskip(NEXT) | instid1(VALU_DEP_1)
	v_fma_f64 v[128:129], -v[116:117], v[118:119], 1.0
	v_fma_f64 v[118:119], v[118:119], v[128:129], v[118:119]
	s_delay_alu instid0(VALU_DEP_1) | instskip(NEXT) | instid1(VALU_DEP_1)
	v_mul_f64 v[128:129], v[130:131], v[118:119]
	v_fma_f64 v[116:117], -v[116:117], v[128:129], v[130:131]
	s_delay_alu instid0(VALU_DEP_1) | instskip(NEXT) | instid1(VALU_DEP_1)
	v_div_fmas_f64 v[116:117], v[116:117], v[118:119], v[128:129]
	v_div_fixup_f64 v[116:117], v[116:117], v[126:127], v[124:125]
	s_delay_alu instid0(VALU_DEP_1) | instskip(NEXT) | instid1(VALU_DEP_1)
	v_fma_f64 v[118:119], v[124:125], v[116:117], v[126:127]
	v_div_scale_f64 v[124:125], null, v[118:119], v[118:119], 1.0
	s_delay_alu instid0(VALU_DEP_1) | instskip(SKIP_2) | instid1(VALU_DEP_1)
	v_rcp_f64_e32 v[126:127], v[124:125]
	s_waitcnt_depctr 0xfff
	v_fma_f64 v[128:129], -v[124:125], v[126:127], 1.0
	v_fma_f64 v[126:127], v[126:127], v[128:129], v[126:127]
	s_delay_alu instid0(VALU_DEP_1) | instskip(NEXT) | instid1(VALU_DEP_1)
	v_fma_f64 v[128:129], -v[124:125], v[126:127], 1.0
	v_fma_f64 v[126:127], v[126:127], v[128:129], v[126:127]
	v_div_scale_f64 v[128:129], vcc_lo, 1.0, v[118:119], 1.0
	s_delay_alu instid0(VALU_DEP_1) | instskip(NEXT) | instid1(VALU_DEP_1)
	v_mul_f64 v[130:131], v[128:129], v[126:127]
	v_fma_f64 v[124:125], -v[124:125], v[130:131], v[128:129]
	s_delay_alu instid0(VALU_DEP_1) | instskip(NEXT) | instid1(VALU_DEP_1)
	v_div_fmas_f64 v[124:125], v[124:125], v[126:127], v[130:131]
	v_div_fixup_f64 v[130:131], v[124:125], v[118:119], 1.0
                                        ; implicit-def: $vgpr124_vgpr125
	s_delay_alu instid0(VALU_DEP_1)
	v_mul_f64 v[116:117], v[116:117], v[130:131]
	v_xor_b32_e32 v131, 0x80000000, v131
.LBB57_23:
	s_and_not1_saveexec_b32 s3, s3
	s_cbranch_execz .LBB57_25
; %bb.24:
	v_div_scale_f64 v[116:117], null, v[124:125], v[124:125], v[126:127]
	v_div_scale_f64 v[130:131], vcc_lo, v[126:127], v[124:125], v[126:127]
	s_delay_alu instid0(VALU_DEP_2) | instskip(SKIP_2) | instid1(VALU_DEP_1)
	v_rcp_f64_e32 v[118:119], v[116:117]
	s_waitcnt_depctr 0xfff
	v_fma_f64 v[128:129], -v[116:117], v[118:119], 1.0
	v_fma_f64 v[118:119], v[118:119], v[128:129], v[118:119]
	s_delay_alu instid0(VALU_DEP_1) | instskip(NEXT) | instid1(VALU_DEP_1)
	v_fma_f64 v[128:129], -v[116:117], v[118:119], 1.0
	v_fma_f64 v[118:119], v[118:119], v[128:129], v[118:119]
	s_delay_alu instid0(VALU_DEP_1) | instskip(NEXT) | instid1(VALU_DEP_1)
	v_mul_f64 v[128:129], v[130:131], v[118:119]
	v_fma_f64 v[116:117], -v[116:117], v[128:129], v[130:131]
	s_delay_alu instid0(VALU_DEP_1) | instskip(NEXT) | instid1(VALU_DEP_1)
	v_div_fmas_f64 v[116:117], v[116:117], v[118:119], v[128:129]
	v_div_fixup_f64 v[118:119], v[116:117], v[124:125], v[126:127]
	s_delay_alu instid0(VALU_DEP_1) | instskip(NEXT) | instid1(VALU_DEP_1)
	v_fma_f64 v[116:117], v[126:127], v[118:119], v[124:125]
	v_div_scale_f64 v[124:125], null, v[116:117], v[116:117], 1.0
	s_delay_alu instid0(VALU_DEP_1) | instskip(SKIP_2) | instid1(VALU_DEP_1)
	v_rcp_f64_e32 v[126:127], v[124:125]
	s_waitcnt_depctr 0xfff
	v_fma_f64 v[128:129], -v[124:125], v[126:127], 1.0
	v_fma_f64 v[126:127], v[126:127], v[128:129], v[126:127]
	s_delay_alu instid0(VALU_DEP_1) | instskip(NEXT) | instid1(VALU_DEP_1)
	v_fma_f64 v[128:129], -v[124:125], v[126:127], 1.0
	v_fma_f64 v[126:127], v[126:127], v[128:129], v[126:127]
	v_div_scale_f64 v[128:129], vcc_lo, 1.0, v[116:117], 1.0
	s_delay_alu instid0(VALU_DEP_1) | instskip(NEXT) | instid1(VALU_DEP_1)
	v_mul_f64 v[130:131], v[128:129], v[126:127]
	v_fma_f64 v[124:125], -v[124:125], v[130:131], v[128:129]
	s_delay_alu instid0(VALU_DEP_1) | instskip(NEXT) | instid1(VALU_DEP_1)
	v_div_fmas_f64 v[124:125], v[124:125], v[126:127], v[130:131]
	v_div_fixup_f64 v[116:117], v[124:125], v[116:117], 1.0
	s_delay_alu instid0(VALU_DEP_1)
	v_mul_f64 v[130:131], v[118:119], -v[116:117]
.LBB57_25:
	s_or_b32 exec_lo, exec_lo, s3
	ds_store_2addr_b64 v245, v[116:117], v[130:131] offset1:1
.LBB57_26:
	s_or_b32 exec_lo, exec_lo, s4
	s_waitcnt lgkmcnt(0)
	s_barrier
	buffer_gl0_inv
	ds_load_2addr_b64 v[124:127], v245 offset1:1
	s_mov_b32 s3, exec_lo
	v_cmpx_lt_u32_e32 2, v244
	s_cbranch_execz .LBB57_28
; %bb.27:
	s_waitcnt lgkmcnt(0)
	v_mul_f64 v[116:117], v[126:127], v[106:107]
	v_mul_f64 v[106:107], v[124:125], v[106:107]
	s_delay_alu instid0(VALU_DEP_2) | instskip(NEXT) | instid1(VALU_DEP_2)
	v_fma_f64 v[128:129], v[124:125], v[104:105], -v[116:117]
	v_fma_f64 v[106:107], v[126:127], v[104:105], v[106:107]
	ds_load_2addr_b64 v[116:119], v246 offset0:6 offset1:7
	s_waitcnt lgkmcnt(0)
	v_mul_f64 v[104:105], v[118:119], v[106:107]
	s_delay_alu instid0(VALU_DEP_1) | instskip(SKIP_1) | instid1(VALU_DEP_2)
	v_fma_f64 v[104:105], v[116:117], v[128:129], -v[104:105]
	v_mul_f64 v[116:117], v[116:117], v[106:107]
	v_add_f64 v[100:101], v[100:101], -v[104:105]
	s_delay_alu instid0(VALU_DEP_2) | instskip(NEXT) | instid1(VALU_DEP_1)
	v_fma_f64 v[116:117], v[118:119], v[128:129], v[116:117]
	v_add_f64 v[102:103], v[102:103], -v[116:117]
	ds_load_2addr_b64 v[116:119], v246 offset0:8 offset1:9
	s_waitcnt lgkmcnt(0)
	v_mul_f64 v[104:105], v[118:119], v[106:107]
	s_delay_alu instid0(VALU_DEP_1) | instskip(SKIP_1) | instid1(VALU_DEP_2)
	v_fma_f64 v[104:105], v[116:117], v[128:129], -v[104:105]
	v_mul_f64 v[116:117], v[116:117], v[106:107]
	v_add_f64 v[96:97], v[96:97], -v[104:105]
	s_delay_alu instid0(VALU_DEP_2) | instskip(NEXT) | instid1(VALU_DEP_1)
	v_fma_f64 v[116:117], v[118:119], v[128:129], v[116:117]
	v_add_f64 v[98:99], v[98:99], -v[116:117]
	ds_load_2addr_b64 v[116:119], v246 offset0:10 offset1:11
	s_waitcnt lgkmcnt(0)
	v_mul_f64 v[104:105], v[118:119], v[106:107]
	s_delay_alu instid0(VALU_DEP_1) | instskip(SKIP_1) | instid1(VALU_DEP_2)
	v_fma_f64 v[104:105], v[116:117], v[128:129], -v[104:105]
	v_mul_f64 v[116:117], v[116:117], v[106:107]
	v_add_f64 v[92:93], v[92:93], -v[104:105]
	s_delay_alu instid0(VALU_DEP_2) | instskip(NEXT) | instid1(VALU_DEP_1)
	v_fma_f64 v[116:117], v[118:119], v[128:129], v[116:117]
	v_add_f64 v[94:95], v[94:95], -v[116:117]
	ds_load_2addr_b64 v[116:119], v246 offset0:12 offset1:13
	s_waitcnt lgkmcnt(0)
	v_mul_f64 v[104:105], v[118:119], v[106:107]
	s_delay_alu instid0(VALU_DEP_1) | instskip(SKIP_1) | instid1(VALU_DEP_2)
	v_fma_f64 v[104:105], v[116:117], v[128:129], -v[104:105]
	v_mul_f64 v[116:117], v[116:117], v[106:107]
	v_add_f64 v[88:89], v[88:89], -v[104:105]
	s_delay_alu instid0(VALU_DEP_2) | instskip(NEXT) | instid1(VALU_DEP_1)
	v_fma_f64 v[116:117], v[118:119], v[128:129], v[116:117]
	v_add_f64 v[90:91], v[90:91], -v[116:117]
	ds_load_2addr_b64 v[116:119], v246 offset0:14 offset1:15
	s_waitcnt lgkmcnt(0)
	v_mul_f64 v[104:105], v[118:119], v[106:107]
	s_delay_alu instid0(VALU_DEP_1) | instskip(SKIP_1) | instid1(VALU_DEP_2)
	v_fma_f64 v[104:105], v[116:117], v[128:129], -v[104:105]
	v_mul_f64 v[116:117], v[116:117], v[106:107]
	v_add_f64 v[84:85], v[84:85], -v[104:105]
	s_delay_alu instid0(VALU_DEP_2) | instskip(NEXT) | instid1(VALU_DEP_1)
	v_fma_f64 v[116:117], v[118:119], v[128:129], v[116:117]
	v_add_f64 v[86:87], v[86:87], -v[116:117]
	ds_load_2addr_b64 v[116:119], v246 offset0:16 offset1:17
	s_waitcnt lgkmcnt(0)
	v_mul_f64 v[104:105], v[118:119], v[106:107]
	s_delay_alu instid0(VALU_DEP_1) | instskip(SKIP_1) | instid1(VALU_DEP_2)
	v_fma_f64 v[104:105], v[116:117], v[128:129], -v[104:105]
	v_mul_f64 v[116:117], v[116:117], v[106:107]
	v_add_f64 v[80:81], v[80:81], -v[104:105]
	s_delay_alu instid0(VALU_DEP_2) | instskip(NEXT) | instid1(VALU_DEP_1)
	v_fma_f64 v[116:117], v[118:119], v[128:129], v[116:117]
	v_add_f64 v[82:83], v[82:83], -v[116:117]
	ds_load_2addr_b64 v[116:119], v246 offset0:18 offset1:19
	s_waitcnt lgkmcnt(0)
	v_mul_f64 v[104:105], v[118:119], v[106:107]
	s_delay_alu instid0(VALU_DEP_1) | instskip(SKIP_1) | instid1(VALU_DEP_2)
	v_fma_f64 v[104:105], v[116:117], v[128:129], -v[104:105]
	v_mul_f64 v[116:117], v[116:117], v[106:107]
	v_add_f64 v[76:77], v[76:77], -v[104:105]
	s_delay_alu instid0(VALU_DEP_2) | instskip(NEXT) | instid1(VALU_DEP_1)
	v_fma_f64 v[116:117], v[118:119], v[128:129], v[116:117]
	v_add_f64 v[78:79], v[78:79], -v[116:117]
	ds_load_2addr_b64 v[116:119], v246 offset0:20 offset1:21
	s_waitcnt lgkmcnt(0)
	v_mul_f64 v[104:105], v[118:119], v[106:107]
	s_delay_alu instid0(VALU_DEP_1) | instskip(SKIP_1) | instid1(VALU_DEP_2)
	v_fma_f64 v[104:105], v[116:117], v[128:129], -v[104:105]
	v_mul_f64 v[116:117], v[116:117], v[106:107]
	v_add_f64 v[72:73], v[72:73], -v[104:105]
	s_delay_alu instid0(VALU_DEP_2) | instskip(NEXT) | instid1(VALU_DEP_1)
	v_fma_f64 v[116:117], v[118:119], v[128:129], v[116:117]
	v_add_f64 v[74:75], v[74:75], -v[116:117]
	ds_load_2addr_b64 v[116:119], v246 offset0:22 offset1:23
	s_waitcnt lgkmcnt(0)
	v_mul_f64 v[104:105], v[118:119], v[106:107]
	s_delay_alu instid0(VALU_DEP_1) | instskip(SKIP_1) | instid1(VALU_DEP_2)
	v_fma_f64 v[104:105], v[116:117], v[128:129], -v[104:105]
	v_mul_f64 v[116:117], v[116:117], v[106:107]
	v_add_f64 v[68:69], v[68:69], -v[104:105]
	s_delay_alu instid0(VALU_DEP_2) | instskip(NEXT) | instid1(VALU_DEP_1)
	v_fma_f64 v[116:117], v[118:119], v[128:129], v[116:117]
	v_add_f64 v[70:71], v[70:71], -v[116:117]
	ds_load_2addr_b64 v[116:119], v246 offset0:24 offset1:25
	s_waitcnt lgkmcnt(0)
	v_mul_f64 v[104:105], v[118:119], v[106:107]
	s_delay_alu instid0(VALU_DEP_1) | instskip(SKIP_1) | instid1(VALU_DEP_2)
	v_fma_f64 v[104:105], v[116:117], v[128:129], -v[104:105]
	v_mul_f64 v[116:117], v[116:117], v[106:107]
	v_add_f64 v[64:65], v[64:65], -v[104:105]
	s_delay_alu instid0(VALU_DEP_2) | instskip(NEXT) | instid1(VALU_DEP_1)
	v_fma_f64 v[116:117], v[118:119], v[128:129], v[116:117]
	v_add_f64 v[66:67], v[66:67], -v[116:117]
	ds_load_2addr_b64 v[116:119], v246 offset0:26 offset1:27
	s_waitcnt lgkmcnt(0)
	v_mul_f64 v[104:105], v[118:119], v[106:107]
	s_delay_alu instid0(VALU_DEP_1) | instskip(SKIP_1) | instid1(VALU_DEP_2)
	v_fma_f64 v[104:105], v[116:117], v[128:129], -v[104:105]
	v_mul_f64 v[116:117], v[116:117], v[106:107]
	v_add_f64 v[60:61], v[60:61], -v[104:105]
	s_delay_alu instid0(VALU_DEP_2) | instskip(NEXT) | instid1(VALU_DEP_1)
	v_fma_f64 v[116:117], v[118:119], v[128:129], v[116:117]
	v_add_f64 v[62:63], v[62:63], -v[116:117]
	ds_load_2addr_b64 v[116:119], v246 offset0:28 offset1:29
	s_waitcnt lgkmcnt(0)
	v_mul_f64 v[104:105], v[118:119], v[106:107]
	s_delay_alu instid0(VALU_DEP_1) | instskip(SKIP_1) | instid1(VALU_DEP_2)
	v_fma_f64 v[104:105], v[116:117], v[128:129], -v[104:105]
	v_mul_f64 v[116:117], v[116:117], v[106:107]
	v_add_f64 v[56:57], v[56:57], -v[104:105]
	s_delay_alu instid0(VALU_DEP_2) | instskip(NEXT) | instid1(VALU_DEP_1)
	v_fma_f64 v[116:117], v[118:119], v[128:129], v[116:117]
	v_add_f64 v[58:59], v[58:59], -v[116:117]
	ds_load_2addr_b64 v[116:119], v246 offset0:30 offset1:31
	s_waitcnt lgkmcnt(0)
	v_mul_f64 v[104:105], v[118:119], v[106:107]
	s_delay_alu instid0(VALU_DEP_1) | instskip(SKIP_1) | instid1(VALU_DEP_2)
	v_fma_f64 v[104:105], v[116:117], v[128:129], -v[104:105]
	v_mul_f64 v[116:117], v[116:117], v[106:107]
	v_add_f64 v[52:53], v[52:53], -v[104:105]
	s_delay_alu instid0(VALU_DEP_2) | instskip(NEXT) | instid1(VALU_DEP_1)
	v_fma_f64 v[116:117], v[118:119], v[128:129], v[116:117]
	v_add_f64 v[54:55], v[54:55], -v[116:117]
	ds_load_2addr_b64 v[116:119], v246 offset0:32 offset1:33
	s_waitcnt lgkmcnt(0)
	v_mul_f64 v[104:105], v[118:119], v[106:107]
	s_delay_alu instid0(VALU_DEP_1) | instskip(SKIP_1) | instid1(VALU_DEP_2)
	v_fma_f64 v[104:105], v[116:117], v[128:129], -v[104:105]
	v_mul_f64 v[116:117], v[116:117], v[106:107]
	v_add_f64 v[48:49], v[48:49], -v[104:105]
	s_delay_alu instid0(VALU_DEP_2) | instskip(NEXT) | instid1(VALU_DEP_1)
	v_fma_f64 v[116:117], v[118:119], v[128:129], v[116:117]
	v_add_f64 v[50:51], v[50:51], -v[116:117]
	ds_load_2addr_b64 v[116:119], v246 offset0:34 offset1:35
	s_waitcnt lgkmcnt(0)
	v_mul_f64 v[104:105], v[118:119], v[106:107]
	s_delay_alu instid0(VALU_DEP_1) | instskip(SKIP_1) | instid1(VALU_DEP_2)
	v_fma_f64 v[104:105], v[116:117], v[128:129], -v[104:105]
	v_mul_f64 v[116:117], v[116:117], v[106:107]
	v_add_f64 v[44:45], v[44:45], -v[104:105]
	s_delay_alu instid0(VALU_DEP_2) | instskip(NEXT) | instid1(VALU_DEP_1)
	v_fma_f64 v[116:117], v[118:119], v[128:129], v[116:117]
	v_add_f64 v[46:47], v[46:47], -v[116:117]
	ds_load_2addr_b64 v[116:119], v246 offset0:36 offset1:37
	s_waitcnt lgkmcnt(0)
	v_mul_f64 v[104:105], v[118:119], v[106:107]
	s_delay_alu instid0(VALU_DEP_1) | instskip(SKIP_1) | instid1(VALU_DEP_2)
	v_fma_f64 v[104:105], v[116:117], v[128:129], -v[104:105]
	v_mul_f64 v[116:117], v[116:117], v[106:107]
	v_add_f64 v[40:41], v[40:41], -v[104:105]
	s_delay_alu instid0(VALU_DEP_2) | instskip(NEXT) | instid1(VALU_DEP_1)
	v_fma_f64 v[116:117], v[118:119], v[128:129], v[116:117]
	v_add_f64 v[42:43], v[42:43], -v[116:117]
	ds_load_2addr_b64 v[116:119], v246 offset0:38 offset1:39
	s_waitcnt lgkmcnt(0)
	v_mul_f64 v[104:105], v[118:119], v[106:107]
	s_delay_alu instid0(VALU_DEP_1) | instskip(SKIP_1) | instid1(VALU_DEP_2)
	v_fma_f64 v[104:105], v[116:117], v[128:129], -v[104:105]
	v_mul_f64 v[116:117], v[116:117], v[106:107]
	v_add_f64 v[36:37], v[36:37], -v[104:105]
	s_delay_alu instid0(VALU_DEP_2) | instskip(NEXT) | instid1(VALU_DEP_1)
	v_fma_f64 v[116:117], v[118:119], v[128:129], v[116:117]
	v_add_f64 v[38:39], v[38:39], -v[116:117]
	ds_load_2addr_b64 v[116:119], v246 offset0:40 offset1:41
	s_waitcnt lgkmcnt(0)
	v_mul_f64 v[104:105], v[118:119], v[106:107]
	s_delay_alu instid0(VALU_DEP_1) | instskip(SKIP_1) | instid1(VALU_DEP_2)
	v_fma_f64 v[104:105], v[116:117], v[128:129], -v[104:105]
	v_mul_f64 v[116:117], v[116:117], v[106:107]
	v_add_f64 v[32:33], v[32:33], -v[104:105]
	s_delay_alu instid0(VALU_DEP_2) | instskip(NEXT) | instid1(VALU_DEP_1)
	v_fma_f64 v[116:117], v[118:119], v[128:129], v[116:117]
	v_add_f64 v[34:35], v[34:35], -v[116:117]
	ds_load_2addr_b64 v[116:119], v246 offset0:42 offset1:43
	s_waitcnt lgkmcnt(0)
	v_mul_f64 v[104:105], v[118:119], v[106:107]
	s_delay_alu instid0(VALU_DEP_1) | instskip(SKIP_1) | instid1(VALU_DEP_2)
	v_fma_f64 v[104:105], v[116:117], v[128:129], -v[104:105]
	v_mul_f64 v[116:117], v[116:117], v[106:107]
	v_add_f64 v[28:29], v[28:29], -v[104:105]
	s_delay_alu instid0(VALU_DEP_2) | instskip(NEXT) | instid1(VALU_DEP_1)
	v_fma_f64 v[116:117], v[118:119], v[128:129], v[116:117]
	v_add_f64 v[30:31], v[30:31], -v[116:117]
	ds_load_2addr_b64 v[116:119], v246 offset0:44 offset1:45
	s_waitcnt lgkmcnt(0)
	v_mul_f64 v[104:105], v[118:119], v[106:107]
	s_delay_alu instid0(VALU_DEP_1) | instskip(SKIP_1) | instid1(VALU_DEP_2)
	v_fma_f64 v[104:105], v[116:117], v[128:129], -v[104:105]
	v_mul_f64 v[116:117], v[116:117], v[106:107]
	v_add_f64 v[24:25], v[24:25], -v[104:105]
	s_delay_alu instid0(VALU_DEP_2) | instskip(NEXT) | instid1(VALU_DEP_1)
	v_fma_f64 v[116:117], v[118:119], v[128:129], v[116:117]
	v_add_f64 v[26:27], v[26:27], -v[116:117]
	ds_load_2addr_b64 v[116:119], v246 offset0:46 offset1:47
	s_waitcnt lgkmcnt(0)
	v_mul_f64 v[104:105], v[118:119], v[106:107]
	s_delay_alu instid0(VALU_DEP_1) | instskip(SKIP_1) | instid1(VALU_DEP_2)
	v_fma_f64 v[104:105], v[116:117], v[128:129], -v[104:105]
	v_mul_f64 v[116:117], v[116:117], v[106:107]
	v_add_f64 v[20:21], v[20:21], -v[104:105]
	s_delay_alu instid0(VALU_DEP_2) | instskip(NEXT) | instid1(VALU_DEP_1)
	v_fma_f64 v[116:117], v[118:119], v[128:129], v[116:117]
	v_add_f64 v[22:23], v[22:23], -v[116:117]
	ds_load_2addr_b64 v[116:119], v246 offset0:48 offset1:49
	s_waitcnt lgkmcnt(0)
	v_mul_f64 v[104:105], v[118:119], v[106:107]
	s_delay_alu instid0(VALU_DEP_1) | instskip(SKIP_1) | instid1(VALU_DEP_2)
	v_fma_f64 v[104:105], v[116:117], v[128:129], -v[104:105]
	v_mul_f64 v[116:117], v[116:117], v[106:107]
	v_add_f64 v[16:17], v[16:17], -v[104:105]
	s_delay_alu instid0(VALU_DEP_2) | instskip(NEXT) | instid1(VALU_DEP_1)
	v_fma_f64 v[116:117], v[118:119], v[128:129], v[116:117]
	v_add_f64 v[18:19], v[18:19], -v[116:117]
	ds_load_2addr_b64 v[116:119], v246 offset0:50 offset1:51
	s_waitcnt lgkmcnt(0)
	v_mul_f64 v[104:105], v[118:119], v[106:107]
	s_delay_alu instid0(VALU_DEP_1) | instskip(SKIP_1) | instid1(VALU_DEP_2)
	v_fma_f64 v[104:105], v[116:117], v[128:129], -v[104:105]
	v_mul_f64 v[116:117], v[116:117], v[106:107]
	v_add_f64 v[12:13], v[12:13], -v[104:105]
	s_delay_alu instid0(VALU_DEP_2) | instskip(NEXT) | instid1(VALU_DEP_1)
	v_fma_f64 v[116:117], v[118:119], v[128:129], v[116:117]
	v_add_f64 v[14:15], v[14:15], -v[116:117]
	ds_load_2addr_b64 v[116:119], v246 offset0:52 offset1:53
	s_waitcnt lgkmcnt(0)
	v_mul_f64 v[104:105], v[118:119], v[106:107]
	s_delay_alu instid0(VALU_DEP_1) | instskip(SKIP_1) | instid1(VALU_DEP_2)
	v_fma_f64 v[104:105], v[116:117], v[128:129], -v[104:105]
	v_mul_f64 v[116:117], v[116:117], v[106:107]
	v_add_f64 v[8:9], v[8:9], -v[104:105]
	s_delay_alu instid0(VALU_DEP_2) | instskip(NEXT) | instid1(VALU_DEP_1)
	v_fma_f64 v[116:117], v[118:119], v[128:129], v[116:117]
	v_add_f64 v[10:11], v[10:11], -v[116:117]
	ds_load_2addr_b64 v[116:119], v246 offset0:54 offset1:55
	s_waitcnt lgkmcnt(0)
	v_mul_f64 v[104:105], v[118:119], v[106:107]
	s_delay_alu instid0(VALU_DEP_1) | instskip(SKIP_1) | instid1(VALU_DEP_2)
	v_fma_f64 v[104:105], v[116:117], v[128:129], -v[104:105]
	v_mul_f64 v[116:117], v[116:117], v[106:107]
	v_add_f64 v[4:5], v[4:5], -v[104:105]
	s_delay_alu instid0(VALU_DEP_2) | instskip(NEXT) | instid1(VALU_DEP_1)
	v_fma_f64 v[116:117], v[118:119], v[128:129], v[116:117]
	v_add_f64 v[6:7], v[6:7], -v[116:117]
	ds_load_2addr_b64 v[116:119], v246 offset0:56 offset1:57
	s_waitcnt lgkmcnt(0)
	v_mul_f64 v[104:105], v[118:119], v[106:107]
	s_delay_alu instid0(VALU_DEP_1) | instskip(SKIP_1) | instid1(VALU_DEP_2)
	v_fma_f64 v[104:105], v[116:117], v[128:129], -v[104:105]
	v_mul_f64 v[116:117], v[116:117], v[106:107]
	v_add_f64 v[0:1], v[0:1], -v[104:105]
	s_delay_alu instid0(VALU_DEP_2) | instskip(SKIP_1) | instid1(VALU_DEP_2)
	v_fma_f64 v[116:117], v[118:119], v[128:129], v[116:117]
	v_dual_mov_b32 v104, v128 :: v_dual_mov_b32 v105, v129
	v_add_f64 v[2:3], v[2:3], -v[116:117]
.LBB57_28:
	s_or_b32 exec_lo, exec_lo, s3
	s_delay_alu instid0(SALU_CYCLE_1)
	s_mov_b32 s4, exec_lo
	s_waitcnt lgkmcnt(0)
	s_barrier
	buffer_gl0_inv
	v_cmpx_eq_u32_e32 3, v244
	s_cbranch_execz .LBB57_35
; %bb.29:
	ds_store_2addr_b64 v245, v[100:101], v[102:103] offset1:1
	ds_store_2addr_b64 v246, v[96:97], v[98:99] offset0:8 offset1:9
	ds_store_2addr_b64 v246, v[92:93], v[94:95] offset0:10 offset1:11
	;; [unrolled: 1-line block ×25, first 2 shown]
	ds_load_2addr_b64 v[128:131], v245 offset1:1
	s_waitcnt lgkmcnt(0)
	v_cmp_neq_f64_e32 vcc_lo, 0, v[128:129]
	v_cmp_neq_f64_e64 s3, 0, v[130:131]
	s_delay_alu instid0(VALU_DEP_1) | instskip(NEXT) | instid1(SALU_CYCLE_1)
	s_or_b32 s3, vcc_lo, s3
	s_and_b32 exec_lo, exec_lo, s3
	s_cbranch_execz .LBB57_35
; %bb.30:
	v_cmp_gt_f64_e32 vcc_lo, 0, v[128:129]
	v_cmp_gt_f64_e64 s3, 0, v[130:131]
	v_xor_b32_e32 v116, 0x80000000, v129
	v_xor_b32_e32 v118, 0x80000000, v131
	s_delay_alu instid0(VALU_DEP_2) | instskip(NEXT) | instid1(VALU_DEP_2)
	v_cndmask_b32_e32 v117, v129, v116, vcc_lo
	v_cndmask_b32_e64 v119, v131, v118, s3
	v_cndmask_b32_e32 v116, v128, v128, vcc_lo
	v_cndmask_b32_e64 v118, v130, v130, s3
	s_delay_alu instid0(VALU_DEP_1) | instskip(SKIP_1) | instid1(SALU_CYCLE_1)
	v_cmp_ngt_f64_e32 vcc_lo, v[116:117], v[118:119]
                                        ; implicit-def: $vgpr116_vgpr117
	s_and_saveexec_b32 s3, vcc_lo
	s_xor_b32 s3, exec_lo, s3
                                        ; implicit-def: $vgpr132_vgpr133_vgpr134_vgpr135
	s_cbranch_execz .LBB57_32
; %bb.31:
	v_div_scale_f64 v[116:117], null, v[130:131], v[130:131], v[128:129]
	v_div_scale_f64 v[134:135], vcc_lo, v[128:129], v[130:131], v[128:129]
	s_delay_alu instid0(VALU_DEP_2) | instskip(SKIP_2) | instid1(VALU_DEP_1)
	v_rcp_f64_e32 v[118:119], v[116:117]
	s_waitcnt_depctr 0xfff
	v_fma_f64 v[132:133], -v[116:117], v[118:119], 1.0
	v_fma_f64 v[118:119], v[118:119], v[132:133], v[118:119]
	s_delay_alu instid0(VALU_DEP_1) | instskip(NEXT) | instid1(VALU_DEP_1)
	v_fma_f64 v[132:133], -v[116:117], v[118:119], 1.0
	v_fma_f64 v[118:119], v[118:119], v[132:133], v[118:119]
	s_delay_alu instid0(VALU_DEP_1) | instskip(NEXT) | instid1(VALU_DEP_1)
	v_mul_f64 v[132:133], v[134:135], v[118:119]
	v_fma_f64 v[116:117], -v[116:117], v[132:133], v[134:135]
	s_delay_alu instid0(VALU_DEP_1) | instskip(NEXT) | instid1(VALU_DEP_1)
	v_div_fmas_f64 v[116:117], v[116:117], v[118:119], v[132:133]
	v_div_fixup_f64 v[116:117], v[116:117], v[130:131], v[128:129]
	s_delay_alu instid0(VALU_DEP_1) | instskip(NEXT) | instid1(VALU_DEP_1)
	v_fma_f64 v[118:119], v[128:129], v[116:117], v[130:131]
	v_div_scale_f64 v[128:129], null, v[118:119], v[118:119], 1.0
	s_delay_alu instid0(VALU_DEP_1) | instskip(SKIP_2) | instid1(VALU_DEP_1)
	v_rcp_f64_e32 v[130:131], v[128:129]
	s_waitcnt_depctr 0xfff
	v_fma_f64 v[132:133], -v[128:129], v[130:131], 1.0
	v_fma_f64 v[130:131], v[130:131], v[132:133], v[130:131]
	s_delay_alu instid0(VALU_DEP_1) | instskip(NEXT) | instid1(VALU_DEP_1)
	v_fma_f64 v[132:133], -v[128:129], v[130:131], 1.0
	v_fma_f64 v[130:131], v[130:131], v[132:133], v[130:131]
	v_div_scale_f64 v[132:133], vcc_lo, 1.0, v[118:119], 1.0
	s_delay_alu instid0(VALU_DEP_1) | instskip(NEXT) | instid1(VALU_DEP_1)
	v_mul_f64 v[134:135], v[132:133], v[130:131]
	v_fma_f64 v[128:129], -v[128:129], v[134:135], v[132:133]
	s_delay_alu instid0(VALU_DEP_1) | instskip(NEXT) | instid1(VALU_DEP_1)
	v_div_fmas_f64 v[128:129], v[128:129], v[130:131], v[134:135]
	v_div_fixup_f64 v[134:135], v[128:129], v[118:119], 1.0
                                        ; implicit-def: $vgpr128_vgpr129
	s_delay_alu instid0(VALU_DEP_1)
	v_mul_f64 v[116:117], v[116:117], v[134:135]
	v_xor_b32_e32 v135, 0x80000000, v135
.LBB57_32:
	s_and_not1_saveexec_b32 s3, s3
	s_cbranch_execz .LBB57_34
; %bb.33:
	v_div_scale_f64 v[116:117], null, v[128:129], v[128:129], v[130:131]
	v_div_scale_f64 v[134:135], vcc_lo, v[130:131], v[128:129], v[130:131]
	s_delay_alu instid0(VALU_DEP_2) | instskip(SKIP_2) | instid1(VALU_DEP_1)
	v_rcp_f64_e32 v[118:119], v[116:117]
	s_waitcnt_depctr 0xfff
	v_fma_f64 v[132:133], -v[116:117], v[118:119], 1.0
	v_fma_f64 v[118:119], v[118:119], v[132:133], v[118:119]
	s_delay_alu instid0(VALU_DEP_1) | instskip(NEXT) | instid1(VALU_DEP_1)
	v_fma_f64 v[132:133], -v[116:117], v[118:119], 1.0
	v_fma_f64 v[118:119], v[118:119], v[132:133], v[118:119]
	s_delay_alu instid0(VALU_DEP_1) | instskip(NEXT) | instid1(VALU_DEP_1)
	v_mul_f64 v[132:133], v[134:135], v[118:119]
	v_fma_f64 v[116:117], -v[116:117], v[132:133], v[134:135]
	s_delay_alu instid0(VALU_DEP_1) | instskip(NEXT) | instid1(VALU_DEP_1)
	v_div_fmas_f64 v[116:117], v[116:117], v[118:119], v[132:133]
	v_div_fixup_f64 v[118:119], v[116:117], v[128:129], v[130:131]
	s_delay_alu instid0(VALU_DEP_1) | instskip(NEXT) | instid1(VALU_DEP_1)
	v_fma_f64 v[116:117], v[130:131], v[118:119], v[128:129]
	v_div_scale_f64 v[128:129], null, v[116:117], v[116:117], 1.0
	s_delay_alu instid0(VALU_DEP_1) | instskip(SKIP_2) | instid1(VALU_DEP_1)
	v_rcp_f64_e32 v[130:131], v[128:129]
	s_waitcnt_depctr 0xfff
	v_fma_f64 v[132:133], -v[128:129], v[130:131], 1.0
	v_fma_f64 v[130:131], v[130:131], v[132:133], v[130:131]
	s_delay_alu instid0(VALU_DEP_1) | instskip(NEXT) | instid1(VALU_DEP_1)
	v_fma_f64 v[132:133], -v[128:129], v[130:131], 1.0
	v_fma_f64 v[130:131], v[130:131], v[132:133], v[130:131]
	v_div_scale_f64 v[132:133], vcc_lo, 1.0, v[116:117], 1.0
	s_delay_alu instid0(VALU_DEP_1) | instskip(NEXT) | instid1(VALU_DEP_1)
	v_mul_f64 v[134:135], v[132:133], v[130:131]
	v_fma_f64 v[128:129], -v[128:129], v[134:135], v[132:133]
	s_delay_alu instid0(VALU_DEP_1) | instskip(NEXT) | instid1(VALU_DEP_1)
	v_div_fmas_f64 v[128:129], v[128:129], v[130:131], v[134:135]
	v_div_fixup_f64 v[116:117], v[128:129], v[116:117], 1.0
	s_delay_alu instid0(VALU_DEP_1)
	v_mul_f64 v[134:135], v[118:119], -v[116:117]
.LBB57_34:
	s_or_b32 exec_lo, exec_lo, s3
	ds_store_2addr_b64 v245, v[116:117], v[134:135] offset1:1
.LBB57_35:
	s_or_b32 exec_lo, exec_lo, s4
	s_waitcnt lgkmcnt(0)
	s_barrier
	buffer_gl0_inv
	ds_load_2addr_b64 v[232:235], v245 offset1:1
	s_mov_b32 s3, exec_lo
	v_cmpx_lt_u32_e32 3, v244
	s_cbranch_execz .LBB57_37
; %bb.36:
	s_waitcnt lgkmcnt(0)
	v_mul_f64 v[116:117], v[234:235], v[102:103]
	v_mul_f64 v[102:103], v[232:233], v[102:103]
	s_delay_alu instid0(VALU_DEP_2) | instskip(NEXT) | instid1(VALU_DEP_2)
	v_fma_f64 v[132:133], v[232:233], v[100:101], -v[116:117]
	v_fma_f64 v[102:103], v[234:235], v[100:101], v[102:103]
	ds_load_2addr_b64 v[116:119], v246 offset0:8 offset1:9
	s_waitcnt lgkmcnt(0)
	v_mul_f64 v[100:101], v[118:119], v[102:103]
	s_delay_alu instid0(VALU_DEP_1) | instskip(SKIP_1) | instid1(VALU_DEP_2)
	v_fma_f64 v[100:101], v[116:117], v[132:133], -v[100:101]
	v_mul_f64 v[116:117], v[116:117], v[102:103]
	v_add_f64 v[96:97], v[96:97], -v[100:101]
	s_delay_alu instid0(VALU_DEP_2) | instskip(NEXT) | instid1(VALU_DEP_1)
	v_fma_f64 v[116:117], v[118:119], v[132:133], v[116:117]
	v_add_f64 v[98:99], v[98:99], -v[116:117]
	ds_load_2addr_b64 v[116:119], v246 offset0:10 offset1:11
	s_waitcnt lgkmcnt(0)
	v_mul_f64 v[100:101], v[118:119], v[102:103]
	s_delay_alu instid0(VALU_DEP_1) | instskip(SKIP_1) | instid1(VALU_DEP_2)
	v_fma_f64 v[100:101], v[116:117], v[132:133], -v[100:101]
	v_mul_f64 v[116:117], v[116:117], v[102:103]
	v_add_f64 v[92:93], v[92:93], -v[100:101]
	s_delay_alu instid0(VALU_DEP_2) | instskip(NEXT) | instid1(VALU_DEP_1)
	v_fma_f64 v[116:117], v[118:119], v[132:133], v[116:117]
	v_add_f64 v[94:95], v[94:95], -v[116:117]
	;; [unrolled: 10-line block ×24, first 2 shown]
	ds_load_2addr_b64 v[116:119], v246 offset0:56 offset1:57
	s_waitcnt lgkmcnt(0)
	v_mul_f64 v[100:101], v[118:119], v[102:103]
	s_delay_alu instid0(VALU_DEP_1) | instskip(SKIP_1) | instid1(VALU_DEP_2)
	v_fma_f64 v[100:101], v[116:117], v[132:133], -v[100:101]
	v_mul_f64 v[116:117], v[116:117], v[102:103]
	v_add_f64 v[0:1], v[0:1], -v[100:101]
	s_delay_alu instid0(VALU_DEP_2) | instskip(SKIP_1) | instid1(VALU_DEP_2)
	v_fma_f64 v[116:117], v[118:119], v[132:133], v[116:117]
	v_dual_mov_b32 v100, v132 :: v_dual_mov_b32 v101, v133
	v_add_f64 v[2:3], v[2:3], -v[116:117]
.LBB57_37:
	s_or_b32 exec_lo, exec_lo, s3
	s_delay_alu instid0(SALU_CYCLE_1)
	s_mov_b32 s4, exec_lo
	s_waitcnt lgkmcnt(0)
	s_barrier
	buffer_gl0_inv
	v_cmpx_eq_u32_e32 4, v244
	s_cbranch_execz .LBB57_44
; %bb.38:
	ds_store_2addr_b64 v245, v[96:97], v[98:99] offset1:1
	ds_store_2addr_b64 v246, v[92:93], v[94:95] offset0:10 offset1:11
	ds_store_2addr_b64 v246, v[88:89], v[90:91] offset0:12 offset1:13
	;; [unrolled: 1-line block ×24, first 2 shown]
	ds_load_2addr_b64 v[132:135], v245 offset1:1
	s_waitcnt lgkmcnt(0)
	v_cmp_neq_f64_e32 vcc_lo, 0, v[132:133]
	v_cmp_neq_f64_e64 s3, 0, v[134:135]
	s_delay_alu instid0(VALU_DEP_1) | instskip(NEXT) | instid1(SALU_CYCLE_1)
	s_or_b32 s3, vcc_lo, s3
	s_and_b32 exec_lo, exec_lo, s3
	s_cbranch_execz .LBB57_44
; %bb.39:
	v_cmp_gt_f64_e32 vcc_lo, 0, v[132:133]
	v_cmp_gt_f64_e64 s3, 0, v[134:135]
	v_xor_b32_e32 v116, 0x80000000, v133
	v_xor_b32_e32 v118, 0x80000000, v135
	s_delay_alu instid0(VALU_DEP_2) | instskip(NEXT) | instid1(VALU_DEP_2)
	v_cndmask_b32_e32 v117, v133, v116, vcc_lo
	v_cndmask_b32_e64 v119, v135, v118, s3
	v_cndmask_b32_e32 v116, v132, v132, vcc_lo
	v_cndmask_b32_e64 v118, v134, v134, s3
	s_delay_alu instid0(VALU_DEP_1) | instskip(SKIP_1) | instid1(SALU_CYCLE_1)
	v_cmp_ngt_f64_e32 vcc_lo, v[116:117], v[118:119]
                                        ; implicit-def: $vgpr116_vgpr117
	s_and_saveexec_b32 s3, vcc_lo
	s_xor_b32 s3, exec_lo, s3
                                        ; implicit-def: $vgpr136_vgpr137_vgpr138_vgpr139
	s_cbranch_execz .LBB57_41
; %bb.40:
	v_div_scale_f64 v[116:117], null, v[134:135], v[134:135], v[132:133]
	v_div_scale_f64 v[138:139], vcc_lo, v[132:133], v[134:135], v[132:133]
	s_delay_alu instid0(VALU_DEP_2) | instskip(SKIP_2) | instid1(VALU_DEP_1)
	v_rcp_f64_e32 v[118:119], v[116:117]
	s_waitcnt_depctr 0xfff
	v_fma_f64 v[136:137], -v[116:117], v[118:119], 1.0
	v_fma_f64 v[118:119], v[118:119], v[136:137], v[118:119]
	s_delay_alu instid0(VALU_DEP_1) | instskip(NEXT) | instid1(VALU_DEP_1)
	v_fma_f64 v[136:137], -v[116:117], v[118:119], 1.0
	v_fma_f64 v[118:119], v[118:119], v[136:137], v[118:119]
	s_delay_alu instid0(VALU_DEP_1) | instskip(NEXT) | instid1(VALU_DEP_1)
	v_mul_f64 v[136:137], v[138:139], v[118:119]
	v_fma_f64 v[116:117], -v[116:117], v[136:137], v[138:139]
	s_delay_alu instid0(VALU_DEP_1) | instskip(NEXT) | instid1(VALU_DEP_1)
	v_div_fmas_f64 v[116:117], v[116:117], v[118:119], v[136:137]
	v_div_fixup_f64 v[116:117], v[116:117], v[134:135], v[132:133]
	s_delay_alu instid0(VALU_DEP_1) | instskip(NEXT) | instid1(VALU_DEP_1)
	v_fma_f64 v[118:119], v[132:133], v[116:117], v[134:135]
	v_div_scale_f64 v[132:133], null, v[118:119], v[118:119], 1.0
	s_delay_alu instid0(VALU_DEP_1) | instskip(SKIP_2) | instid1(VALU_DEP_1)
	v_rcp_f64_e32 v[134:135], v[132:133]
	s_waitcnt_depctr 0xfff
	v_fma_f64 v[136:137], -v[132:133], v[134:135], 1.0
	v_fma_f64 v[134:135], v[134:135], v[136:137], v[134:135]
	s_delay_alu instid0(VALU_DEP_1) | instskip(NEXT) | instid1(VALU_DEP_1)
	v_fma_f64 v[136:137], -v[132:133], v[134:135], 1.0
	v_fma_f64 v[134:135], v[134:135], v[136:137], v[134:135]
	v_div_scale_f64 v[136:137], vcc_lo, 1.0, v[118:119], 1.0
	s_delay_alu instid0(VALU_DEP_1) | instskip(NEXT) | instid1(VALU_DEP_1)
	v_mul_f64 v[138:139], v[136:137], v[134:135]
	v_fma_f64 v[132:133], -v[132:133], v[138:139], v[136:137]
	s_delay_alu instid0(VALU_DEP_1) | instskip(NEXT) | instid1(VALU_DEP_1)
	v_div_fmas_f64 v[132:133], v[132:133], v[134:135], v[138:139]
	v_div_fixup_f64 v[138:139], v[132:133], v[118:119], 1.0
                                        ; implicit-def: $vgpr132_vgpr133
	s_delay_alu instid0(VALU_DEP_1)
	v_mul_f64 v[116:117], v[116:117], v[138:139]
	v_xor_b32_e32 v139, 0x80000000, v139
.LBB57_41:
	s_and_not1_saveexec_b32 s3, s3
	s_cbranch_execz .LBB57_43
; %bb.42:
	v_div_scale_f64 v[116:117], null, v[132:133], v[132:133], v[134:135]
	v_div_scale_f64 v[138:139], vcc_lo, v[134:135], v[132:133], v[134:135]
	s_delay_alu instid0(VALU_DEP_2) | instskip(SKIP_2) | instid1(VALU_DEP_1)
	v_rcp_f64_e32 v[118:119], v[116:117]
	s_waitcnt_depctr 0xfff
	v_fma_f64 v[136:137], -v[116:117], v[118:119], 1.0
	v_fma_f64 v[118:119], v[118:119], v[136:137], v[118:119]
	s_delay_alu instid0(VALU_DEP_1) | instskip(NEXT) | instid1(VALU_DEP_1)
	v_fma_f64 v[136:137], -v[116:117], v[118:119], 1.0
	v_fma_f64 v[118:119], v[118:119], v[136:137], v[118:119]
	s_delay_alu instid0(VALU_DEP_1) | instskip(NEXT) | instid1(VALU_DEP_1)
	v_mul_f64 v[136:137], v[138:139], v[118:119]
	v_fma_f64 v[116:117], -v[116:117], v[136:137], v[138:139]
	s_delay_alu instid0(VALU_DEP_1) | instskip(NEXT) | instid1(VALU_DEP_1)
	v_div_fmas_f64 v[116:117], v[116:117], v[118:119], v[136:137]
	v_div_fixup_f64 v[118:119], v[116:117], v[132:133], v[134:135]
	s_delay_alu instid0(VALU_DEP_1) | instskip(NEXT) | instid1(VALU_DEP_1)
	v_fma_f64 v[116:117], v[134:135], v[118:119], v[132:133]
	v_div_scale_f64 v[132:133], null, v[116:117], v[116:117], 1.0
	s_delay_alu instid0(VALU_DEP_1) | instskip(SKIP_2) | instid1(VALU_DEP_1)
	v_rcp_f64_e32 v[134:135], v[132:133]
	s_waitcnt_depctr 0xfff
	v_fma_f64 v[136:137], -v[132:133], v[134:135], 1.0
	v_fma_f64 v[134:135], v[134:135], v[136:137], v[134:135]
	s_delay_alu instid0(VALU_DEP_1) | instskip(NEXT) | instid1(VALU_DEP_1)
	v_fma_f64 v[136:137], -v[132:133], v[134:135], 1.0
	v_fma_f64 v[134:135], v[134:135], v[136:137], v[134:135]
	v_div_scale_f64 v[136:137], vcc_lo, 1.0, v[116:117], 1.0
	s_delay_alu instid0(VALU_DEP_1) | instskip(NEXT) | instid1(VALU_DEP_1)
	v_mul_f64 v[138:139], v[136:137], v[134:135]
	v_fma_f64 v[132:133], -v[132:133], v[138:139], v[136:137]
	s_delay_alu instid0(VALU_DEP_1) | instskip(NEXT) | instid1(VALU_DEP_1)
	v_div_fmas_f64 v[132:133], v[132:133], v[134:135], v[138:139]
	v_div_fixup_f64 v[116:117], v[132:133], v[116:117], 1.0
	s_delay_alu instid0(VALU_DEP_1)
	v_mul_f64 v[138:139], v[118:119], -v[116:117]
.LBB57_43:
	s_or_b32 exec_lo, exec_lo, s3
	ds_store_2addr_b64 v245, v[116:117], v[138:139] offset1:1
.LBB57_44:
	s_or_b32 exec_lo, exec_lo, s4
	s_waitcnt lgkmcnt(0)
	s_barrier
	buffer_gl0_inv
	ds_load_2addr_b64 v[132:135], v245 offset1:1
	s_mov_b32 s3, exec_lo
	v_cmpx_lt_u32_e32 4, v244
	s_cbranch_execz .LBB57_46
; %bb.45:
	s_waitcnt lgkmcnt(0)
	v_mul_f64 v[116:117], v[134:135], v[98:99]
	v_mul_f64 v[98:99], v[132:133], v[98:99]
	s_delay_alu instid0(VALU_DEP_2) | instskip(NEXT) | instid1(VALU_DEP_2)
	v_fma_f64 v[136:137], v[132:133], v[96:97], -v[116:117]
	v_fma_f64 v[98:99], v[134:135], v[96:97], v[98:99]
	ds_load_2addr_b64 v[116:119], v246 offset0:10 offset1:11
	s_waitcnt lgkmcnt(0)
	v_mul_f64 v[96:97], v[118:119], v[98:99]
	s_delay_alu instid0(VALU_DEP_1) | instskip(SKIP_1) | instid1(VALU_DEP_2)
	v_fma_f64 v[96:97], v[116:117], v[136:137], -v[96:97]
	v_mul_f64 v[116:117], v[116:117], v[98:99]
	v_add_f64 v[92:93], v[92:93], -v[96:97]
	s_delay_alu instid0(VALU_DEP_2) | instskip(NEXT) | instid1(VALU_DEP_1)
	v_fma_f64 v[116:117], v[118:119], v[136:137], v[116:117]
	v_add_f64 v[94:95], v[94:95], -v[116:117]
	ds_load_2addr_b64 v[116:119], v246 offset0:12 offset1:13
	s_waitcnt lgkmcnt(0)
	v_mul_f64 v[96:97], v[118:119], v[98:99]
	s_delay_alu instid0(VALU_DEP_1) | instskip(SKIP_1) | instid1(VALU_DEP_2)
	v_fma_f64 v[96:97], v[116:117], v[136:137], -v[96:97]
	v_mul_f64 v[116:117], v[116:117], v[98:99]
	v_add_f64 v[88:89], v[88:89], -v[96:97]
	s_delay_alu instid0(VALU_DEP_2) | instskip(NEXT) | instid1(VALU_DEP_1)
	v_fma_f64 v[116:117], v[118:119], v[136:137], v[116:117]
	v_add_f64 v[90:91], v[90:91], -v[116:117]
	;; [unrolled: 10-line block ×23, first 2 shown]
	ds_load_2addr_b64 v[116:119], v246 offset0:56 offset1:57
	s_waitcnt lgkmcnt(0)
	v_mul_f64 v[96:97], v[118:119], v[98:99]
	s_delay_alu instid0(VALU_DEP_1) | instskip(SKIP_1) | instid1(VALU_DEP_2)
	v_fma_f64 v[96:97], v[116:117], v[136:137], -v[96:97]
	v_mul_f64 v[116:117], v[116:117], v[98:99]
	v_add_f64 v[0:1], v[0:1], -v[96:97]
	s_delay_alu instid0(VALU_DEP_2) | instskip(SKIP_1) | instid1(VALU_DEP_2)
	v_fma_f64 v[116:117], v[118:119], v[136:137], v[116:117]
	v_dual_mov_b32 v96, v136 :: v_dual_mov_b32 v97, v137
	v_add_f64 v[2:3], v[2:3], -v[116:117]
.LBB57_46:
	s_or_b32 exec_lo, exec_lo, s3
	s_delay_alu instid0(SALU_CYCLE_1)
	s_mov_b32 s4, exec_lo
	s_waitcnt lgkmcnt(0)
	s_barrier
	buffer_gl0_inv
	v_cmpx_eq_u32_e32 5, v244
	s_cbranch_execz .LBB57_53
; %bb.47:
	ds_store_2addr_b64 v245, v[92:93], v[94:95] offset1:1
	ds_store_2addr_b64 v246, v[88:89], v[90:91] offset0:12 offset1:13
	ds_store_2addr_b64 v246, v[84:85], v[86:87] offset0:14 offset1:15
	;; [unrolled: 1-line block ×23, first 2 shown]
	ds_load_2addr_b64 v[136:139], v245 offset1:1
	s_waitcnt lgkmcnt(0)
	v_cmp_neq_f64_e32 vcc_lo, 0, v[136:137]
	v_cmp_neq_f64_e64 s3, 0, v[138:139]
	s_delay_alu instid0(VALU_DEP_1) | instskip(NEXT) | instid1(SALU_CYCLE_1)
	s_or_b32 s3, vcc_lo, s3
	s_and_b32 exec_lo, exec_lo, s3
	s_cbranch_execz .LBB57_53
; %bb.48:
	v_cmp_gt_f64_e32 vcc_lo, 0, v[136:137]
	v_cmp_gt_f64_e64 s3, 0, v[138:139]
	v_xor_b32_e32 v116, 0x80000000, v137
	v_xor_b32_e32 v118, 0x80000000, v139
	s_delay_alu instid0(VALU_DEP_2) | instskip(NEXT) | instid1(VALU_DEP_2)
	v_cndmask_b32_e32 v117, v137, v116, vcc_lo
	v_cndmask_b32_e64 v119, v139, v118, s3
	v_cndmask_b32_e32 v116, v136, v136, vcc_lo
	v_cndmask_b32_e64 v118, v138, v138, s3
	s_delay_alu instid0(VALU_DEP_1) | instskip(SKIP_1) | instid1(SALU_CYCLE_1)
	v_cmp_ngt_f64_e32 vcc_lo, v[116:117], v[118:119]
                                        ; implicit-def: $vgpr116_vgpr117
	s_and_saveexec_b32 s3, vcc_lo
	s_xor_b32 s3, exec_lo, s3
                                        ; implicit-def: $vgpr140_vgpr141_vgpr142_vgpr143
	s_cbranch_execz .LBB57_50
; %bb.49:
	v_div_scale_f64 v[116:117], null, v[138:139], v[138:139], v[136:137]
	v_div_scale_f64 v[142:143], vcc_lo, v[136:137], v[138:139], v[136:137]
	s_delay_alu instid0(VALU_DEP_2) | instskip(SKIP_2) | instid1(VALU_DEP_1)
	v_rcp_f64_e32 v[118:119], v[116:117]
	s_waitcnt_depctr 0xfff
	v_fma_f64 v[140:141], -v[116:117], v[118:119], 1.0
	v_fma_f64 v[118:119], v[118:119], v[140:141], v[118:119]
	s_delay_alu instid0(VALU_DEP_1) | instskip(NEXT) | instid1(VALU_DEP_1)
	v_fma_f64 v[140:141], -v[116:117], v[118:119], 1.0
	v_fma_f64 v[118:119], v[118:119], v[140:141], v[118:119]
	s_delay_alu instid0(VALU_DEP_1) | instskip(NEXT) | instid1(VALU_DEP_1)
	v_mul_f64 v[140:141], v[142:143], v[118:119]
	v_fma_f64 v[116:117], -v[116:117], v[140:141], v[142:143]
	s_delay_alu instid0(VALU_DEP_1) | instskip(NEXT) | instid1(VALU_DEP_1)
	v_div_fmas_f64 v[116:117], v[116:117], v[118:119], v[140:141]
	v_div_fixup_f64 v[116:117], v[116:117], v[138:139], v[136:137]
	s_delay_alu instid0(VALU_DEP_1) | instskip(NEXT) | instid1(VALU_DEP_1)
	v_fma_f64 v[118:119], v[136:137], v[116:117], v[138:139]
	v_div_scale_f64 v[136:137], null, v[118:119], v[118:119], 1.0
	s_delay_alu instid0(VALU_DEP_1) | instskip(SKIP_2) | instid1(VALU_DEP_1)
	v_rcp_f64_e32 v[138:139], v[136:137]
	s_waitcnt_depctr 0xfff
	v_fma_f64 v[140:141], -v[136:137], v[138:139], 1.0
	v_fma_f64 v[138:139], v[138:139], v[140:141], v[138:139]
	s_delay_alu instid0(VALU_DEP_1) | instskip(NEXT) | instid1(VALU_DEP_1)
	v_fma_f64 v[140:141], -v[136:137], v[138:139], 1.0
	v_fma_f64 v[138:139], v[138:139], v[140:141], v[138:139]
	v_div_scale_f64 v[140:141], vcc_lo, 1.0, v[118:119], 1.0
	s_delay_alu instid0(VALU_DEP_1) | instskip(NEXT) | instid1(VALU_DEP_1)
	v_mul_f64 v[142:143], v[140:141], v[138:139]
	v_fma_f64 v[136:137], -v[136:137], v[142:143], v[140:141]
	s_delay_alu instid0(VALU_DEP_1) | instskip(NEXT) | instid1(VALU_DEP_1)
	v_div_fmas_f64 v[136:137], v[136:137], v[138:139], v[142:143]
	v_div_fixup_f64 v[142:143], v[136:137], v[118:119], 1.0
                                        ; implicit-def: $vgpr136_vgpr137
	s_delay_alu instid0(VALU_DEP_1)
	v_mul_f64 v[116:117], v[116:117], v[142:143]
	v_xor_b32_e32 v143, 0x80000000, v143
.LBB57_50:
	s_and_not1_saveexec_b32 s3, s3
	s_cbranch_execz .LBB57_52
; %bb.51:
	v_div_scale_f64 v[116:117], null, v[136:137], v[136:137], v[138:139]
	v_div_scale_f64 v[142:143], vcc_lo, v[138:139], v[136:137], v[138:139]
	s_delay_alu instid0(VALU_DEP_2) | instskip(SKIP_2) | instid1(VALU_DEP_1)
	v_rcp_f64_e32 v[118:119], v[116:117]
	s_waitcnt_depctr 0xfff
	v_fma_f64 v[140:141], -v[116:117], v[118:119], 1.0
	v_fma_f64 v[118:119], v[118:119], v[140:141], v[118:119]
	s_delay_alu instid0(VALU_DEP_1) | instskip(NEXT) | instid1(VALU_DEP_1)
	v_fma_f64 v[140:141], -v[116:117], v[118:119], 1.0
	v_fma_f64 v[118:119], v[118:119], v[140:141], v[118:119]
	s_delay_alu instid0(VALU_DEP_1) | instskip(NEXT) | instid1(VALU_DEP_1)
	v_mul_f64 v[140:141], v[142:143], v[118:119]
	v_fma_f64 v[116:117], -v[116:117], v[140:141], v[142:143]
	s_delay_alu instid0(VALU_DEP_1) | instskip(NEXT) | instid1(VALU_DEP_1)
	v_div_fmas_f64 v[116:117], v[116:117], v[118:119], v[140:141]
	v_div_fixup_f64 v[118:119], v[116:117], v[136:137], v[138:139]
	s_delay_alu instid0(VALU_DEP_1) | instskip(NEXT) | instid1(VALU_DEP_1)
	v_fma_f64 v[116:117], v[138:139], v[118:119], v[136:137]
	v_div_scale_f64 v[136:137], null, v[116:117], v[116:117], 1.0
	s_delay_alu instid0(VALU_DEP_1) | instskip(SKIP_2) | instid1(VALU_DEP_1)
	v_rcp_f64_e32 v[138:139], v[136:137]
	s_waitcnt_depctr 0xfff
	v_fma_f64 v[140:141], -v[136:137], v[138:139], 1.0
	v_fma_f64 v[138:139], v[138:139], v[140:141], v[138:139]
	s_delay_alu instid0(VALU_DEP_1) | instskip(NEXT) | instid1(VALU_DEP_1)
	v_fma_f64 v[140:141], -v[136:137], v[138:139], 1.0
	v_fma_f64 v[138:139], v[138:139], v[140:141], v[138:139]
	v_div_scale_f64 v[140:141], vcc_lo, 1.0, v[116:117], 1.0
	s_delay_alu instid0(VALU_DEP_1) | instskip(NEXT) | instid1(VALU_DEP_1)
	v_mul_f64 v[142:143], v[140:141], v[138:139]
	v_fma_f64 v[136:137], -v[136:137], v[142:143], v[140:141]
	s_delay_alu instid0(VALU_DEP_1) | instskip(NEXT) | instid1(VALU_DEP_1)
	v_div_fmas_f64 v[136:137], v[136:137], v[138:139], v[142:143]
	v_div_fixup_f64 v[116:117], v[136:137], v[116:117], 1.0
	s_delay_alu instid0(VALU_DEP_1)
	v_mul_f64 v[142:143], v[118:119], -v[116:117]
.LBB57_52:
	s_or_b32 exec_lo, exec_lo, s3
	ds_store_2addr_b64 v245, v[116:117], v[142:143] offset1:1
.LBB57_53:
	s_or_b32 exec_lo, exec_lo, s4
	s_waitcnt lgkmcnt(0)
	s_barrier
	buffer_gl0_inv
	ds_load_2addr_b64 v[136:139], v245 offset1:1
	s_mov_b32 s3, exec_lo
	v_cmpx_lt_u32_e32 5, v244
	s_cbranch_execz .LBB57_55
; %bb.54:
	s_waitcnt lgkmcnt(0)
	v_mul_f64 v[116:117], v[138:139], v[94:95]
	v_mul_f64 v[94:95], v[136:137], v[94:95]
	s_delay_alu instid0(VALU_DEP_2) | instskip(NEXT) | instid1(VALU_DEP_2)
	v_fma_f64 v[140:141], v[136:137], v[92:93], -v[116:117]
	v_fma_f64 v[94:95], v[138:139], v[92:93], v[94:95]
	ds_load_2addr_b64 v[116:119], v246 offset0:12 offset1:13
	s_waitcnt lgkmcnt(0)
	v_mul_f64 v[92:93], v[118:119], v[94:95]
	s_delay_alu instid0(VALU_DEP_1) | instskip(SKIP_1) | instid1(VALU_DEP_2)
	v_fma_f64 v[92:93], v[116:117], v[140:141], -v[92:93]
	v_mul_f64 v[116:117], v[116:117], v[94:95]
	v_add_f64 v[88:89], v[88:89], -v[92:93]
	s_delay_alu instid0(VALU_DEP_2) | instskip(NEXT) | instid1(VALU_DEP_1)
	v_fma_f64 v[116:117], v[118:119], v[140:141], v[116:117]
	v_add_f64 v[90:91], v[90:91], -v[116:117]
	ds_load_2addr_b64 v[116:119], v246 offset0:14 offset1:15
	s_waitcnt lgkmcnt(0)
	v_mul_f64 v[92:93], v[118:119], v[94:95]
	s_delay_alu instid0(VALU_DEP_1) | instskip(SKIP_1) | instid1(VALU_DEP_2)
	v_fma_f64 v[92:93], v[116:117], v[140:141], -v[92:93]
	v_mul_f64 v[116:117], v[116:117], v[94:95]
	v_add_f64 v[84:85], v[84:85], -v[92:93]
	s_delay_alu instid0(VALU_DEP_2) | instskip(NEXT) | instid1(VALU_DEP_1)
	v_fma_f64 v[116:117], v[118:119], v[140:141], v[116:117]
	v_add_f64 v[86:87], v[86:87], -v[116:117]
	ds_load_2addr_b64 v[116:119], v246 offset0:16 offset1:17
	s_waitcnt lgkmcnt(0)
	v_mul_f64 v[92:93], v[118:119], v[94:95]
	s_delay_alu instid0(VALU_DEP_1) | instskip(SKIP_1) | instid1(VALU_DEP_2)
	v_fma_f64 v[92:93], v[116:117], v[140:141], -v[92:93]
	v_mul_f64 v[116:117], v[116:117], v[94:95]
	v_add_f64 v[80:81], v[80:81], -v[92:93]
	s_delay_alu instid0(VALU_DEP_2) | instskip(NEXT) | instid1(VALU_DEP_1)
	v_fma_f64 v[116:117], v[118:119], v[140:141], v[116:117]
	v_add_f64 v[82:83], v[82:83], -v[116:117]
	ds_load_2addr_b64 v[116:119], v246 offset0:18 offset1:19
	s_waitcnt lgkmcnt(0)
	v_mul_f64 v[92:93], v[118:119], v[94:95]
	s_delay_alu instid0(VALU_DEP_1) | instskip(SKIP_1) | instid1(VALU_DEP_2)
	v_fma_f64 v[92:93], v[116:117], v[140:141], -v[92:93]
	v_mul_f64 v[116:117], v[116:117], v[94:95]
	v_add_f64 v[76:77], v[76:77], -v[92:93]
	s_delay_alu instid0(VALU_DEP_2) | instskip(NEXT) | instid1(VALU_DEP_1)
	v_fma_f64 v[116:117], v[118:119], v[140:141], v[116:117]
	v_add_f64 v[78:79], v[78:79], -v[116:117]
	ds_load_2addr_b64 v[116:119], v246 offset0:20 offset1:21
	s_waitcnt lgkmcnt(0)
	v_mul_f64 v[92:93], v[118:119], v[94:95]
	s_delay_alu instid0(VALU_DEP_1) | instskip(SKIP_1) | instid1(VALU_DEP_2)
	v_fma_f64 v[92:93], v[116:117], v[140:141], -v[92:93]
	v_mul_f64 v[116:117], v[116:117], v[94:95]
	v_add_f64 v[72:73], v[72:73], -v[92:93]
	s_delay_alu instid0(VALU_DEP_2) | instskip(NEXT) | instid1(VALU_DEP_1)
	v_fma_f64 v[116:117], v[118:119], v[140:141], v[116:117]
	v_add_f64 v[74:75], v[74:75], -v[116:117]
	ds_load_2addr_b64 v[116:119], v246 offset0:22 offset1:23
	s_waitcnt lgkmcnt(0)
	v_mul_f64 v[92:93], v[118:119], v[94:95]
	s_delay_alu instid0(VALU_DEP_1) | instskip(SKIP_1) | instid1(VALU_DEP_2)
	v_fma_f64 v[92:93], v[116:117], v[140:141], -v[92:93]
	v_mul_f64 v[116:117], v[116:117], v[94:95]
	v_add_f64 v[68:69], v[68:69], -v[92:93]
	s_delay_alu instid0(VALU_DEP_2) | instskip(NEXT) | instid1(VALU_DEP_1)
	v_fma_f64 v[116:117], v[118:119], v[140:141], v[116:117]
	v_add_f64 v[70:71], v[70:71], -v[116:117]
	ds_load_2addr_b64 v[116:119], v246 offset0:24 offset1:25
	s_waitcnt lgkmcnt(0)
	v_mul_f64 v[92:93], v[118:119], v[94:95]
	s_delay_alu instid0(VALU_DEP_1) | instskip(SKIP_1) | instid1(VALU_DEP_2)
	v_fma_f64 v[92:93], v[116:117], v[140:141], -v[92:93]
	v_mul_f64 v[116:117], v[116:117], v[94:95]
	v_add_f64 v[64:65], v[64:65], -v[92:93]
	s_delay_alu instid0(VALU_DEP_2) | instskip(NEXT) | instid1(VALU_DEP_1)
	v_fma_f64 v[116:117], v[118:119], v[140:141], v[116:117]
	v_add_f64 v[66:67], v[66:67], -v[116:117]
	ds_load_2addr_b64 v[116:119], v246 offset0:26 offset1:27
	s_waitcnt lgkmcnt(0)
	v_mul_f64 v[92:93], v[118:119], v[94:95]
	s_delay_alu instid0(VALU_DEP_1) | instskip(SKIP_1) | instid1(VALU_DEP_2)
	v_fma_f64 v[92:93], v[116:117], v[140:141], -v[92:93]
	v_mul_f64 v[116:117], v[116:117], v[94:95]
	v_add_f64 v[60:61], v[60:61], -v[92:93]
	s_delay_alu instid0(VALU_DEP_2) | instskip(NEXT) | instid1(VALU_DEP_1)
	v_fma_f64 v[116:117], v[118:119], v[140:141], v[116:117]
	v_add_f64 v[62:63], v[62:63], -v[116:117]
	ds_load_2addr_b64 v[116:119], v246 offset0:28 offset1:29
	s_waitcnt lgkmcnt(0)
	v_mul_f64 v[92:93], v[118:119], v[94:95]
	s_delay_alu instid0(VALU_DEP_1) | instskip(SKIP_1) | instid1(VALU_DEP_2)
	v_fma_f64 v[92:93], v[116:117], v[140:141], -v[92:93]
	v_mul_f64 v[116:117], v[116:117], v[94:95]
	v_add_f64 v[56:57], v[56:57], -v[92:93]
	s_delay_alu instid0(VALU_DEP_2) | instskip(NEXT) | instid1(VALU_DEP_1)
	v_fma_f64 v[116:117], v[118:119], v[140:141], v[116:117]
	v_add_f64 v[58:59], v[58:59], -v[116:117]
	ds_load_2addr_b64 v[116:119], v246 offset0:30 offset1:31
	s_waitcnt lgkmcnt(0)
	v_mul_f64 v[92:93], v[118:119], v[94:95]
	s_delay_alu instid0(VALU_DEP_1) | instskip(SKIP_1) | instid1(VALU_DEP_2)
	v_fma_f64 v[92:93], v[116:117], v[140:141], -v[92:93]
	v_mul_f64 v[116:117], v[116:117], v[94:95]
	v_add_f64 v[52:53], v[52:53], -v[92:93]
	s_delay_alu instid0(VALU_DEP_2) | instskip(NEXT) | instid1(VALU_DEP_1)
	v_fma_f64 v[116:117], v[118:119], v[140:141], v[116:117]
	v_add_f64 v[54:55], v[54:55], -v[116:117]
	ds_load_2addr_b64 v[116:119], v246 offset0:32 offset1:33
	s_waitcnt lgkmcnt(0)
	v_mul_f64 v[92:93], v[118:119], v[94:95]
	s_delay_alu instid0(VALU_DEP_1) | instskip(SKIP_1) | instid1(VALU_DEP_2)
	v_fma_f64 v[92:93], v[116:117], v[140:141], -v[92:93]
	v_mul_f64 v[116:117], v[116:117], v[94:95]
	v_add_f64 v[48:49], v[48:49], -v[92:93]
	s_delay_alu instid0(VALU_DEP_2) | instskip(NEXT) | instid1(VALU_DEP_1)
	v_fma_f64 v[116:117], v[118:119], v[140:141], v[116:117]
	v_add_f64 v[50:51], v[50:51], -v[116:117]
	ds_load_2addr_b64 v[116:119], v246 offset0:34 offset1:35
	s_waitcnt lgkmcnt(0)
	v_mul_f64 v[92:93], v[118:119], v[94:95]
	s_delay_alu instid0(VALU_DEP_1) | instskip(SKIP_1) | instid1(VALU_DEP_2)
	v_fma_f64 v[92:93], v[116:117], v[140:141], -v[92:93]
	v_mul_f64 v[116:117], v[116:117], v[94:95]
	v_add_f64 v[44:45], v[44:45], -v[92:93]
	s_delay_alu instid0(VALU_DEP_2) | instskip(NEXT) | instid1(VALU_DEP_1)
	v_fma_f64 v[116:117], v[118:119], v[140:141], v[116:117]
	v_add_f64 v[46:47], v[46:47], -v[116:117]
	ds_load_2addr_b64 v[116:119], v246 offset0:36 offset1:37
	s_waitcnt lgkmcnt(0)
	v_mul_f64 v[92:93], v[118:119], v[94:95]
	s_delay_alu instid0(VALU_DEP_1) | instskip(SKIP_1) | instid1(VALU_DEP_2)
	v_fma_f64 v[92:93], v[116:117], v[140:141], -v[92:93]
	v_mul_f64 v[116:117], v[116:117], v[94:95]
	v_add_f64 v[40:41], v[40:41], -v[92:93]
	s_delay_alu instid0(VALU_DEP_2) | instskip(NEXT) | instid1(VALU_DEP_1)
	v_fma_f64 v[116:117], v[118:119], v[140:141], v[116:117]
	v_add_f64 v[42:43], v[42:43], -v[116:117]
	ds_load_2addr_b64 v[116:119], v246 offset0:38 offset1:39
	s_waitcnt lgkmcnt(0)
	v_mul_f64 v[92:93], v[118:119], v[94:95]
	s_delay_alu instid0(VALU_DEP_1) | instskip(SKIP_1) | instid1(VALU_DEP_2)
	v_fma_f64 v[92:93], v[116:117], v[140:141], -v[92:93]
	v_mul_f64 v[116:117], v[116:117], v[94:95]
	v_add_f64 v[36:37], v[36:37], -v[92:93]
	s_delay_alu instid0(VALU_DEP_2) | instskip(NEXT) | instid1(VALU_DEP_1)
	v_fma_f64 v[116:117], v[118:119], v[140:141], v[116:117]
	v_add_f64 v[38:39], v[38:39], -v[116:117]
	ds_load_2addr_b64 v[116:119], v246 offset0:40 offset1:41
	s_waitcnt lgkmcnt(0)
	v_mul_f64 v[92:93], v[118:119], v[94:95]
	s_delay_alu instid0(VALU_DEP_1) | instskip(SKIP_1) | instid1(VALU_DEP_2)
	v_fma_f64 v[92:93], v[116:117], v[140:141], -v[92:93]
	v_mul_f64 v[116:117], v[116:117], v[94:95]
	v_add_f64 v[32:33], v[32:33], -v[92:93]
	s_delay_alu instid0(VALU_DEP_2) | instskip(NEXT) | instid1(VALU_DEP_1)
	v_fma_f64 v[116:117], v[118:119], v[140:141], v[116:117]
	v_add_f64 v[34:35], v[34:35], -v[116:117]
	ds_load_2addr_b64 v[116:119], v246 offset0:42 offset1:43
	s_waitcnt lgkmcnt(0)
	v_mul_f64 v[92:93], v[118:119], v[94:95]
	s_delay_alu instid0(VALU_DEP_1) | instskip(SKIP_1) | instid1(VALU_DEP_2)
	v_fma_f64 v[92:93], v[116:117], v[140:141], -v[92:93]
	v_mul_f64 v[116:117], v[116:117], v[94:95]
	v_add_f64 v[28:29], v[28:29], -v[92:93]
	s_delay_alu instid0(VALU_DEP_2) | instskip(NEXT) | instid1(VALU_DEP_1)
	v_fma_f64 v[116:117], v[118:119], v[140:141], v[116:117]
	v_add_f64 v[30:31], v[30:31], -v[116:117]
	ds_load_2addr_b64 v[116:119], v246 offset0:44 offset1:45
	s_waitcnt lgkmcnt(0)
	v_mul_f64 v[92:93], v[118:119], v[94:95]
	s_delay_alu instid0(VALU_DEP_1) | instskip(SKIP_1) | instid1(VALU_DEP_2)
	v_fma_f64 v[92:93], v[116:117], v[140:141], -v[92:93]
	v_mul_f64 v[116:117], v[116:117], v[94:95]
	v_add_f64 v[24:25], v[24:25], -v[92:93]
	s_delay_alu instid0(VALU_DEP_2) | instskip(NEXT) | instid1(VALU_DEP_1)
	v_fma_f64 v[116:117], v[118:119], v[140:141], v[116:117]
	v_add_f64 v[26:27], v[26:27], -v[116:117]
	ds_load_2addr_b64 v[116:119], v246 offset0:46 offset1:47
	s_waitcnt lgkmcnt(0)
	v_mul_f64 v[92:93], v[118:119], v[94:95]
	s_delay_alu instid0(VALU_DEP_1) | instskip(SKIP_1) | instid1(VALU_DEP_2)
	v_fma_f64 v[92:93], v[116:117], v[140:141], -v[92:93]
	v_mul_f64 v[116:117], v[116:117], v[94:95]
	v_add_f64 v[20:21], v[20:21], -v[92:93]
	s_delay_alu instid0(VALU_DEP_2) | instskip(NEXT) | instid1(VALU_DEP_1)
	v_fma_f64 v[116:117], v[118:119], v[140:141], v[116:117]
	v_add_f64 v[22:23], v[22:23], -v[116:117]
	ds_load_2addr_b64 v[116:119], v246 offset0:48 offset1:49
	s_waitcnt lgkmcnt(0)
	v_mul_f64 v[92:93], v[118:119], v[94:95]
	s_delay_alu instid0(VALU_DEP_1) | instskip(SKIP_1) | instid1(VALU_DEP_2)
	v_fma_f64 v[92:93], v[116:117], v[140:141], -v[92:93]
	v_mul_f64 v[116:117], v[116:117], v[94:95]
	v_add_f64 v[16:17], v[16:17], -v[92:93]
	s_delay_alu instid0(VALU_DEP_2) | instskip(NEXT) | instid1(VALU_DEP_1)
	v_fma_f64 v[116:117], v[118:119], v[140:141], v[116:117]
	v_add_f64 v[18:19], v[18:19], -v[116:117]
	ds_load_2addr_b64 v[116:119], v246 offset0:50 offset1:51
	s_waitcnt lgkmcnt(0)
	v_mul_f64 v[92:93], v[118:119], v[94:95]
	s_delay_alu instid0(VALU_DEP_1) | instskip(SKIP_1) | instid1(VALU_DEP_2)
	v_fma_f64 v[92:93], v[116:117], v[140:141], -v[92:93]
	v_mul_f64 v[116:117], v[116:117], v[94:95]
	v_add_f64 v[12:13], v[12:13], -v[92:93]
	s_delay_alu instid0(VALU_DEP_2) | instskip(NEXT) | instid1(VALU_DEP_1)
	v_fma_f64 v[116:117], v[118:119], v[140:141], v[116:117]
	v_add_f64 v[14:15], v[14:15], -v[116:117]
	ds_load_2addr_b64 v[116:119], v246 offset0:52 offset1:53
	s_waitcnt lgkmcnt(0)
	v_mul_f64 v[92:93], v[118:119], v[94:95]
	s_delay_alu instid0(VALU_DEP_1) | instskip(SKIP_1) | instid1(VALU_DEP_2)
	v_fma_f64 v[92:93], v[116:117], v[140:141], -v[92:93]
	v_mul_f64 v[116:117], v[116:117], v[94:95]
	v_add_f64 v[8:9], v[8:9], -v[92:93]
	s_delay_alu instid0(VALU_DEP_2) | instskip(NEXT) | instid1(VALU_DEP_1)
	v_fma_f64 v[116:117], v[118:119], v[140:141], v[116:117]
	v_add_f64 v[10:11], v[10:11], -v[116:117]
	ds_load_2addr_b64 v[116:119], v246 offset0:54 offset1:55
	s_waitcnt lgkmcnt(0)
	v_mul_f64 v[92:93], v[118:119], v[94:95]
	s_delay_alu instid0(VALU_DEP_1) | instskip(SKIP_1) | instid1(VALU_DEP_2)
	v_fma_f64 v[92:93], v[116:117], v[140:141], -v[92:93]
	v_mul_f64 v[116:117], v[116:117], v[94:95]
	v_add_f64 v[4:5], v[4:5], -v[92:93]
	s_delay_alu instid0(VALU_DEP_2) | instskip(NEXT) | instid1(VALU_DEP_1)
	v_fma_f64 v[116:117], v[118:119], v[140:141], v[116:117]
	v_add_f64 v[6:7], v[6:7], -v[116:117]
	ds_load_2addr_b64 v[116:119], v246 offset0:56 offset1:57
	s_waitcnt lgkmcnt(0)
	v_mul_f64 v[92:93], v[118:119], v[94:95]
	s_delay_alu instid0(VALU_DEP_1) | instskip(SKIP_1) | instid1(VALU_DEP_2)
	v_fma_f64 v[92:93], v[116:117], v[140:141], -v[92:93]
	v_mul_f64 v[116:117], v[116:117], v[94:95]
	v_add_f64 v[0:1], v[0:1], -v[92:93]
	s_delay_alu instid0(VALU_DEP_2) | instskip(SKIP_1) | instid1(VALU_DEP_2)
	v_fma_f64 v[116:117], v[118:119], v[140:141], v[116:117]
	v_dual_mov_b32 v92, v140 :: v_dual_mov_b32 v93, v141
	v_add_f64 v[2:3], v[2:3], -v[116:117]
.LBB57_55:
	s_or_b32 exec_lo, exec_lo, s3
	s_delay_alu instid0(SALU_CYCLE_1)
	s_mov_b32 s4, exec_lo
	s_waitcnt lgkmcnt(0)
	s_barrier
	buffer_gl0_inv
	v_cmpx_eq_u32_e32 6, v244
	s_cbranch_execz .LBB57_62
; %bb.56:
	ds_store_2addr_b64 v245, v[88:89], v[90:91] offset1:1
	ds_store_2addr_b64 v246, v[84:85], v[86:87] offset0:14 offset1:15
	ds_store_2addr_b64 v246, v[80:81], v[82:83] offset0:16 offset1:17
	ds_store_2addr_b64 v246, v[76:77], v[78:79] offset0:18 offset1:19
	ds_store_2addr_b64 v246, v[72:73], v[74:75] offset0:20 offset1:21
	ds_store_2addr_b64 v246, v[68:69], v[70:71] offset0:22 offset1:23
	ds_store_2addr_b64 v246, v[64:65], v[66:67] offset0:24 offset1:25
	ds_store_2addr_b64 v246, v[60:61], v[62:63] offset0:26 offset1:27
	ds_store_2addr_b64 v246, v[56:57], v[58:59] offset0:28 offset1:29
	ds_store_2addr_b64 v246, v[52:53], v[54:55] offset0:30 offset1:31
	ds_store_2addr_b64 v246, v[48:49], v[50:51] offset0:32 offset1:33
	ds_store_2addr_b64 v246, v[44:45], v[46:47] offset0:34 offset1:35
	ds_store_2addr_b64 v246, v[40:41], v[42:43] offset0:36 offset1:37
	ds_store_2addr_b64 v246, v[36:37], v[38:39] offset0:38 offset1:39
	ds_store_2addr_b64 v246, v[32:33], v[34:35] offset0:40 offset1:41
	ds_store_2addr_b64 v246, v[28:29], v[30:31] offset0:42 offset1:43
	ds_store_2addr_b64 v246, v[24:25], v[26:27] offset0:44 offset1:45
	ds_store_2addr_b64 v246, v[20:21], v[22:23] offset0:46 offset1:47
	ds_store_2addr_b64 v246, v[16:17], v[18:19] offset0:48 offset1:49
	ds_store_2addr_b64 v246, v[12:13], v[14:15] offset0:50 offset1:51
	ds_store_2addr_b64 v246, v[8:9], v[10:11] offset0:52 offset1:53
	ds_store_2addr_b64 v246, v[4:5], v[6:7] offset0:54 offset1:55
	ds_store_2addr_b64 v246, v[0:1], v[2:3] offset0:56 offset1:57
	ds_load_2addr_b64 v[140:143], v245 offset1:1
	s_waitcnt lgkmcnt(0)
	v_cmp_neq_f64_e32 vcc_lo, 0, v[140:141]
	v_cmp_neq_f64_e64 s3, 0, v[142:143]
	s_delay_alu instid0(VALU_DEP_1) | instskip(NEXT) | instid1(SALU_CYCLE_1)
	s_or_b32 s3, vcc_lo, s3
	s_and_b32 exec_lo, exec_lo, s3
	s_cbranch_execz .LBB57_62
; %bb.57:
	v_cmp_gt_f64_e32 vcc_lo, 0, v[140:141]
	v_cmp_gt_f64_e64 s3, 0, v[142:143]
	v_xor_b32_e32 v116, 0x80000000, v141
	v_xor_b32_e32 v118, 0x80000000, v143
	s_delay_alu instid0(VALU_DEP_2) | instskip(NEXT) | instid1(VALU_DEP_2)
	v_cndmask_b32_e32 v117, v141, v116, vcc_lo
	v_cndmask_b32_e64 v119, v143, v118, s3
	v_cndmask_b32_e32 v116, v140, v140, vcc_lo
	v_cndmask_b32_e64 v118, v142, v142, s3
	s_delay_alu instid0(VALU_DEP_1) | instskip(SKIP_1) | instid1(SALU_CYCLE_1)
	v_cmp_ngt_f64_e32 vcc_lo, v[116:117], v[118:119]
                                        ; implicit-def: $vgpr116_vgpr117
	s_and_saveexec_b32 s3, vcc_lo
	s_xor_b32 s3, exec_lo, s3
                                        ; implicit-def: $vgpr144_vgpr145_vgpr146_vgpr147
	s_cbranch_execz .LBB57_59
; %bb.58:
	v_div_scale_f64 v[116:117], null, v[142:143], v[142:143], v[140:141]
	v_div_scale_f64 v[146:147], vcc_lo, v[140:141], v[142:143], v[140:141]
	s_delay_alu instid0(VALU_DEP_2) | instskip(SKIP_2) | instid1(VALU_DEP_1)
	v_rcp_f64_e32 v[118:119], v[116:117]
	s_waitcnt_depctr 0xfff
	v_fma_f64 v[144:145], -v[116:117], v[118:119], 1.0
	v_fma_f64 v[118:119], v[118:119], v[144:145], v[118:119]
	s_delay_alu instid0(VALU_DEP_1) | instskip(NEXT) | instid1(VALU_DEP_1)
	v_fma_f64 v[144:145], -v[116:117], v[118:119], 1.0
	v_fma_f64 v[118:119], v[118:119], v[144:145], v[118:119]
	s_delay_alu instid0(VALU_DEP_1) | instskip(NEXT) | instid1(VALU_DEP_1)
	v_mul_f64 v[144:145], v[146:147], v[118:119]
	v_fma_f64 v[116:117], -v[116:117], v[144:145], v[146:147]
	s_delay_alu instid0(VALU_DEP_1) | instskip(NEXT) | instid1(VALU_DEP_1)
	v_div_fmas_f64 v[116:117], v[116:117], v[118:119], v[144:145]
	v_div_fixup_f64 v[116:117], v[116:117], v[142:143], v[140:141]
	s_delay_alu instid0(VALU_DEP_1) | instskip(NEXT) | instid1(VALU_DEP_1)
	v_fma_f64 v[118:119], v[140:141], v[116:117], v[142:143]
	v_div_scale_f64 v[140:141], null, v[118:119], v[118:119], 1.0
	s_delay_alu instid0(VALU_DEP_1) | instskip(SKIP_2) | instid1(VALU_DEP_1)
	v_rcp_f64_e32 v[142:143], v[140:141]
	s_waitcnt_depctr 0xfff
	v_fma_f64 v[144:145], -v[140:141], v[142:143], 1.0
	v_fma_f64 v[142:143], v[142:143], v[144:145], v[142:143]
	s_delay_alu instid0(VALU_DEP_1) | instskip(NEXT) | instid1(VALU_DEP_1)
	v_fma_f64 v[144:145], -v[140:141], v[142:143], 1.0
	v_fma_f64 v[142:143], v[142:143], v[144:145], v[142:143]
	v_div_scale_f64 v[144:145], vcc_lo, 1.0, v[118:119], 1.0
	s_delay_alu instid0(VALU_DEP_1) | instskip(NEXT) | instid1(VALU_DEP_1)
	v_mul_f64 v[146:147], v[144:145], v[142:143]
	v_fma_f64 v[140:141], -v[140:141], v[146:147], v[144:145]
	s_delay_alu instid0(VALU_DEP_1) | instskip(NEXT) | instid1(VALU_DEP_1)
	v_div_fmas_f64 v[140:141], v[140:141], v[142:143], v[146:147]
	v_div_fixup_f64 v[146:147], v[140:141], v[118:119], 1.0
                                        ; implicit-def: $vgpr140_vgpr141
	s_delay_alu instid0(VALU_DEP_1)
	v_mul_f64 v[116:117], v[116:117], v[146:147]
	v_xor_b32_e32 v147, 0x80000000, v147
.LBB57_59:
	s_and_not1_saveexec_b32 s3, s3
	s_cbranch_execz .LBB57_61
; %bb.60:
	v_div_scale_f64 v[116:117], null, v[140:141], v[140:141], v[142:143]
	v_div_scale_f64 v[146:147], vcc_lo, v[142:143], v[140:141], v[142:143]
	s_delay_alu instid0(VALU_DEP_2) | instskip(SKIP_2) | instid1(VALU_DEP_1)
	v_rcp_f64_e32 v[118:119], v[116:117]
	s_waitcnt_depctr 0xfff
	v_fma_f64 v[144:145], -v[116:117], v[118:119], 1.0
	v_fma_f64 v[118:119], v[118:119], v[144:145], v[118:119]
	s_delay_alu instid0(VALU_DEP_1) | instskip(NEXT) | instid1(VALU_DEP_1)
	v_fma_f64 v[144:145], -v[116:117], v[118:119], 1.0
	v_fma_f64 v[118:119], v[118:119], v[144:145], v[118:119]
	s_delay_alu instid0(VALU_DEP_1) | instskip(NEXT) | instid1(VALU_DEP_1)
	v_mul_f64 v[144:145], v[146:147], v[118:119]
	v_fma_f64 v[116:117], -v[116:117], v[144:145], v[146:147]
	s_delay_alu instid0(VALU_DEP_1) | instskip(NEXT) | instid1(VALU_DEP_1)
	v_div_fmas_f64 v[116:117], v[116:117], v[118:119], v[144:145]
	v_div_fixup_f64 v[118:119], v[116:117], v[140:141], v[142:143]
	s_delay_alu instid0(VALU_DEP_1) | instskip(NEXT) | instid1(VALU_DEP_1)
	v_fma_f64 v[116:117], v[142:143], v[118:119], v[140:141]
	v_div_scale_f64 v[140:141], null, v[116:117], v[116:117], 1.0
	s_delay_alu instid0(VALU_DEP_1) | instskip(SKIP_2) | instid1(VALU_DEP_1)
	v_rcp_f64_e32 v[142:143], v[140:141]
	s_waitcnt_depctr 0xfff
	v_fma_f64 v[144:145], -v[140:141], v[142:143], 1.0
	v_fma_f64 v[142:143], v[142:143], v[144:145], v[142:143]
	s_delay_alu instid0(VALU_DEP_1) | instskip(NEXT) | instid1(VALU_DEP_1)
	v_fma_f64 v[144:145], -v[140:141], v[142:143], 1.0
	v_fma_f64 v[142:143], v[142:143], v[144:145], v[142:143]
	v_div_scale_f64 v[144:145], vcc_lo, 1.0, v[116:117], 1.0
	s_delay_alu instid0(VALU_DEP_1) | instskip(NEXT) | instid1(VALU_DEP_1)
	v_mul_f64 v[146:147], v[144:145], v[142:143]
	v_fma_f64 v[140:141], -v[140:141], v[146:147], v[144:145]
	s_delay_alu instid0(VALU_DEP_1) | instskip(NEXT) | instid1(VALU_DEP_1)
	v_div_fmas_f64 v[140:141], v[140:141], v[142:143], v[146:147]
	v_div_fixup_f64 v[116:117], v[140:141], v[116:117], 1.0
	s_delay_alu instid0(VALU_DEP_1)
	v_mul_f64 v[146:147], v[118:119], -v[116:117]
.LBB57_61:
	s_or_b32 exec_lo, exec_lo, s3
	ds_store_2addr_b64 v245, v[116:117], v[146:147] offset1:1
.LBB57_62:
	s_or_b32 exec_lo, exec_lo, s4
	s_waitcnt lgkmcnt(0)
	s_barrier
	buffer_gl0_inv
	ds_load_2addr_b64 v[140:143], v245 offset1:1
	s_mov_b32 s3, exec_lo
	v_cmpx_lt_u32_e32 6, v244
	s_cbranch_execz .LBB57_64
; %bb.63:
	s_waitcnt lgkmcnt(0)
	v_mul_f64 v[116:117], v[142:143], v[90:91]
	v_mul_f64 v[90:91], v[140:141], v[90:91]
	s_delay_alu instid0(VALU_DEP_2) | instskip(NEXT) | instid1(VALU_DEP_2)
	v_fma_f64 v[144:145], v[140:141], v[88:89], -v[116:117]
	v_fma_f64 v[90:91], v[142:143], v[88:89], v[90:91]
	ds_load_2addr_b64 v[116:119], v246 offset0:14 offset1:15
	s_waitcnt lgkmcnt(0)
	v_mul_f64 v[88:89], v[118:119], v[90:91]
	s_delay_alu instid0(VALU_DEP_1) | instskip(SKIP_1) | instid1(VALU_DEP_2)
	v_fma_f64 v[88:89], v[116:117], v[144:145], -v[88:89]
	v_mul_f64 v[116:117], v[116:117], v[90:91]
	v_add_f64 v[84:85], v[84:85], -v[88:89]
	s_delay_alu instid0(VALU_DEP_2) | instskip(NEXT) | instid1(VALU_DEP_1)
	v_fma_f64 v[116:117], v[118:119], v[144:145], v[116:117]
	v_add_f64 v[86:87], v[86:87], -v[116:117]
	ds_load_2addr_b64 v[116:119], v246 offset0:16 offset1:17
	s_waitcnt lgkmcnt(0)
	v_mul_f64 v[88:89], v[118:119], v[90:91]
	s_delay_alu instid0(VALU_DEP_1) | instskip(SKIP_1) | instid1(VALU_DEP_2)
	v_fma_f64 v[88:89], v[116:117], v[144:145], -v[88:89]
	v_mul_f64 v[116:117], v[116:117], v[90:91]
	v_add_f64 v[80:81], v[80:81], -v[88:89]
	s_delay_alu instid0(VALU_DEP_2) | instskip(NEXT) | instid1(VALU_DEP_1)
	v_fma_f64 v[116:117], v[118:119], v[144:145], v[116:117]
	v_add_f64 v[82:83], v[82:83], -v[116:117]
	;; [unrolled: 10-line block ×21, first 2 shown]
	ds_load_2addr_b64 v[116:119], v246 offset0:56 offset1:57
	s_waitcnt lgkmcnt(0)
	v_mul_f64 v[88:89], v[118:119], v[90:91]
	s_delay_alu instid0(VALU_DEP_1) | instskip(SKIP_1) | instid1(VALU_DEP_2)
	v_fma_f64 v[88:89], v[116:117], v[144:145], -v[88:89]
	v_mul_f64 v[116:117], v[116:117], v[90:91]
	v_add_f64 v[0:1], v[0:1], -v[88:89]
	s_delay_alu instid0(VALU_DEP_2) | instskip(SKIP_1) | instid1(VALU_DEP_2)
	v_fma_f64 v[116:117], v[118:119], v[144:145], v[116:117]
	v_dual_mov_b32 v88, v144 :: v_dual_mov_b32 v89, v145
	v_add_f64 v[2:3], v[2:3], -v[116:117]
.LBB57_64:
	s_or_b32 exec_lo, exec_lo, s3
	s_delay_alu instid0(SALU_CYCLE_1)
	s_mov_b32 s4, exec_lo
	s_waitcnt lgkmcnt(0)
	s_barrier
	buffer_gl0_inv
	v_cmpx_eq_u32_e32 7, v244
	s_cbranch_execz .LBB57_71
; %bb.65:
	ds_store_2addr_b64 v245, v[84:85], v[86:87] offset1:1
	ds_store_2addr_b64 v246, v[80:81], v[82:83] offset0:16 offset1:17
	ds_store_2addr_b64 v246, v[76:77], v[78:79] offset0:18 offset1:19
	;; [unrolled: 1-line block ×21, first 2 shown]
	ds_load_2addr_b64 v[144:147], v245 offset1:1
	s_waitcnt lgkmcnt(0)
	v_cmp_neq_f64_e32 vcc_lo, 0, v[144:145]
	v_cmp_neq_f64_e64 s3, 0, v[146:147]
	s_delay_alu instid0(VALU_DEP_1) | instskip(NEXT) | instid1(SALU_CYCLE_1)
	s_or_b32 s3, vcc_lo, s3
	s_and_b32 exec_lo, exec_lo, s3
	s_cbranch_execz .LBB57_71
; %bb.66:
	v_cmp_gt_f64_e32 vcc_lo, 0, v[144:145]
	v_cmp_gt_f64_e64 s3, 0, v[146:147]
	v_xor_b32_e32 v116, 0x80000000, v145
	v_xor_b32_e32 v118, 0x80000000, v147
	s_delay_alu instid0(VALU_DEP_2) | instskip(NEXT) | instid1(VALU_DEP_2)
	v_cndmask_b32_e32 v117, v145, v116, vcc_lo
	v_cndmask_b32_e64 v119, v147, v118, s3
	v_cndmask_b32_e32 v116, v144, v144, vcc_lo
	v_cndmask_b32_e64 v118, v146, v146, s3
	s_delay_alu instid0(VALU_DEP_1) | instskip(SKIP_1) | instid1(SALU_CYCLE_1)
	v_cmp_ngt_f64_e32 vcc_lo, v[116:117], v[118:119]
                                        ; implicit-def: $vgpr116_vgpr117
	s_and_saveexec_b32 s3, vcc_lo
	s_xor_b32 s3, exec_lo, s3
                                        ; implicit-def: $vgpr148_vgpr149_vgpr150_vgpr151
	s_cbranch_execz .LBB57_68
; %bb.67:
	v_div_scale_f64 v[116:117], null, v[146:147], v[146:147], v[144:145]
	v_div_scale_f64 v[150:151], vcc_lo, v[144:145], v[146:147], v[144:145]
	s_delay_alu instid0(VALU_DEP_2) | instskip(SKIP_2) | instid1(VALU_DEP_1)
	v_rcp_f64_e32 v[118:119], v[116:117]
	s_waitcnt_depctr 0xfff
	v_fma_f64 v[148:149], -v[116:117], v[118:119], 1.0
	v_fma_f64 v[118:119], v[118:119], v[148:149], v[118:119]
	s_delay_alu instid0(VALU_DEP_1) | instskip(NEXT) | instid1(VALU_DEP_1)
	v_fma_f64 v[148:149], -v[116:117], v[118:119], 1.0
	v_fma_f64 v[118:119], v[118:119], v[148:149], v[118:119]
	s_delay_alu instid0(VALU_DEP_1) | instskip(NEXT) | instid1(VALU_DEP_1)
	v_mul_f64 v[148:149], v[150:151], v[118:119]
	v_fma_f64 v[116:117], -v[116:117], v[148:149], v[150:151]
	s_delay_alu instid0(VALU_DEP_1) | instskip(NEXT) | instid1(VALU_DEP_1)
	v_div_fmas_f64 v[116:117], v[116:117], v[118:119], v[148:149]
	v_div_fixup_f64 v[116:117], v[116:117], v[146:147], v[144:145]
	s_delay_alu instid0(VALU_DEP_1) | instskip(NEXT) | instid1(VALU_DEP_1)
	v_fma_f64 v[118:119], v[144:145], v[116:117], v[146:147]
	v_div_scale_f64 v[144:145], null, v[118:119], v[118:119], 1.0
	s_delay_alu instid0(VALU_DEP_1) | instskip(SKIP_2) | instid1(VALU_DEP_1)
	v_rcp_f64_e32 v[146:147], v[144:145]
	s_waitcnt_depctr 0xfff
	v_fma_f64 v[148:149], -v[144:145], v[146:147], 1.0
	v_fma_f64 v[146:147], v[146:147], v[148:149], v[146:147]
	s_delay_alu instid0(VALU_DEP_1) | instskip(NEXT) | instid1(VALU_DEP_1)
	v_fma_f64 v[148:149], -v[144:145], v[146:147], 1.0
	v_fma_f64 v[146:147], v[146:147], v[148:149], v[146:147]
	v_div_scale_f64 v[148:149], vcc_lo, 1.0, v[118:119], 1.0
	s_delay_alu instid0(VALU_DEP_1) | instskip(NEXT) | instid1(VALU_DEP_1)
	v_mul_f64 v[150:151], v[148:149], v[146:147]
	v_fma_f64 v[144:145], -v[144:145], v[150:151], v[148:149]
	s_delay_alu instid0(VALU_DEP_1) | instskip(NEXT) | instid1(VALU_DEP_1)
	v_div_fmas_f64 v[144:145], v[144:145], v[146:147], v[150:151]
	v_div_fixup_f64 v[150:151], v[144:145], v[118:119], 1.0
                                        ; implicit-def: $vgpr144_vgpr145
	s_delay_alu instid0(VALU_DEP_1)
	v_mul_f64 v[116:117], v[116:117], v[150:151]
	v_xor_b32_e32 v151, 0x80000000, v151
.LBB57_68:
	s_and_not1_saveexec_b32 s3, s3
	s_cbranch_execz .LBB57_70
; %bb.69:
	v_div_scale_f64 v[116:117], null, v[144:145], v[144:145], v[146:147]
	v_div_scale_f64 v[150:151], vcc_lo, v[146:147], v[144:145], v[146:147]
	s_delay_alu instid0(VALU_DEP_2) | instskip(SKIP_2) | instid1(VALU_DEP_1)
	v_rcp_f64_e32 v[118:119], v[116:117]
	s_waitcnt_depctr 0xfff
	v_fma_f64 v[148:149], -v[116:117], v[118:119], 1.0
	v_fma_f64 v[118:119], v[118:119], v[148:149], v[118:119]
	s_delay_alu instid0(VALU_DEP_1) | instskip(NEXT) | instid1(VALU_DEP_1)
	v_fma_f64 v[148:149], -v[116:117], v[118:119], 1.0
	v_fma_f64 v[118:119], v[118:119], v[148:149], v[118:119]
	s_delay_alu instid0(VALU_DEP_1) | instskip(NEXT) | instid1(VALU_DEP_1)
	v_mul_f64 v[148:149], v[150:151], v[118:119]
	v_fma_f64 v[116:117], -v[116:117], v[148:149], v[150:151]
	s_delay_alu instid0(VALU_DEP_1) | instskip(NEXT) | instid1(VALU_DEP_1)
	v_div_fmas_f64 v[116:117], v[116:117], v[118:119], v[148:149]
	v_div_fixup_f64 v[118:119], v[116:117], v[144:145], v[146:147]
	s_delay_alu instid0(VALU_DEP_1) | instskip(NEXT) | instid1(VALU_DEP_1)
	v_fma_f64 v[116:117], v[146:147], v[118:119], v[144:145]
	v_div_scale_f64 v[144:145], null, v[116:117], v[116:117], 1.0
	s_delay_alu instid0(VALU_DEP_1) | instskip(SKIP_2) | instid1(VALU_DEP_1)
	v_rcp_f64_e32 v[146:147], v[144:145]
	s_waitcnt_depctr 0xfff
	v_fma_f64 v[148:149], -v[144:145], v[146:147], 1.0
	v_fma_f64 v[146:147], v[146:147], v[148:149], v[146:147]
	s_delay_alu instid0(VALU_DEP_1) | instskip(NEXT) | instid1(VALU_DEP_1)
	v_fma_f64 v[148:149], -v[144:145], v[146:147], 1.0
	v_fma_f64 v[146:147], v[146:147], v[148:149], v[146:147]
	v_div_scale_f64 v[148:149], vcc_lo, 1.0, v[116:117], 1.0
	s_delay_alu instid0(VALU_DEP_1) | instskip(NEXT) | instid1(VALU_DEP_1)
	v_mul_f64 v[150:151], v[148:149], v[146:147]
	v_fma_f64 v[144:145], -v[144:145], v[150:151], v[148:149]
	s_delay_alu instid0(VALU_DEP_1) | instskip(NEXT) | instid1(VALU_DEP_1)
	v_div_fmas_f64 v[144:145], v[144:145], v[146:147], v[150:151]
	v_div_fixup_f64 v[116:117], v[144:145], v[116:117], 1.0
	s_delay_alu instid0(VALU_DEP_1)
	v_mul_f64 v[150:151], v[118:119], -v[116:117]
.LBB57_70:
	s_or_b32 exec_lo, exec_lo, s3
	ds_store_2addr_b64 v245, v[116:117], v[150:151] offset1:1
.LBB57_71:
	s_or_b32 exec_lo, exec_lo, s4
	s_waitcnt lgkmcnt(0)
	s_barrier
	buffer_gl0_inv
	ds_load_2addr_b64 v[144:147], v245 offset1:1
	s_mov_b32 s3, exec_lo
	v_cmpx_lt_u32_e32 7, v244
	s_cbranch_execz .LBB57_73
; %bb.72:
	s_waitcnt lgkmcnt(0)
	v_mul_f64 v[116:117], v[146:147], v[86:87]
	v_mul_f64 v[86:87], v[144:145], v[86:87]
	s_delay_alu instid0(VALU_DEP_2) | instskip(NEXT) | instid1(VALU_DEP_2)
	v_fma_f64 v[148:149], v[144:145], v[84:85], -v[116:117]
	v_fma_f64 v[86:87], v[146:147], v[84:85], v[86:87]
	ds_load_2addr_b64 v[116:119], v246 offset0:16 offset1:17
	s_waitcnt lgkmcnt(0)
	v_mul_f64 v[84:85], v[118:119], v[86:87]
	s_delay_alu instid0(VALU_DEP_1) | instskip(SKIP_1) | instid1(VALU_DEP_2)
	v_fma_f64 v[84:85], v[116:117], v[148:149], -v[84:85]
	v_mul_f64 v[116:117], v[116:117], v[86:87]
	v_add_f64 v[80:81], v[80:81], -v[84:85]
	s_delay_alu instid0(VALU_DEP_2) | instskip(NEXT) | instid1(VALU_DEP_1)
	v_fma_f64 v[116:117], v[118:119], v[148:149], v[116:117]
	v_add_f64 v[82:83], v[82:83], -v[116:117]
	ds_load_2addr_b64 v[116:119], v246 offset0:18 offset1:19
	s_waitcnt lgkmcnt(0)
	v_mul_f64 v[84:85], v[118:119], v[86:87]
	s_delay_alu instid0(VALU_DEP_1) | instskip(SKIP_1) | instid1(VALU_DEP_2)
	v_fma_f64 v[84:85], v[116:117], v[148:149], -v[84:85]
	v_mul_f64 v[116:117], v[116:117], v[86:87]
	v_add_f64 v[76:77], v[76:77], -v[84:85]
	s_delay_alu instid0(VALU_DEP_2) | instskip(NEXT) | instid1(VALU_DEP_1)
	v_fma_f64 v[116:117], v[118:119], v[148:149], v[116:117]
	v_add_f64 v[78:79], v[78:79], -v[116:117]
	;; [unrolled: 10-line block ×20, first 2 shown]
	ds_load_2addr_b64 v[116:119], v246 offset0:56 offset1:57
	s_waitcnt lgkmcnt(0)
	v_mul_f64 v[84:85], v[118:119], v[86:87]
	s_delay_alu instid0(VALU_DEP_1) | instskip(SKIP_1) | instid1(VALU_DEP_2)
	v_fma_f64 v[84:85], v[116:117], v[148:149], -v[84:85]
	v_mul_f64 v[116:117], v[116:117], v[86:87]
	v_add_f64 v[0:1], v[0:1], -v[84:85]
	s_delay_alu instid0(VALU_DEP_2) | instskip(SKIP_1) | instid1(VALU_DEP_2)
	v_fma_f64 v[116:117], v[118:119], v[148:149], v[116:117]
	v_dual_mov_b32 v84, v148 :: v_dual_mov_b32 v85, v149
	v_add_f64 v[2:3], v[2:3], -v[116:117]
.LBB57_73:
	s_or_b32 exec_lo, exec_lo, s3
	s_delay_alu instid0(SALU_CYCLE_1)
	s_mov_b32 s4, exec_lo
	s_waitcnt lgkmcnt(0)
	s_barrier
	buffer_gl0_inv
	v_cmpx_eq_u32_e32 8, v244
	s_cbranch_execz .LBB57_80
; %bb.74:
	ds_store_2addr_b64 v245, v[80:81], v[82:83] offset1:1
	ds_store_2addr_b64 v246, v[76:77], v[78:79] offset0:18 offset1:19
	ds_store_2addr_b64 v246, v[72:73], v[74:75] offset0:20 offset1:21
	;; [unrolled: 1-line block ×20, first 2 shown]
	ds_load_2addr_b64 v[148:151], v245 offset1:1
	s_waitcnt lgkmcnt(0)
	v_cmp_neq_f64_e32 vcc_lo, 0, v[148:149]
	v_cmp_neq_f64_e64 s3, 0, v[150:151]
	s_delay_alu instid0(VALU_DEP_1) | instskip(NEXT) | instid1(SALU_CYCLE_1)
	s_or_b32 s3, vcc_lo, s3
	s_and_b32 exec_lo, exec_lo, s3
	s_cbranch_execz .LBB57_80
; %bb.75:
	v_cmp_gt_f64_e32 vcc_lo, 0, v[148:149]
	v_cmp_gt_f64_e64 s3, 0, v[150:151]
	v_xor_b32_e32 v116, 0x80000000, v149
	v_xor_b32_e32 v118, 0x80000000, v151
	s_delay_alu instid0(VALU_DEP_2) | instskip(NEXT) | instid1(VALU_DEP_2)
	v_cndmask_b32_e32 v117, v149, v116, vcc_lo
	v_cndmask_b32_e64 v119, v151, v118, s3
	v_cndmask_b32_e32 v116, v148, v148, vcc_lo
	v_cndmask_b32_e64 v118, v150, v150, s3
	s_delay_alu instid0(VALU_DEP_1) | instskip(SKIP_1) | instid1(SALU_CYCLE_1)
	v_cmp_ngt_f64_e32 vcc_lo, v[116:117], v[118:119]
                                        ; implicit-def: $vgpr116_vgpr117
	s_and_saveexec_b32 s3, vcc_lo
	s_xor_b32 s3, exec_lo, s3
                                        ; implicit-def: $vgpr152_vgpr153_vgpr154_vgpr155
	s_cbranch_execz .LBB57_77
; %bb.76:
	v_div_scale_f64 v[116:117], null, v[150:151], v[150:151], v[148:149]
	v_div_scale_f64 v[154:155], vcc_lo, v[148:149], v[150:151], v[148:149]
	s_delay_alu instid0(VALU_DEP_2) | instskip(SKIP_2) | instid1(VALU_DEP_1)
	v_rcp_f64_e32 v[118:119], v[116:117]
	s_waitcnt_depctr 0xfff
	v_fma_f64 v[152:153], -v[116:117], v[118:119], 1.0
	v_fma_f64 v[118:119], v[118:119], v[152:153], v[118:119]
	s_delay_alu instid0(VALU_DEP_1) | instskip(NEXT) | instid1(VALU_DEP_1)
	v_fma_f64 v[152:153], -v[116:117], v[118:119], 1.0
	v_fma_f64 v[118:119], v[118:119], v[152:153], v[118:119]
	s_delay_alu instid0(VALU_DEP_1) | instskip(NEXT) | instid1(VALU_DEP_1)
	v_mul_f64 v[152:153], v[154:155], v[118:119]
	v_fma_f64 v[116:117], -v[116:117], v[152:153], v[154:155]
	s_delay_alu instid0(VALU_DEP_1) | instskip(NEXT) | instid1(VALU_DEP_1)
	v_div_fmas_f64 v[116:117], v[116:117], v[118:119], v[152:153]
	v_div_fixup_f64 v[116:117], v[116:117], v[150:151], v[148:149]
	s_delay_alu instid0(VALU_DEP_1) | instskip(NEXT) | instid1(VALU_DEP_1)
	v_fma_f64 v[118:119], v[148:149], v[116:117], v[150:151]
	v_div_scale_f64 v[148:149], null, v[118:119], v[118:119], 1.0
	s_delay_alu instid0(VALU_DEP_1) | instskip(SKIP_2) | instid1(VALU_DEP_1)
	v_rcp_f64_e32 v[150:151], v[148:149]
	s_waitcnt_depctr 0xfff
	v_fma_f64 v[152:153], -v[148:149], v[150:151], 1.0
	v_fma_f64 v[150:151], v[150:151], v[152:153], v[150:151]
	s_delay_alu instid0(VALU_DEP_1) | instskip(NEXT) | instid1(VALU_DEP_1)
	v_fma_f64 v[152:153], -v[148:149], v[150:151], 1.0
	v_fma_f64 v[150:151], v[150:151], v[152:153], v[150:151]
	v_div_scale_f64 v[152:153], vcc_lo, 1.0, v[118:119], 1.0
	s_delay_alu instid0(VALU_DEP_1) | instskip(NEXT) | instid1(VALU_DEP_1)
	v_mul_f64 v[154:155], v[152:153], v[150:151]
	v_fma_f64 v[148:149], -v[148:149], v[154:155], v[152:153]
	s_delay_alu instid0(VALU_DEP_1) | instskip(NEXT) | instid1(VALU_DEP_1)
	v_div_fmas_f64 v[148:149], v[148:149], v[150:151], v[154:155]
	v_div_fixup_f64 v[154:155], v[148:149], v[118:119], 1.0
                                        ; implicit-def: $vgpr148_vgpr149
	s_delay_alu instid0(VALU_DEP_1)
	v_mul_f64 v[116:117], v[116:117], v[154:155]
	v_xor_b32_e32 v155, 0x80000000, v155
.LBB57_77:
	s_and_not1_saveexec_b32 s3, s3
	s_cbranch_execz .LBB57_79
; %bb.78:
	v_div_scale_f64 v[116:117], null, v[148:149], v[148:149], v[150:151]
	v_div_scale_f64 v[154:155], vcc_lo, v[150:151], v[148:149], v[150:151]
	s_delay_alu instid0(VALU_DEP_2) | instskip(SKIP_2) | instid1(VALU_DEP_1)
	v_rcp_f64_e32 v[118:119], v[116:117]
	s_waitcnt_depctr 0xfff
	v_fma_f64 v[152:153], -v[116:117], v[118:119], 1.0
	v_fma_f64 v[118:119], v[118:119], v[152:153], v[118:119]
	s_delay_alu instid0(VALU_DEP_1) | instskip(NEXT) | instid1(VALU_DEP_1)
	v_fma_f64 v[152:153], -v[116:117], v[118:119], 1.0
	v_fma_f64 v[118:119], v[118:119], v[152:153], v[118:119]
	s_delay_alu instid0(VALU_DEP_1) | instskip(NEXT) | instid1(VALU_DEP_1)
	v_mul_f64 v[152:153], v[154:155], v[118:119]
	v_fma_f64 v[116:117], -v[116:117], v[152:153], v[154:155]
	s_delay_alu instid0(VALU_DEP_1) | instskip(NEXT) | instid1(VALU_DEP_1)
	v_div_fmas_f64 v[116:117], v[116:117], v[118:119], v[152:153]
	v_div_fixup_f64 v[118:119], v[116:117], v[148:149], v[150:151]
	s_delay_alu instid0(VALU_DEP_1) | instskip(NEXT) | instid1(VALU_DEP_1)
	v_fma_f64 v[116:117], v[150:151], v[118:119], v[148:149]
	v_div_scale_f64 v[148:149], null, v[116:117], v[116:117], 1.0
	s_delay_alu instid0(VALU_DEP_1) | instskip(SKIP_2) | instid1(VALU_DEP_1)
	v_rcp_f64_e32 v[150:151], v[148:149]
	s_waitcnt_depctr 0xfff
	v_fma_f64 v[152:153], -v[148:149], v[150:151], 1.0
	v_fma_f64 v[150:151], v[150:151], v[152:153], v[150:151]
	s_delay_alu instid0(VALU_DEP_1) | instskip(NEXT) | instid1(VALU_DEP_1)
	v_fma_f64 v[152:153], -v[148:149], v[150:151], 1.0
	v_fma_f64 v[150:151], v[150:151], v[152:153], v[150:151]
	v_div_scale_f64 v[152:153], vcc_lo, 1.0, v[116:117], 1.0
	s_delay_alu instid0(VALU_DEP_1) | instskip(NEXT) | instid1(VALU_DEP_1)
	v_mul_f64 v[154:155], v[152:153], v[150:151]
	v_fma_f64 v[148:149], -v[148:149], v[154:155], v[152:153]
	s_delay_alu instid0(VALU_DEP_1) | instskip(NEXT) | instid1(VALU_DEP_1)
	v_div_fmas_f64 v[148:149], v[148:149], v[150:151], v[154:155]
	v_div_fixup_f64 v[116:117], v[148:149], v[116:117], 1.0
	s_delay_alu instid0(VALU_DEP_1)
	v_mul_f64 v[154:155], v[118:119], -v[116:117]
.LBB57_79:
	s_or_b32 exec_lo, exec_lo, s3
	ds_store_2addr_b64 v245, v[116:117], v[154:155] offset1:1
.LBB57_80:
	s_or_b32 exec_lo, exec_lo, s4
	s_waitcnt lgkmcnt(0)
	s_barrier
	buffer_gl0_inv
	ds_load_2addr_b64 v[148:151], v245 offset1:1
	s_mov_b32 s3, exec_lo
	v_cmpx_lt_u32_e32 8, v244
	s_cbranch_execz .LBB57_82
; %bb.81:
	s_waitcnt lgkmcnt(0)
	v_mul_f64 v[116:117], v[150:151], v[82:83]
	v_mul_f64 v[82:83], v[148:149], v[82:83]
	s_delay_alu instid0(VALU_DEP_2) | instskip(NEXT) | instid1(VALU_DEP_2)
	v_fma_f64 v[152:153], v[148:149], v[80:81], -v[116:117]
	v_fma_f64 v[82:83], v[150:151], v[80:81], v[82:83]
	ds_load_2addr_b64 v[116:119], v246 offset0:18 offset1:19
	s_waitcnt lgkmcnt(0)
	v_mul_f64 v[80:81], v[118:119], v[82:83]
	s_delay_alu instid0(VALU_DEP_1) | instskip(SKIP_1) | instid1(VALU_DEP_2)
	v_fma_f64 v[80:81], v[116:117], v[152:153], -v[80:81]
	v_mul_f64 v[116:117], v[116:117], v[82:83]
	v_add_f64 v[76:77], v[76:77], -v[80:81]
	s_delay_alu instid0(VALU_DEP_2) | instskip(NEXT) | instid1(VALU_DEP_1)
	v_fma_f64 v[116:117], v[118:119], v[152:153], v[116:117]
	v_add_f64 v[78:79], v[78:79], -v[116:117]
	ds_load_2addr_b64 v[116:119], v246 offset0:20 offset1:21
	s_waitcnt lgkmcnt(0)
	v_mul_f64 v[80:81], v[118:119], v[82:83]
	s_delay_alu instid0(VALU_DEP_1) | instskip(SKIP_1) | instid1(VALU_DEP_2)
	v_fma_f64 v[80:81], v[116:117], v[152:153], -v[80:81]
	v_mul_f64 v[116:117], v[116:117], v[82:83]
	v_add_f64 v[72:73], v[72:73], -v[80:81]
	s_delay_alu instid0(VALU_DEP_2) | instskip(NEXT) | instid1(VALU_DEP_1)
	v_fma_f64 v[116:117], v[118:119], v[152:153], v[116:117]
	v_add_f64 v[74:75], v[74:75], -v[116:117]
	;; [unrolled: 10-line block ×19, first 2 shown]
	ds_load_2addr_b64 v[116:119], v246 offset0:56 offset1:57
	s_waitcnt lgkmcnt(0)
	v_mul_f64 v[80:81], v[118:119], v[82:83]
	s_delay_alu instid0(VALU_DEP_1) | instskip(SKIP_1) | instid1(VALU_DEP_2)
	v_fma_f64 v[80:81], v[116:117], v[152:153], -v[80:81]
	v_mul_f64 v[116:117], v[116:117], v[82:83]
	v_add_f64 v[0:1], v[0:1], -v[80:81]
	s_delay_alu instid0(VALU_DEP_2) | instskip(SKIP_1) | instid1(VALU_DEP_2)
	v_fma_f64 v[116:117], v[118:119], v[152:153], v[116:117]
	v_dual_mov_b32 v80, v152 :: v_dual_mov_b32 v81, v153
	v_add_f64 v[2:3], v[2:3], -v[116:117]
.LBB57_82:
	s_or_b32 exec_lo, exec_lo, s3
	s_delay_alu instid0(SALU_CYCLE_1)
	s_mov_b32 s4, exec_lo
	s_waitcnt lgkmcnt(0)
	s_barrier
	buffer_gl0_inv
	v_cmpx_eq_u32_e32 9, v244
	s_cbranch_execz .LBB57_89
; %bb.83:
	ds_store_2addr_b64 v245, v[76:77], v[78:79] offset1:1
	ds_store_2addr_b64 v246, v[72:73], v[74:75] offset0:20 offset1:21
	ds_store_2addr_b64 v246, v[68:69], v[70:71] offset0:22 offset1:23
	;; [unrolled: 1-line block ×19, first 2 shown]
	ds_load_2addr_b64 v[152:155], v245 offset1:1
	s_waitcnt lgkmcnt(0)
	v_cmp_neq_f64_e32 vcc_lo, 0, v[152:153]
	v_cmp_neq_f64_e64 s3, 0, v[154:155]
	s_delay_alu instid0(VALU_DEP_1) | instskip(NEXT) | instid1(SALU_CYCLE_1)
	s_or_b32 s3, vcc_lo, s3
	s_and_b32 exec_lo, exec_lo, s3
	s_cbranch_execz .LBB57_89
; %bb.84:
	v_cmp_gt_f64_e32 vcc_lo, 0, v[152:153]
	v_cmp_gt_f64_e64 s3, 0, v[154:155]
	v_xor_b32_e32 v116, 0x80000000, v153
	v_xor_b32_e32 v118, 0x80000000, v155
	s_delay_alu instid0(VALU_DEP_2) | instskip(NEXT) | instid1(VALU_DEP_2)
	v_cndmask_b32_e32 v117, v153, v116, vcc_lo
	v_cndmask_b32_e64 v119, v155, v118, s3
	v_cndmask_b32_e32 v116, v152, v152, vcc_lo
	v_cndmask_b32_e64 v118, v154, v154, s3
	s_delay_alu instid0(VALU_DEP_1) | instskip(SKIP_1) | instid1(SALU_CYCLE_1)
	v_cmp_ngt_f64_e32 vcc_lo, v[116:117], v[118:119]
                                        ; implicit-def: $vgpr116_vgpr117
	s_and_saveexec_b32 s3, vcc_lo
	s_xor_b32 s3, exec_lo, s3
                                        ; implicit-def: $vgpr156_vgpr157_vgpr158_vgpr159
	s_cbranch_execz .LBB57_86
; %bb.85:
	v_div_scale_f64 v[116:117], null, v[154:155], v[154:155], v[152:153]
	v_div_scale_f64 v[158:159], vcc_lo, v[152:153], v[154:155], v[152:153]
	s_delay_alu instid0(VALU_DEP_2) | instskip(SKIP_2) | instid1(VALU_DEP_1)
	v_rcp_f64_e32 v[118:119], v[116:117]
	s_waitcnt_depctr 0xfff
	v_fma_f64 v[156:157], -v[116:117], v[118:119], 1.0
	v_fma_f64 v[118:119], v[118:119], v[156:157], v[118:119]
	s_delay_alu instid0(VALU_DEP_1) | instskip(NEXT) | instid1(VALU_DEP_1)
	v_fma_f64 v[156:157], -v[116:117], v[118:119], 1.0
	v_fma_f64 v[118:119], v[118:119], v[156:157], v[118:119]
	s_delay_alu instid0(VALU_DEP_1) | instskip(NEXT) | instid1(VALU_DEP_1)
	v_mul_f64 v[156:157], v[158:159], v[118:119]
	v_fma_f64 v[116:117], -v[116:117], v[156:157], v[158:159]
	s_delay_alu instid0(VALU_DEP_1) | instskip(NEXT) | instid1(VALU_DEP_1)
	v_div_fmas_f64 v[116:117], v[116:117], v[118:119], v[156:157]
	v_div_fixup_f64 v[116:117], v[116:117], v[154:155], v[152:153]
	s_delay_alu instid0(VALU_DEP_1) | instskip(NEXT) | instid1(VALU_DEP_1)
	v_fma_f64 v[118:119], v[152:153], v[116:117], v[154:155]
	v_div_scale_f64 v[152:153], null, v[118:119], v[118:119], 1.0
	s_delay_alu instid0(VALU_DEP_1) | instskip(SKIP_2) | instid1(VALU_DEP_1)
	v_rcp_f64_e32 v[154:155], v[152:153]
	s_waitcnt_depctr 0xfff
	v_fma_f64 v[156:157], -v[152:153], v[154:155], 1.0
	v_fma_f64 v[154:155], v[154:155], v[156:157], v[154:155]
	s_delay_alu instid0(VALU_DEP_1) | instskip(NEXT) | instid1(VALU_DEP_1)
	v_fma_f64 v[156:157], -v[152:153], v[154:155], 1.0
	v_fma_f64 v[154:155], v[154:155], v[156:157], v[154:155]
	v_div_scale_f64 v[156:157], vcc_lo, 1.0, v[118:119], 1.0
	s_delay_alu instid0(VALU_DEP_1) | instskip(NEXT) | instid1(VALU_DEP_1)
	v_mul_f64 v[158:159], v[156:157], v[154:155]
	v_fma_f64 v[152:153], -v[152:153], v[158:159], v[156:157]
	s_delay_alu instid0(VALU_DEP_1) | instskip(NEXT) | instid1(VALU_DEP_1)
	v_div_fmas_f64 v[152:153], v[152:153], v[154:155], v[158:159]
	v_div_fixup_f64 v[158:159], v[152:153], v[118:119], 1.0
                                        ; implicit-def: $vgpr152_vgpr153
	s_delay_alu instid0(VALU_DEP_1)
	v_mul_f64 v[116:117], v[116:117], v[158:159]
	v_xor_b32_e32 v159, 0x80000000, v159
.LBB57_86:
	s_and_not1_saveexec_b32 s3, s3
	s_cbranch_execz .LBB57_88
; %bb.87:
	v_div_scale_f64 v[116:117], null, v[152:153], v[152:153], v[154:155]
	v_div_scale_f64 v[158:159], vcc_lo, v[154:155], v[152:153], v[154:155]
	s_delay_alu instid0(VALU_DEP_2) | instskip(SKIP_2) | instid1(VALU_DEP_1)
	v_rcp_f64_e32 v[118:119], v[116:117]
	s_waitcnt_depctr 0xfff
	v_fma_f64 v[156:157], -v[116:117], v[118:119], 1.0
	v_fma_f64 v[118:119], v[118:119], v[156:157], v[118:119]
	s_delay_alu instid0(VALU_DEP_1) | instskip(NEXT) | instid1(VALU_DEP_1)
	v_fma_f64 v[156:157], -v[116:117], v[118:119], 1.0
	v_fma_f64 v[118:119], v[118:119], v[156:157], v[118:119]
	s_delay_alu instid0(VALU_DEP_1) | instskip(NEXT) | instid1(VALU_DEP_1)
	v_mul_f64 v[156:157], v[158:159], v[118:119]
	v_fma_f64 v[116:117], -v[116:117], v[156:157], v[158:159]
	s_delay_alu instid0(VALU_DEP_1) | instskip(NEXT) | instid1(VALU_DEP_1)
	v_div_fmas_f64 v[116:117], v[116:117], v[118:119], v[156:157]
	v_div_fixup_f64 v[118:119], v[116:117], v[152:153], v[154:155]
	s_delay_alu instid0(VALU_DEP_1) | instskip(NEXT) | instid1(VALU_DEP_1)
	v_fma_f64 v[116:117], v[154:155], v[118:119], v[152:153]
	v_div_scale_f64 v[152:153], null, v[116:117], v[116:117], 1.0
	s_delay_alu instid0(VALU_DEP_1) | instskip(SKIP_2) | instid1(VALU_DEP_1)
	v_rcp_f64_e32 v[154:155], v[152:153]
	s_waitcnt_depctr 0xfff
	v_fma_f64 v[156:157], -v[152:153], v[154:155], 1.0
	v_fma_f64 v[154:155], v[154:155], v[156:157], v[154:155]
	s_delay_alu instid0(VALU_DEP_1) | instskip(NEXT) | instid1(VALU_DEP_1)
	v_fma_f64 v[156:157], -v[152:153], v[154:155], 1.0
	v_fma_f64 v[154:155], v[154:155], v[156:157], v[154:155]
	v_div_scale_f64 v[156:157], vcc_lo, 1.0, v[116:117], 1.0
	s_delay_alu instid0(VALU_DEP_1) | instskip(NEXT) | instid1(VALU_DEP_1)
	v_mul_f64 v[158:159], v[156:157], v[154:155]
	v_fma_f64 v[152:153], -v[152:153], v[158:159], v[156:157]
	s_delay_alu instid0(VALU_DEP_1) | instskip(NEXT) | instid1(VALU_DEP_1)
	v_div_fmas_f64 v[152:153], v[152:153], v[154:155], v[158:159]
	v_div_fixup_f64 v[116:117], v[152:153], v[116:117], 1.0
	s_delay_alu instid0(VALU_DEP_1)
	v_mul_f64 v[158:159], v[118:119], -v[116:117]
.LBB57_88:
	s_or_b32 exec_lo, exec_lo, s3
	ds_store_2addr_b64 v245, v[116:117], v[158:159] offset1:1
.LBB57_89:
	s_or_b32 exec_lo, exec_lo, s4
	s_waitcnt lgkmcnt(0)
	s_barrier
	buffer_gl0_inv
	ds_load_2addr_b64 v[152:155], v245 offset1:1
	s_mov_b32 s3, exec_lo
	v_cmpx_lt_u32_e32 9, v244
	s_cbranch_execz .LBB57_91
; %bb.90:
	s_waitcnt lgkmcnt(0)
	v_mul_f64 v[116:117], v[154:155], v[78:79]
	v_mul_f64 v[78:79], v[152:153], v[78:79]
	s_delay_alu instid0(VALU_DEP_2) | instskip(NEXT) | instid1(VALU_DEP_2)
	v_fma_f64 v[156:157], v[152:153], v[76:77], -v[116:117]
	v_fma_f64 v[78:79], v[154:155], v[76:77], v[78:79]
	ds_load_2addr_b64 v[116:119], v246 offset0:20 offset1:21
	s_waitcnt lgkmcnt(0)
	v_mul_f64 v[76:77], v[118:119], v[78:79]
	s_delay_alu instid0(VALU_DEP_1) | instskip(SKIP_1) | instid1(VALU_DEP_2)
	v_fma_f64 v[76:77], v[116:117], v[156:157], -v[76:77]
	v_mul_f64 v[116:117], v[116:117], v[78:79]
	v_add_f64 v[72:73], v[72:73], -v[76:77]
	s_delay_alu instid0(VALU_DEP_2) | instskip(NEXT) | instid1(VALU_DEP_1)
	v_fma_f64 v[116:117], v[118:119], v[156:157], v[116:117]
	v_add_f64 v[74:75], v[74:75], -v[116:117]
	ds_load_2addr_b64 v[116:119], v246 offset0:22 offset1:23
	s_waitcnt lgkmcnt(0)
	v_mul_f64 v[76:77], v[118:119], v[78:79]
	s_delay_alu instid0(VALU_DEP_1) | instskip(SKIP_1) | instid1(VALU_DEP_2)
	v_fma_f64 v[76:77], v[116:117], v[156:157], -v[76:77]
	v_mul_f64 v[116:117], v[116:117], v[78:79]
	v_add_f64 v[68:69], v[68:69], -v[76:77]
	s_delay_alu instid0(VALU_DEP_2) | instskip(NEXT) | instid1(VALU_DEP_1)
	v_fma_f64 v[116:117], v[118:119], v[156:157], v[116:117]
	v_add_f64 v[70:71], v[70:71], -v[116:117]
	;; [unrolled: 10-line block ×18, first 2 shown]
	ds_load_2addr_b64 v[116:119], v246 offset0:56 offset1:57
	s_waitcnt lgkmcnt(0)
	v_mul_f64 v[76:77], v[118:119], v[78:79]
	s_delay_alu instid0(VALU_DEP_1) | instskip(SKIP_1) | instid1(VALU_DEP_2)
	v_fma_f64 v[76:77], v[116:117], v[156:157], -v[76:77]
	v_mul_f64 v[116:117], v[116:117], v[78:79]
	v_add_f64 v[0:1], v[0:1], -v[76:77]
	s_delay_alu instid0(VALU_DEP_2) | instskip(SKIP_1) | instid1(VALU_DEP_2)
	v_fma_f64 v[116:117], v[118:119], v[156:157], v[116:117]
	v_dual_mov_b32 v76, v156 :: v_dual_mov_b32 v77, v157
	v_add_f64 v[2:3], v[2:3], -v[116:117]
.LBB57_91:
	s_or_b32 exec_lo, exec_lo, s3
	s_delay_alu instid0(SALU_CYCLE_1)
	s_mov_b32 s4, exec_lo
	s_waitcnt lgkmcnt(0)
	s_barrier
	buffer_gl0_inv
	v_cmpx_eq_u32_e32 10, v244
	s_cbranch_execz .LBB57_98
; %bb.92:
	ds_store_2addr_b64 v245, v[72:73], v[74:75] offset1:1
	ds_store_2addr_b64 v246, v[68:69], v[70:71] offset0:22 offset1:23
	ds_store_2addr_b64 v246, v[64:65], v[66:67] offset0:24 offset1:25
	;; [unrolled: 1-line block ×18, first 2 shown]
	ds_load_2addr_b64 v[156:159], v245 offset1:1
	s_waitcnt lgkmcnt(0)
	v_cmp_neq_f64_e32 vcc_lo, 0, v[156:157]
	v_cmp_neq_f64_e64 s3, 0, v[158:159]
	s_delay_alu instid0(VALU_DEP_1) | instskip(NEXT) | instid1(SALU_CYCLE_1)
	s_or_b32 s3, vcc_lo, s3
	s_and_b32 exec_lo, exec_lo, s3
	s_cbranch_execz .LBB57_98
; %bb.93:
	v_cmp_gt_f64_e32 vcc_lo, 0, v[156:157]
	v_cmp_gt_f64_e64 s3, 0, v[158:159]
	v_xor_b32_e32 v116, 0x80000000, v157
	v_xor_b32_e32 v118, 0x80000000, v159
	s_delay_alu instid0(VALU_DEP_2) | instskip(NEXT) | instid1(VALU_DEP_2)
	v_cndmask_b32_e32 v117, v157, v116, vcc_lo
	v_cndmask_b32_e64 v119, v159, v118, s3
	v_cndmask_b32_e32 v116, v156, v156, vcc_lo
	v_cndmask_b32_e64 v118, v158, v158, s3
	s_delay_alu instid0(VALU_DEP_1) | instskip(SKIP_1) | instid1(SALU_CYCLE_1)
	v_cmp_ngt_f64_e32 vcc_lo, v[116:117], v[118:119]
                                        ; implicit-def: $vgpr116_vgpr117
	s_and_saveexec_b32 s3, vcc_lo
	s_xor_b32 s3, exec_lo, s3
                                        ; implicit-def: $vgpr160_vgpr161_vgpr162_vgpr163
	s_cbranch_execz .LBB57_95
; %bb.94:
	v_div_scale_f64 v[116:117], null, v[158:159], v[158:159], v[156:157]
	v_div_scale_f64 v[162:163], vcc_lo, v[156:157], v[158:159], v[156:157]
	s_delay_alu instid0(VALU_DEP_2) | instskip(SKIP_2) | instid1(VALU_DEP_1)
	v_rcp_f64_e32 v[118:119], v[116:117]
	s_waitcnt_depctr 0xfff
	v_fma_f64 v[160:161], -v[116:117], v[118:119], 1.0
	v_fma_f64 v[118:119], v[118:119], v[160:161], v[118:119]
	s_delay_alu instid0(VALU_DEP_1) | instskip(NEXT) | instid1(VALU_DEP_1)
	v_fma_f64 v[160:161], -v[116:117], v[118:119], 1.0
	v_fma_f64 v[118:119], v[118:119], v[160:161], v[118:119]
	s_delay_alu instid0(VALU_DEP_1) | instskip(NEXT) | instid1(VALU_DEP_1)
	v_mul_f64 v[160:161], v[162:163], v[118:119]
	v_fma_f64 v[116:117], -v[116:117], v[160:161], v[162:163]
	s_delay_alu instid0(VALU_DEP_1) | instskip(NEXT) | instid1(VALU_DEP_1)
	v_div_fmas_f64 v[116:117], v[116:117], v[118:119], v[160:161]
	v_div_fixup_f64 v[116:117], v[116:117], v[158:159], v[156:157]
	s_delay_alu instid0(VALU_DEP_1) | instskip(NEXT) | instid1(VALU_DEP_1)
	v_fma_f64 v[118:119], v[156:157], v[116:117], v[158:159]
	v_div_scale_f64 v[156:157], null, v[118:119], v[118:119], 1.0
	s_delay_alu instid0(VALU_DEP_1) | instskip(SKIP_2) | instid1(VALU_DEP_1)
	v_rcp_f64_e32 v[158:159], v[156:157]
	s_waitcnt_depctr 0xfff
	v_fma_f64 v[160:161], -v[156:157], v[158:159], 1.0
	v_fma_f64 v[158:159], v[158:159], v[160:161], v[158:159]
	s_delay_alu instid0(VALU_DEP_1) | instskip(NEXT) | instid1(VALU_DEP_1)
	v_fma_f64 v[160:161], -v[156:157], v[158:159], 1.0
	v_fma_f64 v[158:159], v[158:159], v[160:161], v[158:159]
	v_div_scale_f64 v[160:161], vcc_lo, 1.0, v[118:119], 1.0
	s_delay_alu instid0(VALU_DEP_1) | instskip(NEXT) | instid1(VALU_DEP_1)
	v_mul_f64 v[162:163], v[160:161], v[158:159]
	v_fma_f64 v[156:157], -v[156:157], v[162:163], v[160:161]
	s_delay_alu instid0(VALU_DEP_1) | instskip(NEXT) | instid1(VALU_DEP_1)
	v_div_fmas_f64 v[156:157], v[156:157], v[158:159], v[162:163]
	v_div_fixup_f64 v[162:163], v[156:157], v[118:119], 1.0
                                        ; implicit-def: $vgpr156_vgpr157
	s_delay_alu instid0(VALU_DEP_1)
	v_mul_f64 v[116:117], v[116:117], v[162:163]
	v_xor_b32_e32 v163, 0x80000000, v163
.LBB57_95:
	s_and_not1_saveexec_b32 s3, s3
	s_cbranch_execz .LBB57_97
; %bb.96:
	v_div_scale_f64 v[116:117], null, v[156:157], v[156:157], v[158:159]
	v_div_scale_f64 v[162:163], vcc_lo, v[158:159], v[156:157], v[158:159]
	s_delay_alu instid0(VALU_DEP_2) | instskip(SKIP_2) | instid1(VALU_DEP_1)
	v_rcp_f64_e32 v[118:119], v[116:117]
	s_waitcnt_depctr 0xfff
	v_fma_f64 v[160:161], -v[116:117], v[118:119], 1.0
	v_fma_f64 v[118:119], v[118:119], v[160:161], v[118:119]
	s_delay_alu instid0(VALU_DEP_1) | instskip(NEXT) | instid1(VALU_DEP_1)
	v_fma_f64 v[160:161], -v[116:117], v[118:119], 1.0
	v_fma_f64 v[118:119], v[118:119], v[160:161], v[118:119]
	s_delay_alu instid0(VALU_DEP_1) | instskip(NEXT) | instid1(VALU_DEP_1)
	v_mul_f64 v[160:161], v[162:163], v[118:119]
	v_fma_f64 v[116:117], -v[116:117], v[160:161], v[162:163]
	s_delay_alu instid0(VALU_DEP_1) | instskip(NEXT) | instid1(VALU_DEP_1)
	v_div_fmas_f64 v[116:117], v[116:117], v[118:119], v[160:161]
	v_div_fixup_f64 v[118:119], v[116:117], v[156:157], v[158:159]
	s_delay_alu instid0(VALU_DEP_1) | instskip(NEXT) | instid1(VALU_DEP_1)
	v_fma_f64 v[116:117], v[158:159], v[118:119], v[156:157]
	v_div_scale_f64 v[156:157], null, v[116:117], v[116:117], 1.0
	s_delay_alu instid0(VALU_DEP_1) | instskip(SKIP_2) | instid1(VALU_DEP_1)
	v_rcp_f64_e32 v[158:159], v[156:157]
	s_waitcnt_depctr 0xfff
	v_fma_f64 v[160:161], -v[156:157], v[158:159], 1.0
	v_fma_f64 v[158:159], v[158:159], v[160:161], v[158:159]
	s_delay_alu instid0(VALU_DEP_1) | instskip(NEXT) | instid1(VALU_DEP_1)
	v_fma_f64 v[160:161], -v[156:157], v[158:159], 1.0
	v_fma_f64 v[158:159], v[158:159], v[160:161], v[158:159]
	v_div_scale_f64 v[160:161], vcc_lo, 1.0, v[116:117], 1.0
	s_delay_alu instid0(VALU_DEP_1) | instskip(NEXT) | instid1(VALU_DEP_1)
	v_mul_f64 v[162:163], v[160:161], v[158:159]
	v_fma_f64 v[156:157], -v[156:157], v[162:163], v[160:161]
	s_delay_alu instid0(VALU_DEP_1) | instskip(NEXT) | instid1(VALU_DEP_1)
	v_div_fmas_f64 v[156:157], v[156:157], v[158:159], v[162:163]
	v_div_fixup_f64 v[116:117], v[156:157], v[116:117], 1.0
	s_delay_alu instid0(VALU_DEP_1)
	v_mul_f64 v[162:163], v[118:119], -v[116:117]
.LBB57_97:
	s_or_b32 exec_lo, exec_lo, s3
	ds_store_2addr_b64 v245, v[116:117], v[162:163] offset1:1
.LBB57_98:
	s_or_b32 exec_lo, exec_lo, s4
	s_waitcnt lgkmcnt(0)
	s_barrier
	buffer_gl0_inv
	ds_load_2addr_b64 v[156:159], v245 offset1:1
	s_mov_b32 s3, exec_lo
	v_cmpx_lt_u32_e32 10, v244
	s_cbranch_execz .LBB57_100
; %bb.99:
	s_waitcnt lgkmcnt(0)
	v_mul_f64 v[116:117], v[158:159], v[74:75]
	v_mul_f64 v[74:75], v[156:157], v[74:75]
	s_delay_alu instid0(VALU_DEP_2) | instskip(NEXT) | instid1(VALU_DEP_2)
	v_fma_f64 v[160:161], v[156:157], v[72:73], -v[116:117]
	v_fma_f64 v[74:75], v[158:159], v[72:73], v[74:75]
	ds_load_2addr_b64 v[116:119], v246 offset0:22 offset1:23
	s_waitcnt lgkmcnt(0)
	v_mul_f64 v[72:73], v[118:119], v[74:75]
	s_delay_alu instid0(VALU_DEP_1) | instskip(SKIP_1) | instid1(VALU_DEP_2)
	v_fma_f64 v[72:73], v[116:117], v[160:161], -v[72:73]
	v_mul_f64 v[116:117], v[116:117], v[74:75]
	v_add_f64 v[68:69], v[68:69], -v[72:73]
	s_delay_alu instid0(VALU_DEP_2) | instskip(NEXT) | instid1(VALU_DEP_1)
	v_fma_f64 v[116:117], v[118:119], v[160:161], v[116:117]
	v_add_f64 v[70:71], v[70:71], -v[116:117]
	ds_load_2addr_b64 v[116:119], v246 offset0:24 offset1:25
	s_waitcnt lgkmcnt(0)
	v_mul_f64 v[72:73], v[118:119], v[74:75]
	s_delay_alu instid0(VALU_DEP_1) | instskip(SKIP_1) | instid1(VALU_DEP_2)
	v_fma_f64 v[72:73], v[116:117], v[160:161], -v[72:73]
	v_mul_f64 v[116:117], v[116:117], v[74:75]
	v_add_f64 v[64:65], v[64:65], -v[72:73]
	s_delay_alu instid0(VALU_DEP_2) | instskip(NEXT) | instid1(VALU_DEP_1)
	v_fma_f64 v[116:117], v[118:119], v[160:161], v[116:117]
	v_add_f64 v[66:67], v[66:67], -v[116:117]
	;; [unrolled: 10-line block ×17, first 2 shown]
	ds_load_2addr_b64 v[116:119], v246 offset0:56 offset1:57
	s_waitcnt lgkmcnt(0)
	v_mul_f64 v[72:73], v[118:119], v[74:75]
	s_delay_alu instid0(VALU_DEP_1) | instskip(SKIP_1) | instid1(VALU_DEP_2)
	v_fma_f64 v[72:73], v[116:117], v[160:161], -v[72:73]
	v_mul_f64 v[116:117], v[116:117], v[74:75]
	v_add_f64 v[0:1], v[0:1], -v[72:73]
	s_delay_alu instid0(VALU_DEP_2) | instskip(SKIP_1) | instid1(VALU_DEP_2)
	v_fma_f64 v[116:117], v[118:119], v[160:161], v[116:117]
	v_dual_mov_b32 v72, v160 :: v_dual_mov_b32 v73, v161
	v_add_f64 v[2:3], v[2:3], -v[116:117]
.LBB57_100:
	s_or_b32 exec_lo, exec_lo, s3
	s_delay_alu instid0(SALU_CYCLE_1)
	s_mov_b32 s4, exec_lo
	s_waitcnt lgkmcnt(0)
	s_barrier
	buffer_gl0_inv
	v_cmpx_eq_u32_e32 11, v244
	s_cbranch_execz .LBB57_107
; %bb.101:
	ds_store_2addr_b64 v245, v[68:69], v[70:71] offset1:1
	ds_store_2addr_b64 v246, v[64:65], v[66:67] offset0:24 offset1:25
	ds_store_2addr_b64 v246, v[60:61], v[62:63] offset0:26 offset1:27
	;; [unrolled: 1-line block ×17, first 2 shown]
	ds_load_2addr_b64 v[160:163], v245 offset1:1
	s_waitcnt lgkmcnt(0)
	v_cmp_neq_f64_e32 vcc_lo, 0, v[160:161]
	v_cmp_neq_f64_e64 s3, 0, v[162:163]
	s_delay_alu instid0(VALU_DEP_1) | instskip(NEXT) | instid1(SALU_CYCLE_1)
	s_or_b32 s3, vcc_lo, s3
	s_and_b32 exec_lo, exec_lo, s3
	s_cbranch_execz .LBB57_107
; %bb.102:
	v_cmp_gt_f64_e32 vcc_lo, 0, v[160:161]
	v_cmp_gt_f64_e64 s3, 0, v[162:163]
	v_xor_b32_e32 v116, 0x80000000, v161
	v_xor_b32_e32 v118, 0x80000000, v163
	s_delay_alu instid0(VALU_DEP_2) | instskip(NEXT) | instid1(VALU_DEP_2)
	v_cndmask_b32_e32 v117, v161, v116, vcc_lo
	v_cndmask_b32_e64 v119, v163, v118, s3
	v_cndmask_b32_e32 v116, v160, v160, vcc_lo
	v_cndmask_b32_e64 v118, v162, v162, s3
	s_delay_alu instid0(VALU_DEP_1) | instskip(SKIP_1) | instid1(SALU_CYCLE_1)
	v_cmp_ngt_f64_e32 vcc_lo, v[116:117], v[118:119]
                                        ; implicit-def: $vgpr116_vgpr117
	s_and_saveexec_b32 s3, vcc_lo
	s_xor_b32 s3, exec_lo, s3
                                        ; implicit-def: $vgpr164_vgpr165_vgpr166_vgpr167
	s_cbranch_execz .LBB57_104
; %bb.103:
	v_div_scale_f64 v[116:117], null, v[162:163], v[162:163], v[160:161]
	v_div_scale_f64 v[166:167], vcc_lo, v[160:161], v[162:163], v[160:161]
	s_delay_alu instid0(VALU_DEP_2) | instskip(SKIP_2) | instid1(VALU_DEP_1)
	v_rcp_f64_e32 v[118:119], v[116:117]
	s_waitcnt_depctr 0xfff
	v_fma_f64 v[164:165], -v[116:117], v[118:119], 1.0
	v_fma_f64 v[118:119], v[118:119], v[164:165], v[118:119]
	s_delay_alu instid0(VALU_DEP_1) | instskip(NEXT) | instid1(VALU_DEP_1)
	v_fma_f64 v[164:165], -v[116:117], v[118:119], 1.0
	v_fma_f64 v[118:119], v[118:119], v[164:165], v[118:119]
	s_delay_alu instid0(VALU_DEP_1) | instskip(NEXT) | instid1(VALU_DEP_1)
	v_mul_f64 v[164:165], v[166:167], v[118:119]
	v_fma_f64 v[116:117], -v[116:117], v[164:165], v[166:167]
	s_delay_alu instid0(VALU_DEP_1) | instskip(NEXT) | instid1(VALU_DEP_1)
	v_div_fmas_f64 v[116:117], v[116:117], v[118:119], v[164:165]
	v_div_fixup_f64 v[116:117], v[116:117], v[162:163], v[160:161]
	s_delay_alu instid0(VALU_DEP_1) | instskip(NEXT) | instid1(VALU_DEP_1)
	v_fma_f64 v[118:119], v[160:161], v[116:117], v[162:163]
	v_div_scale_f64 v[160:161], null, v[118:119], v[118:119], 1.0
	s_delay_alu instid0(VALU_DEP_1) | instskip(SKIP_2) | instid1(VALU_DEP_1)
	v_rcp_f64_e32 v[162:163], v[160:161]
	s_waitcnt_depctr 0xfff
	v_fma_f64 v[164:165], -v[160:161], v[162:163], 1.0
	v_fma_f64 v[162:163], v[162:163], v[164:165], v[162:163]
	s_delay_alu instid0(VALU_DEP_1) | instskip(NEXT) | instid1(VALU_DEP_1)
	v_fma_f64 v[164:165], -v[160:161], v[162:163], 1.0
	v_fma_f64 v[162:163], v[162:163], v[164:165], v[162:163]
	v_div_scale_f64 v[164:165], vcc_lo, 1.0, v[118:119], 1.0
	s_delay_alu instid0(VALU_DEP_1) | instskip(NEXT) | instid1(VALU_DEP_1)
	v_mul_f64 v[166:167], v[164:165], v[162:163]
	v_fma_f64 v[160:161], -v[160:161], v[166:167], v[164:165]
	s_delay_alu instid0(VALU_DEP_1) | instskip(NEXT) | instid1(VALU_DEP_1)
	v_div_fmas_f64 v[160:161], v[160:161], v[162:163], v[166:167]
	v_div_fixup_f64 v[166:167], v[160:161], v[118:119], 1.0
                                        ; implicit-def: $vgpr160_vgpr161
	s_delay_alu instid0(VALU_DEP_1)
	v_mul_f64 v[116:117], v[116:117], v[166:167]
	v_xor_b32_e32 v167, 0x80000000, v167
.LBB57_104:
	s_and_not1_saveexec_b32 s3, s3
	s_cbranch_execz .LBB57_106
; %bb.105:
	v_div_scale_f64 v[116:117], null, v[160:161], v[160:161], v[162:163]
	v_div_scale_f64 v[166:167], vcc_lo, v[162:163], v[160:161], v[162:163]
	s_delay_alu instid0(VALU_DEP_2) | instskip(SKIP_2) | instid1(VALU_DEP_1)
	v_rcp_f64_e32 v[118:119], v[116:117]
	s_waitcnt_depctr 0xfff
	v_fma_f64 v[164:165], -v[116:117], v[118:119], 1.0
	v_fma_f64 v[118:119], v[118:119], v[164:165], v[118:119]
	s_delay_alu instid0(VALU_DEP_1) | instskip(NEXT) | instid1(VALU_DEP_1)
	v_fma_f64 v[164:165], -v[116:117], v[118:119], 1.0
	v_fma_f64 v[118:119], v[118:119], v[164:165], v[118:119]
	s_delay_alu instid0(VALU_DEP_1) | instskip(NEXT) | instid1(VALU_DEP_1)
	v_mul_f64 v[164:165], v[166:167], v[118:119]
	v_fma_f64 v[116:117], -v[116:117], v[164:165], v[166:167]
	s_delay_alu instid0(VALU_DEP_1) | instskip(NEXT) | instid1(VALU_DEP_1)
	v_div_fmas_f64 v[116:117], v[116:117], v[118:119], v[164:165]
	v_div_fixup_f64 v[118:119], v[116:117], v[160:161], v[162:163]
	s_delay_alu instid0(VALU_DEP_1) | instskip(NEXT) | instid1(VALU_DEP_1)
	v_fma_f64 v[116:117], v[162:163], v[118:119], v[160:161]
	v_div_scale_f64 v[160:161], null, v[116:117], v[116:117], 1.0
	s_delay_alu instid0(VALU_DEP_1) | instskip(SKIP_2) | instid1(VALU_DEP_1)
	v_rcp_f64_e32 v[162:163], v[160:161]
	s_waitcnt_depctr 0xfff
	v_fma_f64 v[164:165], -v[160:161], v[162:163], 1.0
	v_fma_f64 v[162:163], v[162:163], v[164:165], v[162:163]
	s_delay_alu instid0(VALU_DEP_1) | instskip(NEXT) | instid1(VALU_DEP_1)
	v_fma_f64 v[164:165], -v[160:161], v[162:163], 1.0
	v_fma_f64 v[162:163], v[162:163], v[164:165], v[162:163]
	v_div_scale_f64 v[164:165], vcc_lo, 1.0, v[116:117], 1.0
	s_delay_alu instid0(VALU_DEP_1) | instskip(NEXT) | instid1(VALU_DEP_1)
	v_mul_f64 v[166:167], v[164:165], v[162:163]
	v_fma_f64 v[160:161], -v[160:161], v[166:167], v[164:165]
	s_delay_alu instid0(VALU_DEP_1) | instskip(NEXT) | instid1(VALU_DEP_1)
	v_div_fmas_f64 v[160:161], v[160:161], v[162:163], v[166:167]
	v_div_fixup_f64 v[116:117], v[160:161], v[116:117], 1.0
	s_delay_alu instid0(VALU_DEP_1)
	v_mul_f64 v[166:167], v[118:119], -v[116:117]
.LBB57_106:
	s_or_b32 exec_lo, exec_lo, s3
	ds_store_2addr_b64 v245, v[116:117], v[166:167] offset1:1
.LBB57_107:
	s_or_b32 exec_lo, exec_lo, s4
	s_waitcnt lgkmcnt(0)
	s_barrier
	buffer_gl0_inv
	ds_load_2addr_b64 v[160:163], v245 offset1:1
	s_mov_b32 s3, exec_lo
	v_cmpx_lt_u32_e32 11, v244
	s_cbranch_execz .LBB57_109
; %bb.108:
	s_waitcnt lgkmcnt(0)
	v_mul_f64 v[116:117], v[162:163], v[70:71]
	v_mul_f64 v[70:71], v[160:161], v[70:71]
	s_delay_alu instid0(VALU_DEP_2) | instskip(NEXT) | instid1(VALU_DEP_2)
	v_fma_f64 v[164:165], v[160:161], v[68:69], -v[116:117]
	v_fma_f64 v[70:71], v[162:163], v[68:69], v[70:71]
	ds_load_2addr_b64 v[116:119], v246 offset0:24 offset1:25
	s_waitcnt lgkmcnt(0)
	v_mul_f64 v[68:69], v[118:119], v[70:71]
	s_delay_alu instid0(VALU_DEP_1) | instskip(SKIP_1) | instid1(VALU_DEP_2)
	v_fma_f64 v[68:69], v[116:117], v[164:165], -v[68:69]
	v_mul_f64 v[116:117], v[116:117], v[70:71]
	v_add_f64 v[64:65], v[64:65], -v[68:69]
	s_delay_alu instid0(VALU_DEP_2) | instskip(NEXT) | instid1(VALU_DEP_1)
	v_fma_f64 v[116:117], v[118:119], v[164:165], v[116:117]
	v_add_f64 v[66:67], v[66:67], -v[116:117]
	ds_load_2addr_b64 v[116:119], v246 offset0:26 offset1:27
	s_waitcnt lgkmcnt(0)
	v_mul_f64 v[68:69], v[118:119], v[70:71]
	s_delay_alu instid0(VALU_DEP_1) | instskip(SKIP_1) | instid1(VALU_DEP_2)
	v_fma_f64 v[68:69], v[116:117], v[164:165], -v[68:69]
	v_mul_f64 v[116:117], v[116:117], v[70:71]
	v_add_f64 v[60:61], v[60:61], -v[68:69]
	s_delay_alu instid0(VALU_DEP_2) | instskip(NEXT) | instid1(VALU_DEP_1)
	v_fma_f64 v[116:117], v[118:119], v[164:165], v[116:117]
	v_add_f64 v[62:63], v[62:63], -v[116:117]
	ds_load_2addr_b64 v[116:119], v246 offset0:28 offset1:29
	s_waitcnt lgkmcnt(0)
	v_mul_f64 v[68:69], v[118:119], v[70:71]
	s_delay_alu instid0(VALU_DEP_1) | instskip(SKIP_1) | instid1(VALU_DEP_2)
	v_fma_f64 v[68:69], v[116:117], v[164:165], -v[68:69]
	v_mul_f64 v[116:117], v[116:117], v[70:71]
	v_add_f64 v[56:57], v[56:57], -v[68:69]
	s_delay_alu instid0(VALU_DEP_2) | instskip(NEXT) | instid1(VALU_DEP_1)
	v_fma_f64 v[116:117], v[118:119], v[164:165], v[116:117]
	v_add_f64 v[58:59], v[58:59], -v[116:117]
	ds_load_2addr_b64 v[116:119], v246 offset0:30 offset1:31
	s_waitcnt lgkmcnt(0)
	v_mul_f64 v[68:69], v[118:119], v[70:71]
	s_delay_alu instid0(VALU_DEP_1) | instskip(SKIP_1) | instid1(VALU_DEP_2)
	v_fma_f64 v[68:69], v[116:117], v[164:165], -v[68:69]
	v_mul_f64 v[116:117], v[116:117], v[70:71]
	v_add_f64 v[52:53], v[52:53], -v[68:69]
	s_delay_alu instid0(VALU_DEP_2) | instskip(NEXT) | instid1(VALU_DEP_1)
	v_fma_f64 v[116:117], v[118:119], v[164:165], v[116:117]
	v_add_f64 v[54:55], v[54:55], -v[116:117]
	ds_load_2addr_b64 v[116:119], v246 offset0:32 offset1:33
	s_waitcnt lgkmcnt(0)
	v_mul_f64 v[68:69], v[118:119], v[70:71]
	s_delay_alu instid0(VALU_DEP_1) | instskip(SKIP_1) | instid1(VALU_DEP_2)
	v_fma_f64 v[68:69], v[116:117], v[164:165], -v[68:69]
	v_mul_f64 v[116:117], v[116:117], v[70:71]
	v_add_f64 v[48:49], v[48:49], -v[68:69]
	s_delay_alu instid0(VALU_DEP_2) | instskip(NEXT) | instid1(VALU_DEP_1)
	v_fma_f64 v[116:117], v[118:119], v[164:165], v[116:117]
	v_add_f64 v[50:51], v[50:51], -v[116:117]
	ds_load_2addr_b64 v[116:119], v246 offset0:34 offset1:35
	s_waitcnt lgkmcnt(0)
	v_mul_f64 v[68:69], v[118:119], v[70:71]
	s_delay_alu instid0(VALU_DEP_1) | instskip(SKIP_1) | instid1(VALU_DEP_2)
	v_fma_f64 v[68:69], v[116:117], v[164:165], -v[68:69]
	v_mul_f64 v[116:117], v[116:117], v[70:71]
	v_add_f64 v[44:45], v[44:45], -v[68:69]
	s_delay_alu instid0(VALU_DEP_2) | instskip(NEXT) | instid1(VALU_DEP_1)
	v_fma_f64 v[116:117], v[118:119], v[164:165], v[116:117]
	v_add_f64 v[46:47], v[46:47], -v[116:117]
	ds_load_2addr_b64 v[116:119], v246 offset0:36 offset1:37
	s_waitcnt lgkmcnt(0)
	v_mul_f64 v[68:69], v[118:119], v[70:71]
	s_delay_alu instid0(VALU_DEP_1) | instskip(SKIP_1) | instid1(VALU_DEP_2)
	v_fma_f64 v[68:69], v[116:117], v[164:165], -v[68:69]
	v_mul_f64 v[116:117], v[116:117], v[70:71]
	v_add_f64 v[40:41], v[40:41], -v[68:69]
	s_delay_alu instid0(VALU_DEP_2) | instskip(NEXT) | instid1(VALU_DEP_1)
	v_fma_f64 v[116:117], v[118:119], v[164:165], v[116:117]
	v_add_f64 v[42:43], v[42:43], -v[116:117]
	ds_load_2addr_b64 v[116:119], v246 offset0:38 offset1:39
	s_waitcnt lgkmcnt(0)
	v_mul_f64 v[68:69], v[118:119], v[70:71]
	s_delay_alu instid0(VALU_DEP_1) | instskip(SKIP_1) | instid1(VALU_DEP_2)
	v_fma_f64 v[68:69], v[116:117], v[164:165], -v[68:69]
	v_mul_f64 v[116:117], v[116:117], v[70:71]
	v_add_f64 v[36:37], v[36:37], -v[68:69]
	s_delay_alu instid0(VALU_DEP_2) | instskip(NEXT) | instid1(VALU_DEP_1)
	v_fma_f64 v[116:117], v[118:119], v[164:165], v[116:117]
	v_add_f64 v[38:39], v[38:39], -v[116:117]
	ds_load_2addr_b64 v[116:119], v246 offset0:40 offset1:41
	s_waitcnt lgkmcnt(0)
	v_mul_f64 v[68:69], v[118:119], v[70:71]
	s_delay_alu instid0(VALU_DEP_1) | instskip(SKIP_1) | instid1(VALU_DEP_2)
	v_fma_f64 v[68:69], v[116:117], v[164:165], -v[68:69]
	v_mul_f64 v[116:117], v[116:117], v[70:71]
	v_add_f64 v[32:33], v[32:33], -v[68:69]
	s_delay_alu instid0(VALU_DEP_2) | instskip(NEXT) | instid1(VALU_DEP_1)
	v_fma_f64 v[116:117], v[118:119], v[164:165], v[116:117]
	v_add_f64 v[34:35], v[34:35], -v[116:117]
	ds_load_2addr_b64 v[116:119], v246 offset0:42 offset1:43
	s_waitcnt lgkmcnt(0)
	v_mul_f64 v[68:69], v[118:119], v[70:71]
	s_delay_alu instid0(VALU_DEP_1) | instskip(SKIP_1) | instid1(VALU_DEP_2)
	v_fma_f64 v[68:69], v[116:117], v[164:165], -v[68:69]
	v_mul_f64 v[116:117], v[116:117], v[70:71]
	v_add_f64 v[28:29], v[28:29], -v[68:69]
	s_delay_alu instid0(VALU_DEP_2) | instskip(NEXT) | instid1(VALU_DEP_1)
	v_fma_f64 v[116:117], v[118:119], v[164:165], v[116:117]
	v_add_f64 v[30:31], v[30:31], -v[116:117]
	ds_load_2addr_b64 v[116:119], v246 offset0:44 offset1:45
	s_waitcnt lgkmcnt(0)
	v_mul_f64 v[68:69], v[118:119], v[70:71]
	s_delay_alu instid0(VALU_DEP_1) | instskip(SKIP_1) | instid1(VALU_DEP_2)
	v_fma_f64 v[68:69], v[116:117], v[164:165], -v[68:69]
	v_mul_f64 v[116:117], v[116:117], v[70:71]
	v_add_f64 v[24:25], v[24:25], -v[68:69]
	s_delay_alu instid0(VALU_DEP_2) | instskip(NEXT) | instid1(VALU_DEP_1)
	v_fma_f64 v[116:117], v[118:119], v[164:165], v[116:117]
	v_add_f64 v[26:27], v[26:27], -v[116:117]
	ds_load_2addr_b64 v[116:119], v246 offset0:46 offset1:47
	s_waitcnt lgkmcnt(0)
	v_mul_f64 v[68:69], v[118:119], v[70:71]
	s_delay_alu instid0(VALU_DEP_1) | instskip(SKIP_1) | instid1(VALU_DEP_2)
	v_fma_f64 v[68:69], v[116:117], v[164:165], -v[68:69]
	v_mul_f64 v[116:117], v[116:117], v[70:71]
	v_add_f64 v[20:21], v[20:21], -v[68:69]
	s_delay_alu instid0(VALU_DEP_2) | instskip(NEXT) | instid1(VALU_DEP_1)
	v_fma_f64 v[116:117], v[118:119], v[164:165], v[116:117]
	v_add_f64 v[22:23], v[22:23], -v[116:117]
	ds_load_2addr_b64 v[116:119], v246 offset0:48 offset1:49
	s_waitcnt lgkmcnt(0)
	v_mul_f64 v[68:69], v[118:119], v[70:71]
	s_delay_alu instid0(VALU_DEP_1) | instskip(SKIP_1) | instid1(VALU_DEP_2)
	v_fma_f64 v[68:69], v[116:117], v[164:165], -v[68:69]
	v_mul_f64 v[116:117], v[116:117], v[70:71]
	v_add_f64 v[16:17], v[16:17], -v[68:69]
	s_delay_alu instid0(VALU_DEP_2) | instskip(NEXT) | instid1(VALU_DEP_1)
	v_fma_f64 v[116:117], v[118:119], v[164:165], v[116:117]
	v_add_f64 v[18:19], v[18:19], -v[116:117]
	ds_load_2addr_b64 v[116:119], v246 offset0:50 offset1:51
	s_waitcnt lgkmcnt(0)
	v_mul_f64 v[68:69], v[118:119], v[70:71]
	s_delay_alu instid0(VALU_DEP_1) | instskip(SKIP_1) | instid1(VALU_DEP_2)
	v_fma_f64 v[68:69], v[116:117], v[164:165], -v[68:69]
	v_mul_f64 v[116:117], v[116:117], v[70:71]
	v_add_f64 v[12:13], v[12:13], -v[68:69]
	s_delay_alu instid0(VALU_DEP_2) | instskip(NEXT) | instid1(VALU_DEP_1)
	v_fma_f64 v[116:117], v[118:119], v[164:165], v[116:117]
	v_add_f64 v[14:15], v[14:15], -v[116:117]
	ds_load_2addr_b64 v[116:119], v246 offset0:52 offset1:53
	s_waitcnt lgkmcnt(0)
	v_mul_f64 v[68:69], v[118:119], v[70:71]
	s_delay_alu instid0(VALU_DEP_1) | instskip(SKIP_1) | instid1(VALU_DEP_2)
	v_fma_f64 v[68:69], v[116:117], v[164:165], -v[68:69]
	v_mul_f64 v[116:117], v[116:117], v[70:71]
	v_add_f64 v[8:9], v[8:9], -v[68:69]
	s_delay_alu instid0(VALU_DEP_2) | instskip(NEXT) | instid1(VALU_DEP_1)
	v_fma_f64 v[116:117], v[118:119], v[164:165], v[116:117]
	v_add_f64 v[10:11], v[10:11], -v[116:117]
	ds_load_2addr_b64 v[116:119], v246 offset0:54 offset1:55
	s_waitcnt lgkmcnt(0)
	v_mul_f64 v[68:69], v[118:119], v[70:71]
	s_delay_alu instid0(VALU_DEP_1) | instskip(SKIP_1) | instid1(VALU_DEP_2)
	v_fma_f64 v[68:69], v[116:117], v[164:165], -v[68:69]
	v_mul_f64 v[116:117], v[116:117], v[70:71]
	v_add_f64 v[4:5], v[4:5], -v[68:69]
	s_delay_alu instid0(VALU_DEP_2) | instskip(NEXT) | instid1(VALU_DEP_1)
	v_fma_f64 v[116:117], v[118:119], v[164:165], v[116:117]
	v_add_f64 v[6:7], v[6:7], -v[116:117]
	ds_load_2addr_b64 v[116:119], v246 offset0:56 offset1:57
	s_waitcnt lgkmcnt(0)
	v_mul_f64 v[68:69], v[118:119], v[70:71]
	s_delay_alu instid0(VALU_DEP_1) | instskip(SKIP_1) | instid1(VALU_DEP_2)
	v_fma_f64 v[68:69], v[116:117], v[164:165], -v[68:69]
	v_mul_f64 v[116:117], v[116:117], v[70:71]
	v_add_f64 v[0:1], v[0:1], -v[68:69]
	s_delay_alu instid0(VALU_DEP_2) | instskip(SKIP_1) | instid1(VALU_DEP_2)
	v_fma_f64 v[116:117], v[118:119], v[164:165], v[116:117]
	v_dual_mov_b32 v68, v164 :: v_dual_mov_b32 v69, v165
	v_add_f64 v[2:3], v[2:3], -v[116:117]
.LBB57_109:
	s_or_b32 exec_lo, exec_lo, s3
	s_delay_alu instid0(SALU_CYCLE_1)
	s_mov_b32 s4, exec_lo
	s_waitcnt lgkmcnt(0)
	s_barrier
	buffer_gl0_inv
	v_cmpx_eq_u32_e32 12, v244
	s_cbranch_execz .LBB57_116
; %bb.110:
	ds_store_2addr_b64 v245, v[64:65], v[66:67] offset1:1
	ds_store_2addr_b64 v246, v[60:61], v[62:63] offset0:26 offset1:27
	ds_store_2addr_b64 v246, v[56:57], v[58:59] offset0:28 offset1:29
	;; [unrolled: 1-line block ×16, first 2 shown]
	ds_load_2addr_b64 v[164:167], v245 offset1:1
	s_waitcnt lgkmcnt(0)
	v_cmp_neq_f64_e32 vcc_lo, 0, v[164:165]
	v_cmp_neq_f64_e64 s3, 0, v[166:167]
	s_delay_alu instid0(VALU_DEP_1) | instskip(NEXT) | instid1(SALU_CYCLE_1)
	s_or_b32 s3, vcc_lo, s3
	s_and_b32 exec_lo, exec_lo, s3
	s_cbranch_execz .LBB57_116
; %bb.111:
	v_cmp_gt_f64_e32 vcc_lo, 0, v[164:165]
	v_cmp_gt_f64_e64 s3, 0, v[166:167]
	v_xor_b32_e32 v116, 0x80000000, v165
	v_xor_b32_e32 v118, 0x80000000, v167
	s_delay_alu instid0(VALU_DEP_2) | instskip(NEXT) | instid1(VALU_DEP_2)
	v_cndmask_b32_e32 v117, v165, v116, vcc_lo
	v_cndmask_b32_e64 v119, v167, v118, s3
	v_cndmask_b32_e32 v116, v164, v164, vcc_lo
	v_cndmask_b32_e64 v118, v166, v166, s3
	s_delay_alu instid0(VALU_DEP_1) | instskip(SKIP_1) | instid1(SALU_CYCLE_1)
	v_cmp_ngt_f64_e32 vcc_lo, v[116:117], v[118:119]
                                        ; implicit-def: $vgpr116_vgpr117
	s_and_saveexec_b32 s3, vcc_lo
	s_xor_b32 s3, exec_lo, s3
                                        ; implicit-def: $vgpr168_vgpr169_vgpr170_vgpr171
	s_cbranch_execz .LBB57_113
; %bb.112:
	v_div_scale_f64 v[116:117], null, v[166:167], v[166:167], v[164:165]
	v_div_scale_f64 v[170:171], vcc_lo, v[164:165], v[166:167], v[164:165]
	s_delay_alu instid0(VALU_DEP_2) | instskip(SKIP_2) | instid1(VALU_DEP_1)
	v_rcp_f64_e32 v[118:119], v[116:117]
	s_waitcnt_depctr 0xfff
	v_fma_f64 v[168:169], -v[116:117], v[118:119], 1.0
	v_fma_f64 v[118:119], v[118:119], v[168:169], v[118:119]
	s_delay_alu instid0(VALU_DEP_1) | instskip(NEXT) | instid1(VALU_DEP_1)
	v_fma_f64 v[168:169], -v[116:117], v[118:119], 1.0
	v_fma_f64 v[118:119], v[118:119], v[168:169], v[118:119]
	s_delay_alu instid0(VALU_DEP_1) | instskip(NEXT) | instid1(VALU_DEP_1)
	v_mul_f64 v[168:169], v[170:171], v[118:119]
	v_fma_f64 v[116:117], -v[116:117], v[168:169], v[170:171]
	s_delay_alu instid0(VALU_DEP_1) | instskip(NEXT) | instid1(VALU_DEP_1)
	v_div_fmas_f64 v[116:117], v[116:117], v[118:119], v[168:169]
	v_div_fixup_f64 v[116:117], v[116:117], v[166:167], v[164:165]
	s_delay_alu instid0(VALU_DEP_1) | instskip(NEXT) | instid1(VALU_DEP_1)
	v_fma_f64 v[118:119], v[164:165], v[116:117], v[166:167]
	v_div_scale_f64 v[164:165], null, v[118:119], v[118:119], 1.0
	s_delay_alu instid0(VALU_DEP_1) | instskip(SKIP_2) | instid1(VALU_DEP_1)
	v_rcp_f64_e32 v[166:167], v[164:165]
	s_waitcnt_depctr 0xfff
	v_fma_f64 v[168:169], -v[164:165], v[166:167], 1.0
	v_fma_f64 v[166:167], v[166:167], v[168:169], v[166:167]
	s_delay_alu instid0(VALU_DEP_1) | instskip(NEXT) | instid1(VALU_DEP_1)
	v_fma_f64 v[168:169], -v[164:165], v[166:167], 1.0
	v_fma_f64 v[166:167], v[166:167], v[168:169], v[166:167]
	v_div_scale_f64 v[168:169], vcc_lo, 1.0, v[118:119], 1.0
	s_delay_alu instid0(VALU_DEP_1) | instskip(NEXT) | instid1(VALU_DEP_1)
	v_mul_f64 v[170:171], v[168:169], v[166:167]
	v_fma_f64 v[164:165], -v[164:165], v[170:171], v[168:169]
	s_delay_alu instid0(VALU_DEP_1) | instskip(NEXT) | instid1(VALU_DEP_1)
	v_div_fmas_f64 v[164:165], v[164:165], v[166:167], v[170:171]
	v_div_fixup_f64 v[170:171], v[164:165], v[118:119], 1.0
                                        ; implicit-def: $vgpr164_vgpr165
	s_delay_alu instid0(VALU_DEP_1)
	v_mul_f64 v[116:117], v[116:117], v[170:171]
	v_xor_b32_e32 v171, 0x80000000, v171
.LBB57_113:
	s_and_not1_saveexec_b32 s3, s3
	s_cbranch_execz .LBB57_115
; %bb.114:
	v_div_scale_f64 v[116:117], null, v[164:165], v[164:165], v[166:167]
	v_div_scale_f64 v[170:171], vcc_lo, v[166:167], v[164:165], v[166:167]
	s_delay_alu instid0(VALU_DEP_2) | instskip(SKIP_2) | instid1(VALU_DEP_1)
	v_rcp_f64_e32 v[118:119], v[116:117]
	s_waitcnt_depctr 0xfff
	v_fma_f64 v[168:169], -v[116:117], v[118:119], 1.0
	v_fma_f64 v[118:119], v[118:119], v[168:169], v[118:119]
	s_delay_alu instid0(VALU_DEP_1) | instskip(NEXT) | instid1(VALU_DEP_1)
	v_fma_f64 v[168:169], -v[116:117], v[118:119], 1.0
	v_fma_f64 v[118:119], v[118:119], v[168:169], v[118:119]
	s_delay_alu instid0(VALU_DEP_1) | instskip(NEXT) | instid1(VALU_DEP_1)
	v_mul_f64 v[168:169], v[170:171], v[118:119]
	v_fma_f64 v[116:117], -v[116:117], v[168:169], v[170:171]
	s_delay_alu instid0(VALU_DEP_1) | instskip(NEXT) | instid1(VALU_DEP_1)
	v_div_fmas_f64 v[116:117], v[116:117], v[118:119], v[168:169]
	v_div_fixup_f64 v[118:119], v[116:117], v[164:165], v[166:167]
	s_delay_alu instid0(VALU_DEP_1) | instskip(NEXT) | instid1(VALU_DEP_1)
	v_fma_f64 v[116:117], v[166:167], v[118:119], v[164:165]
	v_div_scale_f64 v[164:165], null, v[116:117], v[116:117], 1.0
	s_delay_alu instid0(VALU_DEP_1) | instskip(SKIP_2) | instid1(VALU_DEP_1)
	v_rcp_f64_e32 v[166:167], v[164:165]
	s_waitcnt_depctr 0xfff
	v_fma_f64 v[168:169], -v[164:165], v[166:167], 1.0
	v_fma_f64 v[166:167], v[166:167], v[168:169], v[166:167]
	s_delay_alu instid0(VALU_DEP_1) | instskip(NEXT) | instid1(VALU_DEP_1)
	v_fma_f64 v[168:169], -v[164:165], v[166:167], 1.0
	v_fma_f64 v[166:167], v[166:167], v[168:169], v[166:167]
	v_div_scale_f64 v[168:169], vcc_lo, 1.0, v[116:117], 1.0
	s_delay_alu instid0(VALU_DEP_1) | instskip(NEXT) | instid1(VALU_DEP_1)
	v_mul_f64 v[170:171], v[168:169], v[166:167]
	v_fma_f64 v[164:165], -v[164:165], v[170:171], v[168:169]
	s_delay_alu instid0(VALU_DEP_1) | instskip(NEXT) | instid1(VALU_DEP_1)
	v_div_fmas_f64 v[164:165], v[164:165], v[166:167], v[170:171]
	v_div_fixup_f64 v[116:117], v[164:165], v[116:117], 1.0
	s_delay_alu instid0(VALU_DEP_1)
	v_mul_f64 v[170:171], v[118:119], -v[116:117]
.LBB57_115:
	s_or_b32 exec_lo, exec_lo, s3
	ds_store_2addr_b64 v245, v[116:117], v[170:171] offset1:1
.LBB57_116:
	s_or_b32 exec_lo, exec_lo, s4
	s_waitcnt lgkmcnt(0)
	s_barrier
	buffer_gl0_inv
	ds_load_2addr_b64 v[164:167], v245 offset1:1
	s_mov_b32 s3, exec_lo
	v_cmpx_lt_u32_e32 12, v244
	s_cbranch_execz .LBB57_118
; %bb.117:
	s_waitcnt lgkmcnt(0)
	v_mul_f64 v[116:117], v[164:165], v[66:67]
	v_mul_f64 v[66:67], v[166:167], v[66:67]
	s_delay_alu instid0(VALU_DEP_2) | instskip(SKIP_4) | instid1(VALU_DEP_1)
	v_fma_f64 v[168:169], v[166:167], v[64:65], v[116:117]
	ds_load_2addr_b64 v[116:119], v246 offset0:26 offset1:27
	v_fma_f64 v[64:65], v[164:165], v[64:65], -v[66:67]
	s_waitcnt lgkmcnt(0)
	v_mul_f64 v[66:67], v[118:119], v[168:169]
	v_fma_f64 v[66:67], v[116:117], v[64:65], -v[66:67]
	v_mul_f64 v[116:117], v[116:117], v[168:169]
	s_delay_alu instid0(VALU_DEP_2) | instskip(NEXT) | instid1(VALU_DEP_2)
	v_add_f64 v[60:61], v[60:61], -v[66:67]
	v_fma_f64 v[116:117], v[118:119], v[64:65], v[116:117]
	s_delay_alu instid0(VALU_DEP_1) | instskip(SKIP_3) | instid1(VALU_DEP_1)
	v_add_f64 v[62:63], v[62:63], -v[116:117]
	ds_load_2addr_b64 v[116:119], v246 offset0:28 offset1:29
	s_waitcnt lgkmcnt(0)
	v_mul_f64 v[66:67], v[118:119], v[168:169]
	v_fma_f64 v[66:67], v[116:117], v[64:65], -v[66:67]
	v_mul_f64 v[116:117], v[116:117], v[168:169]
	s_delay_alu instid0(VALU_DEP_2) | instskip(NEXT) | instid1(VALU_DEP_2)
	v_add_f64 v[56:57], v[56:57], -v[66:67]
	v_fma_f64 v[116:117], v[118:119], v[64:65], v[116:117]
	s_delay_alu instid0(VALU_DEP_1) | instskip(SKIP_3) | instid1(VALU_DEP_1)
	v_add_f64 v[58:59], v[58:59], -v[116:117]
	ds_load_2addr_b64 v[116:119], v246 offset0:30 offset1:31
	;; [unrolled: 10-line block ×15, first 2 shown]
	s_waitcnt lgkmcnt(0)
	v_mul_f64 v[66:67], v[118:119], v[168:169]
	v_fma_f64 v[66:67], v[116:117], v[64:65], -v[66:67]
	v_mul_f64 v[116:117], v[116:117], v[168:169]
	s_delay_alu instid0(VALU_DEP_2) | instskip(NEXT) | instid1(VALU_DEP_2)
	v_add_f64 v[0:1], v[0:1], -v[66:67]
	v_fma_f64 v[116:117], v[118:119], v[64:65], v[116:117]
	v_dual_mov_b32 v66, v168 :: v_dual_mov_b32 v67, v169
	s_delay_alu instid0(VALU_DEP_2)
	v_add_f64 v[2:3], v[2:3], -v[116:117]
.LBB57_118:
	s_or_b32 exec_lo, exec_lo, s3
	s_delay_alu instid0(SALU_CYCLE_1)
	s_mov_b32 s4, exec_lo
	s_waitcnt lgkmcnt(0)
	s_barrier
	buffer_gl0_inv
	v_cmpx_eq_u32_e32 13, v244
	s_cbranch_execz .LBB57_125
; %bb.119:
	ds_store_2addr_b64 v245, v[60:61], v[62:63] offset1:1
	ds_store_2addr_b64 v246, v[56:57], v[58:59] offset0:28 offset1:29
	ds_store_2addr_b64 v246, v[52:53], v[54:55] offset0:30 offset1:31
	ds_store_2addr_b64 v246, v[48:49], v[50:51] offset0:32 offset1:33
	ds_store_2addr_b64 v246, v[44:45], v[46:47] offset0:34 offset1:35
	ds_store_2addr_b64 v246, v[40:41], v[42:43] offset0:36 offset1:37
	ds_store_2addr_b64 v246, v[36:37], v[38:39] offset0:38 offset1:39
	ds_store_2addr_b64 v246, v[32:33], v[34:35] offset0:40 offset1:41
	ds_store_2addr_b64 v246, v[28:29], v[30:31] offset0:42 offset1:43
	ds_store_2addr_b64 v246, v[24:25], v[26:27] offset0:44 offset1:45
	ds_store_2addr_b64 v246, v[20:21], v[22:23] offset0:46 offset1:47
	ds_store_2addr_b64 v246, v[16:17], v[18:19] offset0:48 offset1:49
	ds_store_2addr_b64 v246, v[12:13], v[14:15] offset0:50 offset1:51
	ds_store_2addr_b64 v246, v[8:9], v[10:11] offset0:52 offset1:53
	ds_store_2addr_b64 v246, v[4:5], v[6:7] offset0:54 offset1:55
	ds_store_2addr_b64 v246, v[0:1], v[2:3] offset0:56 offset1:57
	ds_load_2addr_b64 v[168:171], v245 offset1:1
	s_waitcnt lgkmcnt(0)
	v_cmp_neq_f64_e32 vcc_lo, 0, v[168:169]
	v_cmp_neq_f64_e64 s3, 0, v[170:171]
	s_delay_alu instid0(VALU_DEP_1) | instskip(NEXT) | instid1(SALU_CYCLE_1)
	s_or_b32 s3, vcc_lo, s3
	s_and_b32 exec_lo, exec_lo, s3
	s_cbranch_execz .LBB57_125
; %bb.120:
	v_cmp_gt_f64_e32 vcc_lo, 0, v[168:169]
	v_cmp_gt_f64_e64 s3, 0, v[170:171]
	v_xor_b32_e32 v116, 0x80000000, v169
	v_xor_b32_e32 v118, 0x80000000, v171
	s_delay_alu instid0(VALU_DEP_2) | instskip(NEXT) | instid1(VALU_DEP_2)
	v_cndmask_b32_e32 v117, v169, v116, vcc_lo
	v_cndmask_b32_e64 v119, v171, v118, s3
	v_cndmask_b32_e32 v116, v168, v168, vcc_lo
	v_cndmask_b32_e64 v118, v170, v170, s3
	s_delay_alu instid0(VALU_DEP_1) | instskip(SKIP_1) | instid1(SALU_CYCLE_1)
	v_cmp_ngt_f64_e32 vcc_lo, v[116:117], v[118:119]
                                        ; implicit-def: $vgpr116_vgpr117
	s_and_saveexec_b32 s3, vcc_lo
	s_xor_b32 s3, exec_lo, s3
                                        ; implicit-def: $vgpr172_vgpr173_vgpr174_vgpr175
	s_cbranch_execz .LBB57_122
; %bb.121:
	v_div_scale_f64 v[116:117], null, v[170:171], v[170:171], v[168:169]
	v_div_scale_f64 v[174:175], vcc_lo, v[168:169], v[170:171], v[168:169]
	s_delay_alu instid0(VALU_DEP_2) | instskip(SKIP_2) | instid1(VALU_DEP_1)
	v_rcp_f64_e32 v[118:119], v[116:117]
	s_waitcnt_depctr 0xfff
	v_fma_f64 v[172:173], -v[116:117], v[118:119], 1.0
	v_fma_f64 v[118:119], v[118:119], v[172:173], v[118:119]
	s_delay_alu instid0(VALU_DEP_1) | instskip(NEXT) | instid1(VALU_DEP_1)
	v_fma_f64 v[172:173], -v[116:117], v[118:119], 1.0
	v_fma_f64 v[118:119], v[118:119], v[172:173], v[118:119]
	s_delay_alu instid0(VALU_DEP_1) | instskip(NEXT) | instid1(VALU_DEP_1)
	v_mul_f64 v[172:173], v[174:175], v[118:119]
	v_fma_f64 v[116:117], -v[116:117], v[172:173], v[174:175]
	s_delay_alu instid0(VALU_DEP_1) | instskip(NEXT) | instid1(VALU_DEP_1)
	v_div_fmas_f64 v[116:117], v[116:117], v[118:119], v[172:173]
	v_div_fixup_f64 v[116:117], v[116:117], v[170:171], v[168:169]
	s_delay_alu instid0(VALU_DEP_1) | instskip(NEXT) | instid1(VALU_DEP_1)
	v_fma_f64 v[118:119], v[168:169], v[116:117], v[170:171]
	v_div_scale_f64 v[168:169], null, v[118:119], v[118:119], 1.0
	s_delay_alu instid0(VALU_DEP_1) | instskip(SKIP_2) | instid1(VALU_DEP_1)
	v_rcp_f64_e32 v[170:171], v[168:169]
	s_waitcnt_depctr 0xfff
	v_fma_f64 v[172:173], -v[168:169], v[170:171], 1.0
	v_fma_f64 v[170:171], v[170:171], v[172:173], v[170:171]
	s_delay_alu instid0(VALU_DEP_1) | instskip(NEXT) | instid1(VALU_DEP_1)
	v_fma_f64 v[172:173], -v[168:169], v[170:171], 1.0
	v_fma_f64 v[170:171], v[170:171], v[172:173], v[170:171]
	v_div_scale_f64 v[172:173], vcc_lo, 1.0, v[118:119], 1.0
	s_delay_alu instid0(VALU_DEP_1) | instskip(NEXT) | instid1(VALU_DEP_1)
	v_mul_f64 v[174:175], v[172:173], v[170:171]
	v_fma_f64 v[168:169], -v[168:169], v[174:175], v[172:173]
	s_delay_alu instid0(VALU_DEP_1) | instskip(NEXT) | instid1(VALU_DEP_1)
	v_div_fmas_f64 v[168:169], v[168:169], v[170:171], v[174:175]
	v_div_fixup_f64 v[174:175], v[168:169], v[118:119], 1.0
                                        ; implicit-def: $vgpr168_vgpr169
	s_delay_alu instid0(VALU_DEP_1)
	v_mul_f64 v[116:117], v[116:117], v[174:175]
	v_xor_b32_e32 v175, 0x80000000, v175
.LBB57_122:
	s_and_not1_saveexec_b32 s3, s3
	s_cbranch_execz .LBB57_124
; %bb.123:
	v_div_scale_f64 v[116:117], null, v[168:169], v[168:169], v[170:171]
	v_div_scale_f64 v[174:175], vcc_lo, v[170:171], v[168:169], v[170:171]
	s_delay_alu instid0(VALU_DEP_2) | instskip(SKIP_2) | instid1(VALU_DEP_1)
	v_rcp_f64_e32 v[118:119], v[116:117]
	s_waitcnt_depctr 0xfff
	v_fma_f64 v[172:173], -v[116:117], v[118:119], 1.0
	v_fma_f64 v[118:119], v[118:119], v[172:173], v[118:119]
	s_delay_alu instid0(VALU_DEP_1) | instskip(NEXT) | instid1(VALU_DEP_1)
	v_fma_f64 v[172:173], -v[116:117], v[118:119], 1.0
	v_fma_f64 v[118:119], v[118:119], v[172:173], v[118:119]
	s_delay_alu instid0(VALU_DEP_1) | instskip(NEXT) | instid1(VALU_DEP_1)
	v_mul_f64 v[172:173], v[174:175], v[118:119]
	v_fma_f64 v[116:117], -v[116:117], v[172:173], v[174:175]
	s_delay_alu instid0(VALU_DEP_1) | instskip(NEXT) | instid1(VALU_DEP_1)
	v_div_fmas_f64 v[116:117], v[116:117], v[118:119], v[172:173]
	v_div_fixup_f64 v[118:119], v[116:117], v[168:169], v[170:171]
	s_delay_alu instid0(VALU_DEP_1) | instskip(NEXT) | instid1(VALU_DEP_1)
	v_fma_f64 v[116:117], v[170:171], v[118:119], v[168:169]
	v_div_scale_f64 v[168:169], null, v[116:117], v[116:117], 1.0
	s_delay_alu instid0(VALU_DEP_1) | instskip(SKIP_2) | instid1(VALU_DEP_1)
	v_rcp_f64_e32 v[170:171], v[168:169]
	s_waitcnt_depctr 0xfff
	v_fma_f64 v[172:173], -v[168:169], v[170:171], 1.0
	v_fma_f64 v[170:171], v[170:171], v[172:173], v[170:171]
	s_delay_alu instid0(VALU_DEP_1) | instskip(NEXT) | instid1(VALU_DEP_1)
	v_fma_f64 v[172:173], -v[168:169], v[170:171], 1.0
	v_fma_f64 v[170:171], v[170:171], v[172:173], v[170:171]
	v_div_scale_f64 v[172:173], vcc_lo, 1.0, v[116:117], 1.0
	s_delay_alu instid0(VALU_DEP_1) | instskip(NEXT) | instid1(VALU_DEP_1)
	v_mul_f64 v[174:175], v[172:173], v[170:171]
	v_fma_f64 v[168:169], -v[168:169], v[174:175], v[172:173]
	s_delay_alu instid0(VALU_DEP_1) | instskip(NEXT) | instid1(VALU_DEP_1)
	v_div_fmas_f64 v[168:169], v[168:169], v[170:171], v[174:175]
	v_div_fixup_f64 v[116:117], v[168:169], v[116:117], 1.0
	s_delay_alu instid0(VALU_DEP_1)
	v_mul_f64 v[174:175], v[118:119], -v[116:117]
.LBB57_124:
	s_or_b32 exec_lo, exec_lo, s3
	ds_store_2addr_b64 v245, v[116:117], v[174:175] offset1:1
.LBB57_125:
	s_or_b32 exec_lo, exec_lo, s4
	s_waitcnt lgkmcnt(0)
	s_barrier
	buffer_gl0_inv
	ds_load_2addr_b64 v[168:171], v245 offset1:1
	s_mov_b32 s3, exec_lo
	v_cmpx_lt_u32_e32 13, v244
	s_cbranch_execz .LBB57_127
; %bb.126:
	s_waitcnt lgkmcnt(0)
	v_mul_f64 v[116:117], v[168:169], v[62:63]
	v_mul_f64 v[62:63], v[170:171], v[62:63]
	s_delay_alu instid0(VALU_DEP_2) | instskip(SKIP_4) | instid1(VALU_DEP_1)
	v_fma_f64 v[172:173], v[170:171], v[60:61], v[116:117]
	ds_load_2addr_b64 v[116:119], v246 offset0:28 offset1:29
	v_fma_f64 v[60:61], v[168:169], v[60:61], -v[62:63]
	s_waitcnt lgkmcnt(0)
	v_mul_f64 v[62:63], v[118:119], v[172:173]
	v_fma_f64 v[62:63], v[116:117], v[60:61], -v[62:63]
	v_mul_f64 v[116:117], v[116:117], v[172:173]
	s_delay_alu instid0(VALU_DEP_2) | instskip(NEXT) | instid1(VALU_DEP_2)
	v_add_f64 v[56:57], v[56:57], -v[62:63]
	v_fma_f64 v[116:117], v[118:119], v[60:61], v[116:117]
	s_delay_alu instid0(VALU_DEP_1) | instskip(SKIP_3) | instid1(VALU_DEP_1)
	v_add_f64 v[58:59], v[58:59], -v[116:117]
	ds_load_2addr_b64 v[116:119], v246 offset0:30 offset1:31
	s_waitcnt lgkmcnt(0)
	v_mul_f64 v[62:63], v[118:119], v[172:173]
	v_fma_f64 v[62:63], v[116:117], v[60:61], -v[62:63]
	v_mul_f64 v[116:117], v[116:117], v[172:173]
	s_delay_alu instid0(VALU_DEP_2) | instskip(NEXT) | instid1(VALU_DEP_2)
	v_add_f64 v[52:53], v[52:53], -v[62:63]
	v_fma_f64 v[116:117], v[118:119], v[60:61], v[116:117]
	s_delay_alu instid0(VALU_DEP_1) | instskip(SKIP_3) | instid1(VALU_DEP_1)
	v_add_f64 v[54:55], v[54:55], -v[116:117]
	ds_load_2addr_b64 v[116:119], v246 offset0:32 offset1:33
	;; [unrolled: 10-line block ×14, first 2 shown]
	s_waitcnt lgkmcnt(0)
	v_mul_f64 v[62:63], v[118:119], v[172:173]
	v_fma_f64 v[62:63], v[116:117], v[60:61], -v[62:63]
	v_mul_f64 v[116:117], v[116:117], v[172:173]
	s_delay_alu instid0(VALU_DEP_2) | instskip(NEXT) | instid1(VALU_DEP_2)
	v_add_f64 v[0:1], v[0:1], -v[62:63]
	v_fma_f64 v[116:117], v[118:119], v[60:61], v[116:117]
	v_dual_mov_b32 v62, v172 :: v_dual_mov_b32 v63, v173
	s_delay_alu instid0(VALU_DEP_2)
	v_add_f64 v[2:3], v[2:3], -v[116:117]
.LBB57_127:
	s_or_b32 exec_lo, exec_lo, s3
	s_delay_alu instid0(SALU_CYCLE_1)
	s_mov_b32 s4, exec_lo
	s_waitcnt lgkmcnt(0)
	s_barrier
	buffer_gl0_inv
	v_cmpx_eq_u32_e32 14, v244
	s_cbranch_execz .LBB57_134
; %bb.128:
	ds_store_2addr_b64 v245, v[56:57], v[58:59] offset1:1
	ds_store_2addr_b64 v246, v[52:53], v[54:55] offset0:30 offset1:31
	ds_store_2addr_b64 v246, v[48:49], v[50:51] offset0:32 offset1:33
	;; [unrolled: 1-line block ×14, first 2 shown]
	ds_load_2addr_b64 v[172:175], v245 offset1:1
	s_waitcnt lgkmcnt(0)
	v_cmp_neq_f64_e32 vcc_lo, 0, v[172:173]
	v_cmp_neq_f64_e64 s3, 0, v[174:175]
	s_delay_alu instid0(VALU_DEP_1) | instskip(NEXT) | instid1(SALU_CYCLE_1)
	s_or_b32 s3, vcc_lo, s3
	s_and_b32 exec_lo, exec_lo, s3
	s_cbranch_execz .LBB57_134
; %bb.129:
	v_cmp_gt_f64_e32 vcc_lo, 0, v[172:173]
	v_cmp_gt_f64_e64 s3, 0, v[174:175]
	v_xor_b32_e32 v116, 0x80000000, v173
	v_xor_b32_e32 v118, 0x80000000, v175
	s_delay_alu instid0(VALU_DEP_2) | instskip(NEXT) | instid1(VALU_DEP_2)
	v_cndmask_b32_e32 v117, v173, v116, vcc_lo
	v_cndmask_b32_e64 v119, v175, v118, s3
	v_cndmask_b32_e32 v116, v172, v172, vcc_lo
	v_cndmask_b32_e64 v118, v174, v174, s3
	s_delay_alu instid0(VALU_DEP_1) | instskip(SKIP_1) | instid1(SALU_CYCLE_1)
	v_cmp_ngt_f64_e32 vcc_lo, v[116:117], v[118:119]
                                        ; implicit-def: $vgpr116_vgpr117
	s_and_saveexec_b32 s3, vcc_lo
	s_xor_b32 s3, exec_lo, s3
                                        ; implicit-def: $vgpr176_vgpr177_vgpr178_vgpr179
	s_cbranch_execz .LBB57_131
; %bb.130:
	v_div_scale_f64 v[116:117], null, v[174:175], v[174:175], v[172:173]
	v_div_scale_f64 v[178:179], vcc_lo, v[172:173], v[174:175], v[172:173]
	s_delay_alu instid0(VALU_DEP_2) | instskip(SKIP_2) | instid1(VALU_DEP_1)
	v_rcp_f64_e32 v[118:119], v[116:117]
	s_waitcnt_depctr 0xfff
	v_fma_f64 v[176:177], -v[116:117], v[118:119], 1.0
	v_fma_f64 v[118:119], v[118:119], v[176:177], v[118:119]
	s_delay_alu instid0(VALU_DEP_1) | instskip(NEXT) | instid1(VALU_DEP_1)
	v_fma_f64 v[176:177], -v[116:117], v[118:119], 1.0
	v_fma_f64 v[118:119], v[118:119], v[176:177], v[118:119]
	s_delay_alu instid0(VALU_DEP_1) | instskip(NEXT) | instid1(VALU_DEP_1)
	v_mul_f64 v[176:177], v[178:179], v[118:119]
	v_fma_f64 v[116:117], -v[116:117], v[176:177], v[178:179]
	s_delay_alu instid0(VALU_DEP_1) | instskip(NEXT) | instid1(VALU_DEP_1)
	v_div_fmas_f64 v[116:117], v[116:117], v[118:119], v[176:177]
	v_div_fixup_f64 v[116:117], v[116:117], v[174:175], v[172:173]
	s_delay_alu instid0(VALU_DEP_1) | instskip(NEXT) | instid1(VALU_DEP_1)
	v_fma_f64 v[118:119], v[172:173], v[116:117], v[174:175]
	v_div_scale_f64 v[172:173], null, v[118:119], v[118:119], 1.0
	s_delay_alu instid0(VALU_DEP_1) | instskip(SKIP_2) | instid1(VALU_DEP_1)
	v_rcp_f64_e32 v[174:175], v[172:173]
	s_waitcnt_depctr 0xfff
	v_fma_f64 v[176:177], -v[172:173], v[174:175], 1.0
	v_fma_f64 v[174:175], v[174:175], v[176:177], v[174:175]
	s_delay_alu instid0(VALU_DEP_1) | instskip(NEXT) | instid1(VALU_DEP_1)
	v_fma_f64 v[176:177], -v[172:173], v[174:175], 1.0
	v_fma_f64 v[174:175], v[174:175], v[176:177], v[174:175]
	v_div_scale_f64 v[176:177], vcc_lo, 1.0, v[118:119], 1.0
	s_delay_alu instid0(VALU_DEP_1) | instskip(NEXT) | instid1(VALU_DEP_1)
	v_mul_f64 v[178:179], v[176:177], v[174:175]
	v_fma_f64 v[172:173], -v[172:173], v[178:179], v[176:177]
	s_delay_alu instid0(VALU_DEP_1) | instskip(NEXT) | instid1(VALU_DEP_1)
	v_div_fmas_f64 v[172:173], v[172:173], v[174:175], v[178:179]
	v_div_fixup_f64 v[178:179], v[172:173], v[118:119], 1.0
                                        ; implicit-def: $vgpr172_vgpr173
	s_delay_alu instid0(VALU_DEP_1)
	v_mul_f64 v[116:117], v[116:117], v[178:179]
	v_xor_b32_e32 v179, 0x80000000, v179
.LBB57_131:
	s_and_not1_saveexec_b32 s3, s3
	s_cbranch_execz .LBB57_133
; %bb.132:
	v_div_scale_f64 v[116:117], null, v[172:173], v[172:173], v[174:175]
	v_div_scale_f64 v[178:179], vcc_lo, v[174:175], v[172:173], v[174:175]
	s_delay_alu instid0(VALU_DEP_2) | instskip(SKIP_2) | instid1(VALU_DEP_1)
	v_rcp_f64_e32 v[118:119], v[116:117]
	s_waitcnt_depctr 0xfff
	v_fma_f64 v[176:177], -v[116:117], v[118:119], 1.0
	v_fma_f64 v[118:119], v[118:119], v[176:177], v[118:119]
	s_delay_alu instid0(VALU_DEP_1) | instskip(NEXT) | instid1(VALU_DEP_1)
	v_fma_f64 v[176:177], -v[116:117], v[118:119], 1.0
	v_fma_f64 v[118:119], v[118:119], v[176:177], v[118:119]
	s_delay_alu instid0(VALU_DEP_1) | instskip(NEXT) | instid1(VALU_DEP_1)
	v_mul_f64 v[176:177], v[178:179], v[118:119]
	v_fma_f64 v[116:117], -v[116:117], v[176:177], v[178:179]
	s_delay_alu instid0(VALU_DEP_1) | instskip(NEXT) | instid1(VALU_DEP_1)
	v_div_fmas_f64 v[116:117], v[116:117], v[118:119], v[176:177]
	v_div_fixup_f64 v[118:119], v[116:117], v[172:173], v[174:175]
	s_delay_alu instid0(VALU_DEP_1) | instskip(NEXT) | instid1(VALU_DEP_1)
	v_fma_f64 v[116:117], v[174:175], v[118:119], v[172:173]
	v_div_scale_f64 v[172:173], null, v[116:117], v[116:117], 1.0
	s_delay_alu instid0(VALU_DEP_1) | instskip(SKIP_2) | instid1(VALU_DEP_1)
	v_rcp_f64_e32 v[174:175], v[172:173]
	s_waitcnt_depctr 0xfff
	v_fma_f64 v[176:177], -v[172:173], v[174:175], 1.0
	v_fma_f64 v[174:175], v[174:175], v[176:177], v[174:175]
	s_delay_alu instid0(VALU_DEP_1) | instskip(NEXT) | instid1(VALU_DEP_1)
	v_fma_f64 v[176:177], -v[172:173], v[174:175], 1.0
	v_fma_f64 v[174:175], v[174:175], v[176:177], v[174:175]
	v_div_scale_f64 v[176:177], vcc_lo, 1.0, v[116:117], 1.0
	s_delay_alu instid0(VALU_DEP_1) | instskip(NEXT) | instid1(VALU_DEP_1)
	v_mul_f64 v[178:179], v[176:177], v[174:175]
	v_fma_f64 v[172:173], -v[172:173], v[178:179], v[176:177]
	s_delay_alu instid0(VALU_DEP_1) | instskip(NEXT) | instid1(VALU_DEP_1)
	v_div_fmas_f64 v[172:173], v[172:173], v[174:175], v[178:179]
	v_div_fixup_f64 v[116:117], v[172:173], v[116:117], 1.0
	s_delay_alu instid0(VALU_DEP_1)
	v_mul_f64 v[178:179], v[118:119], -v[116:117]
.LBB57_133:
	s_or_b32 exec_lo, exec_lo, s3
	ds_store_2addr_b64 v245, v[116:117], v[178:179] offset1:1
.LBB57_134:
	s_or_b32 exec_lo, exec_lo, s4
	s_waitcnt lgkmcnt(0)
	s_barrier
	buffer_gl0_inv
	ds_load_2addr_b64 v[172:175], v245 offset1:1
	s_mov_b32 s3, exec_lo
	v_cmpx_lt_u32_e32 14, v244
	s_cbranch_execz .LBB57_136
; %bb.135:
	s_waitcnt lgkmcnt(0)
	v_mul_f64 v[116:117], v[172:173], v[58:59]
	v_mul_f64 v[58:59], v[174:175], v[58:59]
	s_delay_alu instid0(VALU_DEP_2) | instskip(SKIP_4) | instid1(VALU_DEP_1)
	v_fma_f64 v[176:177], v[174:175], v[56:57], v[116:117]
	ds_load_2addr_b64 v[116:119], v246 offset0:30 offset1:31
	v_fma_f64 v[56:57], v[172:173], v[56:57], -v[58:59]
	s_waitcnt lgkmcnt(0)
	v_mul_f64 v[58:59], v[118:119], v[176:177]
	v_fma_f64 v[58:59], v[116:117], v[56:57], -v[58:59]
	v_mul_f64 v[116:117], v[116:117], v[176:177]
	s_delay_alu instid0(VALU_DEP_2) | instskip(NEXT) | instid1(VALU_DEP_2)
	v_add_f64 v[52:53], v[52:53], -v[58:59]
	v_fma_f64 v[116:117], v[118:119], v[56:57], v[116:117]
	s_delay_alu instid0(VALU_DEP_1) | instskip(SKIP_3) | instid1(VALU_DEP_1)
	v_add_f64 v[54:55], v[54:55], -v[116:117]
	ds_load_2addr_b64 v[116:119], v246 offset0:32 offset1:33
	s_waitcnt lgkmcnt(0)
	v_mul_f64 v[58:59], v[118:119], v[176:177]
	v_fma_f64 v[58:59], v[116:117], v[56:57], -v[58:59]
	v_mul_f64 v[116:117], v[116:117], v[176:177]
	s_delay_alu instid0(VALU_DEP_2) | instskip(NEXT) | instid1(VALU_DEP_2)
	v_add_f64 v[48:49], v[48:49], -v[58:59]
	v_fma_f64 v[116:117], v[118:119], v[56:57], v[116:117]
	s_delay_alu instid0(VALU_DEP_1) | instskip(SKIP_3) | instid1(VALU_DEP_1)
	v_add_f64 v[50:51], v[50:51], -v[116:117]
	ds_load_2addr_b64 v[116:119], v246 offset0:34 offset1:35
	;; [unrolled: 10-line block ×13, first 2 shown]
	s_waitcnt lgkmcnt(0)
	v_mul_f64 v[58:59], v[118:119], v[176:177]
	v_fma_f64 v[58:59], v[116:117], v[56:57], -v[58:59]
	v_mul_f64 v[116:117], v[116:117], v[176:177]
	s_delay_alu instid0(VALU_DEP_2) | instskip(NEXT) | instid1(VALU_DEP_2)
	v_add_f64 v[0:1], v[0:1], -v[58:59]
	v_fma_f64 v[116:117], v[118:119], v[56:57], v[116:117]
	v_dual_mov_b32 v58, v176 :: v_dual_mov_b32 v59, v177
	s_delay_alu instid0(VALU_DEP_2)
	v_add_f64 v[2:3], v[2:3], -v[116:117]
.LBB57_136:
	s_or_b32 exec_lo, exec_lo, s3
	s_delay_alu instid0(SALU_CYCLE_1)
	s_mov_b32 s4, exec_lo
	s_waitcnt lgkmcnt(0)
	s_barrier
	buffer_gl0_inv
	v_cmpx_eq_u32_e32 15, v244
	s_cbranch_execz .LBB57_143
; %bb.137:
	ds_store_2addr_b64 v245, v[52:53], v[54:55] offset1:1
	ds_store_2addr_b64 v246, v[48:49], v[50:51] offset0:32 offset1:33
	ds_store_2addr_b64 v246, v[44:45], v[46:47] offset0:34 offset1:35
	;; [unrolled: 1-line block ×13, first 2 shown]
	ds_load_2addr_b64 v[176:179], v245 offset1:1
	s_waitcnt lgkmcnt(0)
	v_cmp_neq_f64_e32 vcc_lo, 0, v[176:177]
	v_cmp_neq_f64_e64 s3, 0, v[178:179]
	s_delay_alu instid0(VALU_DEP_1) | instskip(NEXT) | instid1(SALU_CYCLE_1)
	s_or_b32 s3, vcc_lo, s3
	s_and_b32 exec_lo, exec_lo, s3
	s_cbranch_execz .LBB57_143
; %bb.138:
	v_cmp_gt_f64_e32 vcc_lo, 0, v[176:177]
	v_cmp_gt_f64_e64 s3, 0, v[178:179]
	v_xor_b32_e32 v116, 0x80000000, v177
	v_xor_b32_e32 v118, 0x80000000, v179
	s_delay_alu instid0(VALU_DEP_2) | instskip(NEXT) | instid1(VALU_DEP_2)
	v_cndmask_b32_e32 v117, v177, v116, vcc_lo
	v_cndmask_b32_e64 v119, v179, v118, s3
	v_cndmask_b32_e32 v116, v176, v176, vcc_lo
	v_cndmask_b32_e64 v118, v178, v178, s3
	s_delay_alu instid0(VALU_DEP_1) | instskip(SKIP_1) | instid1(SALU_CYCLE_1)
	v_cmp_ngt_f64_e32 vcc_lo, v[116:117], v[118:119]
                                        ; implicit-def: $vgpr116_vgpr117
	s_and_saveexec_b32 s3, vcc_lo
	s_xor_b32 s3, exec_lo, s3
                                        ; implicit-def: $vgpr180_vgpr181_vgpr182_vgpr183
	s_cbranch_execz .LBB57_140
; %bb.139:
	v_div_scale_f64 v[116:117], null, v[178:179], v[178:179], v[176:177]
	v_div_scale_f64 v[182:183], vcc_lo, v[176:177], v[178:179], v[176:177]
	s_delay_alu instid0(VALU_DEP_2) | instskip(SKIP_2) | instid1(VALU_DEP_1)
	v_rcp_f64_e32 v[118:119], v[116:117]
	s_waitcnt_depctr 0xfff
	v_fma_f64 v[180:181], -v[116:117], v[118:119], 1.0
	v_fma_f64 v[118:119], v[118:119], v[180:181], v[118:119]
	s_delay_alu instid0(VALU_DEP_1) | instskip(NEXT) | instid1(VALU_DEP_1)
	v_fma_f64 v[180:181], -v[116:117], v[118:119], 1.0
	v_fma_f64 v[118:119], v[118:119], v[180:181], v[118:119]
	s_delay_alu instid0(VALU_DEP_1) | instskip(NEXT) | instid1(VALU_DEP_1)
	v_mul_f64 v[180:181], v[182:183], v[118:119]
	v_fma_f64 v[116:117], -v[116:117], v[180:181], v[182:183]
	s_delay_alu instid0(VALU_DEP_1) | instskip(NEXT) | instid1(VALU_DEP_1)
	v_div_fmas_f64 v[116:117], v[116:117], v[118:119], v[180:181]
	v_div_fixup_f64 v[116:117], v[116:117], v[178:179], v[176:177]
	s_delay_alu instid0(VALU_DEP_1) | instskip(NEXT) | instid1(VALU_DEP_1)
	v_fma_f64 v[118:119], v[176:177], v[116:117], v[178:179]
	v_div_scale_f64 v[176:177], null, v[118:119], v[118:119], 1.0
	s_delay_alu instid0(VALU_DEP_1) | instskip(SKIP_2) | instid1(VALU_DEP_1)
	v_rcp_f64_e32 v[178:179], v[176:177]
	s_waitcnt_depctr 0xfff
	v_fma_f64 v[180:181], -v[176:177], v[178:179], 1.0
	v_fma_f64 v[178:179], v[178:179], v[180:181], v[178:179]
	s_delay_alu instid0(VALU_DEP_1) | instskip(NEXT) | instid1(VALU_DEP_1)
	v_fma_f64 v[180:181], -v[176:177], v[178:179], 1.0
	v_fma_f64 v[178:179], v[178:179], v[180:181], v[178:179]
	v_div_scale_f64 v[180:181], vcc_lo, 1.0, v[118:119], 1.0
	s_delay_alu instid0(VALU_DEP_1) | instskip(NEXT) | instid1(VALU_DEP_1)
	v_mul_f64 v[182:183], v[180:181], v[178:179]
	v_fma_f64 v[176:177], -v[176:177], v[182:183], v[180:181]
	s_delay_alu instid0(VALU_DEP_1) | instskip(NEXT) | instid1(VALU_DEP_1)
	v_div_fmas_f64 v[176:177], v[176:177], v[178:179], v[182:183]
	v_div_fixup_f64 v[182:183], v[176:177], v[118:119], 1.0
                                        ; implicit-def: $vgpr176_vgpr177
	s_delay_alu instid0(VALU_DEP_1)
	v_mul_f64 v[116:117], v[116:117], v[182:183]
	v_xor_b32_e32 v183, 0x80000000, v183
.LBB57_140:
	s_and_not1_saveexec_b32 s3, s3
	s_cbranch_execz .LBB57_142
; %bb.141:
	v_div_scale_f64 v[116:117], null, v[176:177], v[176:177], v[178:179]
	v_div_scale_f64 v[182:183], vcc_lo, v[178:179], v[176:177], v[178:179]
	s_delay_alu instid0(VALU_DEP_2) | instskip(SKIP_2) | instid1(VALU_DEP_1)
	v_rcp_f64_e32 v[118:119], v[116:117]
	s_waitcnt_depctr 0xfff
	v_fma_f64 v[180:181], -v[116:117], v[118:119], 1.0
	v_fma_f64 v[118:119], v[118:119], v[180:181], v[118:119]
	s_delay_alu instid0(VALU_DEP_1) | instskip(NEXT) | instid1(VALU_DEP_1)
	v_fma_f64 v[180:181], -v[116:117], v[118:119], 1.0
	v_fma_f64 v[118:119], v[118:119], v[180:181], v[118:119]
	s_delay_alu instid0(VALU_DEP_1) | instskip(NEXT) | instid1(VALU_DEP_1)
	v_mul_f64 v[180:181], v[182:183], v[118:119]
	v_fma_f64 v[116:117], -v[116:117], v[180:181], v[182:183]
	s_delay_alu instid0(VALU_DEP_1) | instskip(NEXT) | instid1(VALU_DEP_1)
	v_div_fmas_f64 v[116:117], v[116:117], v[118:119], v[180:181]
	v_div_fixup_f64 v[118:119], v[116:117], v[176:177], v[178:179]
	s_delay_alu instid0(VALU_DEP_1) | instskip(NEXT) | instid1(VALU_DEP_1)
	v_fma_f64 v[116:117], v[178:179], v[118:119], v[176:177]
	v_div_scale_f64 v[176:177], null, v[116:117], v[116:117], 1.0
	s_delay_alu instid0(VALU_DEP_1) | instskip(SKIP_2) | instid1(VALU_DEP_1)
	v_rcp_f64_e32 v[178:179], v[176:177]
	s_waitcnt_depctr 0xfff
	v_fma_f64 v[180:181], -v[176:177], v[178:179], 1.0
	v_fma_f64 v[178:179], v[178:179], v[180:181], v[178:179]
	s_delay_alu instid0(VALU_DEP_1) | instskip(NEXT) | instid1(VALU_DEP_1)
	v_fma_f64 v[180:181], -v[176:177], v[178:179], 1.0
	v_fma_f64 v[178:179], v[178:179], v[180:181], v[178:179]
	v_div_scale_f64 v[180:181], vcc_lo, 1.0, v[116:117], 1.0
	s_delay_alu instid0(VALU_DEP_1) | instskip(NEXT) | instid1(VALU_DEP_1)
	v_mul_f64 v[182:183], v[180:181], v[178:179]
	v_fma_f64 v[176:177], -v[176:177], v[182:183], v[180:181]
	s_delay_alu instid0(VALU_DEP_1) | instskip(NEXT) | instid1(VALU_DEP_1)
	v_div_fmas_f64 v[176:177], v[176:177], v[178:179], v[182:183]
	v_div_fixup_f64 v[116:117], v[176:177], v[116:117], 1.0
	s_delay_alu instid0(VALU_DEP_1)
	v_mul_f64 v[182:183], v[118:119], -v[116:117]
.LBB57_142:
	s_or_b32 exec_lo, exec_lo, s3
	ds_store_2addr_b64 v245, v[116:117], v[182:183] offset1:1
.LBB57_143:
	s_or_b32 exec_lo, exec_lo, s4
	s_waitcnt lgkmcnt(0)
	s_barrier
	buffer_gl0_inv
	ds_load_2addr_b64 v[176:179], v245 offset1:1
	s_mov_b32 s3, exec_lo
	v_cmpx_lt_u32_e32 15, v244
	s_cbranch_execz .LBB57_145
; %bb.144:
	s_waitcnt lgkmcnt(0)
	v_mul_f64 v[116:117], v[176:177], v[54:55]
	v_mul_f64 v[54:55], v[178:179], v[54:55]
	s_delay_alu instid0(VALU_DEP_2) | instskip(SKIP_4) | instid1(VALU_DEP_1)
	v_fma_f64 v[180:181], v[178:179], v[52:53], v[116:117]
	ds_load_2addr_b64 v[116:119], v246 offset0:32 offset1:33
	v_fma_f64 v[52:53], v[176:177], v[52:53], -v[54:55]
	s_waitcnt lgkmcnt(0)
	v_mul_f64 v[54:55], v[118:119], v[180:181]
	v_fma_f64 v[54:55], v[116:117], v[52:53], -v[54:55]
	v_mul_f64 v[116:117], v[116:117], v[180:181]
	s_delay_alu instid0(VALU_DEP_2) | instskip(NEXT) | instid1(VALU_DEP_2)
	v_add_f64 v[48:49], v[48:49], -v[54:55]
	v_fma_f64 v[116:117], v[118:119], v[52:53], v[116:117]
	s_delay_alu instid0(VALU_DEP_1) | instskip(SKIP_3) | instid1(VALU_DEP_1)
	v_add_f64 v[50:51], v[50:51], -v[116:117]
	ds_load_2addr_b64 v[116:119], v246 offset0:34 offset1:35
	s_waitcnt lgkmcnt(0)
	v_mul_f64 v[54:55], v[118:119], v[180:181]
	v_fma_f64 v[54:55], v[116:117], v[52:53], -v[54:55]
	v_mul_f64 v[116:117], v[116:117], v[180:181]
	s_delay_alu instid0(VALU_DEP_2) | instskip(NEXT) | instid1(VALU_DEP_2)
	v_add_f64 v[44:45], v[44:45], -v[54:55]
	v_fma_f64 v[116:117], v[118:119], v[52:53], v[116:117]
	s_delay_alu instid0(VALU_DEP_1) | instskip(SKIP_3) | instid1(VALU_DEP_1)
	v_add_f64 v[46:47], v[46:47], -v[116:117]
	ds_load_2addr_b64 v[116:119], v246 offset0:36 offset1:37
	;; [unrolled: 10-line block ×12, first 2 shown]
	s_waitcnt lgkmcnt(0)
	v_mul_f64 v[54:55], v[118:119], v[180:181]
	v_fma_f64 v[54:55], v[116:117], v[52:53], -v[54:55]
	v_mul_f64 v[116:117], v[116:117], v[180:181]
	s_delay_alu instid0(VALU_DEP_2) | instskip(NEXT) | instid1(VALU_DEP_2)
	v_add_f64 v[0:1], v[0:1], -v[54:55]
	v_fma_f64 v[116:117], v[118:119], v[52:53], v[116:117]
	v_dual_mov_b32 v54, v180 :: v_dual_mov_b32 v55, v181
	s_delay_alu instid0(VALU_DEP_2)
	v_add_f64 v[2:3], v[2:3], -v[116:117]
.LBB57_145:
	s_or_b32 exec_lo, exec_lo, s3
	s_delay_alu instid0(SALU_CYCLE_1)
	s_mov_b32 s4, exec_lo
	s_waitcnt lgkmcnt(0)
	s_barrier
	buffer_gl0_inv
	v_cmpx_eq_u32_e32 16, v244
	s_cbranch_execz .LBB57_152
; %bb.146:
	ds_store_2addr_b64 v245, v[48:49], v[50:51] offset1:1
	ds_store_2addr_b64 v246, v[44:45], v[46:47] offset0:34 offset1:35
	ds_store_2addr_b64 v246, v[40:41], v[42:43] offset0:36 offset1:37
	;; [unrolled: 1-line block ×12, first 2 shown]
	ds_load_2addr_b64 v[180:183], v245 offset1:1
	s_waitcnt lgkmcnt(0)
	v_cmp_neq_f64_e32 vcc_lo, 0, v[180:181]
	v_cmp_neq_f64_e64 s3, 0, v[182:183]
	s_delay_alu instid0(VALU_DEP_1) | instskip(NEXT) | instid1(SALU_CYCLE_1)
	s_or_b32 s3, vcc_lo, s3
	s_and_b32 exec_lo, exec_lo, s3
	s_cbranch_execz .LBB57_152
; %bb.147:
	v_cmp_gt_f64_e32 vcc_lo, 0, v[180:181]
	v_cmp_gt_f64_e64 s3, 0, v[182:183]
	v_xor_b32_e32 v116, 0x80000000, v181
	v_xor_b32_e32 v118, 0x80000000, v183
	s_delay_alu instid0(VALU_DEP_2) | instskip(NEXT) | instid1(VALU_DEP_2)
	v_cndmask_b32_e32 v117, v181, v116, vcc_lo
	v_cndmask_b32_e64 v119, v183, v118, s3
	v_cndmask_b32_e32 v116, v180, v180, vcc_lo
	v_cndmask_b32_e64 v118, v182, v182, s3
	s_delay_alu instid0(VALU_DEP_1) | instskip(SKIP_1) | instid1(SALU_CYCLE_1)
	v_cmp_ngt_f64_e32 vcc_lo, v[116:117], v[118:119]
                                        ; implicit-def: $vgpr116_vgpr117
	s_and_saveexec_b32 s3, vcc_lo
	s_xor_b32 s3, exec_lo, s3
                                        ; implicit-def: $vgpr184_vgpr185_vgpr186_vgpr187
	s_cbranch_execz .LBB57_149
; %bb.148:
	v_div_scale_f64 v[116:117], null, v[182:183], v[182:183], v[180:181]
	v_div_scale_f64 v[186:187], vcc_lo, v[180:181], v[182:183], v[180:181]
	s_delay_alu instid0(VALU_DEP_2) | instskip(SKIP_2) | instid1(VALU_DEP_1)
	v_rcp_f64_e32 v[118:119], v[116:117]
	s_waitcnt_depctr 0xfff
	v_fma_f64 v[184:185], -v[116:117], v[118:119], 1.0
	v_fma_f64 v[118:119], v[118:119], v[184:185], v[118:119]
	s_delay_alu instid0(VALU_DEP_1) | instskip(NEXT) | instid1(VALU_DEP_1)
	v_fma_f64 v[184:185], -v[116:117], v[118:119], 1.0
	v_fma_f64 v[118:119], v[118:119], v[184:185], v[118:119]
	s_delay_alu instid0(VALU_DEP_1) | instskip(NEXT) | instid1(VALU_DEP_1)
	v_mul_f64 v[184:185], v[186:187], v[118:119]
	v_fma_f64 v[116:117], -v[116:117], v[184:185], v[186:187]
	s_delay_alu instid0(VALU_DEP_1) | instskip(NEXT) | instid1(VALU_DEP_1)
	v_div_fmas_f64 v[116:117], v[116:117], v[118:119], v[184:185]
	v_div_fixup_f64 v[116:117], v[116:117], v[182:183], v[180:181]
	s_delay_alu instid0(VALU_DEP_1) | instskip(NEXT) | instid1(VALU_DEP_1)
	v_fma_f64 v[118:119], v[180:181], v[116:117], v[182:183]
	v_div_scale_f64 v[180:181], null, v[118:119], v[118:119], 1.0
	s_delay_alu instid0(VALU_DEP_1) | instskip(SKIP_2) | instid1(VALU_DEP_1)
	v_rcp_f64_e32 v[182:183], v[180:181]
	s_waitcnt_depctr 0xfff
	v_fma_f64 v[184:185], -v[180:181], v[182:183], 1.0
	v_fma_f64 v[182:183], v[182:183], v[184:185], v[182:183]
	s_delay_alu instid0(VALU_DEP_1) | instskip(NEXT) | instid1(VALU_DEP_1)
	v_fma_f64 v[184:185], -v[180:181], v[182:183], 1.0
	v_fma_f64 v[182:183], v[182:183], v[184:185], v[182:183]
	v_div_scale_f64 v[184:185], vcc_lo, 1.0, v[118:119], 1.0
	s_delay_alu instid0(VALU_DEP_1) | instskip(NEXT) | instid1(VALU_DEP_1)
	v_mul_f64 v[186:187], v[184:185], v[182:183]
	v_fma_f64 v[180:181], -v[180:181], v[186:187], v[184:185]
	s_delay_alu instid0(VALU_DEP_1) | instskip(NEXT) | instid1(VALU_DEP_1)
	v_div_fmas_f64 v[180:181], v[180:181], v[182:183], v[186:187]
	v_div_fixup_f64 v[186:187], v[180:181], v[118:119], 1.0
                                        ; implicit-def: $vgpr180_vgpr181
	s_delay_alu instid0(VALU_DEP_1)
	v_mul_f64 v[116:117], v[116:117], v[186:187]
	v_xor_b32_e32 v187, 0x80000000, v187
.LBB57_149:
	s_and_not1_saveexec_b32 s3, s3
	s_cbranch_execz .LBB57_151
; %bb.150:
	v_div_scale_f64 v[116:117], null, v[180:181], v[180:181], v[182:183]
	v_div_scale_f64 v[186:187], vcc_lo, v[182:183], v[180:181], v[182:183]
	s_delay_alu instid0(VALU_DEP_2) | instskip(SKIP_2) | instid1(VALU_DEP_1)
	v_rcp_f64_e32 v[118:119], v[116:117]
	s_waitcnt_depctr 0xfff
	v_fma_f64 v[184:185], -v[116:117], v[118:119], 1.0
	v_fma_f64 v[118:119], v[118:119], v[184:185], v[118:119]
	s_delay_alu instid0(VALU_DEP_1) | instskip(NEXT) | instid1(VALU_DEP_1)
	v_fma_f64 v[184:185], -v[116:117], v[118:119], 1.0
	v_fma_f64 v[118:119], v[118:119], v[184:185], v[118:119]
	s_delay_alu instid0(VALU_DEP_1) | instskip(NEXT) | instid1(VALU_DEP_1)
	v_mul_f64 v[184:185], v[186:187], v[118:119]
	v_fma_f64 v[116:117], -v[116:117], v[184:185], v[186:187]
	s_delay_alu instid0(VALU_DEP_1) | instskip(NEXT) | instid1(VALU_DEP_1)
	v_div_fmas_f64 v[116:117], v[116:117], v[118:119], v[184:185]
	v_div_fixup_f64 v[118:119], v[116:117], v[180:181], v[182:183]
	s_delay_alu instid0(VALU_DEP_1) | instskip(NEXT) | instid1(VALU_DEP_1)
	v_fma_f64 v[116:117], v[182:183], v[118:119], v[180:181]
	v_div_scale_f64 v[180:181], null, v[116:117], v[116:117], 1.0
	s_delay_alu instid0(VALU_DEP_1) | instskip(SKIP_2) | instid1(VALU_DEP_1)
	v_rcp_f64_e32 v[182:183], v[180:181]
	s_waitcnt_depctr 0xfff
	v_fma_f64 v[184:185], -v[180:181], v[182:183], 1.0
	v_fma_f64 v[182:183], v[182:183], v[184:185], v[182:183]
	s_delay_alu instid0(VALU_DEP_1) | instskip(NEXT) | instid1(VALU_DEP_1)
	v_fma_f64 v[184:185], -v[180:181], v[182:183], 1.0
	v_fma_f64 v[182:183], v[182:183], v[184:185], v[182:183]
	v_div_scale_f64 v[184:185], vcc_lo, 1.0, v[116:117], 1.0
	s_delay_alu instid0(VALU_DEP_1) | instskip(NEXT) | instid1(VALU_DEP_1)
	v_mul_f64 v[186:187], v[184:185], v[182:183]
	v_fma_f64 v[180:181], -v[180:181], v[186:187], v[184:185]
	s_delay_alu instid0(VALU_DEP_1) | instskip(NEXT) | instid1(VALU_DEP_1)
	v_div_fmas_f64 v[180:181], v[180:181], v[182:183], v[186:187]
	v_div_fixup_f64 v[116:117], v[180:181], v[116:117], 1.0
	s_delay_alu instid0(VALU_DEP_1)
	v_mul_f64 v[186:187], v[118:119], -v[116:117]
.LBB57_151:
	s_or_b32 exec_lo, exec_lo, s3
	ds_store_2addr_b64 v245, v[116:117], v[186:187] offset1:1
.LBB57_152:
	s_or_b32 exec_lo, exec_lo, s4
	s_waitcnt lgkmcnt(0)
	s_barrier
	buffer_gl0_inv
	ds_load_2addr_b64 v[180:183], v245 offset1:1
	s_mov_b32 s3, exec_lo
	v_cmpx_lt_u32_e32 16, v244
	s_cbranch_execz .LBB57_154
; %bb.153:
	s_waitcnt lgkmcnt(0)
	v_mul_f64 v[116:117], v[180:181], v[50:51]
	v_mul_f64 v[50:51], v[182:183], v[50:51]
	s_delay_alu instid0(VALU_DEP_2) | instskip(SKIP_4) | instid1(VALU_DEP_1)
	v_fma_f64 v[184:185], v[182:183], v[48:49], v[116:117]
	ds_load_2addr_b64 v[116:119], v246 offset0:34 offset1:35
	v_fma_f64 v[48:49], v[180:181], v[48:49], -v[50:51]
	s_waitcnt lgkmcnt(0)
	v_mul_f64 v[50:51], v[118:119], v[184:185]
	v_fma_f64 v[50:51], v[116:117], v[48:49], -v[50:51]
	v_mul_f64 v[116:117], v[116:117], v[184:185]
	s_delay_alu instid0(VALU_DEP_2) | instskip(NEXT) | instid1(VALU_DEP_2)
	v_add_f64 v[44:45], v[44:45], -v[50:51]
	v_fma_f64 v[116:117], v[118:119], v[48:49], v[116:117]
	s_delay_alu instid0(VALU_DEP_1) | instskip(SKIP_3) | instid1(VALU_DEP_1)
	v_add_f64 v[46:47], v[46:47], -v[116:117]
	ds_load_2addr_b64 v[116:119], v246 offset0:36 offset1:37
	s_waitcnt lgkmcnt(0)
	v_mul_f64 v[50:51], v[118:119], v[184:185]
	v_fma_f64 v[50:51], v[116:117], v[48:49], -v[50:51]
	v_mul_f64 v[116:117], v[116:117], v[184:185]
	s_delay_alu instid0(VALU_DEP_2) | instskip(NEXT) | instid1(VALU_DEP_2)
	v_add_f64 v[40:41], v[40:41], -v[50:51]
	v_fma_f64 v[116:117], v[118:119], v[48:49], v[116:117]
	s_delay_alu instid0(VALU_DEP_1) | instskip(SKIP_3) | instid1(VALU_DEP_1)
	v_add_f64 v[42:43], v[42:43], -v[116:117]
	ds_load_2addr_b64 v[116:119], v246 offset0:38 offset1:39
	;; [unrolled: 10-line block ×11, first 2 shown]
	s_waitcnt lgkmcnt(0)
	v_mul_f64 v[50:51], v[118:119], v[184:185]
	v_fma_f64 v[50:51], v[116:117], v[48:49], -v[50:51]
	v_mul_f64 v[116:117], v[116:117], v[184:185]
	s_delay_alu instid0(VALU_DEP_2) | instskip(NEXT) | instid1(VALU_DEP_2)
	v_add_f64 v[0:1], v[0:1], -v[50:51]
	v_fma_f64 v[116:117], v[118:119], v[48:49], v[116:117]
	v_dual_mov_b32 v50, v184 :: v_dual_mov_b32 v51, v185
	s_delay_alu instid0(VALU_DEP_2)
	v_add_f64 v[2:3], v[2:3], -v[116:117]
.LBB57_154:
	s_or_b32 exec_lo, exec_lo, s3
	s_delay_alu instid0(SALU_CYCLE_1)
	s_mov_b32 s4, exec_lo
	s_waitcnt lgkmcnt(0)
	s_barrier
	buffer_gl0_inv
	v_cmpx_eq_u32_e32 17, v244
	s_cbranch_execz .LBB57_161
; %bb.155:
	ds_store_2addr_b64 v245, v[44:45], v[46:47] offset1:1
	ds_store_2addr_b64 v246, v[40:41], v[42:43] offset0:36 offset1:37
	ds_store_2addr_b64 v246, v[36:37], v[38:39] offset0:38 offset1:39
	;; [unrolled: 1-line block ×11, first 2 shown]
	ds_load_2addr_b64 v[184:187], v245 offset1:1
	s_waitcnt lgkmcnt(0)
	v_cmp_neq_f64_e32 vcc_lo, 0, v[184:185]
	v_cmp_neq_f64_e64 s3, 0, v[186:187]
	s_delay_alu instid0(VALU_DEP_1) | instskip(NEXT) | instid1(SALU_CYCLE_1)
	s_or_b32 s3, vcc_lo, s3
	s_and_b32 exec_lo, exec_lo, s3
	s_cbranch_execz .LBB57_161
; %bb.156:
	v_cmp_gt_f64_e32 vcc_lo, 0, v[184:185]
	v_cmp_gt_f64_e64 s3, 0, v[186:187]
	v_xor_b32_e32 v116, 0x80000000, v185
	v_xor_b32_e32 v118, 0x80000000, v187
	s_delay_alu instid0(VALU_DEP_2) | instskip(NEXT) | instid1(VALU_DEP_2)
	v_cndmask_b32_e32 v117, v185, v116, vcc_lo
	v_cndmask_b32_e64 v119, v187, v118, s3
	v_cndmask_b32_e32 v116, v184, v184, vcc_lo
	v_cndmask_b32_e64 v118, v186, v186, s3
	s_delay_alu instid0(VALU_DEP_1) | instskip(SKIP_1) | instid1(SALU_CYCLE_1)
	v_cmp_ngt_f64_e32 vcc_lo, v[116:117], v[118:119]
                                        ; implicit-def: $vgpr116_vgpr117
	s_and_saveexec_b32 s3, vcc_lo
	s_xor_b32 s3, exec_lo, s3
                                        ; implicit-def: $vgpr188_vgpr189_vgpr190_vgpr191
	s_cbranch_execz .LBB57_158
; %bb.157:
	v_div_scale_f64 v[116:117], null, v[186:187], v[186:187], v[184:185]
	v_div_scale_f64 v[190:191], vcc_lo, v[184:185], v[186:187], v[184:185]
	s_delay_alu instid0(VALU_DEP_2) | instskip(SKIP_2) | instid1(VALU_DEP_1)
	v_rcp_f64_e32 v[118:119], v[116:117]
	s_waitcnt_depctr 0xfff
	v_fma_f64 v[188:189], -v[116:117], v[118:119], 1.0
	v_fma_f64 v[118:119], v[118:119], v[188:189], v[118:119]
	s_delay_alu instid0(VALU_DEP_1) | instskip(NEXT) | instid1(VALU_DEP_1)
	v_fma_f64 v[188:189], -v[116:117], v[118:119], 1.0
	v_fma_f64 v[118:119], v[118:119], v[188:189], v[118:119]
	s_delay_alu instid0(VALU_DEP_1) | instskip(NEXT) | instid1(VALU_DEP_1)
	v_mul_f64 v[188:189], v[190:191], v[118:119]
	v_fma_f64 v[116:117], -v[116:117], v[188:189], v[190:191]
	s_delay_alu instid0(VALU_DEP_1) | instskip(NEXT) | instid1(VALU_DEP_1)
	v_div_fmas_f64 v[116:117], v[116:117], v[118:119], v[188:189]
	v_div_fixup_f64 v[116:117], v[116:117], v[186:187], v[184:185]
	s_delay_alu instid0(VALU_DEP_1) | instskip(NEXT) | instid1(VALU_DEP_1)
	v_fma_f64 v[118:119], v[184:185], v[116:117], v[186:187]
	v_div_scale_f64 v[184:185], null, v[118:119], v[118:119], 1.0
	s_delay_alu instid0(VALU_DEP_1) | instskip(SKIP_2) | instid1(VALU_DEP_1)
	v_rcp_f64_e32 v[186:187], v[184:185]
	s_waitcnt_depctr 0xfff
	v_fma_f64 v[188:189], -v[184:185], v[186:187], 1.0
	v_fma_f64 v[186:187], v[186:187], v[188:189], v[186:187]
	s_delay_alu instid0(VALU_DEP_1) | instskip(NEXT) | instid1(VALU_DEP_1)
	v_fma_f64 v[188:189], -v[184:185], v[186:187], 1.0
	v_fma_f64 v[186:187], v[186:187], v[188:189], v[186:187]
	v_div_scale_f64 v[188:189], vcc_lo, 1.0, v[118:119], 1.0
	s_delay_alu instid0(VALU_DEP_1) | instskip(NEXT) | instid1(VALU_DEP_1)
	v_mul_f64 v[190:191], v[188:189], v[186:187]
	v_fma_f64 v[184:185], -v[184:185], v[190:191], v[188:189]
	s_delay_alu instid0(VALU_DEP_1) | instskip(NEXT) | instid1(VALU_DEP_1)
	v_div_fmas_f64 v[184:185], v[184:185], v[186:187], v[190:191]
	v_div_fixup_f64 v[190:191], v[184:185], v[118:119], 1.0
                                        ; implicit-def: $vgpr184_vgpr185
	s_delay_alu instid0(VALU_DEP_1)
	v_mul_f64 v[116:117], v[116:117], v[190:191]
	v_xor_b32_e32 v191, 0x80000000, v191
.LBB57_158:
	s_and_not1_saveexec_b32 s3, s3
	s_cbranch_execz .LBB57_160
; %bb.159:
	v_div_scale_f64 v[116:117], null, v[184:185], v[184:185], v[186:187]
	v_div_scale_f64 v[190:191], vcc_lo, v[186:187], v[184:185], v[186:187]
	s_delay_alu instid0(VALU_DEP_2) | instskip(SKIP_2) | instid1(VALU_DEP_1)
	v_rcp_f64_e32 v[118:119], v[116:117]
	s_waitcnt_depctr 0xfff
	v_fma_f64 v[188:189], -v[116:117], v[118:119], 1.0
	v_fma_f64 v[118:119], v[118:119], v[188:189], v[118:119]
	s_delay_alu instid0(VALU_DEP_1) | instskip(NEXT) | instid1(VALU_DEP_1)
	v_fma_f64 v[188:189], -v[116:117], v[118:119], 1.0
	v_fma_f64 v[118:119], v[118:119], v[188:189], v[118:119]
	s_delay_alu instid0(VALU_DEP_1) | instskip(NEXT) | instid1(VALU_DEP_1)
	v_mul_f64 v[188:189], v[190:191], v[118:119]
	v_fma_f64 v[116:117], -v[116:117], v[188:189], v[190:191]
	s_delay_alu instid0(VALU_DEP_1) | instskip(NEXT) | instid1(VALU_DEP_1)
	v_div_fmas_f64 v[116:117], v[116:117], v[118:119], v[188:189]
	v_div_fixup_f64 v[118:119], v[116:117], v[184:185], v[186:187]
	s_delay_alu instid0(VALU_DEP_1) | instskip(NEXT) | instid1(VALU_DEP_1)
	v_fma_f64 v[116:117], v[186:187], v[118:119], v[184:185]
	v_div_scale_f64 v[184:185], null, v[116:117], v[116:117], 1.0
	s_delay_alu instid0(VALU_DEP_1) | instskip(SKIP_2) | instid1(VALU_DEP_1)
	v_rcp_f64_e32 v[186:187], v[184:185]
	s_waitcnt_depctr 0xfff
	v_fma_f64 v[188:189], -v[184:185], v[186:187], 1.0
	v_fma_f64 v[186:187], v[186:187], v[188:189], v[186:187]
	s_delay_alu instid0(VALU_DEP_1) | instskip(NEXT) | instid1(VALU_DEP_1)
	v_fma_f64 v[188:189], -v[184:185], v[186:187], 1.0
	v_fma_f64 v[186:187], v[186:187], v[188:189], v[186:187]
	v_div_scale_f64 v[188:189], vcc_lo, 1.0, v[116:117], 1.0
	s_delay_alu instid0(VALU_DEP_1) | instskip(NEXT) | instid1(VALU_DEP_1)
	v_mul_f64 v[190:191], v[188:189], v[186:187]
	v_fma_f64 v[184:185], -v[184:185], v[190:191], v[188:189]
	s_delay_alu instid0(VALU_DEP_1) | instskip(NEXT) | instid1(VALU_DEP_1)
	v_div_fmas_f64 v[184:185], v[184:185], v[186:187], v[190:191]
	v_div_fixup_f64 v[116:117], v[184:185], v[116:117], 1.0
	s_delay_alu instid0(VALU_DEP_1)
	v_mul_f64 v[190:191], v[118:119], -v[116:117]
.LBB57_160:
	s_or_b32 exec_lo, exec_lo, s3
	ds_store_2addr_b64 v245, v[116:117], v[190:191] offset1:1
.LBB57_161:
	s_or_b32 exec_lo, exec_lo, s4
	s_waitcnt lgkmcnt(0)
	s_barrier
	buffer_gl0_inv
	ds_load_2addr_b64 v[184:187], v245 offset1:1
	s_mov_b32 s3, exec_lo
	v_cmpx_lt_u32_e32 17, v244
	s_cbranch_execz .LBB57_163
; %bb.162:
	s_waitcnt lgkmcnt(0)
	v_mul_f64 v[116:117], v[184:185], v[46:47]
	v_mul_f64 v[46:47], v[186:187], v[46:47]
	s_delay_alu instid0(VALU_DEP_2) | instskip(SKIP_4) | instid1(VALU_DEP_1)
	v_fma_f64 v[188:189], v[186:187], v[44:45], v[116:117]
	ds_load_2addr_b64 v[116:119], v246 offset0:36 offset1:37
	v_fma_f64 v[44:45], v[184:185], v[44:45], -v[46:47]
	s_waitcnt lgkmcnt(0)
	v_mul_f64 v[46:47], v[118:119], v[188:189]
	v_fma_f64 v[46:47], v[116:117], v[44:45], -v[46:47]
	v_mul_f64 v[116:117], v[116:117], v[188:189]
	s_delay_alu instid0(VALU_DEP_2) | instskip(NEXT) | instid1(VALU_DEP_2)
	v_add_f64 v[40:41], v[40:41], -v[46:47]
	v_fma_f64 v[116:117], v[118:119], v[44:45], v[116:117]
	s_delay_alu instid0(VALU_DEP_1) | instskip(SKIP_3) | instid1(VALU_DEP_1)
	v_add_f64 v[42:43], v[42:43], -v[116:117]
	ds_load_2addr_b64 v[116:119], v246 offset0:38 offset1:39
	s_waitcnt lgkmcnt(0)
	v_mul_f64 v[46:47], v[118:119], v[188:189]
	v_fma_f64 v[46:47], v[116:117], v[44:45], -v[46:47]
	v_mul_f64 v[116:117], v[116:117], v[188:189]
	s_delay_alu instid0(VALU_DEP_2) | instskip(NEXT) | instid1(VALU_DEP_2)
	v_add_f64 v[36:37], v[36:37], -v[46:47]
	v_fma_f64 v[116:117], v[118:119], v[44:45], v[116:117]
	s_delay_alu instid0(VALU_DEP_1) | instskip(SKIP_3) | instid1(VALU_DEP_1)
	v_add_f64 v[38:39], v[38:39], -v[116:117]
	ds_load_2addr_b64 v[116:119], v246 offset0:40 offset1:41
	;; [unrolled: 10-line block ×10, first 2 shown]
	s_waitcnt lgkmcnt(0)
	v_mul_f64 v[46:47], v[118:119], v[188:189]
	v_fma_f64 v[46:47], v[116:117], v[44:45], -v[46:47]
	v_mul_f64 v[116:117], v[116:117], v[188:189]
	s_delay_alu instid0(VALU_DEP_2) | instskip(NEXT) | instid1(VALU_DEP_2)
	v_add_f64 v[0:1], v[0:1], -v[46:47]
	v_fma_f64 v[116:117], v[118:119], v[44:45], v[116:117]
	v_dual_mov_b32 v46, v188 :: v_dual_mov_b32 v47, v189
	s_delay_alu instid0(VALU_DEP_2)
	v_add_f64 v[2:3], v[2:3], -v[116:117]
.LBB57_163:
	s_or_b32 exec_lo, exec_lo, s3
	s_delay_alu instid0(SALU_CYCLE_1)
	s_mov_b32 s4, exec_lo
	s_waitcnt lgkmcnt(0)
	s_barrier
	buffer_gl0_inv
	v_cmpx_eq_u32_e32 18, v244
	s_cbranch_execz .LBB57_170
; %bb.164:
	ds_store_2addr_b64 v245, v[40:41], v[42:43] offset1:1
	ds_store_2addr_b64 v246, v[36:37], v[38:39] offset0:38 offset1:39
	ds_store_2addr_b64 v246, v[32:33], v[34:35] offset0:40 offset1:41
	;; [unrolled: 1-line block ×10, first 2 shown]
	ds_load_2addr_b64 v[188:191], v245 offset1:1
	s_waitcnt lgkmcnt(0)
	v_cmp_neq_f64_e32 vcc_lo, 0, v[188:189]
	v_cmp_neq_f64_e64 s3, 0, v[190:191]
	s_delay_alu instid0(VALU_DEP_1) | instskip(NEXT) | instid1(SALU_CYCLE_1)
	s_or_b32 s3, vcc_lo, s3
	s_and_b32 exec_lo, exec_lo, s3
	s_cbranch_execz .LBB57_170
; %bb.165:
	v_cmp_gt_f64_e32 vcc_lo, 0, v[188:189]
	v_xor_b32_e32 v116, 0x80000000, v189
	v_xor_b32_e32 v118, 0x80000000, v191
	s_delay_alu instid0(VALU_DEP_2) | instskip(SKIP_2) | instid1(VALU_DEP_4)
	v_cndmask_b32_e32 v117, v189, v116, vcc_lo
	v_cndmask_b32_e32 v116, v188, v188, vcc_lo
	v_cmp_gt_f64_e32 vcc_lo, 0, v[190:191]
	v_cndmask_b32_e32 v119, v191, v118, vcc_lo
	v_cndmask_b32_e32 v118, v190, v190, vcc_lo
	s_delay_alu instid0(VALU_DEP_1) | instskip(SKIP_1) | instid1(SALU_CYCLE_1)
	v_cmp_ngt_f64_e32 vcc_lo, v[116:117], v[118:119]
                                        ; implicit-def: $vgpr116_vgpr117
	s_and_saveexec_b32 s3, vcc_lo
	s_xor_b32 s3, exec_lo, s3
                                        ; implicit-def: $vgpr192_vgpr193_vgpr194_vgpr195
	s_cbranch_execz .LBB57_167
; %bb.166:
	v_div_scale_f64 v[116:117], null, v[190:191], v[190:191], v[188:189]
	v_div_scale_f64 v[194:195], vcc_lo, v[188:189], v[190:191], v[188:189]
	s_delay_alu instid0(VALU_DEP_2) | instskip(SKIP_2) | instid1(VALU_DEP_1)
	v_rcp_f64_e32 v[118:119], v[116:117]
	s_waitcnt_depctr 0xfff
	v_fma_f64 v[192:193], -v[116:117], v[118:119], 1.0
	v_fma_f64 v[118:119], v[118:119], v[192:193], v[118:119]
	s_delay_alu instid0(VALU_DEP_1) | instskip(NEXT) | instid1(VALU_DEP_1)
	v_fma_f64 v[192:193], -v[116:117], v[118:119], 1.0
	v_fma_f64 v[118:119], v[118:119], v[192:193], v[118:119]
	s_delay_alu instid0(VALU_DEP_1) | instskip(NEXT) | instid1(VALU_DEP_1)
	v_mul_f64 v[192:193], v[194:195], v[118:119]
	v_fma_f64 v[116:117], -v[116:117], v[192:193], v[194:195]
	s_delay_alu instid0(VALU_DEP_1) | instskip(NEXT) | instid1(VALU_DEP_1)
	v_div_fmas_f64 v[116:117], v[116:117], v[118:119], v[192:193]
	v_div_fixup_f64 v[116:117], v[116:117], v[190:191], v[188:189]
	s_delay_alu instid0(VALU_DEP_1) | instskip(NEXT) | instid1(VALU_DEP_1)
	v_fma_f64 v[118:119], v[188:189], v[116:117], v[190:191]
	v_div_scale_f64 v[188:189], null, v[118:119], v[118:119], 1.0
	s_delay_alu instid0(VALU_DEP_1) | instskip(SKIP_2) | instid1(VALU_DEP_1)
	v_rcp_f64_e32 v[190:191], v[188:189]
	s_waitcnt_depctr 0xfff
	v_fma_f64 v[192:193], -v[188:189], v[190:191], 1.0
	v_fma_f64 v[190:191], v[190:191], v[192:193], v[190:191]
	s_delay_alu instid0(VALU_DEP_1) | instskip(NEXT) | instid1(VALU_DEP_1)
	v_fma_f64 v[192:193], -v[188:189], v[190:191], 1.0
	v_fma_f64 v[190:191], v[190:191], v[192:193], v[190:191]
	v_div_scale_f64 v[192:193], vcc_lo, 1.0, v[118:119], 1.0
	s_delay_alu instid0(VALU_DEP_1) | instskip(NEXT) | instid1(VALU_DEP_1)
	v_mul_f64 v[194:195], v[192:193], v[190:191]
	v_fma_f64 v[188:189], -v[188:189], v[194:195], v[192:193]
	s_delay_alu instid0(VALU_DEP_1) | instskip(NEXT) | instid1(VALU_DEP_1)
	v_div_fmas_f64 v[188:189], v[188:189], v[190:191], v[194:195]
	v_div_fixup_f64 v[194:195], v[188:189], v[118:119], 1.0
                                        ; implicit-def: $vgpr188_vgpr189
	s_delay_alu instid0(VALU_DEP_1)
	v_mul_f64 v[116:117], v[116:117], v[194:195]
	v_xor_b32_e32 v195, 0x80000000, v195
.LBB57_167:
	s_and_not1_saveexec_b32 s3, s3
	s_cbranch_execz .LBB57_169
; %bb.168:
	v_div_scale_f64 v[116:117], null, v[188:189], v[188:189], v[190:191]
	v_div_scale_f64 v[194:195], vcc_lo, v[190:191], v[188:189], v[190:191]
	s_delay_alu instid0(VALU_DEP_2) | instskip(SKIP_2) | instid1(VALU_DEP_1)
	v_rcp_f64_e32 v[118:119], v[116:117]
	s_waitcnt_depctr 0xfff
	v_fma_f64 v[192:193], -v[116:117], v[118:119], 1.0
	v_fma_f64 v[118:119], v[118:119], v[192:193], v[118:119]
	s_delay_alu instid0(VALU_DEP_1) | instskip(NEXT) | instid1(VALU_DEP_1)
	v_fma_f64 v[192:193], -v[116:117], v[118:119], 1.0
	v_fma_f64 v[118:119], v[118:119], v[192:193], v[118:119]
	s_delay_alu instid0(VALU_DEP_1) | instskip(NEXT) | instid1(VALU_DEP_1)
	v_mul_f64 v[192:193], v[194:195], v[118:119]
	v_fma_f64 v[116:117], -v[116:117], v[192:193], v[194:195]
	s_delay_alu instid0(VALU_DEP_1) | instskip(NEXT) | instid1(VALU_DEP_1)
	v_div_fmas_f64 v[116:117], v[116:117], v[118:119], v[192:193]
	v_div_fixup_f64 v[118:119], v[116:117], v[188:189], v[190:191]
	s_delay_alu instid0(VALU_DEP_1) | instskip(NEXT) | instid1(VALU_DEP_1)
	v_fma_f64 v[116:117], v[190:191], v[118:119], v[188:189]
	v_div_scale_f64 v[188:189], null, v[116:117], v[116:117], 1.0
	s_delay_alu instid0(VALU_DEP_1) | instskip(SKIP_2) | instid1(VALU_DEP_1)
	v_rcp_f64_e32 v[190:191], v[188:189]
	s_waitcnt_depctr 0xfff
	v_fma_f64 v[192:193], -v[188:189], v[190:191], 1.0
	v_fma_f64 v[190:191], v[190:191], v[192:193], v[190:191]
	s_delay_alu instid0(VALU_DEP_1) | instskip(NEXT) | instid1(VALU_DEP_1)
	v_fma_f64 v[192:193], -v[188:189], v[190:191], 1.0
	v_fma_f64 v[190:191], v[190:191], v[192:193], v[190:191]
	v_div_scale_f64 v[192:193], vcc_lo, 1.0, v[116:117], 1.0
	s_delay_alu instid0(VALU_DEP_1) | instskip(NEXT) | instid1(VALU_DEP_1)
	v_mul_f64 v[194:195], v[192:193], v[190:191]
	v_fma_f64 v[188:189], -v[188:189], v[194:195], v[192:193]
	s_delay_alu instid0(VALU_DEP_1) | instskip(NEXT) | instid1(VALU_DEP_1)
	v_div_fmas_f64 v[188:189], v[188:189], v[190:191], v[194:195]
	v_div_fixup_f64 v[116:117], v[188:189], v[116:117], 1.0
	s_delay_alu instid0(VALU_DEP_1)
	v_mul_f64 v[194:195], v[118:119], -v[116:117]
.LBB57_169:
	s_or_b32 exec_lo, exec_lo, s3
	ds_store_2addr_b64 v245, v[116:117], v[194:195] offset1:1
.LBB57_170:
	s_or_b32 exec_lo, exec_lo, s4
	s_waitcnt lgkmcnt(0)
	s_barrier
	buffer_gl0_inv
	ds_load_2addr_b64 v[188:191], v245 offset1:1
	s_mov_b32 s3, exec_lo
	v_cmpx_lt_u32_e32 18, v244
	s_cbranch_execz .LBB57_172
; %bb.171:
	s_waitcnt lgkmcnt(0)
	v_mul_f64 v[116:117], v[188:189], v[42:43]
	v_mul_f64 v[42:43], v[190:191], v[42:43]
	s_delay_alu instid0(VALU_DEP_2) | instskip(SKIP_4) | instid1(VALU_DEP_1)
	v_fma_f64 v[192:193], v[190:191], v[40:41], v[116:117]
	ds_load_2addr_b64 v[116:119], v246 offset0:38 offset1:39
	v_fma_f64 v[40:41], v[188:189], v[40:41], -v[42:43]
	s_waitcnt lgkmcnt(0)
	v_mul_f64 v[42:43], v[118:119], v[192:193]
	v_fma_f64 v[42:43], v[116:117], v[40:41], -v[42:43]
	v_mul_f64 v[116:117], v[116:117], v[192:193]
	s_delay_alu instid0(VALU_DEP_2) | instskip(NEXT) | instid1(VALU_DEP_2)
	v_add_f64 v[36:37], v[36:37], -v[42:43]
	v_fma_f64 v[116:117], v[118:119], v[40:41], v[116:117]
	s_delay_alu instid0(VALU_DEP_1) | instskip(SKIP_3) | instid1(VALU_DEP_1)
	v_add_f64 v[38:39], v[38:39], -v[116:117]
	ds_load_2addr_b64 v[116:119], v246 offset0:40 offset1:41
	s_waitcnt lgkmcnt(0)
	v_mul_f64 v[42:43], v[118:119], v[192:193]
	v_fma_f64 v[42:43], v[116:117], v[40:41], -v[42:43]
	v_mul_f64 v[116:117], v[116:117], v[192:193]
	s_delay_alu instid0(VALU_DEP_2) | instskip(NEXT) | instid1(VALU_DEP_2)
	v_add_f64 v[32:33], v[32:33], -v[42:43]
	v_fma_f64 v[116:117], v[118:119], v[40:41], v[116:117]
	s_delay_alu instid0(VALU_DEP_1) | instskip(SKIP_3) | instid1(VALU_DEP_1)
	v_add_f64 v[34:35], v[34:35], -v[116:117]
	ds_load_2addr_b64 v[116:119], v246 offset0:42 offset1:43
	;; [unrolled: 10-line block ×9, first 2 shown]
	s_waitcnt lgkmcnt(0)
	v_mul_f64 v[42:43], v[118:119], v[192:193]
	v_fma_f64 v[42:43], v[116:117], v[40:41], -v[42:43]
	v_mul_f64 v[116:117], v[116:117], v[192:193]
	s_delay_alu instid0(VALU_DEP_2) | instskip(NEXT) | instid1(VALU_DEP_2)
	v_add_f64 v[0:1], v[0:1], -v[42:43]
	v_fma_f64 v[116:117], v[118:119], v[40:41], v[116:117]
	v_dual_mov_b32 v42, v192 :: v_dual_mov_b32 v43, v193
	s_delay_alu instid0(VALU_DEP_2)
	v_add_f64 v[2:3], v[2:3], -v[116:117]
.LBB57_172:
	s_or_b32 exec_lo, exec_lo, s3
	s_delay_alu instid0(SALU_CYCLE_1)
	s_mov_b32 s4, exec_lo
	s_waitcnt lgkmcnt(0)
	s_barrier
	buffer_gl0_inv
	v_cmpx_eq_u32_e32 19, v244
	s_cbranch_execz .LBB57_179
; %bb.173:
	ds_store_2addr_b64 v245, v[36:37], v[38:39] offset1:1
	ds_store_2addr_b64 v246, v[32:33], v[34:35] offset0:40 offset1:41
	ds_store_2addr_b64 v246, v[28:29], v[30:31] offset0:42 offset1:43
	;; [unrolled: 1-line block ×9, first 2 shown]
	ds_load_2addr_b64 v[192:195], v245 offset1:1
	s_waitcnt lgkmcnt(0)
	v_cmp_neq_f64_e32 vcc_lo, 0, v[192:193]
	v_cmp_neq_f64_e64 s3, 0, v[194:195]
	s_delay_alu instid0(VALU_DEP_1) | instskip(NEXT) | instid1(SALU_CYCLE_1)
	s_or_b32 s3, vcc_lo, s3
	s_and_b32 exec_lo, exec_lo, s3
	s_cbranch_execz .LBB57_179
; %bb.174:
	v_cmp_gt_f64_e32 vcc_lo, 0, v[192:193]
	v_xor_b32_e32 v116, 0x80000000, v193
	v_xor_b32_e32 v118, 0x80000000, v195
	s_delay_alu instid0(VALU_DEP_2) | instskip(SKIP_2) | instid1(VALU_DEP_4)
	v_cndmask_b32_e32 v117, v193, v116, vcc_lo
	v_cndmask_b32_e32 v116, v192, v192, vcc_lo
	v_cmp_gt_f64_e32 vcc_lo, 0, v[194:195]
	v_cndmask_b32_e32 v119, v195, v118, vcc_lo
	v_cndmask_b32_e32 v118, v194, v194, vcc_lo
	s_delay_alu instid0(VALU_DEP_1) | instskip(SKIP_1) | instid1(SALU_CYCLE_1)
	v_cmp_ngt_f64_e32 vcc_lo, v[116:117], v[118:119]
                                        ; implicit-def: $vgpr116_vgpr117
	s_and_saveexec_b32 s3, vcc_lo
	s_xor_b32 s3, exec_lo, s3
                                        ; implicit-def: $vgpr196_vgpr197_vgpr198_vgpr199
	s_cbranch_execz .LBB57_176
; %bb.175:
	v_div_scale_f64 v[116:117], null, v[194:195], v[194:195], v[192:193]
	v_div_scale_f64 v[198:199], vcc_lo, v[192:193], v[194:195], v[192:193]
	s_delay_alu instid0(VALU_DEP_2) | instskip(SKIP_2) | instid1(VALU_DEP_1)
	v_rcp_f64_e32 v[118:119], v[116:117]
	s_waitcnt_depctr 0xfff
	v_fma_f64 v[196:197], -v[116:117], v[118:119], 1.0
	v_fma_f64 v[118:119], v[118:119], v[196:197], v[118:119]
	s_delay_alu instid0(VALU_DEP_1) | instskip(NEXT) | instid1(VALU_DEP_1)
	v_fma_f64 v[196:197], -v[116:117], v[118:119], 1.0
	v_fma_f64 v[118:119], v[118:119], v[196:197], v[118:119]
	s_delay_alu instid0(VALU_DEP_1) | instskip(NEXT) | instid1(VALU_DEP_1)
	v_mul_f64 v[196:197], v[198:199], v[118:119]
	v_fma_f64 v[116:117], -v[116:117], v[196:197], v[198:199]
	s_delay_alu instid0(VALU_DEP_1) | instskip(NEXT) | instid1(VALU_DEP_1)
	v_div_fmas_f64 v[116:117], v[116:117], v[118:119], v[196:197]
	v_div_fixup_f64 v[116:117], v[116:117], v[194:195], v[192:193]
	s_delay_alu instid0(VALU_DEP_1) | instskip(NEXT) | instid1(VALU_DEP_1)
	v_fma_f64 v[118:119], v[192:193], v[116:117], v[194:195]
	v_div_scale_f64 v[192:193], null, v[118:119], v[118:119], 1.0
	s_delay_alu instid0(VALU_DEP_1) | instskip(SKIP_2) | instid1(VALU_DEP_1)
	v_rcp_f64_e32 v[194:195], v[192:193]
	s_waitcnt_depctr 0xfff
	v_fma_f64 v[196:197], -v[192:193], v[194:195], 1.0
	v_fma_f64 v[194:195], v[194:195], v[196:197], v[194:195]
	s_delay_alu instid0(VALU_DEP_1) | instskip(NEXT) | instid1(VALU_DEP_1)
	v_fma_f64 v[196:197], -v[192:193], v[194:195], 1.0
	v_fma_f64 v[194:195], v[194:195], v[196:197], v[194:195]
	v_div_scale_f64 v[196:197], vcc_lo, 1.0, v[118:119], 1.0
	s_delay_alu instid0(VALU_DEP_1) | instskip(NEXT) | instid1(VALU_DEP_1)
	v_mul_f64 v[198:199], v[196:197], v[194:195]
	v_fma_f64 v[192:193], -v[192:193], v[198:199], v[196:197]
	s_delay_alu instid0(VALU_DEP_1) | instskip(NEXT) | instid1(VALU_DEP_1)
	v_div_fmas_f64 v[192:193], v[192:193], v[194:195], v[198:199]
	v_div_fixup_f64 v[198:199], v[192:193], v[118:119], 1.0
                                        ; implicit-def: $vgpr192_vgpr193
	s_delay_alu instid0(VALU_DEP_1)
	v_mul_f64 v[116:117], v[116:117], v[198:199]
	v_xor_b32_e32 v199, 0x80000000, v199
.LBB57_176:
	s_and_not1_saveexec_b32 s3, s3
	s_cbranch_execz .LBB57_178
; %bb.177:
	v_div_scale_f64 v[116:117], null, v[192:193], v[192:193], v[194:195]
	v_div_scale_f64 v[198:199], vcc_lo, v[194:195], v[192:193], v[194:195]
	s_delay_alu instid0(VALU_DEP_2) | instskip(SKIP_2) | instid1(VALU_DEP_1)
	v_rcp_f64_e32 v[118:119], v[116:117]
	s_waitcnt_depctr 0xfff
	v_fma_f64 v[196:197], -v[116:117], v[118:119], 1.0
	v_fma_f64 v[118:119], v[118:119], v[196:197], v[118:119]
	s_delay_alu instid0(VALU_DEP_1) | instskip(NEXT) | instid1(VALU_DEP_1)
	v_fma_f64 v[196:197], -v[116:117], v[118:119], 1.0
	v_fma_f64 v[118:119], v[118:119], v[196:197], v[118:119]
	s_delay_alu instid0(VALU_DEP_1) | instskip(NEXT) | instid1(VALU_DEP_1)
	v_mul_f64 v[196:197], v[198:199], v[118:119]
	v_fma_f64 v[116:117], -v[116:117], v[196:197], v[198:199]
	s_delay_alu instid0(VALU_DEP_1) | instskip(NEXT) | instid1(VALU_DEP_1)
	v_div_fmas_f64 v[116:117], v[116:117], v[118:119], v[196:197]
	v_div_fixup_f64 v[118:119], v[116:117], v[192:193], v[194:195]
	s_delay_alu instid0(VALU_DEP_1) | instskip(NEXT) | instid1(VALU_DEP_1)
	v_fma_f64 v[116:117], v[194:195], v[118:119], v[192:193]
	v_div_scale_f64 v[192:193], null, v[116:117], v[116:117], 1.0
	s_delay_alu instid0(VALU_DEP_1) | instskip(SKIP_2) | instid1(VALU_DEP_1)
	v_rcp_f64_e32 v[194:195], v[192:193]
	s_waitcnt_depctr 0xfff
	v_fma_f64 v[196:197], -v[192:193], v[194:195], 1.0
	v_fma_f64 v[194:195], v[194:195], v[196:197], v[194:195]
	s_delay_alu instid0(VALU_DEP_1) | instskip(NEXT) | instid1(VALU_DEP_1)
	v_fma_f64 v[196:197], -v[192:193], v[194:195], 1.0
	v_fma_f64 v[194:195], v[194:195], v[196:197], v[194:195]
	v_div_scale_f64 v[196:197], vcc_lo, 1.0, v[116:117], 1.0
	s_delay_alu instid0(VALU_DEP_1) | instskip(NEXT) | instid1(VALU_DEP_1)
	v_mul_f64 v[198:199], v[196:197], v[194:195]
	v_fma_f64 v[192:193], -v[192:193], v[198:199], v[196:197]
	s_delay_alu instid0(VALU_DEP_1) | instskip(NEXT) | instid1(VALU_DEP_1)
	v_div_fmas_f64 v[192:193], v[192:193], v[194:195], v[198:199]
	v_div_fixup_f64 v[116:117], v[192:193], v[116:117], 1.0
	s_delay_alu instid0(VALU_DEP_1)
	v_mul_f64 v[198:199], v[118:119], -v[116:117]
.LBB57_178:
	s_or_b32 exec_lo, exec_lo, s3
	ds_store_2addr_b64 v245, v[116:117], v[198:199] offset1:1
.LBB57_179:
	s_or_b32 exec_lo, exec_lo, s4
	s_waitcnt lgkmcnt(0)
	s_barrier
	buffer_gl0_inv
	ds_load_2addr_b64 v[192:195], v245 offset1:1
	s_mov_b32 s3, exec_lo
	v_cmpx_lt_u32_e32 19, v244
	s_cbranch_execz .LBB57_181
; %bb.180:
	s_waitcnt lgkmcnt(0)
	v_mul_f64 v[116:117], v[192:193], v[38:39]
	v_mul_f64 v[38:39], v[194:195], v[38:39]
	s_delay_alu instid0(VALU_DEP_2) | instskip(SKIP_4) | instid1(VALU_DEP_1)
	v_fma_f64 v[196:197], v[194:195], v[36:37], v[116:117]
	ds_load_2addr_b64 v[116:119], v246 offset0:40 offset1:41
	v_fma_f64 v[36:37], v[192:193], v[36:37], -v[38:39]
	s_waitcnt lgkmcnt(0)
	v_mul_f64 v[38:39], v[118:119], v[196:197]
	v_fma_f64 v[38:39], v[116:117], v[36:37], -v[38:39]
	v_mul_f64 v[116:117], v[116:117], v[196:197]
	s_delay_alu instid0(VALU_DEP_2) | instskip(NEXT) | instid1(VALU_DEP_2)
	v_add_f64 v[32:33], v[32:33], -v[38:39]
	v_fma_f64 v[116:117], v[118:119], v[36:37], v[116:117]
	s_delay_alu instid0(VALU_DEP_1) | instskip(SKIP_3) | instid1(VALU_DEP_1)
	v_add_f64 v[34:35], v[34:35], -v[116:117]
	ds_load_2addr_b64 v[116:119], v246 offset0:42 offset1:43
	s_waitcnt lgkmcnt(0)
	v_mul_f64 v[38:39], v[118:119], v[196:197]
	v_fma_f64 v[38:39], v[116:117], v[36:37], -v[38:39]
	v_mul_f64 v[116:117], v[116:117], v[196:197]
	s_delay_alu instid0(VALU_DEP_2) | instskip(NEXT) | instid1(VALU_DEP_2)
	v_add_f64 v[28:29], v[28:29], -v[38:39]
	v_fma_f64 v[116:117], v[118:119], v[36:37], v[116:117]
	s_delay_alu instid0(VALU_DEP_1) | instskip(SKIP_3) | instid1(VALU_DEP_1)
	v_add_f64 v[30:31], v[30:31], -v[116:117]
	ds_load_2addr_b64 v[116:119], v246 offset0:44 offset1:45
	;; [unrolled: 10-line block ×8, first 2 shown]
	s_waitcnt lgkmcnt(0)
	v_mul_f64 v[38:39], v[118:119], v[196:197]
	v_fma_f64 v[38:39], v[116:117], v[36:37], -v[38:39]
	v_mul_f64 v[116:117], v[116:117], v[196:197]
	s_delay_alu instid0(VALU_DEP_2) | instskip(NEXT) | instid1(VALU_DEP_2)
	v_add_f64 v[0:1], v[0:1], -v[38:39]
	v_fma_f64 v[116:117], v[118:119], v[36:37], v[116:117]
	v_dual_mov_b32 v38, v196 :: v_dual_mov_b32 v39, v197
	s_delay_alu instid0(VALU_DEP_2)
	v_add_f64 v[2:3], v[2:3], -v[116:117]
.LBB57_181:
	s_or_b32 exec_lo, exec_lo, s3
	s_delay_alu instid0(SALU_CYCLE_1)
	s_mov_b32 s4, exec_lo
	s_waitcnt lgkmcnt(0)
	s_barrier
	buffer_gl0_inv
	v_cmpx_eq_u32_e32 20, v244
	s_cbranch_execz .LBB57_188
; %bb.182:
	ds_store_2addr_b64 v245, v[32:33], v[34:35] offset1:1
	ds_store_2addr_b64 v246, v[28:29], v[30:31] offset0:42 offset1:43
	ds_store_2addr_b64 v246, v[24:25], v[26:27] offset0:44 offset1:45
	;; [unrolled: 1-line block ×8, first 2 shown]
	ds_load_2addr_b64 v[196:199], v245 offset1:1
	s_waitcnt lgkmcnt(0)
	v_cmp_neq_f64_e32 vcc_lo, 0, v[196:197]
	v_cmp_neq_f64_e64 s3, 0, v[198:199]
	s_delay_alu instid0(VALU_DEP_1) | instskip(NEXT) | instid1(SALU_CYCLE_1)
	s_or_b32 s3, vcc_lo, s3
	s_and_b32 exec_lo, exec_lo, s3
	s_cbranch_execz .LBB57_188
; %bb.183:
	v_cmp_gt_f64_e32 vcc_lo, 0, v[196:197]
	v_xor_b32_e32 v116, 0x80000000, v197
	v_xor_b32_e32 v118, 0x80000000, v199
	s_delay_alu instid0(VALU_DEP_2) | instskip(SKIP_2) | instid1(VALU_DEP_4)
	v_cndmask_b32_e32 v117, v197, v116, vcc_lo
	v_cndmask_b32_e32 v116, v196, v196, vcc_lo
	v_cmp_gt_f64_e32 vcc_lo, 0, v[198:199]
	v_cndmask_b32_e32 v119, v199, v118, vcc_lo
	v_cndmask_b32_e32 v118, v198, v198, vcc_lo
	s_delay_alu instid0(VALU_DEP_1) | instskip(SKIP_1) | instid1(SALU_CYCLE_1)
	v_cmp_ngt_f64_e32 vcc_lo, v[116:117], v[118:119]
                                        ; implicit-def: $vgpr116_vgpr117
	s_and_saveexec_b32 s3, vcc_lo
	s_xor_b32 s3, exec_lo, s3
                                        ; implicit-def: $vgpr200_vgpr201_vgpr202_vgpr203
	s_cbranch_execz .LBB57_185
; %bb.184:
	v_div_scale_f64 v[116:117], null, v[198:199], v[198:199], v[196:197]
	v_div_scale_f64 v[202:203], vcc_lo, v[196:197], v[198:199], v[196:197]
	s_delay_alu instid0(VALU_DEP_2) | instskip(SKIP_2) | instid1(VALU_DEP_1)
	v_rcp_f64_e32 v[118:119], v[116:117]
	s_waitcnt_depctr 0xfff
	v_fma_f64 v[200:201], -v[116:117], v[118:119], 1.0
	v_fma_f64 v[118:119], v[118:119], v[200:201], v[118:119]
	s_delay_alu instid0(VALU_DEP_1) | instskip(NEXT) | instid1(VALU_DEP_1)
	v_fma_f64 v[200:201], -v[116:117], v[118:119], 1.0
	v_fma_f64 v[118:119], v[118:119], v[200:201], v[118:119]
	s_delay_alu instid0(VALU_DEP_1) | instskip(NEXT) | instid1(VALU_DEP_1)
	v_mul_f64 v[200:201], v[202:203], v[118:119]
	v_fma_f64 v[116:117], -v[116:117], v[200:201], v[202:203]
	s_delay_alu instid0(VALU_DEP_1) | instskip(NEXT) | instid1(VALU_DEP_1)
	v_div_fmas_f64 v[116:117], v[116:117], v[118:119], v[200:201]
	v_div_fixup_f64 v[116:117], v[116:117], v[198:199], v[196:197]
	s_delay_alu instid0(VALU_DEP_1) | instskip(NEXT) | instid1(VALU_DEP_1)
	v_fma_f64 v[118:119], v[196:197], v[116:117], v[198:199]
	v_div_scale_f64 v[196:197], null, v[118:119], v[118:119], 1.0
	s_delay_alu instid0(VALU_DEP_1) | instskip(SKIP_2) | instid1(VALU_DEP_1)
	v_rcp_f64_e32 v[198:199], v[196:197]
	s_waitcnt_depctr 0xfff
	v_fma_f64 v[200:201], -v[196:197], v[198:199], 1.0
	v_fma_f64 v[198:199], v[198:199], v[200:201], v[198:199]
	s_delay_alu instid0(VALU_DEP_1) | instskip(NEXT) | instid1(VALU_DEP_1)
	v_fma_f64 v[200:201], -v[196:197], v[198:199], 1.0
	v_fma_f64 v[198:199], v[198:199], v[200:201], v[198:199]
	v_div_scale_f64 v[200:201], vcc_lo, 1.0, v[118:119], 1.0
	s_delay_alu instid0(VALU_DEP_1) | instskip(NEXT) | instid1(VALU_DEP_1)
	v_mul_f64 v[202:203], v[200:201], v[198:199]
	v_fma_f64 v[196:197], -v[196:197], v[202:203], v[200:201]
	s_delay_alu instid0(VALU_DEP_1) | instskip(NEXT) | instid1(VALU_DEP_1)
	v_div_fmas_f64 v[196:197], v[196:197], v[198:199], v[202:203]
	v_div_fixup_f64 v[202:203], v[196:197], v[118:119], 1.0
                                        ; implicit-def: $vgpr196_vgpr197
	s_delay_alu instid0(VALU_DEP_1)
	v_mul_f64 v[116:117], v[116:117], v[202:203]
	v_xor_b32_e32 v203, 0x80000000, v203
.LBB57_185:
	s_and_not1_saveexec_b32 s3, s3
	s_cbranch_execz .LBB57_187
; %bb.186:
	v_div_scale_f64 v[116:117], null, v[196:197], v[196:197], v[198:199]
	v_div_scale_f64 v[202:203], vcc_lo, v[198:199], v[196:197], v[198:199]
	s_delay_alu instid0(VALU_DEP_2) | instskip(SKIP_2) | instid1(VALU_DEP_1)
	v_rcp_f64_e32 v[118:119], v[116:117]
	s_waitcnt_depctr 0xfff
	v_fma_f64 v[200:201], -v[116:117], v[118:119], 1.0
	v_fma_f64 v[118:119], v[118:119], v[200:201], v[118:119]
	s_delay_alu instid0(VALU_DEP_1) | instskip(NEXT) | instid1(VALU_DEP_1)
	v_fma_f64 v[200:201], -v[116:117], v[118:119], 1.0
	v_fma_f64 v[118:119], v[118:119], v[200:201], v[118:119]
	s_delay_alu instid0(VALU_DEP_1) | instskip(NEXT) | instid1(VALU_DEP_1)
	v_mul_f64 v[200:201], v[202:203], v[118:119]
	v_fma_f64 v[116:117], -v[116:117], v[200:201], v[202:203]
	s_delay_alu instid0(VALU_DEP_1) | instskip(NEXT) | instid1(VALU_DEP_1)
	v_div_fmas_f64 v[116:117], v[116:117], v[118:119], v[200:201]
	v_div_fixup_f64 v[118:119], v[116:117], v[196:197], v[198:199]
	s_delay_alu instid0(VALU_DEP_1) | instskip(NEXT) | instid1(VALU_DEP_1)
	v_fma_f64 v[116:117], v[198:199], v[118:119], v[196:197]
	v_div_scale_f64 v[196:197], null, v[116:117], v[116:117], 1.0
	s_delay_alu instid0(VALU_DEP_1) | instskip(SKIP_2) | instid1(VALU_DEP_1)
	v_rcp_f64_e32 v[198:199], v[196:197]
	s_waitcnt_depctr 0xfff
	v_fma_f64 v[200:201], -v[196:197], v[198:199], 1.0
	v_fma_f64 v[198:199], v[198:199], v[200:201], v[198:199]
	s_delay_alu instid0(VALU_DEP_1) | instskip(NEXT) | instid1(VALU_DEP_1)
	v_fma_f64 v[200:201], -v[196:197], v[198:199], 1.0
	v_fma_f64 v[198:199], v[198:199], v[200:201], v[198:199]
	v_div_scale_f64 v[200:201], vcc_lo, 1.0, v[116:117], 1.0
	s_delay_alu instid0(VALU_DEP_1) | instskip(NEXT) | instid1(VALU_DEP_1)
	v_mul_f64 v[202:203], v[200:201], v[198:199]
	v_fma_f64 v[196:197], -v[196:197], v[202:203], v[200:201]
	s_delay_alu instid0(VALU_DEP_1) | instskip(NEXT) | instid1(VALU_DEP_1)
	v_div_fmas_f64 v[196:197], v[196:197], v[198:199], v[202:203]
	v_div_fixup_f64 v[116:117], v[196:197], v[116:117], 1.0
	s_delay_alu instid0(VALU_DEP_1)
	v_mul_f64 v[202:203], v[118:119], -v[116:117]
.LBB57_187:
	s_or_b32 exec_lo, exec_lo, s3
	ds_store_2addr_b64 v245, v[116:117], v[202:203] offset1:1
.LBB57_188:
	s_or_b32 exec_lo, exec_lo, s4
	s_waitcnt lgkmcnt(0)
	s_barrier
	buffer_gl0_inv
	ds_load_2addr_b64 v[196:199], v245 offset1:1
	s_mov_b32 s3, exec_lo
	v_cmpx_lt_u32_e32 20, v244
	s_cbranch_execz .LBB57_190
; %bb.189:
	s_waitcnt lgkmcnt(0)
	v_mul_f64 v[116:117], v[196:197], v[34:35]
	v_mul_f64 v[34:35], v[198:199], v[34:35]
	s_delay_alu instid0(VALU_DEP_2) | instskip(SKIP_4) | instid1(VALU_DEP_1)
	v_fma_f64 v[200:201], v[198:199], v[32:33], v[116:117]
	ds_load_2addr_b64 v[116:119], v246 offset0:42 offset1:43
	v_fma_f64 v[32:33], v[196:197], v[32:33], -v[34:35]
	s_waitcnt lgkmcnt(0)
	v_mul_f64 v[34:35], v[118:119], v[200:201]
	v_fma_f64 v[34:35], v[116:117], v[32:33], -v[34:35]
	v_mul_f64 v[116:117], v[116:117], v[200:201]
	s_delay_alu instid0(VALU_DEP_2) | instskip(NEXT) | instid1(VALU_DEP_2)
	v_add_f64 v[28:29], v[28:29], -v[34:35]
	v_fma_f64 v[116:117], v[118:119], v[32:33], v[116:117]
	s_delay_alu instid0(VALU_DEP_1) | instskip(SKIP_3) | instid1(VALU_DEP_1)
	v_add_f64 v[30:31], v[30:31], -v[116:117]
	ds_load_2addr_b64 v[116:119], v246 offset0:44 offset1:45
	s_waitcnt lgkmcnt(0)
	v_mul_f64 v[34:35], v[118:119], v[200:201]
	v_fma_f64 v[34:35], v[116:117], v[32:33], -v[34:35]
	v_mul_f64 v[116:117], v[116:117], v[200:201]
	s_delay_alu instid0(VALU_DEP_2) | instskip(NEXT) | instid1(VALU_DEP_2)
	v_add_f64 v[24:25], v[24:25], -v[34:35]
	v_fma_f64 v[116:117], v[118:119], v[32:33], v[116:117]
	s_delay_alu instid0(VALU_DEP_1) | instskip(SKIP_3) | instid1(VALU_DEP_1)
	v_add_f64 v[26:27], v[26:27], -v[116:117]
	ds_load_2addr_b64 v[116:119], v246 offset0:46 offset1:47
	;; [unrolled: 10-line block ×7, first 2 shown]
	s_waitcnt lgkmcnt(0)
	v_mul_f64 v[34:35], v[118:119], v[200:201]
	v_fma_f64 v[34:35], v[116:117], v[32:33], -v[34:35]
	v_mul_f64 v[116:117], v[116:117], v[200:201]
	s_delay_alu instid0(VALU_DEP_2) | instskip(NEXT) | instid1(VALU_DEP_2)
	v_add_f64 v[0:1], v[0:1], -v[34:35]
	v_fma_f64 v[116:117], v[118:119], v[32:33], v[116:117]
	v_dual_mov_b32 v34, v200 :: v_dual_mov_b32 v35, v201
	s_delay_alu instid0(VALU_DEP_2)
	v_add_f64 v[2:3], v[2:3], -v[116:117]
.LBB57_190:
	s_or_b32 exec_lo, exec_lo, s3
	s_delay_alu instid0(SALU_CYCLE_1)
	s_mov_b32 s4, exec_lo
	s_waitcnt lgkmcnt(0)
	s_barrier
	buffer_gl0_inv
	v_cmpx_eq_u32_e32 21, v244
	s_cbranch_execz .LBB57_197
; %bb.191:
	ds_store_2addr_b64 v245, v[28:29], v[30:31] offset1:1
	ds_store_2addr_b64 v246, v[24:25], v[26:27] offset0:44 offset1:45
	ds_store_2addr_b64 v246, v[20:21], v[22:23] offset0:46 offset1:47
	;; [unrolled: 1-line block ×7, first 2 shown]
	ds_load_2addr_b64 v[200:203], v245 offset1:1
	s_waitcnt lgkmcnt(0)
	v_cmp_neq_f64_e32 vcc_lo, 0, v[200:201]
	v_cmp_neq_f64_e64 s3, 0, v[202:203]
	s_delay_alu instid0(VALU_DEP_1) | instskip(NEXT) | instid1(SALU_CYCLE_1)
	s_or_b32 s3, vcc_lo, s3
	s_and_b32 exec_lo, exec_lo, s3
	s_cbranch_execz .LBB57_197
; %bb.192:
	v_cmp_gt_f64_e32 vcc_lo, 0, v[200:201]
	v_xor_b32_e32 v116, 0x80000000, v201
	v_xor_b32_e32 v118, 0x80000000, v203
	s_delay_alu instid0(VALU_DEP_2) | instskip(SKIP_2) | instid1(VALU_DEP_4)
	v_cndmask_b32_e32 v117, v201, v116, vcc_lo
	v_cndmask_b32_e32 v116, v200, v200, vcc_lo
	v_cmp_gt_f64_e32 vcc_lo, 0, v[202:203]
	v_cndmask_b32_e32 v119, v203, v118, vcc_lo
	v_cndmask_b32_e32 v118, v202, v202, vcc_lo
	s_delay_alu instid0(VALU_DEP_1) | instskip(SKIP_1) | instid1(SALU_CYCLE_1)
	v_cmp_ngt_f64_e32 vcc_lo, v[116:117], v[118:119]
                                        ; implicit-def: $vgpr116_vgpr117
	s_and_saveexec_b32 s3, vcc_lo
	s_xor_b32 s3, exec_lo, s3
                                        ; implicit-def: $vgpr204_vgpr205_vgpr206_vgpr207
	s_cbranch_execz .LBB57_194
; %bb.193:
	v_div_scale_f64 v[116:117], null, v[202:203], v[202:203], v[200:201]
	v_div_scale_f64 v[206:207], vcc_lo, v[200:201], v[202:203], v[200:201]
	s_delay_alu instid0(VALU_DEP_2) | instskip(SKIP_2) | instid1(VALU_DEP_1)
	v_rcp_f64_e32 v[118:119], v[116:117]
	s_waitcnt_depctr 0xfff
	v_fma_f64 v[204:205], -v[116:117], v[118:119], 1.0
	v_fma_f64 v[118:119], v[118:119], v[204:205], v[118:119]
	s_delay_alu instid0(VALU_DEP_1) | instskip(NEXT) | instid1(VALU_DEP_1)
	v_fma_f64 v[204:205], -v[116:117], v[118:119], 1.0
	v_fma_f64 v[118:119], v[118:119], v[204:205], v[118:119]
	s_delay_alu instid0(VALU_DEP_1) | instskip(NEXT) | instid1(VALU_DEP_1)
	v_mul_f64 v[204:205], v[206:207], v[118:119]
	v_fma_f64 v[116:117], -v[116:117], v[204:205], v[206:207]
	s_delay_alu instid0(VALU_DEP_1) | instskip(NEXT) | instid1(VALU_DEP_1)
	v_div_fmas_f64 v[116:117], v[116:117], v[118:119], v[204:205]
	v_div_fixup_f64 v[116:117], v[116:117], v[202:203], v[200:201]
	s_delay_alu instid0(VALU_DEP_1) | instskip(NEXT) | instid1(VALU_DEP_1)
	v_fma_f64 v[118:119], v[200:201], v[116:117], v[202:203]
	v_div_scale_f64 v[200:201], null, v[118:119], v[118:119], 1.0
	s_delay_alu instid0(VALU_DEP_1) | instskip(SKIP_2) | instid1(VALU_DEP_1)
	v_rcp_f64_e32 v[202:203], v[200:201]
	s_waitcnt_depctr 0xfff
	v_fma_f64 v[204:205], -v[200:201], v[202:203], 1.0
	v_fma_f64 v[202:203], v[202:203], v[204:205], v[202:203]
	s_delay_alu instid0(VALU_DEP_1) | instskip(NEXT) | instid1(VALU_DEP_1)
	v_fma_f64 v[204:205], -v[200:201], v[202:203], 1.0
	v_fma_f64 v[202:203], v[202:203], v[204:205], v[202:203]
	v_div_scale_f64 v[204:205], vcc_lo, 1.0, v[118:119], 1.0
	s_delay_alu instid0(VALU_DEP_1) | instskip(NEXT) | instid1(VALU_DEP_1)
	v_mul_f64 v[206:207], v[204:205], v[202:203]
	v_fma_f64 v[200:201], -v[200:201], v[206:207], v[204:205]
	s_delay_alu instid0(VALU_DEP_1) | instskip(NEXT) | instid1(VALU_DEP_1)
	v_div_fmas_f64 v[200:201], v[200:201], v[202:203], v[206:207]
	v_div_fixup_f64 v[206:207], v[200:201], v[118:119], 1.0
                                        ; implicit-def: $vgpr200_vgpr201
	s_delay_alu instid0(VALU_DEP_1)
	v_mul_f64 v[116:117], v[116:117], v[206:207]
	v_xor_b32_e32 v207, 0x80000000, v207
.LBB57_194:
	s_and_not1_saveexec_b32 s3, s3
	s_cbranch_execz .LBB57_196
; %bb.195:
	v_div_scale_f64 v[116:117], null, v[200:201], v[200:201], v[202:203]
	v_div_scale_f64 v[206:207], vcc_lo, v[202:203], v[200:201], v[202:203]
	s_delay_alu instid0(VALU_DEP_2) | instskip(SKIP_2) | instid1(VALU_DEP_1)
	v_rcp_f64_e32 v[118:119], v[116:117]
	s_waitcnt_depctr 0xfff
	v_fma_f64 v[204:205], -v[116:117], v[118:119], 1.0
	v_fma_f64 v[118:119], v[118:119], v[204:205], v[118:119]
	s_delay_alu instid0(VALU_DEP_1) | instskip(NEXT) | instid1(VALU_DEP_1)
	v_fma_f64 v[204:205], -v[116:117], v[118:119], 1.0
	v_fma_f64 v[118:119], v[118:119], v[204:205], v[118:119]
	s_delay_alu instid0(VALU_DEP_1) | instskip(NEXT) | instid1(VALU_DEP_1)
	v_mul_f64 v[204:205], v[206:207], v[118:119]
	v_fma_f64 v[116:117], -v[116:117], v[204:205], v[206:207]
	s_delay_alu instid0(VALU_DEP_1) | instskip(NEXT) | instid1(VALU_DEP_1)
	v_div_fmas_f64 v[116:117], v[116:117], v[118:119], v[204:205]
	v_div_fixup_f64 v[118:119], v[116:117], v[200:201], v[202:203]
	s_delay_alu instid0(VALU_DEP_1) | instskip(NEXT) | instid1(VALU_DEP_1)
	v_fma_f64 v[116:117], v[202:203], v[118:119], v[200:201]
	v_div_scale_f64 v[200:201], null, v[116:117], v[116:117], 1.0
	s_delay_alu instid0(VALU_DEP_1) | instskip(SKIP_2) | instid1(VALU_DEP_1)
	v_rcp_f64_e32 v[202:203], v[200:201]
	s_waitcnt_depctr 0xfff
	v_fma_f64 v[204:205], -v[200:201], v[202:203], 1.0
	v_fma_f64 v[202:203], v[202:203], v[204:205], v[202:203]
	s_delay_alu instid0(VALU_DEP_1) | instskip(NEXT) | instid1(VALU_DEP_1)
	v_fma_f64 v[204:205], -v[200:201], v[202:203], 1.0
	v_fma_f64 v[202:203], v[202:203], v[204:205], v[202:203]
	v_div_scale_f64 v[204:205], vcc_lo, 1.0, v[116:117], 1.0
	s_delay_alu instid0(VALU_DEP_1) | instskip(NEXT) | instid1(VALU_DEP_1)
	v_mul_f64 v[206:207], v[204:205], v[202:203]
	v_fma_f64 v[200:201], -v[200:201], v[206:207], v[204:205]
	s_delay_alu instid0(VALU_DEP_1) | instskip(NEXT) | instid1(VALU_DEP_1)
	v_div_fmas_f64 v[200:201], v[200:201], v[202:203], v[206:207]
	v_div_fixup_f64 v[116:117], v[200:201], v[116:117], 1.0
	s_delay_alu instid0(VALU_DEP_1)
	v_mul_f64 v[206:207], v[118:119], -v[116:117]
.LBB57_196:
	s_or_b32 exec_lo, exec_lo, s3
	ds_store_2addr_b64 v245, v[116:117], v[206:207] offset1:1
.LBB57_197:
	s_or_b32 exec_lo, exec_lo, s4
	s_waitcnt lgkmcnt(0)
	s_barrier
	buffer_gl0_inv
	ds_load_2addr_b64 v[200:203], v245 offset1:1
	s_mov_b32 s3, exec_lo
	v_cmpx_lt_u32_e32 21, v244
	s_cbranch_execz .LBB57_199
; %bb.198:
	s_waitcnt lgkmcnt(0)
	v_mul_f64 v[116:117], v[200:201], v[30:31]
	v_mul_f64 v[30:31], v[202:203], v[30:31]
	s_delay_alu instid0(VALU_DEP_2) | instskip(SKIP_4) | instid1(VALU_DEP_1)
	v_fma_f64 v[204:205], v[202:203], v[28:29], v[116:117]
	ds_load_2addr_b64 v[116:119], v246 offset0:44 offset1:45
	v_fma_f64 v[28:29], v[200:201], v[28:29], -v[30:31]
	s_waitcnt lgkmcnt(0)
	v_mul_f64 v[30:31], v[118:119], v[204:205]
	v_fma_f64 v[30:31], v[116:117], v[28:29], -v[30:31]
	v_mul_f64 v[116:117], v[116:117], v[204:205]
	s_delay_alu instid0(VALU_DEP_2) | instskip(NEXT) | instid1(VALU_DEP_2)
	v_add_f64 v[24:25], v[24:25], -v[30:31]
	v_fma_f64 v[116:117], v[118:119], v[28:29], v[116:117]
	s_delay_alu instid0(VALU_DEP_1) | instskip(SKIP_3) | instid1(VALU_DEP_1)
	v_add_f64 v[26:27], v[26:27], -v[116:117]
	ds_load_2addr_b64 v[116:119], v246 offset0:46 offset1:47
	s_waitcnt lgkmcnt(0)
	v_mul_f64 v[30:31], v[118:119], v[204:205]
	v_fma_f64 v[30:31], v[116:117], v[28:29], -v[30:31]
	v_mul_f64 v[116:117], v[116:117], v[204:205]
	s_delay_alu instid0(VALU_DEP_2) | instskip(NEXT) | instid1(VALU_DEP_2)
	v_add_f64 v[20:21], v[20:21], -v[30:31]
	v_fma_f64 v[116:117], v[118:119], v[28:29], v[116:117]
	s_delay_alu instid0(VALU_DEP_1) | instskip(SKIP_3) | instid1(VALU_DEP_1)
	v_add_f64 v[22:23], v[22:23], -v[116:117]
	ds_load_2addr_b64 v[116:119], v246 offset0:48 offset1:49
	;; [unrolled: 10-line block ×6, first 2 shown]
	s_waitcnt lgkmcnt(0)
	v_mul_f64 v[30:31], v[118:119], v[204:205]
	v_fma_f64 v[30:31], v[116:117], v[28:29], -v[30:31]
	v_mul_f64 v[116:117], v[116:117], v[204:205]
	s_delay_alu instid0(VALU_DEP_2) | instskip(NEXT) | instid1(VALU_DEP_2)
	v_add_f64 v[0:1], v[0:1], -v[30:31]
	v_fma_f64 v[116:117], v[118:119], v[28:29], v[116:117]
	v_dual_mov_b32 v30, v204 :: v_dual_mov_b32 v31, v205
	s_delay_alu instid0(VALU_DEP_2)
	v_add_f64 v[2:3], v[2:3], -v[116:117]
.LBB57_199:
	s_or_b32 exec_lo, exec_lo, s3
	s_delay_alu instid0(SALU_CYCLE_1)
	s_mov_b32 s4, exec_lo
	s_waitcnt lgkmcnt(0)
	s_barrier
	buffer_gl0_inv
	v_cmpx_eq_u32_e32 22, v244
	s_cbranch_execz .LBB57_206
; %bb.200:
	ds_store_2addr_b64 v245, v[24:25], v[26:27] offset1:1
	ds_store_2addr_b64 v246, v[20:21], v[22:23] offset0:46 offset1:47
	ds_store_2addr_b64 v246, v[16:17], v[18:19] offset0:48 offset1:49
	;; [unrolled: 1-line block ×6, first 2 shown]
	ds_load_2addr_b64 v[204:207], v245 offset1:1
	s_waitcnt lgkmcnt(0)
	v_cmp_neq_f64_e32 vcc_lo, 0, v[204:205]
	v_cmp_neq_f64_e64 s3, 0, v[206:207]
	s_delay_alu instid0(VALU_DEP_1) | instskip(NEXT) | instid1(SALU_CYCLE_1)
	s_or_b32 s3, vcc_lo, s3
	s_and_b32 exec_lo, exec_lo, s3
	s_cbranch_execz .LBB57_206
; %bb.201:
	v_cmp_gt_f64_e32 vcc_lo, 0, v[204:205]
	v_xor_b32_e32 v116, 0x80000000, v205
	v_xor_b32_e32 v118, 0x80000000, v207
	s_delay_alu instid0(VALU_DEP_2) | instskip(SKIP_2) | instid1(VALU_DEP_4)
	v_cndmask_b32_e32 v117, v205, v116, vcc_lo
	v_cndmask_b32_e32 v116, v204, v204, vcc_lo
	v_cmp_gt_f64_e32 vcc_lo, 0, v[206:207]
	v_cndmask_b32_e32 v119, v207, v118, vcc_lo
	v_cndmask_b32_e32 v118, v206, v206, vcc_lo
	s_delay_alu instid0(VALU_DEP_1) | instskip(SKIP_1) | instid1(SALU_CYCLE_1)
	v_cmp_ngt_f64_e32 vcc_lo, v[116:117], v[118:119]
                                        ; implicit-def: $vgpr116_vgpr117
	s_and_saveexec_b32 s3, vcc_lo
	s_xor_b32 s3, exec_lo, s3
                                        ; implicit-def: $vgpr208_vgpr209_vgpr210_vgpr211
	s_cbranch_execz .LBB57_203
; %bb.202:
	v_div_scale_f64 v[116:117], null, v[206:207], v[206:207], v[204:205]
	v_div_scale_f64 v[210:211], vcc_lo, v[204:205], v[206:207], v[204:205]
	s_delay_alu instid0(VALU_DEP_2) | instskip(SKIP_2) | instid1(VALU_DEP_1)
	v_rcp_f64_e32 v[118:119], v[116:117]
	s_waitcnt_depctr 0xfff
	v_fma_f64 v[208:209], -v[116:117], v[118:119], 1.0
	v_fma_f64 v[118:119], v[118:119], v[208:209], v[118:119]
	s_delay_alu instid0(VALU_DEP_1) | instskip(NEXT) | instid1(VALU_DEP_1)
	v_fma_f64 v[208:209], -v[116:117], v[118:119], 1.0
	v_fma_f64 v[118:119], v[118:119], v[208:209], v[118:119]
	s_delay_alu instid0(VALU_DEP_1) | instskip(NEXT) | instid1(VALU_DEP_1)
	v_mul_f64 v[208:209], v[210:211], v[118:119]
	v_fma_f64 v[116:117], -v[116:117], v[208:209], v[210:211]
	s_delay_alu instid0(VALU_DEP_1) | instskip(NEXT) | instid1(VALU_DEP_1)
	v_div_fmas_f64 v[116:117], v[116:117], v[118:119], v[208:209]
	v_div_fixup_f64 v[116:117], v[116:117], v[206:207], v[204:205]
	s_delay_alu instid0(VALU_DEP_1) | instskip(NEXT) | instid1(VALU_DEP_1)
	v_fma_f64 v[118:119], v[204:205], v[116:117], v[206:207]
	v_div_scale_f64 v[204:205], null, v[118:119], v[118:119], 1.0
	s_delay_alu instid0(VALU_DEP_1) | instskip(SKIP_2) | instid1(VALU_DEP_1)
	v_rcp_f64_e32 v[206:207], v[204:205]
	s_waitcnt_depctr 0xfff
	v_fma_f64 v[208:209], -v[204:205], v[206:207], 1.0
	v_fma_f64 v[206:207], v[206:207], v[208:209], v[206:207]
	s_delay_alu instid0(VALU_DEP_1) | instskip(NEXT) | instid1(VALU_DEP_1)
	v_fma_f64 v[208:209], -v[204:205], v[206:207], 1.0
	v_fma_f64 v[206:207], v[206:207], v[208:209], v[206:207]
	v_div_scale_f64 v[208:209], vcc_lo, 1.0, v[118:119], 1.0
	s_delay_alu instid0(VALU_DEP_1) | instskip(NEXT) | instid1(VALU_DEP_1)
	v_mul_f64 v[210:211], v[208:209], v[206:207]
	v_fma_f64 v[204:205], -v[204:205], v[210:211], v[208:209]
	s_delay_alu instid0(VALU_DEP_1) | instskip(NEXT) | instid1(VALU_DEP_1)
	v_div_fmas_f64 v[204:205], v[204:205], v[206:207], v[210:211]
	v_div_fixup_f64 v[210:211], v[204:205], v[118:119], 1.0
                                        ; implicit-def: $vgpr204_vgpr205
	s_delay_alu instid0(VALU_DEP_1)
	v_mul_f64 v[116:117], v[116:117], v[210:211]
	v_xor_b32_e32 v211, 0x80000000, v211
.LBB57_203:
	s_and_not1_saveexec_b32 s3, s3
	s_cbranch_execz .LBB57_205
; %bb.204:
	v_div_scale_f64 v[116:117], null, v[204:205], v[204:205], v[206:207]
	v_div_scale_f64 v[210:211], vcc_lo, v[206:207], v[204:205], v[206:207]
	s_delay_alu instid0(VALU_DEP_2) | instskip(SKIP_2) | instid1(VALU_DEP_1)
	v_rcp_f64_e32 v[118:119], v[116:117]
	s_waitcnt_depctr 0xfff
	v_fma_f64 v[208:209], -v[116:117], v[118:119], 1.0
	v_fma_f64 v[118:119], v[118:119], v[208:209], v[118:119]
	s_delay_alu instid0(VALU_DEP_1) | instskip(NEXT) | instid1(VALU_DEP_1)
	v_fma_f64 v[208:209], -v[116:117], v[118:119], 1.0
	v_fma_f64 v[118:119], v[118:119], v[208:209], v[118:119]
	s_delay_alu instid0(VALU_DEP_1) | instskip(NEXT) | instid1(VALU_DEP_1)
	v_mul_f64 v[208:209], v[210:211], v[118:119]
	v_fma_f64 v[116:117], -v[116:117], v[208:209], v[210:211]
	s_delay_alu instid0(VALU_DEP_1) | instskip(NEXT) | instid1(VALU_DEP_1)
	v_div_fmas_f64 v[116:117], v[116:117], v[118:119], v[208:209]
	v_div_fixup_f64 v[118:119], v[116:117], v[204:205], v[206:207]
	s_delay_alu instid0(VALU_DEP_1) | instskip(NEXT) | instid1(VALU_DEP_1)
	v_fma_f64 v[116:117], v[206:207], v[118:119], v[204:205]
	v_div_scale_f64 v[204:205], null, v[116:117], v[116:117], 1.0
	s_delay_alu instid0(VALU_DEP_1) | instskip(SKIP_2) | instid1(VALU_DEP_1)
	v_rcp_f64_e32 v[206:207], v[204:205]
	s_waitcnt_depctr 0xfff
	v_fma_f64 v[208:209], -v[204:205], v[206:207], 1.0
	v_fma_f64 v[206:207], v[206:207], v[208:209], v[206:207]
	s_delay_alu instid0(VALU_DEP_1) | instskip(NEXT) | instid1(VALU_DEP_1)
	v_fma_f64 v[208:209], -v[204:205], v[206:207], 1.0
	v_fma_f64 v[206:207], v[206:207], v[208:209], v[206:207]
	v_div_scale_f64 v[208:209], vcc_lo, 1.0, v[116:117], 1.0
	s_delay_alu instid0(VALU_DEP_1) | instskip(NEXT) | instid1(VALU_DEP_1)
	v_mul_f64 v[210:211], v[208:209], v[206:207]
	v_fma_f64 v[204:205], -v[204:205], v[210:211], v[208:209]
	s_delay_alu instid0(VALU_DEP_1) | instskip(NEXT) | instid1(VALU_DEP_1)
	v_div_fmas_f64 v[204:205], v[204:205], v[206:207], v[210:211]
	v_div_fixup_f64 v[116:117], v[204:205], v[116:117], 1.0
	s_delay_alu instid0(VALU_DEP_1)
	v_mul_f64 v[210:211], v[118:119], -v[116:117]
.LBB57_205:
	s_or_b32 exec_lo, exec_lo, s3
	ds_store_2addr_b64 v245, v[116:117], v[210:211] offset1:1
.LBB57_206:
	s_or_b32 exec_lo, exec_lo, s4
	s_waitcnt lgkmcnt(0)
	s_barrier
	buffer_gl0_inv
	ds_load_2addr_b64 v[204:207], v245 offset1:1
	s_mov_b32 s3, exec_lo
	v_cmpx_lt_u32_e32 22, v244
	s_cbranch_execz .LBB57_208
; %bb.207:
	s_waitcnt lgkmcnt(0)
	v_mul_f64 v[116:117], v[204:205], v[26:27]
	v_mul_f64 v[26:27], v[206:207], v[26:27]
	s_delay_alu instid0(VALU_DEP_2) | instskip(SKIP_4) | instid1(VALU_DEP_1)
	v_fma_f64 v[208:209], v[206:207], v[24:25], v[116:117]
	ds_load_2addr_b64 v[116:119], v246 offset0:46 offset1:47
	v_fma_f64 v[24:25], v[204:205], v[24:25], -v[26:27]
	s_waitcnt lgkmcnt(0)
	v_mul_f64 v[26:27], v[118:119], v[208:209]
	v_fma_f64 v[26:27], v[116:117], v[24:25], -v[26:27]
	v_mul_f64 v[116:117], v[116:117], v[208:209]
	s_delay_alu instid0(VALU_DEP_2) | instskip(NEXT) | instid1(VALU_DEP_2)
	v_add_f64 v[20:21], v[20:21], -v[26:27]
	v_fma_f64 v[116:117], v[118:119], v[24:25], v[116:117]
	s_delay_alu instid0(VALU_DEP_1) | instskip(SKIP_3) | instid1(VALU_DEP_1)
	v_add_f64 v[22:23], v[22:23], -v[116:117]
	ds_load_2addr_b64 v[116:119], v246 offset0:48 offset1:49
	s_waitcnt lgkmcnt(0)
	v_mul_f64 v[26:27], v[118:119], v[208:209]
	v_fma_f64 v[26:27], v[116:117], v[24:25], -v[26:27]
	v_mul_f64 v[116:117], v[116:117], v[208:209]
	s_delay_alu instid0(VALU_DEP_2) | instskip(NEXT) | instid1(VALU_DEP_2)
	v_add_f64 v[16:17], v[16:17], -v[26:27]
	v_fma_f64 v[116:117], v[118:119], v[24:25], v[116:117]
	s_delay_alu instid0(VALU_DEP_1) | instskip(SKIP_3) | instid1(VALU_DEP_1)
	v_add_f64 v[18:19], v[18:19], -v[116:117]
	ds_load_2addr_b64 v[116:119], v246 offset0:50 offset1:51
	;; [unrolled: 10-line block ×5, first 2 shown]
	s_waitcnt lgkmcnt(0)
	v_mul_f64 v[26:27], v[118:119], v[208:209]
	v_fma_f64 v[26:27], v[116:117], v[24:25], -v[26:27]
	v_mul_f64 v[116:117], v[116:117], v[208:209]
	s_delay_alu instid0(VALU_DEP_2) | instskip(NEXT) | instid1(VALU_DEP_2)
	v_add_f64 v[0:1], v[0:1], -v[26:27]
	v_fma_f64 v[116:117], v[118:119], v[24:25], v[116:117]
	v_dual_mov_b32 v26, v208 :: v_dual_mov_b32 v27, v209
	s_delay_alu instid0(VALU_DEP_2)
	v_add_f64 v[2:3], v[2:3], -v[116:117]
.LBB57_208:
	s_or_b32 exec_lo, exec_lo, s3
	s_delay_alu instid0(SALU_CYCLE_1)
	s_mov_b32 s4, exec_lo
	s_waitcnt lgkmcnt(0)
	s_barrier
	buffer_gl0_inv
	v_cmpx_eq_u32_e32 23, v244
	s_cbranch_execz .LBB57_215
; %bb.209:
	ds_store_2addr_b64 v245, v[20:21], v[22:23] offset1:1
	ds_store_2addr_b64 v246, v[16:17], v[18:19] offset0:48 offset1:49
	ds_store_2addr_b64 v246, v[12:13], v[14:15] offset0:50 offset1:51
	;; [unrolled: 1-line block ×5, first 2 shown]
	ds_load_2addr_b64 v[208:211], v245 offset1:1
	s_waitcnt lgkmcnt(0)
	v_cmp_neq_f64_e32 vcc_lo, 0, v[208:209]
	v_cmp_neq_f64_e64 s3, 0, v[210:211]
	s_delay_alu instid0(VALU_DEP_1) | instskip(NEXT) | instid1(SALU_CYCLE_1)
	s_or_b32 s3, vcc_lo, s3
	s_and_b32 exec_lo, exec_lo, s3
	s_cbranch_execz .LBB57_215
; %bb.210:
	v_cmp_gt_f64_e32 vcc_lo, 0, v[208:209]
	v_xor_b32_e32 v116, 0x80000000, v209
	v_xor_b32_e32 v118, 0x80000000, v211
	s_delay_alu instid0(VALU_DEP_2) | instskip(SKIP_2) | instid1(VALU_DEP_4)
	v_cndmask_b32_e32 v117, v209, v116, vcc_lo
	v_cndmask_b32_e32 v116, v208, v208, vcc_lo
	v_cmp_gt_f64_e32 vcc_lo, 0, v[210:211]
	v_cndmask_b32_e32 v119, v211, v118, vcc_lo
	v_cndmask_b32_e32 v118, v210, v210, vcc_lo
	s_delay_alu instid0(VALU_DEP_1) | instskip(SKIP_1) | instid1(SALU_CYCLE_1)
	v_cmp_ngt_f64_e32 vcc_lo, v[116:117], v[118:119]
                                        ; implicit-def: $vgpr116_vgpr117
	s_and_saveexec_b32 s3, vcc_lo
	s_xor_b32 s3, exec_lo, s3
                                        ; implicit-def: $vgpr212_vgpr213_vgpr214_vgpr215
	s_cbranch_execz .LBB57_212
; %bb.211:
	v_div_scale_f64 v[116:117], null, v[210:211], v[210:211], v[208:209]
	v_div_scale_f64 v[214:215], vcc_lo, v[208:209], v[210:211], v[208:209]
	s_delay_alu instid0(VALU_DEP_2) | instskip(SKIP_2) | instid1(VALU_DEP_1)
	v_rcp_f64_e32 v[118:119], v[116:117]
	s_waitcnt_depctr 0xfff
	v_fma_f64 v[212:213], -v[116:117], v[118:119], 1.0
	v_fma_f64 v[118:119], v[118:119], v[212:213], v[118:119]
	s_delay_alu instid0(VALU_DEP_1) | instskip(NEXT) | instid1(VALU_DEP_1)
	v_fma_f64 v[212:213], -v[116:117], v[118:119], 1.0
	v_fma_f64 v[118:119], v[118:119], v[212:213], v[118:119]
	s_delay_alu instid0(VALU_DEP_1) | instskip(NEXT) | instid1(VALU_DEP_1)
	v_mul_f64 v[212:213], v[214:215], v[118:119]
	v_fma_f64 v[116:117], -v[116:117], v[212:213], v[214:215]
	s_delay_alu instid0(VALU_DEP_1) | instskip(NEXT) | instid1(VALU_DEP_1)
	v_div_fmas_f64 v[116:117], v[116:117], v[118:119], v[212:213]
	v_div_fixup_f64 v[116:117], v[116:117], v[210:211], v[208:209]
	s_delay_alu instid0(VALU_DEP_1) | instskip(NEXT) | instid1(VALU_DEP_1)
	v_fma_f64 v[118:119], v[208:209], v[116:117], v[210:211]
	v_div_scale_f64 v[208:209], null, v[118:119], v[118:119], 1.0
	s_delay_alu instid0(VALU_DEP_1) | instskip(SKIP_2) | instid1(VALU_DEP_1)
	v_rcp_f64_e32 v[210:211], v[208:209]
	s_waitcnt_depctr 0xfff
	v_fma_f64 v[212:213], -v[208:209], v[210:211], 1.0
	v_fma_f64 v[210:211], v[210:211], v[212:213], v[210:211]
	s_delay_alu instid0(VALU_DEP_1) | instskip(NEXT) | instid1(VALU_DEP_1)
	v_fma_f64 v[212:213], -v[208:209], v[210:211], 1.0
	v_fma_f64 v[210:211], v[210:211], v[212:213], v[210:211]
	v_div_scale_f64 v[212:213], vcc_lo, 1.0, v[118:119], 1.0
	s_delay_alu instid0(VALU_DEP_1) | instskip(NEXT) | instid1(VALU_DEP_1)
	v_mul_f64 v[214:215], v[212:213], v[210:211]
	v_fma_f64 v[208:209], -v[208:209], v[214:215], v[212:213]
	s_delay_alu instid0(VALU_DEP_1) | instskip(NEXT) | instid1(VALU_DEP_1)
	v_div_fmas_f64 v[208:209], v[208:209], v[210:211], v[214:215]
	v_div_fixup_f64 v[214:215], v[208:209], v[118:119], 1.0
                                        ; implicit-def: $vgpr208_vgpr209
	s_delay_alu instid0(VALU_DEP_1)
	v_mul_f64 v[116:117], v[116:117], v[214:215]
	v_xor_b32_e32 v215, 0x80000000, v215
.LBB57_212:
	s_and_not1_saveexec_b32 s3, s3
	s_cbranch_execz .LBB57_214
; %bb.213:
	v_div_scale_f64 v[116:117], null, v[208:209], v[208:209], v[210:211]
	v_div_scale_f64 v[214:215], vcc_lo, v[210:211], v[208:209], v[210:211]
	s_delay_alu instid0(VALU_DEP_2) | instskip(SKIP_2) | instid1(VALU_DEP_1)
	v_rcp_f64_e32 v[118:119], v[116:117]
	s_waitcnt_depctr 0xfff
	v_fma_f64 v[212:213], -v[116:117], v[118:119], 1.0
	v_fma_f64 v[118:119], v[118:119], v[212:213], v[118:119]
	s_delay_alu instid0(VALU_DEP_1) | instskip(NEXT) | instid1(VALU_DEP_1)
	v_fma_f64 v[212:213], -v[116:117], v[118:119], 1.0
	v_fma_f64 v[118:119], v[118:119], v[212:213], v[118:119]
	s_delay_alu instid0(VALU_DEP_1) | instskip(NEXT) | instid1(VALU_DEP_1)
	v_mul_f64 v[212:213], v[214:215], v[118:119]
	v_fma_f64 v[116:117], -v[116:117], v[212:213], v[214:215]
	s_delay_alu instid0(VALU_DEP_1) | instskip(NEXT) | instid1(VALU_DEP_1)
	v_div_fmas_f64 v[116:117], v[116:117], v[118:119], v[212:213]
	v_div_fixup_f64 v[118:119], v[116:117], v[208:209], v[210:211]
	s_delay_alu instid0(VALU_DEP_1) | instskip(NEXT) | instid1(VALU_DEP_1)
	v_fma_f64 v[116:117], v[210:211], v[118:119], v[208:209]
	v_div_scale_f64 v[208:209], null, v[116:117], v[116:117], 1.0
	s_delay_alu instid0(VALU_DEP_1) | instskip(SKIP_2) | instid1(VALU_DEP_1)
	v_rcp_f64_e32 v[210:211], v[208:209]
	s_waitcnt_depctr 0xfff
	v_fma_f64 v[212:213], -v[208:209], v[210:211], 1.0
	v_fma_f64 v[210:211], v[210:211], v[212:213], v[210:211]
	s_delay_alu instid0(VALU_DEP_1) | instskip(NEXT) | instid1(VALU_DEP_1)
	v_fma_f64 v[212:213], -v[208:209], v[210:211], 1.0
	v_fma_f64 v[210:211], v[210:211], v[212:213], v[210:211]
	v_div_scale_f64 v[212:213], vcc_lo, 1.0, v[116:117], 1.0
	s_delay_alu instid0(VALU_DEP_1) | instskip(NEXT) | instid1(VALU_DEP_1)
	v_mul_f64 v[214:215], v[212:213], v[210:211]
	v_fma_f64 v[208:209], -v[208:209], v[214:215], v[212:213]
	s_delay_alu instid0(VALU_DEP_1) | instskip(NEXT) | instid1(VALU_DEP_1)
	v_div_fmas_f64 v[208:209], v[208:209], v[210:211], v[214:215]
	v_div_fixup_f64 v[116:117], v[208:209], v[116:117], 1.0
	s_delay_alu instid0(VALU_DEP_1)
	v_mul_f64 v[214:215], v[118:119], -v[116:117]
.LBB57_214:
	s_or_b32 exec_lo, exec_lo, s3
	ds_store_2addr_b64 v245, v[116:117], v[214:215] offset1:1
.LBB57_215:
	s_or_b32 exec_lo, exec_lo, s4
	s_waitcnt lgkmcnt(0)
	s_barrier
	buffer_gl0_inv
	ds_load_2addr_b64 v[208:211], v245 offset1:1
	s_mov_b32 s3, exec_lo
	v_cmpx_lt_u32_e32 23, v244
	s_cbranch_execz .LBB57_217
; %bb.216:
	s_waitcnt lgkmcnt(0)
	v_mul_f64 v[116:117], v[208:209], v[22:23]
	v_mul_f64 v[22:23], v[210:211], v[22:23]
	s_delay_alu instid0(VALU_DEP_2) | instskip(SKIP_4) | instid1(VALU_DEP_1)
	v_fma_f64 v[212:213], v[210:211], v[20:21], v[116:117]
	ds_load_2addr_b64 v[116:119], v246 offset0:48 offset1:49
	v_fma_f64 v[20:21], v[208:209], v[20:21], -v[22:23]
	s_waitcnt lgkmcnt(0)
	v_mul_f64 v[22:23], v[118:119], v[212:213]
	v_fma_f64 v[22:23], v[116:117], v[20:21], -v[22:23]
	v_mul_f64 v[116:117], v[116:117], v[212:213]
	s_delay_alu instid0(VALU_DEP_2) | instskip(NEXT) | instid1(VALU_DEP_2)
	v_add_f64 v[16:17], v[16:17], -v[22:23]
	v_fma_f64 v[116:117], v[118:119], v[20:21], v[116:117]
	s_delay_alu instid0(VALU_DEP_1) | instskip(SKIP_3) | instid1(VALU_DEP_1)
	v_add_f64 v[18:19], v[18:19], -v[116:117]
	ds_load_2addr_b64 v[116:119], v246 offset0:50 offset1:51
	s_waitcnt lgkmcnt(0)
	v_mul_f64 v[22:23], v[118:119], v[212:213]
	v_fma_f64 v[22:23], v[116:117], v[20:21], -v[22:23]
	v_mul_f64 v[116:117], v[116:117], v[212:213]
	s_delay_alu instid0(VALU_DEP_2) | instskip(NEXT) | instid1(VALU_DEP_2)
	v_add_f64 v[12:13], v[12:13], -v[22:23]
	v_fma_f64 v[116:117], v[118:119], v[20:21], v[116:117]
	s_delay_alu instid0(VALU_DEP_1) | instskip(SKIP_3) | instid1(VALU_DEP_1)
	v_add_f64 v[14:15], v[14:15], -v[116:117]
	ds_load_2addr_b64 v[116:119], v246 offset0:52 offset1:53
	;; [unrolled: 10-line block ×4, first 2 shown]
	s_waitcnt lgkmcnt(0)
	v_mul_f64 v[22:23], v[118:119], v[212:213]
	v_fma_f64 v[22:23], v[116:117], v[20:21], -v[22:23]
	v_mul_f64 v[116:117], v[116:117], v[212:213]
	s_delay_alu instid0(VALU_DEP_2) | instskip(NEXT) | instid1(VALU_DEP_2)
	v_add_f64 v[0:1], v[0:1], -v[22:23]
	v_fma_f64 v[116:117], v[118:119], v[20:21], v[116:117]
	v_dual_mov_b32 v22, v212 :: v_dual_mov_b32 v23, v213
	s_delay_alu instid0(VALU_DEP_2)
	v_add_f64 v[2:3], v[2:3], -v[116:117]
.LBB57_217:
	s_or_b32 exec_lo, exec_lo, s3
	s_delay_alu instid0(SALU_CYCLE_1)
	s_mov_b32 s4, exec_lo
	s_waitcnt lgkmcnt(0)
	s_barrier
	buffer_gl0_inv
	v_cmpx_eq_u32_e32 24, v244
	s_cbranch_execz .LBB57_224
; %bb.218:
	ds_store_2addr_b64 v245, v[16:17], v[18:19] offset1:1
	ds_store_2addr_b64 v246, v[12:13], v[14:15] offset0:50 offset1:51
	ds_store_2addr_b64 v246, v[8:9], v[10:11] offset0:52 offset1:53
	;; [unrolled: 1-line block ×4, first 2 shown]
	ds_load_2addr_b64 v[212:215], v245 offset1:1
	s_waitcnt lgkmcnt(0)
	v_cmp_neq_f64_e32 vcc_lo, 0, v[212:213]
	v_cmp_neq_f64_e64 s3, 0, v[214:215]
	s_delay_alu instid0(VALU_DEP_1) | instskip(NEXT) | instid1(SALU_CYCLE_1)
	s_or_b32 s3, vcc_lo, s3
	s_and_b32 exec_lo, exec_lo, s3
	s_cbranch_execz .LBB57_224
; %bb.219:
	v_cmp_gt_f64_e32 vcc_lo, 0, v[212:213]
	v_xor_b32_e32 v116, 0x80000000, v213
	v_xor_b32_e32 v118, 0x80000000, v215
	s_delay_alu instid0(VALU_DEP_2) | instskip(SKIP_2) | instid1(VALU_DEP_4)
	v_cndmask_b32_e32 v117, v213, v116, vcc_lo
	v_cndmask_b32_e32 v116, v212, v212, vcc_lo
	v_cmp_gt_f64_e32 vcc_lo, 0, v[214:215]
	v_cndmask_b32_e32 v119, v215, v118, vcc_lo
	v_cndmask_b32_e32 v118, v214, v214, vcc_lo
	s_delay_alu instid0(VALU_DEP_1) | instskip(SKIP_1) | instid1(SALU_CYCLE_1)
	v_cmp_ngt_f64_e32 vcc_lo, v[116:117], v[118:119]
                                        ; implicit-def: $vgpr116_vgpr117
	s_and_saveexec_b32 s3, vcc_lo
	s_xor_b32 s3, exec_lo, s3
                                        ; implicit-def: $vgpr216_vgpr217_vgpr218_vgpr219
	s_cbranch_execz .LBB57_221
; %bb.220:
	v_div_scale_f64 v[116:117], null, v[214:215], v[214:215], v[212:213]
	v_div_scale_f64 v[218:219], vcc_lo, v[212:213], v[214:215], v[212:213]
	s_delay_alu instid0(VALU_DEP_2) | instskip(SKIP_2) | instid1(VALU_DEP_1)
	v_rcp_f64_e32 v[118:119], v[116:117]
	s_waitcnt_depctr 0xfff
	v_fma_f64 v[216:217], -v[116:117], v[118:119], 1.0
	v_fma_f64 v[118:119], v[118:119], v[216:217], v[118:119]
	s_delay_alu instid0(VALU_DEP_1) | instskip(NEXT) | instid1(VALU_DEP_1)
	v_fma_f64 v[216:217], -v[116:117], v[118:119], 1.0
	v_fma_f64 v[118:119], v[118:119], v[216:217], v[118:119]
	s_delay_alu instid0(VALU_DEP_1) | instskip(NEXT) | instid1(VALU_DEP_1)
	v_mul_f64 v[216:217], v[218:219], v[118:119]
	v_fma_f64 v[116:117], -v[116:117], v[216:217], v[218:219]
	s_delay_alu instid0(VALU_DEP_1) | instskip(NEXT) | instid1(VALU_DEP_1)
	v_div_fmas_f64 v[116:117], v[116:117], v[118:119], v[216:217]
	v_div_fixup_f64 v[116:117], v[116:117], v[214:215], v[212:213]
	s_delay_alu instid0(VALU_DEP_1) | instskip(NEXT) | instid1(VALU_DEP_1)
	v_fma_f64 v[118:119], v[212:213], v[116:117], v[214:215]
	v_div_scale_f64 v[212:213], null, v[118:119], v[118:119], 1.0
	s_delay_alu instid0(VALU_DEP_1) | instskip(SKIP_2) | instid1(VALU_DEP_1)
	v_rcp_f64_e32 v[214:215], v[212:213]
	s_waitcnt_depctr 0xfff
	v_fma_f64 v[216:217], -v[212:213], v[214:215], 1.0
	v_fma_f64 v[214:215], v[214:215], v[216:217], v[214:215]
	s_delay_alu instid0(VALU_DEP_1) | instskip(NEXT) | instid1(VALU_DEP_1)
	v_fma_f64 v[216:217], -v[212:213], v[214:215], 1.0
	v_fma_f64 v[214:215], v[214:215], v[216:217], v[214:215]
	v_div_scale_f64 v[216:217], vcc_lo, 1.0, v[118:119], 1.0
	s_delay_alu instid0(VALU_DEP_1) | instskip(NEXT) | instid1(VALU_DEP_1)
	v_mul_f64 v[218:219], v[216:217], v[214:215]
	v_fma_f64 v[212:213], -v[212:213], v[218:219], v[216:217]
	s_delay_alu instid0(VALU_DEP_1) | instskip(NEXT) | instid1(VALU_DEP_1)
	v_div_fmas_f64 v[212:213], v[212:213], v[214:215], v[218:219]
	v_div_fixup_f64 v[218:219], v[212:213], v[118:119], 1.0
                                        ; implicit-def: $vgpr212_vgpr213
	s_delay_alu instid0(VALU_DEP_1)
	v_mul_f64 v[116:117], v[116:117], v[218:219]
	v_xor_b32_e32 v219, 0x80000000, v219
.LBB57_221:
	s_and_not1_saveexec_b32 s3, s3
	s_cbranch_execz .LBB57_223
; %bb.222:
	v_div_scale_f64 v[116:117], null, v[212:213], v[212:213], v[214:215]
	v_div_scale_f64 v[218:219], vcc_lo, v[214:215], v[212:213], v[214:215]
	s_delay_alu instid0(VALU_DEP_2) | instskip(SKIP_2) | instid1(VALU_DEP_1)
	v_rcp_f64_e32 v[118:119], v[116:117]
	s_waitcnt_depctr 0xfff
	v_fma_f64 v[216:217], -v[116:117], v[118:119], 1.0
	v_fma_f64 v[118:119], v[118:119], v[216:217], v[118:119]
	s_delay_alu instid0(VALU_DEP_1) | instskip(NEXT) | instid1(VALU_DEP_1)
	v_fma_f64 v[216:217], -v[116:117], v[118:119], 1.0
	v_fma_f64 v[118:119], v[118:119], v[216:217], v[118:119]
	s_delay_alu instid0(VALU_DEP_1) | instskip(NEXT) | instid1(VALU_DEP_1)
	v_mul_f64 v[216:217], v[218:219], v[118:119]
	v_fma_f64 v[116:117], -v[116:117], v[216:217], v[218:219]
	s_delay_alu instid0(VALU_DEP_1) | instskip(NEXT) | instid1(VALU_DEP_1)
	v_div_fmas_f64 v[116:117], v[116:117], v[118:119], v[216:217]
	v_div_fixup_f64 v[118:119], v[116:117], v[212:213], v[214:215]
	s_delay_alu instid0(VALU_DEP_1) | instskip(NEXT) | instid1(VALU_DEP_1)
	v_fma_f64 v[116:117], v[214:215], v[118:119], v[212:213]
	v_div_scale_f64 v[212:213], null, v[116:117], v[116:117], 1.0
	s_delay_alu instid0(VALU_DEP_1) | instskip(SKIP_2) | instid1(VALU_DEP_1)
	v_rcp_f64_e32 v[214:215], v[212:213]
	s_waitcnt_depctr 0xfff
	v_fma_f64 v[216:217], -v[212:213], v[214:215], 1.0
	v_fma_f64 v[214:215], v[214:215], v[216:217], v[214:215]
	s_delay_alu instid0(VALU_DEP_1) | instskip(NEXT) | instid1(VALU_DEP_1)
	v_fma_f64 v[216:217], -v[212:213], v[214:215], 1.0
	v_fma_f64 v[214:215], v[214:215], v[216:217], v[214:215]
	v_div_scale_f64 v[216:217], vcc_lo, 1.0, v[116:117], 1.0
	s_delay_alu instid0(VALU_DEP_1) | instskip(NEXT) | instid1(VALU_DEP_1)
	v_mul_f64 v[218:219], v[216:217], v[214:215]
	v_fma_f64 v[212:213], -v[212:213], v[218:219], v[216:217]
	s_delay_alu instid0(VALU_DEP_1) | instskip(NEXT) | instid1(VALU_DEP_1)
	v_div_fmas_f64 v[212:213], v[212:213], v[214:215], v[218:219]
	v_div_fixup_f64 v[116:117], v[212:213], v[116:117], 1.0
	s_delay_alu instid0(VALU_DEP_1)
	v_mul_f64 v[218:219], v[118:119], -v[116:117]
.LBB57_223:
	s_or_b32 exec_lo, exec_lo, s3
	ds_store_2addr_b64 v245, v[116:117], v[218:219] offset1:1
.LBB57_224:
	s_or_b32 exec_lo, exec_lo, s4
	s_waitcnt lgkmcnt(0)
	s_barrier
	buffer_gl0_inv
	ds_load_2addr_b64 v[212:215], v245 offset1:1
	s_mov_b32 s3, exec_lo
	v_cmpx_lt_u32_e32 24, v244
	s_cbranch_execz .LBB57_226
; %bb.225:
	s_waitcnt lgkmcnt(0)
	v_mul_f64 v[116:117], v[212:213], v[18:19]
	v_mul_f64 v[18:19], v[214:215], v[18:19]
	s_delay_alu instid0(VALU_DEP_2) | instskip(SKIP_4) | instid1(VALU_DEP_1)
	v_fma_f64 v[216:217], v[214:215], v[16:17], v[116:117]
	ds_load_2addr_b64 v[116:119], v246 offset0:50 offset1:51
	v_fma_f64 v[16:17], v[212:213], v[16:17], -v[18:19]
	s_waitcnt lgkmcnt(0)
	v_mul_f64 v[18:19], v[118:119], v[216:217]
	v_fma_f64 v[18:19], v[116:117], v[16:17], -v[18:19]
	v_mul_f64 v[116:117], v[116:117], v[216:217]
	s_delay_alu instid0(VALU_DEP_2) | instskip(NEXT) | instid1(VALU_DEP_2)
	v_add_f64 v[12:13], v[12:13], -v[18:19]
	v_fma_f64 v[116:117], v[118:119], v[16:17], v[116:117]
	s_delay_alu instid0(VALU_DEP_1) | instskip(SKIP_3) | instid1(VALU_DEP_1)
	v_add_f64 v[14:15], v[14:15], -v[116:117]
	ds_load_2addr_b64 v[116:119], v246 offset0:52 offset1:53
	s_waitcnt lgkmcnt(0)
	v_mul_f64 v[18:19], v[118:119], v[216:217]
	v_fma_f64 v[18:19], v[116:117], v[16:17], -v[18:19]
	v_mul_f64 v[116:117], v[116:117], v[216:217]
	s_delay_alu instid0(VALU_DEP_2) | instskip(NEXT) | instid1(VALU_DEP_2)
	v_add_f64 v[8:9], v[8:9], -v[18:19]
	v_fma_f64 v[116:117], v[118:119], v[16:17], v[116:117]
	s_delay_alu instid0(VALU_DEP_1) | instskip(SKIP_3) | instid1(VALU_DEP_1)
	v_add_f64 v[10:11], v[10:11], -v[116:117]
	ds_load_2addr_b64 v[116:119], v246 offset0:54 offset1:55
	;; [unrolled: 10-line block ×3, first 2 shown]
	s_waitcnt lgkmcnt(0)
	v_mul_f64 v[18:19], v[118:119], v[216:217]
	v_fma_f64 v[18:19], v[116:117], v[16:17], -v[18:19]
	v_mul_f64 v[116:117], v[116:117], v[216:217]
	s_delay_alu instid0(VALU_DEP_2) | instskip(NEXT) | instid1(VALU_DEP_2)
	v_add_f64 v[0:1], v[0:1], -v[18:19]
	v_fma_f64 v[116:117], v[118:119], v[16:17], v[116:117]
	v_dual_mov_b32 v18, v216 :: v_dual_mov_b32 v19, v217
	s_delay_alu instid0(VALU_DEP_2)
	v_add_f64 v[2:3], v[2:3], -v[116:117]
.LBB57_226:
	s_or_b32 exec_lo, exec_lo, s3
	s_delay_alu instid0(SALU_CYCLE_1)
	s_mov_b32 s4, exec_lo
	s_waitcnt lgkmcnt(0)
	s_barrier
	buffer_gl0_inv
	v_cmpx_eq_u32_e32 25, v244
	s_cbranch_execz .LBB57_233
; %bb.227:
	ds_store_2addr_b64 v245, v[12:13], v[14:15] offset1:1
	ds_store_2addr_b64 v246, v[8:9], v[10:11] offset0:52 offset1:53
	ds_store_2addr_b64 v246, v[4:5], v[6:7] offset0:54 offset1:55
	;; [unrolled: 1-line block ×3, first 2 shown]
	ds_load_2addr_b64 v[216:219], v245 offset1:1
	s_waitcnt lgkmcnt(0)
	v_cmp_neq_f64_e32 vcc_lo, 0, v[216:217]
	v_cmp_neq_f64_e64 s3, 0, v[218:219]
	s_delay_alu instid0(VALU_DEP_1) | instskip(NEXT) | instid1(SALU_CYCLE_1)
	s_or_b32 s3, vcc_lo, s3
	s_and_b32 exec_lo, exec_lo, s3
	s_cbranch_execz .LBB57_233
; %bb.228:
	v_cmp_gt_f64_e32 vcc_lo, 0, v[216:217]
	v_xor_b32_e32 v116, 0x80000000, v217
	v_xor_b32_e32 v118, 0x80000000, v219
	s_delay_alu instid0(VALU_DEP_2) | instskip(SKIP_2) | instid1(VALU_DEP_4)
	v_cndmask_b32_e32 v117, v217, v116, vcc_lo
	v_cndmask_b32_e32 v116, v216, v216, vcc_lo
	v_cmp_gt_f64_e32 vcc_lo, 0, v[218:219]
	v_cndmask_b32_e32 v119, v219, v118, vcc_lo
	v_cndmask_b32_e32 v118, v218, v218, vcc_lo
	s_delay_alu instid0(VALU_DEP_1) | instskip(SKIP_1) | instid1(SALU_CYCLE_1)
	v_cmp_ngt_f64_e32 vcc_lo, v[116:117], v[118:119]
                                        ; implicit-def: $vgpr116_vgpr117
	s_and_saveexec_b32 s3, vcc_lo
	s_xor_b32 s3, exec_lo, s3
                                        ; implicit-def: $vgpr220_vgpr221_vgpr222_vgpr223
	s_cbranch_execz .LBB57_230
; %bb.229:
	v_div_scale_f64 v[116:117], null, v[218:219], v[218:219], v[216:217]
	v_div_scale_f64 v[222:223], vcc_lo, v[216:217], v[218:219], v[216:217]
	s_delay_alu instid0(VALU_DEP_2) | instskip(SKIP_2) | instid1(VALU_DEP_1)
	v_rcp_f64_e32 v[118:119], v[116:117]
	s_waitcnt_depctr 0xfff
	v_fma_f64 v[220:221], -v[116:117], v[118:119], 1.0
	v_fma_f64 v[118:119], v[118:119], v[220:221], v[118:119]
	s_delay_alu instid0(VALU_DEP_1) | instskip(NEXT) | instid1(VALU_DEP_1)
	v_fma_f64 v[220:221], -v[116:117], v[118:119], 1.0
	v_fma_f64 v[118:119], v[118:119], v[220:221], v[118:119]
	s_delay_alu instid0(VALU_DEP_1) | instskip(NEXT) | instid1(VALU_DEP_1)
	v_mul_f64 v[220:221], v[222:223], v[118:119]
	v_fma_f64 v[116:117], -v[116:117], v[220:221], v[222:223]
	s_delay_alu instid0(VALU_DEP_1) | instskip(NEXT) | instid1(VALU_DEP_1)
	v_div_fmas_f64 v[116:117], v[116:117], v[118:119], v[220:221]
	v_div_fixup_f64 v[116:117], v[116:117], v[218:219], v[216:217]
	s_delay_alu instid0(VALU_DEP_1) | instskip(NEXT) | instid1(VALU_DEP_1)
	v_fma_f64 v[118:119], v[216:217], v[116:117], v[218:219]
	v_div_scale_f64 v[216:217], null, v[118:119], v[118:119], 1.0
	s_delay_alu instid0(VALU_DEP_1) | instskip(SKIP_2) | instid1(VALU_DEP_1)
	v_rcp_f64_e32 v[218:219], v[216:217]
	s_waitcnt_depctr 0xfff
	v_fma_f64 v[220:221], -v[216:217], v[218:219], 1.0
	v_fma_f64 v[218:219], v[218:219], v[220:221], v[218:219]
	s_delay_alu instid0(VALU_DEP_1) | instskip(NEXT) | instid1(VALU_DEP_1)
	v_fma_f64 v[220:221], -v[216:217], v[218:219], 1.0
	v_fma_f64 v[218:219], v[218:219], v[220:221], v[218:219]
	v_div_scale_f64 v[220:221], vcc_lo, 1.0, v[118:119], 1.0
	s_delay_alu instid0(VALU_DEP_1) | instskip(NEXT) | instid1(VALU_DEP_1)
	v_mul_f64 v[222:223], v[220:221], v[218:219]
	v_fma_f64 v[216:217], -v[216:217], v[222:223], v[220:221]
	s_delay_alu instid0(VALU_DEP_1) | instskip(NEXT) | instid1(VALU_DEP_1)
	v_div_fmas_f64 v[216:217], v[216:217], v[218:219], v[222:223]
	v_div_fixup_f64 v[222:223], v[216:217], v[118:119], 1.0
                                        ; implicit-def: $vgpr216_vgpr217
	s_delay_alu instid0(VALU_DEP_1)
	v_mul_f64 v[116:117], v[116:117], v[222:223]
	v_xor_b32_e32 v223, 0x80000000, v223
.LBB57_230:
	s_and_not1_saveexec_b32 s3, s3
	s_cbranch_execz .LBB57_232
; %bb.231:
	v_div_scale_f64 v[116:117], null, v[216:217], v[216:217], v[218:219]
	v_div_scale_f64 v[222:223], vcc_lo, v[218:219], v[216:217], v[218:219]
	s_delay_alu instid0(VALU_DEP_2) | instskip(SKIP_2) | instid1(VALU_DEP_1)
	v_rcp_f64_e32 v[118:119], v[116:117]
	s_waitcnt_depctr 0xfff
	v_fma_f64 v[220:221], -v[116:117], v[118:119], 1.0
	v_fma_f64 v[118:119], v[118:119], v[220:221], v[118:119]
	s_delay_alu instid0(VALU_DEP_1) | instskip(NEXT) | instid1(VALU_DEP_1)
	v_fma_f64 v[220:221], -v[116:117], v[118:119], 1.0
	v_fma_f64 v[118:119], v[118:119], v[220:221], v[118:119]
	s_delay_alu instid0(VALU_DEP_1) | instskip(NEXT) | instid1(VALU_DEP_1)
	v_mul_f64 v[220:221], v[222:223], v[118:119]
	v_fma_f64 v[116:117], -v[116:117], v[220:221], v[222:223]
	s_delay_alu instid0(VALU_DEP_1) | instskip(NEXT) | instid1(VALU_DEP_1)
	v_div_fmas_f64 v[116:117], v[116:117], v[118:119], v[220:221]
	v_div_fixup_f64 v[118:119], v[116:117], v[216:217], v[218:219]
	s_delay_alu instid0(VALU_DEP_1) | instskip(NEXT) | instid1(VALU_DEP_1)
	v_fma_f64 v[116:117], v[218:219], v[118:119], v[216:217]
	v_div_scale_f64 v[216:217], null, v[116:117], v[116:117], 1.0
	s_delay_alu instid0(VALU_DEP_1) | instskip(SKIP_2) | instid1(VALU_DEP_1)
	v_rcp_f64_e32 v[218:219], v[216:217]
	s_waitcnt_depctr 0xfff
	v_fma_f64 v[220:221], -v[216:217], v[218:219], 1.0
	v_fma_f64 v[218:219], v[218:219], v[220:221], v[218:219]
	s_delay_alu instid0(VALU_DEP_1) | instskip(NEXT) | instid1(VALU_DEP_1)
	v_fma_f64 v[220:221], -v[216:217], v[218:219], 1.0
	v_fma_f64 v[218:219], v[218:219], v[220:221], v[218:219]
	v_div_scale_f64 v[220:221], vcc_lo, 1.0, v[116:117], 1.0
	s_delay_alu instid0(VALU_DEP_1) | instskip(NEXT) | instid1(VALU_DEP_1)
	v_mul_f64 v[222:223], v[220:221], v[218:219]
	v_fma_f64 v[216:217], -v[216:217], v[222:223], v[220:221]
	s_delay_alu instid0(VALU_DEP_1) | instskip(NEXT) | instid1(VALU_DEP_1)
	v_div_fmas_f64 v[216:217], v[216:217], v[218:219], v[222:223]
	v_div_fixup_f64 v[116:117], v[216:217], v[116:117], 1.0
	s_delay_alu instid0(VALU_DEP_1)
	v_mul_f64 v[222:223], v[118:119], -v[116:117]
.LBB57_232:
	s_or_b32 exec_lo, exec_lo, s3
	ds_store_2addr_b64 v245, v[116:117], v[222:223] offset1:1
.LBB57_233:
	s_or_b32 exec_lo, exec_lo, s4
	s_waitcnt lgkmcnt(0)
	s_barrier
	buffer_gl0_inv
	ds_load_2addr_b64 v[216:219], v245 offset1:1
	s_mov_b32 s3, exec_lo
	v_cmpx_lt_u32_e32 25, v244
	s_cbranch_execz .LBB57_235
; %bb.234:
	s_waitcnt lgkmcnt(0)
	v_mul_f64 v[116:117], v[216:217], v[14:15]
	v_mul_f64 v[14:15], v[218:219], v[14:15]
	s_delay_alu instid0(VALU_DEP_2) | instskip(SKIP_4) | instid1(VALU_DEP_1)
	v_fma_f64 v[220:221], v[218:219], v[12:13], v[116:117]
	ds_load_2addr_b64 v[116:119], v246 offset0:52 offset1:53
	v_fma_f64 v[12:13], v[216:217], v[12:13], -v[14:15]
	s_waitcnt lgkmcnt(0)
	v_mul_f64 v[14:15], v[118:119], v[220:221]
	v_fma_f64 v[14:15], v[116:117], v[12:13], -v[14:15]
	v_mul_f64 v[116:117], v[116:117], v[220:221]
	s_delay_alu instid0(VALU_DEP_2) | instskip(NEXT) | instid1(VALU_DEP_2)
	v_add_f64 v[8:9], v[8:9], -v[14:15]
	v_fma_f64 v[116:117], v[118:119], v[12:13], v[116:117]
	s_delay_alu instid0(VALU_DEP_1) | instskip(SKIP_3) | instid1(VALU_DEP_1)
	v_add_f64 v[10:11], v[10:11], -v[116:117]
	ds_load_2addr_b64 v[116:119], v246 offset0:54 offset1:55
	s_waitcnt lgkmcnt(0)
	v_mul_f64 v[14:15], v[118:119], v[220:221]
	v_fma_f64 v[14:15], v[116:117], v[12:13], -v[14:15]
	v_mul_f64 v[116:117], v[116:117], v[220:221]
	s_delay_alu instid0(VALU_DEP_2) | instskip(NEXT) | instid1(VALU_DEP_2)
	v_add_f64 v[4:5], v[4:5], -v[14:15]
	v_fma_f64 v[116:117], v[118:119], v[12:13], v[116:117]
	s_delay_alu instid0(VALU_DEP_1) | instskip(SKIP_3) | instid1(VALU_DEP_1)
	v_add_f64 v[6:7], v[6:7], -v[116:117]
	ds_load_2addr_b64 v[116:119], v246 offset0:56 offset1:57
	s_waitcnt lgkmcnt(0)
	v_mul_f64 v[14:15], v[118:119], v[220:221]
	v_fma_f64 v[14:15], v[116:117], v[12:13], -v[14:15]
	v_mul_f64 v[116:117], v[116:117], v[220:221]
	s_delay_alu instid0(VALU_DEP_2) | instskip(NEXT) | instid1(VALU_DEP_2)
	v_add_f64 v[0:1], v[0:1], -v[14:15]
	v_fma_f64 v[116:117], v[118:119], v[12:13], v[116:117]
	v_dual_mov_b32 v14, v220 :: v_dual_mov_b32 v15, v221
	s_delay_alu instid0(VALU_DEP_2)
	v_add_f64 v[2:3], v[2:3], -v[116:117]
.LBB57_235:
	s_or_b32 exec_lo, exec_lo, s3
	s_delay_alu instid0(SALU_CYCLE_1)
	s_mov_b32 s4, exec_lo
	s_waitcnt lgkmcnt(0)
	s_barrier
	buffer_gl0_inv
	v_cmpx_eq_u32_e32 26, v244
	s_cbranch_execz .LBB57_242
; %bb.236:
	ds_store_2addr_b64 v245, v[8:9], v[10:11] offset1:1
	ds_store_2addr_b64 v246, v[4:5], v[6:7] offset0:54 offset1:55
	ds_store_2addr_b64 v246, v[0:1], v[2:3] offset0:56 offset1:57
	ds_load_2addr_b64 v[220:223], v245 offset1:1
	s_waitcnt lgkmcnt(0)
	v_cmp_neq_f64_e32 vcc_lo, 0, v[220:221]
	v_cmp_neq_f64_e64 s3, 0, v[222:223]
	s_delay_alu instid0(VALU_DEP_1) | instskip(NEXT) | instid1(SALU_CYCLE_1)
	s_or_b32 s3, vcc_lo, s3
	s_and_b32 exec_lo, exec_lo, s3
	s_cbranch_execz .LBB57_242
; %bb.237:
	v_cmp_gt_f64_e32 vcc_lo, 0, v[220:221]
	v_xor_b32_e32 v116, 0x80000000, v221
	v_xor_b32_e32 v118, 0x80000000, v223
	s_delay_alu instid0(VALU_DEP_2) | instskip(SKIP_2) | instid1(VALU_DEP_4)
	v_cndmask_b32_e32 v117, v221, v116, vcc_lo
	v_cndmask_b32_e32 v116, v220, v220, vcc_lo
	v_cmp_gt_f64_e32 vcc_lo, 0, v[222:223]
	v_cndmask_b32_e32 v119, v223, v118, vcc_lo
	v_cndmask_b32_e32 v118, v222, v222, vcc_lo
	s_delay_alu instid0(VALU_DEP_1) | instskip(SKIP_1) | instid1(SALU_CYCLE_1)
	v_cmp_ngt_f64_e32 vcc_lo, v[116:117], v[118:119]
                                        ; implicit-def: $vgpr116_vgpr117
	s_and_saveexec_b32 s3, vcc_lo
	s_xor_b32 s3, exec_lo, s3
                                        ; implicit-def: $vgpr224_vgpr225_vgpr226_vgpr227
	s_cbranch_execz .LBB57_239
; %bb.238:
	v_div_scale_f64 v[116:117], null, v[222:223], v[222:223], v[220:221]
	v_div_scale_f64 v[226:227], vcc_lo, v[220:221], v[222:223], v[220:221]
	s_delay_alu instid0(VALU_DEP_2) | instskip(SKIP_2) | instid1(VALU_DEP_1)
	v_rcp_f64_e32 v[118:119], v[116:117]
	s_waitcnt_depctr 0xfff
	v_fma_f64 v[224:225], -v[116:117], v[118:119], 1.0
	v_fma_f64 v[118:119], v[118:119], v[224:225], v[118:119]
	s_delay_alu instid0(VALU_DEP_1) | instskip(NEXT) | instid1(VALU_DEP_1)
	v_fma_f64 v[224:225], -v[116:117], v[118:119], 1.0
	v_fma_f64 v[118:119], v[118:119], v[224:225], v[118:119]
	s_delay_alu instid0(VALU_DEP_1) | instskip(NEXT) | instid1(VALU_DEP_1)
	v_mul_f64 v[224:225], v[226:227], v[118:119]
	v_fma_f64 v[116:117], -v[116:117], v[224:225], v[226:227]
	s_delay_alu instid0(VALU_DEP_1) | instskip(NEXT) | instid1(VALU_DEP_1)
	v_div_fmas_f64 v[116:117], v[116:117], v[118:119], v[224:225]
	v_div_fixup_f64 v[116:117], v[116:117], v[222:223], v[220:221]
	s_delay_alu instid0(VALU_DEP_1) | instskip(NEXT) | instid1(VALU_DEP_1)
	v_fma_f64 v[118:119], v[220:221], v[116:117], v[222:223]
	v_div_scale_f64 v[220:221], null, v[118:119], v[118:119], 1.0
	s_delay_alu instid0(VALU_DEP_1) | instskip(SKIP_2) | instid1(VALU_DEP_1)
	v_rcp_f64_e32 v[222:223], v[220:221]
	s_waitcnt_depctr 0xfff
	v_fma_f64 v[224:225], -v[220:221], v[222:223], 1.0
	v_fma_f64 v[222:223], v[222:223], v[224:225], v[222:223]
	s_delay_alu instid0(VALU_DEP_1) | instskip(NEXT) | instid1(VALU_DEP_1)
	v_fma_f64 v[224:225], -v[220:221], v[222:223], 1.0
	v_fma_f64 v[222:223], v[222:223], v[224:225], v[222:223]
	v_div_scale_f64 v[224:225], vcc_lo, 1.0, v[118:119], 1.0
	s_delay_alu instid0(VALU_DEP_1) | instskip(NEXT) | instid1(VALU_DEP_1)
	v_mul_f64 v[226:227], v[224:225], v[222:223]
	v_fma_f64 v[220:221], -v[220:221], v[226:227], v[224:225]
	s_delay_alu instid0(VALU_DEP_1) | instskip(NEXT) | instid1(VALU_DEP_1)
	v_div_fmas_f64 v[220:221], v[220:221], v[222:223], v[226:227]
	v_div_fixup_f64 v[226:227], v[220:221], v[118:119], 1.0
                                        ; implicit-def: $vgpr220_vgpr221
	s_delay_alu instid0(VALU_DEP_1)
	v_mul_f64 v[116:117], v[116:117], v[226:227]
	v_xor_b32_e32 v227, 0x80000000, v227
.LBB57_239:
	s_and_not1_saveexec_b32 s3, s3
	s_cbranch_execz .LBB57_241
; %bb.240:
	v_div_scale_f64 v[116:117], null, v[220:221], v[220:221], v[222:223]
	v_div_scale_f64 v[226:227], vcc_lo, v[222:223], v[220:221], v[222:223]
	s_delay_alu instid0(VALU_DEP_2) | instskip(SKIP_2) | instid1(VALU_DEP_1)
	v_rcp_f64_e32 v[118:119], v[116:117]
	s_waitcnt_depctr 0xfff
	v_fma_f64 v[224:225], -v[116:117], v[118:119], 1.0
	v_fma_f64 v[118:119], v[118:119], v[224:225], v[118:119]
	s_delay_alu instid0(VALU_DEP_1) | instskip(NEXT) | instid1(VALU_DEP_1)
	v_fma_f64 v[224:225], -v[116:117], v[118:119], 1.0
	v_fma_f64 v[118:119], v[118:119], v[224:225], v[118:119]
	s_delay_alu instid0(VALU_DEP_1) | instskip(NEXT) | instid1(VALU_DEP_1)
	v_mul_f64 v[224:225], v[226:227], v[118:119]
	v_fma_f64 v[116:117], -v[116:117], v[224:225], v[226:227]
	s_delay_alu instid0(VALU_DEP_1) | instskip(NEXT) | instid1(VALU_DEP_1)
	v_div_fmas_f64 v[116:117], v[116:117], v[118:119], v[224:225]
	v_div_fixup_f64 v[118:119], v[116:117], v[220:221], v[222:223]
	s_delay_alu instid0(VALU_DEP_1) | instskip(NEXT) | instid1(VALU_DEP_1)
	v_fma_f64 v[116:117], v[222:223], v[118:119], v[220:221]
	v_div_scale_f64 v[220:221], null, v[116:117], v[116:117], 1.0
	s_delay_alu instid0(VALU_DEP_1) | instskip(SKIP_2) | instid1(VALU_DEP_1)
	v_rcp_f64_e32 v[222:223], v[220:221]
	s_waitcnt_depctr 0xfff
	v_fma_f64 v[224:225], -v[220:221], v[222:223], 1.0
	v_fma_f64 v[222:223], v[222:223], v[224:225], v[222:223]
	s_delay_alu instid0(VALU_DEP_1) | instskip(NEXT) | instid1(VALU_DEP_1)
	v_fma_f64 v[224:225], -v[220:221], v[222:223], 1.0
	v_fma_f64 v[222:223], v[222:223], v[224:225], v[222:223]
	v_div_scale_f64 v[224:225], vcc_lo, 1.0, v[116:117], 1.0
	s_delay_alu instid0(VALU_DEP_1) | instskip(NEXT) | instid1(VALU_DEP_1)
	v_mul_f64 v[226:227], v[224:225], v[222:223]
	v_fma_f64 v[220:221], -v[220:221], v[226:227], v[224:225]
	s_delay_alu instid0(VALU_DEP_1) | instskip(NEXT) | instid1(VALU_DEP_1)
	v_div_fmas_f64 v[220:221], v[220:221], v[222:223], v[226:227]
	v_div_fixup_f64 v[116:117], v[220:221], v[116:117], 1.0
	s_delay_alu instid0(VALU_DEP_1)
	v_mul_f64 v[226:227], v[118:119], -v[116:117]
.LBB57_241:
	s_or_b32 exec_lo, exec_lo, s3
	ds_store_2addr_b64 v245, v[116:117], v[226:227] offset1:1
.LBB57_242:
	s_or_b32 exec_lo, exec_lo, s4
	s_waitcnt lgkmcnt(0)
	s_barrier
	buffer_gl0_inv
	ds_load_2addr_b64 v[220:223], v245 offset1:1
	s_mov_b32 s3, exec_lo
	v_cmpx_lt_u32_e32 26, v244
	s_cbranch_execz .LBB57_244
; %bb.243:
	s_waitcnt lgkmcnt(0)
	v_mul_f64 v[116:117], v[220:221], v[10:11]
	v_mul_f64 v[10:11], v[222:223], v[10:11]
	s_delay_alu instid0(VALU_DEP_2) | instskip(SKIP_4) | instid1(VALU_DEP_1)
	v_fma_f64 v[224:225], v[222:223], v[8:9], v[116:117]
	ds_load_2addr_b64 v[116:119], v246 offset0:54 offset1:55
	v_fma_f64 v[8:9], v[220:221], v[8:9], -v[10:11]
	s_waitcnt lgkmcnt(0)
	v_mul_f64 v[10:11], v[118:119], v[224:225]
	v_fma_f64 v[10:11], v[116:117], v[8:9], -v[10:11]
	v_mul_f64 v[116:117], v[116:117], v[224:225]
	s_delay_alu instid0(VALU_DEP_2) | instskip(NEXT) | instid1(VALU_DEP_2)
	v_add_f64 v[4:5], v[4:5], -v[10:11]
	v_fma_f64 v[116:117], v[118:119], v[8:9], v[116:117]
	s_delay_alu instid0(VALU_DEP_1) | instskip(SKIP_3) | instid1(VALU_DEP_1)
	v_add_f64 v[6:7], v[6:7], -v[116:117]
	ds_load_2addr_b64 v[116:119], v246 offset0:56 offset1:57
	s_waitcnt lgkmcnt(0)
	v_mul_f64 v[10:11], v[118:119], v[224:225]
	v_fma_f64 v[10:11], v[116:117], v[8:9], -v[10:11]
	v_mul_f64 v[116:117], v[116:117], v[224:225]
	s_delay_alu instid0(VALU_DEP_2) | instskip(NEXT) | instid1(VALU_DEP_2)
	v_add_f64 v[0:1], v[0:1], -v[10:11]
	v_fma_f64 v[116:117], v[118:119], v[8:9], v[116:117]
	v_dual_mov_b32 v10, v224 :: v_dual_mov_b32 v11, v225
	s_delay_alu instid0(VALU_DEP_2)
	v_add_f64 v[2:3], v[2:3], -v[116:117]
.LBB57_244:
	s_or_b32 exec_lo, exec_lo, s3
	s_delay_alu instid0(SALU_CYCLE_1)
	s_mov_b32 s4, exec_lo
	s_waitcnt lgkmcnt(0)
	s_barrier
	buffer_gl0_inv
	v_cmpx_eq_u32_e32 27, v244
	s_cbranch_execz .LBB57_251
; %bb.245:
	ds_store_2addr_b64 v245, v[4:5], v[6:7] offset1:1
	ds_store_2addr_b64 v246, v[0:1], v[2:3] offset0:56 offset1:57
	ds_load_2addr_b64 v[224:227], v245 offset1:1
	s_waitcnt lgkmcnt(0)
	v_cmp_neq_f64_e32 vcc_lo, 0, v[224:225]
	v_cmp_neq_f64_e64 s3, 0, v[226:227]
	s_delay_alu instid0(VALU_DEP_1) | instskip(NEXT) | instid1(SALU_CYCLE_1)
	s_or_b32 s3, vcc_lo, s3
	s_and_b32 exec_lo, exec_lo, s3
	s_cbranch_execz .LBB57_251
; %bb.246:
	v_cmp_gt_f64_e32 vcc_lo, 0, v[224:225]
	v_xor_b32_e32 v116, 0x80000000, v225
	v_xor_b32_e32 v118, 0x80000000, v227
	s_delay_alu instid0(VALU_DEP_2) | instskip(SKIP_2) | instid1(VALU_DEP_4)
	v_cndmask_b32_e32 v117, v225, v116, vcc_lo
	v_cndmask_b32_e32 v116, v224, v224, vcc_lo
	v_cmp_gt_f64_e32 vcc_lo, 0, v[226:227]
	v_cndmask_b32_e32 v119, v227, v118, vcc_lo
	v_cndmask_b32_e32 v118, v226, v226, vcc_lo
	s_delay_alu instid0(VALU_DEP_1) | instskip(SKIP_1) | instid1(SALU_CYCLE_1)
	v_cmp_ngt_f64_e32 vcc_lo, v[116:117], v[118:119]
                                        ; implicit-def: $vgpr116_vgpr117
	s_and_saveexec_b32 s3, vcc_lo
	s_xor_b32 s3, exec_lo, s3
                                        ; implicit-def: $vgpr228_vgpr229_vgpr230_vgpr231
	s_cbranch_execz .LBB57_248
; %bb.247:
	v_div_scale_f64 v[116:117], null, v[226:227], v[226:227], v[224:225]
	v_div_scale_f64 v[230:231], vcc_lo, v[224:225], v[226:227], v[224:225]
	s_delay_alu instid0(VALU_DEP_2) | instskip(SKIP_2) | instid1(VALU_DEP_1)
	v_rcp_f64_e32 v[118:119], v[116:117]
	s_waitcnt_depctr 0xfff
	v_fma_f64 v[228:229], -v[116:117], v[118:119], 1.0
	v_fma_f64 v[118:119], v[118:119], v[228:229], v[118:119]
	s_delay_alu instid0(VALU_DEP_1) | instskip(NEXT) | instid1(VALU_DEP_1)
	v_fma_f64 v[228:229], -v[116:117], v[118:119], 1.0
	v_fma_f64 v[118:119], v[118:119], v[228:229], v[118:119]
	s_delay_alu instid0(VALU_DEP_1) | instskip(NEXT) | instid1(VALU_DEP_1)
	v_mul_f64 v[228:229], v[230:231], v[118:119]
	v_fma_f64 v[116:117], -v[116:117], v[228:229], v[230:231]
	s_delay_alu instid0(VALU_DEP_1) | instskip(NEXT) | instid1(VALU_DEP_1)
	v_div_fmas_f64 v[116:117], v[116:117], v[118:119], v[228:229]
	v_div_fixup_f64 v[116:117], v[116:117], v[226:227], v[224:225]
	s_delay_alu instid0(VALU_DEP_1) | instskip(NEXT) | instid1(VALU_DEP_1)
	v_fma_f64 v[118:119], v[224:225], v[116:117], v[226:227]
	v_div_scale_f64 v[224:225], null, v[118:119], v[118:119], 1.0
	s_delay_alu instid0(VALU_DEP_1) | instskip(SKIP_2) | instid1(VALU_DEP_1)
	v_rcp_f64_e32 v[226:227], v[224:225]
	s_waitcnt_depctr 0xfff
	v_fma_f64 v[228:229], -v[224:225], v[226:227], 1.0
	v_fma_f64 v[226:227], v[226:227], v[228:229], v[226:227]
	s_delay_alu instid0(VALU_DEP_1) | instskip(NEXT) | instid1(VALU_DEP_1)
	v_fma_f64 v[228:229], -v[224:225], v[226:227], 1.0
	v_fma_f64 v[226:227], v[226:227], v[228:229], v[226:227]
	v_div_scale_f64 v[228:229], vcc_lo, 1.0, v[118:119], 1.0
	s_delay_alu instid0(VALU_DEP_1) | instskip(NEXT) | instid1(VALU_DEP_1)
	v_mul_f64 v[230:231], v[228:229], v[226:227]
	v_fma_f64 v[224:225], -v[224:225], v[230:231], v[228:229]
	s_delay_alu instid0(VALU_DEP_1) | instskip(NEXT) | instid1(VALU_DEP_1)
	v_div_fmas_f64 v[224:225], v[224:225], v[226:227], v[230:231]
	v_div_fixup_f64 v[230:231], v[224:225], v[118:119], 1.0
                                        ; implicit-def: $vgpr224_vgpr225
	s_delay_alu instid0(VALU_DEP_1)
	v_mul_f64 v[116:117], v[116:117], v[230:231]
	v_xor_b32_e32 v231, 0x80000000, v231
.LBB57_248:
	s_and_not1_saveexec_b32 s3, s3
	s_cbranch_execz .LBB57_250
; %bb.249:
	v_div_scale_f64 v[116:117], null, v[224:225], v[224:225], v[226:227]
	v_div_scale_f64 v[230:231], vcc_lo, v[226:227], v[224:225], v[226:227]
	s_delay_alu instid0(VALU_DEP_2) | instskip(SKIP_2) | instid1(VALU_DEP_1)
	v_rcp_f64_e32 v[118:119], v[116:117]
	s_waitcnt_depctr 0xfff
	v_fma_f64 v[228:229], -v[116:117], v[118:119], 1.0
	v_fma_f64 v[118:119], v[118:119], v[228:229], v[118:119]
	s_delay_alu instid0(VALU_DEP_1) | instskip(NEXT) | instid1(VALU_DEP_1)
	v_fma_f64 v[228:229], -v[116:117], v[118:119], 1.0
	v_fma_f64 v[118:119], v[118:119], v[228:229], v[118:119]
	s_delay_alu instid0(VALU_DEP_1) | instskip(NEXT) | instid1(VALU_DEP_1)
	v_mul_f64 v[228:229], v[230:231], v[118:119]
	v_fma_f64 v[116:117], -v[116:117], v[228:229], v[230:231]
	s_delay_alu instid0(VALU_DEP_1) | instskip(NEXT) | instid1(VALU_DEP_1)
	v_div_fmas_f64 v[116:117], v[116:117], v[118:119], v[228:229]
	v_div_fixup_f64 v[118:119], v[116:117], v[224:225], v[226:227]
	s_delay_alu instid0(VALU_DEP_1) | instskip(NEXT) | instid1(VALU_DEP_1)
	v_fma_f64 v[116:117], v[226:227], v[118:119], v[224:225]
	v_div_scale_f64 v[224:225], null, v[116:117], v[116:117], 1.0
	s_delay_alu instid0(VALU_DEP_1) | instskip(SKIP_2) | instid1(VALU_DEP_1)
	v_rcp_f64_e32 v[226:227], v[224:225]
	s_waitcnt_depctr 0xfff
	v_fma_f64 v[228:229], -v[224:225], v[226:227], 1.0
	v_fma_f64 v[226:227], v[226:227], v[228:229], v[226:227]
	s_delay_alu instid0(VALU_DEP_1) | instskip(NEXT) | instid1(VALU_DEP_1)
	v_fma_f64 v[228:229], -v[224:225], v[226:227], 1.0
	v_fma_f64 v[226:227], v[226:227], v[228:229], v[226:227]
	v_div_scale_f64 v[228:229], vcc_lo, 1.0, v[116:117], 1.0
	s_delay_alu instid0(VALU_DEP_1) | instskip(NEXT) | instid1(VALU_DEP_1)
	v_mul_f64 v[230:231], v[228:229], v[226:227]
	v_fma_f64 v[224:225], -v[224:225], v[230:231], v[228:229]
	s_delay_alu instid0(VALU_DEP_1) | instskip(NEXT) | instid1(VALU_DEP_1)
	v_div_fmas_f64 v[224:225], v[224:225], v[226:227], v[230:231]
	v_div_fixup_f64 v[116:117], v[224:225], v[116:117], 1.0
	s_delay_alu instid0(VALU_DEP_1)
	v_mul_f64 v[230:231], v[118:119], -v[116:117]
.LBB57_250:
	s_or_b32 exec_lo, exec_lo, s3
	ds_store_2addr_b64 v245, v[116:117], v[230:231] offset1:1
.LBB57_251:
	s_or_b32 exec_lo, exec_lo, s4
	s_waitcnt lgkmcnt(0)
	s_barrier
	buffer_gl0_inv
	ds_load_2addr_b64 v[224:227], v245 offset1:1
	s_mov_b32 s3, exec_lo
	v_cmpx_lt_u32_e32 27, v244
	s_cbranch_execz .LBB57_253
; %bb.252:
	s_waitcnt lgkmcnt(0)
	v_mul_f64 v[116:117], v[224:225], v[6:7]
	v_mul_f64 v[6:7], v[226:227], v[6:7]
	s_delay_alu instid0(VALU_DEP_2) | instskip(SKIP_4) | instid1(VALU_DEP_1)
	v_fma_f64 v[228:229], v[226:227], v[4:5], v[116:117]
	ds_load_2addr_b64 v[116:119], v246 offset0:56 offset1:57
	v_fma_f64 v[4:5], v[224:225], v[4:5], -v[6:7]
	s_waitcnt lgkmcnt(0)
	v_mul_f64 v[6:7], v[118:119], v[228:229]
	v_fma_f64 v[6:7], v[116:117], v[4:5], -v[6:7]
	v_mul_f64 v[116:117], v[116:117], v[228:229]
	s_delay_alu instid0(VALU_DEP_2) | instskip(NEXT) | instid1(VALU_DEP_2)
	v_add_f64 v[0:1], v[0:1], -v[6:7]
	v_fma_f64 v[116:117], v[118:119], v[4:5], v[116:117]
	v_dual_mov_b32 v6, v228 :: v_dual_mov_b32 v7, v229
	s_delay_alu instid0(VALU_DEP_2)
	v_add_f64 v[2:3], v[2:3], -v[116:117]
.LBB57_253:
	s_or_b32 exec_lo, exec_lo, s3
	s_delay_alu instid0(SALU_CYCLE_1)
	s_mov_b32 s4, exec_lo
	s_waitcnt lgkmcnt(0)
	s_barrier
	buffer_gl0_inv
	v_cmpx_eq_u32_e32 28, v244
	s_cbranch_execz .LBB57_260
; %bb.254:
	v_cmp_neq_f64_e32 vcc_lo, 0, v[0:1]
	v_cmp_neq_f64_e64 s3, 0, v[2:3]
	ds_store_2addr_b64 v245, v[0:1], v[2:3] offset1:1
	s_or_b32 s3, vcc_lo, s3
	s_delay_alu instid0(SALU_CYCLE_1)
	s_and_b32 exec_lo, exec_lo, s3
	s_cbranch_execz .LBB57_260
; %bb.255:
	v_cmp_gt_f64_e32 vcc_lo, 0, v[0:1]
	v_xor_b32_e32 v116, 0x80000000, v1
	v_xor_b32_e32 v118, 0x80000000, v3
	s_delay_alu instid0(VALU_DEP_2) | instskip(SKIP_2) | instid1(VALU_DEP_4)
	v_cndmask_b32_e32 v117, v1, v116, vcc_lo
	v_cndmask_b32_e32 v116, v0, v0, vcc_lo
	v_cmp_gt_f64_e32 vcc_lo, 0, v[2:3]
	v_cndmask_b32_e32 v119, v3, v118, vcc_lo
	v_cndmask_b32_e32 v118, v2, v2, vcc_lo
	s_delay_alu instid0(VALU_DEP_1) | instskip(SKIP_1) | instid1(SALU_CYCLE_1)
	v_cmp_ngt_f64_e32 vcc_lo, v[116:117], v[118:119]
                                        ; implicit-def: $vgpr116_vgpr117
	s_and_saveexec_b32 s3, vcc_lo
	s_xor_b32 s3, exec_lo, s3
                                        ; implicit-def: $vgpr228_vgpr229_vgpr230_vgpr231
	s_cbranch_execz .LBB57_257
; %bb.256:
	v_div_scale_f64 v[116:117], null, v[2:3], v[2:3], v[0:1]
	v_div_scale_f64 v[230:231], vcc_lo, v[0:1], v[2:3], v[0:1]
	v_dual_mov_b32 v128, v242 :: v_dual_mov_b32 v129, v243
	v_dual_mov_b32 v243, v239 :: v_dual_mov_b32 v242, v238
	;; [unrolled: 1-line block ×14, first 2 shown]
	s_delay_alu instid0(VALU_DEP_1) | instskip(SKIP_1) | instid1(VALU_DEP_3)
	v_dual_mov_b32 v140, v144 :: v_dual_mov_b32 v141, v145
	v_rcp_f64_e32 v[118:119], v[116:117]
	v_dual_mov_b32 v142, v146 :: v_dual_mov_b32 v143, v147
	v_dual_mov_b32 v144, v148 :: v_dual_mov_b32 v145, v149
	;; [unrolled: 1-line block ×5, first 2 shown]
	s_waitcnt_depctr 0xfff
	v_fma_f64 v[228:229], -v[116:117], v[118:119], 1.0
	s_delay_alu instid0(VALU_DEP_1) | instskip(NEXT) | instid1(VALU_DEP_1)
	v_fma_f64 v[118:119], v[118:119], v[228:229], v[118:119]
	v_fma_f64 v[228:229], -v[116:117], v[118:119], 1.0
	s_delay_alu instid0(VALU_DEP_1) | instskip(NEXT) | instid1(VALU_DEP_1)
	v_fma_f64 v[118:119], v[118:119], v[228:229], v[118:119]
	v_mul_f64 v[228:229], v[230:231], v[118:119]
	s_delay_alu instid0(VALU_DEP_1) | instskip(NEXT) | instid1(VALU_DEP_1)
	v_fma_f64 v[116:117], -v[116:117], v[228:229], v[230:231]
	v_div_fmas_f64 v[116:117], v[116:117], v[118:119], v[228:229]
	s_delay_alu instid0(VALU_DEP_1) | instskip(NEXT) | instid1(VALU_DEP_1)
	v_div_fixup_f64 v[116:117], v[116:117], v[2:3], v[0:1]
	v_fma_f64 v[118:119], v[0:1], v[116:117], v[2:3]
	s_delay_alu instid0(VALU_DEP_1) | instskip(NEXT) | instid1(VALU_DEP_1)
	v_div_scale_f64 v[228:229], null, v[118:119], v[118:119], 1.0
	v_rcp_f64_e32 v[230:231], v[228:229]
	s_waitcnt_depctr 0xfff
	v_fma_f64 v[246:247], -v[228:229], v[230:231], 1.0
	s_delay_alu instid0(VALU_DEP_1) | instskip(NEXT) | instid1(VALU_DEP_1)
	v_fma_f64 v[230:231], v[230:231], v[246:247], v[230:231]
	v_fma_f64 v[246:247], -v[228:229], v[230:231], 1.0
	s_delay_alu instid0(VALU_DEP_1) | instskip(SKIP_1) | instid1(VALU_DEP_1)
	v_fma_f64 v[230:231], v[230:231], v[246:247], v[230:231]
	v_div_scale_f64 v[246:247], vcc_lo, 1.0, v[118:119], 1.0
	v_mul_f64 v[120:121], v[246:247], v[230:231]
	s_delay_alu instid0(VALU_DEP_1) | instskip(NEXT) | instid1(VALU_DEP_1)
	v_fma_f64 v[122:123], -v[228:229], v[120:121], v[246:247]
	v_div_fmas_f64 v[120:121], v[122:123], v[230:231], v[120:121]
	s_delay_alu instid0(VALU_DEP_1)
	v_div_fixup_f64 v[230:231], v[120:121], v[118:119], 1.0
	v_dual_mov_b32 v120, v124 :: v_dual_mov_b32 v121, v125
	v_dual_mov_b32 v122, v126 :: v_dual_mov_b32 v123, v127
	;; [unrolled: 1-line block ×8, first 2 shown]
	v_mul_f64 v[116:117], v[116:117], v[230:231]
	v_xor_b32_e32 v231, 0x80000000, v231
.LBB57_257:
	s_and_not1_saveexec_b32 s3, s3
	s_cbranch_execz .LBB57_259
; %bb.258:
	v_div_scale_f64 v[116:117], null, v[0:1], v[0:1], v[2:3]
	v_dual_mov_b32 v249, v127 :: v_dual_mov_b32 v248, v126
	v_dual_mov_b32 v247, v125 :: v_dual_mov_b32 v246, v124
	;; [unrolled: 1-line block ×4, first 2 shown]
	v_div_scale_f64 v[122:123], vcc_lo, v[2:3], v[0:1], v[2:3]
	v_rcp_f64_e32 v[118:119], v[116:117]
	s_waitcnt_depctr 0xfff
	v_fma_f64 v[120:121], -v[116:117], v[118:119], 1.0
	s_delay_alu instid0(VALU_DEP_1) | instskip(NEXT) | instid1(VALU_DEP_1)
	v_fma_f64 v[118:119], v[118:119], v[120:121], v[118:119]
	v_fma_f64 v[120:121], -v[116:117], v[118:119], 1.0
	s_delay_alu instid0(VALU_DEP_1) | instskip(NEXT) | instid1(VALU_DEP_1)
	v_fma_f64 v[118:119], v[118:119], v[120:121], v[118:119]
	v_mul_f64 v[120:121], v[122:123], v[118:119]
	s_delay_alu instid0(VALU_DEP_1) | instskip(NEXT) | instid1(VALU_DEP_1)
	v_fma_f64 v[116:117], -v[116:117], v[120:121], v[122:123]
	v_div_fmas_f64 v[116:117], v[116:117], v[118:119], v[120:121]
	s_delay_alu instid0(VALU_DEP_1) | instskip(NEXT) | instid1(VALU_DEP_1)
	v_div_fixup_f64 v[118:119], v[116:117], v[0:1], v[2:3]
	v_fma_f64 v[116:117], v[2:3], v[118:119], v[0:1]
	s_delay_alu instid0(VALU_DEP_1) | instskip(NEXT) | instid1(VALU_DEP_1)
	v_div_scale_f64 v[120:121], null, v[116:117], v[116:117], 1.0
	v_rcp_f64_e32 v[122:123], v[120:121]
	s_waitcnt_depctr 0xfff
	v_fma_f64 v[228:229], -v[120:121], v[122:123], 1.0
	s_delay_alu instid0(VALU_DEP_1) | instskip(NEXT) | instid1(VALU_DEP_1)
	v_fma_f64 v[122:123], v[122:123], v[228:229], v[122:123]
	v_fma_f64 v[228:229], -v[120:121], v[122:123], 1.0
	s_delay_alu instid0(VALU_DEP_1) | instskip(SKIP_1) | instid1(VALU_DEP_1)
	v_fma_f64 v[122:123], v[122:123], v[228:229], v[122:123]
	v_div_scale_f64 v[228:229], vcc_lo, 1.0, v[116:117], 1.0
	v_mul_f64 v[230:231], v[228:229], v[122:123]
	s_delay_alu instid0(VALU_DEP_1) | instskip(NEXT) | instid1(VALU_DEP_1)
	v_fma_f64 v[120:121], -v[120:121], v[230:231], v[228:229]
	v_div_fmas_f64 v[120:121], v[120:121], v[122:123], v[230:231]
	s_delay_alu instid0(VALU_DEP_1)
	v_div_fixup_f64 v[116:117], v[120:121], v[116:117], 1.0
	v_dual_mov_b32 v120, v124 :: v_dual_mov_b32 v121, v125
	v_dual_mov_b32 v122, v126 :: v_dual_mov_b32 v123, v127
	;; [unrolled: 1-line block ×4, first 2 shown]
	v_mul_f64 v[230:231], v[118:119], -v[116:117]
.LBB57_259:
	s_or_b32 exec_lo, exec_lo, s3
	ds_store_2addr_b64 v245, v[116:117], v[230:231] offset1:1
.LBB57_260:
	s_or_b32 exec_lo, exec_lo, s4
	s_waitcnt lgkmcnt(0)
	s_barrier
	buffer_gl0_inv
	ds_load_2addr_b64 v[228:231], v245 offset1:1
	s_mov_b32 s3, exec_lo
	v_cmpx_lt_u32_e32 28, v244
	s_cbranch_execz .LBB57_262
; %bb.261:
	s_waitcnt lgkmcnt(0)
	v_mul_f64 v[116:117], v[230:231], v[2:3]
	v_mul_f64 v[2:3], v[228:229], v[2:3]
	s_delay_alu instid0(VALU_DEP_2) | instskip(NEXT) | instid1(VALU_DEP_2)
	v_fma_f64 v[116:117], v[228:229], v[0:1], -v[116:117]
	v_fma_f64 v[2:3], v[230:231], v[0:1], v[2:3]
	s_delay_alu instid0(VALU_DEP_2)
	v_dual_mov_b32 v0, v116 :: v_dual_mov_b32 v1, v117
.LBB57_262:
	s_or_b32 exec_lo, exec_lo, s3
	s_waitcnt lgkmcnt(0)
	s_barrier
	buffer_gl0_inv
	s_and_saveexec_b32 s10, s2
	s_cbranch_execz .LBB57_265
; %bb.263:
	scratch_load_b128 v[116:119], off, off offset:160 ; 16-byte Folded Reload
	s_load_b64 s[6:7], s[0:1], 0x28
	v_cmp_neq_f64_e64 s1, 0, v[120:121]
	v_cmp_neq_f64_e64 s2, 0, v[122:123]
	v_cmp_eq_f64_e64 s3, 0, v[124:125]
	v_cmp_eq_f64_e64 s4, 0, v[126:127]
	;; [unrolled: 1-line block ×3, first 2 shown]
	s_delay_alu instid0(VALU_DEP_4) | instskip(NEXT) | instid1(VALU_DEP_2)
	s_or_b32 s1, s1, s2
	s_and_b32 s2, s3, s4
	s_waitcnt vmcnt(0)
	v_cmp_eq_f64_e32 vcc_lo, 0, v[116:117]
	v_cmp_eq_f64_e64 s0, 0, v[118:119]
	v_lshlrev_b64 v[116:117], 2, v[236:237]
	s_waitcnt lgkmcnt(0)
	s_delay_alu instid0(VALU_DEP_1) | instskip(NEXT) | instid1(VALU_DEP_1)
	v_add_co_u32 v116, s5, s6, v116
	v_add_co_ci_u32_e64 v117, s5, s7, v117, s5
	v_cmp_eq_f64_e64 s5, 0, v[232:233]
	v_cmp_eq_f64_e64 s6, 0, v[234:235]
	;; [unrolled: 1-line block ×3, first 2 shown]
	global_load_b32 v118, v[116:117], off
	s_and_b32 s0, vcc_lo, s0
	s_delay_alu instid0(SALU_CYCLE_1) | instskip(SKIP_2) | instid1(VALU_DEP_2)
	v_cndmask_b32_e64 v119, 0, 1, s0
	s_or_b32 vcc_lo, s1, s0
	v_cmp_eq_f64_e64 s0, 0, v[138:139]
	v_cndmask_b32_e32 v119, 2, v119, vcc_lo
	v_cmp_eq_f64_e32 vcc_lo, 0, v[136:137]
	s_and_b32 s4, s5, s6
	s_delay_alu instid0(VALU_DEP_2) | instskip(SKIP_1) | instid1(VALU_DEP_1)
	v_cmp_eq_u32_e64 s1, 0, v119
	s_and_b32 s6, s7, s8
	s_and_b32 s1, s2, s1
	v_cmp_eq_f64_e64 s2, 0, v[142:143]
	v_cndmask_b32_e64 v119, v119, 3, s1
	v_cmp_eq_f64_e64 s1, 0, v[140:141]
	s_delay_alu instid0(VALU_DEP_2) | instskip(NEXT) | instid1(VALU_DEP_1)
	v_cmp_eq_u32_e64 s3, 0, v119
	s_and_b32 s3, s4, s3
	v_cmp_eq_f64_e64 s4, 0, v[146:147]
	v_cndmask_b32_e64 v119, v119, 4, s3
	v_cmp_eq_f64_e64 s3, 0, v[144:145]
	s_delay_alu instid0(VALU_DEP_2) | instskip(NEXT) | instid1(VALU_DEP_1)
	v_cmp_eq_u32_e64 s5, 0, v119
	s_and_b32 s5, s6, s5
	v_cmp_eq_f64_e64 s6, 0, v[150:151]
	v_cndmask_b32_e64 v119, v119, 5, s5
	v_cmp_eq_f64_e64 s5, 0, v[148:149]
	s_and_b32 s0, vcc_lo, s0
	v_cmp_eq_f64_e32 vcc_lo, 0, v[152:153]
	s_delay_alu instid0(VALU_DEP_3) | instskip(NEXT) | instid1(VALU_DEP_1)
	v_cmp_eq_u32_e64 s7, 0, v119
	s_and_b32 s0, s0, s7
	s_delay_alu instid0(SALU_CYCLE_1) | instskip(SKIP_3) | instid1(VALU_DEP_3)
	v_cndmask_b32_e64 v119, v119, 6, s0
	v_cmp_eq_f64_e64 s0, 0, v[154:155]
	s_and_b32 s1, s1, s2
	v_cmp_eq_f64_e64 s2, 0, v[158:159]
	v_cmp_eq_u32_e64 s7, 0, v119
	s_delay_alu instid0(VALU_DEP_1) | instskip(NEXT) | instid1(SALU_CYCLE_1)
	s_and_b32 s1, s1, s7
	v_cndmask_b32_e64 v119, v119, 7, s1
	v_cmp_eq_f64_e64 s1, 0, v[156:157]
	s_and_b32 s3, s3, s4
	v_cmp_eq_f64_e64 s4, 0, v[162:163]
	s_delay_alu instid0(VALU_DEP_3) | instskip(NEXT) | instid1(VALU_DEP_1)
	v_cmp_eq_u32_e64 s7, 0, v119
	s_and_b32 s3, s3, s7
	s_delay_alu instid0(SALU_CYCLE_1) | instskip(SKIP_3) | instid1(VALU_DEP_3)
	v_cndmask_b32_e64 v119, v119, 8, s3
	v_cmp_eq_f64_e64 s3, 0, v[160:161]
	s_and_b32 s5, s5, s6
	v_cmp_eq_f64_e64 s6, 0, v[166:167]
	v_cmp_eq_u32_e64 s7, 0, v119
	s_delay_alu instid0(VALU_DEP_1) | instskip(NEXT) | instid1(SALU_CYCLE_1)
	s_and_b32 s5, s5, s7
	v_cndmask_b32_e64 v119, v119, 9, s5
	v_cmp_eq_f64_e64 s5, 0, v[164:165]
	s_and_b32 s0, vcc_lo, s0
	v_cmp_eq_f64_e32 vcc_lo, 0, v[168:169]
	s_delay_alu instid0(VALU_DEP_3) | instskip(NEXT) | instid1(VALU_DEP_1)
	v_cmp_eq_u32_e64 s7, 0, v119
	s_and_b32 s0, s0, s7
	s_delay_alu instid0(SALU_CYCLE_1) | instskip(SKIP_3) | instid1(VALU_DEP_3)
	v_cndmask_b32_e64 v119, v119, 10, s0
	v_cmp_eq_f64_e64 s0, 0, v[170:171]
	s_and_b32 s1, s1, s2
	v_cmp_eq_f64_e64 s2, 0, v[174:175]
	v_cmp_eq_u32_e64 s7, 0, v119
	s_delay_alu instid0(VALU_DEP_1) | instskip(NEXT) | instid1(SALU_CYCLE_1)
	s_and_b32 s1, s1, s7
	v_cndmask_b32_e64 v119, v119, 11, s1
	v_cmp_eq_f64_e64 s1, 0, v[172:173]
	s_and_b32 s3, s3, s4
	v_cmp_eq_f64_e64 s4, 0, v[178:179]
	s_delay_alu instid0(VALU_DEP_3) | instskip(NEXT) | instid1(VALU_DEP_1)
	v_cmp_eq_u32_e64 s7, 0, v119
	s_and_b32 s3, s3, s7
	s_delay_alu instid0(SALU_CYCLE_1) | instskip(SKIP_3) | instid1(VALU_DEP_3)
	v_cndmask_b32_e64 v119, v119, 12, s3
	v_cmp_eq_f64_e64 s3, 0, v[176:177]
	s_and_b32 s5, s5, s6
	v_cmp_eq_f64_e64 s6, 0, v[182:183]
	v_cmp_eq_u32_e64 s7, 0, v119
	s_delay_alu instid0(VALU_DEP_1) | instskip(NEXT) | instid1(SALU_CYCLE_1)
	s_and_b32 s5, s5, s7
	;; [unrolled: 30-line block ×5, first 2 shown]
	v_cndmask_b32_e64 v119, v119, 25, s5
	v_cmp_eq_f64_e64 s5, 0, v[228:229]
	s_and_b32 s0, vcc_lo, s0
	s_delay_alu instid0(VALU_DEP_2) | instskip(NEXT) | instid1(VALU_DEP_1)
	v_cmp_eq_u32_e64 s7, 0, v119
	s_and_b32 s0, s0, s7
	s_delay_alu instid0(SALU_CYCLE_1) | instskip(SKIP_1) | instid1(VALU_DEP_1)
	v_cndmask_b32_e64 v119, v119, 26, s0
	s_and_b32 s0, s1, s2
	v_cmp_eq_u32_e32 vcc_lo, 0, v119
	s_and_b32 s0, s0, vcc_lo
	s_delay_alu instid0(SALU_CYCLE_1) | instskip(SKIP_1) | instid1(VALU_DEP_1)
	v_cndmask_b32_e64 v119, v119, 27, s0
	s_and_b32 s0, s3, s4
	v_cmp_eq_u32_e32 vcc_lo, 0, v119
	s_and_b32 s0, s0, vcc_lo
	;; [unrolled: 5-line block ×3, first 2 shown]
	s_waitcnt vmcnt(0)
	v_cmp_eq_u32_e32 vcc_lo, 0, v118
	v_cndmask_b32_e64 v119, v119, 29, s0
	s_delay_alu instid0(VALU_DEP_1) | instskip(NEXT) | instid1(VALU_DEP_1)
	v_cmp_ne_u32_e64 s0, 0, v119
	s_and_b32 s0, vcc_lo, s0
	s_delay_alu instid0(SALU_CYCLE_1)
	s_and_b32 exec_lo, exec_lo, s0
	s_cbranch_execz .LBB57_265
; %bb.264:
	v_add_nc_u32_e32 v118, s9, v119
	global_store_b32 v[116:117], v118, off
.LBB57_265:
	s_or_b32 exec_lo, exec_lo, s10
	s_clause 0x4
	global_store_b128 v[240:241], v[112:115], off
	global_store_b128 v[252:253], v[108:111], off
	global_store_b128 v[242:243], v[104:107], off
	global_store_b128 v[238:239], v[100:103], off
	global_store_b128 v[254:255], v[96:99], off
	scratch_load_b64 v[96:97], off, off offset:184 ; 8-byte Folded Reload
	s_waitcnt vmcnt(0)
	global_store_b128 v[96:97], v[92:95], off
	scratch_load_b64 v[92:93], off, off offset:200 ; 8-byte Folded Reload
	s_waitcnt vmcnt(0)
	global_store_b128 v[92:93], v[88:91], off
	scratch_load_b64 v[88:89], off, off offset:176 ; 8-byte Folded Reload
	s_waitcnt vmcnt(0)
	global_store_b128 v[88:89], v[84:87], off
	scratch_load_b64 v[84:85], off, off offset:192 ; 8-byte Folded Reload
	s_waitcnt vmcnt(0)
	global_store_b128 v[84:85], v[80:83], off
	scratch_load_b64 v[80:81], off, off offset:152 ; 8-byte Folded Reload
	s_waitcnt vmcnt(0)
	global_store_b128 v[80:81], v[76:79], off
	scratch_load_b64 v[76:77], off, off offset:144 ; 8-byte Folded Reload
	s_waitcnt vmcnt(0)
	global_store_b128 v[76:77], v[72:75], off
	scratch_load_b64 v[72:73], off, off offset:136 ; 8-byte Folded Reload
	s_waitcnt vmcnt(0)
	global_store_b128 v[72:73], v[68:71], off
	scratch_load_b64 v[68:69], off, off offset:128 ; 8-byte Folded Reload
	s_waitcnt vmcnt(0)
	global_store_b128 v[68:69], v[64:67], off
	scratch_load_b64 v[64:65], off, off offset:120 ; 8-byte Folded Reload
	s_waitcnt vmcnt(0)
	global_store_b128 v[64:65], v[60:63], off
	scratch_load_b64 v[60:61], off, off offset:112 ; 8-byte Folded Reload
	s_waitcnt vmcnt(0)
	global_store_b128 v[60:61], v[56:59], off
	scratch_load_b64 v[56:57], off, off offset:104 ; 8-byte Folded Reload
	s_waitcnt vmcnt(0)
	global_store_b128 v[56:57], v[52:55], off
	scratch_load_b64 v[52:53], off, off offset:96 ; 8-byte Folded Reload
	s_waitcnt vmcnt(0)
	global_store_b128 v[52:53], v[48:51], off
	scratch_load_b64 v[48:49], off, off offset:88 ; 8-byte Folded Reload
	s_waitcnt vmcnt(0)
	global_store_b128 v[48:49], v[44:47], off
	scratch_load_b64 v[44:45], off, off offset:80 ; 8-byte Folded Reload
	s_waitcnt vmcnt(0)
	global_store_b128 v[44:45], v[40:43], off
	scratch_load_b64 v[40:41], off, off offset:72 ; 8-byte Folded Reload
	s_waitcnt vmcnt(0)
	global_store_b128 v[40:41], v[36:39], off
	scratch_load_b64 v[36:37], off, off offset:64 ; 8-byte Folded Reload
	s_waitcnt vmcnt(0)
	global_store_b128 v[36:37], v[32:35], off
	scratch_load_b64 v[32:33], off, off offset:56 ; 8-byte Folded Reload
	s_waitcnt vmcnt(0)
	global_store_b128 v[32:33], v[28:31], off
	scratch_load_b64 v[28:29], off, off offset:48 ; 8-byte Folded Reload
	s_waitcnt vmcnt(0)
	global_store_b128 v[28:29], v[24:27], off
	scratch_load_b64 v[24:25], off, off offset:40 ; 8-byte Folded Reload
	s_waitcnt vmcnt(0)
	global_store_b128 v[24:25], v[20:23], off
	scratch_load_b64 v[20:21], off, off offset:32 ; 8-byte Folded Reload
	s_waitcnt vmcnt(0)
	global_store_b128 v[20:21], v[16:19], off
	scratch_load_b64 v[16:17], off, off offset:24 ; 8-byte Folded Reload
	s_waitcnt vmcnt(0)
	global_store_b128 v[16:17], v[12:15], off
	scratch_load_b64 v[12:13], off, off offset:16 ; 8-byte Folded Reload
	s_waitcnt vmcnt(0)
	global_store_b128 v[12:13], v[8:11], off
	scratch_load_b64 v[8:9], off, off offset:8 ; 8-byte Folded Reload
	s_waitcnt vmcnt(0)
	global_store_b128 v[8:9], v[4:7], off
	scratch_load_b64 v[4:5], off, off       ; 8-byte Folded Reload
	s_waitcnt vmcnt(0)
	global_store_b128 v[4:5], v[0:3], off
.LBB57_266:
	s_nop 0
	s_sendmsg sendmsg(MSG_DEALLOC_VGPRS)
	s_endpgm
	.section	.rodata,"a",@progbits
	.p2align	6, 0x0
	.amdhsa_kernel _ZN9rocsolver6v33100L23getf2_npvt_small_kernelILi29E19rocblas_complex_numIdEiiPKPS3_EEvT1_T3_lS7_lPT2_S7_S7_
		.amdhsa_group_segment_fixed_size 0
		.amdhsa_private_segment_fixed_size 212
		.amdhsa_kernarg_size 312
		.amdhsa_user_sgpr_count 14
		.amdhsa_user_sgpr_dispatch_ptr 0
		.amdhsa_user_sgpr_queue_ptr 0
		.amdhsa_user_sgpr_kernarg_segment_ptr 1
		.amdhsa_user_sgpr_dispatch_id 0
		.amdhsa_user_sgpr_private_segment_size 0
		.amdhsa_wavefront_size32 1
		.amdhsa_uses_dynamic_stack 0
		.amdhsa_enable_private_segment 1
		.amdhsa_system_sgpr_workgroup_id_x 1
		.amdhsa_system_sgpr_workgroup_id_y 1
		.amdhsa_system_sgpr_workgroup_id_z 0
		.amdhsa_system_sgpr_workgroup_info 0
		.amdhsa_system_vgpr_workitem_id 1
		.amdhsa_next_free_vgpr 256
		.amdhsa_next_free_sgpr 16
		.amdhsa_reserve_vcc 1
		.amdhsa_float_round_mode_32 0
		.amdhsa_float_round_mode_16_64 0
		.amdhsa_float_denorm_mode_32 3
		.amdhsa_float_denorm_mode_16_64 3
		.amdhsa_dx10_clamp 1
		.amdhsa_ieee_mode 1
		.amdhsa_fp16_overflow 0
		.amdhsa_workgroup_processor_mode 1
		.amdhsa_memory_ordered 1
		.amdhsa_forward_progress 0
		.amdhsa_shared_vgpr_count 0
		.amdhsa_exception_fp_ieee_invalid_op 0
		.amdhsa_exception_fp_denorm_src 0
		.amdhsa_exception_fp_ieee_div_zero 0
		.amdhsa_exception_fp_ieee_overflow 0
		.amdhsa_exception_fp_ieee_underflow 0
		.amdhsa_exception_fp_ieee_inexact 0
		.amdhsa_exception_int_div_zero 0
	.end_amdhsa_kernel
	.section	.text._ZN9rocsolver6v33100L23getf2_npvt_small_kernelILi29E19rocblas_complex_numIdEiiPKPS3_EEvT1_T3_lS7_lPT2_S7_S7_,"axG",@progbits,_ZN9rocsolver6v33100L23getf2_npvt_small_kernelILi29E19rocblas_complex_numIdEiiPKPS3_EEvT1_T3_lS7_lPT2_S7_S7_,comdat
.Lfunc_end57:
	.size	_ZN9rocsolver6v33100L23getf2_npvt_small_kernelILi29E19rocblas_complex_numIdEiiPKPS3_EEvT1_T3_lS7_lPT2_S7_S7_, .Lfunc_end57-_ZN9rocsolver6v33100L23getf2_npvt_small_kernelILi29E19rocblas_complex_numIdEiiPKPS3_EEvT1_T3_lS7_lPT2_S7_S7_
                                        ; -- End function
	.section	.AMDGPU.csdata,"",@progbits
; Kernel info:
; codeLenInByte = 55928
; NumSgprs: 18
; NumVgprs: 256
; ScratchSize: 212
; MemoryBound: 1
; FloatMode: 240
; IeeeMode: 1
; LDSByteSize: 0 bytes/workgroup (compile time only)
; SGPRBlocks: 2
; VGPRBlocks: 31
; NumSGPRsForWavesPerEU: 18
; NumVGPRsForWavesPerEU: 256
; Occupancy: 5
; WaveLimiterHint : 1
; COMPUTE_PGM_RSRC2:SCRATCH_EN: 1
; COMPUTE_PGM_RSRC2:USER_SGPR: 14
; COMPUTE_PGM_RSRC2:TRAP_HANDLER: 0
; COMPUTE_PGM_RSRC2:TGID_X_EN: 1
; COMPUTE_PGM_RSRC2:TGID_Y_EN: 1
; COMPUTE_PGM_RSRC2:TGID_Z_EN: 0
; COMPUTE_PGM_RSRC2:TIDIG_COMP_CNT: 1
	.section	.text._ZN9rocsolver6v33100L18getf2_small_kernelILi30E19rocblas_complex_numIdEiiPKPS3_EEvT1_T3_lS7_lPS7_llPT2_S7_S7_S9_l,"axG",@progbits,_ZN9rocsolver6v33100L18getf2_small_kernelILi30E19rocblas_complex_numIdEiiPKPS3_EEvT1_T3_lS7_lPS7_llPT2_S7_S7_S9_l,comdat
	.globl	_ZN9rocsolver6v33100L18getf2_small_kernelILi30E19rocblas_complex_numIdEiiPKPS3_EEvT1_T3_lS7_lPS7_llPT2_S7_S7_S9_l ; -- Begin function _ZN9rocsolver6v33100L18getf2_small_kernelILi30E19rocblas_complex_numIdEiiPKPS3_EEvT1_T3_lS7_lPS7_llPT2_S7_S7_S9_l
	.p2align	8
	.type	_ZN9rocsolver6v33100L18getf2_small_kernelILi30E19rocblas_complex_numIdEiiPKPS3_EEvT1_T3_lS7_lPS7_llPT2_S7_S7_S9_l,@function
_ZN9rocsolver6v33100L18getf2_small_kernelILi30E19rocblas_complex_numIdEiiPKPS3_EEvT1_T3_lS7_lPS7_llPT2_S7_S7_S9_l: ; @_ZN9rocsolver6v33100L18getf2_small_kernelILi30E19rocblas_complex_numIdEiiPKPS3_EEvT1_T3_lS7_lPS7_llPT2_S7_S7_S9_l
; %bb.0:
	s_clause 0x1
	s_load_b32 s2, s[0:1], 0x6c
	s_load_b64 s[12:13], s[0:1], 0x48
	v_bfe_u32 v120, v0, 10, 10
	s_waitcnt lgkmcnt(0)
	s_lshr_b32 s2, s2, 16
	s_delay_alu instid0(VALU_DEP_1) | instid1(SALU_CYCLE_1)
	v_mad_u64_u32 v[2:3], null, s15, s2, v[120:121]
	s_mov_b32 s2, exec_lo
	s_delay_alu instid0(VALU_DEP_1)
	v_mov_b32_e32 v1, v2
	v_cmpx_gt_i32_e64 s12, v2
	s_cbranch_execz .LBB58_633
; %bb.1:
	s_clause 0x1
	s_load_b128 s[4:7], s[0:1], 0x8
	s_load_b128 s[8:11], s[0:1], 0x50
	v_ashrrev_i32_e32 v2, 31, v1
	v_mov_b32_e32 v253, 0
	v_mov_b32_e32 v254, 0
	scratch_store_b64 off, v[1:2], off offset:48 ; 8-byte Folded Spill
	v_lshlrev_b64 v[1:2], 3, v[1:2]
	s_waitcnt lgkmcnt(0)
	s_delay_alu instid0(VALU_DEP_1) | instskip(NEXT) | instid1(VALU_DEP_2)
	v_add_co_u32 v1, vcc_lo, s4, v1
	v_add_co_ci_u32_e32 v2, vcc_lo, s5, v2, vcc_lo
	s_cmp_eq_u64 s[8:9], 0
	s_cselect_b32 s4, -1, 0
	global_load_b64 v[1:2], v[1:2], off
	s_and_b32 vcc_lo, exec_lo, s4
	s_cbranch_vccnz .LBB58_3
; %bb.2:
	scratch_load_b64 v[7:8], off, off offset:48 ; 8-byte Folded Reload
	s_waitcnt vmcnt(0)
	v_mul_lo_u32 v5, v8, s10
	v_mul_lo_u32 v6, v7, s11
	v_mad_u64_u32 v[3:4], null, v7, s10, 0
	s_delay_alu instid0(VALU_DEP_1) | instskip(NEXT) | instid1(VALU_DEP_1)
	v_add3_u32 v4, v4, v6, v5
	v_lshlrev_b64 v[3:4], 2, v[3:4]
	s_delay_alu instid0(VALU_DEP_1) | instskip(NEXT) | instid1(VALU_DEP_2)
	v_add_co_u32 v253, vcc_lo, s8, v3
	v_add_co_ci_u32_e32 v254, vcc_lo, s9, v4, vcc_lo
.LBB58_3:
	s_clause 0x1
	s_load_b32 s8, s[0:1], 0x18
	s_load_b32 s5, s[0:1], 0x0
	v_and_b32_e32 v82, 0x3ff, v0
	s_lshl_b64 s[2:3], s[6:7], 4
	s_waitcnt vmcnt(0)
	v_add_co_u32 v145, vcc_lo, v1, s2
	s_delay_alu instid0(VALU_DEP_2) | instskip(SKIP_1) | instid1(VALU_DEP_2)
	v_lshlrev_b32_e32 v40, 4, v82
	v_add_co_ci_u32_e32 v255, vcc_lo, s3, v2, vcc_lo
	v_add_co_u32 v2, vcc_lo, v145, v40
	s_delay_alu instid0(VALU_DEP_2)
	v_add_co_ci_u32_e32 v3, vcc_lo, 0, v255, vcc_lo
	s_waitcnt lgkmcnt(0)
	s_ashr_i32 s9, s8, 31
	v_add3_u32 v0, s8, s8, v82
	s_lshl_b64 s[10:11], s[8:9], 4
	s_max_i32 s2, s5, 30
	v_add_co_u32 v6, vcc_lo, v2, s10
	v_add_co_ci_u32_e32 v7, vcc_lo, s11, v3, vcc_lo
	v_add_nc_u32_e32 v4, s8, v0
	v_ashrrev_i32_e32 v1, 31, v0
	s_clause 0x1
	global_load_b128 v[42:45], v[2:3], off
	global_load_b128 v[9:12], v[6:7], off
	v_mul_lo_u32 v41, s2, v120
	s_cmp_lt_i32 s5, 2
	v_ashrrev_i32_e32 v5, 31, v4
	v_add_nc_u32_e32 v8, s8, v4
	v_lshlrev_b64 v[0:1], 4, v[0:1]
	s_delay_alu instid0(VALU_DEP_3) | instskip(NEXT) | instid1(VALU_DEP_3)
	v_lshlrev_b64 v[2:3], 4, v[4:5]
	v_add_nc_u32_e32 v4, s8, v8
	v_lshl_add_u32 v144, v41, 4, 0
	s_delay_alu instid0(VALU_DEP_4) | instskip(SKIP_1) | instid1(VALU_DEP_4)
	v_add_co_u32 v0, vcc_lo, v145, v0
	v_add_co_ci_u32_e32 v1, vcc_lo, v255, v1, vcc_lo
	v_ashrrev_i32_e32 v5, 31, v4
	v_add_co_u32 v2, vcc_lo, v145, v2
	v_add_co_ci_u32_e32 v3, vcc_lo, v255, v3, vcc_lo
	v_add_nc_u32_e32 v40, v144, v40
	v_lshlrev_b32_e32 v80, 4, v41
	s_waitcnt vmcnt(0)
	scratch_store_b128 off, v[9:12], off offset:16 ; 16-byte Folded Spill
	v_ashrrev_i32_e32 v9, 31, v8
	s_clause 0x1
	global_load_b128 v[84:87], v[0:1], off
	global_load_b128 v[96:99], v[2:3], off
	v_lshlrev_b64 v[6:7], 4, v[8:9]
	v_add_nc_u32_e32 v8, s8, v4
	v_lshlrev_b64 v[4:5], 4, v[4:5]
	s_delay_alu instid0(VALU_DEP_2) | instskip(NEXT) | instid1(VALU_DEP_4)
	v_add_nc_u32_e32 v10, s8, v8
	v_add_co_u32 v0, vcc_lo, v145, v6
	v_add_co_ci_u32_e32 v1, vcc_lo, v255, v7, vcc_lo
	s_delay_alu instid0(VALU_DEP_4) | instskip(SKIP_4) | instid1(VALU_DEP_4)
	v_add_co_u32 v4, vcc_lo, v145, v4
	v_ashrrev_i32_e32 v9, 31, v8
	v_ashrrev_i32_e32 v11, 31, v10
	v_add_co_ci_u32_e32 v5, vcc_lo, v255, v5, vcc_lo
	v_add_nc_u32_e32 v6, s8, v10
	v_lshlrev_b64 v[2:3], 4, v[8:9]
	s_delay_alu instid0(VALU_DEP_4)
	v_lshlrev_b64 v[8:9], 4, v[10:11]
	s_clause 0x1
	global_load_b128 v[72:75], v[0:1], off
	global_load_b128 v[11:14], v[4:5], off
	v_add_nc_u32_e32 v10, s8, v6
	v_ashrrev_i32_e32 v7, 31, v6
	v_add_co_u32 v0, vcc_lo, v145, v2
	v_add_co_ci_u32_e32 v1, vcc_lo, v255, v3, vcc_lo
	s_delay_alu instid0(VALU_DEP_4) | instskip(NEXT) | instid1(VALU_DEP_4)
	v_add_nc_u32_e32 v4, s8, v10
	v_lshlrev_b64 v[2:3], 4, v[6:7]
	v_add_co_u32 v6, vcc_lo, v145, v8
	v_add_co_ci_u32_e32 v7, vcc_lo, v255, v9, vcc_lo
	s_delay_alu instid0(VALU_DEP_4)
	v_ashrrev_i32_e32 v5, 31, v4
	s_waitcnt vmcnt(0)
	scratch_store_b128 off, v[11:14], off   ; 16-byte Folded Spill
	v_ashrrev_i32_e32 v11, 31, v10
	s_clause 0x1
	global_load_b128 v[233:236], v[0:1], off
	global_load_b128 v[68:71], v[6:7], off
	v_add_co_u32 v0, vcc_lo, v145, v2
	v_add_co_ci_u32_e32 v1, vcc_lo, v255, v3, vcc_lo
	v_lshlrev_b64 v[8:9], 4, v[10:11]
	v_add_nc_u32_e32 v10, s8, v4
	v_lshlrev_b64 v[2:3], 4, v[4:5]
	s_delay_alu instid0(VALU_DEP_2) | instskip(SKIP_3) | instid1(VALU_DEP_4)
	v_ashrrev_i32_e32 v11, 31, v10
	v_add_nc_u32_e32 v4, s8, v10
	v_add_co_u32 v6, vcc_lo, v145, v8
	v_add_co_ci_u32_e32 v7, vcc_lo, v255, v9, vcc_lo
	v_lshlrev_b64 v[8:9], 4, v[10:11]
	s_delay_alu instid0(VALU_DEP_4)
	v_ashrrev_i32_e32 v5, 31, v4
	v_add_nc_u32_e32 v10, s8, v4
	s_clause 0x1
	global_load_b128 v[88:91], v[0:1], off
	global_load_b128 v[225:228], v[6:7], off
	v_add_co_u32 v0, vcc_lo, v145, v2
	v_add_co_ci_u32_e32 v1, vcc_lo, v255, v3, vcc_lo
	v_lshlrev_b64 v[2:3], 4, v[4:5]
	v_ashrrev_i32_e32 v11, 31, v10
	v_add_nc_u32_e32 v4, s8, v10
	v_add_co_u32 v6, vcc_lo, v145, v8
	v_add_co_ci_u32_e32 v7, vcc_lo, v255, v9, vcc_lo
	s_delay_alu instid0(VALU_DEP_4) | instskip(NEXT) | instid1(VALU_DEP_4)
	v_lshlrev_b64 v[8:9], 4, v[10:11]
	v_ashrrev_i32_e32 v5, 31, v4
	v_add_nc_u32_e32 v10, s8, v4
	s_clause 0x1
	global_load_b128 v[229:232], v[0:1], off
	global_load_b128 v[237:240], v[6:7], off
	v_add_co_u32 v0, vcc_lo, v145, v2
	v_add_co_ci_u32_e32 v1, vcc_lo, v255, v3, vcc_lo
	v_lshlrev_b64 v[2:3], 4, v[4:5]
	v_ashrrev_i32_e32 v11, 31, v10
	v_add_nc_u32_e32 v4, s8, v10
	v_add_co_u32 v6, vcc_lo, v145, v8
	v_add_co_ci_u32_e32 v7, vcc_lo, v255, v9, vcc_lo
	s_delay_alu instid0(VALU_DEP_4) | instskip(NEXT) | instid1(VALU_DEP_4)
	v_lshlrev_b64 v[8:9], 4, v[10:11]
	v_add_nc_u32_e32 v10, s8, v4
	v_ashrrev_i32_e32 v5, 31, v4
	v_add_co_u32 v2, vcc_lo, v145, v2
	v_add_co_ci_u32_e32 v3, vcc_lo, v255, v3, vcc_lo
	s_delay_alu instid0(VALU_DEP_4) | instskip(SKIP_3) | instid1(VALU_DEP_4)
	v_add_nc_u32_e32 v12, s8, v10
	v_ashrrev_i32_e32 v11, 31, v10
	v_lshlrev_b64 v[4:5], 4, v[4:5]
	v_add_co_u32 v8, vcc_lo, v145, v8
	v_add_nc_u32_e32 v14, s8, v12
	v_ashrrev_i32_e32 v13, 31, v12
	v_lshlrev_b64 v[10:11], 4, v[10:11]
	v_add_co_ci_u32_e32 v9, vcc_lo, v255, v9, vcc_lo
	s_delay_alu instid0(VALU_DEP_4) | instskip(SKIP_3) | instid1(VALU_DEP_4)
	v_add_nc_u32_e32 v16, s8, v14
	v_ashrrev_i32_e32 v15, 31, v14
	v_add_co_u32 v4, vcc_lo, v145, v4
	v_lshlrev_b64 v[12:13], 4, v[12:13]
	v_add_nc_u32_e32 v18, s8, v16
	v_ashrrev_i32_e32 v17, 31, v16
	v_add_co_ci_u32_e32 v5, vcc_lo, v255, v5, vcc_lo
	v_add_co_u32 v10, vcc_lo, v145, v10
	s_delay_alu instid0(VALU_DEP_4) | instskip(SKIP_3) | instid1(VALU_DEP_4)
	v_add_nc_u32_e32 v20, s8, v18
	v_lshlrev_b64 v[14:15], 4, v[14:15]
	v_ashrrev_i32_e32 v19, 31, v18
	v_add_co_ci_u32_e32 v11, vcc_lo, v255, v11, vcc_lo
	v_add_nc_u32_e32 v22, s8, v20
	v_add_co_u32 v12, vcc_lo, v145, v12
	v_lshlrev_b64 v[16:17], 4, v[16:17]
	v_ashrrev_i32_e32 v21, 31, v20
	s_delay_alu instid0(VALU_DEP_4)
	v_add_nc_u32_e32 v24, s8, v22
	v_add_co_ci_u32_e32 v13, vcc_lo, v255, v13, vcc_lo
	v_add_co_u32 v14, vcc_lo, v145, v14
	v_lshlrev_b64 v[18:19], 4, v[18:19]
	v_ashrrev_i32_e32 v23, 31, v22
	v_add_co_ci_u32_e32 v15, vcc_lo, v255, v15, vcc_lo
	v_add_nc_u32_e32 v26, s8, v24
	v_add_co_u32 v16, vcc_lo, v145, v16
	v_lshlrev_b64 v[20:21], 4, v[20:21]
	v_ashrrev_i32_e32 v25, 31, v24
	v_add_co_ci_u32_e32 v17, vcc_lo, v255, v17, vcc_lo
	v_add_co_u32 v18, vcc_lo, v145, v18
	v_lshlrev_b64 v[22:23], 4, v[22:23]
	v_add_nc_u32_e32 v28, s8, v26
	v_add_co_ci_u32_e32 v19, vcc_lo, v255, v19, vcc_lo
	v_add_co_u32 v20, vcc_lo, v145, v20
	v_lshlrev_b64 v[24:25], 4, v[24:25]
	v_ashrrev_i32_e32 v27, 31, v26
	v_add_co_ci_u32_e32 v21, vcc_lo, v255, v21, vcc_lo
	v_add_co_u32 v22, vcc_lo, v145, v22
	v_ashrrev_i32_e32 v29, 31, v28
	v_add_nc_u32_e32 v30, s8, v28
	v_add_co_ci_u32_e32 v23, vcc_lo, v255, v23, vcc_lo
	v_lshlrev_b64 v[26:27], 4, v[26:27]
	v_add_co_u32 v121, vcc_lo, v145, v24
	v_add_co_ci_u32_e32 v122, vcc_lo, v255, v25, vcc_lo
	v_lshlrev_b64 v[24:25], 4, v[28:29]
	v_ashrrev_i32_e32 v31, 31, v30
	v_add_nc_u32_e32 v28, s8, v30
	v_add_co_u32 v128, vcc_lo, v145, v26
	v_add_co_ci_u32_e32 v129, vcc_lo, v255, v27, vcc_lo
	s_delay_alu instid0(VALU_DEP_4) | instskip(NEXT) | instid1(VALU_DEP_4)
	v_lshlrev_b64 v[26:27], 4, v[30:31]
	v_add_nc_u32_e32 v30, s8, v28
	v_ashrrev_i32_e32 v29, 31, v28
	v_add_co_u32 v130, vcc_lo, v145, v24
	v_add_co_ci_u32_e32 v131, vcc_lo, v255, v25, vcc_lo
	s_delay_alu instid0(VALU_DEP_4) | instskip(NEXT) | instid1(VALU_DEP_4)
	v_ashrrev_i32_e32 v31, 31, v30
	v_lshlrev_b64 v[24:25], 4, v[28:29]
	v_add_co_u32 v132, vcc_lo, v145, v26
	v_add_co_ci_u32_e32 v133, vcc_lo, v255, v27, vcc_lo
	s_delay_alu instid0(VALU_DEP_4) | instskip(NEXT) | instid1(VALU_DEP_4)
	v_lshlrev_b64 v[26:27], 4, v[30:31]
	v_add_co_u32 v134, vcc_lo, v145, v24
	v_add_co_ci_u32_e32 v135, vcc_lo, v255, v25, vcc_lo
	s_delay_alu instid0(VALU_DEP_3) | instskip(NEXT) | instid1(VALU_DEP_4)
	v_add_co_u32 v136, vcc_lo, v145, v26
	v_add_co_ci_u32_e32 v137, vcc_lo, v255, v27, vcc_lo
	s_clause 0x11
	global_load_b128 v[249:252], v[0:1], off
	global_load_b128 v[245:248], v[6:7], off
	;; [unrolled: 1-line block ×18, first 2 shown]
	scratch_store_b128 off, v[42:45], off offset:32 ; 16-byte Folded Spill
	ds_store_2addr_b64 v40, v[42:43], v[44:45] offset1:1
	s_waitcnt vmcnt(0) lgkmcnt(0)
	s_waitcnt_vscnt null, 0x0
	s_barrier
	buffer_gl0_inv
	ds_load_2addr_b64 v[120:123], v144 offset1:1
	v_mov_b32_e32 v128, 0
	s_cbranch_scc1 .LBB58_6
; %bb.4:
	v_add3_u32 v129, v80, 0, 16
	v_mov_b32_e32 v128, 0
	s_mov_b32 s6, 1
	s_set_inst_prefetch_distance 0x1
	.p2align	6
.LBB58_5:                               ; =>This Inner Loop Header: Depth=1
	ds_load_2addr_b64 v[130:133], v129 offset1:1
	s_waitcnt lgkmcnt(1)
	v_cmp_gt_f64_e32 vcc_lo, 0, v[120:121]
	v_xor_b32_e32 v40, 0x80000000, v121
	v_cmp_gt_f64_e64 s2, 0, v[122:123]
	v_xor_b32_e32 v41, 0x80000000, v123
	v_add_nc_u32_e32 v129, 16, v129
	s_waitcnt lgkmcnt(0)
	v_cmp_gt_f64_e64 s3, 0, v[130:131]
	v_mov_b32_e32 v138, v130
	v_dual_mov_b32 v146, v132 :: v_dual_cndmask_b32 v135, v121, v40
	v_xor_b32_e32 v40, 0x80000000, v131
	v_cndmask_b32_e64 v137, v123, v41, s2
	v_xor_b32_e32 v41, 0x80000000, v133
	v_cndmask_b32_e32 v134, v120, v120, vcc_lo
	v_cndmask_b32_e64 v136, v122, v122, s2
	s_delay_alu instid0(VALU_DEP_1) | instskip(SKIP_2) | instid1(VALU_DEP_1)
	v_add_f64 v[134:135], v[134:135], v[136:137]
	v_cndmask_b32_e64 v139, v131, v40, s3
	v_cmp_gt_f64_e64 s3, 0, v[132:133]
	v_cndmask_b32_e64 v147, v133, v41, s3
	s_delay_alu instid0(VALU_DEP_1) | instskip(NEXT) | instid1(VALU_DEP_1)
	v_add_f64 v[138:139], v[138:139], v[146:147]
	v_cmp_lt_f64_e32 vcc_lo, v[134:135], v[138:139]
	v_cndmask_b32_e32 v123, v123, v133, vcc_lo
	v_dual_cndmask_b32 v121, v121, v131 :: v_dual_cndmask_b32 v120, v120, v130
	v_cndmask_b32_e32 v122, v122, v132, vcc_lo
	v_cndmask_b32_e64 v128, v128, s6, vcc_lo
	s_add_i32 s6, s6, 1
	s_delay_alu instid0(SALU_CYCLE_1)
	s_cmp_eq_u32 s5, s6
	s_cbranch_scc0 .LBB58_5
.LBB58_6:
	s_set_inst_prefetch_distance 0x2
	s_waitcnt lgkmcnt(0)
	v_cmp_neq_f64_e32 vcc_lo, 0, v[120:121]
	v_cmp_neq_f64_e64 s2, 0, v[122:123]
	v_dual_mov_b32 v83, 1 :: v_dual_mov_b32 v130, 1
	s_delay_alu instid0(VALU_DEP_2) | instskip(NEXT) | instid1(SALU_CYCLE_1)
	s_or_b32 s2, vcc_lo, s2
	s_and_saveexec_b32 s3, s2
	s_cbranch_execz .LBB58_12
; %bb.7:
	v_cmp_gt_f64_e32 vcc_lo, 0, v[120:121]
	v_cmp_gt_f64_e64 s2, 0, v[122:123]
	v_xor_b32_e32 v40, 0x80000000, v121
	v_xor_b32_e32 v41, 0x80000000, v123
                                        ; implicit-def: $sgpr6
                                        ; implicit-def: $sgpr7
	s_delay_alu instid0(VALU_DEP_2) | instskip(NEXT) | instid1(VALU_DEP_2)
	v_cndmask_b32_e32 v130, v121, v40, vcc_lo
	v_cndmask_b32_e64 v132, v123, v41, s2
	v_cndmask_b32_e32 v129, v120, v120, vcc_lo
	v_cndmask_b32_e64 v131, v122, v122, s2
	s_mov_b32 s2, exec_lo
	s_delay_alu instid0(VALU_DEP_1)
	v_cmpx_ngt_f64_e32 v[129:130], v[131:132]
	s_xor_b32 s2, exec_lo, s2
	s_cbranch_execz .LBB58_9
; %bb.8:
	v_div_scale_f64 v[129:130], null, v[122:123], v[122:123], v[120:121]
	v_div_scale_f64 v[135:136], vcc_lo, v[120:121], v[122:123], v[120:121]
	s_mov_b32 s7, 2
	s_mov_b32 s6, 0
	s_delay_alu instid0(VALU_DEP_2) | instskip(SKIP_2) | instid1(VALU_DEP_1)
	v_rcp_f64_e32 v[131:132], v[129:130]
	s_waitcnt_depctr 0xfff
	v_fma_f64 v[133:134], -v[129:130], v[131:132], 1.0
	v_fma_f64 v[131:132], v[131:132], v[133:134], v[131:132]
	s_delay_alu instid0(VALU_DEP_1) | instskip(NEXT) | instid1(VALU_DEP_1)
	v_fma_f64 v[133:134], -v[129:130], v[131:132], 1.0
	v_fma_f64 v[131:132], v[131:132], v[133:134], v[131:132]
	s_delay_alu instid0(VALU_DEP_1) | instskip(NEXT) | instid1(VALU_DEP_1)
	v_mul_f64 v[133:134], v[135:136], v[131:132]
	v_fma_f64 v[129:130], -v[129:130], v[133:134], v[135:136]
	s_delay_alu instid0(VALU_DEP_1) | instskip(NEXT) | instid1(VALU_DEP_1)
	v_div_fmas_f64 v[129:130], v[129:130], v[131:132], v[133:134]
	v_div_fixup_f64 v[129:130], v[129:130], v[122:123], v[120:121]
	s_delay_alu instid0(VALU_DEP_1) | instskip(NEXT) | instid1(VALU_DEP_1)
	v_fma_f64 v[120:121], v[120:121], v[129:130], v[122:123]
	v_div_scale_f64 v[122:123], null, v[120:121], v[120:121], 1.0
	s_delay_alu instid0(VALU_DEP_1) | instskip(SKIP_2) | instid1(VALU_DEP_1)
	v_rcp_f64_e32 v[131:132], v[122:123]
	s_waitcnt_depctr 0xfff
	v_fma_f64 v[133:134], -v[122:123], v[131:132], 1.0
	v_fma_f64 v[131:132], v[131:132], v[133:134], v[131:132]
	s_delay_alu instid0(VALU_DEP_1) | instskip(NEXT) | instid1(VALU_DEP_1)
	v_fma_f64 v[133:134], -v[122:123], v[131:132], 1.0
	v_fma_f64 v[131:132], v[131:132], v[133:134], v[131:132]
	v_div_scale_f64 v[133:134], vcc_lo, 1.0, v[120:121], 1.0
	s_delay_alu instid0(VALU_DEP_1) | instskip(NEXT) | instid1(VALU_DEP_1)
	v_mul_f64 v[135:136], v[133:134], v[131:132]
	v_fma_f64 v[122:123], -v[122:123], v[135:136], v[133:134]
	s_delay_alu instid0(VALU_DEP_1) | instskip(NEXT) | instid1(VALU_DEP_1)
	v_div_fmas_f64 v[122:123], v[122:123], v[131:132], v[135:136]
	v_div_fixup_f64 v[122:123], v[122:123], v[120:121], 1.0
	s_delay_alu instid0(VALU_DEP_1)
	v_mul_f64 v[120:121], v[129:130], v[122:123]
	v_xor_b32_e32 v123, 0x80000000, v123
.LBB58_9:
	s_or_saveexec_b32 s2, s2
	v_dual_mov_b32 v130, s6 :: v_dual_mov_b32 v83, s7
	s_xor_b32 exec_lo, exec_lo, s2
	s_cbranch_execz .LBB58_11
; %bb.10:
	s_delay_alu instid0(VALU_DEP_3) | instskip(SKIP_2) | instid1(VALU_DEP_3)
	v_div_scale_f64 v[129:130], null, v[120:121], v[120:121], v[122:123]
	v_div_scale_f64 v[135:136], vcc_lo, v[122:123], v[120:121], v[122:123]
	v_mov_b32_e32 v83, 2
	v_rcp_f64_e32 v[131:132], v[129:130]
	s_waitcnt_depctr 0xfff
	v_fma_f64 v[133:134], -v[129:130], v[131:132], 1.0
	s_delay_alu instid0(VALU_DEP_1) | instskip(NEXT) | instid1(VALU_DEP_1)
	v_fma_f64 v[131:132], v[131:132], v[133:134], v[131:132]
	v_fma_f64 v[133:134], -v[129:130], v[131:132], 1.0
	s_delay_alu instid0(VALU_DEP_1) | instskip(NEXT) | instid1(VALU_DEP_1)
	v_fma_f64 v[131:132], v[131:132], v[133:134], v[131:132]
	v_mul_f64 v[133:134], v[135:136], v[131:132]
	s_delay_alu instid0(VALU_DEP_1) | instskip(NEXT) | instid1(VALU_DEP_1)
	v_fma_f64 v[129:130], -v[129:130], v[133:134], v[135:136]
	v_div_fmas_f64 v[129:130], v[129:130], v[131:132], v[133:134]
	s_delay_alu instid0(VALU_DEP_1) | instskip(NEXT) | instid1(VALU_DEP_1)
	v_div_fixup_f64 v[129:130], v[129:130], v[120:121], v[122:123]
	v_fma_f64 v[120:121], v[122:123], v[129:130], v[120:121]
	s_delay_alu instid0(VALU_DEP_1) | instskip(NEXT) | instid1(VALU_DEP_1)
	v_div_scale_f64 v[122:123], null, v[120:121], v[120:121], 1.0
	v_rcp_f64_e32 v[131:132], v[122:123]
	s_waitcnt_depctr 0xfff
	v_fma_f64 v[133:134], -v[122:123], v[131:132], 1.0
	s_delay_alu instid0(VALU_DEP_1) | instskip(NEXT) | instid1(VALU_DEP_1)
	v_fma_f64 v[131:132], v[131:132], v[133:134], v[131:132]
	v_fma_f64 v[133:134], -v[122:123], v[131:132], 1.0
	s_delay_alu instid0(VALU_DEP_1) | instskip(SKIP_1) | instid1(VALU_DEP_1)
	v_fma_f64 v[131:132], v[131:132], v[133:134], v[131:132]
	v_div_scale_f64 v[133:134], vcc_lo, 1.0, v[120:121], 1.0
	v_mul_f64 v[135:136], v[133:134], v[131:132]
	s_delay_alu instid0(VALU_DEP_1) | instskip(NEXT) | instid1(VALU_DEP_1)
	v_fma_f64 v[122:123], -v[122:123], v[135:136], v[133:134]
	v_div_fmas_f64 v[122:123], v[122:123], v[131:132], v[135:136]
	s_delay_alu instid0(VALU_DEP_1) | instskip(NEXT) | instid1(VALU_DEP_1)
	v_div_fixup_f64 v[120:121], v[122:123], v[120:121], 1.0
	v_mul_f64 v[122:123], v[129:130], -v[120:121]
	v_mov_b32_e32 v130, 0
.LBB58_11:
	s_or_b32 exec_lo, exec_lo, s2
.LBB58_12:
	s_delay_alu instid0(SALU_CYCLE_1) | instskip(NEXT) | instid1(SALU_CYCLE_1)
	s_or_b32 exec_lo, exec_lo, s3
	s_mov_b32 s2, exec_lo
	v_cmpx_ne_u32_e64 v82, v128
	s_xor_b32 s2, exec_lo, s2
	s_cbranch_execz .LBB58_18
; %bb.13:
	s_mov_b32 s3, exec_lo
	v_cmpx_eq_u32_e32 0, v82
	s_cbranch_execz .LBB58_17
; %bb.14:
	v_cmp_ne_u32_e32 vcc_lo, 0, v128
	s_xor_b32 s6, s4, -1
	s_delay_alu instid0(SALU_CYCLE_1) | instskip(NEXT) | instid1(SALU_CYCLE_1)
	s_and_b32 s7, s6, vcc_lo
	s_and_saveexec_b32 s6, s7
	s_cbranch_execz .LBB58_16
; %bb.15:
	v_ashrrev_i32_e32 v129, 31, v128
	s_delay_alu instid0(VALU_DEP_1) | instskip(NEXT) | instid1(VALU_DEP_1)
	v_lshlrev_b64 v[131:132], 2, v[128:129]
	v_add_co_u32 v131, vcc_lo, v253, v131
	s_delay_alu instid0(VALU_DEP_2)
	v_add_co_ci_u32_e32 v132, vcc_lo, v254, v132, vcc_lo
	s_clause 0x1
	flat_load_b32 v40, v[131:132]
	flat_load_b32 v41, v[253:254]
	s_waitcnt vmcnt(1) lgkmcnt(1)
	flat_store_b32 v[253:254], v40
	s_waitcnt vmcnt(0) lgkmcnt(1)
	flat_store_b32 v[131:132], v41
.LBB58_16:
	s_or_b32 exec_lo, exec_lo, s6
	v_mov_b32_e32 v82, v128
.LBB58_17:
	s_or_b32 exec_lo, exec_lo, s3
.LBB58_18:
	s_or_saveexec_b32 s2, s2
	s_delay_alu instid0(VALU_DEP_1)
	v_mov_b32_e32 v146, v82
	s_xor_b32 exec_lo, exec_lo, s2
	s_cbranch_execz .LBB58_20
; %bb.19:
	scratch_load_b128 v[4:7], off, off offset:16 ; 16-byte Folded Reload
	v_mov_b32_e32 v146, 0
	s_waitcnt vmcnt(0)
	ds_store_2addr_b64 v144, v[4:5], v[6:7] offset0:2 offset1:3
	ds_store_2addr_b64 v144, v[84:85], v[86:87] offset0:4 offset1:5
	ds_store_2addr_b64 v144, v[96:97], v[98:99] offset0:6 offset1:7
	ds_store_2addr_b64 v144, v[72:73], v[74:75] offset0:8 offset1:9
	scratch_load_b128 v[4:7], off, off      ; 16-byte Folded Reload
	s_waitcnt vmcnt(0)
	ds_store_2addr_b64 v144, v[4:5], v[6:7] offset0:10 offset1:11
	ds_store_2addr_b64 v144, v[233:234], v[235:236] offset0:12 offset1:13
	;; [unrolled: 1-line block ×25, first 2 shown]
.LBB58_20:
	s_or_b32 exec_lo, exec_lo, s2
	s_delay_alu instid0(SALU_CYCLE_1)
	s_mov_b32 s2, exec_lo
	s_waitcnt lgkmcnt(0)
	s_waitcnt_vscnt null, 0x0
	s_barrier
	buffer_gl0_inv
	v_cmpx_lt_i32_e32 0, v146
	s_cbranch_execz .LBB58_22
; %bb.21:
	scratch_load_b128 v[40:43], off, off offset:32 ; 16-byte Folded Reload
	ds_load_2addr_b64 v[131:134], v144 offset0:2 offset1:3
	ds_load_2addr_b64 v[135:138], v144 offset0:4 offset1:5
	;; [unrolled: 1-line block ×6, first 2 shown]
	v_dual_mov_b32 v4, v8 :: v_dual_mov_b32 v5, v9
	v_dual_mov_b32 v6, v10 :: v_dual_mov_b32 v7, v11
	;; [unrolled: 1-line block ×32, first 2 shown]
	s_waitcnt vmcnt(0)
	v_mul_f64 v[128:129], v[120:121], v[42:43]
	v_mul_f64 v[163:164], v[122:123], v[42:43]
	s_delay_alu instid0(VALU_DEP_2) | instskip(NEXT) | instid1(VALU_DEP_2)
	v_fma_f64 v[42:43], v[122:123], v[40:41], v[128:129]
	v_fma_f64 v[44:45], v[120:121], v[40:41], -v[163:164]
	ds_load_2addr_b64 v[120:123], v144 offset0:14 offset1:15
	ds_load_2addr_b64 v[163:166], v144 offset0:16 offset1:17
	;; [unrolled: 1-line block ×6, first 2 shown]
	s_clause 0x2
	scratch_store_b128 off, v[88:91], off offset:56
	scratch_store_b128 off, v[233:236], off offset:32
	;; [unrolled: 1-line block ×3, first 2 shown]
	ds_load_2addr_b64 v[183:186], v144 offset0:26 offset1:27
	ds_load_2addr_b64 v[187:190], v144 offset0:28 offset1:29
	;; [unrolled: 1-line block ×8, first 2 shown]
	v_dual_mov_b32 v88, v253 :: v_dual_mov_b32 v89, v254
	s_waitcnt lgkmcnt(19)
	v_mul_f64 v[128:129], v[133:134], v[42:43]
	v_mul_f64 v[40:41], v[131:132], v[42:43]
	s_waitcnt lgkmcnt(18)
	v_mul_f64 v[104:105], v[137:138], v[42:43]
	v_mul_f64 v[62:63], v[135:136], v[42:43]
	v_dual_mov_b32 v224, v43 :: v_dual_mov_b32 v223, v42
	s_waitcnt lgkmcnt(17)
	s_delay_alu instid0(VALU_DEP_1)
	v_mul_f64 v[92:93], v[149:150], v[223:224]
	v_mul_f64 v[94:95], v[147:148], v[223:224]
	s_waitcnt lgkmcnt(16)
	v_mul_f64 v[225:226], v[153:154], v[223:224]
	v_mul_f64 v[227:228], v[151:152], v[223:224]
	s_waitcnt lgkmcnt(15)
	;; [unrolled: 3-line block ×4, first 2 shown]
	v_mul_f64 v[76:77], v[167:168], v[223:224]
	s_waitcnt lgkmcnt(10)
	v_mul_f64 v[60:61], v[173:174], v[223:224]
	v_mul_f64 v[78:79], v[171:172], v[223:224]
	;; [unrolled: 1-line block ×5, first 2 shown]
	s_waitcnt lgkmcnt(5)
	v_mul_f64 v[110:111], v[191:192], v[223:224]
	s_waitcnt lgkmcnt(1)
	v_mul_f64 v[106:107], v[207:208], v[223:224]
	v_mul_f64 v[108:109], v[193:194], v[223:224]
	;; [unrolled: 1-line block ×12, first 2 shown]
	v_fma_f64 v[42:43], v[131:132], v[44:45], -v[128:129]
	v_fma_f64 v[40:41], v[133:134], v[44:45], v[40:41]
	v_fma_f64 v[104:105], v[135:136], v[44:45], -v[104:105]
	v_fma_f64 v[62:63], v[137:138], v[44:45], v[62:63]
	ds_load_2addr_b64 v[135:138], v144 offset0:46 offset1:47
	ds_load_2addr_b64 v[131:134], v144 offset0:44 offset1:45
	v_fma_f64 v[128:129], v[147:148], v[44:45], -v[92:93]
	v_mul_f64 v[92:93], v[201:202], v[223:224]
	v_fma_f64 v[225:226], v[151:152], v[44:45], -v[225:226]
	v_fma_f64 v[227:228], v[153:154], v[44:45], v[227:228]
	v_fma_f64 v[229:230], v[155:156], v[44:45], -v[229:230]
	v_fma_f64 v[231:232], v[157:158], v[44:45], v[231:232]
	;; [unrolled: 2-line block ×3, first 2 shown]
	v_fma_f64 v[169:170], v[169:170], v[44:45], v[76:77]
	ds_load_2addr_b64 v[120:123], v144 offset0:42 offset1:43
	v_fma_f64 v[171:172], v[171:172], v[44:45], -v[60:61]
	v_fma_f64 v[173:174], v[173:174], v[44:45], v[78:79]
	v_fma_f64 v[163:164], v[163:164], v[44:45], -v[241:242]
	s_waitcnt lgkmcnt(3)
	v_mul_f64 v[241:242], v[213:214], v[223:224]
	v_fma_f64 v[165:166], v[165:166], v[44:45], v[243:244]
	v_mul_f64 v[243:244], v[211:212], v[223:224]
	v_fma_f64 v[110:111], v[193:194], v[44:45], v[110:111]
	v_fma_f64 v[106:107], v[209:210], v[44:45], v[106:107]
	v_fma_f64 v[159:160], v[159:160], v[44:45], -v[233:234]
	v_fma_f64 v[161:162], v[161:162], v[44:45], v[235:236]
	v_mul_f64 v[233:234], v[205:206], v[223:224]
	v_mul_f64 v[235:236], v[203:204], v[223:224]
	v_fma_f64 v[124:125], v[177:178], v[44:45], v[124:125]
	v_fma_f64 v[126:127], v[179:180], v[44:45], -v[126:127]
	v_fma_f64 v[46:47], v[181:182], v[44:45], v[46:47]
	v_fma_f64 v[116:117], v[187:188], v[44:45], -v[116:117]
	s_waitcnt lgkmcnt(1)
	v_mul_f64 v[181:182], v[133:134], v[223:224]
	v_fma_f64 v[167:168], v[167:168], v[44:45], -v[90:91]
	s_clause 0x3
	scratch_store_b64 off, v[42:43], off offset:88
	scratch_store_b64 off, v[40:41], off offset:96
	;; [unrolled: 1-line block ×4, first 2 shown]
	v_fma_f64 v[62:63], v[149:150], v[44:45], v[94:95]
	ds_load_2addr_b64 v[147:150], v144 offset0:48 offset1:49
	ds_load_2addr_b64 v[151:154], v144 offset0:50 offset1:51
	;; [unrolled: 1-line block ×3, first 2 shown]
	s_clause 0x1
	scratch_load_b128 v[76:79], off, off offset:16
	scratch_load_b64 v[60:61], off, off offset:88
	v_mul_f64 v[104:105], v[209:210], v[223:224]
	v_mul_f64 v[40:41], v[185:186], v[223:224]
	;; [unrolled: 1-line block ×3, first 2 shown]
	s_waitcnt lgkmcnt(3)
	v_mul_f64 v[177:178], v[122:123], v[223:224]
	v_mul_f64 v[179:180], v[120:121], v[223:224]
	v_mul_f64 v[187:188], v[135:136], v[223:224]
	v_fma_f64 v[175:176], v[175:176], v[44:45], -v[253:254]
	v_fma_f64 v[118:119], v[189:190], v[44:45], v[118:119]
	v_fma_f64 v[108:109], v[191:192], v[44:45], -v[108:109]
	v_dual_mov_b32 v254, v89 :: v_dual_mov_b32 v253, v88
	v_mul_f64 v[94:95], v[199:200], v[223:224]
	v_fma_f64 v[114:115], v[197:198], v[44:45], v[114:115]
	v_fma_f64 v[92:93], v[199:200], v[44:45], -v[92:93]
	v_fma_f64 v[193:194], v[211:212], v[44:45], -v[241:242]
	scratch_load_b128 v[209:212], off, off  ; 16-byte Folded Reload
	s_waitcnt lgkmcnt(2)
	v_mul_f64 v[197:198], v[149:150], v[223:224]
	v_mul_f64 v[199:200], v[147:148], v[223:224]
	v_fma_f64 v[112:113], v[195:196], v[44:45], -v[112:113]
	v_fma_f64 v[195:196], v[213:214], v[44:45], v[243:244]
	v_dual_mov_b32 v244, v59 :: v_dual_mov_b32 v243, v58
	v_fma_f64 v[189:190], v[203:204], v[44:45], -v[233:234]
	v_fma_f64 v[191:192], v[205:206], v[44:45], v[235:236]
	s_waitcnt lgkmcnt(1)
	v_mul_f64 v[203:204], v[151:152], v[223:224]
	s_waitcnt lgkmcnt(0)
	v_mul_f64 v[205:206], v[157:158], v[223:224]
	v_dual_mov_b32 v242, v57 :: v_dual_mov_b32 v241, v56
	v_fma_f64 v[181:182], v[131:132], v[44:45], -v[181:182]
	v_dual_mov_b32 v59, v55 :: v_dual_mov_b32 v58, v54
	v_dual_mov_b32 v57, v53 :: v_dual_mov_b32 v56, v52
	;; [unrolled: 1-line block ×5, first 2 shown]
	v_fma_f64 v[40:41], v[183:184], v[44:45], -v[40:41]
	v_fma_f64 v[42:43], v[185:186], v[44:45], v[42:43]
	v_mul_f64 v[183:184], v[131:132], v[223:224]
	v_mul_f64 v[185:186], v[137:138], v[223:224]
	v_fma_f64 v[177:178], v[120:121], v[44:45], -v[177:178]
	v_fma_f64 v[179:180], v[122:123], v[44:45], v[179:180]
	ds_load_2addr_b64 v[120:123], v144 offset0:54 offset1:55
	v_fma_f64 v[187:188], v[137:138], v[44:45], v[187:188]
	v_fma_f64 v[104:105], v[207:208], v[44:45], -v[104:105]
	v_mul_f64 v[207:208], v[155:156], v[223:224]
	v_fma_f64 v[94:95], v[201:202], v[44:45], v[94:95]
	v_mul_f64 v[201:202], v[153:154], v[223:224]
	v_dual_mov_b32 v49, v37 :: v_dual_mov_b32 v48, v36
	v_dual_mov_b32 v39, v35 :: v_dual_mov_b32 v38, v34
	v_fma_f64 v[147:148], v[147:148], v[44:45], -v[197:198]
	v_fma_f64 v[149:150], v[149:150], v[44:45], v[199:200]
	v_dual_mov_b32 v37, v33 :: v_dual_mov_b32 v36, v32
	v_dual_mov_b32 v35, v31 :: v_dual_mov_b32 v34, v30
	;; [unrolled: 1-line block ×3, first 2 shown]
	v_fma_f64 v[153:154], v[153:154], v[44:45], v[203:204]
	v_fma_f64 v[155:156], v[155:156], v[44:45], -v[205:206]
	v_dual_mov_b32 v31, v27 :: v_dual_mov_b32 v30, v26
	v_add_f64 v[72:73], v[72:73], -v[225:226]
	v_add_f64 v[74:75], v[74:75], -v[227:228]
	v_dual_mov_b32 v228, v218 :: v_dual_mov_b32 v227, v217
	v_dual_mov_b32 v29, v25 :: v_dual_mov_b32 v28, v24
	;; [unrolled: 1-line block ×5, first 2 shown]
	v_fma_f64 v[183:184], v[133:134], v[44:45], v[183:184]
	v_fma_f64 v[185:186], v[135:136], v[44:45], -v[185:186]
	ds_load_2addr_b64 v[131:134], v144 offset0:56 offset1:57
	ds_load_2addr_b64 v[135:138], v144 offset0:58 offset1:59
	s_waitcnt lgkmcnt(2)
	v_mul_f64 v[197:198], v[122:123], v[223:224]
	v_mul_f64 v[199:200], v[120:121], v[223:224]
	v_add_f64 v[96:97], v[96:97], -v[128:129]
	v_fma_f64 v[157:158], v[157:158], v[44:45], v[207:208]
	v_add_f64 v[98:99], v[98:99], -v[62:63]
	v_fma_f64 v[151:152], v[151:152], v[44:45], -v[201:202]
	v_add_f64 v[225:226], v[225:226], -v[167:168]
	v_add_f64 v[227:228], v[227:228], -v[169:170]
	;; [unrolled: 1-line block ×12, first 2 shown]
	s_waitcnt lgkmcnt(1)
	v_mul_f64 v[201:202], v[133:134], v[223:224]
	v_mul_f64 v[203:204], v[131:132], v[223:224]
	s_waitcnt lgkmcnt(0)
	v_mul_f64 v[205:206], v[137:138], v[223:224]
	v_mul_f64 v[207:208], v[135:136], v[223:224]
	v_add_f64 v[52:53], v[52:53], -v[189:190]
	v_add_f64 v[54:55], v[54:55], -v[191:192]
	;; [unrolled: 1-line block ×10, first 2 shown]
	v_dual_mov_b32 v62, v223 :: v_dual_mov_b32 v63, v224
	v_add_f64 v[30:31], v[30:31], -v[183:184]
	v_add_f64 v[24:25], v[24:25], -v[185:186]
	v_fma_f64 v[120:121], v[120:121], v[44:45], -v[197:198]
	v_fma_f64 v[122:123], v[122:123], v[44:45], v[199:200]
	v_fma_f64 v[131:132], v[131:132], v[44:45], -v[201:202]
	v_fma_f64 v[133:134], v[133:134], v[44:45], v[203:204]
	;; [unrolled: 2-line block ×3, first 2 shown]
	s_delay_alu instid0(VALU_DEP_4) | instskip(NEXT) | instid1(VALU_DEP_4)
	v_add_f64 v[219:220], v[219:220], -v[131:132]
	v_add_f64 v[221:222], v[221:222], -v[133:134]
	s_delay_alu instid0(VALU_DEP_4) | instskip(NEXT) | instid1(VALU_DEP_4)
	v_add_f64 v[0:1], v[0:1], -v[135:136]
	v_add_f64 v[2:3], v[2:3], -v[137:138]
	s_waitcnt vmcnt(1)
	v_add_f64 v[76:77], v[76:77], -v[60:61]
	scratch_load_b64 v[60:61], off, off offset:96 ; 8-byte Folded Reload
	s_waitcnt vmcnt(1)
	v_add_f64 v[209:210], v[209:210], -v[229:230]
	v_add_f64 v[211:212], v[211:212], -v[231:232]
	v_dual_mov_b32 v232, v71 :: v_dual_mov_b32 v231, v70
	v_dual_mov_b32 v230, v69 :: v_dual_mov_b32 v229, v68
	;; [unrolled: 1-line block ×4, first 2 shown]
	s_delay_alu instid0(VALU_DEP_3) | instskip(SKIP_1) | instid1(VALU_DEP_4)
	v_add_f64 v[229:230], v[229:230], -v[171:172]
	v_add_f64 v[231:232], v[231:232], -v[173:174]
	;; [unrolled: 1-line block ×3, first 2 shown]
	s_delay_alu instid0(VALU_DEP_4)
	v_add_f64 v[68:69], v[68:69], -v[237:238]
	v_dual_mov_b32 v240, v142 :: v_dual_mov_b32 v239, v141
	v_dual_mov_b32 v238, v140 :: v_dual_mov_b32 v237, v139
	v_dual_mov_b32 v143, v19 :: v_dual_mov_b32 v142, v18
	v_dual_mov_b32 v141, v17 :: v_dual_mov_b32 v140, v16
	v_dual_mov_b32 v19, v15 :: v_dual_mov_b32 v18, v14
	v_dual_mov_b32 v17, v13 :: v_dual_mov_b32 v16, v12
	v_dual_mov_b32 v15, v11 :: v_dual_mov_b32 v14, v10
	v_dual_mov_b32 v13, v9 :: v_dual_mov_b32 v12, v8
	v_dual_mov_b32 v11, v7 :: v_dual_mov_b32 v10, v6
	v_dual_mov_b32 v9, v5 :: v_dual_mov_b32 v8, v4
	v_add_f64 v[237:238], v[237:238], -v[175:176]
	v_add_f64 v[239:240], v[239:240], -v[124:125]
	;; [unrolled: 1-line block ×10, first 2 shown]
	s_waitcnt vmcnt(0)
	v_add_f64 v[78:79], v[78:79], -v[60:61]
	scratch_load_b64 v[60:61], off, off offset:104 ; 8-byte Folded Reload
	scratch_store_b128 off, v[76:79], off offset:16 ; 16-byte Folded Spill
	s_waitcnt vmcnt(0)
	v_add_f64 v[84:85], v[84:85], -v[60:61]
	s_clause 0x3
	scratch_load_b64 v[60:61], off, off offset:112
	scratch_load_b128 v[76:79], off, off offset:72
	scratch_load_b128 v[233:236], off, off offset:32
	;; [unrolled: 1-line block ×3, first 2 shown]
	s_waitcnt vmcnt(2)
	v_add_f64 v[76:77], v[76:77], -v[116:117]
	v_add_f64 v[86:87], v[86:87], -v[60:61]
	s_waitcnt vmcnt(1)
	v_add_f64 v[233:234], v[233:234], -v[159:160]
	v_add_f64 v[235:236], v[235:236], -v[161:162]
	;; [unrolled: 3-line block ×3, first 2 shown]
	v_add_f64 v[78:79], v[78:79], -v[118:119]
	v_dual_mov_b32 v61, v45 :: v_dual_mov_b32 v60, v44
	s_clause 0x1
	scratch_store_b128 off, v[209:212], off
	scratch_store_b128 off, v[60:63], off offset:32
.LBB58_22:
	s_or_b32 exec_lo, exec_lo, s2
	s_waitcnt_vscnt null, 0x0
	s_barrier
	buffer_gl0_inv
	scratch_load_b128 v[4:7], off, off offset:16 ; 16-byte Folded Reload
	v_lshl_add_u32 v40, v146, 4, v144
	v_mov_b32_e32 v128, 1
	s_cmp_lt_i32 s5, 3
	s_waitcnt vmcnt(0)
	ds_store_2addr_b64 v40, v[4:5], v[6:7] offset1:1
	s_waitcnt lgkmcnt(0)
	s_barrier
	buffer_gl0_inv
	ds_load_2addr_b64 v[120:123], v144 offset0:2 offset1:3
	s_cbranch_scc1 .LBB58_25
; %bb.23:
	v_add3_u32 v129, v80, 0, 32
	v_mov_b32_e32 v128, 1
	s_mov_b32 s6, 2
	s_set_inst_prefetch_distance 0x1
	.p2align	6
.LBB58_24:                              ; =>This Inner Loop Header: Depth=1
	ds_load_2addr_b64 v[131:134], v129 offset1:1
	s_waitcnt lgkmcnt(1)
	v_cmp_gt_f64_e32 vcc_lo, 0, v[120:121]
	v_xor_b32_e32 v40, 0x80000000, v121
	v_cmp_gt_f64_e64 s2, 0, v[122:123]
	v_xor_b32_e32 v42, 0x80000000, v123
	v_add_nc_u32_e32 v129, 16, v129
	s_waitcnt lgkmcnt(0)
	v_cmp_gt_f64_e64 s3, 0, v[131:132]
	v_mov_b32_e32 v44, v131
	v_mov_b32_e32 v46, v133
	v_cndmask_b32_e32 v41, v121, v40, vcc_lo
	v_xor_b32_e32 v40, 0x80000000, v132
	v_cndmask_b32_e64 v43, v123, v42, s2
	v_xor_b32_e32 v42, 0x80000000, v134
	s_delay_alu instid0(VALU_DEP_3) | instskip(SKIP_2) | instid1(VALU_DEP_2)
	v_cndmask_b32_e64 v45, v132, v40, s3
	v_cmp_gt_f64_e64 s3, 0, v[133:134]
	v_cndmask_b32_e32 v40, v120, v120, vcc_lo
	v_cndmask_b32_e64 v47, v134, v42, s3
	v_cndmask_b32_e64 v42, v122, v122, s2
	s_delay_alu instid0(VALU_DEP_2) | instskip(NEXT) | instid1(VALU_DEP_2)
	v_add_f64 v[44:45], v[44:45], v[46:47]
	v_add_f64 v[40:41], v[40:41], v[42:43]
	s_delay_alu instid0(VALU_DEP_1) | instskip(SKIP_4) | instid1(SALU_CYCLE_1)
	v_cmp_lt_f64_e32 vcc_lo, v[40:41], v[44:45]
	v_dual_cndmask_b32 v121, v121, v132 :: v_dual_cndmask_b32 v120, v120, v131
	v_dual_cndmask_b32 v123, v123, v134 :: v_dual_cndmask_b32 v122, v122, v133
	v_cndmask_b32_e64 v128, v128, s6, vcc_lo
	s_add_i32 s6, s6, 1
	s_cmp_lg_u32 s5, s6
	s_cbranch_scc1 .LBB58_24
.LBB58_25:
	s_set_inst_prefetch_distance 0x2
	s_waitcnt lgkmcnt(0)
	v_cmp_neq_f64_e32 vcc_lo, 0, v[120:121]
	v_cmp_neq_f64_e64 s2, 0, v[122:123]
	s_delay_alu instid0(VALU_DEP_1) | instskip(NEXT) | instid1(SALU_CYCLE_1)
	s_or_b32 s2, vcc_lo, s2
	s_and_saveexec_b32 s3, s2
	s_cbranch_execz .LBB58_31
; %bb.26:
	v_cmp_gt_f64_e32 vcc_lo, 0, v[120:121]
	v_cmp_gt_f64_e64 s2, 0, v[122:123]
	v_xor_b32_e32 v40, 0x80000000, v121
	v_xor_b32_e32 v42, 0x80000000, v123
	s_delay_alu instid0(VALU_DEP_2) | instskip(NEXT) | instid1(VALU_DEP_2)
	v_cndmask_b32_e32 v41, v121, v40, vcc_lo
	v_cndmask_b32_e64 v43, v123, v42, s2
	v_cndmask_b32_e32 v40, v120, v120, vcc_lo
	v_cndmask_b32_e64 v42, v122, v122, s2
	s_mov_b32 s2, exec_lo
	s_delay_alu instid0(VALU_DEP_1)
	v_cmpx_ngt_f64_e32 v[40:41], v[42:43]
	s_xor_b32 s2, exec_lo, s2
	s_cbranch_execz .LBB58_28
; %bb.27:
	v_div_scale_f64 v[40:41], null, v[122:123], v[122:123], v[120:121]
	v_div_scale_f64 v[46:47], vcc_lo, v[120:121], v[122:123], v[120:121]
	s_delay_alu instid0(VALU_DEP_2) | instskip(SKIP_2) | instid1(VALU_DEP_1)
	v_rcp_f64_e32 v[42:43], v[40:41]
	s_waitcnt_depctr 0xfff
	v_fma_f64 v[44:45], -v[40:41], v[42:43], 1.0
	v_fma_f64 v[42:43], v[42:43], v[44:45], v[42:43]
	s_delay_alu instid0(VALU_DEP_1) | instskip(NEXT) | instid1(VALU_DEP_1)
	v_fma_f64 v[44:45], -v[40:41], v[42:43], 1.0
	v_fma_f64 v[42:43], v[42:43], v[44:45], v[42:43]
	s_delay_alu instid0(VALU_DEP_1) | instskip(NEXT) | instid1(VALU_DEP_1)
	v_mul_f64 v[44:45], v[46:47], v[42:43]
	v_fma_f64 v[40:41], -v[40:41], v[44:45], v[46:47]
	s_delay_alu instid0(VALU_DEP_1) | instskip(NEXT) | instid1(VALU_DEP_1)
	v_div_fmas_f64 v[40:41], v[40:41], v[42:43], v[44:45]
	v_div_fixup_f64 v[40:41], v[40:41], v[122:123], v[120:121]
	s_delay_alu instid0(VALU_DEP_1) | instskip(NEXT) | instid1(VALU_DEP_1)
	v_fma_f64 v[42:43], v[120:121], v[40:41], v[122:123]
	v_div_scale_f64 v[44:45], null, v[42:43], v[42:43], 1.0
	s_delay_alu instid0(VALU_DEP_1) | instskip(SKIP_2) | instid1(VALU_DEP_1)
	v_rcp_f64_e32 v[46:47], v[44:45]
	s_waitcnt_depctr 0xfff
	v_fma_f64 v[92:93], -v[44:45], v[46:47], 1.0
	v_fma_f64 v[46:47], v[46:47], v[92:93], v[46:47]
	s_delay_alu instid0(VALU_DEP_1) | instskip(NEXT) | instid1(VALU_DEP_1)
	v_fma_f64 v[92:93], -v[44:45], v[46:47], 1.0
	v_fma_f64 v[46:47], v[46:47], v[92:93], v[46:47]
	v_div_scale_f64 v[92:93], vcc_lo, 1.0, v[42:43], 1.0
	s_delay_alu instid0(VALU_DEP_1) | instskip(NEXT) | instid1(VALU_DEP_1)
	v_mul_f64 v[94:95], v[92:93], v[46:47]
	v_fma_f64 v[44:45], -v[44:45], v[94:95], v[92:93]
	s_delay_alu instid0(VALU_DEP_1) | instskip(NEXT) | instid1(VALU_DEP_1)
	v_div_fmas_f64 v[44:45], v[44:45], v[46:47], v[94:95]
	v_div_fixup_f64 v[122:123], v[44:45], v[42:43], 1.0
	s_delay_alu instid0(VALU_DEP_1)
	v_mul_f64 v[120:121], v[40:41], v[122:123]
	v_xor_b32_e32 v123, 0x80000000, v123
.LBB58_28:
	s_and_not1_saveexec_b32 s2, s2
	s_cbranch_execz .LBB58_30
; %bb.29:
	s_delay_alu instid0(VALU_DEP_1) | instskip(SKIP_1) | instid1(VALU_DEP_2)
	v_div_scale_f64 v[40:41], null, v[120:121], v[120:121], v[122:123]
	v_div_scale_f64 v[46:47], vcc_lo, v[122:123], v[120:121], v[122:123]
	v_rcp_f64_e32 v[42:43], v[40:41]
	s_waitcnt_depctr 0xfff
	v_fma_f64 v[44:45], -v[40:41], v[42:43], 1.0
	s_delay_alu instid0(VALU_DEP_1) | instskip(NEXT) | instid1(VALU_DEP_1)
	v_fma_f64 v[42:43], v[42:43], v[44:45], v[42:43]
	v_fma_f64 v[44:45], -v[40:41], v[42:43], 1.0
	s_delay_alu instid0(VALU_DEP_1) | instskip(NEXT) | instid1(VALU_DEP_1)
	v_fma_f64 v[42:43], v[42:43], v[44:45], v[42:43]
	v_mul_f64 v[44:45], v[46:47], v[42:43]
	s_delay_alu instid0(VALU_DEP_1) | instskip(NEXT) | instid1(VALU_DEP_1)
	v_fma_f64 v[40:41], -v[40:41], v[44:45], v[46:47]
	v_div_fmas_f64 v[40:41], v[40:41], v[42:43], v[44:45]
	s_delay_alu instid0(VALU_DEP_1) | instskip(NEXT) | instid1(VALU_DEP_1)
	v_div_fixup_f64 v[40:41], v[40:41], v[120:121], v[122:123]
	v_fma_f64 v[42:43], v[122:123], v[40:41], v[120:121]
	s_delay_alu instid0(VALU_DEP_1) | instskip(NEXT) | instid1(VALU_DEP_1)
	v_div_scale_f64 v[44:45], null, v[42:43], v[42:43], 1.0
	v_rcp_f64_e32 v[46:47], v[44:45]
	s_waitcnt_depctr 0xfff
	v_fma_f64 v[92:93], -v[44:45], v[46:47], 1.0
	s_delay_alu instid0(VALU_DEP_1) | instskip(NEXT) | instid1(VALU_DEP_1)
	v_fma_f64 v[46:47], v[46:47], v[92:93], v[46:47]
	v_fma_f64 v[92:93], -v[44:45], v[46:47], 1.0
	s_delay_alu instid0(VALU_DEP_1) | instskip(SKIP_1) | instid1(VALU_DEP_1)
	v_fma_f64 v[46:47], v[46:47], v[92:93], v[46:47]
	v_div_scale_f64 v[92:93], vcc_lo, 1.0, v[42:43], 1.0
	v_mul_f64 v[94:95], v[92:93], v[46:47]
	s_delay_alu instid0(VALU_DEP_1) | instskip(NEXT) | instid1(VALU_DEP_1)
	v_fma_f64 v[44:45], -v[44:45], v[94:95], v[92:93]
	v_div_fmas_f64 v[44:45], v[44:45], v[46:47], v[94:95]
	s_delay_alu instid0(VALU_DEP_1) | instskip(NEXT) | instid1(VALU_DEP_1)
	v_div_fixup_f64 v[120:121], v[44:45], v[42:43], 1.0
	v_mul_f64 v[122:123], v[40:41], -v[120:121]
.LBB58_30:
	s_or_b32 exec_lo, exec_lo, s2
	v_mov_b32_e32 v83, v130
.LBB58_31:
	s_or_b32 exec_lo, exec_lo, s3
	s_delay_alu instid0(SALU_CYCLE_1)
	s_mov_b32 s2, exec_lo
	v_cmpx_ne_u32_e64 v146, v128
	s_xor_b32 s2, exec_lo, s2
	s_cbranch_execz .LBB58_37
; %bb.32:
	s_mov_b32 s3, exec_lo
	v_cmpx_eq_u32_e32 1, v146
	s_cbranch_execz .LBB58_36
; %bb.33:
	v_cmp_ne_u32_e32 vcc_lo, 1, v128
	s_xor_b32 s6, s4, -1
	s_delay_alu instid0(SALU_CYCLE_1) | instskip(NEXT) | instid1(SALU_CYCLE_1)
	s_and_b32 s7, s6, vcc_lo
	s_and_saveexec_b32 s6, s7
	s_cbranch_execz .LBB58_35
; %bb.34:
	v_ashrrev_i32_e32 v129, 31, v128
	s_delay_alu instid0(VALU_DEP_1) | instskip(NEXT) | instid1(VALU_DEP_1)
	v_lshlrev_b64 v[40:41], 2, v[128:129]
	v_add_co_u32 v40, vcc_lo, v253, v40
	s_delay_alu instid0(VALU_DEP_2)
	v_add_co_ci_u32_e32 v41, vcc_lo, v254, v41, vcc_lo
	s_clause 0x1
	flat_load_b32 v42, v[40:41]
	flat_load_b32 v43, v[253:254] offset:4
	s_waitcnt vmcnt(1) lgkmcnt(1)
	flat_store_b32 v[253:254], v42 offset:4
	s_waitcnt vmcnt(0) lgkmcnt(1)
	flat_store_b32 v[40:41], v43
.LBB58_35:
	s_or_b32 exec_lo, exec_lo, s6
	v_mov_b32_e32 v146, v128
	v_mov_b32_e32 v82, v128
.LBB58_36:
	s_or_b32 exec_lo, exec_lo, s3
.LBB58_37:
	s_and_not1_saveexec_b32 s2, s2
	s_cbranch_execz .LBB58_39
; %bb.38:
	ds_store_2addr_b64 v144, v[84:85], v[86:87] offset0:4 offset1:5
	ds_store_2addr_b64 v144, v[96:97], v[98:99] offset0:6 offset1:7
	;; [unrolled: 1-line block ×3, first 2 shown]
	scratch_load_b128 v[4:7], off, off      ; 16-byte Folded Reload
	v_mov_b32_e32 v146, 1
	s_waitcnt vmcnt(0)
	ds_store_2addr_b64 v144, v[4:5], v[6:7] offset0:10 offset1:11
	ds_store_2addr_b64 v144, v[233:234], v[235:236] offset0:12 offset1:13
	;; [unrolled: 1-line block ×25, first 2 shown]
.LBB58_39:
	s_or_b32 exec_lo, exec_lo, s2
	s_delay_alu instid0(SALU_CYCLE_1)
	s_mov_b32 s2, exec_lo
	s_waitcnt lgkmcnt(0)
	s_waitcnt_vscnt null, 0x0
	s_barrier
	buffer_gl0_inv
	v_cmpx_lt_i32_e32 1, v146
	s_cbranch_execz .LBB58_41
; %bb.40:
	scratch_load_b128 v[4:7], off, off offset:16 ; 16-byte Folded Reload
	s_waitcnt vmcnt(0)
	v_mul_f64 v[40:41], v[122:123], v[6:7]
	s_delay_alu instid0(VALU_DEP_1) | instskip(SKIP_1) | instid1(VALU_DEP_1)
	v_fma_f64 v[128:129], v[120:121], v[4:5], -v[40:41]
	v_mul_f64 v[40:41], v[120:121], v[6:7]
	v_fma_f64 v[6:7], v[122:123], v[4:5], v[40:41]
	ds_load_2addr_b64 v[120:123], v144 offset0:4 offset1:5
	ds_load_2addr_b64 v[130:133], v144 offset0:6 offset1:7
	v_dual_mov_b32 v4, v128 :: v_dual_mov_b32 v5, v129
	s_waitcnt lgkmcnt(1)
	v_mul_f64 v[40:41], v[122:123], v[6:7]
	v_mul_f64 v[42:43], v[120:121], v[6:7]
	s_waitcnt lgkmcnt(0)
	v_mul_f64 v[44:45], v[132:133], v[6:7]
	v_mul_f64 v[46:47], v[130:131], v[6:7]
	s_delay_alu instid0(VALU_DEP_4) | instskip(NEXT) | instid1(VALU_DEP_4)
	v_fma_f64 v[40:41], v[120:121], v[128:129], -v[40:41]
	v_fma_f64 v[42:43], v[122:123], v[128:129], v[42:43]
	s_delay_alu instid0(VALU_DEP_4) | instskip(NEXT) | instid1(VALU_DEP_4)
	v_fma_f64 v[44:45], v[130:131], v[128:129], -v[44:45]
	v_fma_f64 v[46:47], v[132:133], v[128:129], v[46:47]
	ds_load_2addr_b64 v[120:123], v144 offset0:8 offset1:9
	ds_load_2addr_b64 v[130:133], v144 offset0:10 offset1:11
	s_waitcnt lgkmcnt(1)
	v_mul_f64 v[92:93], v[122:123], v[6:7]
	v_mul_f64 v[94:95], v[120:121], v[6:7]
	s_waitcnt lgkmcnt(0)
	v_mul_f64 v[104:105], v[132:133], v[6:7]
	v_mul_f64 v[106:107], v[130:131], v[6:7]
	v_add_f64 v[84:85], v[84:85], -v[40:41]
	v_add_f64 v[86:87], v[86:87], -v[42:43]
	;; [unrolled: 1-line block ×4, first 2 shown]
	v_fma_f64 v[92:93], v[120:121], v[128:129], -v[92:93]
	v_fma_f64 v[94:95], v[122:123], v[128:129], v[94:95]
	v_fma_f64 v[104:105], v[130:131], v[128:129], -v[104:105]
	v_fma_f64 v[106:107], v[132:133], v[128:129], v[106:107]
	ds_load_2addr_b64 v[120:123], v144 offset0:12 offset1:13
	ds_load_2addr_b64 v[130:133], v144 offset0:14 offset1:15
	s_waitcnt lgkmcnt(1)
	v_mul_f64 v[108:109], v[122:123], v[6:7]
	v_mul_f64 v[110:111], v[120:121], v[6:7]
	s_waitcnt lgkmcnt(0)
	v_mul_f64 v[112:113], v[132:133], v[6:7]
	v_mul_f64 v[114:115], v[130:131], v[6:7]
	v_add_f64 v[72:73], v[72:73], -v[92:93]
	v_add_f64 v[74:75], v[74:75], -v[94:95]
	v_fma_f64 v[108:109], v[120:121], v[128:129], -v[108:109]
	v_fma_f64 v[110:111], v[122:123], v[128:129], v[110:111]
	v_fma_f64 v[112:113], v[130:131], v[128:129], -v[112:113]
	v_fma_f64 v[114:115], v[132:133], v[128:129], v[114:115]
	ds_load_2addr_b64 v[120:123], v144 offset0:16 offset1:17
	ds_load_2addr_b64 v[130:133], v144 offset0:18 offset1:19
	s_waitcnt lgkmcnt(1)
	v_mul_f64 v[116:117], v[122:123], v[6:7]
	v_mul_f64 v[118:119], v[120:121], v[6:7]
	v_add_f64 v[233:234], v[233:234], -v[108:109]
	v_add_f64 v[235:236], v[235:236], -v[110:111]
	;; [unrolled: 1-line block ×4, first 2 shown]
	v_fma_f64 v[116:117], v[120:121], v[128:129], -v[116:117]
	s_waitcnt lgkmcnt(0)
	v_mul_f64 v[120:121], v[132:133], v[6:7]
	v_fma_f64 v[118:119], v[122:123], v[128:129], v[118:119]
	s_delay_alu instid0(VALU_DEP_3) | instskip(NEXT) | instid1(VALU_DEP_3)
	v_add_f64 v[88:89], v[88:89], -v[116:117]
	v_fma_f64 v[124:125], v[130:131], v[128:129], -v[120:121]
	v_mul_f64 v[120:121], v[130:131], v[6:7]
	s_delay_alu instid0(VALU_DEP_4) | instskip(NEXT) | instid1(VALU_DEP_3)
	v_add_f64 v[90:91], v[90:91], -v[118:119]
	v_add_f64 v[225:226], v[225:226], -v[124:125]
	s_delay_alu instid0(VALU_DEP_3)
	v_fma_f64 v[126:127], v[132:133], v[128:129], v[120:121]
	ds_load_2addr_b64 v[120:123], v144 offset0:20 offset1:21
	ds_load_2addr_b64 v[130:133], v144 offset0:22 offset1:23
	s_waitcnt lgkmcnt(1)
	v_mul_f64 v[134:135], v[122:123], v[6:7]
	v_add_f64 v[227:228], v[227:228], -v[126:127]
	s_delay_alu instid0(VALU_DEP_2) | instskip(SKIP_1) | instid1(VALU_DEP_2)
	v_fma_f64 v[134:135], v[120:121], v[128:129], -v[134:135]
	v_mul_f64 v[120:121], v[120:121], v[6:7]
	v_add_f64 v[229:230], v[229:230], -v[134:135]
	s_delay_alu instid0(VALU_DEP_2) | instskip(SKIP_2) | instid1(VALU_DEP_2)
	v_fma_f64 v[136:137], v[122:123], v[128:129], v[120:121]
	s_waitcnt lgkmcnt(0)
	v_mul_f64 v[120:121], v[132:133], v[6:7]
	v_add_f64 v[231:232], v[231:232], -v[136:137]
	s_delay_alu instid0(VALU_DEP_2) | instskip(SKIP_1) | instid1(VALU_DEP_2)
	v_fma_f64 v[138:139], v[130:131], v[128:129], -v[120:121]
	v_mul_f64 v[120:121], v[130:131], v[6:7]
	v_add_f64 v[237:238], v[237:238], -v[138:139]
	s_delay_alu instid0(VALU_DEP_2)
	v_fma_f64 v[147:148], v[132:133], v[128:129], v[120:121]
	ds_load_2addr_b64 v[120:123], v144 offset0:24 offset1:25
	ds_load_2addr_b64 v[130:133], v144 offset0:26 offset1:27
	s_waitcnt lgkmcnt(1)
	v_mul_f64 v[149:150], v[122:123], v[6:7]
	v_add_f64 v[239:240], v[239:240], -v[147:148]
	s_delay_alu instid0(VALU_DEP_2) | instskip(SKIP_1) | instid1(VALU_DEP_2)
	v_fma_f64 v[149:150], v[120:121], v[128:129], -v[149:150]
	v_mul_f64 v[120:121], v[120:121], v[6:7]
	v_add_f64 v[249:250], v[249:250], -v[149:150]
	s_delay_alu instid0(VALU_DEP_2) | instskip(SKIP_2) | instid1(VALU_DEP_2)
	v_fma_f64 v[151:152], v[122:123], v[128:129], v[120:121]
	s_waitcnt lgkmcnt(0)
	v_mul_f64 v[120:121], v[132:133], v[6:7]
	v_add_f64 v[251:252], v[251:252], -v[151:152]
	s_delay_alu instid0(VALU_DEP_2) | instskip(SKIP_1) | instid1(VALU_DEP_2)
	v_fma_f64 v[153:154], v[130:131], v[128:129], -v[120:121]
	v_mul_f64 v[120:121], v[130:131], v[6:7]
	v_add_f64 v[245:246], v[245:246], -v[153:154]
	s_delay_alu instid0(VALU_DEP_2)
	;; [unrolled: 20-line block ×9, first 2 shown]
	v_fma_f64 v[211:212], v[132:133], v[128:129], v[120:121]
	ds_load_2addr_b64 v[120:123], v144 offset0:56 offset1:57
	ds_load_2addr_b64 v[130:133], v144 offset0:58 offset1:59
	scratch_load_b128 v[20:23], off, off    ; 16-byte Folded Reload
	scratch_store_b128 off, v[4:7], off offset:16 ; 16-byte Folded Spill
	s_waitcnt lgkmcnt(1)
	v_mul_f64 v[213:214], v[122:123], v[6:7]
	v_add_f64 v[10:11], v[10:11], -v[211:212]
	s_delay_alu instid0(VALU_DEP_2) | instskip(SKIP_1) | instid1(VALU_DEP_2)
	v_fma_f64 v[213:214], v[120:121], v[128:129], -v[213:214]
	v_mul_f64 v[120:121], v[120:121], v[6:7]
	v_add_f64 v[219:220], v[219:220], -v[213:214]
	s_delay_alu instid0(VALU_DEP_2) | instskip(SKIP_2) | instid1(VALU_DEP_2)
	v_fma_f64 v[120:121], v[122:123], v[128:129], v[120:121]
	s_waitcnt lgkmcnt(0)
	v_mul_f64 v[122:123], v[132:133], v[6:7]
	v_add_f64 v[221:222], v[221:222], -v[120:121]
	s_delay_alu instid0(VALU_DEP_2) | instskip(SKIP_1) | instid1(VALU_DEP_2)
	v_fma_f64 v[122:123], v[130:131], v[128:129], -v[122:123]
	v_mul_f64 v[130:131], v[130:131], v[6:7]
	v_add_f64 v[0:1], v[0:1], -v[122:123]
	s_delay_alu instid0(VALU_DEP_2) | instskip(NEXT) | instid1(VALU_DEP_1)
	v_fma_f64 v[130:131], v[132:133], v[128:129], v[130:131]
	v_add_f64 v[2:3], v[2:3], -v[130:131]
	s_waitcnt vmcnt(0)
	v_add_f64 v[20:21], v[20:21], -v[104:105]
	v_add_f64 v[22:23], v[22:23], -v[106:107]
	scratch_store_b128 off, v[20:23], off   ; 16-byte Folded Spill
.LBB58_41:
	s_or_b32 exec_lo, exec_lo, s2
	v_lshl_add_u32 v40, v146, 4, v144
	s_waitcnt_vscnt null, 0x0
	s_barrier
	buffer_gl0_inv
	v_mov_b32_e32 v128, 2
	ds_store_2addr_b64 v40, v[84:85], v[86:87] offset1:1
	s_waitcnt lgkmcnt(0)
	s_barrier
	buffer_gl0_inv
	ds_load_2addr_b64 v[120:123], v144 offset0:4 offset1:5
	s_cmp_lt_i32 s5, 4
	s_cbranch_scc1 .LBB58_44
; %bb.42:
	v_add3_u32 v129, v80, 0, 48
	v_mov_b32_e32 v128, 2
	s_mov_b32 s6, 3
	s_set_inst_prefetch_distance 0x1
	.p2align	6
.LBB58_43:                              ; =>This Inner Loop Header: Depth=1
	ds_load_2addr_b64 v[130:133], v129 offset1:1
	s_waitcnt lgkmcnt(1)
	v_cmp_gt_f64_e32 vcc_lo, 0, v[120:121]
	v_xor_b32_e32 v40, 0x80000000, v121
	v_cmp_gt_f64_e64 s2, 0, v[122:123]
	v_xor_b32_e32 v42, 0x80000000, v123
	v_add_nc_u32_e32 v129, 16, v129
	s_waitcnt lgkmcnt(0)
	v_cmp_gt_f64_e64 s3, 0, v[130:131]
	v_mov_b32_e32 v44, v130
	v_dual_mov_b32 v46, v132 :: v_dual_cndmask_b32 v41, v121, v40
	v_xor_b32_e32 v40, 0x80000000, v131
	v_cndmask_b32_e64 v43, v123, v42, s2
	v_xor_b32_e32 v42, 0x80000000, v133
	s_delay_alu instid0(VALU_DEP_3) | instskip(SKIP_2) | instid1(VALU_DEP_2)
	v_cndmask_b32_e64 v45, v131, v40, s3
	v_cmp_gt_f64_e64 s3, 0, v[132:133]
	v_cndmask_b32_e32 v40, v120, v120, vcc_lo
	v_cndmask_b32_e64 v47, v133, v42, s3
	v_cndmask_b32_e64 v42, v122, v122, s2
	s_delay_alu instid0(VALU_DEP_2) | instskip(NEXT) | instid1(VALU_DEP_2)
	v_add_f64 v[44:45], v[44:45], v[46:47]
	v_add_f64 v[40:41], v[40:41], v[42:43]
	s_delay_alu instid0(VALU_DEP_1)
	v_cmp_lt_f64_e32 vcc_lo, v[40:41], v[44:45]
	v_cndmask_b32_e32 v123, v123, v133, vcc_lo
	v_dual_cndmask_b32 v121, v121, v131 :: v_dual_cndmask_b32 v120, v120, v130
	v_cndmask_b32_e32 v122, v122, v132, vcc_lo
	v_cndmask_b32_e64 v128, v128, s6, vcc_lo
	s_add_i32 s6, s6, 1
	s_delay_alu instid0(SALU_CYCLE_1)
	s_cmp_lg_u32 s5, s6
	s_cbranch_scc1 .LBB58_43
.LBB58_44:
	s_set_inst_prefetch_distance 0x2
	s_waitcnt lgkmcnt(0)
	v_cmp_eq_f64_e32 vcc_lo, 0, v[120:121]
	v_cmp_eq_f64_e64 s2, 0, v[122:123]
	s_delay_alu instid0(VALU_DEP_1) | instskip(NEXT) | instid1(SALU_CYCLE_1)
	s_and_b32 s2, vcc_lo, s2
	s_and_saveexec_b32 s3, s2
	s_delay_alu instid0(SALU_CYCLE_1)
	s_xor_b32 s2, exec_lo, s3
; %bb.45:
	v_cmp_ne_u32_e32 vcc_lo, 0, v83
	v_cndmask_b32_e32 v83, 3, v83, vcc_lo
; %bb.46:
	s_and_not1_saveexec_b32 s3, s2
	s_cbranch_execz .LBB58_52
; %bb.47:
	v_cmp_gt_f64_e32 vcc_lo, 0, v[120:121]
	v_cmp_gt_f64_e64 s2, 0, v[122:123]
	v_xor_b32_e32 v40, 0x80000000, v121
	v_xor_b32_e32 v42, 0x80000000, v123
	s_delay_alu instid0(VALU_DEP_2) | instskip(NEXT) | instid1(VALU_DEP_2)
	v_cndmask_b32_e32 v41, v121, v40, vcc_lo
	v_cndmask_b32_e64 v43, v123, v42, s2
	v_cndmask_b32_e32 v40, v120, v120, vcc_lo
	v_cndmask_b32_e64 v42, v122, v122, s2
	s_mov_b32 s2, exec_lo
	s_delay_alu instid0(VALU_DEP_1)
	v_cmpx_ngt_f64_e32 v[40:41], v[42:43]
	s_xor_b32 s2, exec_lo, s2
	s_cbranch_execz .LBB58_49
; %bb.48:
	v_div_scale_f64 v[40:41], null, v[122:123], v[122:123], v[120:121]
	v_div_scale_f64 v[46:47], vcc_lo, v[120:121], v[122:123], v[120:121]
	s_delay_alu instid0(VALU_DEP_2) | instskip(SKIP_2) | instid1(VALU_DEP_1)
	v_rcp_f64_e32 v[42:43], v[40:41]
	s_waitcnt_depctr 0xfff
	v_fma_f64 v[44:45], -v[40:41], v[42:43], 1.0
	v_fma_f64 v[42:43], v[42:43], v[44:45], v[42:43]
	s_delay_alu instid0(VALU_DEP_1) | instskip(NEXT) | instid1(VALU_DEP_1)
	v_fma_f64 v[44:45], -v[40:41], v[42:43], 1.0
	v_fma_f64 v[42:43], v[42:43], v[44:45], v[42:43]
	s_delay_alu instid0(VALU_DEP_1) | instskip(NEXT) | instid1(VALU_DEP_1)
	v_mul_f64 v[44:45], v[46:47], v[42:43]
	v_fma_f64 v[40:41], -v[40:41], v[44:45], v[46:47]
	s_delay_alu instid0(VALU_DEP_1) | instskip(NEXT) | instid1(VALU_DEP_1)
	v_div_fmas_f64 v[40:41], v[40:41], v[42:43], v[44:45]
	v_div_fixup_f64 v[40:41], v[40:41], v[122:123], v[120:121]
	s_delay_alu instid0(VALU_DEP_1) | instskip(NEXT) | instid1(VALU_DEP_1)
	v_fma_f64 v[42:43], v[120:121], v[40:41], v[122:123]
	v_div_scale_f64 v[44:45], null, v[42:43], v[42:43], 1.0
	s_delay_alu instid0(VALU_DEP_1) | instskip(SKIP_2) | instid1(VALU_DEP_1)
	v_rcp_f64_e32 v[46:47], v[44:45]
	s_waitcnt_depctr 0xfff
	v_fma_f64 v[92:93], -v[44:45], v[46:47], 1.0
	v_fma_f64 v[46:47], v[46:47], v[92:93], v[46:47]
	s_delay_alu instid0(VALU_DEP_1) | instskip(NEXT) | instid1(VALU_DEP_1)
	v_fma_f64 v[92:93], -v[44:45], v[46:47], 1.0
	v_fma_f64 v[46:47], v[46:47], v[92:93], v[46:47]
	v_div_scale_f64 v[92:93], vcc_lo, 1.0, v[42:43], 1.0
	s_delay_alu instid0(VALU_DEP_1) | instskip(NEXT) | instid1(VALU_DEP_1)
	v_mul_f64 v[94:95], v[92:93], v[46:47]
	v_fma_f64 v[44:45], -v[44:45], v[94:95], v[92:93]
	s_delay_alu instid0(VALU_DEP_1) | instskip(NEXT) | instid1(VALU_DEP_1)
	v_div_fmas_f64 v[44:45], v[44:45], v[46:47], v[94:95]
	v_div_fixup_f64 v[122:123], v[44:45], v[42:43], 1.0
	s_delay_alu instid0(VALU_DEP_1)
	v_mul_f64 v[120:121], v[40:41], v[122:123]
	v_xor_b32_e32 v123, 0x80000000, v123
.LBB58_49:
	s_and_not1_saveexec_b32 s2, s2
	s_cbranch_execz .LBB58_51
; %bb.50:
	s_delay_alu instid0(VALU_DEP_1) | instskip(SKIP_1) | instid1(VALU_DEP_2)
	v_div_scale_f64 v[40:41], null, v[120:121], v[120:121], v[122:123]
	v_div_scale_f64 v[46:47], vcc_lo, v[122:123], v[120:121], v[122:123]
	v_rcp_f64_e32 v[42:43], v[40:41]
	s_waitcnt_depctr 0xfff
	v_fma_f64 v[44:45], -v[40:41], v[42:43], 1.0
	s_delay_alu instid0(VALU_DEP_1) | instskip(NEXT) | instid1(VALU_DEP_1)
	v_fma_f64 v[42:43], v[42:43], v[44:45], v[42:43]
	v_fma_f64 v[44:45], -v[40:41], v[42:43], 1.0
	s_delay_alu instid0(VALU_DEP_1) | instskip(NEXT) | instid1(VALU_DEP_1)
	v_fma_f64 v[42:43], v[42:43], v[44:45], v[42:43]
	v_mul_f64 v[44:45], v[46:47], v[42:43]
	s_delay_alu instid0(VALU_DEP_1) | instskip(NEXT) | instid1(VALU_DEP_1)
	v_fma_f64 v[40:41], -v[40:41], v[44:45], v[46:47]
	v_div_fmas_f64 v[40:41], v[40:41], v[42:43], v[44:45]
	s_delay_alu instid0(VALU_DEP_1) | instskip(NEXT) | instid1(VALU_DEP_1)
	v_div_fixup_f64 v[40:41], v[40:41], v[120:121], v[122:123]
	v_fma_f64 v[42:43], v[122:123], v[40:41], v[120:121]
	s_delay_alu instid0(VALU_DEP_1) | instskip(NEXT) | instid1(VALU_DEP_1)
	v_div_scale_f64 v[44:45], null, v[42:43], v[42:43], 1.0
	v_rcp_f64_e32 v[46:47], v[44:45]
	s_waitcnt_depctr 0xfff
	v_fma_f64 v[92:93], -v[44:45], v[46:47], 1.0
	s_delay_alu instid0(VALU_DEP_1) | instskip(NEXT) | instid1(VALU_DEP_1)
	v_fma_f64 v[46:47], v[46:47], v[92:93], v[46:47]
	v_fma_f64 v[92:93], -v[44:45], v[46:47], 1.0
	s_delay_alu instid0(VALU_DEP_1) | instskip(SKIP_1) | instid1(VALU_DEP_1)
	v_fma_f64 v[46:47], v[46:47], v[92:93], v[46:47]
	v_div_scale_f64 v[92:93], vcc_lo, 1.0, v[42:43], 1.0
	v_mul_f64 v[94:95], v[92:93], v[46:47]
	s_delay_alu instid0(VALU_DEP_1) | instskip(NEXT) | instid1(VALU_DEP_1)
	v_fma_f64 v[44:45], -v[44:45], v[94:95], v[92:93]
	v_div_fmas_f64 v[44:45], v[44:45], v[46:47], v[94:95]
	s_delay_alu instid0(VALU_DEP_1) | instskip(NEXT) | instid1(VALU_DEP_1)
	v_div_fixup_f64 v[120:121], v[44:45], v[42:43], 1.0
	v_mul_f64 v[122:123], v[40:41], -v[120:121]
.LBB58_51:
	s_or_b32 exec_lo, exec_lo, s2
.LBB58_52:
	s_delay_alu instid0(SALU_CYCLE_1) | instskip(NEXT) | instid1(SALU_CYCLE_1)
	s_or_b32 exec_lo, exec_lo, s3
	s_mov_b32 s2, exec_lo
	v_cmpx_ne_u32_e64 v146, v128
	s_xor_b32 s2, exec_lo, s2
	s_cbranch_execz .LBB58_58
; %bb.53:
	s_mov_b32 s3, exec_lo
	v_cmpx_eq_u32_e32 2, v146
	s_cbranch_execz .LBB58_57
; %bb.54:
	v_cmp_ne_u32_e32 vcc_lo, 2, v128
	s_xor_b32 s6, s4, -1
	s_delay_alu instid0(SALU_CYCLE_1) | instskip(NEXT) | instid1(SALU_CYCLE_1)
	s_and_b32 s7, s6, vcc_lo
	s_and_saveexec_b32 s6, s7
	s_cbranch_execz .LBB58_56
; %bb.55:
	v_ashrrev_i32_e32 v129, 31, v128
	s_delay_alu instid0(VALU_DEP_1) | instskip(NEXT) | instid1(VALU_DEP_1)
	v_lshlrev_b64 v[40:41], 2, v[128:129]
	v_add_co_u32 v40, vcc_lo, v253, v40
	s_delay_alu instid0(VALU_DEP_2)
	v_add_co_ci_u32_e32 v41, vcc_lo, v254, v41, vcc_lo
	s_clause 0x1
	flat_load_b32 v42, v[40:41]
	flat_load_b32 v43, v[253:254] offset:8
	s_waitcnt vmcnt(1) lgkmcnt(1)
	flat_store_b32 v[253:254], v42 offset:8
	s_waitcnt vmcnt(0) lgkmcnt(1)
	flat_store_b32 v[40:41], v43
.LBB58_56:
	s_or_b32 exec_lo, exec_lo, s6
	v_mov_b32_e32 v146, v128
	v_mov_b32_e32 v82, v128
.LBB58_57:
	s_or_b32 exec_lo, exec_lo, s3
.LBB58_58:
	s_and_not1_saveexec_b32 s2, s2
	s_cbranch_execz .LBB58_60
; %bb.59:
	ds_store_2addr_b64 v144, v[96:97], v[98:99] offset0:6 offset1:7
	ds_store_2addr_b64 v144, v[72:73], v[74:75] offset0:8 offset1:9
	scratch_load_b128 v[4:7], off, off      ; 16-byte Folded Reload
	v_mov_b32_e32 v146, 2
	s_waitcnt vmcnt(0)
	ds_store_2addr_b64 v144, v[4:5], v[6:7] offset0:10 offset1:11
	ds_store_2addr_b64 v144, v[233:234], v[235:236] offset0:12 offset1:13
	;; [unrolled: 1-line block ×25, first 2 shown]
.LBB58_60:
	s_or_b32 exec_lo, exec_lo, s2
	s_delay_alu instid0(SALU_CYCLE_1)
	s_mov_b32 s2, exec_lo
	s_waitcnt lgkmcnt(0)
	s_waitcnt_vscnt null, 0x0
	s_barrier
	buffer_gl0_inv
	v_cmpx_lt_i32_e32 2, v146
	s_cbranch_execz .LBB58_62
; %bb.61:
	v_mul_f64 v[40:41], v[122:123], v[86:87]
	s_delay_alu instid0(VALU_DEP_1) | instskip(SKIP_1) | instid1(VALU_DEP_1)
	v_fma_f64 v[128:129], v[120:121], v[84:85], -v[40:41]
	v_mul_f64 v[40:41], v[120:121], v[86:87]
	v_fma_f64 v[86:87], v[122:123], v[84:85], v[40:41]
	ds_load_2addr_b64 v[120:123], v144 offset0:6 offset1:7
	ds_load_2addr_b64 v[130:133], v144 offset0:8 offset1:9
	v_dual_mov_b32 v84, v128 :: v_dual_mov_b32 v85, v129
	s_waitcnt lgkmcnt(1)
	v_mul_f64 v[40:41], v[122:123], v[86:87]
	v_mul_f64 v[42:43], v[120:121], v[86:87]
	s_waitcnt lgkmcnt(0)
	v_mul_f64 v[44:45], v[132:133], v[86:87]
	v_mul_f64 v[46:47], v[130:131], v[86:87]
	s_delay_alu instid0(VALU_DEP_4) | instskip(NEXT) | instid1(VALU_DEP_4)
	v_fma_f64 v[40:41], v[120:121], v[128:129], -v[40:41]
	v_fma_f64 v[42:43], v[122:123], v[128:129], v[42:43]
	s_delay_alu instid0(VALU_DEP_4) | instskip(NEXT) | instid1(VALU_DEP_4)
	v_fma_f64 v[44:45], v[130:131], v[128:129], -v[44:45]
	v_fma_f64 v[46:47], v[132:133], v[128:129], v[46:47]
	ds_load_2addr_b64 v[120:123], v144 offset0:10 offset1:11
	ds_load_2addr_b64 v[130:133], v144 offset0:12 offset1:13
	s_waitcnt lgkmcnt(1)
	v_mul_f64 v[92:93], v[122:123], v[86:87]
	v_mul_f64 v[94:95], v[120:121], v[86:87]
	s_waitcnt lgkmcnt(0)
	v_mul_f64 v[104:105], v[132:133], v[86:87]
	v_mul_f64 v[106:107], v[130:131], v[86:87]
	v_add_f64 v[96:97], v[96:97], -v[40:41]
	v_add_f64 v[98:99], v[98:99], -v[42:43]
	;; [unrolled: 1-line block ×4, first 2 shown]
	v_fma_f64 v[92:93], v[120:121], v[128:129], -v[92:93]
	v_fma_f64 v[94:95], v[122:123], v[128:129], v[94:95]
	v_fma_f64 v[104:105], v[130:131], v[128:129], -v[104:105]
	v_fma_f64 v[106:107], v[132:133], v[128:129], v[106:107]
	ds_load_2addr_b64 v[120:123], v144 offset0:14 offset1:15
	ds_load_2addr_b64 v[130:133], v144 offset0:16 offset1:17
	s_waitcnt lgkmcnt(1)
	v_mul_f64 v[108:109], v[122:123], v[86:87]
	v_mul_f64 v[110:111], v[120:121], v[86:87]
	s_waitcnt lgkmcnt(0)
	v_mul_f64 v[112:113], v[132:133], v[86:87]
	v_mul_f64 v[114:115], v[130:131], v[86:87]
	v_add_f64 v[233:234], v[233:234], -v[104:105]
	v_add_f64 v[235:236], v[235:236], -v[106:107]
	v_fma_f64 v[108:109], v[120:121], v[128:129], -v[108:109]
	v_fma_f64 v[110:111], v[122:123], v[128:129], v[110:111]
	v_fma_f64 v[112:113], v[130:131], v[128:129], -v[112:113]
	v_fma_f64 v[114:115], v[132:133], v[128:129], v[114:115]
	ds_load_2addr_b64 v[120:123], v144 offset0:18 offset1:19
	ds_load_2addr_b64 v[130:133], v144 offset0:20 offset1:21
	s_waitcnt lgkmcnt(1)
	v_mul_f64 v[116:117], v[122:123], v[86:87]
	v_mul_f64 v[118:119], v[120:121], v[86:87]
	v_add_f64 v[68:69], v[68:69], -v[108:109]
	v_add_f64 v[70:71], v[70:71], -v[110:111]
	;; [unrolled: 1-line block ×4, first 2 shown]
	v_fma_f64 v[116:117], v[120:121], v[128:129], -v[116:117]
	s_waitcnt lgkmcnt(0)
	v_mul_f64 v[120:121], v[132:133], v[86:87]
	v_fma_f64 v[118:119], v[122:123], v[128:129], v[118:119]
	s_delay_alu instid0(VALU_DEP_3) | instskip(NEXT) | instid1(VALU_DEP_3)
	v_add_f64 v[225:226], v[225:226], -v[116:117]
	v_fma_f64 v[124:125], v[130:131], v[128:129], -v[120:121]
	v_mul_f64 v[120:121], v[130:131], v[86:87]
	s_delay_alu instid0(VALU_DEP_4) | instskip(NEXT) | instid1(VALU_DEP_3)
	v_add_f64 v[227:228], v[227:228], -v[118:119]
	v_add_f64 v[229:230], v[229:230], -v[124:125]
	s_delay_alu instid0(VALU_DEP_3)
	v_fma_f64 v[126:127], v[132:133], v[128:129], v[120:121]
	ds_load_2addr_b64 v[120:123], v144 offset0:22 offset1:23
	ds_load_2addr_b64 v[130:133], v144 offset0:24 offset1:25
	s_waitcnt lgkmcnt(1)
	v_mul_f64 v[134:135], v[122:123], v[86:87]
	v_add_f64 v[231:232], v[231:232], -v[126:127]
	s_delay_alu instid0(VALU_DEP_2) | instskip(SKIP_1) | instid1(VALU_DEP_2)
	v_fma_f64 v[134:135], v[120:121], v[128:129], -v[134:135]
	v_mul_f64 v[120:121], v[120:121], v[86:87]
	v_add_f64 v[237:238], v[237:238], -v[134:135]
	s_delay_alu instid0(VALU_DEP_2) | instskip(SKIP_2) | instid1(VALU_DEP_2)
	v_fma_f64 v[136:137], v[122:123], v[128:129], v[120:121]
	s_waitcnt lgkmcnt(0)
	v_mul_f64 v[120:121], v[132:133], v[86:87]
	v_add_f64 v[239:240], v[239:240], -v[136:137]
	s_delay_alu instid0(VALU_DEP_2) | instskip(SKIP_1) | instid1(VALU_DEP_2)
	v_fma_f64 v[138:139], v[130:131], v[128:129], -v[120:121]
	v_mul_f64 v[120:121], v[130:131], v[86:87]
	v_add_f64 v[249:250], v[249:250], -v[138:139]
	s_delay_alu instid0(VALU_DEP_2)
	v_fma_f64 v[147:148], v[132:133], v[128:129], v[120:121]
	ds_load_2addr_b64 v[120:123], v144 offset0:26 offset1:27
	ds_load_2addr_b64 v[130:133], v144 offset0:28 offset1:29
	s_waitcnt lgkmcnt(1)
	v_mul_f64 v[149:150], v[122:123], v[86:87]
	v_add_f64 v[251:252], v[251:252], -v[147:148]
	s_delay_alu instid0(VALU_DEP_2) | instskip(SKIP_1) | instid1(VALU_DEP_2)
	v_fma_f64 v[149:150], v[120:121], v[128:129], -v[149:150]
	v_mul_f64 v[120:121], v[120:121], v[86:87]
	v_add_f64 v[245:246], v[245:246], -v[149:150]
	s_delay_alu instid0(VALU_DEP_2) | instskip(SKIP_2) | instid1(VALU_DEP_2)
	v_fma_f64 v[151:152], v[122:123], v[128:129], v[120:121]
	s_waitcnt lgkmcnt(0)
	v_mul_f64 v[120:121], v[132:133], v[86:87]
	v_add_f64 v[247:248], v[247:248], -v[151:152]
	s_delay_alu instid0(VALU_DEP_2) | instskip(SKIP_1) | instid1(VALU_DEP_2)
	v_fma_f64 v[153:154], v[130:131], v[128:129], -v[120:121]
	v_mul_f64 v[120:121], v[130:131], v[86:87]
	v_add_f64 v[76:77], v[76:77], -v[153:154]
	s_delay_alu instid0(VALU_DEP_2)
	;; [unrolled: 20-line block ×8, first 2 shown]
	v_fma_f64 v[203:204], v[132:133], v[128:129], v[120:121]
	ds_load_2addr_b64 v[120:123], v144 offset0:54 offset1:55
	ds_load_2addr_b64 v[130:133], v144 offset0:56 offset1:57
	scratch_load_b128 v[4:7], off, off      ; 16-byte Folded Reload
	s_waitcnt lgkmcnt(1)
	v_mul_f64 v[205:206], v[122:123], v[86:87]
	v_add_f64 v[14:15], v[14:15], -v[203:204]
	s_delay_alu instid0(VALU_DEP_2) | instskip(SKIP_1) | instid1(VALU_DEP_2)
	v_fma_f64 v[205:206], v[120:121], v[128:129], -v[205:206]
	v_mul_f64 v[120:121], v[120:121], v[86:87]
	v_add_f64 v[8:9], v[8:9], -v[205:206]
	s_delay_alu instid0(VALU_DEP_2) | instskip(SKIP_2) | instid1(VALU_DEP_2)
	v_fma_f64 v[207:208], v[122:123], v[128:129], v[120:121]
	s_waitcnt lgkmcnt(0)
	v_mul_f64 v[120:121], v[132:133], v[86:87]
	v_add_f64 v[10:11], v[10:11], -v[207:208]
	s_delay_alu instid0(VALU_DEP_2) | instskip(SKIP_1) | instid1(VALU_DEP_2)
	v_fma_f64 v[209:210], v[130:131], v[128:129], -v[120:121]
	v_mul_f64 v[120:121], v[130:131], v[86:87]
	v_add_f64 v[219:220], v[219:220], -v[209:210]
	s_delay_alu instid0(VALU_DEP_2) | instskip(SKIP_4) | instid1(VALU_DEP_2)
	v_fma_f64 v[130:131], v[132:133], v[128:129], v[120:121]
	ds_load_2addr_b64 v[120:123], v144 offset0:58 offset1:59
	s_waitcnt lgkmcnt(0)
	v_mul_f64 v[132:133], v[122:123], v[86:87]
	v_add_f64 v[221:222], v[221:222], -v[130:131]
	v_fma_f64 v[132:133], v[120:121], v[128:129], -v[132:133]
	v_mul_f64 v[120:121], v[120:121], v[86:87]
	s_delay_alu instid0(VALU_DEP_2) | instskip(NEXT) | instid1(VALU_DEP_2)
	v_add_f64 v[0:1], v[0:1], -v[132:133]
	v_fma_f64 v[120:121], v[122:123], v[128:129], v[120:121]
	s_delay_alu instid0(VALU_DEP_1)
	v_add_f64 v[2:3], v[2:3], -v[120:121]
	s_waitcnt vmcnt(0)
	v_add_f64 v[4:5], v[4:5], -v[92:93]
	v_add_f64 v[6:7], v[6:7], -v[94:95]
	scratch_store_b128 off, v[4:7], off     ; 16-byte Folded Spill
.LBB58_62:
	s_or_b32 exec_lo, exec_lo, s2
	v_lshl_add_u32 v40, v146, 4, v144
	s_waitcnt_vscnt null, 0x0
	s_barrier
	buffer_gl0_inv
	v_mov_b32_e32 v128, 3
	ds_store_2addr_b64 v40, v[96:97], v[98:99] offset1:1
	s_waitcnt lgkmcnt(0)
	s_barrier
	buffer_gl0_inv
	ds_load_2addr_b64 v[120:123], v144 offset0:6 offset1:7
	s_cmp_lt_i32 s5, 5
	s_mov_b32 s6, 4
	s_cbranch_scc1 .LBB58_65
; %bb.63:
	v_add3_u32 v129, v80, 0, 64
	v_mov_b32_e32 v128, 3
	s_set_inst_prefetch_distance 0x1
	.p2align	6
.LBB58_64:                              ; =>This Inner Loop Header: Depth=1
	ds_load_2addr_b64 v[130:133], v129 offset1:1
	s_waitcnt lgkmcnt(1)
	v_cmp_gt_f64_e32 vcc_lo, 0, v[120:121]
	v_xor_b32_e32 v40, 0x80000000, v121
	v_cmp_gt_f64_e64 s2, 0, v[122:123]
	v_xor_b32_e32 v42, 0x80000000, v123
	v_add_nc_u32_e32 v129, 16, v129
	s_waitcnt lgkmcnt(0)
	v_cmp_gt_f64_e64 s3, 0, v[130:131]
	v_mov_b32_e32 v44, v130
	v_dual_mov_b32 v46, v132 :: v_dual_cndmask_b32 v41, v121, v40
	v_xor_b32_e32 v40, 0x80000000, v131
	v_cndmask_b32_e64 v43, v123, v42, s2
	v_xor_b32_e32 v42, 0x80000000, v133
	s_delay_alu instid0(VALU_DEP_3) | instskip(SKIP_2) | instid1(VALU_DEP_2)
	v_cndmask_b32_e64 v45, v131, v40, s3
	v_cmp_gt_f64_e64 s3, 0, v[132:133]
	v_cndmask_b32_e32 v40, v120, v120, vcc_lo
	v_cndmask_b32_e64 v47, v133, v42, s3
	v_cndmask_b32_e64 v42, v122, v122, s2
	s_delay_alu instid0(VALU_DEP_2) | instskip(NEXT) | instid1(VALU_DEP_2)
	v_add_f64 v[44:45], v[44:45], v[46:47]
	v_add_f64 v[40:41], v[40:41], v[42:43]
	s_delay_alu instid0(VALU_DEP_1)
	v_cmp_lt_f64_e32 vcc_lo, v[40:41], v[44:45]
	v_cndmask_b32_e32 v123, v123, v133, vcc_lo
	v_dual_cndmask_b32 v121, v121, v131 :: v_dual_cndmask_b32 v120, v120, v130
	v_cndmask_b32_e32 v122, v122, v132, vcc_lo
	v_cndmask_b32_e64 v128, v128, s6, vcc_lo
	s_add_i32 s6, s6, 1
	s_delay_alu instid0(SALU_CYCLE_1)
	s_cmp_lg_u32 s5, s6
	s_cbranch_scc1 .LBB58_64
.LBB58_65:
	s_set_inst_prefetch_distance 0x2
	s_waitcnt lgkmcnt(0)
	v_cmp_eq_f64_e32 vcc_lo, 0, v[120:121]
	v_cmp_eq_f64_e64 s2, 0, v[122:123]
	s_delay_alu instid0(VALU_DEP_1) | instskip(NEXT) | instid1(SALU_CYCLE_1)
	s_and_b32 s2, vcc_lo, s2
	s_and_saveexec_b32 s3, s2
	s_delay_alu instid0(SALU_CYCLE_1)
	s_xor_b32 s2, exec_lo, s3
; %bb.66:
	v_cmp_ne_u32_e32 vcc_lo, 0, v83
	v_cndmask_b32_e32 v83, 4, v83, vcc_lo
; %bb.67:
	s_and_not1_saveexec_b32 s3, s2
	s_cbranch_execz .LBB58_73
; %bb.68:
	v_cmp_gt_f64_e32 vcc_lo, 0, v[120:121]
	v_cmp_gt_f64_e64 s2, 0, v[122:123]
	v_xor_b32_e32 v40, 0x80000000, v121
	v_xor_b32_e32 v42, 0x80000000, v123
	s_delay_alu instid0(VALU_DEP_2) | instskip(NEXT) | instid1(VALU_DEP_2)
	v_cndmask_b32_e32 v41, v121, v40, vcc_lo
	v_cndmask_b32_e64 v43, v123, v42, s2
	v_cndmask_b32_e32 v40, v120, v120, vcc_lo
	v_cndmask_b32_e64 v42, v122, v122, s2
	s_mov_b32 s2, exec_lo
	s_delay_alu instid0(VALU_DEP_1)
	v_cmpx_ngt_f64_e32 v[40:41], v[42:43]
	s_xor_b32 s2, exec_lo, s2
	s_cbranch_execz .LBB58_70
; %bb.69:
	v_div_scale_f64 v[40:41], null, v[122:123], v[122:123], v[120:121]
	v_div_scale_f64 v[46:47], vcc_lo, v[120:121], v[122:123], v[120:121]
	s_delay_alu instid0(VALU_DEP_2) | instskip(SKIP_2) | instid1(VALU_DEP_1)
	v_rcp_f64_e32 v[42:43], v[40:41]
	s_waitcnt_depctr 0xfff
	v_fma_f64 v[44:45], -v[40:41], v[42:43], 1.0
	v_fma_f64 v[42:43], v[42:43], v[44:45], v[42:43]
	s_delay_alu instid0(VALU_DEP_1) | instskip(NEXT) | instid1(VALU_DEP_1)
	v_fma_f64 v[44:45], -v[40:41], v[42:43], 1.0
	v_fma_f64 v[42:43], v[42:43], v[44:45], v[42:43]
	s_delay_alu instid0(VALU_DEP_1) | instskip(NEXT) | instid1(VALU_DEP_1)
	v_mul_f64 v[44:45], v[46:47], v[42:43]
	v_fma_f64 v[40:41], -v[40:41], v[44:45], v[46:47]
	s_delay_alu instid0(VALU_DEP_1) | instskip(NEXT) | instid1(VALU_DEP_1)
	v_div_fmas_f64 v[40:41], v[40:41], v[42:43], v[44:45]
	v_div_fixup_f64 v[40:41], v[40:41], v[122:123], v[120:121]
	s_delay_alu instid0(VALU_DEP_1) | instskip(NEXT) | instid1(VALU_DEP_1)
	v_fma_f64 v[42:43], v[120:121], v[40:41], v[122:123]
	v_div_scale_f64 v[44:45], null, v[42:43], v[42:43], 1.0
	s_delay_alu instid0(VALU_DEP_1) | instskip(SKIP_2) | instid1(VALU_DEP_1)
	v_rcp_f64_e32 v[46:47], v[44:45]
	s_waitcnt_depctr 0xfff
	v_fma_f64 v[92:93], -v[44:45], v[46:47], 1.0
	v_fma_f64 v[46:47], v[46:47], v[92:93], v[46:47]
	s_delay_alu instid0(VALU_DEP_1) | instskip(NEXT) | instid1(VALU_DEP_1)
	v_fma_f64 v[92:93], -v[44:45], v[46:47], 1.0
	v_fma_f64 v[46:47], v[46:47], v[92:93], v[46:47]
	v_div_scale_f64 v[92:93], vcc_lo, 1.0, v[42:43], 1.0
	s_delay_alu instid0(VALU_DEP_1) | instskip(NEXT) | instid1(VALU_DEP_1)
	v_mul_f64 v[94:95], v[92:93], v[46:47]
	v_fma_f64 v[44:45], -v[44:45], v[94:95], v[92:93]
	s_delay_alu instid0(VALU_DEP_1) | instskip(NEXT) | instid1(VALU_DEP_1)
	v_div_fmas_f64 v[44:45], v[44:45], v[46:47], v[94:95]
	v_div_fixup_f64 v[122:123], v[44:45], v[42:43], 1.0
	s_delay_alu instid0(VALU_DEP_1)
	v_mul_f64 v[120:121], v[40:41], v[122:123]
	v_xor_b32_e32 v123, 0x80000000, v123
.LBB58_70:
	s_and_not1_saveexec_b32 s2, s2
	s_cbranch_execz .LBB58_72
; %bb.71:
	s_delay_alu instid0(VALU_DEP_1) | instskip(SKIP_1) | instid1(VALU_DEP_2)
	v_div_scale_f64 v[40:41], null, v[120:121], v[120:121], v[122:123]
	v_div_scale_f64 v[46:47], vcc_lo, v[122:123], v[120:121], v[122:123]
	v_rcp_f64_e32 v[42:43], v[40:41]
	s_waitcnt_depctr 0xfff
	v_fma_f64 v[44:45], -v[40:41], v[42:43], 1.0
	s_delay_alu instid0(VALU_DEP_1) | instskip(NEXT) | instid1(VALU_DEP_1)
	v_fma_f64 v[42:43], v[42:43], v[44:45], v[42:43]
	v_fma_f64 v[44:45], -v[40:41], v[42:43], 1.0
	s_delay_alu instid0(VALU_DEP_1) | instskip(NEXT) | instid1(VALU_DEP_1)
	v_fma_f64 v[42:43], v[42:43], v[44:45], v[42:43]
	v_mul_f64 v[44:45], v[46:47], v[42:43]
	s_delay_alu instid0(VALU_DEP_1) | instskip(NEXT) | instid1(VALU_DEP_1)
	v_fma_f64 v[40:41], -v[40:41], v[44:45], v[46:47]
	v_div_fmas_f64 v[40:41], v[40:41], v[42:43], v[44:45]
	s_delay_alu instid0(VALU_DEP_1) | instskip(NEXT) | instid1(VALU_DEP_1)
	v_div_fixup_f64 v[40:41], v[40:41], v[120:121], v[122:123]
	v_fma_f64 v[42:43], v[122:123], v[40:41], v[120:121]
	s_delay_alu instid0(VALU_DEP_1) | instskip(NEXT) | instid1(VALU_DEP_1)
	v_div_scale_f64 v[44:45], null, v[42:43], v[42:43], 1.0
	v_rcp_f64_e32 v[46:47], v[44:45]
	s_waitcnt_depctr 0xfff
	v_fma_f64 v[92:93], -v[44:45], v[46:47], 1.0
	s_delay_alu instid0(VALU_DEP_1) | instskip(NEXT) | instid1(VALU_DEP_1)
	v_fma_f64 v[46:47], v[46:47], v[92:93], v[46:47]
	v_fma_f64 v[92:93], -v[44:45], v[46:47], 1.0
	s_delay_alu instid0(VALU_DEP_1) | instskip(SKIP_1) | instid1(VALU_DEP_1)
	v_fma_f64 v[46:47], v[46:47], v[92:93], v[46:47]
	v_div_scale_f64 v[92:93], vcc_lo, 1.0, v[42:43], 1.0
	v_mul_f64 v[94:95], v[92:93], v[46:47]
	s_delay_alu instid0(VALU_DEP_1) | instskip(NEXT) | instid1(VALU_DEP_1)
	v_fma_f64 v[44:45], -v[44:45], v[94:95], v[92:93]
	v_div_fmas_f64 v[44:45], v[44:45], v[46:47], v[94:95]
	s_delay_alu instid0(VALU_DEP_1) | instskip(NEXT) | instid1(VALU_DEP_1)
	v_div_fixup_f64 v[120:121], v[44:45], v[42:43], 1.0
	v_mul_f64 v[122:123], v[40:41], -v[120:121]
.LBB58_72:
	s_or_b32 exec_lo, exec_lo, s2
.LBB58_73:
	s_delay_alu instid0(SALU_CYCLE_1) | instskip(NEXT) | instid1(SALU_CYCLE_1)
	s_or_b32 exec_lo, exec_lo, s3
	s_mov_b32 s2, exec_lo
	v_cmpx_ne_u32_e64 v146, v128
	s_xor_b32 s2, exec_lo, s2
	s_cbranch_execz .LBB58_79
; %bb.74:
	s_mov_b32 s3, exec_lo
	v_cmpx_eq_u32_e32 3, v146
	s_cbranch_execz .LBB58_78
; %bb.75:
	v_cmp_ne_u32_e32 vcc_lo, 3, v128
	s_xor_b32 s6, s4, -1
	s_delay_alu instid0(SALU_CYCLE_1) | instskip(NEXT) | instid1(SALU_CYCLE_1)
	s_and_b32 s7, s6, vcc_lo
	s_and_saveexec_b32 s6, s7
	s_cbranch_execz .LBB58_77
; %bb.76:
	v_ashrrev_i32_e32 v129, 31, v128
	s_delay_alu instid0(VALU_DEP_1) | instskip(NEXT) | instid1(VALU_DEP_1)
	v_lshlrev_b64 v[40:41], 2, v[128:129]
	v_add_co_u32 v40, vcc_lo, v253, v40
	s_delay_alu instid0(VALU_DEP_2)
	v_add_co_ci_u32_e32 v41, vcc_lo, v254, v41, vcc_lo
	s_clause 0x1
	flat_load_b32 v42, v[40:41]
	flat_load_b32 v43, v[253:254] offset:12
	s_waitcnt vmcnt(1) lgkmcnt(1)
	flat_store_b32 v[253:254], v42 offset:12
	s_waitcnt vmcnt(0) lgkmcnt(1)
	flat_store_b32 v[40:41], v43
.LBB58_77:
	s_or_b32 exec_lo, exec_lo, s6
	v_mov_b32_e32 v146, v128
	v_mov_b32_e32 v82, v128
.LBB58_78:
	s_or_b32 exec_lo, exec_lo, s3
.LBB58_79:
	s_and_not1_saveexec_b32 s2, s2
	s_cbranch_execz .LBB58_81
; %bb.80:
	scratch_load_b128 v[4:7], off, off      ; 16-byte Folded Reload
	v_mov_b32_e32 v146, 3
	ds_store_2addr_b64 v144, v[72:73], v[74:75] offset0:8 offset1:9
	s_waitcnt vmcnt(0)
	ds_store_2addr_b64 v144, v[4:5], v[6:7] offset0:10 offset1:11
	ds_store_2addr_b64 v144, v[233:234], v[235:236] offset0:12 offset1:13
	;; [unrolled: 1-line block ×25, first 2 shown]
.LBB58_81:
	s_or_b32 exec_lo, exec_lo, s2
	s_delay_alu instid0(SALU_CYCLE_1)
	s_mov_b32 s2, exec_lo
	s_waitcnt lgkmcnt(0)
	s_waitcnt_vscnt null, 0x0
	s_barrier
	buffer_gl0_inv
	v_cmpx_lt_i32_e32 3, v146
	s_cbranch_execz .LBB58_83
; %bb.82:
	v_mul_f64 v[40:41], v[122:123], v[98:99]
	s_delay_alu instid0(VALU_DEP_1) | instskip(SKIP_1) | instid1(VALU_DEP_1)
	v_fma_f64 v[128:129], v[120:121], v[96:97], -v[40:41]
	v_mul_f64 v[40:41], v[120:121], v[98:99]
	v_fma_f64 v[98:99], v[122:123], v[96:97], v[40:41]
	ds_load_2addr_b64 v[120:123], v144 offset0:8 offset1:9
	ds_load_2addr_b64 v[130:133], v144 offset0:10 offset1:11
	v_dual_mov_b32 v96, v128 :: v_dual_mov_b32 v97, v129
	s_waitcnt lgkmcnt(1)
	v_mul_f64 v[40:41], v[122:123], v[98:99]
	v_mul_f64 v[42:43], v[120:121], v[98:99]
	s_waitcnt lgkmcnt(0)
	v_mul_f64 v[44:45], v[132:133], v[98:99]
	v_mul_f64 v[46:47], v[130:131], v[98:99]
	s_delay_alu instid0(VALU_DEP_4) | instskip(NEXT) | instid1(VALU_DEP_4)
	v_fma_f64 v[40:41], v[120:121], v[128:129], -v[40:41]
	v_fma_f64 v[42:43], v[122:123], v[128:129], v[42:43]
	s_delay_alu instid0(VALU_DEP_4) | instskip(NEXT) | instid1(VALU_DEP_4)
	v_fma_f64 v[44:45], v[130:131], v[128:129], -v[44:45]
	v_fma_f64 v[46:47], v[132:133], v[128:129], v[46:47]
	ds_load_2addr_b64 v[120:123], v144 offset0:12 offset1:13
	ds_load_2addr_b64 v[130:133], v144 offset0:14 offset1:15
	s_waitcnt lgkmcnt(1)
	v_mul_f64 v[92:93], v[122:123], v[98:99]
	v_mul_f64 v[94:95], v[120:121], v[98:99]
	s_waitcnt lgkmcnt(0)
	v_mul_f64 v[104:105], v[132:133], v[98:99]
	v_mul_f64 v[106:107], v[130:131], v[98:99]
	v_add_f64 v[72:73], v[72:73], -v[40:41]
	v_add_f64 v[74:75], v[74:75], -v[42:43]
	v_fma_f64 v[92:93], v[120:121], v[128:129], -v[92:93]
	v_fma_f64 v[94:95], v[122:123], v[128:129], v[94:95]
	v_fma_f64 v[104:105], v[130:131], v[128:129], -v[104:105]
	v_fma_f64 v[106:107], v[132:133], v[128:129], v[106:107]
	ds_load_2addr_b64 v[120:123], v144 offset0:16 offset1:17
	ds_load_2addr_b64 v[130:133], v144 offset0:18 offset1:19
	s_waitcnt lgkmcnt(1)
	v_mul_f64 v[108:109], v[122:123], v[98:99]
	v_mul_f64 v[110:111], v[120:121], v[98:99]
	s_waitcnt lgkmcnt(0)
	v_mul_f64 v[112:113], v[132:133], v[98:99]
	v_mul_f64 v[114:115], v[130:131], v[98:99]
	v_add_f64 v[233:234], v[233:234], -v[92:93]
	v_add_f64 v[235:236], v[235:236], -v[94:95]
	;; [unrolled: 1-line block ×4, first 2 shown]
	v_fma_f64 v[108:109], v[120:121], v[128:129], -v[108:109]
	v_fma_f64 v[110:111], v[122:123], v[128:129], v[110:111]
	v_fma_f64 v[112:113], v[130:131], v[128:129], -v[112:113]
	v_fma_f64 v[114:115], v[132:133], v[128:129], v[114:115]
	ds_load_2addr_b64 v[120:123], v144 offset0:20 offset1:21
	ds_load_2addr_b64 v[130:133], v144 offset0:22 offset1:23
	s_waitcnt lgkmcnt(1)
	v_mul_f64 v[116:117], v[122:123], v[98:99]
	v_mul_f64 v[118:119], v[120:121], v[98:99]
	v_add_f64 v[88:89], v[88:89], -v[108:109]
	v_add_f64 v[90:91], v[90:91], -v[110:111]
	;; [unrolled: 1-line block ×4, first 2 shown]
	v_fma_f64 v[116:117], v[120:121], v[128:129], -v[116:117]
	s_waitcnt lgkmcnt(0)
	v_mul_f64 v[120:121], v[132:133], v[98:99]
	v_fma_f64 v[118:119], v[122:123], v[128:129], v[118:119]
	s_delay_alu instid0(VALU_DEP_3) | instskip(NEXT) | instid1(VALU_DEP_3)
	v_add_f64 v[229:230], v[229:230], -v[116:117]
	v_fma_f64 v[124:125], v[130:131], v[128:129], -v[120:121]
	v_mul_f64 v[120:121], v[130:131], v[98:99]
	s_delay_alu instid0(VALU_DEP_4) | instskip(NEXT) | instid1(VALU_DEP_3)
	v_add_f64 v[231:232], v[231:232], -v[118:119]
	v_add_f64 v[237:238], v[237:238], -v[124:125]
	s_delay_alu instid0(VALU_DEP_3)
	v_fma_f64 v[126:127], v[132:133], v[128:129], v[120:121]
	ds_load_2addr_b64 v[120:123], v144 offset0:24 offset1:25
	ds_load_2addr_b64 v[130:133], v144 offset0:26 offset1:27
	s_waitcnt lgkmcnt(1)
	v_mul_f64 v[134:135], v[122:123], v[98:99]
	v_add_f64 v[239:240], v[239:240], -v[126:127]
	s_delay_alu instid0(VALU_DEP_2) | instskip(SKIP_1) | instid1(VALU_DEP_2)
	v_fma_f64 v[134:135], v[120:121], v[128:129], -v[134:135]
	v_mul_f64 v[120:121], v[120:121], v[98:99]
	v_add_f64 v[249:250], v[249:250], -v[134:135]
	s_delay_alu instid0(VALU_DEP_2) | instskip(SKIP_2) | instid1(VALU_DEP_2)
	v_fma_f64 v[136:137], v[122:123], v[128:129], v[120:121]
	s_waitcnt lgkmcnt(0)
	v_mul_f64 v[120:121], v[132:133], v[98:99]
	v_add_f64 v[251:252], v[251:252], -v[136:137]
	s_delay_alu instid0(VALU_DEP_2) | instskip(SKIP_1) | instid1(VALU_DEP_2)
	v_fma_f64 v[138:139], v[130:131], v[128:129], -v[120:121]
	v_mul_f64 v[120:121], v[130:131], v[98:99]
	v_add_f64 v[245:246], v[245:246], -v[138:139]
	s_delay_alu instid0(VALU_DEP_2)
	v_fma_f64 v[147:148], v[132:133], v[128:129], v[120:121]
	ds_load_2addr_b64 v[120:123], v144 offset0:28 offset1:29
	ds_load_2addr_b64 v[130:133], v144 offset0:30 offset1:31
	s_waitcnt lgkmcnt(1)
	v_mul_f64 v[149:150], v[122:123], v[98:99]
	v_add_f64 v[247:248], v[247:248], -v[147:148]
	s_delay_alu instid0(VALU_DEP_2) | instskip(SKIP_1) | instid1(VALU_DEP_2)
	v_fma_f64 v[149:150], v[120:121], v[128:129], -v[149:150]
	v_mul_f64 v[120:121], v[120:121], v[98:99]
	v_add_f64 v[76:77], v[76:77], -v[149:150]
	s_delay_alu instid0(VALU_DEP_2) | instskip(SKIP_2) | instid1(VALU_DEP_2)
	v_fma_f64 v[151:152], v[122:123], v[128:129], v[120:121]
	s_waitcnt lgkmcnt(0)
	v_mul_f64 v[120:121], v[132:133], v[98:99]
	v_add_f64 v[78:79], v[78:79], -v[151:152]
	s_delay_alu instid0(VALU_DEP_2) | instskip(SKIP_1) | instid1(VALU_DEP_2)
	v_fma_f64 v[153:154], v[130:131], v[128:129], -v[120:121]
	v_mul_f64 v[120:121], v[130:131], v[98:99]
	v_add_f64 v[64:65], v[64:65], -v[153:154]
	s_delay_alu instid0(VALU_DEP_2)
	;; [unrolled: 20-line block ×8, first 2 shown]
	v_fma_f64 v[203:204], v[132:133], v[128:129], v[120:121]
	ds_load_2addr_b64 v[120:123], v144 offset0:56 offset1:57
	ds_load_2addr_b64 v[130:133], v144 offset0:58 offset1:59
	scratch_load_b128 v[4:7], off, off      ; 16-byte Folded Reload
	s_waitcnt lgkmcnt(1)
	v_mul_f64 v[205:206], v[122:123], v[98:99]
	v_add_f64 v[10:11], v[10:11], -v[203:204]
	s_delay_alu instid0(VALU_DEP_2) | instskip(SKIP_1) | instid1(VALU_DEP_2)
	v_fma_f64 v[205:206], v[120:121], v[128:129], -v[205:206]
	v_mul_f64 v[120:121], v[120:121], v[98:99]
	v_add_f64 v[219:220], v[219:220], -v[205:206]
	s_delay_alu instid0(VALU_DEP_2) | instskip(SKIP_2) | instid1(VALU_DEP_2)
	v_fma_f64 v[120:121], v[122:123], v[128:129], v[120:121]
	s_waitcnt lgkmcnt(0)
	v_mul_f64 v[122:123], v[132:133], v[98:99]
	v_add_f64 v[221:222], v[221:222], -v[120:121]
	s_delay_alu instid0(VALU_DEP_2) | instskip(SKIP_1) | instid1(VALU_DEP_2)
	v_fma_f64 v[122:123], v[130:131], v[128:129], -v[122:123]
	v_mul_f64 v[130:131], v[130:131], v[98:99]
	v_add_f64 v[0:1], v[0:1], -v[122:123]
	s_delay_alu instid0(VALU_DEP_2) | instskip(NEXT) | instid1(VALU_DEP_1)
	v_fma_f64 v[130:131], v[132:133], v[128:129], v[130:131]
	v_add_f64 v[2:3], v[2:3], -v[130:131]
	s_waitcnt vmcnt(0)
	v_add_f64 v[4:5], v[4:5], -v[44:45]
	v_add_f64 v[6:7], v[6:7], -v[46:47]
	scratch_store_b128 off, v[4:7], off     ; 16-byte Folded Spill
.LBB58_83:
	s_or_b32 exec_lo, exec_lo, s2
	v_lshl_add_u32 v40, v146, 4, v144
	s_waitcnt_vscnt null, 0x0
	s_barrier
	buffer_gl0_inv
	v_mov_b32_e32 v128, 4
	ds_store_2addr_b64 v40, v[72:73], v[74:75] offset1:1
	s_waitcnt lgkmcnt(0)
	s_barrier
	buffer_gl0_inv
	ds_load_2addr_b64 v[120:123], v144 offset0:8 offset1:9
	s_cmp_lt_i32 s5, 6
	s_cbranch_scc1 .LBB58_86
; %bb.84:
	v_add3_u32 v129, v80, 0, 0x50
	v_mov_b32_e32 v128, 4
	s_mov_b32 s6, 5
	s_set_inst_prefetch_distance 0x1
	.p2align	6
.LBB58_85:                              ; =>This Inner Loop Header: Depth=1
	ds_load_2addr_b64 v[130:133], v129 offset1:1
	s_waitcnt lgkmcnt(1)
	v_cmp_gt_f64_e32 vcc_lo, 0, v[120:121]
	v_xor_b32_e32 v40, 0x80000000, v121
	v_cmp_gt_f64_e64 s2, 0, v[122:123]
	v_xor_b32_e32 v42, 0x80000000, v123
	v_add_nc_u32_e32 v129, 16, v129
	s_waitcnt lgkmcnt(0)
	v_cmp_gt_f64_e64 s3, 0, v[130:131]
	v_mov_b32_e32 v44, v130
	v_dual_mov_b32 v46, v132 :: v_dual_cndmask_b32 v41, v121, v40
	v_xor_b32_e32 v40, 0x80000000, v131
	v_cndmask_b32_e64 v43, v123, v42, s2
	v_xor_b32_e32 v42, 0x80000000, v133
	s_delay_alu instid0(VALU_DEP_3) | instskip(SKIP_2) | instid1(VALU_DEP_2)
	v_cndmask_b32_e64 v45, v131, v40, s3
	v_cmp_gt_f64_e64 s3, 0, v[132:133]
	v_cndmask_b32_e32 v40, v120, v120, vcc_lo
	v_cndmask_b32_e64 v47, v133, v42, s3
	v_cndmask_b32_e64 v42, v122, v122, s2
	s_delay_alu instid0(VALU_DEP_2) | instskip(NEXT) | instid1(VALU_DEP_2)
	v_add_f64 v[44:45], v[44:45], v[46:47]
	v_add_f64 v[40:41], v[40:41], v[42:43]
	s_delay_alu instid0(VALU_DEP_1)
	v_cmp_lt_f64_e32 vcc_lo, v[40:41], v[44:45]
	v_cndmask_b32_e32 v123, v123, v133, vcc_lo
	v_dual_cndmask_b32 v121, v121, v131 :: v_dual_cndmask_b32 v120, v120, v130
	v_cndmask_b32_e32 v122, v122, v132, vcc_lo
	v_cndmask_b32_e64 v128, v128, s6, vcc_lo
	s_add_i32 s6, s6, 1
	s_delay_alu instid0(SALU_CYCLE_1)
	s_cmp_lg_u32 s5, s6
	s_cbranch_scc1 .LBB58_85
.LBB58_86:
	s_set_inst_prefetch_distance 0x2
	s_waitcnt lgkmcnt(0)
	v_cmp_eq_f64_e32 vcc_lo, 0, v[120:121]
	v_cmp_eq_f64_e64 s2, 0, v[122:123]
	s_delay_alu instid0(VALU_DEP_1) | instskip(NEXT) | instid1(SALU_CYCLE_1)
	s_and_b32 s2, vcc_lo, s2
	s_and_saveexec_b32 s3, s2
	s_delay_alu instid0(SALU_CYCLE_1)
	s_xor_b32 s2, exec_lo, s3
; %bb.87:
	v_cmp_ne_u32_e32 vcc_lo, 0, v83
	v_cndmask_b32_e32 v83, 5, v83, vcc_lo
; %bb.88:
	s_and_not1_saveexec_b32 s3, s2
	s_cbranch_execz .LBB58_94
; %bb.89:
	v_cmp_gt_f64_e32 vcc_lo, 0, v[120:121]
	v_cmp_gt_f64_e64 s2, 0, v[122:123]
	v_xor_b32_e32 v40, 0x80000000, v121
	v_xor_b32_e32 v42, 0x80000000, v123
	s_delay_alu instid0(VALU_DEP_2) | instskip(NEXT) | instid1(VALU_DEP_2)
	v_cndmask_b32_e32 v41, v121, v40, vcc_lo
	v_cndmask_b32_e64 v43, v123, v42, s2
	v_cndmask_b32_e32 v40, v120, v120, vcc_lo
	v_cndmask_b32_e64 v42, v122, v122, s2
	s_mov_b32 s2, exec_lo
	s_delay_alu instid0(VALU_DEP_1)
	v_cmpx_ngt_f64_e32 v[40:41], v[42:43]
	s_xor_b32 s2, exec_lo, s2
	s_cbranch_execz .LBB58_91
; %bb.90:
	v_div_scale_f64 v[40:41], null, v[122:123], v[122:123], v[120:121]
	v_div_scale_f64 v[46:47], vcc_lo, v[120:121], v[122:123], v[120:121]
	s_delay_alu instid0(VALU_DEP_2) | instskip(SKIP_2) | instid1(VALU_DEP_1)
	v_rcp_f64_e32 v[42:43], v[40:41]
	s_waitcnt_depctr 0xfff
	v_fma_f64 v[44:45], -v[40:41], v[42:43], 1.0
	v_fma_f64 v[42:43], v[42:43], v[44:45], v[42:43]
	s_delay_alu instid0(VALU_DEP_1) | instskip(NEXT) | instid1(VALU_DEP_1)
	v_fma_f64 v[44:45], -v[40:41], v[42:43], 1.0
	v_fma_f64 v[42:43], v[42:43], v[44:45], v[42:43]
	s_delay_alu instid0(VALU_DEP_1) | instskip(NEXT) | instid1(VALU_DEP_1)
	v_mul_f64 v[44:45], v[46:47], v[42:43]
	v_fma_f64 v[40:41], -v[40:41], v[44:45], v[46:47]
	s_delay_alu instid0(VALU_DEP_1) | instskip(NEXT) | instid1(VALU_DEP_1)
	v_div_fmas_f64 v[40:41], v[40:41], v[42:43], v[44:45]
	v_div_fixup_f64 v[40:41], v[40:41], v[122:123], v[120:121]
	s_delay_alu instid0(VALU_DEP_1) | instskip(NEXT) | instid1(VALU_DEP_1)
	v_fma_f64 v[42:43], v[120:121], v[40:41], v[122:123]
	v_div_scale_f64 v[44:45], null, v[42:43], v[42:43], 1.0
	s_delay_alu instid0(VALU_DEP_1) | instskip(SKIP_2) | instid1(VALU_DEP_1)
	v_rcp_f64_e32 v[46:47], v[44:45]
	s_waitcnt_depctr 0xfff
	v_fma_f64 v[92:93], -v[44:45], v[46:47], 1.0
	v_fma_f64 v[46:47], v[46:47], v[92:93], v[46:47]
	s_delay_alu instid0(VALU_DEP_1) | instskip(NEXT) | instid1(VALU_DEP_1)
	v_fma_f64 v[92:93], -v[44:45], v[46:47], 1.0
	v_fma_f64 v[46:47], v[46:47], v[92:93], v[46:47]
	v_div_scale_f64 v[92:93], vcc_lo, 1.0, v[42:43], 1.0
	s_delay_alu instid0(VALU_DEP_1) | instskip(NEXT) | instid1(VALU_DEP_1)
	v_mul_f64 v[94:95], v[92:93], v[46:47]
	v_fma_f64 v[44:45], -v[44:45], v[94:95], v[92:93]
	s_delay_alu instid0(VALU_DEP_1) | instskip(NEXT) | instid1(VALU_DEP_1)
	v_div_fmas_f64 v[44:45], v[44:45], v[46:47], v[94:95]
	v_div_fixup_f64 v[122:123], v[44:45], v[42:43], 1.0
	s_delay_alu instid0(VALU_DEP_1)
	v_mul_f64 v[120:121], v[40:41], v[122:123]
	v_xor_b32_e32 v123, 0x80000000, v123
.LBB58_91:
	s_and_not1_saveexec_b32 s2, s2
	s_cbranch_execz .LBB58_93
; %bb.92:
	s_delay_alu instid0(VALU_DEP_1) | instskip(SKIP_1) | instid1(VALU_DEP_2)
	v_div_scale_f64 v[40:41], null, v[120:121], v[120:121], v[122:123]
	v_div_scale_f64 v[46:47], vcc_lo, v[122:123], v[120:121], v[122:123]
	v_rcp_f64_e32 v[42:43], v[40:41]
	s_waitcnt_depctr 0xfff
	v_fma_f64 v[44:45], -v[40:41], v[42:43], 1.0
	s_delay_alu instid0(VALU_DEP_1) | instskip(NEXT) | instid1(VALU_DEP_1)
	v_fma_f64 v[42:43], v[42:43], v[44:45], v[42:43]
	v_fma_f64 v[44:45], -v[40:41], v[42:43], 1.0
	s_delay_alu instid0(VALU_DEP_1) | instskip(NEXT) | instid1(VALU_DEP_1)
	v_fma_f64 v[42:43], v[42:43], v[44:45], v[42:43]
	v_mul_f64 v[44:45], v[46:47], v[42:43]
	s_delay_alu instid0(VALU_DEP_1) | instskip(NEXT) | instid1(VALU_DEP_1)
	v_fma_f64 v[40:41], -v[40:41], v[44:45], v[46:47]
	v_div_fmas_f64 v[40:41], v[40:41], v[42:43], v[44:45]
	s_delay_alu instid0(VALU_DEP_1) | instskip(NEXT) | instid1(VALU_DEP_1)
	v_div_fixup_f64 v[40:41], v[40:41], v[120:121], v[122:123]
	v_fma_f64 v[42:43], v[122:123], v[40:41], v[120:121]
	s_delay_alu instid0(VALU_DEP_1) | instskip(NEXT) | instid1(VALU_DEP_1)
	v_div_scale_f64 v[44:45], null, v[42:43], v[42:43], 1.0
	v_rcp_f64_e32 v[46:47], v[44:45]
	s_waitcnt_depctr 0xfff
	v_fma_f64 v[92:93], -v[44:45], v[46:47], 1.0
	s_delay_alu instid0(VALU_DEP_1) | instskip(NEXT) | instid1(VALU_DEP_1)
	v_fma_f64 v[46:47], v[46:47], v[92:93], v[46:47]
	v_fma_f64 v[92:93], -v[44:45], v[46:47], 1.0
	s_delay_alu instid0(VALU_DEP_1) | instskip(SKIP_1) | instid1(VALU_DEP_1)
	v_fma_f64 v[46:47], v[46:47], v[92:93], v[46:47]
	v_div_scale_f64 v[92:93], vcc_lo, 1.0, v[42:43], 1.0
	v_mul_f64 v[94:95], v[92:93], v[46:47]
	s_delay_alu instid0(VALU_DEP_1) | instskip(NEXT) | instid1(VALU_DEP_1)
	v_fma_f64 v[44:45], -v[44:45], v[94:95], v[92:93]
	v_div_fmas_f64 v[44:45], v[44:45], v[46:47], v[94:95]
	s_delay_alu instid0(VALU_DEP_1) | instskip(NEXT) | instid1(VALU_DEP_1)
	v_div_fixup_f64 v[120:121], v[44:45], v[42:43], 1.0
	v_mul_f64 v[122:123], v[40:41], -v[120:121]
.LBB58_93:
	s_or_b32 exec_lo, exec_lo, s2
.LBB58_94:
	s_delay_alu instid0(SALU_CYCLE_1) | instskip(NEXT) | instid1(SALU_CYCLE_1)
	s_or_b32 exec_lo, exec_lo, s3
	s_mov_b32 s2, exec_lo
	v_cmpx_ne_u32_e64 v146, v128
	s_xor_b32 s2, exec_lo, s2
	s_cbranch_execz .LBB58_100
; %bb.95:
	s_mov_b32 s3, exec_lo
	v_cmpx_eq_u32_e32 4, v146
	s_cbranch_execz .LBB58_99
; %bb.96:
	v_cmp_ne_u32_e32 vcc_lo, 4, v128
	s_xor_b32 s6, s4, -1
	s_delay_alu instid0(SALU_CYCLE_1) | instskip(NEXT) | instid1(SALU_CYCLE_1)
	s_and_b32 s7, s6, vcc_lo
	s_and_saveexec_b32 s6, s7
	s_cbranch_execz .LBB58_98
; %bb.97:
	v_ashrrev_i32_e32 v129, 31, v128
	s_delay_alu instid0(VALU_DEP_1) | instskip(NEXT) | instid1(VALU_DEP_1)
	v_lshlrev_b64 v[40:41], 2, v[128:129]
	v_add_co_u32 v40, vcc_lo, v253, v40
	s_delay_alu instid0(VALU_DEP_2)
	v_add_co_ci_u32_e32 v41, vcc_lo, v254, v41, vcc_lo
	s_clause 0x1
	flat_load_b32 v42, v[40:41]
	flat_load_b32 v43, v[253:254] offset:16
	s_waitcnt vmcnt(1) lgkmcnt(1)
	flat_store_b32 v[253:254], v42 offset:16
	s_waitcnt vmcnt(0) lgkmcnt(1)
	flat_store_b32 v[40:41], v43
.LBB58_98:
	s_or_b32 exec_lo, exec_lo, s6
	v_mov_b32_e32 v146, v128
	v_mov_b32_e32 v82, v128
.LBB58_99:
	s_or_b32 exec_lo, exec_lo, s3
.LBB58_100:
	s_and_not1_saveexec_b32 s2, s2
	s_cbranch_execz .LBB58_102
; %bb.101:
	scratch_load_b128 v[4:7], off, off      ; 16-byte Folded Reload
	v_mov_b32_e32 v146, 4
	s_waitcnt vmcnt(0)
	ds_store_2addr_b64 v144, v[4:5], v[6:7] offset0:10 offset1:11
	ds_store_2addr_b64 v144, v[233:234], v[235:236] offset0:12 offset1:13
	ds_store_2addr_b64 v144, v[68:69], v[70:71] offset0:14 offset1:15
	ds_store_2addr_b64 v144, v[88:89], v[90:91] offset0:16 offset1:17
	ds_store_2addr_b64 v144, v[225:226], v[227:228] offset0:18 offset1:19
	ds_store_2addr_b64 v144, v[229:230], v[231:232] offset0:20 offset1:21
	ds_store_2addr_b64 v144, v[237:238], v[239:240] offset0:22 offset1:23
	ds_store_2addr_b64 v144, v[249:250], v[251:252] offset0:24 offset1:25
	ds_store_2addr_b64 v144, v[245:246], v[247:248] offset0:26 offset1:27
	ds_store_2addr_b64 v144, v[76:77], v[78:79] offset0:28 offset1:29
	ds_store_2addr_b64 v144, v[64:65], v[66:67] offset0:30 offset1:31
	ds_store_2addr_b64 v144, v[241:242], v[243:244] offset0:32 offset1:33
	ds_store_2addr_b64 v144, v[56:57], v[58:59] offset0:34 offset1:35
	ds_store_2addr_b64 v144, v[52:53], v[54:55] offset0:36 offset1:37
	ds_store_2addr_b64 v144, v[48:49], v[50:51] offset0:38 offset1:39
	ds_store_2addr_b64 v144, v[36:37], v[38:39] offset0:40 offset1:41
	ds_store_2addr_b64 v144, v[32:33], v[34:35] offset0:42 offset1:43
	ds_store_2addr_b64 v144, v[28:29], v[30:31] offset0:44 offset1:45
	ds_store_2addr_b64 v144, v[24:25], v[26:27] offset0:46 offset1:47
	ds_store_2addr_b64 v144, v[140:141], v[142:143] offset0:48 offset1:49
	ds_store_2addr_b64 v144, v[16:17], v[18:19] offset0:50 offset1:51
	ds_store_2addr_b64 v144, v[12:13], v[14:15] offset0:52 offset1:53
	ds_store_2addr_b64 v144, v[8:9], v[10:11] offset0:54 offset1:55
	ds_store_2addr_b64 v144, v[219:220], v[221:222] offset0:56 offset1:57
	ds_store_2addr_b64 v144, v[0:1], v[2:3] offset0:58 offset1:59
.LBB58_102:
	s_or_b32 exec_lo, exec_lo, s2
	s_delay_alu instid0(SALU_CYCLE_1)
	s_mov_b32 s2, exec_lo
	s_waitcnt lgkmcnt(0)
	s_waitcnt_vscnt null, 0x0
	s_barrier
	buffer_gl0_inv
	v_cmpx_lt_i32_e32 4, v146
	s_cbranch_execz .LBB58_104
; %bb.103:
	v_mul_f64 v[40:41], v[122:123], v[74:75]
	s_delay_alu instid0(VALU_DEP_1) | instskip(SKIP_1) | instid1(VALU_DEP_1)
	v_fma_f64 v[128:129], v[120:121], v[72:73], -v[40:41]
	v_mul_f64 v[40:41], v[120:121], v[74:75]
	v_fma_f64 v[74:75], v[122:123], v[72:73], v[40:41]
	ds_load_2addr_b64 v[120:123], v144 offset0:10 offset1:11
	ds_load_2addr_b64 v[130:133], v144 offset0:12 offset1:13
	v_dual_mov_b32 v72, v128 :: v_dual_mov_b32 v73, v129
	s_waitcnt lgkmcnt(1)
	v_mul_f64 v[40:41], v[122:123], v[74:75]
	v_mul_f64 v[42:43], v[120:121], v[74:75]
	s_waitcnt lgkmcnt(0)
	v_mul_f64 v[44:45], v[132:133], v[74:75]
	v_mul_f64 v[46:47], v[130:131], v[74:75]
	s_delay_alu instid0(VALU_DEP_4) | instskip(NEXT) | instid1(VALU_DEP_4)
	v_fma_f64 v[40:41], v[120:121], v[128:129], -v[40:41]
	v_fma_f64 v[42:43], v[122:123], v[128:129], v[42:43]
	s_delay_alu instid0(VALU_DEP_4) | instskip(NEXT) | instid1(VALU_DEP_4)
	v_fma_f64 v[44:45], v[130:131], v[128:129], -v[44:45]
	v_fma_f64 v[46:47], v[132:133], v[128:129], v[46:47]
	ds_load_2addr_b64 v[120:123], v144 offset0:14 offset1:15
	ds_load_2addr_b64 v[130:133], v144 offset0:16 offset1:17
	s_waitcnt lgkmcnt(1)
	v_mul_f64 v[92:93], v[122:123], v[74:75]
	v_mul_f64 v[94:95], v[120:121], v[74:75]
	s_waitcnt lgkmcnt(0)
	v_mul_f64 v[104:105], v[132:133], v[74:75]
	v_mul_f64 v[106:107], v[130:131], v[74:75]
	v_add_f64 v[233:234], v[233:234], -v[44:45]
	v_add_f64 v[235:236], v[235:236], -v[46:47]
	v_fma_f64 v[92:93], v[120:121], v[128:129], -v[92:93]
	v_fma_f64 v[94:95], v[122:123], v[128:129], v[94:95]
	v_fma_f64 v[104:105], v[130:131], v[128:129], -v[104:105]
	v_fma_f64 v[106:107], v[132:133], v[128:129], v[106:107]
	ds_load_2addr_b64 v[120:123], v144 offset0:18 offset1:19
	ds_load_2addr_b64 v[130:133], v144 offset0:20 offset1:21
	s_waitcnt lgkmcnt(1)
	v_mul_f64 v[108:109], v[122:123], v[74:75]
	v_mul_f64 v[110:111], v[120:121], v[74:75]
	s_waitcnt lgkmcnt(0)
	v_mul_f64 v[112:113], v[132:133], v[74:75]
	v_mul_f64 v[114:115], v[130:131], v[74:75]
	v_add_f64 v[68:69], v[68:69], -v[92:93]
	v_add_f64 v[70:71], v[70:71], -v[94:95]
	;; [unrolled: 1-line block ×4, first 2 shown]
	v_fma_f64 v[108:109], v[120:121], v[128:129], -v[108:109]
	v_fma_f64 v[110:111], v[122:123], v[128:129], v[110:111]
	v_fma_f64 v[112:113], v[130:131], v[128:129], -v[112:113]
	v_fma_f64 v[114:115], v[132:133], v[128:129], v[114:115]
	ds_load_2addr_b64 v[120:123], v144 offset0:22 offset1:23
	ds_load_2addr_b64 v[130:133], v144 offset0:24 offset1:25
	s_waitcnt lgkmcnt(1)
	v_mul_f64 v[116:117], v[122:123], v[74:75]
	v_mul_f64 v[118:119], v[120:121], v[74:75]
	v_add_f64 v[225:226], v[225:226], -v[108:109]
	v_add_f64 v[227:228], v[227:228], -v[110:111]
	;; [unrolled: 1-line block ×4, first 2 shown]
	v_fma_f64 v[116:117], v[120:121], v[128:129], -v[116:117]
	s_waitcnt lgkmcnt(0)
	v_mul_f64 v[120:121], v[132:133], v[74:75]
	v_fma_f64 v[118:119], v[122:123], v[128:129], v[118:119]
	s_delay_alu instid0(VALU_DEP_3) | instskip(NEXT) | instid1(VALU_DEP_3)
	v_add_f64 v[237:238], v[237:238], -v[116:117]
	v_fma_f64 v[124:125], v[130:131], v[128:129], -v[120:121]
	v_mul_f64 v[120:121], v[130:131], v[74:75]
	s_delay_alu instid0(VALU_DEP_4) | instskip(NEXT) | instid1(VALU_DEP_3)
	v_add_f64 v[239:240], v[239:240], -v[118:119]
	v_add_f64 v[249:250], v[249:250], -v[124:125]
	s_delay_alu instid0(VALU_DEP_3)
	v_fma_f64 v[126:127], v[132:133], v[128:129], v[120:121]
	ds_load_2addr_b64 v[120:123], v144 offset0:26 offset1:27
	ds_load_2addr_b64 v[130:133], v144 offset0:28 offset1:29
	s_waitcnt lgkmcnt(1)
	v_mul_f64 v[134:135], v[122:123], v[74:75]
	v_add_f64 v[251:252], v[251:252], -v[126:127]
	s_delay_alu instid0(VALU_DEP_2) | instskip(SKIP_1) | instid1(VALU_DEP_2)
	v_fma_f64 v[134:135], v[120:121], v[128:129], -v[134:135]
	v_mul_f64 v[120:121], v[120:121], v[74:75]
	v_add_f64 v[245:246], v[245:246], -v[134:135]
	s_delay_alu instid0(VALU_DEP_2) | instskip(SKIP_2) | instid1(VALU_DEP_2)
	v_fma_f64 v[136:137], v[122:123], v[128:129], v[120:121]
	s_waitcnt lgkmcnt(0)
	v_mul_f64 v[120:121], v[132:133], v[74:75]
	v_add_f64 v[247:248], v[247:248], -v[136:137]
	s_delay_alu instid0(VALU_DEP_2) | instskip(SKIP_1) | instid1(VALU_DEP_2)
	v_fma_f64 v[138:139], v[130:131], v[128:129], -v[120:121]
	v_mul_f64 v[120:121], v[130:131], v[74:75]
	v_add_f64 v[76:77], v[76:77], -v[138:139]
	s_delay_alu instid0(VALU_DEP_2)
	v_fma_f64 v[147:148], v[132:133], v[128:129], v[120:121]
	ds_load_2addr_b64 v[120:123], v144 offset0:30 offset1:31
	ds_load_2addr_b64 v[130:133], v144 offset0:32 offset1:33
	s_waitcnt lgkmcnt(1)
	v_mul_f64 v[149:150], v[122:123], v[74:75]
	v_add_f64 v[78:79], v[78:79], -v[147:148]
	s_delay_alu instid0(VALU_DEP_2) | instskip(SKIP_1) | instid1(VALU_DEP_2)
	v_fma_f64 v[149:150], v[120:121], v[128:129], -v[149:150]
	v_mul_f64 v[120:121], v[120:121], v[74:75]
	v_add_f64 v[64:65], v[64:65], -v[149:150]
	s_delay_alu instid0(VALU_DEP_2) | instskip(SKIP_2) | instid1(VALU_DEP_2)
	v_fma_f64 v[151:152], v[122:123], v[128:129], v[120:121]
	s_waitcnt lgkmcnt(0)
	v_mul_f64 v[120:121], v[132:133], v[74:75]
	v_add_f64 v[66:67], v[66:67], -v[151:152]
	s_delay_alu instid0(VALU_DEP_2) | instskip(SKIP_1) | instid1(VALU_DEP_2)
	v_fma_f64 v[153:154], v[130:131], v[128:129], -v[120:121]
	v_mul_f64 v[120:121], v[130:131], v[74:75]
	v_add_f64 v[241:242], v[241:242], -v[153:154]
	s_delay_alu instid0(VALU_DEP_2)
	;; [unrolled: 20-line block ×7, first 2 shown]
	v_fma_f64 v[195:196], v[132:133], v[128:129], v[120:121]
	ds_load_2addr_b64 v[120:123], v144 offset0:54 offset1:55
	ds_load_2addr_b64 v[130:133], v144 offset0:56 offset1:57
	scratch_load_b128 v[4:7], off, off      ; 16-byte Folded Reload
	s_waitcnt lgkmcnt(1)
	v_mul_f64 v[197:198], v[122:123], v[74:75]
	v_add_f64 v[14:15], v[14:15], -v[195:196]
	s_delay_alu instid0(VALU_DEP_2) | instskip(SKIP_1) | instid1(VALU_DEP_2)
	v_fma_f64 v[197:198], v[120:121], v[128:129], -v[197:198]
	v_mul_f64 v[120:121], v[120:121], v[74:75]
	v_add_f64 v[8:9], v[8:9], -v[197:198]
	s_delay_alu instid0(VALU_DEP_2) | instskip(SKIP_2) | instid1(VALU_DEP_2)
	v_fma_f64 v[199:200], v[122:123], v[128:129], v[120:121]
	s_waitcnt lgkmcnt(0)
	v_mul_f64 v[120:121], v[132:133], v[74:75]
	v_add_f64 v[10:11], v[10:11], -v[199:200]
	s_delay_alu instid0(VALU_DEP_2) | instskip(SKIP_1) | instid1(VALU_DEP_2)
	v_fma_f64 v[201:202], v[130:131], v[128:129], -v[120:121]
	v_mul_f64 v[120:121], v[130:131], v[74:75]
	v_add_f64 v[219:220], v[219:220], -v[201:202]
	s_delay_alu instid0(VALU_DEP_2) | instskip(SKIP_4) | instid1(VALU_DEP_2)
	v_fma_f64 v[130:131], v[132:133], v[128:129], v[120:121]
	ds_load_2addr_b64 v[120:123], v144 offset0:58 offset1:59
	s_waitcnt lgkmcnt(0)
	v_mul_f64 v[132:133], v[122:123], v[74:75]
	v_add_f64 v[221:222], v[221:222], -v[130:131]
	v_fma_f64 v[132:133], v[120:121], v[128:129], -v[132:133]
	v_mul_f64 v[120:121], v[120:121], v[74:75]
	s_delay_alu instid0(VALU_DEP_2) | instskip(NEXT) | instid1(VALU_DEP_2)
	v_add_f64 v[0:1], v[0:1], -v[132:133]
	v_fma_f64 v[120:121], v[122:123], v[128:129], v[120:121]
	s_delay_alu instid0(VALU_DEP_1)
	v_add_f64 v[2:3], v[2:3], -v[120:121]
	s_waitcnt vmcnt(0)
	v_add_f64 v[4:5], v[4:5], -v[40:41]
	v_add_f64 v[6:7], v[6:7], -v[42:43]
	scratch_store_b128 off, v[4:7], off     ; 16-byte Folded Spill
.LBB58_104:
	s_or_b32 exec_lo, exec_lo, s2
	s_waitcnt_vscnt null, 0x0
	s_barrier
	buffer_gl0_inv
	scratch_load_b128 v[4:7], off, off      ; 16-byte Folded Reload
	v_lshl_add_u32 v40, v146, 4, v144
	v_mov_b32_e32 v128, 5
	s_cmp_lt_i32 s5, 7
	s_waitcnt vmcnt(0)
	ds_store_2addr_b64 v40, v[4:5], v[6:7] offset1:1
	s_waitcnt lgkmcnt(0)
	s_barrier
	buffer_gl0_inv
	ds_load_2addr_b64 v[120:123], v144 offset0:10 offset1:11
	s_cbranch_scc1 .LBB58_107
; %bb.105:
	v_add3_u32 v129, v80, 0, 0x60
	v_mov_b32_e32 v128, 5
	s_mov_b32 s6, 6
	s_set_inst_prefetch_distance 0x1
	.p2align	6
.LBB58_106:                             ; =>This Inner Loop Header: Depth=1
	ds_load_2addr_b64 v[130:133], v129 offset1:1
	s_waitcnt lgkmcnt(1)
	v_cmp_gt_f64_e32 vcc_lo, 0, v[120:121]
	v_xor_b32_e32 v40, 0x80000000, v121
	v_cmp_gt_f64_e64 s2, 0, v[122:123]
	v_xor_b32_e32 v42, 0x80000000, v123
	v_add_nc_u32_e32 v129, 16, v129
	s_waitcnt lgkmcnt(0)
	v_cmp_gt_f64_e64 s3, 0, v[130:131]
	v_mov_b32_e32 v44, v130
	v_dual_mov_b32 v46, v132 :: v_dual_cndmask_b32 v41, v121, v40
	v_xor_b32_e32 v40, 0x80000000, v131
	v_cndmask_b32_e64 v43, v123, v42, s2
	v_xor_b32_e32 v42, 0x80000000, v133
	s_delay_alu instid0(VALU_DEP_3) | instskip(SKIP_2) | instid1(VALU_DEP_2)
	v_cndmask_b32_e64 v45, v131, v40, s3
	v_cmp_gt_f64_e64 s3, 0, v[132:133]
	v_cndmask_b32_e32 v40, v120, v120, vcc_lo
	v_cndmask_b32_e64 v47, v133, v42, s3
	v_cndmask_b32_e64 v42, v122, v122, s2
	s_delay_alu instid0(VALU_DEP_2) | instskip(NEXT) | instid1(VALU_DEP_2)
	v_add_f64 v[44:45], v[44:45], v[46:47]
	v_add_f64 v[40:41], v[40:41], v[42:43]
	s_delay_alu instid0(VALU_DEP_1)
	v_cmp_lt_f64_e32 vcc_lo, v[40:41], v[44:45]
	v_cndmask_b32_e32 v123, v123, v133, vcc_lo
	v_dual_cndmask_b32 v121, v121, v131 :: v_dual_cndmask_b32 v120, v120, v130
	v_cndmask_b32_e32 v122, v122, v132, vcc_lo
	v_cndmask_b32_e64 v128, v128, s6, vcc_lo
	s_add_i32 s6, s6, 1
	s_delay_alu instid0(SALU_CYCLE_1)
	s_cmp_lg_u32 s5, s6
	s_cbranch_scc1 .LBB58_106
.LBB58_107:
	s_set_inst_prefetch_distance 0x2
	s_waitcnt lgkmcnt(0)
	v_cmp_eq_f64_e32 vcc_lo, 0, v[120:121]
	v_cmp_eq_f64_e64 s2, 0, v[122:123]
	s_delay_alu instid0(VALU_DEP_1) | instskip(NEXT) | instid1(SALU_CYCLE_1)
	s_and_b32 s2, vcc_lo, s2
	s_and_saveexec_b32 s3, s2
	s_delay_alu instid0(SALU_CYCLE_1)
	s_xor_b32 s2, exec_lo, s3
; %bb.108:
	v_cmp_ne_u32_e32 vcc_lo, 0, v83
	v_cndmask_b32_e32 v83, 6, v83, vcc_lo
; %bb.109:
	s_and_not1_saveexec_b32 s3, s2
	s_cbranch_execz .LBB58_115
; %bb.110:
	v_cmp_gt_f64_e32 vcc_lo, 0, v[120:121]
	v_cmp_gt_f64_e64 s2, 0, v[122:123]
	v_xor_b32_e32 v40, 0x80000000, v121
	v_xor_b32_e32 v42, 0x80000000, v123
	s_delay_alu instid0(VALU_DEP_2) | instskip(NEXT) | instid1(VALU_DEP_2)
	v_cndmask_b32_e32 v41, v121, v40, vcc_lo
	v_cndmask_b32_e64 v43, v123, v42, s2
	v_cndmask_b32_e32 v40, v120, v120, vcc_lo
	v_cndmask_b32_e64 v42, v122, v122, s2
	s_mov_b32 s2, exec_lo
	s_delay_alu instid0(VALU_DEP_1)
	v_cmpx_ngt_f64_e32 v[40:41], v[42:43]
	s_xor_b32 s2, exec_lo, s2
	s_cbranch_execz .LBB58_112
; %bb.111:
	v_div_scale_f64 v[40:41], null, v[122:123], v[122:123], v[120:121]
	v_div_scale_f64 v[46:47], vcc_lo, v[120:121], v[122:123], v[120:121]
	s_delay_alu instid0(VALU_DEP_2) | instskip(SKIP_2) | instid1(VALU_DEP_1)
	v_rcp_f64_e32 v[42:43], v[40:41]
	s_waitcnt_depctr 0xfff
	v_fma_f64 v[44:45], -v[40:41], v[42:43], 1.0
	v_fma_f64 v[42:43], v[42:43], v[44:45], v[42:43]
	s_delay_alu instid0(VALU_DEP_1) | instskip(NEXT) | instid1(VALU_DEP_1)
	v_fma_f64 v[44:45], -v[40:41], v[42:43], 1.0
	v_fma_f64 v[42:43], v[42:43], v[44:45], v[42:43]
	s_delay_alu instid0(VALU_DEP_1) | instskip(NEXT) | instid1(VALU_DEP_1)
	v_mul_f64 v[44:45], v[46:47], v[42:43]
	v_fma_f64 v[40:41], -v[40:41], v[44:45], v[46:47]
	s_delay_alu instid0(VALU_DEP_1) | instskip(NEXT) | instid1(VALU_DEP_1)
	v_div_fmas_f64 v[40:41], v[40:41], v[42:43], v[44:45]
	v_div_fixup_f64 v[40:41], v[40:41], v[122:123], v[120:121]
	s_delay_alu instid0(VALU_DEP_1) | instskip(NEXT) | instid1(VALU_DEP_1)
	v_fma_f64 v[42:43], v[120:121], v[40:41], v[122:123]
	v_div_scale_f64 v[44:45], null, v[42:43], v[42:43], 1.0
	s_delay_alu instid0(VALU_DEP_1) | instskip(SKIP_2) | instid1(VALU_DEP_1)
	v_rcp_f64_e32 v[46:47], v[44:45]
	s_waitcnt_depctr 0xfff
	v_fma_f64 v[92:93], -v[44:45], v[46:47], 1.0
	v_fma_f64 v[46:47], v[46:47], v[92:93], v[46:47]
	s_delay_alu instid0(VALU_DEP_1) | instskip(NEXT) | instid1(VALU_DEP_1)
	v_fma_f64 v[92:93], -v[44:45], v[46:47], 1.0
	v_fma_f64 v[46:47], v[46:47], v[92:93], v[46:47]
	v_div_scale_f64 v[92:93], vcc_lo, 1.0, v[42:43], 1.0
	s_delay_alu instid0(VALU_DEP_1) | instskip(NEXT) | instid1(VALU_DEP_1)
	v_mul_f64 v[94:95], v[92:93], v[46:47]
	v_fma_f64 v[44:45], -v[44:45], v[94:95], v[92:93]
	s_delay_alu instid0(VALU_DEP_1) | instskip(NEXT) | instid1(VALU_DEP_1)
	v_div_fmas_f64 v[44:45], v[44:45], v[46:47], v[94:95]
	v_div_fixup_f64 v[122:123], v[44:45], v[42:43], 1.0
	s_delay_alu instid0(VALU_DEP_1)
	v_mul_f64 v[120:121], v[40:41], v[122:123]
	v_xor_b32_e32 v123, 0x80000000, v123
.LBB58_112:
	s_and_not1_saveexec_b32 s2, s2
	s_cbranch_execz .LBB58_114
; %bb.113:
	s_delay_alu instid0(VALU_DEP_1) | instskip(SKIP_1) | instid1(VALU_DEP_2)
	v_div_scale_f64 v[40:41], null, v[120:121], v[120:121], v[122:123]
	v_div_scale_f64 v[46:47], vcc_lo, v[122:123], v[120:121], v[122:123]
	v_rcp_f64_e32 v[42:43], v[40:41]
	s_waitcnt_depctr 0xfff
	v_fma_f64 v[44:45], -v[40:41], v[42:43], 1.0
	s_delay_alu instid0(VALU_DEP_1) | instskip(NEXT) | instid1(VALU_DEP_1)
	v_fma_f64 v[42:43], v[42:43], v[44:45], v[42:43]
	v_fma_f64 v[44:45], -v[40:41], v[42:43], 1.0
	s_delay_alu instid0(VALU_DEP_1) | instskip(NEXT) | instid1(VALU_DEP_1)
	v_fma_f64 v[42:43], v[42:43], v[44:45], v[42:43]
	v_mul_f64 v[44:45], v[46:47], v[42:43]
	s_delay_alu instid0(VALU_DEP_1) | instskip(NEXT) | instid1(VALU_DEP_1)
	v_fma_f64 v[40:41], -v[40:41], v[44:45], v[46:47]
	v_div_fmas_f64 v[40:41], v[40:41], v[42:43], v[44:45]
	s_delay_alu instid0(VALU_DEP_1) | instskip(NEXT) | instid1(VALU_DEP_1)
	v_div_fixup_f64 v[40:41], v[40:41], v[120:121], v[122:123]
	v_fma_f64 v[42:43], v[122:123], v[40:41], v[120:121]
	s_delay_alu instid0(VALU_DEP_1) | instskip(NEXT) | instid1(VALU_DEP_1)
	v_div_scale_f64 v[44:45], null, v[42:43], v[42:43], 1.0
	v_rcp_f64_e32 v[46:47], v[44:45]
	s_waitcnt_depctr 0xfff
	v_fma_f64 v[92:93], -v[44:45], v[46:47], 1.0
	s_delay_alu instid0(VALU_DEP_1) | instskip(NEXT) | instid1(VALU_DEP_1)
	v_fma_f64 v[46:47], v[46:47], v[92:93], v[46:47]
	v_fma_f64 v[92:93], -v[44:45], v[46:47], 1.0
	s_delay_alu instid0(VALU_DEP_1) | instskip(SKIP_1) | instid1(VALU_DEP_1)
	v_fma_f64 v[46:47], v[46:47], v[92:93], v[46:47]
	v_div_scale_f64 v[92:93], vcc_lo, 1.0, v[42:43], 1.0
	v_mul_f64 v[94:95], v[92:93], v[46:47]
	s_delay_alu instid0(VALU_DEP_1) | instskip(NEXT) | instid1(VALU_DEP_1)
	v_fma_f64 v[44:45], -v[44:45], v[94:95], v[92:93]
	v_div_fmas_f64 v[44:45], v[44:45], v[46:47], v[94:95]
	s_delay_alu instid0(VALU_DEP_1) | instskip(NEXT) | instid1(VALU_DEP_1)
	v_div_fixup_f64 v[120:121], v[44:45], v[42:43], 1.0
	v_mul_f64 v[122:123], v[40:41], -v[120:121]
.LBB58_114:
	s_or_b32 exec_lo, exec_lo, s2
.LBB58_115:
	s_delay_alu instid0(SALU_CYCLE_1) | instskip(NEXT) | instid1(SALU_CYCLE_1)
	s_or_b32 exec_lo, exec_lo, s3
	s_mov_b32 s2, exec_lo
	v_cmpx_ne_u32_e64 v146, v128
	s_xor_b32 s2, exec_lo, s2
	s_cbranch_execz .LBB58_121
; %bb.116:
	s_mov_b32 s3, exec_lo
	v_cmpx_eq_u32_e32 5, v146
	s_cbranch_execz .LBB58_120
; %bb.117:
	v_cmp_ne_u32_e32 vcc_lo, 5, v128
	s_xor_b32 s6, s4, -1
	s_delay_alu instid0(SALU_CYCLE_1) | instskip(NEXT) | instid1(SALU_CYCLE_1)
	s_and_b32 s7, s6, vcc_lo
	s_and_saveexec_b32 s6, s7
	s_cbranch_execz .LBB58_119
; %bb.118:
	v_ashrrev_i32_e32 v129, 31, v128
	s_delay_alu instid0(VALU_DEP_1) | instskip(NEXT) | instid1(VALU_DEP_1)
	v_lshlrev_b64 v[40:41], 2, v[128:129]
	v_add_co_u32 v40, vcc_lo, v253, v40
	s_delay_alu instid0(VALU_DEP_2)
	v_add_co_ci_u32_e32 v41, vcc_lo, v254, v41, vcc_lo
	s_clause 0x1
	flat_load_b32 v42, v[40:41]
	flat_load_b32 v43, v[253:254] offset:20
	s_waitcnt vmcnt(1) lgkmcnt(1)
	flat_store_b32 v[253:254], v42 offset:20
	s_waitcnt vmcnt(0) lgkmcnt(1)
	flat_store_b32 v[40:41], v43
.LBB58_119:
	s_or_b32 exec_lo, exec_lo, s6
	v_mov_b32_e32 v146, v128
	v_mov_b32_e32 v82, v128
.LBB58_120:
	s_or_b32 exec_lo, exec_lo, s3
.LBB58_121:
	s_and_not1_saveexec_b32 s2, s2
	s_cbranch_execz .LBB58_123
; %bb.122:
	v_mov_b32_e32 v146, 5
	ds_store_2addr_b64 v144, v[233:234], v[235:236] offset0:12 offset1:13
	ds_store_2addr_b64 v144, v[68:69], v[70:71] offset0:14 offset1:15
	;; [unrolled: 1-line block ×24, first 2 shown]
.LBB58_123:
	s_or_b32 exec_lo, exec_lo, s2
	s_delay_alu instid0(SALU_CYCLE_1)
	s_mov_b32 s2, exec_lo
	s_waitcnt lgkmcnt(0)
	s_waitcnt_vscnt null, 0x0
	s_barrier
	buffer_gl0_inv
	v_cmpx_lt_i32_e32 5, v146
	s_cbranch_execz .LBB58_125
; %bb.124:
	scratch_load_b128 v[4:7], off, off      ; 16-byte Folded Reload
	s_waitcnt vmcnt(0)
	v_mul_f64 v[42:43], v[120:121], v[6:7]
	v_mul_f64 v[40:41], v[122:123], v[6:7]
	s_delay_alu instid0(VALU_DEP_2) | instskip(NEXT) | instid1(VALU_DEP_2)
	v_fma_f64 v[6:7], v[122:123], v[4:5], v[42:43]
	v_fma_f64 v[40:41], v[120:121], v[4:5], -v[40:41]
	ds_load_2addr_b64 v[120:123], v144 offset0:12 offset1:13
	ds_load_2addr_b64 v[128:131], v144 offset0:14 offset1:15
	s_waitcnt lgkmcnt(1)
	v_mul_f64 v[42:43], v[122:123], v[6:7]
	v_mul_f64 v[44:45], v[120:121], v[6:7]
	s_waitcnt lgkmcnt(0)
	v_mul_f64 v[46:47], v[130:131], v[6:7]
	v_mul_f64 v[92:93], v[128:129], v[6:7]
	v_dual_mov_b32 v4, v40 :: v_dual_mov_b32 v5, v41
	v_fma_f64 v[42:43], v[120:121], v[40:41], -v[42:43]
	v_fma_f64 v[44:45], v[122:123], v[40:41], v[44:45]
	v_fma_f64 v[46:47], v[128:129], v[40:41], -v[46:47]
	v_fma_f64 v[92:93], v[130:131], v[40:41], v[92:93]
	ds_load_2addr_b64 v[120:123], v144 offset0:16 offset1:17
	ds_load_2addr_b64 v[128:131], v144 offset0:18 offset1:19
	s_waitcnt lgkmcnt(1)
	v_mul_f64 v[94:95], v[122:123], v[6:7]
	v_mul_f64 v[104:105], v[120:121], v[6:7]
	s_waitcnt lgkmcnt(0)
	v_mul_f64 v[106:107], v[130:131], v[6:7]
	v_mul_f64 v[108:109], v[128:129], v[6:7]
	v_add_f64 v[233:234], v[233:234], -v[42:43]
	v_add_f64 v[235:236], v[235:236], -v[44:45]
	;; [unrolled: 1-line block ×4, first 2 shown]
	v_fma_f64 v[94:95], v[120:121], v[40:41], -v[94:95]
	v_fma_f64 v[104:105], v[122:123], v[40:41], v[104:105]
	v_fma_f64 v[106:107], v[128:129], v[40:41], -v[106:107]
	v_fma_f64 v[108:109], v[130:131], v[40:41], v[108:109]
	ds_load_2addr_b64 v[120:123], v144 offset0:20 offset1:21
	ds_load_2addr_b64 v[128:131], v144 offset0:22 offset1:23
	s_waitcnt lgkmcnt(1)
	v_mul_f64 v[110:111], v[122:123], v[6:7]
	v_mul_f64 v[112:113], v[120:121], v[6:7]
	s_waitcnt lgkmcnt(0)
	v_mul_f64 v[114:115], v[130:131], v[6:7]
	v_mul_f64 v[116:117], v[128:129], v[6:7]
	v_add_f64 v[88:89], v[88:89], -v[94:95]
	v_add_f64 v[90:91], v[90:91], -v[104:105]
	;; [unrolled: 1-line block ×4, first 2 shown]
	v_fma_f64 v[110:111], v[120:121], v[40:41], -v[110:111]
	v_fma_f64 v[112:113], v[122:123], v[40:41], v[112:113]
	v_fma_f64 v[114:115], v[128:129], v[40:41], -v[114:115]
	v_fma_f64 v[116:117], v[130:131], v[40:41], v[116:117]
	ds_load_2addr_b64 v[120:123], v144 offset0:24 offset1:25
	ds_load_2addr_b64 v[128:131], v144 offset0:26 offset1:27
	s_waitcnt lgkmcnt(1)
	v_mul_f64 v[118:119], v[122:123], v[6:7]
	v_add_f64 v[229:230], v[229:230], -v[110:111]
	v_add_f64 v[231:232], v[231:232], -v[112:113]
	;; [unrolled: 1-line block ×4, first 2 shown]
	v_fma_f64 v[118:119], v[120:121], v[40:41], -v[118:119]
	v_mul_f64 v[120:121], v[120:121], v[6:7]
	s_delay_alu instid0(VALU_DEP_2) | instskip(NEXT) | instid1(VALU_DEP_2)
	v_add_f64 v[249:250], v[249:250], -v[118:119]
	v_fma_f64 v[124:125], v[122:123], v[40:41], v[120:121]
	s_waitcnt lgkmcnt(0)
	v_mul_f64 v[120:121], v[130:131], v[6:7]
	s_delay_alu instid0(VALU_DEP_2) | instskip(NEXT) | instid1(VALU_DEP_2)
	v_add_f64 v[251:252], v[251:252], -v[124:125]
	v_fma_f64 v[126:127], v[128:129], v[40:41], -v[120:121]
	v_mul_f64 v[120:121], v[128:129], v[6:7]
	s_delay_alu instid0(VALU_DEP_2) | instskip(NEXT) | instid1(VALU_DEP_2)
	v_add_f64 v[245:246], v[245:246], -v[126:127]
	v_fma_f64 v[132:133], v[130:131], v[40:41], v[120:121]
	ds_load_2addr_b64 v[120:123], v144 offset0:28 offset1:29
	ds_load_2addr_b64 v[128:131], v144 offset0:30 offset1:31
	s_waitcnt lgkmcnt(1)
	v_mul_f64 v[134:135], v[122:123], v[6:7]
	v_add_f64 v[247:248], v[247:248], -v[132:133]
	s_delay_alu instid0(VALU_DEP_2) | instskip(SKIP_1) | instid1(VALU_DEP_2)
	v_fma_f64 v[134:135], v[120:121], v[40:41], -v[134:135]
	v_mul_f64 v[120:121], v[120:121], v[6:7]
	v_add_f64 v[76:77], v[76:77], -v[134:135]
	s_delay_alu instid0(VALU_DEP_2) | instskip(SKIP_2) | instid1(VALU_DEP_2)
	v_fma_f64 v[136:137], v[122:123], v[40:41], v[120:121]
	s_waitcnt lgkmcnt(0)
	v_mul_f64 v[120:121], v[130:131], v[6:7]
	v_add_f64 v[78:79], v[78:79], -v[136:137]
	s_delay_alu instid0(VALU_DEP_2) | instskip(SKIP_1) | instid1(VALU_DEP_2)
	v_fma_f64 v[138:139], v[128:129], v[40:41], -v[120:121]
	v_mul_f64 v[120:121], v[128:129], v[6:7]
	v_add_f64 v[64:65], v[64:65], -v[138:139]
	s_delay_alu instid0(VALU_DEP_2)
	v_fma_f64 v[147:148], v[130:131], v[40:41], v[120:121]
	ds_load_2addr_b64 v[120:123], v144 offset0:32 offset1:33
	ds_load_2addr_b64 v[128:131], v144 offset0:34 offset1:35
	s_waitcnt lgkmcnt(1)
	v_mul_f64 v[149:150], v[122:123], v[6:7]
	v_add_f64 v[66:67], v[66:67], -v[147:148]
	s_delay_alu instid0(VALU_DEP_2) | instskip(SKIP_1) | instid1(VALU_DEP_2)
	v_fma_f64 v[149:150], v[120:121], v[40:41], -v[149:150]
	v_mul_f64 v[120:121], v[120:121], v[6:7]
	v_add_f64 v[241:242], v[241:242], -v[149:150]
	s_delay_alu instid0(VALU_DEP_2) | instskip(SKIP_2) | instid1(VALU_DEP_2)
	v_fma_f64 v[151:152], v[122:123], v[40:41], v[120:121]
	s_waitcnt lgkmcnt(0)
	v_mul_f64 v[120:121], v[130:131], v[6:7]
	v_add_f64 v[243:244], v[243:244], -v[151:152]
	s_delay_alu instid0(VALU_DEP_2) | instskip(SKIP_1) | instid1(VALU_DEP_2)
	v_fma_f64 v[153:154], v[128:129], v[40:41], -v[120:121]
	v_mul_f64 v[120:121], v[128:129], v[6:7]
	v_add_f64 v[56:57], v[56:57], -v[153:154]
	s_delay_alu instid0(VALU_DEP_2)
	;; [unrolled: 20-line block ×7, first 2 shown]
	v_fma_f64 v[195:196], v[130:131], v[40:41], v[120:121]
	ds_load_2addr_b64 v[120:123], v144 offset0:56 offset1:57
	ds_load_2addr_b64 v[128:131], v144 offset0:58 offset1:59
	scratch_store_b128 off, v[4:7], off     ; 16-byte Folded Spill
	s_waitcnt lgkmcnt(1)
	v_mul_f64 v[197:198], v[122:123], v[6:7]
	v_add_f64 v[10:11], v[10:11], -v[195:196]
	s_delay_alu instid0(VALU_DEP_2) | instskip(SKIP_1) | instid1(VALU_DEP_2)
	v_fma_f64 v[197:198], v[120:121], v[40:41], -v[197:198]
	v_mul_f64 v[120:121], v[120:121], v[6:7]
	v_add_f64 v[219:220], v[219:220], -v[197:198]
	s_delay_alu instid0(VALU_DEP_2) | instskip(SKIP_2) | instid1(VALU_DEP_2)
	v_fma_f64 v[120:121], v[122:123], v[40:41], v[120:121]
	s_waitcnt lgkmcnt(0)
	v_mul_f64 v[122:123], v[130:131], v[6:7]
	v_add_f64 v[221:222], v[221:222], -v[120:121]
	s_delay_alu instid0(VALU_DEP_2) | instskip(SKIP_1) | instid1(VALU_DEP_2)
	v_fma_f64 v[122:123], v[128:129], v[40:41], -v[122:123]
	v_mul_f64 v[128:129], v[128:129], v[6:7]
	v_add_f64 v[0:1], v[0:1], -v[122:123]
	s_delay_alu instid0(VALU_DEP_2) | instskip(NEXT) | instid1(VALU_DEP_1)
	v_fma_f64 v[128:129], v[130:131], v[40:41], v[128:129]
	v_add_f64 v[2:3], v[2:3], -v[128:129]
.LBB58_125:
	s_or_b32 exec_lo, exec_lo, s2
	v_lshl_add_u32 v40, v146, 4, v144
	s_waitcnt_vscnt null, 0x0
	s_barrier
	buffer_gl0_inv
	v_mov_b32_e32 v128, 6
	ds_store_2addr_b64 v40, v[233:234], v[235:236] offset1:1
	s_waitcnt lgkmcnt(0)
	s_barrier
	buffer_gl0_inv
	ds_load_2addr_b64 v[120:123], v144 offset0:12 offset1:13
	s_cmp_lt_i32 s5, 8
	s_cbranch_scc1 .LBB58_128
; %bb.126:
	v_add3_u32 v129, v80, 0, 0x70
	v_mov_b32_e32 v128, 6
	s_mov_b32 s6, 7
	s_set_inst_prefetch_distance 0x1
	.p2align	6
.LBB58_127:                             ; =>This Inner Loop Header: Depth=1
	ds_load_2addr_b64 v[130:133], v129 offset1:1
	s_waitcnt lgkmcnt(1)
	v_cmp_gt_f64_e32 vcc_lo, 0, v[120:121]
	v_xor_b32_e32 v40, 0x80000000, v121
	v_cmp_gt_f64_e64 s2, 0, v[122:123]
	v_xor_b32_e32 v42, 0x80000000, v123
	v_add_nc_u32_e32 v129, 16, v129
	s_waitcnt lgkmcnt(0)
	v_cmp_gt_f64_e64 s3, 0, v[130:131]
	v_mov_b32_e32 v44, v130
	v_dual_mov_b32 v46, v132 :: v_dual_cndmask_b32 v41, v121, v40
	v_xor_b32_e32 v40, 0x80000000, v131
	v_cndmask_b32_e64 v43, v123, v42, s2
	v_xor_b32_e32 v42, 0x80000000, v133
	s_delay_alu instid0(VALU_DEP_3) | instskip(SKIP_2) | instid1(VALU_DEP_2)
	v_cndmask_b32_e64 v45, v131, v40, s3
	v_cmp_gt_f64_e64 s3, 0, v[132:133]
	v_cndmask_b32_e32 v40, v120, v120, vcc_lo
	v_cndmask_b32_e64 v47, v133, v42, s3
	v_cndmask_b32_e64 v42, v122, v122, s2
	s_delay_alu instid0(VALU_DEP_2) | instskip(NEXT) | instid1(VALU_DEP_2)
	v_add_f64 v[44:45], v[44:45], v[46:47]
	v_add_f64 v[40:41], v[40:41], v[42:43]
	s_delay_alu instid0(VALU_DEP_1)
	v_cmp_lt_f64_e32 vcc_lo, v[40:41], v[44:45]
	v_cndmask_b32_e32 v123, v123, v133, vcc_lo
	v_dual_cndmask_b32 v121, v121, v131 :: v_dual_cndmask_b32 v120, v120, v130
	v_cndmask_b32_e32 v122, v122, v132, vcc_lo
	v_cndmask_b32_e64 v128, v128, s6, vcc_lo
	s_add_i32 s6, s6, 1
	s_delay_alu instid0(SALU_CYCLE_1)
	s_cmp_lg_u32 s5, s6
	s_cbranch_scc1 .LBB58_127
.LBB58_128:
	s_set_inst_prefetch_distance 0x2
	s_waitcnt lgkmcnt(0)
	v_cmp_eq_f64_e32 vcc_lo, 0, v[120:121]
	v_cmp_eq_f64_e64 s2, 0, v[122:123]
	s_delay_alu instid0(VALU_DEP_1) | instskip(NEXT) | instid1(SALU_CYCLE_1)
	s_and_b32 s2, vcc_lo, s2
	s_and_saveexec_b32 s3, s2
	s_delay_alu instid0(SALU_CYCLE_1)
	s_xor_b32 s2, exec_lo, s3
; %bb.129:
	v_cmp_ne_u32_e32 vcc_lo, 0, v83
	v_cndmask_b32_e32 v83, 7, v83, vcc_lo
; %bb.130:
	s_and_not1_saveexec_b32 s3, s2
	s_cbranch_execz .LBB58_136
; %bb.131:
	v_cmp_gt_f64_e32 vcc_lo, 0, v[120:121]
	v_cmp_gt_f64_e64 s2, 0, v[122:123]
	v_xor_b32_e32 v40, 0x80000000, v121
	v_xor_b32_e32 v42, 0x80000000, v123
	s_delay_alu instid0(VALU_DEP_2) | instskip(NEXT) | instid1(VALU_DEP_2)
	v_cndmask_b32_e32 v41, v121, v40, vcc_lo
	v_cndmask_b32_e64 v43, v123, v42, s2
	v_cndmask_b32_e32 v40, v120, v120, vcc_lo
	v_cndmask_b32_e64 v42, v122, v122, s2
	s_mov_b32 s2, exec_lo
	s_delay_alu instid0(VALU_DEP_1)
	v_cmpx_ngt_f64_e32 v[40:41], v[42:43]
	s_xor_b32 s2, exec_lo, s2
	s_cbranch_execz .LBB58_133
; %bb.132:
	v_div_scale_f64 v[40:41], null, v[122:123], v[122:123], v[120:121]
	v_div_scale_f64 v[46:47], vcc_lo, v[120:121], v[122:123], v[120:121]
	s_delay_alu instid0(VALU_DEP_2) | instskip(SKIP_2) | instid1(VALU_DEP_1)
	v_rcp_f64_e32 v[42:43], v[40:41]
	s_waitcnt_depctr 0xfff
	v_fma_f64 v[44:45], -v[40:41], v[42:43], 1.0
	v_fma_f64 v[42:43], v[42:43], v[44:45], v[42:43]
	s_delay_alu instid0(VALU_DEP_1) | instskip(NEXT) | instid1(VALU_DEP_1)
	v_fma_f64 v[44:45], -v[40:41], v[42:43], 1.0
	v_fma_f64 v[42:43], v[42:43], v[44:45], v[42:43]
	s_delay_alu instid0(VALU_DEP_1) | instskip(NEXT) | instid1(VALU_DEP_1)
	v_mul_f64 v[44:45], v[46:47], v[42:43]
	v_fma_f64 v[40:41], -v[40:41], v[44:45], v[46:47]
	s_delay_alu instid0(VALU_DEP_1) | instskip(NEXT) | instid1(VALU_DEP_1)
	v_div_fmas_f64 v[40:41], v[40:41], v[42:43], v[44:45]
	v_div_fixup_f64 v[40:41], v[40:41], v[122:123], v[120:121]
	s_delay_alu instid0(VALU_DEP_1) | instskip(NEXT) | instid1(VALU_DEP_1)
	v_fma_f64 v[42:43], v[120:121], v[40:41], v[122:123]
	v_div_scale_f64 v[44:45], null, v[42:43], v[42:43], 1.0
	s_delay_alu instid0(VALU_DEP_1) | instskip(SKIP_2) | instid1(VALU_DEP_1)
	v_rcp_f64_e32 v[46:47], v[44:45]
	s_waitcnt_depctr 0xfff
	v_fma_f64 v[92:93], -v[44:45], v[46:47], 1.0
	v_fma_f64 v[46:47], v[46:47], v[92:93], v[46:47]
	s_delay_alu instid0(VALU_DEP_1) | instskip(NEXT) | instid1(VALU_DEP_1)
	v_fma_f64 v[92:93], -v[44:45], v[46:47], 1.0
	v_fma_f64 v[46:47], v[46:47], v[92:93], v[46:47]
	v_div_scale_f64 v[92:93], vcc_lo, 1.0, v[42:43], 1.0
	s_delay_alu instid0(VALU_DEP_1) | instskip(NEXT) | instid1(VALU_DEP_1)
	v_mul_f64 v[94:95], v[92:93], v[46:47]
	v_fma_f64 v[44:45], -v[44:45], v[94:95], v[92:93]
	s_delay_alu instid0(VALU_DEP_1) | instskip(NEXT) | instid1(VALU_DEP_1)
	v_div_fmas_f64 v[44:45], v[44:45], v[46:47], v[94:95]
	v_div_fixup_f64 v[122:123], v[44:45], v[42:43], 1.0
	s_delay_alu instid0(VALU_DEP_1)
	v_mul_f64 v[120:121], v[40:41], v[122:123]
	v_xor_b32_e32 v123, 0x80000000, v123
.LBB58_133:
	s_and_not1_saveexec_b32 s2, s2
	s_cbranch_execz .LBB58_135
; %bb.134:
	s_delay_alu instid0(VALU_DEP_1) | instskip(SKIP_1) | instid1(VALU_DEP_2)
	v_div_scale_f64 v[40:41], null, v[120:121], v[120:121], v[122:123]
	v_div_scale_f64 v[46:47], vcc_lo, v[122:123], v[120:121], v[122:123]
	v_rcp_f64_e32 v[42:43], v[40:41]
	s_waitcnt_depctr 0xfff
	v_fma_f64 v[44:45], -v[40:41], v[42:43], 1.0
	s_delay_alu instid0(VALU_DEP_1) | instskip(NEXT) | instid1(VALU_DEP_1)
	v_fma_f64 v[42:43], v[42:43], v[44:45], v[42:43]
	v_fma_f64 v[44:45], -v[40:41], v[42:43], 1.0
	s_delay_alu instid0(VALU_DEP_1) | instskip(NEXT) | instid1(VALU_DEP_1)
	v_fma_f64 v[42:43], v[42:43], v[44:45], v[42:43]
	v_mul_f64 v[44:45], v[46:47], v[42:43]
	s_delay_alu instid0(VALU_DEP_1) | instskip(NEXT) | instid1(VALU_DEP_1)
	v_fma_f64 v[40:41], -v[40:41], v[44:45], v[46:47]
	v_div_fmas_f64 v[40:41], v[40:41], v[42:43], v[44:45]
	s_delay_alu instid0(VALU_DEP_1) | instskip(NEXT) | instid1(VALU_DEP_1)
	v_div_fixup_f64 v[40:41], v[40:41], v[120:121], v[122:123]
	v_fma_f64 v[42:43], v[122:123], v[40:41], v[120:121]
	s_delay_alu instid0(VALU_DEP_1) | instskip(NEXT) | instid1(VALU_DEP_1)
	v_div_scale_f64 v[44:45], null, v[42:43], v[42:43], 1.0
	v_rcp_f64_e32 v[46:47], v[44:45]
	s_waitcnt_depctr 0xfff
	v_fma_f64 v[92:93], -v[44:45], v[46:47], 1.0
	s_delay_alu instid0(VALU_DEP_1) | instskip(NEXT) | instid1(VALU_DEP_1)
	v_fma_f64 v[46:47], v[46:47], v[92:93], v[46:47]
	v_fma_f64 v[92:93], -v[44:45], v[46:47], 1.0
	s_delay_alu instid0(VALU_DEP_1) | instskip(SKIP_1) | instid1(VALU_DEP_1)
	v_fma_f64 v[46:47], v[46:47], v[92:93], v[46:47]
	v_div_scale_f64 v[92:93], vcc_lo, 1.0, v[42:43], 1.0
	v_mul_f64 v[94:95], v[92:93], v[46:47]
	s_delay_alu instid0(VALU_DEP_1) | instskip(NEXT) | instid1(VALU_DEP_1)
	v_fma_f64 v[44:45], -v[44:45], v[94:95], v[92:93]
	v_div_fmas_f64 v[44:45], v[44:45], v[46:47], v[94:95]
	s_delay_alu instid0(VALU_DEP_1) | instskip(NEXT) | instid1(VALU_DEP_1)
	v_div_fixup_f64 v[120:121], v[44:45], v[42:43], 1.0
	v_mul_f64 v[122:123], v[40:41], -v[120:121]
.LBB58_135:
	s_or_b32 exec_lo, exec_lo, s2
.LBB58_136:
	s_delay_alu instid0(SALU_CYCLE_1) | instskip(NEXT) | instid1(SALU_CYCLE_1)
	s_or_b32 exec_lo, exec_lo, s3
	s_mov_b32 s2, exec_lo
	v_cmpx_ne_u32_e64 v146, v128
	s_xor_b32 s2, exec_lo, s2
	s_cbranch_execz .LBB58_142
; %bb.137:
	s_mov_b32 s3, exec_lo
	v_cmpx_eq_u32_e32 6, v146
	s_cbranch_execz .LBB58_141
; %bb.138:
	v_cmp_ne_u32_e32 vcc_lo, 6, v128
	s_xor_b32 s6, s4, -1
	s_delay_alu instid0(SALU_CYCLE_1) | instskip(NEXT) | instid1(SALU_CYCLE_1)
	s_and_b32 s7, s6, vcc_lo
	s_and_saveexec_b32 s6, s7
	s_cbranch_execz .LBB58_140
; %bb.139:
	v_ashrrev_i32_e32 v129, 31, v128
	s_delay_alu instid0(VALU_DEP_1) | instskip(NEXT) | instid1(VALU_DEP_1)
	v_lshlrev_b64 v[40:41], 2, v[128:129]
	v_add_co_u32 v40, vcc_lo, v253, v40
	s_delay_alu instid0(VALU_DEP_2)
	v_add_co_ci_u32_e32 v41, vcc_lo, v254, v41, vcc_lo
	s_clause 0x1
	flat_load_b32 v42, v[40:41]
	flat_load_b32 v43, v[253:254] offset:24
	s_waitcnt vmcnt(1) lgkmcnt(1)
	flat_store_b32 v[253:254], v42 offset:24
	s_waitcnt vmcnt(0) lgkmcnt(1)
	flat_store_b32 v[40:41], v43
.LBB58_140:
	s_or_b32 exec_lo, exec_lo, s6
	v_mov_b32_e32 v146, v128
	v_mov_b32_e32 v82, v128
.LBB58_141:
	s_or_b32 exec_lo, exec_lo, s3
.LBB58_142:
	s_and_not1_saveexec_b32 s2, s2
	s_cbranch_execz .LBB58_144
; %bb.143:
	v_mov_b32_e32 v146, 6
	ds_store_2addr_b64 v144, v[68:69], v[70:71] offset0:14 offset1:15
	ds_store_2addr_b64 v144, v[88:89], v[90:91] offset0:16 offset1:17
	;; [unrolled: 1-line block ×23, first 2 shown]
.LBB58_144:
	s_or_b32 exec_lo, exec_lo, s2
	s_delay_alu instid0(SALU_CYCLE_1)
	s_mov_b32 s2, exec_lo
	s_waitcnt lgkmcnt(0)
	s_waitcnt_vscnt null, 0x0
	s_barrier
	buffer_gl0_inv
	v_cmpx_lt_i32_e32 6, v146
	s_cbranch_execz .LBB58_146
; %bb.145:
	v_mul_f64 v[42:43], v[120:121], v[235:236]
	v_mul_f64 v[40:41], v[122:123], v[235:236]
	s_delay_alu instid0(VALU_DEP_2) | instskip(NEXT) | instid1(VALU_DEP_2)
	v_fma_f64 v[235:236], v[122:123], v[233:234], v[42:43]
	v_fma_f64 v[40:41], v[120:121], v[233:234], -v[40:41]
	ds_load_2addr_b64 v[120:123], v144 offset0:14 offset1:15
	ds_load_2addr_b64 v[128:131], v144 offset0:16 offset1:17
	s_waitcnt lgkmcnt(1)
	v_mul_f64 v[42:43], v[122:123], v[235:236]
	v_mul_f64 v[44:45], v[120:121], v[235:236]
	s_waitcnt lgkmcnt(0)
	v_mul_f64 v[46:47], v[130:131], v[235:236]
	v_mul_f64 v[92:93], v[128:129], v[235:236]
	v_dual_mov_b32 v234, v41 :: v_dual_mov_b32 v233, v40
	v_fma_f64 v[42:43], v[120:121], v[40:41], -v[42:43]
	v_fma_f64 v[44:45], v[122:123], v[40:41], v[44:45]
	v_fma_f64 v[46:47], v[128:129], v[40:41], -v[46:47]
	v_fma_f64 v[92:93], v[130:131], v[40:41], v[92:93]
	ds_load_2addr_b64 v[120:123], v144 offset0:18 offset1:19
	ds_load_2addr_b64 v[128:131], v144 offset0:20 offset1:21
	s_waitcnt lgkmcnt(1)
	v_mul_f64 v[94:95], v[122:123], v[235:236]
	v_mul_f64 v[104:105], v[120:121], v[235:236]
	s_waitcnt lgkmcnt(0)
	v_mul_f64 v[106:107], v[130:131], v[235:236]
	v_mul_f64 v[108:109], v[128:129], v[235:236]
	v_add_f64 v[68:69], v[68:69], -v[42:43]
	v_add_f64 v[70:71], v[70:71], -v[44:45]
	;; [unrolled: 1-line block ×4, first 2 shown]
	v_fma_f64 v[94:95], v[120:121], v[40:41], -v[94:95]
	v_fma_f64 v[104:105], v[122:123], v[40:41], v[104:105]
	v_fma_f64 v[106:107], v[128:129], v[40:41], -v[106:107]
	v_fma_f64 v[108:109], v[130:131], v[40:41], v[108:109]
	ds_load_2addr_b64 v[120:123], v144 offset0:22 offset1:23
	ds_load_2addr_b64 v[128:131], v144 offset0:24 offset1:25
	s_waitcnt lgkmcnt(1)
	v_mul_f64 v[110:111], v[122:123], v[235:236]
	v_mul_f64 v[112:113], v[120:121], v[235:236]
	s_waitcnt lgkmcnt(0)
	v_mul_f64 v[114:115], v[130:131], v[235:236]
	v_mul_f64 v[116:117], v[128:129], v[235:236]
	v_add_f64 v[225:226], v[225:226], -v[94:95]
	v_add_f64 v[227:228], v[227:228], -v[104:105]
	;; [unrolled: 1-line block ×4, first 2 shown]
	v_fma_f64 v[110:111], v[120:121], v[40:41], -v[110:111]
	v_fma_f64 v[112:113], v[122:123], v[40:41], v[112:113]
	v_fma_f64 v[114:115], v[128:129], v[40:41], -v[114:115]
	v_fma_f64 v[116:117], v[130:131], v[40:41], v[116:117]
	ds_load_2addr_b64 v[120:123], v144 offset0:26 offset1:27
	ds_load_2addr_b64 v[128:131], v144 offset0:28 offset1:29
	s_waitcnt lgkmcnt(1)
	v_mul_f64 v[118:119], v[122:123], v[235:236]
	v_add_f64 v[237:238], v[237:238], -v[110:111]
	v_add_f64 v[239:240], v[239:240], -v[112:113]
	;; [unrolled: 1-line block ×4, first 2 shown]
	v_fma_f64 v[118:119], v[120:121], v[40:41], -v[118:119]
	v_mul_f64 v[120:121], v[120:121], v[235:236]
	s_delay_alu instid0(VALU_DEP_2) | instskip(NEXT) | instid1(VALU_DEP_2)
	v_add_f64 v[245:246], v[245:246], -v[118:119]
	v_fma_f64 v[124:125], v[122:123], v[40:41], v[120:121]
	s_waitcnt lgkmcnt(0)
	v_mul_f64 v[120:121], v[130:131], v[235:236]
	s_delay_alu instid0(VALU_DEP_2) | instskip(NEXT) | instid1(VALU_DEP_2)
	v_add_f64 v[247:248], v[247:248], -v[124:125]
	v_fma_f64 v[126:127], v[128:129], v[40:41], -v[120:121]
	v_mul_f64 v[120:121], v[128:129], v[235:236]
	s_delay_alu instid0(VALU_DEP_2) | instskip(NEXT) | instid1(VALU_DEP_2)
	v_add_f64 v[76:77], v[76:77], -v[126:127]
	v_fma_f64 v[132:133], v[130:131], v[40:41], v[120:121]
	ds_load_2addr_b64 v[120:123], v144 offset0:30 offset1:31
	ds_load_2addr_b64 v[128:131], v144 offset0:32 offset1:33
	s_waitcnt lgkmcnt(1)
	v_mul_f64 v[134:135], v[122:123], v[235:236]
	v_add_f64 v[78:79], v[78:79], -v[132:133]
	s_delay_alu instid0(VALU_DEP_2) | instskip(SKIP_1) | instid1(VALU_DEP_2)
	v_fma_f64 v[134:135], v[120:121], v[40:41], -v[134:135]
	v_mul_f64 v[120:121], v[120:121], v[235:236]
	v_add_f64 v[64:65], v[64:65], -v[134:135]
	s_delay_alu instid0(VALU_DEP_2) | instskip(SKIP_2) | instid1(VALU_DEP_2)
	v_fma_f64 v[136:137], v[122:123], v[40:41], v[120:121]
	s_waitcnt lgkmcnt(0)
	v_mul_f64 v[120:121], v[130:131], v[235:236]
	v_add_f64 v[66:67], v[66:67], -v[136:137]
	s_delay_alu instid0(VALU_DEP_2) | instskip(SKIP_1) | instid1(VALU_DEP_2)
	v_fma_f64 v[138:139], v[128:129], v[40:41], -v[120:121]
	v_mul_f64 v[120:121], v[128:129], v[235:236]
	v_add_f64 v[241:242], v[241:242], -v[138:139]
	s_delay_alu instid0(VALU_DEP_2)
	v_fma_f64 v[147:148], v[130:131], v[40:41], v[120:121]
	ds_load_2addr_b64 v[120:123], v144 offset0:34 offset1:35
	ds_load_2addr_b64 v[128:131], v144 offset0:36 offset1:37
	s_waitcnt lgkmcnt(1)
	v_mul_f64 v[149:150], v[122:123], v[235:236]
	v_add_f64 v[243:244], v[243:244], -v[147:148]
	s_delay_alu instid0(VALU_DEP_2) | instskip(SKIP_1) | instid1(VALU_DEP_2)
	v_fma_f64 v[149:150], v[120:121], v[40:41], -v[149:150]
	v_mul_f64 v[120:121], v[120:121], v[235:236]
	v_add_f64 v[56:57], v[56:57], -v[149:150]
	s_delay_alu instid0(VALU_DEP_2) | instskip(SKIP_2) | instid1(VALU_DEP_2)
	v_fma_f64 v[151:152], v[122:123], v[40:41], v[120:121]
	s_waitcnt lgkmcnt(0)
	v_mul_f64 v[120:121], v[130:131], v[235:236]
	v_add_f64 v[58:59], v[58:59], -v[151:152]
	s_delay_alu instid0(VALU_DEP_2) | instskip(SKIP_1) | instid1(VALU_DEP_2)
	v_fma_f64 v[153:154], v[128:129], v[40:41], -v[120:121]
	v_mul_f64 v[120:121], v[128:129], v[235:236]
	v_add_f64 v[52:53], v[52:53], -v[153:154]
	s_delay_alu instid0(VALU_DEP_2)
	;; [unrolled: 20-line block ×6, first 2 shown]
	v_fma_f64 v[187:188], v[130:131], v[40:41], v[120:121]
	ds_load_2addr_b64 v[120:123], v144 offset0:54 offset1:55
	ds_load_2addr_b64 v[128:131], v144 offset0:56 offset1:57
	s_waitcnt lgkmcnt(1)
	v_mul_f64 v[189:190], v[122:123], v[235:236]
	v_add_f64 v[14:15], v[14:15], -v[187:188]
	s_delay_alu instid0(VALU_DEP_2) | instskip(SKIP_1) | instid1(VALU_DEP_2)
	v_fma_f64 v[189:190], v[120:121], v[40:41], -v[189:190]
	v_mul_f64 v[120:121], v[120:121], v[235:236]
	v_add_f64 v[8:9], v[8:9], -v[189:190]
	s_delay_alu instid0(VALU_DEP_2) | instskip(SKIP_2) | instid1(VALU_DEP_2)
	v_fma_f64 v[191:192], v[122:123], v[40:41], v[120:121]
	s_waitcnt lgkmcnt(0)
	v_mul_f64 v[120:121], v[130:131], v[235:236]
	v_add_f64 v[10:11], v[10:11], -v[191:192]
	s_delay_alu instid0(VALU_DEP_2) | instskip(SKIP_1) | instid1(VALU_DEP_2)
	v_fma_f64 v[193:194], v[128:129], v[40:41], -v[120:121]
	v_mul_f64 v[120:121], v[128:129], v[235:236]
	v_add_f64 v[219:220], v[219:220], -v[193:194]
	s_delay_alu instid0(VALU_DEP_2) | instskip(SKIP_4) | instid1(VALU_DEP_2)
	v_fma_f64 v[128:129], v[130:131], v[40:41], v[120:121]
	ds_load_2addr_b64 v[120:123], v144 offset0:58 offset1:59
	s_waitcnt lgkmcnt(0)
	v_mul_f64 v[130:131], v[122:123], v[235:236]
	v_add_f64 v[221:222], v[221:222], -v[128:129]
	v_fma_f64 v[130:131], v[120:121], v[40:41], -v[130:131]
	v_mul_f64 v[120:121], v[120:121], v[235:236]
	s_delay_alu instid0(VALU_DEP_2) | instskip(NEXT) | instid1(VALU_DEP_2)
	v_add_f64 v[0:1], v[0:1], -v[130:131]
	v_fma_f64 v[120:121], v[122:123], v[40:41], v[120:121]
	s_delay_alu instid0(VALU_DEP_1)
	v_add_f64 v[2:3], v[2:3], -v[120:121]
.LBB58_146:
	s_or_b32 exec_lo, exec_lo, s2
	v_lshl_add_u32 v40, v146, 4, v144
	s_barrier
	buffer_gl0_inv
	v_mov_b32_e32 v128, 7
	ds_store_2addr_b64 v40, v[68:69], v[70:71] offset1:1
	s_waitcnt lgkmcnt(0)
	s_barrier
	buffer_gl0_inv
	ds_load_2addr_b64 v[120:123], v144 offset0:14 offset1:15
	s_cmp_lt_i32 s5, 9
	s_cbranch_scc1 .LBB58_149
; %bb.147:
	v_add3_u32 v129, v80, 0, 0x80
	v_mov_b32_e32 v128, 7
	s_mov_b32 s6, 8
	s_set_inst_prefetch_distance 0x1
	.p2align	6
.LBB58_148:                             ; =>This Inner Loop Header: Depth=1
	ds_load_2addr_b64 v[130:133], v129 offset1:1
	s_waitcnt lgkmcnt(1)
	v_cmp_gt_f64_e32 vcc_lo, 0, v[120:121]
	v_xor_b32_e32 v40, 0x80000000, v121
	v_cmp_gt_f64_e64 s2, 0, v[122:123]
	v_xor_b32_e32 v42, 0x80000000, v123
	v_add_nc_u32_e32 v129, 16, v129
	s_waitcnt lgkmcnt(0)
	v_cmp_gt_f64_e64 s3, 0, v[130:131]
	v_mov_b32_e32 v44, v130
	v_dual_mov_b32 v46, v132 :: v_dual_cndmask_b32 v41, v121, v40
	v_xor_b32_e32 v40, 0x80000000, v131
	v_cndmask_b32_e64 v43, v123, v42, s2
	v_xor_b32_e32 v42, 0x80000000, v133
	s_delay_alu instid0(VALU_DEP_3) | instskip(SKIP_2) | instid1(VALU_DEP_2)
	v_cndmask_b32_e64 v45, v131, v40, s3
	v_cmp_gt_f64_e64 s3, 0, v[132:133]
	v_cndmask_b32_e32 v40, v120, v120, vcc_lo
	v_cndmask_b32_e64 v47, v133, v42, s3
	v_cndmask_b32_e64 v42, v122, v122, s2
	s_delay_alu instid0(VALU_DEP_2) | instskip(NEXT) | instid1(VALU_DEP_2)
	v_add_f64 v[44:45], v[44:45], v[46:47]
	v_add_f64 v[40:41], v[40:41], v[42:43]
	s_delay_alu instid0(VALU_DEP_1)
	v_cmp_lt_f64_e32 vcc_lo, v[40:41], v[44:45]
	v_cndmask_b32_e32 v123, v123, v133, vcc_lo
	v_dual_cndmask_b32 v121, v121, v131 :: v_dual_cndmask_b32 v120, v120, v130
	v_cndmask_b32_e32 v122, v122, v132, vcc_lo
	v_cndmask_b32_e64 v128, v128, s6, vcc_lo
	s_add_i32 s6, s6, 1
	s_delay_alu instid0(SALU_CYCLE_1)
	s_cmp_lg_u32 s5, s6
	s_cbranch_scc1 .LBB58_148
.LBB58_149:
	s_set_inst_prefetch_distance 0x2
	s_waitcnt lgkmcnt(0)
	v_cmp_eq_f64_e32 vcc_lo, 0, v[120:121]
	v_cmp_eq_f64_e64 s2, 0, v[122:123]
	s_delay_alu instid0(VALU_DEP_1) | instskip(NEXT) | instid1(SALU_CYCLE_1)
	s_and_b32 s2, vcc_lo, s2
	s_and_saveexec_b32 s3, s2
	s_delay_alu instid0(SALU_CYCLE_1)
	s_xor_b32 s2, exec_lo, s3
; %bb.150:
	v_cmp_ne_u32_e32 vcc_lo, 0, v83
	v_cndmask_b32_e32 v83, 8, v83, vcc_lo
; %bb.151:
	s_and_not1_saveexec_b32 s3, s2
	s_cbranch_execz .LBB58_157
; %bb.152:
	v_cmp_gt_f64_e32 vcc_lo, 0, v[120:121]
	v_cmp_gt_f64_e64 s2, 0, v[122:123]
	v_xor_b32_e32 v40, 0x80000000, v121
	v_xor_b32_e32 v42, 0x80000000, v123
	s_delay_alu instid0(VALU_DEP_2) | instskip(NEXT) | instid1(VALU_DEP_2)
	v_cndmask_b32_e32 v41, v121, v40, vcc_lo
	v_cndmask_b32_e64 v43, v123, v42, s2
	v_cndmask_b32_e32 v40, v120, v120, vcc_lo
	v_cndmask_b32_e64 v42, v122, v122, s2
	s_mov_b32 s2, exec_lo
	s_delay_alu instid0(VALU_DEP_1)
	v_cmpx_ngt_f64_e32 v[40:41], v[42:43]
	s_xor_b32 s2, exec_lo, s2
	s_cbranch_execz .LBB58_154
; %bb.153:
	v_div_scale_f64 v[40:41], null, v[122:123], v[122:123], v[120:121]
	v_div_scale_f64 v[46:47], vcc_lo, v[120:121], v[122:123], v[120:121]
	s_delay_alu instid0(VALU_DEP_2) | instskip(SKIP_2) | instid1(VALU_DEP_1)
	v_rcp_f64_e32 v[42:43], v[40:41]
	s_waitcnt_depctr 0xfff
	v_fma_f64 v[44:45], -v[40:41], v[42:43], 1.0
	v_fma_f64 v[42:43], v[42:43], v[44:45], v[42:43]
	s_delay_alu instid0(VALU_DEP_1) | instskip(NEXT) | instid1(VALU_DEP_1)
	v_fma_f64 v[44:45], -v[40:41], v[42:43], 1.0
	v_fma_f64 v[42:43], v[42:43], v[44:45], v[42:43]
	s_delay_alu instid0(VALU_DEP_1) | instskip(NEXT) | instid1(VALU_DEP_1)
	v_mul_f64 v[44:45], v[46:47], v[42:43]
	v_fma_f64 v[40:41], -v[40:41], v[44:45], v[46:47]
	s_delay_alu instid0(VALU_DEP_1) | instskip(NEXT) | instid1(VALU_DEP_1)
	v_div_fmas_f64 v[40:41], v[40:41], v[42:43], v[44:45]
	v_div_fixup_f64 v[40:41], v[40:41], v[122:123], v[120:121]
	s_delay_alu instid0(VALU_DEP_1) | instskip(NEXT) | instid1(VALU_DEP_1)
	v_fma_f64 v[42:43], v[120:121], v[40:41], v[122:123]
	v_div_scale_f64 v[44:45], null, v[42:43], v[42:43], 1.0
	s_delay_alu instid0(VALU_DEP_1) | instskip(SKIP_2) | instid1(VALU_DEP_1)
	v_rcp_f64_e32 v[46:47], v[44:45]
	s_waitcnt_depctr 0xfff
	v_fma_f64 v[92:93], -v[44:45], v[46:47], 1.0
	v_fma_f64 v[46:47], v[46:47], v[92:93], v[46:47]
	s_delay_alu instid0(VALU_DEP_1) | instskip(NEXT) | instid1(VALU_DEP_1)
	v_fma_f64 v[92:93], -v[44:45], v[46:47], 1.0
	v_fma_f64 v[46:47], v[46:47], v[92:93], v[46:47]
	v_div_scale_f64 v[92:93], vcc_lo, 1.0, v[42:43], 1.0
	s_delay_alu instid0(VALU_DEP_1) | instskip(NEXT) | instid1(VALU_DEP_1)
	v_mul_f64 v[94:95], v[92:93], v[46:47]
	v_fma_f64 v[44:45], -v[44:45], v[94:95], v[92:93]
	s_delay_alu instid0(VALU_DEP_1) | instskip(NEXT) | instid1(VALU_DEP_1)
	v_div_fmas_f64 v[44:45], v[44:45], v[46:47], v[94:95]
	v_div_fixup_f64 v[122:123], v[44:45], v[42:43], 1.0
	s_delay_alu instid0(VALU_DEP_1)
	v_mul_f64 v[120:121], v[40:41], v[122:123]
	v_xor_b32_e32 v123, 0x80000000, v123
.LBB58_154:
	s_and_not1_saveexec_b32 s2, s2
	s_cbranch_execz .LBB58_156
; %bb.155:
	s_delay_alu instid0(VALU_DEP_1) | instskip(SKIP_1) | instid1(VALU_DEP_2)
	v_div_scale_f64 v[40:41], null, v[120:121], v[120:121], v[122:123]
	v_div_scale_f64 v[46:47], vcc_lo, v[122:123], v[120:121], v[122:123]
	v_rcp_f64_e32 v[42:43], v[40:41]
	s_waitcnt_depctr 0xfff
	v_fma_f64 v[44:45], -v[40:41], v[42:43], 1.0
	s_delay_alu instid0(VALU_DEP_1) | instskip(NEXT) | instid1(VALU_DEP_1)
	v_fma_f64 v[42:43], v[42:43], v[44:45], v[42:43]
	v_fma_f64 v[44:45], -v[40:41], v[42:43], 1.0
	s_delay_alu instid0(VALU_DEP_1) | instskip(NEXT) | instid1(VALU_DEP_1)
	v_fma_f64 v[42:43], v[42:43], v[44:45], v[42:43]
	v_mul_f64 v[44:45], v[46:47], v[42:43]
	s_delay_alu instid0(VALU_DEP_1) | instskip(NEXT) | instid1(VALU_DEP_1)
	v_fma_f64 v[40:41], -v[40:41], v[44:45], v[46:47]
	v_div_fmas_f64 v[40:41], v[40:41], v[42:43], v[44:45]
	s_delay_alu instid0(VALU_DEP_1) | instskip(NEXT) | instid1(VALU_DEP_1)
	v_div_fixup_f64 v[40:41], v[40:41], v[120:121], v[122:123]
	v_fma_f64 v[42:43], v[122:123], v[40:41], v[120:121]
	s_delay_alu instid0(VALU_DEP_1) | instskip(NEXT) | instid1(VALU_DEP_1)
	v_div_scale_f64 v[44:45], null, v[42:43], v[42:43], 1.0
	v_rcp_f64_e32 v[46:47], v[44:45]
	s_waitcnt_depctr 0xfff
	v_fma_f64 v[92:93], -v[44:45], v[46:47], 1.0
	s_delay_alu instid0(VALU_DEP_1) | instskip(NEXT) | instid1(VALU_DEP_1)
	v_fma_f64 v[46:47], v[46:47], v[92:93], v[46:47]
	v_fma_f64 v[92:93], -v[44:45], v[46:47], 1.0
	s_delay_alu instid0(VALU_DEP_1) | instskip(SKIP_1) | instid1(VALU_DEP_1)
	v_fma_f64 v[46:47], v[46:47], v[92:93], v[46:47]
	v_div_scale_f64 v[92:93], vcc_lo, 1.0, v[42:43], 1.0
	v_mul_f64 v[94:95], v[92:93], v[46:47]
	s_delay_alu instid0(VALU_DEP_1) | instskip(NEXT) | instid1(VALU_DEP_1)
	v_fma_f64 v[44:45], -v[44:45], v[94:95], v[92:93]
	v_div_fmas_f64 v[44:45], v[44:45], v[46:47], v[94:95]
	s_delay_alu instid0(VALU_DEP_1) | instskip(NEXT) | instid1(VALU_DEP_1)
	v_div_fixup_f64 v[120:121], v[44:45], v[42:43], 1.0
	v_mul_f64 v[122:123], v[40:41], -v[120:121]
.LBB58_156:
	s_or_b32 exec_lo, exec_lo, s2
.LBB58_157:
	s_delay_alu instid0(SALU_CYCLE_1) | instskip(NEXT) | instid1(SALU_CYCLE_1)
	s_or_b32 exec_lo, exec_lo, s3
	s_mov_b32 s2, exec_lo
	v_cmpx_ne_u32_e64 v146, v128
	s_xor_b32 s2, exec_lo, s2
	s_cbranch_execz .LBB58_163
; %bb.158:
	s_mov_b32 s3, exec_lo
	v_cmpx_eq_u32_e32 7, v146
	s_cbranch_execz .LBB58_162
; %bb.159:
	v_cmp_ne_u32_e32 vcc_lo, 7, v128
	s_xor_b32 s6, s4, -1
	s_delay_alu instid0(SALU_CYCLE_1) | instskip(NEXT) | instid1(SALU_CYCLE_1)
	s_and_b32 s7, s6, vcc_lo
	s_and_saveexec_b32 s6, s7
	s_cbranch_execz .LBB58_161
; %bb.160:
	v_ashrrev_i32_e32 v129, 31, v128
	s_delay_alu instid0(VALU_DEP_1) | instskip(NEXT) | instid1(VALU_DEP_1)
	v_lshlrev_b64 v[40:41], 2, v[128:129]
	v_add_co_u32 v40, vcc_lo, v253, v40
	s_delay_alu instid0(VALU_DEP_2)
	v_add_co_ci_u32_e32 v41, vcc_lo, v254, v41, vcc_lo
	s_clause 0x1
	flat_load_b32 v42, v[40:41]
	flat_load_b32 v43, v[253:254] offset:28
	s_waitcnt vmcnt(1) lgkmcnt(1)
	flat_store_b32 v[253:254], v42 offset:28
	s_waitcnt vmcnt(0) lgkmcnt(1)
	flat_store_b32 v[40:41], v43
.LBB58_161:
	s_or_b32 exec_lo, exec_lo, s6
	v_mov_b32_e32 v146, v128
	v_mov_b32_e32 v82, v128
.LBB58_162:
	s_or_b32 exec_lo, exec_lo, s3
.LBB58_163:
	s_and_not1_saveexec_b32 s2, s2
	s_cbranch_execz .LBB58_165
; %bb.164:
	v_mov_b32_e32 v146, 7
	ds_store_2addr_b64 v144, v[88:89], v[90:91] offset0:16 offset1:17
	ds_store_2addr_b64 v144, v[225:226], v[227:228] offset0:18 offset1:19
	;; [unrolled: 1-line block ×22, first 2 shown]
.LBB58_165:
	s_or_b32 exec_lo, exec_lo, s2
	s_delay_alu instid0(SALU_CYCLE_1)
	s_mov_b32 s2, exec_lo
	s_waitcnt lgkmcnt(0)
	s_waitcnt_vscnt null, 0x0
	s_barrier
	buffer_gl0_inv
	v_cmpx_lt_i32_e32 7, v146
	s_cbranch_execz .LBB58_167
; %bb.166:
	v_mul_f64 v[40:41], v[122:123], v[70:71]
	s_delay_alu instid0(VALU_DEP_1) | instskip(SKIP_1) | instid1(VALU_DEP_1)
	v_fma_f64 v[128:129], v[120:121], v[68:69], -v[40:41]
	v_mul_f64 v[40:41], v[120:121], v[70:71]
	v_fma_f64 v[70:71], v[122:123], v[68:69], v[40:41]
	ds_load_2addr_b64 v[120:123], v144 offset0:16 offset1:17
	ds_load_2addr_b64 v[130:133], v144 offset0:18 offset1:19
	;; [unrolled: 1-line block ×4, first 2 shown]
	v_dual_mov_b32 v68, v128 :: v_dual_mov_b32 v69, v129
	s_waitcnt lgkmcnt(3)
	v_mul_f64 v[40:41], v[122:123], v[70:71]
	s_delay_alu instid0(VALU_DEP_1) | instskip(SKIP_1) | instid1(VALU_DEP_2)
	v_fma_f64 v[4:5], v[120:121], v[128:129], -v[40:41]
	v_mul_f64 v[40:41], v[120:121], v[70:71]
	v_add_f64 v[88:89], v[88:89], -v[4:5]
	s_delay_alu instid0(VALU_DEP_2) | instskip(SKIP_2) | instid1(VALU_DEP_2)
	v_fma_f64 v[120:121], v[122:123], v[128:129], v[40:41]
	s_waitcnt lgkmcnt(2)
	v_mul_f64 v[40:41], v[132:133], v[70:71]
	v_add_f64 v[90:91], v[90:91], -v[120:121]
	s_delay_alu instid0(VALU_DEP_2) | instskip(SKIP_1) | instid1(VALU_DEP_2)
	v_fma_f64 v[122:123], v[130:131], v[128:129], -v[40:41]
	v_mul_f64 v[40:41], v[130:131], v[70:71]
	v_add_f64 v[225:226], v[225:226], -v[122:123]
	s_delay_alu instid0(VALU_DEP_2) | instskip(SKIP_2) | instid1(VALU_DEP_2)
	v_fma_f64 v[130:131], v[132:133], v[128:129], v[40:41]
	s_waitcnt lgkmcnt(1)
	v_mul_f64 v[40:41], v[136:137], v[70:71]
	v_add_f64 v[227:228], v[227:228], -v[130:131]
	s_delay_alu instid0(VALU_DEP_2) | instskip(SKIP_1) | instid1(VALU_DEP_2)
	;; [unrolled: 9-line block ×3, first 2 shown]
	v_fma_f64 v[136:137], v[147:148], v[128:129], -v[40:41]
	v_mul_f64 v[40:41], v[147:148], v[70:71]
	v_add_f64 v[237:238], v[237:238], -v[136:137]
	s_delay_alu instid0(VALU_DEP_2)
	v_fma_f64 v[138:139], v[149:150], v[128:129], v[40:41]
	ds_load_2addr_b64 v[147:150], v144 offset0:24 offset1:25
	ds_load_2addr_b64 v[151:154], v144 offset0:26 offset1:27
	s_waitcnt lgkmcnt(1)
	v_mul_f64 v[40:41], v[149:150], v[70:71]
	v_mul_f64 v[42:43], v[147:148], v[70:71]
	s_waitcnt lgkmcnt(0)
	v_mul_f64 v[44:45], v[153:154], v[70:71]
	v_mul_f64 v[46:47], v[151:152], v[70:71]
	v_add_f64 v[239:240], v[239:240], -v[138:139]
	v_fma_f64 v[40:41], v[147:148], v[128:129], -v[40:41]
	v_fma_f64 v[42:43], v[149:150], v[128:129], v[42:43]
	v_fma_f64 v[44:45], v[151:152], v[128:129], -v[44:45]
	v_fma_f64 v[46:47], v[153:154], v[128:129], v[46:47]
	ds_load_2addr_b64 v[147:150], v144 offset0:28 offset1:29
	ds_load_2addr_b64 v[151:154], v144 offset0:30 offset1:31
	s_waitcnt lgkmcnt(1)
	v_mul_f64 v[92:93], v[149:150], v[70:71]
	v_mul_f64 v[94:95], v[147:148], v[70:71]
	s_waitcnt lgkmcnt(0)
	v_mul_f64 v[104:105], v[153:154], v[70:71]
	v_mul_f64 v[106:107], v[151:152], v[70:71]
	v_add_f64 v[249:250], v[249:250], -v[40:41]
	v_add_f64 v[251:252], v[251:252], -v[42:43]
	v_add_f64 v[245:246], v[245:246], -v[44:45]
	v_add_f64 v[247:248], v[247:248], -v[46:47]
	v_fma_f64 v[92:93], v[147:148], v[128:129], -v[92:93]
	v_fma_f64 v[94:95], v[149:150], v[128:129], v[94:95]
	v_fma_f64 v[104:105], v[151:152], v[128:129], -v[104:105]
	v_fma_f64 v[106:107], v[153:154], v[128:129], v[106:107]
	ds_load_2addr_b64 v[147:150], v144 offset0:32 offset1:33
	ds_load_2addr_b64 v[151:154], v144 offset0:34 offset1:35
	s_waitcnt lgkmcnt(1)
	v_mul_f64 v[108:109], v[149:150], v[70:71]
	v_mul_f64 v[110:111], v[147:148], v[70:71]
	s_waitcnt lgkmcnt(0)
	v_mul_f64 v[112:113], v[153:154], v[70:71]
	v_mul_f64 v[114:115], v[151:152], v[70:71]
	v_add_f64 v[76:77], v[76:77], -v[92:93]
	v_add_f64 v[78:79], v[78:79], -v[94:95]
	v_add_f64 v[64:65], v[64:65], -v[104:105]
	;; [unrolled: 16-line block ×3, first 2 shown]
	v_add_f64 v[58:59], v[58:59], -v[114:115]
	v_fma_f64 v[116:117], v[147:148], v[128:129], -v[116:117]
	v_fma_f64 v[118:119], v[149:150], v[128:129], v[118:119]
	v_fma_f64 v[124:125], v[151:152], v[128:129], -v[124:125]
	v_fma_f64 v[126:127], v[153:154], v[128:129], v[126:127]
	ds_load_2addr_b64 v[147:150], v144 offset0:40 offset1:41
	ds_load_2addr_b64 v[151:154], v144 offset0:42 offset1:43
	s_waitcnt lgkmcnt(1)
	v_mul_f64 v[155:156], v[149:150], v[70:71]
	v_add_f64 v[52:53], v[52:53], -v[116:117]
	v_add_f64 v[54:55], v[54:55], -v[118:119]
	;; [unrolled: 1-line block ×4, first 2 shown]
	v_fma_f64 v[155:156], v[147:148], v[128:129], -v[155:156]
	v_mul_f64 v[147:148], v[147:148], v[70:71]
	s_delay_alu instid0(VALU_DEP_2) | instskip(NEXT) | instid1(VALU_DEP_2)
	v_add_f64 v[36:37], v[36:37], -v[155:156]
	v_fma_f64 v[157:158], v[149:150], v[128:129], v[147:148]
	s_waitcnt lgkmcnt(0)
	v_mul_f64 v[147:148], v[153:154], v[70:71]
	s_delay_alu instid0(VALU_DEP_2) | instskip(NEXT) | instid1(VALU_DEP_2)
	v_add_f64 v[38:39], v[38:39], -v[157:158]
	v_fma_f64 v[159:160], v[151:152], v[128:129], -v[147:148]
	v_mul_f64 v[147:148], v[151:152], v[70:71]
	s_delay_alu instid0(VALU_DEP_2) | instskip(NEXT) | instid1(VALU_DEP_2)
	v_add_f64 v[32:33], v[32:33], -v[159:160]
	v_fma_f64 v[161:162], v[153:154], v[128:129], v[147:148]
	ds_load_2addr_b64 v[147:150], v144 offset0:44 offset1:45
	ds_load_2addr_b64 v[151:154], v144 offset0:46 offset1:47
	s_waitcnt lgkmcnt(1)
	v_mul_f64 v[163:164], v[149:150], v[70:71]
	v_add_f64 v[34:35], v[34:35], -v[161:162]
	s_delay_alu instid0(VALU_DEP_2) | instskip(SKIP_1) | instid1(VALU_DEP_2)
	v_fma_f64 v[163:164], v[147:148], v[128:129], -v[163:164]
	v_mul_f64 v[147:148], v[147:148], v[70:71]
	v_add_f64 v[28:29], v[28:29], -v[163:164]
	s_delay_alu instid0(VALU_DEP_2) | instskip(SKIP_2) | instid1(VALU_DEP_2)
	v_fma_f64 v[165:166], v[149:150], v[128:129], v[147:148]
	s_waitcnt lgkmcnt(0)
	v_mul_f64 v[147:148], v[153:154], v[70:71]
	v_add_f64 v[30:31], v[30:31], -v[165:166]
	s_delay_alu instid0(VALU_DEP_2) | instskip(SKIP_1) | instid1(VALU_DEP_2)
	v_fma_f64 v[167:168], v[151:152], v[128:129], -v[147:148]
	v_mul_f64 v[147:148], v[151:152], v[70:71]
	v_add_f64 v[24:25], v[24:25], -v[167:168]
	s_delay_alu instid0(VALU_DEP_2)
	v_fma_f64 v[169:170], v[153:154], v[128:129], v[147:148]
	ds_load_2addr_b64 v[147:150], v144 offset0:48 offset1:49
	ds_load_2addr_b64 v[151:154], v144 offset0:50 offset1:51
	s_waitcnt lgkmcnt(1)
	v_mul_f64 v[171:172], v[149:150], v[70:71]
	v_add_f64 v[26:27], v[26:27], -v[169:170]
	s_delay_alu instid0(VALU_DEP_2) | instskip(SKIP_1) | instid1(VALU_DEP_2)
	v_fma_f64 v[171:172], v[147:148], v[128:129], -v[171:172]
	v_mul_f64 v[147:148], v[147:148], v[70:71]
	v_add_f64 v[140:141], v[140:141], -v[171:172]
	s_delay_alu instid0(VALU_DEP_2) | instskip(SKIP_2) | instid1(VALU_DEP_2)
	v_fma_f64 v[173:174], v[149:150], v[128:129], v[147:148]
	s_waitcnt lgkmcnt(0)
	v_mul_f64 v[147:148], v[153:154], v[70:71]
	v_add_f64 v[142:143], v[142:143], -v[173:174]
	s_delay_alu instid0(VALU_DEP_2) | instskip(SKIP_1) | instid1(VALU_DEP_2)
	v_fma_f64 v[175:176], v[151:152], v[128:129], -v[147:148]
	v_mul_f64 v[147:148], v[151:152], v[70:71]
	v_add_f64 v[16:17], v[16:17], -v[175:176]
	s_delay_alu instid0(VALU_DEP_2)
	;; [unrolled: 20-line block ×3, first 2 shown]
	v_fma_f64 v[185:186], v[153:154], v[128:129], v[147:148]
	ds_load_2addr_b64 v[147:150], v144 offset0:56 offset1:57
	ds_load_2addr_b64 v[151:154], v144 offset0:58 offset1:59
	s_waitcnt lgkmcnt(1)
	v_mul_f64 v[187:188], v[149:150], v[70:71]
	v_add_f64 v[10:11], v[10:11], -v[185:186]
	s_delay_alu instid0(VALU_DEP_2) | instskip(SKIP_1) | instid1(VALU_DEP_2)
	v_fma_f64 v[187:188], v[147:148], v[128:129], -v[187:188]
	v_mul_f64 v[147:148], v[147:148], v[70:71]
	v_add_f64 v[219:220], v[219:220], -v[187:188]
	s_delay_alu instid0(VALU_DEP_2) | instskip(SKIP_2) | instid1(VALU_DEP_2)
	v_fma_f64 v[147:148], v[149:150], v[128:129], v[147:148]
	s_waitcnt lgkmcnt(0)
	v_mul_f64 v[149:150], v[153:154], v[70:71]
	v_add_f64 v[221:222], v[221:222], -v[147:148]
	s_delay_alu instid0(VALU_DEP_2) | instskip(SKIP_1) | instid1(VALU_DEP_2)
	v_fma_f64 v[149:150], v[151:152], v[128:129], -v[149:150]
	v_mul_f64 v[151:152], v[151:152], v[70:71]
	v_add_f64 v[0:1], v[0:1], -v[149:150]
	s_delay_alu instid0(VALU_DEP_2) | instskip(NEXT) | instid1(VALU_DEP_1)
	v_fma_f64 v[151:152], v[153:154], v[128:129], v[151:152]
	v_add_f64 v[2:3], v[2:3], -v[151:152]
.LBB58_167:
	s_or_b32 exec_lo, exec_lo, s2
	v_lshl_add_u32 v40, v146, 4, v144
	s_barrier
	buffer_gl0_inv
	v_mov_b32_e32 v128, 8
	ds_store_2addr_b64 v40, v[88:89], v[90:91] offset1:1
	s_waitcnt lgkmcnt(0)
	s_barrier
	buffer_gl0_inv
	ds_load_2addr_b64 v[120:123], v144 offset0:16 offset1:17
	s_cmp_lt_i32 s5, 10
	s_cbranch_scc1 .LBB58_170
; %bb.168:
	v_add3_u32 v129, v80, 0, 0x90
	v_mov_b32_e32 v128, 8
	s_mov_b32 s6, 9
	s_set_inst_prefetch_distance 0x1
	.p2align	6
.LBB58_169:                             ; =>This Inner Loop Header: Depth=1
	ds_load_2addr_b64 v[130:133], v129 offset1:1
	s_waitcnt lgkmcnt(1)
	v_cmp_gt_f64_e32 vcc_lo, 0, v[120:121]
	v_xor_b32_e32 v40, 0x80000000, v121
	v_cmp_gt_f64_e64 s2, 0, v[122:123]
	v_xor_b32_e32 v42, 0x80000000, v123
	v_add_nc_u32_e32 v129, 16, v129
	s_waitcnt lgkmcnt(0)
	v_cmp_gt_f64_e64 s3, 0, v[130:131]
	v_mov_b32_e32 v44, v130
	v_dual_mov_b32 v46, v132 :: v_dual_cndmask_b32 v41, v121, v40
	v_xor_b32_e32 v40, 0x80000000, v131
	v_cndmask_b32_e64 v43, v123, v42, s2
	v_xor_b32_e32 v42, 0x80000000, v133
	s_delay_alu instid0(VALU_DEP_3) | instskip(SKIP_2) | instid1(VALU_DEP_2)
	v_cndmask_b32_e64 v45, v131, v40, s3
	v_cmp_gt_f64_e64 s3, 0, v[132:133]
	v_cndmask_b32_e32 v40, v120, v120, vcc_lo
	v_cndmask_b32_e64 v47, v133, v42, s3
	v_cndmask_b32_e64 v42, v122, v122, s2
	s_delay_alu instid0(VALU_DEP_2) | instskip(NEXT) | instid1(VALU_DEP_2)
	v_add_f64 v[44:45], v[44:45], v[46:47]
	v_add_f64 v[40:41], v[40:41], v[42:43]
	s_delay_alu instid0(VALU_DEP_1)
	v_cmp_lt_f64_e32 vcc_lo, v[40:41], v[44:45]
	v_cndmask_b32_e32 v123, v123, v133, vcc_lo
	v_dual_cndmask_b32 v121, v121, v131 :: v_dual_cndmask_b32 v120, v120, v130
	v_cndmask_b32_e32 v122, v122, v132, vcc_lo
	v_cndmask_b32_e64 v128, v128, s6, vcc_lo
	s_add_i32 s6, s6, 1
	s_delay_alu instid0(SALU_CYCLE_1)
	s_cmp_lg_u32 s5, s6
	s_cbranch_scc1 .LBB58_169
.LBB58_170:
	s_set_inst_prefetch_distance 0x2
	s_waitcnt lgkmcnt(0)
	v_cmp_eq_f64_e32 vcc_lo, 0, v[120:121]
	v_cmp_eq_f64_e64 s2, 0, v[122:123]
	s_delay_alu instid0(VALU_DEP_1) | instskip(NEXT) | instid1(SALU_CYCLE_1)
	s_and_b32 s2, vcc_lo, s2
	s_and_saveexec_b32 s3, s2
	s_delay_alu instid0(SALU_CYCLE_1)
	s_xor_b32 s2, exec_lo, s3
; %bb.171:
	v_cmp_ne_u32_e32 vcc_lo, 0, v83
	v_cndmask_b32_e32 v83, 9, v83, vcc_lo
; %bb.172:
	s_and_not1_saveexec_b32 s3, s2
	s_cbranch_execz .LBB58_178
; %bb.173:
	v_cmp_gt_f64_e32 vcc_lo, 0, v[120:121]
	v_cmp_gt_f64_e64 s2, 0, v[122:123]
	v_xor_b32_e32 v40, 0x80000000, v121
	v_xor_b32_e32 v42, 0x80000000, v123
	s_delay_alu instid0(VALU_DEP_2) | instskip(NEXT) | instid1(VALU_DEP_2)
	v_cndmask_b32_e32 v41, v121, v40, vcc_lo
	v_cndmask_b32_e64 v43, v123, v42, s2
	v_cndmask_b32_e32 v40, v120, v120, vcc_lo
	v_cndmask_b32_e64 v42, v122, v122, s2
	s_mov_b32 s2, exec_lo
	s_delay_alu instid0(VALU_DEP_1)
	v_cmpx_ngt_f64_e32 v[40:41], v[42:43]
	s_xor_b32 s2, exec_lo, s2
	s_cbranch_execz .LBB58_175
; %bb.174:
	v_div_scale_f64 v[40:41], null, v[122:123], v[122:123], v[120:121]
	v_div_scale_f64 v[46:47], vcc_lo, v[120:121], v[122:123], v[120:121]
	s_delay_alu instid0(VALU_DEP_2) | instskip(SKIP_2) | instid1(VALU_DEP_1)
	v_rcp_f64_e32 v[42:43], v[40:41]
	s_waitcnt_depctr 0xfff
	v_fma_f64 v[44:45], -v[40:41], v[42:43], 1.0
	v_fma_f64 v[42:43], v[42:43], v[44:45], v[42:43]
	s_delay_alu instid0(VALU_DEP_1) | instskip(NEXT) | instid1(VALU_DEP_1)
	v_fma_f64 v[44:45], -v[40:41], v[42:43], 1.0
	v_fma_f64 v[42:43], v[42:43], v[44:45], v[42:43]
	s_delay_alu instid0(VALU_DEP_1) | instskip(NEXT) | instid1(VALU_DEP_1)
	v_mul_f64 v[44:45], v[46:47], v[42:43]
	v_fma_f64 v[40:41], -v[40:41], v[44:45], v[46:47]
	s_delay_alu instid0(VALU_DEP_1) | instskip(NEXT) | instid1(VALU_DEP_1)
	v_div_fmas_f64 v[40:41], v[40:41], v[42:43], v[44:45]
	v_div_fixup_f64 v[40:41], v[40:41], v[122:123], v[120:121]
	s_delay_alu instid0(VALU_DEP_1) | instskip(NEXT) | instid1(VALU_DEP_1)
	v_fma_f64 v[42:43], v[120:121], v[40:41], v[122:123]
	v_div_scale_f64 v[44:45], null, v[42:43], v[42:43], 1.0
	s_delay_alu instid0(VALU_DEP_1) | instskip(SKIP_2) | instid1(VALU_DEP_1)
	v_rcp_f64_e32 v[46:47], v[44:45]
	s_waitcnt_depctr 0xfff
	v_fma_f64 v[92:93], -v[44:45], v[46:47], 1.0
	v_fma_f64 v[46:47], v[46:47], v[92:93], v[46:47]
	s_delay_alu instid0(VALU_DEP_1) | instskip(NEXT) | instid1(VALU_DEP_1)
	v_fma_f64 v[92:93], -v[44:45], v[46:47], 1.0
	v_fma_f64 v[46:47], v[46:47], v[92:93], v[46:47]
	v_div_scale_f64 v[92:93], vcc_lo, 1.0, v[42:43], 1.0
	s_delay_alu instid0(VALU_DEP_1) | instskip(NEXT) | instid1(VALU_DEP_1)
	v_mul_f64 v[94:95], v[92:93], v[46:47]
	v_fma_f64 v[44:45], -v[44:45], v[94:95], v[92:93]
	s_delay_alu instid0(VALU_DEP_1) | instskip(NEXT) | instid1(VALU_DEP_1)
	v_div_fmas_f64 v[44:45], v[44:45], v[46:47], v[94:95]
	v_div_fixup_f64 v[122:123], v[44:45], v[42:43], 1.0
	s_delay_alu instid0(VALU_DEP_1)
	v_mul_f64 v[120:121], v[40:41], v[122:123]
	v_xor_b32_e32 v123, 0x80000000, v123
.LBB58_175:
	s_and_not1_saveexec_b32 s2, s2
	s_cbranch_execz .LBB58_177
; %bb.176:
	s_delay_alu instid0(VALU_DEP_1) | instskip(SKIP_1) | instid1(VALU_DEP_2)
	v_div_scale_f64 v[40:41], null, v[120:121], v[120:121], v[122:123]
	v_div_scale_f64 v[46:47], vcc_lo, v[122:123], v[120:121], v[122:123]
	v_rcp_f64_e32 v[42:43], v[40:41]
	s_waitcnt_depctr 0xfff
	v_fma_f64 v[44:45], -v[40:41], v[42:43], 1.0
	s_delay_alu instid0(VALU_DEP_1) | instskip(NEXT) | instid1(VALU_DEP_1)
	v_fma_f64 v[42:43], v[42:43], v[44:45], v[42:43]
	v_fma_f64 v[44:45], -v[40:41], v[42:43], 1.0
	s_delay_alu instid0(VALU_DEP_1) | instskip(NEXT) | instid1(VALU_DEP_1)
	v_fma_f64 v[42:43], v[42:43], v[44:45], v[42:43]
	v_mul_f64 v[44:45], v[46:47], v[42:43]
	s_delay_alu instid0(VALU_DEP_1) | instskip(NEXT) | instid1(VALU_DEP_1)
	v_fma_f64 v[40:41], -v[40:41], v[44:45], v[46:47]
	v_div_fmas_f64 v[40:41], v[40:41], v[42:43], v[44:45]
	s_delay_alu instid0(VALU_DEP_1) | instskip(NEXT) | instid1(VALU_DEP_1)
	v_div_fixup_f64 v[40:41], v[40:41], v[120:121], v[122:123]
	v_fma_f64 v[42:43], v[122:123], v[40:41], v[120:121]
	s_delay_alu instid0(VALU_DEP_1) | instskip(NEXT) | instid1(VALU_DEP_1)
	v_div_scale_f64 v[44:45], null, v[42:43], v[42:43], 1.0
	v_rcp_f64_e32 v[46:47], v[44:45]
	s_waitcnt_depctr 0xfff
	v_fma_f64 v[92:93], -v[44:45], v[46:47], 1.0
	s_delay_alu instid0(VALU_DEP_1) | instskip(NEXT) | instid1(VALU_DEP_1)
	v_fma_f64 v[46:47], v[46:47], v[92:93], v[46:47]
	v_fma_f64 v[92:93], -v[44:45], v[46:47], 1.0
	s_delay_alu instid0(VALU_DEP_1) | instskip(SKIP_1) | instid1(VALU_DEP_1)
	v_fma_f64 v[46:47], v[46:47], v[92:93], v[46:47]
	v_div_scale_f64 v[92:93], vcc_lo, 1.0, v[42:43], 1.0
	v_mul_f64 v[94:95], v[92:93], v[46:47]
	s_delay_alu instid0(VALU_DEP_1) | instskip(NEXT) | instid1(VALU_DEP_1)
	v_fma_f64 v[44:45], -v[44:45], v[94:95], v[92:93]
	v_div_fmas_f64 v[44:45], v[44:45], v[46:47], v[94:95]
	s_delay_alu instid0(VALU_DEP_1) | instskip(NEXT) | instid1(VALU_DEP_1)
	v_div_fixup_f64 v[120:121], v[44:45], v[42:43], 1.0
	v_mul_f64 v[122:123], v[40:41], -v[120:121]
.LBB58_177:
	s_or_b32 exec_lo, exec_lo, s2
.LBB58_178:
	s_delay_alu instid0(SALU_CYCLE_1) | instskip(NEXT) | instid1(SALU_CYCLE_1)
	s_or_b32 exec_lo, exec_lo, s3
	s_mov_b32 s2, exec_lo
	v_cmpx_ne_u32_e64 v146, v128
	s_xor_b32 s2, exec_lo, s2
	s_cbranch_execz .LBB58_184
; %bb.179:
	s_mov_b32 s3, exec_lo
	v_cmpx_eq_u32_e32 8, v146
	s_cbranch_execz .LBB58_183
; %bb.180:
	v_cmp_ne_u32_e32 vcc_lo, 8, v128
	s_xor_b32 s6, s4, -1
	s_delay_alu instid0(SALU_CYCLE_1) | instskip(NEXT) | instid1(SALU_CYCLE_1)
	s_and_b32 s7, s6, vcc_lo
	s_and_saveexec_b32 s6, s7
	s_cbranch_execz .LBB58_182
; %bb.181:
	v_ashrrev_i32_e32 v129, 31, v128
	s_delay_alu instid0(VALU_DEP_1) | instskip(NEXT) | instid1(VALU_DEP_1)
	v_lshlrev_b64 v[40:41], 2, v[128:129]
	v_add_co_u32 v40, vcc_lo, v253, v40
	s_delay_alu instid0(VALU_DEP_2)
	v_add_co_ci_u32_e32 v41, vcc_lo, v254, v41, vcc_lo
	s_clause 0x1
	flat_load_b32 v42, v[40:41]
	flat_load_b32 v43, v[253:254] offset:32
	s_waitcnt vmcnt(1) lgkmcnt(1)
	flat_store_b32 v[253:254], v42 offset:32
	s_waitcnt vmcnt(0) lgkmcnt(1)
	flat_store_b32 v[40:41], v43
.LBB58_182:
	s_or_b32 exec_lo, exec_lo, s6
	v_mov_b32_e32 v146, v128
	v_mov_b32_e32 v82, v128
.LBB58_183:
	s_or_b32 exec_lo, exec_lo, s3
.LBB58_184:
	s_and_not1_saveexec_b32 s2, s2
	s_cbranch_execz .LBB58_186
; %bb.185:
	v_mov_b32_e32 v146, 8
	ds_store_2addr_b64 v144, v[225:226], v[227:228] offset0:18 offset1:19
	ds_store_2addr_b64 v144, v[229:230], v[231:232] offset0:20 offset1:21
	;; [unrolled: 1-line block ×21, first 2 shown]
.LBB58_186:
	s_or_b32 exec_lo, exec_lo, s2
	s_delay_alu instid0(SALU_CYCLE_1)
	s_mov_b32 s2, exec_lo
	s_waitcnt lgkmcnt(0)
	s_waitcnt_vscnt null, 0x0
	s_barrier
	buffer_gl0_inv
	v_cmpx_lt_i32_e32 8, v146
	s_cbranch_execz .LBB58_188
; %bb.187:
	v_mul_f64 v[40:41], v[122:123], v[90:91]
	s_delay_alu instid0(VALU_DEP_1) | instskip(SKIP_1) | instid1(VALU_DEP_1)
	v_fma_f64 v[128:129], v[120:121], v[88:89], -v[40:41]
	v_mul_f64 v[40:41], v[120:121], v[90:91]
	v_fma_f64 v[90:91], v[122:123], v[88:89], v[40:41]
	ds_load_2addr_b64 v[120:123], v144 offset0:18 offset1:19
	ds_load_2addr_b64 v[130:133], v144 offset0:20 offset1:21
	s_waitcnt lgkmcnt(1)
	v_mul_f64 v[40:41], v[122:123], v[90:91]
	s_delay_alu instid0(VALU_DEP_1) | instskip(SKIP_1) | instid1(VALU_DEP_2)
	v_fma_f64 v[88:89], v[120:121], v[128:129], -v[40:41]
	v_mul_f64 v[40:41], v[120:121], v[90:91]
	v_add_f64 v[225:226], v[225:226], -v[88:89]
	s_delay_alu instid0(VALU_DEP_2) | instskip(SKIP_3) | instid1(VALU_DEP_3)
	v_fma_f64 v[120:121], v[122:123], v[128:129], v[40:41]
	s_waitcnt lgkmcnt(0)
	v_mul_f64 v[40:41], v[132:133], v[90:91]
	v_dual_mov_b32 v88, v128 :: v_dual_mov_b32 v89, v129
	v_add_f64 v[227:228], v[227:228], -v[120:121]
	s_delay_alu instid0(VALU_DEP_3) | instskip(SKIP_1) | instid1(VALU_DEP_2)
	v_fma_f64 v[122:123], v[130:131], v[128:129], -v[40:41]
	v_mul_f64 v[40:41], v[130:131], v[90:91]
	v_add_f64 v[229:230], v[229:230], -v[122:123]
	s_delay_alu instid0(VALU_DEP_2)
	v_fma_f64 v[130:131], v[132:133], v[128:129], v[40:41]
	ds_load_2addr_b64 v[132:135], v144 offset0:22 offset1:23
	ds_load_2addr_b64 v[136:139], v144 offset0:24 offset1:25
	s_waitcnt lgkmcnt(1)
	v_mul_f64 v[40:41], v[134:135], v[90:91]
	v_mul_f64 v[42:43], v[132:133], v[90:91]
	s_waitcnt lgkmcnt(0)
	v_mul_f64 v[44:45], v[138:139], v[90:91]
	v_mul_f64 v[46:47], v[136:137], v[90:91]
	v_add_f64 v[231:232], v[231:232], -v[130:131]
	v_fma_f64 v[40:41], v[132:133], v[128:129], -v[40:41]
	v_fma_f64 v[42:43], v[134:135], v[128:129], v[42:43]
	v_fma_f64 v[44:45], v[136:137], v[128:129], -v[44:45]
	v_fma_f64 v[46:47], v[138:139], v[128:129], v[46:47]
	ds_load_2addr_b64 v[132:135], v144 offset0:26 offset1:27
	ds_load_2addr_b64 v[136:139], v144 offset0:28 offset1:29
	s_waitcnt lgkmcnt(1)
	v_mul_f64 v[92:93], v[134:135], v[90:91]
	v_mul_f64 v[94:95], v[132:133], v[90:91]
	s_waitcnt lgkmcnt(0)
	v_mul_f64 v[104:105], v[138:139], v[90:91]
	v_mul_f64 v[106:107], v[136:137], v[90:91]
	v_add_f64 v[237:238], v[237:238], -v[40:41]
	v_add_f64 v[239:240], v[239:240], -v[42:43]
	v_add_f64 v[249:250], v[249:250], -v[44:45]
	v_add_f64 v[251:252], v[251:252], -v[46:47]
	v_fma_f64 v[92:93], v[132:133], v[128:129], -v[92:93]
	v_fma_f64 v[94:95], v[134:135], v[128:129], v[94:95]
	v_fma_f64 v[104:105], v[136:137], v[128:129], -v[104:105]
	v_fma_f64 v[106:107], v[138:139], v[128:129], v[106:107]
	ds_load_2addr_b64 v[132:135], v144 offset0:30 offset1:31
	ds_load_2addr_b64 v[136:139], v144 offset0:32 offset1:33
	s_waitcnt lgkmcnt(1)
	v_mul_f64 v[108:109], v[134:135], v[90:91]
	v_mul_f64 v[110:111], v[132:133], v[90:91]
	s_waitcnt lgkmcnt(0)
	v_mul_f64 v[112:113], v[138:139], v[90:91]
	v_mul_f64 v[114:115], v[136:137], v[90:91]
	v_add_f64 v[245:246], v[245:246], -v[92:93]
	v_add_f64 v[247:248], v[247:248], -v[94:95]
	v_add_f64 v[76:77], v[76:77], -v[104:105]
	;; [unrolled: 16-line block ×3, first 2 shown]
	v_add_f64 v[243:244], v[243:244], -v[114:115]
	v_fma_f64 v[116:117], v[132:133], v[128:129], -v[116:117]
	v_fma_f64 v[118:119], v[134:135], v[128:129], v[118:119]
	v_fma_f64 v[124:125], v[136:137], v[128:129], -v[124:125]
	v_fma_f64 v[126:127], v[138:139], v[128:129], v[126:127]
	ds_load_2addr_b64 v[132:135], v144 offset0:38 offset1:39
	ds_load_2addr_b64 v[136:139], v144 offset0:40 offset1:41
	s_waitcnt lgkmcnt(1)
	v_mul_f64 v[147:148], v[134:135], v[90:91]
	v_add_f64 v[56:57], v[56:57], -v[116:117]
	v_add_f64 v[58:59], v[58:59], -v[118:119]
	;; [unrolled: 1-line block ×4, first 2 shown]
	v_fma_f64 v[147:148], v[132:133], v[128:129], -v[147:148]
	v_mul_f64 v[132:133], v[132:133], v[90:91]
	s_delay_alu instid0(VALU_DEP_2) | instskip(NEXT) | instid1(VALU_DEP_2)
	v_add_f64 v[48:49], v[48:49], -v[147:148]
	v_fma_f64 v[149:150], v[134:135], v[128:129], v[132:133]
	s_waitcnt lgkmcnt(0)
	v_mul_f64 v[132:133], v[138:139], v[90:91]
	s_delay_alu instid0(VALU_DEP_2) | instskip(NEXT) | instid1(VALU_DEP_2)
	v_add_f64 v[50:51], v[50:51], -v[149:150]
	v_fma_f64 v[151:152], v[136:137], v[128:129], -v[132:133]
	v_mul_f64 v[132:133], v[136:137], v[90:91]
	s_delay_alu instid0(VALU_DEP_2) | instskip(NEXT) | instid1(VALU_DEP_2)
	v_add_f64 v[36:37], v[36:37], -v[151:152]
	v_fma_f64 v[153:154], v[138:139], v[128:129], v[132:133]
	ds_load_2addr_b64 v[132:135], v144 offset0:42 offset1:43
	ds_load_2addr_b64 v[136:139], v144 offset0:44 offset1:45
	s_waitcnt lgkmcnt(1)
	v_mul_f64 v[155:156], v[134:135], v[90:91]
	v_add_f64 v[38:39], v[38:39], -v[153:154]
	s_delay_alu instid0(VALU_DEP_2) | instskip(SKIP_1) | instid1(VALU_DEP_2)
	v_fma_f64 v[155:156], v[132:133], v[128:129], -v[155:156]
	v_mul_f64 v[132:133], v[132:133], v[90:91]
	v_add_f64 v[32:33], v[32:33], -v[155:156]
	s_delay_alu instid0(VALU_DEP_2) | instskip(SKIP_2) | instid1(VALU_DEP_2)
	v_fma_f64 v[157:158], v[134:135], v[128:129], v[132:133]
	s_waitcnt lgkmcnt(0)
	v_mul_f64 v[132:133], v[138:139], v[90:91]
	v_add_f64 v[34:35], v[34:35], -v[157:158]
	s_delay_alu instid0(VALU_DEP_2) | instskip(SKIP_1) | instid1(VALU_DEP_2)
	v_fma_f64 v[159:160], v[136:137], v[128:129], -v[132:133]
	v_mul_f64 v[132:133], v[136:137], v[90:91]
	v_add_f64 v[28:29], v[28:29], -v[159:160]
	s_delay_alu instid0(VALU_DEP_2)
	v_fma_f64 v[161:162], v[138:139], v[128:129], v[132:133]
	ds_load_2addr_b64 v[132:135], v144 offset0:46 offset1:47
	ds_load_2addr_b64 v[136:139], v144 offset0:48 offset1:49
	s_waitcnt lgkmcnt(1)
	v_mul_f64 v[163:164], v[134:135], v[90:91]
	v_add_f64 v[30:31], v[30:31], -v[161:162]
	s_delay_alu instid0(VALU_DEP_2) | instskip(SKIP_1) | instid1(VALU_DEP_2)
	v_fma_f64 v[163:164], v[132:133], v[128:129], -v[163:164]
	v_mul_f64 v[132:133], v[132:133], v[90:91]
	v_add_f64 v[24:25], v[24:25], -v[163:164]
	s_delay_alu instid0(VALU_DEP_2) | instskip(SKIP_2) | instid1(VALU_DEP_2)
	v_fma_f64 v[165:166], v[134:135], v[128:129], v[132:133]
	s_waitcnt lgkmcnt(0)
	v_mul_f64 v[132:133], v[138:139], v[90:91]
	v_add_f64 v[26:27], v[26:27], -v[165:166]
	s_delay_alu instid0(VALU_DEP_2) | instskip(SKIP_1) | instid1(VALU_DEP_2)
	v_fma_f64 v[167:168], v[136:137], v[128:129], -v[132:133]
	v_mul_f64 v[132:133], v[136:137], v[90:91]
	v_add_f64 v[140:141], v[140:141], -v[167:168]
	s_delay_alu instid0(VALU_DEP_2)
	;; [unrolled: 20-line block ×3, first 2 shown]
	v_fma_f64 v[177:178], v[138:139], v[128:129], v[132:133]
	ds_load_2addr_b64 v[132:135], v144 offset0:54 offset1:55
	ds_load_2addr_b64 v[136:139], v144 offset0:56 offset1:57
	s_waitcnt lgkmcnt(1)
	v_mul_f64 v[179:180], v[134:135], v[90:91]
	v_add_f64 v[14:15], v[14:15], -v[177:178]
	s_delay_alu instid0(VALU_DEP_2) | instskip(SKIP_1) | instid1(VALU_DEP_2)
	v_fma_f64 v[179:180], v[132:133], v[128:129], -v[179:180]
	v_mul_f64 v[132:133], v[132:133], v[90:91]
	v_add_f64 v[8:9], v[8:9], -v[179:180]
	s_delay_alu instid0(VALU_DEP_2) | instskip(SKIP_2) | instid1(VALU_DEP_2)
	v_fma_f64 v[181:182], v[134:135], v[128:129], v[132:133]
	s_waitcnt lgkmcnt(0)
	v_mul_f64 v[132:133], v[138:139], v[90:91]
	v_add_f64 v[10:11], v[10:11], -v[181:182]
	s_delay_alu instid0(VALU_DEP_2) | instskip(SKIP_1) | instid1(VALU_DEP_2)
	v_fma_f64 v[183:184], v[136:137], v[128:129], -v[132:133]
	v_mul_f64 v[132:133], v[136:137], v[90:91]
	v_add_f64 v[219:220], v[219:220], -v[183:184]
	s_delay_alu instid0(VALU_DEP_2) | instskip(SKIP_4) | instid1(VALU_DEP_2)
	v_fma_f64 v[136:137], v[138:139], v[128:129], v[132:133]
	ds_load_2addr_b64 v[132:135], v144 offset0:58 offset1:59
	s_waitcnt lgkmcnt(0)
	v_mul_f64 v[138:139], v[134:135], v[90:91]
	v_add_f64 v[221:222], v[221:222], -v[136:137]
	v_fma_f64 v[138:139], v[132:133], v[128:129], -v[138:139]
	v_mul_f64 v[132:133], v[132:133], v[90:91]
	s_delay_alu instid0(VALU_DEP_2) | instskip(NEXT) | instid1(VALU_DEP_2)
	v_add_f64 v[0:1], v[0:1], -v[138:139]
	v_fma_f64 v[132:133], v[134:135], v[128:129], v[132:133]
	s_delay_alu instid0(VALU_DEP_1)
	v_add_f64 v[2:3], v[2:3], -v[132:133]
.LBB58_188:
	s_or_b32 exec_lo, exec_lo, s2
	v_lshl_add_u32 v40, v146, 4, v144
	s_barrier
	buffer_gl0_inv
	v_mov_b32_e32 v128, 9
	ds_store_2addr_b64 v40, v[225:226], v[227:228] offset1:1
	s_waitcnt lgkmcnt(0)
	s_barrier
	buffer_gl0_inv
	ds_load_2addr_b64 v[120:123], v144 offset0:18 offset1:19
	s_cmp_lt_i32 s5, 11
	s_cbranch_scc1 .LBB58_191
; %bb.189:
	v_add3_u32 v129, v80, 0, 0xa0
	v_mov_b32_e32 v128, 9
	s_mov_b32 s6, 10
	s_set_inst_prefetch_distance 0x1
	.p2align	6
.LBB58_190:                             ; =>This Inner Loop Header: Depth=1
	ds_load_2addr_b64 v[130:133], v129 offset1:1
	s_waitcnt lgkmcnt(1)
	v_cmp_gt_f64_e32 vcc_lo, 0, v[120:121]
	v_xor_b32_e32 v40, 0x80000000, v121
	v_cmp_gt_f64_e64 s2, 0, v[122:123]
	v_xor_b32_e32 v42, 0x80000000, v123
	v_add_nc_u32_e32 v129, 16, v129
	s_waitcnt lgkmcnt(0)
	v_cmp_gt_f64_e64 s3, 0, v[130:131]
	v_mov_b32_e32 v44, v130
	v_dual_mov_b32 v46, v132 :: v_dual_cndmask_b32 v41, v121, v40
	v_xor_b32_e32 v40, 0x80000000, v131
	v_cndmask_b32_e64 v43, v123, v42, s2
	v_xor_b32_e32 v42, 0x80000000, v133
	s_delay_alu instid0(VALU_DEP_3) | instskip(SKIP_2) | instid1(VALU_DEP_2)
	v_cndmask_b32_e64 v45, v131, v40, s3
	v_cmp_gt_f64_e64 s3, 0, v[132:133]
	v_cndmask_b32_e32 v40, v120, v120, vcc_lo
	v_cndmask_b32_e64 v47, v133, v42, s3
	v_cndmask_b32_e64 v42, v122, v122, s2
	s_delay_alu instid0(VALU_DEP_2) | instskip(NEXT) | instid1(VALU_DEP_2)
	v_add_f64 v[44:45], v[44:45], v[46:47]
	v_add_f64 v[40:41], v[40:41], v[42:43]
	s_delay_alu instid0(VALU_DEP_1)
	v_cmp_lt_f64_e32 vcc_lo, v[40:41], v[44:45]
	v_cndmask_b32_e32 v123, v123, v133, vcc_lo
	v_dual_cndmask_b32 v121, v121, v131 :: v_dual_cndmask_b32 v120, v120, v130
	v_cndmask_b32_e32 v122, v122, v132, vcc_lo
	v_cndmask_b32_e64 v128, v128, s6, vcc_lo
	s_add_i32 s6, s6, 1
	s_delay_alu instid0(SALU_CYCLE_1)
	s_cmp_lg_u32 s5, s6
	s_cbranch_scc1 .LBB58_190
.LBB58_191:
	s_set_inst_prefetch_distance 0x2
	s_waitcnt lgkmcnt(0)
	v_cmp_eq_f64_e32 vcc_lo, 0, v[120:121]
	v_cmp_eq_f64_e64 s2, 0, v[122:123]
	s_delay_alu instid0(VALU_DEP_1) | instskip(NEXT) | instid1(SALU_CYCLE_1)
	s_and_b32 s2, vcc_lo, s2
	s_and_saveexec_b32 s3, s2
	s_delay_alu instid0(SALU_CYCLE_1)
	s_xor_b32 s2, exec_lo, s3
; %bb.192:
	v_cmp_ne_u32_e32 vcc_lo, 0, v83
	v_cndmask_b32_e32 v83, 10, v83, vcc_lo
; %bb.193:
	s_and_not1_saveexec_b32 s3, s2
	s_cbranch_execz .LBB58_199
; %bb.194:
	v_cmp_gt_f64_e32 vcc_lo, 0, v[120:121]
	v_cmp_gt_f64_e64 s2, 0, v[122:123]
	v_xor_b32_e32 v40, 0x80000000, v121
	v_xor_b32_e32 v42, 0x80000000, v123
	s_delay_alu instid0(VALU_DEP_2) | instskip(NEXT) | instid1(VALU_DEP_2)
	v_cndmask_b32_e32 v41, v121, v40, vcc_lo
	v_cndmask_b32_e64 v43, v123, v42, s2
	v_cndmask_b32_e32 v40, v120, v120, vcc_lo
	v_cndmask_b32_e64 v42, v122, v122, s2
	s_mov_b32 s2, exec_lo
	s_delay_alu instid0(VALU_DEP_1)
	v_cmpx_ngt_f64_e32 v[40:41], v[42:43]
	s_xor_b32 s2, exec_lo, s2
	s_cbranch_execz .LBB58_196
; %bb.195:
	v_div_scale_f64 v[40:41], null, v[122:123], v[122:123], v[120:121]
	v_div_scale_f64 v[46:47], vcc_lo, v[120:121], v[122:123], v[120:121]
	s_delay_alu instid0(VALU_DEP_2) | instskip(SKIP_2) | instid1(VALU_DEP_1)
	v_rcp_f64_e32 v[42:43], v[40:41]
	s_waitcnt_depctr 0xfff
	v_fma_f64 v[44:45], -v[40:41], v[42:43], 1.0
	v_fma_f64 v[42:43], v[42:43], v[44:45], v[42:43]
	s_delay_alu instid0(VALU_DEP_1) | instskip(NEXT) | instid1(VALU_DEP_1)
	v_fma_f64 v[44:45], -v[40:41], v[42:43], 1.0
	v_fma_f64 v[42:43], v[42:43], v[44:45], v[42:43]
	s_delay_alu instid0(VALU_DEP_1) | instskip(NEXT) | instid1(VALU_DEP_1)
	v_mul_f64 v[44:45], v[46:47], v[42:43]
	v_fma_f64 v[40:41], -v[40:41], v[44:45], v[46:47]
	s_delay_alu instid0(VALU_DEP_1) | instskip(NEXT) | instid1(VALU_DEP_1)
	v_div_fmas_f64 v[40:41], v[40:41], v[42:43], v[44:45]
	v_div_fixup_f64 v[40:41], v[40:41], v[122:123], v[120:121]
	s_delay_alu instid0(VALU_DEP_1) | instskip(NEXT) | instid1(VALU_DEP_1)
	v_fma_f64 v[42:43], v[120:121], v[40:41], v[122:123]
	v_div_scale_f64 v[44:45], null, v[42:43], v[42:43], 1.0
	s_delay_alu instid0(VALU_DEP_1) | instskip(SKIP_2) | instid1(VALU_DEP_1)
	v_rcp_f64_e32 v[46:47], v[44:45]
	s_waitcnt_depctr 0xfff
	v_fma_f64 v[92:93], -v[44:45], v[46:47], 1.0
	v_fma_f64 v[46:47], v[46:47], v[92:93], v[46:47]
	s_delay_alu instid0(VALU_DEP_1) | instskip(NEXT) | instid1(VALU_DEP_1)
	v_fma_f64 v[92:93], -v[44:45], v[46:47], 1.0
	v_fma_f64 v[46:47], v[46:47], v[92:93], v[46:47]
	v_div_scale_f64 v[92:93], vcc_lo, 1.0, v[42:43], 1.0
	s_delay_alu instid0(VALU_DEP_1) | instskip(NEXT) | instid1(VALU_DEP_1)
	v_mul_f64 v[94:95], v[92:93], v[46:47]
	v_fma_f64 v[44:45], -v[44:45], v[94:95], v[92:93]
	s_delay_alu instid0(VALU_DEP_1) | instskip(NEXT) | instid1(VALU_DEP_1)
	v_div_fmas_f64 v[44:45], v[44:45], v[46:47], v[94:95]
	v_div_fixup_f64 v[122:123], v[44:45], v[42:43], 1.0
	s_delay_alu instid0(VALU_DEP_1)
	v_mul_f64 v[120:121], v[40:41], v[122:123]
	v_xor_b32_e32 v123, 0x80000000, v123
.LBB58_196:
	s_and_not1_saveexec_b32 s2, s2
	s_cbranch_execz .LBB58_198
; %bb.197:
	s_delay_alu instid0(VALU_DEP_1) | instskip(SKIP_1) | instid1(VALU_DEP_2)
	v_div_scale_f64 v[40:41], null, v[120:121], v[120:121], v[122:123]
	v_div_scale_f64 v[46:47], vcc_lo, v[122:123], v[120:121], v[122:123]
	v_rcp_f64_e32 v[42:43], v[40:41]
	s_waitcnt_depctr 0xfff
	v_fma_f64 v[44:45], -v[40:41], v[42:43], 1.0
	s_delay_alu instid0(VALU_DEP_1) | instskip(NEXT) | instid1(VALU_DEP_1)
	v_fma_f64 v[42:43], v[42:43], v[44:45], v[42:43]
	v_fma_f64 v[44:45], -v[40:41], v[42:43], 1.0
	s_delay_alu instid0(VALU_DEP_1) | instskip(NEXT) | instid1(VALU_DEP_1)
	v_fma_f64 v[42:43], v[42:43], v[44:45], v[42:43]
	v_mul_f64 v[44:45], v[46:47], v[42:43]
	s_delay_alu instid0(VALU_DEP_1) | instskip(NEXT) | instid1(VALU_DEP_1)
	v_fma_f64 v[40:41], -v[40:41], v[44:45], v[46:47]
	v_div_fmas_f64 v[40:41], v[40:41], v[42:43], v[44:45]
	s_delay_alu instid0(VALU_DEP_1) | instskip(NEXT) | instid1(VALU_DEP_1)
	v_div_fixup_f64 v[40:41], v[40:41], v[120:121], v[122:123]
	v_fma_f64 v[42:43], v[122:123], v[40:41], v[120:121]
	s_delay_alu instid0(VALU_DEP_1) | instskip(NEXT) | instid1(VALU_DEP_1)
	v_div_scale_f64 v[44:45], null, v[42:43], v[42:43], 1.0
	v_rcp_f64_e32 v[46:47], v[44:45]
	s_waitcnt_depctr 0xfff
	v_fma_f64 v[92:93], -v[44:45], v[46:47], 1.0
	s_delay_alu instid0(VALU_DEP_1) | instskip(NEXT) | instid1(VALU_DEP_1)
	v_fma_f64 v[46:47], v[46:47], v[92:93], v[46:47]
	v_fma_f64 v[92:93], -v[44:45], v[46:47], 1.0
	s_delay_alu instid0(VALU_DEP_1) | instskip(SKIP_1) | instid1(VALU_DEP_1)
	v_fma_f64 v[46:47], v[46:47], v[92:93], v[46:47]
	v_div_scale_f64 v[92:93], vcc_lo, 1.0, v[42:43], 1.0
	v_mul_f64 v[94:95], v[92:93], v[46:47]
	s_delay_alu instid0(VALU_DEP_1) | instskip(NEXT) | instid1(VALU_DEP_1)
	v_fma_f64 v[44:45], -v[44:45], v[94:95], v[92:93]
	v_div_fmas_f64 v[44:45], v[44:45], v[46:47], v[94:95]
	s_delay_alu instid0(VALU_DEP_1) | instskip(NEXT) | instid1(VALU_DEP_1)
	v_div_fixup_f64 v[120:121], v[44:45], v[42:43], 1.0
	v_mul_f64 v[122:123], v[40:41], -v[120:121]
.LBB58_198:
	s_or_b32 exec_lo, exec_lo, s2
.LBB58_199:
	s_delay_alu instid0(SALU_CYCLE_1) | instskip(NEXT) | instid1(SALU_CYCLE_1)
	s_or_b32 exec_lo, exec_lo, s3
	s_mov_b32 s2, exec_lo
	v_cmpx_ne_u32_e64 v146, v128
	s_xor_b32 s2, exec_lo, s2
	s_cbranch_execz .LBB58_205
; %bb.200:
	s_mov_b32 s3, exec_lo
	v_cmpx_eq_u32_e32 9, v146
	s_cbranch_execz .LBB58_204
; %bb.201:
	v_cmp_ne_u32_e32 vcc_lo, 9, v128
	s_xor_b32 s6, s4, -1
	s_delay_alu instid0(SALU_CYCLE_1) | instskip(NEXT) | instid1(SALU_CYCLE_1)
	s_and_b32 s7, s6, vcc_lo
	s_and_saveexec_b32 s6, s7
	s_cbranch_execz .LBB58_203
; %bb.202:
	v_ashrrev_i32_e32 v129, 31, v128
	s_delay_alu instid0(VALU_DEP_1) | instskip(NEXT) | instid1(VALU_DEP_1)
	v_lshlrev_b64 v[40:41], 2, v[128:129]
	v_add_co_u32 v40, vcc_lo, v253, v40
	s_delay_alu instid0(VALU_DEP_2)
	v_add_co_ci_u32_e32 v41, vcc_lo, v254, v41, vcc_lo
	s_clause 0x1
	flat_load_b32 v42, v[40:41]
	flat_load_b32 v43, v[253:254] offset:36
	s_waitcnt vmcnt(1) lgkmcnt(1)
	flat_store_b32 v[253:254], v42 offset:36
	s_waitcnt vmcnt(0) lgkmcnt(1)
	flat_store_b32 v[40:41], v43
.LBB58_203:
	s_or_b32 exec_lo, exec_lo, s6
	v_mov_b32_e32 v146, v128
	v_mov_b32_e32 v82, v128
.LBB58_204:
	s_or_b32 exec_lo, exec_lo, s3
.LBB58_205:
	s_and_not1_saveexec_b32 s2, s2
	s_cbranch_execz .LBB58_207
; %bb.206:
	v_mov_b32_e32 v146, 9
	ds_store_2addr_b64 v144, v[229:230], v[231:232] offset0:20 offset1:21
	ds_store_2addr_b64 v144, v[237:238], v[239:240] offset0:22 offset1:23
	;; [unrolled: 1-line block ×20, first 2 shown]
.LBB58_207:
	s_or_b32 exec_lo, exec_lo, s2
	s_delay_alu instid0(SALU_CYCLE_1)
	s_mov_b32 s2, exec_lo
	s_waitcnt lgkmcnt(0)
	s_waitcnt_vscnt null, 0x0
	s_barrier
	buffer_gl0_inv
	v_cmpx_lt_i32_e32 9, v146
	s_cbranch_execz .LBB58_209
; %bb.208:
	v_mul_f64 v[40:41], v[122:123], v[227:228]
	v_dual_mov_b32 v4, v84 :: v_dual_mov_b32 v5, v85
	v_dual_mov_b32 v6, v86 :: v_dual_mov_b32 v7, v87
	s_delay_alu instid0(VALU_DEP_3) | instskip(SKIP_1) | instid1(VALU_DEP_1)
	v_fma_f64 v[128:129], v[120:121], v[225:226], -v[40:41]
	v_mul_f64 v[40:41], v[120:121], v[227:228]
	v_fma_f64 v[227:228], v[122:123], v[225:226], v[40:41]
	ds_load_2addr_b64 v[120:123], v144 offset0:20 offset1:21
	ds_load_2addr_b64 v[130:133], v144 offset0:22 offset1:23
	v_dual_mov_b32 v226, v129 :: v_dual_mov_b32 v225, v128
	s_waitcnt lgkmcnt(1)
	v_mul_f64 v[40:41], v[122:123], v[227:228]
	v_mul_f64 v[42:43], v[120:121], v[227:228]
	s_waitcnt lgkmcnt(0)
	v_mul_f64 v[44:45], v[132:133], v[227:228]
	v_mul_f64 v[46:47], v[130:131], v[227:228]
	s_delay_alu instid0(VALU_DEP_4) | instskip(NEXT) | instid1(VALU_DEP_4)
	v_fma_f64 v[40:41], v[120:121], v[128:129], -v[40:41]
	v_fma_f64 v[42:43], v[122:123], v[128:129], v[42:43]
	s_delay_alu instid0(VALU_DEP_4) | instskip(NEXT) | instid1(VALU_DEP_4)
	v_fma_f64 v[44:45], v[130:131], v[128:129], -v[44:45]
	v_fma_f64 v[46:47], v[132:133], v[128:129], v[46:47]
	ds_load_2addr_b64 v[120:123], v144 offset0:24 offset1:25
	ds_load_2addr_b64 v[130:133], v144 offset0:26 offset1:27
	s_waitcnt lgkmcnt(1)
	v_mul_f64 v[84:85], v[122:123], v[227:228]
	v_mul_f64 v[92:93], v[120:121], v[227:228]
	s_waitcnt lgkmcnt(0)
	v_mul_f64 v[94:95], v[132:133], v[227:228]
	v_mul_f64 v[104:105], v[130:131], v[227:228]
	v_add_f64 v[229:230], v[229:230], -v[40:41]
	v_add_f64 v[231:232], v[231:232], -v[42:43]
	;; [unrolled: 1-line block ×4, first 2 shown]
	v_fma_f64 v[84:85], v[120:121], v[128:129], -v[84:85]
	v_fma_f64 v[92:93], v[122:123], v[128:129], v[92:93]
	v_fma_f64 v[94:95], v[130:131], v[128:129], -v[94:95]
	v_fma_f64 v[104:105], v[132:133], v[128:129], v[104:105]
	ds_load_2addr_b64 v[120:123], v144 offset0:28 offset1:29
	ds_load_2addr_b64 v[130:133], v144 offset0:30 offset1:31
	s_waitcnt lgkmcnt(1)
	v_mul_f64 v[106:107], v[122:123], v[227:228]
	v_mul_f64 v[108:109], v[120:121], v[227:228]
	s_waitcnt lgkmcnt(0)
	v_mul_f64 v[110:111], v[132:133], v[227:228]
	v_mul_f64 v[112:113], v[130:131], v[227:228]
	v_add_f64 v[249:250], v[249:250], -v[84:85]
	v_add_f64 v[251:252], v[251:252], -v[92:93]
	;; [unrolled: 1-line block ×4, first 2 shown]
	v_dual_mov_b32 v87, v7 :: v_dual_mov_b32 v86, v6
	v_dual_mov_b32 v85, v5 :: v_dual_mov_b32 v84, v4
	v_fma_f64 v[106:107], v[120:121], v[128:129], -v[106:107]
	v_fma_f64 v[108:109], v[122:123], v[128:129], v[108:109]
	v_fma_f64 v[110:111], v[130:131], v[128:129], -v[110:111]
	v_fma_f64 v[112:113], v[132:133], v[128:129], v[112:113]
	ds_load_2addr_b64 v[120:123], v144 offset0:32 offset1:33
	ds_load_2addr_b64 v[130:133], v144 offset0:34 offset1:35
	s_waitcnt lgkmcnt(1)
	v_mul_f64 v[114:115], v[122:123], v[227:228]
	v_mul_f64 v[116:117], v[120:121], v[227:228]
	s_waitcnt lgkmcnt(0)
	v_mul_f64 v[118:119], v[132:133], v[227:228]
	v_add_f64 v[76:77], v[76:77], -v[106:107]
	v_add_f64 v[78:79], v[78:79], -v[108:109]
	;; [unrolled: 1-line block ×4, first 2 shown]
	v_fma_f64 v[114:115], v[120:121], v[128:129], -v[114:115]
	v_mul_f64 v[120:121], v[130:131], v[227:228]
	v_fma_f64 v[116:117], v[122:123], v[128:129], v[116:117]
	v_fma_f64 v[118:119], v[130:131], v[128:129], -v[118:119]
	s_delay_alu instid0(VALU_DEP_4) | instskip(NEXT) | instid1(VALU_DEP_4)
	v_add_f64 v[241:242], v[241:242], -v[114:115]
	v_fma_f64 v[124:125], v[132:133], v[128:129], v[120:121]
	ds_load_2addr_b64 v[120:123], v144 offset0:36 offset1:37
	ds_load_2addr_b64 v[130:133], v144 offset0:38 offset1:39
	v_add_f64 v[243:244], v[243:244], -v[116:117]
	v_add_f64 v[56:57], v[56:57], -v[118:119]
	s_waitcnt lgkmcnt(1)
	v_mul_f64 v[126:127], v[122:123], v[227:228]
	v_add_f64 v[58:59], v[58:59], -v[124:125]
	s_delay_alu instid0(VALU_DEP_2) | instskip(SKIP_1) | instid1(VALU_DEP_2)
	v_fma_f64 v[126:127], v[120:121], v[128:129], -v[126:127]
	v_mul_f64 v[120:121], v[120:121], v[227:228]
	v_add_f64 v[52:53], v[52:53], -v[126:127]
	s_delay_alu instid0(VALU_DEP_2) | instskip(SKIP_2) | instid1(VALU_DEP_2)
	v_fma_f64 v[134:135], v[122:123], v[128:129], v[120:121]
	s_waitcnt lgkmcnt(0)
	v_mul_f64 v[120:121], v[132:133], v[227:228]
	v_add_f64 v[54:55], v[54:55], -v[134:135]
	s_delay_alu instid0(VALU_DEP_2) | instskip(SKIP_1) | instid1(VALU_DEP_2)
	v_fma_f64 v[136:137], v[130:131], v[128:129], -v[120:121]
	v_mul_f64 v[120:121], v[130:131], v[227:228]
	v_add_f64 v[48:49], v[48:49], -v[136:137]
	s_delay_alu instid0(VALU_DEP_2)
	v_fma_f64 v[138:139], v[132:133], v[128:129], v[120:121]
	ds_load_2addr_b64 v[120:123], v144 offset0:40 offset1:41
	ds_load_2addr_b64 v[130:133], v144 offset0:42 offset1:43
	s_waitcnt lgkmcnt(1)
	v_mul_f64 v[147:148], v[122:123], v[227:228]
	v_add_f64 v[50:51], v[50:51], -v[138:139]
	s_delay_alu instid0(VALU_DEP_2) | instskip(SKIP_1) | instid1(VALU_DEP_2)
	v_fma_f64 v[147:148], v[120:121], v[128:129], -v[147:148]
	v_mul_f64 v[120:121], v[120:121], v[227:228]
	v_add_f64 v[36:37], v[36:37], -v[147:148]
	s_delay_alu instid0(VALU_DEP_2) | instskip(SKIP_2) | instid1(VALU_DEP_2)
	v_fma_f64 v[149:150], v[122:123], v[128:129], v[120:121]
	s_waitcnt lgkmcnt(0)
	v_mul_f64 v[120:121], v[132:133], v[227:228]
	v_add_f64 v[38:39], v[38:39], -v[149:150]
	s_delay_alu instid0(VALU_DEP_2) | instskip(SKIP_1) | instid1(VALU_DEP_2)
	v_fma_f64 v[151:152], v[130:131], v[128:129], -v[120:121]
	v_mul_f64 v[120:121], v[130:131], v[227:228]
	v_add_f64 v[32:33], v[32:33], -v[151:152]
	s_delay_alu instid0(VALU_DEP_2)
	v_fma_f64 v[153:154], v[132:133], v[128:129], v[120:121]
	ds_load_2addr_b64 v[120:123], v144 offset0:44 offset1:45
	ds_load_2addr_b64 v[130:133], v144 offset0:46 offset1:47
	;; [unrolled: 20-line block ×5, first 2 shown]
	s_waitcnt lgkmcnt(1)
	v_mul_f64 v[179:180], v[122:123], v[227:228]
	v_add_f64 v[10:11], v[10:11], -v[177:178]
	s_delay_alu instid0(VALU_DEP_2) | instskip(SKIP_1) | instid1(VALU_DEP_2)
	v_fma_f64 v[179:180], v[120:121], v[128:129], -v[179:180]
	v_mul_f64 v[120:121], v[120:121], v[227:228]
	v_add_f64 v[219:220], v[219:220], -v[179:180]
	s_delay_alu instid0(VALU_DEP_2) | instskip(SKIP_2) | instid1(VALU_DEP_2)
	v_fma_f64 v[120:121], v[122:123], v[128:129], v[120:121]
	s_waitcnt lgkmcnt(0)
	v_mul_f64 v[122:123], v[132:133], v[227:228]
	v_add_f64 v[221:222], v[221:222], -v[120:121]
	s_delay_alu instid0(VALU_DEP_2) | instskip(SKIP_1) | instid1(VALU_DEP_2)
	v_fma_f64 v[122:123], v[130:131], v[128:129], -v[122:123]
	v_mul_f64 v[130:131], v[130:131], v[227:228]
	v_add_f64 v[0:1], v[0:1], -v[122:123]
	s_delay_alu instid0(VALU_DEP_2) | instskip(NEXT) | instid1(VALU_DEP_1)
	v_fma_f64 v[130:131], v[132:133], v[128:129], v[130:131]
	v_add_f64 v[2:3], v[2:3], -v[130:131]
.LBB58_209:
	s_or_b32 exec_lo, exec_lo, s2
	v_lshl_add_u32 v40, v146, 4, v144
	s_barrier
	buffer_gl0_inv
	v_mov_b32_e32 v128, 10
	ds_store_2addr_b64 v40, v[229:230], v[231:232] offset1:1
	s_waitcnt lgkmcnt(0)
	s_barrier
	buffer_gl0_inv
	ds_load_2addr_b64 v[120:123], v144 offset0:20 offset1:21
	s_cmp_lt_i32 s5, 12
	s_cbranch_scc1 .LBB58_212
; %bb.210:
	v_add3_u32 v129, v80, 0, 0xb0
	v_mov_b32_e32 v128, 10
	s_mov_b32 s6, 11
	s_set_inst_prefetch_distance 0x1
	.p2align	6
.LBB58_211:                             ; =>This Inner Loop Header: Depth=1
	ds_load_2addr_b64 v[130:133], v129 offset1:1
	s_waitcnt lgkmcnt(1)
	v_cmp_gt_f64_e32 vcc_lo, 0, v[120:121]
	v_xor_b32_e32 v40, 0x80000000, v121
	v_cmp_gt_f64_e64 s2, 0, v[122:123]
	v_xor_b32_e32 v42, 0x80000000, v123
	v_add_nc_u32_e32 v129, 16, v129
	s_waitcnt lgkmcnt(0)
	v_cmp_gt_f64_e64 s3, 0, v[130:131]
	v_mov_b32_e32 v44, v130
	v_dual_mov_b32 v46, v132 :: v_dual_cndmask_b32 v41, v121, v40
	v_xor_b32_e32 v40, 0x80000000, v131
	v_cndmask_b32_e64 v43, v123, v42, s2
	v_xor_b32_e32 v42, 0x80000000, v133
	s_delay_alu instid0(VALU_DEP_3) | instskip(SKIP_2) | instid1(VALU_DEP_2)
	v_cndmask_b32_e64 v45, v131, v40, s3
	v_cmp_gt_f64_e64 s3, 0, v[132:133]
	v_cndmask_b32_e32 v40, v120, v120, vcc_lo
	v_cndmask_b32_e64 v47, v133, v42, s3
	v_cndmask_b32_e64 v42, v122, v122, s2
	s_delay_alu instid0(VALU_DEP_2) | instskip(NEXT) | instid1(VALU_DEP_2)
	v_add_f64 v[44:45], v[44:45], v[46:47]
	v_add_f64 v[40:41], v[40:41], v[42:43]
	s_delay_alu instid0(VALU_DEP_1)
	v_cmp_lt_f64_e32 vcc_lo, v[40:41], v[44:45]
	v_cndmask_b32_e32 v123, v123, v133, vcc_lo
	v_dual_cndmask_b32 v121, v121, v131 :: v_dual_cndmask_b32 v120, v120, v130
	v_cndmask_b32_e32 v122, v122, v132, vcc_lo
	v_cndmask_b32_e64 v128, v128, s6, vcc_lo
	s_add_i32 s6, s6, 1
	s_delay_alu instid0(SALU_CYCLE_1)
	s_cmp_lg_u32 s5, s6
	s_cbranch_scc1 .LBB58_211
.LBB58_212:
	s_set_inst_prefetch_distance 0x2
	s_waitcnt lgkmcnt(0)
	v_cmp_eq_f64_e32 vcc_lo, 0, v[120:121]
	v_cmp_eq_f64_e64 s2, 0, v[122:123]
	s_delay_alu instid0(VALU_DEP_1) | instskip(NEXT) | instid1(SALU_CYCLE_1)
	s_and_b32 s2, vcc_lo, s2
	s_and_saveexec_b32 s3, s2
	s_delay_alu instid0(SALU_CYCLE_1)
	s_xor_b32 s2, exec_lo, s3
; %bb.213:
	v_cmp_ne_u32_e32 vcc_lo, 0, v83
	v_cndmask_b32_e32 v83, 11, v83, vcc_lo
; %bb.214:
	s_and_not1_saveexec_b32 s3, s2
	s_cbranch_execz .LBB58_220
; %bb.215:
	v_cmp_gt_f64_e32 vcc_lo, 0, v[120:121]
	v_cmp_gt_f64_e64 s2, 0, v[122:123]
	v_xor_b32_e32 v40, 0x80000000, v121
	v_xor_b32_e32 v42, 0x80000000, v123
	s_delay_alu instid0(VALU_DEP_2) | instskip(NEXT) | instid1(VALU_DEP_2)
	v_cndmask_b32_e32 v41, v121, v40, vcc_lo
	v_cndmask_b32_e64 v43, v123, v42, s2
	v_cndmask_b32_e32 v40, v120, v120, vcc_lo
	v_cndmask_b32_e64 v42, v122, v122, s2
	s_mov_b32 s2, exec_lo
	s_delay_alu instid0(VALU_DEP_1)
	v_cmpx_ngt_f64_e32 v[40:41], v[42:43]
	s_xor_b32 s2, exec_lo, s2
	s_cbranch_execz .LBB58_217
; %bb.216:
	v_div_scale_f64 v[40:41], null, v[122:123], v[122:123], v[120:121]
	v_div_scale_f64 v[46:47], vcc_lo, v[120:121], v[122:123], v[120:121]
	s_delay_alu instid0(VALU_DEP_2) | instskip(SKIP_2) | instid1(VALU_DEP_1)
	v_rcp_f64_e32 v[42:43], v[40:41]
	s_waitcnt_depctr 0xfff
	v_fma_f64 v[44:45], -v[40:41], v[42:43], 1.0
	v_fma_f64 v[42:43], v[42:43], v[44:45], v[42:43]
	s_delay_alu instid0(VALU_DEP_1) | instskip(NEXT) | instid1(VALU_DEP_1)
	v_fma_f64 v[44:45], -v[40:41], v[42:43], 1.0
	v_fma_f64 v[42:43], v[42:43], v[44:45], v[42:43]
	s_delay_alu instid0(VALU_DEP_1) | instskip(NEXT) | instid1(VALU_DEP_1)
	v_mul_f64 v[44:45], v[46:47], v[42:43]
	v_fma_f64 v[40:41], -v[40:41], v[44:45], v[46:47]
	s_delay_alu instid0(VALU_DEP_1) | instskip(NEXT) | instid1(VALU_DEP_1)
	v_div_fmas_f64 v[40:41], v[40:41], v[42:43], v[44:45]
	v_div_fixup_f64 v[40:41], v[40:41], v[122:123], v[120:121]
	s_delay_alu instid0(VALU_DEP_1) | instskip(NEXT) | instid1(VALU_DEP_1)
	v_fma_f64 v[42:43], v[120:121], v[40:41], v[122:123]
	v_div_scale_f64 v[44:45], null, v[42:43], v[42:43], 1.0
	s_delay_alu instid0(VALU_DEP_1) | instskip(SKIP_2) | instid1(VALU_DEP_1)
	v_rcp_f64_e32 v[46:47], v[44:45]
	s_waitcnt_depctr 0xfff
	v_fma_f64 v[92:93], -v[44:45], v[46:47], 1.0
	v_fma_f64 v[46:47], v[46:47], v[92:93], v[46:47]
	s_delay_alu instid0(VALU_DEP_1) | instskip(NEXT) | instid1(VALU_DEP_1)
	v_fma_f64 v[92:93], -v[44:45], v[46:47], 1.0
	v_fma_f64 v[46:47], v[46:47], v[92:93], v[46:47]
	v_div_scale_f64 v[92:93], vcc_lo, 1.0, v[42:43], 1.0
	s_delay_alu instid0(VALU_DEP_1) | instskip(NEXT) | instid1(VALU_DEP_1)
	v_mul_f64 v[94:95], v[92:93], v[46:47]
	v_fma_f64 v[44:45], -v[44:45], v[94:95], v[92:93]
	s_delay_alu instid0(VALU_DEP_1) | instskip(NEXT) | instid1(VALU_DEP_1)
	v_div_fmas_f64 v[44:45], v[44:45], v[46:47], v[94:95]
	v_div_fixup_f64 v[122:123], v[44:45], v[42:43], 1.0
	s_delay_alu instid0(VALU_DEP_1)
	v_mul_f64 v[120:121], v[40:41], v[122:123]
	v_xor_b32_e32 v123, 0x80000000, v123
.LBB58_217:
	s_and_not1_saveexec_b32 s2, s2
	s_cbranch_execz .LBB58_219
; %bb.218:
	s_delay_alu instid0(VALU_DEP_1) | instskip(SKIP_1) | instid1(VALU_DEP_2)
	v_div_scale_f64 v[40:41], null, v[120:121], v[120:121], v[122:123]
	v_div_scale_f64 v[46:47], vcc_lo, v[122:123], v[120:121], v[122:123]
	v_rcp_f64_e32 v[42:43], v[40:41]
	s_waitcnt_depctr 0xfff
	v_fma_f64 v[44:45], -v[40:41], v[42:43], 1.0
	s_delay_alu instid0(VALU_DEP_1) | instskip(NEXT) | instid1(VALU_DEP_1)
	v_fma_f64 v[42:43], v[42:43], v[44:45], v[42:43]
	v_fma_f64 v[44:45], -v[40:41], v[42:43], 1.0
	s_delay_alu instid0(VALU_DEP_1) | instskip(NEXT) | instid1(VALU_DEP_1)
	v_fma_f64 v[42:43], v[42:43], v[44:45], v[42:43]
	v_mul_f64 v[44:45], v[46:47], v[42:43]
	s_delay_alu instid0(VALU_DEP_1) | instskip(NEXT) | instid1(VALU_DEP_1)
	v_fma_f64 v[40:41], -v[40:41], v[44:45], v[46:47]
	v_div_fmas_f64 v[40:41], v[40:41], v[42:43], v[44:45]
	s_delay_alu instid0(VALU_DEP_1) | instskip(NEXT) | instid1(VALU_DEP_1)
	v_div_fixup_f64 v[40:41], v[40:41], v[120:121], v[122:123]
	v_fma_f64 v[42:43], v[122:123], v[40:41], v[120:121]
	s_delay_alu instid0(VALU_DEP_1) | instskip(NEXT) | instid1(VALU_DEP_1)
	v_div_scale_f64 v[44:45], null, v[42:43], v[42:43], 1.0
	v_rcp_f64_e32 v[46:47], v[44:45]
	s_waitcnt_depctr 0xfff
	v_fma_f64 v[92:93], -v[44:45], v[46:47], 1.0
	s_delay_alu instid0(VALU_DEP_1) | instskip(NEXT) | instid1(VALU_DEP_1)
	v_fma_f64 v[46:47], v[46:47], v[92:93], v[46:47]
	v_fma_f64 v[92:93], -v[44:45], v[46:47], 1.0
	s_delay_alu instid0(VALU_DEP_1) | instskip(SKIP_1) | instid1(VALU_DEP_1)
	v_fma_f64 v[46:47], v[46:47], v[92:93], v[46:47]
	v_div_scale_f64 v[92:93], vcc_lo, 1.0, v[42:43], 1.0
	v_mul_f64 v[94:95], v[92:93], v[46:47]
	s_delay_alu instid0(VALU_DEP_1) | instskip(NEXT) | instid1(VALU_DEP_1)
	v_fma_f64 v[44:45], -v[44:45], v[94:95], v[92:93]
	v_div_fmas_f64 v[44:45], v[44:45], v[46:47], v[94:95]
	s_delay_alu instid0(VALU_DEP_1) | instskip(NEXT) | instid1(VALU_DEP_1)
	v_div_fixup_f64 v[120:121], v[44:45], v[42:43], 1.0
	v_mul_f64 v[122:123], v[40:41], -v[120:121]
.LBB58_219:
	s_or_b32 exec_lo, exec_lo, s2
.LBB58_220:
	s_delay_alu instid0(SALU_CYCLE_1) | instskip(NEXT) | instid1(SALU_CYCLE_1)
	s_or_b32 exec_lo, exec_lo, s3
	s_mov_b32 s2, exec_lo
	v_cmpx_ne_u32_e64 v146, v128
	s_xor_b32 s2, exec_lo, s2
	s_cbranch_execz .LBB58_226
; %bb.221:
	s_mov_b32 s3, exec_lo
	v_cmpx_eq_u32_e32 10, v146
	s_cbranch_execz .LBB58_225
; %bb.222:
	v_cmp_ne_u32_e32 vcc_lo, 10, v128
	s_xor_b32 s6, s4, -1
	s_delay_alu instid0(SALU_CYCLE_1) | instskip(NEXT) | instid1(SALU_CYCLE_1)
	s_and_b32 s7, s6, vcc_lo
	s_and_saveexec_b32 s6, s7
	s_cbranch_execz .LBB58_224
; %bb.223:
	v_ashrrev_i32_e32 v129, 31, v128
	s_delay_alu instid0(VALU_DEP_1) | instskip(NEXT) | instid1(VALU_DEP_1)
	v_lshlrev_b64 v[40:41], 2, v[128:129]
	v_add_co_u32 v40, vcc_lo, v253, v40
	s_delay_alu instid0(VALU_DEP_2)
	v_add_co_ci_u32_e32 v41, vcc_lo, v254, v41, vcc_lo
	s_clause 0x1
	flat_load_b32 v42, v[40:41]
	flat_load_b32 v43, v[253:254] offset:40
	s_waitcnt vmcnt(1) lgkmcnt(1)
	flat_store_b32 v[253:254], v42 offset:40
	s_waitcnt vmcnt(0) lgkmcnt(1)
	flat_store_b32 v[40:41], v43
.LBB58_224:
	s_or_b32 exec_lo, exec_lo, s6
	v_mov_b32_e32 v146, v128
	v_mov_b32_e32 v82, v128
.LBB58_225:
	s_or_b32 exec_lo, exec_lo, s3
.LBB58_226:
	s_and_not1_saveexec_b32 s2, s2
	s_cbranch_execz .LBB58_228
; %bb.227:
	v_mov_b32_e32 v146, 10
	ds_store_2addr_b64 v144, v[237:238], v[239:240] offset0:22 offset1:23
	ds_store_2addr_b64 v144, v[249:250], v[251:252] offset0:24 offset1:25
	ds_store_2addr_b64 v144, v[245:246], v[247:248] offset0:26 offset1:27
	ds_store_2addr_b64 v144, v[76:77], v[78:79] offset0:28 offset1:29
	ds_store_2addr_b64 v144, v[64:65], v[66:67] offset0:30 offset1:31
	ds_store_2addr_b64 v144, v[241:242], v[243:244] offset0:32 offset1:33
	ds_store_2addr_b64 v144, v[56:57], v[58:59] offset0:34 offset1:35
	ds_store_2addr_b64 v144, v[52:53], v[54:55] offset0:36 offset1:37
	ds_store_2addr_b64 v144, v[48:49], v[50:51] offset0:38 offset1:39
	ds_store_2addr_b64 v144, v[36:37], v[38:39] offset0:40 offset1:41
	ds_store_2addr_b64 v144, v[32:33], v[34:35] offset0:42 offset1:43
	ds_store_2addr_b64 v144, v[28:29], v[30:31] offset0:44 offset1:45
	ds_store_2addr_b64 v144, v[24:25], v[26:27] offset0:46 offset1:47
	ds_store_2addr_b64 v144, v[140:141], v[142:143] offset0:48 offset1:49
	ds_store_2addr_b64 v144, v[16:17], v[18:19] offset0:50 offset1:51
	ds_store_2addr_b64 v144, v[12:13], v[14:15] offset0:52 offset1:53
	ds_store_2addr_b64 v144, v[8:9], v[10:11] offset0:54 offset1:55
	ds_store_2addr_b64 v144, v[219:220], v[221:222] offset0:56 offset1:57
	ds_store_2addr_b64 v144, v[0:1], v[2:3] offset0:58 offset1:59
.LBB58_228:
	s_or_b32 exec_lo, exec_lo, s2
	s_delay_alu instid0(SALU_CYCLE_1)
	s_mov_b32 s2, exec_lo
	s_waitcnt lgkmcnt(0)
	s_waitcnt_vscnt null, 0x0
	s_barrier
	buffer_gl0_inv
	v_cmpx_lt_i32_e32 10, v146
	s_cbranch_execz .LBB58_230
; %bb.229:
	v_mul_f64 v[40:41], v[122:123], v[231:232]
	v_dual_mov_b32 v4, v72 :: v_dual_mov_b32 v5, v73
	v_dual_mov_b32 v6, v74 :: v_dual_mov_b32 v7, v75
	s_delay_alu instid0(VALU_DEP_3) | instskip(SKIP_1) | instid1(VALU_DEP_1)
	v_fma_f64 v[128:129], v[120:121], v[229:230], -v[40:41]
	v_mul_f64 v[40:41], v[120:121], v[231:232]
	v_fma_f64 v[231:232], v[122:123], v[229:230], v[40:41]
	ds_load_2addr_b64 v[120:123], v144 offset0:22 offset1:23
	ds_load_2addr_b64 v[130:133], v144 offset0:24 offset1:25
	v_dual_mov_b32 v230, v129 :: v_dual_mov_b32 v229, v128
	s_waitcnt lgkmcnt(1)
	v_mul_f64 v[40:41], v[122:123], v[231:232]
	v_mul_f64 v[42:43], v[120:121], v[231:232]
	s_waitcnt lgkmcnt(0)
	v_mul_f64 v[44:45], v[132:133], v[231:232]
	v_mul_f64 v[46:47], v[130:131], v[231:232]
	s_delay_alu instid0(VALU_DEP_4) | instskip(NEXT) | instid1(VALU_DEP_4)
	v_fma_f64 v[40:41], v[120:121], v[128:129], -v[40:41]
	v_fma_f64 v[42:43], v[122:123], v[128:129], v[42:43]
	s_delay_alu instid0(VALU_DEP_4) | instskip(NEXT) | instid1(VALU_DEP_4)
	v_fma_f64 v[44:45], v[130:131], v[128:129], -v[44:45]
	v_fma_f64 v[46:47], v[132:133], v[128:129], v[46:47]
	ds_load_2addr_b64 v[120:123], v144 offset0:26 offset1:27
	ds_load_2addr_b64 v[130:133], v144 offset0:28 offset1:29
	s_waitcnt lgkmcnt(1)
	v_mul_f64 v[72:73], v[122:123], v[231:232]
	v_mul_f64 v[92:93], v[120:121], v[231:232]
	s_waitcnt lgkmcnt(0)
	v_mul_f64 v[94:95], v[132:133], v[231:232]
	v_mul_f64 v[104:105], v[130:131], v[231:232]
	v_add_f64 v[237:238], v[237:238], -v[40:41]
	v_add_f64 v[239:240], v[239:240], -v[42:43]
	;; [unrolled: 1-line block ×4, first 2 shown]
	v_fma_f64 v[72:73], v[120:121], v[128:129], -v[72:73]
	v_fma_f64 v[92:93], v[122:123], v[128:129], v[92:93]
	v_fma_f64 v[94:95], v[130:131], v[128:129], -v[94:95]
	v_fma_f64 v[104:105], v[132:133], v[128:129], v[104:105]
	ds_load_2addr_b64 v[120:123], v144 offset0:30 offset1:31
	ds_load_2addr_b64 v[130:133], v144 offset0:32 offset1:33
	s_waitcnt lgkmcnt(1)
	v_mul_f64 v[106:107], v[122:123], v[231:232]
	v_mul_f64 v[108:109], v[120:121], v[231:232]
	s_waitcnt lgkmcnt(0)
	v_mul_f64 v[110:111], v[132:133], v[231:232]
	v_mul_f64 v[112:113], v[130:131], v[231:232]
	v_add_f64 v[245:246], v[245:246], -v[72:73]
	v_add_f64 v[247:248], v[247:248], -v[92:93]
	;; [unrolled: 1-line block ×4, first 2 shown]
	v_dual_mov_b32 v75, v7 :: v_dual_mov_b32 v74, v6
	v_dual_mov_b32 v73, v5 :: v_dual_mov_b32 v72, v4
	v_fma_f64 v[106:107], v[120:121], v[128:129], -v[106:107]
	v_fma_f64 v[108:109], v[122:123], v[128:129], v[108:109]
	v_fma_f64 v[110:111], v[130:131], v[128:129], -v[110:111]
	v_fma_f64 v[112:113], v[132:133], v[128:129], v[112:113]
	ds_load_2addr_b64 v[120:123], v144 offset0:34 offset1:35
	ds_load_2addr_b64 v[130:133], v144 offset0:36 offset1:37
	s_waitcnt lgkmcnt(1)
	v_mul_f64 v[114:115], v[122:123], v[231:232]
	v_mul_f64 v[116:117], v[120:121], v[231:232]
	s_waitcnt lgkmcnt(0)
	v_mul_f64 v[118:119], v[132:133], v[231:232]
	v_add_f64 v[64:65], v[64:65], -v[106:107]
	v_add_f64 v[66:67], v[66:67], -v[108:109]
	;; [unrolled: 1-line block ×4, first 2 shown]
	v_fma_f64 v[114:115], v[120:121], v[128:129], -v[114:115]
	v_mul_f64 v[120:121], v[130:131], v[231:232]
	v_fma_f64 v[116:117], v[122:123], v[128:129], v[116:117]
	v_fma_f64 v[118:119], v[130:131], v[128:129], -v[118:119]
	s_delay_alu instid0(VALU_DEP_4) | instskip(NEXT) | instid1(VALU_DEP_4)
	v_add_f64 v[56:57], v[56:57], -v[114:115]
	v_fma_f64 v[124:125], v[132:133], v[128:129], v[120:121]
	ds_load_2addr_b64 v[120:123], v144 offset0:38 offset1:39
	ds_load_2addr_b64 v[130:133], v144 offset0:40 offset1:41
	v_add_f64 v[58:59], v[58:59], -v[116:117]
	v_add_f64 v[52:53], v[52:53], -v[118:119]
	s_waitcnt lgkmcnt(1)
	v_mul_f64 v[126:127], v[122:123], v[231:232]
	v_add_f64 v[54:55], v[54:55], -v[124:125]
	s_delay_alu instid0(VALU_DEP_2) | instskip(SKIP_1) | instid1(VALU_DEP_2)
	v_fma_f64 v[126:127], v[120:121], v[128:129], -v[126:127]
	v_mul_f64 v[120:121], v[120:121], v[231:232]
	v_add_f64 v[48:49], v[48:49], -v[126:127]
	s_delay_alu instid0(VALU_DEP_2) | instskip(SKIP_2) | instid1(VALU_DEP_2)
	v_fma_f64 v[134:135], v[122:123], v[128:129], v[120:121]
	s_waitcnt lgkmcnt(0)
	v_mul_f64 v[120:121], v[132:133], v[231:232]
	v_add_f64 v[50:51], v[50:51], -v[134:135]
	s_delay_alu instid0(VALU_DEP_2) | instskip(SKIP_1) | instid1(VALU_DEP_2)
	v_fma_f64 v[136:137], v[130:131], v[128:129], -v[120:121]
	v_mul_f64 v[120:121], v[130:131], v[231:232]
	v_add_f64 v[36:37], v[36:37], -v[136:137]
	s_delay_alu instid0(VALU_DEP_2)
	v_fma_f64 v[138:139], v[132:133], v[128:129], v[120:121]
	ds_load_2addr_b64 v[120:123], v144 offset0:42 offset1:43
	ds_load_2addr_b64 v[130:133], v144 offset0:44 offset1:45
	s_waitcnt lgkmcnt(1)
	v_mul_f64 v[147:148], v[122:123], v[231:232]
	v_add_f64 v[38:39], v[38:39], -v[138:139]
	s_delay_alu instid0(VALU_DEP_2) | instskip(SKIP_1) | instid1(VALU_DEP_2)
	v_fma_f64 v[147:148], v[120:121], v[128:129], -v[147:148]
	v_mul_f64 v[120:121], v[120:121], v[231:232]
	v_add_f64 v[32:33], v[32:33], -v[147:148]
	s_delay_alu instid0(VALU_DEP_2) | instskip(SKIP_2) | instid1(VALU_DEP_2)
	v_fma_f64 v[149:150], v[122:123], v[128:129], v[120:121]
	s_waitcnt lgkmcnt(0)
	v_mul_f64 v[120:121], v[132:133], v[231:232]
	v_add_f64 v[34:35], v[34:35], -v[149:150]
	s_delay_alu instid0(VALU_DEP_2) | instskip(SKIP_1) | instid1(VALU_DEP_2)
	v_fma_f64 v[151:152], v[130:131], v[128:129], -v[120:121]
	v_mul_f64 v[120:121], v[130:131], v[231:232]
	v_add_f64 v[28:29], v[28:29], -v[151:152]
	s_delay_alu instid0(VALU_DEP_2)
	v_fma_f64 v[153:154], v[132:133], v[128:129], v[120:121]
	ds_load_2addr_b64 v[120:123], v144 offset0:46 offset1:47
	ds_load_2addr_b64 v[130:133], v144 offset0:48 offset1:49
	;; [unrolled: 20-line block ×4, first 2 shown]
	s_waitcnt lgkmcnt(1)
	v_mul_f64 v[171:172], v[122:123], v[231:232]
	v_add_f64 v[14:15], v[14:15], -v[169:170]
	s_delay_alu instid0(VALU_DEP_2) | instskip(SKIP_1) | instid1(VALU_DEP_2)
	v_fma_f64 v[171:172], v[120:121], v[128:129], -v[171:172]
	v_mul_f64 v[120:121], v[120:121], v[231:232]
	v_add_f64 v[8:9], v[8:9], -v[171:172]
	s_delay_alu instid0(VALU_DEP_2) | instskip(SKIP_2) | instid1(VALU_DEP_2)
	v_fma_f64 v[173:174], v[122:123], v[128:129], v[120:121]
	s_waitcnt lgkmcnt(0)
	v_mul_f64 v[120:121], v[132:133], v[231:232]
	v_add_f64 v[10:11], v[10:11], -v[173:174]
	s_delay_alu instid0(VALU_DEP_2) | instskip(SKIP_1) | instid1(VALU_DEP_2)
	v_fma_f64 v[175:176], v[130:131], v[128:129], -v[120:121]
	v_mul_f64 v[120:121], v[130:131], v[231:232]
	v_add_f64 v[219:220], v[219:220], -v[175:176]
	s_delay_alu instid0(VALU_DEP_2) | instskip(SKIP_4) | instid1(VALU_DEP_2)
	v_fma_f64 v[130:131], v[132:133], v[128:129], v[120:121]
	ds_load_2addr_b64 v[120:123], v144 offset0:58 offset1:59
	s_waitcnt lgkmcnt(0)
	v_mul_f64 v[132:133], v[122:123], v[231:232]
	v_add_f64 v[221:222], v[221:222], -v[130:131]
	v_fma_f64 v[132:133], v[120:121], v[128:129], -v[132:133]
	v_mul_f64 v[120:121], v[120:121], v[231:232]
	s_delay_alu instid0(VALU_DEP_2) | instskip(NEXT) | instid1(VALU_DEP_2)
	v_add_f64 v[0:1], v[0:1], -v[132:133]
	v_fma_f64 v[120:121], v[122:123], v[128:129], v[120:121]
	s_delay_alu instid0(VALU_DEP_1)
	v_add_f64 v[2:3], v[2:3], -v[120:121]
.LBB58_230:
	s_or_b32 exec_lo, exec_lo, s2
	v_lshl_add_u32 v40, v146, 4, v144
	s_barrier
	buffer_gl0_inv
	v_mov_b32_e32 v128, 11
	ds_store_2addr_b64 v40, v[237:238], v[239:240] offset1:1
	s_waitcnt lgkmcnt(0)
	s_barrier
	buffer_gl0_inv
	ds_load_2addr_b64 v[120:123], v144 offset0:22 offset1:23
	s_cmp_lt_i32 s5, 13
	s_cbranch_scc1 .LBB58_233
; %bb.231:
	v_add3_u32 v129, v80, 0, 0xc0
	v_mov_b32_e32 v128, 11
	s_mov_b32 s6, 12
	s_set_inst_prefetch_distance 0x1
	.p2align	6
.LBB58_232:                             ; =>This Inner Loop Header: Depth=1
	ds_load_2addr_b64 v[130:133], v129 offset1:1
	s_waitcnt lgkmcnt(1)
	v_cmp_gt_f64_e32 vcc_lo, 0, v[120:121]
	v_xor_b32_e32 v40, 0x80000000, v121
	v_cmp_gt_f64_e64 s2, 0, v[122:123]
	v_xor_b32_e32 v42, 0x80000000, v123
	v_add_nc_u32_e32 v129, 16, v129
	s_waitcnt lgkmcnt(0)
	v_cmp_gt_f64_e64 s3, 0, v[130:131]
	v_mov_b32_e32 v44, v130
	v_dual_mov_b32 v46, v132 :: v_dual_cndmask_b32 v41, v121, v40
	v_xor_b32_e32 v40, 0x80000000, v131
	v_cndmask_b32_e64 v43, v123, v42, s2
	v_xor_b32_e32 v42, 0x80000000, v133
	s_delay_alu instid0(VALU_DEP_3) | instskip(SKIP_2) | instid1(VALU_DEP_2)
	v_cndmask_b32_e64 v45, v131, v40, s3
	v_cmp_gt_f64_e64 s3, 0, v[132:133]
	v_cndmask_b32_e32 v40, v120, v120, vcc_lo
	v_cndmask_b32_e64 v47, v133, v42, s3
	v_cndmask_b32_e64 v42, v122, v122, s2
	s_delay_alu instid0(VALU_DEP_2) | instskip(NEXT) | instid1(VALU_DEP_2)
	v_add_f64 v[44:45], v[44:45], v[46:47]
	v_add_f64 v[40:41], v[40:41], v[42:43]
	s_delay_alu instid0(VALU_DEP_1)
	v_cmp_lt_f64_e32 vcc_lo, v[40:41], v[44:45]
	v_cndmask_b32_e32 v123, v123, v133, vcc_lo
	v_dual_cndmask_b32 v121, v121, v131 :: v_dual_cndmask_b32 v120, v120, v130
	v_cndmask_b32_e32 v122, v122, v132, vcc_lo
	v_cndmask_b32_e64 v128, v128, s6, vcc_lo
	s_add_i32 s6, s6, 1
	s_delay_alu instid0(SALU_CYCLE_1)
	s_cmp_lg_u32 s5, s6
	s_cbranch_scc1 .LBB58_232
.LBB58_233:
	s_set_inst_prefetch_distance 0x2
	s_waitcnt lgkmcnt(0)
	v_cmp_eq_f64_e32 vcc_lo, 0, v[120:121]
	v_cmp_eq_f64_e64 s2, 0, v[122:123]
	s_delay_alu instid0(VALU_DEP_1) | instskip(NEXT) | instid1(SALU_CYCLE_1)
	s_and_b32 s2, vcc_lo, s2
	s_and_saveexec_b32 s3, s2
	s_delay_alu instid0(SALU_CYCLE_1)
	s_xor_b32 s2, exec_lo, s3
; %bb.234:
	v_cmp_ne_u32_e32 vcc_lo, 0, v83
	v_cndmask_b32_e32 v83, 12, v83, vcc_lo
; %bb.235:
	s_and_not1_saveexec_b32 s3, s2
	s_cbranch_execz .LBB58_241
; %bb.236:
	v_cmp_gt_f64_e32 vcc_lo, 0, v[120:121]
	v_cmp_gt_f64_e64 s2, 0, v[122:123]
	v_xor_b32_e32 v40, 0x80000000, v121
	v_xor_b32_e32 v42, 0x80000000, v123
	s_delay_alu instid0(VALU_DEP_2) | instskip(NEXT) | instid1(VALU_DEP_2)
	v_cndmask_b32_e32 v41, v121, v40, vcc_lo
	v_cndmask_b32_e64 v43, v123, v42, s2
	v_cndmask_b32_e32 v40, v120, v120, vcc_lo
	v_cndmask_b32_e64 v42, v122, v122, s2
	s_mov_b32 s2, exec_lo
	s_delay_alu instid0(VALU_DEP_1)
	v_cmpx_ngt_f64_e32 v[40:41], v[42:43]
	s_xor_b32 s2, exec_lo, s2
	s_cbranch_execz .LBB58_238
; %bb.237:
	v_div_scale_f64 v[40:41], null, v[122:123], v[122:123], v[120:121]
	v_div_scale_f64 v[46:47], vcc_lo, v[120:121], v[122:123], v[120:121]
	s_delay_alu instid0(VALU_DEP_2) | instskip(SKIP_2) | instid1(VALU_DEP_1)
	v_rcp_f64_e32 v[42:43], v[40:41]
	s_waitcnt_depctr 0xfff
	v_fma_f64 v[44:45], -v[40:41], v[42:43], 1.0
	v_fma_f64 v[42:43], v[42:43], v[44:45], v[42:43]
	s_delay_alu instid0(VALU_DEP_1) | instskip(NEXT) | instid1(VALU_DEP_1)
	v_fma_f64 v[44:45], -v[40:41], v[42:43], 1.0
	v_fma_f64 v[42:43], v[42:43], v[44:45], v[42:43]
	s_delay_alu instid0(VALU_DEP_1) | instskip(NEXT) | instid1(VALU_DEP_1)
	v_mul_f64 v[44:45], v[46:47], v[42:43]
	v_fma_f64 v[40:41], -v[40:41], v[44:45], v[46:47]
	s_delay_alu instid0(VALU_DEP_1) | instskip(NEXT) | instid1(VALU_DEP_1)
	v_div_fmas_f64 v[40:41], v[40:41], v[42:43], v[44:45]
	v_div_fixup_f64 v[40:41], v[40:41], v[122:123], v[120:121]
	s_delay_alu instid0(VALU_DEP_1) | instskip(NEXT) | instid1(VALU_DEP_1)
	v_fma_f64 v[42:43], v[120:121], v[40:41], v[122:123]
	v_div_scale_f64 v[44:45], null, v[42:43], v[42:43], 1.0
	s_delay_alu instid0(VALU_DEP_1) | instskip(SKIP_2) | instid1(VALU_DEP_1)
	v_rcp_f64_e32 v[46:47], v[44:45]
	s_waitcnt_depctr 0xfff
	v_fma_f64 v[92:93], -v[44:45], v[46:47], 1.0
	v_fma_f64 v[46:47], v[46:47], v[92:93], v[46:47]
	s_delay_alu instid0(VALU_DEP_1) | instskip(NEXT) | instid1(VALU_DEP_1)
	v_fma_f64 v[92:93], -v[44:45], v[46:47], 1.0
	v_fma_f64 v[46:47], v[46:47], v[92:93], v[46:47]
	v_div_scale_f64 v[92:93], vcc_lo, 1.0, v[42:43], 1.0
	s_delay_alu instid0(VALU_DEP_1) | instskip(NEXT) | instid1(VALU_DEP_1)
	v_mul_f64 v[94:95], v[92:93], v[46:47]
	v_fma_f64 v[44:45], -v[44:45], v[94:95], v[92:93]
	s_delay_alu instid0(VALU_DEP_1) | instskip(NEXT) | instid1(VALU_DEP_1)
	v_div_fmas_f64 v[44:45], v[44:45], v[46:47], v[94:95]
	v_div_fixup_f64 v[122:123], v[44:45], v[42:43], 1.0
	s_delay_alu instid0(VALU_DEP_1)
	v_mul_f64 v[120:121], v[40:41], v[122:123]
	v_xor_b32_e32 v123, 0x80000000, v123
.LBB58_238:
	s_and_not1_saveexec_b32 s2, s2
	s_cbranch_execz .LBB58_240
; %bb.239:
	s_delay_alu instid0(VALU_DEP_1) | instskip(SKIP_1) | instid1(VALU_DEP_2)
	v_div_scale_f64 v[40:41], null, v[120:121], v[120:121], v[122:123]
	v_div_scale_f64 v[46:47], vcc_lo, v[122:123], v[120:121], v[122:123]
	v_rcp_f64_e32 v[42:43], v[40:41]
	s_waitcnt_depctr 0xfff
	v_fma_f64 v[44:45], -v[40:41], v[42:43], 1.0
	s_delay_alu instid0(VALU_DEP_1) | instskip(NEXT) | instid1(VALU_DEP_1)
	v_fma_f64 v[42:43], v[42:43], v[44:45], v[42:43]
	v_fma_f64 v[44:45], -v[40:41], v[42:43], 1.0
	s_delay_alu instid0(VALU_DEP_1) | instskip(NEXT) | instid1(VALU_DEP_1)
	v_fma_f64 v[42:43], v[42:43], v[44:45], v[42:43]
	v_mul_f64 v[44:45], v[46:47], v[42:43]
	s_delay_alu instid0(VALU_DEP_1) | instskip(NEXT) | instid1(VALU_DEP_1)
	v_fma_f64 v[40:41], -v[40:41], v[44:45], v[46:47]
	v_div_fmas_f64 v[40:41], v[40:41], v[42:43], v[44:45]
	s_delay_alu instid0(VALU_DEP_1) | instskip(NEXT) | instid1(VALU_DEP_1)
	v_div_fixup_f64 v[40:41], v[40:41], v[120:121], v[122:123]
	v_fma_f64 v[42:43], v[122:123], v[40:41], v[120:121]
	s_delay_alu instid0(VALU_DEP_1) | instskip(NEXT) | instid1(VALU_DEP_1)
	v_div_scale_f64 v[44:45], null, v[42:43], v[42:43], 1.0
	v_rcp_f64_e32 v[46:47], v[44:45]
	s_waitcnt_depctr 0xfff
	v_fma_f64 v[92:93], -v[44:45], v[46:47], 1.0
	s_delay_alu instid0(VALU_DEP_1) | instskip(NEXT) | instid1(VALU_DEP_1)
	v_fma_f64 v[46:47], v[46:47], v[92:93], v[46:47]
	v_fma_f64 v[92:93], -v[44:45], v[46:47], 1.0
	s_delay_alu instid0(VALU_DEP_1) | instskip(SKIP_1) | instid1(VALU_DEP_1)
	v_fma_f64 v[46:47], v[46:47], v[92:93], v[46:47]
	v_div_scale_f64 v[92:93], vcc_lo, 1.0, v[42:43], 1.0
	v_mul_f64 v[94:95], v[92:93], v[46:47]
	s_delay_alu instid0(VALU_DEP_1) | instskip(NEXT) | instid1(VALU_DEP_1)
	v_fma_f64 v[44:45], -v[44:45], v[94:95], v[92:93]
	v_div_fmas_f64 v[44:45], v[44:45], v[46:47], v[94:95]
	s_delay_alu instid0(VALU_DEP_1) | instskip(NEXT) | instid1(VALU_DEP_1)
	v_div_fixup_f64 v[120:121], v[44:45], v[42:43], 1.0
	v_mul_f64 v[122:123], v[40:41], -v[120:121]
.LBB58_240:
	s_or_b32 exec_lo, exec_lo, s2
.LBB58_241:
	s_delay_alu instid0(SALU_CYCLE_1) | instskip(NEXT) | instid1(SALU_CYCLE_1)
	s_or_b32 exec_lo, exec_lo, s3
	s_mov_b32 s2, exec_lo
	v_cmpx_ne_u32_e64 v146, v128
	s_xor_b32 s2, exec_lo, s2
	s_cbranch_execz .LBB58_247
; %bb.242:
	s_mov_b32 s3, exec_lo
	v_cmpx_eq_u32_e32 11, v146
	s_cbranch_execz .LBB58_246
; %bb.243:
	v_cmp_ne_u32_e32 vcc_lo, 11, v128
	s_xor_b32 s6, s4, -1
	s_delay_alu instid0(SALU_CYCLE_1) | instskip(NEXT) | instid1(SALU_CYCLE_1)
	s_and_b32 s7, s6, vcc_lo
	s_and_saveexec_b32 s6, s7
	s_cbranch_execz .LBB58_245
; %bb.244:
	v_ashrrev_i32_e32 v129, 31, v128
	s_delay_alu instid0(VALU_DEP_1) | instskip(NEXT) | instid1(VALU_DEP_1)
	v_lshlrev_b64 v[40:41], 2, v[128:129]
	v_add_co_u32 v40, vcc_lo, v253, v40
	s_delay_alu instid0(VALU_DEP_2)
	v_add_co_ci_u32_e32 v41, vcc_lo, v254, v41, vcc_lo
	s_clause 0x1
	flat_load_b32 v42, v[40:41]
	flat_load_b32 v43, v[253:254] offset:44
	s_waitcnt vmcnt(1) lgkmcnt(1)
	flat_store_b32 v[253:254], v42 offset:44
	s_waitcnt vmcnt(0) lgkmcnt(1)
	flat_store_b32 v[40:41], v43
.LBB58_245:
	s_or_b32 exec_lo, exec_lo, s6
	v_mov_b32_e32 v146, v128
	v_mov_b32_e32 v82, v128
.LBB58_246:
	s_or_b32 exec_lo, exec_lo, s3
.LBB58_247:
	s_and_not1_saveexec_b32 s2, s2
	s_cbranch_execz .LBB58_249
; %bb.248:
	v_mov_b32_e32 v146, 11
	ds_store_2addr_b64 v144, v[249:250], v[251:252] offset0:24 offset1:25
	ds_store_2addr_b64 v144, v[245:246], v[247:248] offset0:26 offset1:27
	;; [unrolled: 1-line block ×18, first 2 shown]
.LBB58_249:
	s_or_b32 exec_lo, exec_lo, s2
	s_delay_alu instid0(SALU_CYCLE_1)
	s_mov_b32 s2, exec_lo
	s_waitcnt lgkmcnt(0)
	s_waitcnt_vscnt null, 0x0
	s_barrier
	buffer_gl0_inv
	v_cmpx_lt_i32_e32 11, v146
	s_cbranch_execz .LBB58_251
; %bb.250:
	v_mul_f64 v[40:41], v[122:123], v[239:240]
	v_dual_mov_b32 v60, v68 :: v_dual_mov_b32 v61, v69
	v_dual_mov_b32 v62, v70 :: v_dual_mov_b32 v63, v71
	s_delay_alu instid0(VALU_DEP_3) | instskip(SKIP_1) | instid1(VALU_DEP_1)
	v_fma_f64 v[128:129], v[120:121], v[237:238], -v[40:41]
	v_mul_f64 v[40:41], v[120:121], v[239:240]
	v_fma_f64 v[239:240], v[122:123], v[237:238], v[40:41]
	ds_load_2addr_b64 v[120:123], v144 offset0:24 offset1:25
	ds_load_2addr_b64 v[130:133], v144 offset0:26 offset1:27
	v_dual_mov_b32 v238, v129 :: v_dual_mov_b32 v237, v128
	s_waitcnt lgkmcnt(1)
	v_mul_f64 v[40:41], v[122:123], v[239:240]
	v_mul_f64 v[42:43], v[120:121], v[239:240]
	s_waitcnt lgkmcnt(0)
	v_mul_f64 v[44:45], v[132:133], v[239:240]
	v_mul_f64 v[46:47], v[130:131], v[239:240]
	s_delay_alu instid0(VALU_DEP_4) | instskip(NEXT) | instid1(VALU_DEP_4)
	v_fma_f64 v[40:41], v[120:121], v[128:129], -v[40:41]
	v_fma_f64 v[42:43], v[122:123], v[128:129], v[42:43]
	s_delay_alu instid0(VALU_DEP_4) | instskip(NEXT) | instid1(VALU_DEP_4)
	v_fma_f64 v[44:45], v[130:131], v[128:129], -v[44:45]
	v_fma_f64 v[46:47], v[132:133], v[128:129], v[46:47]
	ds_load_2addr_b64 v[120:123], v144 offset0:28 offset1:29
	ds_load_2addr_b64 v[130:133], v144 offset0:30 offset1:31
	s_waitcnt lgkmcnt(1)
	v_mul_f64 v[68:69], v[122:123], v[239:240]
	v_mul_f64 v[92:93], v[120:121], v[239:240]
	s_waitcnt lgkmcnt(0)
	v_mul_f64 v[94:95], v[132:133], v[239:240]
	v_mul_f64 v[104:105], v[130:131], v[239:240]
	v_add_f64 v[249:250], v[249:250], -v[40:41]
	v_add_f64 v[251:252], v[251:252], -v[42:43]
	;; [unrolled: 1-line block ×4, first 2 shown]
	v_fma_f64 v[68:69], v[120:121], v[128:129], -v[68:69]
	v_fma_f64 v[92:93], v[122:123], v[128:129], v[92:93]
	v_fma_f64 v[94:95], v[130:131], v[128:129], -v[94:95]
	v_fma_f64 v[104:105], v[132:133], v[128:129], v[104:105]
	ds_load_2addr_b64 v[120:123], v144 offset0:32 offset1:33
	ds_load_2addr_b64 v[130:133], v144 offset0:34 offset1:35
	s_waitcnt lgkmcnt(1)
	v_mul_f64 v[106:107], v[122:123], v[239:240]
	v_mul_f64 v[108:109], v[120:121], v[239:240]
	s_waitcnt lgkmcnt(0)
	v_mul_f64 v[110:111], v[132:133], v[239:240]
	v_mul_f64 v[112:113], v[130:131], v[239:240]
	v_add_f64 v[76:77], v[76:77], -v[68:69]
	v_add_f64 v[78:79], v[78:79], -v[92:93]
	;; [unrolled: 1-line block ×4, first 2 shown]
	v_dual_mov_b32 v71, v63 :: v_dual_mov_b32 v70, v62
	v_dual_mov_b32 v69, v61 :: v_dual_mov_b32 v68, v60
	v_fma_f64 v[106:107], v[120:121], v[128:129], -v[106:107]
	v_fma_f64 v[108:109], v[122:123], v[128:129], v[108:109]
	v_fma_f64 v[110:111], v[130:131], v[128:129], -v[110:111]
	v_fma_f64 v[112:113], v[132:133], v[128:129], v[112:113]
	ds_load_2addr_b64 v[120:123], v144 offset0:36 offset1:37
	ds_load_2addr_b64 v[130:133], v144 offset0:38 offset1:39
	s_waitcnt lgkmcnt(1)
	v_mul_f64 v[114:115], v[122:123], v[239:240]
	v_mul_f64 v[116:117], v[120:121], v[239:240]
	s_waitcnt lgkmcnt(0)
	v_mul_f64 v[118:119], v[132:133], v[239:240]
	v_add_f64 v[241:242], v[241:242], -v[106:107]
	v_add_f64 v[243:244], v[243:244], -v[108:109]
	;; [unrolled: 1-line block ×4, first 2 shown]
	v_fma_f64 v[114:115], v[120:121], v[128:129], -v[114:115]
	v_mul_f64 v[120:121], v[130:131], v[239:240]
	v_fma_f64 v[116:117], v[122:123], v[128:129], v[116:117]
	v_fma_f64 v[118:119], v[130:131], v[128:129], -v[118:119]
	s_delay_alu instid0(VALU_DEP_4) | instskip(NEXT) | instid1(VALU_DEP_4)
	v_add_f64 v[52:53], v[52:53], -v[114:115]
	v_fma_f64 v[124:125], v[132:133], v[128:129], v[120:121]
	ds_load_2addr_b64 v[120:123], v144 offset0:40 offset1:41
	ds_load_2addr_b64 v[130:133], v144 offset0:42 offset1:43
	v_add_f64 v[54:55], v[54:55], -v[116:117]
	v_add_f64 v[48:49], v[48:49], -v[118:119]
	s_waitcnt lgkmcnt(1)
	v_mul_f64 v[126:127], v[122:123], v[239:240]
	v_add_f64 v[50:51], v[50:51], -v[124:125]
	s_delay_alu instid0(VALU_DEP_2) | instskip(SKIP_1) | instid1(VALU_DEP_2)
	v_fma_f64 v[126:127], v[120:121], v[128:129], -v[126:127]
	v_mul_f64 v[120:121], v[120:121], v[239:240]
	v_add_f64 v[36:37], v[36:37], -v[126:127]
	s_delay_alu instid0(VALU_DEP_2) | instskip(SKIP_2) | instid1(VALU_DEP_2)
	v_fma_f64 v[134:135], v[122:123], v[128:129], v[120:121]
	s_waitcnt lgkmcnt(0)
	v_mul_f64 v[120:121], v[132:133], v[239:240]
	v_add_f64 v[38:39], v[38:39], -v[134:135]
	s_delay_alu instid0(VALU_DEP_2) | instskip(SKIP_1) | instid1(VALU_DEP_2)
	v_fma_f64 v[136:137], v[130:131], v[128:129], -v[120:121]
	v_mul_f64 v[120:121], v[130:131], v[239:240]
	v_add_f64 v[32:33], v[32:33], -v[136:137]
	s_delay_alu instid0(VALU_DEP_2)
	v_fma_f64 v[138:139], v[132:133], v[128:129], v[120:121]
	ds_load_2addr_b64 v[120:123], v144 offset0:44 offset1:45
	ds_load_2addr_b64 v[130:133], v144 offset0:46 offset1:47
	s_waitcnt lgkmcnt(1)
	v_mul_f64 v[147:148], v[122:123], v[239:240]
	v_add_f64 v[34:35], v[34:35], -v[138:139]
	s_delay_alu instid0(VALU_DEP_2) | instskip(SKIP_1) | instid1(VALU_DEP_2)
	v_fma_f64 v[147:148], v[120:121], v[128:129], -v[147:148]
	v_mul_f64 v[120:121], v[120:121], v[239:240]
	v_add_f64 v[28:29], v[28:29], -v[147:148]
	s_delay_alu instid0(VALU_DEP_2) | instskip(SKIP_2) | instid1(VALU_DEP_2)
	v_fma_f64 v[149:150], v[122:123], v[128:129], v[120:121]
	s_waitcnt lgkmcnt(0)
	v_mul_f64 v[120:121], v[132:133], v[239:240]
	v_add_f64 v[30:31], v[30:31], -v[149:150]
	s_delay_alu instid0(VALU_DEP_2) | instskip(SKIP_1) | instid1(VALU_DEP_2)
	v_fma_f64 v[151:152], v[130:131], v[128:129], -v[120:121]
	v_mul_f64 v[120:121], v[130:131], v[239:240]
	v_add_f64 v[24:25], v[24:25], -v[151:152]
	s_delay_alu instid0(VALU_DEP_2)
	v_fma_f64 v[153:154], v[132:133], v[128:129], v[120:121]
	ds_load_2addr_b64 v[120:123], v144 offset0:48 offset1:49
	ds_load_2addr_b64 v[130:133], v144 offset0:50 offset1:51
	;; [unrolled: 20-line block ×4, first 2 shown]
	s_waitcnt lgkmcnt(1)
	v_mul_f64 v[171:172], v[122:123], v[239:240]
	v_add_f64 v[10:11], v[10:11], -v[169:170]
	s_delay_alu instid0(VALU_DEP_2) | instskip(SKIP_1) | instid1(VALU_DEP_2)
	v_fma_f64 v[171:172], v[120:121], v[128:129], -v[171:172]
	v_mul_f64 v[120:121], v[120:121], v[239:240]
	v_add_f64 v[219:220], v[219:220], -v[171:172]
	s_delay_alu instid0(VALU_DEP_2) | instskip(SKIP_2) | instid1(VALU_DEP_2)
	v_fma_f64 v[120:121], v[122:123], v[128:129], v[120:121]
	s_waitcnt lgkmcnt(0)
	v_mul_f64 v[122:123], v[132:133], v[239:240]
	v_add_f64 v[221:222], v[221:222], -v[120:121]
	s_delay_alu instid0(VALU_DEP_2) | instskip(SKIP_1) | instid1(VALU_DEP_2)
	v_fma_f64 v[122:123], v[130:131], v[128:129], -v[122:123]
	v_mul_f64 v[130:131], v[130:131], v[239:240]
	v_add_f64 v[0:1], v[0:1], -v[122:123]
	s_delay_alu instid0(VALU_DEP_2) | instskip(NEXT) | instid1(VALU_DEP_1)
	v_fma_f64 v[130:131], v[132:133], v[128:129], v[130:131]
	v_add_f64 v[2:3], v[2:3], -v[130:131]
.LBB58_251:
	s_or_b32 exec_lo, exec_lo, s2
	v_lshl_add_u32 v40, v146, 4, v144
	s_barrier
	buffer_gl0_inv
	v_mov_b32_e32 v128, 12
	ds_store_2addr_b64 v40, v[249:250], v[251:252] offset1:1
	s_waitcnt lgkmcnt(0)
	s_barrier
	buffer_gl0_inv
	ds_load_2addr_b64 v[120:123], v144 offset0:24 offset1:25
	s_cmp_lt_i32 s5, 14
	s_cbranch_scc1 .LBB58_254
; %bb.252:
	v_add3_u32 v129, v80, 0, 0xd0
	v_mov_b32_e32 v128, 12
	s_mov_b32 s6, 13
	s_set_inst_prefetch_distance 0x1
	.p2align	6
.LBB58_253:                             ; =>This Inner Loop Header: Depth=1
	ds_load_2addr_b64 v[130:133], v129 offset1:1
	s_waitcnt lgkmcnt(1)
	v_cmp_gt_f64_e32 vcc_lo, 0, v[120:121]
	v_xor_b32_e32 v40, 0x80000000, v121
	v_cmp_gt_f64_e64 s2, 0, v[122:123]
	v_xor_b32_e32 v42, 0x80000000, v123
	v_add_nc_u32_e32 v129, 16, v129
	s_waitcnt lgkmcnt(0)
	v_cmp_gt_f64_e64 s3, 0, v[130:131]
	v_mov_b32_e32 v44, v130
	v_dual_mov_b32 v46, v132 :: v_dual_cndmask_b32 v41, v121, v40
	v_xor_b32_e32 v40, 0x80000000, v131
	v_cndmask_b32_e64 v43, v123, v42, s2
	v_xor_b32_e32 v42, 0x80000000, v133
	s_delay_alu instid0(VALU_DEP_3) | instskip(SKIP_2) | instid1(VALU_DEP_2)
	v_cndmask_b32_e64 v45, v131, v40, s3
	v_cmp_gt_f64_e64 s3, 0, v[132:133]
	v_cndmask_b32_e32 v40, v120, v120, vcc_lo
	v_cndmask_b32_e64 v47, v133, v42, s3
	v_cndmask_b32_e64 v42, v122, v122, s2
	s_delay_alu instid0(VALU_DEP_2) | instskip(NEXT) | instid1(VALU_DEP_2)
	v_add_f64 v[44:45], v[44:45], v[46:47]
	v_add_f64 v[40:41], v[40:41], v[42:43]
	s_delay_alu instid0(VALU_DEP_1)
	v_cmp_lt_f64_e32 vcc_lo, v[40:41], v[44:45]
	v_cndmask_b32_e32 v123, v123, v133, vcc_lo
	v_dual_cndmask_b32 v121, v121, v131 :: v_dual_cndmask_b32 v120, v120, v130
	v_cndmask_b32_e32 v122, v122, v132, vcc_lo
	v_cndmask_b32_e64 v128, v128, s6, vcc_lo
	s_add_i32 s6, s6, 1
	s_delay_alu instid0(SALU_CYCLE_1)
	s_cmp_lg_u32 s5, s6
	s_cbranch_scc1 .LBB58_253
.LBB58_254:
	s_set_inst_prefetch_distance 0x2
	s_waitcnt lgkmcnt(0)
	v_cmp_eq_f64_e32 vcc_lo, 0, v[120:121]
	v_cmp_eq_f64_e64 s2, 0, v[122:123]
	s_delay_alu instid0(VALU_DEP_1) | instskip(NEXT) | instid1(SALU_CYCLE_1)
	s_and_b32 s2, vcc_lo, s2
	s_and_saveexec_b32 s3, s2
	s_delay_alu instid0(SALU_CYCLE_1)
	s_xor_b32 s2, exec_lo, s3
; %bb.255:
	v_cmp_ne_u32_e32 vcc_lo, 0, v83
	v_cndmask_b32_e32 v83, 13, v83, vcc_lo
; %bb.256:
	s_and_not1_saveexec_b32 s3, s2
	s_cbranch_execz .LBB58_262
; %bb.257:
	v_cmp_gt_f64_e32 vcc_lo, 0, v[120:121]
	v_cmp_gt_f64_e64 s2, 0, v[122:123]
	v_xor_b32_e32 v40, 0x80000000, v121
	v_xor_b32_e32 v42, 0x80000000, v123
	s_delay_alu instid0(VALU_DEP_2) | instskip(NEXT) | instid1(VALU_DEP_2)
	v_cndmask_b32_e32 v41, v121, v40, vcc_lo
	v_cndmask_b32_e64 v43, v123, v42, s2
	v_cndmask_b32_e32 v40, v120, v120, vcc_lo
	v_cndmask_b32_e64 v42, v122, v122, s2
	s_mov_b32 s2, exec_lo
	s_delay_alu instid0(VALU_DEP_1)
	v_cmpx_ngt_f64_e32 v[40:41], v[42:43]
	s_xor_b32 s2, exec_lo, s2
	s_cbranch_execz .LBB58_259
; %bb.258:
	v_div_scale_f64 v[40:41], null, v[122:123], v[122:123], v[120:121]
	v_div_scale_f64 v[46:47], vcc_lo, v[120:121], v[122:123], v[120:121]
	s_delay_alu instid0(VALU_DEP_2) | instskip(SKIP_2) | instid1(VALU_DEP_1)
	v_rcp_f64_e32 v[42:43], v[40:41]
	s_waitcnt_depctr 0xfff
	v_fma_f64 v[44:45], -v[40:41], v[42:43], 1.0
	v_fma_f64 v[42:43], v[42:43], v[44:45], v[42:43]
	s_delay_alu instid0(VALU_DEP_1) | instskip(NEXT) | instid1(VALU_DEP_1)
	v_fma_f64 v[44:45], -v[40:41], v[42:43], 1.0
	v_fma_f64 v[42:43], v[42:43], v[44:45], v[42:43]
	s_delay_alu instid0(VALU_DEP_1) | instskip(NEXT) | instid1(VALU_DEP_1)
	v_mul_f64 v[44:45], v[46:47], v[42:43]
	v_fma_f64 v[40:41], -v[40:41], v[44:45], v[46:47]
	s_delay_alu instid0(VALU_DEP_1) | instskip(NEXT) | instid1(VALU_DEP_1)
	v_div_fmas_f64 v[40:41], v[40:41], v[42:43], v[44:45]
	v_div_fixup_f64 v[40:41], v[40:41], v[122:123], v[120:121]
	s_delay_alu instid0(VALU_DEP_1) | instskip(NEXT) | instid1(VALU_DEP_1)
	v_fma_f64 v[42:43], v[120:121], v[40:41], v[122:123]
	v_div_scale_f64 v[44:45], null, v[42:43], v[42:43], 1.0
	s_delay_alu instid0(VALU_DEP_1) | instskip(SKIP_2) | instid1(VALU_DEP_1)
	v_rcp_f64_e32 v[46:47], v[44:45]
	s_waitcnt_depctr 0xfff
	v_fma_f64 v[92:93], -v[44:45], v[46:47], 1.0
	v_fma_f64 v[46:47], v[46:47], v[92:93], v[46:47]
	s_delay_alu instid0(VALU_DEP_1) | instskip(NEXT) | instid1(VALU_DEP_1)
	v_fma_f64 v[92:93], -v[44:45], v[46:47], 1.0
	v_fma_f64 v[46:47], v[46:47], v[92:93], v[46:47]
	v_div_scale_f64 v[92:93], vcc_lo, 1.0, v[42:43], 1.0
	s_delay_alu instid0(VALU_DEP_1) | instskip(NEXT) | instid1(VALU_DEP_1)
	v_mul_f64 v[94:95], v[92:93], v[46:47]
	v_fma_f64 v[44:45], -v[44:45], v[94:95], v[92:93]
	s_delay_alu instid0(VALU_DEP_1) | instskip(NEXT) | instid1(VALU_DEP_1)
	v_div_fmas_f64 v[44:45], v[44:45], v[46:47], v[94:95]
	v_div_fixup_f64 v[122:123], v[44:45], v[42:43], 1.0
	s_delay_alu instid0(VALU_DEP_1)
	v_mul_f64 v[120:121], v[40:41], v[122:123]
	v_xor_b32_e32 v123, 0x80000000, v123
.LBB58_259:
	s_and_not1_saveexec_b32 s2, s2
	s_cbranch_execz .LBB58_261
; %bb.260:
	s_delay_alu instid0(VALU_DEP_1) | instskip(SKIP_1) | instid1(VALU_DEP_2)
	v_div_scale_f64 v[40:41], null, v[120:121], v[120:121], v[122:123]
	v_div_scale_f64 v[46:47], vcc_lo, v[122:123], v[120:121], v[122:123]
	v_rcp_f64_e32 v[42:43], v[40:41]
	s_waitcnt_depctr 0xfff
	v_fma_f64 v[44:45], -v[40:41], v[42:43], 1.0
	s_delay_alu instid0(VALU_DEP_1) | instskip(NEXT) | instid1(VALU_DEP_1)
	v_fma_f64 v[42:43], v[42:43], v[44:45], v[42:43]
	v_fma_f64 v[44:45], -v[40:41], v[42:43], 1.0
	s_delay_alu instid0(VALU_DEP_1) | instskip(NEXT) | instid1(VALU_DEP_1)
	v_fma_f64 v[42:43], v[42:43], v[44:45], v[42:43]
	v_mul_f64 v[44:45], v[46:47], v[42:43]
	s_delay_alu instid0(VALU_DEP_1) | instskip(NEXT) | instid1(VALU_DEP_1)
	v_fma_f64 v[40:41], -v[40:41], v[44:45], v[46:47]
	v_div_fmas_f64 v[40:41], v[40:41], v[42:43], v[44:45]
	s_delay_alu instid0(VALU_DEP_1) | instskip(NEXT) | instid1(VALU_DEP_1)
	v_div_fixup_f64 v[40:41], v[40:41], v[120:121], v[122:123]
	v_fma_f64 v[42:43], v[122:123], v[40:41], v[120:121]
	s_delay_alu instid0(VALU_DEP_1) | instskip(NEXT) | instid1(VALU_DEP_1)
	v_div_scale_f64 v[44:45], null, v[42:43], v[42:43], 1.0
	v_rcp_f64_e32 v[46:47], v[44:45]
	s_waitcnt_depctr 0xfff
	v_fma_f64 v[92:93], -v[44:45], v[46:47], 1.0
	s_delay_alu instid0(VALU_DEP_1) | instskip(NEXT) | instid1(VALU_DEP_1)
	v_fma_f64 v[46:47], v[46:47], v[92:93], v[46:47]
	v_fma_f64 v[92:93], -v[44:45], v[46:47], 1.0
	s_delay_alu instid0(VALU_DEP_1) | instskip(SKIP_1) | instid1(VALU_DEP_1)
	v_fma_f64 v[46:47], v[46:47], v[92:93], v[46:47]
	v_div_scale_f64 v[92:93], vcc_lo, 1.0, v[42:43], 1.0
	v_mul_f64 v[94:95], v[92:93], v[46:47]
	s_delay_alu instid0(VALU_DEP_1) | instskip(NEXT) | instid1(VALU_DEP_1)
	v_fma_f64 v[44:45], -v[44:45], v[94:95], v[92:93]
	v_div_fmas_f64 v[44:45], v[44:45], v[46:47], v[94:95]
	s_delay_alu instid0(VALU_DEP_1) | instskip(NEXT) | instid1(VALU_DEP_1)
	v_div_fixup_f64 v[120:121], v[44:45], v[42:43], 1.0
	v_mul_f64 v[122:123], v[40:41], -v[120:121]
.LBB58_261:
	s_or_b32 exec_lo, exec_lo, s2
.LBB58_262:
	s_delay_alu instid0(SALU_CYCLE_1) | instskip(NEXT) | instid1(SALU_CYCLE_1)
	s_or_b32 exec_lo, exec_lo, s3
	s_mov_b32 s2, exec_lo
	v_cmpx_ne_u32_e64 v146, v128
	s_xor_b32 s2, exec_lo, s2
	s_cbranch_execz .LBB58_268
; %bb.263:
	s_mov_b32 s3, exec_lo
	v_cmpx_eq_u32_e32 12, v146
	s_cbranch_execz .LBB58_267
; %bb.264:
	v_cmp_ne_u32_e32 vcc_lo, 12, v128
	s_xor_b32 s6, s4, -1
	s_delay_alu instid0(SALU_CYCLE_1) | instskip(NEXT) | instid1(SALU_CYCLE_1)
	s_and_b32 s7, s6, vcc_lo
	s_and_saveexec_b32 s6, s7
	s_cbranch_execz .LBB58_266
; %bb.265:
	v_ashrrev_i32_e32 v129, 31, v128
	s_delay_alu instid0(VALU_DEP_1) | instskip(NEXT) | instid1(VALU_DEP_1)
	v_lshlrev_b64 v[40:41], 2, v[128:129]
	v_add_co_u32 v40, vcc_lo, v253, v40
	s_delay_alu instid0(VALU_DEP_2)
	v_add_co_ci_u32_e32 v41, vcc_lo, v254, v41, vcc_lo
	s_clause 0x1
	flat_load_b32 v42, v[40:41]
	flat_load_b32 v43, v[253:254] offset:48
	s_waitcnt vmcnt(1) lgkmcnt(1)
	flat_store_b32 v[253:254], v42 offset:48
	s_waitcnt vmcnt(0) lgkmcnt(1)
	flat_store_b32 v[40:41], v43
.LBB58_266:
	s_or_b32 exec_lo, exec_lo, s6
	v_mov_b32_e32 v146, v128
	v_mov_b32_e32 v82, v128
.LBB58_267:
	s_or_b32 exec_lo, exec_lo, s3
.LBB58_268:
	s_and_not1_saveexec_b32 s2, s2
	s_cbranch_execz .LBB58_270
; %bb.269:
	v_mov_b32_e32 v146, 12
	ds_store_2addr_b64 v144, v[245:246], v[247:248] offset0:26 offset1:27
	ds_store_2addr_b64 v144, v[76:77], v[78:79] offset0:28 offset1:29
	ds_store_2addr_b64 v144, v[64:65], v[66:67] offset0:30 offset1:31
	ds_store_2addr_b64 v144, v[241:242], v[243:244] offset0:32 offset1:33
	ds_store_2addr_b64 v144, v[56:57], v[58:59] offset0:34 offset1:35
	ds_store_2addr_b64 v144, v[52:53], v[54:55] offset0:36 offset1:37
	ds_store_2addr_b64 v144, v[48:49], v[50:51] offset0:38 offset1:39
	ds_store_2addr_b64 v144, v[36:37], v[38:39] offset0:40 offset1:41
	ds_store_2addr_b64 v144, v[32:33], v[34:35] offset0:42 offset1:43
	ds_store_2addr_b64 v144, v[28:29], v[30:31] offset0:44 offset1:45
	ds_store_2addr_b64 v144, v[24:25], v[26:27] offset0:46 offset1:47
	ds_store_2addr_b64 v144, v[140:141], v[142:143] offset0:48 offset1:49
	ds_store_2addr_b64 v144, v[16:17], v[18:19] offset0:50 offset1:51
	ds_store_2addr_b64 v144, v[12:13], v[14:15] offset0:52 offset1:53
	ds_store_2addr_b64 v144, v[8:9], v[10:11] offset0:54 offset1:55
	ds_store_2addr_b64 v144, v[219:220], v[221:222] offset0:56 offset1:57
	ds_store_2addr_b64 v144, v[0:1], v[2:3] offset0:58 offset1:59
.LBB58_270:
	s_or_b32 exec_lo, exec_lo, s2
	s_delay_alu instid0(SALU_CYCLE_1)
	s_mov_b32 s2, exec_lo
	s_waitcnt lgkmcnt(0)
	s_waitcnt_vscnt null, 0x0
	s_barrier
	buffer_gl0_inv
	v_cmpx_lt_i32_e32 12, v146
	s_cbranch_execz .LBB58_272
; %bb.271:
	v_mul_f64 v[40:41], v[122:123], v[251:252]
	v_dual_mov_b32 v20, v96 :: v_dual_mov_b32 v21, v97
	v_dual_mov_b32 v22, v98 :: v_dual_mov_b32 v23, v99
	s_delay_alu instid0(VALU_DEP_3) | instskip(SKIP_1) | instid1(VALU_DEP_1)
	v_fma_f64 v[128:129], v[120:121], v[249:250], -v[40:41]
	v_mul_f64 v[40:41], v[120:121], v[251:252]
	v_fma_f64 v[251:252], v[122:123], v[249:250], v[40:41]
	ds_load_2addr_b64 v[120:123], v144 offset0:26 offset1:27
	ds_load_2addr_b64 v[130:133], v144 offset0:28 offset1:29
	v_dual_mov_b32 v250, v129 :: v_dual_mov_b32 v249, v128
	s_waitcnt lgkmcnt(1)
	v_mul_f64 v[40:41], v[122:123], v[251:252]
	v_mul_f64 v[42:43], v[120:121], v[251:252]
	s_waitcnt lgkmcnt(0)
	v_mul_f64 v[44:45], v[132:133], v[251:252]
	v_mul_f64 v[46:47], v[130:131], v[251:252]
	s_delay_alu instid0(VALU_DEP_4) | instskip(NEXT) | instid1(VALU_DEP_4)
	v_fma_f64 v[40:41], v[120:121], v[128:129], -v[40:41]
	v_fma_f64 v[42:43], v[122:123], v[128:129], v[42:43]
	s_delay_alu instid0(VALU_DEP_4) | instskip(NEXT) | instid1(VALU_DEP_4)
	v_fma_f64 v[44:45], v[130:131], v[128:129], -v[44:45]
	v_fma_f64 v[46:47], v[132:133], v[128:129], v[46:47]
	ds_load_2addr_b64 v[120:123], v144 offset0:30 offset1:31
	ds_load_2addr_b64 v[130:133], v144 offset0:32 offset1:33
	s_waitcnt lgkmcnt(1)
	v_mul_f64 v[92:93], v[122:123], v[251:252]
	v_mul_f64 v[94:95], v[120:121], v[251:252]
	s_waitcnt lgkmcnt(0)
	v_mul_f64 v[96:97], v[132:133], v[251:252]
	v_mul_f64 v[104:105], v[130:131], v[251:252]
	v_add_f64 v[245:246], v[245:246], -v[40:41]
	v_add_f64 v[247:248], v[247:248], -v[42:43]
	;; [unrolled: 1-line block ×4, first 2 shown]
	v_fma_f64 v[92:93], v[120:121], v[128:129], -v[92:93]
	v_fma_f64 v[94:95], v[122:123], v[128:129], v[94:95]
	v_fma_f64 v[96:97], v[130:131], v[128:129], -v[96:97]
	v_fma_f64 v[104:105], v[132:133], v[128:129], v[104:105]
	ds_load_2addr_b64 v[120:123], v144 offset0:34 offset1:35
	ds_load_2addr_b64 v[130:133], v144 offset0:36 offset1:37
	s_waitcnt lgkmcnt(1)
	v_mul_f64 v[106:107], v[122:123], v[251:252]
	v_mul_f64 v[108:109], v[120:121], v[251:252]
	s_waitcnt lgkmcnt(0)
	v_mul_f64 v[110:111], v[132:133], v[251:252]
	v_mul_f64 v[112:113], v[130:131], v[251:252]
	v_add_f64 v[64:65], v[64:65], -v[92:93]
	v_add_f64 v[66:67], v[66:67], -v[94:95]
	;; [unrolled: 1-line block ×4, first 2 shown]
	v_dual_mov_b32 v99, v23 :: v_dual_mov_b32 v98, v22
	v_dual_mov_b32 v97, v21 :: v_dual_mov_b32 v96, v20
	v_fma_f64 v[106:107], v[120:121], v[128:129], -v[106:107]
	v_fma_f64 v[108:109], v[122:123], v[128:129], v[108:109]
	v_fma_f64 v[110:111], v[130:131], v[128:129], -v[110:111]
	v_fma_f64 v[112:113], v[132:133], v[128:129], v[112:113]
	ds_load_2addr_b64 v[120:123], v144 offset0:38 offset1:39
	ds_load_2addr_b64 v[130:133], v144 offset0:40 offset1:41
	s_waitcnt lgkmcnt(1)
	v_mul_f64 v[114:115], v[122:123], v[251:252]
	v_mul_f64 v[116:117], v[120:121], v[251:252]
	s_waitcnt lgkmcnt(0)
	v_mul_f64 v[118:119], v[132:133], v[251:252]
	v_add_f64 v[56:57], v[56:57], -v[106:107]
	v_add_f64 v[58:59], v[58:59], -v[108:109]
	v_add_f64 v[52:53], v[52:53], -v[110:111]
	v_add_f64 v[54:55], v[54:55], -v[112:113]
	v_fma_f64 v[114:115], v[120:121], v[128:129], -v[114:115]
	v_mul_f64 v[120:121], v[130:131], v[251:252]
	v_fma_f64 v[116:117], v[122:123], v[128:129], v[116:117]
	v_fma_f64 v[118:119], v[130:131], v[128:129], -v[118:119]
	s_delay_alu instid0(VALU_DEP_4) | instskip(NEXT) | instid1(VALU_DEP_4)
	v_add_f64 v[48:49], v[48:49], -v[114:115]
	v_fma_f64 v[124:125], v[132:133], v[128:129], v[120:121]
	ds_load_2addr_b64 v[120:123], v144 offset0:42 offset1:43
	ds_load_2addr_b64 v[130:133], v144 offset0:44 offset1:45
	v_add_f64 v[50:51], v[50:51], -v[116:117]
	v_add_f64 v[36:37], v[36:37], -v[118:119]
	s_waitcnt lgkmcnt(1)
	v_mul_f64 v[126:127], v[122:123], v[251:252]
	v_add_f64 v[38:39], v[38:39], -v[124:125]
	s_delay_alu instid0(VALU_DEP_2) | instskip(SKIP_1) | instid1(VALU_DEP_2)
	v_fma_f64 v[126:127], v[120:121], v[128:129], -v[126:127]
	v_mul_f64 v[120:121], v[120:121], v[251:252]
	v_add_f64 v[32:33], v[32:33], -v[126:127]
	s_delay_alu instid0(VALU_DEP_2) | instskip(SKIP_2) | instid1(VALU_DEP_2)
	v_fma_f64 v[134:135], v[122:123], v[128:129], v[120:121]
	s_waitcnt lgkmcnt(0)
	v_mul_f64 v[120:121], v[132:133], v[251:252]
	v_add_f64 v[34:35], v[34:35], -v[134:135]
	s_delay_alu instid0(VALU_DEP_2) | instskip(SKIP_1) | instid1(VALU_DEP_2)
	v_fma_f64 v[136:137], v[130:131], v[128:129], -v[120:121]
	v_mul_f64 v[120:121], v[130:131], v[251:252]
	v_add_f64 v[28:29], v[28:29], -v[136:137]
	s_delay_alu instid0(VALU_DEP_2)
	v_fma_f64 v[138:139], v[132:133], v[128:129], v[120:121]
	ds_load_2addr_b64 v[120:123], v144 offset0:46 offset1:47
	ds_load_2addr_b64 v[130:133], v144 offset0:48 offset1:49
	s_waitcnt lgkmcnt(1)
	v_mul_f64 v[147:148], v[122:123], v[251:252]
	v_add_f64 v[30:31], v[30:31], -v[138:139]
	s_delay_alu instid0(VALU_DEP_2) | instskip(SKIP_1) | instid1(VALU_DEP_2)
	v_fma_f64 v[147:148], v[120:121], v[128:129], -v[147:148]
	v_mul_f64 v[120:121], v[120:121], v[251:252]
	v_add_f64 v[24:25], v[24:25], -v[147:148]
	s_delay_alu instid0(VALU_DEP_2) | instskip(SKIP_2) | instid1(VALU_DEP_2)
	v_fma_f64 v[149:150], v[122:123], v[128:129], v[120:121]
	s_waitcnt lgkmcnt(0)
	v_mul_f64 v[120:121], v[132:133], v[251:252]
	v_add_f64 v[26:27], v[26:27], -v[149:150]
	s_delay_alu instid0(VALU_DEP_2) | instskip(SKIP_1) | instid1(VALU_DEP_2)
	v_fma_f64 v[151:152], v[130:131], v[128:129], -v[120:121]
	v_mul_f64 v[120:121], v[130:131], v[251:252]
	v_add_f64 v[140:141], v[140:141], -v[151:152]
	s_delay_alu instid0(VALU_DEP_2)
	v_fma_f64 v[153:154], v[132:133], v[128:129], v[120:121]
	ds_load_2addr_b64 v[120:123], v144 offset0:50 offset1:51
	ds_load_2addr_b64 v[130:133], v144 offset0:52 offset1:53
	;; [unrolled: 20-line block ×3, first 2 shown]
	s_waitcnt lgkmcnt(1)
	v_mul_f64 v[163:164], v[122:123], v[251:252]
	v_add_f64 v[14:15], v[14:15], -v[161:162]
	s_delay_alu instid0(VALU_DEP_2) | instskip(SKIP_1) | instid1(VALU_DEP_2)
	v_fma_f64 v[163:164], v[120:121], v[128:129], -v[163:164]
	v_mul_f64 v[120:121], v[120:121], v[251:252]
	v_add_f64 v[8:9], v[8:9], -v[163:164]
	s_delay_alu instid0(VALU_DEP_2) | instskip(SKIP_2) | instid1(VALU_DEP_2)
	v_fma_f64 v[165:166], v[122:123], v[128:129], v[120:121]
	s_waitcnt lgkmcnt(0)
	v_mul_f64 v[120:121], v[132:133], v[251:252]
	v_add_f64 v[10:11], v[10:11], -v[165:166]
	s_delay_alu instid0(VALU_DEP_2) | instskip(SKIP_1) | instid1(VALU_DEP_2)
	v_fma_f64 v[167:168], v[130:131], v[128:129], -v[120:121]
	v_mul_f64 v[120:121], v[130:131], v[251:252]
	v_add_f64 v[219:220], v[219:220], -v[167:168]
	s_delay_alu instid0(VALU_DEP_2) | instskip(SKIP_4) | instid1(VALU_DEP_2)
	v_fma_f64 v[130:131], v[132:133], v[128:129], v[120:121]
	ds_load_2addr_b64 v[120:123], v144 offset0:58 offset1:59
	s_waitcnt lgkmcnt(0)
	v_mul_f64 v[132:133], v[122:123], v[251:252]
	v_add_f64 v[221:222], v[221:222], -v[130:131]
	v_fma_f64 v[132:133], v[120:121], v[128:129], -v[132:133]
	v_mul_f64 v[120:121], v[120:121], v[251:252]
	s_delay_alu instid0(VALU_DEP_2) | instskip(NEXT) | instid1(VALU_DEP_2)
	v_add_f64 v[0:1], v[0:1], -v[132:133]
	v_fma_f64 v[120:121], v[122:123], v[128:129], v[120:121]
	s_delay_alu instid0(VALU_DEP_1)
	v_add_f64 v[2:3], v[2:3], -v[120:121]
.LBB58_272:
	s_or_b32 exec_lo, exec_lo, s2
	v_lshl_add_u32 v40, v146, 4, v144
	s_barrier
	buffer_gl0_inv
	v_mov_b32_e32 v128, 13
	ds_store_2addr_b64 v40, v[245:246], v[247:248] offset1:1
	s_waitcnt lgkmcnt(0)
	s_barrier
	buffer_gl0_inv
	ds_load_2addr_b64 v[120:123], v144 offset0:26 offset1:27
	s_cmp_lt_i32 s5, 15
	s_cbranch_scc1 .LBB58_275
; %bb.273:
	v_add3_u32 v129, v80, 0, 0xe0
	v_mov_b32_e32 v128, 13
	s_mov_b32 s6, 14
	s_set_inst_prefetch_distance 0x1
	.p2align	6
.LBB58_274:                             ; =>This Inner Loop Header: Depth=1
	ds_load_2addr_b64 v[130:133], v129 offset1:1
	s_waitcnt lgkmcnt(1)
	v_cmp_gt_f64_e32 vcc_lo, 0, v[120:121]
	v_xor_b32_e32 v40, 0x80000000, v121
	v_cmp_gt_f64_e64 s2, 0, v[122:123]
	v_xor_b32_e32 v42, 0x80000000, v123
	v_add_nc_u32_e32 v129, 16, v129
	s_waitcnt lgkmcnt(0)
	v_cmp_gt_f64_e64 s3, 0, v[130:131]
	v_mov_b32_e32 v44, v130
	v_dual_mov_b32 v46, v132 :: v_dual_cndmask_b32 v41, v121, v40
	v_xor_b32_e32 v40, 0x80000000, v131
	v_cndmask_b32_e64 v43, v123, v42, s2
	v_xor_b32_e32 v42, 0x80000000, v133
	s_delay_alu instid0(VALU_DEP_3) | instskip(SKIP_2) | instid1(VALU_DEP_2)
	v_cndmask_b32_e64 v45, v131, v40, s3
	v_cmp_gt_f64_e64 s3, 0, v[132:133]
	v_cndmask_b32_e32 v40, v120, v120, vcc_lo
	v_cndmask_b32_e64 v47, v133, v42, s3
	v_cndmask_b32_e64 v42, v122, v122, s2
	s_delay_alu instid0(VALU_DEP_2) | instskip(NEXT) | instid1(VALU_DEP_2)
	v_add_f64 v[44:45], v[44:45], v[46:47]
	v_add_f64 v[40:41], v[40:41], v[42:43]
	s_delay_alu instid0(VALU_DEP_1)
	v_cmp_lt_f64_e32 vcc_lo, v[40:41], v[44:45]
	v_cndmask_b32_e32 v123, v123, v133, vcc_lo
	v_dual_cndmask_b32 v121, v121, v131 :: v_dual_cndmask_b32 v120, v120, v130
	v_cndmask_b32_e32 v122, v122, v132, vcc_lo
	v_cndmask_b32_e64 v128, v128, s6, vcc_lo
	s_add_i32 s6, s6, 1
	s_delay_alu instid0(SALU_CYCLE_1)
	s_cmp_lg_u32 s5, s6
	s_cbranch_scc1 .LBB58_274
.LBB58_275:
	s_set_inst_prefetch_distance 0x2
	s_waitcnt lgkmcnt(0)
	v_cmp_eq_f64_e32 vcc_lo, 0, v[120:121]
	v_cmp_eq_f64_e64 s2, 0, v[122:123]
	s_delay_alu instid0(VALU_DEP_1) | instskip(NEXT) | instid1(SALU_CYCLE_1)
	s_and_b32 s2, vcc_lo, s2
	s_and_saveexec_b32 s3, s2
	s_delay_alu instid0(SALU_CYCLE_1)
	s_xor_b32 s2, exec_lo, s3
; %bb.276:
	v_cmp_ne_u32_e32 vcc_lo, 0, v83
	v_cndmask_b32_e32 v83, 14, v83, vcc_lo
; %bb.277:
	s_and_not1_saveexec_b32 s3, s2
	s_cbranch_execz .LBB58_283
; %bb.278:
	v_cmp_gt_f64_e32 vcc_lo, 0, v[120:121]
	v_cmp_gt_f64_e64 s2, 0, v[122:123]
	v_xor_b32_e32 v40, 0x80000000, v121
	v_xor_b32_e32 v42, 0x80000000, v123
	s_delay_alu instid0(VALU_DEP_2) | instskip(NEXT) | instid1(VALU_DEP_2)
	v_cndmask_b32_e32 v41, v121, v40, vcc_lo
	v_cndmask_b32_e64 v43, v123, v42, s2
	v_cndmask_b32_e32 v40, v120, v120, vcc_lo
	v_cndmask_b32_e64 v42, v122, v122, s2
	s_mov_b32 s2, exec_lo
	s_delay_alu instid0(VALU_DEP_1)
	v_cmpx_ngt_f64_e32 v[40:41], v[42:43]
	s_xor_b32 s2, exec_lo, s2
	s_cbranch_execz .LBB58_280
; %bb.279:
	v_div_scale_f64 v[40:41], null, v[122:123], v[122:123], v[120:121]
	v_div_scale_f64 v[46:47], vcc_lo, v[120:121], v[122:123], v[120:121]
	s_delay_alu instid0(VALU_DEP_2) | instskip(SKIP_2) | instid1(VALU_DEP_1)
	v_rcp_f64_e32 v[42:43], v[40:41]
	s_waitcnt_depctr 0xfff
	v_fma_f64 v[44:45], -v[40:41], v[42:43], 1.0
	v_fma_f64 v[42:43], v[42:43], v[44:45], v[42:43]
	s_delay_alu instid0(VALU_DEP_1) | instskip(NEXT) | instid1(VALU_DEP_1)
	v_fma_f64 v[44:45], -v[40:41], v[42:43], 1.0
	v_fma_f64 v[42:43], v[42:43], v[44:45], v[42:43]
	s_delay_alu instid0(VALU_DEP_1) | instskip(NEXT) | instid1(VALU_DEP_1)
	v_mul_f64 v[44:45], v[46:47], v[42:43]
	v_fma_f64 v[40:41], -v[40:41], v[44:45], v[46:47]
	s_delay_alu instid0(VALU_DEP_1) | instskip(NEXT) | instid1(VALU_DEP_1)
	v_div_fmas_f64 v[40:41], v[40:41], v[42:43], v[44:45]
	v_div_fixup_f64 v[40:41], v[40:41], v[122:123], v[120:121]
	s_delay_alu instid0(VALU_DEP_1) | instskip(NEXT) | instid1(VALU_DEP_1)
	v_fma_f64 v[42:43], v[120:121], v[40:41], v[122:123]
	v_div_scale_f64 v[44:45], null, v[42:43], v[42:43], 1.0
	s_delay_alu instid0(VALU_DEP_1) | instskip(SKIP_2) | instid1(VALU_DEP_1)
	v_rcp_f64_e32 v[46:47], v[44:45]
	s_waitcnt_depctr 0xfff
	v_fma_f64 v[92:93], -v[44:45], v[46:47], 1.0
	v_fma_f64 v[46:47], v[46:47], v[92:93], v[46:47]
	s_delay_alu instid0(VALU_DEP_1) | instskip(NEXT) | instid1(VALU_DEP_1)
	v_fma_f64 v[92:93], -v[44:45], v[46:47], 1.0
	v_fma_f64 v[46:47], v[46:47], v[92:93], v[46:47]
	v_div_scale_f64 v[92:93], vcc_lo, 1.0, v[42:43], 1.0
	s_delay_alu instid0(VALU_DEP_1) | instskip(NEXT) | instid1(VALU_DEP_1)
	v_mul_f64 v[94:95], v[92:93], v[46:47]
	v_fma_f64 v[44:45], -v[44:45], v[94:95], v[92:93]
	s_delay_alu instid0(VALU_DEP_1) | instskip(NEXT) | instid1(VALU_DEP_1)
	v_div_fmas_f64 v[44:45], v[44:45], v[46:47], v[94:95]
	v_div_fixup_f64 v[122:123], v[44:45], v[42:43], 1.0
	s_delay_alu instid0(VALU_DEP_1)
	v_mul_f64 v[120:121], v[40:41], v[122:123]
	v_xor_b32_e32 v123, 0x80000000, v123
.LBB58_280:
	s_and_not1_saveexec_b32 s2, s2
	s_cbranch_execz .LBB58_282
; %bb.281:
	s_delay_alu instid0(VALU_DEP_1) | instskip(SKIP_1) | instid1(VALU_DEP_2)
	v_div_scale_f64 v[40:41], null, v[120:121], v[120:121], v[122:123]
	v_div_scale_f64 v[46:47], vcc_lo, v[122:123], v[120:121], v[122:123]
	v_rcp_f64_e32 v[42:43], v[40:41]
	s_waitcnt_depctr 0xfff
	v_fma_f64 v[44:45], -v[40:41], v[42:43], 1.0
	s_delay_alu instid0(VALU_DEP_1) | instskip(NEXT) | instid1(VALU_DEP_1)
	v_fma_f64 v[42:43], v[42:43], v[44:45], v[42:43]
	v_fma_f64 v[44:45], -v[40:41], v[42:43], 1.0
	s_delay_alu instid0(VALU_DEP_1) | instskip(NEXT) | instid1(VALU_DEP_1)
	v_fma_f64 v[42:43], v[42:43], v[44:45], v[42:43]
	v_mul_f64 v[44:45], v[46:47], v[42:43]
	s_delay_alu instid0(VALU_DEP_1) | instskip(NEXT) | instid1(VALU_DEP_1)
	v_fma_f64 v[40:41], -v[40:41], v[44:45], v[46:47]
	v_div_fmas_f64 v[40:41], v[40:41], v[42:43], v[44:45]
	s_delay_alu instid0(VALU_DEP_1) | instskip(NEXT) | instid1(VALU_DEP_1)
	v_div_fixup_f64 v[40:41], v[40:41], v[120:121], v[122:123]
	v_fma_f64 v[42:43], v[122:123], v[40:41], v[120:121]
	s_delay_alu instid0(VALU_DEP_1) | instskip(NEXT) | instid1(VALU_DEP_1)
	v_div_scale_f64 v[44:45], null, v[42:43], v[42:43], 1.0
	v_rcp_f64_e32 v[46:47], v[44:45]
	s_waitcnt_depctr 0xfff
	v_fma_f64 v[92:93], -v[44:45], v[46:47], 1.0
	s_delay_alu instid0(VALU_DEP_1) | instskip(NEXT) | instid1(VALU_DEP_1)
	v_fma_f64 v[46:47], v[46:47], v[92:93], v[46:47]
	v_fma_f64 v[92:93], -v[44:45], v[46:47], 1.0
	s_delay_alu instid0(VALU_DEP_1) | instskip(SKIP_1) | instid1(VALU_DEP_1)
	v_fma_f64 v[46:47], v[46:47], v[92:93], v[46:47]
	v_div_scale_f64 v[92:93], vcc_lo, 1.0, v[42:43], 1.0
	v_mul_f64 v[94:95], v[92:93], v[46:47]
	s_delay_alu instid0(VALU_DEP_1) | instskip(NEXT) | instid1(VALU_DEP_1)
	v_fma_f64 v[44:45], -v[44:45], v[94:95], v[92:93]
	v_div_fmas_f64 v[44:45], v[44:45], v[46:47], v[94:95]
	s_delay_alu instid0(VALU_DEP_1) | instskip(NEXT) | instid1(VALU_DEP_1)
	v_div_fixup_f64 v[120:121], v[44:45], v[42:43], 1.0
	v_mul_f64 v[122:123], v[40:41], -v[120:121]
.LBB58_282:
	s_or_b32 exec_lo, exec_lo, s2
.LBB58_283:
	s_delay_alu instid0(SALU_CYCLE_1) | instskip(NEXT) | instid1(SALU_CYCLE_1)
	s_or_b32 exec_lo, exec_lo, s3
	s_mov_b32 s2, exec_lo
	v_cmpx_ne_u32_e64 v146, v128
	s_xor_b32 s2, exec_lo, s2
	s_cbranch_execz .LBB58_289
; %bb.284:
	s_mov_b32 s3, exec_lo
	v_cmpx_eq_u32_e32 13, v146
	s_cbranch_execz .LBB58_288
; %bb.285:
	v_cmp_ne_u32_e32 vcc_lo, 13, v128
	s_xor_b32 s6, s4, -1
	s_delay_alu instid0(SALU_CYCLE_1) | instskip(NEXT) | instid1(SALU_CYCLE_1)
	s_and_b32 s7, s6, vcc_lo
	s_and_saveexec_b32 s6, s7
	s_cbranch_execz .LBB58_287
; %bb.286:
	v_ashrrev_i32_e32 v129, 31, v128
	s_delay_alu instid0(VALU_DEP_1) | instskip(NEXT) | instid1(VALU_DEP_1)
	v_lshlrev_b64 v[40:41], 2, v[128:129]
	v_add_co_u32 v40, vcc_lo, v253, v40
	s_delay_alu instid0(VALU_DEP_2)
	v_add_co_ci_u32_e32 v41, vcc_lo, v254, v41, vcc_lo
	s_clause 0x1
	flat_load_b32 v42, v[40:41]
	flat_load_b32 v43, v[253:254] offset:52
	s_waitcnt vmcnt(1) lgkmcnt(1)
	flat_store_b32 v[253:254], v42 offset:52
	s_waitcnt vmcnt(0) lgkmcnt(1)
	flat_store_b32 v[40:41], v43
.LBB58_287:
	s_or_b32 exec_lo, exec_lo, s6
	v_mov_b32_e32 v146, v128
	v_mov_b32_e32 v82, v128
.LBB58_288:
	s_or_b32 exec_lo, exec_lo, s3
.LBB58_289:
	s_and_not1_saveexec_b32 s2, s2
	s_cbranch_execz .LBB58_291
; %bb.290:
	v_mov_b32_e32 v146, 13
	ds_store_2addr_b64 v144, v[76:77], v[78:79] offset0:28 offset1:29
	ds_store_2addr_b64 v144, v[64:65], v[66:67] offset0:30 offset1:31
	;; [unrolled: 1-line block ×16, first 2 shown]
.LBB58_291:
	s_or_b32 exec_lo, exec_lo, s2
	s_delay_alu instid0(SALU_CYCLE_1)
	s_mov_b32 s2, exec_lo
	s_waitcnt lgkmcnt(0)
	s_waitcnt_vscnt null, 0x0
	s_barrier
	buffer_gl0_inv
	v_cmpx_lt_i32_e32 13, v146
	s_cbranch_execz .LBB58_293
; %bb.292:
	v_mul_f64 v[40:41], v[120:121], v[247:248]
	v_dual_mov_b32 v4, v82 :: v_dual_mov_b32 v5, v83
	s_delay_alu instid0(VALU_DEP_2) | instskip(SKIP_1) | instid1(VALU_DEP_2)
	v_fma_f64 v[128:129], v[122:123], v[245:246], v[40:41]
	v_mul_f64 v[40:41], v[122:123], v[247:248]
	v_dual_mov_b32 v248, v129 :: v_dual_mov_b32 v247, v128
	s_delay_alu instid0(VALU_DEP_2)
	v_fma_f64 v[245:246], v[120:121], v[245:246], -v[40:41]
	ds_load_2addr_b64 v[120:123], v144 offset0:28 offset1:29
	ds_load_2addr_b64 v[130:133], v144 offset0:30 offset1:31
	s_waitcnt lgkmcnt(1)
	v_mul_f64 v[40:41], v[122:123], v[128:129]
	v_mul_f64 v[42:43], v[120:121], v[128:129]
	s_waitcnt lgkmcnt(0)
	v_mul_f64 v[44:45], v[132:133], v[128:129]
	v_mul_f64 v[46:47], v[130:131], v[128:129]
	s_delay_alu instid0(VALU_DEP_4) | instskip(NEXT) | instid1(VALU_DEP_4)
	v_fma_f64 v[40:41], v[120:121], v[245:246], -v[40:41]
	v_fma_f64 v[42:43], v[122:123], v[245:246], v[42:43]
	s_delay_alu instid0(VALU_DEP_4) | instskip(NEXT) | instid1(VALU_DEP_4)
	v_fma_f64 v[44:45], v[130:131], v[245:246], -v[44:45]
	v_fma_f64 v[46:47], v[132:133], v[245:246], v[46:47]
	ds_load_2addr_b64 v[120:123], v144 offset0:32 offset1:33
	ds_load_2addr_b64 v[130:133], v144 offset0:34 offset1:35
	s_waitcnt lgkmcnt(1)
	v_mul_f64 v[82:83], v[122:123], v[128:129]
	v_mul_f64 v[92:93], v[120:121], v[128:129]
	s_waitcnt lgkmcnt(0)
	v_mul_f64 v[94:95], v[132:133], v[128:129]
	v_mul_f64 v[104:105], v[130:131], v[128:129]
	v_add_f64 v[76:77], v[76:77], -v[40:41]
	v_add_f64 v[78:79], v[78:79], -v[42:43]
	;; [unrolled: 1-line block ×4, first 2 shown]
	v_fma_f64 v[82:83], v[120:121], v[245:246], -v[82:83]
	v_fma_f64 v[92:93], v[122:123], v[245:246], v[92:93]
	v_fma_f64 v[94:95], v[130:131], v[245:246], -v[94:95]
	v_fma_f64 v[104:105], v[132:133], v[245:246], v[104:105]
	ds_load_2addr_b64 v[120:123], v144 offset0:36 offset1:37
	ds_load_2addr_b64 v[130:133], v144 offset0:38 offset1:39
	s_waitcnt lgkmcnt(1)
	v_mul_f64 v[106:107], v[122:123], v[128:129]
	v_mul_f64 v[108:109], v[120:121], v[128:129]
	s_waitcnt lgkmcnt(0)
	v_mul_f64 v[110:111], v[132:133], v[128:129]
	v_mul_f64 v[112:113], v[130:131], v[128:129]
	v_add_f64 v[241:242], v[241:242], -v[82:83]
	v_add_f64 v[243:244], v[243:244], -v[92:93]
	;; [unrolled: 1-line block ×4, first 2 shown]
	v_dual_mov_b32 v83, v5 :: v_dual_mov_b32 v82, v4
	v_fma_f64 v[106:107], v[120:121], v[245:246], -v[106:107]
	v_fma_f64 v[108:109], v[122:123], v[245:246], v[108:109]
	v_fma_f64 v[110:111], v[130:131], v[245:246], -v[110:111]
	v_fma_f64 v[112:113], v[132:133], v[245:246], v[112:113]
	ds_load_2addr_b64 v[120:123], v144 offset0:40 offset1:41
	ds_load_2addr_b64 v[130:133], v144 offset0:42 offset1:43
	s_waitcnt lgkmcnt(1)
	v_mul_f64 v[114:115], v[122:123], v[128:129]
	v_mul_f64 v[116:117], v[120:121], v[128:129]
	s_waitcnt lgkmcnt(0)
	v_mul_f64 v[118:119], v[132:133], v[128:129]
	v_add_f64 v[52:53], v[52:53], -v[106:107]
	v_add_f64 v[54:55], v[54:55], -v[108:109]
	;; [unrolled: 1-line block ×4, first 2 shown]
	v_fma_f64 v[114:115], v[120:121], v[245:246], -v[114:115]
	v_mul_f64 v[120:121], v[130:131], v[128:129]
	v_fma_f64 v[116:117], v[122:123], v[245:246], v[116:117]
	v_fma_f64 v[118:119], v[130:131], v[245:246], -v[118:119]
	s_delay_alu instid0(VALU_DEP_4) | instskip(NEXT) | instid1(VALU_DEP_4)
	v_add_f64 v[36:37], v[36:37], -v[114:115]
	v_fma_f64 v[124:125], v[132:133], v[245:246], v[120:121]
	ds_load_2addr_b64 v[120:123], v144 offset0:44 offset1:45
	ds_load_2addr_b64 v[130:133], v144 offset0:46 offset1:47
	v_add_f64 v[38:39], v[38:39], -v[116:117]
	v_add_f64 v[32:33], v[32:33], -v[118:119]
	s_waitcnt lgkmcnt(1)
	v_mul_f64 v[126:127], v[122:123], v[128:129]
	v_add_f64 v[34:35], v[34:35], -v[124:125]
	s_delay_alu instid0(VALU_DEP_2) | instskip(SKIP_1) | instid1(VALU_DEP_2)
	v_fma_f64 v[126:127], v[120:121], v[245:246], -v[126:127]
	v_mul_f64 v[120:121], v[120:121], v[128:129]
	v_add_f64 v[28:29], v[28:29], -v[126:127]
	s_delay_alu instid0(VALU_DEP_2) | instskip(SKIP_2) | instid1(VALU_DEP_2)
	v_fma_f64 v[134:135], v[122:123], v[245:246], v[120:121]
	s_waitcnt lgkmcnt(0)
	v_mul_f64 v[120:121], v[132:133], v[128:129]
	v_add_f64 v[30:31], v[30:31], -v[134:135]
	s_delay_alu instid0(VALU_DEP_2) | instskip(SKIP_1) | instid1(VALU_DEP_2)
	v_fma_f64 v[136:137], v[130:131], v[245:246], -v[120:121]
	v_mul_f64 v[120:121], v[130:131], v[128:129]
	v_add_f64 v[24:25], v[24:25], -v[136:137]
	s_delay_alu instid0(VALU_DEP_2)
	v_fma_f64 v[138:139], v[132:133], v[245:246], v[120:121]
	ds_load_2addr_b64 v[120:123], v144 offset0:48 offset1:49
	ds_load_2addr_b64 v[130:133], v144 offset0:50 offset1:51
	s_waitcnt lgkmcnt(1)
	v_mul_f64 v[147:148], v[122:123], v[128:129]
	v_add_f64 v[26:27], v[26:27], -v[138:139]
	s_delay_alu instid0(VALU_DEP_2) | instskip(SKIP_1) | instid1(VALU_DEP_2)
	v_fma_f64 v[147:148], v[120:121], v[245:246], -v[147:148]
	v_mul_f64 v[120:121], v[120:121], v[128:129]
	v_add_f64 v[140:141], v[140:141], -v[147:148]
	s_delay_alu instid0(VALU_DEP_2) | instskip(SKIP_2) | instid1(VALU_DEP_2)
	v_fma_f64 v[149:150], v[122:123], v[245:246], v[120:121]
	s_waitcnt lgkmcnt(0)
	v_mul_f64 v[120:121], v[132:133], v[128:129]
	v_add_f64 v[142:143], v[142:143], -v[149:150]
	s_delay_alu instid0(VALU_DEP_2) | instskip(SKIP_1) | instid1(VALU_DEP_2)
	v_fma_f64 v[151:152], v[130:131], v[245:246], -v[120:121]
	v_mul_f64 v[120:121], v[130:131], v[128:129]
	v_add_f64 v[16:17], v[16:17], -v[151:152]
	s_delay_alu instid0(VALU_DEP_2)
	v_fma_f64 v[153:154], v[132:133], v[245:246], v[120:121]
	ds_load_2addr_b64 v[120:123], v144 offset0:52 offset1:53
	ds_load_2addr_b64 v[130:133], v144 offset0:54 offset1:55
	;; [unrolled: 20-line block ×3, first 2 shown]
	s_waitcnt lgkmcnt(1)
	v_mul_f64 v[163:164], v[122:123], v[128:129]
	v_add_f64 v[10:11], v[10:11], -v[161:162]
	s_delay_alu instid0(VALU_DEP_2) | instskip(SKIP_1) | instid1(VALU_DEP_2)
	v_fma_f64 v[163:164], v[120:121], v[245:246], -v[163:164]
	v_mul_f64 v[120:121], v[120:121], v[128:129]
	v_add_f64 v[219:220], v[219:220], -v[163:164]
	s_delay_alu instid0(VALU_DEP_2) | instskip(SKIP_2) | instid1(VALU_DEP_2)
	v_fma_f64 v[120:121], v[122:123], v[245:246], v[120:121]
	s_waitcnt lgkmcnt(0)
	v_mul_f64 v[122:123], v[132:133], v[128:129]
	v_add_f64 v[221:222], v[221:222], -v[120:121]
	s_delay_alu instid0(VALU_DEP_2) | instskip(SKIP_1) | instid1(VALU_DEP_2)
	v_fma_f64 v[122:123], v[130:131], v[245:246], -v[122:123]
	v_mul_f64 v[130:131], v[130:131], v[128:129]
	v_add_f64 v[0:1], v[0:1], -v[122:123]
	s_delay_alu instid0(VALU_DEP_2) | instskip(NEXT) | instid1(VALU_DEP_1)
	v_fma_f64 v[130:131], v[132:133], v[245:246], v[130:131]
	v_add_f64 v[2:3], v[2:3], -v[130:131]
.LBB58_293:
	s_or_b32 exec_lo, exec_lo, s2
	v_lshl_add_u32 v40, v146, 4, v144
	s_barrier
	buffer_gl0_inv
	v_mov_b32_e32 v128, 14
	ds_store_2addr_b64 v40, v[76:77], v[78:79] offset1:1
	s_waitcnt lgkmcnt(0)
	s_barrier
	buffer_gl0_inv
	ds_load_2addr_b64 v[120:123], v144 offset0:28 offset1:29
	s_cmp_lt_i32 s5, 16
	s_cbranch_scc1 .LBB58_296
; %bb.294:
	v_add3_u32 v129, v80, 0, 0xf0
	v_mov_b32_e32 v128, 14
	s_mov_b32 s6, 15
	s_set_inst_prefetch_distance 0x1
	.p2align	6
.LBB58_295:                             ; =>This Inner Loop Header: Depth=1
	ds_load_2addr_b64 v[130:133], v129 offset1:1
	s_waitcnt lgkmcnt(1)
	v_cmp_gt_f64_e32 vcc_lo, 0, v[120:121]
	v_xor_b32_e32 v40, 0x80000000, v121
	v_cmp_gt_f64_e64 s2, 0, v[122:123]
	v_xor_b32_e32 v42, 0x80000000, v123
	v_add_nc_u32_e32 v129, 16, v129
	s_waitcnt lgkmcnt(0)
	v_cmp_gt_f64_e64 s3, 0, v[130:131]
	v_mov_b32_e32 v44, v130
	v_dual_mov_b32 v46, v132 :: v_dual_cndmask_b32 v41, v121, v40
	v_xor_b32_e32 v40, 0x80000000, v131
	v_cndmask_b32_e64 v43, v123, v42, s2
	v_xor_b32_e32 v42, 0x80000000, v133
	s_delay_alu instid0(VALU_DEP_3) | instskip(SKIP_2) | instid1(VALU_DEP_2)
	v_cndmask_b32_e64 v45, v131, v40, s3
	v_cmp_gt_f64_e64 s3, 0, v[132:133]
	v_cndmask_b32_e32 v40, v120, v120, vcc_lo
	v_cndmask_b32_e64 v47, v133, v42, s3
	v_cndmask_b32_e64 v42, v122, v122, s2
	s_delay_alu instid0(VALU_DEP_2) | instskip(NEXT) | instid1(VALU_DEP_2)
	v_add_f64 v[44:45], v[44:45], v[46:47]
	v_add_f64 v[40:41], v[40:41], v[42:43]
	s_delay_alu instid0(VALU_DEP_1)
	v_cmp_lt_f64_e32 vcc_lo, v[40:41], v[44:45]
	v_cndmask_b32_e32 v123, v123, v133, vcc_lo
	v_dual_cndmask_b32 v121, v121, v131 :: v_dual_cndmask_b32 v120, v120, v130
	v_cndmask_b32_e32 v122, v122, v132, vcc_lo
	v_cndmask_b32_e64 v128, v128, s6, vcc_lo
	s_add_i32 s6, s6, 1
	s_delay_alu instid0(SALU_CYCLE_1)
	s_cmp_lg_u32 s5, s6
	s_cbranch_scc1 .LBB58_295
.LBB58_296:
	s_set_inst_prefetch_distance 0x2
	s_waitcnt lgkmcnt(0)
	v_cmp_eq_f64_e32 vcc_lo, 0, v[120:121]
	v_cmp_eq_f64_e64 s2, 0, v[122:123]
	s_delay_alu instid0(VALU_DEP_1) | instskip(NEXT) | instid1(SALU_CYCLE_1)
	s_and_b32 s2, vcc_lo, s2
	s_and_saveexec_b32 s3, s2
	s_delay_alu instid0(SALU_CYCLE_1)
	s_xor_b32 s2, exec_lo, s3
; %bb.297:
	v_cmp_ne_u32_e32 vcc_lo, 0, v83
	v_cndmask_b32_e32 v83, 15, v83, vcc_lo
; %bb.298:
	s_and_not1_saveexec_b32 s3, s2
	s_cbranch_execz .LBB58_304
; %bb.299:
	v_cmp_gt_f64_e32 vcc_lo, 0, v[120:121]
	v_cmp_gt_f64_e64 s2, 0, v[122:123]
	v_xor_b32_e32 v40, 0x80000000, v121
	v_xor_b32_e32 v42, 0x80000000, v123
	s_delay_alu instid0(VALU_DEP_2) | instskip(NEXT) | instid1(VALU_DEP_2)
	v_cndmask_b32_e32 v41, v121, v40, vcc_lo
	v_cndmask_b32_e64 v43, v123, v42, s2
	v_cndmask_b32_e32 v40, v120, v120, vcc_lo
	v_cndmask_b32_e64 v42, v122, v122, s2
	s_mov_b32 s2, exec_lo
	s_delay_alu instid0(VALU_DEP_1)
	v_cmpx_ngt_f64_e32 v[40:41], v[42:43]
	s_xor_b32 s2, exec_lo, s2
	s_cbranch_execz .LBB58_301
; %bb.300:
	v_div_scale_f64 v[40:41], null, v[122:123], v[122:123], v[120:121]
	v_div_scale_f64 v[46:47], vcc_lo, v[120:121], v[122:123], v[120:121]
	s_delay_alu instid0(VALU_DEP_2) | instskip(SKIP_2) | instid1(VALU_DEP_1)
	v_rcp_f64_e32 v[42:43], v[40:41]
	s_waitcnt_depctr 0xfff
	v_fma_f64 v[44:45], -v[40:41], v[42:43], 1.0
	v_fma_f64 v[42:43], v[42:43], v[44:45], v[42:43]
	s_delay_alu instid0(VALU_DEP_1) | instskip(NEXT) | instid1(VALU_DEP_1)
	v_fma_f64 v[44:45], -v[40:41], v[42:43], 1.0
	v_fma_f64 v[42:43], v[42:43], v[44:45], v[42:43]
	s_delay_alu instid0(VALU_DEP_1) | instskip(NEXT) | instid1(VALU_DEP_1)
	v_mul_f64 v[44:45], v[46:47], v[42:43]
	v_fma_f64 v[40:41], -v[40:41], v[44:45], v[46:47]
	s_delay_alu instid0(VALU_DEP_1) | instskip(NEXT) | instid1(VALU_DEP_1)
	v_div_fmas_f64 v[40:41], v[40:41], v[42:43], v[44:45]
	v_div_fixup_f64 v[40:41], v[40:41], v[122:123], v[120:121]
	s_delay_alu instid0(VALU_DEP_1) | instskip(NEXT) | instid1(VALU_DEP_1)
	v_fma_f64 v[42:43], v[120:121], v[40:41], v[122:123]
	v_div_scale_f64 v[44:45], null, v[42:43], v[42:43], 1.0
	s_delay_alu instid0(VALU_DEP_1) | instskip(SKIP_2) | instid1(VALU_DEP_1)
	v_rcp_f64_e32 v[46:47], v[44:45]
	s_waitcnt_depctr 0xfff
	v_fma_f64 v[92:93], -v[44:45], v[46:47], 1.0
	v_fma_f64 v[46:47], v[46:47], v[92:93], v[46:47]
	s_delay_alu instid0(VALU_DEP_1) | instskip(NEXT) | instid1(VALU_DEP_1)
	v_fma_f64 v[92:93], -v[44:45], v[46:47], 1.0
	v_fma_f64 v[46:47], v[46:47], v[92:93], v[46:47]
	v_div_scale_f64 v[92:93], vcc_lo, 1.0, v[42:43], 1.0
	s_delay_alu instid0(VALU_DEP_1) | instskip(NEXT) | instid1(VALU_DEP_1)
	v_mul_f64 v[94:95], v[92:93], v[46:47]
	v_fma_f64 v[44:45], -v[44:45], v[94:95], v[92:93]
	s_delay_alu instid0(VALU_DEP_1) | instskip(NEXT) | instid1(VALU_DEP_1)
	v_div_fmas_f64 v[44:45], v[44:45], v[46:47], v[94:95]
	v_div_fixup_f64 v[122:123], v[44:45], v[42:43], 1.0
	s_delay_alu instid0(VALU_DEP_1)
	v_mul_f64 v[120:121], v[40:41], v[122:123]
	v_xor_b32_e32 v123, 0x80000000, v123
.LBB58_301:
	s_and_not1_saveexec_b32 s2, s2
	s_cbranch_execz .LBB58_303
; %bb.302:
	s_delay_alu instid0(VALU_DEP_1) | instskip(SKIP_1) | instid1(VALU_DEP_2)
	v_div_scale_f64 v[40:41], null, v[120:121], v[120:121], v[122:123]
	v_div_scale_f64 v[46:47], vcc_lo, v[122:123], v[120:121], v[122:123]
	v_rcp_f64_e32 v[42:43], v[40:41]
	s_waitcnt_depctr 0xfff
	v_fma_f64 v[44:45], -v[40:41], v[42:43], 1.0
	s_delay_alu instid0(VALU_DEP_1) | instskip(NEXT) | instid1(VALU_DEP_1)
	v_fma_f64 v[42:43], v[42:43], v[44:45], v[42:43]
	v_fma_f64 v[44:45], -v[40:41], v[42:43], 1.0
	s_delay_alu instid0(VALU_DEP_1) | instskip(NEXT) | instid1(VALU_DEP_1)
	v_fma_f64 v[42:43], v[42:43], v[44:45], v[42:43]
	v_mul_f64 v[44:45], v[46:47], v[42:43]
	s_delay_alu instid0(VALU_DEP_1) | instskip(NEXT) | instid1(VALU_DEP_1)
	v_fma_f64 v[40:41], -v[40:41], v[44:45], v[46:47]
	v_div_fmas_f64 v[40:41], v[40:41], v[42:43], v[44:45]
	s_delay_alu instid0(VALU_DEP_1) | instskip(NEXT) | instid1(VALU_DEP_1)
	v_div_fixup_f64 v[40:41], v[40:41], v[120:121], v[122:123]
	v_fma_f64 v[42:43], v[122:123], v[40:41], v[120:121]
	s_delay_alu instid0(VALU_DEP_1) | instskip(NEXT) | instid1(VALU_DEP_1)
	v_div_scale_f64 v[44:45], null, v[42:43], v[42:43], 1.0
	v_rcp_f64_e32 v[46:47], v[44:45]
	s_waitcnt_depctr 0xfff
	v_fma_f64 v[92:93], -v[44:45], v[46:47], 1.0
	s_delay_alu instid0(VALU_DEP_1) | instskip(NEXT) | instid1(VALU_DEP_1)
	v_fma_f64 v[46:47], v[46:47], v[92:93], v[46:47]
	v_fma_f64 v[92:93], -v[44:45], v[46:47], 1.0
	s_delay_alu instid0(VALU_DEP_1) | instskip(SKIP_1) | instid1(VALU_DEP_1)
	v_fma_f64 v[46:47], v[46:47], v[92:93], v[46:47]
	v_div_scale_f64 v[92:93], vcc_lo, 1.0, v[42:43], 1.0
	v_mul_f64 v[94:95], v[92:93], v[46:47]
	s_delay_alu instid0(VALU_DEP_1) | instskip(NEXT) | instid1(VALU_DEP_1)
	v_fma_f64 v[44:45], -v[44:45], v[94:95], v[92:93]
	v_div_fmas_f64 v[44:45], v[44:45], v[46:47], v[94:95]
	s_delay_alu instid0(VALU_DEP_1) | instskip(NEXT) | instid1(VALU_DEP_1)
	v_div_fixup_f64 v[120:121], v[44:45], v[42:43], 1.0
	v_mul_f64 v[122:123], v[40:41], -v[120:121]
.LBB58_303:
	s_or_b32 exec_lo, exec_lo, s2
.LBB58_304:
	s_delay_alu instid0(SALU_CYCLE_1) | instskip(NEXT) | instid1(SALU_CYCLE_1)
	s_or_b32 exec_lo, exec_lo, s3
	s_mov_b32 s2, exec_lo
	v_cmpx_ne_u32_e64 v146, v128
	s_xor_b32 s2, exec_lo, s2
	s_cbranch_execz .LBB58_310
; %bb.305:
	s_mov_b32 s3, exec_lo
	v_cmpx_eq_u32_e32 14, v146
	s_cbranch_execz .LBB58_309
; %bb.306:
	v_cmp_ne_u32_e32 vcc_lo, 14, v128
	s_xor_b32 s6, s4, -1
	s_delay_alu instid0(SALU_CYCLE_1) | instskip(NEXT) | instid1(SALU_CYCLE_1)
	s_and_b32 s7, s6, vcc_lo
	s_and_saveexec_b32 s6, s7
	s_cbranch_execz .LBB58_308
; %bb.307:
	v_ashrrev_i32_e32 v129, 31, v128
	s_delay_alu instid0(VALU_DEP_1) | instskip(NEXT) | instid1(VALU_DEP_1)
	v_lshlrev_b64 v[40:41], 2, v[128:129]
	v_add_co_u32 v40, vcc_lo, v253, v40
	s_delay_alu instid0(VALU_DEP_2)
	v_add_co_ci_u32_e32 v41, vcc_lo, v254, v41, vcc_lo
	s_clause 0x1
	flat_load_b32 v42, v[40:41]
	flat_load_b32 v43, v[253:254] offset:56
	s_waitcnt vmcnt(1) lgkmcnt(1)
	flat_store_b32 v[253:254], v42 offset:56
	s_waitcnt vmcnt(0) lgkmcnt(1)
	flat_store_b32 v[40:41], v43
.LBB58_308:
	s_or_b32 exec_lo, exec_lo, s6
	v_mov_b32_e32 v146, v128
	v_mov_b32_e32 v82, v128
.LBB58_309:
	s_or_b32 exec_lo, exec_lo, s3
.LBB58_310:
	s_and_not1_saveexec_b32 s2, s2
	s_cbranch_execz .LBB58_312
; %bb.311:
	v_mov_b32_e32 v146, 14
	ds_store_2addr_b64 v144, v[64:65], v[66:67] offset0:30 offset1:31
	ds_store_2addr_b64 v144, v[241:242], v[243:244] offset0:32 offset1:33
	;; [unrolled: 1-line block ×15, first 2 shown]
.LBB58_312:
	s_or_b32 exec_lo, exec_lo, s2
	s_delay_alu instid0(SALU_CYCLE_1)
	s_mov_b32 s2, exec_lo
	s_waitcnt lgkmcnt(0)
	s_waitcnt_vscnt null, 0x0
	s_barrier
	buffer_gl0_inv
	v_cmpx_lt_i32_e32 14, v146
	s_cbranch_execz .LBB58_314
; %bb.313:
	v_mul_f64 v[40:41], v[120:121], v[78:79]
	v_mul_f64 v[42:43], v[122:123], v[78:79]
	ds_load_2addr_b64 v[128:131], v144 offset0:30 offset1:31
	ds_load_2addr_b64 v[132:135], v144 offset0:32 offset1:33
	;; [unrolled: 1-line block ×15, first 2 shown]
	v_fma_f64 v[40:41], v[122:123], v[76:77], v[40:41]
	v_fma_f64 v[76:77], v[120:121], v[76:77], -v[42:43]
	s_waitcnt lgkmcnt(14)
	s_delay_alu instid0(VALU_DEP_2)
	v_mul_f64 v[42:43], v[130:131], v[40:41]
	v_mul_f64 v[44:45], v[128:129], v[40:41]
	s_waitcnt lgkmcnt(13)
	v_mul_f64 v[46:47], v[134:135], v[40:41]
	v_mul_f64 v[78:79], v[132:133], v[40:41]
	s_waitcnt lgkmcnt(12)
	;; [unrolled: 3-line block ×14, first 2 shown]
	v_mul_f64 v[215:216], v[193:194], v[40:41]
	v_mul_f64 v[217:218], v[191:192], v[40:41]
	v_fma_f64 v[42:43], v[128:129], v[76:77], -v[42:43]
	v_fma_f64 v[44:45], v[130:131], v[76:77], v[44:45]
	v_fma_f64 v[46:47], v[132:133], v[76:77], -v[46:47]
	v_fma_f64 v[78:79], v[134:135], v[76:77], v[78:79]
	;; [unrolled: 2-line block ×15, first 2 shown]
	v_add_f64 v[64:65], v[64:65], -v[42:43]
	v_add_f64 v[66:67], v[66:67], -v[44:45]
	;; [unrolled: 1-line block ×30, first 2 shown]
	v_dual_mov_b32 v79, v41 :: v_dual_mov_b32 v78, v40
.LBB58_314:
	s_or_b32 exec_lo, exec_lo, s2
	v_lshl_add_u32 v40, v146, 4, v144
	s_barrier
	buffer_gl0_inv
	v_mov_b32_e32 v128, 15
	ds_store_2addr_b64 v40, v[64:65], v[66:67] offset1:1
	s_waitcnt lgkmcnt(0)
	s_barrier
	buffer_gl0_inv
	ds_load_2addr_b64 v[120:123], v144 offset0:30 offset1:31
	s_cmp_lt_i32 s5, 17
	s_cbranch_scc1 .LBB58_317
; %bb.315:
	v_add3_u32 v129, v80, 0, 0x100
	v_mov_b32_e32 v128, 15
	s_mov_b32 s6, 16
	s_set_inst_prefetch_distance 0x1
	.p2align	6
.LBB58_316:                             ; =>This Inner Loop Header: Depth=1
	ds_load_2addr_b64 v[130:133], v129 offset1:1
	s_waitcnt lgkmcnt(1)
	v_cmp_gt_f64_e32 vcc_lo, 0, v[120:121]
	v_xor_b32_e32 v40, 0x80000000, v121
	v_cmp_gt_f64_e64 s2, 0, v[122:123]
	v_xor_b32_e32 v42, 0x80000000, v123
	v_add_nc_u32_e32 v129, 16, v129
	s_waitcnt lgkmcnt(0)
	v_cmp_gt_f64_e64 s3, 0, v[130:131]
	v_mov_b32_e32 v44, v130
	v_dual_mov_b32 v46, v132 :: v_dual_cndmask_b32 v41, v121, v40
	v_xor_b32_e32 v40, 0x80000000, v131
	v_cndmask_b32_e64 v43, v123, v42, s2
	v_xor_b32_e32 v42, 0x80000000, v133
	s_delay_alu instid0(VALU_DEP_3) | instskip(SKIP_2) | instid1(VALU_DEP_2)
	v_cndmask_b32_e64 v45, v131, v40, s3
	v_cmp_gt_f64_e64 s3, 0, v[132:133]
	v_cndmask_b32_e32 v40, v120, v120, vcc_lo
	v_cndmask_b32_e64 v47, v133, v42, s3
	v_cndmask_b32_e64 v42, v122, v122, s2
	s_delay_alu instid0(VALU_DEP_2) | instskip(NEXT) | instid1(VALU_DEP_2)
	v_add_f64 v[44:45], v[44:45], v[46:47]
	v_add_f64 v[40:41], v[40:41], v[42:43]
	s_delay_alu instid0(VALU_DEP_1)
	v_cmp_lt_f64_e32 vcc_lo, v[40:41], v[44:45]
	v_cndmask_b32_e32 v123, v123, v133, vcc_lo
	v_dual_cndmask_b32 v121, v121, v131 :: v_dual_cndmask_b32 v120, v120, v130
	v_cndmask_b32_e32 v122, v122, v132, vcc_lo
	v_cndmask_b32_e64 v128, v128, s6, vcc_lo
	s_add_i32 s6, s6, 1
	s_delay_alu instid0(SALU_CYCLE_1)
	s_cmp_lg_u32 s5, s6
	s_cbranch_scc1 .LBB58_316
.LBB58_317:
	s_set_inst_prefetch_distance 0x2
	s_waitcnt lgkmcnt(0)
	v_cmp_eq_f64_e32 vcc_lo, 0, v[120:121]
	v_cmp_eq_f64_e64 s2, 0, v[122:123]
	s_delay_alu instid0(VALU_DEP_1) | instskip(NEXT) | instid1(SALU_CYCLE_1)
	s_and_b32 s2, vcc_lo, s2
	s_and_saveexec_b32 s3, s2
	s_delay_alu instid0(SALU_CYCLE_1)
	s_xor_b32 s2, exec_lo, s3
; %bb.318:
	v_cmp_ne_u32_e32 vcc_lo, 0, v83
	v_cndmask_b32_e32 v83, 16, v83, vcc_lo
; %bb.319:
	s_and_not1_saveexec_b32 s3, s2
	s_cbranch_execz .LBB58_325
; %bb.320:
	v_cmp_gt_f64_e32 vcc_lo, 0, v[120:121]
	v_cmp_gt_f64_e64 s2, 0, v[122:123]
	v_xor_b32_e32 v40, 0x80000000, v121
	v_xor_b32_e32 v42, 0x80000000, v123
	s_delay_alu instid0(VALU_DEP_2) | instskip(NEXT) | instid1(VALU_DEP_2)
	v_cndmask_b32_e32 v41, v121, v40, vcc_lo
	v_cndmask_b32_e64 v43, v123, v42, s2
	v_cndmask_b32_e32 v40, v120, v120, vcc_lo
	v_cndmask_b32_e64 v42, v122, v122, s2
	s_mov_b32 s2, exec_lo
	s_delay_alu instid0(VALU_DEP_1)
	v_cmpx_ngt_f64_e32 v[40:41], v[42:43]
	s_xor_b32 s2, exec_lo, s2
	s_cbranch_execz .LBB58_322
; %bb.321:
	v_div_scale_f64 v[40:41], null, v[122:123], v[122:123], v[120:121]
	v_div_scale_f64 v[46:47], vcc_lo, v[120:121], v[122:123], v[120:121]
	s_delay_alu instid0(VALU_DEP_2) | instskip(SKIP_2) | instid1(VALU_DEP_1)
	v_rcp_f64_e32 v[42:43], v[40:41]
	s_waitcnt_depctr 0xfff
	v_fma_f64 v[44:45], -v[40:41], v[42:43], 1.0
	v_fma_f64 v[42:43], v[42:43], v[44:45], v[42:43]
	s_delay_alu instid0(VALU_DEP_1) | instskip(NEXT) | instid1(VALU_DEP_1)
	v_fma_f64 v[44:45], -v[40:41], v[42:43], 1.0
	v_fma_f64 v[42:43], v[42:43], v[44:45], v[42:43]
	s_delay_alu instid0(VALU_DEP_1) | instskip(NEXT) | instid1(VALU_DEP_1)
	v_mul_f64 v[44:45], v[46:47], v[42:43]
	v_fma_f64 v[40:41], -v[40:41], v[44:45], v[46:47]
	s_delay_alu instid0(VALU_DEP_1) | instskip(NEXT) | instid1(VALU_DEP_1)
	v_div_fmas_f64 v[40:41], v[40:41], v[42:43], v[44:45]
	v_div_fixup_f64 v[40:41], v[40:41], v[122:123], v[120:121]
	s_delay_alu instid0(VALU_DEP_1) | instskip(NEXT) | instid1(VALU_DEP_1)
	v_fma_f64 v[42:43], v[120:121], v[40:41], v[122:123]
	v_div_scale_f64 v[44:45], null, v[42:43], v[42:43], 1.0
	s_delay_alu instid0(VALU_DEP_1) | instskip(SKIP_2) | instid1(VALU_DEP_1)
	v_rcp_f64_e32 v[46:47], v[44:45]
	s_waitcnt_depctr 0xfff
	v_fma_f64 v[92:93], -v[44:45], v[46:47], 1.0
	v_fma_f64 v[46:47], v[46:47], v[92:93], v[46:47]
	s_delay_alu instid0(VALU_DEP_1) | instskip(NEXT) | instid1(VALU_DEP_1)
	v_fma_f64 v[92:93], -v[44:45], v[46:47], 1.0
	v_fma_f64 v[46:47], v[46:47], v[92:93], v[46:47]
	v_div_scale_f64 v[92:93], vcc_lo, 1.0, v[42:43], 1.0
	s_delay_alu instid0(VALU_DEP_1) | instskip(NEXT) | instid1(VALU_DEP_1)
	v_mul_f64 v[94:95], v[92:93], v[46:47]
	v_fma_f64 v[44:45], -v[44:45], v[94:95], v[92:93]
	s_delay_alu instid0(VALU_DEP_1) | instskip(NEXT) | instid1(VALU_DEP_1)
	v_div_fmas_f64 v[44:45], v[44:45], v[46:47], v[94:95]
	v_div_fixup_f64 v[122:123], v[44:45], v[42:43], 1.0
	s_delay_alu instid0(VALU_DEP_1)
	v_mul_f64 v[120:121], v[40:41], v[122:123]
	v_xor_b32_e32 v123, 0x80000000, v123
.LBB58_322:
	s_and_not1_saveexec_b32 s2, s2
	s_cbranch_execz .LBB58_324
; %bb.323:
	s_delay_alu instid0(VALU_DEP_1) | instskip(SKIP_1) | instid1(VALU_DEP_2)
	v_div_scale_f64 v[40:41], null, v[120:121], v[120:121], v[122:123]
	v_div_scale_f64 v[46:47], vcc_lo, v[122:123], v[120:121], v[122:123]
	v_rcp_f64_e32 v[42:43], v[40:41]
	s_waitcnt_depctr 0xfff
	v_fma_f64 v[44:45], -v[40:41], v[42:43], 1.0
	s_delay_alu instid0(VALU_DEP_1) | instskip(NEXT) | instid1(VALU_DEP_1)
	v_fma_f64 v[42:43], v[42:43], v[44:45], v[42:43]
	v_fma_f64 v[44:45], -v[40:41], v[42:43], 1.0
	s_delay_alu instid0(VALU_DEP_1) | instskip(NEXT) | instid1(VALU_DEP_1)
	v_fma_f64 v[42:43], v[42:43], v[44:45], v[42:43]
	v_mul_f64 v[44:45], v[46:47], v[42:43]
	s_delay_alu instid0(VALU_DEP_1) | instskip(NEXT) | instid1(VALU_DEP_1)
	v_fma_f64 v[40:41], -v[40:41], v[44:45], v[46:47]
	v_div_fmas_f64 v[40:41], v[40:41], v[42:43], v[44:45]
	s_delay_alu instid0(VALU_DEP_1) | instskip(NEXT) | instid1(VALU_DEP_1)
	v_div_fixup_f64 v[40:41], v[40:41], v[120:121], v[122:123]
	v_fma_f64 v[42:43], v[122:123], v[40:41], v[120:121]
	s_delay_alu instid0(VALU_DEP_1) | instskip(NEXT) | instid1(VALU_DEP_1)
	v_div_scale_f64 v[44:45], null, v[42:43], v[42:43], 1.0
	v_rcp_f64_e32 v[46:47], v[44:45]
	s_waitcnt_depctr 0xfff
	v_fma_f64 v[92:93], -v[44:45], v[46:47], 1.0
	s_delay_alu instid0(VALU_DEP_1) | instskip(NEXT) | instid1(VALU_DEP_1)
	v_fma_f64 v[46:47], v[46:47], v[92:93], v[46:47]
	v_fma_f64 v[92:93], -v[44:45], v[46:47], 1.0
	s_delay_alu instid0(VALU_DEP_1) | instskip(SKIP_1) | instid1(VALU_DEP_1)
	v_fma_f64 v[46:47], v[46:47], v[92:93], v[46:47]
	v_div_scale_f64 v[92:93], vcc_lo, 1.0, v[42:43], 1.0
	v_mul_f64 v[94:95], v[92:93], v[46:47]
	s_delay_alu instid0(VALU_DEP_1) | instskip(NEXT) | instid1(VALU_DEP_1)
	v_fma_f64 v[44:45], -v[44:45], v[94:95], v[92:93]
	v_div_fmas_f64 v[44:45], v[44:45], v[46:47], v[94:95]
	s_delay_alu instid0(VALU_DEP_1) | instskip(NEXT) | instid1(VALU_DEP_1)
	v_div_fixup_f64 v[120:121], v[44:45], v[42:43], 1.0
	v_mul_f64 v[122:123], v[40:41], -v[120:121]
.LBB58_324:
	s_or_b32 exec_lo, exec_lo, s2
.LBB58_325:
	s_delay_alu instid0(SALU_CYCLE_1) | instskip(NEXT) | instid1(SALU_CYCLE_1)
	s_or_b32 exec_lo, exec_lo, s3
	s_mov_b32 s2, exec_lo
	v_cmpx_ne_u32_e64 v146, v128
	s_xor_b32 s2, exec_lo, s2
	s_cbranch_execz .LBB58_331
; %bb.326:
	s_mov_b32 s3, exec_lo
	v_cmpx_eq_u32_e32 15, v146
	s_cbranch_execz .LBB58_330
; %bb.327:
	v_cmp_ne_u32_e32 vcc_lo, 15, v128
	s_xor_b32 s6, s4, -1
	s_delay_alu instid0(SALU_CYCLE_1) | instskip(NEXT) | instid1(SALU_CYCLE_1)
	s_and_b32 s7, s6, vcc_lo
	s_and_saveexec_b32 s6, s7
	s_cbranch_execz .LBB58_329
; %bb.328:
	v_ashrrev_i32_e32 v129, 31, v128
	s_delay_alu instid0(VALU_DEP_1) | instskip(NEXT) | instid1(VALU_DEP_1)
	v_lshlrev_b64 v[40:41], 2, v[128:129]
	v_add_co_u32 v40, vcc_lo, v253, v40
	s_delay_alu instid0(VALU_DEP_2)
	v_add_co_ci_u32_e32 v41, vcc_lo, v254, v41, vcc_lo
	s_clause 0x1
	flat_load_b32 v42, v[40:41]
	flat_load_b32 v43, v[253:254] offset:60
	s_waitcnt vmcnt(1) lgkmcnt(1)
	flat_store_b32 v[253:254], v42 offset:60
	s_waitcnt vmcnt(0) lgkmcnt(1)
	flat_store_b32 v[40:41], v43
.LBB58_329:
	s_or_b32 exec_lo, exec_lo, s6
	v_mov_b32_e32 v146, v128
	v_mov_b32_e32 v82, v128
.LBB58_330:
	s_or_b32 exec_lo, exec_lo, s3
.LBB58_331:
	s_and_not1_saveexec_b32 s2, s2
	s_cbranch_execz .LBB58_333
; %bb.332:
	v_mov_b32_e32 v146, 15
	ds_store_2addr_b64 v144, v[241:242], v[243:244] offset0:32 offset1:33
	ds_store_2addr_b64 v144, v[56:57], v[58:59] offset0:34 offset1:35
	;; [unrolled: 1-line block ×14, first 2 shown]
.LBB58_333:
	s_or_b32 exec_lo, exec_lo, s2
	s_delay_alu instid0(SALU_CYCLE_1)
	s_mov_b32 s2, exec_lo
	s_waitcnt lgkmcnt(0)
	s_waitcnt_vscnt null, 0x0
	s_barrier
	buffer_gl0_inv
	v_cmpx_lt_i32_e32 15, v146
	s_cbranch_execz .LBB58_335
; %bb.334:
	v_mul_f64 v[40:41], v[120:121], v[66:67]
	v_mul_f64 v[42:43], v[122:123], v[66:67]
	ds_load_2addr_b64 v[128:131], v144 offset0:32 offset1:33
	ds_load_2addr_b64 v[132:135], v144 offset0:34 offset1:35
	;; [unrolled: 1-line block ×14, first 2 shown]
	v_fma_f64 v[40:41], v[122:123], v[64:65], v[40:41]
	v_fma_f64 v[64:65], v[120:121], v[64:65], -v[42:43]
	s_waitcnt lgkmcnt(13)
	s_delay_alu instid0(VALU_DEP_2)
	v_mul_f64 v[42:43], v[130:131], v[40:41]
	v_mul_f64 v[44:45], v[128:129], v[40:41]
	s_waitcnt lgkmcnt(12)
	v_mul_f64 v[46:47], v[134:135], v[40:41]
	v_mul_f64 v[66:67], v[132:133], v[40:41]
	s_waitcnt lgkmcnt(11)
	;; [unrolled: 3-line block ×13, first 2 shown]
	v_mul_f64 v[207:208], v[189:190], v[40:41]
	v_mul_f64 v[209:210], v[187:188], v[40:41]
	v_fma_f64 v[42:43], v[128:129], v[64:65], -v[42:43]
	v_fma_f64 v[44:45], v[130:131], v[64:65], v[44:45]
	v_fma_f64 v[46:47], v[132:133], v[64:65], -v[46:47]
	v_fma_f64 v[66:67], v[134:135], v[64:65], v[66:67]
	;; [unrolled: 2-line block ×14, first 2 shown]
	v_add_f64 v[241:242], v[241:242], -v[42:43]
	v_add_f64 v[243:244], v[243:244], -v[44:45]
	;; [unrolled: 1-line block ×28, first 2 shown]
	v_dual_mov_b32 v67, v41 :: v_dual_mov_b32 v66, v40
.LBB58_335:
	s_or_b32 exec_lo, exec_lo, s2
	v_lshl_add_u32 v40, v146, 4, v144
	s_barrier
	buffer_gl0_inv
	v_mov_b32_e32 v128, 16
	ds_store_2addr_b64 v40, v[241:242], v[243:244] offset1:1
	s_waitcnt lgkmcnt(0)
	s_barrier
	buffer_gl0_inv
	ds_load_2addr_b64 v[120:123], v144 offset0:32 offset1:33
	s_cmp_lt_i32 s5, 18
	s_cbranch_scc1 .LBB58_338
; %bb.336:
	v_add3_u32 v129, v80, 0, 0x110
	v_mov_b32_e32 v128, 16
	s_mov_b32 s6, 17
	s_set_inst_prefetch_distance 0x1
	.p2align	6
.LBB58_337:                             ; =>This Inner Loop Header: Depth=1
	ds_load_2addr_b64 v[130:133], v129 offset1:1
	s_waitcnt lgkmcnt(1)
	v_cmp_gt_f64_e32 vcc_lo, 0, v[120:121]
	v_xor_b32_e32 v40, 0x80000000, v121
	v_cmp_gt_f64_e64 s2, 0, v[122:123]
	v_xor_b32_e32 v42, 0x80000000, v123
	v_add_nc_u32_e32 v129, 16, v129
	s_waitcnt lgkmcnt(0)
	v_cmp_gt_f64_e64 s3, 0, v[130:131]
	v_mov_b32_e32 v44, v130
	v_dual_mov_b32 v46, v132 :: v_dual_cndmask_b32 v41, v121, v40
	v_xor_b32_e32 v40, 0x80000000, v131
	v_cndmask_b32_e64 v43, v123, v42, s2
	v_xor_b32_e32 v42, 0x80000000, v133
	s_delay_alu instid0(VALU_DEP_3) | instskip(SKIP_2) | instid1(VALU_DEP_2)
	v_cndmask_b32_e64 v45, v131, v40, s3
	v_cmp_gt_f64_e64 s3, 0, v[132:133]
	v_cndmask_b32_e32 v40, v120, v120, vcc_lo
	v_cndmask_b32_e64 v47, v133, v42, s3
	v_cndmask_b32_e64 v42, v122, v122, s2
	s_delay_alu instid0(VALU_DEP_2) | instskip(NEXT) | instid1(VALU_DEP_2)
	v_add_f64 v[44:45], v[44:45], v[46:47]
	v_add_f64 v[40:41], v[40:41], v[42:43]
	s_delay_alu instid0(VALU_DEP_1)
	v_cmp_lt_f64_e32 vcc_lo, v[40:41], v[44:45]
	v_cndmask_b32_e32 v123, v123, v133, vcc_lo
	v_dual_cndmask_b32 v121, v121, v131 :: v_dual_cndmask_b32 v120, v120, v130
	v_cndmask_b32_e32 v122, v122, v132, vcc_lo
	v_cndmask_b32_e64 v128, v128, s6, vcc_lo
	s_add_i32 s6, s6, 1
	s_delay_alu instid0(SALU_CYCLE_1)
	s_cmp_lg_u32 s5, s6
	s_cbranch_scc1 .LBB58_337
.LBB58_338:
	s_set_inst_prefetch_distance 0x2
	s_waitcnt lgkmcnt(0)
	v_cmp_eq_f64_e32 vcc_lo, 0, v[120:121]
	v_cmp_eq_f64_e64 s2, 0, v[122:123]
	s_delay_alu instid0(VALU_DEP_1) | instskip(NEXT) | instid1(SALU_CYCLE_1)
	s_and_b32 s2, vcc_lo, s2
	s_and_saveexec_b32 s3, s2
	s_delay_alu instid0(SALU_CYCLE_1)
	s_xor_b32 s2, exec_lo, s3
; %bb.339:
	v_cmp_ne_u32_e32 vcc_lo, 0, v83
	v_cndmask_b32_e32 v83, 17, v83, vcc_lo
; %bb.340:
	s_and_not1_saveexec_b32 s3, s2
	s_cbranch_execz .LBB58_346
; %bb.341:
	v_cmp_gt_f64_e32 vcc_lo, 0, v[120:121]
	v_cmp_gt_f64_e64 s2, 0, v[122:123]
	v_xor_b32_e32 v40, 0x80000000, v121
	v_xor_b32_e32 v42, 0x80000000, v123
	s_delay_alu instid0(VALU_DEP_2) | instskip(NEXT) | instid1(VALU_DEP_2)
	v_cndmask_b32_e32 v41, v121, v40, vcc_lo
	v_cndmask_b32_e64 v43, v123, v42, s2
	v_cndmask_b32_e32 v40, v120, v120, vcc_lo
	v_cndmask_b32_e64 v42, v122, v122, s2
	s_mov_b32 s2, exec_lo
	s_delay_alu instid0(VALU_DEP_1)
	v_cmpx_ngt_f64_e32 v[40:41], v[42:43]
	s_xor_b32 s2, exec_lo, s2
	s_cbranch_execz .LBB58_343
; %bb.342:
	v_div_scale_f64 v[40:41], null, v[122:123], v[122:123], v[120:121]
	v_div_scale_f64 v[46:47], vcc_lo, v[120:121], v[122:123], v[120:121]
	s_delay_alu instid0(VALU_DEP_2) | instskip(SKIP_2) | instid1(VALU_DEP_1)
	v_rcp_f64_e32 v[42:43], v[40:41]
	s_waitcnt_depctr 0xfff
	v_fma_f64 v[44:45], -v[40:41], v[42:43], 1.0
	v_fma_f64 v[42:43], v[42:43], v[44:45], v[42:43]
	s_delay_alu instid0(VALU_DEP_1) | instskip(NEXT) | instid1(VALU_DEP_1)
	v_fma_f64 v[44:45], -v[40:41], v[42:43], 1.0
	v_fma_f64 v[42:43], v[42:43], v[44:45], v[42:43]
	s_delay_alu instid0(VALU_DEP_1) | instskip(NEXT) | instid1(VALU_DEP_1)
	v_mul_f64 v[44:45], v[46:47], v[42:43]
	v_fma_f64 v[40:41], -v[40:41], v[44:45], v[46:47]
	s_delay_alu instid0(VALU_DEP_1) | instskip(NEXT) | instid1(VALU_DEP_1)
	v_div_fmas_f64 v[40:41], v[40:41], v[42:43], v[44:45]
	v_div_fixup_f64 v[40:41], v[40:41], v[122:123], v[120:121]
	s_delay_alu instid0(VALU_DEP_1) | instskip(NEXT) | instid1(VALU_DEP_1)
	v_fma_f64 v[42:43], v[120:121], v[40:41], v[122:123]
	v_div_scale_f64 v[44:45], null, v[42:43], v[42:43], 1.0
	s_delay_alu instid0(VALU_DEP_1) | instskip(SKIP_2) | instid1(VALU_DEP_1)
	v_rcp_f64_e32 v[46:47], v[44:45]
	s_waitcnt_depctr 0xfff
	v_fma_f64 v[92:93], -v[44:45], v[46:47], 1.0
	v_fma_f64 v[46:47], v[46:47], v[92:93], v[46:47]
	s_delay_alu instid0(VALU_DEP_1) | instskip(NEXT) | instid1(VALU_DEP_1)
	v_fma_f64 v[92:93], -v[44:45], v[46:47], 1.0
	v_fma_f64 v[46:47], v[46:47], v[92:93], v[46:47]
	v_div_scale_f64 v[92:93], vcc_lo, 1.0, v[42:43], 1.0
	s_delay_alu instid0(VALU_DEP_1) | instskip(NEXT) | instid1(VALU_DEP_1)
	v_mul_f64 v[94:95], v[92:93], v[46:47]
	v_fma_f64 v[44:45], -v[44:45], v[94:95], v[92:93]
	s_delay_alu instid0(VALU_DEP_1) | instskip(NEXT) | instid1(VALU_DEP_1)
	v_div_fmas_f64 v[44:45], v[44:45], v[46:47], v[94:95]
	v_div_fixup_f64 v[122:123], v[44:45], v[42:43], 1.0
	s_delay_alu instid0(VALU_DEP_1)
	v_mul_f64 v[120:121], v[40:41], v[122:123]
	v_xor_b32_e32 v123, 0x80000000, v123
.LBB58_343:
	s_and_not1_saveexec_b32 s2, s2
	s_cbranch_execz .LBB58_345
; %bb.344:
	s_delay_alu instid0(VALU_DEP_1) | instskip(SKIP_1) | instid1(VALU_DEP_2)
	v_div_scale_f64 v[40:41], null, v[120:121], v[120:121], v[122:123]
	v_div_scale_f64 v[46:47], vcc_lo, v[122:123], v[120:121], v[122:123]
	v_rcp_f64_e32 v[42:43], v[40:41]
	s_waitcnt_depctr 0xfff
	v_fma_f64 v[44:45], -v[40:41], v[42:43], 1.0
	s_delay_alu instid0(VALU_DEP_1) | instskip(NEXT) | instid1(VALU_DEP_1)
	v_fma_f64 v[42:43], v[42:43], v[44:45], v[42:43]
	v_fma_f64 v[44:45], -v[40:41], v[42:43], 1.0
	s_delay_alu instid0(VALU_DEP_1) | instskip(NEXT) | instid1(VALU_DEP_1)
	v_fma_f64 v[42:43], v[42:43], v[44:45], v[42:43]
	v_mul_f64 v[44:45], v[46:47], v[42:43]
	s_delay_alu instid0(VALU_DEP_1) | instskip(NEXT) | instid1(VALU_DEP_1)
	v_fma_f64 v[40:41], -v[40:41], v[44:45], v[46:47]
	v_div_fmas_f64 v[40:41], v[40:41], v[42:43], v[44:45]
	s_delay_alu instid0(VALU_DEP_1) | instskip(NEXT) | instid1(VALU_DEP_1)
	v_div_fixup_f64 v[40:41], v[40:41], v[120:121], v[122:123]
	v_fma_f64 v[42:43], v[122:123], v[40:41], v[120:121]
	s_delay_alu instid0(VALU_DEP_1) | instskip(NEXT) | instid1(VALU_DEP_1)
	v_div_scale_f64 v[44:45], null, v[42:43], v[42:43], 1.0
	v_rcp_f64_e32 v[46:47], v[44:45]
	s_waitcnt_depctr 0xfff
	v_fma_f64 v[92:93], -v[44:45], v[46:47], 1.0
	s_delay_alu instid0(VALU_DEP_1) | instskip(NEXT) | instid1(VALU_DEP_1)
	v_fma_f64 v[46:47], v[46:47], v[92:93], v[46:47]
	v_fma_f64 v[92:93], -v[44:45], v[46:47], 1.0
	s_delay_alu instid0(VALU_DEP_1) | instskip(SKIP_1) | instid1(VALU_DEP_1)
	v_fma_f64 v[46:47], v[46:47], v[92:93], v[46:47]
	v_div_scale_f64 v[92:93], vcc_lo, 1.0, v[42:43], 1.0
	v_mul_f64 v[94:95], v[92:93], v[46:47]
	s_delay_alu instid0(VALU_DEP_1) | instskip(NEXT) | instid1(VALU_DEP_1)
	v_fma_f64 v[44:45], -v[44:45], v[94:95], v[92:93]
	v_div_fmas_f64 v[44:45], v[44:45], v[46:47], v[94:95]
	s_delay_alu instid0(VALU_DEP_1) | instskip(NEXT) | instid1(VALU_DEP_1)
	v_div_fixup_f64 v[120:121], v[44:45], v[42:43], 1.0
	v_mul_f64 v[122:123], v[40:41], -v[120:121]
.LBB58_345:
	s_or_b32 exec_lo, exec_lo, s2
.LBB58_346:
	s_delay_alu instid0(SALU_CYCLE_1) | instskip(NEXT) | instid1(SALU_CYCLE_1)
	s_or_b32 exec_lo, exec_lo, s3
	s_mov_b32 s2, exec_lo
	v_cmpx_ne_u32_e64 v146, v128
	s_xor_b32 s2, exec_lo, s2
	s_cbranch_execz .LBB58_352
; %bb.347:
	s_mov_b32 s3, exec_lo
	v_cmpx_eq_u32_e32 16, v146
	s_cbranch_execz .LBB58_351
; %bb.348:
	v_cmp_ne_u32_e32 vcc_lo, 16, v128
	s_xor_b32 s6, s4, -1
	s_delay_alu instid0(SALU_CYCLE_1) | instskip(NEXT) | instid1(SALU_CYCLE_1)
	s_and_b32 s7, s6, vcc_lo
	s_and_saveexec_b32 s6, s7
	s_cbranch_execz .LBB58_350
; %bb.349:
	v_ashrrev_i32_e32 v129, 31, v128
	s_delay_alu instid0(VALU_DEP_1) | instskip(NEXT) | instid1(VALU_DEP_1)
	v_lshlrev_b64 v[40:41], 2, v[128:129]
	v_add_co_u32 v40, vcc_lo, v253, v40
	s_delay_alu instid0(VALU_DEP_2)
	v_add_co_ci_u32_e32 v41, vcc_lo, v254, v41, vcc_lo
	s_clause 0x1
	flat_load_b32 v42, v[40:41]
	flat_load_b32 v43, v[253:254] offset:64
	s_waitcnt vmcnt(1) lgkmcnt(1)
	flat_store_b32 v[253:254], v42 offset:64
	s_waitcnt vmcnt(0) lgkmcnt(1)
	flat_store_b32 v[40:41], v43
.LBB58_350:
	s_or_b32 exec_lo, exec_lo, s6
	v_mov_b32_e32 v146, v128
	v_mov_b32_e32 v82, v128
.LBB58_351:
	s_or_b32 exec_lo, exec_lo, s3
.LBB58_352:
	s_and_not1_saveexec_b32 s2, s2
	s_cbranch_execz .LBB58_354
; %bb.353:
	v_mov_b32_e32 v146, 16
	ds_store_2addr_b64 v144, v[56:57], v[58:59] offset0:34 offset1:35
	ds_store_2addr_b64 v144, v[52:53], v[54:55] offset0:36 offset1:37
	;; [unrolled: 1-line block ×13, first 2 shown]
.LBB58_354:
	s_or_b32 exec_lo, exec_lo, s2
	s_delay_alu instid0(SALU_CYCLE_1)
	s_mov_b32 s2, exec_lo
	s_waitcnt lgkmcnt(0)
	s_waitcnt_vscnt null, 0x0
	s_barrier
	buffer_gl0_inv
	v_cmpx_lt_i32_e32 16, v146
	s_cbranch_execz .LBB58_356
; %bb.355:
	v_mul_f64 v[40:41], v[120:121], v[243:244]
	v_mul_f64 v[42:43], v[122:123], v[243:244]
	ds_load_2addr_b64 v[128:131], v144 offset0:34 offset1:35
	ds_load_2addr_b64 v[132:135], v144 offset0:36 offset1:37
	ds_load_2addr_b64 v[136:139], v144 offset0:38 offset1:39
	ds_load_2addr_b64 v[147:150], v144 offset0:40 offset1:41
	ds_load_2addr_b64 v[151:154], v144 offset0:42 offset1:43
	ds_load_2addr_b64 v[155:158], v144 offset0:44 offset1:45
	ds_load_2addr_b64 v[159:162], v144 offset0:46 offset1:47
	ds_load_2addr_b64 v[163:166], v144 offset0:48 offset1:49
	ds_load_2addr_b64 v[167:170], v144 offset0:50 offset1:51
	ds_load_2addr_b64 v[171:174], v144 offset0:52 offset1:53
	ds_load_2addr_b64 v[175:178], v144 offset0:54 offset1:55
	ds_load_2addr_b64 v[179:182], v144 offset0:56 offset1:57
	ds_load_2addr_b64 v[183:186], v144 offset0:58 offset1:59
	v_fma_f64 v[40:41], v[122:123], v[241:242], v[40:41]
	v_fma_f64 v[241:242], v[120:121], v[241:242], -v[42:43]
	s_waitcnt lgkmcnt(12)
	s_delay_alu instid0(VALU_DEP_2)
	v_mul_f64 v[42:43], v[130:131], v[40:41]
	v_mul_f64 v[44:45], v[128:129], v[40:41]
	s_waitcnt lgkmcnt(11)
	v_mul_f64 v[46:47], v[134:135], v[40:41]
	v_mul_f64 v[62:63], v[132:133], v[40:41]
	s_waitcnt lgkmcnt(10)
	;; [unrolled: 3-line block ×12, first 2 shown]
	v_mul_f64 v[199:200], v[185:186], v[40:41]
	v_mul_f64 v[201:202], v[183:184], v[40:41]
	v_dual_mov_b32 v244, v41 :: v_dual_mov_b32 v243, v40
	v_fma_f64 v[42:43], v[128:129], v[241:242], -v[42:43]
	v_fma_f64 v[44:45], v[130:131], v[241:242], v[44:45]
	v_fma_f64 v[46:47], v[132:133], v[241:242], -v[46:47]
	v_fma_f64 v[62:63], v[134:135], v[241:242], v[62:63]
	;; [unrolled: 2-line block ×13, first 2 shown]
	v_add_f64 v[56:57], v[56:57], -v[42:43]
	v_add_f64 v[58:59], v[58:59], -v[44:45]
	;; [unrolled: 1-line block ×26, first 2 shown]
.LBB58_356:
	s_or_b32 exec_lo, exec_lo, s2
	v_lshl_add_u32 v40, v146, 4, v144
	s_barrier
	buffer_gl0_inv
	v_mov_b32_e32 v128, 17
	ds_store_2addr_b64 v40, v[56:57], v[58:59] offset1:1
	s_waitcnt lgkmcnt(0)
	s_barrier
	buffer_gl0_inv
	ds_load_2addr_b64 v[120:123], v144 offset0:34 offset1:35
	s_cmp_lt_i32 s5, 19
	s_cbranch_scc1 .LBB58_359
; %bb.357:
	v_add3_u32 v129, v80, 0, 0x120
	v_mov_b32_e32 v128, 17
	s_mov_b32 s6, 18
	s_set_inst_prefetch_distance 0x1
	.p2align	6
.LBB58_358:                             ; =>This Inner Loop Header: Depth=1
	ds_load_2addr_b64 v[130:133], v129 offset1:1
	s_waitcnt lgkmcnt(1)
	v_cmp_gt_f64_e32 vcc_lo, 0, v[120:121]
	v_xor_b32_e32 v40, 0x80000000, v121
	v_cmp_gt_f64_e64 s2, 0, v[122:123]
	v_xor_b32_e32 v42, 0x80000000, v123
	v_add_nc_u32_e32 v129, 16, v129
	s_waitcnt lgkmcnt(0)
	v_cmp_gt_f64_e64 s3, 0, v[130:131]
	v_mov_b32_e32 v44, v130
	v_dual_mov_b32 v46, v132 :: v_dual_cndmask_b32 v41, v121, v40
	v_xor_b32_e32 v40, 0x80000000, v131
	v_cndmask_b32_e64 v43, v123, v42, s2
	v_xor_b32_e32 v42, 0x80000000, v133
	s_delay_alu instid0(VALU_DEP_3) | instskip(SKIP_2) | instid1(VALU_DEP_2)
	v_cndmask_b32_e64 v45, v131, v40, s3
	v_cmp_gt_f64_e64 s3, 0, v[132:133]
	v_cndmask_b32_e32 v40, v120, v120, vcc_lo
	v_cndmask_b32_e64 v47, v133, v42, s3
	v_cndmask_b32_e64 v42, v122, v122, s2
	s_delay_alu instid0(VALU_DEP_2) | instskip(NEXT) | instid1(VALU_DEP_2)
	v_add_f64 v[44:45], v[44:45], v[46:47]
	v_add_f64 v[40:41], v[40:41], v[42:43]
	s_delay_alu instid0(VALU_DEP_1)
	v_cmp_lt_f64_e32 vcc_lo, v[40:41], v[44:45]
	v_cndmask_b32_e32 v123, v123, v133, vcc_lo
	v_dual_cndmask_b32 v121, v121, v131 :: v_dual_cndmask_b32 v120, v120, v130
	v_cndmask_b32_e32 v122, v122, v132, vcc_lo
	v_cndmask_b32_e64 v128, v128, s6, vcc_lo
	s_add_i32 s6, s6, 1
	s_delay_alu instid0(SALU_CYCLE_1)
	s_cmp_lg_u32 s5, s6
	s_cbranch_scc1 .LBB58_358
.LBB58_359:
	s_set_inst_prefetch_distance 0x2
	s_waitcnt lgkmcnt(0)
	v_cmp_eq_f64_e32 vcc_lo, 0, v[120:121]
	v_cmp_eq_f64_e64 s2, 0, v[122:123]
	s_delay_alu instid0(VALU_DEP_1) | instskip(NEXT) | instid1(SALU_CYCLE_1)
	s_and_b32 s2, vcc_lo, s2
	s_and_saveexec_b32 s3, s2
	s_delay_alu instid0(SALU_CYCLE_1)
	s_xor_b32 s2, exec_lo, s3
; %bb.360:
	v_cmp_ne_u32_e32 vcc_lo, 0, v83
	v_cndmask_b32_e32 v83, 18, v83, vcc_lo
; %bb.361:
	s_and_not1_saveexec_b32 s3, s2
	s_cbranch_execz .LBB58_367
; %bb.362:
	v_cmp_gt_f64_e32 vcc_lo, 0, v[120:121]
	v_cmp_gt_f64_e64 s2, 0, v[122:123]
	v_xor_b32_e32 v40, 0x80000000, v121
	v_xor_b32_e32 v42, 0x80000000, v123
	s_delay_alu instid0(VALU_DEP_2) | instskip(NEXT) | instid1(VALU_DEP_2)
	v_cndmask_b32_e32 v41, v121, v40, vcc_lo
	v_cndmask_b32_e64 v43, v123, v42, s2
	v_cndmask_b32_e32 v40, v120, v120, vcc_lo
	v_cndmask_b32_e64 v42, v122, v122, s2
	s_mov_b32 s2, exec_lo
	s_delay_alu instid0(VALU_DEP_1)
	v_cmpx_ngt_f64_e32 v[40:41], v[42:43]
	s_xor_b32 s2, exec_lo, s2
	s_cbranch_execz .LBB58_364
; %bb.363:
	v_div_scale_f64 v[40:41], null, v[122:123], v[122:123], v[120:121]
	v_div_scale_f64 v[46:47], vcc_lo, v[120:121], v[122:123], v[120:121]
	s_delay_alu instid0(VALU_DEP_2) | instskip(SKIP_2) | instid1(VALU_DEP_1)
	v_rcp_f64_e32 v[42:43], v[40:41]
	s_waitcnt_depctr 0xfff
	v_fma_f64 v[44:45], -v[40:41], v[42:43], 1.0
	v_fma_f64 v[42:43], v[42:43], v[44:45], v[42:43]
	s_delay_alu instid0(VALU_DEP_1) | instskip(NEXT) | instid1(VALU_DEP_1)
	v_fma_f64 v[44:45], -v[40:41], v[42:43], 1.0
	v_fma_f64 v[42:43], v[42:43], v[44:45], v[42:43]
	s_delay_alu instid0(VALU_DEP_1) | instskip(NEXT) | instid1(VALU_DEP_1)
	v_mul_f64 v[44:45], v[46:47], v[42:43]
	v_fma_f64 v[40:41], -v[40:41], v[44:45], v[46:47]
	s_delay_alu instid0(VALU_DEP_1) | instskip(NEXT) | instid1(VALU_DEP_1)
	v_div_fmas_f64 v[40:41], v[40:41], v[42:43], v[44:45]
	v_div_fixup_f64 v[40:41], v[40:41], v[122:123], v[120:121]
	s_delay_alu instid0(VALU_DEP_1) | instskip(NEXT) | instid1(VALU_DEP_1)
	v_fma_f64 v[42:43], v[120:121], v[40:41], v[122:123]
	v_div_scale_f64 v[44:45], null, v[42:43], v[42:43], 1.0
	s_delay_alu instid0(VALU_DEP_1) | instskip(SKIP_2) | instid1(VALU_DEP_1)
	v_rcp_f64_e32 v[46:47], v[44:45]
	s_waitcnt_depctr 0xfff
	v_fma_f64 v[92:93], -v[44:45], v[46:47], 1.0
	v_fma_f64 v[46:47], v[46:47], v[92:93], v[46:47]
	s_delay_alu instid0(VALU_DEP_1) | instskip(NEXT) | instid1(VALU_DEP_1)
	v_fma_f64 v[92:93], -v[44:45], v[46:47], 1.0
	v_fma_f64 v[46:47], v[46:47], v[92:93], v[46:47]
	v_div_scale_f64 v[92:93], vcc_lo, 1.0, v[42:43], 1.0
	s_delay_alu instid0(VALU_DEP_1) | instskip(NEXT) | instid1(VALU_DEP_1)
	v_mul_f64 v[94:95], v[92:93], v[46:47]
	v_fma_f64 v[44:45], -v[44:45], v[94:95], v[92:93]
	s_delay_alu instid0(VALU_DEP_1) | instskip(NEXT) | instid1(VALU_DEP_1)
	v_div_fmas_f64 v[44:45], v[44:45], v[46:47], v[94:95]
	v_div_fixup_f64 v[122:123], v[44:45], v[42:43], 1.0
	s_delay_alu instid0(VALU_DEP_1)
	v_mul_f64 v[120:121], v[40:41], v[122:123]
	v_xor_b32_e32 v123, 0x80000000, v123
.LBB58_364:
	s_and_not1_saveexec_b32 s2, s2
	s_cbranch_execz .LBB58_366
; %bb.365:
	s_delay_alu instid0(VALU_DEP_1) | instskip(SKIP_1) | instid1(VALU_DEP_2)
	v_div_scale_f64 v[40:41], null, v[120:121], v[120:121], v[122:123]
	v_div_scale_f64 v[46:47], vcc_lo, v[122:123], v[120:121], v[122:123]
	v_rcp_f64_e32 v[42:43], v[40:41]
	s_waitcnt_depctr 0xfff
	v_fma_f64 v[44:45], -v[40:41], v[42:43], 1.0
	s_delay_alu instid0(VALU_DEP_1) | instskip(NEXT) | instid1(VALU_DEP_1)
	v_fma_f64 v[42:43], v[42:43], v[44:45], v[42:43]
	v_fma_f64 v[44:45], -v[40:41], v[42:43], 1.0
	s_delay_alu instid0(VALU_DEP_1) | instskip(NEXT) | instid1(VALU_DEP_1)
	v_fma_f64 v[42:43], v[42:43], v[44:45], v[42:43]
	v_mul_f64 v[44:45], v[46:47], v[42:43]
	s_delay_alu instid0(VALU_DEP_1) | instskip(NEXT) | instid1(VALU_DEP_1)
	v_fma_f64 v[40:41], -v[40:41], v[44:45], v[46:47]
	v_div_fmas_f64 v[40:41], v[40:41], v[42:43], v[44:45]
	s_delay_alu instid0(VALU_DEP_1) | instskip(NEXT) | instid1(VALU_DEP_1)
	v_div_fixup_f64 v[40:41], v[40:41], v[120:121], v[122:123]
	v_fma_f64 v[42:43], v[122:123], v[40:41], v[120:121]
	s_delay_alu instid0(VALU_DEP_1) | instskip(NEXT) | instid1(VALU_DEP_1)
	v_div_scale_f64 v[44:45], null, v[42:43], v[42:43], 1.0
	v_rcp_f64_e32 v[46:47], v[44:45]
	s_waitcnt_depctr 0xfff
	v_fma_f64 v[92:93], -v[44:45], v[46:47], 1.0
	s_delay_alu instid0(VALU_DEP_1) | instskip(NEXT) | instid1(VALU_DEP_1)
	v_fma_f64 v[46:47], v[46:47], v[92:93], v[46:47]
	v_fma_f64 v[92:93], -v[44:45], v[46:47], 1.0
	s_delay_alu instid0(VALU_DEP_1) | instskip(SKIP_1) | instid1(VALU_DEP_1)
	v_fma_f64 v[46:47], v[46:47], v[92:93], v[46:47]
	v_div_scale_f64 v[92:93], vcc_lo, 1.0, v[42:43], 1.0
	v_mul_f64 v[94:95], v[92:93], v[46:47]
	s_delay_alu instid0(VALU_DEP_1) | instskip(NEXT) | instid1(VALU_DEP_1)
	v_fma_f64 v[44:45], -v[44:45], v[94:95], v[92:93]
	v_div_fmas_f64 v[44:45], v[44:45], v[46:47], v[94:95]
	s_delay_alu instid0(VALU_DEP_1) | instskip(NEXT) | instid1(VALU_DEP_1)
	v_div_fixup_f64 v[120:121], v[44:45], v[42:43], 1.0
	v_mul_f64 v[122:123], v[40:41], -v[120:121]
.LBB58_366:
	s_or_b32 exec_lo, exec_lo, s2
.LBB58_367:
	s_delay_alu instid0(SALU_CYCLE_1) | instskip(NEXT) | instid1(SALU_CYCLE_1)
	s_or_b32 exec_lo, exec_lo, s3
	s_mov_b32 s2, exec_lo
	v_cmpx_ne_u32_e64 v146, v128
	s_xor_b32 s2, exec_lo, s2
	s_cbranch_execz .LBB58_373
; %bb.368:
	s_mov_b32 s3, exec_lo
	v_cmpx_eq_u32_e32 17, v146
	s_cbranch_execz .LBB58_372
; %bb.369:
	v_cmp_ne_u32_e32 vcc_lo, 17, v128
	s_xor_b32 s6, s4, -1
	s_delay_alu instid0(SALU_CYCLE_1) | instskip(NEXT) | instid1(SALU_CYCLE_1)
	s_and_b32 s7, s6, vcc_lo
	s_and_saveexec_b32 s6, s7
	s_cbranch_execz .LBB58_371
; %bb.370:
	v_ashrrev_i32_e32 v129, 31, v128
	s_delay_alu instid0(VALU_DEP_1) | instskip(NEXT) | instid1(VALU_DEP_1)
	v_lshlrev_b64 v[40:41], 2, v[128:129]
	v_add_co_u32 v40, vcc_lo, v253, v40
	s_delay_alu instid0(VALU_DEP_2)
	v_add_co_ci_u32_e32 v41, vcc_lo, v254, v41, vcc_lo
	s_clause 0x1
	flat_load_b32 v42, v[40:41]
	flat_load_b32 v43, v[253:254] offset:68
	s_waitcnt vmcnt(1) lgkmcnt(1)
	flat_store_b32 v[253:254], v42 offset:68
	s_waitcnt vmcnt(0) lgkmcnt(1)
	flat_store_b32 v[40:41], v43
.LBB58_371:
	s_or_b32 exec_lo, exec_lo, s6
	v_mov_b32_e32 v146, v128
	v_mov_b32_e32 v82, v128
.LBB58_372:
	s_or_b32 exec_lo, exec_lo, s3
.LBB58_373:
	s_and_not1_saveexec_b32 s2, s2
	s_cbranch_execz .LBB58_375
; %bb.374:
	v_mov_b32_e32 v146, 17
	ds_store_2addr_b64 v144, v[52:53], v[54:55] offset0:36 offset1:37
	ds_store_2addr_b64 v144, v[48:49], v[50:51] offset0:38 offset1:39
	;; [unrolled: 1-line block ×12, first 2 shown]
.LBB58_375:
	s_or_b32 exec_lo, exec_lo, s2
	s_delay_alu instid0(SALU_CYCLE_1)
	s_mov_b32 s2, exec_lo
	s_waitcnt lgkmcnt(0)
	s_waitcnt_vscnt null, 0x0
	s_barrier
	buffer_gl0_inv
	v_cmpx_lt_i32_e32 17, v146
	s_cbranch_execz .LBB58_377
; %bb.376:
	v_mul_f64 v[40:41], v[120:121], v[58:59]
	v_mul_f64 v[42:43], v[122:123], v[58:59]
	ds_load_2addr_b64 v[128:131], v144 offset0:36 offset1:37
	ds_load_2addr_b64 v[132:135], v144 offset0:38 offset1:39
	;; [unrolled: 1-line block ×12, first 2 shown]
	v_fma_f64 v[40:41], v[122:123], v[56:57], v[40:41]
	v_fma_f64 v[56:57], v[120:121], v[56:57], -v[42:43]
	s_waitcnt lgkmcnt(11)
	s_delay_alu instid0(VALU_DEP_2)
	v_mul_f64 v[42:43], v[130:131], v[40:41]
	v_mul_f64 v[44:45], v[128:129], v[40:41]
	s_waitcnt lgkmcnt(10)
	v_mul_f64 v[46:47], v[134:135], v[40:41]
	v_mul_f64 v[58:59], v[132:133], v[40:41]
	s_waitcnt lgkmcnt(9)
	v_mul_f64 v[92:93], v[138:139], v[40:41]
	v_mul_f64 v[94:95], v[136:137], v[40:41]
	s_waitcnt lgkmcnt(8)
	v_mul_f64 v[104:105], v[149:150], v[40:41]
	v_mul_f64 v[106:107], v[147:148], v[40:41]
	s_waitcnt lgkmcnt(7)
	v_mul_f64 v[108:109], v[153:154], v[40:41]
	v_mul_f64 v[110:111], v[151:152], v[40:41]
	s_waitcnt lgkmcnt(6)
	v_mul_f64 v[112:113], v[157:158], v[40:41]
	v_mul_f64 v[114:115], v[155:156], v[40:41]
	s_waitcnt lgkmcnt(5)
	v_mul_f64 v[116:117], v[161:162], v[40:41]
	v_mul_f64 v[118:119], v[159:160], v[40:41]
	s_waitcnt lgkmcnt(4)
	v_mul_f64 v[120:121], v[165:166], v[40:41]
	v_mul_f64 v[122:123], v[163:164], v[40:41]
	s_waitcnt lgkmcnt(3)
	v_mul_f64 v[124:125], v[169:170], v[40:41]
	v_mul_f64 v[126:127], v[167:168], v[40:41]
	s_waitcnt lgkmcnt(2)
	v_mul_f64 v[183:184], v[173:174], v[40:41]
	v_mul_f64 v[185:186], v[171:172], v[40:41]
	s_waitcnt lgkmcnt(1)
	v_mul_f64 v[187:188], v[177:178], v[40:41]
	v_mul_f64 v[189:190], v[175:176], v[40:41]
	s_waitcnt lgkmcnt(0)
	v_mul_f64 v[191:192], v[181:182], v[40:41]
	v_mul_f64 v[193:194], v[179:180], v[40:41]
	v_fma_f64 v[42:43], v[128:129], v[56:57], -v[42:43]
	v_fma_f64 v[44:45], v[130:131], v[56:57], v[44:45]
	v_fma_f64 v[46:47], v[132:133], v[56:57], -v[46:47]
	v_fma_f64 v[58:59], v[134:135], v[56:57], v[58:59]
	;; [unrolled: 2-line block ×12, first 2 shown]
	v_add_f64 v[52:53], v[52:53], -v[42:43]
	v_add_f64 v[54:55], v[54:55], -v[44:45]
	;; [unrolled: 1-line block ×24, first 2 shown]
	v_dual_mov_b32 v59, v41 :: v_dual_mov_b32 v58, v40
.LBB58_377:
	s_or_b32 exec_lo, exec_lo, s2
	v_lshl_add_u32 v40, v146, 4, v144
	s_barrier
	buffer_gl0_inv
	v_mov_b32_e32 v128, 18
	ds_store_2addr_b64 v40, v[52:53], v[54:55] offset1:1
	s_waitcnt lgkmcnt(0)
	s_barrier
	buffer_gl0_inv
	ds_load_2addr_b64 v[120:123], v144 offset0:36 offset1:37
	s_cmp_lt_i32 s5, 20
	s_cbranch_scc1 .LBB58_380
; %bb.378:
	v_add3_u32 v129, v80, 0, 0x130
	v_mov_b32_e32 v128, 18
	s_mov_b32 s6, 19
	s_set_inst_prefetch_distance 0x1
	.p2align	6
.LBB58_379:                             ; =>This Inner Loop Header: Depth=1
	ds_load_2addr_b64 v[130:133], v129 offset1:1
	s_waitcnt lgkmcnt(1)
	v_cmp_gt_f64_e32 vcc_lo, 0, v[120:121]
	v_xor_b32_e32 v40, 0x80000000, v121
	v_cmp_gt_f64_e64 s2, 0, v[122:123]
	v_xor_b32_e32 v42, 0x80000000, v123
	v_add_nc_u32_e32 v129, 16, v129
	s_waitcnt lgkmcnt(0)
	v_cmp_gt_f64_e64 s3, 0, v[130:131]
	v_mov_b32_e32 v44, v130
	v_dual_mov_b32 v46, v132 :: v_dual_cndmask_b32 v41, v121, v40
	v_xor_b32_e32 v40, 0x80000000, v131
	v_cndmask_b32_e64 v43, v123, v42, s2
	v_xor_b32_e32 v42, 0x80000000, v133
	s_delay_alu instid0(VALU_DEP_3) | instskip(SKIP_2) | instid1(VALU_DEP_2)
	v_cndmask_b32_e64 v45, v131, v40, s3
	v_cmp_gt_f64_e64 s3, 0, v[132:133]
	v_cndmask_b32_e32 v40, v120, v120, vcc_lo
	v_cndmask_b32_e64 v47, v133, v42, s3
	v_cndmask_b32_e64 v42, v122, v122, s2
	s_delay_alu instid0(VALU_DEP_2) | instskip(NEXT) | instid1(VALU_DEP_2)
	v_add_f64 v[44:45], v[44:45], v[46:47]
	v_add_f64 v[40:41], v[40:41], v[42:43]
	s_delay_alu instid0(VALU_DEP_1)
	v_cmp_lt_f64_e32 vcc_lo, v[40:41], v[44:45]
	v_cndmask_b32_e32 v123, v123, v133, vcc_lo
	v_dual_cndmask_b32 v121, v121, v131 :: v_dual_cndmask_b32 v120, v120, v130
	v_cndmask_b32_e32 v122, v122, v132, vcc_lo
	v_cndmask_b32_e64 v128, v128, s6, vcc_lo
	s_add_i32 s6, s6, 1
	s_delay_alu instid0(SALU_CYCLE_1)
	s_cmp_lg_u32 s5, s6
	s_cbranch_scc1 .LBB58_379
.LBB58_380:
	s_set_inst_prefetch_distance 0x2
	s_waitcnt lgkmcnt(0)
	v_cmp_eq_f64_e32 vcc_lo, 0, v[120:121]
	v_cmp_eq_f64_e64 s2, 0, v[122:123]
	s_delay_alu instid0(VALU_DEP_1) | instskip(NEXT) | instid1(SALU_CYCLE_1)
	s_and_b32 s2, vcc_lo, s2
	s_and_saveexec_b32 s3, s2
	s_delay_alu instid0(SALU_CYCLE_1)
	s_xor_b32 s2, exec_lo, s3
; %bb.381:
	v_cmp_ne_u32_e32 vcc_lo, 0, v83
	v_cndmask_b32_e32 v83, 19, v83, vcc_lo
; %bb.382:
	s_and_not1_saveexec_b32 s3, s2
	s_cbranch_execz .LBB58_388
; %bb.383:
	v_cmp_gt_f64_e32 vcc_lo, 0, v[120:121]
	v_cmp_gt_f64_e64 s2, 0, v[122:123]
	v_xor_b32_e32 v40, 0x80000000, v121
	v_xor_b32_e32 v42, 0x80000000, v123
	s_delay_alu instid0(VALU_DEP_2) | instskip(NEXT) | instid1(VALU_DEP_2)
	v_cndmask_b32_e32 v41, v121, v40, vcc_lo
	v_cndmask_b32_e64 v43, v123, v42, s2
	v_cndmask_b32_e32 v40, v120, v120, vcc_lo
	v_cndmask_b32_e64 v42, v122, v122, s2
	s_mov_b32 s2, exec_lo
	s_delay_alu instid0(VALU_DEP_1)
	v_cmpx_ngt_f64_e32 v[40:41], v[42:43]
	s_xor_b32 s2, exec_lo, s2
	s_cbranch_execz .LBB58_385
; %bb.384:
	v_div_scale_f64 v[40:41], null, v[122:123], v[122:123], v[120:121]
	v_div_scale_f64 v[46:47], vcc_lo, v[120:121], v[122:123], v[120:121]
	s_delay_alu instid0(VALU_DEP_2) | instskip(SKIP_2) | instid1(VALU_DEP_1)
	v_rcp_f64_e32 v[42:43], v[40:41]
	s_waitcnt_depctr 0xfff
	v_fma_f64 v[44:45], -v[40:41], v[42:43], 1.0
	v_fma_f64 v[42:43], v[42:43], v[44:45], v[42:43]
	s_delay_alu instid0(VALU_DEP_1) | instskip(NEXT) | instid1(VALU_DEP_1)
	v_fma_f64 v[44:45], -v[40:41], v[42:43], 1.0
	v_fma_f64 v[42:43], v[42:43], v[44:45], v[42:43]
	s_delay_alu instid0(VALU_DEP_1) | instskip(NEXT) | instid1(VALU_DEP_1)
	v_mul_f64 v[44:45], v[46:47], v[42:43]
	v_fma_f64 v[40:41], -v[40:41], v[44:45], v[46:47]
	s_delay_alu instid0(VALU_DEP_1) | instskip(NEXT) | instid1(VALU_DEP_1)
	v_div_fmas_f64 v[40:41], v[40:41], v[42:43], v[44:45]
	v_div_fixup_f64 v[40:41], v[40:41], v[122:123], v[120:121]
	s_delay_alu instid0(VALU_DEP_1) | instskip(NEXT) | instid1(VALU_DEP_1)
	v_fma_f64 v[42:43], v[120:121], v[40:41], v[122:123]
	v_div_scale_f64 v[44:45], null, v[42:43], v[42:43], 1.0
	s_delay_alu instid0(VALU_DEP_1) | instskip(SKIP_2) | instid1(VALU_DEP_1)
	v_rcp_f64_e32 v[46:47], v[44:45]
	s_waitcnt_depctr 0xfff
	v_fma_f64 v[92:93], -v[44:45], v[46:47], 1.0
	v_fma_f64 v[46:47], v[46:47], v[92:93], v[46:47]
	s_delay_alu instid0(VALU_DEP_1) | instskip(NEXT) | instid1(VALU_DEP_1)
	v_fma_f64 v[92:93], -v[44:45], v[46:47], 1.0
	v_fma_f64 v[46:47], v[46:47], v[92:93], v[46:47]
	v_div_scale_f64 v[92:93], vcc_lo, 1.0, v[42:43], 1.0
	s_delay_alu instid0(VALU_DEP_1) | instskip(NEXT) | instid1(VALU_DEP_1)
	v_mul_f64 v[94:95], v[92:93], v[46:47]
	v_fma_f64 v[44:45], -v[44:45], v[94:95], v[92:93]
	s_delay_alu instid0(VALU_DEP_1) | instskip(NEXT) | instid1(VALU_DEP_1)
	v_div_fmas_f64 v[44:45], v[44:45], v[46:47], v[94:95]
	v_div_fixup_f64 v[122:123], v[44:45], v[42:43], 1.0
	s_delay_alu instid0(VALU_DEP_1)
	v_mul_f64 v[120:121], v[40:41], v[122:123]
	v_xor_b32_e32 v123, 0x80000000, v123
.LBB58_385:
	s_and_not1_saveexec_b32 s2, s2
	s_cbranch_execz .LBB58_387
; %bb.386:
	s_delay_alu instid0(VALU_DEP_1) | instskip(SKIP_1) | instid1(VALU_DEP_2)
	v_div_scale_f64 v[40:41], null, v[120:121], v[120:121], v[122:123]
	v_div_scale_f64 v[46:47], vcc_lo, v[122:123], v[120:121], v[122:123]
	v_rcp_f64_e32 v[42:43], v[40:41]
	s_waitcnt_depctr 0xfff
	v_fma_f64 v[44:45], -v[40:41], v[42:43], 1.0
	s_delay_alu instid0(VALU_DEP_1) | instskip(NEXT) | instid1(VALU_DEP_1)
	v_fma_f64 v[42:43], v[42:43], v[44:45], v[42:43]
	v_fma_f64 v[44:45], -v[40:41], v[42:43], 1.0
	s_delay_alu instid0(VALU_DEP_1) | instskip(NEXT) | instid1(VALU_DEP_1)
	v_fma_f64 v[42:43], v[42:43], v[44:45], v[42:43]
	v_mul_f64 v[44:45], v[46:47], v[42:43]
	s_delay_alu instid0(VALU_DEP_1) | instskip(NEXT) | instid1(VALU_DEP_1)
	v_fma_f64 v[40:41], -v[40:41], v[44:45], v[46:47]
	v_div_fmas_f64 v[40:41], v[40:41], v[42:43], v[44:45]
	s_delay_alu instid0(VALU_DEP_1) | instskip(NEXT) | instid1(VALU_DEP_1)
	v_div_fixup_f64 v[40:41], v[40:41], v[120:121], v[122:123]
	v_fma_f64 v[42:43], v[122:123], v[40:41], v[120:121]
	s_delay_alu instid0(VALU_DEP_1) | instskip(NEXT) | instid1(VALU_DEP_1)
	v_div_scale_f64 v[44:45], null, v[42:43], v[42:43], 1.0
	v_rcp_f64_e32 v[46:47], v[44:45]
	s_waitcnt_depctr 0xfff
	v_fma_f64 v[92:93], -v[44:45], v[46:47], 1.0
	s_delay_alu instid0(VALU_DEP_1) | instskip(NEXT) | instid1(VALU_DEP_1)
	v_fma_f64 v[46:47], v[46:47], v[92:93], v[46:47]
	v_fma_f64 v[92:93], -v[44:45], v[46:47], 1.0
	s_delay_alu instid0(VALU_DEP_1) | instskip(SKIP_1) | instid1(VALU_DEP_1)
	v_fma_f64 v[46:47], v[46:47], v[92:93], v[46:47]
	v_div_scale_f64 v[92:93], vcc_lo, 1.0, v[42:43], 1.0
	v_mul_f64 v[94:95], v[92:93], v[46:47]
	s_delay_alu instid0(VALU_DEP_1) | instskip(NEXT) | instid1(VALU_DEP_1)
	v_fma_f64 v[44:45], -v[44:45], v[94:95], v[92:93]
	v_div_fmas_f64 v[44:45], v[44:45], v[46:47], v[94:95]
	s_delay_alu instid0(VALU_DEP_1) | instskip(NEXT) | instid1(VALU_DEP_1)
	v_div_fixup_f64 v[120:121], v[44:45], v[42:43], 1.0
	v_mul_f64 v[122:123], v[40:41], -v[120:121]
.LBB58_387:
	s_or_b32 exec_lo, exec_lo, s2
.LBB58_388:
	s_delay_alu instid0(SALU_CYCLE_1) | instskip(NEXT) | instid1(SALU_CYCLE_1)
	s_or_b32 exec_lo, exec_lo, s3
	s_mov_b32 s2, exec_lo
	v_cmpx_ne_u32_e64 v146, v128
	s_xor_b32 s2, exec_lo, s2
	s_cbranch_execz .LBB58_394
; %bb.389:
	s_mov_b32 s3, exec_lo
	v_cmpx_eq_u32_e32 18, v146
	s_cbranch_execz .LBB58_393
; %bb.390:
	v_cmp_ne_u32_e32 vcc_lo, 18, v128
	s_xor_b32 s6, s4, -1
	s_delay_alu instid0(SALU_CYCLE_1) | instskip(NEXT) | instid1(SALU_CYCLE_1)
	s_and_b32 s7, s6, vcc_lo
	s_and_saveexec_b32 s6, s7
	s_cbranch_execz .LBB58_392
; %bb.391:
	v_ashrrev_i32_e32 v129, 31, v128
	s_delay_alu instid0(VALU_DEP_1) | instskip(NEXT) | instid1(VALU_DEP_1)
	v_lshlrev_b64 v[40:41], 2, v[128:129]
	v_add_co_u32 v40, vcc_lo, v253, v40
	s_delay_alu instid0(VALU_DEP_2)
	v_add_co_ci_u32_e32 v41, vcc_lo, v254, v41, vcc_lo
	s_clause 0x1
	flat_load_b32 v42, v[40:41]
	flat_load_b32 v43, v[253:254] offset:72
	s_waitcnt vmcnt(1) lgkmcnt(1)
	flat_store_b32 v[253:254], v42 offset:72
	s_waitcnt vmcnt(0) lgkmcnt(1)
	flat_store_b32 v[40:41], v43
.LBB58_392:
	s_or_b32 exec_lo, exec_lo, s6
	v_mov_b32_e32 v146, v128
	v_mov_b32_e32 v82, v128
.LBB58_393:
	s_or_b32 exec_lo, exec_lo, s3
.LBB58_394:
	s_and_not1_saveexec_b32 s2, s2
	s_cbranch_execz .LBB58_396
; %bb.395:
	v_mov_b32_e32 v146, 18
	ds_store_2addr_b64 v144, v[48:49], v[50:51] offset0:38 offset1:39
	ds_store_2addr_b64 v144, v[36:37], v[38:39] offset0:40 offset1:41
	;; [unrolled: 1-line block ×11, first 2 shown]
.LBB58_396:
	s_or_b32 exec_lo, exec_lo, s2
	s_delay_alu instid0(SALU_CYCLE_1)
	s_mov_b32 s2, exec_lo
	s_waitcnt lgkmcnt(0)
	s_waitcnt_vscnt null, 0x0
	s_barrier
	buffer_gl0_inv
	v_cmpx_lt_i32_e32 18, v146
	s_cbranch_execz .LBB58_398
; %bb.397:
	v_mul_f64 v[40:41], v[120:121], v[54:55]
	v_mul_f64 v[42:43], v[122:123], v[54:55]
	ds_load_2addr_b64 v[128:131], v144 offset0:38 offset1:39
	ds_load_2addr_b64 v[132:135], v144 offset0:40 offset1:41
	;; [unrolled: 1-line block ×11, first 2 shown]
	v_fma_f64 v[40:41], v[122:123], v[52:53], v[40:41]
	v_fma_f64 v[52:53], v[120:121], v[52:53], -v[42:43]
	s_waitcnt lgkmcnt(10)
	s_delay_alu instid0(VALU_DEP_2)
	v_mul_f64 v[42:43], v[130:131], v[40:41]
	v_mul_f64 v[44:45], v[128:129], v[40:41]
	s_waitcnt lgkmcnt(9)
	v_mul_f64 v[46:47], v[134:135], v[40:41]
	v_mul_f64 v[54:55], v[132:133], v[40:41]
	s_waitcnt lgkmcnt(8)
	v_mul_f64 v[92:93], v[138:139], v[40:41]
	v_mul_f64 v[94:95], v[136:137], v[40:41]
	s_waitcnt lgkmcnt(7)
	v_mul_f64 v[104:105], v[149:150], v[40:41]
	v_mul_f64 v[106:107], v[147:148], v[40:41]
	s_waitcnt lgkmcnt(6)
	v_mul_f64 v[108:109], v[153:154], v[40:41]
	v_mul_f64 v[110:111], v[151:152], v[40:41]
	s_waitcnt lgkmcnt(5)
	v_mul_f64 v[112:113], v[157:158], v[40:41]
	v_mul_f64 v[114:115], v[155:156], v[40:41]
	s_waitcnt lgkmcnt(4)
	v_mul_f64 v[116:117], v[161:162], v[40:41]
	v_mul_f64 v[118:119], v[159:160], v[40:41]
	s_waitcnt lgkmcnt(3)
	v_mul_f64 v[120:121], v[165:166], v[40:41]
	v_mul_f64 v[122:123], v[163:164], v[40:41]
	s_waitcnt lgkmcnt(2)
	v_mul_f64 v[124:125], v[169:170], v[40:41]
	v_mul_f64 v[126:127], v[167:168], v[40:41]
	s_waitcnt lgkmcnt(1)
	v_mul_f64 v[179:180], v[173:174], v[40:41]
	v_mul_f64 v[181:182], v[171:172], v[40:41]
	s_waitcnt lgkmcnt(0)
	v_mul_f64 v[183:184], v[177:178], v[40:41]
	v_mul_f64 v[185:186], v[175:176], v[40:41]
	v_fma_f64 v[42:43], v[128:129], v[52:53], -v[42:43]
	v_fma_f64 v[44:45], v[130:131], v[52:53], v[44:45]
	v_fma_f64 v[46:47], v[132:133], v[52:53], -v[46:47]
	v_fma_f64 v[54:55], v[134:135], v[52:53], v[54:55]
	;; [unrolled: 2-line block ×11, first 2 shown]
	v_add_f64 v[48:49], v[48:49], -v[42:43]
	v_add_f64 v[50:51], v[50:51], -v[44:45]
	;; [unrolled: 1-line block ×22, first 2 shown]
	v_dual_mov_b32 v55, v41 :: v_dual_mov_b32 v54, v40
.LBB58_398:
	s_or_b32 exec_lo, exec_lo, s2
	v_lshl_add_u32 v40, v146, 4, v144
	s_barrier
	buffer_gl0_inv
	v_mov_b32_e32 v128, 19
	ds_store_2addr_b64 v40, v[48:49], v[50:51] offset1:1
	s_waitcnt lgkmcnt(0)
	s_barrier
	buffer_gl0_inv
	ds_load_2addr_b64 v[120:123], v144 offset0:38 offset1:39
	s_cmp_lt_i32 s5, 21
	s_cbranch_scc1 .LBB58_401
; %bb.399:
	v_add3_u32 v129, v80, 0, 0x140
	v_mov_b32_e32 v128, 19
	s_mov_b32 s6, 20
	s_set_inst_prefetch_distance 0x1
	.p2align	6
.LBB58_400:                             ; =>This Inner Loop Header: Depth=1
	ds_load_2addr_b64 v[130:133], v129 offset1:1
	s_waitcnt lgkmcnt(1)
	v_cmp_gt_f64_e32 vcc_lo, 0, v[120:121]
	v_xor_b32_e32 v40, 0x80000000, v121
	v_cmp_gt_f64_e64 s2, 0, v[122:123]
	v_xor_b32_e32 v42, 0x80000000, v123
	v_add_nc_u32_e32 v129, 16, v129
	s_waitcnt lgkmcnt(0)
	v_cmp_gt_f64_e64 s3, 0, v[130:131]
	v_mov_b32_e32 v44, v130
	v_dual_mov_b32 v46, v132 :: v_dual_cndmask_b32 v41, v121, v40
	v_xor_b32_e32 v40, 0x80000000, v131
	v_cndmask_b32_e64 v43, v123, v42, s2
	v_xor_b32_e32 v42, 0x80000000, v133
	s_delay_alu instid0(VALU_DEP_3) | instskip(SKIP_2) | instid1(VALU_DEP_2)
	v_cndmask_b32_e64 v45, v131, v40, s3
	v_cmp_gt_f64_e64 s3, 0, v[132:133]
	v_cndmask_b32_e32 v40, v120, v120, vcc_lo
	v_cndmask_b32_e64 v47, v133, v42, s3
	v_cndmask_b32_e64 v42, v122, v122, s2
	s_delay_alu instid0(VALU_DEP_2) | instskip(NEXT) | instid1(VALU_DEP_2)
	v_add_f64 v[44:45], v[44:45], v[46:47]
	v_add_f64 v[40:41], v[40:41], v[42:43]
	s_delay_alu instid0(VALU_DEP_1)
	v_cmp_lt_f64_e32 vcc_lo, v[40:41], v[44:45]
	v_cndmask_b32_e32 v123, v123, v133, vcc_lo
	v_dual_cndmask_b32 v121, v121, v131 :: v_dual_cndmask_b32 v120, v120, v130
	v_cndmask_b32_e32 v122, v122, v132, vcc_lo
	v_cndmask_b32_e64 v128, v128, s6, vcc_lo
	s_add_i32 s6, s6, 1
	s_delay_alu instid0(SALU_CYCLE_1)
	s_cmp_lg_u32 s5, s6
	s_cbranch_scc1 .LBB58_400
.LBB58_401:
	s_set_inst_prefetch_distance 0x2
	s_waitcnt lgkmcnt(0)
	v_cmp_eq_f64_e32 vcc_lo, 0, v[120:121]
	v_cmp_eq_f64_e64 s2, 0, v[122:123]
	s_delay_alu instid0(VALU_DEP_1) | instskip(NEXT) | instid1(SALU_CYCLE_1)
	s_and_b32 s2, vcc_lo, s2
	s_and_saveexec_b32 s3, s2
	s_delay_alu instid0(SALU_CYCLE_1)
	s_xor_b32 s2, exec_lo, s3
; %bb.402:
	v_cmp_ne_u32_e32 vcc_lo, 0, v83
	v_cndmask_b32_e32 v83, 20, v83, vcc_lo
; %bb.403:
	s_and_not1_saveexec_b32 s3, s2
	s_cbranch_execz .LBB58_409
; %bb.404:
	v_cmp_gt_f64_e32 vcc_lo, 0, v[120:121]
	v_cmp_gt_f64_e64 s2, 0, v[122:123]
	v_xor_b32_e32 v40, 0x80000000, v121
	v_xor_b32_e32 v42, 0x80000000, v123
	s_delay_alu instid0(VALU_DEP_2) | instskip(NEXT) | instid1(VALU_DEP_2)
	v_cndmask_b32_e32 v41, v121, v40, vcc_lo
	v_cndmask_b32_e64 v43, v123, v42, s2
	v_cndmask_b32_e32 v40, v120, v120, vcc_lo
	v_cndmask_b32_e64 v42, v122, v122, s2
	s_mov_b32 s2, exec_lo
	s_delay_alu instid0(VALU_DEP_1)
	v_cmpx_ngt_f64_e32 v[40:41], v[42:43]
	s_xor_b32 s2, exec_lo, s2
	s_cbranch_execz .LBB58_406
; %bb.405:
	v_div_scale_f64 v[40:41], null, v[122:123], v[122:123], v[120:121]
	v_div_scale_f64 v[46:47], vcc_lo, v[120:121], v[122:123], v[120:121]
	s_delay_alu instid0(VALU_DEP_2) | instskip(SKIP_2) | instid1(VALU_DEP_1)
	v_rcp_f64_e32 v[42:43], v[40:41]
	s_waitcnt_depctr 0xfff
	v_fma_f64 v[44:45], -v[40:41], v[42:43], 1.0
	v_fma_f64 v[42:43], v[42:43], v[44:45], v[42:43]
	s_delay_alu instid0(VALU_DEP_1) | instskip(NEXT) | instid1(VALU_DEP_1)
	v_fma_f64 v[44:45], -v[40:41], v[42:43], 1.0
	v_fma_f64 v[42:43], v[42:43], v[44:45], v[42:43]
	s_delay_alu instid0(VALU_DEP_1) | instskip(NEXT) | instid1(VALU_DEP_1)
	v_mul_f64 v[44:45], v[46:47], v[42:43]
	v_fma_f64 v[40:41], -v[40:41], v[44:45], v[46:47]
	s_delay_alu instid0(VALU_DEP_1) | instskip(NEXT) | instid1(VALU_DEP_1)
	v_div_fmas_f64 v[40:41], v[40:41], v[42:43], v[44:45]
	v_div_fixup_f64 v[40:41], v[40:41], v[122:123], v[120:121]
	s_delay_alu instid0(VALU_DEP_1) | instskip(NEXT) | instid1(VALU_DEP_1)
	v_fma_f64 v[42:43], v[120:121], v[40:41], v[122:123]
	v_div_scale_f64 v[44:45], null, v[42:43], v[42:43], 1.0
	s_delay_alu instid0(VALU_DEP_1) | instskip(SKIP_2) | instid1(VALU_DEP_1)
	v_rcp_f64_e32 v[46:47], v[44:45]
	s_waitcnt_depctr 0xfff
	v_fma_f64 v[92:93], -v[44:45], v[46:47], 1.0
	v_fma_f64 v[46:47], v[46:47], v[92:93], v[46:47]
	s_delay_alu instid0(VALU_DEP_1) | instskip(NEXT) | instid1(VALU_DEP_1)
	v_fma_f64 v[92:93], -v[44:45], v[46:47], 1.0
	v_fma_f64 v[46:47], v[46:47], v[92:93], v[46:47]
	v_div_scale_f64 v[92:93], vcc_lo, 1.0, v[42:43], 1.0
	s_delay_alu instid0(VALU_DEP_1) | instskip(NEXT) | instid1(VALU_DEP_1)
	v_mul_f64 v[94:95], v[92:93], v[46:47]
	v_fma_f64 v[44:45], -v[44:45], v[94:95], v[92:93]
	s_delay_alu instid0(VALU_DEP_1) | instskip(NEXT) | instid1(VALU_DEP_1)
	v_div_fmas_f64 v[44:45], v[44:45], v[46:47], v[94:95]
	v_div_fixup_f64 v[122:123], v[44:45], v[42:43], 1.0
	s_delay_alu instid0(VALU_DEP_1)
	v_mul_f64 v[120:121], v[40:41], v[122:123]
	v_xor_b32_e32 v123, 0x80000000, v123
.LBB58_406:
	s_and_not1_saveexec_b32 s2, s2
	s_cbranch_execz .LBB58_408
; %bb.407:
	s_delay_alu instid0(VALU_DEP_1) | instskip(SKIP_1) | instid1(VALU_DEP_2)
	v_div_scale_f64 v[40:41], null, v[120:121], v[120:121], v[122:123]
	v_div_scale_f64 v[46:47], vcc_lo, v[122:123], v[120:121], v[122:123]
	v_rcp_f64_e32 v[42:43], v[40:41]
	s_waitcnt_depctr 0xfff
	v_fma_f64 v[44:45], -v[40:41], v[42:43], 1.0
	s_delay_alu instid0(VALU_DEP_1) | instskip(NEXT) | instid1(VALU_DEP_1)
	v_fma_f64 v[42:43], v[42:43], v[44:45], v[42:43]
	v_fma_f64 v[44:45], -v[40:41], v[42:43], 1.0
	s_delay_alu instid0(VALU_DEP_1) | instskip(NEXT) | instid1(VALU_DEP_1)
	v_fma_f64 v[42:43], v[42:43], v[44:45], v[42:43]
	v_mul_f64 v[44:45], v[46:47], v[42:43]
	s_delay_alu instid0(VALU_DEP_1) | instskip(NEXT) | instid1(VALU_DEP_1)
	v_fma_f64 v[40:41], -v[40:41], v[44:45], v[46:47]
	v_div_fmas_f64 v[40:41], v[40:41], v[42:43], v[44:45]
	s_delay_alu instid0(VALU_DEP_1) | instskip(NEXT) | instid1(VALU_DEP_1)
	v_div_fixup_f64 v[40:41], v[40:41], v[120:121], v[122:123]
	v_fma_f64 v[42:43], v[122:123], v[40:41], v[120:121]
	s_delay_alu instid0(VALU_DEP_1) | instskip(NEXT) | instid1(VALU_DEP_1)
	v_div_scale_f64 v[44:45], null, v[42:43], v[42:43], 1.0
	v_rcp_f64_e32 v[46:47], v[44:45]
	s_waitcnt_depctr 0xfff
	v_fma_f64 v[92:93], -v[44:45], v[46:47], 1.0
	s_delay_alu instid0(VALU_DEP_1) | instskip(NEXT) | instid1(VALU_DEP_1)
	v_fma_f64 v[46:47], v[46:47], v[92:93], v[46:47]
	v_fma_f64 v[92:93], -v[44:45], v[46:47], 1.0
	s_delay_alu instid0(VALU_DEP_1) | instskip(SKIP_1) | instid1(VALU_DEP_1)
	v_fma_f64 v[46:47], v[46:47], v[92:93], v[46:47]
	v_div_scale_f64 v[92:93], vcc_lo, 1.0, v[42:43], 1.0
	v_mul_f64 v[94:95], v[92:93], v[46:47]
	s_delay_alu instid0(VALU_DEP_1) | instskip(NEXT) | instid1(VALU_DEP_1)
	v_fma_f64 v[44:45], -v[44:45], v[94:95], v[92:93]
	v_div_fmas_f64 v[44:45], v[44:45], v[46:47], v[94:95]
	s_delay_alu instid0(VALU_DEP_1) | instskip(NEXT) | instid1(VALU_DEP_1)
	v_div_fixup_f64 v[120:121], v[44:45], v[42:43], 1.0
	v_mul_f64 v[122:123], v[40:41], -v[120:121]
.LBB58_408:
	s_or_b32 exec_lo, exec_lo, s2
.LBB58_409:
	s_delay_alu instid0(SALU_CYCLE_1) | instskip(NEXT) | instid1(SALU_CYCLE_1)
	s_or_b32 exec_lo, exec_lo, s3
	s_mov_b32 s2, exec_lo
	v_cmpx_ne_u32_e64 v146, v128
	s_xor_b32 s2, exec_lo, s2
	s_cbranch_execz .LBB58_415
; %bb.410:
	s_mov_b32 s3, exec_lo
	v_cmpx_eq_u32_e32 19, v146
	s_cbranch_execz .LBB58_414
; %bb.411:
	v_cmp_ne_u32_e32 vcc_lo, 19, v128
	s_xor_b32 s6, s4, -1
	s_delay_alu instid0(SALU_CYCLE_1) | instskip(NEXT) | instid1(SALU_CYCLE_1)
	s_and_b32 s7, s6, vcc_lo
	s_and_saveexec_b32 s6, s7
	s_cbranch_execz .LBB58_413
; %bb.412:
	v_ashrrev_i32_e32 v129, 31, v128
	s_delay_alu instid0(VALU_DEP_1) | instskip(NEXT) | instid1(VALU_DEP_1)
	v_lshlrev_b64 v[40:41], 2, v[128:129]
	v_add_co_u32 v40, vcc_lo, v253, v40
	s_delay_alu instid0(VALU_DEP_2)
	v_add_co_ci_u32_e32 v41, vcc_lo, v254, v41, vcc_lo
	s_clause 0x1
	flat_load_b32 v42, v[40:41]
	flat_load_b32 v43, v[253:254] offset:76
	s_waitcnt vmcnt(1) lgkmcnt(1)
	flat_store_b32 v[253:254], v42 offset:76
	s_waitcnt vmcnt(0) lgkmcnt(1)
	flat_store_b32 v[40:41], v43
.LBB58_413:
	s_or_b32 exec_lo, exec_lo, s6
	v_mov_b32_e32 v146, v128
	v_mov_b32_e32 v82, v128
.LBB58_414:
	s_or_b32 exec_lo, exec_lo, s3
.LBB58_415:
	s_and_not1_saveexec_b32 s2, s2
	s_cbranch_execz .LBB58_417
; %bb.416:
	v_mov_b32_e32 v146, 19
	ds_store_2addr_b64 v144, v[36:37], v[38:39] offset0:40 offset1:41
	ds_store_2addr_b64 v144, v[32:33], v[34:35] offset0:42 offset1:43
	;; [unrolled: 1-line block ×10, first 2 shown]
.LBB58_417:
	s_or_b32 exec_lo, exec_lo, s2
	s_delay_alu instid0(SALU_CYCLE_1)
	s_mov_b32 s2, exec_lo
	s_waitcnt lgkmcnt(0)
	s_waitcnt_vscnt null, 0x0
	s_barrier
	buffer_gl0_inv
	v_cmpx_lt_i32_e32 19, v146
	s_cbranch_execz .LBB58_419
; %bb.418:
	v_mul_f64 v[40:41], v[120:121], v[50:51]
	v_mul_f64 v[42:43], v[122:123], v[50:51]
	ds_load_2addr_b64 v[128:131], v144 offset0:40 offset1:41
	ds_load_2addr_b64 v[132:135], v144 offset0:42 offset1:43
	;; [unrolled: 1-line block ×10, first 2 shown]
	v_fma_f64 v[40:41], v[122:123], v[48:49], v[40:41]
	v_fma_f64 v[48:49], v[120:121], v[48:49], -v[42:43]
	s_waitcnt lgkmcnt(9)
	s_delay_alu instid0(VALU_DEP_2)
	v_mul_f64 v[42:43], v[130:131], v[40:41]
	v_mul_f64 v[44:45], v[128:129], v[40:41]
	s_waitcnt lgkmcnt(8)
	v_mul_f64 v[46:47], v[134:135], v[40:41]
	v_mul_f64 v[50:51], v[132:133], v[40:41]
	s_waitcnt lgkmcnt(7)
	;; [unrolled: 3-line block ×9, first 2 shown]
	v_mul_f64 v[175:176], v[173:174], v[40:41]
	v_mul_f64 v[177:178], v[171:172], v[40:41]
	v_fma_f64 v[42:43], v[128:129], v[48:49], -v[42:43]
	v_fma_f64 v[44:45], v[130:131], v[48:49], v[44:45]
	v_fma_f64 v[46:47], v[132:133], v[48:49], -v[46:47]
	v_fma_f64 v[50:51], v[134:135], v[48:49], v[50:51]
	;; [unrolled: 2-line block ×10, first 2 shown]
	v_add_f64 v[36:37], v[36:37], -v[42:43]
	v_add_f64 v[38:39], v[38:39], -v[44:45]
	;; [unrolled: 1-line block ×20, first 2 shown]
	v_dual_mov_b32 v51, v41 :: v_dual_mov_b32 v50, v40
.LBB58_419:
	s_or_b32 exec_lo, exec_lo, s2
	v_lshl_add_u32 v40, v146, 4, v144
	s_barrier
	buffer_gl0_inv
	v_mov_b32_e32 v128, 20
	ds_store_2addr_b64 v40, v[36:37], v[38:39] offset1:1
	s_waitcnt lgkmcnt(0)
	s_barrier
	buffer_gl0_inv
	ds_load_2addr_b64 v[120:123], v144 offset0:40 offset1:41
	s_cmp_lt_i32 s5, 22
	s_cbranch_scc1 .LBB58_422
; %bb.420:
	v_add3_u32 v129, v80, 0, 0x150
	v_mov_b32_e32 v128, 20
	s_mov_b32 s6, 21
	s_set_inst_prefetch_distance 0x1
	.p2align	6
.LBB58_421:                             ; =>This Inner Loop Header: Depth=1
	ds_load_2addr_b64 v[130:133], v129 offset1:1
	s_waitcnt lgkmcnt(1)
	v_cmp_gt_f64_e32 vcc_lo, 0, v[120:121]
	v_xor_b32_e32 v40, 0x80000000, v121
	v_cmp_gt_f64_e64 s2, 0, v[122:123]
	v_xor_b32_e32 v42, 0x80000000, v123
	v_add_nc_u32_e32 v129, 16, v129
	s_waitcnt lgkmcnt(0)
	v_cmp_gt_f64_e64 s3, 0, v[130:131]
	v_mov_b32_e32 v44, v130
	v_dual_mov_b32 v46, v132 :: v_dual_cndmask_b32 v41, v121, v40
	v_xor_b32_e32 v40, 0x80000000, v131
	v_cndmask_b32_e64 v43, v123, v42, s2
	v_xor_b32_e32 v42, 0x80000000, v133
	s_delay_alu instid0(VALU_DEP_3) | instskip(SKIP_2) | instid1(VALU_DEP_2)
	v_cndmask_b32_e64 v45, v131, v40, s3
	v_cmp_gt_f64_e64 s3, 0, v[132:133]
	v_cndmask_b32_e32 v40, v120, v120, vcc_lo
	v_cndmask_b32_e64 v47, v133, v42, s3
	v_cndmask_b32_e64 v42, v122, v122, s2
	s_delay_alu instid0(VALU_DEP_2) | instskip(NEXT) | instid1(VALU_DEP_2)
	v_add_f64 v[44:45], v[44:45], v[46:47]
	v_add_f64 v[40:41], v[40:41], v[42:43]
	s_delay_alu instid0(VALU_DEP_1)
	v_cmp_lt_f64_e32 vcc_lo, v[40:41], v[44:45]
	v_cndmask_b32_e32 v123, v123, v133, vcc_lo
	v_dual_cndmask_b32 v121, v121, v131 :: v_dual_cndmask_b32 v120, v120, v130
	v_cndmask_b32_e32 v122, v122, v132, vcc_lo
	v_cndmask_b32_e64 v128, v128, s6, vcc_lo
	s_add_i32 s6, s6, 1
	s_delay_alu instid0(SALU_CYCLE_1)
	s_cmp_lg_u32 s5, s6
	s_cbranch_scc1 .LBB58_421
.LBB58_422:
	s_set_inst_prefetch_distance 0x2
	s_waitcnt lgkmcnt(0)
	v_cmp_eq_f64_e32 vcc_lo, 0, v[120:121]
	v_cmp_eq_f64_e64 s2, 0, v[122:123]
	s_delay_alu instid0(VALU_DEP_1) | instskip(NEXT) | instid1(SALU_CYCLE_1)
	s_and_b32 s2, vcc_lo, s2
	s_and_saveexec_b32 s3, s2
	s_delay_alu instid0(SALU_CYCLE_1)
	s_xor_b32 s2, exec_lo, s3
; %bb.423:
	v_cmp_ne_u32_e32 vcc_lo, 0, v83
	v_cndmask_b32_e32 v83, 21, v83, vcc_lo
; %bb.424:
	s_and_not1_saveexec_b32 s3, s2
	s_cbranch_execz .LBB58_430
; %bb.425:
	v_cmp_gt_f64_e32 vcc_lo, 0, v[120:121]
	v_cmp_gt_f64_e64 s2, 0, v[122:123]
	v_xor_b32_e32 v40, 0x80000000, v121
	v_xor_b32_e32 v42, 0x80000000, v123
	s_delay_alu instid0(VALU_DEP_2) | instskip(NEXT) | instid1(VALU_DEP_2)
	v_cndmask_b32_e32 v41, v121, v40, vcc_lo
	v_cndmask_b32_e64 v43, v123, v42, s2
	v_cndmask_b32_e32 v40, v120, v120, vcc_lo
	v_cndmask_b32_e64 v42, v122, v122, s2
	s_mov_b32 s2, exec_lo
	s_delay_alu instid0(VALU_DEP_1)
	v_cmpx_ngt_f64_e32 v[40:41], v[42:43]
	s_xor_b32 s2, exec_lo, s2
	s_cbranch_execz .LBB58_427
; %bb.426:
	v_div_scale_f64 v[40:41], null, v[122:123], v[122:123], v[120:121]
	v_div_scale_f64 v[46:47], vcc_lo, v[120:121], v[122:123], v[120:121]
	s_delay_alu instid0(VALU_DEP_2) | instskip(SKIP_2) | instid1(VALU_DEP_1)
	v_rcp_f64_e32 v[42:43], v[40:41]
	s_waitcnt_depctr 0xfff
	v_fma_f64 v[44:45], -v[40:41], v[42:43], 1.0
	v_fma_f64 v[42:43], v[42:43], v[44:45], v[42:43]
	s_delay_alu instid0(VALU_DEP_1) | instskip(NEXT) | instid1(VALU_DEP_1)
	v_fma_f64 v[44:45], -v[40:41], v[42:43], 1.0
	v_fma_f64 v[42:43], v[42:43], v[44:45], v[42:43]
	s_delay_alu instid0(VALU_DEP_1) | instskip(NEXT) | instid1(VALU_DEP_1)
	v_mul_f64 v[44:45], v[46:47], v[42:43]
	v_fma_f64 v[40:41], -v[40:41], v[44:45], v[46:47]
	s_delay_alu instid0(VALU_DEP_1) | instskip(NEXT) | instid1(VALU_DEP_1)
	v_div_fmas_f64 v[40:41], v[40:41], v[42:43], v[44:45]
	v_div_fixup_f64 v[40:41], v[40:41], v[122:123], v[120:121]
	s_delay_alu instid0(VALU_DEP_1) | instskip(NEXT) | instid1(VALU_DEP_1)
	v_fma_f64 v[42:43], v[120:121], v[40:41], v[122:123]
	v_div_scale_f64 v[44:45], null, v[42:43], v[42:43], 1.0
	s_delay_alu instid0(VALU_DEP_1) | instskip(SKIP_2) | instid1(VALU_DEP_1)
	v_rcp_f64_e32 v[46:47], v[44:45]
	s_waitcnt_depctr 0xfff
	v_fma_f64 v[92:93], -v[44:45], v[46:47], 1.0
	v_fma_f64 v[46:47], v[46:47], v[92:93], v[46:47]
	s_delay_alu instid0(VALU_DEP_1) | instskip(NEXT) | instid1(VALU_DEP_1)
	v_fma_f64 v[92:93], -v[44:45], v[46:47], 1.0
	v_fma_f64 v[46:47], v[46:47], v[92:93], v[46:47]
	v_div_scale_f64 v[92:93], vcc_lo, 1.0, v[42:43], 1.0
	s_delay_alu instid0(VALU_DEP_1) | instskip(NEXT) | instid1(VALU_DEP_1)
	v_mul_f64 v[94:95], v[92:93], v[46:47]
	v_fma_f64 v[44:45], -v[44:45], v[94:95], v[92:93]
	s_delay_alu instid0(VALU_DEP_1) | instskip(NEXT) | instid1(VALU_DEP_1)
	v_div_fmas_f64 v[44:45], v[44:45], v[46:47], v[94:95]
	v_div_fixup_f64 v[122:123], v[44:45], v[42:43], 1.0
	s_delay_alu instid0(VALU_DEP_1)
	v_mul_f64 v[120:121], v[40:41], v[122:123]
	v_xor_b32_e32 v123, 0x80000000, v123
.LBB58_427:
	s_and_not1_saveexec_b32 s2, s2
	s_cbranch_execz .LBB58_429
; %bb.428:
	s_delay_alu instid0(VALU_DEP_1) | instskip(SKIP_1) | instid1(VALU_DEP_2)
	v_div_scale_f64 v[40:41], null, v[120:121], v[120:121], v[122:123]
	v_div_scale_f64 v[46:47], vcc_lo, v[122:123], v[120:121], v[122:123]
	v_rcp_f64_e32 v[42:43], v[40:41]
	s_waitcnt_depctr 0xfff
	v_fma_f64 v[44:45], -v[40:41], v[42:43], 1.0
	s_delay_alu instid0(VALU_DEP_1) | instskip(NEXT) | instid1(VALU_DEP_1)
	v_fma_f64 v[42:43], v[42:43], v[44:45], v[42:43]
	v_fma_f64 v[44:45], -v[40:41], v[42:43], 1.0
	s_delay_alu instid0(VALU_DEP_1) | instskip(NEXT) | instid1(VALU_DEP_1)
	v_fma_f64 v[42:43], v[42:43], v[44:45], v[42:43]
	v_mul_f64 v[44:45], v[46:47], v[42:43]
	s_delay_alu instid0(VALU_DEP_1) | instskip(NEXT) | instid1(VALU_DEP_1)
	v_fma_f64 v[40:41], -v[40:41], v[44:45], v[46:47]
	v_div_fmas_f64 v[40:41], v[40:41], v[42:43], v[44:45]
	s_delay_alu instid0(VALU_DEP_1) | instskip(NEXT) | instid1(VALU_DEP_1)
	v_div_fixup_f64 v[40:41], v[40:41], v[120:121], v[122:123]
	v_fma_f64 v[42:43], v[122:123], v[40:41], v[120:121]
	s_delay_alu instid0(VALU_DEP_1) | instskip(NEXT) | instid1(VALU_DEP_1)
	v_div_scale_f64 v[44:45], null, v[42:43], v[42:43], 1.0
	v_rcp_f64_e32 v[46:47], v[44:45]
	s_waitcnt_depctr 0xfff
	v_fma_f64 v[92:93], -v[44:45], v[46:47], 1.0
	s_delay_alu instid0(VALU_DEP_1) | instskip(NEXT) | instid1(VALU_DEP_1)
	v_fma_f64 v[46:47], v[46:47], v[92:93], v[46:47]
	v_fma_f64 v[92:93], -v[44:45], v[46:47], 1.0
	s_delay_alu instid0(VALU_DEP_1) | instskip(SKIP_1) | instid1(VALU_DEP_1)
	v_fma_f64 v[46:47], v[46:47], v[92:93], v[46:47]
	v_div_scale_f64 v[92:93], vcc_lo, 1.0, v[42:43], 1.0
	v_mul_f64 v[94:95], v[92:93], v[46:47]
	s_delay_alu instid0(VALU_DEP_1) | instskip(NEXT) | instid1(VALU_DEP_1)
	v_fma_f64 v[44:45], -v[44:45], v[94:95], v[92:93]
	v_div_fmas_f64 v[44:45], v[44:45], v[46:47], v[94:95]
	s_delay_alu instid0(VALU_DEP_1) | instskip(NEXT) | instid1(VALU_DEP_1)
	v_div_fixup_f64 v[120:121], v[44:45], v[42:43], 1.0
	v_mul_f64 v[122:123], v[40:41], -v[120:121]
.LBB58_429:
	s_or_b32 exec_lo, exec_lo, s2
.LBB58_430:
	s_delay_alu instid0(SALU_CYCLE_1) | instskip(NEXT) | instid1(SALU_CYCLE_1)
	s_or_b32 exec_lo, exec_lo, s3
	s_mov_b32 s2, exec_lo
	v_cmpx_ne_u32_e64 v146, v128
	s_xor_b32 s2, exec_lo, s2
	s_cbranch_execz .LBB58_436
; %bb.431:
	s_mov_b32 s3, exec_lo
	v_cmpx_eq_u32_e32 20, v146
	s_cbranch_execz .LBB58_435
; %bb.432:
	v_cmp_ne_u32_e32 vcc_lo, 20, v128
	s_xor_b32 s6, s4, -1
	s_delay_alu instid0(SALU_CYCLE_1) | instskip(NEXT) | instid1(SALU_CYCLE_1)
	s_and_b32 s7, s6, vcc_lo
	s_and_saveexec_b32 s6, s7
	s_cbranch_execz .LBB58_434
; %bb.433:
	v_ashrrev_i32_e32 v129, 31, v128
	s_delay_alu instid0(VALU_DEP_1) | instskip(NEXT) | instid1(VALU_DEP_1)
	v_lshlrev_b64 v[40:41], 2, v[128:129]
	v_add_co_u32 v40, vcc_lo, v253, v40
	s_delay_alu instid0(VALU_DEP_2)
	v_add_co_ci_u32_e32 v41, vcc_lo, v254, v41, vcc_lo
	s_clause 0x1
	flat_load_b32 v42, v[40:41]
	flat_load_b32 v43, v[253:254] offset:80
	s_waitcnt vmcnt(1) lgkmcnt(1)
	flat_store_b32 v[253:254], v42 offset:80
	s_waitcnt vmcnt(0) lgkmcnt(1)
	flat_store_b32 v[40:41], v43
.LBB58_434:
	s_or_b32 exec_lo, exec_lo, s6
	v_mov_b32_e32 v146, v128
	v_mov_b32_e32 v82, v128
.LBB58_435:
	s_or_b32 exec_lo, exec_lo, s3
.LBB58_436:
	s_and_not1_saveexec_b32 s2, s2
	s_cbranch_execz .LBB58_438
; %bb.437:
	v_mov_b32_e32 v146, 20
	ds_store_2addr_b64 v144, v[32:33], v[34:35] offset0:42 offset1:43
	ds_store_2addr_b64 v144, v[28:29], v[30:31] offset0:44 offset1:45
	;; [unrolled: 1-line block ×9, first 2 shown]
.LBB58_438:
	s_or_b32 exec_lo, exec_lo, s2
	s_delay_alu instid0(SALU_CYCLE_1)
	s_mov_b32 s2, exec_lo
	s_waitcnt lgkmcnt(0)
	s_waitcnt_vscnt null, 0x0
	s_barrier
	buffer_gl0_inv
	v_cmpx_lt_i32_e32 20, v146
	s_cbranch_execz .LBB58_440
; %bb.439:
	v_mul_f64 v[40:41], v[120:121], v[38:39]
	v_mul_f64 v[38:39], v[122:123], v[38:39]
	ds_load_2addr_b64 v[128:131], v144 offset0:42 offset1:43
	ds_load_2addr_b64 v[132:135], v144 offset0:44 offset1:45
	;; [unrolled: 1-line block ×9, first 2 shown]
	v_fma_f64 v[40:41], v[122:123], v[36:37], v[40:41]
	v_fma_f64 v[36:37], v[120:121], v[36:37], -v[38:39]
	s_waitcnt lgkmcnt(8)
	s_delay_alu instid0(VALU_DEP_2)
	v_mul_f64 v[38:39], v[130:131], v[40:41]
	v_mul_f64 v[42:43], v[128:129], v[40:41]
	s_waitcnt lgkmcnt(7)
	v_mul_f64 v[44:45], v[134:135], v[40:41]
	v_mul_f64 v[46:47], v[132:133], v[40:41]
	s_waitcnt lgkmcnt(6)
	;; [unrolled: 3-line block ×8, first 2 shown]
	v_mul_f64 v[124:125], v[169:170], v[40:41]
	v_mul_f64 v[126:127], v[167:168], v[40:41]
	v_fma_f64 v[38:39], v[128:129], v[36:37], -v[38:39]
	v_fma_f64 v[42:43], v[130:131], v[36:37], v[42:43]
	v_fma_f64 v[44:45], v[132:133], v[36:37], -v[44:45]
	v_fma_f64 v[46:47], v[134:135], v[36:37], v[46:47]
	;; [unrolled: 2-line block ×9, first 2 shown]
	v_add_f64 v[32:33], v[32:33], -v[38:39]
	v_add_f64 v[34:35], v[34:35], -v[42:43]
	;; [unrolled: 1-line block ×18, first 2 shown]
	v_dual_mov_b32 v38, v40 :: v_dual_mov_b32 v39, v41
.LBB58_440:
	s_or_b32 exec_lo, exec_lo, s2
	v_lshl_add_u32 v40, v146, 4, v144
	s_barrier
	buffer_gl0_inv
	v_mov_b32_e32 v128, 21
	ds_store_2addr_b64 v40, v[32:33], v[34:35] offset1:1
	s_waitcnt lgkmcnt(0)
	s_barrier
	buffer_gl0_inv
	ds_load_2addr_b64 v[120:123], v144 offset0:42 offset1:43
	s_cmp_lt_i32 s5, 23
	s_cbranch_scc1 .LBB58_443
; %bb.441:
	v_add3_u32 v129, v80, 0, 0x160
	v_mov_b32_e32 v128, 21
	s_mov_b32 s6, 22
	s_set_inst_prefetch_distance 0x1
	.p2align	6
.LBB58_442:                             ; =>This Inner Loop Header: Depth=1
	ds_load_2addr_b64 v[130:133], v129 offset1:1
	s_waitcnt lgkmcnt(1)
	v_cmp_gt_f64_e32 vcc_lo, 0, v[120:121]
	v_xor_b32_e32 v40, 0x80000000, v121
	v_cmp_gt_f64_e64 s2, 0, v[122:123]
	v_xor_b32_e32 v42, 0x80000000, v123
	v_add_nc_u32_e32 v129, 16, v129
	s_waitcnt lgkmcnt(0)
	v_cmp_gt_f64_e64 s3, 0, v[130:131]
	v_mov_b32_e32 v44, v130
	v_dual_mov_b32 v46, v132 :: v_dual_cndmask_b32 v41, v121, v40
	v_xor_b32_e32 v40, 0x80000000, v131
	v_cndmask_b32_e64 v43, v123, v42, s2
	v_xor_b32_e32 v42, 0x80000000, v133
	s_delay_alu instid0(VALU_DEP_3) | instskip(SKIP_2) | instid1(VALU_DEP_2)
	v_cndmask_b32_e64 v45, v131, v40, s3
	v_cmp_gt_f64_e64 s3, 0, v[132:133]
	v_cndmask_b32_e32 v40, v120, v120, vcc_lo
	v_cndmask_b32_e64 v47, v133, v42, s3
	v_cndmask_b32_e64 v42, v122, v122, s2
	s_delay_alu instid0(VALU_DEP_2) | instskip(NEXT) | instid1(VALU_DEP_2)
	v_add_f64 v[44:45], v[44:45], v[46:47]
	v_add_f64 v[40:41], v[40:41], v[42:43]
	s_delay_alu instid0(VALU_DEP_1)
	v_cmp_lt_f64_e32 vcc_lo, v[40:41], v[44:45]
	v_cndmask_b32_e32 v123, v123, v133, vcc_lo
	v_dual_cndmask_b32 v121, v121, v131 :: v_dual_cndmask_b32 v120, v120, v130
	v_cndmask_b32_e32 v122, v122, v132, vcc_lo
	v_cndmask_b32_e64 v128, v128, s6, vcc_lo
	s_add_i32 s6, s6, 1
	s_delay_alu instid0(SALU_CYCLE_1)
	s_cmp_lg_u32 s5, s6
	s_cbranch_scc1 .LBB58_442
.LBB58_443:
	s_set_inst_prefetch_distance 0x2
	s_waitcnt lgkmcnt(0)
	v_cmp_eq_f64_e32 vcc_lo, 0, v[120:121]
	v_cmp_eq_f64_e64 s2, 0, v[122:123]
	s_delay_alu instid0(VALU_DEP_1) | instskip(NEXT) | instid1(SALU_CYCLE_1)
	s_and_b32 s2, vcc_lo, s2
	s_and_saveexec_b32 s3, s2
	s_delay_alu instid0(SALU_CYCLE_1)
	s_xor_b32 s2, exec_lo, s3
; %bb.444:
	v_cmp_ne_u32_e32 vcc_lo, 0, v83
	v_cndmask_b32_e32 v83, 22, v83, vcc_lo
; %bb.445:
	s_and_not1_saveexec_b32 s3, s2
	s_cbranch_execz .LBB58_451
; %bb.446:
	v_cmp_gt_f64_e32 vcc_lo, 0, v[120:121]
	v_cmp_gt_f64_e64 s2, 0, v[122:123]
	v_xor_b32_e32 v40, 0x80000000, v121
	v_xor_b32_e32 v42, 0x80000000, v123
	s_delay_alu instid0(VALU_DEP_2) | instskip(NEXT) | instid1(VALU_DEP_2)
	v_cndmask_b32_e32 v41, v121, v40, vcc_lo
	v_cndmask_b32_e64 v43, v123, v42, s2
	v_cndmask_b32_e32 v40, v120, v120, vcc_lo
	v_cndmask_b32_e64 v42, v122, v122, s2
	s_mov_b32 s2, exec_lo
	s_delay_alu instid0(VALU_DEP_1)
	v_cmpx_ngt_f64_e32 v[40:41], v[42:43]
	s_xor_b32 s2, exec_lo, s2
	s_cbranch_execz .LBB58_448
; %bb.447:
	v_div_scale_f64 v[40:41], null, v[122:123], v[122:123], v[120:121]
	v_div_scale_f64 v[46:47], vcc_lo, v[120:121], v[122:123], v[120:121]
	s_delay_alu instid0(VALU_DEP_2) | instskip(SKIP_2) | instid1(VALU_DEP_1)
	v_rcp_f64_e32 v[42:43], v[40:41]
	s_waitcnt_depctr 0xfff
	v_fma_f64 v[44:45], -v[40:41], v[42:43], 1.0
	v_fma_f64 v[42:43], v[42:43], v[44:45], v[42:43]
	s_delay_alu instid0(VALU_DEP_1) | instskip(NEXT) | instid1(VALU_DEP_1)
	v_fma_f64 v[44:45], -v[40:41], v[42:43], 1.0
	v_fma_f64 v[42:43], v[42:43], v[44:45], v[42:43]
	s_delay_alu instid0(VALU_DEP_1) | instskip(NEXT) | instid1(VALU_DEP_1)
	v_mul_f64 v[44:45], v[46:47], v[42:43]
	v_fma_f64 v[40:41], -v[40:41], v[44:45], v[46:47]
	s_delay_alu instid0(VALU_DEP_1) | instskip(NEXT) | instid1(VALU_DEP_1)
	v_div_fmas_f64 v[40:41], v[40:41], v[42:43], v[44:45]
	v_div_fixup_f64 v[40:41], v[40:41], v[122:123], v[120:121]
	s_delay_alu instid0(VALU_DEP_1) | instskip(NEXT) | instid1(VALU_DEP_1)
	v_fma_f64 v[42:43], v[120:121], v[40:41], v[122:123]
	v_div_scale_f64 v[44:45], null, v[42:43], v[42:43], 1.0
	s_delay_alu instid0(VALU_DEP_1) | instskip(SKIP_2) | instid1(VALU_DEP_1)
	v_rcp_f64_e32 v[46:47], v[44:45]
	s_waitcnt_depctr 0xfff
	v_fma_f64 v[92:93], -v[44:45], v[46:47], 1.0
	v_fma_f64 v[46:47], v[46:47], v[92:93], v[46:47]
	s_delay_alu instid0(VALU_DEP_1) | instskip(NEXT) | instid1(VALU_DEP_1)
	v_fma_f64 v[92:93], -v[44:45], v[46:47], 1.0
	v_fma_f64 v[46:47], v[46:47], v[92:93], v[46:47]
	v_div_scale_f64 v[92:93], vcc_lo, 1.0, v[42:43], 1.0
	s_delay_alu instid0(VALU_DEP_1) | instskip(NEXT) | instid1(VALU_DEP_1)
	v_mul_f64 v[94:95], v[92:93], v[46:47]
	v_fma_f64 v[44:45], -v[44:45], v[94:95], v[92:93]
	s_delay_alu instid0(VALU_DEP_1) | instskip(NEXT) | instid1(VALU_DEP_1)
	v_div_fmas_f64 v[44:45], v[44:45], v[46:47], v[94:95]
	v_div_fixup_f64 v[122:123], v[44:45], v[42:43], 1.0
	s_delay_alu instid0(VALU_DEP_1)
	v_mul_f64 v[120:121], v[40:41], v[122:123]
	v_xor_b32_e32 v123, 0x80000000, v123
.LBB58_448:
	s_and_not1_saveexec_b32 s2, s2
	s_cbranch_execz .LBB58_450
; %bb.449:
	s_delay_alu instid0(VALU_DEP_1) | instskip(SKIP_1) | instid1(VALU_DEP_2)
	v_div_scale_f64 v[40:41], null, v[120:121], v[120:121], v[122:123]
	v_div_scale_f64 v[46:47], vcc_lo, v[122:123], v[120:121], v[122:123]
	v_rcp_f64_e32 v[42:43], v[40:41]
	s_waitcnt_depctr 0xfff
	v_fma_f64 v[44:45], -v[40:41], v[42:43], 1.0
	s_delay_alu instid0(VALU_DEP_1) | instskip(NEXT) | instid1(VALU_DEP_1)
	v_fma_f64 v[42:43], v[42:43], v[44:45], v[42:43]
	v_fma_f64 v[44:45], -v[40:41], v[42:43], 1.0
	s_delay_alu instid0(VALU_DEP_1) | instskip(NEXT) | instid1(VALU_DEP_1)
	v_fma_f64 v[42:43], v[42:43], v[44:45], v[42:43]
	v_mul_f64 v[44:45], v[46:47], v[42:43]
	s_delay_alu instid0(VALU_DEP_1) | instskip(NEXT) | instid1(VALU_DEP_1)
	v_fma_f64 v[40:41], -v[40:41], v[44:45], v[46:47]
	v_div_fmas_f64 v[40:41], v[40:41], v[42:43], v[44:45]
	s_delay_alu instid0(VALU_DEP_1) | instskip(NEXT) | instid1(VALU_DEP_1)
	v_div_fixup_f64 v[40:41], v[40:41], v[120:121], v[122:123]
	v_fma_f64 v[42:43], v[122:123], v[40:41], v[120:121]
	s_delay_alu instid0(VALU_DEP_1) | instskip(NEXT) | instid1(VALU_DEP_1)
	v_div_scale_f64 v[44:45], null, v[42:43], v[42:43], 1.0
	v_rcp_f64_e32 v[46:47], v[44:45]
	s_waitcnt_depctr 0xfff
	v_fma_f64 v[92:93], -v[44:45], v[46:47], 1.0
	s_delay_alu instid0(VALU_DEP_1) | instskip(NEXT) | instid1(VALU_DEP_1)
	v_fma_f64 v[46:47], v[46:47], v[92:93], v[46:47]
	v_fma_f64 v[92:93], -v[44:45], v[46:47], 1.0
	s_delay_alu instid0(VALU_DEP_1) | instskip(SKIP_1) | instid1(VALU_DEP_1)
	v_fma_f64 v[46:47], v[46:47], v[92:93], v[46:47]
	v_div_scale_f64 v[92:93], vcc_lo, 1.0, v[42:43], 1.0
	v_mul_f64 v[94:95], v[92:93], v[46:47]
	s_delay_alu instid0(VALU_DEP_1) | instskip(NEXT) | instid1(VALU_DEP_1)
	v_fma_f64 v[44:45], -v[44:45], v[94:95], v[92:93]
	v_div_fmas_f64 v[44:45], v[44:45], v[46:47], v[94:95]
	s_delay_alu instid0(VALU_DEP_1) | instskip(NEXT) | instid1(VALU_DEP_1)
	v_div_fixup_f64 v[120:121], v[44:45], v[42:43], 1.0
	v_mul_f64 v[122:123], v[40:41], -v[120:121]
.LBB58_450:
	s_or_b32 exec_lo, exec_lo, s2
.LBB58_451:
	s_delay_alu instid0(SALU_CYCLE_1) | instskip(NEXT) | instid1(SALU_CYCLE_1)
	s_or_b32 exec_lo, exec_lo, s3
	s_mov_b32 s2, exec_lo
	v_cmpx_ne_u32_e64 v146, v128
	s_xor_b32 s2, exec_lo, s2
	s_cbranch_execz .LBB58_457
; %bb.452:
	s_mov_b32 s3, exec_lo
	v_cmpx_eq_u32_e32 21, v146
	s_cbranch_execz .LBB58_456
; %bb.453:
	v_cmp_ne_u32_e32 vcc_lo, 21, v128
	s_xor_b32 s6, s4, -1
	s_delay_alu instid0(SALU_CYCLE_1) | instskip(NEXT) | instid1(SALU_CYCLE_1)
	s_and_b32 s7, s6, vcc_lo
	s_and_saveexec_b32 s6, s7
	s_cbranch_execz .LBB58_455
; %bb.454:
	v_ashrrev_i32_e32 v129, 31, v128
	s_delay_alu instid0(VALU_DEP_1) | instskip(NEXT) | instid1(VALU_DEP_1)
	v_lshlrev_b64 v[40:41], 2, v[128:129]
	v_add_co_u32 v40, vcc_lo, v253, v40
	s_delay_alu instid0(VALU_DEP_2)
	v_add_co_ci_u32_e32 v41, vcc_lo, v254, v41, vcc_lo
	s_clause 0x1
	flat_load_b32 v42, v[40:41]
	flat_load_b32 v43, v[253:254] offset:84
	s_waitcnt vmcnt(1) lgkmcnt(1)
	flat_store_b32 v[253:254], v42 offset:84
	s_waitcnt vmcnt(0) lgkmcnt(1)
	flat_store_b32 v[40:41], v43
.LBB58_455:
	s_or_b32 exec_lo, exec_lo, s6
	v_mov_b32_e32 v146, v128
	v_mov_b32_e32 v82, v128
.LBB58_456:
	s_or_b32 exec_lo, exec_lo, s3
.LBB58_457:
	s_and_not1_saveexec_b32 s2, s2
	s_cbranch_execz .LBB58_459
; %bb.458:
	v_mov_b32_e32 v146, 21
	ds_store_2addr_b64 v144, v[28:29], v[30:31] offset0:44 offset1:45
	ds_store_2addr_b64 v144, v[24:25], v[26:27] offset0:46 offset1:47
	;; [unrolled: 1-line block ×8, first 2 shown]
.LBB58_459:
	s_or_b32 exec_lo, exec_lo, s2
	s_delay_alu instid0(SALU_CYCLE_1)
	s_mov_b32 s2, exec_lo
	s_waitcnt lgkmcnt(0)
	s_waitcnt_vscnt null, 0x0
	s_barrier
	buffer_gl0_inv
	v_cmpx_lt_i32_e32 21, v146
	s_cbranch_execz .LBB58_461
; %bb.460:
	v_mul_f64 v[40:41], v[120:121], v[34:35]
	v_mul_f64 v[34:35], v[122:123], v[34:35]
	ds_load_2addr_b64 v[128:131], v144 offset0:44 offset1:45
	ds_load_2addr_b64 v[132:135], v144 offset0:46 offset1:47
	;; [unrolled: 1-line block ×8, first 2 shown]
	v_fma_f64 v[40:41], v[122:123], v[32:33], v[40:41]
	v_fma_f64 v[32:33], v[120:121], v[32:33], -v[34:35]
	s_waitcnt lgkmcnt(7)
	s_delay_alu instid0(VALU_DEP_2)
	v_mul_f64 v[34:35], v[130:131], v[40:41]
	v_mul_f64 v[42:43], v[128:129], v[40:41]
	s_waitcnt lgkmcnt(6)
	v_mul_f64 v[44:45], v[134:135], v[40:41]
	v_mul_f64 v[46:47], v[132:133], v[40:41]
	s_waitcnt lgkmcnt(5)
	;; [unrolled: 3-line block ×7, first 2 shown]
	v_mul_f64 v[120:121], v[165:166], v[40:41]
	v_mul_f64 v[122:123], v[163:164], v[40:41]
	v_fma_f64 v[34:35], v[128:129], v[32:33], -v[34:35]
	v_fma_f64 v[42:43], v[130:131], v[32:33], v[42:43]
	v_fma_f64 v[44:45], v[132:133], v[32:33], -v[44:45]
	v_fma_f64 v[46:47], v[134:135], v[32:33], v[46:47]
	;; [unrolled: 2-line block ×8, first 2 shown]
	v_add_f64 v[28:29], v[28:29], -v[34:35]
	v_add_f64 v[30:31], v[30:31], -v[42:43]
	;; [unrolled: 1-line block ×16, first 2 shown]
	v_dual_mov_b32 v34, v40 :: v_dual_mov_b32 v35, v41
.LBB58_461:
	s_or_b32 exec_lo, exec_lo, s2
	v_lshl_add_u32 v40, v146, 4, v144
	s_barrier
	buffer_gl0_inv
	v_mov_b32_e32 v128, 22
	ds_store_2addr_b64 v40, v[28:29], v[30:31] offset1:1
	s_waitcnt lgkmcnt(0)
	s_barrier
	buffer_gl0_inv
	ds_load_2addr_b64 v[120:123], v144 offset0:44 offset1:45
	s_cmp_lt_i32 s5, 24
	s_cbranch_scc1 .LBB58_464
; %bb.462:
	v_add3_u32 v129, v80, 0, 0x170
	v_mov_b32_e32 v128, 22
	s_mov_b32 s6, 23
	s_set_inst_prefetch_distance 0x1
	.p2align	6
.LBB58_463:                             ; =>This Inner Loop Header: Depth=1
	ds_load_2addr_b64 v[130:133], v129 offset1:1
	s_waitcnt lgkmcnt(1)
	v_cmp_gt_f64_e32 vcc_lo, 0, v[120:121]
	v_xor_b32_e32 v40, 0x80000000, v121
	v_cmp_gt_f64_e64 s2, 0, v[122:123]
	v_xor_b32_e32 v42, 0x80000000, v123
	v_add_nc_u32_e32 v129, 16, v129
	s_waitcnt lgkmcnt(0)
	v_cmp_gt_f64_e64 s3, 0, v[130:131]
	v_mov_b32_e32 v44, v130
	v_dual_mov_b32 v46, v132 :: v_dual_cndmask_b32 v41, v121, v40
	v_xor_b32_e32 v40, 0x80000000, v131
	v_cndmask_b32_e64 v43, v123, v42, s2
	v_xor_b32_e32 v42, 0x80000000, v133
	s_delay_alu instid0(VALU_DEP_3) | instskip(SKIP_2) | instid1(VALU_DEP_2)
	v_cndmask_b32_e64 v45, v131, v40, s3
	v_cmp_gt_f64_e64 s3, 0, v[132:133]
	v_cndmask_b32_e32 v40, v120, v120, vcc_lo
	v_cndmask_b32_e64 v47, v133, v42, s3
	v_cndmask_b32_e64 v42, v122, v122, s2
	s_delay_alu instid0(VALU_DEP_2) | instskip(NEXT) | instid1(VALU_DEP_2)
	v_add_f64 v[44:45], v[44:45], v[46:47]
	v_add_f64 v[40:41], v[40:41], v[42:43]
	s_delay_alu instid0(VALU_DEP_1)
	v_cmp_lt_f64_e32 vcc_lo, v[40:41], v[44:45]
	v_cndmask_b32_e32 v123, v123, v133, vcc_lo
	v_dual_cndmask_b32 v121, v121, v131 :: v_dual_cndmask_b32 v120, v120, v130
	v_cndmask_b32_e32 v122, v122, v132, vcc_lo
	v_cndmask_b32_e64 v128, v128, s6, vcc_lo
	s_add_i32 s6, s6, 1
	s_delay_alu instid0(SALU_CYCLE_1)
	s_cmp_lg_u32 s5, s6
	s_cbranch_scc1 .LBB58_463
.LBB58_464:
	s_set_inst_prefetch_distance 0x2
	s_waitcnt lgkmcnt(0)
	v_cmp_eq_f64_e32 vcc_lo, 0, v[120:121]
	v_cmp_eq_f64_e64 s2, 0, v[122:123]
	s_delay_alu instid0(VALU_DEP_1) | instskip(NEXT) | instid1(SALU_CYCLE_1)
	s_and_b32 s2, vcc_lo, s2
	s_and_saveexec_b32 s3, s2
	s_delay_alu instid0(SALU_CYCLE_1)
	s_xor_b32 s2, exec_lo, s3
; %bb.465:
	v_cmp_ne_u32_e32 vcc_lo, 0, v83
	v_cndmask_b32_e32 v83, 23, v83, vcc_lo
; %bb.466:
	s_and_not1_saveexec_b32 s3, s2
	s_cbranch_execz .LBB58_472
; %bb.467:
	v_cmp_gt_f64_e32 vcc_lo, 0, v[120:121]
	v_cmp_gt_f64_e64 s2, 0, v[122:123]
	v_xor_b32_e32 v40, 0x80000000, v121
	v_xor_b32_e32 v42, 0x80000000, v123
	s_delay_alu instid0(VALU_DEP_2) | instskip(NEXT) | instid1(VALU_DEP_2)
	v_cndmask_b32_e32 v41, v121, v40, vcc_lo
	v_cndmask_b32_e64 v43, v123, v42, s2
	v_cndmask_b32_e32 v40, v120, v120, vcc_lo
	v_cndmask_b32_e64 v42, v122, v122, s2
	s_mov_b32 s2, exec_lo
	s_delay_alu instid0(VALU_DEP_1)
	v_cmpx_ngt_f64_e32 v[40:41], v[42:43]
	s_xor_b32 s2, exec_lo, s2
	s_cbranch_execz .LBB58_469
; %bb.468:
	v_div_scale_f64 v[40:41], null, v[122:123], v[122:123], v[120:121]
	v_div_scale_f64 v[46:47], vcc_lo, v[120:121], v[122:123], v[120:121]
	s_delay_alu instid0(VALU_DEP_2) | instskip(SKIP_2) | instid1(VALU_DEP_1)
	v_rcp_f64_e32 v[42:43], v[40:41]
	s_waitcnt_depctr 0xfff
	v_fma_f64 v[44:45], -v[40:41], v[42:43], 1.0
	v_fma_f64 v[42:43], v[42:43], v[44:45], v[42:43]
	s_delay_alu instid0(VALU_DEP_1) | instskip(NEXT) | instid1(VALU_DEP_1)
	v_fma_f64 v[44:45], -v[40:41], v[42:43], 1.0
	v_fma_f64 v[42:43], v[42:43], v[44:45], v[42:43]
	s_delay_alu instid0(VALU_DEP_1) | instskip(NEXT) | instid1(VALU_DEP_1)
	v_mul_f64 v[44:45], v[46:47], v[42:43]
	v_fma_f64 v[40:41], -v[40:41], v[44:45], v[46:47]
	s_delay_alu instid0(VALU_DEP_1) | instskip(NEXT) | instid1(VALU_DEP_1)
	v_div_fmas_f64 v[40:41], v[40:41], v[42:43], v[44:45]
	v_div_fixup_f64 v[40:41], v[40:41], v[122:123], v[120:121]
	s_delay_alu instid0(VALU_DEP_1) | instskip(NEXT) | instid1(VALU_DEP_1)
	v_fma_f64 v[42:43], v[120:121], v[40:41], v[122:123]
	v_div_scale_f64 v[44:45], null, v[42:43], v[42:43], 1.0
	s_delay_alu instid0(VALU_DEP_1) | instskip(SKIP_2) | instid1(VALU_DEP_1)
	v_rcp_f64_e32 v[46:47], v[44:45]
	s_waitcnt_depctr 0xfff
	v_fma_f64 v[92:93], -v[44:45], v[46:47], 1.0
	v_fma_f64 v[46:47], v[46:47], v[92:93], v[46:47]
	s_delay_alu instid0(VALU_DEP_1) | instskip(NEXT) | instid1(VALU_DEP_1)
	v_fma_f64 v[92:93], -v[44:45], v[46:47], 1.0
	v_fma_f64 v[46:47], v[46:47], v[92:93], v[46:47]
	v_div_scale_f64 v[92:93], vcc_lo, 1.0, v[42:43], 1.0
	s_delay_alu instid0(VALU_DEP_1) | instskip(NEXT) | instid1(VALU_DEP_1)
	v_mul_f64 v[94:95], v[92:93], v[46:47]
	v_fma_f64 v[44:45], -v[44:45], v[94:95], v[92:93]
	s_delay_alu instid0(VALU_DEP_1) | instskip(NEXT) | instid1(VALU_DEP_1)
	v_div_fmas_f64 v[44:45], v[44:45], v[46:47], v[94:95]
	v_div_fixup_f64 v[122:123], v[44:45], v[42:43], 1.0
	s_delay_alu instid0(VALU_DEP_1)
	v_mul_f64 v[120:121], v[40:41], v[122:123]
	v_xor_b32_e32 v123, 0x80000000, v123
.LBB58_469:
	s_and_not1_saveexec_b32 s2, s2
	s_cbranch_execz .LBB58_471
; %bb.470:
	s_delay_alu instid0(VALU_DEP_1) | instskip(SKIP_1) | instid1(VALU_DEP_2)
	v_div_scale_f64 v[40:41], null, v[120:121], v[120:121], v[122:123]
	v_div_scale_f64 v[46:47], vcc_lo, v[122:123], v[120:121], v[122:123]
	v_rcp_f64_e32 v[42:43], v[40:41]
	s_waitcnt_depctr 0xfff
	v_fma_f64 v[44:45], -v[40:41], v[42:43], 1.0
	s_delay_alu instid0(VALU_DEP_1) | instskip(NEXT) | instid1(VALU_DEP_1)
	v_fma_f64 v[42:43], v[42:43], v[44:45], v[42:43]
	v_fma_f64 v[44:45], -v[40:41], v[42:43], 1.0
	s_delay_alu instid0(VALU_DEP_1) | instskip(NEXT) | instid1(VALU_DEP_1)
	v_fma_f64 v[42:43], v[42:43], v[44:45], v[42:43]
	v_mul_f64 v[44:45], v[46:47], v[42:43]
	s_delay_alu instid0(VALU_DEP_1) | instskip(NEXT) | instid1(VALU_DEP_1)
	v_fma_f64 v[40:41], -v[40:41], v[44:45], v[46:47]
	v_div_fmas_f64 v[40:41], v[40:41], v[42:43], v[44:45]
	s_delay_alu instid0(VALU_DEP_1) | instskip(NEXT) | instid1(VALU_DEP_1)
	v_div_fixup_f64 v[40:41], v[40:41], v[120:121], v[122:123]
	v_fma_f64 v[42:43], v[122:123], v[40:41], v[120:121]
	s_delay_alu instid0(VALU_DEP_1) | instskip(NEXT) | instid1(VALU_DEP_1)
	v_div_scale_f64 v[44:45], null, v[42:43], v[42:43], 1.0
	v_rcp_f64_e32 v[46:47], v[44:45]
	s_waitcnt_depctr 0xfff
	v_fma_f64 v[92:93], -v[44:45], v[46:47], 1.0
	s_delay_alu instid0(VALU_DEP_1) | instskip(NEXT) | instid1(VALU_DEP_1)
	v_fma_f64 v[46:47], v[46:47], v[92:93], v[46:47]
	v_fma_f64 v[92:93], -v[44:45], v[46:47], 1.0
	s_delay_alu instid0(VALU_DEP_1) | instskip(SKIP_1) | instid1(VALU_DEP_1)
	v_fma_f64 v[46:47], v[46:47], v[92:93], v[46:47]
	v_div_scale_f64 v[92:93], vcc_lo, 1.0, v[42:43], 1.0
	v_mul_f64 v[94:95], v[92:93], v[46:47]
	s_delay_alu instid0(VALU_DEP_1) | instskip(NEXT) | instid1(VALU_DEP_1)
	v_fma_f64 v[44:45], -v[44:45], v[94:95], v[92:93]
	v_div_fmas_f64 v[44:45], v[44:45], v[46:47], v[94:95]
	s_delay_alu instid0(VALU_DEP_1) | instskip(NEXT) | instid1(VALU_DEP_1)
	v_div_fixup_f64 v[120:121], v[44:45], v[42:43], 1.0
	v_mul_f64 v[122:123], v[40:41], -v[120:121]
.LBB58_471:
	s_or_b32 exec_lo, exec_lo, s2
.LBB58_472:
	s_delay_alu instid0(SALU_CYCLE_1) | instskip(NEXT) | instid1(SALU_CYCLE_1)
	s_or_b32 exec_lo, exec_lo, s3
	s_mov_b32 s2, exec_lo
	v_cmpx_ne_u32_e64 v146, v128
	s_xor_b32 s2, exec_lo, s2
	s_cbranch_execz .LBB58_478
; %bb.473:
	s_mov_b32 s3, exec_lo
	v_cmpx_eq_u32_e32 22, v146
	s_cbranch_execz .LBB58_477
; %bb.474:
	v_cmp_ne_u32_e32 vcc_lo, 22, v128
	s_xor_b32 s6, s4, -1
	s_delay_alu instid0(SALU_CYCLE_1) | instskip(NEXT) | instid1(SALU_CYCLE_1)
	s_and_b32 s7, s6, vcc_lo
	s_and_saveexec_b32 s6, s7
	s_cbranch_execz .LBB58_476
; %bb.475:
	v_ashrrev_i32_e32 v129, 31, v128
	s_delay_alu instid0(VALU_DEP_1) | instskip(NEXT) | instid1(VALU_DEP_1)
	v_lshlrev_b64 v[40:41], 2, v[128:129]
	v_add_co_u32 v40, vcc_lo, v253, v40
	s_delay_alu instid0(VALU_DEP_2)
	v_add_co_ci_u32_e32 v41, vcc_lo, v254, v41, vcc_lo
	s_clause 0x1
	flat_load_b32 v42, v[40:41]
	flat_load_b32 v43, v[253:254] offset:88
	s_waitcnt vmcnt(1) lgkmcnt(1)
	flat_store_b32 v[253:254], v42 offset:88
	s_waitcnt vmcnt(0) lgkmcnt(1)
	flat_store_b32 v[40:41], v43
.LBB58_476:
	s_or_b32 exec_lo, exec_lo, s6
	v_mov_b32_e32 v146, v128
	v_mov_b32_e32 v82, v128
.LBB58_477:
	s_or_b32 exec_lo, exec_lo, s3
.LBB58_478:
	s_and_not1_saveexec_b32 s2, s2
	s_cbranch_execz .LBB58_480
; %bb.479:
	v_mov_b32_e32 v146, 22
	ds_store_2addr_b64 v144, v[24:25], v[26:27] offset0:46 offset1:47
	ds_store_2addr_b64 v144, v[140:141], v[142:143] offset0:48 offset1:49
	;; [unrolled: 1-line block ×7, first 2 shown]
.LBB58_480:
	s_or_b32 exec_lo, exec_lo, s2
	s_delay_alu instid0(SALU_CYCLE_1)
	s_mov_b32 s2, exec_lo
	s_waitcnt lgkmcnt(0)
	s_waitcnt_vscnt null, 0x0
	s_barrier
	buffer_gl0_inv
	v_cmpx_lt_i32_e32 22, v146
	s_cbranch_execz .LBB58_482
; %bb.481:
	v_mul_f64 v[40:41], v[120:121], v[30:31]
	v_mul_f64 v[30:31], v[122:123], v[30:31]
	ds_load_2addr_b64 v[128:131], v144 offset0:46 offset1:47
	ds_load_2addr_b64 v[132:135], v144 offset0:48 offset1:49
	;; [unrolled: 1-line block ×7, first 2 shown]
	v_fma_f64 v[40:41], v[122:123], v[28:29], v[40:41]
	v_fma_f64 v[28:29], v[120:121], v[28:29], -v[30:31]
	s_waitcnt lgkmcnt(6)
	s_delay_alu instid0(VALU_DEP_2)
	v_mul_f64 v[30:31], v[130:131], v[40:41]
	v_mul_f64 v[42:43], v[128:129], v[40:41]
	s_waitcnt lgkmcnt(5)
	v_mul_f64 v[44:45], v[134:135], v[40:41]
	v_mul_f64 v[46:47], v[132:133], v[40:41]
	s_waitcnt lgkmcnt(4)
	v_mul_f64 v[92:93], v[138:139], v[40:41]
	v_mul_f64 v[94:95], v[136:137], v[40:41]
	s_waitcnt lgkmcnt(3)
	v_mul_f64 v[104:105], v[149:150], v[40:41]
	v_mul_f64 v[106:107], v[147:148], v[40:41]
	s_waitcnt lgkmcnt(2)
	v_mul_f64 v[108:109], v[153:154], v[40:41]
	v_mul_f64 v[110:111], v[151:152], v[40:41]
	s_waitcnt lgkmcnt(1)
	v_mul_f64 v[112:113], v[157:158], v[40:41]
	v_mul_f64 v[114:115], v[155:156], v[40:41]
	s_waitcnt lgkmcnt(0)
	v_mul_f64 v[116:117], v[161:162], v[40:41]
	v_mul_f64 v[118:119], v[159:160], v[40:41]
	v_fma_f64 v[30:31], v[128:129], v[28:29], -v[30:31]
	v_fma_f64 v[42:43], v[130:131], v[28:29], v[42:43]
	v_fma_f64 v[44:45], v[132:133], v[28:29], -v[44:45]
	v_fma_f64 v[46:47], v[134:135], v[28:29], v[46:47]
	;; [unrolled: 2-line block ×7, first 2 shown]
	v_add_f64 v[24:25], v[24:25], -v[30:31]
	v_add_f64 v[26:27], v[26:27], -v[42:43]
	;; [unrolled: 1-line block ×14, first 2 shown]
	v_dual_mov_b32 v30, v40 :: v_dual_mov_b32 v31, v41
.LBB58_482:
	s_or_b32 exec_lo, exec_lo, s2
	v_lshl_add_u32 v40, v146, 4, v144
	s_barrier
	buffer_gl0_inv
	v_mov_b32_e32 v128, 23
	ds_store_2addr_b64 v40, v[24:25], v[26:27] offset1:1
	s_waitcnt lgkmcnt(0)
	s_barrier
	buffer_gl0_inv
	ds_load_2addr_b64 v[120:123], v144 offset0:46 offset1:47
	s_cmp_lt_i32 s5, 25
	s_cbranch_scc1 .LBB58_485
; %bb.483:
	v_add3_u32 v129, v80, 0, 0x180
	v_mov_b32_e32 v128, 23
	s_mov_b32 s6, 24
	s_set_inst_prefetch_distance 0x1
	.p2align	6
.LBB58_484:                             ; =>This Inner Loop Header: Depth=1
	ds_load_2addr_b64 v[130:133], v129 offset1:1
	s_waitcnt lgkmcnt(1)
	v_cmp_gt_f64_e32 vcc_lo, 0, v[120:121]
	v_xor_b32_e32 v40, 0x80000000, v121
	v_cmp_gt_f64_e64 s2, 0, v[122:123]
	v_xor_b32_e32 v42, 0x80000000, v123
	v_add_nc_u32_e32 v129, 16, v129
	s_waitcnt lgkmcnt(0)
	v_cmp_gt_f64_e64 s3, 0, v[130:131]
	v_mov_b32_e32 v44, v130
	v_dual_mov_b32 v46, v132 :: v_dual_cndmask_b32 v41, v121, v40
	v_xor_b32_e32 v40, 0x80000000, v131
	v_cndmask_b32_e64 v43, v123, v42, s2
	v_xor_b32_e32 v42, 0x80000000, v133
	s_delay_alu instid0(VALU_DEP_3) | instskip(SKIP_2) | instid1(VALU_DEP_2)
	v_cndmask_b32_e64 v45, v131, v40, s3
	v_cmp_gt_f64_e64 s3, 0, v[132:133]
	v_cndmask_b32_e32 v40, v120, v120, vcc_lo
	v_cndmask_b32_e64 v47, v133, v42, s3
	v_cndmask_b32_e64 v42, v122, v122, s2
	s_delay_alu instid0(VALU_DEP_2) | instskip(NEXT) | instid1(VALU_DEP_2)
	v_add_f64 v[44:45], v[44:45], v[46:47]
	v_add_f64 v[40:41], v[40:41], v[42:43]
	s_delay_alu instid0(VALU_DEP_1)
	v_cmp_lt_f64_e32 vcc_lo, v[40:41], v[44:45]
	v_cndmask_b32_e32 v123, v123, v133, vcc_lo
	v_dual_cndmask_b32 v121, v121, v131 :: v_dual_cndmask_b32 v120, v120, v130
	v_cndmask_b32_e32 v122, v122, v132, vcc_lo
	v_cndmask_b32_e64 v128, v128, s6, vcc_lo
	s_add_i32 s6, s6, 1
	s_delay_alu instid0(SALU_CYCLE_1)
	s_cmp_lg_u32 s5, s6
	s_cbranch_scc1 .LBB58_484
.LBB58_485:
	s_set_inst_prefetch_distance 0x2
	s_waitcnt lgkmcnt(0)
	v_cmp_eq_f64_e32 vcc_lo, 0, v[120:121]
	v_cmp_eq_f64_e64 s2, 0, v[122:123]
	s_delay_alu instid0(VALU_DEP_1) | instskip(NEXT) | instid1(SALU_CYCLE_1)
	s_and_b32 s2, vcc_lo, s2
	s_and_saveexec_b32 s3, s2
	s_delay_alu instid0(SALU_CYCLE_1)
	s_xor_b32 s2, exec_lo, s3
; %bb.486:
	v_cmp_ne_u32_e32 vcc_lo, 0, v83
	v_cndmask_b32_e32 v83, 24, v83, vcc_lo
; %bb.487:
	s_and_not1_saveexec_b32 s3, s2
	s_cbranch_execz .LBB58_493
; %bb.488:
	v_cmp_gt_f64_e32 vcc_lo, 0, v[120:121]
	v_cmp_gt_f64_e64 s2, 0, v[122:123]
	v_xor_b32_e32 v40, 0x80000000, v121
	v_xor_b32_e32 v42, 0x80000000, v123
	s_delay_alu instid0(VALU_DEP_2) | instskip(NEXT) | instid1(VALU_DEP_2)
	v_cndmask_b32_e32 v41, v121, v40, vcc_lo
	v_cndmask_b32_e64 v43, v123, v42, s2
	v_cndmask_b32_e32 v40, v120, v120, vcc_lo
	v_cndmask_b32_e64 v42, v122, v122, s2
	s_mov_b32 s2, exec_lo
	s_delay_alu instid0(VALU_DEP_1)
	v_cmpx_ngt_f64_e32 v[40:41], v[42:43]
	s_xor_b32 s2, exec_lo, s2
	s_cbranch_execz .LBB58_490
; %bb.489:
	v_div_scale_f64 v[40:41], null, v[122:123], v[122:123], v[120:121]
	v_div_scale_f64 v[46:47], vcc_lo, v[120:121], v[122:123], v[120:121]
	s_delay_alu instid0(VALU_DEP_2) | instskip(SKIP_2) | instid1(VALU_DEP_1)
	v_rcp_f64_e32 v[42:43], v[40:41]
	s_waitcnt_depctr 0xfff
	v_fma_f64 v[44:45], -v[40:41], v[42:43], 1.0
	v_fma_f64 v[42:43], v[42:43], v[44:45], v[42:43]
	s_delay_alu instid0(VALU_DEP_1) | instskip(NEXT) | instid1(VALU_DEP_1)
	v_fma_f64 v[44:45], -v[40:41], v[42:43], 1.0
	v_fma_f64 v[42:43], v[42:43], v[44:45], v[42:43]
	s_delay_alu instid0(VALU_DEP_1) | instskip(NEXT) | instid1(VALU_DEP_1)
	v_mul_f64 v[44:45], v[46:47], v[42:43]
	v_fma_f64 v[40:41], -v[40:41], v[44:45], v[46:47]
	s_delay_alu instid0(VALU_DEP_1) | instskip(NEXT) | instid1(VALU_DEP_1)
	v_div_fmas_f64 v[40:41], v[40:41], v[42:43], v[44:45]
	v_div_fixup_f64 v[40:41], v[40:41], v[122:123], v[120:121]
	s_delay_alu instid0(VALU_DEP_1) | instskip(NEXT) | instid1(VALU_DEP_1)
	v_fma_f64 v[42:43], v[120:121], v[40:41], v[122:123]
	v_div_scale_f64 v[44:45], null, v[42:43], v[42:43], 1.0
	s_delay_alu instid0(VALU_DEP_1) | instskip(SKIP_2) | instid1(VALU_DEP_1)
	v_rcp_f64_e32 v[46:47], v[44:45]
	s_waitcnt_depctr 0xfff
	v_fma_f64 v[92:93], -v[44:45], v[46:47], 1.0
	v_fma_f64 v[46:47], v[46:47], v[92:93], v[46:47]
	s_delay_alu instid0(VALU_DEP_1) | instskip(NEXT) | instid1(VALU_DEP_1)
	v_fma_f64 v[92:93], -v[44:45], v[46:47], 1.0
	v_fma_f64 v[46:47], v[46:47], v[92:93], v[46:47]
	v_div_scale_f64 v[92:93], vcc_lo, 1.0, v[42:43], 1.0
	s_delay_alu instid0(VALU_DEP_1) | instskip(NEXT) | instid1(VALU_DEP_1)
	v_mul_f64 v[94:95], v[92:93], v[46:47]
	v_fma_f64 v[44:45], -v[44:45], v[94:95], v[92:93]
	s_delay_alu instid0(VALU_DEP_1) | instskip(NEXT) | instid1(VALU_DEP_1)
	v_div_fmas_f64 v[44:45], v[44:45], v[46:47], v[94:95]
	v_div_fixup_f64 v[122:123], v[44:45], v[42:43], 1.0
	s_delay_alu instid0(VALU_DEP_1)
	v_mul_f64 v[120:121], v[40:41], v[122:123]
	v_xor_b32_e32 v123, 0x80000000, v123
.LBB58_490:
	s_and_not1_saveexec_b32 s2, s2
	s_cbranch_execz .LBB58_492
; %bb.491:
	s_delay_alu instid0(VALU_DEP_1) | instskip(SKIP_1) | instid1(VALU_DEP_2)
	v_div_scale_f64 v[40:41], null, v[120:121], v[120:121], v[122:123]
	v_div_scale_f64 v[46:47], vcc_lo, v[122:123], v[120:121], v[122:123]
	v_rcp_f64_e32 v[42:43], v[40:41]
	s_waitcnt_depctr 0xfff
	v_fma_f64 v[44:45], -v[40:41], v[42:43], 1.0
	s_delay_alu instid0(VALU_DEP_1) | instskip(NEXT) | instid1(VALU_DEP_1)
	v_fma_f64 v[42:43], v[42:43], v[44:45], v[42:43]
	v_fma_f64 v[44:45], -v[40:41], v[42:43], 1.0
	s_delay_alu instid0(VALU_DEP_1) | instskip(NEXT) | instid1(VALU_DEP_1)
	v_fma_f64 v[42:43], v[42:43], v[44:45], v[42:43]
	v_mul_f64 v[44:45], v[46:47], v[42:43]
	s_delay_alu instid0(VALU_DEP_1) | instskip(NEXT) | instid1(VALU_DEP_1)
	v_fma_f64 v[40:41], -v[40:41], v[44:45], v[46:47]
	v_div_fmas_f64 v[40:41], v[40:41], v[42:43], v[44:45]
	s_delay_alu instid0(VALU_DEP_1) | instskip(NEXT) | instid1(VALU_DEP_1)
	v_div_fixup_f64 v[40:41], v[40:41], v[120:121], v[122:123]
	v_fma_f64 v[42:43], v[122:123], v[40:41], v[120:121]
	s_delay_alu instid0(VALU_DEP_1) | instskip(NEXT) | instid1(VALU_DEP_1)
	v_div_scale_f64 v[44:45], null, v[42:43], v[42:43], 1.0
	v_rcp_f64_e32 v[46:47], v[44:45]
	s_waitcnt_depctr 0xfff
	v_fma_f64 v[92:93], -v[44:45], v[46:47], 1.0
	s_delay_alu instid0(VALU_DEP_1) | instskip(NEXT) | instid1(VALU_DEP_1)
	v_fma_f64 v[46:47], v[46:47], v[92:93], v[46:47]
	v_fma_f64 v[92:93], -v[44:45], v[46:47], 1.0
	s_delay_alu instid0(VALU_DEP_1) | instskip(SKIP_1) | instid1(VALU_DEP_1)
	v_fma_f64 v[46:47], v[46:47], v[92:93], v[46:47]
	v_div_scale_f64 v[92:93], vcc_lo, 1.0, v[42:43], 1.0
	v_mul_f64 v[94:95], v[92:93], v[46:47]
	s_delay_alu instid0(VALU_DEP_1) | instskip(NEXT) | instid1(VALU_DEP_1)
	v_fma_f64 v[44:45], -v[44:45], v[94:95], v[92:93]
	v_div_fmas_f64 v[44:45], v[44:45], v[46:47], v[94:95]
	s_delay_alu instid0(VALU_DEP_1) | instskip(NEXT) | instid1(VALU_DEP_1)
	v_div_fixup_f64 v[120:121], v[44:45], v[42:43], 1.0
	v_mul_f64 v[122:123], v[40:41], -v[120:121]
.LBB58_492:
	s_or_b32 exec_lo, exec_lo, s2
.LBB58_493:
	s_delay_alu instid0(SALU_CYCLE_1) | instskip(NEXT) | instid1(SALU_CYCLE_1)
	s_or_b32 exec_lo, exec_lo, s3
	s_mov_b32 s2, exec_lo
	v_cmpx_ne_u32_e64 v146, v128
	s_xor_b32 s2, exec_lo, s2
	s_cbranch_execz .LBB58_499
; %bb.494:
	s_mov_b32 s3, exec_lo
	v_cmpx_eq_u32_e32 23, v146
	s_cbranch_execz .LBB58_498
; %bb.495:
	v_cmp_ne_u32_e32 vcc_lo, 23, v128
	s_xor_b32 s6, s4, -1
	s_delay_alu instid0(SALU_CYCLE_1) | instskip(NEXT) | instid1(SALU_CYCLE_1)
	s_and_b32 s7, s6, vcc_lo
	s_and_saveexec_b32 s6, s7
	s_cbranch_execz .LBB58_497
; %bb.496:
	v_ashrrev_i32_e32 v129, 31, v128
	s_delay_alu instid0(VALU_DEP_1) | instskip(NEXT) | instid1(VALU_DEP_1)
	v_lshlrev_b64 v[40:41], 2, v[128:129]
	v_add_co_u32 v40, vcc_lo, v253, v40
	s_delay_alu instid0(VALU_DEP_2)
	v_add_co_ci_u32_e32 v41, vcc_lo, v254, v41, vcc_lo
	s_clause 0x1
	flat_load_b32 v42, v[40:41]
	flat_load_b32 v43, v[253:254] offset:92
	s_waitcnt vmcnt(1) lgkmcnt(1)
	flat_store_b32 v[253:254], v42 offset:92
	s_waitcnt vmcnt(0) lgkmcnt(1)
	flat_store_b32 v[40:41], v43
.LBB58_497:
	s_or_b32 exec_lo, exec_lo, s6
	v_mov_b32_e32 v146, v128
	v_mov_b32_e32 v82, v128
.LBB58_498:
	s_or_b32 exec_lo, exec_lo, s3
.LBB58_499:
	s_and_not1_saveexec_b32 s2, s2
	s_cbranch_execz .LBB58_501
; %bb.500:
	v_mov_b32_e32 v146, 23
	ds_store_2addr_b64 v144, v[140:141], v[142:143] offset0:48 offset1:49
	ds_store_2addr_b64 v144, v[16:17], v[18:19] offset0:50 offset1:51
	;; [unrolled: 1-line block ×6, first 2 shown]
.LBB58_501:
	s_or_b32 exec_lo, exec_lo, s2
	s_delay_alu instid0(SALU_CYCLE_1)
	s_mov_b32 s2, exec_lo
	s_waitcnt lgkmcnt(0)
	s_waitcnt_vscnt null, 0x0
	s_barrier
	buffer_gl0_inv
	v_cmpx_lt_i32_e32 23, v146
	s_cbranch_execz .LBB58_503
; %bb.502:
	v_mul_f64 v[40:41], v[120:121], v[26:27]
	v_mul_f64 v[26:27], v[122:123], v[26:27]
	ds_load_2addr_b64 v[128:131], v144 offset0:48 offset1:49
	ds_load_2addr_b64 v[132:135], v144 offset0:50 offset1:51
	;; [unrolled: 1-line block ×6, first 2 shown]
	v_fma_f64 v[40:41], v[122:123], v[24:25], v[40:41]
	v_fma_f64 v[24:25], v[120:121], v[24:25], -v[26:27]
	s_waitcnt lgkmcnt(5)
	s_delay_alu instid0(VALU_DEP_2)
	v_mul_f64 v[26:27], v[130:131], v[40:41]
	v_mul_f64 v[42:43], v[128:129], v[40:41]
	s_waitcnt lgkmcnt(4)
	v_mul_f64 v[44:45], v[134:135], v[40:41]
	v_mul_f64 v[46:47], v[132:133], v[40:41]
	s_waitcnt lgkmcnt(3)
	;; [unrolled: 3-line block ×5, first 2 shown]
	v_mul_f64 v[112:113], v[157:158], v[40:41]
	v_mul_f64 v[114:115], v[155:156], v[40:41]
	v_fma_f64 v[26:27], v[128:129], v[24:25], -v[26:27]
	v_fma_f64 v[42:43], v[130:131], v[24:25], v[42:43]
	v_fma_f64 v[44:45], v[132:133], v[24:25], -v[44:45]
	v_fma_f64 v[46:47], v[134:135], v[24:25], v[46:47]
	;; [unrolled: 2-line block ×6, first 2 shown]
	v_add_f64 v[140:141], v[140:141], -v[26:27]
	v_add_f64 v[142:143], v[142:143], -v[42:43]
	;; [unrolled: 1-line block ×12, first 2 shown]
	v_dual_mov_b32 v26, v40 :: v_dual_mov_b32 v27, v41
.LBB58_503:
	s_or_b32 exec_lo, exec_lo, s2
	v_lshl_add_u32 v40, v146, 4, v144
	s_barrier
	buffer_gl0_inv
	v_mov_b32_e32 v128, 24
	ds_store_2addr_b64 v40, v[140:141], v[142:143] offset1:1
	s_waitcnt lgkmcnt(0)
	s_barrier
	buffer_gl0_inv
	ds_load_2addr_b64 v[120:123], v144 offset0:48 offset1:49
	s_cmp_lt_i32 s5, 26
	s_cbranch_scc1 .LBB58_506
; %bb.504:
	v_add3_u32 v129, v80, 0, 0x190
	v_mov_b32_e32 v128, 24
	s_mov_b32 s6, 25
	s_set_inst_prefetch_distance 0x1
	.p2align	6
.LBB58_505:                             ; =>This Inner Loop Header: Depth=1
	ds_load_2addr_b64 v[130:133], v129 offset1:1
	s_waitcnt lgkmcnt(1)
	v_cmp_gt_f64_e32 vcc_lo, 0, v[120:121]
	v_xor_b32_e32 v40, 0x80000000, v121
	v_cmp_gt_f64_e64 s2, 0, v[122:123]
	v_xor_b32_e32 v42, 0x80000000, v123
	v_add_nc_u32_e32 v129, 16, v129
	s_waitcnt lgkmcnt(0)
	v_cmp_gt_f64_e64 s3, 0, v[130:131]
	v_mov_b32_e32 v44, v130
	v_dual_mov_b32 v46, v132 :: v_dual_cndmask_b32 v41, v121, v40
	v_xor_b32_e32 v40, 0x80000000, v131
	v_cndmask_b32_e64 v43, v123, v42, s2
	v_xor_b32_e32 v42, 0x80000000, v133
	s_delay_alu instid0(VALU_DEP_3) | instskip(SKIP_2) | instid1(VALU_DEP_2)
	v_cndmask_b32_e64 v45, v131, v40, s3
	v_cmp_gt_f64_e64 s3, 0, v[132:133]
	v_cndmask_b32_e32 v40, v120, v120, vcc_lo
	v_cndmask_b32_e64 v47, v133, v42, s3
	v_cndmask_b32_e64 v42, v122, v122, s2
	s_delay_alu instid0(VALU_DEP_2) | instskip(NEXT) | instid1(VALU_DEP_2)
	v_add_f64 v[44:45], v[44:45], v[46:47]
	v_add_f64 v[40:41], v[40:41], v[42:43]
	s_delay_alu instid0(VALU_DEP_1)
	v_cmp_lt_f64_e32 vcc_lo, v[40:41], v[44:45]
	v_cndmask_b32_e32 v123, v123, v133, vcc_lo
	v_dual_cndmask_b32 v121, v121, v131 :: v_dual_cndmask_b32 v120, v120, v130
	v_cndmask_b32_e32 v122, v122, v132, vcc_lo
	v_cndmask_b32_e64 v128, v128, s6, vcc_lo
	s_add_i32 s6, s6, 1
	s_delay_alu instid0(SALU_CYCLE_1)
	s_cmp_lg_u32 s5, s6
	s_cbranch_scc1 .LBB58_505
.LBB58_506:
	s_set_inst_prefetch_distance 0x2
	s_waitcnt lgkmcnt(0)
	v_cmp_eq_f64_e32 vcc_lo, 0, v[120:121]
	v_cmp_eq_f64_e64 s2, 0, v[122:123]
	s_delay_alu instid0(VALU_DEP_1) | instskip(NEXT) | instid1(SALU_CYCLE_1)
	s_and_b32 s2, vcc_lo, s2
	s_and_saveexec_b32 s3, s2
	s_delay_alu instid0(SALU_CYCLE_1)
	s_xor_b32 s2, exec_lo, s3
; %bb.507:
	v_cmp_ne_u32_e32 vcc_lo, 0, v83
	v_cndmask_b32_e32 v83, 25, v83, vcc_lo
; %bb.508:
	s_and_not1_saveexec_b32 s3, s2
	s_cbranch_execz .LBB58_514
; %bb.509:
	v_cmp_gt_f64_e32 vcc_lo, 0, v[120:121]
	v_cmp_gt_f64_e64 s2, 0, v[122:123]
	v_xor_b32_e32 v40, 0x80000000, v121
	v_xor_b32_e32 v42, 0x80000000, v123
	s_delay_alu instid0(VALU_DEP_2) | instskip(NEXT) | instid1(VALU_DEP_2)
	v_cndmask_b32_e32 v41, v121, v40, vcc_lo
	v_cndmask_b32_e64 v43, v123, v42, s2
	v_cndmask_b32_e32 v40, v120, v120, vcc_lo
	v_cndmask_b32_e64 v42, v122, v122, s2
	s_mov_b32 s2, exec_lo
	s_delay_alu instid0(VALU_DEP_1)
	v_cmpx_ngt_f64_e32 v[40:41], v[42:43]
	s_xor_b32 s2, exec_lo, s2
	s_cbranch_execz .LBB58_511
; %bb.510:
	v_div_scale_f64 v[40:41], null, v[122:123], v[122:123], v[120:121]
	v_div_scale_f64 v[46:47], vcc_lo, v[120:121], v[122:123], v[120:121]
	s_delay_alu instid0(VALU_DEP_2) | instskip(SKIP_2) | instid1(VALU_DEP_1)
	v_rcp_f64_e32 v[42:43], v[40:41]
	s_waitcnt_depctr 0xfff
	v_fma_f64 v[44:45], -v[40:41], v[42:43], 1.0
	v_fma_f64 v[42:43], v[42:43], v[44:45], v[42:43]
	s_delay_alu instid0(VALU_DEP_1) | instskip(NEXT) | instid1(VALU_DEP_1)
	v_fma_f64 v[44:45], -v[40:41], v[42:43], 1.0
	v_fma_f64 v[42:43], v[42:43], v[44:45], v[42:43]
	s_delay_alu instid0(VALU_DEP_1) | instskip(NEXT) | instid1(VALU_DEP_1)
	v_mul_f64 v[44:45], v[46:47], v[42:43]
	v_fma_f64 v[40:41], -v[40:41], v[44:45], v[46:47]
	s_delay_alu instid0(VALU_DEP_1) | instskip(NEXT) | instid1(VALU_DEP_1)
	v_div_fmas_f64 v[40:41], v[40:41], v[42:43], v[44:45]
	v_div_fixup_f64 v[40:41], v[40:41], v[122:123], v[120:121]
	s_delay_alu instid0(VALU_DEP_1) | instskip(NEXT) | instid1(VALU_DEP_1)
	v_fma_f64 v[42:43], v[120:121], v[40:41], v[122:123]
	v_div_scale_f64 v[44:45], null, v[42:43], v[42:43], 1.0
	s_delay_alu instid0(VALU_DEP_1) | instskip(SKIP_2) | instid1(VALU_DEP_1)
	v_rcp_f64_e32 v[46:47], v[44:45]
	s_waitcnt_depctr 0xfff
	v_fma_f64 v[92:93], -v[44:45], v[46:47], 1.0
	v_fma_f64 v[46:47], v[46:47], v[92:93], v[46:47]
	s_delay_alu instid0(VALU_DEP_1) | instskip(NEXT) | instid1(VALU_DEP_1)
	v_fma_f64 v[92:93], -v[44:45], v[46:47], 1.0
	v_fma_f64 v[46:47], v[46:47], v[92:93], v[46:47]
	v_div_scale_f64 v[92:93], vcc_lo, 1.0, v[42:43], 1.0
	s_delay_alu instid0(VALU_DEP_1) | instskip(NEXT) | instid1(VALU_DEP_1)
	v_mul_f64 v[94:95], v[92:93], v[46:47]
	v_fma_f64 v[44:45], -v[44:45], v[94:95], v[92:93]
	s_delay_alu instid0(VALU_DEP_1) | instskip(NEXT) | instid1(VALU_DEP_1)
	v_div_fmas_f64 v[44:45], v[44:45], v[46:47], v[94:95]
	v_div_fixup_f64 v[122:123], v[44:45], v[42:43], 1.0
	s_delay_alu instid0(VALU_DEP_1)
	v_mul_f64 v[120:121], v[40:41], v[122:123]
	v_xor_b32_e32 v123, 0x80000000, v123
.LBB58_511:
	s_and_not1_saveexec_b32 s2, s2
	s_cbranch_execz .LBB58_513
; %bb.512:
	s_delay_alu instid0(VALU_DEP_1) | instskip(SKIP_1) | instid1(VALU_DEP_2)
	v_div_scale_f64 v[40:41], null, v[120:121], v[120:121], v[122:123]
	v_div_scale_f64 v[46:47], vcc_lo, v[122:123], v[120:121], v[122:123]
	v_rcp_f64_e32 v[42:43], v[40:41]
	s_waitcnt_depctr 0xfff
	v_fma_f64 v[44:45], -v[40:41], v[42:43], 1.0
	s_delay_alu instid0(VALU_DEP_1) | instskip(NEXT) | instid1(VALU_DEP_1)
	v_fma_f64 v[42:43], v[42:43], v[44:45], v[42:43]
	v_fma_f64 v[44:45], -v[40:41], v[42:43], 1.0
	s_delay_alu instid0(VALU_DEP_1) | instskip(NEXT) | instid1(VALU_DEP_1)
	v_fma_f64 v[42:43], v[42:43], v[44:45], v[42:43]
	v_mul_f64 v[44:45], v[46:47], v[42:43]
	s_delay_alu instid0(VALU_DEP_1) | instskip(NEXT) | instid1(VALU_DEP_1)
	v_fma_f64 v[40:41], -v[40:41], v[44:45], v[46:47]
	v_div_fmas_f64 v[40:41], v[40:41], v[42:43], v[44:45]
	s_delay_alu instid0(VALU_DEP_1) | instskip(NEXT) | instid1(VALU_DEP_1)
	v_div_fixup_f64 v[40:41], v[40:41], v[120:121], v[122:123]
	v_fma_f64 v[42:43], v[122:123], v[40:41], v[120:121]
	s_delay_alu instid0(VALU_DEP_1) | instskip(NEXT) | instid1(VALU_DEP_1)
	v_div_scale_f64 v[44:45], null, v[42:43], v[42:43], 1.0
	v_rcp_f64_e32 v[46:47], v[44:45]
	s_waitcnt_depctr 0xfff
	v_fma_f64 v[92:93], -v[44:45], v[46:47], 1.0
	s_delay_alu instid0(VALU_DEP_1) | instskip(NEXT) | instid1(VALU_DEP_1)
	v_fma_f64 v[46:47], v[46:47], v[92:93], v[46:47]
	v_fma_f64 v[92:93], -v[44:45], v[46:47], 1.0
	s_delay_alu instid0(VALU_DEP_1) | instskip(SKIP_1) | instid1(VALU_DEP_1)
	v_fma_f64 v[46:47], v[46:47], v[92:93], v[46:47]
	v_div_scale_f64 v[92:93], vcc_lo, 1.0, v[42:43], 1.0
	v_mul_f64 v[94:95], v[92:93], v[46:47]
	s_delay_alu instid0(VALU_DEP_1) | instskip(NEXT) | instid1(VALU_DEP_1)
	v_fma_f64 v[44:45], -v[44:45], v[94:95], v[92:93]
	v_div_fmas_f64 v[44:45], v[44:45], v[46:47], v[94:95]
	s_delay_alu instid0(VALU_DEP_1) | instskip(NEXT) | instid1(VALU_DEP_1)
	v_div_fixup_f64 v[120:121], v[44:45], v[42:43], 1.0
	v_mul_f64 v[122:123], v[40:41], -v[120:121]
.LBB58_513:
	s_or_b32 exec_lo, exec_lo, s2
.LBB58_514:
	s_delay_alu instid0(SALU_CYCLE_1) | instskip(NEXT) | instid1(SALU_CYCLE_1)
	s_or_b32 exec_lo, exec_lo, s3
	s_mov_b32 s2, exec_lo
	v_cmpx_ne_u32_e64 v146, v128
	s_xor_b32 s2, exec_lo, s2
	s_cbranch_execz .LBB58_520
; %bb.515:
	s_mov_b32 s3, exec_lo
	v_cmpx_eq_u32_e32 24, v146
	s_cbranch_execz .LBB58_519
; %bb.516:
	v_cmp_ne_u32_e32 vcc_lo, 24, v128
	s_xor_b32 s6, s4, -1
	s_delay_alu instid0(SALU_CYCLE_1) | instskip(NEXT) | instid1(SALU_CYCLE_1)
	s_and_b32 s7, s6, vcc_lo
	s_and_saveexec_b32 s6, s7
	s_cbranch_execz .LBB58_518
; %bb.517:
	v_ashrrev_i32_e32 v129, 31, v128
	s_delay_alu instid0(VALU_DEP_1) | instskip(NEXT) | instid1(VALU_DEP_1)
	v_lshlrev_b64 v[40:41], 2, v[128:129]
	v_add_co_u32 v40, vcc_lo, v253, v40
	s_delay_alu instid0(VALU_DEP_2)
	v_add_co_ci_u32_e32 v41, vcc_lo, v254, v41, vcc_lo
	s_clause 0x1
	flat_load_b32 v42, v[40:41]
	flat_load_b32 v43, v[253:254] offset:96
	s_waitcnt vmcnt(1) lgkmcnt(1)
	flat_store_b32 v[253:254], v42 offset:96
	s_waitcnt vmcnt(0) lgkmcnt(1)
	flat_store_b32 v[40:41], v43
.LBB58_518:
	s_or_b32 exec_lo, exec_lo, s6
	v_mov_b32_e32 v146, v128
	v_mov_b32_e32 v82, v128
.LBB58_519:
	s_or_b32 exec_lo, exec_lo, s3
.LBB58_520:
	s_and_not1_saveexec_b32 s2, s2
	s_cbranch_execz .LBB58_522
; %bb.521:
	v_mov_b32_e32 v146, 24
	ds_store_2addr_b64 v144, v[16:17], v[18:19] offset0:50 offset1:51
	ds_store_2addr_b64 v144, v[12:13], v[14:15] offset0:52 offset1:53
	;; [unrolled: 1-line block ×5, first 2 shown]
.LBB58_522:
	s_or_b32 exec_lo, exec_lo, s2
	s_delay_alu instid0(SALU_CYCLE_1)
	s_mov_b32 s2, exec_lo
	s_waitcnt lgkmcnt(0)
	s_waitcnt_vscnt null, 0x0
	s_barrier
	buffer_gl0_inv
	v_cmpx_lt_i32_e32 24, v146
	s_cbranch_execz .LBB58_524
; %bb.523:
	v_mul_f64 v[40:41], v[120:121], v[142:143]
	v_mul_f64 v[22:23], v[122:123], v[142:143]
	ds_load_2addr_b64 v[128:131], v144 offset0:50 offset1:51
	ds_load_2addr_b64 v[132:135], v144 offset0:52 offset1:53
	;; [unrolled: 1-line block ×5, first 2 shown]
	v_fma_f64 v[40:41], v[122:123], v[140:141], v[40:41]
	v_fma_f64 v[140:141], v[120:121], v[140:141], -v[22:23]
	s_waitcnt lgkmcnt(4)
	s_delay_alu instid0(VALU_DEP_2)
	v_mul_f64 v[22:23], v[130:131], v[40:41]
	v_mul_f64 v[42:43], v[128:129], v[40:41]
	s_waitcnt lgkmcnt(3)
	v_mul_f64 v[44:45], v[134:135], v[40:41]
	v_mul_f64 v[46:47], v[132:133], v[40:41]
	s_waitcnt lgkmcnt(2)
	v_mul_f64 v[92:93], v[138:139], v[40:41]
	v_mul_f64 v[94:95], v[136:137], v[40:41]
	s_waitcnt lgkmcnt(1)
	v_mul_f64 v[104:105], v[149:150], v[40:41]
	v_mul_f64 v[106:107], v[147:148], v[40:41]
	s_waitcnt lgkmcnt(0)
	v_mul_f64 v[108:109], v[153:154], v[40:41]
	v_mul_f64 v[110:111], v[151:152], v[40:41]
	v_dual_mov_b32 v143, v41 :: v_dual_mov_b32 v142, v40
	v_fma_f64 v[22:23], v[128:129], v[140:141], -v[22:23]
	v_fma_f64 v[42:43], v[130:131], v[140:141], v[42:43]
	v_fma_f64 v[44:45], v[132:133], v[140:141], -v[44:45]
	v_fma_f64 v[46:47], v[134:135], v[140:141], v[46:47]
	;; [unrolled: 2-line block ×5, first 2 shown]
	v_add_f64 v[16:17], v[16:17], -v[22:23]
	v_add_f64 v[18:19], v[18:19], -v[42:43]
	;; [unrolled: 1-line block ×10, first 2 shown]
.LBB58_524:
	s_or_b32 exec_lo, exec_lo, s2
	v_lshl_add_u32 v40, v146, 4, v144
	s_barrier
	buffer_gl0_inv
	v_mov_b32_e32 v128, 25
	ds_store_2addr_b64 v40, v[16:17], v[18:19] offset1:1
	s_waitcnt lgkmcnt(0)
	s_barrier
	buffer_gl0_inv
	ds_load_2addr_b64 v[120:123], v144 offset0:50 offset1:51
	s_cmp_lt_i32 s5, 27
	s_cbranch_scc1 .LBB58_527
; %bb.525:
	v_add3_u32 v129, v80, 0, 0x1a0
	v_mov_b32_e32 v128, 25
	s_mov_b32 s6, 26
	s_set_inst_prefetch_distance 0x1
	.p2align	6
.LBB58_526:                             ; =>This Inner Loop Header: Depth=1
	ds_load_2addr_b64 v[130:133], v129 offset1:1
	s_waitcnt lgkmcnt(1)
	v_cmp_gt_f64_e32 vcc_lo, 0, v[120:121]
	v_xor_b32_e32 v40, 0x80000000, v121
	v_cmp_gt_f64_e64 s2, 0, v[122:123]
	v_xor_b32_e32 v42, 0x80000000, v123
	v_add_nc_u32_e32 v129, 16, v129
	s_waitcnt lgkmcnt(0)
	v_cmp_gt_f64_e64 s3, 0, v[130:131]
	v_mov_b32_e32 v44, v130
	v_dual_mov_b32 v46, v132 :: v_dual_cndmask_b32 v41, v121, v40
	v_xor_b32_e32 v40, 0x80000000, v131
	v_cndmask_b32_e64 v43, v123, v42, s2
	v_xor_b32_e32 v42, 0x80000000, v133
	s_delay_alu instid0(VALU_DEP_3) | instskip(SKIP_2) | instid1(VALU_DEP_2)
	v_cndmask_b32_e64 v45, v131, v40, s3
	v_cmp_gt_f64_e64 s3, 0, v[132:133]
	v_cndmask_b32_e32 v40, v120, v120, vcc_lo
	v_cndmask_b32_e64 v47, v133, v42, s3
	v_cndmask_b32_e64 v42, v122, v122, s2
	s_delay_alu instid0(VALU_DEP_2) | instskip(NEXT) | instid1(VALU_DEP_2)
	v_add_f64 v[44:45], v[44:45], v[46:47]
	v_add_f64 v[40:41], v[40:41], v[42:43]
	s_delay_alu instid0(VALU_DEP_1)
	v_cmp_lt_f64_e32 vcc_lo, v[40:41], v[44:45]
	v_cndmask_b32_e32 v123, v123, v133, vcc_lo
	v_dual_cndmask_b32 v121, v121, v131 :: v_dual_cndmask_b32 v120, v120, v130
	v_cndmask_b32_e32 v122, v122, v132, vcc_lo
	v_cndmask_b32_e64 v128, v128, s6, vcc_lo
	s_add_i32 s6, s6, 1
	s_delay_alu instid0(SALU_CYCLE_1)
	s_cmp_lg_u32 s5, s6
	s_cbranch_scc1 .LBB58_526
.LBB58_527:
	s_set_inst_prefetch_distance 0x2
	s_waitcnt lgkmcnt(0)
	v_cmp_eq_f64_e32 vcc_lo, 0, v[120:121]
	v_cmp_eq_f64_e64 s2, 0, v[122:123]
	s_delay_alu instid0(VALU_DEP_1) | instskip(NEXT) | instid1(SALU_CYCLE_1)
	s_and_b32 s2, vcc_lo, s2
	s_and_saveexec_b32 s3, s2
	s_delay_alu instid0(SALU_CYCLE_1)
	s_xor_b32 s2, exec_lo, s3
; %bb.528:
	v_cmp_ne_u32_e32 vcc_lo, 0, v83
	v_cndmask_b32_e32 v83, 26, v83, vcc_lo
; %bb.529:
	s_and_not1_saveexec_b32 s3, s2
	s_cbranch_execz .LBB58_535
; %bb.530:
	v_cmp_gt_f64_e32 vcc_lo, 0, v[120:121]
	v_cmp_gt_f64_e64 s2, 0, v[122:123]
	v_xor_b32_e32 v40, 0x80000000, v121
	v_xor_b32_e32 v42, 0x80000000, v123
	s_delay_alu instid0(VALU_DEP_2) | instskip(NEXT) | instid1(VALU_DEP_2)
	v_cndmask_b32_e32 v41, v121, v40, vcc_lo
	v_cndmask_b32_e64 v43, v123, v42, s2
	v_cndmask_b32_e32 v40, v120, v120, vcc_lo
	v_cndmask_b32_e64 v42, v122, v122, s2
	s_mov_b32 s2, exec_lo
	s_delay_alu instid0(VALU_DEP_1)
	v_cmpx_ngt_f64_e32 v[40:41], v[42:43]
	s_xor_b32 s2, exec_lo, s2
	s_cbranch_execz .LBB58_532
; %bb.531:
	v_div_scale_f64 v[40:41], null, v[122:123], v[122:123], v[120:121]
	v_div_scale_f64 v[46:47], vcc_lo, v[120:121], v[122:123], v[120:121]
	s_delay_alu instid0(VALU_DEP_2) | instskip(SKIP_2) | instid1(VALU_DEP_1)
	v_rcp_f64_e32 v[42:43], v[40:41]
	s_waitcnt_depctr 0xfff
	v_fma_f64 v[44:45], -v[40:41], v[42:43], 1.0
	v_fma_f64 v[42:43], v[42:43], v[44:45], v[42:43]
	s_delay_alu instid0(VALU_DEP_1) | instskip(NEXT) | instid1(VALU_DEP_1)
	v_fma_f64 v[44:45], -v[40:41], v[42:43], 1.0
	v_fma_f64 v[42:43], v[42:43], v[44:45], v[42:43]
	s_delay_alu instid0(VALU_DEP_1) | instskip(NEXT) | instid1(VALU_DEP_1)
	v_mul_f64 v[44:45], v[46:47], v[42:43]
	v_fma_f64 v[40:41], -v[40:41], v[44:45], v[46:47]
	s_delay_alu instid0(VALU_DEP_1) | instskip(NEXT) | instid1(VALU_DEP_1)
	v_div_fmas_f64 v[40:41], v[40:41], v[42:43], v[44:45]
	v_div_fixup_f64 v[40:41], v[40:41], v[122:123], v[120:121]
	s_delay_alu instid0(VALU_DEP_1) | instskip(NEXT) | instid1(VALU_DEP_1)
	v_fma_f64 v[42:43], v[120:121], v[40:41], v[122:123]
	v_div_scale_f64 v[44:45], null, v[42:43], v[42:43], 1.0
	s_delay_alu instid0(VALU_DEP_1) | instskip(SKIP_2) | instid1(VALU_DEP_1)
	v_rcp_f64_e32 v[46:47], v[44:45]
	s_waitcnt_depctr 0xfff
	v_fma_f64 v[92:93], -v[44:45], v[46:47], 1.0
	v_fma_f64 v[46:47], v[46:47], v[92:93], v[46:47]
	s_delay_alu instid0(VALU_DEP_1) | instskip(NEXT) | instid1(VALU_DEP_1)
	v_fma_f64 v[92:93], -v[44:45], v[46:47], 1.0
	v_fma_f64 v[46:47], v[46:47], v[92:93], v[46:47]
	v_div_scale_f64 v[92:93], vcc_lo, 1.0, v[42:43], 1.0
	s_delay_alu instid0(VALU_DEP_1) | instskip(NEXT) | instid1(VALU_DEP_1)
	v_mul_f64 v[94:95], v[92:93], v[46:47]
	v_fma_f64 v[44:45], -v[44:45], v[94:95], v[92:93]
	s_delay_alu instid0(VALU_DEP_1) | instskip(NEXT) | instid1(VALU_DEP_1)
	v_div_fmas_f64 v[44:45], v[44:45], v[46:47], v[94:95]
	v_div_fixup_f64 v[122:123], v[44:45], v[42:43], 1.0
	s_delay_alu instid0(VALU_DEP_1)
	v_mul_f64 v[120:121], v[40:41], v[122:123]
	v_xor_b32_e32 v123, 0x80000000, v123
.LBB58_532:
	s_and_not1_saveexec_b32 s2, s2
	s_cbranch_execz .LBB58_534
; %bb.533:
	s_delay_alu instid0(VALU_DEP_1) | instskip(SKIP_1) | instid1(VALU_DEP_2)
	v_div_scale_f64 v[40:41], null, v[120:121], v[120:121], v[122:123]
	v_div_scale_f64 v[46:47], vcc_lo, v[122:123], v[120:121], v[122:123]
	v_rcp_f64_e32 v[42:43], v[40:41]
	s_waitcnt_depctr 0xfff
	v_fma_f64 v[44:45], -v[40:41], v[42:43], 1.0
	s_delay_alu instid0(VALU_DEP_1) | instskip(NEXT) | instid1(VALU_DEP_1)
	v_fma_f64 v[42:43], v[42:43], v[44:45], v[42:43]
	v_fma_f64 v[44:45], -v[40:41], v[42:43], 1.0
	s_delay_alu instid0(VALU_DEP_1) | instskip(NEXT) | instid1(VALU_DEP_1)
	v_fma_f64 v[42:43], v[42:43], v[44:45], v[42:43]
	v_mul_f64 v[44:45], v[46:47], v[42:43]
	s_delay_alu instid0(VALU_DEP_1) | instskip(NEXT) | instid1(VALU_DEP_1)
	v_fma_f64 v[40:41], -v[40:41], v[44:45], v[46:47]
	v_div_fmas_f64 v[40:41], v[40:41], v[42:43], v[44:45]
	s_delay_alu instid0(VALU_DEP_1) | instskip(NEXT) | instid1(VALU_DEP_1)
	v_div_fixup_f64 v[40:41], v[40:41], v[120:121], v[122:123]
	v_fma_f64 v[42:43], v[122:123], v[40:41], v[120:121]
	s_delay_alu instid0(VALU_DEP_1) | instskip(NEXT) | instid1(VALU_DEP_1)
	v_div_scale_f64 v[44:45], null, v[42:43], v[42:43], 1.0
	v_rcp_f64_e32 v[46:47], v[44:45]
	s_waitcnt_depctr 0xfff
	v_fma_f64 v[92:93], -v[44:45], v[46:47], 1.0
	s_delay_alu instid0(VALU_DEP_1) | instskip(NEXT) | instid1(VALU_DEP_1)
	v_fma_f64 v[46:47], v[46:47], v[92:93], v[46:47]
	v_fma_f64 v[92:93], -v[44:45], v[46:47], 1.0
	s_delay_alu instid0(VALU_DEP_1) | instskip(SKIP_1) | instid1(VALU_DEP_1)
	v_fma_f64 v[46:47], v[46:47], v[92:93], v[46:47]
	v_div_scale_f64 v[92:93], vcc_lo, 1.0, v[42:43], 1.0
	v_mul_f64 v[94:95], v[92:93], v[46:47]
	s_delay_alu instid0(VALU_DEP_1) | instskip(NEXT) | instid1(VALU_DEP_1)
	v_fma_f64 v[44:45], -v[44:45], v[94:95], v[92:93]
	v_div_fmas_f64 v[44:45], v[44:45], v[46:47], v[94:95]
	s_delay_alu instid0(VALU_DEP_1) | instskip(NEXT) | instid1(VALU_DEP_1)
	v_div_fixup_f64 v[120:121], v[44:45], v[42:43], 1.0
	v_mul_f64 v[122:123], v[40:41], -v[120:121]
.LBB58_534:
	s_or_b32 exec_lo, exec_lo, s2
.LBB58_535:
	s_delay_alu instid0(SALU_CYCLE_1) | instskip(NEXT) | instid1(SALU_CYCLE_1)
	s_or_b32 exec_lo, exec_lo, s3
	s_mov_b32 s2, exec_lo
	v_cmpx_ne_u32_e64 v146, v128
	s_xor_b32 s2, exec_lo, s2
	s_cbranch_execz .LBB58_541
; %bb.536:
	s_mov_b32 s3, exec_lo
	v_cmpx_eq_u32_e32 25, v146
	s_cbranch_execz .LBB58_540
; %bb.537:
	v_cmp_ne_u32_e32 vcc_lo, 25, v128
	s_xor_b32 s6, s4, -1
	s_delay_alu instid0(SALU_CYCLE_1) | instskip(NEXT) | instid1(SALU_CYCLE_1)
	s_and_b32 s7, s6, vcc_lo
	s_and_saveexec_b32 s6, s7
	s_cbranch_execz .LBB58_539
; %bb.538:
	v_ashrrev_i32_e32 v129, 31, v128
	s_delay_alu instid0(VALU_DEP_1) | instskip(NEXT) | instid1(VALU_DEP_1)
	v_lshlrev_b64 v[40:41], 2, v[128:129]
	v_add_co_u32 v40, vcc_lo, v253, v40
	s_delay_alu instid0(VALU_DEP_2)
	v_add_co_ci_u32_e32 v41, vcc_lo, v254, v41, vcc_lo
	s_clause 0x1
	flat_load_b32 v42, v[40:41]
	flat_load_b32 v43, v[253:254] offset:100
	s_waitcnt vmcnt(1) lgkmcnt(1)
	flat_store_b32 v[253:254], v42 offset:100
	s_waitcnt vmcnt(0) lgkmcnt(1)
	flat_store_b32 v[40:41], v43
.LBB58_539:
	s_or_b32 exec_lo, exec_lo, s6
	v_mov_b32_e32 v146, v128
	v_mov_b32_e32 v82, v128
.LBB58_540:
	s_or_b32 exec_lo, exec_lo, s3
.LBB58_541:
	s_and_not1_saveexec_b32 s2, s2
	s_cbranch_execz .LBB58_543
; %bb.542:
	v_mov_b32_e32 v146, 25
	ds_store_2addr_b64 v144, v[12:13], v[14:15] offset0:52 offset1:53
	ds_store_2addr_b64 v144, v[8:9], v[10:11] offset0:54 offset1:55
	ds_store_2addr_b64 v144, v[219:220], v[221:222] offset0:56 offset1:57
	ds_store_2addr_b64 v144, v[0:1], v[2:3] offset0:58 offset1:59
.LBB58_543:
	s_or_b32 exec_lo, exec_lo, s2
	s_delay_alu instid0(SALU_CYCLE_1)
	s_mov_b32 s2, exec_lo
	s_waitcnt lgkmcnt(0)
	s_waitcnt_vscnt null, 0x0
	s_barrier
	buffer_gl0_inv
	v_cmpx_lt_i32_e32 25, v146
	s_cbranch_execz .LBB58_545
; %bb.544:
	v_mul_f64 v[40:41], v[120:121], v[18:19]
	v_mul_f64 v[18:19], v[122:123], v[18:19]
	ds_load_2addr_b64 v[128:131], v144 offset0:52 offset1:53
	ds_load_2addr_b64 v[132:135], v144 offset0:54 offset1:55
	;; [unrolled: 1-line block ×4, first 2 shown]
	v_fma_f64 v[40:41], v[122:123], v[16:17], v[40:41]
	v_fma_f64 v[16:17], v[120:121], v[16:17], -v[18:19]
	s_waitcnt lgkmcnt(3)
	s_delay_alu instid0(VALU_DEP_2)
	v_mul_f64 v[18:19], v[130:131], v[40:41]
	v_mul_f64 v[42:43], v[128:129], v[40:41]
	s_waitcnt lgkmcnt(2)
	v_mul_f64 v[44:45], v[134:135], v[40:41]
	v_mul_f64 v[46:47], v[132:133], v[40:41]
	s_waitcnt lgkmcnt(1)
	v_mul_f64 v[92:93], v[138:139], v[40:41]
	v_mul_f64 v[94:95], v[136:137], v[40:41]
	s_waitcnt lgkmcnt(0)
	v_mul_f64 v[104:105], v[149:150], v[40:41]
	v_mul_f64 v[106:107], v[147:148], v[40:41]
	v_fma_f64 v[18:19], v[128:129], v[16:17], -v[18:19]
	v_fma_f64 v[42:43], v[130:131], v[16:17], v[42:43]
	v_fma_f64 v[44:45], v[132:133], v[16:17], -v[44:45]
	v_fma_f64 v[46:47], v[134:135], v[16:17], v[46:47]
	v_fma_f64 v[92:93], v[136:137], v[16:17], -v[92:93]
	v_fma_f64 v[94:95], v[138:139], v[16:17], v[94:95]
	v_fma_f64 v[104:105], v[147:148], v[16:17], -v[104:105]
	v_fma_f64 v[106:107], v[149:150], v[16:17], v[106:107]
	v_add_f64 v[12:13], v[12:13], -v[18:19]
	v_add_f64 v[14:15], v[14:15], -v[42:43]
	;; [unrolled: 1-line block ×8, first 2 shown]
	v_dual_mov_b32 v18, v40 :: v_dual_mov_b32 v19, v41
.LBB58_545:
	s_or_b32 exec_lo, exec_lo, s2
	v_lshl_add_u32 v40, v146, 4, v144
	s_barrier
	buffer_gl0_inv
	v_mov_b32_e32 v128, 26
	ds_store_2addr_b64 v40, v[12:13], v[14:15] offset1:1
	s_waitcnt lgkmcnt(0)
	s_barrier
	buffer_gl0_inv
	ds_load_2addr_b64 v[120:123], v144 offset0:52 offset1:53
	s_cmp_lt_i32 s5, 28
	s_cbranch_scc1 .LBB58_548
; %bb.546:
	v_add3_u32 v129, v80, 0, 0x1b0
	v_mov_b32_e32 v128, 26
	s_mov_b32 s6, 27
	s_set_inst_prefetch_distance 0x1
	.p2align	6
.LBB58_547:                             ; =>This Inner Loop Header: Depth=1
	ds_load_2addr_b64 v[130:133], v129 offset1:1
	s_waitcnt lgkmcnt(1)
	v_cmp_gt_f64_e32 vcc_lo, 0, v[120:121]
	v_xor_b32_e32 v40, 0x80000000, v121
	v_cmp_gt_f64_e64 s2, 0, v[122:123]
	v_xor_b32_e32 v42, 0x80000000, v123
	v_add_nc_u32_e32 v129, 16, v129
	s_waitcnt lgkmcnt(0)
	v_cmp_gt_f64_e64 s3, 0, v[130:131]
	v_mov_b32_e32 v44, v130
	v_dual_mov_b32 v46, v132 :: v_dual_cndmask_b32 v41, v121, v40
	v_xor_b32_e32 v40, 0x80000000, v131
	v_cndmask_b32_e64 v43, v123, v42, s2
	v_xor_b32_e32 v42, 0x80000000, v133
	s_delay_alu instid0(VALU_DEP_3) | instskip(SKIP_2) | instid1(VALU_DEP_2)
	v_cndmask_b32_e64 v45, v131, v40, s3
	v_cmp_gt_f64_e64 s3, 0, v[132:133]
	v_cndmask_b32_e32 v40, v120, v120, vcc_lo
	v_cndmask_b32_e64 v47, v133, v42, s3
	v_cndmask_b32_e64 v42, v122, v122, s2
	s_delay_alu instid0(VALU_DEP_2) | instskip(NEXT) | instid1(VALU_DEP_2)
	v_add_f64 v[44:45], v[44:45], v[46:47]
	v_add_f64 v[40:41], v[40:41], v[42:43]
	s_delay_alu instid0(VALU_DEP_1)
	v_cmp_lt_f64_e32 vcc_lo, v[40:41], v[44:45]
	v_cndmask_b32_e32 v123, v123, v133, vcc_lo
	v_dual_cndmask_b32 v121, v121, v131 :: v_dual_cndmask_b32 v120, v120, v130
	v_cndmask_b32_e32 v122, v122, v132, vcc_lo
	v_cndmask_b32_e64 v128, v128, s6, vcc_lo
	s_add_i32 s6, s6, 1
	s_delay_alu instid0(SALU_CYCLE_1)
	s_cmp_lg_u32 s5, s6
	s_cbranch_scc1 .LBB58_547
.LBB58_548:
	s_set_inst_prefetch_distance 0x2
	s_waitcnt lgkmcnt(0)
	v_cmp_eq_f64_e32 vcc_lo, 0, v[120:121]
	v_cmp_eq_f64_e64 s2, 0, v[122:123]
	s_delay_alu instid0(VALU_DEP_1) | instskip(NEXT) | instid1(SALU_CYCLE_1)
	s_and_b32 s2, vcc_lo, s2
	s_and_saveexec_b32 s3, s2
	s_delay_alu instid0(SALU_CYCLE_1)
	s_xor_b32 s2, exec_lo, s3
; %bb.549:
	v_cmp_ne_u32_e32 vcc_lo, 0, v83
	v_cndmask_b32_e32 v83, 27, v83, vcc_lo
; %bb.550:
	s_and_not1_saveexec_b32 s3, s2
	s_cbranch_execz .LBB58_556
; %bb.551:
	v_cmp_gt_f64_e32 vcc_lo, 0, v[120:121]
	v_cmp_gt_f64_e64 s2, 0, v[122:123]
	v_xor_b32_e32 v40, 0x80000000, v121
	v_xor_b32_e32 v42, 0x80000000, v123
	s_delay_alu instid0(VALU_DEP_2) | instskip(NEXT) | instid1(VALU_DEP_2)
	v_cndmask_b32_e32 v41, v121, v40, vcc_lo
	v_cndmask_b32_e64 v43, v123, v42, s2
	v_cndmask_b32_e32 v40, v120, v120, vcc_lo
	v_cndmask_b32_e64 v42, v122, v122, s2
	s_mov_b32 s2, exec_lo
	s_delay_alu instid0(VALU_DEP_1)
	v_cmpx_ngt_f64_e32 v[40:41], v[42:43]
	s_xor_b32 s2, exec_lo, s2
	s_cbranch_execz .LBB58_553
; %bb.552:
	v_div_scale_f64 v[40:41], null, v[122:123], v[122:123], v[120:121]
	v_div_scale_f64 v[46:47], vcc_lo, v[120:121], v[122:123], v[120:121]
	s_delay_alu instid0(VALU_DEP_2) | instskip(SKIP_2) | instid1(VALU_DEP_1)
	v_rcp_f64_e32 v[42:43], v[40:41]
	s_waitcnt_depctr 0xfff
	v_fma_f64 v[44:45], -v[40:41], v[42:43], 1.0
	v_fma_f64 v[42:43], v[42:43], v[44:45], v[42:43]
	s_delay_alu instid0(VALU_DEP_1) | instskip(NEXT) | instid1(VALU_DEP_1)
	v_fma_f64 v[44:45], -v[40:41], v[42:43], 1.0
	v_fma_f64 v[42:43], v[42:43], v[44:45], v[42:43]
	s_delay_alu instid0(VALU_DEP_1) | instskip(NEXT) | instid1(VALU_DEP_1)
	v_mul_f64 v[44:45], v[46:47], v[42:43]
	v_fma_f64 v[40:41], -v[40:41], v[44:45], v[46:47]
	s_delay_alu instid0(VALU_DEP_1) | instskip(NEXT) | instid1(VALU_DEP_1)
	v_div_fmas_f64 v[40:41], v[40:41], v[42:43], v[44:45]
	v_div_fixup_f64 v[40:41], v[40:41], v[122:123], v[120:121]
	s_delay_alu instid0(VALU_DEP_1) | instskip(NEXT) | instid1(VALU_DEP_1)
	v_fma_f64 v[42:43], v[120:121], v[40:41], v[122:123]
	v_div_scale_f64 v[44:45], null, v[42:43], v[42:43], 1.0
	s_delay_alu instid0(VALU_DEP_1) | instskip(SKIP_2) | instid1(VALU_DEP_1)
	v_rcp_f64_e32 v[46:47], v[44:45]
	s_waitcnt_depctr 0xfff
	v_fma_f64 v[92:93], -v[44:45], v[46:47], 1.0
	v_fma_f64 v[46:47], v[46:47], v[92:93], v[46:47]
	s_delay_alu instid0(VALU_DEP_1) | instskip(NEXT) | instid1(VALU_DEP_1)
	v_fma_f64 v[92:93], -v[44:45], v[46:47], 1.0
	v_fma_f64 v[46:47], v[46:47], v[92:93], v[46:47]
	v_div_scale_f64 v[92:93], vcc_lo, 1.0, v[42:43], 1.0
	s_delay_alu instid0(VALU_DEP_1) | instskip(NEXT) | instid1(VALU_DEP_1)
	v_mul_f64 v[94:95], v[92:93], v[46:47]
	v_fma_f64 v[44:45], -v[44:45], v[94:95], v[92:93]
	s_delay_alu instid0(VALU_DEP_1) | instskip(NEXT) | instid1(VALU_DEP_1)
	v_div_fmas_f64 v[44:45], v[44:45], v[46:47], v[94:95]
	v_div_fixup_f64 v[122:123], v[44:45], v[42:43], 1.0
	s_delay_alu instid0(VALU_DEP_1)
	v_mul_f64 v[120:121], v[40:41], v[122:123]
	v_xor_b32_e32 v123, 0x80000000, v123
.LBB58_553:
	s_and_not1_saveexec_b32 s2, s2
	s_cbranch_execz .LBB58_555
; %bb.554:
	s_delay_alu instid0(VALU_DEP_1) | instskip(SKIP_1) | instid1(VALU_DEP_2)
	v_div_scale_f64 v[40:41], null, v[120:121], v[120:121], v[122:123]
	v_div_scale_f64 v[46:47], vcc_lo, v[122:123], v[120:121], v[122:123]
	v_rcp_f64_e32 v[42:43], v[40:41]
	s_waitcnt_depctr 0xfff
	v_fma_f64 v[44:45], -v[40:41], v[42:43], 1.0
	s_delay_alu instid0(VALU_DEP_1) | instskip(NEXT) | instid1(VALU_DEP_1)
	v_fma_f64 v[42:43], v[42:43], v[44:45], v[42:43]
	v_fma_f64 v[44:45], -v[40:41], v[42:43], 1.0
	s_delay_alu instid0(VALU_DEP_1) | instskip(NEXT) | instid1(VALU_DEP_1)
	v_fma_f64 v[42:43], v[42:43], v[44:45], v[42:43]
	v_mul_f64 v[44:45], v[46:47], v[42:43]
	s_delay_alu instid0(VALU_DEP_1) | instskip(NEXT) | instid1(VALU_DEP_1)
	v_fma_f64 v[40:41], -v[40:41], v[44:45], v[46:47]
	v_div_fmas_f64 v[40:41], v[40:41], v[42:43], v[44:45]
	s_delay_alu instid0(VALU_DEP_1) | instskip(NEXT) | instid1(VALU_DEP_1)
	v_div_fixup_f64 v[40:41], v[40:41], v[120:121], v[122:123]
	v_fma_f64 v[42:43], v[122:123], v[40:41], v[120:121]
	s_delay_alu instid0(VALU_DEP_1) | instskip(NEXT) | instid1(VALU_DEP_1)
	v_div_scale_f64 v[44:45], null, v[42:43], v[42:43], 1.0
	v_rcp_f64_e32 v[46:47], v[44:45]
	s_waitcnt_depctr 0xfff
	v_fma_f64 v[92:93], -v[44:45], v[46:47], 1.0
	s_delay_alu instid0(VALU_DEP_1) | instskip(NEXT) | instid1(VALU_DEP_1)
	v_fma_f64 v[46:47], v[46:47], v[92:93], v[46:47]
	v_fma_f64 v[92:93], -v[44:45], v[46:47], 1.0
	s_delay_alu instid0(VALU_DEP_1) | instskip(SKIP_1) | instid1(VALU_DEP_1)
	v_fma_f64 v[46:47], v[46:47], v[92:93], v[46:47]
	v_div_scale_f64 v[92:93], vcc_lo, 1.0, v[42:43], 1.0
	v_mul_f64 v[94:95], v[92:93], v[46:47]
	s_delay_alu instid0(VALU_DEP_1) | instskip(NEXT) | instid1(VALU_DEP_1)
	v_fma_f64 v[44:45], -v[44:45], v[94:95], v[92:93]
	v_div_fmas_f64 v[44:45], v[44:45], v[46:47], v[94:95]
	s_delay_alu instid0(VALU_DEP_1) | instskip(NEXT) | instid1(VALU_DEP_1)
	v_div_fixup_f64 v[120:121], v[44:45], v[42:43], 1.0
	v_mul_f64 v[122:123], v[40:41], -v[120:121]
.LBB58_555:
	s_or_b32 exec_lo, exec_lo, s2
.LBB58_556:
	s_delay_alu instid0(SALU_CYCLE_1) | instskip(NEXT) | instid1(SALU_CYCLE_1)
	s_or_b32 exec_lo, exec_lo, s3
	s_mov_b32 s2, exec_lo
	v_cmpx_ne_u32_e64 v146, v128
	s_xor_b32 s2, exec_lo, s2
	s_cbranch_execz .LBB58_562
; %bb.557:
	s_mov_b32 s3, exec_lo
	v_cmpx_eq_u32_e32 26, v146
	s_cbranch_execz .LBB58_561
; %bb.558:
	v_cmp_ne_u32_e32 vcc_lo, 26, v128
	s_xor_b32 s6, s4, -1
	s_delay_alu instid0(SALU_CYCLE_1) | instskip(NEXT) | instid1(SALU_CYCLE_1)
	s_and_b32 s7, s6, vcc_lo
	s_and_saveexec_b32 s6, s7
	s_cbranch_execz .LBB58_560
; %bb.559:
	v_ashrrev_i32_e32 v129, 31, v128
	s_delay_alu instid0(VALU_DEP_1) | instskip(NEXT) | instid1(VALU_DEP_1)
	v_lshlrev_b64 v[40:41], 2, v[128:129]
	v_add_co_u32 v40, vcc_lo, v253, v40
	s_delay_alu instid0(VALU_DEP_2)
	v_add_co_ci_u32_e32 v41, vcc_lo, v254, v41, vcc_lo
	s_clause 0x1
	flat_load_b32 v42, v[40:41]
	flat_load_b32 v43, v[253:254] offset:104
	s_waitcnt vmcnt(1) lgkmcnt(1)
	flat_store_b32 v[253:254], v42 offset:104
	s_waitcnt vmcnt(0) lgkmcnt(1)
	flat_store_b32 v[40:41], v43
.LBB58_560:
	s_or_b32 exec_lo, exec_lo, s6
	v_mov_b32_e32 v146, v128
	v_mov_b32_e32 v82, v128
.LBB58_561:
	s_or_b32 exec_lo, exec_lo, s3
.LBB58_562:
	s_and_not1_saveexec_b32 s2, s2
	s_cbranch_execz .LBB58_564
; %bb.563:
	v_mov_b32_e32 v146, 26
	ds_store_2addr_b64 v144, v[8:9], v[10:11] offset0:54 offset1:55
	ds_store_2addr_b64 v144, v[219:220], v[221:222] offset0:56 offset1:57
	;; [unrolled: 1-line block ×3, first 2 shown]
.LBB58_564:
	s_or_b32 exec_lo, exec_lo, s2
	s_delay_alu instid0(SALU_CYCLE_1)
	s_mov_b32 s2, exec_lo
	s_waitcnt lgkmcnt(0)
	s_waitcnt_vscnt null, 0x0
	s_barrier
	buffer_gl0_inv
	v_cmpx_lt_i32_e32 26, v146
	s_cbranch_execz .LBB58_566
; %bb.565:
	v_mul_f64 v[40:41], v[120:121], v[14:15]
	v_mul_f64 v[14:15], v[122:123], v[14:15]
	ds_load_2addr_b64 v[128:131], v144 offset0:54 offset1:55
	ds_load_2addr_b64 v[132:135], v144 offset0:56 offset1:57
	;; [unrolled: 1-line block ×3, first 2 shown]
	v_fma_f64 v[40:41], v[122:123], v[12:13], v[40:41]
	v_fma_f64 v[12:13], v[120:121], v[12:13], -v[14:15]
	s_waitcnt lgkmcnt(2)
	s_delay_alu instid0(VALU_DEP_2)
	v_mul_f64 v[14:15], v[130:131], v[40:41]
	v_mul_f64 v[42:43], v[128:129], v[40:41]
	s_waitcnt lgkmcnt(1)
	v_mul_f64 v[44:45], v[134:135], v[40:41]
	v_mul_f64 v[46:47], v[132:133], v[40:41]
	s_waitcnt lgkmcnt(0)
	v_mul_f64 v[92:93], v[138:139], v[40:41]
	v_mul_f64 v[94:95], v[136:137], v[40:41]
	v_fma_f64 v[14:15], v[128:129], v[12:13], -v[14:15]
	v_fma_f64 v[42:43], v[130:131], v[12:13], v[42:43]
	v_fma_f64 v[44:45], v[132:133], v[12:13], -v[44:45]
	v_fma_f64 v[46:47], v[134:135], v[12:13], v[46:47]
	;; [unrolled: 2-line block ×3, first 2 shown]
	v_add_f64 v[8:9], v[8:9], -v[14:15]
	v_add_f64 v[10:11], v[10:11], -v[42:43]
	;; [unrolled: 1-line block ×6, first 2 shown]
	v_dual_mov_b32 v14, v40 :: v_dual_mov_b32 v15, v41
.LBB58_566:
	s_or_b32 exec_lo, exec_lo, s2
	v_lshl_add_u32 v40, v146, 4, v144
	s_barrier
	buffer_gl0_inv
	v_mov_b32_e32 v128, 27
	ds_store_2addr_b64 v40, v[8:9], v[10:11] offset1:1
	s_waitcnt lgkmcnt(0)
	s_barrier
	buffer_gl0_inv
	ds_load_2addr_b64 v[120:123], v144 offset0:54 offset1:55
	s_cmp_lt_i32 s5, 29
	s_cbranch_scc1 .LBB58_569
; %bb.567:
	v_add3_u32 v129, v80, 0, 0x1c0
	v_mov_b32_e32 v128, 27
	s_mov_b32 s6, 28
	s_set_inst_prefetch_distance 0x1
	.p2align	6
.LBB58_568:                             ; =>This Inner Loop Header: Depth=1
	ds_load_2addr_b64 v[130:133], v129 offset1:1
	s_waitcnt lgkmcnt(1)
	v_cmp_gt_f64_e32 vcc_lo, 0, v[120:121]
	v_xor_b32_e32 v40, 0x80000000, v121
	v_cmp_gt_f64_e64 s2, 0, v[122:123]
	v_xor_b32_e32 v42, 0x80000000, v123
	v_add_nc_u32_e32 v129, 16, v129
	s_waitcnt lgkmcnt(0)
	v_cmp_gt_f64_e64 s3, 0, v[130:131]
	v_mov_b32_e32 v44, v130
	v_dual_mov_b32 v46, v132 :: v_dual_cndmask_b32 v41, v121, v40
	v_xor_b32_e32 v40, 0x80000000, v131
	v_cndmask_b32_e64 v43, v123, v42, s2
	v_xor_b32_e32 v42, 0x80000000, v133
	s_delay_alu instid0(VALU_DEP_3) | instskip(SKIP_2) | instid1(VALU_DEP_2)
	v_cndmask_b32_e64 v45, v131, v40, s3
	v_cmp_gt_f64_e64 s3, 0, v[132:133]
	v_cndmask_b32_e32 v40, v120, v120, vcc_lo
	v_cndmask_b32_e64 v47, v133, v42, s3
	v_cndmask_b32_e64 v42, v122, v122, s2
	s_delay_alu instid0(VALU_DEP_2) | instskip(NEXT) | instid1(VALU_DEP_2)
	v_add_f64 v[44:45], v[44:45], v[46:47]
	v_add_f64 v[40:41], v[40:41], v[42:43]
	s_delay_alu instid0(VALU_DEP_1)
	v_cmp_lt_f64_e32 vcc_lo, v[40:41], v[44:45]
	v_cndmask_b32_e32 v123, v123, v133, vcc_lo
	v_dual_cndmask_b32 v121, v121, v131 :: v_dual_cndmask_b32 v120, v120, v130
	v_cndmask_b32_e32 v122, v122, v132, vcc_lo
	v_cndmask_b32_e64 v128, v128, s6, vcc_lo
	s_add_i32 s6, s6, 1
	s_delay_alu instid0(SALU_CYCLE_1)
	s_cmp_lg_u32 s5, s6
	s_cbranch_scc1 .LBB58_568
.LBB58_569:
	s_set_inst_prefetch_distance 0x2
	s_waitcnt lgkmcnt(0)
	v_cmp_eq_f64_e32 vcc_lo, 0, v[120:121]
	v_cmp_eq_f64_e64 s2, 0, v[122:123]
	s_delay_alu instid0(VALU_DEP_1) | instskip(NEXT) | instid1(SALU_CYCLE_1)
	s_and_b32 s2, vcc_lo, s2
	s_and_saveexec_b32 s3, s2
	s_delay_alu instid0(SALU_CYCLE_1)
	s_xor_b32 s2, exec_lo, s3
; %bb.570:
	v_cmp_ne_u32_e32 vcc_lo, 0, v83
	v_cndmask_b32_e32 v83, 28, v83, vcc_lo
; %bb.571:
	s_and_not1_saveexec_b32 s3, s2
	s_cbranch_execz .LBB58_577
; %bb.572:
	v_cmp_gt_f64_e32 vcc_lo, 0, v[120:121]
	v_cmp_gt_f64_e64 s2, 0, v[122:123]
	v_xor_b32_e32 v40, 0x80000000, v121
	v_xor_b32_e32 v42, 0x80000000, v123
	s_delay_alu instid0(VALU_DEP_2) | instskip(NEXT) | instid1(VALU_DEP_2)
	v_cndmask_b32_e32 v41, v121, v40, vcc_lo
	v_cndmask_b32_e64 v43, v123, v42, s2
	v_cndmask_b32_e32 v40, v120, v120, vcc_lo
	v_cndmask_b32_e64 v42, v122, v122, s2
	s_mov_b32 s2, exec_lo
	s_delay_alu instid0(VALU_DEP_1)
	v_cmpx_ngt_f64_e32 v[40:41], v[42:43]
	s_xor_b32 s2, exec_lo, s2
	s_cbranch_execz .LBB58_574
; %bb.573:
	v_div_scale_f64 v[40:41], null, v[122:123], v[122:123], v[120:121]
	v_div_scale_f64 v[46:47], vcc_lo, v[120:121], v[122:123], v[120:121]
	s_delay_alu instid0(VALU_DEP_2) | instskip(SKIP_2) | instid1(VALU_DEP_1)
	v_rcp_f64_e32 v[42:43], v[40:41]
	s_waitcnt_depctr 0xfff
	v_fma_f64 v[44:45], -v[40:41], v[42:43], 1.0
	v_fma_f64 v[42:43], v[42:43], v[44:45], v[42:43]
	s_delay_alu instid0(VALU_DEP_1) | instskip(NEXT) | instid1(VALU_DEP_1)
	v_fma_f64 v[44:45], -v[40:41], v[42:43], 1.0
	v_fma_f64 v[42:43], v[42:43], v[44:45], v[42:43]
	s_delay_alu instid0(VALU_DEP_1) | instskip(NEXT) | instid1(VALU_DEP_1)
	v_mul_f64 v[44:45], v[46:47], v[42:43]
	v_fma_f64 v[40:41], -v[40:41], v[44:45], v[46:47]
	s_delay_alu instid0(VALU_DEP_1) | instskip(NEXT) | instid1(VALU_DEP_1)
	v_div_fmas_f64 v[40:41], v[40:41], v[42:43], v[44:45]
	v_div_fixup_f64 v[40:41], v[40:41], v[122:123], v[120:121]
	s_delay_alu instid0(VALU_DEP_1) | instskip(NEXT) | instid1(VALU_DEP_1)
	v_fma_f64 v[42:43], v[120:121], v[40:41], v[122:123]
	v_div_scale_f64 v[44:45], null, v[42:43], v[42:43], 1.0
	s_delay_alu instid0(VALU_DEP_1) | instskip(SKIP_2) | instid1(VALU_DEP_1)
	v_rcp_f64_e32 v[46:47], v[44:45]
	s_waitcnt_depctr 0xfff
	v_fma_f64 v[92:93], -v[44:45], v[46:47], 1.0
	v_fma_f64 v[46:47], v[46:47], v[92:93], v[46:47]
	s_delay_alu instid0(VALU_DEP_1) | instskip(NEXT) | instid1(VALU_DEP_1)
	v_fma_f64 v[92:93], -v[44:45], v[46:47], 1.0
	v_fma_f64 v[46:47], v[46:47], v[92:93], v[46:47]
	v_div_scale_f64 v[92:93], vcc_lo, 1.0, v[42:43], 1.0
	s_delay_alu instid0(VALU_DEP_1) | instskip(NEXT) | instid1(VALU_DEP_1)
	v_mul_f64 v[94:95], v[92:93], v[46:47]
	v_fma_f64 v[44:45], -v[44:45], v[94:95], v[92:93]
	s_delay_alu instid0(VALU_DEP_1) | instskip(NEXT) | instid1(VALU_DEP_1)
	v_div_fmas_f64 v[44:45], v[44:45], v[46:47], v[94:95]
	v_div_fixup_f64 v[122:123], v[44:45], v[42:43], 1.0
	s_delay_alu instid0(VALU_DEP_1)
	v_mul_f64 v[120:121], v[40:41], v[122:123]
	v_xor_b32_e32 v123, 0x80000000, v123
.LBB58_574:
	s_and_not1_saveexec_b32 s2, s2
	s_cbranch_execz .LBB58_576
; %bb.575:
	s_delay_alu instid0(VALU_DEP_1) | instskip(SKIP_1) | instid1(VALU_DEP_2)
	v_div_scale_f64 v[40:41], null, v[120:121], v[120:121], v[122:123]
	v_div_scale_f64 v[46:47], vcc_lo, v[122:123], v[120:121], v[122:123]
	v_rcp_f64_e32 v[42:43], v[40:41]
	s_waitcnt_depctr 0xfff
	v_fma_f64 v[44:45], -v[40:41], v[42:43], 1.0
	s_delay_alu instid0(VALU_DEP_1) | instskip(NEXT) | instid1(VALU_DEP_1)
	v_fma_f64 v[42:43], v[42:43], v[44:45], v[42:43]
	v_fma_f64 v[44:45], -v[40:41], v[42:43], 1.0
	s_delay_alu instid0(VALU_DEP_1) | instskip(NEXT) | instid1(VALU_DEP_1)
	v_fma_f64 v[42:43], v[42:43], v[44:45], v[42:43]
	v_mul_f64 v[44:45], v[46:47], v[42:43]
	s_delay_alu instid0(VALU_DEP_1) | instskip(NEXT) | instid1(VALU_DEP_1)
	v_fma_f64 v[40:41], -v[40:41], v[44:45], v[46:47]
	v_div_fmas_f64 v[40:41], v[40:41], v[42:43], v[44:45]
	s_delay_alu instid0(VALU_DEP_1) | instskip(NEXT) | instid1(VALU_DEP_1)
	v_div_fixup_f64 v[40:41], v[40:41], v[120:121], v[122:123]
	v_fma_f64 v[42:43], v[122:123], v[40:41], v[120:121]
	s_delay_alu instid0(VALU_DEP_1) | instskip(NEXT) | instid1(VALU_DEP_1)
	v_div_scale_f64 v[44:45], null, v[42:43], v[42:43], 1.0
	v_rcp_f64_e32 v[46:47], v[44:45]
	s_waitcnt_depctr 0xfff
	v_fma_f64 v[92:93], -v[44:45], v[46:47], 1.0
	s_delay_alu instid0(VALU_DEP_1) | instskip(NEXT) | instid1(VALU_DEP_1)
	v_fma_f64 v[46:47], v[46:47], v[92:93], v[46:47]
	v_fma_f64 v[92:93], -v[44:45], v[46:47], 1.0
	s_delay_alu instid0(VALU_DEP_1) | instskip(SKIP_1) | instid1(VALU_DEP_1)
	v_fma_f64 v[46:47], v[46:47], v[92:93], v[46:47]
	v_div_scale_f64 v[92:93], vcc_lo, 1.0, v[42:43], 1.0
	v_mul_f64 v[94:95], v[92:93], v[46:47]
	s_delay_alu instid0(VALU_DEP_1) | instskip(NEXT) | instid1(VALU_DEP_1)
	v_fma_f64 v[44:45], -v[44:45], v[94:95], v[92:93]
	v_div_fmas_f64 v[44:45], v[44:45], v[46:47], v[94:95]
	s_delay_alu instid0(VALU_DEP_1) | instskip(NEXT) | instid1(VALU_DEP_1)
	v_div_fixup_f64 v[120:121], v[44:45], v[42:43], 1.0
	v_mul_f64 v[122:123], v[40:41], -v[120:121]
.LBB58_576:
	s_or_b32 exec_lo, exec_lo, s2
.LBB58_577:
	s_delay_alu instid0(SALU_CYCLE_1) | instskip(NEXT) | instid1(SALU_CYCLE_1)
	s_or_b32 exec_lo, exec_lo, s3
	s_mov_b32 s2, exec_lo
	v_cmpx_ne_u32_e64 v146, v128
	s_xor_b32 s2, exec_lo, s2
	s_cbranch_execz .LBB58_583
; %bb.578:
	s_mov_b32 s3, exec_lo
	v_cmpx_eq_u32_e32 27, v146
	s_cbranch_execz .LBB58_582
; %bb.579:
	v_cmp_ne_u32_e32 vcc_lo, 27, v128
	s_xor_b32 s6, s4, -1
	s_delay_alu instid0(SALU_CYCLE_1) | instskip(NEXT) | instid1(SALU_CYCLE_1)
	s_and_b32 s7, s6, vcc_lo
	s_and_saveexec_b32 s6, s7
	s_cbranch_execz .LBB58_581
; %bb.580:
	v_ashrrev_i32_e32 v129, 31, v128
	s_delay_alu instid0(VALU_DEP_1) | instskip(NEXT) | instid1(VALU_DEP_1)
	v_lshlrev_b64 v[40:41], 2, v[128:129]
	v_add_co_u32 v40, vcc_lo, v253, v40
	s_delay_alu instid0(VALU_DEP_2)
	v_add_co_ci_u32_e32 v41, vcc_lo, v254, v41, vcc_lo
	s_clause 0x1
	flat_load_b32 v42, v[40:41]
	flat_load_b32 v43, v[253:254] offset:108
	s_waitcnt vmcnt(1) lgkmcnt(1)
	flat_store_b32 v[253:254], v42 offset:108
	s_waitcnt vmcnt(0) lgkmcnt(1)
	flat_store_b32 v[40:41], v43
.LBB58_581:
	s_or_b32 exec_lo, exec_lo, s6
	v_mov_b32_e32 v146, v128
	v_mov_b32_e32 v82, v128
.LBB58_582:
	s_or_b32 exec_lo, exec_lo, s3
.LBB58_583:
	s_and_not1_saveexec_b32 s2, s2
	s_cbranch_execz .LBB58_585
; %bb.584:
	v_mov_b32_e32 v146, 27
	ds_store_2addr_b64 v144, v[219:220], v[221:222] offset0:56 offset1:57
	ds_store_2addr_b64 v144, v[0:1], v[2:3] offset0:58 offset1:59
.LBB58_585:
	s_or_b32 exec_lo, exec_lo, s2
	s_delay_alu instid0(SALU_CYCLE_1)
	s_mov_b32 s2, exec_lo
	s_waitcnt lgkmcnt(0)
	s_waitcnt_vscnt null, 0x0
	s_barrier
	buffer_gl0_inv
	v_cmpx_lt_i32_e32 27, v146
	s_cbranch_execz .LBB58_587
; %bb.586:
	v_mul_f64 v[40:41], v[120:121], v[10:11]
	v_mul_f64 v[10:11], v[122:123], v[10:11]
	ds_load_2addr_b64 v[128:131], v144 offset0:56 offset1:57
	ds_load_2addr_b64 v[132:135], v144 offset0:58 offset1:59
	v_fma_f64 v[40:41], v[122:123], v[8:9], v[40:41]
	v_fma_f64 v[8:9], v[120:121], v[8:9], -v[10:11]
	s_waitcnt lgkmcnt(1)
	s_delay_alu instid0(VALU_DEP_2) | instskip(SKIP_4) | instid1(VALU_DEP_4)
	v_mul_f64 v[10:11], v[130:131], v[40:41]
	v_mul_f64 v[42:43], v[128:129], v[40:41]
	s_waitcnt lgkmcnt(0)
	v_mul_f64 v[44:45], v[134:135], v[40:41]
	v_mul_f64 v[46:47], v[132:133], v[40:41]
	v_fma_f64 v[10:11], v[128:129], v[8:9], -v[10:11]
	s_delay_alu instid0(VALU_DEP_4) | instskip(NEXT) | instid1(VALU_DEP_4)
	v_fma_f64 v[42:43], v[130:131], v[8:9], v[42:43]
	v_fma_f64 v[44:45], v[132:133], v[8:9], -v[44:45]
	s_delay_alu instid0(VALU_DEP_4) | instskip(NEXT) | instid1(VALU_DEP_4)
	v_fma_f64 v[46:47], v[134:135], v[8:9], v[46:47]
	v_add_f64 v[219:220], v[219:220], -v[10:11]
	s_delay_alu instid0(VALU_DEP_4) | instskip(NEXT) | instid1(VALU_DEP_4)
	v_add_f64 v[221:222], v[221:222], -v[42:43]
	v_add_f64 v[0:1], v[0:1], -v[44:45]
	s_delay_alu instid0(VALU_DEP_4)
	v_add_f64 v[2:3], v[2:3], -v[46:47]
	v_dual_mov_b32 v10, v40 :: v_dual_mov_b32 v11, v41
.LBB58_587:
	s_or_b32 exec_lo, exec_lo, s2
	v_lshl_add_u32 v40, v146, 4, v144
	s_barrier
	buffer_gl0_inv
	v_mov_b32_e32 v128, 28
	ds_store_2addr_b64 v40, v[219:220], v[221:222] offset1:1
	s_waitcnt lgkmcnt(0)
	s_barrier
	buffer_gl0_inv
	ds_load_2addr_b64 v[120:123], v144 offset0:56 offset1:57
	s_cmp_lt_i32 s5, 30
	s_cbranch_scc1 .LBB58_590
; %bb.588:
	v_add3_u32 v129, v80, 0, 0x1d0
	v_mov_b32_e32 v128, 28
	s_mov_b32 s6, 29
	s_set_inst_prefetch_distance 0x1
	.p2align	6
.LBB58_589:                             ; =>This Inner Loop Header: Depth=1
	ds_load_2addr_b64 v[130:133], v129 offset1:1
	s_waitcnt lgkmcnt(1)
	v_cmp_gt_f64_e32 vcc_lo, 0, v[120:121]
	v_xor_b32_e32 v40, 0x80000000, v121
	v_cmp_gt_f64_e64 s2, 0, v[122:123]
	v_xor_b32_e32 v42, 0x80000000, v123
	v_add_nc_u32_e32 v129, 16, v129
	s_waitcnt lgkmcnt(0)
	v_cmp_gt_f64_e64 s3, 0, v[130:131]
	v_mov_b32_e32 v44, v130
	v_dual_mov_b32 v46, v132 :: v_dual_cndmask_b32 v41, v121, v40
	v_xor_b32_e32 v40, 0x80000000, v131
	v_cndmask_b32_e64 v43, v123, v42, s2
	v_xor_b32_e32 v42, 0x80000000, v133
	s_delay_alu instid0(VALU_DEP_3) | instskip(SKIP_2) | instid1(VALU_DEP_2)
	v_cndmask_b32_e64 v45, v131, v40, s3
	v_cmp_gt_f64_e64 s3, 0, v[132:133]
	v_cndmask_b32_e32 v40, v120, v120, vcc_lo
	v_cndmask_b32_e64 v47, v133, v42, s3
	v_cndmask_b32_e64 v42, v122, v122, s2
	s_delay_alu instid0(VALU_DEP_2) | instskip(NEXT) | instid1(VALU_DEP_2)
	v_add_f64 v[44:45], v[44:45], v[46:47]
	v_add_f64 v[40:41], v[40:41], v[42:43]
	s_delay_alu instid0(VALU_DEP_1)
	v_cmp_lt_f64_e32 vcc_lo, v[40:41], v[44:45]
	v_cndmask_b32_e32 v123, v123, v133, vcc_lo
	v_dual_cndmask_b32 v121, v121, v131 :: v_dual_cndmask_b32 v120, v120, v130
	v_cndmask_b32_e32 v122, v122, v132, vcc_lo
	v_cndmask_b32_e64 v128, v128, s6, vcc_lo
	s_add_i32 s6, s6, 1
	s_delay_alu instid0(SALU_CYCLE_1)
	s_cmp_lg_u32 s5, s6
	s_cbranch_scc1 .LBB58_589
.LBB58_590:
	s_set_inst_prefetch_distance 0x2
	s_waitcnt lgkmcnt(0)
	v_cmp_eq_f64_e32 vcc_lo, 0, v[120:121]
	v_cmp_eq_f64_e64 s2, 0, v[122:123]
	s_delay_alu instid0(VALU_DEP_1) | instskip(NEXT) | instid1(SALU_CYCLE_1)
	s_and_b32 s2, vcc_lo, s2
	s_and_saveexec_b32 s3, s2
	s_delay_alu instid0(SALU_CYCLE_1)
	s_xor_b32 s2, exec_lo, s3
; %bb.591:
	v_cmp_ne_u32_e32 vcc_lo, 0, v83
	v_cndmask_b32_e32 v83, 29, v83, vcc_lo
; %bb.592:
	s_and_not1_saveexec_b32 s3, s2
	s_cbranch_execz .LBB58_598
; %bb.593:
	v_cmp_gt_f64_e32 vcc_lo, 0, v[120:121]
	v_cmp_gt_f64_e64 s2, 0, v[122:123]
	v_xor_b32_e32 v40, 0x80000000, v121
	v_xor_b32_e32 v42, 0x80000000, v123
	s_delay_alu instid0(VALU_DEP_2) | instskip(NEXT) | instid1(VALU_DEP_2)
	v_cndmask_b32_e32 v41, v121, v40, vcc_lo
	v_cndmask_b32_e64 v43, v123, v42, s2
	v_cndmask_b32_e32 v40, v120, v120, vcc_lo
	v_cndmask_b32_e64 v42, v122, v122, s2
	s_mov_b32 s2, exec_lo
	s_delay_alu instid0(VALU_DEP_1)
	v_cmpx_ngt_f64_e32 v[40:41], v[42:43]
	s_xor_b32 s2, exec_lo, s2
	s_cbranch_execz .LBB58_595
; %bb.594:
	v_div_scale_f64 v[40:41], null, v[122:123], v[122:123], v[120:121]
	v_div_scale_f64 v[46:47], vcc_lo, v[120:121], v[122:123], v[120:121]
	s_delay_alu instid0(VALU_DEP_2) | instskip(SKIP_2) | instid1(VALU_DEP_1)
	v_rcp_f64_e32 v[42:43], v[40:41]
	s_waitcnt_depctr 0xfff
	v_fma_f64 v[44:45], -v[40:41], v[42:43], 1.0
	v_fma_f64 v[42:43], v[42:43], v[44:45], v[42:43]
	s_delay_alu instid0(VALU_DEP_1) | instskip(NEXT) | instid1(VALU_DEP_1)
	v_fma_f64 v[44:45], -v[40:41], v[42:43], 1.0
	v_fma_f64 v[42:43], v[42:43], v[44:45], v[42:43]
	s_delay_alu instid0(VALU_DEP_1) | instskip(NEXT) | instid1(VALU_DEP_1)
	v_mul_f64 v[44:45], v[46:47], v[42:43]
	v_fma_f64 v[40:41], -v[40:41], v[44:45], v[46:47]
	s_delay_alu instid0(VALU_DEP_1) | instskip(NEXT) | instid1(VALU_DEP_1)
	v_div_fmas_f64 v[40:41], v[40:41], v[42:43], v[44:45]
	v_div_fixup_f64 v[40:41], v[40:41], v[122:123], v[120:121]
	s_delay_alu instid0(VALU_DEP_1) | instskip(NEXT) | instid1(VALU_DEP_1)
	v_fma_f64 v[42:43], v[120:121], v[40:41], v[122:123]
	v_div_scale_f64 v[44:45], null, v[42:43], v[42:43], 1.0
	s_delay_alu instid0(VALU_DEP_1) | instskip(SKIP_2) | instid1(VALU_DEP_1)
	v_rcp_f64_e32 v[46:47], v[44:45]
	s_waitcnt_depctr 0xfff
	v_fma_f64 v[92:93], -v[44:45], v[46:47], 1.0
	v_fma_f64 v[46:47], v[46:47], v[92:93], v[46:47]
	s_delay_alu instid0(VALU_DEP_1) | instskip(NEXT) | instid1(VALU_DEP_1)
	v_fma_f64 v[92:93], -v[44:45], v[46:47], 1.0
	v_fma_f64 v[46:47], v[46:47], v[92:93], v[46:47]
	v_div_scale_f64 v[92:93], vcc_lo, 1.0, v[42:43], 1.0
	s_delay_alu instid0(VALU_DEP_1) | instskip(NEXT) | instid1(VALU_DEP_1)
	v_mul_f64 v[94:95], v[92:93], v[46:47]
	v_fma_f64 v[44:45], -v[44:45], v[94:95], v[92:93]
	s_delay_alu instid0(VALU_DEP_1) | instskip(NEXT) | instid1(VALU_DEP_1)
	v_div_fmas_f64 v[44:45], v[44:45], v[46:47], v[94:95]
	v_div_fixup_f64 v[122:123], v[44:45], v[42:43], 1.0
	s_delay_alu instid0(VALU_DEP_1)
	v_mul_f64 v[120:121], v[40:41], v[122:123]
	v_xor_b32_e32 v123, 0x80000000, v123
.LBB58_595:
	s_and_not1_saveexec_b32 s2, s2
	s_cbranch_execz .LBB58_597
; %bb.596:
	s_delay_alu instid0(VALU_DEP_1) | instskip(SKIP_1) | instid1(VALU_DEP_2)
	v_div_scale_f64 v[40:41], null, v[120:121], v[120:121], v[122:123]
	v_div_scale_f64 v[46:47], vcc_lo, v[122:123], v[120:121], v[122:123]
	v_rcp_f64_e32 v[42:43], v[40:41]
	s_waitcnt_depctr 0xfff
	v_fma_f64 v[44:45], -v[40:41], v[42:43], 1.0
	s_delay_alu instid0(VALU_DEP_1) | instskip(NEXT) | instid1(VALU_DEP_1)
	v_fma_f64 v[42:43], v[42:43], v[44:45], v[42:43]
	v_fma_f64 v[44:45], -v[40:41], v[42:43], 1.0
	s_delay_alu instid0(VALU_DEP_1) | instskip(NEXT) | instid1(VALU_DEP_1)
	v_fma_f64 v[42:43], v[42:43], v[44:45], v[42:43]
	v_mul_f64 v[44:45], v[46:47], v[42:43]
	s_delay_alu instid0(VALU_DEP_1) | instskip(NEXT) | instid1(VALU_DEP_1)
	v_fma_f64 v[40:41], -v[40:41], v[44:45], v[46:47]
	v_div_fmas_f64 v[40:41], v[40:41], v[42:43], v[44:45]
	s_delay_alu instid0(VALU_DEP_1) | instskip(NEXT) | instid1(VALU_DEP_1)
	v_div_fixup_f64 v[40:41], v[40:41], v[120:121], v[122:123]
	v_fma_f64 v[42:43], v[122:123], v[40:41], v[120:121]
	s_delay_alu instid0(VALU_DEP_1) | instskip(NEXT) | instid1(VALU_DEP_1)
	v_div_scale_f64 v[44:45], null, v[42:43], v[42:43], 1.0
	v_rcp_f64_e32 v[46:47], v[44:45]
	s_waitcnt_depctr 0xfff
	v_fma_f64 v[92:93], -v[44:45], v[46:47], 1.0
	s_delay_alu instid0(VALU_DEP_1) | instskip(NEXT) | instid1(VALU_DEP_1)
	v_fma_f64 v[46:47], v[46:47], v[92:93], v[46:47]
	v_fma_f64 v[92:93], -v[44:45], v[46:47], 1.0
	s_delay_alu instid0(VALU_DEP_1) | instskip(SKIP_1) | instid1(VALU_DEP_1)
	v_fma_f64 v[46:47], v[46:47], v[92:93], v[46:47]
	v_div_scale_f64 v[92:93], vcc_lo, 1.0, v[42:43], 1.0
	v_mul_f64 v[94:95], v[92:93], v[46:47]
	s_delay_alu instid0(VALU_DEP_1) | instskip(NEXT) | instid1(VALU_DEP_1)
	v_fma_f64 v[44:45], -v[44:45], v[94:95], v[92:93]
	v_div_fmas_f64 v[44:45], v[44:45], v[46:47], v[94:95]
	s_delay_alu instid0(VALU_DEP_1) | instskip(NEXT) | instid1(VALU_DEP_1)
	v_div_fixup_f64 v[120:121], v[44:45], v[42:43], 1.0
	v_mul_f64 v[122:123], v[40:41], -v[120:121]
.LBB58_597:
	s_or_b32 exec_lo, exec_lo, s2
.LBB58_598:
	s_delay_alu instid0(SALU_CYCLE_1) | instskip(NEXT) | instid1(SALU_CYCLE_1)
	s_or_b32 exec_lo, exec_lo, s3
	s_mov_b32 s2, exec_lo
	v_cmpx_ne_u32_e64 v146, v128
	s_xor_b32 s2, exec_lo, s2
	s_cbranch_execz .LBB58_604
; %bb.599:
	s_mov_b32 s3, exec_lo
	v_cmpx_eq_u32_e32 28, v146
	s_cbranch_execz .LBB58_603
; %bb.600:
	v_cmp_ne_u32_e32 vcc_lo, 28, v128
	s_xor_b32 s6, s4, -1
	s_delay_alu instid0(SALU_CYCLE_1) | instskip(NEXT) | instid1(SALU_CYCLE_1)
	s_and_b32 s7, s6, vcc_lo
	s_and_saveexec_b32 s6, s7
	s_cbranch_execz .LBB58_602
; %bb.601:
	v_ashrrev_i32_e32 v129, 31, v128
	s_delay_alu instid0(VALU_DEP_1) | instskip(NEXT) | instid1(VALU_DEP_1)
	v_lshlrev_b64 v[40:41], 2, v[128:129]
	v_add_co_u32 v40, vcc_lo, v253, v40
	s_delay_alu instid0(VALU_DEP_2)
	v_add_co_ci_u32_e32 v41, vcc_lo, v254, v41, vcc_lo
	s_clause 0x1
	flat_load_b32 v42, v[40:41]
	flat_load_b32 v43, v[253:254] offset:112
	s_waitcnt vmcnt(1) lgkmcnt(1)
	flat_store_b32 v[253:254], v42 offset:112
	s_waitcnt vmcnt(0) lgkmcnt(1)
	flat_store_b32 v[40:41], v43
.LBB58_602:
	s_or_b32 exec_lo, exec_lo, s6
	v_mov_b32_e32 v146, v128
	v_mov_b32_e32 v82, v128
.LBB58_603:
	s_or_b32 exec_lo, exec_lo, s3
.LBB58_604:
	s_and_not1_saveexec_b32 s2, s2
	s_cbranch_execz .LBB58_606
; %bb.605:
	v_mov_b32_e32 v146, 28
	ds_store_2addr_b64 v144, v[0:1], v[2:3] offset0:58 offset1:59
.LBB58_606:
	s_or_b32 exec_lo, exec_lo, s2
	s_delay_alu instid0(SALU_CYCLE_1)
	s_mov_b32 s2, exec_lo
	s_waitcnt lgkmcnt(0)
	s_waitcnt_vscnt null, 0x0
	s_barrier
	buffer_gl0_inv
	v_cmpx_lt_i32_e32 28, v146
	s_cbranch_execz .LBB58_608
; %bb.607:
	v_mul_f64 v[40:41], v[120:121], v[221:222]
	v_mul_f64 v[6:7], v[122:123], v[221:222]
	ds_load_2addr_b64 v[128:131], v144 offset0:58 offset1:59
	v_fma_f64 v[40:41], v[122:123], v[219:220], v[40:41]
	v_fma_f64 v[219:220], v[120:121], v[219:220], -v[6:7]
	s_waitcnt lgkmcnt(0)
	s_delay_alu instid0(VALU_DEP_2) | instskip(SKIP_2) | instid1(VALU_DEP_3)
	v_mul_f64 v[6:7], v[130:131], v[40:41]
	v_mul_f64 v[42:43], v[128:129], v[40:41]
	v_dual_mov_b32 v222, v41 :: v_dual_mov_b32 v221, v40
	v_fma_f64 v[6:7], v[128:129], v[219:220], -v[6:7]
	s_delay_alu instid0(VALU_DEP_3) | instskip(NEXT) | instid1(VALU_DEP_2)
	v_fma_f64 v[42:43], v[130:131], v[219:220], v[42:43]
	v_add_f64 v[0:1], v[0:1], -v[6:7]
	s_delay_alu instid0(VALU_DEP_2)
	v_add_f64 v[2:3], v[2:3], -v[42:43]
.LBB58_608:
	s_or_b32 exec_lo, exec_lo, s2
	v_lshl_add_u32 v40, v146, 4, v144
	s_barrier
	buffer_gl0_inv
	v_mov_b32_e32 v128, 29
	ds_store_2addr_b64 v40, v[0:1], v[2:3] offset1:1
	s_waitcnt lgkmcnt(0)
	s_barrier
	buffer_gl0_inv
	ds_load_2addr_b64 v[120:123], v144 offset0:58 offset1:59
	s_cmp_lt_i32 s5, 31
	s_cbranch_scc1 .LBB58_611
; %bb.609:
	v_add3_u32 v129, v80, 0, 0x1e0
	v_mov_b32_e32 v128, 29
	s_mov_b32 s6, 30
	s_set_inst_prefetch_distance 0x1
	.p2align	6
.LBB58_610:                             ; =>This Inner Loop Header: Depth=1
	ds_load_2addr_b64 v[130:133], v129 offset1:1
	s_waitcnt lgkmcnt(1)
	v_cmp_gt_f64_e32 vcc_lo, 0, v[120:121]
	v_xor_b32_e32 v40, 0x80000000, v121
	v_cmp_gt_f64_e64 s2, 0, v[122:123]
	v_xor_b32_e32 v42, 0x80000000, v123
	v_add_nc_u32_e32 v129, 16, v129
	s_waitcnt lgkmcnt(0)
	v_cmp_gt_f64_e64 s3, 0, v[130:131]
	v_mov_b32_e32 v44, v130
	v_dual_mov_b32 v46, v132 :: v_dual_cndmask_b32 v41, v121, v40
	v_xor_b32_e32 v40, 0x80000000, v131
	v_cndmask_b32_e64 v43, v123, v42, s2
	v_xor_b32_e32 v42, 0x80000000, v133
	s_delay_alu instid0(VALU_DEP_3) | instskip(SKIP_2) | instid1(VALU_DEP_2)
	v_cndmask_b32_e64 v45, v131, v40, s3
	v_cmp_gt_f64_e64 s3, 0, v[132:133]
	v_cndmask_b32_e32 v40, v120, v120, vcc_lo
	v_cndmask_b32_e64 v47, v133, v42, s3
	v_cndmask_b32_e64 v42, v122, v122, s2
	s_delay_alu instid0(VALU_DEP_2) | instskip(NEXT) | instid1(VALU_DEP_2)
	v_add_f64 v[44:45], v[44:45], v[46:47]
	v_add_f64 v[40:41], v[40:41], v[42:43]
	s_delay_alu instid0(VALU_DEP_1)
	v_cmp_lt_f64_e32 vcc_lo, v[40:41], v[44:45]
	v_cndmask_b32_e32 v123, v123, v133, vcc_lo
	v_dual_cndmask_b32 v121, v121, v131 :: v_dual_cndmask_b32 v120, v120, v130
	v_cndmask_b32_e32 v122, v122, v132, vcc_lo
	v_cndmask_b32_e64 v128, v128, s6, vcc_lo
	s_add_i32 s6, s6, 1
	s_delay_alu instid0(SALU_CYCLE_1)
	s_cmp_lg_u32 s5, s6
	s_cbranch_scc1 .LBB58_610
.LBB58_611:
	s_set_inst_prefetch_distance 0x2
	s_waitcnt lgkmcnt(0)
	v_cmp_eq_f64_e32 vcc_lo, 0, v[120:121]
	v_cmp_eq_f64_e64 s2, 0, v[122:123]
	s_delay_alu instid0(VALU_DEP_1) | instskip(NEXT) | instid1(SALU_CYCLE_1)
	s_and_b32 s2, vcc_lo, s2
	s_and_saveexec_b32 s3, s2
	s_delay_alu instid0(SALU_CYCLE_1)
	s_xor_b32 s2, exec_lo, s3
; %bb.612:
	v_cmp_ne_u32_e32 vcc_lo, 0, v83
	v_cndmask_b32_e32 v83, 30, v83, vcc_lo
; %bb.613:
	s_and_not1_saveexec_b32 s3, s2
	s_cbranch_execz .LBB58_619
; %bb.614:
	v_cmp_gt_f64_e32 vcc_lo, 0, v[120:121]
	v_cmp_gt_f64_e64 s2, 0, v[122:123]
	v_xor_b32_e32 v40, 0x80000000, v121
	v_xor_b32_e32 v42, 0x80000000, v123
	s_delay_alu instid0(VALU_DEP_2) | instskip(NEXT) | instid1(VALU_DEP_2)
	v_cndmask_b32_e32 v41, v121, v40, vcc_lo
	v_cndmask_b32_e64 v43, v123, v42, s2
	v_cndmask_b32_e32 v40, v120, v120, vcc_lo
	v_cndmask_b32_e64 v42, v122, v122, s2
	s_mov_b32 s2, exec_lo
	s_delay_alu instid0(VALU_DEP_1)
	v_cmpx_ngt_f64_e32 v[40:41], v[42:43]
	s_xor_b32 s2, exec_lo, s2
	s_cbranch_execz .LBB58_616
; %bb.615:
	v_div_scale_f64 v[40:41], null, v[122:123], v[122:123], v[120:121]
	v_div_scale_f64 v[46:47], vcc_lo, v[120:121], v[122:123], v[120:121]
	s_delay_alu instid0(VALU_DEP_2) | instskip(SKIP_2) | instid1(VALU_DEP_1)
	v_rcp_f64_e32 v[42:43], v[40:41]
	s_waitcnt_depctr 0xfff
	v_fma_f64 v[44:45], -v[40:41], v[42:43], 1.0
	v_fma_f64 v[42:43], v[42:43], v[44:45], v[42:43]
	s_delay_alu instid0(VALU_DEP_1) | instskip(NEXT) | instid1(VALU_DEP_1)
	v_fma_f64 v[44:45], -v[40:41], v[42:43], 1.0
	v_fma_f64 v[42:43], v[42:43], v[44:45], v[42:43]
	s_delay_alu instid0(VALU_DEP_1) | instskip(NEXT) | instid1(VALU_DEP_1)
	v_mul_f64 v[44:45], v[46:47], v[42:43]
	v_fma_f64 v[40:41], -v[40:41], v[44:45], v[46:47]
	s_delay_alu instid0(VALU_DEP_1) | instskip(NEXT) | instid1(VALU_DEP_1)
	v_div_fmas_f64 v[40:41], v[40:41], v[42:43], v[44:45]
	v_div_fixup_f64 v[40:41], v[40:41], v[122:123], v[120:121]
	s_delay_alu instid0(VALU_DEP_1) | instskip(NEXT) | instid1(VALU_DEP_1)
	v_fma_f64 v[42:43], v[120:121], v[40:41], v[122:123]
	v_div_scale_f64 v[44:45], null, v[42:43], v[42:43], 1.0
	s_delay_alu instid0(VALU_DEP_1) | instskip(SKIP_2) | instid1(VALU_DEP_1)
	v_rcp_f64_e32 v[46:47], v[44:45]
	s_waitcnt_depctr 0xfff
	v_fma_f64 v[92:93], -v[44:45], v[46:47], 1.0
	v_fma_f64 v[46:47], v[46:47], v[92:93], v[46:47]
	s_delay_alu instid0(VALU_DEP_1) | instskip(NEXT) | instid1(VALU_DEP_1)
	v_fma_f64 v[92:93], -v[44:45], v[46:47], 1.0
	v_fma_f64 v[46:47], v[46:47], v[92:93], v[46:47]
	v_div_scale_f64 v[92:93], vcc_lo, 1.0, v[42:43], 1.0
	s_delay_alu instid0(VALU_DEP_1) | instskip(NEXT) | instid1(VALU_DEP_1)
	v_mul_f64 v[94:95], v[92:93], v[46:47]
	v_fma_f64 v[44:45], -v[44:45], v[94:95], v[92:93]
	s_delay_alu instid0(VALU_DEP_1) | instskip(NEXT) | instid1(VALU_DEP_1)
	v_div_fmas_f64 v[44:45], v[44:45], v[46:47], v[94:95]
	v_div_fixup_f64 v[122:123], v[44:45], v[42:43], 1.0
	s_delay_alu instid0(VALU_DEP_1)
	v_mul_f64 v[120:121], v[40:41], v[122:123]
	v_xor_b32_e32 v123, 0x80000000, v123
.LBB58_616:
	s_and_not1_saveexec_b32 s2, s2
	s_cbranch_execz .LBB58_618
; %bb.617:
	s_delay_alu instid0(VALU_DEP_1) | instskip(SKIP_1) | instid1(VALU_DEP_2)
	v_div_scale_f64 v[40:41], null, v[120:121], v[120:121], v[122:123]
	v_div_scale_f64 v[46:47], vcc_lo, v[122:123], v[120:121], v[122:123]
	v_rcp_f64_e32 v[42:43], v[40:41]
	s_waitcnt_depctr 0xfff
	v_fma_f64 v[44:45], -v[40:41], v[42:43], 1.0
	s_delay_alu instid0(VALU_DEP_1) | instskip(NEXT) | instid1(VALU_DEP_1)
	v_fma_f64 v[42:43], v[42:43], v[44:45], v[42:43]
	v_fma_f64 v[44:45], -v[40:41], v[42:43], 1.0
	s_delay_alu instid0(VALU_DEP_1) | instskip(NEXT) | instid1(VALU_DEP_1)
	v_fma_f64 v[42:43], v[42:43], v[44:45], v[42:43]
	v_mul_f64 v[44:45], v[46:47], v[42:43]
	s_delay_alu instid0(VALU_DEP_1) | instskip(NEXT) | instid1(VALU_DEP_1)
	v_fma_f64 v[40:41], -v[40:41], v[44:45], v[46:47]
	v_div_fmas_f64 v[40:41], v[40:41], v[42:43], v[44:45]
	s_delay_alu instid0(VALU_DEP_1) | instskip(NEXT) | instid1(VALU_DEP_1)
	v_div_fixup_f64 v[40:41], v[40:41], v[120:121], v[122:123]
	v_fma_f64 v[42:43], v[122:123], v[40:41], v[120:121]
	s_delay_alu instid0(VALU_DEP_1) | instskip(NEXT) | instid1(VALU_DEP_1)
	v_div_scale_f64 v[44:45], null, v[42:43], v[42:43], 1.0
	v_rcp_f64_e32 v[46:47], v[44:45]
	s_waitcnt_depctr 0xfff
	v_fma_f64 v[92:93], -v[44:45], v[46:47], 1.0
	s_delay_alu instid0(VALU_DEP_1) | instskip(NEXT) | instid1(VALU_DEP_1)
	v_fma_f64 v[46:47], v[46:47], v[92:93], v[46:47]
	v_fma_f64 v[92:93], -v[44:45], v[46:47], 1.0
	s_delay_alu instid0(VALU_DEP_1) | instskip(SKIP_1) | instid1(VALU_DEP_1)
	v_fma_f64 v[46:47], v[46:47], v[92:93], v[46:47]
	v_div_scale_f64 v[92:93], vcc_lo, 1.0, v[42:43], 1.0
	v_mul_f64 v[94:95], v[92:93], v[46:47]
	s_delay_alu instid0(VALU_DEP_1) | instskip(NEXT) | instid1(VALU_DEP_1)
	v_fma_f64 v[44:45], -v[44:45], v[94:95], v[92:93]
	v_div_fmas_f64 v[44:45], v[44:45], v[46:47], v[94:95]
	s_delay_alu instid0(VALU_DEP_1) | instskip(NEXT) | instid1(VALU_DEP_1)
	v_div_fixup_f64 v[120:121], v[44:45], v[42:43], 1.0
	v_mul_f64 v[122:123], v[40:41], -v[120:121]
.LBB58_618:
	s_or_b32 exec_lo, exec_lo, s2
.LBB58_619:
	s_delay_alu instid0(SALU_CYCLE_1)
	s_or_b32 exec_lo, exec_lo, s3
	v_mov_b32_e32 v129, 29
	s_mov_b32 s2, exec_lo
	v_cmpx_ne_u32_e64 v146, v128
	s_cbranch_execz .LBB58_625
; %bb.620:
	s_mov_b32 s3, exec_lo
	v_cmpx_eq_u32_e32 29, v146
	s_cbranch_execz .LBB58_624
; %bb.621:
	v_cmp_ne_u32_e32 vcc_lo, 29, v128
	s_xor_b32 s4, s4, -1
	s_delay_alu instid0(SALU_CYCLE_1) | instskip(NEXT) | instid1(SALU_CYCLE_1)
	s_and_b32 s5, s4, vcc_lo
	s_and_saveexec_b32 s4, s5
	s_cbranch_execz .LBB58_623
; %bb.622:
	v_ashrrev_i32_e32 v129, 31, v128
	s_delay_alu instid0(VALU_DEP_1) | instskip(NEXT) | instid1(VALU_DEP_1)
	v_lshlrev_b64 v[40:41], 2, v[128:129]
	v_add_co_u32 v40, vcc_lo, v253, v40
	s_delay_alu instid0(VALU_DEP_2)
	v_add_co_ci_u32_e32 v41, vcc_lo, v254, v41, vcc_lo
	s_clause 0x1
	flat_load_b32 v42, v[40:41]
	flat_load_b32 v43, v[253:254] offset:116
	s_waitcnt vmcnt(1) lgkmcnt(1)
	flat_store_b32 v[253:254], v42 offset:116
	s_waitcnt vmcnt(0) lgkmcnt(1)
	flat_store_b32 v[40:41], v43
.LBB58_623:
	s_or_b32 exec_lo, exec_lo, s4
	v_mov_b32_e32 v146, v128
	v_mov_b32_e32 v82, v128
.LBB58_624:
	s_or_b32 exec_lo, exec_lo, s3
	s_delay_alu instid0(VALU_DEP_2)
	v_mov_b32_e32 v129, v146
.LBB58_625:
	s_or_b32 exec_lo, exec_lo, s2
	s_delay_alu instid0(SALU_CYCLE_1)
	s_mov_b32 s2, exec_lo
	s_waitcnt lgkmcnt(0)
	s_waitcnt_vscnt null, 0x0
	s_barrier
	buffer_gl0_inv
	v_cmpx_lt_i32_e32 29, v129
; %bb.626:
	v_mul_f64 v[40:41], v[122:123], v[2:3]
	v_mul_f64 v[2:3], v[120:121], v[2:3]
	s_delay_alu instid0(VALU_DEP_2) | instskip(NEXT) | instid1(VALU_DEP_2)
	v_fma_f64 v[40:41], v[120:121], v[0:1], -v[40:41]
	v_fma_f64 v[2:3], v[122:123], v[0:1], v[2:3]
	s_delay_alu instid0(VALU_DEP_2)
	v_dual_mov_b32 v0, v40 :: v_dual_mov_b32 v1, v41
; %bb.627:
	s_or_b32 exec_lo, exec_lo, s2
	s_load_b256 s[0:7], s[0:1], 0x28
	v_ashrrev_i32_e32 v130, 31, v129
	s_mov_b32 s9, exec_lo
	s_waitcnt lgkmcnt(0)
	s_barrier
	buffer_gl0_inv
	v_cmpx_gt_i32_e32 30, v129
	s_cbranch_execz .LBB58_629
; %bb.628:
	scratch_load_b64 v[4:5], off, off offset:48 ; 8-byte Folded Reload
	s_lshl_b64 s[2:3], s[2:3], 2
	s_delay_alu instid0(SALU_CYCLE_1)
	s_add_u32 s0, s2, s0
	s_addc_u32 s1, s3, s1
	s_waitcnt vmcnt(0)
	v_mul_lo_u32 v42, v5, s4
	v_mul_lo_u32 v43, v4, s5
	v_mad_u64_u32 v[40:41], null, v4, s4, 0
	s_delay_alu instid0(VALU_DEP_1) | instskip(SKIP_1) | instid1(VALU_DEP_2)
	v_add3_u32 v41, v41, v43, v42
	v_lshlrev_b64 v[42:43], 2, v[129:130]
	v_lshlrev_b64 v[40:41], 2, v[40:41]
	s_delay_alu instid0(VALU_DEP_1) | instskip(NEXT) | instid1(VALU_DEP_2)
	v_add_co_u32 v40, vcc_lo, s0, v40
	v_add_co_ci_u32_e32 v41, vcc_lo, s1, v41, vcc_lo
	s_delay_alu instid0(VALU_DEP_2) | instskip(NEXT) | instid1(VALU_DEP_2)
	v_add_co_u32 v40, vcc_lo, v40, v42
	v_add_co_ci_u32_e32 v41, vcc_lo, v41, v43, vcc_lo
	v_add3_u32 v42, v82, s13, 1
	global_store_b32 v[40:41], v42, off
.LBB58_629:
	s_or_b32 exec_lo, exec_lo, s9
	s_delay_alu instid0(SALU_CYCLE_1)
	s_mov_b32 s1, exec_lo
	v_cmpx_eq_u32_e32 0, v129
	s_cbranch_execz .LBB58_632
; %bb.630:
	scratch_load_b64 v[4:5], off, off offset:48 ; 8-byte Folded Reload
	v_cmp_lt_i32_e64 s0, 0, v83
	s_waitcnt vmcnt(0)
	v_lshlrev_b64 v[40:41], 2, v[4:5]
	s_delay_alu instid0(VALU_DEP_1) | instskip(NEXT) | instid1(VALU_DEP_2)
	v_add_co_u32 v120, vcc_lo, s6, v40
	v_add_co_ci_u32_e32 v121, vcc_lo, s7, v41, vcc_lo
	global_load_b32 v40, v[120:121], off
	s_waitcnt vmcnt(0)
	v_cmp_eq_u32_e32 vcc_lo, 0, v40
	s_and_b32 s0, vcc_lo, s0
	s_delay_alu instid0(SALU_CYCLE_1)
	s_and_b32 exec_lo, exec_lo, s0
	s_cbranch_execz .LBB58_632
; %bb.631:
	v_add_nc_u32_e32 v40, s13, v83
	global_store_b32 v[120:121], v40, off
.LBB58_632:
	s_or_b32 exec_lo, exec_lo, s1
	s_clause 0x1
	scratch_load_b128 v[60:63], off, off offset:32
	scratch_load_b128 v[4:7], off, off offset:16
	v_add3_u32 v40, s8, s8, v129
	v_lshlrev_b64 v[42:43], 4, v[129:130]
	s_delay_alu instid0(VALU_DEP_2) | instskip(SKIP_1) | instid1(VALU_DEP_3)
	v_ashrrev_i32_e32 v41, 31, v40
	v_add_nc_u32_e32 v44, s8, v40
	v_add_co_u32 v42, vcc_lo, v145, v42
	s_delay_alu instid0(VALU_DEP_4) | instskip(NEXT) | instid1(VALU_DEP_4)
	v_add_co_ci_u32_e32 v43, vcc_lo, v255, v43, vcc_lo
	v_lshlrev_b64 v[40:41], 4, v[40:41]
	s_delay_alu instid0(VALU_DEP_4) | instskip(NEXT) | instid1(VALU_DEP_4)
	v_add_nc_u32_e32 v46, s8, v44
	v_add_co_u32 v92, vcc_lo, v42, s10
	v_ashrrev_i32_e32 v45, 31, v44
	v_add_co_ci_u32_e32 v93, vcc_lo, s11, v43, vcc_lo
	v_add_co_u32 v40, vcc_lo, v145, v40
	v_ashrrev_i32_e32 v47, 31, v46
	v_add_co_ci_u32_e32 v41, vcc_lo, v255, v41, vcc_lo
	s_waitcnt vmcnt(1)
	global_store_b128 v[42:43], v[60:63], off
	v_lshlrev_b64 v[42:43], 4, v[44:45]
	s_waitcnt vmcnt(0)
	s_clause 0x1
	global_store_b128 v[92:93], v[4:7], off
	global_store_b128 v[40:41], v[84:87], off
	v_lshlrev_b64 v[40:41], 4, v[46:47]
	v_add_nc_u32_e32 v44, s8, v46
	v_add_co_u32 v42, vcc_lo, v145, v42
	v_add_co_ci_u32_e32 v43, vcc_lo, v255, v43, vcc_lo
	s_delay_alu instid0(VALU_DEP_4)
	v_add_co_u32 v40, vcc_lo, v145, v40
	v_add_co_ci_u32_e32 v41, vcc_lo, v255, v41, vcc_lo
	s_clause 0x1
	global_store_b128 v[42:43], v[96:99], off
	global_store_b128 v[40:41], v[72:75], off
	scratch_load_b128 v[4:7], off, off      ; 16-byte Folded Reload
	v_add_nc_u32_e32 v46, s8, v44
	v_ashrrev_i32_e32 v45, 31, v44
	s_delay_alu instid0(VALU_DEP_2) | instskip(SKIP_1) | instid1(VALU_DEP_3)
	v_add_nc_u32_e32 v92, s8, v46
	v_ashrrev_i32_e32 v47, 31, v46
	v_lshlrev_b64 v[44:45], 4, v[44:45]
	s_delay_alu instid0(VALU_DEP_3) | instskip(NEXT) | instid1(VALU_DEP_3)
	v_ashrrev_i32_e32 v93, 31, v92
	v_lshlrev_b64 v[40:41], 4, v[46:47]
	v_add_nc_u32_e32 v46, s8, v92
	s_delay_alu instid0(VALU_DEP_4)
	v_add_co_u32 v42, vcc_lo, v145, v44
	v_add_co_ci_u32_e32 v43, vcc_lo, v255, v45, vcc_lo
	v_lshlrev_b64 v[44:45], 4, v[92:93]
	v_add_co_u32 v40, vcc_lo, v145, v40
	v_add_co_ci_u32_e32 v41, vcc_lo, v255, v41, vcc_lo
	v_add_nc_u32_e32 v92, s8, v46
	s_delay_alu instid0(VALU_DEP_4) | instskip(SKIP_2) | instid1(VALU_DEP_4)
	v_add_co_u32 v44, vcc_lo, v145, v44
	v_add_co_ci_u32_e32 v45, vcc_lo, v255, v45, vcc_lo
	v_ashrrev_i32_e32 v47, 31, v46
	v_ashrrev_i32_e32 v93, 31, v92
	s_waitcnt vmcnt(0)
	s_clause 0x2
	global_store_b128 v[42:43], v[4:7], off
	global_store_b128 v[40:41], v[233:236], off
	;; [unrolled: 1-line block ×3, first 2 shown]
	v_add_nc_u32_e32 v44, s8, v92
	v_lshlrev_b64 v[42:43], 4, v[46:47]
	v_lshlrev_b64 v[40:41], 4, v[92:93]
	s_delay_alu instid0(VALU_DEP_3) | instskip(SKIP_1) | instid1(VALU_DEP_4)
	v_add_nc_u32_e32 v46, s8, v44
	v_ashrrev_i32_e32 v45, 31, v44
	v_add_co_u32 v42, vcc_lo, v145, v42
	v_add_co_ci_u32_e32 v43, vcc_lo, v255, v43, vcc_lo
	s_delay_alu instid0(VALU_DEP_4)
	v_add_nc_u32_e32 v92, s8, v46
	v_add_co_u32 v40, vcc_lo, v145, v40
	v_ashrrev_i32_e32 v47, 31, v46
	v_lshlrev_b64 v[44:45], 4, v[44:45]
	v_add_co_ci_u32_e32 v41, vcc_lo, v255, v41, vcc_lo
	v_ashrrev_i32_e32 v93, 31, v92
	s_clause 0x1
	global_store_b128 v[42:43], v[88:91], off
	global_store_b128 v[40:41], v[225:228], off
	v_lshlrev_b64 v[40:41], 4, v[46:47]
	v_add_co_u32 v42, vcc_lo, v145, v44
	v_add_co_ci_u32_e32 v43, vcc_lo, v255, v45, vcc_lo
	v_lshlrev_b64 v[44:45], 4, v[92:93]
	v_add_nc_u32_e32 v46, s8, v92
	v_add_co_u32 v40, vcc_lo, v145, v40
	v_add_co_ci_u32_e32 v41, vcc_lo, v255, v41, vcc_lo
	s_delay_alu instid0(VALU_DEP_4) | instskip(NEXT) | instid1(VALU_DEP_4)
	v_add_co_u32 v44, vcc_lo, v145, v44
	v_add_nc_u32_e32 v84, s8, v46
	v_add_co_ci_u32_e32 v45, vcc_lo, v255, v45, vcc_lo
	v_ashrrev_i32_e32 v47, 31, v46
	global_store_b128 v[42:43], v[229:232], off
	v_ashrrev_i32_e32 v85, 31, v84
	s_clause 0x1
	global_store_b128 v[40:41], v[237:240], off
	global_store_b128 v[44:45], v[249:252], off
	v_add_nc_u32_e32 v44, s8, v84
	v_lshlrev_b64 v[42:43], 4, v[46:47]
	v_lshlrev_b64 v[40:41], 4, v[84:85]
	s_delay_alu instid0(VALU_DEP_3) | instskip(SKIP_1) | instid1(VALU_DEP_4)
	v_add_nc_u32_e32 v46, s8, v44
	v_ashrrev_i32_e32 v45, 31, v44
	v_add_co_u32 v42, vcc_lo, v145, v42
	v_add_co_ci_u32_e32 v43, vcc_lo, v255, v43, vcc_lo
	s_delay_alu instid0(VALU_DEP_4)
	v_add_nc_u32_e32 v68, s8, v46
	v_add_co_u32 v40, vcc_lo, v145, v40
	v_ashrrev_i32_e32 v47, 31, v46
	v_lshlrev_b64 v[44:45], 4, v[44:45]
	v_add_co_ci_u32_e32 v41, vcc_lo, v255, v41, vcc_lo
	v_ashrrev_i32_e32 v69, 31, v68
	s_clause 0x1
	global_store_b128 v[42:43], v[245:248], off
	global_store_b128 v[40:41], v[76:79], off
	v_lshlrev_b64 v[40:41], 4, v[46:47]
	v_add_co_u32 v42, vcc_lo, v145, v44
	v_add_co_ci_u32_e32 v43, vcc_lo, v255, v45, vcc_lo
	v_lshlrev_b64 v[44:45], 4, v[68:69]
	v_add_nc_u32_e32 v46, s8, v68
	v_add_co_u32 v40, vcc_lo, v145, v40
	v_add_co_ci_u32_e32 v41, vcc_lo, v255, v41, vcc_lo
	s_delay_alu instid0(VALU_DEP_4) | instskip(NEXT) | instid1(VALU_DEP_4)
	v_add_co_u32 v44, vcc_lo, v145, v44
	v_add_nc_u32_e32 v68, s8, v46
	v_add_co_ci_u32_e32 v45, vcc_lo, v255, v45, vcc_lo
	v_ashrrev_i32_e32 v47, 31, v46
	global_store_b128 v[42:43], v[64:67], off
	v_ashrrev_i32_e32 v69, 31, v68
	s_clause 0x1
	global_store_b128 v[40:41], v[241:244], off
	global_store_b128 v[44:45], v[56:59], off
	v_add_nc_u32_e32 v44, s8, v68
	v_lshlrev_b64 v[42:43], 4, v[46:47]
	v_lshlrev_b64 v[40:41], 4, v[68:69]
	s_delay_alu instid0(VALU_DEP_3) | instskip(SKIP_1) | instid1(VALU_DEP_4)
	v_add_nc_u32_e32 v46, s8, v44
	v_ashrrev_i32_e32 v45, 31, v44
	v_add_co_u32 v42, vcc_lo, v145, v42
	v_add_co_ci_u32_e32 v43, vcc_lo, v255, v43, vcc_lo
	s_delay_alu instid0(VALU_DEP_4)
	v_add_nc_u32_e32 v56, s8, v46
	v_add_co_u32 v40, vcc_lo, v145, v40
	v_ashrrev_i32_e32 v47, 31, v46
	v_lshlrev_b64 v[44:45], 4, v[44:45]
	v_add_co_ci_u32_e32 v41, vcc_lo, v255, v41, vcc_lo
	v_ashrrev_i32_e32 v57, 31, v56
	s_clause 0x1
	global_store_b128 v[42:43], v[52:55], off
	global_store_b128 v[40:41], v[48:51], off
	v_lshlrev_b64 v[40:41], 4, v[46:47]
	v_add_co_u32 v42, vcc_lo, v145, v44
	v_add_co_ci_u32_e32 v43, vcc_lo, v255, v45, vcc_lo
	v_lshlrev_b64 v[44:45], 4, v[56:57]
	v_add_nc_u32_e32 v46, s8, v56
	v_add_co_u32 v40, vcc_lo, v145, v40
	v_add_co_ci_u32_e32 v41, vcc_lo, v255, v41, vcc_lo
	s_delay_alu instid0(VALU_DEP_4) | instskip(NEXT) | instid1(VALU_DEP_4)
	v_add_co_u32 v44, vcc_lo, v145, v44
	v_add_nc_u32_e32 v48, s8, v46
	v_add_co_ci_u32_e32 v45, vcc_lo, v255, v45, vcc_lo
	v_ashrrev_i32_e32 v47, 31, v46
	s_clause 0x2
	global_store_b128 v[42:43], v[36:39], off
	global_store_b128 v[40:41], v[32:35], off
	;; [unrolled: 1-line block ×3, first 2 shown]
	v_add_nc_u32_e32 v30, s8, v48
	v_ashrrev_i32_e32 v49, 31, v48
	v_lshlrev_b64 v[36:37], 4, v[46:47]
	s_delay_alu instid0(VALU_DEP_3) | instskip(NEXT) | instid1(VALU_DEP_3)
	v_add_nc_u32_e32 v34, s8, v30
	v_lshlrev_b64 v[28:29], 4, v[48:49]
	v_ashrrev_i32_e32 v31, 31, v30
	s_delay_alu instid0(VALU_DEP_4) | instskip(NEXT) | instid1(VALU_DEP_4)
	v_add_co_u32 v32, vcc_lo, v145, v36
	v_add_nc_u32_e32 v36, s8, v34
	v_add_co_ci_u32_e32 v33, vcc_lo, v255, v37, vcc_lo
	v_add_co_u32 v28, vcc_lo, v145, v28
	v_add_co_ci_u32_e32 v29, vcc_lo, v255, v29, vcc_lo
	s_delay_alu instid0(VALU_DEP_4)
	v_add_nc_u32_e32 v22, s8, v36
	v_ashrrev_i32_e32 v35, 31, v34
	global_store_b128 v[32:33], v[24:27], off
	v_lshlrev_b64 v[24:25], 4, v[30:31]
	v_ashrrev_i32_e32 v37, 31, v36
	global_store_b128 v[28:29], v[140:143], off
	v_add_nc_u32_e32 v28, s8, v22
	v_lshlrev_b64 v[20:21], 4, v[34:35]
	v_ashrrev_i32_e32 v23, 31, v22
	v_add_co_u32 v24, vcc_lo, v145, v24
	v_lshlrev_b64 v[26:27], 4, v[36:37]
	v_ashrrev_i32_e32 v29, 31, v28
	v_add_co_ci_u32_e32 v25, vcc_lo, v255, v25, vcc_lo
	v_add_co_u32 v20, vcc_lo, v145, v20
	v_lshlrev_b64 v[22:23], 4, v[22:23]
	v_add_co_ci_u32_e32 v21, vcc_lo, v255, v21, vcc_lo
	v_add_co_u32 v26, vcc_lo, v145, v26
	v_lshlrev_b64 v[28:29], 4, v[28:29]
	v_add_co_ci_u32_e32 v27, vcc_lo, v255, v27, vcc_lo
	v_add_co_u32 v22, vcc_lo, v145, v22
	v_add_co_ci_u32_e32 v23, vcc_lo, v255, v23, vcc_lo
	s_delay_alu instid0(VALU_DEP_4)
	v_add_co_u32 v28, vcc_lo, v145, v28
	v_add_co_ci_u32_e32 v29, vcc_lo, v255, v29, vcc_lo
	s_clause 0x4
	global_store_b128 v[24:25], v[16:19], off
	global_store_b128 v[20:21], v[12:15], off
	global_store_b128 v[26:27], v[8:11], off
	global_store_b128 v[22:23], v[219:222], off
	global_store_b128 v[28:29], v[0:3], off
.LBB58_633:
	s_nop 0
	s_sendmsg sendmsg(MSG_DEALLOC_VGPRS)
	s_endpgm
	.section	.rodata,"a",@progbits
	.p2align	6, 0x0
	.amdhsa_kernel _ZN9rocsolver6v33100L18getf2_small_kernelILi30E19rocblas_complex_numIdEiiPKPS3_EEvT1_T3_lS7_lPS7_llPT2_S7_S7_S9_l
		.amdhsa_group_segment_fixed_size 0
		.amdhsa_private_segment_fixed_size 124
		.amdhsa_kernarg_size 352
		.amdhsa_user_sgpr_count 14
		.amdhsa_user_sgpr_dispatch_ptr 0
		.amdhsa_user_sgpr_queue_ptr 0
		.amdhsa_user_sgpr_kernarg_segment_ptr 1
		.amdhsa_user_sgpr_dispatch_id 0
		.amdhsa_user_sgpr_private_segment_size 0
		.amdhsa_wavefront_size32 1
		.amdhsa_uses_dynamic_stack 0
		.amdhsa_enable_private_segment 1
		.amdhsa_system_sgpr_workgroup_id_x 1
		.amdhsa_system_sgpr_workgroup_id_y 1
		.amdhsa_system_sgpr_workgroup_id_z 0
		.amdhsa_system_sgpr_workgroup_info 0
		.amdhsa_system_vgpr_workitem_id 1
		.amdhsa_next_free_vgpr 256
		.amdhsa_next_free_sgpr 16
		.amdhsa_reserve_vcc 1
		.amdhsa_float_round_mode_32 0
		.amdhsa_float_round_mode_16_64 0
		.amdhsa_float_denorm_mode_32 3
		.amdhsa_float_denorm_mode_16_64 3
		.amdhsa_dx10_clamp 1
		.amdhsa_ieee_mode 1
		.amdhsa_fp16_overflow 0
		.amdhsa_workgroup_processor_mode 1
		.amdhsa_memory_ordered 1
		.amdhsa_forward_progress 0
		.amdhsa_shared_vgpr_count 0
		.amdhsa_exception_fp_ieee_invalid_op 0
		.amdhsa_exception_fp_denorm_src 0
		.amdhsa_exception_fp_ieee_div_zero 0
		.amdhsa_exception_fp_ieee_overflow 0
		.amdhsa_exception_fp_ieee_underflow 0
		.amdhsa_exception_fp_ieee_inexact 0
		.amdhsa_exception_int_div_zero 0
	.end_amdhsa_kernel
	.section	.text._ZN9rocsolver6v33100L18getf2_small_kernelILi30E19rocblas_complex_numIdEiiPKPS3_EEvT1_T3_lS7_lPS7_llPT2_S7_S7_S9_l,"axG",@progbits,_ZN9rocsolver6v33100L18getf2_small_kernelILi30E19rocblas_complex_numIdEiiPKPS3_EEvT1_T3_lS7_lPS7_llPT2_S7_S7_S9_l,comdat
.Lfunc_end58:
	.size	_ZN9rocsolver6v33100L18getf2_small_kernelILi30E19rocblas_complex_numIdEiiPKPS3_EEvT1_T3_lS7_lPS7_llPT2_S7_S7_S9_l, .Lfunc_end58-_ZN9rocsolver6v33100L18getf2_small_kernelILi30E19rocblas_complex_numIdEiiPKPS3_EEvT1_T3_lS7_lPS7_llPT2_S7_S7_S9_l
                                        ; -- End function
	.section	.AMDGPU.csdata,"",@progbits
; Kernel info:
; codeLenInByte = 70144
; NumSgprs: 18
; NumVgprs: 256
; ScratchSize: 124
; MemoryBound: 0
; FloatMode: 240
; IeeeMode: 1
; LDSByteSize: 0 bytes/workgroup (compile time only)
; SGPRBlocks: 2
; VGPRBlocks: 31
; NumSGPRsForWavesPerEU: 18
; NumVGPRsForWavesPerEU: 256
; Occupancy: 5
; WaveLimiterHint : 1
; COMPUTE_PGM_RSRC2:SCRATCH_EN: 1
; COMPUTE_PGM_RSRC2:USER_SGPR: 14
; COMPUTE_PGM_RSRC2:TRAP_HANDLER: 0
; COMPUTE_PGM_RSRC2:TGID_X_EN: 1
; COMPUTE_PGM_RSRC2:TGID_Y_EN: 1
; COMPUTE_PGM_RSRC2:TGID_Z_EN: 0
; COMPUTE_PGM_RSRC2:TIDIG_COMP_CNT: 1
	.section	.text._ZN9rocsolver6v33100L23getf2_npvt_small_kernelILi30E19rocblas_complex_numIdEiiPKPS3_EEvT1_T3_lS7_lPT2_S7_S7_,"axG",@progbits,_ZN9rocsolver6v33100L23getf2_npvt_small_kernelILi30E19rocblas_complex_numIdEiiPKPS3_EEvT1_T3_lS7_lPT2_S7_S7_,comdat
	.globl	_ZN9rocsolver6v33100L23getf2_npvt_small_kernelILi30E19rocblas_complex_numIdEiiPKPS3_EEvT1_T3_lS7_lPT2_S7_S7_ ; -- Begin function _ZN9rocsolver6v33100L23getf2_npvt_small_kernelILi30E19rocblas_complex_numIdEiiPKPS3_EEvT1_T3_lS7_lPT2_S7_S7_
	.p2align	8
	.type	_ZN9rocsolver6v33100L23getf2_npvt_small_kernelILi30E19rocblas_complex_numIdEiiPKPS3_EEvT1_T3_lS7_lPT2_S7_S7_,@function
_ZN9rocsolver6v33100L23getf2_npvt_small_kernelILi30E19rocblas_complex_numIdEiiPKPS3_EEvT1_T3_lS7_lPT2_S7_S7_: ; @_ZN9rocsolver6v33100L23getf2_npvt_small_kernelILi30E19rocblas_complex_numIdEiiPKPS3_EEvT1_T3_lS7_lPT2_S7_S7_
; %bb.0:
	s_clause 0x1
	s_load_b32 s2, s[0:1], 0x44
	s_load_b64 s[8:9], s[0:1], 0x30
	v_bfe_u32 v120, v0, 10, 10
	s_waitcnt lgkmcnt(0)
	s_lshr_b32 s10, s2, 16
	s_mov_b32 s2, exec_lo
	s_delay_alu instid0(VALU_DEP_1) | instskip(NEXT) | instid1(VALU_DEP_1)
	v_mad_u64_u32 v[252:253], null, s15, s10, v[120:121]
	v_cmpx_gt_i32_e64 s8, v252
	s_cbranch_execz .LBB59_275
; %bb.1:
	s_clause 0x1
	s_load_b128 s[4:7], s[0:1], 0x8
	s_load_b32 s2, s[0:1], 0x18
	v_ashrrev_i32_e32 v253, 31, v252
	v_and_b32_e32 v240, 0x3ff, v0
	v_lshlrev_b32_e32 v121, 4, v120
	s_mulk_i32 s10, 0x1e0
	v_mad_u32_u24 v242, 0x1e0, v120, 0
	v_lshlrev_b64 v[1:2], 3, v[252:253]
	v_lshlrev_b32_e32 v59, 4, v240
	v_add3_u32 v241, 0, s10, v121
	s_waitcnt lgkmcnt(0)
	s_delay_alu instid0(VALU_DEP_3) | instskip(NEXT) | instid1(VALU_DEP_4)
	v_add_co_u32 v1, vcc_lo, s4, v1
	v_add_co_ci_u32_e32 v2, vcc_lo, s5, v2, vcc_lo
	v_add3_u32 v3, s2, s2, v240
	s_lshl_b64 s[6:7], s[6:7], 4
	s_ashr_i32 s3, s2, 31
	global_load_b64 v[1:2], v[1:2], off
	s_lshl_b64 s[4:5], s[2:3], 4
	v_add_nc_u32_e32 v5, s2, v3
	v_ashrrev_i32_e32 v4, 31, v3
	v_cmp_ne_u32_e64 s3, 0, v240
	s_delay_alu instid0(VALU_DEP_3) | instskip(SKIP_1) | instid1(VALU_DEP_4)
	v_add_nc_u32_e32 v7, s2, v5
	v_ashrrev_i32_e32 v6, 31, v5
	v_lshlrev_b64 v[3:4], 4, v[3:4]
	s_delay_alu instid0(VALU_DEP_3) | instskip(SKIP_1) | instid1(VALU_DEP_4)
	v_add_nc_u32_e32 v9, s2, v7
	v_ashrrev_i32_e32 v8, 31, v7
	v_lshlrev_b64 v[5:6], 4, v[5:6]
	;; [unrolled: 4-line block ×26, first 2 shown]
	v_cmp_eq_u32_e64 s2, 0, v240
	s_delay_alu instid0(VALU_DEP_4) | instskip(NEXT) | instid1(VALU_DEP_4)
	v_ashrrev_i32_e32 v58, 31, v57
	v_lshlrev_b64 v[55:56], 4, v[55:56]
	s_waitcnt vmcnt(0)
	v_add_co_u32 v60, vcc_lo, v1, s6
	v_add_co_ci_u32_e32 v2, vcc_lo, s7, v2, vcc_lo
	v_lshlrev_b64 v[0:1], 4, v[57:58]
	s_delay_alu instid0(VALU_DEP_3) | instskip(NEXT) | instid1(VALU_DEP_3)
	v_add_co_u32 v254, vcc_lo, v60, v59
	v_add_co_ci_u32_e32 v255, vcc_lo, 0, v2, vcc_lo
	v_add_co_u32 v83, vcc_lo, v60, v3
	v_add_co_ci_u32_e32 v84, vcc_lo, v2, v4, vcc_lo
	;; [unrolled: 2-line block ×30, first 2 shown]
	s_clause 0x19
	scratch_store_b64 off, v[83:84], off offset:232
	scratch_store_b64 off, v[79:80], off offset:224
	scratch_store_b64 off, v[81:82], off offset:216
	scratch_store_b64 off, v[77:78], off offset:192
	scratch_store_b64 off, v[75:76], off offset:184
	scratch_store_b64 off, v[73:74], off offset:176
	scratch_store_b64 off, v[71:72], off offset:168
	scratch_store_b64 off, v[69:70], off offset:160
	scratch_store_b64 off, v[67:68], off offset:152
	scratch_store_b64 off, v[65:66], off offset:144
	scratch_store_b64 off, v[63:64], off offset:136
	scratch_store_b64 off, v[61:62], off offset:128
	scratch_store_b64 off, v[57:58], off offset:120
	scratch_store_b64 off, v[29:30], off offset:112
	scratch_store_b64 off, v[27:28], off offset:104
	scratch_store_b64 off, v[25:26], off offset:96
	scratch_store_b64 off, v[23:24], off offset:88
	scratch_store_b64 off, v[21:22], off offset:80
	scratch_store_b64 off, v[19:20], off offset:72
	scratch_store_b64 off, v[17:18], off offset:64
	scratch_store_b64 off, v[15:16], off offset:56
	scratch_store_b64 off, v[13:14], off offset:48
	scratch_store_b64 off, v[11:12], off offset:40
	scratch_store_b64 off, v[9:10], off offset:32
	scratch_store_b64 off, v[7:8], off offset:24
	scratch_store_b64 off, v[5:6], off offset:16
	s_clause 0x1b
	global_load_b128 v[108:111], v[83:84], off
	global_load_b128 v[104:107], v[79:80], off
	;; [unrolled: 1-line block ×28, first 2 shown]
	s_clause 0x1
	scratch_store_b64 off, v[3:4], off offset:8
	scratch_store_b64 off, v[0:1], off
	s_clause 0x1
	global_load_b128 v[4:7], v[3:4], off
	global_load_b128 v[0:3], v[0:1], off
	s_and_saveexec_b32 s5, s2
	s_cbranch_execz .LBB59_8
; %bb.2:
	s_waitcnt vmcnt(3)
	ds_store_2addr_b64 v241, v[116:117], v[118:119] offset1:1
	s_waitcnt vmcnt(2)
	ds_store_2addr_b64 v242, v[112:113], v[114:115] offset0:2 offset1:3
	ds_store_2addr_b64 v242, v[108:109], v[110:111] offset0:4 offset1:5
	ds_store_2addr_b64 v242, v[104:105], v[106:107] offset0:6 offset1:7
	ds_store_2addr_b64 v242, v[100:101], v[102:103] offset0:8 offset1:9
	ds_store_2addr_b64 v242, v[96:97], v[98:99] offset0:10 offset1:11
	ds_store_2addr_b64 v242, v[92:93], v[94:95] offset0:12 offset1:13
	ds_store_2addr_b64 v242, v[88:89], v[90:91] offset0:14 offset1:15
	ds_store_2addr_b64 v242, v[84:85], v[86:87] offset0:16 offset1:17
	ds_store_2addr_b64 v242, v[80:81], v[82:83] offset0:18 offset1:19
	ds_store_2addr_b64 v242, v[76:77], v[78:79] offset0:20 offset1:21
	ds_store_2addr_b64 v242, v[72:73], v[74:75] offset0:22 offset1:23
	ds_store_2addr_b64 v242, v[68:69], v[70:71] offset0:24 offset1:25
	ds_store_2addr_b64 v242, v[64:65], v[66:67] offset0:26 offset1:27
	ds_store_2addr_b64 v242, v[60:61], v[62:63] offset0:28 offset1:29
	ds_store_2addr_b64 v242, v[56:57], v[58:59] offset0:30 offset1:31
	ds_store_2addr_b64 v242, v[52:53], v[54:55] offset0:32 offset1:33
	ds_store_2addr_b64 v242, v[48:49], v[50:51] offset0:34 offset1:35
	ds_store_2addr_b64 v242, v[44:45], v[46:47] offset0:36 offset1:37
	ds_store_2addr_b64 v242, v[40:41], v[42:43] offset0:38 offset1:39
	ds_store_2addr_b64 v242, v[36:37], v[38:39] offset0:40 offset1:41
	ds_store_2addr_b64 v242, v[32:33], v[34:35] offset0:42 offset1:43
	ds_store_2addr_b64 v242, v[28:29], v[30:31] offset0:44 offset1:45
	ds_store_2addr_b64 v242, v[24:25], v[26:27] offset0:46 offset1:47
	ds_store_2addr_b64 v242, v[20:21], v[22:23] offset0:48 offset1:49
	ds_store_2addr_b64 v242, v[16:17], v[18:19] offset0:50 offset1:51
	ds_store_2addr_b64 v242, v[12:13], v[14:15] offset0:52 offset1:53
	ds_store_2addr_b64 v242, v[8:9], v[10:11] offset0:54 offset1:55
	s_waitcnt vmcnt(1)
	ds_store_2addr_b64 v242, v[4:5], v[6:7] offset0:56 offset1:57
	s_waitcnt vmcnt(0)
	ds_store_2addr_b64 v242, v[0:1], v[2:3] offset0:58 offset1:59
	ds_load_2addr_b64 v[120:123], v241 offset1:1
	s_waitcnt lgkmcnt(0)
	v_cmp_neq_f64_e32 vcc_lo, 0, v[120:121]
	v_cmp_neq_f64_e64 s4, 0, v[122:123]
	s_delay_alu instid0(VALU_DEP_1) | instskip(NEXT) | instid1(SALU_CYCLE_1)
	s_or_b32 s4, vcc_lo, s4
	s_and_b32 exec_lo, exec_lo, s4
	s_cbranch_execz .LBB59_8
; %bb.3:
	v_cmp_gt_f64_e32 vcc_lo, 0, v[120:121]
	v_cmp_gt_f64_e64 s4, 0, v[122:123]
	v_xor_b32_e32 v124, 0x80000000, v121
	v_xor_b32_e32 v126, 0x80000000, v123
                                        ; implicit-def: $vgpr128_vgpr129
	s_delay_alu instid0(VALU_DEP_2) | instskip(NEXT) | instid1(VALU_DEP_2)
	v_cndmask_b32_e32 v125, v121, v124, vcc_lo
	v_cndmask_b32_e64 v127, v123, v126, s4
	v_cndmask_b32_e32 v124, v120, v120, vcc_lo
	v_cndmask_b32_e64 v126, v122, v122, s4
	s_mov_b32 s4, exec_lo
	s_delay_alu instid0(VALU_DEP_1)
	v_cmpx_ngt_f64_e32 v[124:125], v[126:127]
	s_xor_b32 s4, exec_lo, s4
                                        ; implicit-def: $vgpr124_vgpr125_vgpr126_vgpr127
	s_cbranch_execz .LBB59_5
; %bb.4:
	v_div_scale_f64 v[124:125], null, v[122:123], v[122:123], v[120:121]
	v_div_scale_f64 v[130:131], vcc_lo, v[120:121], v[122:123], v[120:121]
	s_delay_alu instid0(VALU_DEP_2) | instskip(SKIP_2) | instid1(VALU_DEP_1)
	v_rcp_f64_e32 v[126:127], v[124:125]
	s_waitcnt_depctr 0xfff
	v_fma_f64 v[128:129], -v[124:125], v[126:127], 1.0
	v_fma_f64 v[126:127], v[126:127], v[128:129], v[126:127]
	s_delay_alu instid0(VALU_DEP_1) | instskip(NEXT) | instid1(VALU_DEP_1)
	v_fma_f64 v[128:129], -v[124:125], v[126:127], 1.0
	v_fma_f64 v[126:127], v[126:127], v[128:129], v[126:127]
	s_delay_alu instid0(VALU_DEP_1) | instskip(NEXT) | instid1(VALU_DEP_1)
	v_mul_f64 v[128:129], v[130:131], v[126:127]
	v_fma_f64 v[124:125], -v[124:125], v[128:129], v[130:131]
	s_delay_alu instid0(VALU_DEP_1) | instskip(NEXT) | instid1(VALU_DEP_1)
	v_div_fmas_f64 v[124:125], v[124:125], v[126:127], v[128:129]
	v_div_fixup_f64 v[124:125], v[124:125], v[122:123], v[120:121]
	s_delay_alu instid0(VALU_DEP_1) | instskip(NEXT) | instid1(VALU_DEP_1)
	v_fma_f64 v[120:121], v[120:121], v[124:125], v[122:123]
	v_div_scale_f64 v[122:123], null, v[120:121], v[120:121], 1.0
	s_delay_alu instid0(VALU_DEP_1) | instskip(SKIP_2) | instid1(VALU_DEP_1)
	v_rcp_f64_e32 v[126:127], v[122:123]
	s_waitcnt_depctr 0xfff
	v_fma_f64 v[128:129], -v[122:123], v[126:127], 1.0
	v_fma_f64 v[126:127], v[126:127], v[128:129], v[126:127]
	s_delay_alu instid0(VALU_DEP_1) | instskip(NEXT) | instid1(VALU_DEP_1)
	v_fma_f64 v[128:129], -v[122:123], v[126:127], 1.0
	v_fma_f64 v[126:127], v[126:127], v[128:129], v[126:127]
	v_div_scale_f64 v[128:129], vcc_lo, 1.0, v[120:121], 1.0
	s_delay_alu instid0(VALU_DEP_1) | instskip(NEXT) | instid1(VALU_DEP_1)
	v_mul_f64 v[130:131], v[128:129], v[126:127]
	v_fma_f64 v[122:123], -v[122:123], v[130:131], v[128:129]
	s_delay_alu instid0(VALU_DEP_1) | instskip(NEXT) | instid1(VALU_DEP_1)
	v_div_fmas_f64 v[122:123], v[122:123], v[126:127], v[130:131]
	v_div_fixup_f64 v[126:127], v[122:123], v[120:121], 1.0
                                        ; implicit-def: $vgpr120_vgpr121
	s_delay_alu instid0(VALU_DEP_1)
	v_mul_f64 v[128:129], v[124:125], v[126:127]
	v_xor_b32_e32 v127, 0x80000000, v127
.LBB59_5:
	s_and_not1_saveexec_b32 s4, s4
	s_cbranch_execz .LBB59_7
; %bb.6:
	v_div_scale_f64 v[124:125], null, v[120:121], v[120:121], v[122:123]
	v_div_scale_f64 v[130:131], vcc_lo, v[122:123], v[120:121], v[122:123]
	s_delay_alu instid0(VALU_DEP_2) | instskip(SKIP_2) | instid1(VALU_DEP_1)
	v_rcp_f64_e32 v[126:127], v[124:125]
	s_waitcnt_depctr 0xfff
	v_fma_f64 v[128:129], -v[124:125], v[126:127], 1.0
	v_fma_f64 v[126:127], v[126:127], v[128:129], v[126:127]
	s_delay_alu instid0(VALU_DEP_1) | instskip(NEXT) | instid1(VALU_DEP_1)
	v_fma_f64 v[128:129], -v[124:125], v[126:127], 1.0
	v_fma_f64 v[126:127], v[126:127], v[128:129], v[126:127]
	s_delay_alu instid0(VALU_DEP_1) | instskip(NEXT) | instid1(VALU_DEP_1)
	v_mul_f64 v[128:129], v[130:131], v[126:127]
	v_fma_f64 v[124:125], -v[124:125], v[128:129], v[130:131]
	s_delay_alu instid0(VALU_DEP_1) | instskip(NEXT) | instid1(VALU_DEP_1)
	v_div_fmas_f64 v[124:125], v[124:125], v[126:127], v[128:129]
	v_div_fixup_f64 v[124:125], v[124:125], v[120:121], v[122:123]
	s_delay_alu instid0(VALU_DEP_1) | instskip(NEXT) | instid1(VALU_DEP_1)
	v_fma_f64 v[120:121], v[122:123], v[124:125], v[120:121]
	v_div_scale_f64 v[122:123], null, v[120:121], v[120:121], 1.0
	s_delay_alu instid0(VALU_DEP_1) | instskip(SKIP_2) | instid1(VALU_DEP_1)
	v_rcp_f64_e32 v[126:127], v[122:123]
	s_waitcnt_depctr 0xfff
	v_fma_f64 v[128:129], -v[122:123], v[126:127], 1.0
	v_fma_f64 v[126:127], v[126:127], v[128:129], v[126:127]
	s_delay_alu instid0(VALU_DEP_1) | instskip(NEXT) | instid1(VALU_DEP_1)
	v_fma_f64 v[128:129], -v[122:123], v[126:127], 1.0
	v_fma_f64 v[126:127], v[126:127], v[128:129], v[126:127]
	v_div_scale_f64 v[128:129], vcc_lo, 1.0, v[120:121], 1.0
	s_delay_alu instid0(VALU_DEP_1) | instskip(NEXT) | instid1(VALU_DEP_1)
	v_mul_f64 v[130:131], v[128:129], v[126:127]
	v_fma_f64 v[122:123], -v[122:123], v[130:131], v[128:129]
	s_delay_alu instid0(VALU_DEP_1) | instskip(NEXT) | instid1(VALU_DEP_1)
	v_div_fmas_f64 v[122:123], v[122:123], v[126:127], v[130:131]
	v_div_fixup_f64 v[128:129], v[122:123], v[120:121], 1.0
	s_delay_alu instid0(VALU_DEP_1)
	v_mul_f64 v[126:127], v[124:125], -v[128:129]
.LBB59_7:
	s_or_b32 exec_lo, exec_lo, s4
	ds_store_2addr_b64 v241, v[128:129], v[126:127] offset1:1
.LBB59_8:
	s_or_b32 exec_lo, exec_lo, s5
	s_waitcnt vmcnt(0) lgkmcnt(0)
	s_waitcnt_vscnt null, 0x0
	s_barrier
	buffer_gl0_inv
	ds_load_2addr_b64 v[120:123], v241 offset1:1
	s_waitcnt lgkmcnt(0)
	scratch_store_b128 off, v[120:123], off offset:200 ; 16-byte Folded Spill
	s_and_saveexec_b32 s4, s3
	s_cbranch_execz .LBB59_10
; %bb.9:
	scratch_load_b128 v[126:129], off, off offset:200 ; 16-byte Folded Reload
	s_waitcnt vmcnt(0)
	v_mul_f64 v[120:121], v[128:129], v[118:119]
	v_mul_f64 v[118:119], v[126:127], v[118:119]
	s_delay_alu instid0(VALU_DEP_2) | instskip(NEXT) | instid1(VALU_DEP_2)
	v_fma_f64 v[124:125], v[126:127], v[116:117], -v[120:121]
	v_fma_f64 v[118:119], v[128:129], v[116:117], v[118:119]
	ds_load_2addr_b64 v[120:123], v242 offset0:2 offset1:3
	s_waitcnt lgkmcnt(0)
	v_mul_f64 v[116:117], v[122:123], v[118:119]
	s_delay_alu instid0(VALU_DEP_1) | instskip(SKIP_1) | instid1(VALU_DEP_2)
	v_fma_f64 v[116:117], v[120:121], v[124:125], -v[116:117]
	v_mul_f64 v[120:121], v[120:121], v[118:119]
	v_add_f64 v[112:113], v[112:113], -v[116:117]
	s_delay_alu instid0(VALU_DEP_2) | instskip(NEXT) | instid1(VALU_DEP_1)
	v_fma_f64 v[120:121], v[122:123], v[124:125], v[120:121]
	v_add_f64 v[114:115], v[114:115], -v[120:121]
	ds_load_2addr_b64 v[120:123], v242 offset0:4 offset1:5
	s_waitcnt lgkmcnt(0)
	v_mul_f64 v[116:117], v[122:123], v[118:119]
	s_delay_alu instid0(VALU_DEP_1) | instskip(SKIP_1) | instid1(VALU_DEP_2)
	v_fma_f64 v[116:117], v[120:121], v[124:125], -v[116:117]
	v_mul_f64 v[120:121], v[120:121], v[118:119]
	v_add_f64 v[108:109], v[108:109], -v[116:117]
	s_delay_alu instid0(VALU_DEP_2) | instskip(NEXT) | instid1(VALU_DEP_1)
	v_fma_f64 v[120:121], v[122:123], v[124:125], v[120:121]
	v_add_f64 v[110:111], v[110:111], -v[120:121]
	;; [unrolled: 10-line block ×28, first 2 shown]
	ds_load_2addr_b64 v[120:123], v242 offset0:58 offset1:59
	s_waitcnt lgkmcnt(0)
	v_mul_f64 v[116:117], v[122:123], v[118:119]
	s_delay_alu instid0(VALU_DEP_1) | instskip(SKIP_1) | instid1(VALU_DEP_2)
	v_fma_f64 v[116:117], v[120:121], v[124:125], -v[116:117]
	v_mul_f64 v[120:121], v[120:121], v[118:119]
	v_add_f64 v[0:1], v[0:1], -v[116:117]
	s_delay_alu instid0(VALU_DEP_2) | instskip(SKIP_1) | instid1(VALU_DEP_2)
	v_fma_f64 v[120:121], v[122:123], v[124:125], v[120:121]
	v_dual_mov_b32 v116, v124 :: v_dual_mov_b32 v117, v125
	v_add_f64 v[2:3], v[2:3], -v[120:121]
.LBB59_10:
	s_or_b32 exec_lo, exec_lo, s4
	s_delay_alu instid0(SALU_CYCLE_1)
	s_mov_b32 s4, exec_lo
	s_waitcnt_vscnt null, 0x0
	s_barrier
	buffer_gl0_inv
	v_cmpx_eq_u32_e32 1, v240
	s_cbranch_execz .LBB59_17
; %bb.11:
	ds_store_2addr_b64 v241, v[112:113], v[114:115] offset1:1
	ds_store_2addr_b64 v242, v[108:109], v[110:111] offset0:4 offset1:5
	ds_store_2addr_b64 v242, v[104:105], v[106:107] offset0:6 offset1:7
	ds_store_2addr_b64 v242, v[100:101], v[102:103] offset0:8 offset1:9
	ds_store_2addr_b64 v242, v[96:97], v[98:99] offset0:10 offset1:11
	ds_store_2addr_b64 v242, v[92:93], v[94:95] offset0:12 offset1:13
	ds_store_2addr_b64 v242, v[88:89], v[90:91] offset0:14 offset1:15
	ds_store_2addr_b64 v242, v[84:85], v[86:87] offset0:16 offset1:17
	ds_store_2addr_b64 v242, v[80:81], v[82:83] offset0:18 offset1:19
	ds_store_2addr_b64 v242, v[76:77], v[78:79] offset0:20 offset1:21
	ds_store_2addr_b64 v242, v[72:73], v[74:75] offset0:22 offset1:23
	ds_store_2addr_b64 v242, v[68:69], v[70:71] offset0:24 offset1:25
	ds_store_2addr_b64 v242, v[64:65], v[66:67] offset0:26 offset1:27
	ds_store_2addr_b64 v242, v[60:61], v[62:63] offset0:28 offset1:29
	ds_store_2addr_b64 v242, v[56:57], v[58:59] offset0:30 offset1:31
	ds_store_2addr_b64 v242, v[52:53], v[54:55] offset0:32 offset1:33
	ds_store_2addr_b64 v242, v[48:49], v[50:51] offset0:34 offset1:35
	ds_store_2addr_b64 v242, v[44:45], v[46:47] offset0:36 offset1:37
	ds_store_2addr_b64 v242, v[40:41], v[42:43] offset0:38 offset1:39
	ds_store_2addr_b64 v242, v[36:37], v[38:39] offset0:40 offset1:41
	ds_store_2addr_b64 v242, v[32:33], v[34:35] offset0:42 offset1:43
	ds_store_2addr_b64 v242, v[28:29], v[30:31] offset0:44 offset1:45
	ds_store_2addr_b64 v242, v[24:25], v[26:27] offset0:46 offset1:47
	ds_store_2addr_b64 v242, v[20:21], v[22:23] offset0:48 offset1:49
	ds_store_2addr_b64 v242, v[16:17], v[18:19] offset0:50 offset1:51
	ds_store_2addr_b64 v242, v[12:13], v[14:15] offset0:52 offset1:53
	ds_store_2addr_b64 v242, v[8:9], v[10:11] offset0:54 offset1:55
	ds_store_2addr_b64 v242, v[4:5], v[6:7] offset0:56 offset1:57
	ds_store_2addr_b64 v242, v[0:1], v[2:3] offset0:58 offset1:59
	ds_load_2addr_b64 v[124:127], v241 offset1:1
	s_waitcnt lgkmcnt(0)
	v_cmp_neq_f64_e32 vcc_lo, 0, v[124:125]
	v_cmp_neq_f64_e64 s3, 0, v[126:127]
	s_delay_alu instid0(VALU_DEP_1) | instskip(NEXT) | instid1(SALU_CYCLE_1)
	s_or_b32 s3, vcc_lo, s3
	s_and_b32 exec_lo, exec_lo, s3
	s_cbranch_execz .LBB59_17
; %bb.12:
	v_cmp_gt_f64_e32 vcc_lo, 0, v[124:125]
	v_cmp_gt_f64_e64 s3, 0, v[126:127]
	v_xor_b32_e32 v120, 0x80000000, v125
	v_xor_b32_e32 v122, 0x80000000, v127
	s_delay_alu instid0(VALU_DEP_2) | instskip(NEXT) | instid1(VALU_DEP_2)
	v_cndmask_b32_e32 v121, v125, v120, vcc_lo
	v_cndmask_b32_e64 v123, v127, v122, s3
	v_cndmask_b32_e32 v120, v124, v124, vcc_lo
	v_cndmask_b32_e64 v122, v126, v126, s3
	s_delay_alu instid0(VALU_DEP_1) | instskip(SKIP_1) | instid1(SALU_CYCLE_1)
	v_cmp_ngt_f64_e32 vcc_lo, v[120:121], v[122:123]
                                        ; implicit-def: $vgpr120_vgpr121
	s_and_saveexec_b32 s3, vcc_lo
	s_xor_b32 s3, exec_lo, s3
                                        ; implicit-def: $vgpr128_vgpr129_vgpr130_vgpr131
	s_cbranch_execz .LBB59_14
; %bb.13:
	v_div_scale_f64 v[120:121], null, v[126:127], v[126:127], v[124:125]
	v_div_scale_f64 v[130:131], vcc_lo, v[124:125], v[126:127], v[124:125]
	s_delay_alu instid0(VALU_DEP_2) | instskip(SKIP_2) | instid1(VALU_DEP_1)
	v_rcp_f64_e32 v[122:123], v[120:121]
	s_waitcnt_depctr 0xfff
	v_fma_f64 v[128:129], -v[120:121], v[122:123], 1.0
	v_fma_f64 v[122:123], v[122:123], v[128:129], v[122:123]
	s_delay_alu instid0(VALU_DEP_1) | instskip(NEXT) | instid1(VALU_DEP_1)
	v_fma_f64 v[128:129], -v[120:121], v[122:123], 1.0
	v_fma_f64 v[122:123], v[122:123], v[128:129], v[122:123]
	s_delay_alu instid0(VALU_DEP_1) | instskip(NEXT) | instid1(VALU_DEP_1)
	v_mul_f64 v[128:129], v[130:131], v[122:123]
	v_fma_f64 v[120:121], -v[120:121], v[128:129], v[130:131]
	s_delay_alu instid0(VALU_DEP_1) | instskip(NEXT) | instid1(VALU_DEP_1)
	v_div_fmas_f64 v[120:121], v[120:121], v[122:123], v[128:129]
	v_div_fixup_f64 v[120:121], v[120:121], v[126:127], v[124:125]
	s_delay_alu instid0(VALU_DEP_1) | instskip(NEXT) | instid1(VALU_DEP_1)
	v_fma_f64 v[122:123], v[124:125], v[120:121], v[126:127]
	v_div_scale_f64 v[124:125], null, v[122:123], v[122:123], 1.0
	s_delay_alu instid0(VALU_DEP_1) | instskip(SKIP_2) | instid1(VALU_DEP_1)
	v_rcp_f64_e32 v[126:127], v[124:125]
	s_waitcnt_depctr 0xfff
	v_fma_f64 v[128:129], -v[124:125], v[126:127], 1.0
	v_fma_f64 v[126:127], v[126:127], v[128:129], v[126:127]
	s_delay_alu instid0(VALU_DEP_1) | instskip(NEXT) | instid1(VALU_DEP_1)
	v_fma_f64 v[128:129], -v[124:125], v[126:127], 1.0
	v_fma_f64 v[126:127], v[126:127], v[128:129], v[126:127]
	v_div_scale_f64 v[128:129], vcc_lo, 1.0, v[122:123], 1.0
	s_delay_alu instid0(VALU_DEP_1) | instskip(NEXT) | instid1(VALU_DEP_1)
	v_mul_f64 v[130:131], v[128:129], v[126:127]
	v_fma_f64 v[124:125], -v[124:125], v[130:131], v[128:129]
	s_delay_alu instid0(VALU_DEP_1) | instskip(NEXT) | instid1(VALU_DEP_1)
	v_div_fmas_f64 v[124:125], v[124:125], v[126:127], v[130:131]
	v_div_fixup_f64 v[130:131], v[124:125], v[122:123], 1.0
                                        ; implicit-def: $vgpr124_vgpr125
	s_delay_alu instid0(VALU_DEP_1)
	v_mul_f64 v[120:121], v[120:121], v[130:131]
	v_xor_b32_e32 v131, 0x80000000, v131
.LBB59_14:
	s_and_not1_saveexec_b32 s3, s3
	s_cbranch_execz .LBB59_16
; %bb.15:
	v_div_scale_f64 v[120:121], null, v[124:125], v[124:125], v[126:127]
	v_div_scale_f64 v[130:131], vcc_lo, v[126:127], v[124:125], v[126:127]
	s_delay_alu instid0(VALU_DEP_2) | instskip(SKIP_2) | instid1(VALU_DEP_1)
	v_rcp_f64_e32 v[122:123], v[120:121]
	s_waitcnt_depctr 0xfff
	v_fma_f64 v[128:129], -v[120:121], v[122:123], 1.0
	v_fma_f64 v[122:123], v[122:123], v[128:129], v[122:123]
	s_delay_alu instid0(VALU_DEP_1) | instskip(NEXT) | instid1(VALU_DEP_1)
	v_fma_f64 v[128:129], -v[120:121], v[122:123], 1.0
	v_fma_f64 v[122:123], v[122:123], v[128:129], v[122:123]
	s_delay_alu instid0(VALU_DEP_1) | instskip(NEXT) | instid1(VALU_DEP_1)
	v_mul_f64 v[128:129], v[130:131], v[122:123]
	v_fma_f64 v[120:121], -v[120:121], v[128:129], v[130:131]
	s_delay_alu instid0(VALU_DEP_1) | instskip(NEXT) | instid1(VALU_DEP_1)
	v_div_fmas_f64 v[120:121], v[120:121], v[122:123], v[128:129]
	v_div_fixup_f64 v[122:123], v[120:121], v[124:125], v[126:127]
	s_delay_alu instid0(VALU_DEP_1) | instskip(NEXT) | instid1(VALU_DEP_1)
	v_fma_f64 v[120:121], v[126:127], v[122:123], v[124:125]
	v_div_scale_f64 v[124:125], null, v[120:121], v[120:121], 1.0
	s_delay_alu instid0(VALU_DEP_1) | instskip(SKIP_2) | instid1(VALU_DEP_1)
	v_rcp_f64_e32 v[126:127], v[124:125]
	s_waitcnt_depctr 0xfff
	v_fma_f64 v[128:129], -v[124:125], v[126:127], 1.0
	v_fma_f64 v[126:127], v[126:127], v[128:129], v[126:127]
	s_delay_alu instid0(VALU_DEP_1) | instskip(NEXT) | instid1(VALU_DEP_1)
	v_fma_f64 v[128:129], -v[124:125], v[126:127], 1.0
	v_fma_f64 v[126:127], v[126:127], v[128:129], v[126:127]
	v_div_scale_f64 v[128:129], vcc_lo, 1.0, v[120:121], 1.0
	s_delay_alu instid0(VALU_DEP_1) | instskip(NEXT) | instid1(VALU_DEP_1)
	v_mul_f64 v[130:131], v[128:129], v[126:127]
	v_fma_f64 v[124:125], -v[124:125], v[130:131], v[128:129]
	s_delay_alu instid0(VALU_DEP_1) | instskip(NEXT) | instid1(VALU_DEP_1)
	v_div_fmas_f64 v[124:125], v[124:125], v[126:127], v[130:131]
	v_div_fixup_f64 v[120:121], v[124:125], v[120:121], 1.0
	s_delay_alu instid0(VALU_DEP_1)
	v_mul_f64 v[130:131], v[122:123], -v[120:121]
.LBB59_16:
	s_or_b32 exec_lo, exec_lo, s3
	ds_store_2addr_b64 v241, v[120:121], v[130:131] offset1:1
.LBB59_17:
	s_or_b32 exec_lo, exec_lo, s4
	s_waitcnt lgkmcnt(0)
	s_barrier
	buffer_gl0_inv
	ds_load_2addr_b64 v[124:127], v241 offset1:1
	s_mov_b32 s3, exec_lo
	v_cmpx_lt_u32_e32 1, v240
	s_cbranch_execz .LBB59_19
; %bb.18:
	s_waitcnt lgkmcnt(0)
	v_mul_f64 v[120:121], v[126:127], v[114:115]
	v_mul_f64 v[114:115], v[124:125], v[114:115]
	s_delay_alu instid0(VALU_DEP_2) | instskip(NEXT) | instid1(VALU_DEP_2)
	v_fma_f64 v[128:129], v[124:125], v[112:113], -v[120:121]
	v_fma_f64 v[114:115], v[126:127], v[112:113], v[114:115]
	ds_load_2addr_b64 v[120:123], v242 offset0:4 offset1:5
	s_waitcnt lgkmcnt(0)
	v_mul_f64 v[112:113], v[122:123], v[114:115]
	s_delay_alu instid0(VALU_DEP_1) | instskip(SKIP_1) | instid1(VALU_DEP_2)
	v_fma_f64 v[112:113], v[120:121], v[128:129], -v[112:113]
	v_mul_f64 v[120:121], v[120:121], v[114:115]
	v_add_f64 v[108:109], v[108:109], -v[112:113]
	s_delay_alu instid0(VALU_DEP_2) | instskip(NEXT) | instid1(VALU_DEP_1)
	v_fma_f64 v[120:121], v[122:123], v[128:129], v[120:121]
	v_add_f64 v[110:111], v[110:111], -v[120:121]
	ds_load_2addr_b64 v[120:123], v242 offset0:6 offset1:7
	s_waitcnt lgkmcnt(0)
	v_mul_f64 v[112:113], v[122:123], v[114:115]
	s_delay_alu instid0(VALU_DEP_1) | instskip(SKIP_1) | instid1(VALU_DEP_2)
	v_fma_f64 v[112:113], v[120:121], v[128:129], -v[112:113]
	v_mul_f64 v[120:121], v[120:121], v[114:115]
	v_add_f64 v[104:105], v[104:105], -v[112:113]
	s_delay_alu instid0(VALU_DEP_2) | instskip(NEXT) | instid1(VALU_DEP_1)
	v_fma_f64 v[120:121], v[122:123], v[128:129], v[120:121]
	v_add_f64 v[106:107], v[106:107], -v[120:121]
	;; [unrolled: 10-line block ×27, first 2 shown]
	ds_load_2addr_b64 v[120:123], v242 offset0:58 offset1:59
	s_waitcnt lgkmcnt(0)
	v_mul_f64 v[112:113], v[122:123], v[114:115]
	s_delay_alu instid0(VALU_DEP_1) | instskip(SKIP_1) | instid1(VALU_DEP_2)
	v_fma_f64 v[112:113], v[120:121], v[128:129], -v[112:113]
	v_mul_f64 v[120:121], v[120:121], v[114:115]
	v_add_f64 v[0:1], v[0:1], -v[112:113]
	s_delay_alu instid0(VALU_DEP_2) | instskip(SKIP_1) | instid1(VALU_DEP_2)
	v_fma_f64 v[120:121], v[122:123], v[128:129], v[120:121]
	v_dual_mov_b32 v112, v128 :: v_dual_mov_b32 v113, v129
	v_add_f64 v[2:3], v[2:3], -v[120:121]
.LBB59_19:
	s_or_b32 exec_lo, exec_lo, s3
	s_delay_alu instid0(SALU_CYCLE_1)
	s_mov_b32 s4, exec_lo
	s_waitcnt lgkmcnt(0)
	s_barrier
	buffer_gl0_inv
	v_cmpx_eq_u32_e32 2, v240
	s_cbranch_execz .LBB59_26
; %bb.20:
	ds_store_2addr_b64 v241, v[108:109], v[110:111] offset1:1
	ds_store_2addr_b64 v242, v[104:105], v[106:107] offset0:6 offset1:7
	ds_store_2addr_b64 v242, v[100:101], v[102:103] offset0:8 offset1:9
	;; [unrolled: 1-line block ×27, first 2 shown]
	ds_load_2addr_b64 v[128:131], v241 offset1:1
	s_waitcnt lgkmcnt(0)
	v_cmp_neq_f64_e32 vcc_lo, 0, v[128:129]
	v_cmp_neq_f64_e64 s3, 0, v[130:131]
	s_delay_alu instid0(VALU_DEP_1) | instskip(NEXT) | instid1(SALU_CYCLE_1)
	s_or_b32 s3, vcc_lo, s3
	s_and_b32 exec_lo, exec_lo, s3
	s_cbranch_execz .LBB59_26
; %bb.21:
	v_cmp_gt_f64_e32 vcc_lo, 0, v[128:129]
	v_cmp_gt_f64_e64 s3, 0, v[130:131]
	v_xor_b32_e32 v120, 0x80000000, v129
	v_xor_b32_e32 v122, 0x80000000, v131
	s_delay_alu instid0(VALU_DEP_2) | instskip(NEXT) | instid1(VALU_DEP_2)
	v_cndmask_b32_e32 v121, v129, v120, vcc_lo
	v_cndmask_b32_e64 v123, v131, v122, s3
	v_cndmask_b32_e32 v120, v128, v128, vcc_lo
	v_cndmask_b32_e64 v122, v130, v130, s3
	s_delay_alu instid0(VALU_DEP_1) | instskip(SKIP_1) | instid1(SALU_CYCLE_1)
	v_cmp_ngt_f64_e32 vcc_lo, v[120:121], v[122:123]
                                        ; implicit-def: $vgpr120_vgpr121
	s_and_saveexec_b32 s3, vcc_lo
	s_xor_b32 s3, exec_lo, s3
                                        ; implicit-def: $vgpr132_vgpr133_vgpr134_vgpr135
	s_cbranch_execz .LBB59_23
; %bb.22:
	v_div_scale_f64 v[120:121], null, v[130:131], v[130:131], v[128:129]
	v_div_scale_f64 v[134:135], vcc_lo, v[128:129], v[130:131], v[128:129]
	s_delay_alu instid0(VALU_DEP_2) | instskip(SKIP_2) | instid1(VALU_DEP_1)
	v_rcp_f64_e32 v[122:123], v[120:121]
	s_waitcnt_depctr 0xfff
	v_fma_f64 v[132:133], -v[120:121], v[122:123], 1.0
	v_fma_f64 v[122:123], v[122:123], v[132:133], v[122:123]
	s_delay_alu instid0(VALU_DEP_1) | instskip(NEXT) | instid1(VALU_DEP_1)
	v_fma_f64 v[132:133], -v[120:121], v[122:123], 1.0
	v_fma_f64 v[122:123], v[122:123], v[132:133], v[122:123]
	s_delay_alu instid0(VALU_DEP_1) | instskip(NEXT) | instid1(VALU_DEP_1)
	v_mul_f64 v[132:133], v[134:135], v[122:123]
	v_fma_f64 v[120:121], -v[120:121], v[132:133], v[134:135]
	s_delay_alu instid0(VALU_DEP_1) | instskip(NEXT) | instid1(VALU_DEP_1)
	v_div_fmas_f64 v[120:121], v[120:121], v[122:123], v[132:133]
	v_div_fixup_f64 v[120:121], v[120:121], v[130:131], v[128:129]
	s_delay_alu instid0(VALU_DEP_1) | instskip(NEXT) | instid1(VALU_DEP_1)
	v_fma_f64 v[122:123], v[128:129], v[120:121], v[130:131]
	v_div_scale_f64 v[128:129], null, v[122:123], v[122:123], 1.0
	s_delay_alu instid0(VALU_DEP_1) | instskip(SKIP_2) | instid1(VALU_DEP_1)
	v_rcp_f64_e32 v[130:131], v[128:129]
	s_waitcnt_depctr 0xfff
	v_fma_f64 v[132:133], -v[128:129], v[130:131], 1.0
	v_fma_f64 v[130:131], v[130:131], v[132:133], v[130:131]
	s_delay_alu instid0(VALU_DEP_1) | instskip(NEXT) | instid1(VALU_DEP_1)
	v_fma_f64 v[132:133], -v[128:129], v[130:131], 1.0
	v_fma_f64 v[130:131], v[130:131], v[132:133], v[130:131]
	v_div_scale_f64 v[132:133], vcc_lo, 1.0, v[122:123], 1.0
	s_delay_alu instid0(VALU_DEP_1) | instskip(NEXT) | instid1(VALU_DEP_1)
	v_mul_f64 v[134:135], v[132:133], v[130:131]
	v_fma_f64 v[128:129], -v[128:129], v[134:135], v[132:133]
	s_delay_alu instid0(VALU_DEP_1) | instskip(NEXT) | instid1(VALU_DEP_1)
	v_div_fmas_f64 v[128:129], v[128:129], v[130:131], v[134:135]
	v_div_fixup_f64 v[134:135], v[128:129], v[122:123], 1.0
                                        ; implicit-def: $vgpr128_vgpr129
	s_delay_alu instid0(VALU_DEP_1)
	v_mul_f64 v[120:121], v[120:121], v[134:135]
	v_xor_b32_e32 v135, 0x80000000, v135
.LBB59_23:
	s_and_not1_saveexec_b32 s3, s3
	s_cbranch_execz .LBB59_25
; %bb.24:
	v_div_scale_f64 v[120:121], null, v[128:129], v[128:129], v[130:131]
	v_div_scale_f64 v[134:135], vcc_lo, v[130:131], v[128:129], v[130:131]
	s_delay_alu instid0(VALU_DEP_2) | instskip(SKIP_2) | instid1(VALU_DEP_1)
	v_rcp_f64_e32 v[122:123], v[120:121]
	s_waitcnt_depctr 0xfff
	v_fma_f64 v[132:133], -v[120:121], v[122:123], 1.0
	v_fma_f64 v[122:123], v[122:123], v[132:133], v[122:123]
	s_delay_alu instid0(VALU_DEP_1) | instskip(NEXT) | instid1(VALU_DEP_1)
	v_fma_f64 v[132:133], -v[120:121], v[122:123], 1.0
	v_fma_f64 v[122:123], v[122:123], v[132:133], v[122:123]
	s_delay_alu instid0(VALU_DEP_1) | instskip(NEXT) | instid1(VALU_DEP_1)
	v_mul_f64 v[132:133], v[134:135], v[122:123]
	v_fma_f64 v[120:121], -v[120:121], v[132:133], v[134:135]
	s_delay_alu instid0(VALU_DEP_1) | instskip(NEXT) | instid1(VALU_DEP_1)
	v_div_fmas_f64 v[120:121], v[120:121], v[122:123], v[132:133]
	v_div_fixup_f64 v[122:123], v[120:121], v[128:129], v[130:131]
	s_delay_alu instid0(VALU_DEP_1) | instskip(NEXT) | instid1(VALU_DEP_1)
	v_fma_f64 v[120:121], v[130:131], v[122:123], v[128:129]
	v_div_scale_f64 v[128:129], null, v[120:121], v[120:121], 1.0
	s_delay_alu instid0(VALU_DEP_1) | instskip(SKIP_2) | instid1(VALU_DEP_1)
	v_rcp_f64_e32 v[130:131], v[128:129]
	s_waitcnt_depctr 0xfff
	v_fma_f64 v[132:133], -v[128:129], v[130:131], 1.0
	v_fma_f64 v[130:131], v[130:131], v[132:133], v[130:131]
	s_delay_alu instid0(VALU_DEP_1) | instskip(NEXT) | instid1(VALU_DEP_1)
	v_fma_f64 v[132:133], -v[128:129], v[130:131], 1.0
	v_fma_f64 v[130:131], v[130:131], v[132:133], v[130:131]
	v_div_scale_f64 v[132:133], vcc_lo, 1.0, v[120:121], 1.0
	s_delay_alu instid0(VALU_DEP_1) | instskip(NEXT) | instid1(VALU_DEP_1)
	v_mul_f64 v[134:135], v[132:133], v[130:131]
	v_fma_f64 v[128:129], -v[128:129], v[134:135], v[132:133]
	s_delay_alu instid0(VALU_DEP_1) | instskip(NEXT) | instid1(VALU_DEP_1)
	v_div_fmas_f64 v[128:129], v[128:129], v[130:131], v[134:135]
	v_div_fixup_f64 v[120:121], v[128:129], v[120:121], 1.0
	s_delay_alu instid0(VALU_DEP_1)
	v_mul_f64 v[134:135], v[122:123], -v[120:121]
.LBB59_25:
	s_or_b32 exec_lo, exec_lo, s3
	ds_store_2addr_b64 v241, v[120:121], v[134:135] offset1:1
.LBB59_26:
	s_or_b32 exec_lo, exec_lo, s4
	s_waitcnt lgkmcnt(0)
	s_barrier
	buffer_gl0_inv
	ds_load_2addr_b64 v[128:131], v241 offset1:1
	s_mov_b32 s3, exec_lo
	v_cmpx_lt_u32_e32 2, v240
	s_cbranch_execz .LBB59_28
; %bb.27:
	s_waitcnt lgkmcnt(0)
	v_mul_f64 v[120:121], v[130:131], v[110:111]
	v_mul_f64 v[110:111], v[128:129], v[110:111]
	s_delay_alu instid0(VALU_DEP_2) | instskip(NEXT) | instid1(VALU_DEP_2)
	v_fma_f64 v[132:133], v[128:129], v[108:109], -v[120:121]
	v_fma_f64 v[110:111], v[130:131], v[108:109], v[110:111]
	ds_load_2addr_b64 v[120:123], v242 offset0:6 offset1:7
	s_waitcnt lgkmcnt(0)
	v_mul_f64 v[108:109], v[122:123], v[110:111]
	s_delay_alu instid0(VALU_DEP_1) | instskip(SKIP_1) | instid1(VALU_DEP_2)
	v_fma_f64 v[108:109], v[120:121], v[132:133], -v[108:109]
	v_mul_f64 v[120:121], v[120:121], v[110:111]
	v_add_f64 v[104:105], v[104:105], -v[108:109]
	s_delay_alu instid0(VALU_DEP_2) | instskip(NEXT) | instid1(VALU_DEP_1)
	v_fma_f64 v[120:121], v[122:123], v[132:133], v[120:121]
	v_add_f64 v[106:107], v[106:107], -v[120:121]
	ds_load_2addr_b64 v[120:123], v242 offset0:8 offset1:9
	s_waitcnt lgkmcnt(0)
	v_mul_f64 v[108:109], v[122:123], v[110:111]
	s_delay_alu instid0(VALU_DEP_1) | instskip(SKIP_1) | instid1(VALU_DEP_2)
	v_fma_f64 v[108:109], v[120:121], v[132:133], -v[108:109]
	v_mul_f64 v[120:121], v[120:121], v[110:111]
	v_add_f64 v[100:101], v[100:101], -v[108:109]
	s_delay_alu instid0(VALU_DEP_2) | instskip(NEXT) | instid1(VALU_DEP_1)
	v_fma_f64 v[120:121], v[122:123], v[132:133], v[120:121]
	v_add_f64 v[102:103], v[102:103], -v[120:121]
	;; [unrolled: 10-line block ×26, first 2 shown]
	ds_load_2addr_b64 v[120:123], v242 offset0:58 offset1:59
	s_waitcnt lgkmcnt(0)
	v_mul_f64 v[108:109], v[122:123], v[110:111]
	s_delay_alu instid0(VALU_DEP_1) | instskip(SKIP_1) | instid1(VALU_DEP_2)
	v_fma_f64 v[108:109], v[120:121], v[132:133], -v[108:109]
	v_mul_f64 v[120:121], v[120:121], v[110:111]
	v_add_f64 v[0:1], v[0:1], -v[108:109]
	s_delay_alu instid0(VALU_DEP_2) | instskip(SKIP_1) | instid1(VALU_DEP_2)
	v_fma_f64 v[120:121], v[122:123], v[132:133], v[120:121]
	v_dual_mov_b32 v108, v132 :: v_dual_mov_b32 v109, v133
	v_add_f64 v[2:3], v[2:3], -v[120:121]
.LBB59_28:
	s_or_b32 exec_lo, exec_lo, s3
	s_delay_alu instid0(SALU_CYCLE_1)
	s_mov_b32 s4, exec_lo
	s_waitcnt lgkmcnt(0)
	s_barrier
	buffer_gl0_inv
	v_cmpx_eq_u32_e32 3, v240
	s_cbranch_execz .LBB59_35
; %bb.29:
	ds_store_2addr_b64 v241, v[104:105], v[106:107] offset1:1
	ds_store_2addr_b64 v242, v[100:101], v[102:103] offset0:8 offset1:9
	ds_store_2addr_b64 v242, v[96:97], v[98:99] offset0:10 offset1:11
	;; [unrolled: 1-line block ×26, first 2 shown]
	ds_load_2addr_b64 v[132:135], v241 offset1:1
	s_waitcnt lgkmcnt(0)
	v_cmp_neq_f64_e32 vcc_lo, 0, v[132:133]
	v_cmp_neq_f64_e64 s3, 0, v[134:135]
	s_delay_alu instid0(VALU_DEP_1) | instskip(NEXT) | instid1(SALU_CYCLE_1)
	s_or_b32 s3, vcc_lo, s3
	s_and_b32 exec_lo, exec_lo, s3
	s_cbranch_execz .LBB59_35
; %bb.30:
	v_cmp_gt_f64_e32 vcc_lo, 0, v[132:133]
	v_cmp_gt_f64_e64 s3, 0, v[134:135]
	v_xor_b32_e32 v120, 0x80000000, v133
	v_xor_b32_e32 v122, 0x80000000, v135
	s_delay_alu instid0(VALU_DEP_2) | instskip(NEXT) | instid1(VALU_DEP_2)
	v_cndmask_b32_e32 v121, v133, v120, vcc_lo
	v_cndmask_b32_e64 v123, v135, v122, s3
	v_cndmask_b32_e32 v120, v132, v132, vcc_lo
	v_cndmask_b32_e64 v122, v134, v134, s3
	s_delay_alu instid0(VALU_DEP_1) | instskip(SKIP_1) | instid1(SALU_CYCLE_1)
	v_cmp_ngt_f64_e32 vcc_lo, v[120:121], v[122:123]
                                        ; implicit-def: $vgpr120_vgpr121
	s_and_saveexec_b32 s3, vcc_lo
	s_xor_b32 s3, exec_lo, s3
                                        ; implicit-def: $vgpr136_vgpr137_vgpr138_vgpr139
	s_cbranch_execz .LBB59_32
; %bb.31:
	v_div_scale_f64 v[120:121], null, v[134:135], v[134:135], v[132:133]
	v_div_scale_f64 v[138:139], vcc_lo, v[132:133], v[134:135], v[132:133]
	s_delay_alu instid0(VALU_DEP_2) | instskip(SKIP_2) | instid1(VALU_DEP_1)
	v_rcp_f64_e32 v[122:123], v[120:121]
	s_waitcnt_depctr 0xfff
	v_fma_f64 v[136:137], -v[120:121], v[122:123], 1.0
	v_fma_f64 v[122:123], v[122:123], v[136:137], v[122:123]
	s_delay_alu instid0(VALU_DEP_1) | instskip(NEXT) | instid1(VALU_DEP_1)
	v_fma_f64 v[136:137], -v[120:121], v[122:123], 1.0
	v_fma_f64 v[122:123], v[122:123], v[136:137], v[122:123]
	s_delay_alu instid0(VALU_DEP_1) | instskip(NEXT) | instid1(VALU_DEP_1)
	v_mul_f64 v[136:137], v[138:139], v[122:123]
	v_fma_f64 v[120:121], -v[120:121], v[136:137], v[138:139]
	s_delay_alu instid0(VALU_DEP_1) | instskip(NEXT) | instid1(VALU_DEP_1)
	v_div_fmas_f64 v[120:121], v[120:121], v[122:123], v[136:137]
	v_div_fixup_f64 v[120:121], v[120:121], v[134:135], v[132:133]
	s_delay_alu instid0(VALU_DEP_1) | instskip(NEXT) | instid1(VALU_DEP_1)
	v_fma_f64 v[122:123], v[132:133], v[120:121], v[134:135]
	v_div_scale_f64 v[132:133], null, v[122:123], v[122:123], 1.0
	s_delay_alu instid0(VALU_DEP_1) | instskip(SKIP_2) | instid1(VALU_DEP_1)
	v_rcp_f64_e32 v[134:135], v[132:133]
	s_waitcnt_depctr 0xfff
	v_fma_f64 v[136:137], -v[132:133], v[134:135], 1.0
	v_fma_f64 v[134:135], v[134:135], v[136:137], v[134:135]
	s_delay_alu instid0(VALU_DEP_1) | instskip(NEXT) | instid1(VALU_DEP_1)
	v_fma_f64 v[136:137], -v[132:133], v[134:135], 1.0
	v_fma_f64 v[134:135], v[134:135], v[136:137], v[134:135]
	v_div_scale_f64 v[136:137], vcc_lo, 1.0, v[122:123], 1.0
	s_delay_alu instid0(VALU_DEP_1) | instskip(NEXT) | instid1(VALU_DEP_1)
	v_mul_f64 v[138:139], v[136:137], v[134:135]
	v_fma_f64 v[132:133], -v[132:133], v[138:139], v[136:137]
	s_delay_alu instid0(VALU_DEP_1) | instskip(NEXT) | instid1(VALU_DEP_1)
	v_div_fmas_f64 v[132:133], v[132:133], v[134:135], v[138:139]
	v_div_fixup_f64 v[138:139], v[132:133], v[122:123], 1.0
                                        ; implicit-def: $vgpr132_vgpr133
	s_delay_alu instid0(VALU_DEP_1)
	v_mul_f64 v[120:121], v[120:121], v[138:139]
	v_xor_b32_e32 v139, 0x80000000, v139
.LBB59_32:
	s_and_not1_saveexec_b32 s3, s3
	s_cbranch_execz .LBB59_34
; %bb.33:
	v_div_scale_f64 v[120:121], null, v[132:133], v[132:133], v[134:135]
	v_div_scale_f64 v[138:139], vcc_lo, v[134:135], v[132:133], v[134:135]
	s_delay_alu instid0(VALU_DEP_2) | instskip(SKIP_2) | instid1(VALU_DEP_1)
	v_rcp_f64_e32 v[122:123], v[120:121]
	s_waitcnt_depctr 0xfff
	v_fma_f64 v[136:137], -v[120:121], v[122:123], 1.0
	v_fma_f64 v[122:123], v[122:123], v[136:137], v[122:123]
	s_delay_alu instid0(VALU_DEP_1) | instskip(NEXT) | instid1(VALU_DEP_1)
	v_fma_f64 v[136:137], -v[120:121], v[122:123], 1.0
	v_fma_f64 v[122:123], v[122:123], v[136:137], v[122:123]
	s_delay_alu instid0(VALU_DEP_1) | instskip(NEXT) | instid1(VALU_DEP_1)
	v_mul_f64 v[136:137], v[138:139], v[122:123]
	v_fma_f64 v[120:121], -v[120:121], v[136:137], v[138:139]
	s_delay_alu instid0(VALU_DEP_1) | instskip(NEXT) | instid1(VALU_DEP_1)
	v_div_fmas_f64 v[120:121], v[120:121], v[122:123], v[136:137]
	v_div_fixup_f64 v[122:123], v[120:121], v[132:133], v[134:135]
	s_delay_alu instid0(VALU_DEP_1) | instskip(NEXT) | instid1(VALU_DEP_1)
	v_fma_f64 v[120:121], v[134:135], v[122:123], v[132:133]
	v_div_scale_f64 v[132:133], null, v[120:121], v[120:121], 1.0
	s_delay_alu instid0(VALU_DEP_1) | instskip(SKIP_2) | instid1(VALU_DEP_1)
	v_rcp_f64_e32 v[134:135], v[132:133]
	s_waitcnt_depctr 0xfff
	v_fma_f64 v[136:137], -v[132:133], v[134:135], 1.0
	v_fma_f64 v[134:135], v[134:135], v[136:137], v[134:135]
	s_delay_alu instid0(VALU_DEP_1) | instskip(NEXT) | instid1(VALU_DEP_1)
	v_fma_f64 v[136:137], -v[132:133], v[134:135], 1.0
	v_fma_f64 v[134:135], v[134:135], v[136:137], v[134:135]
	v_div_scale_f64 v[136:137], vcc_lo, 1.0, v[120:121], 1.0
	s_delay_alu instid0(VALU_DEP_1) | instskip(NEXT) | instid1(VALU_DEP_1)
	v_mul_f64 v[138:139], v[136:137], v[134:135]
	v_fma_f64 v[132:133], -v[132:133], v[138:139], v[136:137]
	s_delay_alu instid0(VALU_DEP_1) | instskip(NEXT) | instid1(VALU_DEP_1)
	v_div_fmas_f64 v[132:133], v[132:133], v[134:135], v[138:139]
	v_div_fixup_f64 v[120:121], v[132:133], v[120:121], 1.0
	s_delay_alu instid0(VALU_DEP_1)
	v_mul_f64 v[138:139], v[122:123], -v[120:121]
.LBB59_34:
	s_or_b32 exec_lo, exec_lo, s3
	ds_store_2addr_b64 v241, v[120:121], v[138:139] offset1:1
.LBB59_35:
	s_or_b32 exec_lo, exec_lo, s4
	s_waitcnt lgkmcnt(0)
	s_barrier
	buffer_gl0_inv
	ds_load_2addr_b64 v[132:135], v241 offset1:1
	s_mov_b32 s3, exec_lo
	v_cmpx_lt_u32_e32 3, v240
	s_cbranch_execz .LBB59_37
; %bb.36:
	s_waitcnt lgkmcnt(0)
	v_mul_f64 v[120:121], v[134:135], v[106:107]
	v_mul_f64 v[106:107], v[132:133], v[106:107]
	s_delay_alu instid0(VALU_DEP_2) | instskip(NEXT) | instid1(VALU_DEP_2)
	v_fma_f64 v[136:137], v[132:133], v[104:105], -v[120:121]
	v_fma_f64 v[106:107], v[134:135], v[104:105], v[106:107]
	ds_load_2addr_b64 v[120:123], v242 offset0:8 offset1:9
	s_waitcnt lgkmcnt(0)
	v_mul_f64 v[104:105], v[122:123], v[106:107]
	s_delay_alu instid0(VALU_DEP_1) | instskip(SKIP_1) | instid1(VALU_DEP_2)
	v_fma_f64 v[104:105], v[120:121], v[136:137], -v[104:105]
	v_mul_f64 v[120:121], v[120:121], v[106:107]
	v_add_f64 v[100:101], v[100:101], -v[104:105]
	s_delay_alu instid0(VALU_DEP_2) | instskip(NEXT) | instid1(VALU_DEP_1)
	v_fma_f64 v[120:121], v[122:123], v[136:137], v[120:121]
	v_add_f64 v[102:103], v[102:103], -v[120:121]
	ds_load_2addr_b64 v[120:123], v242 offset0:10 offset1:11
	s_waitcnt lgkmcnt(0)
	v_mul_f64 v[104:105], v[122:123], v[106:107]
	s_delay_alu instid0(VALU_DEP_1) | instskip(SKIP_1) | instid1(VALU_DEP_2)
	v_fma_f64 v[104:105], v[120:121], v[136:137], -v[104:105]
	v_mul_f64 v[120:121], v[120:121], v[106:107]
	v_add_f64 v[96:97], v[96:97], -v[104:105]
	s_delay_alu instid0(VALU_DEP_2) | instskip(NEXT) | instid1(VALU_DEP_1)
	v_fma_f64 v[120:121], v[122:123], v[136:137], v[120:121]
	v_add_f64 v[98:99], v[98:99], -v[120:121]
	;; [unrolled: 10-line block ×25, first 2 shown]
	ds_load_2addr_b64 v[120:123], v242 offset0:58 offset1:59
	s_waitcnt lgkmcnt(0)
	v_mul_f64 v[104:105], v[122:123], v[106:107]
	s_delay_alu instid0(VALU_DEP_1) | instskip(SKIP_1) | instid1(VALU_DEP_2)
	v_fma_f64 v[104:105], v[120:121], v[136:137], -v[104:105]
	v_mul_f64 v[120:121], v[120:121], v[106:107]
	v_add_f64 v[0:1], v[0:1], -v[104:105]
	s_delay_alu instid0(VALU_DEP_2) | instskip(SKIP_1) | instid1(VALU_DEP_2)
	v_fma_f64 v[120:121], v[122:123], v[136:137], v[120:121]
	v_dual_mov_b32 v104, v136 :: v_dual_mov_b32 v105, v137
	v_add_f64 v[2:3], v[2:3], -v[120:121]
.LBB59_37:
	s_or_b32 exec_lo, exec_lo, s3
	s_delay_alu instid0(SALU_CYCLE_1)
	s_mov_b32 s4, exec_lo
	s_waitcnt lgkmcnt(0)
	s_barrier
	buffer_gl0_inv
	v_cmpx_eq_u32_e32 4, v240
	s_cbranch_execz .LBB59_44
; %bb.38:
	ds_store_2addr_b64 v241, v[100:101], v[102:103] offset1:1
	ds_store_2addr_b64 v242, v[96:97], v[98:99] offset0:10 offset1:11
	ds_store_2addr_b64 v242, v[92:93], v[94:95] offset0:12 offset1:13
	;; [unrolled: 1-line block ×25, first 2 shown]
	ds_load_2addr_b64 v[136:139], v241 offset1:1
	s_waitcnt lgkmcnt(0)
	v_cmp_neq_f64_e32 vcc_lo, 0, v[136:137]
	v_cmp_neq_f64_e64 s3, 0, v[138:139]
	s_delay_alu instid0(VALU_DEP_1) | instskip(NEXT) | instid1(SALU_CYCLE_1)
	s_or_b32 s3, vcc_lo, s3
	s_and_b32 exec_lo, exec_lo, s3
	s_cbranch_execz .LBB59_44
; %bb.39:
	v_cmp_gt_f64_e32 vcc_lo, 0, v[136:137]
	v_cmp_gt_f64_e64 s3, 0, v[138:139]
	v_xor_b32_e32 v120, 0x80000000, v137
	v_xor_b32_e32 v122, 0x80000000, v139
	s_delay_alu instid0(VALU_DEP_2) | instskip(NEXT) | instid1(VALU_DEP_2)
	v_cndmask_b32_e32 v121, v137, v120, vcc_lo
	v_cndmask_b32_e64 v123, v139, v122, s3
	v_cndmask_b32_e32 v120, v136, v136, vcc_lo
	v_cndmask_b32_e64 v122, v138, v138, s3
	s_delay_alu instid0(VALU_DEP_1) | instskip(SKIP_1) | instid1(SALU_CYCLE_1)
	v_cmp_ngt_f64_e32 vcc_lo, v[120:121], v[122:123]
                                        ; implicit-def: $vgpr120_vgpr121
	s_and_saveexec_b32 s3, vcc_lo
	s_xor_b32 s3, exec_lo, s3
                                        ; implicit-def: $vgpr140_vgpr141_vgpr142_vgpr143
	s_cbranch_execz .LBB59_41
; %bb.40:
	v_div_scale_f64 v[120:121], null, v[138:139], v[138:139], v[136:137]
	v_div_scale_f64 v[142:143], vcc_lo, v[136:137], v[138:139], v[136:137]
	s_delay_alu instid0(VALU_DEP_2) | instskip(SKIP_2) | instid1(VALU_DEP_1)
	v_rcp_f64_e32 v[122:123], v[120:121]
	s_waitcnt_depctr 0xfff
	v_fma_f64 v[140:141], -v[120:121], v[122:123], 1.0
	v_fma_f64 v[122:123], v[122:123], v[140:141], v[122:123]
	s_delay_alu instid0(VALU_DEP_1) | instskip(NEXT) | instid1(VALU_DEP_1)
	v_fma_f64 v[140:141], -v[120:121], v[122:123], 1.0
	v_fma_f64 v[122:123], v[122:123], v[140:141], v[122:123]
	s_delay_alu instid0(VALU_DEP_1) | instskip(NEXT) | instid1(VALU_DEP_1)
	v_mul_f64 v[140:141], v[142:143], v[122:123]
	v_fma_f64 v[120:121], -v[120:121], v[140:141], v[142:143]
	s_delay_alu instid0(VALU_DEP_1) | instskip(NEXT) | instid1(VALU_DEP_1)
	v_div_fmas_f64 v[120:121], v[120:121], v[122:123], v[140:141]
	v_div_fixup_f64 v[120:121], v[120:121], v[138:139], v[136:137]
	s_delay_alu instid0(VALU_DEP_1) | instskip(NEXT) | instid1(VALU_DEP_1)
	v_fma_f64 v[122:123], v[136:137], v[120:121], v[138:139]
	v_div_scale_f64 v[136:137], null, v[122:123], v[122:123], 1.0
	s_delay_alu instid0(VALU_DEP_1) | instskip(SKIP_2) | instid1(VALU_DEP_1)
	v_rcp_f64_e32 v[138:139], v[136:137]
	s_waitcnt_depctr 0xfff
	v_fma_f64 v[140:141], -v[136:137], v[138:139], 1.0
	v_fma_f64 v[138:139], v[138:139], v[140:141], v[138:139]
	s_delay_alu instid0(VALU_DEP_1) | instskip(NEXT) | instid1(VALU_DEP_1)
	v_fma_f64 v[140:141], -v[136:137], v[138:139], 1.0
	v_fma_f64 v[138:139], v[138:139], v[140:141], v[138:139]
	v_div_scale_f64 v[140:141], vcc_lo, 1.0, v[122:123], 1.0
	s_delay_alu instid0(VALU_DEP_1) | instskip(NEXT) | instid1(VALU_DEP_1)
	v_mul_f64 v[142:143], v[140:141], v[138:139]
	v_fma_f64 v[136:137], -v[136:137], v[142:143], v[140:141]
	s_delay_alu instid0(VALU_DEP_1) | instskip(NEXT) | instid1(VALU_DEP_1)
	v_div_fmas_f64 v[136:137], v[136:137], v[138:139], v[142:143]
	v_div_fixup_f64 v[142:143], v[136:137], v[122:123], 1.0
                                        ; implicit-def: $vgpr136_vgpr137
	s_delay_alu instid0(VALU_DEP_1)
	v_mul_f64 v[120:121], v[120:121], v[142:143]
	v_xor_b32_e32 v143, 0x80000000, v143
.LBB59_41:
	s_and_not1_saveexec_b32 s3, s3
	s_cbranch_execz .LBB59_43
; %bb.42:
	v_div_scale_f64 v[120:121], null, v[136:137], v[136:137], v[138:139]
	v_div_scale_f64 v[142:143], vcc_lo, v[138:139], v[136:137], v[138:139]
	s_delay_alu instid0(VALU_DEP_2) | instskip(SKIP_2) | instid1(VALU_DEP_1)
	v_rcp_f64_e32 v[122:123], v[120:121]
	s_waitcnt_depctr 0xfff
	v_fma_f64 v[140:141], -v[120:121], v[122:123], 1.0
	v_fma_f64 v[122:123], v[122:123], v[140:141], v[122:123]
	s_delay_alu instid0(VALU_DEP_1) | instskip(NEXT) | instid1(VALU_DEP_1)
	v_fma_f64 v[140:141], -v[120:121], v[122:123], 1.0
	v_fma_f64 v[122:123], v[122:123], v[140:141], v[122:123]
	s_delay_alu instid0(VALU_DEP_1) | instskip(NEXT) | instid1(VALU_DEP_1)
	v_mul_f64 v[140:141], v[142:143], v[122:123]
	v_fma_f64 v[120:121], -v[120:121], v[140:141], v[142:143]
	s_delay_alu instid0(VALU_DEP_1) | instskip(NEXT) | instid1(VALU_DEP_1)
	v_div_fmas_f64 v[120:121], v[120:121], v[122:123], v[140:141]
	v_div_fixup_f64 v[122:123], v[120:121], v[136:137], v[138:139]
	s_delay_alu instid0(VALU_DEP_1) | instskip(NEXT) | instid1(VALU_DEP_1)
	v_fma_f64 v[120:121], v[138:139], v[122:123], v[136:137]
	v_div_scale_f64 v[136:137], null, v[120:121], v[120:121], 1.0
	s_delay_alu instid0(VALU_DEP_1) | instskip(SKIP_2) | instid1(VALU_DEP_1)
	v_rcp_f64_e32 v[138:139], v[136:137]
	s_waitcnt_depctr 0xfff
	v_fma_f64 v[140:141], -v[136:137], v[138:139], 1.0
	v_fma_f64 v[138:139], v[138:139], v[140:141], v[138:139]
	s_delay_alu instid0(VALU_DEP_1) | instskip(NEXT) | instid1(VALU_DEP_1)
	v_fma_f64 v[140:141], -v[136:137], v[138:139], 1.0
	v_fma_f64 v[138:139], v[138:139], v[140:141], v[138:139]
	v_div_scale_f64 v[140:141], vcc_lo, 1.0, v[120:121], 1.0
	s_delay_alu instid0(VALU_DEP_1) | instskip(NEXT) | instid1(VALU_DEP_1)
	v_mul_f64 v[142:143], v[140:141], v[138:139]
	v_fma_f64 v[136:137], -v[136:137], v[142:143], v[140:141]
	s_delay_alu instid0(VALU_DEP_1) | instskip(NEXT) | instid1(VALU_DEP_1)
	v_div_fmas_f64 v[136:137], v[136:137], v[138:139], v[142:143]
	v_div_fixup_f64 v[120:121], v[136:137], v[120:121], 1.0
	s_delay_alu instid0(VALU_DEP_1)
	v_mul_f64 v[142:143], v[122:123], -v[120:121]
.LBB59_43:
	s_or_b32 exec_lo, exec_lo, s3
	ds_store_2addr_b64 v241, v[120:121], v[142:143] offset1:1
.LBB59_44:
	s_or_b32 exec_lo, exec_lo, s4
	s_waitcnt lgkmcnt(0)
	s_barrier
	buffer_gl0_inv
	ds_load_2addr_b64 v[136:139], v241 offset1:1
	s_mov_b32 s3, exec_lo
	v_cmpx_lt_u32_e32 4, v240
	s_cbranch_execz .LBB59_46
; %bb.45:
	s_waitcnt lgkmcnt(0)
	v_mul_f64 v[120:121], v[138:139], v[102:103]
	v_mul_f64 v[102:103], v[136:137], v[102:103]
	s_delay_alu instid0(VALU_DEP_2) | instskip(NEXT) | instid1(VALU_DEP_2)
	v_fma_f64 v[140:141], v[136:137], v[100:101], -v[120:121]
	v_fma_f64 v[102:103], v[138:139], v[100:101], v[102:103]
	ds_load_2addr_b64 v[120:123], v242 offset0:10 offset1:11
	s_waitcnt lgkmcnt(0)
	v_mul_f64 v[100:101], v[122:123], v[102:103]
	s_delay_alu instid0(VALU_DEP_1) | instskip(SKIP_1) | instid1(VALU_DEP_2)
	v_fma_f64 v[100:101], v[120:121], v[140:141], -v[100:101]
	v_mul_f64 v[120:121], v[120:121], v[102:103]
	v_add_f64 v[96:97], v[96:97], -v[100:101]
	s_delay_alu instid0(VALU_DEP_2) | instskip(NEXT) | instid1(VALU_DEP_1)
	v_fma_f64 v[120:121], v[122:123], v[140:141], v[120:121]
	v_add_f64 v[98:99], v[98:99], -v[120:121]
	ds_load_2addr_b64 v[120:123], v242 offset0:12 offset1:13
	s_waitcnt lgkmcnt(0)
	v_mul_f64 v[100:101], v[122:123], v[102:103]
	s_delay_alu instid0(VALU_DEP_1) | instskip(SKIP_1) | instid1(VALU_DEP_2)
	v_fma_f64 v[100:101], v[120:121], v[140:141], -v[100:101]
	v_mul_f64 v[120:121], v[120:121], v[102:103]
	v_add_f64 v[92:93], v[92:93], -v[100:101]
	s_delay_alu instid0(VALU_DEP_2) | instskip(NEXT) | instid1(VALU_DEP_1)
	v_fma_f64 v[120:121], v[122:123], v[140:141], v[120:121]
	v_add_f64 v[94:95], v[94:95], -v[120:121]
	;; [unrolled: 10-line block ×24, first 2 shown]
	ds_load_2addr_b64 v[120:123], v242 offset0:58 offset1:59
	s_waitcnt lgkmcnt(0)
	v_mul_f64 v[100:101], v[122:123], v[102:103]
	s_delay_alu instid0(VALU_DEP_1) | instskip(SKIP_1) | instid1(VALU_DEP_2)
	v_fma_f64 v[100:101], v[120:121], v[140:141], -v[100:101]
	v_mul_f64 v[120:121], v[120:121], v[102:103]
	v_add_f64 v[0:1], v[0:1], -v[100:101]
	s_delay_alu instid0(VALU_DEP_2) | instskip(SKIP_1) | instid1(VALU_DEP_2)
	v_fma_f64 v[120:121], v[122:123], v[140:141], v[120:121]
	v_dual_mov_b32 v100, v140 :: v_dual_mov_b32 v101, v141
	v_add_f64 v[2:3], v[2:3], -v[120:121]
.LBB59_46:
	s_or_b32 exec_lo, exec_lo, s3
	s_delay_alu instid0(SALU_CYCLE_1)
	s_mov_b32 s4, exec_lo
	s_waitcnt lgkmcnt(0)
	s_barrier
	buffer_gl0_inv
	v_cmpx_eq_u32_e32 5, v240
	s_cbranch_execz .LBB59_53
; %bb.47:
	ds_store_2addr_b64 v241, v[96:97], v[98:99] offset1:1
	ds_store_2addr_b64 v242, v[92:93], v[94:95] offset0:12 offset1:13
	ds_store_2addr_b64 v242, v[88:89], v[90:91] offset0:14 offset1:15
	;; [unrolled: 1-line block ×24, first 2 shown]
	ds_load_2addr_b64 v[140:143], v241 offset1:1
	s_waitcnt lgkmcnt(0)
	v_cmp_neq_f64_e32 vcc_lo, 0, v[140:141]
	v_cmp_neq_f64_e64 s3, 0, v[142:143]
	s_delay_alu instid0(VALU_DEP_1) | instskip(NEXT) | instid1(SALU_CYCLE_1)
	s_or_b32 s3, vcc_lo, s3
	s_and_b32 exec_lo, exec_lo, s3
	s_cbranch_execz .LBB59_53
; %bb.48:
	v_cmp_gt_f64_e32 vcc_lo, 0, v[140:141]
	v_cmp_gt_f64_e64 s3, 0, v[142:143]
	v_xor_b32_e32 v120, 0x80000000, v141
	v_xor_b32_e32 v122, 0x80000000, v143
	s_delay_alu instid0(VALU_DEP_2) | instskip(NEXT) | instid1(VALU_DEP_2)
	v_cndmask_b32_e32 v121, v141, v120, vcc_lo
	v_cndmask_b32_e64 v123, v143, v122, s3
	v_cndmask_b32_e32 v120, v140, v140, vcc_lo
	v_cndmask_b32_e64 v122, v142, v142, s3
	s_delay_alu instid0(VALU_DEP_1) | instskip(SKIP_1) | instid1(SALU_CYCLE_1)
	v_cmp_ngt_f64_e32 vcc_lo, v[120:121], v[122:123]
                                        ; implicit-def: $vgpr120_vgpr121
	s_and_saveexec_b32 s3, vcc_lo
	s_xor_b32 s3, exec_lo, s3
                                        ; implicit-def: $vgpr144_vgpr145_vgpr146_vgpr147
	s_cbranch_execz .LBB59_50
; %bb.49:
	v_div_scale_f64 v[120:121], null, v[142:143], v[142:143], v[140:141]
	v_div_scale_f64 v[146:147], vcc_lo, v[140:141], v[142:143], v[140:141]
	s_delay_alu instid0(VALU_DEP_2) | instskip(SKIP_2) | instid1(VALU_DEP_1)
	v_rcp_f64_e32 v[122:123], v[120:121]
	s_waitcnt_depctr 0xfff
	v_fma_f64 v[144:145], -v[120:121], v[122:123], 1.0
	v_fma_f64 v[122:123], v[122:123], v[144:145], v[122:123]
	s_delay_alu instid0(VALU_DEP_1) | instskip(NEXT) | instid1(VALU_DEP_1)
	v_fma_f64 v[144:145], -v[120:121], v[122:123], 1.0
	v_fma_f64 v[122:123], v[122:123], v[144:145], v[122:123]
	s_delay_alu instid0(VALU_DEP_1) | instskip(NEXT) | instid1(VALU_DEP_1)
	v_mul_f64 v[144:145], v[146:147], v[122:123]
	v_fma_f64 v[120:121], -v[120:121], v[144:145], v[146:147]
	s_delay_alu instid0(VALU_DEP_1) | instskip(NEXT) | instid1(VALU_DEP_1)
	v_div_fmas_f64 v[120:121], v[120:121], v[122:123], v[144:145]
	v_div_fixup_f64 v[120:121], v[120:121], v[142:143], v[140:141]
	s_delay_alu instid0(VALU_DEP_1) | instskip(NEXT) | instid1(VALU_DEP_1)
	v_fma_f64 v[122:123], v[140:141], v[120:121], v[142:143]
	v_div_scale_f64 v[140:141], null, v[122:123], v[122:123], 1.0
	s_delay_alu instid0(VALU_DEP_1) | instskip(SKIP_2) | instid1(VALU_DEP_1)
	v_rcp_f64_e32 v[142:143], v[140:141]
	s_waitcnt_depctr 0xfff
	v_fma_f64 v[144:145], -v[140:141], v[142:143], 1.0
	v_fma_f64 v[142:143], v[142:143], v[144:145], v[142:143]
	s_delay_alu instid0(VALU_DEP_1) | instskip(NEXT) | instid1(VALU_DEP_1)
	v_fma_f64 v[144:145], -v[140:141], v[142:143], 1.0
	v_fma_f64 v[142:143], v[142:143], v[144:145], v[142:143]
	v_div_scale_f64 v[144:145], vcc_lo, 1.0, v[122:123], 1.0
	s_delay_alu instid0(VALU_DEP_1) | instskip(NEXT) | instid1(VALU_DEP_1)
	v_mul_f64 v[146:147], v[144:145], v[142:143]
	v_fma_f64 v[140:141], -v[140:141], v[146:147], v[144:145]
	s_delay_alu instid0(VALU_DEP_1) | instskip(NEXT) | instid1(VALU_DEP_1)
	v_div_fmas_f64 v[140:141], v[140:141], v[142:143], v[146:147]
	v_div_fixup_f64 v[146:147], v[140:141], v[122:123], 1.0
                                        ; implicit-def: $vgpr140_vgpr141
	s_delay_alu instid0(VALU_DEP_1)
	v_mul_f64 v[120:121], v[120:121], v[146:147]
	v_xor_b32_e32 v147, 0x80000000, v147
.LBB59_50:
	s_and_not1_saveexec_b32 s3, s3
	s_cbranch_execz .LBB59_52
; %bb.51:
	v_div_scale_f64 v[120:121], null, v[140:141], v[140:141], v[142:143]
	v_div_scale_f64 v[146:147], vcc_lo, v[142:143], v[140:141], v[142:143]
	s_delay_alu instid0(VALU_DEP_2) | instskip(SKIP_2) | instid1(VALU_DEP_1)
	v_rcp_f64_e32 v[122:123], v[120:121]
	s_waitcnt_depctr 0xfff
	v_fma_f64 v[144:145], -v[120:121], v[122:123], 1.0
	v_fma_f64 v[122:123], v[122:123], v[144:145], v[122:123]
	s_delay_alu instid0(VALU_DEP_1) | instskip(NEXT) | instid1(VALU_DEP_1)
	v_fma_f64 v[144:145], -v[120:121], v[122:123], 1.0
	v_fma_f64 v[122:123], v[122:123], v[144:145], v[122:123]
	s_delay_alu instid0(VALU_DEP_1) | instskip(NEXT) | instid1(VALU_DEP_1)
	v_mul_f64 v[144:145], v[146:147], v[122:123]
	v_fma_f64 v[120:121], -v[120:121], v[144:145], v[146:147]
	s_delay_alu instid0(VALU_DEP_1) | instskip(NEXT) | instid1(VALU_DEP_1)
	v_div_fmas_f64 v[120:121], v[120:121], v[122:123], v[144:145]
	v_div_fixup_f64 v[122:123], v[120:121], v[140:141], v[142:143]
	s_delay_alu instid0(VALU_DEP_1) | instskip(NEXT) | instid1(VALU_DEP_1)
	v_fma_f64 v[120:121], v[142:143], v[122:123], v[140:141]
	v_div_scale_f64 v[140:141], null, v[120:121], v[120:121], 1.0
	s_delay_alu instid0(VALU_DEP_1) | instskip(SKIP_2) | instid1(VALU_DEP_1)
	v_rcp_f64_e32 v[142:143], v[140:141]
	s_waitcnt_depctr 0xfff
	v_fma_f64 v[144:145], -v[140:141], v[142:143], 1.0
	v_fma_f64 v[142:143], v[142:143], v[144:145], v[142:143]
	s_delay_alu instid0(VALU_DEP_1) | instskip(NEXT) | instid1(VALU_DEP_1)
	v_fma_f64 v[144:145], -v[140:141], v[142:143], 1.0
	v_fma_f64 v[142:143], v[142:143], v[144:145], v[142:143]
	v_div_scale_f64 v[144:145], vcc_lo, 1.0, v[120:121], 1.0
	s_delay_alu instid0(VALU_DEP_1) | instskip(NEXT) | instid1(VALU_DEP_1)
	v_mul_f64 v[146:147], v[144:145], v[142:143]
	v_fma_f64 v[140:141], -v[140:141], v[146:147], v[144:145]
	s_delay_alu instid0(VALU_DEP_1) | instskip(NEXT) | instid1(VALU_DEP_1)
	v_div_fmas_f64 v[140:141], v[140:141], v[142:143], v[146:147]
	v_div_fixup_f64 v[120:121], v[140:141], v[120:121], 1.0
	s_delay_alu instid0(VALU_DEP_1)
	v_mul_f64 v[146:147], v[122:123], -v[120:121]
.LBB59_52:
	s_or_b32 exec_lo, exec_lo, s3
	ds_store_2addr_b64 v241, v[120:121], v[146:147] offset1:1
.LBB59_53:
	s_or_b32 exec_lo, exec_lo, s4
	s_waitcnt lgkmcnt(0)
	s_barrier
	buffer_gl0_inv
	ds_load_2addr_b64 v[140:143], v241 offset1:1
	s_mov_b32 s3, exec_lo
	v_cmpx_lt_u32_e32 5, v240
	s_cbranch_execz .LBB59_55
; %bb.54:
	s_waitcnt lgkmcnt(0)
	v_mul_f64 v[120:121], v[142:143], v[98:99]
	v_mul_f64 v[98:99], v[140:141], v[98:99]
	s_delay_alu instid0(VALU_DEP_2) | instskip(NEXT) | instid1(VALU_DEP_2)
	v_fma_f64 v[144:145], v[140:141], v[96:97], -v[120:121]
	v_fma_f64 v[98:99], v[142:143], v[96:97], v[98:99]
	ds_load_2addr_b64 v[120:123], v242 offset0:12 offset1:13
	s_waitcnt lgkmcnt(0)
	v_mul_f64 v[96:97], v[122:123], v[98:99]
	s_delay_alu instid0(VALU_DEP_1) | instskip(SKIP_1) | instid1(VALU_DEP_2)
	v_fma_f64 v[96:97], v[120:121], v[144:145], -v[96:97]
	v_mul_f64 v[120:121], v[120:121], v[98:99]
	v_add_f64 v[92:93], v[92:93], -v[96:97]
	s_delay_alu instid0(VALU_DEP_2) | instskip(NEXT) | instid1(VALU_DEP_1)
	v_fma_f64 v[120:121], v[122:123], v[144:145], v[120:121]
	v_add_f64 v[94:95], v[94:95], -v[120:121]
	ds_load_2addr_b64 v[120:123], v242 offset0:14 offset1:15
	s_waitcnt lgkmcnt(0)
	v_mul_f64 v[96:97], v[122:123], v[98:99]
	s_delay_alu instid0(VALU_DEP_1) | instskip(SKIP_1) | instid1(VALU_DEP_2)
	v_fma_f64 v[96:97], v[120:121], v[144:145], -v[96:97]
	v_mul_f64 v[120:121], v[120:121], v[98:99]
	v_add_f64 v[88:89], v[88:89], -v[96:97]
	s_delay_alu instid0(VALU_DEP_2) | instskip(NEXT) | instid1(VALU_DEP_1)
	v_fma_f64 v[120:121], v[122:123], v[144:145], v[120:121]
	v_add_f64 v[90:91], v[90:91], -v[120:121]
	;; [unrolled: 10-line block ×23, first 2 shown]
	ds_load_2addr_b64 v[120:123], v242 offset0:58 offset1:59
	s_waitcnt lgkmcnt(0)
	v_mul_f64 v[96:97], v[122:123], v[98:99]
	s_delay_alu instid0(VALU_DEP_1) | instskip(SKIP_1) | instid1(VALU_DEP_2)
	v_fma_f64 v[96:97], v[120:121], v[144:145], -v[96:97]
	v_mul_f64 v[120:121], v[120:121], v[98:99]
	v_add_f64 v[0:1], v[0:1], -v[96:97]
	s_delay_alu instid0(VALU_DEP_2) | instskip(SKIP_1) | instid1(VALU_DEP_2)
	v_fma_f64 v[120:121], v[122:123], v[144:145], v[120:121]
	v_dual_mov_b32 v96, v144 :: v_dual_mov_b32 v97, v145
	v_add_f64 v[2:3], v[2:3], -v[120:121]
.LBB59_55:
	s_or_b32 exec_lo, exec_lo, s3
	s_delay_alu instid0(SALU_CYCLE_1)
	s_mov_b32 s4, exec_lo
	s_waitcnt lgkmcnt(0)
	s_barrier
	buffer_gl0_inv
	v_cmpx_eq_u32_e32 6, v240
	s_cbranch_execz .LBB59_62
; %bb.56:
	ds_store_2addr_b64 v241, v[92:93], v[94:95] offset1:1
	ds_store_2addr_b64 v242, v[88:89], v[90:91] offset0:14 offset1:15
	ds_store_2addr_b64 v242, v[84:85], v[86:87] offset0:16 offset1:17
	ds_store_2addr_b64 v242, v[80:81], v[82:83] offset0:18 offset1:19
	ds_store_2addr_b64 v242, v[76:77], v[78:79] offset0:20 offset1:21
	ds_store_2addr_b64 v242, v[72:73], v[74:75] offset0:22 offset1:23
	ds_store_2addr_b64 v242, v[68:69], v[70:71] offset0:24 offset1:25
	ds_store_2addr_b64 v242, v[64:65], v[66:67] offset0:26 offset1:27
	ds_store_2addr_b64 v242, v[60:61], v[62:63] offset0:28 offset1:29
	ds_store_2addr_b64 v242, v[56:57], v[58:59] offset0:30 offset1:31
	ds_store_2addr_b64 v242, v[52:53], v[54:55] offset0:32 offset1:33
	ds_store_2addr_b64 v242, v[48:49], v[50:51] offset0:34 offset1:35
	ds_store_2addr_b64 v242, v[44:45], v[46:47] offset0:36 offset1:37
	ds_store_2addr_b64 v242, v[40:41], v[42:43] offset0:38 offset1:39
	ds_store_2addr_b64 v242, v[36:37], v[38:39] offset0:40 offset1:41
	ds_store_2addr_b64 v242, v[32:33], v[34:35] offset0:42 offset1:43
	ds_store_2addr_b64 v242, v[28:29], v[30:31] offset0:44 offset1:45
	ds_store_2addr_b64 v242, v[24:25], v[26:27] offset0:46 offset1:47
	ds_store_2addr_b64 v242, v[20:21], v[22:23] offset0:48 offset1:49
	ds_store_2addr_b64 v242, v[16:17], v[18:19] offset0:50 offset1:51
	ds_store_2addr_b64 v242, v[12:13], v[14:15] offset0:52 offset1:53
	ds_store_2addr_b64 v242, v[8:9], v[10:11] offset0:54 offset1:55
	ds_store_2addr_b64 v242, v[4:5], v[6:7] offset0:56 offset1:57
	ds_store_2addr_b64 v242, v[0:1], v[2:3] offset0:58 offset1:59
	ds_load_2addr_b64 v[144:147], v241 offset1:1
	s_waitcnt lgkmcnt(0)
	v_cmp_neq_f64_e32 vcc_lo, 0, v[144:145]
	v_cmp_neq_f64_e64 s3, 0, v[146:147]
	s_delay_alu instid0(VALU_DEP_1) | instskip(NEXT) | instid1(SALU_CYCLE_1)
	s_or_b32 s3, vcc_lo, s3
	s_and_b32 exec_lo, exec_lo, s3
	s_cbranch_execz .LBB59_62
; %bb.57:
	v_cmp_gt_f64_e32 vcc_lo, 0, v[144:145]
	v_cmp_gt_f64_e64 s3, 0, v[146:147]
	v_xor_b32_e32 v120, 0x80000000, v145
	v_xor_b32_e32 v122, 0x80000000, v147
	s_delay_alu instid0(VALU_DEP_2) | instskip(NEXT) | instid1(VALU_DEP_2)
	v_cndmask_b32_e32 v121, v145, v120, vcc_lo
	v_cndmask_b32_e64 v123, v147, v122, s3
	v_cndmask_b32_e32 v120, v144, v144, vcc_lo
	v_cndmask_b32_e64 v122, v146, v146, s3
	s_delay_alu instid0(VALU_DEP_1) | instskip(SKIP_1) | instid1(SALU_CYCLE_1)
	v_cmp_ngt_f64_e32 vcc_lo, v[120:121], v[122:123]
                                        ; implicit-def: $vgpr120_vgpr121
	s_and_saveexec_b32 s3, vcc_lo
	s_xor_b32 s3, exec_lo, s3
                                        ; implicit-def: $vgpr148_vgpr149_vgpr150_vgpr151
	s_cbranch_execz .LBB59_59
; %bb.58:
	v_div_scale_f64 v[120:121], null, v[146:147], v[146:147], v[144:145]
	v_div_scale_f64 v[150:151], vcc_lo, v[144:145], v[146:147], v[144:145]
	s_delay_alu instid0(VALU_DEP_2) | instskip(SKIP_2) | instid1(VALU_DEP_1)
	v_rcp_f64_e32 v[122:123], v[120:121]
	s_waitcnt_depctr 0xfff
	v_fma_f64 v[148:149], -v[120:121], v[122:123], 1.0
	v_fma_f64 v[122:123], v[122:123], v[148:149], v[122:123]
	s_delay_alu instid0(VALU_DEP_1) | instskip(NEXT) | instid1(VALU_DEP_1)
	v_fma_f64 v[148:149], -v[120:121], v[122:123], 1.0
	v_fma_f64 v[122:123], v[122:123], v[148:149], v[122:123]
	s_delay_alu instid0(VALU_DEP_1) | instskip(NEXT) | instid1(VALU_DEP_1)
	v_mul_f64 v[148:149], v[150:151], v[122:123]
	v_fma_f64 v[120:121], -v[120:121], v[148:149], v[150:151]
	s_delay_alu instid0(VALU_DEP_1) | instskip(NEXT) | instid1(VALU_DEP_1)
	v_div_fmas_f64 v[120:121], v[120:121], v[122:123], v[148:149]
	v_div_fixup_f64 v[120:121], v[120:121], v[146:147], v[144:145]
	s_delay_alu instid0(VALU_DEP_1) | instskip(NEXT) | instid1(VALU_DEP_1)
	v_fma_f64 v[122:123], v[144:145], v[120:121], v[146:147]
	v_div_scale_f64 v[144:145], null, v[122:123], v[122:123], 1.0
	s_delay_alu instid0(VALU_DEP_1) | instskip(SKIP_2) | instid1(VALU_DEP_1)
	v_rcp_f64_e32 v[146:147], v[144:145]
	s_waitcnt_depctr 0xfff
	v_fma_f64 v[148:149], -v[144:145], v[146:147], 1.0
	v_fma_f64 v[146:147], v[146:147], v[148:149], v[146:147]
	s_delay_alu instid0(VALU_DEP_1) | instskip(NEXT) | instid1(VALU_DEP_1)
	v_fma_f64 v[148:149], -v[144:145], v[146:147], 1.0
	v_fma_f64 v[146:147], v[146:147], v[148:149], v[146:147]
	v_div_scale_f64 v[148:149], vcc_lo, 1.0, v[122:123], 1.0
	s_delay_alu instid0(VALU_DEP_1) | instskip(NEXT) | instid1(VALU_DEP_1)
	v_mul_f64 v[150:151], v[148:149], v[146:147]
	v_fma_f64 v[144:145], -v[144:145], v[150:151], v[148:149]
	s_delay_alu instid0(VALU_DEP_1) | instskip(NEXT) | instid1(VALU_DEP_1)
	v_div_fmas_f64 v[144:145], v[144:145], v[146:147], v[150:151]
	v_div_fixup_f64 v[150:151], v[144:145], v[122:123], 1.0
                                        ; implicit-def: $vgpr144_vgpr145
	s_delay_alu instid0(VALU_DEP_1)
	v_mul_f64 v[120:121], v[120:121], v[150:151]
	v_xor_b32_e32 v151, 0x80000000, v151
.LBB59_59:
	s_and_not1_saveexec_b32 s3, s3
	s_cbranch_execz .LBB59_61
; %bb.60:
	v_div_scale_f64 v[120:121], null, v[144:145], v[144:145], v[146:147]
	v_div_scale_f64 v[150:151], vcc_lo, v[146:147], v[144:145], v[146:147]
	s_delay_alu instid0(VALU_DEP_2) | instskip(SKIP_2) | instid1(VALU_DEP_1)
	v_rcp_f64_e32 v[122:123], v[120:121]
	s_waitcnt_depctr 0xfff
	v_fma_f64 v[148:149], -v[120:121], v[122:123], 1.0
	v_fma_f64 v[122:123], v[122:123], v[148:149], v[122:123]
	s_delay_alu instid0(VALU_DEP_1) | instskip(NEXT) | instid1(VALU_DEP_1)
	v_fma_f64 v[148:149], -v[120:121], v[122:123], 1.0
	v_fma_f64 v[122:123], v[122:123], v[148:149], v[122:123]
	s_delay_alu instid0(VALU_DEP_1) | instskip(NEXT) | instid1(VALU_DEP_1)
	v_mul_f64 v[148:149], v[150:151], v[122:123]
	v_fma_f64 v[120:121], -v[120:121], v[148:149], v[150:151]
	s_delay_alu instid0(VALU_DEP_1) | instskip(NEXT) | instid1(VALU_DEP_1)
	v_div_fmas_f64 v[120:121], v[120:121], v[122:123], v[148:149]
	v_div_fixup_f64 v[122:123], v[120:121], v[144:145], v[146:147]
	s_delay_alu instid0(VALU_DEP_1) | instskip(NEXT) | instid1(VALU_DEP_1)
	v_fma_f64 v[120:121], v[146:147], v[122:123], v[144:145]
	v_div_scale_f64 v[144:145], null, v[120:121], v[120:121], 1.0
	s_delay_alu instid0(VALU_DEP_1) | instskip(SKIP_2) | instid1(VALU_DEP_1)
	v_rcp_f64_e32 v[146:147], v[144:145]
	s_waitcnt_depctr 0xfff
	v_fma_f64 v[148:149], -v[144:145], v[146:147], 1.0
	v_fma_f64 v[146:147], v[146:147], v[148:149], v[146:147]
	s_delay_alu instid0(VALU_DEP_1) | instskip(NEXT) | instid1(VALU_DEP_1)
	v_fma_f64 v[148:149], -v[144:145], v[146:147], 1.0
	v_fma_f64 v[146:147], v[146:147], v[148:149], v[146:147]
	v_div_scale_f64 v[148:149], vcc_lo, 1.0, v[120:121], 1.0
	s_delay_alu instid0(VALU_DEP_1) | instskip(NEXT) | instid1(VALU_DEP_1)
	v_mul_f64 v[150:151], v[148:149], v[146:147]
	v_fma_f64 v[144:145], -v[144:145], v[150:151], v[148:149]
	s_delay_alu instid0(VALU_DEP_1) | instskip(NEXT) | instid1(VALU_DEP_1)
	v_div_fmas_f64 v[144:145], v[144:145], v[146:147], v[150:151]
	v_div_fixup_f64 v[120:121], v[144:145], v[120:121], 1.0
	s_delay_alu instid0(VALU_DEP_1)
	v_mul_f64 v[150:151], v[122:123], -v[120:121]
.LBB59_61:
	s_or_b32 exec_lo, exec_lo, s3
	ds_store_2addr_b64 v241, v[120:121], v[150:151] offset1:1
.LBB59_62:
	s_or_b32 exec_lo, exec_lo, s4
	s_waitcnt lgkmcnt(0)
	s_barrier
	buffer_gl0_inv
	ds_load_2addr_b64 v[144:147], v241 offset1:1
	s_mov_b32 s3, exec_lo
	v_cmpx_lt_u32_e32 6, v240
	s_cbranch_execz .LBB59_64
; %bb.63:
	s_waitcnt lgkmcnt(0)
	v_mul_f64 v[120:121], v[146:147], v[94:95]
	v_mul_f64 v[94:95], v[144:145], v[94:95]
	s_delay_alu instid0(VALU_DEP_2) | instskip(NEXT) | instid1(VALU_DEP_2)
	v_fma_f64 v[148:149], v[144:145], v[92:93], -v[120:121]
	v_fma_f64 v[94:95], v[146:147], v[92:93], v[94:95]
	ds_load_2addr_b64 v[120:123], v242 offset0:14 offset1:15
	s_waitcnt lgkmcnt(0)
	v_mul_f64 v[92:93], v[122:123], v[94:95]
	s_delay_alu instid0(VALU_DEP_1) | instskip(SKIP_1) | instid1(VALU_DEP_2)
	v_fma_f64 v[92:93], v[120:121], v[148:149], -v[92:93]
	v_mul_f64 v[120:121], v[120:121], v[94:95]
	v_add_f64 v[88:89], v[88:89], -v[92:93]
	s_delay_alu instid0(VALU_DEP_2) | instskip(NEXT) | instid1(VALU_DEP_1)
	v_fma_f64 v[120:121], v[122:123], v[148:149], v[120:121]
	v_add_f64 v[90:91], v[90:91], -v[120:121]
	ds_load_2addr_b64 v[120:123], v242 offset0:16 offset1:17
	s_waitcnt lgkmcnt(0)
	v_mul_f64 v[92:93], v[122:123], v[94:95]
	s_delay_alu instid0(VALU_DEP_1) | instskip(SKIP_1) | instid1(VALU_DEP_2)
	v_fma_f64 v[92:93], v[120:121], v[148:149], -v[92:93]
	v_mul_f64 v[120:121], v[120:121], v[94:95]
	v_add_f64 v[84:85], v[84:85], -v[92:93]
	s_delay_alu instid0(VALU_DEP_2) | instskip(NEXT) | instid1(VALU_DEP_1)
	v_fma_f64 v[120:121], v[122:123], v[148:149], v[120:121]
	v_add_f64 v[86:87], v[86:87], -v[120:121]
	;; [unrolled: 10-line block ×22, first 2 shown]
	ds_load_2addr_b64 v[120:123], v242 offset0:58 offset1:59
	s_waitcnt lgkmcnt(0)
	v_mul_f64 v[92:93], v[122:123], v[94:95]
	s_delay_alu instid0(VALU_DEP_1) | instskip(SKIP_1) | instid1(VALU_DEP_2)
	v_fma_f64 v[92:93], v[120:121], v[148:149], -v[92:93]
	v_mul_f64 v[120:121], v[120:121], v[94:95]
	v_add_f64 v[0:1], v[0:1], -v[92:93]
	s_delay_alu instid0(VALU_DEP_2) | instskip(SKIP_1) | instid1(VALU_DEP_2)
	v_fma_f64 v[120:121], v[122:123], v[148:149], v[120:121]
	v_dual_mov_b32 v92, v148 :: v_dual_mov_b32 v93, v149
	v_add_f64 v[2:3], v[2:3], -v[120:121]
.LBB59_64:
	s_or_b32 exec_lo, exec_lo, s3
	s_delay_alu instid0(SALU_CYCLE_1)
	s_mov_b32 s4, exec_lo
	s_waitcnt lgkmcnt(0)
	s_barrier
	buffer_gl0_inv
	v_cmpx_eq_u32_e32 7, v240
	s_cbranch_execz .LBB59_71
; %bb.65:
	ds_store_2addr_b64 v241, v[88:89], v[90:91] offset1:1
	ds_store_2addr_b64 v242, v[84:85], v[86:87] offset0:16 offset1:17
	ds_store_2addr_b64 v242, v[80:81], v[82:83] offset0:18 offset1:19
	;; [unrolled: 1-line block ×22, first 2 shown]
	ds_load_2addr_b64 v[148:151], v241 offset1:1
	s_waitcnt lgkmcnt(0)
	v_cmp_neq_f64_e32 vcc_lo, 0, v[148:149]
	v_cmp_neq_f64_e64 s3, 0, v[150:151]
	s_delay_alu instid0(VALU_DEP_1) | instskip(NEXT) | instid1(SALU_CYCLE_1)
	s_or_b32 s3, vcc_lo, s3
	s_and_b32 exec_lo, exec_lo, s3
	s_cbranch_execz .LBB59_71
; %bb.66:
	v_cmp_gt_f64_e32 vcc_lo, 0, v[148:149]
	v_cmp_gt_f64_e64 s3, 0, v[150:151]
	v_xor_b32_e32 v120, 0x80000000, v149
	v_xor_b32_e32 v122, 0x80000000, v151
	s_delay_alu instid0(VALU_DEP_2) | instskip(NEXT) | instid1(VALU_DEP_2)
	v_cndmask_b32_e32 v121, v149, v120, vcc_lo
	v_cndmask_b32_e64 v123, v151, v122, s3
	v_cndmask_b32_e32 v120, v148, v148, vcc_lo
	v_cndmask_b32_e64 v122, v150, v150, s3
	s_delay_alu instid0(VALU_DEP_1) | instskip(SKIP_1) | instid1(SALU_CYCLE_1)
	v_cmp_ngt_f64_e32 vcc_lo, v[120:121], v[122:123]
                                        ; implicit-def: $vgpr120_vgpr121
	s_and_saveexec_b32 s3, vcc_lo
	s_xor_b32 s3, exec_lo, s3
                                        ; implicit-def: $vgpr152_vgpr153_vgpr154_vgpr155
	s_cbranch_execz .LBB59_68
; %bb.67:
	v_div_scale_f64 v[120:121], null, v[150:151], v[150:151], v[148:149]
	v_div_scale_f64 v[154:155], vcc_lo, v[148:149], v[150:151], v[148:149]
	s_delay_alu instid0(VALU_DEP_2) | instskip(SKIP_2) | instid1(VALU_DEP_1)
	v_rcp_f64_e32 v[122:123], v[120:121]
	s_waitcnt_depctr 0xfff
	v_fma_f64 v[152:153], -v[120:121], v[122:123], 1.0
	v_fma_f64 v[122:123], v[122:123], v[152:153], v[122:123]
	s_delay_alu instid0(VALU_DEP_1) | instskip(NEXT) | instid1(VALU_DEP_1)
	v_fma_f64 v[152:153], -v[120:121], v[122:123], 1.0
	v_fma_f64 v[122:123], v[122:123], v[152:153], v[122:123]
	s_delay_alu instid0(VALU_DEP_1) | instskip(NEXT) | instid1(VALU_DEP_1)
	v_mul_f64 v[152:153], v[154:155], v[122:123]
	v_fma_f64 v[120:121], -v[120:121], v[152:153], v[154:155]
	s_delay_alu instid0(VALU_DEP_1) | instskip(NEXT) | instid1(VALU_DEP_1)
	v_div_fmas_f64 v[120:121], v[120:121], v[122:123], v[152:153]
	v_div_fixup_f64 v[120:121], v[120:121], v[150:151], v[148:149]
	s_delay_alu instid0(VALU_DEP_1) | instskip(NEXT) | instid1(VALU_DEP_1)
	v_fma_f64 v[122:123], v[148:149], v[120:121], v[150:151]
	v_div_scale_f64 v[148:149], null, v[122:123], v[122:123], 1.0
	s_delay_alu instid0(VALU_DEP_1) | instskip(SKIP_2) | instid1(VALU_DEP_1)
	v_rcp_f64_e32 v[150:151], v[148:149]
	s_waitcnt_depctr 0xfff
	v_fma_f64 v[152:153], -v[148:149], v[150:151], 1.0
	v_fma_f64 v[150:151], v[150:151], v[152:153], v[150:151]
	s_delay_alu instid0(VALU_DEP_1) | instskip(NEXT) | instid1(VALU_DEP_1)
	v_fma_f64 v[152:153], -v[148:149], v[150:151], 1.0
	v_fma_f64 v[150:151], v[150:151], v[152:153], v[150:151]
	v_div_scale_f64 v[152:153], vcc_lo, 1.0, v[122:123], 1.0
	s_delay_alu instid0(VALU_DEP_1) | instskip(NEXT) | instid1(VALU_DEP_1)
	v_mul_f64 v[154:155], v[152:153], v[150:151]
	v_fma_f64 v[148:149], -v[148:149], v[154:155], v[152:153]
	s_delay_alu instid0(VALU_DEP_1) | instskip(NEXT) | instid1(VALU_DEP_1)
	v_div_fmas_f64 v[148:149], v[148:149], v[150:151], v[154:155]
	v_div_fixup_f64 v[154:155], v[148:149], v[122:123], 1.0
                                        ; implicit-def: $vgpr148_vgpr149
	s_delay_alu instid0(VALU_DEP_1)
	v_mul_f64 v[120:121], v[120:121], v[154:155]
	v_xor_b32_e32 v155, 0x80000000, v155
.LBB59_68:
	s_and_not1_saveexec_b32 s3, s3
	s_cbranch_execz .LBB59_70
; %bb.69:
	v_div_scale_f64 v[120:121], null, v[148:149], v[148:149], v[150:151]
	v_div_scale_f64 v[154:155], vcc_lo, v[150:151], v[148:149], v[150:151]
	s_delay_alu instid0(VALU_DEP_2) | instskip(SKIP_2) | instid1(VALU_DEP_1)
	v_rcp_f64_e32 v[122:123], v[120:121]
	s_waitcnt_depctr 0xfff
	v_fma_f64 v[152:153], -v[120:121], v[122:123], 1.0
	v_fma_f64 v[122:123], v[122:123], v[152:153], v[122:123]
	s_delay_alu instid0(VALU_DEP_1) | instskip(NEXT) | instid1(VALU_DEP_1)
	v_fma_f64 v[152:153], -v[120:121], v[122:123], 1.0
	v_fma_f64 v[122:123], v[122:123], v[152:153], v[122:123]
	s_delay_alu instid0(VALU_DEP_1) | instskip(NEXT) | instid1(VALU_DEP_1)
	v_mul_f64 v[152:153], v[154:155], v[122:123]
	v_fma_f64 v[120:121], -v[120:121], v[152:153], v[154:155]
	s_delay_alu instid0(VALU_DEP_1) | instskip(NEXT) | instid1(VALU_DEP_1)
	v_div_fmas_f64 v[120:121], v[120:121], v[122:123], v[152:153]
	v_div_fixup_f64 v[122:123], v[120:121], v[148:149], v[150:151]
	s_delay_alu instid0(VALU_DEP_1) | instskip(NEXT) | instid1(VALU_DEP_1)
	v_fma_f64 v[120:121], v[150:151], v[122:123], v[148:149]
	v_div_scale_f64 v[148:149], null, v[120:121], v[120:121], 1.0
	s_delay_alu instid0(VALU_DEP_1) | instskip(SKIP_2) | instid1(VALU_DEP_1)
	v_rcp_f64_e32 v[150:151], v[148:149]
	s_waitcnt_depctr 0xfff
	v_fma_f64 v[152:153], -v[148:149], v[150:151], 1.0
	v_fma_f64 v[150:151], v[150:151], v[152:153], v[150:151]
	s_delay_alu instid0(VALU_DEP_1) | instskip(NEXT) | instid1(VALU_DEP_1)
	v_fma_f64 v[152:153], -v[148:149], v[150:151], 1.0
	v_fma_f64 v[150:151], v[150:151], v[152:153], v[150:151]
	v_div_scale_f64 v[152:153], vcc_lo, 1.0, v[120:121], 1.0
	s_delay_alu instid0(VALU_DEP_1) | instskip(NEXT) | instid1(VALU_DEP_1)
	v_mul_f64 v[154:155], v[152:153], v[150:151]
	v_fma_f64 v[148:149], -v[148:149], v[154:155], v[152:153]
	s_delay_alu instid0(VALU_DEP_1) | instskip(NEXT) | instid1(VALU_DEP_1)
	v_div_fmas_f64 v[148:149], v[148:149], v[150:151], v[154:155]
	v_div_fixup_f64 v[120:121], v[148:149], v[120:121], 1.0
	s_delay_alu instid0(VALU_DEP_1)
	v_mul_f64 v[154:155], v[122:123], -v[120:121]
.LBB59_70:
	s_or_b32 exec_lo, exec_lo, s3
	ds_store_2addr_b64 v241, v[120:121], v[154:155] offset1:1
.LBB59_71:
	s_or_b32 exec_lo, exec_lo, s4
	s_waitcnt lgkmcnt(0)
	s_barrier
	buffer_gl0_inv
	ds_load_2addr_b64 v[148:151], v241 offset1:1
	s_mov_b32 s3, exec_lo
	v_cmpx_lt_u32_e32 7, v240
	s_cbranch_execz .LBB59_73
; %bb.72:
	s_waitcnt lgkmcnt(0)
	v_mul_f64 v[120:121], v[150:151], v[90:91]
	v_mul_f64 v[90:91], v[148:149], v[90:91]
	s_delay_alu instid0(VALU_DEP_2) | instskip(NEXT) | instid1(VALU_DEP_2)
	v_fma_f64 v[152:153], v[148:149], v[88:89], -v[120:121]
	v_fma_f64 v[90:91], v[150:151], v[88:89], v[90:91]
	ds_load_2addr_b64 v[120:123], v242 offset0:16 offset1:17
	s_waitcnt lgkmcnt(0)
	v_mul_f64 v[88:89], v[122:123], v[90:91]
	s_delay_alu instid0(VALU_DEP_1) | instskip(SKIP_1) | instid1(VALU_DEP_2)
	v_fma_f64 v[88:89], v[120:121], v[152:153], -v[88:89]
	v_mul_f64 v[120:121], v[120:121], v[90:91]
	v_add_f64 v[84:85], v[84:85], -v[88:89]
	s_delay_alu instid0(VALU_DEP_2) | instskip(NEXT) | instid1(VALU_DEP_1)
	v_fma_f64 v[120:121], v[122:123], v[152:153], v[120:121]
	v_add_f64 v[86:87], v[86:87], -v[120:121]
	ds_load_2addr_b64 v[120:123], v242 offset0:18 offset1:19
	s_waitcnt lgkmcnt(0)
	v_mul_f64 v[88:89], v[122:123], v[90:91]
	s_delay_alu instid0(VALU_DEP_1) | instskip(SKIP_1) | instid1(VALU_DEP_2)
	v_fma_f64 v[88:89], v[120:121], v[152:153], -v[88:89]
	v_mul_f64 v[120:121], v[120:121], v[90:91]
	v_add_f64 v[80:81], v[80:81], -v[88:89]
	s_delay_alu instid0(VALU_DEP_2) | instskip(NEXT) | instid1(VALU_DEP_1)
	v_fma_f64 v[120:121], v[122:123], v[152:153], v[120:121]
	v_add_f64 v[82:83], v[82:83], -v[120:121]
	;; [unrolled: 10-line block ×21, first 2 shown]
	ds_load_2addr_b64 v[120:123], v242 offset0:58 offset1:59
	s_waitcnt lgkmcnt(0)
	v_mul_f64 v[88:89], v[122:123], v[90:91]
	s_delay_alu instid0(VALU_DEP_1) | instskip(SKIP_1) | instid1(VALU_DEP_2)
	v_fma_f64 v[88:89], v[120:121], v[152:153], -v[88:89]
	v_mul_f64 v[120:121], v[120:121], v[90:91]
	v_add_f64 v[0:1], v[0:1], -v[88:89]
	s_delay_alu instid0(VALU_DEP_2) | instskip(SKIP_1) | instid1(VALU_DEP_2)
	v_fma_f64 v[120:121], v[122:123], v[152:153], v[120:121]
	v_dual_mov_b32 v88, v152 :: v_dual_mov_b32 v89, v153
	v_add_f64 v[2:3], v[2:3], -v[120:121]
.LBB59_73:
	s_or_b32 exec_lo, exec_lo, s3
	s_delay_alu instid0(SALU_CYCLE_1)
	s_mov_b32 s4, exec_lo
	s_waitcnt lgkmcnt(0)
	s_barrier
	buffer_gl0_inv
	v_cmpx_eq_u32_e32 8, v240
	s_cbranch_execz .LBB59_80
; %bb.74:
	ds_store_2addr_b64 v241, v[84:85], v[86:87] offset1:1
	ds_store_2addr_b64 v242, v[80:81], v[82:83] offset0:18 offset1:19
	ds_store_2addr_b64 v242, v[76:77], v[78:79] offset0:20 offset1:21
	;; [unrolled: 1-line block ×21, first 2 shown]
	ds_load_2addr_b64 v[152:155], v241 offset1:1
	s_waitcnt lgkmcnt(0)
	v_cmp_neq_f64_e32 vcc_lo, 0, v[152:153]
	v_cmp_neq_f64_e64 s3, 0, v[154:155]
	s_delay_alu instid0(VALU_DEP_1) | instskip(NEXT) | instid1(SALU_CYCLE_1)
	s_or_b32 s3, vcc_lo, s3
	s_and_b32 exec_lo, exec_lo, s3
	s_cbranch_execz .LBB59_80
; %bb.75:
	v_cmp_gt_f64_e32 vcc_lo, 0, v[152:153]
	v_cmp_gt_f64_e64 s3, 0, v[154:155]
	v_xor_b32_e32 v120, 0x80000000, v153
	v_xor_b32_e32 v122, 0x80000000, v155
	s_delay_alu instid0(VALU_DEP_2) | instskip(NEXT) | instid1(VALU_DEP_2)
	v_cndmask_b32_e32 v121, v153, v120, vcc_lo
	v_cndmask_b32_e64 v123, v155, v122, s3
	v_cndmask_b32_e32 v120, v152, v152, vcc_lo
	v_cndmask_b32_e64 v122, v154, v154, s3
	s_delay_alu instid0(VALU_DEP_1) | instskip(SKIP_1) | instid1(SALU_CYCLE_1)
	v_cmp_ngt_f64_e32 vcc_lo, v[120:121], v[122:123]
                                        ; implicit-def: $vgpr120_vgpr121
	s_and_saveexec_b32 s3, vcc_lo
	s_xor_b32 s3, exec_lo, s3
                                        ; implicit-def: $vgpr156_vgpr157_vgpr158_vgpr159
	s_cbranch_execz .LBB59_77
; %bb.76:
	v_div_scale_f64 v[120:121], null, v[154:155], v[154:155], v[152:153]
	v_div_scale_f64 v[158:159], vcc_lo, v[152:153], v[154:155], v[152:153]
	s_delay_alu instid0(VALU_DEP_2) | instskip(SKIP_2) | instid1(VALU_DEP_1)
	v_rcp_f64_e32 v[122:123], v[120:121]
	s_waitcnt_depctr 0xfff
	v_fma_f64 v[156:157], -v[120:121], v[122:123], 1.0
	v_fma_f64 v[122:123], v[122:123], v[156:157], v[122:123]
	s_delay_alu instid0(VALU_DEP_1) | instskip(NEXT) | instid1(VALU_DEP_1)
	v_fma_f64 v[156:157], -v[120:121], v[122:123], 1.0
	v_fma_f64 v[122:123], v[122:123], v[156:157], v[122:123]
	s_delay_alu instid0(VALU_DEP_1) | instskip(NEXT) | instid1(VALU_DEP_1)
	v_mul_f64 v[156:157], v[158:159], v[122:123]
	v_fma_f64 v[120:121], -v[120:121], v[156:157], v[158:159]
	s_delay_alu instid0(VALU_DEP_1) | instskip(NEXT) | instid1(VALU_DEP_1)
	v_div_fmas_f64 v[120:121], v[120:121], v[122:123], v[156:157]
	v_div_fixup_f64 v[120:121], v[120:121], v[154:155], v[152:153]
	s_delay_alu instid0(VALU_DEP_1) | instskip(NEXT) | instid1(VALU_DEP_1)
	v_fma_f64 v[122:123], v[152:153], v[120:121], v[154:155]
	v_div_scale_f64 v[152:153], null, v[122:123], v[122:123], 1.0
	s_delay_alu instid0(VALU_DEP_1) | instskip(SKIP_2) | instid1(VALU_DEP_1)
	v_rcp_f64_e32 v[154:155], v[152:153]
	s_waitcnt_depctr 0xfff
	v_fma_f64 v[156:157], -v[152:153], v[154:155], 1.0
	v_fma_f64 v[154:155], v[154:155], v[156:157], v[154:155]
	s_delay_alu instid0(VALU_DEP_1) | instskip(NEXT) | instid1(VALU_DEP_1)
	v_fma_f64 v[156:157], -v[152:153], v[154:155], 1.0
	v_fma_f64 v[154:155], v[154:155], v[156:157], v[154:155]
	v_div_scale_f64 v[156:157], vcc_lo, 1.0, v[122:123], 1.0
	s_delay_alu instid0(VALU_DEP_1) | instskip(NEXT) | instid1(VALU_DEP_1)
	v_mul_f64 v[158:159], v[156:157], v[154:155]
	v_fma_f64 v[152:153], -v[152:153], v[158:159], v[156:157]
	s_delay_alu instid0(VALU_DEP_1) | instskip(NEXT) | instid1(VALU_DEP_1)
	v_div_fmas_f64 v[152:153], v[152:153], v[154:155], v[158:159]
	v_div_fixup_f64 v[158:159], v[152:153], v[122:123], 1.0
                                        ; implicit-def: $vgpr152_vgpr153
	s_delay_alu instid0(VALU_DEP_1)
	v_mul_f64 v[120:121], v[120:121], v[158:159]
	v_xor_b32_e32 v159, 0x80000000, v159
.LBB59_77:
	s_and_not1_saveexec_b32 s3, s3
	s_cbranch_execz .LBB59_79
; %bb.78:
	v_div_scale_f64 v[120:121], null, v[152:153], v[152:153], v[154:155]
	v_div_scale_f64 v[158:159], vcc_lo, v[154:155], v[152:153], v[154:155]
	s_delay_alu instid0(VALU_DEP_2) | instskip(SKIP_2) | instid1(VALU_DEP_1)
	v_rcp_f64_e32 v[122:123], v[120:121]
	s_waitcnt_depctr 0xfff
	v_fma_f64 v[156:157], -v[120:121], v[122:123], 1.0
	v_fma_f64 v[122:123], v[122:123], v[156:157], v[122:123]
	s_delay_alu instid0(VALU_DEP_1) | instskip(NEXT) | instid1(VALU_DEP_1)
	v_fma_f64 v[156:157], -v[120:121], v[122:123], 1.0
	v_fma_f64 v[122:123], v[122:123], v[156:157], v[122:123]
	s_delay_alu instid0(VALU_DEP_1) | instskip(NEXT) | instid1(VALU_DEP_1)
	v_mul_f64 v[156:157], v[158:159], v[122:123]
	v_fma_f64 v[120:121], -v[120:121], v[156:157], v[158:159]
	s_delay_alu instid0(VALU_DEP_1) | instskip(NEXT) | instid1(VALU_DEP_1)
	v_div_fmas_f64 v[120:121], v[120:121], v[122:123], v[156:157]
	v_div_fixup_f64 v[122:123], v[120:121], v[152:153], v[154:155]
	s_delay_alu instid0(VALU_DEP_1) | instskip(NEXT) | instid1(VALU_DEP_1)
	v_fma_f64 v[120:121], v[154:155], v[122:123], v[152:153]
	v_div_scale_f64 v[152:153], null, v[120:121], v[120:121], 1.0
	s_delay_alu instid0(VALU_DEP_1) | instskip(SKIP_2) | instid1(VALU_DEP_1)
	v_rcp_f64_e32 v[154:155], v[152:153]
	s_waitcnt_depctr 0xfff
	v_fma_f64 v[156:157], -v[152:153], v[154:155], 1.0
	v_fma_f64 v[154:155], v[154:155], v[156:157], v[154:155]
	s_delay_alu instid0(VALU_DEP_1) | instskip(NEXT) | instid1(VALU_DEP_1)
	v_fma_f64 v[156:157], -v[152:153], v[154:155], 1.0
	v_fma_f64 v[154:155], v[154:155], v[156:157], v[154:155]
	v_div_scale_f64 v[156:157], vcc_lo, 1.0, v[120:121], 1.0
	s_delay_alu instid0(VALU_DEP_1) | instskip(NEXT) | instid1(VALU_DEP_1)
	v_mul_f64 v[158:159], v[156:157], v[154:155]
	v_fma_f64 v[152:153], -v[152:153], v[158:159], v[156:157]
	s_delay_alu instid0(VALU_DEP_1) | instskip(NEXT) | instid1(VALU_DEP_1)
	v_div_fmas_f64 v[152:153], v[152:153], v[154:155], v[158:159]
	v_div_fixup_f64 v[120:121], v[152:153], v[120:121], 1.0
	s_delay_alu instid0(VALU_DEP_1)
	v_mul_f64 v[158:159], v[122:123], -v[120:121]
.LBB59_79:
	s_or_b32 exec_lo, exec_lo, s3
	ds_store_2addr_b64 v241, v[120:121], v[158:159] offset1:1
.LBB59_80:
	s_or_b32 exec_lo, exec_lo, s4
	s_waitcnt lgkmcnt(0)
	s_barrier
	buffer_gl0_inv
	ds_load_2addr_b64 v[152:155], v241 offset1:1
	s_mov_b32 s3, exec_lo
	v_cmpx_lt_u32_e32 8, v240
	s_cbranch_execz .LBB59_82
; %bb.81:
	s_waitcnt lgkmcnt(0)
	v_mul_f64 v[120:121], v[154:155], v[86:87]
	v_mul_f64 v[86:87], v[152:153], v[86:87]
	s_delay_alu instid0(VALU_DEP_2) | instskip(NEXT) | instid1(VALU_DEP_2)
	v_fma_f64 v[156:157], v[152:153], v[84:85], -v[120:121]
	v_fma_f64 v[86:87], v[154:155], v[84:85], v[86:87]
	ds_load_2addr_b64 v[120:123], v242 offset0:18 offset1:19
	s_waitcnt lgkmcnt(0)
	v_mul_f64 v[84:85], v[122:123], v[86:87]
	s_delay_alu instid0(VALU_DEP_1) | instskip(SKIP_1) | instid1(VALU_DEP_2)
	v_fma_f64 v[84:85], v[120:121], v[156:157], -v[84:85]
	v_mul_f64 v[120:121], v[120:121], v[86:87]
	v_add_f64 v[80:81], v[80:81], -v[84:85]
	s_delay_alu instid0(VALU_DEP_2) | instskip(NEXT) | instid1(VALU_DEP_1)
	v_fma_f64 v[120:121], v[122:123], v[156:157], v[120:121]
	v_add_f64 v[82:83], v[82:83], -v[120:121]
	ds_load_2addr_b64 v[120:123], v242 offset0:20 offset1:21
	s_waitcnt lgkmcnt(0)
	v_mul_f64 v[84:85], v[122:123], v[86:87]
	s_delay_alu instid0(VALU_DEP_1) | instskip(SKIP_1) | instid1(VALU_DEP_2)
	v_fma_f64 v[84:85], v[120:121], v[156:157], -v[84:85]
	v_mul_f64 v[120:121], v[120:121], v[86:87]
	v_add_f64 v[76:77], v[76:77], -v[84:85]
	s_delay_alu instid0(VALU_DEP_2) | instskip(NEXT) | instid1(VALU_DEP_1)
	v_fma_f64 v[120:121], v[122:123], v[156:157], v[120:121]
	v_add_f64 v[78:79], v[78:79], -v[120:121]
	;; [unrolled: 10-line block ×20, first 2 shown]
	ds_load_2addr_b64 v[120:123], v242 offset0:58 offset1:59
	s_waitcnt lgkmcnt(0)
	v_mul_f64 v[84:85], v[122:123], v[86:87]
	s_delay_alu instid0(VALU_DEP_1) | instskip(SKIP_1) | instid1(VALU_DEP_2)
	v_fma_f64 v[84:85], v[120:121], v[156:157], -v[84:85]
	v_mul_f64 v[120:121], v[120:121], v[86:87]
	v_add_f64 v[0:1], v[0:1], -v[84:85]
	s_delay_alu instid0(VALU_DEP_2) | instskip(SKIP_1) | instid1(VALU_DEP_2)
	v_fma_f64 v[120:121], v[122:123], v[156:157], v[120:121]
	v_dual_mov_b32 v84, v156 :: v_dual_mov_b32 v85, v157
	v_add_f64 v[2:3], v[2:3], -v[120:121]
.LBB59_82:
	s_or_b32 exec_lo, exec_lo, s3
	s_delay_alu instid0(SALU_CYCLE_1)
	s_mov_b32 s4, exec_lo
	s_waitcnt lgkmcnt(0)
	s_barrier
	buffer_gl0_inv
	v_cmpx_eq_u32_e32 9, v240
	s_cbranch_execz .LBB59_89
; %bb.83:
	ds_store_2addr_b64 v241, v[80:81], v[82:83] offset1:1
	ds_store_2addr_b64 v242, v[76:77], v[78:79] offset0:20 offset1:21
	ds_store_2addr_b64 v242, v[72:73], v[74:75] offset0:22 offset1:23
	;; [unrolled: 1-line block ×20, first 2 shown]
	ds_load_2addr_b64 v[156:159], v241 offset1:1
	s_waitcnt lgkmcnt(0)
	v_cmp_neq_f64_e32 vcc_lo, 0, v[156:157]
	v_cmp_neq_f64_e64 s3, 0, v[158:159]
	s_delay_alu instid0(VALU_DEP_1) | instskip(NEXT) | instid1(SALU_CYCLE_1)
	s_or_b32 s3, vcc_lo, s3
	s_and_b32 exec_lo, exec_lo, s3
	s_cbranch_execz .LBB59_89
; %bb.84:
	v_cmp_gt_f64_e32 vcc_lo, 0, v[156:157]
	v_cmp_gt_f64_e64 s3, 0, v[158:159]
	v_xor_b32_e32 v120, 0x80000000, v157
	v_xor_b32_e32 v122, 0x80000000, v159
	s_delay_alu instid0(VALU_DEP_2) | instskip(NEXT) | instid1(VALU_DEP_2)
	v_cndmask_b32_e32 v121, v157, v120, vcc_lo
	v_cndmask_b32_e64 v123, v159, v122, s3
	v_cndmask_b32_e32 v120, v156, v156, vcc_lo
	v_cndmask_b32_e64 v122, v158, v158, s3
	s_delay_alu instid0(VALU_DEP_1) | instskip(SKIP_1) | instid1(SALU_CYCLE_1)
	v_cmp_ngt_f64_e32 vcc_lo, v[120:121], v[122:123]
                                        ; implicit-def: $vgpr120_vgpr121
	s_and_saveexec_b32 s3, vcc_lo
	s_xor_b32 s3, exec_lo, s3
                                        ; implicit-def: $vgpr160_vgpr161_vgpr162_vgpr163
	s_cbranch_execz .LBB59_86
; %bb.85:
	v_div_scale_f64 v[120:121], null, v[158:159], v[158:159], v[156:157]
	v_div_scale_f64 v[162:163], vcc_lo, v[156:157], v[158:159], v[156:157]
	s_delay_alu instid0(VALU_DEP_2) | instskip(SKIP_2) | instid1(VALU_DEP_1)
	v_rcp_f64_e32 v[122:123], v[120:121]
	s_waitcnt_depctr 0xfff
	v_fma_f64 v[160:161], -v[120:121], v[122:123], 1.0
	v_fma_f64 v[122:123], v[122:123], v[160:161], v[122:123]
	s_delay_alu instid0(VALU_DEP_1) | instskip(NEXT) | instid1(VALU_DEP_1)
	v_fma_f64 v[160:161], -v[120:121], v[122:123], 1.0
	v_fma_f64 v[122:123], v[122:123], v[160:161], v[122:123]
	s_delay_alu instid0(VALU_DEP_1) | instskip(NEXT) | instid1(VALU_DEP_1)
	v_mul_f64 v[160:161], v[162:163], v[122:123]
	v_fma_f64 v[120:121], -v[120:121], v[160:161], v[162:163]
	s_delay_alu instid0(VALU_DEP_1) | instskip(NEXT) | instid1(VALU_DEP_1)
	v_div_fmas_f64 v[120:121], v[120:121], v[122:123], v[160:161]
	v_div_fixup_f64 v[120:121], v[120:121], v[158:159], v[156:157]
	s_delay_alu instid0(VALU_DEP_1) | instskip(NEXT) | instid1(VALU_DEP_1)
	v_fma_f64 v[122:123], v[156:157], v[120:121], v[158:159]
	v_div_scale_f64 v[156:157], null, v[122:123], v[122:123], 1.0
	s_delay_alu instid0(VALU_DEP_1) | instskip(SKIP_2) | instid1(VALU_DEP_1)
	v_rcp_f64_e32 v[158:159], v[156:157]
	s_waitcnt_depctr 0xfff
	v_fma_f64 v[160:161], -v[156:157], v[158:159], 1.0
	v_fma_f64 v[158:159], v[158:159], v[160:161], v[158:159]
	s_delay_alu instid0(VALU_DEP_1) | instskip(NEXT) | instid1(VALU_DEP_1)
	v_fma_f64 v[160:161], -v[156:157], v[158:159], 1.0
	v_fma_f64 v[158:159], v[158:159], v[160:161], v[158:159]
	v_div_scale_f64 v[160:161], vcc_lo, 1.0, v[122:123], 1.0
	s_delay_alu instid0(VALU_DEP_1) | instskip(NEXT) | instid1(VALU_DEP_1)
	v_mul_f64 v[162:163], v[160:161], v[158:159]
	v_fma_f64 v[156:157], -v[156:157], v[162:163], v[160:161]
	s_delay_alu instid0(VALU_DEP_1) | instskip(NEXT) | instid1(VALU_DEP_1)
	v_div_fmas_f64 v[156:157], v[156:157], v[158:159], v[162:163]
	v_div_fixup_f64 v[162:163], v[156:157], v[122:123], 1.0
                                        ; implicit-def: $vgpr156_vgpr157
	s_delay_alu instid0(VALU_DEP_1)
	v_mul_f64 v[120:121], v[120:121], v[162:163]
	v_xor_b32_e32 v163, 0x80000000, v163
.LBB59_86:
	s_and_not1_saveexec_b32 s3, s3
	s_cbranch_execz .LBB59_88
; %bb.87:
	v_div_scale_f64 v[120:121], null, v[156:157], v[156:157], v[158:159]
	v_div_scale_f64 v[162:163], vcc_lo, v[158:159], v[156:157], v[158:159]
	s_delay_alu instid0(VALU_DEP_2) | instskip(SKIP_2) | instid1(VALU_DEP_1)
	v_rcp_f64_e32 v[122:123], v[120:121]
	s_waitcnt_depctr 0xfff
	v_fma_f64 v[160:161], -v[120:121], v[122:123], 1.0
	v_fma_f64 v[122:123], v[122:123], v[160:161], v[122:123]
	s_delay_alu instid0(VALU_DEP_1) | instskip(NEXT) | instid1(VALU_DEP_1)
	v_fma_f64 v[160:161], -v[120:121], v[122:123], 1.0
	v_fma_f64 v[122:123], v[122:123], v[160:161], v[122:123]
	s_delay_alu instid0(VALU_DEP_1) | instskip(NEXT) | instid1(VALU_DEP_1)
	v_mul_f64 v[160:161], v[162:163], v[122:123]
	v_fma_f64 v[120:121], -v[120:121], v[160:161], v[162:163]
	s_delay_alu instid0(VALU_DEP_1) | instskip(NEXT) | instid1(VALU_DEP_1)
	v_div_fmas_f64 v[120:121], v[120:121], v[122:123], v[160:161]
	v_div_fixup_f64 v[122:123], v[120:121], v[156:157], v[158:159]
	s_delay_alu instid0(VALU_DEP_1) | instskip(NEXT) | instid1(VALU_DEP_1)
	v_fma_f64 v[120:121], v[158:159], v[122:123], v[156:157]
	v_div_scale_f64 v[156:157], null, v[120:121], v[120:121], 1.0
	s_delay_alu instid0(VALU_DEP_1) | instskip(SKIP_2) | instid1(VALU_DEP_1)
	v_rcp_f64_e32 v[158:159], v[156:157]
	s_waitcnt_depctr 0xfff
	v_fma_f64 v[160:161], -v[156:157], v[158:159], 1.0
	v_fma_f64 v[158:159], v[158:159], v[160:161], v[158:159]
	s_delay_alu instid0(VALU_DEP_1) | instskip(NEXT) | instid1(VALU_DEP_1)
	v_fma_f64 v[160:161], -v[156:157], v[158:159], 1.0
	v_fma_f64 v[158:159], v[158:159], v[160:161], v[158:159]
	v_div_scale_f64 v[160:161], vcc_lo, 1.0, v[120:121], 1.0
	s_delay_alu instid0(VALU_DEP_1) | instskip(NEXT) | instid1(VALU_DEP_1)
	v_mul_f64 v[162:163], v[160:161], v[158:159]
	v_fma_f64 v[156:157], -v[156:157], v[162:163], v[160:161]
	s_delay_alu instid0(VALU_DEP_1) | instskip(NEXT) | instid1(VALU_DEP_1)
	v_div_fmas_f64 v[156:157], v[156:157], v[158:159], v[162:163]
	v_div_fixup_f64 v[120:121], v[156:157], v[120:121], 1.0
	s_delay_alu instid0(VALU_DEP_1)
	v_mul_f64 v[162:163], v[122:123], -v[120:121]
.LBB59_88:
	s_or_b32 exec_lo, exec_lo, s3
	ds_store_2addr_b64 v241, v[120:121], v[162:163] offset1:1
.LBB59_89:
	s_or_b32 exec_lo, exec_lo, s4
	s_waitcnt lgkmcnt(0)
	s_barrier
	buffer_gl0_inv
	ds_load_2addr_b64 v[156:159], v241 offset1:1
	s_mov_b32 s3, exec_lo
	v_cmpx_lt_u32_e32 9, v240
	s_cbranch_execz .LBB59_91
; %bb.90:
	s_waitcnt lgkmcnt(0)
	v_mul_f64 v[120:121], v[158:159], v[82:83]
	v_mul_f64 v[82:83], v[156:157], v[82:83]
	s_delay_alu instid0(VALU_DEP_2) | instskip(NEXT) | instid1(VALU_DEP_2)
	v_fma_f64 v[160:161], v[156:157], v[80:81], -v[120:121]
	v_fma_f64 v[82:83], v[158:159], v[80:81], v[82:83]
	ds_load_2addr_b64 v[120:123], v242 offset0:20 offset1:21
	s_waitcnt lgkmcnt(0)
	v_mul_f64 v[80:81], v[122:123], v[82:83]
	s_delay_alu instid0(VALU_DEP_1) | instskip(SKIP_1) | instid1(VALU_DEP_2)
	v_fma_f64 v[80:81], v[120:121], v[160:161], -v[80:81]
	v_mul_f64 v[120:121], v[120:121], v[82:83]
	v_add_f64 v[76:77], v[76:77], -v[80:81]
	s_delay_alu instid0(VALU_DEP_2) | instskip(NEXT) | instid1(VALU_DEP_1)
	v_fma_f64 v[120:121], v[122:123], v[160:161], v[120:121]
	v_add_f64 v[78:79], v[78:79], -v[120:121]
	ds_load_2addr_b64 v[120:123], v242 offset0:22 offset1:23
	s_waitcnt lgkmcnt(0)
	v_mul_f64 v[80:81], v[122:123], v[82:83]
	s_delay_alu instid0(VALU_DEP_1) | instskip(SKIP_1) | instid1(VALU_DEP_2)
	v_fma_f64 v[80:81], v[120:121], v[160:161], -v[80:81]
	v_mul_f64 v[120:121], v[120:121], v[82:83]
	v_add_f64 v[72:73], v[72:73], -v[80:81]
	s_delay_alu instid0(VALU_DEP_2) | instskip(NEXT) | instid1(VALU_DEP_1)
	v_fma_f64 v[120:121], v[122:123], v[160:161], v[120:121]
	v_add_f64 v[74:75], v[74:75], -v[120:121]
	;; [unrolled: 10-line block ×19, first 2 shown]
	ds_load_2addr_b64 v[120:123], v242 offset0:58 offset1:59
	s_waitcnt lgkmcnt(0)
	v_mul_f64 v[80:81], v[122:123], v[82:83]
	s_delay_alu instid0(VALU_DEP_1) | instskip(SKIP_1) | instid1(VALU_DEP_2)
	v_fma_f64 v[80:81], v[120:121], v[160:161], -v[80:81]
	v_mul_f64 v[120:121], v[120:121], v[82:83]
	v_add_f64 v[0:1], v[0:1], -v[80:81]
	s_delay_alu instid0(VALU_DEP_2) | instskip(SKIP_1) | instid1(VALU_DEP_2)
	v_fma_f64 v[120:121], v[122:123], v[160:161], v[120:121]
	v_dual_mov_b32 v80, v160 :: v_dual_mov_b32 v81, v161
	v_add_f64 v[2:3], v[2:3], -v[120:121]
.LBB59_91:
	s_or_b32 exec_lo, exec_lo, s3
	s_delay_alu instid0(SALU_CYCLE_1)
	s_mov_b32 s4, exec_lo
	s_waitcnt lgkmcnt(0)
	s_barrier
	buffer_gl0_inv
	v_cmpx_eq_u32_e32 10, v240
	s_cbranch_execz .LBB59_98
; %bb.92:
	ds_store_2addr_b64 v241, v[76:77], v[78:79] offset1:1
	ds_store_2addr_b64 v242, v[72:73], v[74:75] offset0:22 offset1:23
	ds_store_2addr_b64 v242, v[68:69], v[70:71] offset0:24 offset1:25
	;; [unrolled: 1-line block ×19, first 2 shown]
	ds_load_2addr_b64 v[160:163], v241 offset1:1
	s_waitcnt lgkmcnt(0)
	v_cmp_neq_f64_e32 vcc_lo, 0, v[160:161]
	v_cmp_neq_f64_e64 s3, 0, v[162:163]
	s_delay_alu instid0(VALU_DEP_1) | instskip(NEXT) | instid1(SALU_CYCLE_1)
	s_or_b32 s3, vcc_lo, s3
	s_and_b32 exec_lo, exec_lo, s3
	s_cbranch_execz .LBB59_98
; %bb.93:
	v_cmp_gt_f64_e32 vcc_lo, 0, v[160:161]
	v_cmp_gt_f64_e64 s3, 0, v[162:163]
	v_xor_b32_e32 v120, 0x80000000, v161
	v_xor_b32_e32 v122, 0x80000000, v163
	s_delay_alu instid0(VALU_DEP_2) | instskip(NEXT) | instid1(VALU_DEP_2)
	v_cndmask_b32_e32 v121, v161, v120, vcc_lo
	v_cndmask_b32_e64 v123, v163, v122, s3
	v_cndmask_b32_e32 v120, v160, v160, vcc_lo
	v_cndmask_b32_e64 v122, v162, v162, s3
	s_delay_alu instid0(VALU_DEP_1) | instskip(SKIP_1) | instid1(SALU_CYCLE_1)
	v_cmp_ngt_f64_e32 vcc_lo, v[120:121], v[122:123]
                                        ; implicit-def: $vgpr120_vgpr121
	s_and_saveexec_b32 s3, vcc_lo
	s_xor_b32 s3, exec_lo, s3
                                        ; implicit-def: $vgpr164_vgpr165_vgpr166_vgpr167
	s_cbranch_execz .LBB59_95
; %bb.94:
	v_div_scale_f64 v[120:121], null, v[162:163], v[162:163], v[160:161]
	v_div_scale_f64 v[166:167], vcc_lo, v[160:161], v[162:163], v[160:161]
	s_delay_alu instid0(VALU_DEP_2) | instskip(SKIP_2) | instid1(VALU_DEP_1)
	v_rcp_f64_e32 v[122:123], v[120:121]
	s_waitcnt_depctr 0xfff
	v_fma_f64 v[164:165], -v[120:121], v[122:123], 1.0
	v_fma_f64 v[122:123], v[122:123], v[164:165], v[122:123]
	s_delay_alu instid0(VALU_DEP_1) | instskip(NEXT) | instid1(VALU_DEP_1)
	v_fma_f64 v[164:165], -v[120:121], v[122:123], 1.0
	v_fma_f64 v[122:123], v[122:123], v[164:165], v[122:123]
	s_delay_alu instid0(VALU_DEP_1) | instskip(NEXT) | instid1(VALU_DEP_1)
	v_mul_f64 v[164:165], v[166:167], v[122:123]
	v_fma_f64 v[120:121], -v[120:121], v[164:165], v[166:167]
	s_delay_alu instid0(VALU_DEP_1) | instskip(NEXT) | instid1(VALU_DEP_1)
	v_div_fmas_f64 v[120:121], v[120:121], v[122:123], v[164:165]
	v_div_fixup_f64 v[120:121], v[120:121], v[162:163], v[160:161]
	s_delay_alu instid0(VALU_DEP_1) | instskip(NEXT) | instid1(VALU_DEP_1)
	v_fma_f64 v[122:123], v[160:161], v[120:121], v[162:163]
	v_div_scale_f64 v[160:161], null, v[122:123], v[122:123], 1.0
	s_delay_alu instid0(VALU_DEP_1) | instskip(SKIP_2) | instid1(VALU_DEP_1)
	v_rcp_f64_e32 v[162:163], v[160:161]
	s_waitcnt_depctr 0xfff
	v_fma_f64 v[164:165], -v[160:161], v[162:163], 1.0
	v_fma_f64 v[162:163], v[162:163], v[164:165], v[162:163]
	s_delay_alu instid0(VALU_DEP_1) | instskip(NEXT) | instid1(VALU_DEP_1)
	v_fma_f64 v[164:165], -v[160:161], v[162:163], 1.0
	v_fma_f64 v[162:163], v[162:163], v[164:165], v[162:163]
	v_div_scale_f64 v[164:165], vcc_lo, 1.0, v[122:123], 1.0
	s_delay_alu instid0(VALU_DEP_1) | instskip(NEXT) | instid1(VALU_DEP_1)
	v_mul_f64 v[166:167], v[164:165], v[162:163]
	v_fma_f64 v[160:161], -v[160:161], v[166:167], v[164:165]
	s_delay_alu instid0(VALU_DEP_1) | instskip(NEXT) | instid1(VALU_DEP_1)
	v_div_fmas_f64 v[160:161], v[160:161], v[162:163], v[166:167]
	v_div_fixup_f64 v[166:167], v[160:161], v[122:123], 1.0
                                        ; implicit-def: $vgpr160_vgpr161
	s_delay_alu instid0(VALU_DEP_1)
	v_mul_f64 v[120:121], v[120:121], v[166:167]
	v_xor_b32_e32 v167, 0x80000000, v167
.LBB59_95:
	s_and_not1_saveexec_b32 s3, s3
	s_cbranch_execz .LBB59_97
; %bb.96:
	v_div_scale_f64 v[120:121], null, v[160:161], v[160:161], v[162:163]
	v_div_scale_f64 v[166:167], vcc_lo, v[162:163], v[160:161], v[162:163]
	s_delay_alu instid0(VALU_DEP_2) | instskip(SKIP_2) | instid1(VALU_DEP_1)
	v_rcp_f64_e32 v[122:123], v[120:121]
	s_waitcnt_depctr 0xfff
	v_fma_f64 v[164:165], -v[120:121], v[122:123], 1.0
	v_fma_f64 v[122:123], v[122:123], v[164:165], v[122:123]
	s_delay_alu instid0(VALU_DEP_1) | instskip(NEXT) | instid1(VALU_DEP_1)
	v_fma_f64 v[164:165], -v[120:121], v[122:123], 1.0
	v_fma_f64 v[122:123], v[122:123], v[164:165], v[122:123]
	s_delay_alu instid0(VALU_DEP_1) | instskip(NEXT) | instid1(VALU_DEP_1)
	v_mul_f64 v[164:165], v[166:167], v[122:123]
	v_fma_f64 v[120:121], -v[120:121], v[164:165], v[166:167]
	s_delay_alu instid0(VALU_DEP_1) | instskip(NEXT) | instid1(VALU_DEP_1)
	v_div_fmas_f64 v[120:121], v[120:121], v[122:123], v[164:165]
	v_div_fixup_f64 v[122:123], v[120:121], v[160:161], v[162:163]
	s_delay_alu instid0(VALU_DEP_1) | instskip(NEXT) | instid1(VALU_DEP_1)
	v_fma_f64 v[120:121], v[162:163], v[122:123], v[160:161]
	v_div_scale_f64 v[160:161], null, v[120:121], v[120:121], 1.0
	s_delay_alu instid0(VALU_DEP_1) | instskip(SKIP_2) | instid1(VALU_DEP_1)
	v_rcp_f64_e32 v[162:163], v[160:161]
	s_waitcnt_depctr 0xfff
	v_fma_f64 v[164:165], -v[160:161], v[162:163], 1.0
	v_fma_f64 v[162:163], v[162:163], v[164:165], v[162:163]
	s_delay_alu instid0(VALU_DEP_1) | instskip(NEXT) | instid1(VALU_DEP_1)
	v_fma_f64 v[164:165], -v[160:161], v[162:163], 1.0
	v_fma_f64 v[162:163], v[162:163], v[164:165], v[162:163]
	v_div_scale_f64 v[164:165], vcc_lo, 1.0, v[120:121], 1.0
	s_delay_alu instid0(VALU_DEP_1) | instskip(NEXT) | instid1(VALU_DEP_1)
	v_mul_f64 v[166:167], v[164:165], v[162:163]
	v_fma_f64 v[160:161], -v[160:161], v[166:167], v[164:165]
	s_delay_alu instid0(VALU_DEP_1) | instskip(NEXT) | instid1(VALU_DEP_1)
	v_div_fmas_f64 v[160:161], v[160:161], v[162:163], v[166:167]
	v_div_fixup_f64 v[120:121], v[160:161], v[120:121], 1.0
	s_delay_alu instid0(VALU_DEP_1)
	v_mul_f64 v[166:167], v[122:123], -v[120:121]
.LBB59_97:
	s_or_b32 exec_lo, exec_lo, s3
	ds_store_2addr_b64 v241, v[120:121], v[166:167] offset1:1
.LBB59_98:
	s_or_b32 exec_lo, exec_lo, s4
	s_waitcnt lgkmcnt(0)
	s_barrier
	buffer_gl0_inv
	ds_load_2addr_b64 v[160:163], v241 offset1:1
	s_mov_b32 s3, exec_lo
	v_cmpx_lt_u32_e32 10, v240
	s_cbranch_execz .LBB59_100
; %bb.99:
	s_waitcnt lgkmcnt(0)
	v_mul_f64 v[120:121], v[162:163], v[78:79]
	v_mul_f64 v[78:79], v[160:161], v[78:79]
	s_delay_alu instid0(VALU_DEP_2) | instskip(NEXT) | instid1(VALU_DEP_2)
	v_fma_f64 v[164:165], v[160:161], v[76:77], -v[120:121]
	v_fma_f64 v[78:79], v[162:163], v[76:77], v[78:79]
	ds_load_2addr_b64 v[120:123], v242 offset0:22 offset1:23
	s_waitcnt lgkmcnt(0)
	v_mul_f64 v[76:77], v[122:123], v[78:79]
	s_delay_alu instid0(VALU_DEP_1) | instskip(SKIP_1) | instid1(VALU_DEP_2)
	v_fma_f64 v[76:77], v[120:121], v[164:165], -v[76:77]
	v_mul_f64 v[120:121], v[120:121], v[78:79]
	v_add_f64 v[72:73], v[72:73], -v[76:77]
	s_delay_alu instid0(VALU_DEP_2) | instskip(NEXT) | instid1(VALU_DEP_1)
	v_fma_f64 v[120:121], v[122:123], v[164:165], v[120:121]
	v_add_f64 v[74:75], v[74:75], -v[120:121]
	ds_load_2addr_b64 v[120:123], v242 offset0:24 offset1:25
	s_waitcnt lgkmcnt(0)
	v_mul_f64 v[76:77], v[122:123], v[78:79]
	s_delay_alu instid0(VALU_DEP_1) | instskip(SKIP_1) | instid1(VALU_DEP_2)
	v_fma_f64 v[76:77], v[120:121], v[164:165], -v[76:77]
	v_mul_f64 v[120:121], v[120:121], v[78:79]
	v_add_f64 v[68:69], v[68:69], -v[76:77]
	s_delay_alu instid0(VALU_DEP_2) | instskip(NEXT) | instid1(VALU_DEP_1)
	v_fma_f64 v[120:121], v[122:123], v[164:165], v[120:121]
	v_add_f64 v[70:71], v[70:71], -v[120:121]
	;; [unrolled: 10-line block ×18, first 2 shown]
	ds_load_2addr_b64 v[120:123], v242 offset0:58 offset1:59
	s_waitcnt lgkmcnt(0)
	v_mul_f64 v[76:77], v[122:123], v[78:79]
	s_delay_alu instid0(VALU_DEP_1) | instskip(SKIP_1) | instid1(VALU_DEP_2)
	v_fma_f64 v[76:77], v[120:121], v[164:165], -v[76:77]
	v_mul_f64 v[120:121], v[120:121], v[78:79]
	v_add_f64 v[0:1], v[0:1], -v[76:77]
	s_delay_alu instid0(VALU_DEP_2) | instskip(SKIP_1) | instid1(VALU_DEP_2)
	v_fma_f64 v[120:121], v[122:123], v[164:165], v[120:121]
	v_dual_mov_b32 v76, v164 :: v_dual_mov_b32 v77, v165
	v_add_f64 v[2:3], v[2:3], -v[120:121]
.LBB59_100:
	s_or_b32 exec_lo, exec_lo, s3
	s_delay_alu instid0(SALU_CYCLE_1)
	s_mov_b32 s4, exec_lo
	s_waitcnt lgkmcnt(0)
	s_barrier
	buffer_gl0_inv
	v_cmpx_eq_u32_e32 11, v240
	s_cbranch_execz .LBB59_107
; %bb.101:
	ds_store_2addr_b64 v241, v[72:73], v[74:75] offset1:1
	ds_store_2addr_b64 v242, v[68:69], v[70:71] offset0:24 offset1:25
	ds_store_2addr_b64 v242, v[64:65], v[66:67] offset0:26 offset1:27
	;; [unrolled: 1-line block ×18, first 2 shown]
	ds_load_2addr_b64 v[164:167], v241 offset1:1
	s_waitcnt lgkmcnt(0)
	v_cmp_neq_f64_e32 vcc_lo, 0, v[164:165]
	v_cmp_neq_f64_e64 s3, 0, v[166:167]
	s_delay_alu instid0(VALU_DEP_1) | instskip(NEXT) | instid1(SALU_CYCLE_1)
	s_or_b32 s3, vcc_lo, s3
	s_and_b32 exec_lo, exec_lo, s3
	s_cbranch_execz .LBB59_107
; %bb.102:
	v_cmp_gt_f64_e32 vcc_lo, 0, v[164:165]
	v_cmp_gt_f64_e64 s3, 0, v[166:167]
	v_xor_b32_e32 v120, 0x80000000, v165
	v_xor_b32_e32 v122, 0x80000000, v167
	s_delay_alu instid0(VALU_DEP_2) | instskip(NEXT) | instid1(VALU_DEP_2)
	v_cndmask_b32_e32 v121, v165, v120, vcc_lo
	v_cndmask_b32_e64 v123, v167, v122, s3
	v_cndmask_b32_e32 v120, v164, v164, vcc_lo
	v_cndmask_b32_e64 v122, v166, v166, s3
	s_delay_alu instid0(VALU_DEP_1) | instskip(SKIP_1) | instid1(SALU_CYCLE_1)
	v_cmp_ngt_f64_e32 vcc_lo, v[120:121], v[122:123]
                                        ; implicit-def: $vgpr120_vgpr121
	s_and_saveexec_b32 s3, vcc_lo
	s_xor_b32 s3, exec_lo, s3
                                        ; implicit-def: $vgpr168_vgpr169_vgpr170_vgpr171
	s_cbranch_execz .LBB59_104
; %bb.103:
	v_div_scale_f64 v[120:121], null, v[166:167], v[166:167], v[164:165]
	v_div_scale_f64 v[170:171], vcc_lo, v[164:165], v[166:167], v[164:165]
	s_delay_alu instid0(VALU_DEP_2) | instskip(SKIP_2) | instid1(VALU_DEP_1)
	v_rcp_f64_e32 v[122:123], v[120:121]
	s_waitcnt_depctr 0xfff
	v_fma_f64 v[168:169], -v[120:121], v[122:123], 1.0
	v_fma_f64 v[122:123], v[122:123], v[168:169], v[122:123]
	s_delay_alu instid0(VALU_DEP_1) | instskip(NEXT) | instid1(VALU_DEP_1)
	v_fma_f64 v[168:169], -v[120:121], v[122:123], 1.0
	v_fma_f64 v[122:123], v[122:123], v[168:169], v[122:123]
	s_delay_alu instid0(VALU_DEP_1) | instskip(NEXT) | instid1(VALU_DEP_1)
	v_mul_f64 v[168:169], v[170:171], v[122:123]
	v_fma_f64 v[120:121], -v[120:121], v[168:169], v[170:171]
	s_delay_alu instid0(VALU_DEP_1) | instskip(NEXT) | instid1(VALU_DEP_1)
	v_div_fmas_f64 v[120:121], v[120:121], v[122:123], v[168:169]
	v_div_fixup_f64 v[120:121], v[120:121], v[166:167], v[164:165]
	s_delay_alu instid0(VALU_DEP_1) | instskip(NEXT) | instid1(VALU_DEP_1)
	v_fma_f64 v[122:123], v[164:165], v[120:121], v[166:167]
	v_div_scale_f64 v[164:165], null, v[122:123], v[122:123], 1.0
	s_delay_alu instid0(VALU_DEP_1) | instskip(SKIP_2) | instid1(VALU_DEP_1)
	v_rcp_f64_e32 v[166:167], v[164:165]
	s_waitcnt_depctr 0xfff
	v_fma_f64 v[168:169], -v[164:165], v[166:167], 1.0
	v_fma_f64 v[166:167], v[166:167], v[168:169], v[166:167]
	s_delay_alu instid0(VALU_DEP_1) | instskip(NEXT) | instid1(VALU_DEP_1)
	v_fma_f64 v[168:169], -v[164:165], v[166:167], 1.0
	v_fma_f64 v[166:167], v[166:167], v[168:169], v[166:167]
	v_div_scale_f64 v[168:169], vcc_lo, 1.0, v[122:123], 1.0
	s_delay_alu instid0(VALU_DEP_1) | instskip(NEXT) | instid1(VALU_DEP_1)
	v_mul_f64 v[170:171], v[168:169], v[166:167]
	v_fma_f64 v[164:165], -v[164:165], v[170:171], v[168:169]
	s_delay_alu instid0(VALU_DEP_1) | instskip(NEXT) | instid1(VALU_DEP_1)
	v_div_fmas_f64 v[164:165], v[164:165], v[166:167], v[170:171]
	v_div_fixup_f64 v[170:171], v[164:165], v[122:123], 1.0
                                        ; implicit-def: $vgpr164_vgpr165
	s_delay_alu instid0(VALU_DEP_1)
	v_mul_f64 v[120:121], v[120:121], v[170:171]
	v_xor_b32_e32 v171, 0x80000000, v171
.LBB59_104:
	s_and_not1_saveexec_b32 s3, s3
	s_cbranch_execz .LBB59_106
; %bb.105:
	v_div_scale_f64 v[120:121], null, v[164:165], v[164:165], v[166:167]
	v_div_scale_f64 v[170:171], vcc_lo, v[166:167], v[164:165], v[166:167]
	s_delay_alu instid0(VALU_DEP_2) | instskip(SKIP_2) | instid1(VALU_DEP_1)
	v_rcp_f64_e32 v[122:123], v[120:121]
	s_waitcnt_depctr 0xfff
	v_fma_f64 v[168:169], -v[120:121], v[122:123], 1.0
	v_fma_f64 v[122:123], v[122:123], v[168:169], v[122:123]
	s_delay_alu instid0(VALU_DEP_1) | instskip(NEXT) | instid1(VALU_DEP_1)
	v_fma_f64 v[168:169], -v[120:121], v[122:123], 1.0
	v_fma_f64 v[122:123], v[122:123], v[168:169], v[122:123]
	s_delay_alu instid0(VALU_DEP_1) | instskip(NEXT) | instid1(VALU_DEP_1)
	v_mul_f64 v[168:169], v[170:171], v[122:123]
	v_fma_f64 v[120:121], -v[120:121], v[168:169], v[170:171]
	s_delay_alu instid0(VALU_DEP_1) | instskip(NEXT) | instid1(VALU_DEP_1)
	v_div_fmas_f64 v[120:121], v[120:121], v[122:123], v[168:169]
	v_div_fixup_f64 v[122:123], v[120:121], v[164:165], v[166:167]
	s_delay_alu instid0(VALU_DEP_1) | instskip(NEXT) | instid1(VALU_DEP_1)
	v_fma_f64 v[120:121], v[166:167], v[122:123], v[164:165]
	v_div_scale_f64 v[164:165], null, v[120:121], v[120:121], 1.0
	s_delay_alu instid0(VALU_DEP_1) | instskip(SKIP_2) | instid1(VALU_DEP_1)
	v_rcp_f64_e32 v[166:167], v[164:165]
	s_waitcnt_depctr 0xfff
	v_fma_f64 v[168:169], -v[164:165], v[166:167], 1.0
	v_fma_f64 v[166:167], v[166:167], v[168:169], v[166:167]
	s_delay_alu instid0(VALU_DEP_1) | instskip(NEXT) | instid1(VALU_DEP_1)
	v_fma_f64 v[168:169], -v[164:165], v[166:167], 1.0
	v_fma_f64 v[166:167], v[166:167], v[168:169], v[166:167]
	v_div_scale_f64 v[168:169], vcc_lo, 1.0, v[120:121], 1.0
	s_delay_alu instid0(VALU_DEP_1) | instskip(NEXT) | instid1(VALU_DEP_1)
	v_mul_f64 v[170:171], v[168:169], v[166:167]
	v_fma_f64 v[164:165], -v[164:165], v[170:171], v[168:169]
	s_delay_alu instid0(VALU_DEP_1) | instskip(NEXT) | instid1(VALU_DEP_1)
	v_div_fmas_f64 v[164:165], v[164:165], v[166:167], v[170:171]
	v_div_fixup_f64 v[120:121], v[164:165], v[120:121], 1.0
	s_delay_alu instid0(VALU_DEP_1)
	v_mul_f64 v[170:171], v[122:123], -v[120:121]
.LBB59_106:
	s_or_b32 exec_lo, exec_lo, s3
	ds_store_2addr_b64 v241, v[120:121], v[170:171] offset1:1
.LBB59_107:
	s_or_b32 exec_lo, exec_lo, s4
	s_waitcnt lgkmcnt(0)
	s_barrier
	buffer_gl0_inv
	ds_load_2addr_b64 v[164:167], v241 offset1:1
	s_mov_b32 s3, exec_lo
	v_cmpx_lt_u32_e32 11, v240
	s_cbranch_execz .LBB59_109
; %bb.108:
	s_waitcnt lgkmcnt(0)
	v_mul_f64 v[120:121], v[166:167], v[74:75]
	v_mul_f64 v[74:75], v[164:165], v[74:75]
	s_delay_alu instid0(VALU_DEP_2) | instskip(NEXT) | instid1(VALU_DEP_2)
	v_fma_f64 v[168:169], v[164:165], v[72:73], -v[120:121]
	v_fma_f64 v[74:75], v[166:167], v[72:73], v[74:75]
	ds_load_2addr_b64 v[120:123], v242 offset0:24 offset1:25
	s_waitcnt lgkmcnt(0)
	v_mul_f64 v[72:73], v[122:123], v[74:75]
	s_delay_alu instid0(VALU_DEP_1) | instskip(SKIP_1) | instid1(VALU_DEP_2)
	v_fma_f64 v[72:73], v[120:121], v[168:169], -v[72:73]
	v_mul_f64 v[120:121], v[120:121], v[74:75]
	v_add_f64 v[68:69], v[68:69], -v[72:73]
	s_delay_alu instid0(VALU_DEP_2) | instskip(NEXT) | instid1(VALU_DEP_1)
	v_fma_f64 v[120:121], v[122:123], v[168:169], v[120:121]
	v_add_f64 v[70:71], v[70:71], -v[120:121]
	ds_load_2addr_b64 v[120:123], v242 offset0:26 offset1:27
	s_waitcnt lgkmcnt(0)
	v_mul_f64 v[72:73], v[122:123], v[74:75]
	s_delay_alu instid0(VALU_DEP_1) | instskip(SKIP_1) | instid1(VALU_DEP_2)
	v_fma_f64 v[72:73], v[120:121], v[168:169], -v[72:73]
	v_mul_f64 v[120:121], v[120:121], v[74:75]
	v_add_f64 v[64:65], v[64:65], -v[72:73]
	s_delay_alu instid0(VALU_DEP_2) | instskip(NEXT) | instid1(VALU_DEP_1)
	v_fma_f64 v[120:121], v[122:123], v[168:169], v[120:121]
	v_add_f64 v[66:67], v[66:67], -v[120:121]
	;; [unrolled: 10-line block ×17, first 2 shown]
	ds_load_2addr_b64 v[120:123], v242 offset0:58 offset1:59
	s_waitcnt lgkmcnt(0)
	v_mul_f64 v[72:73], v[122:123], v[74:75]
	s_delay_alu instid0(VALU_DEP_1) | instskip(SKIP_1) | instid1(VALU_DEP_2)
	v_fma_f64 v[72:73], v[120:121], v[168:169], -v[72:73]
	v_mul_f64 v[120:121], v[120:121], v[74:75]
	v_add_f64 v[0:1], v[0:1], -v[72:73]
	s_delay_alu instid0(VALU_DEP_2) | instskip(SKIP_1) | instid1(VALU_DEP_2)
	v_fma_f64 v[120:121], v[122:123], v[168:169], v[120:121]
	v_dual_mov_b32 v72, v168 :: v_dual_mov_b32 v73, v169
	v_add_f64 v[2:3], v[2:3], -v[120:121]
.LBB59_109:
	s_or_b32 exec_lo, exec_lo, s3
	s_delay_alu instid0(SALU_CYCLE_1)
	s_mov_b32 s4, exec_lo
	s_waitcnt lgkmcnt(0)
	s_barrier
	buffer_gl0_inv
	v_cmpx_eq_u32_e32 12, v240
	s_cbranch_execz .LBB59_116
; %bb.110:
	ds_store_2addr_b64 v241, v[68:69], v[70:71] offset1:1
	ds_store_2addr_b64 v242, v[64:65], v[66:67] offset0:26 offset1:27
	ds_store_2addr_b64 v242, v[60:61], v[62:63] offset0:28 offset1:29
	;; [unrolled: 1-line block ×17, first 2 shown]
	ds_load_2addr_b64 v[168:171], v241 offset1:1
	s_waitcnt lgkmcnt(0)
	v_cmp_neq_f64_e32 vcc_lo, 0, v[168:169]
	v_cmp_neq_f64_e64 s3, 0, v[170:171]
	s_delay_alu instid0(VALU_DEP_1) | instskip(NEXT) | instid1(SALU_CYCLE_1)
	s_or_b32 s3, vcc_lo, s3
	s_and_b32 exec_lo, exec_lo, s3
	s_cbranch_execz .LBB59_116
; %bb.111:
	v_cmp_gt_f64_e32 vcc_lo, 0, v[168:169]
	v_cmp_gt_f64_e64 s3, 0, v[170:171]
	v_xor_b32_e32 v120, 0x80000000, v169
	v_xor_b32_e32 v122, 0x80000000, v171
	s_delay_alu instid0(VALU_DEP_2) | instskip(NEXT) | instid1(VALU_DEP_2)
	v_cndmask_b32_e32 v121, v169, v120, vcc_lo
	v_cndmask_b32_e64 v123, v171, v122, s3
	v_cndmask_b32_e32 v120, v168, v168, vcc_lo
	v_cndmask_b32_e64 v122, v170, v170, s3
	s_delay_alu instid0(VALU_DEP_1) | instskip(SKIP_1) | instid1(SALU_CYCLE_1)
	v_cmp_ngt_f64_e32 vcc_lo, v[120:121], v[122:123]
                                        ; implicit-def: $vgpr120_vgpr121
	s_and_saveexec_b32 s3, vcc_lo
	s_xor_b32 s3, exec_lo, s3
                                        ; implicit-def: $vgpr172_vgpr173_vgpr174_vgpr175
	s_cbranch_execz .LBB59_113
; %bb.112:
	v_div_scale_f64 v[120:121], null, v[170:171], v[170:171], v[168:169]
	v_div_scale_f64 v[174:175], vcc_lo, v[168:169], v[170:171], v[168:169]
	s_delay_alu instid0(VALU_DEP_2) | instskip(SKIP_2) | instid1(VALU_DEP_1)
	v_rcp_f64_e32 v[122:123], v[120:121]
	s_waitcnt_depctr 0xfff
	v_fma_f64 v[172:173], -v[120:121], v[122:123], 1.0
	v_fma_f64 v[122:123], v[122:123], v[172:173], v[122:123]
	s_delay_alu instid0(VALU_DEP_1) | instskip(NEXT) | instid1(VALU_DEP_1)
	v_fma_f64 v[172:173], -v[120:121], v[122:123], 1.0
	v_fma_f64 v[122:123], v[122:123], v[172:173], v[122:123]
	s_delay_alu instid0(VALU_DEP_1) | instskip(NEXT) | instid1(VALU_DEP_1)
	v_mul_f64 v[172:173], v[174:175], v[122:123]
	v_fma_f64 v[120:121], -v[120:121], v[172:173], v[174:175]
	s_delay_alu instid0(VALU_DEP_1) | instskip(NEXT) | instid1(VALU_DEP_1)
	v_div_fmas_f64 v[120:121], v[120:121], v[122:123], v[172:173]
	v_div_fixup_f64 v[120:121], v[120:121], v[170:171], v[168:169]
	s_delay_alu instid0(VALU_DEP_1) | instskip(NEXT) | instid1(VALU_DEP_1)
	v_fma_f64 v[122:123], v[168:169], v[120:121], v[170:171]
	v_div_scale_f64 v[168:169], null, v[122:123], v[122:123], 1.0
	s_delay_alu instid0(VALU_DEP_1) | instskip(SKIP_2) | instid1(VALU_DEP_1)
	v_rcp_f64_e32 v[170:171], v[168:169]
	s_waitcnt_depctr 0xfff
	v_fma_f64 v[172:173], -v[168:169], v[170:171], 1.0
	v_fma_f64 v[170:171], v[170:171], v[172:173], v[170:171]
	s_delay_alu instid0(VALU_DEP_1) | instskip(NEXT) | instid1(VALU_DEP_1)
	v_fma_f64 v[172:173], -v[168:169], v[170:171], 1.0
	v_fma_f64 v[170:171], v[170:171], v[172:173], v[170:171]
	v_div_scale_f64 v[172:173], vcc_lo, 1.0, v[122:123], 1.0
	s_delay_alu instid0(VALU_DEP_1) | instskip(NEXT) | instid1(VALU_DEP_1)
	v_mul_f64 v[174:175], v[172:173], v[170:171]
	v_fma_f64 v[168:169], -v[168:169], v[174:175], v[172:173]
	s_delay_alu instid0(VALU_DEP_1) | instskip(NEXT) | instid1(VALU_DEP_1)
	v_div_fmas_f64 v[168:169], v[168:169], v[170:171], v[174:175]
	v_div_fixup_f64 v[174:175], v[168:169], v[122:123], 1.0
                                        ; implicit-def: $vgpr168_vgpr169
	s_delay_alu instid0(VALU_DEP_1)
	v_mul_f64 v[120:121], v[120:121], v[174:175]
	v_xor_b32_e32 v175, 0x80000000, v175
.LBB59_113:
	s_and_not1_saveexec_b32 s3, s3
	s_cbranch_execz .LBB59_115
; %bb.114:
	v_div_scale_f64 v[120:121], null, v[168:169], v[168:169], v[170:171]
	v_div_scale_f64 v[174:175], vcc_lo, v[170:171], v[168:169], v[170:171]
	s_delay_alu instid0(VALU_DEP_2) | instskip(SKIP_2) | instid1(VALU_DEP_1)
	v_rcp_f64_e32 v[122:123], v[120:121]
	s_waitcnt_depctr 0xfff
	v_fma_f64 v[172:173], -v[120:121], v[122:123], 1.0
	v_fma_f64 v[122:123], v[122:123], v[172:173], v[122:123]
	s_delay_alu instid0(VALU_DEP_1) | instskip(NEXT) | instid1(VALU_DEP_1)
	v_fma_f64 v[172:173], -v[120:121], v[122:123], 1.0
	v_fma_f64 v[122:123], v[122:123], v[172:173], v[122:123]
	s_delay_alu instid0(VALU_DEP_1) | instskip(NEXT) | instid1(VALU_DEP_1)
	v_mul_f64 v[172:173], v[174:175], v[122:123]
	v_fma_f64 v[120:121], -v[120:121], v[172:173], v[174:175]
	s_delay_alu instid0(VALU_DEP_1) | instskip(NEXT) | instid1(VALU_DEP_1)
	v_div_fmas_f64 v[120:121], v[120:121], v[122:123], v[172:173]
	v_div_fixup_f64 v[122:123], v[120:121], v[168:169], v[170:171]
	s_delay_alu instid0(VALU_DEP_1) | instskip(NEXT) | instid1(VALU_DEP_1)
	v_fma_f64 v[120:121], v[170:171], v[122:123], v[168:169]
	v_div_scale_f64 v[168:169], null, v[120:121], v[120:121], 1.0
	s_delay_alu instid0(VALU_DEP_1) | instskip(SKIP_2) | instid1(VALU_DEP_1)
	v_rcp_f64_e32 v[170:171], v[168:169]
	s_waitcnt_depctr 0xfff
	v_fma_f64 v[172:173], -v[168:169], v[170:171], 1.0
	v_fma_f64 v[170:171], v[170:171], v[172:173], v[170:171]
	s_delay_alu instid0(VALU_DEP_1) | instskip(NEXT) | instid1(VALU_DEP_1)
	v_fma_f64 v[172:173], -v[168:169], v[170:171], 1.0
	v_fma_f64 v[170:171], v[170:171], v[172:173], v[170:171]
	v_div_scale_f64 v[172:173], vcc_lo, 1.0, v[120:121], 1.0
	s_delay_alu instid0(VALU_DEP_1) | instskip(NEXT) | instid1(VALU_DEP_1)
	v_mul_f64 v[174:175], v[172:173], v[170:171]
	v_fma_f64 v[168:169], -v[168:169], v[174:175], v[172:173]
	s_delay_alu instid0(VALU_DEP_1) | instskip(NEXT) | instid1(VALU_DEP_1)
	v_div_fmas_f64 v[168:169], v[168:169], v[170:171], v[174:175]
	v_div_fixup_f64 v[120:121], v[168:169], v[120:121], 1.0
	s_delay_alu instid0(VALU_DEP_1)
	v_mul_f64 v[174:175], v[122:123], -v[120:121]
.LBB59_115:
	s_or_b32 exec_lo, exec_lo, s3
	ds_store_2addr_b64 v241, v[120:121], v[174:175] offset1:1
.LBB59_116:
	s_or_b32 exec_lo, exec_lo, s4
	s_waitcnt lgkmcnt(0)
	s_barrier
	buffer_gl0_inv
	ds_load_2addr_b64 v[168:171], v241 offset1:1
	s_mov_b32 s3, exec_lo
	v_cmpx_lt_u32_e32 12, v240
	s_cbranch_execz .LBB59_118
; %bb.117:
	s_waitcnt lgkmcnt(0)
	v_mul_f64 v[120:121], v[170:171], v[70:71]
	v_mul_f64 v[70:71], v[168:169], v[70:71]
	s_delay_alu instid0(VALU_DEP_2) | instskip(NEXT) | instid1(VALU_DEP_2)
	v_fma_f64 v[172:173], v[168:169], v[68:69], -v[120:121]
	v_fma_f64 v[70:71], v[170:171], v[68:69], v[70:71]
	ds_load_2addr_b64 v[120:123], v242 offset0:26 offset1:27
	s_waitcnt lgkmcnt(0)
	v_mul_f64 v[68:69], v[122:123], v[70:71]
	s_delay_alu instid0(VALU_DEP_1) | instskip(SKIP_1) | instid1(VALU_DEP_2)
	v_fma_f64 v[68:69], v[120:121], v[172:173], -v[68:69]
	v_mul_f64 v[120:121], v[120:121], v[70:71]
	v_add_f64 v[64:65], v[64:65], -v[68:69]
	s_delay_alu instid0(VALU_DEP_2) | instskip(NEXT) | instid1(VALU_DEP_1)
	v_fma_f64 v[120:121], v[122:123], v[172:173], v[120:121]
	v_add_f64 v[66:67], v[66:67], -v[120:121]
	ds_load_2addr_b64 v[120:123], v242 offset0:28 offset1:29
	s_waitcnt lgkmcnt(0)
	v_mul_f64 v[68:69], v[122:123], v[70:71]
	s_delay_alu instid0(VALU_DEP_1) | instskip(SKIP_1) | instid1(VALU_DEP_2)
	v_fma_f64 v[68:69], v[120:121], v[172:173], -v[68:69]
	v_mul_f64 v[120:121], v[120:121], v[70:71]
	v_add_f64 v[60:61], v[60:61], -v[68:69]
	s_delay_alu instid0(VALU_DEP_2) | instskip(NEXT) | instid1(VALU_DEP_1)
	v_fma_f64 v[120:121], v[122:123], v[172:173], v[120:121]
	v_add_f64 v[62:63], v[62:63], -v[120:121]
	;; [unrolled: 10-line block ×16, first 2 shown]
	ds_load_2addr_b64 v[120:123], v242 offset0:58 offset1:59
	s_waitcnt lgkmcnt(0)
	v_mul_f64 v[68:69], v[122:123], v[70:71]
	s_delay_alu instid0(VALU_DEP_1) | instskip(SKIP_1) | instid1(VALU_DEP_2)
	v_fma_f64 v[68:69], v[120:121], v[172:173], -v[68:69]
	v_mul_f64 v[120:121], v[120:121], v[70:71]
	v_add_f64 v[0:1], v[0:1], -v[68:69]
	s_delay_alu instid0(VALU_DEP_2) | instskip(SKIP_1) | instid1(VALU_DEP_2)
	v_fma_f64 v[120:121], v[122:123], v[172:173], v[120:121]
	v_dual_mov_b32 v68, v172 :: v_dual_mov_b32 v69, v173
	v_add_f64 v[2:3], v[2:3], -v[120:121]
.LBB59_118:
	s_or_b32 exec_lo, exec_lo, s3
	s_delay_alu instid0(SALU_CYCLE_1)
	s_mov_b32 s4, exec_lo
	s_waitcnt lgkmcnt(0)
	s_barrier
	buffer_gl0_inv
	v_cmpx_eq_u32_e32 13, v240
	s_cbranch_execz .LBB59_125
; %bb.119:
	ds_store_2addr_b64 v241, v[64:65], v[66:67] offset1:1
	ds_store_2addr_b64 v242, v[60:61], v[62:63] offset0:28 offset1:29
	ds_store_2addr_b64 v242, v[56:57], v[58:59] offset0:30 offset1:31
	;; [unrolled: 1-line block ×16, first 2 shown]
	ds_load_2addr_b64 v[172:175], v241 offset1:1
	s_waitcnt lgkmcnt(0)
	v_cmp_neq_f64_e32 vcc_lo, 0, v[172:173]
	v_cmp_neq_f64_e64 s3, 0, v[174:175]
	s_delay_alu instid0(VALU_DEP_1) | instskip(NEXT) | instid1(SALU_CYCLE_1)
	s_or_b32 s3, vcc_lo, s3
	s_and_b32 exec_lo, exec_lo, s3
	s_cbranch_execz .LBB59_125
; %bb.120:
	v_cmp_gt_f64_e32 vcc_lo, 0, v[172:173]
	v_cmp_gt_f64_e64 s3, 0, v[174:175]
	v_xor_b32_e32 v120, 0x80000000, v173
	v_xor_b32_e32 v122, 0x80000000, v175
	s_delay_alu instid0(VALU_DEP_2) | instskip(NEXT) | instid1(VALU_DEP_2)
	v_cndmask_b32_e32 v121, v173, v120, vcc_lo
	v_cndmask_b32_e64 v123, v175, v122, s3
	v_cndmask_b32_e32 v120, v172, v172, vcc_lo
	v_cndmask_b32_e64 v122, v174, v174, s3
	s_delay_alu instid0(VALU_DEP_1) | instskip(SKIP_1) | instid1(SALU_CYCLE_1)
	v_cmp_ngt_f64_e32 vcc_lo, v[120:121], v[122:123]
                                        ; implicit-def: $vgpr120_vgpr121
	s_and_saveexec_b32 s3, vcc_lo
	s_xor_b32 s3, exec_lo, s3
                                        ; implicit-def: $vgpr176_vgpr177_vgpr178_vgpr179
	s_cbranch_execz .LBB59_122
; %bb.121:
	v_div_scale_f64 v[120:121], null, v[174:175], v[174:175], v[172:173]
	v_div_scale_f64 v[178:179], vcc_lo, v[172:173], v[174:175], v[172:173]
	s_delay_alu instid0(VALU_DEP_2) | instskip(SKIP_2) | instid1(VALU_DEP_1)
	v_rcp_f64_e32 v[122:123], v[120:121]
	s_waitcnt_depctr 0xfff
	v_fma_f64 v[176:177], -v[120:121], v[122:123], 1.0
	v_fma_f64 v[122:123], v[122:123], v[176:177], v[122:123]
	s_delay_alu instid0(VALU_DEP_1) | instskip(NEXT) | instid1(VALU_DEP_1)
	v_fma_f64 v[176:177], -v[120:121], v[122:123], 1.0
	v_fma_f64 v[122:123], v[122:123], v[176:177], v[122:123]
	s_delay_alu instid0(VALU_DEP_1) | instskip(NEXT) | instid1(VALU_DEP_1)
	v_mul_f64 v[176:177], v[178:179], v[122:123]
	v_fma_f64 v[120:121], -v[120:121], v[176:177], v[178:179]
	s_delay_alu instid0(VALU_DEP_1) | instskip(NEXT) | instid1(VALU_DEP_1)
	v_div_fmas_f64 v[120:121], v[120:121], v[122:123], v[176:177]
	v_div_fixup_f64 v[120:121], v[120:121], v[174:175], v[172:173]
	s_delay_alu instid0(VALU_DEP_1) | instskip(NEXT) | instid1(VALU_DEP_1)
	v_fma_f64 v[122:123], v[172:173], v[120:121], v[174:175]
	v_div_scale_f64 v[172:173], null, v[122:123], v[122:123], 1.0
	s_delay_alu instid0(VALU_DEP_1) | instskip(SKIP_2) | instid1(VALU_DEP_1)
	v_rcp_f64_e32 v[174:175], v[172:173]
	s_waitcnt_depctr 0xfff
	v_fma_f64 v[176:177], -v[172:173], v[174:175], 1.0
	v_fma_f64 v[174:175], v[174:175], v[176:177], v[174:175]
	s_delay_alu instid0(VALU_DEP_1) | instskip(NEXT) | instid1(VALU_DEP_1)
	v_fma_f64 v[176:177], -v[172:173], v[174:175], 1.0
	v_fma_f64 v[174:175], v[174:175], v[176:177], v[174:175]
	v_div_scale_f64 v[176:177], vcc_lo, 1.0, v[122:123], 1.0
	s_delay_alu instid0(VALU_DEP_1) | instskip(NEXT) | instid1(VALU_DEP_1)
	v_mul_f64 v[178:179], v[176:177], v[174:175]
	v_fma_f64 v[172:173], -v[172:173], v[178:179], v[176:177]
	s_delay_alu instid0(VALU_DEP_1) | instskip(NEXT) | instid1(VALU_DEP_1)
	v_div_fmas_f64 v[172:173], v[172:173], v[174:175], v[178:179]
	v_div_fixup_f64 v[178:179], v[172:173], v[122:123], 1.0
                                        ; implicit-def: $vgpr172_vgpr173
	s_delay_alu instid0(VALU_DEP_1)
	v_mul_f64 v[120:121], v[120:121], v[178:179]
	v_xor_b32_e32 v179, 0x80000000, v179
.LBB59_122:
	s_and_not1_saveexec_b32 s3, s3
	s_cbranch_execz .LBB59_124
; %bb.123:
	v_div_scale_f64 v[120:121], null, v[172:173], v[172:173], v[174:175]
	v_div_scale_f64 v[178:179], vcc_lo, v[174:175], v[172:173], v[174:175]
	s_delay_alu instid0(VALU_DEP_2) | instskip(SKIP_2) | instid1(VALU_DEP_1)
	v_rcp_f64_e32 v[122:123], v[120:121]
	s_waitcnt_depctr 0xfff
	v_fma_f64 v[176:177], -v[120:121], v[122:123], 1.0
	v_fma_f64 v[122:123], v[122:123], v[176:177], v[122:123]
	s_delay_alu instid0(VALU_DEP_1) | instskip(NEXT) | instid1(VALU_DEP_1)
	v_fma_f64 v[176:177], -v[120:121], v[122:123], 1.0
	v_fma_f64 v[122:123], v[122:123], v[176:177], v[122:123]
	s_delay_alu instid0(VALU_DEP_1) | instskip(NEXT) | instid1(VALU_DEP_1)
	v_mul_f64 v[176:177], v[178:179], v[122:123]
	v_fma_f64 v[120:121], -v[120:121], v[176:177], v[178:179]
	s_delay_alu instid0(VALU_DEP_1) | instskip(NEXT) | instid1(VALU_DEP_1)
	v_div_fmas_f64 v[120:121], v[120:121], v[122:123], v[176:177]
	v_div_fixup_f64 v[122:123], v[120:121], v[172:173], v[174:175]
	s_delay_alu instid0(VALU_DEP_1) | instskip(NEXT) | instid1(VALU_DEP_1)
	v_fma_f64 v[120:121], v[174:175], v[122:123], v[172:173]
	v_div_scale_f64 v[172:173], null, v[120:121], v[120:121], 1.0
	s_delay_alu instid0(VALU_DEP_1) | instskip(SKIP_2) | instid1(VALU_DEP_1)
	v_rcp_f64_e32 v[174:175], v[172:173]
	s_waitcnt_depctr 0xfff
	v_fma_f64 v[176:177], -v[172:173], v[174:175], 1.0
	v_fma_f64 v[174:175], v[174:175], v[176:177], v[174:175]
	s_delay_alu instid0(VALU_DEP_1) | instskip(NEXT) | instid1(VALU_DEP_1)
	v_fma_f64 v[176:177], -v[172:173], v[174:175], 1.0
	v_fma_f64 v[174:175], v[174:175], v[176:177], v[174:175]
	v_div_scale_f64 v[176:177], vcc_lo, 1.0, v[120:121], 1.0
	s_delay_alu instid0(VALU_DEP_1) | instskip(NEXT) | instid1(VALU_DEP_1)
	v_mul_f64 v[178:179], v[176:177], v[174:175]
	v_fma_f64 v[172:173], -v[172:173], v[178:179], v[176:177]
	s_delay_alu instid0(VALU_DEP_1) | instskip(NEXT) | instid1(VALU_DEP_1)
	v_div_fmas_f64 v[172:173], v[172:173], v[174:175], v[178:179]
	v_div_fixup_f64 v[120:121], v[172:173], v[120:121], 1.0
	s_delay_alu instid0(VALU_DEP_1)
	v_mul_f64 v[178:179], v[122:123], -v[120:121]
.LBB59_124:
	s_or_b32 exec_lo, exec_lo, s3
	ds_store_2addr_b64 v241, v[120:121], v[178:179] offset1:1
.LBB59_125:
	s_or_b32 exec_lo, exec_lo, s4
	s_waitcnt lgkmcnt(0)
	s_barrier
	buffer_gl0_inv
	ds_load_2addr_b64 v[172:175], v241 offset1:1
	s_mov_b32 s3, exec_lo
	v_cmpx_lt_u32_e32 13, v240
	s_cbranch_execz .LBB59_127
; %bb.126:
	s_waitcnt lgkmcnt(0)
	v_mul_f64 v[120:121], v[172:173], v[66:67]
	v_mul_f64 v[66:67], v[174:175], v[66:67]
	s_delay_alu instid0(VALU_DEP_2) | instskip(SKIP_4) | instid1(VALU_DEP_1)
	v_fma_f64 v[176:177], v[174:175], v[64:65], v[120:121]
	ds_load_2addr_b64 v[120:123], v242 offset0:28 offset1:29
	v_fma_f64 v[64:65], v[172:173], v[64:65], -v[66:67]
	s_waitcnt lgkmcnt(0)
	v_mul_f64 v[66:67], v[122:123], v[176:177]
	v_fma_f64 v[66:67], v[120:121], v[64:65], -v[66:67]
	v_mul_f64 v[120:121], v[120:121], v[176:177]
	s_delay_alu instid0(VALU_DEP_2) | instskip(NEXT) | instid1(VALU_DEP_2)
	v_add_f64 v[60:61], v[60:61], -v[66:67]
	v_fma_f64 v[120:121], v[122:123], v[64:65], v[120:121]
	s_delay_alu instid0(VALU_DEP_1) | instskip(SKIP_3) | instid1(VALU_DEP_1)
	v_add_f64 v[62:63], v[62:63], -v[120:121]
	ds_load_2addr_b64 v[120:123], v242 offset0:30 offset1:31
	s_waitcnt lgkmcnt(0)
	v_mul_f64 v[66:67], v[122:123], v[176:177]
	v_fma_f64 v[66:67], v[120:121], v[64:65], -v[66:67]
	v_mul_f64 v[120:121], v[120:121], v[176:177]
	s_delay_alu instid0(VALU_DEP_2) | instskip(NEXT) | instid1(VALU_DEP_2)
	v_add_f64 v[56:57], v[56:57], -v[66:67]
	v_fma_f64 v[120:121], v[122:123], v[64:65], v[120:121]
	s_delay_alu instid0(VALU_DEP_1) | instskip(SKIP_3) | instid1(VALU_DEP_1)
	v_add_f64 v[58:59], v[58:59], -v[120:121]
	ds_load_2addr_b64 v[120:123], v242 offset0:32 offset1:33
	;; [unrolled: 10-line block ×15, first 2 shown]
	s_waitcnt lgkmcnt(0)
	v_mul_f64 v[66:67], v[122:123], v[176:177]
	v_fma_f64 v[66:67], v[120:121], v[64:65], -v[66:67]
	v_mul_f64 v[120:121], v[120:121], v[176:177]
	s_delay_alu instid0(VALU_DEP_2) | instskip(NEXT) | instid1(VALU_DEP_2)
	v_add_f64 v[0:1], v[0:1], -v[66:67]
	v_fma_f64 v[120:121], v[122:123], v[64:65], v[120:121]
	v_dual_mov_b32 v66, v176 :: v_dual_mov_b32 v67, v177
	s_delay_alu instid0(VALU_DEP_2)
	v_add_f64 v[2:3], v[2:3], -v[120:121]
.LBB59_127:
	s_or_b32 exec_lo, exec_lo, s3
	s_delay_alu instid0(SALU_CYCLE_1)
	s_mov_b32 s4, exec_lo
	s_waitcnt lgkmcnt(0)
	s_barrier
	buffer_gl0_inv
	v_cmpx_eq_u32_e32 14, v240
	s_cbranch_execz .LBB59_134
; %bb.128:
	ds_store_2addr_b64 v241, v[60:61], v[62:63] offset1:1
	ds_store_2addr_b64 v242, v[56:57], v[58:59] offset0:30 offset1:31
	ds_store_2addr_b64 v242, v[52:53], v[54:55] offset0:32 offset1:33
	;; [unrolled: 1-line block ×15, first 2 shown]
	ds_load_2addr_b64 v[176:179], v241 offset1:1
	s_waitcnt lgkmcnt(0)
	v_cmp_neq_f64_e32 vcc_lo, 0, v[176:177]
	v_cmp_neq_f64_e64 s3, 0, v[178:179]
	s_delay_alu instid0(VALU_DEP_1) | instskip(NEXT) | instid1(SALU_CYCLE_1)
	s_or_b32 s3, vcc_lo, s3
	s_and_b32 exec_lo, exec_lo, s3
	s_cbranch_execz .LBB59_134
; %bb.129:
	v_cmp_gt_f64_e32 vcc_lo, 0, v[176:177]
	v_cmp_gt_f64_e64 s3, 0, v[178:179]
	v_xor_b32_e32 v120, 0x80000000, v177
	v_xor_b32_e32 v122, 0x80000000, v179
	s_delay_alu instid0(VALU_DEP_2) | instskip(NEXT) | instid1(VALU_DEP_2)
	v_cndmask_b32_e32 v121, v177, v120, vcc_lo
	v_cndmask_b32_e64 v123, v179, v122, s3
	v_cndmask_b32_e32 v120, v176, v176, vcc_lo
	v_cndmask_b32_e64 v122, v178, v178, s3
	s_delay_alu instid0(VALU_DEP_1) | instskip(SKIP_1) | instid1(SALU_CYCLE_1)
	v_cmp_ngt_f64_e32 vcc_lo, v[120:121], v[122:123]
                                        ; implicit-def: $vgpr120_vgpr121
	s_and_saveexec_b32 s3, vcc_lo
	s_xor_b32 s3, exec_lo, s3
                                        ; implicit-def: $vgpr180_vgpr181_vgpr182_vgpr183
	s_cbranch_execz .LBB59_131
; %bb.130:
	v_div_scale_f64 v[120:121], null, v[178:179], v[178:179], v[176:177]
	v_div_scale_f64 v[182:183], vcc_lo, v[176:177], v[178:179], v[176:177]
	s_delay_alu instid0(VALU_DEP_2) | instskip(SKIP_2) | instid1(VALU_DEP_1)
	v_rcp_f64_e32 v[122:123], v[120:121]
	s_waitcnt_depctr 0xfff
	v_fma_f64 v[180:181], -v[120:121], v[122:123], 1.0
	v_fma_f64 v[122:123], v[122:123], v[180:181], v[122:123]
	s_delay_alu instid0(VALU_DEP_1) | instskip(NEXT) | instid1(VALU_DEP_1)
	v_fma_f64 v[180:181], -v[120:121], v[122:123], 1.0
	v_fma_f64 v[122:123], v[122:123], v[180:181], v[122:123]
	s_delay_alu instid0(VALU_DEP_1) | instskip(NEXT) | instid1(VALU_DEP_1)
	v_mul_f64 v[180:181], v[182:183], v[122:123]
	v_fma_f64 v[120:121], -v[120:121], v[180:181], v[182:183]
	s_delay_alu instid0(VALU_DEP_1) | instskip(NEXT) | instid1(VALU_DEP_1)
	v_div_fmas_f64 v[120:121], v[120:121], v[122:123], v[180:181]
	v_div_fixup_f64 v[120:121], v[120:121], v[178:179], v[176:177]
	s_delay_alu instid0(VALU_DEP_1) | instskip(NEXT) | instid1(VALU_DEP_1)
	v_fma_f64 v[122:123], v[176:177], v[120:121], v[178:179]
	v_div_scale_f64 v[176:177], null, v[122:123], v[122:123], 1.0
	s_delay_alu instid0(VALU_DEP_1) | instskip(SKIP_2) | instid1(VALU_DEP_1)
	v_rcp_f64_e32 v[178:179], v[176:177]
	s_waitcnt_depctr 0xfff
	v_fma_f64 v[180:181], -v[176:177], v[178:179], 1.0
	v_fma_f64 v[178:179], v[178:179], v[180:181], v[178:179]
	s_delay_alu instid0(VALU_DEP_1) | instskip(NEXT) | instid1(VALU_DEP_1)
	v_fma_f64 v[180:181], -v[176:177], v[178:179], 1.0
	v_fma_f64 v[178:179], v[178:179], v[180:181], v[178:179]
	v_div_scale_f64 v[180:181], vcc_lo, 1.0, v[122:123], 1.0
	s_delay_alu instid0(VALU_DEP_1) | instskip(NEXT) | instid1(VALU_DEP_1)
	v_mul_f64 v[182:183], v[180:181], v[178:179]
	v_fma_f64 v[176:177], -v[176:177], v[182:183], v[180:181]
	s_delay_alu instid0(VALU_DEP_1) | instskip(NEXT) | instid1(VALU_DEP_1)
	v_div_fmas_f64 v[176:177], v[176:177], v[178:179], v[182:183]
	v_div_fixup_f64 v[182:183], v[176:177], v[122:123], 1.0
                                        ; implicit-def: $vgpr176_vgpr177
	s_delay_alu instid0(VALU_DEP_1)
	v_mul_f64 v[120:121], v[120:121], v[182:183]
	v_xor_b32_e32 v183, 0x80000000, v183
.LBB59_131:
	s_and_not1_saveexec_b32 s3, s3
	s_cbranch_execz .LBB59_133
; %bb.132:
	v_div_scale_f64 v[120:121], null, v[176:177], v[176:177], v[178:179]
	v_div_scale_f64 v[182:183], vcc_lo, v[178:179], v[176:177], v[178:179]
	s_delay_alu instid0(VALU_DEP_2) | instskip(SKIP_2) | instid1(VALU_DEP_1)
	v_rcp_f64_e32 v[122:123], v[120:121]
	s_waitcnt_depctr 0xfff
	v_fma_f64 v[180:181], -v[120:121], v[122:123], 1.0
	v_fma_f64 v[122:123], v[122:123], v[180:181], v[122:123]
	s_delay_alu instid0(VALU_DEP_1) | instskip(NEXT) | instid1(VALU_DEP_1)
	v_fma_f64 v[180:181], -v[120:121], v[122:123], 1.0
	v_fma_f64 v[122:123], v[122:123], v[180:181], v[122:123]
	s_delay_alu instid0(VALU_DEP_1) | instskip(NEXT) | instid1(VALU_DEP_1)
	v_mul_f64 v[180:181], v[182:183], v[122:123]
	v_fma_f64 v[120:121], -v[120:121], v[180:181], v[182:183]
	s_delay_alu instid0(VALU_DEP_1) | instskip(NEXT) | instid1(VALU_DEP_1)
	v_div_fmas_f64 v[120:121], v[120:121], v[122:123], v[180:181]
	v_div_fixup_f64 v[122:123], v[120:121], v[176:177], v[178:179]
	s_delay_alu instid0(VALU_DEP_1) | instskip(NEXT) | instid1(VALU_DEP_1)
	v_fma_f64 v[120:121], v[178:179], v[122:123], v[176:177]
	v_div_scale_f64 v[176:177], null, v[120:121], v[120:121], 1.0
	s_delay_alu instid0(VALU_DEP_1) | instskip(SKIP_2) | instid1(VALU_DEP_1)
	v_rcp_f64_e32 v[178:179], v[176:177]
	s_waitcnt_depctr 0xfff
	v_fma_f64 v[180:181], -v[176:177], v[178:179], 1.0
	v_fma_f64 v[178:179], v[178:179], v[180:181], v[178:179]
	s_delay_alu instid0(VALU_DEP_1) | instskip(NEXT) | instid1(VALU_DEP_1)
	v_fma_f64 v[180:181], -v[176:177], v[178:179], 1.0
	v_fma_f64 v[178:179], v[178:179], v[180:181], v[178:179]
	v_div_scale_f64 v[180:181], vcc_lo, 1.0, v[120:121], 1.0
	s_delay_alu instid0(VALU_DEP_1) | instskip(NEXT) | instid1(VALU_DEP_1)
	v_mul_f64 v[182:183], v[180:181], v[178:179]
	v_fma_f64 v[176:177], -v[176:177], v[182:183], v[180:181]
	s_delay_alu instid0(VALU_DEP_1) | instskip(NEXT) | instid1(VALU_DEP_1)
	v_div_fmas_f64 v[176:177], v[176:177], v[178:179], v[182:183]
	v_div_fixup_f64 v[120:121], v[176:177], v[120:121], 1.0
	s_delay_alu instid0(VALU_DEP_1)
	v_mul_f64 v[182:183], v[122:123], -v[120:121]
.LBB59_133:
	s_or_b32 exec_lo, exec_lo, s3
	ds_store_2addr_b64 v241, v[120:121], v[182:183] offset1:1
.LBB59_134:
	s_or_b32 exec_lo, exec_lo, s4
	s_waitcnt lgkmcnt(0)
	s_barrier
	buffer_gl0_inv
	ds_load_2addr_b64 v[176:179], v241 offset1:1
	s_mov_b32 s3, exec_lo
	v_cmpx_lt_u32_e32 14, v240
	s_cbranch_execz .LBB59_136
; %bb.135:
	s_waitcnt lgkmcnt(0)
	v_mul_f64 v[120:121], v[176:177], v[62:63]
	v_mul_f64 v[62:63], v[178:179], v[62:63]
	s_delay_alu instid0(VALU_DEP_2) | instskip(SKIP_4) | instid1(VALU_DEP_1)
	v_fma_f64 v[180:181], v[178:179], v[60:61], v[120:121]
	ds_load_2addr_b64 v[120:123], v242 offset0:30 offset1:31
	v_fma_f64 v[60:61], v[176:177], v[60:61], -v[62:63]
	s_waitcnt lgkmcnt(0)
	v_mul_f64 v[62:63], v[122:123], v[180:181]
	v_fma_f64 v[62:63], v[120:121], v[60:61], -v[62:63]
	v_mul_f64 v[120:121], v[120:121], v[180:181]
	s_delay_alu instid0(VALU_DEP_2) | instskip(NEXT) | instid1(VALU_DEP_2)
	v_add_f64 v[56:57], v[56:57], -v[62:63]
	v_fma_f64 v[120:121], v[122:123], v[60:61], v[120:121]
	s_delay_alu instid0(VALU_DEP_1) | instskip(SKIP_3) | instid1(VALU_DEP_1)
	v_add_f64 v[58:59], v[58:59], -v[120:121]
	ds_load_2addr_b64 v[120:123], v242 offset0:32 offset1:33
	s_waitcnt lgkmcnt(0)
	v_mul_f64 v[62:63], v[122:123], v[180:181]
	v_fma_f64 v[62:63], v[120:121], v[60:61], -v[62:63]
	v_mul_f64 v[120:121], v[120:121], v[180:181]
	s_delay_alu instid0(VALU_DEP_2) | instskip(NEXT) | instid1(VALU_DEP_2)
	v_add_f64 v[52:53], v[52:53], -v[62:63]
	v_fma_f64 v[120:121], v[122:123], v[60:61], v[120:121]
	s_delay_alu instid0(VALU_DEP_1) | instskip(SKIP_3) | instid1(VALU_DEP_1)
	v_add_f64 v[54:55], v[54:55], -v[120:121]
	ds_load_2addr_b64 v[120:123], v242 offset0:34 offset1:35
	;; [unrolled: 10-line block ×14, first 2 shown]
	s_waitcnt lgkmcnt(0)
	v_mul_f64 v[62:63], v[122:123], v[180:181]
	v_fma_f64 v[62:63], v[120:121], v[60:61], -v[62:63]
	v_mul_f64 v[120:121], v[120:121], v[180:181]
	s_delay_alu instid0(VALU_DEP_2) | instskip(NEXT) | instid1(VALU_DEP_2)
	v_add_f64 v[0:1], v[0:1], -v[62:63]
	v_fma_f64 v[120:121], v[122:123], v[60:61], v[120:121]
	v_dual_mov_b32 v62, v180 :: v_dual_mov_b32 v63, v181
	s_delay_alu instid0(VALU_DEP_2)
	v_add_f64 v[2:3], v[2:3], -v[120:121]
.LBB59_136:
	s_or_b32 exec_lo, exec_lo, s3
	s_delay_alu instid0(SALU_CYCLE_1)
	s_mov_b32 s4, exec_lo
	s_waitcnt lgkmcnt(0)
	s_barrier
	buffer_gl0_inv
	v_cmpx_eq_u32_e32 15, v240
	s_cbranch_execz .LBB59_143
; %bb.137:
	ds_store_2addr_b64 v241, v[56:57], v[58:59] offset1:1
	ds_store_2addr_b64 v242, v[52:53], v[54:55] offset0:32 offset1:33
	ds_store_2addr_b64 v242, v[48:49], v[50:51] offset0:34 offset1:35
	;; [unrolled: 1-line block ×14, first 2 shown]
	ds_load_2addr_b64 v[180:183], v241 offset1:1
	s_waitcnt lgkmcnt(0)
	v_cmp_neq_f64_e32 vcc_lo, 0, v[180:181]
	v_cmp_neq_f64_e64 s3, 0, v[182:183]
	s_delay_alu instid0(VALU_DEP_1) | instskip(NEXT) | instid1(SALU_CYCLE_1)
	s_or_b32 s3, vcc_lo, s3
	s_and_b32 exec_lo, exec_lo, s3
	s_cbranch_execz .LBB59_143
; %bb.138:
	v_cmp_gt_f64_e32 vcc_lo, 0, v[180:181]
	v_cmp_gt_f64_e64 s3, 0, v[182:183]
	v_xor_b32_e32 v120, 0x80000000, v181
	v_xor_b32_e32 v122, 0x80000000, v183
	s_delay_alu instid0(VALU_DEP_2) | instskip(NEXT) | instid1(VALU_DEP_2)
	v_cndmask_b32_e32 v121, v181, v120, vcc_lo
	v_cndmask_b32_e64 v123, v183, v122, s3
	v_cndmask_b32_e32 v120, v180, v180, vcc_lo
	v_cndmask_b32_e64 v122, v182, v182, s3
	s_delay_alu instid0(VALU_DEP_1) | instskip(SKIP_1) | instid1(SALU_CYCLE_1)
	v_cmp_ngt_f64_e32 vcc_lo, v[120:121], v[122:123]
                                        ; implicit-def: $vgpr120_vgpr121
	s_and_saveexec_b32 s3, vcc_lo
	s_xor_b32 s3, exec_lo, s3
                                        ; implicit-def: $vgpr184_vgpr185_vgpr186_vgpr187
	s_cbranch_execz .LBB59_140
; %bb.139:
	v_div_scale_f64 v[120:121], null, v[182:183], v[182:183], v[180:181]
	v_div_scale_f64 v[186:187], vcc_lo, v[180:181], v[182:183], v[180:181]
	s_delay_alu instid0(VALU_DEP_2) | instskip(SKIP_2) | instid1(VALU_DEP_1)
	v_rcp_f64_e32 v[122:123], v[120:121]
	s_waitcnt_depctr 0xfff
	v_fma_f64 v[184:185], -v[120:121], v[122:123], 1.0
	v_fma_f64 v[122:123], v[122:123], v[184:185], v[122:123]
	s_delay_alu instid0(VALU_DEP_1) | instskip(NEXT) | instid1(VALU_DEP_1)
	v_fma_f64 v[184:185], -v[120:121], v[122:123], 1.0
	v_fma_f64 v[122:123], v[122:123], v[184:185], v[122:123]
	s_delay_alu instid0(VALU_DEP_1) | instskip(NEXT) | instid1(VALU_DEP_1)
	v_mul_f64 v[184:185], v[186:187], v[122:123]
	v_fma_f64 v[120:121], -v[120:121], v[184:185], v[186:187]
	s_delay_alu instid0(VALU_DEP_1) | instskip(NEXT) | instid1(VALU_DEP_1)
	v_div_fmas_f64 v[120:121], v[120:121], v[122:123], v[184:185]
	v_div_fixup_f64 v[120:121], v[120:121], v[182:183], v[180:181]
	s_delay_alu instid0(VALU_DEP_1) | instskip(NEXT) | instid1(VALU_DEP_1)
	v_fma_f64 v[122:123], v[180:181], v[120:121], v[182:183]
	v_div_scale_f64 v[180:181], null, v[122:123], v[122:123], 1.0
	s_delay_alu instid0(VALU_DEP_1) | instskip(SKIP_2) | instid1(VALU_DEP_1)
	v_rcp_f64_e32 v[182:183], v[180:181]
	s_waitcnt_depctr 0xfff
	v_fma_f64 v[184:185], -v[180:181], v[182:183], 1.0
	v_fma_f64 v[182:183], v[182:183], v[184:185], v[182:183]
	s_delay_alu instid0(VALU_DEP_1) | instskip(NEXT) | instid1(VALU_DEP_1)
	v_fma_f64 v[184:185], -v[180:181], v[182:183], 1.0
	v_fma_f64 v[182:183], v[182:183], v[184:185], v[182:183]
	v_div_scale_f64 v[184:185], vcc_lo, 1.0, v[122:123], 1.0
	s_delay_alu instid0(VALU_DEP_1) | instskip(NEXT) | instid1(VALU_DEP_1)
	v_mul_f64 v[186:187], v[184:185], v[182:183]
	v_fma_f64 v[180:181], -v[180:181], v[186:187], v[184:185]
	s_delay_alu instid0(VALU_DEP_1) | instskip(NEXT) | instid1(VALU_DEP_1)
	v_div_fmas_f64 v[180:181], v[180:181], v[182:183], v[186:187]
	v_div_fixup_f64 v[186:187], v[180:181], v[122:123], 1.0
                                        ; implicit-def: $vgpr180_vgpr181
	s_delay_alu instid0(VALU_DEP_1)
	v_mul_f64 v[120:121], v[120:121], v[186:187]
	v_xor_b32_e32 v187, 0x80000000, v187
.LBB59_140:
	s_and_not1_saveexec_b32 s3, s3
	s_cbranch_execz .LBB59_142
; %bb.141:
	v_div_scale_f64 v[120:121], null, v[180:181], v[180:181], v[182:183]
	v_div_scale_f64 v[186:187], vcc_lo, v[182:183], v[180:181], v[182:183]
	s_delay_alu instid0(VALU_DEP_2) | instskip(SKIP_2) | instid1(VALU_DEP_1)
	v_rcp_f64_e32 v[122:123], v[120:121]
	s_waitcnt_depctr 0xfff
	v_fma_f64 v[184:185], -v[120:121], v[122:123], 1.0
	v_fma_f64 v[122:123], v[122:123], v[184:185], v[122:123]
	s_delay_alu instid0(VALU_DEP_1) | instskip(NEXT) | instid1(VALU_DEP_1)
	v_fma_f64 v[184:185], -v[120:121], v[122:123], 1.0
	v_fma_f64 v[122:123], v[122:123], v[184:185], v[122:123]
	s_delay_alu instid0(VALU_DEP_1) | instskip(NEXT) | instid1(VALU_DEP_1)
	v_mul_f64 v[184:185], v[186:187], v[122:123]
	v_fma_f64 v[120:121], -v[120:121], v[184:185], v[186:187]
	s_delay_alu instid0(VALU_DEP_1) | instskip(NEXT) | instid1(VALU_DEP_1)
	v_div_fmas_f64 v[120:121], v[120:121], v[122:123], v[184:185]
	v_div_fixup_f64 v[122:123], v[120:121], v[180:181], v[182:183]
	s_delay_alu instid0(VALU_DEP_1) | instskip(NEXT) | instid1(VALU_DEP_1)
	v_fma_f64 v[120:121], v[182:183], v[122:123], v[180:181]
	v_div_scale_f64 v[180:181], null, v[120:121], v[120:121], 1.0
	s_delay_alu instid0(VALU_DEP_1) | instskip(SKIP_2) | instid1(VALU_DEP_1)
	v_rcp_f64_e32 v[182:183], v[180:181]
	s_waitcnt_depctr 0xfff
	v_fma_f64 v[184:185], -v[180:181], v[182:183], 1.0
	v_fma_f64 v[182:183], v[182:183], v[184:185], v[182:183]
	s_delay_alu instid0(VALU_DEP_1) | instskip(NEXT) | instid1(VALU_DEP_1)
	v_fma_f64 v[184:185], -v[180:181], v[182:183], 1.0
	v_fma_f64 v[182:183], v[182:183], v[184:185], v[182:183]
	v_div_scale_f64 v[184:185], vcc_lo, 1.0, v[120:121], 1.0
	s_delay_alu instid0(VALU_DEP_1) | instskip(NEXT) | instid1(VALU_DEP_1)
	v_mul_f64 v[186:187], v[184:185], v[182:183]
	v_fma_f64 v[180:181], -v[180:181], v[186:187], v[184:185]
	s_delay_alu instid0(VALU_DEP_1) | instskip(NEXT) | instid1(VALU_DEP_1)
	v_div_fmas_f64 v[180:181], v[180:181], v[182:183], v[186:187]
	v_div_fixup_f64 v[120:121], v[180:181], v[120:121], 1.0
	s_delay_alu instid0(VALU_DEP_1)
	v_mul_f64 v[186:187], v[122:123], -v[120:121]
.LBB59_142:
	s_or_b32 exec_lo, exec_lo, s3
	ds_store_2addr_b64 v241, v[120:121], v[186:187] offset1:1
.LBB59_143:
	s_or_b32 exec_lo, exec_lo, s4
	s_waitcnt lgkmcnt(0)
	s_barrier
	buffer_gl0_inv
	ds_load_2addr_b64 v[180:183], v241 offset1:1
	s_mov_b32 s3, exec_lo
	v_cmpx_lt_u32_e32 15, v240
	s_cbranch_execz .LBB59_145
; %bb.144:
	s_waitcnt lgkmcnt(0)
	v_mul_f64 v[120:121], v[180:181], v[58:59]
	v_mul_f64 v[58:59], v[182:183], v[58:59]
	s_delay_alu instid0(VALU_DEP_2) | instskip(SKIP_4) | instid1(VALU_DEP_1)
	v_fma_f64 v[184:185], v[182:183], v[56:57], v[120:121]
	ds_load_2addr_b64 v[120:123], v242 offset0:32 offset1:33
	v_fma_f64 v[56:57], v[180:181], v[56:57], -v[58:59]
	s_waitcnt lgkmcnt(0)
	v_mul_f64 v[58:59], v[122:123], v[184:185]
	v_fma_f64 v[58:59], v[120:121], v[56:57], -v[58:59]
	v_mul_f64 v[120:121], v[120:121], v[184:185]
	s_delay_alu instid0(VALU_DEP_2) | instskip(NEXT) | instid1(VALU_DEP_2)
	v_add_f64 v[52:53], v[52:53], -v[58:59]
	v_fma_f64 v[120:121], v[122:123], v[56:57], v[120:121]
	s_delay_alu instid0(VALU_DEP_1) | instskip(SKIP_3) | instid1(VALU_DEP_1)
	v_add_f64 v[54:55], v[54:55], -v[120:121]
	ds_load_2addr_b64 v[120:123], v242 offset0:34 offset1:35
	s_waitcnt lgkmcnt(0)
	v_mul_f64 v[58:59], v[122:123], v[184:185]
	v_fma_f64 v[58:59], v[120:121], v[56:57], -v[58:59]
	v_mul_f64 v[120:121], v[120:121], v[184:185]
	s_delay_alu instid0(VALU_DEP_2) | instskip(NEXT) | instid1(VALU_DEP_2)
	v_add_f64 v[48:49], v[48:49], -v[58:59]
	v_fma_f64 v[120:121], v[122:123], v[56:57], v[120:121]
	s_delay_alu instid0(VALU_DEP_1) | instskip(SKIP_3) | instid1(VALU_DEP_1)
	v_add_f64 v[50:51], v[50:51], -v[120:121]
	ds_load_2addr_b64 v[120:123], v242 offset0:36 offset1:37
	;; [unrolled: 10-line block ×13, first 2 shown]
	s_waitcnt lgkmcnt(0)
	v_mul_f64 v[58:59], v[122:123], v[184:185]
	v_fma_f64 v[58:59], v[120:121], v[56:57], -v[58:59]
	v_mul_f64 v[120:121], v[120:121], v[184:185]
	s_delay_alu instid0(VALU_DEP_2) | instskip(NEXT) | instid1(VALU_DEP_2)
	v_add_f64 v[0:1], v[0:1], -v[58:59]
	v_fma_f64 v[120:121], v[122:123], v[56:57], v[120:121]
	v_dual_mov_b32 v58, v184 :: v_dual_mov_b32 v59, v185
	s_delay_alu instid0(VALU_DEP_2)
	v_add_f64 v[2:3], v[2:3], -v[120:121]
.LBB59_145:
	s_or_b32 exec_lo, exec_lo, s3
	s_delay_alu instid0(SALU_CYCLE_1)
	s_mov_b32 s4, exec_lo
	s_waitcnt lgkmcnt(0)
	s_barrier
	buffer_gl0_inv
	v_cmpx_eq_u32_e32 16, v240
	s_cbranch_execz .LBB59_152
; %bb.146:
	ds_store_2addr_b64 v241, v[52:53], v[54:55] offset1:1
	ds_store_2addr_b64 v242, v[48:49], v[50:51] offset0:34 offset1:35
	ds_store_2addr_b64 v242, v[44:45], v[46:47] offset0:36 offset1:37
	;; [unrolled: 1-line block ×13, first 2 shown]
	ds_load_2addr_b64 v[184:187], v241 offset1:1
	s_waitcnt lgkmcnt(0)
	v_cmp_neq_f64_e32 vcc_lo, 0, v[184:185]
	v_cmp_neq_f64_e64 s3, 0, v[186:187]
	s_delay_alu instid0(VALU_DEP_1) | instskip(NEXT) | instid1(SALU_CYCLE_1)
	s_or_b32 s3, vcc_lo, s3
	s_and_b32 exec_lo, exec_lo, s3
	s_cbranch_execz .LBB59_152
; %bb.147:
	v_cmp_gt_f64_e32 vcc_lo, 0, v[184:185]
	v_xor_b32_e32 v120, 0x80000000, v185
	v_xor_b32_e32 v122, 0x80000000, v187
	s_delay_alu instid0(VALU_DEP_2) | instskip(SKIP_2) | instid1(VALU_DEP_4)
	v_cndmask_b32_e32 v121, v185, v120, vcc_lo
	v_cndmask_b32_e32 v120, v184, v184, vcc_lo
	v_cmp_gt_f64_e32 vcc_lo, 0, v[186:187]
	v_cndmask_b32_e32 v123, v187, v122, vcc_lo
	v_cndmask_b32_e32 v122, v186, v186, vcc_lo
	s_delay_alu instid0(VALU_DEP_1) | instskip(SKIP_1) | instid1(SALU_CYCLE_1)
	v_cmp_ngt_f64_e32 vcc_lo, v[120:121], v[122:123]
                                        ; implicit-def: $vgpr120_vgpr121
	s_and_saveexec_b32 s3, vcc_lo
	s_xor_b32 s3, exec_lo, s3
                                        ; implicit-def: $vgpr188_vgpr189_vgpr190_vgpr191
	s_cbranch_execz .LBB59_149
; %bb.148:
	v_div_scale_f64 v[120:121], null, v[186:187], v[186:187], v[184:185]
	v_div_scale_f64 v[190:191], vcc_lo, v[184:185], v[186:187], v[184:185]
	s_delay_alu instid0(VALU_DEP_2) | instskip(SKIP_2) | instid1(VALU_DEP_1)
	v_rcp_f64_e32 v[122:123], v[120:121]
	s_waitcnt_depctr 0xfff
	v_fma_f64 v[188:189], -v[120:121], v[122:123], 1.0
	v_fma_f64 v[122:123], v[122:123], v[188:189], v[122:123]
	s_delay_alu instid0(VALU_DEP_1) | instskip(NEXT) | instid1(VALU_DEP_1)
	v_fma_f64 v[188:189], -v[120:121], v[122:123], 1.0
	v_fma_f64 v[122:123], v[122:123], v[188:189], v[122:123]
	s_delay_alu instid0(VALU_DEP_1) | instskip(NEXT) | instid1(VALU_DEP_1)
	v_mul_f64 v[188:189], v[190:191], v[122:123]
	v_fma_f64 v[120:121], -v[120:121], v[188:189], v[190:191]
	s_delay_alu instid0(VALU_DEP_1) | instskip(NEXT) | instid1(VALU_DEP_1)
	v_div_fmas_f64 v[120:121], v[120:121], v[122:123], v[188:189]
	v_div_fixup_f64 v[120:121], v[120:121], v[186:187], v[184:185]
	s_delay_alu instid0(VALU_DEP_1) | instskip(NEXT) | instid1(VALU_DEP_1)
	v_fma_f64 v[122:123], v[184:185], v[120:121], v[186:187]
	v_div_scale_f64 v[184:185], null, v[122:123], v[122:123], 1.0
	s_delay_alu instid0(VALU_DEP_1) | instskip(SKIP_2) | instid1(VALU_DEP_1)
	v_rcp_f64_e32 v[186:187], v[184:185]
	s_waitcnt_depctr 0xfff
	v_fma_f64 v[188:189], -v[184:185], v[186:187], 1.0
	v_fma_f64 v[186:187], v[186:187], v[188:189], v[186:187]
	s_delay_alu instid0(VALU_DEP_1) | instskip(NEXT) | instid1(VALU_DEP_1)
	v_fma_f64 v[188:189], -v[184:185], v[186:187], 1.0
	v_fma_f64 v[186:187], v[186:187], v[188:189], v[186:187]
	v_div_scale_f64 v[188:189], vcc_lo, 1.0, v[122:123], 1.0
	s_delay_alu instid0(VALU_DEP_1) | instskip(NEXT) | instid1(VALU_DEP_1)
	v_mul_f64 v[190:191], v[188:189], v[186:187]
	v_fma_f64 v[184:185], -v[184:185], v[190:191], v[188:189]
	s_delay_alu instid0(VALU_DEP_1) | instskip(NEXT) | instid1(VALU_DEP_1)
	v_div_fmas_f64 v[184:185], v[184:185], v[186:187], v[190:191]
	v_div_fixup_f64 v[190:191], v[184:185], v[122:123], 1.0
                                        ; implicit-def: $vgpr184_vgpr185
	s_delay_alu instid0(VALU_DEP_1)
	v_mul_f64 v[120:121], v[120:121], v[190:191]
	v_xor_b32_e32 v191, 0x80000000, v191
.LBB59_149:
	s_and_not1_saveexec_b32 s3, s3
	s_cbranch_execz .LBB59_151
; %bb.150:
	v_div_scale_f64 v[120:121], null, v[184:185], v[184:185], v[186:187]
	v_div_scale_f64 v[190:191], vcc_lo, v[186:187], v[184:185], v[186:187]
	s_delay_alu instid0(VALU_DEP_2) | instskip(SKIP_2) | instid1(VALU_DEP_1)
	v_rcp_f64_e32 v[122:123], v[120:121]
	s_waitcnt_depctr 0xfff
	v_fma_f64 v[188:189], -v[120:121], v[122:123], 1.0
	v_fma_f64 v[122:123], v[122:123], v[188:189], v[122:123]
	s_delay_alu instid0(VALU_DEP_1) | instskip(NEXT) | instid1(VALU_DEP_1)
	v_fma_f64 v[188:189], -v[120:121], v[122:123], 1.0
	v_fma_f64 v[122:123], v[122:123], v[188:189], v[122:123]
	s_delay_alu instid0(VALU_DEP_1) | instskip(NEXT) | instid1(VALU_DEP_1)
	v_mul_f64 v[188:189], v[190:191], v[122:123]
	v_fma_f64 v[120:121], -v[120:121], v[188:189], v[190:191]
	s_delay_alu instid0(VALU_DEP_1) | instskip(NEXT) | instid1(VALU_DEP_1)
	v_div_fmas_f64 v[120:121], v[120:121], v[122:123], v[188:189]
	v_div_fixup_f64 v[122:123], v[120:121], v[184:185], v[186:187]
	s_delay_alu instid0(VALU_DEP_1) | instskip(NEXT) | instid1(VALU_DEP_1)
	v_fma_f64 v[120:121], v[186:187], v[122:123], v[184:185]
	v_div_scale_f64 v[184:185], null, v[120:121], v[120:121], 1.0
	s_delay_alu instid0(VALU_DEP_1) | instskip(SKIP_2) | instid1(VALU_DEP_1)
	v_rcp_f64_e32 v[186:187], v[184:185]
	s_waitcnt_depctr 0xfff
	v_fma_f64 v[188:189], -v[184:185], v[186:187], 1.0
	v_fma_f64 v[186:187], v[186:187], v[188:189], v[186:187]
	s_delay_alu instid0(VALU_DEP_1) | instskip(NEXT) | instid1(VALU_DEP_1)
	v_fma_f64 v[188:189], -v[184:185], v[186:187], 1.0
	v_fma_f64 v[186:187], v[186:187], v[188:189], v[186:187]
	v_div_scale_f64 v[188:189], vcc_lo, 1.0, v[120:121], 1.0
	s_delay_alu instid0(VALU_DEP_1) | instskip(NEXT) | instid1(VALU_DEP_1)
	v_mul_f64 v[190:191], v[188:189], v[186:187]
	v_fma_f64 v[184:185], -v[184:185], v[190:191], v[188:189]
	s_delay_alu instid0(VALU_DEP_1) | instskip(NEXT) | instid1(VALU_DEP_1)
	v_div_fmas_f64 v[184:185], v[184:185], v[186:187], v[190:191]
	v_div_fixup_f64 v[120:121], v[184:185], v[120:121], 1.0
	s_delay_alu instid0(VALU_DEP_1)
	v_mul_f64 v[190:191], v[122:123], -v[120:121]
.LBB59_151:
	s_or_b32 exec_lo, exec_lo, s3
	ds_store_2addr_b64 v241, v[120:121], v[190:191] offset1:1
.LBB59_152:
	s_or_b32 exec_lo, exec_lo, s4
	s_waitcnt lgkmcnt(0)
	s_barrier
	buffer_gl0_inv
	ds_load_2addr_b64 v[184:187], v241 offset1:1
	s_mov_b32 s3, exec_lo
	v_cmpx_lt_u32_e32 16, v240
	s_cbranch_execz .LBB59_154
; %bb.153:
	s_waitcnt lgkmcnt(0)
	v_mul_f64 v[120:121], v[184:185], v[54:55]
	v_mul_f64 v[54:55], v[186:187], v[54:55]
	s_delay_alu instid0(VALU_DEP_2) | instskip(SKIP_4) | instid1(VALU_DEP_1)
	v_fma_f64 v[188:189], v[186:187], v[52:53], v[120:121]
	ds_load_2addr_b64 v[120:123], v242 offset0:34 offset1:35
	v_fma_f64 v[52:53], v[184:185], v[52:53], -v[54:55]
	s_waitcnt lgkmcnt(0)
	v_mul_f64 v[54:55], v[122:123], v[188:189]
	v_fma_f64 v[54:55], v[120:121], v[52:53], -v[54:55]
	v_mul_f64 v[120:121], v[120:121], v[188:189]
	s_delay_alu instid0(VALU_DEP_2) | instskip(NEXT) | instid1(VALU_DEP_2)
	v_add_f64 v[48:49], v[48:49], -v[54:55]
	v_fma_f64 v[120:121], v[122:123], v[52:53], v[120:121]
	s_delay_alu instid0(VALU_DEP_1) | instskip(SKIP_3) | instid1(VALU_DEP_1)
	v_add_f64 v[50:51], v[50:51], -v[120:121]
	ds_load_2addr_b64 v[120:123], v242 offset0:36 offset1:37
	s_waitcnt lgkmcnt(0)
	v_mul_f64 v[54:55], v[122:123], v[188:189]
	v_fma_f64 v[54:55], v[120:121], v[52:53], -v[54:55]
	v_mul_f64 v[120:121], v[120:121], v[188:189]
	s_delay_alu instid0(VALU_DEP_2) | instskip(NEXT) | instid1(VALU_DEP_2)
	v_add_f64 v[44:45], v[44:45], -v[54:55]
	v_fma_f64 v[120:121], v[122:123], v[52:53], v[120:121]
	s_delay_alu instid0(VALU_DEP_1) | instskip(SKIP_3) | instid1(VALU_DEP_1)
	v_add_f64 v[46:47], v[46:47], -v[120:121]
	ds_load_2addr_b64 v[120:123], v242 offset0:38 offset1:39
	;; [unrolled: 10-line block ×12, first 2 shown]
	s_waitcnt lgkmcnt(0)
	v_mul_f64 v[54:55], v[122:123], v[188:189]
	v_fma_f64 v[54:55], v[120:121], v[52:53], -v[54:55]
	v_mul_f64 v[120:121], v[120:121], v[188:189]
	s_delay_alu instid0(VALU_DEP_2) | instskip(NEXT) | instid1(VALU_DEP_2)
	v_add_f64 v[0:1], v[0:1], -v[54:55]
	v_fma_f64 v[120:121], v[122:123], v[52:53], v[120:121]
	v_dual_mov_b32 v54, v188 :: v_dual_mov_b32 v55, v189
	s_delay_alu instid0(VALU_DEP_2)
	v_add_f64 v[2:3], v[2:3], -v[120:121]
.LBB59_154:
	s_or_b32 exec_lo, exec_lo, s3
	s_delay_alu instid0(SALU_CYCLE_1)
	s_mov_b32 s4, exec_lo
	s_waitcnt lgkmcnt(0)
	s_barrier
	buffer_gl0_inv
	v_cmpx_eq_u32_e32 17, v240
	s_cbranch_execz .LBB59_161
; %bb.155:
	ds_store_2addr_b64 v241, v[48:49], v[50:51] offset1:1
	ds_store_2addr_b64 v242, v[44:45], v[46:47] offset0:36 offset1:37
	ds_store_2addr_b64 v242, v[40:41], v[42:43] offset0:38 offset1:39
	;; [unrolled: 1-line block ×12, first 2 shown]
	ds_load_2addr_b64 v[188:191], v241 offset1:1
	s_waitcnt lgkmcnt(0)
	v_cmp_neq_f64_e32 vcc_lo, 0, v[188:189]
	v_cmp_neq_f64_e64 s3, 0, v[190:191]
	s_delay_alu instid0(VALU_DEP_1) | instskip(NEXT) | instid1(SALU_CYCLE_1)
	s_or_b32 s3, vcc_lo, s3
	s_and_b32 exec_lo, exec_lo, s3
	s_cbranch_execz .LBB59_161
; %bb.156:
	v_cmp_gt_f64_e32 vcc_lo, 0, v[188:189]
	v_xor_b32_e32 v120, 0x80000000, v189
	v_xor_b32_e32 v122, 0x80000000, v191
	s_delay_alu instid0(VALU_DEP_2) | instskip(SKIP_2) | instid1(VALU_DEP_4)
	v_cndmask_b32_e32 v121, v189, v120, vcc_lo
	v_cndmask_b32_e32 v120, v188, v188, vcc_lo
	v_cmp_gt_f64_e32 vcc_lo, 0, v[190:191]
	v_cndmask_b32_e32 v123, v191, v122, vcc_lo
	v_cndmask_b32_e32 v122, v190, v190, vcc_lo
	s_delay_alu instid0(VALU_DEP_1) | instskip(SKIP_1) | instid1(SALU_CYCLE_1)
	v_cmp_ngt_f64_e32 vcc_lo, v[120:121], v[122:123]
                                        ; implicit-def: $vgpr120_vgpr121
	s_and_saveexec_b32 s3, vcc_lo
	s_xor_b32 s3, exec_lo, s3
                                        ; implicit-def: $vgpr192_vgpr193_vgpr194_vgpr195
	s_cbranch_execz .LBB59_158
; %bb.157:
	v_div_scale_f64 v[120:121], null, v[190:191], v[190:191], v[188:189]
	v_div_scale_f64 v[194:195], vcc_lo, v[188:189], v[190:191], v[188:189]
	s_delay_alu instid0(VALU_DEP_2) | instskip(SKIP_2) | instid1(VALU_DEP_1)
	v_rcp_f64_e32 v[122:123], v[120:121]
	s_waitcnt_depctr 0xfff
	v_fma_f64 v[192:193], -v[120:121], v[122:123], 1.0
	v_fma_f64 v[122:123], v[122:123], v[192:193], v[122:123]
	s_delay_alu instid0(VALU_DEP_1) | instskip(NEXT) | instid1(VALU_DEP_1)
	v_fma_f64 v[192:193], -v[120:121], v[122:123], 1.0
	v_fma_f64 v[122:123], v[122:123], v[192:193], v[122:123]
	s_delay_alu instid0(VALU_DEP_1) | instskip(NEXT) | instid1(VALU_DEP_1)
	v_mul_f64 v[192:193], v[194:195], v[122:123]
	v_fma_f64 v[120:121], -v[120:121], v[192:193], v[194:195]
	s_delay_alu instid0(VALU_DEP_1) | instskip(NEXT) | instid1(VALU_DEP_1)
	v_div_fmas_f64 v[120:121], v[120:121], v[122:123], v[192:193]
	v_div_fixup_f64 v[120:121], v[120:121], v[190:191], v[188:189]
	s_delay_alu instid0(VALU_DEP_1) | instskip(NEXT) | instid1(VALU_DEP_1)
	v_fma_f64 v[122:123], v[188:189], v[120:121], v[190:191]
	v_div_scale_f64 v[188:189], null, v[122:123], v[122:123], 1.0
	s_delay_alu instid0(VALU_DEP_1) | instskip(SKIP_2) | instid1(VALU_DEP_1)
	v_rcp_f64_e32 v[190:191], v[188:189]
	s_waitcnt_depctr 0xfff
	v_fma_f64 v[192:193], -v[188:189], v[190:191], 1.0
	v_fma_f64 v[190:191], v[190:191], v[192:193], v[190:191]
	s_delay_alu instid0(VALU_DEP_1) | instskip(NEXT) | instid1(VALU_DEP_1)
	v_fma_f64 v[192:193], -v[188:189], v[190:191], 1.0
	v_fma_f64 v[190:191], v[190:191], v[192:193], v[190:191]
	v_div_scale_f64 v[192:193], vcc_lo, 1.0, v[122:123], 1.0
	s_delay_alu instid0(VALU_DEP_1) | instskip(NEXT) | instid1(VALU_DEP_1)
	v_mul_f64 v[194:195], v[192:193], v[190:191]
	v_fma_f64 v[188:189], -v[188:189], v[194:195], v[192:193]
	s_delay_alu instid0(VALU_DEP_1) | instskip(NEXT) | instid1(VALU_DEP_1)
	v_div_fmas_f64 v[188:189], v[188:189], v[190:191], v[194:195]
	v_div_fixup_f64 v[194:195], v[188:189], v[122:123], 1.0
                                        ; implicit-def: $vgpr188_vgpr189
	s_delay_alu instid0(VALU_DEP_1)
	v_mul_f64 v[120:121], v[120:121], v[194:195]
	v_xor_b32_e32 v195, 0x80000000, v195
.LBB59_158:
	s_and_not1_saveexec_b32 s3, s3
	s_cbranch_execz .LBB59_160
; %bb.159:
	v_div_scale_f64 v[120:121], null, v[188:189], v[188:189], v[190:191]
	v_div_scale_f64 v[194:195], vcc_lo, v[190:191], v[188:189], v[190:191]
	s_delay_alu instid0(VALU_DEP_2) | instskip(SKIP_2) | instid1(VALU_DEP_1)
	v_rcp_f64_e32 v[122:123], v[120:121]
	s_waitcnt_depctr 0xfff
	v_fma_f64 v[192:193], -v[120:121], v[122:123], 1.0
	v_fma_f64 v[122:123], v[122:123], v[192:193], v[122:123]
	s_delay_alu instid0(VALU_DEP_1) | instskip(NEXT) | instid1(VALU_DEP_1)
	v_fma_f64 v[192:193], -v[120:121], v[122:123], 1.0
	v_fma_f64 v[122:123], v[122:123], v[192:193], v[122:123]
	s_delay_alu instid0(VALU_DEP_1) | instskip(NEXT) | instid1(VALU_DEP_1)
	v_mul_f64 v[192:193], v[194:195], v[122:123]
	v_fma_f64 v[120:121], -v[120:121], v[192:193], v[194:195]
	s_delay_alu instid0(VALU_DEP_1) | instskip(NEXT) | instid1(VALU_DEP_1)
	v_div_fmas_f64 v[120:121], v[120:121], v[122:123], v[192:193]
	v_div_fixup_f64 v[122:123], v[120:121], v[188:189], v[190:191]
	s_delay_alu instid0(VALU_DEP_1) | instskip(NEXT) | instid1(VALU_DEP_1)
	v_fma_f64 v[120:121], v[190:191], v[122:123], v[188:189]
	v_div_scale_f64 v[188:189], null, v[120:121], v[120:121], 1.0
	s_delay_alu instid0(VALU_DEP_1) | instskip(SKIP_2) | instid1(VALU_DEP_1)
	v_rcp_f64_e32 v[190:191], v[188:189]
	s_waitcnt_depctr 0xfff
	v_fma_f64 v[192:193], -v[188:189], v[190:191], 1.0
	v_fma_f64 v[190:191], v[190:191], v[192:193], v[190:191]
	s_delay_alu instid0(VALU_DEP_1) | instskip(NEXT) | instid1(VALU_DEP_1)
	v_fma_f64 v[192:193], -v[188:189], v[190:191], 1.0
	v_fma_f64 v[190:191], v[190:191], v[192:193], v[190:191]
	v_div_scale_f64 v[192:193], vcc_lo, 1.0, v[120:121], 1.0
	s_delay_alu instid0(VALU_DEP_1) | instskip(NEXT) | instid1(VALU_DEP_1)
	v_mul_f64 v[194:195], v[192:193], v[190:191]
	v_fma_f64 v[188:189], -v[188:189], v[194:195], v[192:193]
	s_delay_alu instid0(VALU_DEP_1) | instskip(NEXT) | instid1(VALU_DEP_1)
	v_div_fmas_f64 v[188:189], v[188:189], v[190:191], v[194:195]
	v_div_fixup_f64 v[120:121], v[188:189], v[120:121], 1.0
	s_delay_alu instid0(VALU_DEP_1)
	v_mul_f64 v[194:195], v[122:123], -v[120:121]
.LBB59_160:
	s_or_b32 exec_lo, exec_lo, s3
	ds_store_2addr_b64 v241, v[120:121], v[194:195] offset1:1
.LBB59_161:
	s_or_b32 exec_lo, exec_lo, s4
	s_waitcnt lgkmcnt(0)
	s_barrier
	buffer_gl0_inv
	ds_load_2addr_b64 v[188:191], v241 offset1:1
	s_mov_b32 s3, exec_lo
	v_cmpx_lt_u32_e32 17, v240
	s_cbranch_execz .LBB59_163
; %bb.162:
	s_waitcnt lgkmcnt(0)
	v_mul_f64 v[120:121], v[188:189], v[50:51]
	v_mul_f64 v[50:51], v[190:191], v[50:51]
	s_delay_alu instid0(VALU_DEP_2) | instskip(SKIP_4) | instid1(VALU_DEP_1)
	v_fma_f64 v[192:193], v[190:191], v[48:49], v[120:121]
	ds_load_2addr_b64 v[120:123], v242 offset0:36 offset1:37
	v_fma_f64 v[48:49], v[188:189], v[48:49], -v[50:51]
	s_waitcnt lgkmcnt(0)
	v_mul_f64 v[50:51], v[122:123], v[192:193]
	v_fma_f64 v[50:51], v[120:121], v[48:49], -v[50:51]
	v_mul_f64 v[120:121], v[120:121], v[192:193]
	s_delay_alu instid0(VALU_DEP_2) | instskip(NEXT) | instid1(VALU_DEP_2)
	v_add_f64 v[44:45], v[44:45], -v[50:51]
	v_fma_f64 v[120:121], v[122:123], v[48:49], v[120:121]
	s_delay_alu instid0(VALU_DEP_1) | instskip(SKIP_3) | instid1(VALU_DEP_1)
	v_add_f64 v[46:47], v[46:47], -v[120:121]
	ds_load_2addr_b64 v[120:123], v242 offset0:38 offset1:39
	s_waitcnt lgkmcnt(0)
	v_mul_f64 v[50:51], v[122:123], v[192:193]
	v_fma_f64 v[50:51], v[120:121], v[48:49], -v[50:51]
	v_mul_f64 v[120:121], v[120:121], v[192:193]
	s_delay_alu instid0(VALU_DEP_2) | instskip(NEXT) | instid1(VALU_DEP_2)
	v_add_f64 v[40:41], v[40:41], -v[50:51]
	v_fma_f64 v[120:121], v[122:123], v[48:49], v[120:121]
	s_delay_alu instid0(VALU_DEP_1) | instskip(SKIP_3) | instid1(VALU_DEP_1)
	v_add_f64 v[42:43], v[42:43], -v[120:121]
	ds_load_2addr_b64 v[120:123], v242 offset0:40 offset1:41
	;; [unrolled: 10-line block ×11, first 2 shown]
	s_waitcnt lgkmcnt(0)
	v_mul_f64 v[50:51], v[122:123], v[192:193]
	v_fma_f64 v[50:51], v[120:121], v[48:49], -v[50:51]
	v_mul_f64 v[120:121], v[120:121], v[192:193]
	s_delay_alu instid0(VALU_DEP_2) | instskip(NEXT) | instid1(VALU_DEP_2)
	v_add_f64 v[0:1], v[0:1], -v[50:51]
	v_fma_f64 v[120:121], v[122:123], v[48:49], v[120:121]
	v_dual_mov_b32 v50, v192 :: v_dual_mov_b32 v51, v193
	s_delay_alu instid0(VALU_DEP_2)
	v_add_f64 v[2:3], v[2:3], -v[120:121]
.LBB59_163:
	s_or_b32 exec_lo, exec_lo, s3
	s_delay_alu instid0(SALU_CYCLE_1)
	s_mov_b32 s4, exec_lo
	s_waitcnt lgkmcnt(0)
	s_barrier
	buffer_gl0_inv
	v_cmpx_eq_u32_e32 18, v240
	s_cbranch_execz .LBB59_170
; %bb.164:
	ds_store_2addr_b64 v241, v[44:45], v[46:47] offset1:1
	ds_store_2addr_b64 v242, v[40:41], v[42:43] offset0:38 offset1:39
	ds_store_2addr_b64 v242, v[36:37], v[38:39] offset0:40 offset1:41
	;; [unrolled: 1-line block ×11, first 2 shown]
	ds_load_2addr_b64 v[192:195], v241 offset1:1
	s_waitcnt lgkmcnt(0)
	v_cmp_neq_f64_e32 vcc_lo, 0, v[192:193]
	v_cmp_neq_f64_e64 s3, 0, v[194:195]
	s_delay_alu instid0(VALU_DEP_1) | instskip(NEXT) | instid1(SALU_CYCLE_1)
	s_or_b32 s3, vcc_lo, s3
	s_and_b32 exec_lo, exec_lo, s3
	s_cbranch_execz .LBB59_170
; %bb.165:
	v_cmp_gt_f64_e32 vcc_lo, 0, v[192:193]
	v_xor_b32_e32 v120, 0x80000000, v193
	v_xor_b32_e32 v122, 0x80000000, v195
	s_delay_alu instid0(VALU_DEP_2) | instskip(SKIP_2) | instid1(VALU_DEP_4)
	v_cndmask_b32_e32 v121, v193, v120, vcc_lo
	v_cndmask_b32_e32 v120, v192, v192, vcc_lo
	v_cmp_gt_f64_e32 vcc_lo, 0, v[194:195]
	v_cndmask_b32_e32 v123, v195, v122, vcc_lo
	v_cndmask_b32_e32 v122, v194, v194, vcc_lo
	s_delay_alu instid0(VALU_DEP_1) | instskip(SKIP_1) | instid1(SALU_CYCLE_1)
	v_cmp_ngt_f64_e32 vcc_lo, v[120:121], v[122:123]
                                        ; implicit-def: $vgpr120_vgpr121
	s_and_saveexec_b32 s3, vcc_lo
	s_xor_b32 s3, exec_lo, s3
                                        ; implicit-def: $vgpr196_vgpr197_vgpr198_vgpr199
	s_cbranch_execz .LBB59_167
; %bb.166:
	v_div_scale_f64 v[120:121], null, v[194:195], v[194:195], v[192:193]
	v_div_scale_f64 v[198:199], vcc_lo, v[192:193], v[194:195], v[192:193]
	s_delay_alu instid0(VALU_DEP_2) | instskip(SKIP_2) | instid1(VALU_DEP_1)
	v_rcp_f64_e32 v[122:123], v[120:121]
	s_waitcnt_depctr 0xfff
	v_fma_f64 v[196:197], -v[120:121], v[122:123], 1.0
	v_fma_f64 v[122:123], v[122:123], v[196:197], v[122:123]
	s_delay_alu instid0(VALU_DEP_1) | instskip(NEXT) | instid1(VALU_DEP_1)
	v_fma_f64 v[196:197], -v[120:121], v[122:123], 1.0
	v_fma_f64 v[122:123], v[122:123], v[196:197], v[122:123]
	s_delay_alu instid0(VALU_DEP_1) | instskip(NEXT) | instid1(VALU_DEP_1)
	v_mul_f64 v[196:197], v[198:199], v[122:123]
	v_fma_f64 v[120:121], -v[120:121], v[196:197], v[198:199]
	s_delay_alu instid0(VALU_DEP_1) | instskip(NEXT) | instid1(VALU_DEP_1)
	v_div_fmas_f64 v[120:121], v[120:121], v[122:123], v[196:197]
	v_div_fixup_f64 v[120:121], v[120:121], v[194:195], v[192:193]
	s_delay_alu instid0(VALU_DEP_1) | instskip(NEXT) | instid1(VALU_DEP_1)
	v_fma_f64 v[122:123], v[192:193], v[120:121], v[194:195]
	v_div_scale_f64 v[192:193], null, v[122:123], v[122:123], 1.0
	s_delay_alu instid0(VALU_DEP_1) | instskip(SKIP_2) | instid1(VALU_DEP_1)
	v_rcp_f64_e32 v[194:195], v[192:193]
	s_waitcnt_depctr 0xfff
	v_fma_f64 v[196:197], -v[192:193], v[194:195], 1.0
	v_fma_f64 v[194:195], v[194:195], v[196:197], v[194:195]
	s_delay_alu instid0(VALU_DEP_1) | instskip(NEXT) | instid1(VALU_DEP_1)
	v_fma_f64 v[196:197], -v[192:193], v[194:195], 1.0
	v_fma_f64 v[194:195], v[194:195], v[196:197], v[194:195]
	v_div_scale_f64 v[196:197], vcc_lo, 1.0, v[122:123], 1.0
	s_delay_alu instid0(VALU_DEP_1) | instskip(NEXT) | instid1(VALU_DEP_1)
	v_mul_f64 v[198:199], v[196:197], v[194:195]
	v_fma_f64 v[192:193], -v[192:193], v[198:199], v[196:197]
	s_delay_alu instid0(VALU_DEP_1) | instskip(NEXT) | instid1(VALU_DEP_1)
	v_div_fmas_f64 v[192:193], v[192:193], v[194:195], v[198:199]
	v_div_fixup_f64 v[198:199], v[192:193], v[122:123], 1.0
                                        ; implicit-def: $vgpr192_vgpr193
	s_delay_alu instid0(VALU_DEP_1)
	v_mul_f64 v[120:121], v[120:121], v[198:199]
	v_xor_b32_e32 v199, 0x80000000, v199
.LBB59_167:
	s_and_not1_saveexec_b32 s3, s3
	s_cbranch_execz .LBB59_169
; %bb.168:
	v_div_scale_f64 v[120:121], null, v[192:193], v[192:193], v[194:195]
	v_div_scale_f64 v[198:199], vcc_lo, v[194:195], v[192:193], v[194:195]
	s_delay_alu instid0(VALU_DEP_2) | instskip(SKIP_2) | instid1(VALU_DEP_1)
	v_rcp_f64_e32 v[122:123], v[120:121]
	s_waitcnt_depctr 0xfff
	v_fma_f64 v[196:197], -v[120:121], v[122:123], 1.0
	v_fma_f64 v[122:123], v[122:123], v[196:197], v[122:123]
	s_delay_alu instid0(VALU_DEP_1) | instskip(NEXT) | instid1(VALU_DEP_1)
	v_fma_f64 v[196:197], -v[120:121], v[122:123], 1.0
	v_fma_f64 v[122:123], v[122:123], v[196:197], v[122:123]
	s_delay_alu instid0(VALU_DEP_1) | instskip(NEXT) | instid1(VALU_DEP_1)
	v_mul_f64 v[196:197], v[198:199], v[122:123]
	v_fma_f64 v[120:121], -v[120:121], v[196:197], v[198:199]
	s_delay_alu instid0(VALU_DEP_1) | instskip(NEXT) | instid1(VALU_DEP_1)
	v_div_fmas_f64 v[120:121], v[120:121], v[122:123], v[196:197]
	v_div_fixup_f64 v[122:123], v[120:121], v[192:193], v[194:195]
	s_delay_alu instid0(VALU_DEP_1) | instskip(NEXT) | instid1(VALU_DEP_1)
	v_fma_f64 v[120:121], v[194:195], v[122:123], v[192:193]
	v_div_scale_f64 v[192:193], null, v[120:121], v[120:121], 1.0
	s_delay_alu instid0(VALU_DEP_1) | instskip(SKIP_2) | instid1(VALU_DEP_1)
	v_rcp_f64_e32 v[194:195], v[192:193]
	s_waitcnt_depctr 0xfff
	v_fma_f64 v[196:197], -v[192:193], v[194:195], 1.0
	v_fma_f64 v[194:195], v[194:195], v[196:197], v[194:195]
	s_delay_alu instid0(VALU_DEP_1) | instskip(NEXT) | instid1(VALU_DEP_1)
	v_fma_f64 v[196:197], -v[192:193], v[194:195], 1.0
	v_fma_f64 v[194:195], v[194:195], v[196:197], v[194:195]
	v_div_scale_f64 v[196:197], vcc_lo, 1.0, v[120:121], 1.0
	s_delay_alu instid0(VALU_DEP_1) | instskip(NEXT) | instid1(VALU_DEP_1)
	v_mul_f64 v[198:199], v[196:197], v[194:195]
	v_fma_f64 v[192:193], -v[192:193], v[198:199], v[196:197]
	s_delay_alu instid0(VALU_DEP_1) | instskip(NEXT) | instid1(VALU_DEP_1)
	v_div_fmas_f64 v[192:193], v[192:193], v[194:195], v[198:199]
	v_div_fixup_f64 v[120:121], v[192:193], v[120:121], 1.0
	s_delay_alu instid0(VALU_DEP_1)
	v_mul_f64 v[198:199], v[122:123], -v[120:121]
.LBB59_169:
	s_or_b32 exec_lo, exec_lo, s3
	ds_store_2addr_b64 v241, v[120:121], v[198:199] offset1:1
.LBB59_170:
	s_or_b32 exec_lo, exec_lo, s4
	s_waitcnt lgkmcnt(0)
	s_barrier
	buffer_gl0_inv
	ds_load_2addr_b64 v[192:195], v241 offset1:1
	s_mov_b32 s3, exec_lo
	v_cmpx_lt_u32_e32 18, v240
	s_cbranch_execz .LBB59_172
; %bb.171:
	s_waitcnt lgkmcnt(0)
	v_mul_f64 v[120:121], v[192:193], v[46:47]
	v_mul_f64 v[46:47], v[194:195], v[46:47]
	s_delay_alu instid0(VALU_DEP_2) | instskip(SKIP_4) | instid1(VALU_DEP_1)
	v_fma_f64 v[196:197], v[194:195], v[44:45], v[120:121]
	ds_load_2addr_b64 v[120:123], v242 offset0:38 offset1:39
	v_fma_f64 v[44:45], v[192:193], v[44:45], -v[46:47]
	s_waitcnt lgkmcnt(0)
	v_mul_f64 v[46:47], v[122:123], v[196:197]
	v_fma_f64 v[46:47], v[120:121], v[44:45], -v[46:47]
	v_mul_f64 v[120:121], v[120:121], v[196:197]
	s_delay_alu instid0(VALU_DEP_2) | instskip(NEXT) | instid1(VALU_DEP_2)
	v_add_f64 v[40:41], v[40:41], -v[46:47]
	v_fma_f64 v[120:121], v[122:123], v[44:45], v[120:121]
	s_delay_alu instid0(VALU_DEP_1) | instskip(SKIP_3) | instid1(VALU_DEP_1)
	v_add_f64 v[42:43], v[42:43], -v[120:121]
	ds_load_2addr_b64 v[120:123], v242 offset0:40 offset1:41
	s_waitcnt lgkmcnt(0)
	v_mul_f64 v[46:47], v[122:123], v[196:197]
	v_fma_f64 v[46:47], v[120:121], v[44:45], -v[46:47]
	v_mul_f64 v[120:121], v[120:121], v[196:197]
	s_delay_alu instid0(VALU_DEP_2) | instskip(NEXT) | instid1(VALU_DEP_2)
	v_add_f64 v[36:37], v[36:37], -v[46:47]
	v_fma_f64 v[120:121], v[122:123], v[44:45], v[120:121]
	s_delay_alu instid0(VALU_DEP_1) | instskip(SKIP_3) | instid1(VALU_DEP_1)
	v_add_f64 v[38:39], v[38:39], -v[120:121]
	ds_load_2addr_b64 v[120:123], v242 offset0:42 offset1:43
	;; [unrolled: 10-line block ×10, first 2 shown]
	s_waitcnt lgkmcnt(0)
	v_mul_f64 v[46:47], v[122:123], v[196:197]
	v_fma_f64 v[46:47], v[120:121], v[44:45], -v[46:47]
	v_mul_f64 v[120:121], v[120:121], v[196:197]
	s_delay_alu instid0(VALU_DEP_2) | instskip(NEXT) | instid1(VALU_DEP_2)
	v_add_f64 v[0:1], v[0:1], -v[46:47]
	v_fma_f64 v[120:121], v[122:123], v[44:45], v[120:121]
	v_dual_mov_b32 v46, v196 :: v_dual_mov_b32 v47, v197
	s_delay_alu instid0(VALU_DEP_2)
	v_add_f64 v[2:3], v[2:3], -v[120:121]
.LBB59_172:
	s_or_b32 exec_lo, exec_lo, s3
	s_delay_alu instid0(SALU_CYCLE_1)
	s_mov_b32 s4, exec_lo
	s_waitcnt lgkmcnt(0)
	s_barrier
	buffer_gl0_inv
	v_cmpx_eq_u32_e32 19, v240
	s_cbranch_execz .LBB59_179
; %bb.173:
	ds_store_2addr_b64 v241, v[40:41], v[42:43] offset1:1
	ds_store_2addr_b64 v242, v[36:37], v[38:39] offset0:40 offset1:41
	ds_store_2addr_b64 v242, v[32:33], v[34:35] offset0:42 offset1:43
	;; [unrolled: 1-line block ×10, first 2 shown]
	ds_load_2addr_b64 v[196:199], v241 offset1:1
	s_waitcnt lgkmcnt(0)
	v_cmp_neq_f64_e32 vcc_lo, 0, v[196:197]
	v_cmp_neq_f64_e64 s3, 0, v[198:199]
	s_delay_alu instid0(VALU_DEP_1) | instskip(NEXT) | instid1(SALU_CYCLE_1)
	s_or_b32 s3, vcc_lo, s3
	s_and_b32 exec_lo, exec_lo, s3
	s_cbranch_execz .LBB59_179
; %bb.174:
	v_cmp_gt_f64_e32 vcc_lo, 0, v[196:197]
	v_xor_b32_e32 v120, 0x80000000, v197
	v_xor_b32_e32 v122, 0x80000000, v199
	s_delay_alu instid0(VALU_DEP_2) | instskip(SKIP_2) | instid1(VALU_DEP_4)
	v_cndmask_b32_e32 v121, v197, v120, vcc_lo
	v_cndmask_b32_e32 v120, v196, v196, vcc_lo
	v_cmp_gt_f64_e32 vcc_lo, 0, v[198:199]
	v_cndmask_b32_e32 v123, v199, v122, vcc_lo
	v_cndmask_b32_e32 v122, v198, v198, vcc_lo
	s_delay_alu instid0(VALU_DEP_1) | instskip(SKIP_1) | instid1(SALU_CYCLE_1)
	v_cmp_ngt_f64_e32 vcc_lo, v[120:121], v[122:123]
                                        ; implicit-def: $vgpr120_vgpr121
	s_and_saveexec_b32 s3, vcc_lo
	s_xor_b32 s3, exec_lo, s3
                                        ; implicit-def: $vgpr200_vgpr201_vgpr202_vgpr203
	s_cbranch_execz .LBB59_176
; %bb.175:
	v_div_scale_f64 v[120:121], null, v[198:199], v[198:199], v[196:197]
	v_div_scale_f64 v[202:203], vcc_lo, v[196:197], v[198:199], v[196:197]
	s_delay_alu instid0(VALU_DEP_2) | instskip(SKIP_2) | instid1(VALU_DEP_1)
	v_rcp_f64_e32 v[122:123], v[120:121]
	s_waitcnt_depctr 0xfff
	v_fma_f64 v[200:201], -v[120:121], v[122:123], 1.0
	v_fma_f64 v[122:123], v[122:123], v[200:201], v[122:123]
	s_delay_alu instid0(VALU_DEP_1) | instskip(NEXT) | instid1(VALU_DEP_1)
	v_fma_f64 v[200:201], -v[120:121], v[122:123], 1.0
	v_fma_f64 v[122:123], v[122:123], v[200:201], v[122:123]
	s_delay_alu instid0(VALU_DEP_1) | instskip(NEXT) | instid1(VALU_DEP_1)
	v_mul_f64 v[200:201], v[202:203], v[122:123]
	v_fma_f64 v[120:121], -v[120:121], v[200:201], v[202:203]
	s_delay_alu instid0(VALU_DEP_1) | instskip(NEXT) | instid1(VALU_DEP_1)
	v_div_fmas_f64 v[120:121], v[120:121], v[122:123], v[200:201]
	v_div_fixup_f64 v[120:121], v[120:121], v[198:199], v[196:197]
	s_delay_alu instid0(VALU_DEP_1) | instskip(NEXT) | instid1(VALU_DEP_1)
	v_fma_f64 v[122:123], v[196:197], v[120:121], v[198:199]
	v_div_scale_f64 v[196:197], null, v[122:123], v[122:123], 1.0
	s_delay_alu instid0(VALU_DEP_1) | instskip(SKIP_2) | instid1(VALU_DEP_1)
	v_rcp_f64_e32 v[198:199], v[196:197]
	s_waitcnt_depctr 0xfff
	v_fma_f64 v[200:201], -v[196:197], v[198:199], 1.0
	v_fma_f64 v[198:199], v[198:199], v[200:201], v[198:199]
	s_delay_alu instid0(VALU_DEP_1) | instskip(NEXT) | instid1(VALU_DEP_1)
	v_fma_f64 v[200:201], -v[196:197], v[198:199], 1.0
	v_fma_f64 v[198:199], v[198:199], v[200:201], v[198:199]
	v_div_scale_f64 v[200:201], vcc_lo, 1.0, v[122:123], 1.0
	s_delay_alu instid0(VALU_DEP_1) | instskip(NEXT) | instid1(VALU_DEP_1)
	v_mul_f64 v[202:203], v[200:201], v[198:199]
	v_fma_f64 v[196:197], -v[196:197], v[202:203], v[200:201]
	s_delay_alu instid0(VALU_DEP_1) | instskip(NEXT) | instid1(VALU_DEP_1)
	v_div_fmas_f64 v[196:197], v[196:197], v[198:199], v[202:203]
	v_div_fixup_f64 v[202:203], v[196:197], v[122:123], 1.0
                                        ; implicit-def: $vgpr196_vgpr197
	s_delay_alu instid0(VALU_DEP_1)
	v_mul_f64 v[120:121], v[120:121], v[202:203]
	v_xor_b32_e32 v203, 0x80000000, v203
.LBB59_176:
	s_and_not1_saveexec_b32 s3, s3
	s_cbranch_execz .LBB59_178
; %bb.177:
	v_div_scale_f64 v[120:121], null, v[196:197], v[196:197], v[198:199]
	v_div_scale_f64 v[202:203], vcc_lo, v[198:199], v[196:197], v[198:199]
	s_delay_alu instid0(VALU_DEP_2) | instskip(SKIP_2) | instid1(VALU_DEP_1)
	v_rcp_f64_e32 v[122:123], v[120:121]
	s_waitcnt_depctr 0xfff
	v_fma_f64 v[200:201], -v[120:121], v[122:123], 1.0
	v_fma_f64 v[122:123], v[122:123], v[200:201], v[122:123]
	s_delay_alu instid0(VALU_DEP_1) | instskip(NEXT) | instid1(VALU_DEP_1)
	v_fma_f64 v[200:201], -v[120:121], v[122:123], 1.0
	v_fma_f64 v[122:123], v[122:123], v[200:201], v[122:123]
	s_delay_alu instid0(VALU_DEP_1) | instskip(NEXT) | instid1(VALU_DEP_1)
	v_mul_f64 v[200:201], v[202:203], v[122:123]
	v_fma_f64 v[120:121], -v[120:121], v[200:201], v[202:203]
	s_delay_alu instid0(VALU_DEP_1) | instskip(NEXT) | instid1(VALU_DEP_1)
	v_div_fmas_f64 v[120:121], v[120:121], v[122:123], v[200:201]
	v_div_fixup_f64 v[122:123], v[120:121], v[196:197], v[198:199]
	s_delay_alu instid0(VALU_DEP_1) | instskip(NEXT) | instid1(VALU_DEP_1)
	v_fma_f64 v[120:121], v[198:199], v[122:123], v[196:197]
	v_div_scale_f64 v[196:197], null, v[120:121], v[120:121], 1.0
	s_delay_alu instid0(VALU_DEP_1) | instskip(SKIP_2) | instid1(VALU_DEP_1)
	v_rcp_f64_e32 v[198:199], v[196:197]
	s_waitcnt_depctr 0xfff
	v_fma_f64 v[200:201], -v[196:197], v[198:199], 1.0
	v_fma_f64 v[198:199], v[198:199], v[200:201], v[198:199]
	s_delay_alu instid0(VALU_DEP_1) | instskip(NEXT) | instid1(VALU_DEP_1)
	v_fma_f64 v[200:201], -v[196:197], v[198:199], 1.0
	v_fma_f64 v[198:199], v[198:199], v[200:201], v[198:199]
	v_div_scale_f64 v[200:201], vcc_lo, 1.0, v[120:121], 1.0
	s_delay_alu instid0(VALU_DEP_1) | instskip(NEXT) | instid1(VALU_DEP_1)
	v_mul_f64 v[202:203], v[200:201], v[198:199]
	v_fma_f64 v[196:197], -v[196:197], v[202:203], v[200:201]
	s_delay_alu instid0(VALU_DEP_1) | instskip(NEXT) | instid1(VALU_DEP_1)
	v_div_fmas_f64 v[196:197], v[196:197], v[198:199], v[202:203]
	v_div_fixup_f64 v[120:121], v[196:197], v[120:121], 1.0
	s_delay_alu instid0(VALU_DEP_1)
	v_mul_f64 v[202:203], v[122:123], -v[120:121]
.LBB59_178:
	s_or_b32 exec_lo, exec_lo, s3
	ds_store_2addr_b64 v241, v[120:121], v[202:203] offset1:1
.LBB59_179:
	s_or_b32 exec_lo, exec_lo, s4
	s_waitcnt lgkmcnt(0)
	s_barrier
	buffer_gl0_inv
	ds_load_2addr_b64 v[196:199], v241 offset1:1
	s_mov_b32 s3, exec_lo
	v_cmpx_lt_u32_e32 19, v240
	s_cbranch_execz .LBB59_181
; %bb.180:
	s_waitcnt lgkmcnt(0)
	v_mul_f64 v[120:121], v[196:197], v[42:43]
	v_mul_f64 v[42:43], v[198:199], v[42:43]
	s_delay_alu instid0(VALU_DEP_2) | instskip(SKIP_4) | instid1(VALU_DEP_1)
	v_fma_f64 v[200:201], v[198:199], v[40:41], v[120:121]
	ds_load_2addr_b64 v[120:123], v242 offset0:40 offset1:41
	v_fma_f64 v[40:41], v[196:197], v[40:41], -v[42:43]
	s_waitcnt lgkmcnt(0)
	v_mul_f64 v[42:43], v[122:123], v[200:201]
	v_fma_f64 v[42:43], v[120:121], v[40:41], -v[42:43]
	v_mul_f64 v[120:121], v[120:121], v[200:201]
	s_delay_alu instid0(VALU_DEP_2) | instskip(NEXT) | instid1(VALU_DEP_2)
	v_add_f64 v[36:37], v[36:37], -v[42:43]
	v_fma_f64 v[120:121], v[122:123], v[40:41], v[120:121]
	s_delay_alu instid0(VALU_DEP_1) | instskip(SKIP_3) | instid1(VALU_DEP_1)
	v_add_f64 v[38:39], v[38:39], -v[120:121]
	ds_load_2addr_b64 v[120:123], v242 offset0:42 offset1:43
	s_waitcnt lgkmcnt(0)
	v_mul_f64 v[42:43], v[122:123], v[200:201]
	v_fma_f64 v[42:43], v[120:121], v[40:41], -v[42:43]
	v_mul_f64 v[120:121], v[120:121], v[200:201]
	s_delay_alu instid0(VALU_DEP_2) | instskip(NEXT) | instid1(VALU_DEP_2)
	v_add_f64 v[32:33], v[32:33], -v[42:43]
	v_fma_f64 v[120:121], v[122:123], v[40:41], v[120:121]
	s_delay_alu instid0(VALU_DEP_1) | instskip(SKIP_3) | instid1(VALU_DEP_1)
	v_add_f64 v[34:35], v[34:35], -v[120:121]
	ds_load_2addr_b64 v[120:123], v242 offset0:44 offset1:45
	;; [unrolled: 10-line block ×9, first 2 shown]
	s_waitcnt lgkmcnt(0)
	v_mul_f64 v[42:43], v[122:123], v[200:201]
	v_fma_f64 v[42:43], v[120:121], v[40:41], -v[42:43]
	v_mul_f64 v[120:121], v[120:121], v[200:201]
	s_delay_alu instid0(VALU_DEP_2) | instskip(NEXT) | instid1(VALU_DEP_2)
	v_add_f64 v[0:1], v[0:1], -v[42:43]
	v_fma_f64 v[120:121], v[122:123], v[40:41], v[120:121]
	v_dual_mov_b32 v42, v200 :: v_dual_mov_b32 v43, v201
	s_delay_alu instid0(VALU_DEP_2)
	v_add_f64 v[2:3], v[2:3], -v[120:121]
.LBB59_181:
	s_or_b32 exec_lo, exec_lo, s3
	s_delay_alu instid0(SALU_CYCLE_1)
	s_mov_b32 s4, exec_lo
	s_waitcnt lgkmcnt(0)
	s_barrier
	buffer_gl0_inv
	v_cmpx_eq_u32_e32 20, v240
	s_cbranch_execz .LBB59_188
; %bb.182:
	ds_store_2addr_b64 v241, v[36:37], v[38:39] offset1:1
	ds_store_2addr_b64 v242, v[32:33], v[34:35] offset0:42 offset1:43
	ds_store_2addr_b64 v242, v[28:29], v[30:31] offset0:44 offset1:45
	;; [unrolled: 1-line block ×9, first 2 shown]
	ds_load_2addr_b64 v[200:203], v241 offset1:1
	s_waitcnt lgkmcnt(0)
	v_cmp_neq_f64_e32 vcc_lo, 0, v[200:201]
	v_cmp_neq_f64_e64 s3, 0, v[202:203]
	s_delay_alu instid0(VALU_DEP_1) | instskip(NEXT) | instid1(SALU_CYCLE_1)
	s_or_b32 s3, vcc_lo, s3
	s_and_b32 exec_lo, exec_lo, s3
	s_cbranch_execz .LBB59_188
; %bb.183:
	v_cmp_gt_f64_e32 vcc_lo, 0, v[200:201]
	v_xor_b32_e32 v120, 0x80000000, v201
	v_xor_b32_e32 v122, 0x80000000, v203
	s_delay_alu instid0(VALU_DEP_2) | instskip(SKIP_2) | instid1(VALU_DEP_4)
	v_cndmask_b32_e32 v121, v201, v120, vcc_lo
	v_cndmask_b32_e32 v120, v200, v200, vcc_lo
	v_cmp_gt_f64_e32 vcc_lo, 0, v[202:203]
	v_cndmask_b32_e32 v123, v203, v122, vcc_lo
	v_cndmask_b32_e32 v122, v202, v202, vcc_lo
	s_delay_alu instid0(VALU_DEP_1) | instskip(SKIP_1) | instid1(SALU_CYCLE_1)
	v_cmp_ngt_f64_e32 vcc_lo, v[120:121], v[122:123]
                                        ; implicit-def: $vgpr120_vgpr121
	s_and_saveexec_b32 s3, vcc_lo
	s_xor_b32 s3, exec_lo, s3
                                        ; implicit-def: $vgpr204_vgpr205_vgpr206_vgpr207
	s_cbranch_execz .LBB59_185
; %bb.184:
	v_div_scale_f64 v[120:121], null, v[202:203], v[202:203], v[200:201]
	v_div_scale_f64 v[206:207], vcc_lo, v[200:201], v[202:203], v[200:201]
	s_delay_alu instid0(VALU_DEP_2) | instskip(SKIP_2) | instid1(VALU_DEP_1)
	v_rcp_f64_e32 v[122:123], v[120:121]
	s_waitcnt_depctr 0xfff
	v_fma_f64 v[204:205], -v[120:121], v[122:123], 1.0
	v_fma_f64 v[122:123], v[122:123], v[204:205], v[122:123]
	s_delay_alu instid0(VALU_DEP_1) | instskip(NEXT) | instid1(VALU_DEP_1)
	v_fma_f64 v[204:205], -v[120:121], v[122:123], 1.0
	v_fma_f64 v[122:123], v[122:123], v[204:205], v[122:123]
	s_delay_alu instid0(VALU_DEP_1) | instskip(NEXT) | instid1(VALU_DEP_1)
	v_mul_f64 v[204:205], v[206:207], v[122:123]
	v_fma_f64 v[120:121], -v[120:121], v[204:205], v[206:207]
	s_delay_alu instid0(VALU_DEP_1) | instskip(NEXT) | instid1(VALU_DEP_1)
	v_div_fmas_f64 v[120:121], v[120:121], v[122:123], v[204:205]
	v_div_fixup_f64 v[120:121], v[120:121], v[202:203], v[200:201]
	s_delay_alu instid0(VALU_DEP_1) | instskip(NEXT) | instid1(VALU_DEP_1)
	v_fma_f64 v[122:123], v[200:201], v[120:121], v[202:203]
	v_div_scale_f64 v[200:201], null, v[122:123], v[122:123], 1.0
	s_delay_alu instid0(VALU_DEP_1) | instskip(SKIP_2) | instid1(VALU_DEP_1)
	v_rcp_f64_e32 v[202:203], v[200:201]
	s_waitcnt_depctr 0xfff
	v_fma_f64 v[204:205], -v[200:201], v[202:203], 1.0
	v_fma_f64 v[202:203], v[202:203], v[204:205], v[202:203]
	s_delay_alu instid0(VALU_DEP_1) | instskip(NEXT) | instid1(VALU_DEP_1)
	v_fma_f64 v[204:205], -v[200:201], v[202:203], 1.0
	v_fma_f64 v[202:203], v[202:203], v[204:205], v[202:203]
	v_div_scale_f64 v[204:205], vcc_lo, 1.0, v[122:123], 1.0
	s_delay_alu instid0(VALU_DEP_1) | instskip(NEXT) | instid1(VALU_DEP_1)
	v_mul_f64 v[206:207], v[204:205], v[202:203]
	v_fma_f64 v[200:201], -v[200:201], v[206:207], v[204:205]
	s_delay_alu instid0(VALU_DEP_1) | instskip(NEXT) | instid1(VALU_DEP_1)
	v_div_fmas_f64 v[200:201], v[200:201], v[202:203], v[206:207]
	v_div_fixup_f64 v[206:207], v[200:201], v[122:123], 1.0
                                        ; implicit-def: $vgpr200_vgpr201
	s_delay_alu instid0(VALU_DEP_1)
	v_mul_f64 v[120:121], v[120:121], v[206:207]
	v_xor_b32_e32 v207, 0x80000000, v207
.LBB59_185:
	s_and_not1_saveexec_b32 s3, s3
	s_cbranch_execz .LBB59_187
; %bb.186:
	v_div_scale_f64 v[120:121], null, v[200:201], v[200:201], v[202:203]
	v_div_scale_f64 v[206:207], vcc_lo, v[202:203], v[200:201], v[202:203]
	s_delay_alu instid0(VALU_DEP_2) | instskip(SKIP_2) | instid1(VALU_DEP_1)
	v_rcp_f64_e32 v[122:123], v[120:121]
	s_waitcnt_depctr 0xfff
	v_fma_f64 v[204:205], -v[120:121], v[122:123], 1.0
	v_fma_f64 v[122:123], v[122:123], v[204:205], v[122:123]
	s_delay_alu instid0(VALU_DEP_1) | instskip(NEXT) | instid1(VALU_DEP_1)
	v_fma_f64 v[204:205], -v[120:121], v[122:123], 1.0
	v_fma_f64 v[122:123], v[122:123], v[204:205], v[122:123]
	s_delay_alu instid0(VALU_DEP_1) | instskip(NEXT) | instid1(VALU_DEP_1)
	v_mul_f64 v[204:205], v[206:207], v[122:123]
	v_fma_f64 v[120:121], -v[120:121], v[204:205], v[206:207]
	s_delay_alu instid0(VALU_DEP_1) | instskip(NEXT) | instid1(VALU_DEP_1)
	v_div_fmas_f64 v[120:121], v[120:121], v[122:123], v[204:205]
	v_div_fixup_f64 v[122:123], v[120:121], v[200:201], v[202:203]
	s_delay_alu instid0(VALU_DEP_1) | instskip(NEXT) | instid1(VALU_DEP_1)
	v_fma_f64 v[120:121], v[202:203], v[122:123], v[200:201]
	v_div_scale_f64 v[200:201], null, v[120:121], v[120:121], 1.0
	s_delay_alu instid0(VALU_DEP_1) | instskip(SKIP_2) | instid1(VALU_DEP_1)
	v_rcp_f64_e32 v[202:203], v[200:201]
	s_waitcnt_depctr 0xfff
	v_fma_f64 v[204:205], -v[200:201], v[202:203], 1.0
	v_fma_f64 v[202:203], v[202:203], v[204:205], v[202:203]
	s_delay_alu instid0(VALU_DEP_1) | instskip(NEXT) | instid1(VALU_DEP_1)
	v_fma_f64 v[204:205], -v[200:201], v[202:203], 1.0
	v_fma_f64 v[202:203], v[202:203], v[204:205], v[202:203]
	v_div_scale_f64 v[204:205], vcc_lo, 1.0, v[120:121], 1.0
	s_delay_alu instid0(VALU_DEP_1) | instskip(NEXT) | instid1(VALU_DEP_1)
	v_mul_f64 v[206:207], v[204:205], v[202:203]
	v_fma_f64 v[200:201], -v[200:201], v[206:207], v[204:205]
	s_delay_alu instid0(VALU_DEP_1) | instskip(NEXT) | instid1(VALU_DEP_1)
	v_div_fmas_f64 v[200:201], v[200:201], v[202:203], v[206:207]
	v_div_fixup_f64 v[120:121], v[200:201], v[120:121], 1.0
	s_delay_alu instid0(VALU_DEP_1)
	v_mul_f64 v[206:207], v[122:123], -v[120:121]
.LBB59_187:
	s_or_b32 exec_lo, exec_lo, s3
	ds_store_2addr_b64 v241, v[120:121], v[206:207] offset1:1
.LBB59_188:
	s_or_b32 exec_lo, exec_lo, s4
	s_waitcnt lgkmcnt(0)
	s_barrier
	buffer_gl0_inv
	ds_load_2addr_b64 v[200:203], v241 offset1:1
	s_mov_b32 s3, exec_lo
	v_cmpx_lt_u32_e32 20, v240
	s_cbranch_execz .LBB59_190
; %bb.189:
	s_waitcnt lgkmcnt(0)
	v_mul_f64 v[120:121], v[200:201], v[38:39]
	v_mul_f64 v[38:39], v[202:203], v[38:39]
	s_delay_alu instid0(VALU_DEP_2) | instskip(SKIP_4) | instid1(VALU_DEP_1)
	v_fma_f64 v[204:205], v[202:203], v[36:37], v[120:121]
	ds_load_2addr_b64 v[120:123], v242 offset0:42 offset1:43
	v_fma_f64 v[36:37], v[200:201], v[36:37], -v[38:39]
	s_waitcnt lgkmcnt(0)
	v_mul_f64 v[38:39], v[122:123], v[204:205]
	v_fma_f64 v[38:39], v[120:121], v[36:37], -v[38:39]
	v_mul_f64 v[120:121], v[120:121], v[204:205]
	s_delay_alu instid0(VALU_DEP_2) | instskip(NEXT) | instid1(VALU_DEP_2)
	v_add_f64 v[32:33], v[32:33], -v[38:39]
	v_fma_f64 v[120:121], v[122:123], v[36:37], v[120:121]
	s_delay_alu instid0(VALU_DEP_1) | instskip(SKIP_3) | instid1(VALU_DEP_1)
	v_add_f64 v[34:35], v[34:35], -v[120:121]
	ds_load_2addr_b64 v[120:123], v242 offset0:44 offset1:45
	s_waitcnt lgkmcnt(0)
	v_mul_f64 v[38:39], v[122:123], v[204:205]
	v_fma_f64 v[38:39], v[120:121], v[36:37], -v[38:39]
	v_mul_f64 v[120:121], v[120:121], v[204:205]
	s_delay_alu instid0(VALU_DEP_2) | instskip(NEXT) | instid1(VALU_DEP_2)
	v_add_f64 v[28:29], v[28:29], -v[38:39]
	v_fma_f64 v[120:121], v[122:123], v[36:37], v[120:121]
	s_delay_alu instid0(VALU_DEP_1) | instskip(SKIP_3) | instid1(VALU_DEP_1)
	v_add_f64 v[30:31], v[30:31], -v[120:121]
	ds_load_2addr_b64 v[120:123], v242 offset0:46 offset1:47
	;; [unrolled: 10-line block ×8, first 2 shown]
	s_waitcnt lgkmcnt(0)
	v_mul_f64 v[38:39], v[122:123], v[204:205]
	v_fma_f64 v[38:39], v[120:121], v[36:37], -v[38:39]
	v_mul_f64 v[120:121], v[120:121], v[204:205]
	s_delay_alu instid0(VALU_DEP_2) | instskip(NEXT) | instid1(VALU_DEP_2)
	v_add_f64 v[0:1], v[0:1], -v[38:39]
	v_fma_f64 v[120:121], v[122:123], v[36:37], v[120:121]
	v_dual_mov_b32 v38, v204 :: v_dual_mov_b32 v39, v205
	s_delay_alu instid0(VALU_DEP_2)
	v_add_f64 v[2:3], v[2:3], -v[120:121]
.LBB59_190:
	s_or_b32 exec_lo, exec_lo, s3
	s_delay_alu instid0(SALU_CYCLE_1)
	s_mov_b32 s4, exec_lo
	s_waitcnt lgkmcnt(0)
	s_barrier
	buffer_gl0_inv
	v_cmpx_eq_u32_e32 21, v240
	s_cbranch_execz .LBB59_197
; %bb.191:
	ds_store_2addr_b64 v241, v[32:33], v[34:35] offset1:1
	ds_store_2addr_b64 v242, v[28:29], v[30:31] offset0:44 offset1:45
	ds_store_2addr_b64 v242, v[24:25], v[26:27] offset0:46 offset1:47
	;; [unrolled: 1-line block ×8, first 2 shown]
	ds_load_2addr_b64 v[204:207], v241 offset1:1
	s_waitcnt lgkmcnt(0)
	v_cmp_neq_f64_e32 vcc_lo, 0, v[204:205]
	v_cmp_neq_f64_e64 s3, 0, v[206:207]
	s_delay_alu instid0(VALU_DEP_1) | instskip(NEXT) | instid1(SALU_CYCLE_1)
	s_or_b32 s3, vcc_lo, s3
	s_and_b32 exec_lo, exec_lo, s3
	s_cbranch_execz .LBB59_197
; %bb.192:
	v_cmp_gt_f64_e32 vcc_lo, 0, v[204:205]
	v_xor_b32_e32 v120, 0x80000000, v205
	v_xor_b32_e32 v122, 0x80000000, v207
	s_delay_alu instid0(VALU_DEP_2) | instskip(SKIP_2) | instid1(VALU_DEP_4)
	v_cndmask_b32_e32 v121, v205, v120, vcc_lo
	v_cndmask_b32_e32 v120, v204, v204, vcc_lo
	v_cmp_gt_f64_e32 vcc_lo, 0, v[206:207]
	v_cndmask_b32_e32 v123, v207, v122, vcc_lo
	v_cndmask_b32_e32 v122, v206, v206, vcc_lo
	s_delay_alu instid0(VALU_DEP_1) | instskip(SKIP_1) | instid1(SALU_CYCLE_1)
	v_cmp_ngt_f64_e32 vcc_lo, v[120:121], v[122:123]
                                        ; implicit-def: $vgpr120_vgpr121
	s_and_saveexec_b32 s3, vcc_lo
	s_xor_b32 s3, exec_lo, s3
                                        ; implicit-def: $vgpr208_vgpr209_vgpr210_vgpr211
	s_cbranch_execz .LBB59_194
; %bb.193:
	v_div_scale_f64 v[120:121], null, v[206:207], v[206:207], v[204:205]
	v_div_scale_f64 v[210:211], vcc_lo, v[204:205], v[206:207], v[204:205]
	s_delay_alu instid0(VALU_DEP_2) | instskip(SKIP_2) | instid1(VALU_DEP_1)
	v_rcp_f64_e32 v[122:123], v[120:121]
	s_waitcnt_depctr 0xfff
	v_fma_f64 v[208:209], -v[120:121], v[122:123], 1.0
	v_fma_f64 v[122:123], v[122:123], v[208:209], v[122:123]
	s_delay_alu instid0(VALU_DEP_1) | instskip(NEXT) | instid1(VALU_DEP_1)
	v_fma_f64 v[208:209], -v[120:121], v[122:123], 1.0
	v_fma_f64 v[122:123], v[122:123], v[208:209], v[122:123]
	s_delay_alu instid0(VALU_DEP_1) | instskip(NEXT) | instid1(VALU_DEP_1)
	v_mul_f64 v[208:209], v[210:211], v[122:123]
	v_fma_f64 v[120:121], -v[120:121], v[208:209], v[210:211]
	s_delay_alu instid0(VALU_DEP_1) | instskip(NEXT) | instid1(VALU_DEP_1)
	v_div_fmas_f64 v[120:121], v[120:121], v[122:123], v[208:209]
	v_div_fixup_f64 v[120:121], v[120:121], v[206:207], v[204:205]
	s_delay_alu instid0(VALU_DEP_1) | instskip(NEXT) | instid1(VALU_DEP_1)
	v_fma_f64 v[122:123], v[204:205], v[120:121], v[206:207]
	v_div_scale_f64 v[204:205], null, v[122:123], v[122:123], 1.0
	s_delay_alu instid0(VALU_DEP_1) | instskip(SKIP_2) | instid1(VALU_DEP_1)
	v_rcp_f64_e32 v[206:207], v[204:205]
	s_waitcnt_depctr 0xfff
	v_fma_f64 v[208:209], -v[204:205], v[206:207], 1.0
	v_fma_f64 v[206:207], v[206:207], v[208:209], v[206:207]
	s_delay_alu instid0(VALU_DEP_1) | instskip(NEXT) | instid1(VALU_DEP_1)
	v_fma_f64 v[208:209], -v[204:205], v[206:207], 1.0
	v_fma_f64 v[206:207], v[206:207], v[208:209], v[206:207]
	v_div_scale_f64 v[208:209], vcc_lo, 1.0, v[122:123], 1.0
	s_delay_alu instid0(VALU_DEP_1) | instskip(NEXT) | instid1(VALU_DEP_1)
	v_mul_f64 v[210:211], v[208:209], v[206:207]
	v_fma_f64 v[204:205], -v[204:205], v[210:211], v[208:209]
	s_delay_alu instid0(VALU_DEP_1) | instskip(NEXT) | instid1(VALU_DEP_1)
	v_div_fmas_f64 v[204:205], v[204:205], v[206:207], v[210:211]
	v_div_fixup_f64 v[210:211], v[204:205], v[122:123], 1.0
                                        ; implicit-def: $vgpr204_vgpr205
	s_delay_alu instid0(VALU_DEP_1)
	v_mul_f64 v[120:121], v[120:121], v[210:211]
	v_xor_b32_e32 v211, 0x80000000, v211
.LBB59_194:
	s_and_not1_saveexec_b32 s3, s3
	s_cbranch_execz .LBB59_196
; %bb.195:
	v_div_scale_f64 v[120:121], null, v[204:205], v[204:205], v[206:207]
	v_div_scale_f64 v[210:211], vcc_lo, v[206:207], v[204:205], v[206:207]
	s_delay_alu instid0(VALU_DEP_2) | instskip(SKIP_2) | instid1(VALU_DEP_1)
	v_rcp_f64_e32 v[122:123], v[120:121]
	s_waitcnt_depctr 0xfff
	v_fma_f64 v[208:209], -v[120:121], v[122:123], 1.0
	v_fma_f64 v[122:123], v[122:123], v[208:209], v[122:123]
	s_delay_alu instid0(VALU_DEP_1) | instskip(NEXT) | instid1(VALU_DEP_1)
	v_fma_f64 v[208:209], -v[120:121], v[122:123], 1.0
	v_fma_f64 v[122:123], v[122:123], v[208:209], v[122:123]
	s_delay_alu instid0(VALU_DEP_1) | instskip(NEXT) | instid1(VALU_DEP_1)
	v_mul_f64 v[208:209], v[210:211], v[122:123]
	v_fma_f64 v[120:121], -v[120:121], v[208:209], v[210:211]
	s_delay_alu instid0(VALU_DEP_1) | instskip(NEXT) | instid1(VALU_DEP_1)
	v_div_fmas_f64 v[120:121], v[120:121], v[122:123], v[208:209]
	v_div_fixup_f64 v[122:123], v[120:121], v[204:205], v[206:207]
	s_delay_alu instid0(VALU_DEP_1) | instskip(NEXT) | instid1(VALU_DEP_1)
	v_fma_f64 v[120:121], v[206:207], v[122:123], v[204:205]
	v_div_scale_f64 v[204:205], null, v[120:121], v[120:121], 1.0
	s_delay_alu instid0(VALU_DEP_1) | instskip(SKIP_2) | instid1(VALU_DEP_1)
	v_rcp_f64_e32 v[206:207], v[204:205]
	s_waitcnt_depctr 0xfff
	v_fma_f64 v[208:209], -v[204:205], v[206:207], 1.0
	v_fma_f64 v[206:207], v[206:207], v[208:209], v[206:207]
	s_delay_alu instid0(VALU_DEP_1) | instskip(NEXT) | instid1(VALU_DEP_1)
	v_fma_f64 v[208:209], -v[204:205], v[206:207], 1.0
	v_fma_f64 v[206:207], v[206:207], v[208:209], v[206:207]
	v_div_scale_f64 v[208:209], vcc_lo, 1.0, v[120:121], 1.0
	s_delay_alu instid0(VALU_DEP_1) | instskip(NEXT) | instid1(VALU_DEP_1)
	v_mul_f64 v[210:211], v[208:209], v[206:207]
	v_fma_f64 v[204:205], -v[204:205], v[210:211], v[208:209]
	s_delay_alu instid0(VALU_DEP_1) | instskip(NEXT) | instid1(VALU_DEP_1)
	v_div_fmas_f64 v[204:205], v[204:205], v[206:207], v[210:211]
	v_div_fixup_f64 v[120:121], v[204:205], v[120:121], 1.0
	s_delay_alu instid0(VALU_DEP_1)
	v_mul_f64 v[210:211], v[122:123], -v[120:121]
.LBB59_196:
	s_or_b32 exec_lo, exec_lo, s3
	ds_store_2addr_b64 v241, v[120:121], v[210:211] offset1:1
.LBB59_197:
	s_or_b32 exec_lo, exec_lo, s4
	s_waitcnt lgkmcnt(0)
	s_barrier
	buffer_gl0_inv
	ds_load_2addr_b64 v[204:207], v241 offset1:1
	s_mov_b32 s3, exec_lo
	v_cmpx_lt_u32_e32 21, v240
	s_cbranch_execz .LBB59_199
; %bb.198:
	s_waitcnt lgkmcnt(0)
	v_mul_f64 v[120:121], v[204:205], v[34:35]
	v_mul_f64 v[34:35], v[206:207], v[34:35]
	s_delay_alu instid0(VALU_DEP_2) | instskip(SKIP_4) | instid1(VALU_DEP_1)
	v_fma_f64 v[208:209], v[206:207], v[32:33], v[120:121]
	ds_load_2addr_b64 v[120:123], v242 offset0:44 offset1:45
	v_fma_f64 v[32:33], v[204:205], v[32:33], -v[34:35]
	s_waitcnt lgkmcnt(0)
	v_mul_f64 v[34:35], v[122:123], v[208:209]
	v_fma_f64 v[34:35], v[120:121], v[32:33], -v[34:35]
	v_mul_f64 v[120:121], v[120:121], v[208:209]
	s_delay_alu instid0(VALU_DEP_2) | instskip(NEXT) | instid1(VALU_DEP_2)
	v_add_f64 v[28:29], v[28:29], -v[34:35]
	v_fma_f64 v[120:121], v[122:123], v[32:33], v[120:121]
	s_delay_alu instid0(VALU_DEP_1) | instskip(SKIP_3) | instid1(VALU_DEP_1)
	v_add_f64 v[30:31], v[30:31], -v[120:121]
	ds_load_2addr_b64 v[120:123], v242 offset0:46 offset1:47
	s_waitcnt lgkmcnt(0)
	v_mul_f64 v[34:35], v[122:123], v[208:209]
	v_fma_f64 v[34:35], v[120:121], v[32:33], -v[34:35]
	v_mul_f64 v[120:121], v[120:121], v[208:209]
	s_delay_alu instid0(VALU_DEP_2) | instskip(NEXT) | instid1(VALU_DEP_2)
	v_add_f64 v[24:25], v[24:25], -v[34:35]
	v_fma_f64 v[120:121], v[122:123], v[32:33], v[120:121]
	s_delay_alu instid0(VALU_DEP_1) | instskip(SKIP_3) | instid1(VALU_DEP_1)
	v_add_f64 v[26:27], v[26:27], -v[120:121]
	ds_load_2addr_b64 v[120:123], v242 offset0:48 offset1:49
	;; [unrolled: 10-line block ×7, first 2 shown]
	s_waitcnt lgkmcnt(0)
	v_mul_f64 v[34:35], v[122:123], v[208:209]
	v_fma_f64 v[34:35], v[120:121], v[32:33], -v[34:35]
	v_mul_f64 v[120:121], v[120:121], v[208:209]
	s_delay_alu instid0(VALU_DEP_2) | instskip(NEXT) | instid1(VALU_DEP_2)
	v_add_f64 v[0:1], v[0:1], -v[34:35]
	v_fma_f64 v[120:121], v[122:123], v[32:33], v[120:121]
	v_dual_mov_b32 v34, v208 :: v_dual_mov_b32 v35, v209
	s_delay_alu instid0(VALU_DEP_2)
	v_add_f64 v[2:3], v[2:3], -v[120:121]
.LBB59_199:
	s_or_b32 exec_lo, exec_lo, s3
	s_delay_alu instid0(SALU_CYCLE_1)
	s_mov_b32 s4, exec_lo
	s_waitcnt lgkmcnt(0)
	s_barrier
	buffer_gl0_inv
	v_cmpx_eq_u32_e32 22, v240
	s_cbranch_execz .LBB59_206
; %bb.200:
	ds_store_2addr_b64 v241, v[28:29], v[30:31] offset1:1
	ds_store_2addr_b64 v242, v[24:25], v[26:27] offset0:46 offset1:47
	ds_store_2addr_b64 v242, v[20:21], v[22:23] offset0:48 offset1:49
	;; [unrolled: 1-line block ×7, first 2 shown]
	ds_load_2addr_b64 v[208:211], v241 offset1:1
	s_waitcnt lgkmcnt(0)
	v_cmp_neq_f64_e32 vcc_lo, 0, v[208:209]
	v_cmp_neq_f64_e64 s3, 0, v[210:211]
	s_delay_alu instid0(VALU_DEP_1) | instskip(NEXT) | instid1(SALU_CYCLE_1)
	s_or_b32 s3, vcc_lo, s3
	s_and_b32 exec_lo, exec_lo, s3
	s_cbranch_execz .LBB59_206
; %bb.201:
	v_cmp_gt_f64_e32 vcc_lo, 0, v[208:209]
	v_xor_b32_e32 v120, 0x80000000, v209
	v_xor_b32_e32 v122, 0x80000000, v211
	s_delay_alu instid0(VALU_DEP_2) | instskip(SKIP_2) | instid1(VALU_DEP_4)
	v_cndmask_b32_e32 v121, v209, v120, vcc_lo
	v_cndmask_b32_e32 v120, v208, v208, vcc_lo
	v_cmp_gt_f64_e32 vcc_lo, 0, v[210:211]
	v_cndmask_b32_e32 v123, v211, v122, vcc_lo
	v_cndmask_b32_e32 v122, v210, v210, vcc_lo
	s_delay_alu instid0(VALU_DEP_1) | instskip(SKIP_1) | instid1(SALU_CYCLE_1)
	v_cmp_ngt_f64_e32 vcc_lo, v[120:121], v[122:123]
                                        ; implicit-def: $vgpr120_vgpr121
	s_and_saveexec_b32 s3, vcc_lo
	s_xor_b32 s3, exec_lo, s3
                                        ; implicit-def: $vgpr212_vgpr213_vgpr214_vgpr215
	s_cbranch_execz .LBB59_203
; %bb.202:
	v_div_scale_f64 v[120:121], null, v[210:211], v[210:211], v[208:209]
	v_div_scale_f64 v[214:215], vcc_lo, v[208:209], v[210:211], v[208:209]
	s_delay_alu instid0(VALU_DEP_2) | instskip(SKIP_2) | instid1(VALU_DEP_1)
	v_rcp_f64_e32 v[122:123], v[120:121]
	s_waitcnt_depctr 0xfff
	v_fma_f64 v[212:213], -v[120:121], v[122:123], 1.0
	v_fma_f64 v[122:123], v[122:123], v[212:213], v[122:123]
	s_delay_alu instid0(VALU_DEP_1) | instskip(NEXT) | instid1(VALU_DEP_1)
	v_fma_f64 v[212:213], -v[120:121], v[122:123], 1.0
	v_fma_f64 v[122:123], v[122:123], v[212:213], v[122:123]
	s_delay_alu instid0(VALU_DEP_1) | instskip(NEXT) | instid1(VALU_DEP_1)
	v_mul_f64 v[212:213], v[214:215], v[122:123]
	v_fma_f64 v[120:121], -v[120:121], v[212:213], v[214:215]
	s_delay_alu instid0(VALU_DEP_1) | instskip(NEXT) | instid1(VALU_DEP_1)
	v_div_fmas_f64 v[120:121], v[120:121], v[122:123], v[212:213]
	v_div_fixup_f64 v[120:121], v[120:121], v[210:211], v[208:209]
	s_delay_alu instid0(VALU_DEP_1) | instskip(NEXT) | instid1(VALU_DEP_1)
	v_fma_f64 v[122:123], v[208:209], v[120:121], v[210:211]
	v_div_scale_f64 v[208:209], null, v[122:123], v[122:123], 1.0
	s_delay_alu instid0(VALU_DEP_1) | instskip(SKIP_2) | instid1(VALU_DEP_1)
	v_rcp_f64_e32 v[210:211], v[208:209]
	s_waitcnt_depctr 0xfff
	v_fma_f64 v[212:213], -v[208:209], v[210:211], 1.0
	v_fma_f64 v[210:211], v[210:211], v[212:213], v[210:211]
	s_delay_alu instid0(VALU_DEP_1) | instskip(NEXT) | instid1(VALU_DEP_1)
	v_fma_f64 v[212:213], -v[208:209], v[210:211], 1.0
	v_fma_f64 v[210:211], v[210:211], v[212:213], v[210:211]
	v_div_scale_f64 v[212:213], vcc_lo, 1.0, v[122:123], 1.0
	s_delay_alu instid0(VALU_DEP_1) | instskip(NEXT) | instid1(VALU_DEP_1)
	v_mul_f64 v[214:215], v[212:213], v[210:211]
	v_fma_f64 v[208:209], -v[208:209], v[214:215], v[212:213]
	s_delay_alu instid0(VALU_DEP_1) | instskip(NEXT) | instid1(VALU_DEP_1)
	v_div_fmas_f64 v[208:209], v[208:209], v[210:211], v[214:215]
	v_div_fixup_f64 v[214:215], v[208:209], v[122:123], 1.0
                                        ; implicit-def: $vgpr208_vgpr209
	s_delay_alu instid0(VALU_DEP_1)
	v_mul_f64 v[120:121], v[120:121], v[214:215]
	v_xor_b32_e32 v215, 0x80000000, v215
.LBB59_203:
	s_and_not1_saveexec_b32 s3, s3
	s_cbranch_execz .LBB59_205
; %bb.204:
	v_div_scale_f64 v[120:121], null, v[208:209], v[208:209], v[210:211]
	v_div_scale_f64 v[214:215], vcc_lo, v[210:211], v[208:209], v[210:211]
	s_delay_alu instid0(VALU_DEP_2) | instskip(SKIP_2) | instid1(VALU_DEP_1)
	v_rcp_f64_e32 v[122:123], v[120:121]
	s_waitcnt_depctr 0xfff
	v_fma_f64 v[212:213], -v[120:121], v[122:123], 1.0
	v_fma_f64 v[122:123], v[122:123], v[212:213], v[122:123]
	s_delay_alu instid0(VALU_DEP_1) | instskip(NEXT) | instid1(VALU_DEP_1)
	v_fma_f64 v[212:213], -v[120:121], v[122:123], 1.0
	v_fma_f64 v[122:123], v[122:123], v[212:213], v[122:123]
	s_delay_alu instid0(VALU_DEP_1) | instskip(NEXT) | instid1(VALU_DEP_1)
	v_mul_f64 v[212:213], v[214:215], v[122:123]
	v_fma_f64 v[120:121], -v[120:121], v[212:213], v[214:215]
	s_delay_alu instid0(VALU_DEP_1) | instskip(NEXT) | instid1(VALU_DEP_1)
	v_div_fmas_f64 v[120:121], v[120:121], v[122:123], v[212:213]
	v_div_fixup_f64 v[122:123], v[120:121], v[208:209], v[210:211]
	s_delay_alu instid0(VALU_DEP_1) | instskip(NEXT) | instid1(VALU_DEP_1)
	v_fma_f64 v[120:121], v[210:211], v[122:123], v[208:209]
	v_div_scale_f64 v[208:209], null, v[120:121], v[120:121], 1.0
	s_delay_alu instid0(VALU_DEP_1) | instskip(SKIP_2) | instid1(VALU_DEP_1)
	v_rcp_f64_e32 v[210:211], v[208:209]
	s_waitcnt_depctr 0xfff
	v_fma_f64 v[212:213], -v[208:209], v[210:211], 1.0
	v_fma_f64 v[210:211], v[210:211], v[212:213], v[210:211]
	s_delay_alu instid0(VALU_DEP_1) | instskip(NEXT) | instid1(VALU_DEP_1)
	v_fma_f64 v[212:213], -v[208:209], v[210:211], 1.0
	v_fma_f64 v[210:211], v[210:211], v[212:213], v[210:211]
	v_div_scale_f64 v[212:213], vcc_lo, 1.0, v[120:121], 1.0
	s_delay_alu instid0(VALU_DEP_1) | instskip(NEXT) | instid1(VALU_DEP_1)
	v_mul_f64 v[214:215], v[212:213], v[210:211]
	v_fma_f64 v[208:209], -v[208:209], v[214:215], v[212:213]
	s_delay_alu instid0(VALU_DEP_1) | instskip(NEXT) | instid1(VALU_DEP_1)
	v_div_fmas_f64 v[208:209], v[208:209], v[210:211], v[214:215]
	v_div_fixup_f64 v[120:121], v[208:209], v[120:121], 1.0
	s_delay_alu instid0(VALU_DEP_1)
	v_mul_f64 v[214:215], v[122:123], -v[120:121]
.LBB59_205:
	s_or_b32 exec_lo, exec_lo, s3
	ds_store_2addr_b64 v241, v[120:121], v[214:215] offset1:1
.LBB59_206:
	s_or_b32 exec_lo, exec_lo, s4
	s_waitcnt lgkmcnt(0)
	s_barrier
	buffer_gl0_inv
	ds_load_2addr_b64 v[208:211], v241 offset1:1
	s_mov_b32 s3, exec_lo
	v_cmpx_lt_u32_e32 22, v240
	s_cbranch_execz .LBB59_208
; %bb.207:
	s_waitcnt lgkmcnt(0)
	v_mul_f64 v[120:121], v[208:209], v[30:31]
	v_mul_f64 v[30:31], v[210:211], v[30:31]
	s_delay_alu instid0(VALU_DEP_2) | instskip(SKIP_4) | instid1(VALU_DEP_1)
	v_fma_f64 v[212:213], v[210:211], v[28:29], v[120:121]
	ds_load_2addr_b64 v[120:123], v242 offset0:46 offset1:47
	v_fma_f64 v[28:29], v[208:209], v[28:29], -v[30:31]
	s_waitcnt lgkmcnt(0)
	v_mul_f64 v[30:31], v[122:123], v[212:213]
	v_fma_f64 v[30:31], v[120:121], v[28:29], -v[30:31]
	v_mul_f64 v[120:121], v[120:121], v[212:213]
	s_delay_alu instid0(VALU_DEP_2) | instskip(NEXT) | instid1(VALU_DEP_2)
	v_add_f64 v[24:25], v[24:25], -v[30:31]
	v_fma_f64 v[120:121], v[122:123], v[28:29], v[120:121]
	s_delay_alu instid0(VALU_DEP_1) | instskip(SKIP_3) | instid1(VALU_DEP_1)
	v_add_f64 v[26:27], v[26:27], -v[120:121]
	ds_load_2addr_b64 v[120:123], v242 offset0:48 offset1:49
	s_waitcnt lgkmcnt(0)
	v_mul_f64 v[30:31], v[122:123], v[212:213]
	v_fma_f64 v[30:31], v[120:121], v[28:29], -v[30:31]
	v_mul_f64 v[120:121], v[120:121], v[212:213]
	s_delay_alu instid0(VALU_DEP_2) | instskip(NEXT) | instid1(VALU_DEP_2)
	v_add_f64 v[20:21], v[20:21], -v[30:31]
	v_fma_f64 v[120:121], v[122:123], v[28:29], v[120:121]
	s_delay_alu instid0(VALU_DEP_1) | instskip(SKIP_3) | instid1(VALU_DEP_1)
	v_add_f64 v[22:23], v[22:23], -v[120:121]
	ds_load_2addr_b64 v[120:123], v242 offset0:50 offset1:51
	s_waitcnt lgkmcnt(0)
	v_mul_f64 v[30:31], v[122:123], v[212:213]
	v_fma_f64 v[30:31], v[120:121], v[28:29], -v[30:31]
	v_mul_f64 v[120:121], v[120:121], v[212:213]
	s_delay_alu instid0(VALU_DEP_2) | instskip(NEXT) | instid1(VALU_DEP_2)
	v_add_f64 v[16:17], v[16:17], -v[30:31]
	v_fma_f64 v[120:121], v[122:123], v[28:29], v[120:121]
	s_delay_alu instid0(VALU_DEP_1) | instskip(SKIP_3) | instid1(VALU_DEP_1)
	v_add_f64 v[18:19], v[18:19], -v[120:121]
	ds_load_2addr_b64 v[120:123], v242 offset0:52 offset1:53
	s_waitcnt lgkmcnt(0)
	v_mul_f64 v[30:31], v[122:123], v[212:213]
	v_fma_f64 v[30:31], v[120:121], v[28:29], -v[30:31]
	v_mul_f64 v[120:121], v[120:121], v[212:213]
	s_delay_alu instid0(VALU_DEP_2) | instskip(NEXT) | instid1(VALU_DEP_2)
	v_add_f64 v[12:13], v[12:13], -v[30:31]
	v_fma_f64 v[120:121], v[122:123], v[28:29], v[120:121]
	s_delay_alu instid0(VALU_DEP_1) | instskip(SKIP_3) | instid1(VALU_DEP_1)
	v_add_f64 v[14:15], v[14:15], -v[120:121]
	ds_load_2addr_b64 v[120:123], v242 offset0:54 offset1:55
	s_waitcnt lgkmcnt(0)
	v_mul_f64 v[30:31], v[122:123], v[212:213]
	v_fma_f64 v[30:31], v[120:121], v[28:29], -v[30:31]
	v_mul_f64 v[120:121], v[120:121], v[212:213]
	s_delay_alu instid0(VALU_DEP_2) | instskip(NEXT) | instid1(VALU_DEP_2)
	v_add_f64 v[8:9], v[8:9], -v[30:31]
	v_fma_f64 v[120:121], v[122:123], v[28:29], v[120:121]
	s_delay_alu instid0(VALU_DEP_1) | instskip(SKIP_3) | instid1(VALU_DEP_1)
	v_add_f64 v[10:11], v[10:11], -v[120:121]
	ds_load_2addr_b64 v[120:123], v242 offset0:56 offset1:57
	s_waitcnt lgkmcnt(0)
	v_mul_f64 v[30:31], v[122:123], v[212:213]
	v_fma_f64 v[30:31], v[120:121], v[28:29], -v[30:31]
	v_mul_f64 v[120:121], v[120:121], v[212:213]
	s_delay_alu instid0(VALU_DEP_2) | instskip(NEXT) | instid1(VALU_DEP_2)
	v_add_f64 v[4:5], v[4:5], -v[30:31]
	v_fma_f64 v[120:121], v[122:123], v[28:29], v[120:121]
	s_delay_alu instid0(VALU_DEP_1) | instskip(SKIP_3) | instid1(VALU_DEP_1)
	v_add_f64 v[6:7], v[6:7], -v[120:121]
	ds_load_2addr_b64 v[120:123], v242 offset0:58 offset1:59
	s_waitcnt lgkmcnt(0)
	v_mul_f64 v[30:31], v[122:123], v[212:213]
	v_fma_f64 v[30:31], v[120:121], v[28:29], -v[30:31]
	v_mul_f64 v[120:121], v[120:121], v[212:213]
	s_delay_alu instid0(VALU_DEP_2) | instskip(NEXT) | instid1(VALU_DEP_2)
	v_add_f64 v[0:1], v[0:1], -v[30:31]
	v_fma_f64 v[120:121], v[122:123], v[28:29], v[120:121]
	v_dual_mov_b32 v30, v212 :: v_dual_mov_b32 v31, v213
	s_delay_alu instid0(VALU_DEP_2)
	v_add_f64 v[2:3], v[2:3], -v[120:121]
.LBB59_208:
	s_or_b32 exec_lo, exec_lo, s3
	s_delay_alu instid0(SALU_CYCLE_1)
	s_mov_b32 s4, exec_lo
	s_waitcnt lgkmcnt(0)
	s_barrier
	buffer_gl0_inv
	v_cmpx_eq_u32_e32 23, v240
	s_cbranch_execz .LBB59_215
; %bb.209:
	ds_store_2addr_b64 v241, v[24:25], v[26:27] offset1:1
	ds_store_2addr_b64 v242, v[20:21], v[22:23] offset0:48 offset1:49
	ds_store_2addr_b64 v242, v[16:17], v[18:19] offset0:50 offset1:51
	;; [unrolled: 1-line block ×6, first 2 shown]
	ds_load_2addr_b64 v[212:215], v241 offset1:1
	s_waitcnt lgkmcnt(0)
	v_cmp_neq_f64_e32 vcc_lo, 0, v[212:213]
	v_cmp_neq_f64_e64 s3, 0, v[214:215]
	s_delay_alu instid0(VALU_DEP_1) | instskip(NEXT) | instid1(SALU_CYCLE_1)
	s_or_b32 s3, vcc_lo, s3
	s_and_b32 exec_lo, exec_lo, s3
	s_cbranch_execz .LBB59_215
; %bb.210:
	v_cmp_gt_f64_e32 vcc_lo, 0, v[212:213]
	v_xor_b32_e32 v120, 0x80000000, v213
	v_xor_b32_e32 v122, 0x80000000, v215
	s_delay_alu instid0(VALU_DEP_2) | instskip(SKIP_2) | instid1(VALU_DEP_4)
	v_cndmask_b32_e32 v121, v213, v120, vcc_lo
	v_cndmask_b32_e32 v120, v212, v212, vcc_lo
	v_cmp_gt_f64_e32 vcc_lo, 0, v[214:215]
	v_cndmask_b32_e32 v123, v215, v122, vcc_lo
	v_cndmask_b32_e32 v122, v214, v214, vcc_lo
	s_delay_alu instid0(VALU_DEP_1) | instskip(SKIP_1) | instid1(SALU_CYCLE_1)
	v_cmp_ngt_f64_e32 vcc_lo, v[120:121], v[122:123]
                                        ; implicit-def: $vgpr120_vgpr121
	s_and_saveexec_b32 s3, vcc_lo
	s_xor_b32 s3, exec_lo, s3
                                        ; implicit-def: $vgpr216_vgpr217_vgpr218_vgpr219
	s_cbranch_execz .LBB59_212
; %bb.211:
	v_div_scale_f64 v[120:121], null, v[214:215], v[214:215], v[212:213]
	v_div_scale_f64 v[218:219], vcc_lo, v[212:213], v[214:215], v[212:213]
	s_delay_alu instid0(VALU_DEP_2) | instskip(SKIP_2) | instid1(VALU_DEP_1)
	v_rcp_f64_e32 v[122:123], v[120:121]
	s_waitcnt_depctr 0xfff
	v_fma_f64 v[216:217], -v[120:121], v[122:123], 1.0
	v_fma_f64 v[122:123], v[122:123], v[216:217], v[122:123]
	s_delay_alu instid0(VALU_DEP_1) | instskip(NEXT) | instid1(VALU_DEP_1)
	v_fma_f64 v[216:217], -v[120:121], v[122:123], 1.0
	v_fma_f64 v[122:123], v[122:123], v[216:217], v[122:123]
	s_delay_alu instid0(VALU_DEP_1) | instskip(NEXT) | instid1(VALU_DEP_1)
	v_mul_f64 v[216:217], v[218:219], v[122:123]
	v_fma_f64 v[120:121], -v[120:121], v[216:217], v[218:219]
	s_delay_alu instid0(VALU_DEP_1) | instskip(NEXT) | instid1(VALU_DEP_1)
	v_div_fmas_f64 v[120:121], v[120:121], v[122:123], v[216:217]
	v_div_fixup_f64 v[120:121], v[120:121], v[214:215], v[212:213]
	s_delay_alu instid0(VALU_DEP_1) | instskip(NEXT) | instid1(VALU_DEP_1)
	v_fma_f64 v[122:123], v[212:213], v[120:121], v[214:215]
	v_div_scale_f64 v[212:213], null, v[122:123], v[122:123], 1.0
	s_delay_alu instid0(VALU_DEP_1) | instskip(SKIP_2) | instid1(VALU_DEP_1)
	v_rcp_f64_e32 v[214:215], v[212:213]
	s_waitcnt_depctr 0xfff
	v_fma_f64 v[216:217], -v[212:213], v[214:215], 1.0
	v_fma_f64 v[214:215], v[214:215], v[216:217], v[214:215]
	s_delay_alu instid0(VALU_DEP_1) | instskip(NEXT) | instid1(VALU_DEP_1)
	v_fma_f64 v[216:217], -v[212:213], v[214:215], 1.0
	v_fma_f64 v[214:215], v[214:215], v[216:217], v[214:215]
	v_div_scale_f64 v[216:217], vcc_lo, 1.0, v[122:123], 1.0
	s_delay_alu instid0(VALU_DEP_1) | instskip(NEXT) | instid1(VALU_DEP_1)
	v_mul_f64 v[218:219], v[216:217], v[214:215]
	v_fma_f64 v[212:213], -v[212:213], v[218:219], v[216:217]
	s_delay_alu instid0(VALU_DEP_1) | instskip(NEXT) | instid1(VALU_DEP_1)
	v_div_fmas_f64 v[212:213], v[212:213], v[214:215], v[218:219]
	v_div_fixup_f64 v[218:219], v[212:213], v[122:123], 1.0
                                        ; implicit-def: $vgpr212_vgpr213
	s_delay_alu instid0(VALU_DEP_1)
	v_mul_f64 v[120:121], v[120:121], v[218:219]
	v_xor_b32_e32 v219, 0x80000000, v219
.LBB59_212:
	s_and_not1_saveexec_b32 s3, s3
	s_cbranch_execz .LBB59_214
; %bb.213:
	v_div_scale_f64 v[120:121], null, v[212:213], v[212:213], v[214:215]
	v_div_scale_f64 v[218:219], vcc_lo, v[214:215], v[212:213], v[214:215]
	s_delay_alu instid0(VALU_DEP_2) | instskip(SKIP_2) | instid1(VALU_DEP_1)
	v_rcp_f64_e32 v[122:123], v[120:121]
	s_waitcnt_depctr 0xfff
	v_fma_f64 v[216:217], -v[120:121], v[122:123], 1.0
	v_fma_f64 v[122:123], v[122:123], v[216:217], v[122:123]
	s_delay_alu instid0(VALU_DEP_1) | instskip(NEXT) | instid1(VALU_DEP_1)
	v_fma_f64 v[216:217], -v[120:121], v[122:123], 1.0
	v_fma_f64 v[122:123], v[122:123], v[216:217], v[122:123]
	s_delay_alu instid0(VALU_DEP_1) | instskip(NEXT) | instid1(VALU_DEP_1)
	v_mul_f64 v[216:217], v[218:219], v[122:123]
	v_fma_f64 v[120:121], -v[120:121], v[216:217], v[218:219]
	s_delay_alu instid0(VALU_DEP_1) | instskip(NEXT) | instid1(VALU_DEP_1)
	v_div_fmas_f64 v[120:121], v[120:121], v[122:123], v[216:217]
	v_div_fixup_f64 v[122:123], v[120:121], v[212:213], v[214:215]
	s_delay_alu instid0(VALU_DEP_1) | instskip(NEXT) | instid1(VALU_DEP_1)
	v_fma_f64 v[120:121], v[214:215], v[122:123], v[212:213]
	v_div_scale_f64 v[212:213], null, v[120:121], v[120:121], 1.0
	s_delay_alu instid0(VALU_DEP_1) | instskip(SKIP_2) | instid1(VALU_DEP_1)
	v_rcp_f64_e32 v[214:215], v[212:213]
	s_waitcnt_depctr 0xfff
	v_fma_f64 v[216:217], -v[212:213], v[214:215], 1.0
	v_fma_f64 v[214:215], v[214:215], v[216:217], v[214:215]
	s_delay_alu instid0(VALU_DEP_1) | instskip(NEXT) | instid1(VALU_DEP_1)
	v_fma_f64 v[216:217], -v[212:213], v[214:215], 1.0
	v_fma_f64 v[214:215], v[214:215], v[216:217], v[214:215]
	v_div_scale_f64 v[216:217], vcc_lo, 1.0, v[120:121], 1.0
	s_delay_alu instid0(VALU_DEP_1) | instskip(NEXT) | instid1(VALU_DEP_1)
	v_mul_f64 v[218:219], v[216:217], v[214:215]
	v_fma_f64 v[212:213], -v[212:213], v[218:219], v[216:217]
	s_delay_alu instid0(VALU_DEP_1) | instskip(NEXT) | instid1(VALU_DEP_1)
	v_div_fmas_f64 v[212:213], v[212:213], v[214:215], v[218:219]
	v_div_fixup_f64 v[120:121], v[212:213], v[120:121], 1.0
	s_delay_alu instid0(VALU_DEP_1)
	v_mul_f64 v[218:219], v[122:123], -v[120:121]
.LBB59_214:
	s_or_b32 exec_lo, exec_lo, s3
	ds_store_2addr_b64 v241, v[120:121], v[218:219] offset1:1
.LBB59_215:
	s_or_b32 exec_lo, exec_lo, s4
	s_waitcnt lgkmcnt(0)
	s_barrier
	buffer_gl0_inv
	ds_load_2addr_b64 v[212:215], v241 offset1:1
	s_mov_b32 s3, exec_lo
	v_cmpx_lt_u32_e32 23, v240
	s_cbranch_execz .LBB59_217
; %bb.216:
	s_waitcnt lgkmcnt(0)
	v_mul_f64 v[120:121], v[212:213], v[26:27]
	v_mul_f64 v[26:27], v[214:215], v[26:27]
	s_delay_alu instid0(VALU_DEP_2) | instskip(SKIP_4) | instid1(VALU_DEP_1)
	v_fma_f64 v[216:217], v[214:215], v[24:25], v[120:121]
	ds_load_2addr_b64 v[120:123], v242 offset0:48 offset1:49
	v_fma_f64 v[24:25], v[212:213], v[24:25], -v[26:27]
	s_waitcnt lgkmcnt(0)
	v_mul_f64 v[26:27], v[122:123], v[216:217]
	v_fma_f64 v[26:27], v[120:121], v[24:25], -v[26:27]
	v_mul_f64 v[120:121], v[120:121], v[216:217]
	s_delay_alu instid0(VALU_DEP_2) | instskip(NEXT) | instid1(VALU_DEP_2)
	v_add_f64 v[20:21], v[20:21], -v[26:27]
	v_fma_f64 v[120:121], v[122:123], v[24:25], v[120:121]
	s_delay_alu instid0(VALU_DEP_1) | instskip(SKIP_3) | instid1(VALU_DEP_1)
	v_add_f64 v[22:23], v[22:23], -v[120:121]
	ds_load_2addr_b64 v[120:123], v242 offset0:50 offset1:51
	s_waitcnt lgkmcnt(0)
	v_mul_f64 v[26:27], v[122:123], v[216:217]
	v_fma_f64 v[26:27], v[120:121], v[24:25], -v[26:27]
	v_mul_f64 v[120:121], v[120:121], v[216:217]
	s_delay_alu instid0(VALU_DEP_2) | instskip(NEXT) | instid1(VALU_DEP_2)
	v_add_f64 v[16:17], v[16:17], -v[26:27]
	v_fma_f64 v[120:121], v[122:123], v[24:25], v[120:121]
	s_delay_alu instid0(VALU_DEP_1) | instskip(SKIP_3) | instid1(VALU_DEP_1)
	v_add_f64 v[18:19], v[18:19], -v[120:121]
	ds_load_2addr_b64 v[120:123], v242 offset0:52 offset1:53
	;; [unrolled: 10-line block ×5, first 2 shown]
	s_waitcnt lgkmcnt(0)
	v_mul_f64 v[26:27], v[122:123], v[216:217]
	v_fma_f64 v[26:27], v[120:121], v[24:25], -v[26:27]
	v_mul_f64 v[120:121], v[120:121], v[216:217]
	s_delay_alu instid0(VALU_DEP_2) | instskip(NEXT) | instid1(VALU_DEP_2)
	v_add_f64 v[0:1], v[0:1], -v[26:27]
	v_fma_f64 v[120:121], v[122:123], v[24:25], v[120:121]
	v_dual_mov_b32 v26, v216 :: v_dual_mov_b32 v27, v217
	s_delay_alu instid0(VALU_DEP_2)
	v_add_f64 v[2:3], v[2:3], -v[120:121]
.LBB59_217:
	s_or_b32 exec_lo, exec_lo, s3
	s_delay_alu instid0(SALU_CYCLE_1)
	s_mov_b32 s4, exec_lo
	s_waitcnt lgkmcnt(0)
	s_barrier
	buffer_gl0_inv
	v_cmpx_eq_u32_e32 24, v240
	s_cbranch_execz .LBB59_224
; %bb.218:
	ds_store_2addr_b64 v241, v[20:21], v[22:23] offset1:1
	ds_store_2addr_b64 v242, v[16:17], v[18:19] offset0:50 offset1:51
	ds_store_2addr_b64 v242, v[12:13], v[14:15] offset0:52 offset1:53
	;; [unrolled: 1-line block ×5, first 2 shown]
	ds_load_2addr_b64 v[216:219], v241 offset1:1
	s_waitcnt lgkmcnt(0)
	v_cmp_neq_f64_e32 vcc_lo, 0, v[216:217]
	v_cmp_neq_f64_e64 s3, 0, v[218:219]
	s_delay_alu instid0(VALU_DEP_1) | instskip(NEXT) | instid1(SALU_CYCLE_1)
	s_or_b32 s3, vcc_lo, s3
	s_and_b32 exec_lo, exec_lo, s3
	s_cbranch_execz .LBB59_224
; %bb.219:
	v_cmp_gt_f64_e32 vcc_lo, 0, v[216:217]
	v_xor_b32_e32 v120, 0x80000000, v217
	v_xor_b32_e32 v122, 0x80000000, v219
	s_delay_alu instid0(VALU_DEP_2) | instskip(SKIP_2) | instid1(VALU_DEP_4)
	v_cndmask_b32_e32 v121, v217, v120, vcc_lo
	v_cndmask_b32_e32 v120, v216, v216, vcc_lo
	v_cmp_gt_f64_e32 vcc_lo, 0, v[218:219]
	v_cndmask_b32_e32 v123, v219, v122, vcc_lo
	v_cndmask_b32_e32 v122, v218, v218, vcc_lo
	s_delay_alu instid0(VALU_DEP_1) | instskip(SKIP_1) | instid1(SALU_CYCLE_1)
	v_cmp_ngt_f64_e32 vcc_lo, v[120:121], v[122:123]
                                        ; implicit-def: $vgpr120_vgpr121
	s_and_saveexec_b32 s3, vcc_lo
	s_xor_b32 s3, exec_lo, s3
                                        ; implicit-def: $vgpr220_vgpr221_vgpr222_vgpr223
	s_cbranch_execz .LBB59_221
; %bb.220:
	v_div_scale_f64 v[120:121], null, v[218:219], v[218:219], v[216:217]
	v_div_scale_f64 v[222:223], vcc_lo, v[216:217], v[218:219], v[216:217]
	s_delay_alu instid0(VALU_DEP_2) | instskip(SKIP_2) | instid1(VALU_DEP_1)
	v_rcp_f64_e32 v[122:123], v[120:121]
	s_waitcnt_depctr 0xfff
	v_fma_f64 v[220:221], -v[120:121], v[122:123], 1.0
	v_fma_f64 v[122:123], v[122:123], v[220:221], v[122:123]
	s_delay_alu instid0(VALU_DEP_1) | instskip(NEXT) | instid1(VALU_DEP_1)
	v_fma_f64 v[220:221], -v[120:121], v[122:123], 1.0
	v_fma_f64 v[122:123], v[122:123], v[220:221], v[122:123]
	s_delay_alu instid0(VALU_DEP_1) | instskip(NEXT) | instid1(VALU_DEP_1)
	v_mul_f64 v[220:221], v[222:223], v[122:123]
	v_fma_f64 v[120:121], -v[120:121], v[220:221], v[222:223]
	s_delay_alu instid0(VALU_DEP_1) | instskip(NEXT) | instid1(VALU_DEP_1)
	v_div_fmas_f64 v[120:121], v[120:121], v[122:123], v[220:221]
	v_div_fixup_f64 v[120:121], v[120:121], v[218:219], v[216:217]
	s_delay_alu instid0(VALU_DEP_1) | instskip(NEXT) | instid1(VALU_DEP_1)
	v_fma_f64 v[122:123], v[216:217], v[120:121], v[218:219]
	v_div_scale_f64 v[216:217], null, v[122:123], v[122:123], 1.0
	s_delay_alu instid0(VALU_DEP_1) | instskip(SKIP_2) | instid1(VALU_DEP_1)
	v_rcp_f64_e32 v[218:219], v[216:217]
	s_waitcnt_depctr 0xfff
	v_fma_f64 v[220:221], -v[216:217], v[218:219], 1.0
	v_fma_f64 v[218:219], v[218:219], v[220:221], v[218:219]
	s_delay_alu instid0(VALU_DEP_1) | instskip(NEXT) | instid1(VALU_DEP_1)
	v_fma_f64 v[220:221], -v[216:217], v[218:219], 1.0
	v_fma_f64 v[218:219], v[218:219], v[220:221], v[218:219]
	v_div_scale_f64 v[220:221], vcc_lo, 1.0, v[122:123], 1.0
	s_delay_alu instid0(VALU_DEP_1) | instskip(NEXT) | instid1(VALU_DEP_1)
	v_mul_f64 v[222:223], v[220:221], v[218:219]
	v_fma_f64 v[216:217], -v[216:217], v[222:223], v[220:221]
	s_delay_alu instid0(VALU_DEP_1) | instskip(NEXT) | instid1(VALU_DEP_1)
	v_div_fmas_f64 v[216:217], v[216:217], v[218:219], v[222:223]
	v_div_fixup_f64 v[222:223], v[216:217], v[122:123], 1.0
                                        ; implicit-def: $vgpr216_vgpr217
	s_delay_alu instid0(VALU_DEP_1)
	v_mul_f64 v[120:121], v[120:121], v[222:223]
	v_xor_b32_e32 v223, 0x80000000, v223
.LBB59_221:
	s_and_not1_saveexec_b32 s3, s3
	s_cbranch_execz .LBB59_223
; %bb.222:
	v_div_scale_f64 v[120:121], null, v[216:217], v[216:217], v[218:219]
	v_div_scale_f64 v[222:223], vcc_lo, v[218:219], v[216:217], v[218:219]
	s_delay_alu instid0(VALU_DEP_2) | instskip(SKIP_2) | instid1(VALU_DEP_1)
	v_rcp_f64_e32 v[122:123], v[120:121]
	s_waitcnt_depctr 0xfff
	v_fma_f64 v[220:221], -v[120:121], v[122:123], 1.0
	v_fma_f64 v[122:123], v[122:123], v[220:221], v[122:123]
	s_delay_alu instid0(VALU_DEP_1) | instskip(NEXT) | instid1(VALU_DEP_1)
	v_fma_f64 v[220:221], -v[120:121], v[122:123], 1.0
	v_fma_f64 v[122:123], v[122:123], v[220:221], v[122:123]
	s_delay_alu instid0(VALU_DEP_1) | instskip(NEXT) | instid1(VALU_DEP_1)
	v_mul_f64 v[220:221], v[222:223], v[122:123]
	v_fma_f64 v[120:121], -v[120:121], v[220:221], v[222:223]
	s_delay_alu instid0(VALU_DEP_1) | instskip(NEXT) | instid1(VALU_DEP_1)
	v_div_fmas_f64 v[120:121], v[120:121], v[122:123], v[220:221]
	v_div_fixup_f64 v[122:123], v[120:121], v[216:217], v[218:219]
	s_delay_alu instid0(VALU_DEP_1) | instskip(NEXT) | instid1(VALU_DEP_1)
	v_fma_f64 v[120:121], v[218:219], v[122:123], v[216:217]
	v_div_scale_f64 v[216:217], null, v[120:121], v[120:121], 1.0
	s_delay_alu instid0(VALU_DEP_1) | instskip(SKIP_2) | instid1(VALU_DEP_1)
	v_rcp_f64_e32 v[218:219], v[216:217]
	s_waitcnt_depctr 0xfff
	v_fma_f64 v[220:221], -v[216:217], v[218:219], 1.0
	v_fma_f64 v[218:219], v[218:219], v[220:221], v[218:219]
	s_delay_alu instid0(VALU_DEP_1) | instskip(NEXT) | instid1(VALU_DEP_1)
	v_fma_f64 v[220:221], -v[216:217], v[218:219], 1.0
	v_fma_f64 v[218:219], v[218:219], v[220:221], v[218:219]
	v_div_scale_f64 v[220:221], vcc_lo, 1.0, v[120:121], 1.0
	s_delay_alu instid0(VALU_DEP_1) | instskip(NEXT) | instid1(VALU_DEP_1)
	v_mul_f64 v[222:223], v[220:221], v[218:219]
	v_fma_f64 v[216:217], -v[216:217], v[222:223], v[220:221]
	s_delay_alu instid0(VALU_DEP_1) | instskip(NEXT) | instid1(VALU_DEP_1)
	v_div_fmas_f64 v[216:217], v[216:217], v[218:219], v[222:223]
	v_div_fixup_f64 v[120:121], v[216:217], v[120:121], 1.0
	s_delay_alu instid0(VALU_DEP_1)
	v_mul_f64 v[222:223], v[122:123], -v[120:121]
.LBB59_223:
	s_or_b32 exec_lo, exec_lo, s3
	ds_store_2addr_b64 v241, v[120:121], v[222:223] offset1:1
.LBB59_224:
	s_or_b32 exec_lo, exec_lo, s4
	s_waitcnt lgkmcnt(0)
	s_barrier
	buffer_gl0_inv
	ds_load_2addr_b64 v[216:219], v241 offset1:1
	s_mov_b32 s3, exec_lo
	v_cmpx_lt_u32_e32 24, v240
	s_cbranch_execz .LBB59_226
; %bb.225:
	s_waitcnt lgkmcnt(0)
	v_mul_f64 v[120:121], v[216:217], v[22:23]
	v_mul_f64 v[22:23], v[218:219], v[22:23]
	s_delay_alu instid0(VALU_DEP_2) | instskip(SKIP_4) | instid1(VALU_DEP_1)
	v_fma_f64 v[220:221], v[218:219], v[20:21], v[120:121]
	ds_load_2addr_b64 v[120:123], v242 offset0:50 offset1:51
	v_fma_f64 v[20:21], v[216:217], v[20:21], -v[22:23]
	s_waitcnt lgkmcnt(0)
	v_mul_f64 v[22:23], v[122:123], v[220:221]
	v_fma_f64 v[22:23], v[120:121], v[20:21], -v[22:23]
	v_mul_f64 v[120:121], v[120:121], v[220:221]
	s_delay_alu instid0(VALU_DEP_2) | instskip(NEXT) | instid1(VALU_DEP_2)
	v_add_f64 v[16:17], v[16:17], -v[22:23]
	v_fma_f64 v[120:121], v[122:123], v[20:21], v[120:121]
	s_delay_alu instid0(VALU_DEP_1) | instskip(SKIP_3) | instid1(VALU_DEP_1)
	v_add_f64 v[18:19], v[18:19], -v[120:121]
	ds_load_2addr_b64 v[120:123], v242 offset0:52 offset1:53
	s_waitcnt lgkmcnt(0)
	v_mul_f64 v[22:23], v[122:123], v[220:221]
	v_fma_f64 v[22:23], v[120:121], v[20:21], -v[22:23]
	v_mul_f64 v[120:121], v[120:121], v[220:221]
	s_delay_alu instid0(VALU_DEP_2) | instskip(NEXT) | instid1(VALU_DEP_2)
	v_add_f64 v[12:13], v[12:13], -v[22:23]
	v_fma_f64 v[120:121], v[122:123], v[20:21], v[120:121]
	s_delay_alu instid0(VALU_DEP_1) | instskip(SKIP_3) | instid1(VALU_DEP_1)
	v_add_f64 v[14:15], v[14:15], -v[120:121]
	ds_load_2addr_b64 v[120:123], v242 offset0:54 offset1:55
	;; [unrolled: 10-line block ×4, first 2 shown]
	s_waitcnt lgkmcnt(0)
	v_mul_f64 v[22:23], v[122:123], v[220:221]
	v_fma_f64 v[22:23], v[120:121], v[20:21], -v[22:23]
	v_mul_f64 v[120:121], v[120:121], v[220:221]
	s_delay_alu instid0(VALU_DEP_2) | instskip(NEXT) | instid1(VALU_DEP_2)
	v_add_f64 v[0:1], v[0:1], -v[22:23]
	v_fma_f64 v[120:121], v[122:123], v[20:21], v[120:121]
	v_dual_mov_b32 v22, v220 :: v_dual_mov_b32 v23, v221
	s_delay_alu instid0(VALU_DEP_2)
	v_add_f64 v[2:3], v[2:3], -v[120:121]
.LBB59_226:
	s_or_b32 exec_lo, exec_lo, s3
	s_delay_alu instid0(SALU_CYCLE_1)
	s_mov_b32 s4, exec_lo
	s_waitcnt lgkmcnt(0)
	s_barrier
	buffer_gl0_inv
	v_cmpx_eq_u32_e32 25, v240
	s_cbranch_execz .LBB59_233
; %bb.227:
	ds_store_2addr_b64 v241, v[16:17], v[18:19] offset1:1
	ds_store_2addr_b64 v242, v[12:13], v[14:15] offset0:52 offset1:53
	ds_store_2addr_b64 v242, v[8:9], v[10:11] offset0:54 offset1:55
	;; [unrolled: 1-line block ×4, first 2 shown]
	ds_load_2addr_b64 v[220:223], v241 offset1:1
	s_waitcnt lgkmcnt(0)
	v_cmp_neq_f64_e32 vcc_lo, 0, v[220:221]
	v_cmp_neq_f64_e64 s3, 0, v[222:223]
	s_delay_alu instid0(VALU_DEP_1) | instskip(NEXT) | instid1(SALU_CYCLE_1)
	s_or_b32 s3, vcc_lo, s3
	s_and_b32 exec_lo, exec_lo, s3
	s_cbranch_execz .LBB59_233
; %bb.228:
	v_cmp_gt_f64_e32 vcc_lo, 0, v[220:221]
	v_xor_b32_e32 v120, 0x80000000, v221
	v_xor_b32_e32 v122, 0x80000000, v223
	s_delay_alu instid0(VALU_DEP_2) | instskip(SKIP_2) | instid1(VALU_DEP_4)
	v_cndmask_b32_e32 v121, v221, v120, vcc_lo
	v_cndmask_b32_e32 v120, v220, v220, vcc_lo
	v_cmp_gt_f64_e32 vcc_lo, 0, v[222:223]
	v_cndmask_b32_e32 v123, v223, v122, vcc_lo
	v_cndmask_b32_e32 v122, v222, v222, vcc_lo
	s_delay_alu instid0(VALU_DEP_1) | instskip(SKIP_1) | instid1(SALU_CYCLE_1)
	v_cmp_ngt_f64_e32 vcc_lo, v[120:121], v[122:123]
                                        ; implicit-def: $vgpr120_vgpr121
	s_and_saveexec_b32 s3, vcc_lo
	s_xor_b32 s3, exec_lo, s3
                                        ; implicit-def: $vgpr224_vgpr225_vgpr226_vgpr227
	s_cbranch_execz .LBB59_230
; %bb.229:
	v_div_scale_f64 v[120:121], null, v[222:223], v[222:223], v[220:221]
	v_div_scale_f64 v[226:227], vcc_lo, v[220:221], v[222:223], v[220:221]
	s_delay_alu instid0(VALU_DEP_2) | instskip(SKIP_2) | instid1(VALU_DEP_1)
	v_rcp_f64_e32 v[122:123], v[120:121]
	s_waitcnt_depctr 0xfff
	v_fma_f64 v[224:225], -v[120:121], v[122:123], 1.0
	v_fma_f64 v[122:123], v[122:123], v[224:225], v[122:123]
	s_delay_alu instid0(VALU_DEP_1) | instskip(NEXT) | instid1(VALU_DEP_1)
	v_fma_f64 v[224:225], -v[120:121], v[122:123], 1.0
	v_fma_f64 v[122:123], v[122:123], v[224:225], v[122:123]
	s_delay_alu instid0(VALU_DEP_1) | instskip(NEXT) | instid1(VALU_DEP_1)
	v_mul_f64 v[224:225], v[226:227], v[122:123]
	v_fma_f64 v[120:121], -v[120:121], v[224:225], v[226:227]
	s_delay_alu instid0(VALU_DEP_1) | instskip(NEXT) | instid1(VALU_DEP_1)
	v_div_fmas_f64 v[120:121], v[120:121], v[122:123], v[224:225]
	v_div_fixup_f64 v[120:121], v[120:121], v[222:223], v[220:221]
	s_delay_alu instid0(VALU_DEP_1) | instskip(NEXT) | instid1(VALU_DEP_1)
	v_fma_f64 v[122:123], v[220:221], v[120:121], v[222:223]
	v_div_scale_f64 v[220:221], null, v[122:123], v[122:123], 1.0
	s_delay_alu instid0(VALU_DEP_1) | instskip(SKIP_2) | instid1(VALU_DEP_1)
	v_rcp_f64_e32 v[222:223], v[220:221]
	s_waitcnt_depctr 0xfff
	v_fma_f64 v[224:225], -v[220:221], v[222:223], 1.0
	v_fma_f64 v[222:223], v[222:223], v[224:225], v[222:223]
	s_delay_alu instid0(VALU_DEP_1) | instskip(NEXT) | instid1(VALU_DEP_1)
	v_fma_f64 v[224:225], -v[220:221], v[222:223], 1.0
	v_fma_f64 v[222:223], v[222:223], v[224:225], v[222:223]
	v_div_scale_f64 v[224:225], vcc_lo, 1.0, v[122:123], 1.0
	s_delay_alu instid0(VALU_DEP_1) | instskip(NEXT) | instid1(VALU_DEP_1)
	v_mul_f64 v[226:227], v[224:225], v[222:223]
	v_fma_f64 v[220:221], -v[220:221], v[226:227], v[224:225]
	s_delay_alu instid0(VALU_DEP_1) | instskip(NEXT) | instid1(VALU_DEP_1)
	v_div_fmas_f64 v[220:221], v[220:221], v[222:223], v[226:227]
	v_div_fixup_f64 v[226:227], v[220:221], v[122:123], 1.0
                                        ; implicit-def: $vgpr220_vgpr221
	s_delay_alu instid0(VALU_DEP_1)
	v_mul_f64 v[120:121], v[120:121], v[226:227]
	v_xor_b32_e32 v227, 0x80000000, v227
.LBB59_230:
	s_and_not1_saveexec_b32 s3, s3
	s_cbranch_execz .LBB59_232
; %bb.231:
	v_div_scale_f64 v[120:121], null, v[220:221], v[220:221], v[222:223]
	v_div_scale_f64 v[226:227], vcc_lo, v[222:223], v[220:221], v[222:223]
	s_delay_alu instid0(VALU_DEP_2) | instskip(SKIP_2) | instid1(VALU_DEP_1)
	v_rcp_f64_e32 v[122:123], v[120:121]
	s_waitcnt_depctr 0xfff
	v_fma_f64 v[224:225], -v[120:121], v[122:123], 1.0
	v_fma_f64 v[122:123], v[122:123], v[224:225], v[122:123]
	s_delay_alu instid0(VALU_DEP_1) | instskip(NEXT) | instid1(VALU_DEP_1)
	v_fma_f64 v[224:225], -v[120:121], v[122:123], 1.0
	v_fma_f64 v[122:123], v[122:123], v[224:225], v[122:123]
	s_delay_alu instid0(VALU_DEP_1) | instskip(NEXT) | instid1(VALU_DEP_1)
	v_mul_f64 v[224:225], v[226:227], v[122:123]
	v_fma_f64 v[120:121], -v[120:121], v[224:225], v[226:227]
	s_delay_alu instid0(VALU_DEP_1) | instskip(NEXT) | instid1(VALU_DEP_1)
	v_div_fmas_f64 v[120:121], v[120:121], v[122:123], v[224:225]
	v_div_fixup_f64 v[122:123], v[120:121], v[220:221], v[222:223]
	s_delay_alu instid0(VALU_DEP_1) | instskip(NEXT) | instid1(VALU_DEP_1)
	v_fma_f64 v[120:121], v[222:223], v[122:123], v[220:221]
	v_div_scale_f64 v[220:221], null, v[120:121], v[120:121], 1.0
	s_delay_alu instid0(VALU_DEP_1) | instskip(SKIP_2) | instid1(VALU_DEP_1)
	v_rcp_f64_e32 v[222:223], v[220:221]
	s_waitcnt_depctr 0xfff
	v_fma_f64 v[224:225], -v[220:221], v[222:223], 1.0
	v_fma_f64 v[222:223], v[222:223], v[224:225], v[222:223]
	s_delay_alu instid0(VALU_DEP_1) | instskip(NEXT) | instid1(VALU_DEP_1)
	v_fma_f64 v[224:225], -v[220:221], v[222:223], 1.0
	v_fma_f64 v[222:223], v[222:223], v[224:225], v[222:223]
	v_div_scale_f64 v[224:225], vcc_lo, 1.0, v[120:121], 1.0
	s_delay_alu instid0(VALU_DEP_1) | instskip(NEXT) | instid1(VALU_DEP_1)
	v_mul_f64 v[226:227], v[224:225], v[222:223]
	v_fma_f64 v[220:221], -v[220:221], v[226:227], v[224:225]
	s_delay_alu instid0(VALU_DEP_1) | instskip(NEXT) | instid1(VALU_DEP_1)
	v_div_fmas_f64 v[220:221], v[220:221], v[222:223], v[226:227]
	v_div_fixup_f64 v[120:121], v[220:221], v[120:121], 1.0
	s_delay_alu instid0(VALU_DEP_1)
	v_mul_f64 v[226:227], v[122:123], -v[120:121]
.LBB59_232:
	s_or_b32 exec_lo, exec_lo, s3
	ds_store_2addr_b64 v241, v[120:121], v[226:227] offset1:1
.LBB59_233:
	s_or_b32 exec_lo, exec_lo, s4
	s_waitcnt lgkmcnt(0)
	s_barrier
	buffer_gl0_inv
	ds_load_2addr_b64 v[220:223], v241 offset1:1
	s_mov_b32 s3, exec_lo
	v_cmpx_lt_u32_e32 25, v240
	s_cbranch_execz .LBB59_235
; %bb.234:
	s_waitcnt lgkmcnt(0)
	v_mul_f64 v[120:121], v[220:221], v[18:19]
	v_mul_f64 v[18:19], v[222:223], v[18:19]
	s_delay_alu instid0(VALU_DEP_2) | instskip(SKIP_4) | instid1(VALU_DEP_1)
	v_fma_f64 v[224:225], v[222:223], v[16:17], v[120:121]
	ds_load_2addr_b64 v[120:123], v242 offset0:52 offset1:53
	v_fma_f64 v[16:17], v[220:221], v[16:17], -v[18:19]
	s_waitcnt lgkmcnt(0)
	v_mul_f64 v[18:19], v[122:123], v[224:225]
	v_fma_f64 v[18:19], v[120:121], v[16:17], -v[18:19]
	v_mul_f64 v[120:121], v[120:121], v[224:225]
	s_delay_alu instid0(VALU_DEP_2) | instskip(NEXT) | instid1(VALU_DEP_2)
	v_add_f64 v[12:13], v[12:13], -v[18:19]
	v_fma_f64 v[120:121], v[122:123], v[16:17], v[120:121]
	s_delay_alu instid0(VALU_DEP_1) | instskip(SKIP_3) | instid1(VALU_DEP_1)
	v_add_f64 v[14:15], v[14:15], -v[120:121]
	ds_load_2addr_b64 v[120:123], v242 offset0:54 offset1:55
	s_waitcnt lgkmcnt(0)
	v_mul_f64 v[18:19], v[122:123], v[224:225]
	v_fma_f64 v[18:19], v[120:121], v[16:17], -v[18:19]
	v_mul_f64 v[120:121], v[120:121], v[224:225]
	s_delay_alu instid0(VALU_DEP_2) | instskip(NEXT) | instid1(VALU_DEP_2)
	v_add_f64 v[8:9], v[8:9], -v[18:19]
	v_fma_f64 v[120:121], v[122:123], v[16:17], v[120:121]
	s_delay_alu instid0(VALU_DEP_1) | instskip(SKIP_3) | instid1(VALU_DEP_1)
	v_add_f64 v[10:11], v[10:11], -v[120:121]
	ds_load_2addr_b64 v[120:123], v242 offset0:56 offset1:57
	;; [unrolled: 10-line block ×3, first 2 shown]
	s_waitcnt lgkmcnt(0)
	v_mul_f64 v[18:19], v[122:123], v[224:225]
	v_fma_f64 v[18:19], v[120:121], v[16:17], -v[18:19]
	v_mul_f64 v[120:121], v[120:121], v[224:225]
	s_delay_alu instid0(VALU_DEP_2) | instskip(NEXT) | instid1(VALU_DEP_2)
	v_add_f64 v[0:1], v[0:1], -v[18:19]
	v_fma_f64 v[120:121], v[122:123], v[16:17], v[120:121]
	v_dual_mov_b32 v18, v224 :: v_dual_mov_b32 v19, v225
	s_delay_alu instid0(VALU_DEP_2)
	v_add_f64 v[2:3], v[2:3], -v[120:121]
.LBB59_235:
	s_or_b32 exec_lo, exec_lo, s3
	s_delay_alu instid0(SALU_CYCLE_1)
	s_mov_b32 s4, exec_lo
	s_waitcnt lgkmcnt(0)
	s_barrier
	buffer_gl0_inv
	v_cmpx_eq_u32_e32 26, v240
	s_cbranch_execz .LBB59_242
; %bb.236:
	ds_store_2addr_b64 v241, v[12:13], v[14:15] offset1:1
	ds_store_2addr_b64 v242, v[8:9], v[10:11] offset0:54 offset1:55
	ds_store_2addr_b64 v242, v[4:5], v[6:7] offset0:56 offset1:57
	;; [unrolled: 1-line block ×3, first 2 shown]
	ds_load_2addr_b64 v[224:227], v241 offset1:1
	s_waitcnt lgkmcnt(0)
	v_cmp_neq_f64_e32 vcc_lo, 0, v[224:225]
	v_cmp_neq_f64_e64 s3, 0, v[226:227]
	s_delay_alu instid0(VALU_DEP_1) | instskip(NEXT) | instid1(SALU_CYCLE_1)
	s_or_b32 s3, vcc_lo, s3
	s_and_b32 exec_lo, exec_lo, s3
	s_cbranch_execz .LBB59_242
; %bb.237:
	v_cmp_gt_f64_e32 vcc_lo, 0, v[224:225]
	v_xor_b32_e32 v120, 0x80000000, v225
	v_xor_b32_e32 v122, 0x80000000, v227
	s_delay_alu instid0(VALU_DEP_2) | instskip(SKIP_2) | instid1(VALU_DEP_4)
	v_cndmask_b32_e32 v121, v225, v120, vcc_lo
	v_cndmask_b32_e32 v120, v224, v224, vcc_lo
	v_cmp_gt_f64_e32 vcc_lo, 0, v[226:227]
	v_cndmask_b32_e32 v123, v227, v122, vcc_lo
	v_cndmask_b32_e32 v122, v226, v226, vcc_lo
	s_delay_alu instid0(VALU_DEP_1) | instskip(SKIP_1) | instid1(SALU_CYCLE_1)
	v_cmp_ngt_f64_e32 vcc_lo, v[120:121], v[122:123]
                                        ; implicit-def: $vgpr120_vgpr121
	s_and_saveexec_b32 s3, vcc_lo
	s_xor_b32 s3, exec_lo, s3
                                        ; implicit-def: $vgpr228_vgpr229_vgpr230_vgpr231
	s_cbranch_execz .LBB59_239
; %bb.238:
	v_div_scale_f64 v[120:121], null, v[226:227], v[226:227], v[224:225]
	v_div_scale_f64 v[230:231], vcc_lo, v[224:225], v[226:227], v[224:225]
	s_delay_alu instid0(VALU_DEP_2) | instskip(SKIP_2) | instid1(VALU_DEP_1)
	v_rcp_f64_e32 v[122:123], v[120:121]
	s_waitcnt_depctr 0xfff
	v_fma_f64 v[228:229], -v[120:121], v[122:123], 1.0
	v_fma_f64 v[122:123], v[122:123], v[228:229], v[122:123]
	s_delay_alu instid0(VALU_DEP_1) | instskip(NEXT) | instid1(VALU_DEP_1)
	v_fma_f64 v[228:229], -v[120:121], v[122:123], 1.0
	v_fma_f64 v[122:123], v[122:123], v[228:229], v[122:123]
	s_delay_alu instid0(VALU_DEP_1) | instskip(NEXT) | instid1(VALU_DEP_1)
	v_mul_f64 v[228:229], v[230:231], v[122:123]
	v_fma_f64 v[120:121], -v[120:121], v[228:229], v[230:231]
	s_delay_alu instid0(VALU_DEP_1) | instskip(NEXT) | instid1(VALU_DEP_1)
	v_div_fmas_f64 v[120:121], v[120:121], v[122:123], v[228:229]
	v_div_fixup_f64 v[120:121], v[120:121], v[226:227], v[224:225]
	s_delay_alu instid0(VALU_DEP_1) | instskip(NEXT) | instid1(VALU_DEP_1)
	v_fma_f64 v[122:123], v[224:225], v[120:121], v[226:227]
	v_div_scale_f64 v[224:225], null, v[122:123], v[122:123], 1.0
	s_delay_alu instid0(VALU_DEP_1) | instskip(SKIP_2) | instid1(VALU_DEP_1)
	v_rcp_f64_e32 v[226:227], v[224:225]
	s_waitcnt_depctr 0xfff
	v_fma_f64 v[228:229], -v[224:225], v[226:227], 1.0
	v_fma_f64 v[226:227], v[226:227], v[228:229], v[226:227]
	s_delay_alu instid0(VALU_DEP_1) | instskip(NEXT) | instid1(VALU_DEP_1)
	v_fma_f64 v[228:229], -v[224:225], v[226:227], 1.0
	v_fma_f64 v[226:227], v[226:227], v[228:229], v[226:227]
	v_div_scale_f64 v[228:229], vcc_lo, 1.0, v[122:123], 1.0
	s_delay_alu instid0(VALU_DEP_1) | instskip(NEXT) | instid1(VALU_DEP_1)
	v_mul_f64 v[230:231], v[228:229], v[226:227]
	v_fma_f64 v[224:225], -v[224:225], v[230:231], v[228:229]
	s_delay_alu instid0(VALU_DEP_1) | instskip(NEXT) | instid1(VALU_DEP_1)
	v_div_fmas_f64 v[224:225], v[224:225], v[226:227], v[230:231]
	v_div_fixup_f64 v[230:231], v[224:225], v[122:123], 1.0
                                        ; implicit-def: $vgpr224_vgpr225
	s_delay_alu instid0(VALU_DEP_1)
	v_mul_f64 v[120:121], v[120:121], v[230:231]
	v_xor_b32_e32 v231, 0x80000000, v231
.LBB59_239:
	s_and_not1_saveexec_b32 s3, s3
	s_cbranch_execz .LBB59_241
; %bb.240:
	v_div_scale_f64 v[120:121], null, v[224:225], v[224:225], v[226:227]
	v_div_scale_f64 v[230:231], vcc_lo, v[226:227], v[224:225], v[226:227]
	s_delay_alu instid0(VALU_DEP_2) | instskip(SKIP_2) | instid1(VALU_DEP_1)
	v_rcp_f64_e32 v[122:123], v[120:121]
	s_waitcnt_depctr 0xfff
	v_fma_f64 v[228:229], -v[120:121], v[122:123], 1.0
	v_fma_f64 v[122:123], v[122:123], v[228:229], v[122:123]
	s_delay_alu instid0(VALU_DEP_1) | instskip(NEXT) | instid1(VALU_DEP_1)
	v_fma_f64 v[228:229], -v[120:121], v[122:123], 1.0
	v_fma_f64 v[122:123], v[122:123], v[228:229], v[122:123]
	s_delay_alu instid0(VALU_DEP_1) | instskip(NEXT) | instid1(VALU_DEP_1)
	v_mul_f64 v[228:229], v[230:231], v[122:123]
	v_fma_f64 v[120:121], -v[120:121], v[228:229], v[230:231]
	s_delay_alu instid0(VALU_DEP_1) | instskip(NEXT) | instid1(VALU_DEP_1)
	v_div_fmas_f64 v[120:121], v[120:121], v[122:123], v[228:229]
	v_div_fixup_f64 v[122:123], v[120:121], v[224:225], v[226:227]
	s_delay_alu instid0(VALU_DEP_1) | instskip(NEXT) | instid1(VALU_DEP_1)
	v_fma_f64 v[120:121], v[226:227], v[122:123], v[224:225]
	v_div_scale_f64 v[224:225], null, v[120:121], v[120:121], 1.0
	s_delay_alu instid0(VALU_DEP_1) | instskip(SKIP_2) | instid1(VALU_DEP_1)
	v_rcp_f64_e32 v[226:227], v[224:225]
	s_waitcnt_depctr 0xfff
	v_fma_f64 v[228:229], -v[224:225], v[226:227], 1.0
	v_fma_f64 v[226:227], v[226:227], v[228:229], v[226:227]
	s_delay_alu instid0(VALU_DEP_1) | instskip(NEXT) | instid1(VALU_DEP_1)
	v_fma_f64 v[228:229], -v[224:225], v[226:227], 1.0
	v_fma_f64 v[226:227], v[226:227], v[228:229], v[226:227]
	v_div_scale_f64 v[228:229], vcc_lo, 1.0, v[120:121], 1.0
	s_delay_alu instid0(VALU_DEP_1) | instskip(NEXT) | instid1(VALU_DEP_1)
	v_mul_f64 v[230:231], v[228:229], v[226:227]
	v_fma_f64 v[224:225], -v[224:225], v[230:231], v[228:229]
	s_delay_alu instid0(VALU_DEP_1) | instskip(NEXT) | instid1(VALU_DEP_1)
	v_div_fmas_f64 v[224:225], v[224:225], v[226:227], v[230:231]
	v_div_fixup_f64 v[120:121], v[224:225], v[120:121], 1.0
	s_delay_alu instid0(VALU_DEP_1)
	v_mul_f64 v[230:231], v[122:123], -v[120:121]
.LBB59_241:
	s_or_b32 exec_lo, exec_lo, s3
	ds_store_2addr_b64 v241, v[120:121], v[230:231] offset1:1
.LBB59_242:
	s_or_b32 exec_lo, exec_lo, s4
	s_waitcnt lgkmcnt(0)
	s_barrier
	buffer_gl0_inv
	ds_load_2addr_b64 v[224:227], v241 offset1:1
	s_mov_b32 s3, exec_lo
	v_cmpx_lt_u32_e32 26, v240
	s_cbranch_execz .LBB59_244
; %bb.243:
	s_waitcnt lgkmcnt(0)
	v_mul_f64 v[120:121], v[224:225], v[14:15]
	v_mul_f64 v[14:15], v[226:227], v[14:15]
	s_delay_alu instid0(VALU_DEP_2) | instskip(SKIP_4) | instid1(VALU_DEP_1)
	v_fma_f64 v[228:229], v[226:227], v[12:13], v[120:121]
	ds_load_2addr_b64 v[120:123], v242 offset0:54 offset1:55
	v_fma_f64 v[12:13], v[224:225], v[12:13], -v[14:15]
	s_waitcnt lgkmcnt(0)
	v_mul_f64 v[14:15], v[122:123], v[228:229]
	v_fma_f64 v[14:15], v[120:121], v[12:13], -v[14:15]
	v_mul_f64 v[120:121], v[120:121], v[228:229]
	s_delay_alu instid0(VALU_DEP_2) | instskip(NEXT) | instid1(VALU_DEP_2)
	v_add_f64 v[8:9], v[8:9], -v[14:15]
	v_fma_f64 v[120:121], v[122:123], v[12:13], v[120:121]
	s_delay_alu instid0(VALU_DEP_1) | instskip(SKIP_3) | instid1(VALU_DEP_1)
	v_add_f64 v[10:11], v[10:11], -v[120:121]
	ds_load_2addr_b64 v[120:123], v242 offset0:56 offset1:57
	s_waitcnt lgkmcnt(0)
	v_mul_f64 v[14:15], v[122:123], v[228:229]
	v_fma_f64 v[14:15], v[120:121], v[12:13], -v[14:15]
	v_mul_f64 v[120:121], v[120:121], v[228:229]
	s_delay_alu instid0(VALU_DEP_2) | instskip(NEXT) | instid1(VALU_DEP_2)
	v_add_f64 v[4:5], v[4:5], -v[14:15]
	v_fma_f64 v[120:121], v[122:123], v[12:13], v[120:121]
	s_delay_alu instid0(VALU_DEP_1) | instskip(SKIP_3) | instid1(VALU_DEP_1)
	v_add_f64 v[6:7], v[6:7], -v[120:121]
	ds_load_2addr_b64 v[120:123], v242 offset0:58 offset1:59
	s_waitcnt lgkmcnt(0)
	v_mul_f64 v[14:15], v[122:123], v[228:229]
	v_fma_f64 v[14:15], v[120:121], v[12:13], -v[14:15]
	v_mul_f64 v[120:121], v[120:121], v[228:229]
	s_delay_alu instid0(VALU_DEP_2) | instskip(NEXT) | instid1(VALU_DEP_2)
	v_add_f64 v[0:1], v[0:1], -v[14:15]
	v_fma_f64 v[120:121], v[122:123], v[12:13], v[120:121]
	v_dual_mov_b32 v14, v228 :: v_dual_mov_b32 v15, v229
	s_delay_alu instid0(VALU_DEP_2)
	v_add_f64 v[2:3], v[2:3], -v[120:121]
.LBB59_244:
	s_or_b32 exec_lo, exec_lo, s3
	s_delay_alu instid0(SALU_CYCLE_1)
	s_mov_b32 s4, exec_lo
	s_waitcnt lgkmcnt(0)
	s_barrier
	buffer_gl0_inv
	v_cmpx_eq_u32_e32 27, v240
	s_cbranch_execz .LBB59_251
; %bb.245:
	ds_store_2addr_b64 v241, v[8:9], v[10:11] offset1:1
	ds_store_2addr_b64 v242, v[4:5], v[6:7] offset0:56 offset1:57
	ds_store_2addr_b64 v242, v[0:1], v[2:3] offset0:58 offset1:59
	ds_load_2addr_b64 v[228:231], v241 offset1:1
	s_waitcnt lgkmcnt(0)
	v_cmp_neq_f64_e32 vcc_lo, 0, v[228:229]
	v_cmp_neq_f64_e64 s3, 0, v[230:231]
	s_delay_alu instid0(VALU_DEP_1) | instskip(NEXT) | instid1(SALU_CYCLE_1)
	s_or_b32 s3, vcc_lo, s3
	s_and_b32 exec_lo, exec_lo, s3
	s_cbranch_execz .LBB59_251
; %bb.246:
	v_cmp_gt_f64_e32 vcc_lo, 0, v[228:229]
	v_xor_b32_e32 v120, 0x80000000, v229
	v_xor_b32_e32 v122, 0x80000000, v231
	s_delay_alu instid0(VALU_DEP_2) | instskip(SKIP_2) | instid1(VALU_DEP_4)
	v_cndmask_b32_e32 v121, v229, v120, vcc_lo
	v_cndmask_b32_e32 v120, v228, v228, vcc_lo
	v_cmp_gt_f64_e32 vcc_lo, 0, v[230:231]
	v_cndmask_b32_e32 v123, v231, v122, vcc_lo
	v_cndmask_b32_e32 v122, v230, v230, vcc_lo
	s_delay_alu instid0(VALU_DEP_1) | instskip(SKIP_1) | instid1(SALU_CYCLE_1)
	v_cmp_ngt_f64_e32 vcc_lo, v[120:121], v[122:123]
                                        ; implicit-def: $vgpr120_vgpr121
	s_and_saveexec_b32 s3, vcc_lo
	s_xor_b32 s3, exec_lo, s3
                                        ; implicit-def: $vgpr232_vgpr233_vgpr234_vgpr235
	s_cbranch_execz .LBB59_248
; %bb.247:
	v_div_scale_f64 v[120:121], null, v[230:231], v[230:231], v[228:229]
	v_div_scale_f64 v[234:235], vcc_lo, v[228:229], v[230:231], v[228:229]
	s_delay_alu instid0(VALU_DEP_2) | instskip(SKIP_2) | instid1(VALU_DEP_1)
	v_rcp_f64_e32 v[122:123], v[120:121]
	s_waitcnt_depctr 0xfff
	v_fma_f64 v[232:233], -v[120:121], v[122:123], 1.0
	v_fma_f64 v[122:123], v[122:123], v[232:233], v[122:123]
	s_delay_alu instid0(VALU_DEP_1) | instskip(NEXT) | instid1(VALU_DEP_1)
	v_fma_f64 v[232:233], -v[120:121], v[122:123], 1.0
	v_fma_f64 v[122:123], v[122:123], v[232:233], v[122:123]
	s_delay_alu instid0(VALU_DEP_1) | instskip(NEXT) | instid1(VALU_DEP_1)
	v_mul_f64 v[232:233], v[234:235], v[122:123]
	v_fma_f64 v[120:121], -v[120:121], v[232:233], v[234:235]
	s_delay_alu instid0(VALU_DEP_1) | instskip(NEXT) | instid1(VALU_DEP_1)
	v_div_fmas_f64 v[120:121], v[120:121], v[122:123], v[232:233]
	v_div_fixup_f64 v[120:121], v[120:121], v[230:231], v[228:229]
	s_delay_alu instid0(VALU_DEP_1) | instskip(NEXT) | instid1(VALU_DEP_1)
	v_fma_f64 v[122:123], v[228:229], v[120:121], v[230:231]
	v_div_scale_f64 v[228:229], null, v[122:123], v[122:123], 1.0
	s_delay_alu instid0(VALU_DEP_1) | instskip(SKIP_2) | instid1(VALU_DEP_1)
	v_rcp_f64_e32 v[230:231], v[228:229]
	s_waitcnt_depctr 0xfff
	v_fma_f64 v[232:233], -v[228:229], v[230:231], 1.0
	v_fma_f64 v[230:231], v[230:231], v[232:233], v[230:231]
	s_delay_alu instid0(VALU_DEP_1) | instskip(NEXT) | instid1(VALU_DEP_1)
	v_fma_f64 v[232:233], -v[228:229], v[230:231], 1.0
	v_fma_f64 v[230:231], v[230:231], v[232:233], v[230:231]
	v_div_scale_f64 v[232:233], vcc_lo, 1.0, v[122:123], 1.0
	s_delay_alu instid0(VALU_DEP_1) | instskip(NEXT) | instid1(VALU_DEP_1)
	v_mul_f64 v[234:235], v[232:233], v[230:231]
	v_fma_f64 v[228:229], -v[228:229], v[234:235], v[232:233]
	s_delay_alu instid0(VALU_DEP_1) | instskip(NEXT) | instid1(VALU_DEP_1)
	v_div_fmas_f64 v[228:229], v[228:229], v[230:231], v[234:235]
	v_div_fixup_f64 v[234:235], v[228:229], v[122:123], 1.0
                                        ; implicit-def: $vgpr228_vgpr229
	s_delay_alu instid0(VALU_DEP_1)
	v_mul_f64 v[120:121], v[120:121], v[234:235]
	v_xor_b32_e32 v235, 0x80000000, v235
.LBB59_248:
	s_and_not1_saveexec_b32 s3, s3
	s_cbranch_execz .LBB59_250
; %bb.249:
	v_div_scale_f64 v[120:121], null, v[228:229], v[228:229], v[230:231]
	v_div_scale_f64 v[234:235], vcc_lo, v[230:231], v[228:229], v[230:231]
	s_delay_alu instid0(VALU_DEP_2) | instskip(SKIP_2) | instid1(VALU_DEP_1)
	v_rcp_f64_e32 v[122:123], v[120:121]
	s_waitcnt_depctr 0xfff
	v_fma_f64 v[232:233], -v[120:121], v[122:123], 1.0
	v_fma_f64 v[122:123], v[122:123], v[232:233], v[122:123]
	s_delay_alu instid0(VALU_DEP_1) | instskip(NEXT) | instid1(VALU_DEP_1)
	v_fma_f64 v[232:233], -v[120:121], v[122:123], 1.0
	v_fma_f64 v[122:123], v[122:123], v[232:233], v[122:123]
	s_delay_alu instid0(VALU_DEP_1) | instskip(NEXT) | instid1(VALU_DEP_1)
	v_mul_f64 v[232:233], v[234:235], v[122:123]
	v_fma_f64 v[120:121], -v[120:121], v[232:233], v[234:235]
	s_delay_alu instid0(VALU_DEP_1) | instskip(NEXT) | instid1(VALU_DEP_1)
	v_div_fmas_f64 v[120:121], v[120:121], v[122:123], v[232:233]
	v_div_fixup_f64 v[122:123], v[120:121], v[228:229], v[230:231]
	s_delay_alu instid0(VALU_DEP_1) | instskip(NEXT) | instid1(VALU_DEP_1)
	v_fma_f64 v[120:121], v[230:231], v[122:123], v[228:229]
	v_div_scale_f64 v[228:229], null, v[120:121], v[120:121], 1.0
	s_delay_alu instid0(VALU_DEP_1) | instskip(SKIP_2) | instid1(VALU_DEP_1)
	v_rcp_f64_e32 v[230:231], v[228:229]
	s_waitcnt_depctr 0xfff
	v_fma_f64 v[232:233], -v[228:229], v[230:231], 1.0
	v_fma_f64 v[230:231], v[230:231], v[232:233], v[230:231]
	s_delay_alu instid0(VALU_DEP_1) | instskip(NEXT) | instid1(VALU_DEP_1)
	v_fma_f64 v[232:233], -v[228:229], v[230:231], 1.0
	v_fma_f64 v[230:231], v[230:231], v[232:233], v[230:231]
	v_div_scale_f64 v[232:233], vcc_lo, 1.0, v[120:121], 1.0
	s_delay_alu instid0(VALU_DEP_1) | instskip(NEXT) | instid1(VALU_DEP_1)
	v_mul_f64 v[234:235], v[232:233], v[230:231]
	v_fma_f64 v[228:229], -v[228:229], v[234:235], v[232:233]
	s_delay_alu instid0(VALU_DEP_1) | instskip(NEXT) | instid1(VALU_DEP_1)
	v_div_fmas_f64 v[228:229], v[228:229], v[230:231], v[234:235]
	v_div_fixup_f64 v[120:121], v[228:229], v[120:121], 1.0
	s_delay_alu instid0(VALU_DEP_1)
	v_mul_f64 v[234:235], v[122:123], -v[120:121]
.LBB59_250:
	s_or_b32 exec_lo, exec_lo, s3
	ds_store_2addr_b64 v241, v[120:121], v[234:235] offset1:1
.LBB59_251:
	s_or_b32 exec_lo, exec_lo, s4
	s_waitcnt lgkmcnt(0)
	s_barrier
	buffer_gl0_inv
	ds_load_2addr_b64 v[228:231], v241 offset1:1
	s_mov_b32 s3, exec_lo
	v_cmpx_lt_u32_e32 27, v240
	s_cbranch_execz .LBB59_253
; %bb.252:
	s_waitcnt lgkmcnt(0)
	v_mul_f64 v[120:121], v[228:229], v[10:11]
	v_mul_f64 v[10:11], v[230:231], v[10:11]
	s_delay_alu instid0(VALU_DEP_2) | instskip(SKIP_4) | instid1(VALU_DEP_1)
	v_fma_f64 v[232:233], v[230:231], v[8:9], v[120:121]
	ds_load_2addr_b64 v[120:123], v242 offset0:56 offset1:57
	v_fma_f64 v[8:9], v[228:229], v[8:9], -v[10:11]
	s_waitcnt lgkmcnt(0)
	v_mul_f64 v[10:11], v[122:123], v[232:233]
	v_fma_f64 v[10:11], v[120:121], v[8:9], -v[10:11]
	v_mul_f64 v[120:121], v[120:121], v[232:233]
	s_delay_alu instid0(VALU_DEP_2) | instskip(NEXT) | instid1(VALU_DEP_2)
	v_add_f64 v[4:5], v[4:5], -v[10:11]
	v_fma_f64 v[120:121], v[122:123], v[8:9], v[120:121]
	s_delay_alu instid0(VALU_DEP_1) | instskip(SKIP_3) | instid1(VALU_DEP_1)
	v_add_f64 v[6:7], v[6:7], -v[120:121]
	ds_load_2addr_b64 v[120:123], v242 offset0:58 offset1:59
	s_waitcnt lgkmcnt(0)
	v_mul_f64 v[10:11], v[122:123], v[232:233]
	v_fma_f64 v[10:11], v[120:121], v[8:9], -v[10:11]
	v_mul_f64 v[120:121], v[120:121], v[232:233]
	s_delay_alu instid0(VALU_DEP_2) | instskip(NEXT) | instid1(VALU_DEP_2)
	v_add_f64 v[0:1], v[0:1], -v[10:11]
	v_fma_f64 v[120:121], v[122:123], v[8:9], v[120:121]
	v_dual_mov_b32 v10, v232 :: v_dual_mov_b32 v11, v233
	s_delay_alu instid0(VALU_DEP_2)
	v_add_f64 v[2:3], v[2:3], -v[120:121]
.LBB59_253:
	s_or_b32 exec_lo, exec_lo, s3
	s_delay_alu instid0(SALU_CYCLE_1)
	s_mov_b32 s4, exec_lo
	s_waitcnt lgkmcnt(0)
	s_barrier
	buffer_gl0_inv
	v_cmpx_eq_u32_e32 28, v240
	s_cbranch_execz .LBB59_260
; %bb.254:
	ds_store_2addr_b64 v241, v[4:5], v[6:7] offset1:1
	ds_store_2addr_b64 v242, v[0:1], v[2:3] offset0:58 offset1:59
	ds_load_2addr_b64 v[232:235], v241 offset1:1
	s_waitcnt lgkmcnt(0)
	v_cmp_neq_f64_e32 vcc_lo, 0, v[232:233]
	v_cmp_neq_f64_e64 s3, 0, v[234:235]
	s_delay_alu instid0(VALU_DEP_1) | instskip(NEXT) | instid1(SALU_CYCLE_1)
	s_or_b32 s3, vcc_lo, s3
	s_and_b32 exec_lo, exec_lo, s3
	s_cbranch_execz .LBB59_260
; %bb.255:
	v_cmp_gt_f64_e32 vcc_lo, 0, v[232:233]
	v_xor_b32_e32 v120, 0x80000000, v233
	v_xor_b32_e32 v122, 0x80000000, v235
	s_delay_alu instid0(VALU_DEP_2) | instskip(SKIP_2) | instid1(VALU_DEP_4)
	v_cndmask_b32_e32 v121, v233, v120, vcc_lo
	v_cndmask_b32_e32 v120, v232, v232, vcc_lo
	v_cmp_gt_f64_e32 vcc_lo, 0, v[234:235]
	v_cndmask_b32_e32 v123, v235, v122, vcc_lo
	v_cndmask_b32_e32 v122, v234, v234, vcc_lo
	s_delay_alu instid0(VALU_DEP_1) | instskip(SKIP_1) | instid1(SALU_CYCLE_1)
	v_cmp_ngt_f64_e32 vcc_lo, v[120:121], v[122:123]
                                        ; implicit-def: $vgpr120_vgpr121
	s_and_saveexec_b32 s3, vcc_lo
	s_xor_b32 s3, exec_lo, s3
                                        ; implicit-def: $vgpr236_vgpr237_vgpr238_vgpr239
	s_cbranch_execz .LBB59_257
; %bb.256:
	v_div_scale_f64 v[120:121], null, v[234:235], v[234:235], v[232:233]
	v_div_scale_f64 v[238:239], vcc_lo, v[232:233], v[234:235], v[232:233]
	s_delay_alu instid0(VALU_DEP_2) | instskip(SKIP_2) | instid1(VALU_DEP_1)
	v_rcp_f64_e32 v[122:123], v[120:121]
	s_waitcnt_depctr 0xfff
	v_fma_f64 v[236:237], -v[120:121], v[122:123], 1.0
	v_fma_f64 v[122:123], v[122:123], v[236:237], v[122:123]
	s_delay_alu instid0(VALU_DEP_1) | instskip(NEXT) | instid1(VALU_DEP_1)
	v_fma_f64 v[236:237], -v[120:121], v[122:123], 1.0
	v_fma_f64 v[122:123], v[122:123], v[236:237], v[122:123]
	s_delay_alu instid0(VALU_DEP_1) | instskip(NEXT) | instid1(VALU_DEP_1)
	v_mul_f64 v[236:237], v[238:239], v[122:123]
	v_fma_f64 v[120:121], -v[120:121], v[236:237], v[238:239]
	s_delay_alu instid0(VALU_DEP_1) | instskip(NEXT) | instid1(VALU_DEP_1)
	v_div_fmas_f64 v[120:121], v[120:121], v[122:123], v[236:237]
	v_div_fixup_f64 v[120:121], v[120:121], v[234:235], v[232:233]
	s_delay_alu instid0(VALU_DEP_1) | instskip(NEXT) | instid1(VALU_DEP_1)
	v_fma_f64 v[122:123], v[232:233], v[120:121], v[234:235]
	v_div_scale_f64 v[232:233], null, v[122:123], v[122:123], 1.0
	s_delay_alu instid0(VALU_DEP_1) | instskip(SKIP_2) | instid1(VALU_DEP_1)
	v_rcp_f64_e32 v[234:235], v[232:233]
	s_waitcnt_depctr 0xfff
	v_fma_f64 v[236:237], -v[232:233], v[234:235], 1.0
	v_fma_f64 v[234:235], v[234:235], v[236:237], v[234:235]
	s_delay_alu instid0(VALU_DEP_1) | instskip(NEXT) | instid1(VALU_DEP_1)
	v_fma_f64 v[236:237], -v[232:233], v[234:235], 1.0
	v_fma_f64 v[234:235], v[234:235], v[236:237], v[234:235]
	v_div_scale_f64 v[236:237], vcc_lo, 1.0, v[122:123], 1.0
	s_delay_alu instid0(VALU_DEP_1) | instskip(NEXT) | instid1(VALU_DEP_1)
	v_mul_f64 v[238:239], v[236:237], v[234:235]
	v_fma_f64 v[232:233], -v[232:233], v[238:239], v[236:237]
	s_delay_alu instid0(VALU_DEP_1) | instskip(NEXT) | instid1(VALU_DEP_1)
	v_div_fmas_f64 v[232:233], v[232:233], v[234:235], v[238:239]
	v_div_fixup_f64 v[238:239], v[232:233], v[122:123], 1.0
                                        ; implicit-def: $vgpr232_vgpr233
	s_delay_alu instid0(VALU_DEP_1)
	v_mul_f64 v[120:121], v[120:121], v[238:239]
	v_xor_b32_e32 v239, 0x80000000, v239
.LBB59_257:
	s_and_not1_saveexec_b32 s3, s3
	s_cbranch_execz .LBB59_259
; %bb.258:
	v_div_scale_f64 v[120:121], null, v[232:233], v[232:233], v[234:235]
	v_div_scale_f64 v[238:239], vcc_lo, v[234:235], v[232:233], v[234:235]
	s_delay_alu instid0(VALU_DEP_2) | instskip(SKIP_2) | instid1(VALU_DEP_1)
	v_rcp_f64_e32 v[122:123], v[120:121]
	s_waitcnt_depctr 0xfff
	v_fma_f64 v[236:237], -v[120:121], v[122:123], 1.0
	v_fma_f64 v[122:123], v[122:123], v[236:237], v[122:123]
	s_delay_alu instid0(VALU_DEP_1) | instskip(NEXT) | instid1(VALU_DEP_1)
	v_fma_f64 v[236:237], -v[120:121], v[122:123], 1.0
	v_fma_f64 v[122:123], v[122:123], v[236:237], v[122:123]
	s_delay_alu instid0(VALU_DEP_1) | instskip(NEXT) | instid1(VALU_DEP_1)
	v_mul_f64 v[236:237], v[238:239], v[122:123]
	v_fma_f64 v[120:121], -v[120:121], v[236:237], v[238:239]
	s_delay_alu instid0(VALU_DEP_1) | instskip(NEXT) | instid1(VALU_DEP_1)
	v_div_fmas_f64 v[120:121], v[120:121], v[122:123], v[236:237]
	v_div_fixup_f64 v[122:123], v[120:121], v[232:233], v[234:235]
	s_delay_alu instid0(VALU_DEP_1) | instskip(NEXT) | instid1(VALU_DEP_1)
	v_fma_f64 v[120:121], v[234:235], v[122:123], v[232:233]
	v_div_scale_f64 v[232:233], null, v[120:121], v[120:121], 1.0
	s_delay_alu instid0(VALU_DEP_1) | instskip(SKIP_2) | instid1(VALU_DEP_1)
	v_rcp_f64_e32 v[234:235], v[232:233]
	s_waitcnt_depctr 0xfff
	v_fma_f64 v[236:237], -v[232:233], v[234:235], 1.0
	v_fma_f64 v[234:235], v[234:235], v[236:237], v[234:235]
	s_delay_alu instid0(VALU_DEP_1) | instskip(NEXT) | instid1(VALU_DEP_1)
	v_fma_f64 v[236:237], -v[232:233], v[234:235], 1.0
	v_fma_f64 v[234:235], v[234:235], v[236:237], v[234:235]
	v_div_scale_f64 v[236:237], vcc_lo, 1.0, v[120:121], 1.0
	s_delay_alu instid0(VALU_DEP_1) | instskip(NEXT) | instid1(VALU_DEP_1)
	v_mul_f64 v[238:239], v[236:237], v[234:235]
	v_fma_f64 v[232:233], -v[232:233], v[238:239], v[236:237]
	s_delay_alu instid0(VALU_DEP_1) | instskip(NEXT) | instid1(VALU_DEP_1)
	v_div_fmas_f64 v[232:233], v[232:233], v[234:235], v[238:239]
	v_div_fixup_f64 v[120:121], v[232:233], v[120:121], 1.0
	s_delay_alu instid0(VALU_DEP_1)
	v_mul_f64 v[238:239], v[122:123], -v[120:121]
.LBB59_259:
	s_or_b32 exec_lo, exec_lo, s3
	ds_store_2addr_b64 v241, v[120:121], v[238:239] offset1:1
.LBB59_260:
	s_or_b32 exec_lo, exec_lo, s4
	s_waitcnt lgkmcnt(0)
	s_barrier
	buffer_gl0_inv
	ds_load_2addr_b64 v[232:235], v241 offset1:1
	s_mov_b32 s3, exec_lo
	v_cmpx_lt_u32_e32 28, v240
	s_cbranch_execz .LBB59_262
; %bb.261:
	s_waitcnt lgkmcnt(0)
	v_mul_f64 v[120:121], v[232:233], v[6:7]
	v_mul_f64 v[6:7], v[234:235], v[6:7]
	s_delay_alu instid0(VALU_DEP_2) | instskip(SKIP_4) | instid1(VALU_DEP_1)
	v_fma_f64 v[236:237], v[234:235], v[4:5], v[120:121]
	ds_load_2addr_b64 v[120:123], v242 offset0:58 offset1:59
	v_fma_f64 v[4:5], v[232:233], v[4:5], -v[6:7]
	s_waitcnt lgkmcnt(0)
	v_mul_f64 v[6:7], v[122:123], v[236:237]
	v_fma_f64 v[6:7], v[120:121], v[4:5], -v[6:7]
	v_mul_f64 v[120:121], v[120:121], v[236:237]
	s_delay_alu instid0(VALU_DEP_2) | instskip(NEXT) | instid1(VALU_DEP_2)
	v_add_f64 v[0:1], v[0:1], -v[6:7]
	v_fma_f64 v[120:121], v[122:123], v[4:5], v[120:121]
	v_dual_mov_b32 v6, v236 :: v_dual_mov_b32 v7, v237
	s_delay_alu instid0(VALU_DEP_2)
	v_add_f64 v[2:3], v[2:3], -v[120:121]
.LBB59_262:
	s_or_b32 exec_lo, exec_lo, s3
	s_delay_alu instid0(SALU_CYCLE_1)
	s_mov_b32 s4, exec_lo
	s_waitcnt lgkmcnt(0)
	s_barrier
	buffer_gl0_inv
	v_cmpx_eq_u32_e32 29, v240
	s_cbranch_execz .LBB59_269
; %bb.263:
	v_cmp_neq_f64_e32 vcc_lo, 0, v[0:1]
	v_cmp_neq_f64_e64 s3, 0, v[2:3]
	ds_store_2addr_b64 v241, v[0:1], v[2:3] offset1:1
	s_or_b32 s3, vcc_lo, s3
	s_delay_alu instid0(SALU_CYCLE_1)
	s_and_b32 exec_lo, exec_lo, s3
	s_cbranch_execz .LBB59_269
; %bb.264:
	v_cmp_gt_f64_e32 vcc_lo, 0, v[0:1]
	v_xor_b32_e32 v120, 0x80000000, v1
	v_xor_b32_e32 v122, 0x80000000, v3
	s_delay_alu instid0(VALU_DEP_2) | instskip(SKIP_2) | instid1(VALU_DEP_4)
	v_cndmask_b32_e32 v121, v1, v120, vcc_lo
	v_cndmask_b32_e32 v120, v0, v0, vcc_lo
	v_cmp_gt_f64_e32 vcc_lo, 0, v[2:3]
	v_cndmask_b32_e32 v123, v3, v122, vcc_lo
	v_cndmask_b32_e32 v122, v2, v2, vcc_lo
	s_delay_alu instid0(VALU_DEP_1) | instskip(SKIP_1) | instid1(SALU_CYCLE_1)
	v_cmp_ngt_f64_e32 vcc_lo, v[120:121], v[122:123]
                                        ; implicit-def: $vgpr120_vgpr121
	s_and_saveexec_b32 s3, vcc_lo
	s_xor_b32 s3, exec_lo, s3
                                        ; implicit-def: $vgpr236_vgpr237_vgpr238_vgpr239
	s_cbranch_execz .LBB59_266
; %bb.265:
	v_div_scale_f64 v[120:121], null, v[2:3], v[2:3], v[0:1]
	v_div_scale_f64 v[238:239], vcc_lo, v[0:1], v[2:3], v[0:1]
	v_dual_mov_b32 v251, v151 :: v_dual_mov_b32 v250, v150
	v_dual_mov_b32 v249, v149 :: v_dual_mov_b32 v248, v148
	;; [unrolled: 1-line block ×15, first 2 shown]
	v_rcp_f64_e32 v[122:123], v[120:121]
	s_waitcnt_depctr 0xfff
	v_fma_f64 v[236:237], -v[120:121], v[122:123], 1.0
	s_delay_alu instid0(VALU_DEP_1) | instskip(NEXT) | instid1(VALU_DEP_1)
	v_fma_f64 v[122:123], v[122:123], v[236:237], v[122:123]
	v_fma_f64 v[236:237], -v[120:121], v[122:123], 1.0
	s_delay_alu instid0(VALU_DEP_1) | instskip(NEXT) | instid1(VALU_DEP_1)
	v_fma_f64 v[122:123], v[122:123], v[236:237], v[122:123]
	v_mul_f64 v[236:237], v[238:239], v[122:123]
	s_delay_alu instid0(VALU_DEP_1) | instskip(NEXT) | instid1(VALU_DEP_1)
	v_fma_f64 v[120:121], -v[120:121], v[236:237], v[238:239]
	v_div_fmas_f64 v[120:121], v[120:121], v[122:123], v[236:237]
	s_delay_alu instid0(VALU_DEP_1) | instskip(NEXT) | instid1(VALU_DEP_1)
	v_div_fixup_f64 v[120:121], v[120:121], v[2:3], v[0:1]
	v_fma_f64 v[122:123], v[0:1], v[120:121], v[2:3]
	s_delay_alu instid0(VALU_DEP_1) | instskip(NEXT) | instid1(VALU_DEP_1)
	v_div_scale_f64 v[236:237], null, v[122:123], v[122:123], 1.0
	v_rcp_f64_e32 v[238:239], v[236:237]
	s_waitcnt_depctr 0xfff
	v_fma_f64 v[242:243], -v[236:237], v[238:239], 1.0
	s_delay_alu instid0(VALU_DEP_1) | instskip(NEXT) | instid1(VALU_DEP_1)
	v_fma_f64 v[238:239], v[238:239], v[242:243], v[238:239]
	v_fma_f64 v[242:243], -v[236:237], v[238:239], 1.0
	s_delay_alu instid0(VALU_DEP_1) | instskip(SKIP_1) | instid1(VALU_DEP_1)
	v_fma_f64 v[238:239], v[238:239], v[242:243], v[238:239]
	v_div_scale_f64 v[242:243], vcc_lo, 1.0, v[122:123], 1.0
	v_mul_f64 v[124:125], v[242:243], v[238:239]
	s_delay_alu instid0(VALU_DEP_1) | instskip(NEXT) | instid1(VALU_DEP_1)
	v_fma_f64 v[126:127], -v[236:237], v[124:125], v[242:243]
	v_div_fmas_f64 v[124:125], v[126:127], v[238:239], v[124:125]
	s_delay_alu instid0(VALU_DEP_1)
	v_div_fixup_f64 v[238:239], v[124:125], v[122:123], 1.0
	v_dual_mov_b32 v124, v128 :: v_dual_mov_b32 v125, v129
	v_dual_mov_b32 v126, v130 :: v_dual_mov_b32 v127, v131
	;; [unrolled: 1-line block ×15, first 2 shown]
	v_mul_f64 v[120:121], v[120:121], v[238:239]
	v_xor_b32_e32 v239, 0x80000000, v239
.LBB59_266:
	s_and_not1_saveexec_b32 s3, s3
	s_cbranch_execz .LBB59_268
; %bb.267:
	v_div_scale_f64 v[120:121], null, v[0:1], v[0:1], v[2:3]
	v_dual_mov_b32 v249, v135 :: v_dual_mov_b32 v248, v134
	v_dual_mov_b32 v247, v133 :: v_dual_mov_b32 v246, v132
	;; [unrolled: 1-line block ×7, first 2 shown]
	v_div_scale_f64 v[126:127], vcc_lo, v[2:3], v[0:1], v[2:3]
	v_rcp_f64_e32 v[122:123], v[120:121]
	s_waitcnt_depctr 0xfff
	v_fma_f64 v[124:125], -v[120:121], v[122:123], 1.0
	s_delay_alu instid0(VALU_DEP_1) | instskip(NEXT) | instid1(VALU_DEP_1)
	v_fma_f64 v[122:123], v[122:123], v[124:125], v[122:123]
	v_fma_f64 v[124:125], -v[120:121], v[122:123], 1.0
	s_delay_alu instid0(VALU_DEP_1) | instskip(NEXT) | instid1(VALU_DEP_1)
	v_fma_f64 v[122:123], v[122:123], v[124:125], v[122:123]
	v_mul_f64 v[124:125], v[126:127], v[122:123]
	s_delay_alu instid0(VALU_DEP_1) | instskip(NEXT) | instid1(VALU_DEP_1)
	v_fma_f64 v[120:121], -v[120:121], v[124:125], v[126:127]
	v_div_fmas_f64 v[120:121], v[120:121], v[122:123], v[124:125]
	s_delay_alu instid0(VALU_DEP_1) | instskip(NEXT) | instid1(VALU_DEP_1)
	v_div_fixup_f64 v[122:123], v[120:121], v[0:1], v[2:3]
	v_fma_f64 v[120:121], v[2:3], v[122:123], v[0:1]
	s_delay_alu instid0(VALU_DEP_1) | instskip(NEXT) | instid1(VALU_DEP_1)
	v_div_scale_f64 v[124:125], null, v[120:121], v[120:121], 1.0
	v_rcp_f64_e32 v[126:127], v[124:125]
	s_waitcnt_depctr 0xfff
	v_fma_f64 v[236:237], -v[124:125], v[126:127], 1.0
	s_delay_alu instid0(VALU_DEP_1) | instskip(NEXT) | instid1(VALU_DEP_1)
	v_fma_f64 v[126:127], v[126:127], v[236:237], v[126:127]
	v_fma_f64 v[236:237], -v[124:125], v[126:127], 1.0
	s_delay_alu instid0(VALU_DEP_1) | instskip(SKIP_1) | instid1(VALU_DEP_1)
	v_fma_f64 v[126:127], v[126:127], v[236:237], v[126:127]
	v_div_scale_f64 v[236:237], vcc_lo, 1.0, v[120:121], 1.0
	v_mul_f64 v[238:239], v[236:237], v[126:127]
	s_delay_alu instid0(VALU_DEP_1) | instskip(NEXT) | instid1(VALU_DEP_1)
	v_fma_f64 v[124:125], -v[124:125], v[238:239], v[236:237]
	v_div_fmas_f64 v[124:125], v[124:125], v[126:127], v[238:239]
	s_delay_alu instid0(VALU_DEP_1)
	v_div_fixup_f64 v[120:121], v[124:125], v[120:121], 1.0
	v_dual_mov_b32 v124, v128 :: v_dual_mov_b32 v125, v129
	v_dual_mov_b32 v126, v130 :: v_dual_mov_b32 v127, v131
	;; [unrolled: 1-line block ×7, first 2 shown]
	v_mul_f64 v[238:239], v[122:123], -v[120:121]
.LBB59_268:
	s_or_b32 exec_lo, exec_lo, s3
	ds_store_2addr_b64 v241, v[120:121], v[238:239] offset1:1
.LBB59_269:
	s_or_b32 exec_lo, exec_lo, s4
	s_waitcnt lgkmcnt(0)
	s_barrier
	buffer_gl0_inv
	ds_load_2addr_b64 v[236:239], v241 offset1:1
	s_mov_b32 s3, exec_lo
	v_cmpx_lt_u32_e32 29, v240
	s_cbranch_execz .LBB59_271
; %bb.270:
	s_waitcnt lgkmcnt(0)
	v_mul_f64 v[120:121], v[238:239], v[2:3]
	v_mul_f64 v[2:3], v[236:237], v[2:3]
	s_delay_alu instid0(VALU_DEP_2) | instskip(NEXT) | instid1(VALU_DEP_2)
	v_fma_f64 v[120:121], v[236:237], v[0:1], -v[120:121]
	v_fma_f64 v[2:3], v[238:239], v[0:1], v[2:3]
	s_delay_alu instid0(VALU_DEP_2)
	v_dual_mov_b32 v0, v120 :: v_dual_mov_b32 v1, v121
.LBB59_271:
	s_or_b32 exec_lo, exec_lo, s3
	s_waitcnt lgkmcnt(0)
	s_barrier
	buffer_gl0_inv
	s_and_saveexec_b32 s10, s2
	s_cbranch_execz .LBB59_274
; %bb.272:
	scratch_load_b128 v[120:123], off, off offset:200 ; 16-byte Folded Reload
	v_cmp_neq_f64_e64 s3, 0, v[124:125]
	v_cmp_neq_f64_e64 s4, 0, v[126:127]
	s_load_b64 s[12:13], s[0:1], 0x28
	v_cmp_eq_f64_e64 s0, 0, v[128:129]
	v_cmp_eq_f64_e64 s1, 0, v[130:131]
	;; [unrolled: 1-line block ×5, first 2 shown]
	s_or_b32 s3, s3, s4
	s_delay_alu instid0(VALU_DEP_4) | instskip(SKIP_1) | instid1(VALU_DEP_3)
	s_and_b32 s0, s0, s1
	v_cmp_eq_f64_e64 s1, 0, v[146:147]
	s_and_b32 s4, s5, s6
	s_waitcnt vmcnt(0)
	v_cmp_eq_f64_e32 vcc_lo, 0, v[120:121]
	v_cmp_eq_f64_e64 s2, 0, v[122:123]
	v_lshlrev_b64 v[120:121], 2, v[252:253]
	s_waitcnt lgkmcnt(0)
	s_delay_alu instid0(VALU_DEP_1) | instskip(NEXT) | instid1(VALU_DEP_1)
	v_add_co_u32 v120, s7, s12, v120
	v_add_co_ci_u32_e64 v121, s7, s13, v121, s7
	v_cmp_eq_f64_e64 s7, 0, v[136:137]
	global_load_b32 v122, v[120:121], off
	s_and_b32 s2, vcc_lo, s2
	s_delay_alu instid0(SALU_CYCLE_1) | instskip(SKIP_2) | instid1(VALU_DEP_2)
	v_cndmask_b32_e64 v123, 0, 1, s2
	s_or_b32 vcc_lo, s3, s2
	v_cmp_eq_f64_e64 s2, 0, v[142:143]
	v_cndmask_b32_e32 v123, 2, v123, vcc_lo
	v_cmp_eq_f64_e32 vcc_lo, 0, v[140:141]
	s_and_b32 s6, s7, s8
	s_delay_alu instid0(VALU_DEP_2) | instskip(NEXT) | instid1(VALU_DEP_1)
	v_cmp_eq_u32_e64 s3, 0, v123
	s_and_b32 s0, s0, s3
	s_delay_alu instid0(SALU_CYCLE_1) | instskip(SKIP_1) | instid1(VALU_DEP_2)
	v_cndmask_b32_e64 v123, v123, 3, s0
	v_cmp_eq_f64_e64 s0, 0, v[144:145]
	v_cmp_eq_u32_e64 s3, 0, v123
	s_delay_alu instid0(VALU_DEP_1) | instskip(SKIP_3) | instid1(VALU_DEP_2)
	s_and_b32 s3, s4, s3
	v_cmp_eq_f64_e64 s4, 0, v[150:151]
	v_cndmask_b32_e64 v123, v123, 4, s3
	v_cmp_eq_f64_e64 s3, 0, v[148:149]
	v_cmp_eq_u32_e64 s5, 0, v123
	s_delay_alu instid0(VALU_DEP_1)
	s_and_b32 s5, s6, s5
	v_cmp_eq_f64_e64 s6, 0, v[154:155]
	v_cndmask_b32_e64 v123, v123, 5, s5
	v_cmp_eq_f64_e64 s5, 0, v[152:153]
	s_and_b32 s2, vcc_lo, s2
	v_cmp_eq_f64_e32 vcc_lo, 0, v[156:157]
	s_delay_alu instid0(VALU_DEP_3) | instskip(NEXT) | instid1(VALU_DEP_1)
	v_cmp_eq_u32_e64 s7, 0, v123
	s_and_b32 s2, s2, s7
	s_delay_alu instid0(SALU_CYCLE_1) | instskip(SKIP_3) | instid1(VALU_DEP_3)
	v_cndmask_b32_e64 v123, v123, 6, s2
	v_cmp_eq_f64_e64 s2, 0, v[158:159]
	s_and_b32 s0, s0, s1
	v_cmp_eq_f64_e64 s1, 0, v[162:163]
	v_cmp_eq_u32_e64 s7, 0, v123
	s_delay_alu instid0(VALU_DEP_1) | instskip(NEXT) | instid1(SALU_CYCLE_1)
	s_and_b32 s0, s0, s7
	v_cndmask_b32_e64 v123, v123, 7, s0
	v_cmp_eq_f64_e64 s0, 0, v[160:161]
	s_and_b32 s3, s3, s4
	v_cmp_eq_f64_e64 s4, 0, v[166:167]
	s_delay_alu instid0(VALU_DEP_3) | instskip(NEXT) | instid1(VALU_DEP_1)
	v_cmp_eq_u32_e64 s7, 0, v123
	s_and_b32 s3, s3, s7
	s_delay_alu instid0(SALU_CYCLE_1) | instskip(SKIP_3) | instid1(VALU_DEP_3)
	v_cndmask_b32_e64 v123, v123, 8, s3
	v_cmp_eq_f64_e64 s3, 0, v[164:165]
	s_and_b32 s5, s5, s6
	v_cmp_eq_f64_e64 s6, 0, v[170:171]
	v_cmp_eq_u32_e64 s7, 0, v123
	s_delay_alu instid0(VALU_DEP_1) | instskip(NEXT) | instid1(SALU_CYCLE_1)
	s_and_b32 s5, s5, s7
	v_cndmask_b32_e64 v123, v123, 9, s5
	v_cmp_eq_f64_e64 s5, 0, v[168:169]
	s_and_b32 s2, vcc_lo, s2
	v_cmp_eq_f64_e32 vcc_lo, 0, v[172:173]
	s_delay_alu instid0(VALU_DEP_3) | instskip(NEXT) | instid1(VALU_DEP_1)
	v_cmp_eq_u32_e64 s7, 0, v123
	s_and_b32 s2, s2, s7
	s_delay_alu instid0(SALU_CYCLE_1) | instskip(SKIP_3) | instid1(VALU_DEP_3)
	v_cndmask_b32_e64 v123, v123, 10, s2
	v_cmp_eq_f64_e64 s2, 0, v[174:175]
	s_and_b32 s0, s0, s1
	v_cmp_eq_f64_e64 s1, 0, v[178:179]
	v_cmp_eq_u32_e64 s7, 0, v123
	s_delay_alu instid0(VALU_DEP_1) | instskip(NEXT) | instid1(SALU_CYCLE_1)
	s_and_b32 s0, s0, s7
	v_cndmask_b32_e64 v123, v123, 11, s0
	v_cmp_eq_f64_e64 s0, 0, v[176:177]
	s_and_b32 s3, s3, s4
	v_cmp_eq_f64_e64 s4, 0, v[182:183]
	s_delay_alu instid0(VALU_DEP_3) | instskip(NEXT) | instid1(VALU_DEP_1)
	v_cmp_eq_u32_e64 s7, 0, v123
	s_and_b32 s3, s3, s7
	s_delay_alu instid0(SALU_CYCLE_1) | instskip(SKIP_3) | instid1(VALU_DEP_3)
	v_cndmask_b32_e64 v123, v123, 12, s3
	v_cmp_eq_f64_e64 s3, 0, v[180:181]
	s_and_b32 s5, s5, s6
	v_cmp_eq_f64_e64 s6, 0, v[186:187]
	v_cmp_eq_u32_e64 s7, 0, v123
	s_delay_alu instid0(VALU_DEP_1) | instskip(NEXT) | instid1(SALU_CYCLE_1)
	s_and_b32 s5, s5, s7
	;; [unrolled: 30-line block ×5, first 2 shown]
	v_cndmask_b32_e64 v123, v123, 25, s5
	v_cmp_eq_f64_e64 s5, 0, v[232:233]
	s_and_b32 s2, vcc_lo, s2
	v_cmp_eq_f64_e32 vcc_lo, 0, v[236:237]
	s_delay_alu instid0(VALU_DEP_3) | instskip(NEXT) | instid1(VALU_DEP_1)
	v_cmp_eq_u32_e64 s7, 0, v123
	s_and_b32 s2, s2, s7
	s_delay_alu instid0(SALU_CYCLE_1) | instskip(SKIP_2) | instid1(VALU_DEP_2)
	v_cndmask_b32_e64 v123, v123, 26, s2
	v_cmp_eq_f64_e64 s2, 0, v[238:239]
	s_and_b32 s0, s0, s1
	v_cmp_eq_u32_e64 s7, 0, v123
	s_delay_alu instid0(VALU_DEP_1) | instskip(NEXT) | instid1(SALU_CYCLE_1)
	s_and_b32 s0, s0, s7
	v_cndmask_b32_e64 v123, v123, 27, s0
	s_and_b32 s1, s3, s4
	s_delay_alu instid0(VALU_DEP_1) | instskip(NEXT) | instid1(VALU_DEP_1)
	v_cmp_eq_u32_e64 s0, 0, v123
	s_and_b32 s0, s1, s0
	s_delay_alu instid0(SALU_CYCLE_1) | instskip(SKIP_1) | instid1(VALU_DEP_1)
	v_cndmask_b32_e64 v123, v123, 28, s0
	s_and_b32 s1, s5, s6
	v_cmp_eq_u32_e64 s0, 0, v123
	s_delay_alu instid0(VALU_DEP_1) | instskip(NEXT) | instid1(SALU_CYCLE_1)
	s_and_b32 s0, s1, s0
	v_cndmask_b32_e64 v123, v123, 29, s0
	s_and_b32 s1, vcc_lo, s2
	s_waitcnt vmcnt(0)
	v_cmp_eq_u32_e32 vcc_lo, 0, v122
	s_delay_alu instid0(VALU_DEP_2) | instskip(NEXT) | instid1(VALU_DEP_1)
	v_cmp_eq_u32_e64 s0, 0, v123
	s_and_b32 s0, s1, s0
	s_delay_alu instid0(SALU_CYCLE_1) | instskip(NEXT) | instid1(VALU_DEP_1)
	v_cndmask_b32_e64 v123, v123, 30, s0
	v_cmp_ne_u32_e64 s0, 0, v123
	s_delay_alu instid0(VALU_DEP_1) | instskip(NEXT) | instid1(SALU_CYCLE_1)
	s_and_b32 s0, vcc_lo, s0
	s_and_b32 exec_lo, exec_lo, s0
	s_cbranch_execz .LBB59_274
; %bb.273:
	v_add_nc_u32_e32 v122, s9, v123
	global_store_b32 v[120:121], v122, off
.LBB59_274:
	s_or_b32 exec_lo, exec_lo, s10
	s_clause 0x1
	global_store_b128 v[254:255], v[116:119], off
	global_store_b128 v[243:244], v[112:115], off
	scratch_load_b64 v[112:113], off, off offset:232 ; 8-byte Folded Reload
	s_waitcnt vmcnt(0)
	global_store_b128 v[112:113], v[108:111], off
	scratch_load_b64 v[108:109], off, off offset:224 ; 8-byte Folded Reload
	s_waitcnt vmcnt(0)
	;; [unrolled: 3-line block ×27, first 2 shown]
	global_store_b128 v[8:9], v[4:7], off
	scratch_load_b64 v[4:5], off, off       ; 8-byte Folded Reload
	s_waitcnt vmcnt(0)
	global_store_b128 v[4:5], v[0:3], off
.LBB59_275:
	s_nop 0
	s_sendmsg sendmsg(MSG_DEALLOC_VGPRS)
	s_endpgm
	.section	.rodata,"a",@progbits
	.p2align	6, 0x0
	.amdhsa_kernel _ZN9rocsolver6v33100L23getf2_npvt_small_kernelILi30E19rocblas_complex_numIdEiiPKPS3_EEvT1_T3_lS7_lPT2_S7_S7_
		.amdhsa_group_segment_fixed_size 0
		.amdhsa_private_segment_fixed_size 244
		.amdhsa_kernarg_size 312
		.amdhsa_user_sgpr_count 14
		.amdhsa_user_sgpr_dispatch_ptr 0
		.amdhsa_user_sgpr_queue_ptr 0
		.amdhsa_user_sgpr_kernarg_segment_ptr 1
		.amdhsa_user_sgpr_dispatch_id 0
		.amdhsa_user_sgpr_private_segment_size 0
		.amdhsa_wavefront_size32 1
		.amdhsa_uses_dynamic_stack 0
		.amdhsa_enable_private_segment 1
		.amdhsa_system_sgpr_workgroup_id_x 1
		.amdhsa_system_sgpr_workgroup_id_y 1
		.amdhsa_system_sgpr_workgroup_id_z 0
		.amdhsa_system_sgpr_workgroup_info 0
		.amdhsa_system_vgpr_workitem_id 1
		.amdhsa_next_free_vgpr 256
		.amdhsa_next_free_sgpr 16
		.amdhsa_reserve_vcc 1
		.amdhsa_float_round_mode_32 0
		.amdhsa_float_round_mode_16_64 0
		.amdhsa_float_denorm_mode_32 3
		.amdhsa_float_denorm_mode_16_64 3
		.amdhsa_dx10_clamp 1
		.amdhsa_ieee_mode 1
		.amdhsa_fp16_overflow 0
		.amdhsa_workgroup_processor_mode 1
		.amdhsa_memory_ordered 1
		.amdhsa_forward_progress 0
		.amdhsa_shared_vgpr_count 0
		.amdhsa_exception_fp_ieee_invalid_op 0
		.amdhsa_exception_fp_denorm_src 0
		.amdhsa_exception_fp_ieee_div_zero 0
		.amdhsa_exception_fp_ieee_overflow 0
		.amdhsa_exception_fp_ieee_underflow 0
		.amdhsa_exception_fp_ieee_inexact 0
		.amdhsa_exception_int_div_zero 0
	.end_amdhsa_kernel
	.section	.text._ZN9rocsolver6v33100L23getf2_npvt_small_kernelILi30E19rocblas_complex_numIdEiiPKPS3_EEvT1_T3_lS7_lPT2_S7_S7_,"axG",@progbits,_ZN9rocsolver6v33100L23getf2_npvt_small_kernelILi30E19rocblas_complex_numIdEiiPKPS3_EEvT1_T3_lS7_lPT2_S7_S7_,comdat
.Lfunc_end59:
	.size	_ZN9rocsolver6v33100L23getf2_npvt_small_kernelILi30E19rocblas_complex_numIdEiiPKPS3_EEvT1_T3_lS7_lPT2_S7_S7_, .Lfunc_end59-_ZN9rocsolver6v33100L23getf2_npvt_small_kernelILi30E19rocblas_complex_numIdEiiPKPS3_EEvT1_T3_lS7_lPT2_S7_S7_
                                        ; -- End function
	.section	.AMDGPU.csdata,"",@progbits
; Kernel info:
; codeLenInByte = 59096
; NumSgprs: 18
; NumVgprs: 256
; ScratchSize: 244
; MemoryBound: 1
; FloatMode: 240
; IeeeMode: 1
; LDSByteSize: 0 bytes/workgroup (compile time only)
; SGPRBlocks: 2
; VGPRBlocks: 31
; NumSGPRsForWavesPerEU: 18
; NumVGPRsForWavesPerEU: 256
; Occupancy: 5
; WaveLimiterHint : 1
; COMPUTE_PGM_RSRC2:SCRATCH_EN: 1
; COMPUTE_PGM_RSRC2:USER_SGPR: 14
; COMPUTE_PGM_RSRC2:TRAP_HANDLER: 0
; COMPUTE_PGM_RSRC2:TGID_X_EN: 1
; COMPUTE_PGM_RSRC2:TGID_Y_EN: 1
; COMPUTE_PGM_RSRC2:TGID_Z_EN: 0
; COMPUTE_PGM_RSRC2:TIDIG_COMP_CNT: 1
	.section	.text._ZN9rocsolver6v33100L18getf2_small_kernelILi31E19rocblas_complex_numIdEiiPKPS3_EEvT1_T3_lS7_lPS7_llPT2_S7_S7_S9_l,"axG",@progbits,_ZN9rocsolver6v33100L18getf2_small_kernelILi31E19rocblas_complex_numIdEiiPKPS3_EEvT1_T3_lS7_lPS7_llPT2_S7_S7_S9_l,comdat
	.globl	_ZN9rocsolver6v33100L18getf2_small_kernelILi31E19rocblas_complex_numIdEiiPKPS3_EEvT1_T3_lS7_lPS7_llPT2_S7_S7_S9_l ; -- Begin function _ZN9rocsolver6v33100L18getf2_small_kernelILi31E19rocblas_complex_numIdEiiPKPS3_EEvT1_T3_lS7_lPS7_llPT2_S7_S7_S9_l
	.p2align	8
	.type	_ZN9rocsolver6v33100L18getf2_small_kernelILi31E19rocblas_complex_numIdEiiPKPS3_EEvT1_T3_lS7_lPS7_llPT2_S7_S7_S9_l,@function
_ZN9rocsolver6v33100L18getf2_small_kernelILi31E19rocblas_complex_numIdEiiPKPS3_EEvT1_T3_lS7_lPS7_llPT2_S7_S7_S9_l: ; @_ZN9rocsolver6v33100L18getf2_small_kernelILi31E19rocblas_complex_numIdEiiPKPS3_EEvT1_T3_lS7_lPS7_llPT2_S7_S7_S9_l
; %bb.0:
	s_clause 0x1
	s_load_b32 s2, s[0:1], 0x6c
	s_load_b64 s[12:13], s[0:1], 0x48
	v_bfe_u32 v124, v0, 10, 10
	s_waitcnt lgkmcnt(0)
	s_lshr_b32 s2, s2, 16
	s_delay_alu instid0(VALU_DEP_1) | instid1(SALU_CYCLE_1)
	v_mad_u64_u32 v[249:250], null, s15, s2, v[124:125]
	s_mov_b32 s2, exec_lo
	s_delay_alu instid0(VALU_DEP_1)
	v_cmpx_gt_i32_e64 s12, v249
	s_cbranch_execz .LBB60_654
; %bb.1:
	s_clause 0x1
	s_load_b128 s[4:7], s[0:1], 0x8
	s_load_b128 s[8:11], s[0:1], 0x50
	v_ashrrev_i32_e32 v250, 31, v249
	v_mov_b32_e32 v3, 0
	v_mov_b32_e32 v4, 0
	s_delay_alu instid0(VALU_DEP_3)
	v_lshlrev_b64 v[1:2], 3, v[249:250]
	scratch_store_b64 off, v[3:4], off      ; 8-byte Folded Spill
	s_waitcnt lgkmcnt(0)
	v_add_co_u32 v1, vcc_lo, s4, v1
	v_add_co_ci_u32_e32 v2, vcc_lo, s5, v2, vcc_lo
	s_cmp_eq_u64 s[8:9], 0
	s_cselect_b32 s4, -1, 0
	global_load_b64 v[1:2], v[1:2], off
	s_and_b32 vcc_lo, exec_lo, s4
	s_cbranch_vccnz .LBB60_3
; %bb.2:
	v_mul_lo_u32 v5, v250, s10
	v_mul_lo_u32 v6, v249, s11
	v_mad_u64_u32 v[3:4], null, v249, s10, 0
	s_delay_alu instid0(VALU_DEP_1) | instskip(NEXT) | instid1(VALU_DEP_1)
	v_add3_u32 v4, v4, v6, v5
	v_lshlrev_b64 v[3:4], 2, v[3:4]
	s_delay_alu instid0(VALU_DEP_1) | instskip(NEXT) | instid1(VALU_DEP_2)
	v_add_co_u32 v3, vcc_lo, s8, v3
	v_add_co_ci_u32_e32 v4, vcc_lo, s9, v4, vcc_lo
	scratch_store_b64 off, v[3:4], off      ; 8-byte Folded Spill
.LBB60_3:
	s_clause 0x1
	s_load_b32 s8, s[0:1], 0x18
	s_load_b32 s5, s[0:1], 0x0
	v_and_b32_e32 v149, 0x3ff, v0
	s_lshl_b64 s[2:3], s[6:7], 4
	s_waitcnt vmcnt(0)
	v_add_co_u32 v144, vcc_lo, v1, s2
	s_delay_alu instid0(VALU_DEP_2) | instskip(SKIP_1) | instid1(VALU_DEP_2)
	v_lshlrev_b32_e32 v127, 4, v149
	v_add_co_ci_u32_e32 v145, vcc_lo, s3, v2, vcc_lo
	v_add_co_u32 v2, vcc_lo, v144, v127
	s_delay_alu instid0(VALU_DEP_2)
	v_add_co_ci_u32_e32 v3, vcc_lo, 0, v145, vcc_lo
	s_waitcnt lgkmcnt(0)
	v_add3_u32 v0, s8, s8, v149
	s_ashr_i32 s9, s8, 31
	s_max_i32 s2, s5, 31
	s_lshl_b64 s[10:11], s[8:9], 4
	v_mul_lo_u32 v128, s2, v124
	v_add_nc_u32_e32 v4, s8, v0
	v_add_co_u32 v6, vcc_lo, v2, s10
	v_ashrrev_i32_e32 v1, 31, v0
	v_add_co_ci_u32_e32 v7, vcc_lo, s11, v3, vcc_lo
	s_delay_alu instid0(VALU_DEP_4) | instskip(SKIP_1) | instid1(VALU_DEP_4)
	v_ashrrev_i32_e32 v5, 31, v4
	v_add_nc_u32_e32 v8, s8, v4
	v_lshlrev_b64 v[0:1], 4, v[0:1]
	s_clause 0x1
	global_load_b128 v[52:55], v[2:3], off
	global_load_b128 v[251:254], v[6:7], off
	v_lshl_add_u32 v148, v128, 4, 0
	v_lshlrev_b64 v[2:3], 4, v[4:5]
	v_ashrrev_i32_e32 v9, 31, v8
	v_add_nc_u32_e32 v4, s8, v8
	v_add_co_u32 v0, vcc_lo, v144, v0
	v_add_co_ci_u32_e32 v1, vcc_lo, v145, v1, vcc_lo
	s_delay_alu instid0(VALU_DEP_4) | instskip(NEXT) | instid1(VALU_DEP_4)
	v_lshlrev_b64 v[6:7], 4, v[8:9]
	v_add_nc_u32_e32 v8, s8, v4
	v_ashrrev_i32_e32 v5, 31, v4
	v_add_co_u32 v2, vcc_lo, v144, v2
	v_add_co_ci_u32_e32 v3, vcc_lo, v145, v3, vcc_lo
	s_delay_alu instid0(VALU_DEP_4) | instskip(NEXT) | instid1(VALU_DEP_4)
	v_add_nc_u32_e32 v10, s8, v8
	v_lshlrev_b64 v[4:5], 4, v[4:5]
	v_ashrrev_i32_e32 v9, 31, v8
	s_clause 0x1
	global_load_b128 v[245:248], v[0:1], off
	global_load_b128 v[120:123], v[2:3], off
	v_add_co_u32 v0, vcc_lo, v144, v6
	v_ashrrev_i32_e32 v11, 31, v10
	v_add_nc_u32_e32 v6, s8, v10
	v_add_co_ci_u32_e32 v1, vcc_lo, v145, v7, vcc_lo
	v_lshlrev_b64 v[2:3], 4, v[8:9]
	v_add_co_u32 v4, vcc_lo, v144, v4
	v_add_co_ci_u32_e32 v5, vcc_lo, v145, v5, vcc_lo
	v_lshlrev_b64 v[8:9], 4, v[10:11]
	v_add_nc_u32_e32 v10, s8, v6
	v_ashrrev_i32_e32 v7, 31, v6
	s_clause 0x1
	global_load_b128 v[108:111], v[0:1], off
	global_load_b128 v[104:107], v[4:5], off
	v_add_co_u32 v0, vcc_lo, v144, v2
	v_ashrrev_i32_e32 v11, 31, v10
	v_add_nc_u32_e32 v4, s8, v10
	v_add_co_ci_u32_e32 v1, vcc_lo, v145, v3, vcc_lo
	v_lshlrev_b64 v[2:3], 4, v[6:7]
	v_add_co_u32 v6, vcc_lo, v144, v8
	v_add_co_ci_u32_e32 v7, vcc_lo, v145, v9, vcc_lo
	v_lshlrev_b64 v[8:9], 4, v[10:11]
	v_ashrrev_i32_e32 v5, 31, v4
	v_add_nc_u32_e32 v10, s8, v4
	s_clause 0x1
	global_load_b128 v[84:87], v[0:1], off
	global_load_b128 v[80:83], v[6:7], off
	v_add_co_u32 v0, vcc_lo, v144, v2
	v_add_co_ci_u32_e32 v1, vcc_lo, v145, v3, vcc_lo
	v_lshlrev_b64 v[2:3], 4, v[4:5]
	v_ashrrev_i32_e32 v11, 31, v10
	v_add_nc_u32_e32 v4, s8, v10
	v_add_co_u32 v6, vcc_lo, v144, v8
	v_add_co_ci_u32_e32 v7, vcc_lo, v145, v9, vcc_lo
	s_delay_alu instid0(VALU_DEP_4) | instskip(NEXT) | instid1(VALU_DEP_4)
	v_lshlrev_b64 v[8:9], 4, v[10:11]
	v_ashrrev_i32_e32 v5, 31, v4
	v_add_nc_u32_e32 v10, s8, v4
	s_clause 0x1
	global_load_b128 v[100:103], v[0:1], off
	global_load_b128 v[76:79], v[6:7], off
	v_add_co_u32 v0, vcc_lo, v144, v2
	v_add_co_ci_u32_e32 v1, vcc_lo, v145, v3, vcc_lo
	v_lshlrev_b64 v[2:3], 4, v[4:5]
	v_ashrrev_i32_e32 v11, 31, v10
	v_add_nc_u32_e32 v4, s8, v10
	v_add_co_u32 v6, vcc_lo, v144, v8
	v_add_co_ci_u32_e32 v7, vcc_lo, v145, v9, vcc_lo
	s_delay_alu instid0(VALU_DEP_4) | instskip(NEXT) | instid1(VALU_DEP_4)
	v_lshlrev_b64 v[8:9], 4, v[10:11]
	v_add_nc_u32_e32 v10, s8, v4
	v_ashrrev_i32_e32 v5, 31, v4
	v_add_co_u32 v2, vcc_lo, v144, v2
	v_add_co_ci_u32_e32 v3, vcc_lo, v145, v3, vcc_lo
	s_delay_alu instid0(VALU_DEP_4) | instskip(SKIP_3) | instid1(VALU_DEP_4)
	v_add_nc_u32_e32 v12, s8, v10
	v_ashrrev_i32_e32 v11, 31, v10
	v_lshlrev_b64 v[4:5], 4, v[4:5]
	v_add_co_u32 v8, vcc_lo, v144, v8
	v_add_nc_u32_e32 v14, s8, v12
	v_ashrrev_i32_e32 v13, 31, v12
	v_lshlrev_b64 v[10:11], 4, v[10:11]
	v_add_co_ci_u32_e32 v9, vcc_lo, v145, v9, vcc_lo
	s_delay_alu instid0(VALU_DEP_4) | instskip(SKIP_3) | instid1(VALU_DEP_4)
	v_add_nc_u32_e32 v16, s8, v14
	v_ashrrev_i32_e32 v15, 31, v14
	v_add_co_u32 v4, vcc_lo, v144, v4
	v_lshlrev_b64 v[12:13], 4, v[12:13]
	v_add_nc_u32_e32 v18, s8, v16
	v_ashrrev_i32_e32 v17, 31, v16
	v_add_co_ci_u32_e32 v5, vcc_lo, v145, v5, vcc_lo
	v_add_co_u32 v10, vcc_lo, v144, v10
	s_delay_alu instid0(VALU_DEP_4) | instskip(SKIP_3) | instid1(VALU_DEP_4)
	v_add_nc_u32_e32 v20, s8, v18
	v_lshlrev_b64 v[14:15], 4, v[14:15]
	v_ashrrev_i32_e32 v19, 31, v18
	v_add_co_ci_u32_e32 v11, vcc_lo, v145, v11, vcc_lo
	v_add_nc_u32_e32 v22, s8, v20
	v_add_co_u32 v12, vcc_lo, v144, v12
	v_lshlrev_b64 v[16:17], 4, v[16:17]
	v_ashrrev_i32_e32 v21, 31, v20
	s_delay_alu instid0(VALU_DEP_4) | instskip(SKIP_2) | instid1(VALU_DEP_3)
	v_add_nc_u32_e32 v24, s8, v22
	v_add_co_ci_u32_e32 v13, vcc_lo, v145, v13, vcc_lo
	v_add_co_u32 v14, vcc_lo, v144, v14
	v_add_nc_u32_e32 v26, s8, v24
	v_lshlrev_b64 v[18:19], 4, v[18:19]
	v_ashrrev_i32_e32 v23, 31, v22
	v_add_co_ci_u32_e32 v15, vcc_lo, v145, v15, vcc_lo
	v_add_co_u32 v16, vcc_lo, v144, v16
	v_lshlrev_b64 v[20:21], 4, v[20:21]
	v_add_nc_u32_e32 v28, s8, v26
	v_ashrrev_i32_e32 v25, 31, v24
	v_add_co_ci_u32_e32 v17, vcc_lo, v145, v17, vcc_lo
	v_add_co_u32 v18, vcc_lo, v144, v18
	v_lshlrev_b64 v[22:23], 4, v[22:23]
	v_ashrrev_i32_e32 v27, 31, v26
	v_add_co_ci_u32_e32 v19, vcc_lo, v145, v19, vcc_lo
	v_add_nc_u32_e32 v30, s8, v28
	v_add_co_u32 v20, vcc_lo, v144, v20
	v_lshlrev_b64 v[24:25], 4, v[24:25]
	v_ashrrev_i32_e32 v29, 31, v28
	v_add_co_ci_u32_e32 v21, vcc_lo, v145, v21, vcc_lo
	v_add_co_u32 v22, vcc_lo, v144, v22
	v_lshlrev_b64 v[26:27], 4, v[26:27]
	v_add_nc_u32_e32 v32, s8, v30
	v_add_co_ci_u32_e32 v23, vcc_lo, v145, v23, vcc_lo
	v_add_co_u32 v24, vcc_lo, v144, v24
	v_lshlrev_b64 v[28:29], 4, v[28:29]
	v_ashrrev_i32_e32 v31, 31, v30
	v_add_co_ci_u32_e32 v25, vcc_lo, v145, v25, vcc_lo
	v_add_co_u32 v26, vcc_lo, v144, v26
	v_ashrrev_i32_e32 v33, 31, v32
	v_add_nc_u32_e32 v34, s8, v32
	v_add_co_ci_u32_e32 v27, vcc_lo, v145, v27, vcc_lo
	v_lshlrev_b64 v[30:31], 4, v[30:31]
	v_add_co_u32 v125, vcc_lo, v144, v28
	v_add_co_ci_u32_e32 v126, vcc_lo, v145, v29, vcc_lo
	v_lshlrev_b64 v[28:29], 4, v[32:33]
	v_ashrrev_i32_e32 v35, 31, v34
	v_add_nc_u32_e32 v32, s8, v34
	v_add_co_u32 v132, vcc_lo, v144, v30
	v_add_co_ci_u32_e32 v133, vcc_lo, v145, v31, vcc_lo
	s_delay_alu instid0(VALU_DEP_4) | instskip(NEXT) | instid1(VALU_DEP_4)
	v_lshlrev_b64 v[30:31], 4, v[34:35]
	v_ashrrev_i32_e32 v33, 31, v32
	v_add_nc_u32_e32 v34, s8, v32
	v_add_co_u32 v134, vcc_lo, v144, v28
	v_add_co_ci_u32_e32 v135, vcc_lo, v145, v29, vcc_lo
	s_delay_alu instid0(VALU_DEP_4) | instskip(NEXT) | instid1(VALU_DEP_4)
	v_lshlrev_b64 v[28:29], 4, v[32:33]
	v_add_nc_u32_e32 v32, s8, v34
	v_ashrrev_i32_e32 v35, 31, v34
	v_add_co_u32 v136, vcc_lo, v144, v30
	v_add_co_ci_u32_e32 v137, vcc_lo, v145, v31, vcc_lo
	s_delay_alu instid0(VALU_DEP_4) | instskip(NEXT) | instid1(VALU_DEP_4)
	v_ashrrev_i32_e32 v33, 31, v32
	v_lshlrev_b64 v[30:31], 4, v[34:35]
	v_add_co_u32 v138, vcc_lo, v144, v28
	v_add_co_ci_u32_e32 v139, vcc_lo, v145, v29, vcc_lo
	s_delay_alu instid0(VALU_DEP_4) | instskip(NEXT) | instid1(VALU_DEP_4)
	v_lshlrev_b64 v[28:29], 4, v[32:33]
	v_add_co_u32 v140, vcc_lo, v144, v30
	v_add_co_ci_u32_e32 v141, vcc_lo, v145, v31, vcc_lo
	v_add_nc_u32_e32 v124, v148, v127
	s_delay_alu instid0(VALU_DEP_4)
	v_add_co_u32 v142, vcc_lo, v144, v28
	v_add_co_ci_u32_e32 v143, vcc_lo, v145, v29, vcc_lo
	s_clause 0x14
	global_load_b128 v[112:115], v[0:1], off
	global_load_b128 v[96:99], v[6:7], off
	;; [unrolled: 1-line block ×21, first 2 shown]
	v_mov_b32_e32 v132, 0
	v_lshlrev_b32_e32 v146, 4, v128
	s_cmp_lt_i32 s5, 2
	s_waitcnt vmcnt(30)
	ds_store_2addr_b64 v124, v[52:53], v[54:55] offset1:1
	s_waitcnt vmcnt(0) lgkmcnt(0)
	s_waitcnt_vscnt null, 0x0
	s_barrier
	buffer_gl0_inv
	ds_load_2addr_b64 v[124:127], v148 offset1:1
	s_cbranch_scc1 .LBB60_6
; %bb.4:
	v_add3_u32 v133, v146, 0, 16
	v_mov_b32_e32 v132, 0
	s_mov_b32 s6, 1
	s_set_inst_prefetch_distance 0x1
	.p2align	6
.LBB60_5:                               ; =>This Inner Loop Header: Depth=1
	ds_load_2addr_b64 v[134:137], v133 offset1:1
	s_waitcnt lgkmcnt(1)
	v_cmp_gt_f64_e32 vcc_lo, 0, v[124:125]
	v_xor_b32_e32 v128, 0x80000000, v125
	v_cmp_gt_f64_e64 s2, 0, v[126:127]
	v_xor_b32_e32 v129, 0x80000000, v127
	v_add_nc_u32_e32 v133, 16, v133
	s_waitcnt lgkmcnt(0)
	v_cmp_gt_f64_e64 s3, 0, v[134:135]
	v_mov_b32_e32 v142, v134
	v_dual_mov_b32 v150, v136 :: v_dual_cndmask_b32 v139, v125, v128
	v_xor_b32_e32 v128, 0x80000000, v135
	v_cndmask_b32_e64 v141, v127, v129, s2
	v_xor_b32_e32 v129, 0x80000000, v137
	v_cndmask_b32_e32 v138, v124, v124, vcc_lo
	v_cndmask_b32_e64 v140, v126, v126, s2
	s_delay_alu instid0(VALU_DEP_1) | instskip(SKIP_2) | instid1(VALU_DEP_1)
	v_add_f64 v[138:139], v[138:139], v[140:141]
	v_cndmask_b32_e64 v143, v135, v128, s3
	v_cmp_gt_f64_e64 s3, 0, v[136:137]
	v_cndmask_b32_e64 v151, v137, v129, s3
	s_delay_alu instid0(VALU_DEP_1) | instskip(NEXT) | instid1(VALU_DEP_1)
	v_add_f64 v[142:143], v[142:143], v[150:151]
	v_cmp_lt_f64_e32 vcc_lo, v[138:139], v[142:143]
	v_cndmask_b32_e32 v127, v127, v137, vcc_lo
	v_dual_cndmask_b32 v125, v125, v135 :: v_dual_cndmask_b32 v124, v124, v134
	v_cndmask_b32_e32 v126, v126, v136, vcc_lo
	v_cndmask_b32_e64 v132, v132, s6, vcc_lo
	s_add_i32 s6, s6, 1
	s_delay_alu instid0(SALU_CYCLE_1)
	s_cmp_eq_u32 s5, s6
	s_cbranch_scc0 .LBB60_5
.LBB60_6:
	s_set_inst_prefetch_distance 0x2
	s_waitcnt lgkmcnt(0)
	v_cmp_neq_f64_e32 vcc_lo, 0, v[124:125]
	v_cmp_neq_f64_e64 s2, 0, v[126:127]
	v_dual_mov_b32 v255, 1 :: v_dual_mov_b32 v136, 1
	s_delay_alu instid0(VALU_DEP_2) | instskip(NEXT) | instid1(SALU_CYCLE_1)
	s_or_b32 s2, vcc_lo, s2
	s_and_saveexec_b32 s3, s2
	s_cbranch_execz .LBB60_12
; %bb.7:
	v_cmp_gt_f64_e32 vcc_lo, 0, v[124:125]
	v_cmp_gt_f64_e64 s2, 0, v[126:127]
	v_xor_b32_e32 v128, 0x80000000, v125
	v_xor_b32_e32 v129, 0x80000000, v127
                                        ; implicit-def: $sgpr6
                                        ; implicit-def: $sgpr7
	s_delay_alu instid0(VALU_DEP_2) | instskip(NEXT) | instid1(VALU_DEP_2)
	v_cndmask_b32_e32 v134, v125, v128, vcc_lo
	v_cndmask_b32_e64 v136, v127, v129, s2
	v_cndmask_b32_e32 v133, v124, v124, vcc_lo
	v_cndmask_b32_e64 v135, v126, v126, s2
	s_mov_b32 s2, exec_lo
	s_delay_alu instid0(VALU_DEP_1)
	v_cmpx_ngt_f64_e32 v[133:134], v[135:136]
	s_xor_b32 s2, exec_lo, s2
	s_cbranch_execz .LBB60_9
; %bb.8:
	v_div_scale_f64 v[133:134], null, v[126:127], v[126:127], v[124:125]
	v_div_scale_f64 v[139:140], vcc_lo, v[124:125], v[126:127], v[124:125]
	s_mov_b32 s7, 2
	s_mov_b32 s6, 0
	s_delay_alu instid0(VALU_DEP_2) | instskip(SKIP_2) | instid1(VALU_DEP_1)
	v_rcp_f64_e32 v[135:136], v[133:134]
	s_waitcnt_depctr 0xfff
	v_fma_f64 v[137:138], -v[133:134], v[135:136], 1.0
	v_fma_f64 v[135:136], v[135:136], v[137:138], v[135:136]
	s_delay_alu instid0(VALU_DEP_1) | instskip(NEXT) | instid1(VALU_DEP_1)
	v_fma_f64 v[137:138], -v[133:134], v[135:136], 1.0
	v_fma_f64 v[135:136], v[135:136], v[137:138], v[135:136]
	s_delay_alu instid0(VALU_DEP_1) | instskip(NEXT) | instid1(VALU_DEP_1)
	v_mul_f64 v[137:138], v[139:140], v[135:136]
	v_fma_f64 v[133:134], -v[133:134], v[137:138], v[139:140]
	s_delay_alu instid0(VALU_DEP_1) | instskip(NEXT) | instid1(VALU_DEP_1)
	v_div_fmas_f64 v[133:134], v[133:134], v[135:136], v[137:138]
	v_div_fixup_f64 v[133:134], v[133:134], v[126:127], v[124:125]
	s_delay_alu instid0(VALU_DEP_1) | instskip(NEXT) | instid1(VALU_DEP_1)
	v_fma_f64 v[124:125], v[124:125], v[133:134], v[126:127]
	v_div_scale_f64 v[126:127], null, v[124:125], v[124:125], 1.0
	s_delay_alu instid0(VALU_DEP_1) | instskip(SKIP_2) | instid1(VALU_DEP_1)
	v_rcp_f64_e32 v[135:136], v[126:127]
	s_waitcnt_depctr 0xfff
	v_fma_f64 v[137:138], -v[126:127], v[135:136], 1.0
	v_fma_f64 v[135:136], v[135:136], v[137:138], v[135:136]
	s_delay_alu instid0(VALU_DEP_1) | instskip(NEXT) | instid1(VALU_DEP_1)
	v_fma_f64 v[137:138], -v[126:127], v[135:136], 1.0
	v_fma_f64 v[135:136], v[135:136], v[137:138], v[135:136]
	v_div_scale_f64 v[137:138], vcc_lo, 1.0, v[124:125], 1.0
	s_delay_alu instid0(VALU_DEP_1) | instskip(NEXT) | instid1(VALU_DEP_1)
	v_mul_f64 v[139:140], v[137:138], v[135:136]
	v_fma_f64 v[126:127], -v[126:127], v[139:140], v[137:138]
	s_delay_alu instid0(VALU_DEP_1) | instskip(NEXT) | instid1(VALU_DEP_1)
	v_div_fmas_f64 v[126:127], v[126:127], v[135:136], v[139:140]
	v_div_fixup_f64 v[126:127], v[126:127], v[124:125], 1.0
	s_delay_alu instid0(VALU_DEP_1)
	v_mul_f64 v[124:125], v[133:134], v[126:127]
	v_xor_b32_e32 v127, 0x80000000, v127
.LBB60_9:
	s_or_saveexec_b32 s2, s2
	v_dual_mov_b32 v136, s6 :: v_dual_mov_b32 v255, s7
	s_xor_b32 exec_lo, exec_lo, s2
	s_cbranch_execz .LBB60_11
; %bb.10:
	s_delay_alu instid0(VALU_DEP_3) | instskip(SKIP_2) | instid1(VALU_DEP_3)
	v_div_scale_f64 v[133:134], null, v[124:125], v[124:125], v[126:127]
	v_div_scale_f64 v[139:140], vcc_lo, v[126:127], v[124:125], v[126:127]
	v_mov_b32_e32 v255, 2
	v_rcp_f64_e32 v[135:136], v[133:134]
	s_waitcnt_depctr 0xfff
	v_fma_f64 v[137:138], -v[133:134], v[135:136], 1.0
	s_delay_alu instid0(VALU_DEP_1) | instskip(NEXT) | instid1(VALU_DEP_1)
	v_fma_f64 v[135:136], v[135:136], v[137:138], v[135:136]
	v_fma_f64 v[137:138], -v[133:134], v[135:136], 1.0
	s_delay_alu instid0(VALU_DEP_1) | instskip(NEXT) | instid1(VALU_DEP_1)
	v_fma_f64 v[135:136], v[135:136], v[137:138], v[135:136]
	v_mul_f64 v[137:138], v[139:140], v[135:136]
	s_delay_alu instid0(VALU_DEP_1) | instskip(NEXT) | instid1(VALU_DEP_1)
	v_fma_f64 v[133:134], -v[133:134], v[137:138], v[139:140]
	v_div_fmas_f64 v[133:134], v[133:134], v[135:136], v[137:138]
	s_delay_alu instid0(VALU_DEP_1) | instskip(NEXT) | instid1(VALU_DEP_1)
	v_div_fixup_f64 v[133:134], v[133:134], v[124:125], v[126:127]
	v_fma_f64 v[124:125], v[126:127], v[133:134], v[124:125]
	s_delay_alu instid0(VALU_DEP_1) | instskip(NEXT) | instid1(VALU_DEP_1)
	v_div_scale_f64 v[126:127], null, v[124:125], v[124:125], 1.0
	v_rcp_f64_e32 v[135:136], v[126:127]
	s_waitcnt_depctr 0xfff
	v_fma_f64 v[137:138], -v[126:127], v[135:136], 1.0
	s_delay_alu instid0(VALU_DEP_1) | instskip(NEXT) | instid1(VALU_DEP_1)
	v_fma_f64 v[135:136], v[135:136], v[137:138], v[135:136]
	v_fma_f64 v[137:138], -v[126:127], v[135:136], 1.0
	s_delay_alu instid0(VALU_DEP_1) | instskip(SKIP_1) | instid1(VALU_DEP_1)
	v_fma_f64 v[135:136], v[135:136], v[137:138], v[135:136]
	v_div_scale_f64 v[137:138], vcc_lo, 1.0, v[124:125], 1.0
	v_mul_f64 v[139:140], v[137:138], v[135:136]
	s_delay_alu instid0(VALU_DEP_1) | instskip(NEXT) | instid1(VALU_DEP_1)
	v_fma_f64 v[126:127], -v[126:127], v[139:140], v[137:138]
	v_div_fmas_f64 v[126:127], v[126:127], v[135:136], v[139:140]
	v_mov_b32_e32 v136, 0
	s_delay_alu instid0(VALU_DEP_2) | instskip(NEXT) | instid1(VALU_DEP_1)
	v_div_fixup_f64 v[124:125], v[126:127], v[124:125], 1.0
	v_mul_f64 v[126:127], v[133:134], -v[124:125]
.LBB60_11:
	s_or_b32 exec_lo, exec_lo, s2
.LBB60_12:
	s_delay_alu instid0(SALU_CYCLE_1) | instskip(NEXT) | instid1(SALU_CYCLE_1)
	s_or_b32 exec_lo, exec_lo, s3
	s_mov_b32 s2, exec_lo
	v_cmpx_ne_u32_e64 v149, v132
	s_xor_b32 s2, exec_lo, s2
	s_cbranch_execz .LBB60_18
; %bb.13:
	s_mov_b32 s3, exec_lo
	v_cmpx_eq_u32_e32 0, v149
	s_cbranch_execz .LBB60_17
; %bb.14:
	v_cmp_ne_u32_e32 vcc_lo, 0, v132
	s_xor_b32 s6, s4, -1
	s_delay_alu instid0(SALU_CYCLE_1) | instskip(NEXT) | instid1(SALU_CYCLE_1)
	s_and_b32 s7, s6, vcc_lo
	s_and_saveexec_b32 s6, s7
	s_cbranch_execz .LBB60_16
; %bb.15:
	scratch_load_b64 v[40:41], off, off     ; 8-byte Folded Reload
	v_ashrrev_i32_e32 v133, 31, v132
	s_delay_alu instid0(VALU_DEP_1) | instskip(SKIP_1) | instid1(VALU_DEP_1)
	v_lshlrev_b64 v[133:134], 2, v[132:133]
	s_waitcnt vmcnt(0)
	v_add_co_u32 v133, vcc_lo, v40, v133
	s_delay_alu instid0(VALU_DEP_2)
	v_add_co_ci_u32_e32 v134, vcc_lo, v41, v134, vcc_lo
	s_clause 0x1
	flat_load_b32 v128, v[133:134]
	flat_load_b32 v129, v[40:41]
	s_waitcnt vmcnt(1) lgkmcnt(1)
	flat_store_b32 v[40:41], v128
	s_waitcnt vmcnt(0) lgkmcnt(1)
	flat_store_b32 v[133:134], v129
.LBB60_16:
	s_or_b32 exec_lo, exec_lo, s6
	v_mov_b32_e32 v149, v132
.LBB60_17:
	s_or_b32 exec_lo, exec_lo, s3
.LBB60_18:
	s_or_saveexec_b32 s2, s2
	s_delay_alu instid0(VALU_DEP_1)
	v_mov_b32_e32 v150, v149
	s_xor_b32 exec_lo, exec_lo, s2
	s_cbranch_execz .LBB60_20
; %bb.19:
	v_mov_b32_e32 v150, 0
	ds_store_2addr_b64 v148, v[251:252], v[253:254] offset0:2 offset1:3
	ds_store_2addr_b64 v148, v[245:246], v[247:248] offset0:4 offset1:5
	;; [unrolled: 1-line block ×30, first 2 shown]
.LBB60_20:
	s_or_b32 exec_lo, exec_lo, s2
	s_delay_alu instid0(SALU_CYCLE_1)
	s_mov_b32 s2, exec_lo
	s_waitcnt lgkmcnt(0)
	s_waitcnt_vscnt null, 0x0
	s_barrier
	buffer_gl0_inv
	v_cmpx_lt_i32_e32 0, v150
	s_cbranch_execz .LBB60_22
; %bb.21:
	v_dual_mov_b32 v40, v52 :: v_dual_mov_b32 v41, v53
	v_dual_mov_b32 v42, v54 :: v_dual_mov_b32 v43, v55
	v_mul_f64 v[132:133], v[126:127], v[54:55]
	s_delay_alu instid0(VALU_DEP_2) | instskip(NEXT) | instid1(VALU_DEP_2)
	v_mul_f64 v[54:55], v[124:125], v[42:43]
	v_fma_f64 v[132:133], v[124:125], v[52:53], -v[132:133]
	s_delay_alu instid0(VALU_DEP_2)
	v_fma_f64 v[42:43], v[126:127], v[40:41], v[54:55]
	ds_load_2addr_b64 v[124:127], v148 offset0:2 offset1:3
	ds_load_2addr_b64 v[137:140], v148 offset0:4 offset1:5
	v_dual_mov_b32 v54, v249 :: v_dual_mov_b32 v55, v250
	v_mov_b32_e32 v143, v146
	s_waitcnt lgkmcnt(1)
	v_mul_f64 v[52:53], v[126:127], v[42:43]
	s_waitcnt lgkmcnt(0)
	v_mul_f64 v[134:135], v[137:138], v[42:43]
	s_delay_alu instid0(VALU_DEP_2) | instskip(SKIP_1) | instid1(VALU_DEP_3)
	v_fma_f64 v[52:53], v[124:125], v[132:133], -v[52:53]
	v_mul_f64 v[124:125], v[124:125], v[42:43]
	v_fma_f64 v[134:135], v[139:140], v[132:133], v[134:135]
	s_delay_alu instid0(VALU_DEP_3) | instskip(NEXT) | instid1(VALU_DEP_3)
	v_add_f64 v[251:252], v[251:252], -v[52:53]
	v_fma_f64 v[124:125], v[126:127], v[132:133], v[124:125]
	v_mul_f64 v[126:127], v[139:140], v[42:43]
	s_delay_alu instid0(VALU_DEP_4) | instskip(SKIP_1) | instid1(VALU_DEP_4)
	v_add_f64 v[247:248], v[247:248], -v[134:135]
	v_dual_mov_b32 v52, v132 :: v_dual_mov_b32 v53, v133
	v_add_f64 v[253:254], v[253:254], -v[124:125]
	s_delay_alu instid0(VALU_DEP_4)
	v_fma_f64 v[126:127], v[137:138], v[132:133], -v[126:127]
	ds_load_2addr_b64 v[137:140], v148 offset0:6 offset1:7
	ds_load_2addr_b64 v[151:154], v148 offset0:8 offset1:9
	s_waitcnt lgkmcnt(1)
	v_mul_f64 v[141:142], v[139:140], v[42:43]
	v_add_f64 v[245:246], v[245:246], -v[126:127]
	s_delay_alu instid0(VALU_DEP_2) | instskip(SKIP_1) | instid1(VALU_DEP_2)
	v_fma_f64 v[141:142], v[137:138], v[132:133], -v[141:142]
	v_mul_f64 v[137:138], v[137:138], v[42:43]
	v_add_f64 v[120:121], v[120:121], -v[141:142]
	s_delay_alu instid0(VALU_DEP_2) | instskip(SKIP_2) | instid1(VALU_DEP_2)
	v_fma_f64 v[155:156], v[139:140], v[132:133], v[137:138]
	s_waitcnt lgkmcnt(0)
	v_mul_f64 v[137:138], v[153:154], v[42:43]
	v_add_f64 v[122:123], v[122:123], -v[155:156]
	s_delay_alu instid0(VALU_DEP_2) | instskip(SKIP_1) | instid1(VALU_DEP_2)
	v_fma_f64 v[157:158], v[151:152], v[132:133], -v[137:138]
	v_mul_f64 v[137:138], v[151:152], v[42:43]
	v_add_f64 v[108:109], v[108:109], -v[157:158]
	s_delay_alu instid0(VALU_DEP_2)
	v_fma_f64 v[159:160], v[153:154], v[132:133], v[137:138]
	ds_load_2addr_b64 v[137:140], v148 offset0:10 offset1:11
	ds_load_2addr_b64 v[151:154], v148 offset0:12 offset1:13
	s_waitcnt lgkmcnt(1)
	v_mul_f64 v[161:162], v[139:140], v[42:43]
	v_add_f64 v[110:111], v[110:111], -v[159:160]
	s_delay_alu instid0(VALU_DEP_2) | instskip(SKIP_1) | instid1(VALU_DEP_2)
	v_fma_f64 v[161:162], v[137:138], v[132:133], -v[161:162]
	v_mul_f64 v[137:138], v[137:138], v[42:43]
	v_add_f64 v[104:105], v[104:105], -v[161:162]
	s_delay_alu instid0(VALU_DEP_2) | instskip(SKIP_2) | instid1(VALU_DEP_2)
	v_fma_f64 v[163:164], v[139:140], v[132:133], v[137:138]
	s_waitcnt lgkmcnt(0)
	v_mul_f64 v[137:138], v[153:154], v[42:43]
	v_add_f64 v[106:107], v[106:107], -v[163:164]
	s_delay_alu instid0(VALU_DEP_2) | instskip(SKIP_1) | instid1(VALU_DEP_2)
	v_fma_f64 v[165:166], v[151:152], v[132:133], -v[137:138]
	v_mul_f64 v[137:138], v[151:152], v[42:43]
	v_add_f64 v[84:85], v[84:85], -v[165:166]
	s_delay_alu instid0(VALU_DEP_2)
	v_fma_f64 v[167:168], v[153:154], v[132:133], v[137:138]
	;; [unrolled: 20-line block ×12, first 2 shown]
	ds_load_2addr_b64 v[137:140], v148 offset0:54 offset1:55
	ds_load_2addr_b64 v[151:154], v148 offset0:56 offset1:57
	s_waitcnt lgkmcnt(1)
	v_mul_f64 v[249:250], v[139:140], v[42:43]
	v_add_f64 v[18:19], v[18:19], -v[116:117]
	s_delay_alu instid0(VALU_DEP_2) | instskip(SKIP_1) | instid1(VALU_DEP_2)
	v_fma_f64 v[249:250], v[137:138], v[132:133], -v[249:250]
	v_mul_f64 v[137:138], v[137:138], v[42:43]
	v_add_f64 v[12:13], v[12:13], -v[249:250]
	s_delay_alu instid0(VALU_DEP_2) | instskip(SKIP_4) | instid1(VALU_DEP_4)
	v_fma_f64 v[40:41], v[139:140], v[132:133], v[137:138]
	s_waitcnt lgkmcnt(0)
	v_mul_f64 v[137:138], v[153:154], v[42:43]
	v_dual_mov_b32 v250, v55 :: v_dual_mov_b32 v249, v54
	v_dual_mov_b32 v55, v43 :: v_dual_mov_b32 v54, v42
	v_add_f64 v[14:15], v[14:15], -v[40:41]
	s_delay_alu instid0(VALU_DEP_4) | instskip(SKIP_1) | instid1(VALU_DEP_2)
	v_fma_f64 v[146:147], v[151:152], v[132:133], -v[137:138]
	v_mul_f64 v[137:138], v[151:152], v[42:43]
	v_add_f64 v[8:9], v[8:9], -v[146:147]
	s_delay_alu instid0(VALU_DEP_2)
	v_fma_f64 v[128:129], v[153:154], v[132:133], v[137:138]
	ds_load_2addr_b64 v[137:140], v148 offset0:58 offset1:59
	ds_load_2addr_b64 v[151:154], v148 offset0:60 offset1:61
	v_mov_b32_e32 v146, v143
	s_waitcnt lgkmcnt(1)
	v_mul_f64 v[130:131], v[139:140], v[42:43]
	v_add_f64 v[10:11], v[10:11], -v[128:129]
	s_delay_alu instid0(VALU_DEP_2) | instskip(SKIP_1) | instid1(VALU_DEP_2)
	v_fma_f64 v[130:131], v[137:138], v[132:133], -v[130:131]
	v_mul_f64 v[137:138], v[137:138], v[42:43]
	v_add_f64 v[4:5], v[4:5], -v[130:131]
	s_delay_alu instid0(VALU_DEP_2) | instskip(SKIP_2) | instid1(VALU_DEP_2)
	v_fma_f64 v[137:138], v[139:140], v[132:133], v[137:138]
	s_waitcnt lgkmcnt(0)
	v_mul_f64 v[139:140], v[153:154], v[42:43]
	v_add_f64 v[6:7], v[6:7], -v[137:138]
	s_delay_alu instid0(VALU_DEP_2) | instskip(SKIP_1) | instid1(VALU_DEP_2)
	v_fma_f64 v[139:140], v[151:152], v[132:133], -v[139:140]
	v_mul_f64 v[151:152], v[151:152], v[42:43]
	v_add_f64 v[0:1], v[0:1], -v[139:140]
	s_delay_alu instid0(VALU_DEP_2) | instskip(NEXT) | instid1(VALU_DEP_1)
	v_fma_f64 v[151:152], v[153:154], v[132:133], v[151:152]
	v_add_f64 v[2:3], v[2:3], -v[151:152]
.LBB60_22:
	s_or_b32 exec_lo, exec_lo, s2
	v_lshl_add_u32 v124, v150, 4, v148
	s_barrier
	buffer_gl0_inv
	v_mov_b32_e32 v132, 1
	ds_store_2addr_b64 v124, v[251:252], v[253:254] offset1:1
	s_waitcnt lgkmcnt(0)
	s_barrier
	buffer_gl0_inv
	ds_load_2addr_b64 v[124:127], v148 offset0:2 offset1:3
	s_cmp_lt_i32 s5, 3
	s_cbranch_scc1 .LBB60_25
; %bb.23:
	v_add3_u32 v133, v146, 0, 32
	v_mov_b32_e32 v132, 1
	s_mov_b32 s6, 2
	s_set_inst_prefetch_distance 0x1
	.p2align	6
.LBB60_24:                              ; =>This Inner Loop Header: Depth=1
	ds_load_2addr_b64 v[137:140], v133 offset1:1
	s_waitcnt lgkmcnt(1)
	v_cmp_gt_f64_e32 vcc_lo, 0, v[124:125]
	v_xor_b32_e32 v128, 0x80000000, v125
	v_cmp_gt_f64_e64 s2, 0, v[126:127]
	v_xor_b32_e32 v130, 0x80000000, v127
	v_add_nc_u32_e32 v133, 16, v133
	s_waitcnt lgkmcnt(0)
	v_cmp_gt_f64_e64 s3, 0, v[137:138]
	v_dual_mov_b32 v134, v137 :: v_dual_mov_b32 v141, v139
	v_cndmask_b32_e32 v129, v125, v128, vcc_lo
	v_xor_b32_e32 v128, 0x80000000, v138
	v_cndmask_b32_e64 v131, v127, v130, s2
	v_xor_b32_e32 v130, 0x80000000, v140
	s_delay_alu instid0(VALU_DEP_3) | instskip(SKIP_2) | instid1(VALU_DEP_2)
	v_cndmask_b32_e64 v135, v138, v128, s3
	v_cmp_gt_f64_e64 s3, 0, v[139:140]
	v_cndmask_b32_e32 v128, v124, v124, vcc_lo
	v_cndmask_b32_e64 v142, v140, v130, s3
	v_cndmask_b32_e64 v130, v126, v126, s2
	s_delay_alu instid0(VALU_DEP_2) | instskip(NEXT) | instid1(VALU_DEP_2)
	v_add_f64 v[134:135], v[134:135], v[141:142]
	v_add_f64 v[128:129], v[128:129], v[130:131]
	s_delay_alu instid0(VALU_DEP_1) | instskip(SKIP_4) | instid1(SALU_CYCLE_1)
	v_cmp_lt_f64_e32 vcc_lo, v[128:129], v[134:135]
	v_dual_cndmask_b32 v125, v125, v138 :: v_dual_cndmask_b32 v124, v124, v137
	v_dual_cndmask_b32 v127, v127, v140 :: v_dual_cndmask_b32 v126, v126, v139
	v_cndmask_b32_e64 v132, v132, s6, vcc_lo
	s_add_i32 s6, s6, 1
	s_cmp_lg_u32 s5, s6
	s_cbranch_scc1 .LBB60_24
.LBB60_25:
	s_set_inst_prefetch_distance 0x2
	s_waitcnt lgkmcnt(0)
	v_cmp_neq_f64_e32 vcc_lo, 0, v[124:125]
	v_cmp_neq_f64_e64 s2, 0, v[126:127]
	s_delay_alu instid0(VALU_DEP_1) | instskip(NEXT) | instid1(SALU_CYCLE_1)
	s_or_b32 s2, vcc_lo, s2
	s_and_saveexec_b32 s3, s2
	s_cbranch_execz .LBB60_31
; %bb.26:
	v_cmp_gt_f64_e32 vcc_lo, 0, v[124:125]
	v_cmp_gt_f64_e64 s2, 0, v[126:127]
	v_xor_b32_e32 v128, 0x80000000, v125
	v_xor_b32_e32 v130, 0x80000000, v127
	s_delay_alu instid0(VALU_DEP_2) | instskip(NEXT) | instid1(VALU_DEP_2)
	v_cndmask_b32_e32 v129, v125, v128, vcc_lo
	v_cndmask_b32_e64 v131, v127, v130, s2
	v_cndmask_b32_e32 v128, v124, v124, vcc_lo
	v_cndmask_b32_e64 v130, v126, v126, s2
	s_mov_b32 s2, exec_lo
	s_delay_alu instid0(VALU_DEP_1)
	v_cmpx_ngt_f64_e32 v[128:129], v[130:131]
	s_xor_b32 s2, exec_lo, s2
	s_cbranch_execz .LBB60_28
; %bb.27:
	v_div_scale_f64 v[128:129], null, v[126:127], v[126:127], v[124:125]
	v_div_scale_f64 v[137:138], vcc_lo, v[124:125], v[126:127], v[124:125]
	s_delay_alu instid0(VALU_DEP_2) | instskip(SKIP_2) | instid1(VALU_DEP_1)
	v_rcp_f64_e32 v[130:131], v[128:129]
	s_waitcnt_depctr 0xfff
	v_fma_f64 v[133:134], -v[128:129], v[130:131], 1.0
	v_fma_f64 v[130:131], v[130:131], v[133:134], v[130:131]
	s_delay_alu instid0(VALU_DEP_1) | instskip(NEXT) | instid1(VALU_DEP_1)
	v_fma_f64 v[133:134], -v[128:129], v[130:131], 1.0
	v_fma_f64 v[130:131], v[130:131], v[133:134], v[130:131]
	s_delay_alu instid0(VALU_DEP_1) | instskip(NEXT) | instid1(VALU_DEP_1)
	v_mul_f64 v[133:134], v[137:138], v[130:131]
	v_fma_f64 v[128:129], -v[128:129], v[133:134], v[137:138]
	s_delay_alu instid0(VALU_DEP_1) | instskip(NEXT) | instid1(VALU_DEP_1)
	v_div_fmas_f64 v[128:129], v[128:129], v[130:131], v[133:134]
	v_div_fixup_f64 v[128:129], v[128:129], v[126:127], v[124:125]
	s_delay_alu instid0(VALU_DEP_1) | instskip(NEXT) | instid1(VALU_DEP_1)
	v_fma_f64 v[124:125], v[124:125], v[128:129], v[126:127]
	v_div_scale_f64 v[126:127], null, v[124:125], v[124:125], 1.0
	s_delay_alu instid0(VALU_DEP_1) | instskip(SKIP_2) | instid1(VALU_DEP_1)
	v_rcp_f64_e32 v[130:131], v[126:127]
	s_waitcnt_depctr 0xfff
	v_fma_f64 v[133:134], -v[126:127], v[130:131], 1.0
	v_fma_f64 v[130:131], v[130:131], v[133:134], v[130:131]
	s_delay_alu instid0(VALU_DEP_1) | instskip(NEXT) | instid1(VALU_DEP_1)
	v_fma_f64 v[133:134], -v[126:127], v[130:131], 1.0
	v_fma_f64 v[130:131], v[130:131], v[133:134], v[130:131]
	v_div_scale_f64 v[133:134], vcc_lo, 1.0, v[124:125], 1.0
	s_delay_alu instid0(VALU_DEP_1) | instskip(NEXT) | instid1(VALU_DEP_1)
	v_mul_f64 v[137:138], v[133:134], v[130:131]
	v_fma_f64 v[126:127], -v[126:127], v[137:138], v[133:134]
	s_delay_alu instid0(VALU_DEP_1) | instskip(NEXT) | instid1(VALU_DEP_1)
	v_div_fmas_f64 v[126:127], v[126:127], v[130:131], v[137:138]
	v_div_fixup_f64 v[126:127], v[126:127], v[124:125], 1.0
	s_delay_alu instid0(VALU_DEP_1)
	v_mul_f64 v[124:125], v[128:129], v[126:127]
	v_xor_b32_e32 v127, 0x80000000, v127
.LBB60_28:
	s_and_not1_saveexec_b32 s2, s2
	s_cbranch_execz .LBB60_30
; %bb.29:
	s_delay_alu instid0(VALU_DEP_1) | instskip(SKIP_1) | instid1(VALU_DEP_2)
	v_div_scale_f64 v[128:129], null, v[124:125], v[124:125], v[126:127]
	v_div_scale_f64 v[137:138], vcc_lo, v[126:127], v[124:125], v[126:127]
	v_rcp_f64_e32 v[130:131], v[128:129]
	s_waitcnt_depctr 0xfff
	v_fma_f64 v[133:134], -v[128:129], v[130:131], 1.0
	s_delay_alu instid0(VALU_DEP_1) | instskip(NEXT) | instid1(VALU_DEP_1)
	v_fma_f64 v[130:131], v[130:131], v[133:134], v[130:131]
	v_fma_f64 v[133:134], -v[128:129], v[130:131], 1.0
	s_delay_alu instid0(VALU_DEP_1) | instskip(NEXT) | instid1(VALU_DEP_1)
	v_fma_f64 v[130:131], v[130:131], v[133:134], v[130:131]
	v_mul_f64 v[133:134], v[137:138], v[130:131]
	s_delay_alu instid0(VALU_DEP_1) | instskip(NEXT) | instid1(VALU_DEP_1)
	v_fma_f64 v[128:129], -v[128:129], v[133:134], v[137:138]
	v_div_fmas_f64 v[128:129], v[128:129], v[130:131], v[133:134]
	s_delay_alu instid0(VALU_DEP_1) | instskip(NEXT) | instid1(VALU_DEP_1)
	v_div_fixup_f64 v[128:129], v[128:129], v[124:125], v[126:127]
	v_fma_f64 v[124:125], v[126:127], v[128:129], v[124:125]
	s_delay_alu instid0(VALU_DEP_1) | instskip(NEXT) | instid1(VALU_DEP_1)
	v_div_scale_f64 v[126:127], null, v[124:125], v[124:125], 1.0
	v_rcp_f64_e32 v[130:131], v[126:127]
	s_waitcnt_depctr 0xfff
	v_fma_f64 v[133:134], -v[126:127], v[130:131], 1.0
	s_delay_alu instid0(VALU_DEP_1) | instskip(NEXT) | instid1(VALU_DEP_1)
	v_fma_f64 v[130:131], v[130:131], v[133:134], v[130:131]
	v_fma_f64 v[133:134], -v[126:127], v[130:131], 1.0
	s_delay_alu instid0(VALU_DEP_1) | instskip(SKIP_1) | instid1(VALU_DEP_1)
	v_fma_f64 v[130:131], v[130:131], v[133:134], v[130:131]
	v_div_scale_f64 v[133:134], vcc_lo, 1.0, v[124:125], 1.0
	v_mul_f64 v[137:138], v[133:134], v[130:131]
	s_delay_alu instid0(VALU_DEP_1) | instskip(NEXT) | instid1(VALU_DEP_1)
	v_fma_f64 v[126:127], -v[126:127], v[137:138], v[133:134]
	v_div_fmas_f64 v[126:127], v[126:127], v[130:131], v[137:138]
	s_delay_alu instid0(VALU_DEP_1) | instskip(NEXT) | instid1(VALU_DEP_1)
	v_div_fixup_f64 v[124:125], v[126:127], v[124:125], 1.0
	v_mul_f64 v[126:127], v[128:129], -v[124:125]
.LBB60_30:
	s_or_b32 exec_lo, exec_lo, s2
	v_mov_b32_e32 v255, v136
.LBB60_31:
	s_or_b32 exec_lo, exec_lo, s3
	s_delay_alu instid0(SALU_CYCLE_1)
	s_mov_b32 s2, exec_lo
	v_cmpx_ne_u32_e64 v150, v132
	s_xor_b32 s2, exec_lo, s2
	s_cbranch_execz .LBB60_37
; %bb.32:
	s_mov_b32 s3, exec_lo
	v_cmpx_eq_u32_e32 1, v150
	s_cbranch_execz .LBB60_36
; %bb.33:
	v_cmp_ne_u32_e32 vcc_lo, 1, v132
	s_xor_b32 s6, s4, -1
	s_delay_alu instid0(SALU_CYCLE_1) | instskip(NEXT) | instid1(SALU_CYCLE_1)
	s_and_b32 s7, s6, vcc_lo
	s_and_saveexec_b32 s6, s7
	s_cbranch_execz .LBB60_35
; %bb.34:
	scratch_load_b64 v[40:41], off, off     ; 8-byte Folded Reload
	v_ashrrev_i32_e32 v133, 31, v132
	s_delay_alu instid0(VALU_DEP_1) | instskip(SKIP_1) | instid1(VALU_DEP_1)
	v_lshlrev_b64 v[128:129], 2, v[132:133]
	s_waitcnt vmcnt(0)
	v_add_co_u32 v128, vcc_lo, v40, v128
	s_delay_alu instid0(VALU_DEP_2)
	v_add_co_ci_u32_e32 v129, vcc_lo, v41, v129, vcc_lo
	s_clause 0x1
	flat_load_b32 v130, v[128:129]
	flat_load_b32 v131, v[40:41] offset:4
	s_waitcnt vmcnt(1) lgkmcnt(1)
	flat_store_b32 v[40:41], v130 offset:4
	s_waitcnt vmcnt(0) lgkmcnt(1)
	flat_store_b32 v[128:129], v131
.LBB60_35:
	s_or_b32 exec_lo, exec_lo, s6
	v_mov_b32_e32 v150, v132
	v_mov_b32_e32 v149, v132
.LBB60_36:
	s_or_b32 exec_lo, exec_lo, s3
.LBB60_37:
	s_and_not1_saveexec_b32 s2, s2
	s_cbranch_execz .LBB60_39
; %bb.38:
	v_mov_b32_e32 v150, 1
	ds_store_2addr_b64 v148, v[245:246], v[247:248] offset0:4 offset1:5
	ds_store_2addr_b64 v148, v[120:121], v[122:123] offset0:6 offset1:7
	;; [unrolled: 1-line block ×29, first 2 shown]
.LBB60_39:
	s_or_b32 exec_lo, exec_lo, s2
	s_delay_alu instid0(SALU_CYCLE_1)
	s_mov_b32 s2, exec_lo
	s_waitcnt lgkmcnt(0)
	s_waitcnt_vscnt null, 0x0
	s_barrier
	buffer_gl0_inv
	v_cmpx_lt_i32_e32 1, v150
	s_cbranch_execz .LBB60_41
; %bb.40:
	v_mul_f64 v[42:43], v[124:125], v[253:254]
	v_mul_f64 v[128:129], v[126:127], v[253:254]
	s_delay_alu instid0(VALU_DEP_2) | instskip(NEXT) | instid1(VALU_DEP_2)
	v_fma_f64 v[253:254], v[126:127], v[251:252], v[42:43]
	v_fma_f64 v[132:133], v[124:125], v[251:252], -v[128:129]
	ds_load_2addr_b64 v[124:127], v148 offset0:4 offset1:5
	ds_load_2addr_b64 v[134:137], v148 offset0:6 offset1:7
	s_waitcnt lgkmcnt(1)
	v_mul_f64 v[40:41], v[126:127], v[253:254]
	v_dual_mov_b32 v252, v133 :: v_dual_mov_b32 v251, v132
	s_delay_alu instid0(VALU_DEP_2) | instskip(SKIP_1) | instid1(VALU_DEP_2)
	v_fma_f64 v[40:41], v[124:125], v[132:133], -v[40:41]
	v_mul_f64 v[124:125], v[124:125], v[253:254]
	v_add_f64 v[245:246], v[245:246], -v[40:41]
	s_delay_alu instid0(VALU_DEP_2) | instskip(SKIP_2) | instid1(VALU_DEP_2)
	v_fma_f64 v[128:129], v[126:127], v[132:133], v[124:125]
	s_waitcnt lgkmcnt(0)
	v_mul_f64 v[124:125], v[136:137], v[253:254]
	v_add_f64 v[247:248], v[247:248], -v[128:129]
	s_delay_alu instid0(VALU_DEP_2) | instskip(SKIP_1) | instid1(VALU_DEP_2)
	v_fma_f64 v[130:131], v[134:135], v[132:133], -v[124:125]
	v_mul_f64 v[124:125], v[134:135], v[253:254]
	v_add_f64 v[120:121], v[120:121], -v[130:131]
	s_delay_alu instid0(VALU_DEP_2)
	v_fma_f64 v[138:139], v[136:137], v[132:133], v[124:125]
	ds_load_2addr_b64 v[124:127], v148 offset0:8 offset1:9
	ds_load_2addr_b64 v[134:137], v148 offset0:10 offset1:11
	s_waitcnt lgkmcnt(1)
	v_mul_f64 v[140:141], v[126:127], v[253:254]
	v_add_f64 v[122:123], v[122:123], -v[138:139]
	s_delay_alu instid0(VALU_DEP_2) | instskip(SKIP_1) | instid1(VALU_DEP_2)
	v_fma_f64 v[140:141], v[124:125], v[132:133], -v[140:141]
	v_mul_f64 v[124:125], v[124:125], v[253:254]
	v_add_f64 v[108:109], v[108:109], -v[140:141]
	s_delay_alu instid0(VALU_DEP_2) | instskip(SKIP_2) | instid1(VALU_DEP_2)
	v_fma_f64 v[142:143], v[126:127], v[132:133], v[124:125]
	s_waitcnt lgkmcnt(0)
	v_mul_f64 v[124:125], v[136:137], v[253:254]
	v_add_f64 v[110:111], v[110:111], -v[142:143]
	s_delay_alu instid0(VALU_DEP_2) | instskip(SKIP_1) | instid1(VALU_DEP_2)
	v_fma_f64 v[151:152], v[134:135], v[132:133], -v[124:125]
	v_mul_f64 v[124:125], v[134:135], v[253:254]
	v_add_f64 v[104:105], v[104:105], -v[151:152]
	s_delay_alu instid0(VALU_DEP_2)
	v_fma_f64 v[153:154], v[136:137], v[132:133], v[124:125]
	ds_load_2addr_b64 v[124:127], v148 offset0:12 offset1:13
	ds_load_2addr_b64 v[134:137], v148 offset0:14 offset1:15
	s_waitcnt lgkmcnt(1)
	v_mul_f64 v[155:156], v[126:127], v[253:254]
	v_add_f64 v[106:107], v[106:107], -v[153:154]
	;; [unrolled: 20-line block ×13, first 2 shown]
	s_delay_alu instid0(VALU_DEP_2) | instskip(SKIP_1) | instid1(VALU_DEP_2)
	v_fma_f64 v[243:244], v[124:125], v[132:133], -v[243:244]
	v_mul_f64 v[124:125], v[124:125], v[253:254]
	v_add_f64 v[8:9], v[8:9], -v[243:244]
	s_delay_alu instid0(VALU_DEP_2) | instskip(SKIP_2) | instid1(VALU_DEP_2)
	v_fma_f64 v[42:43], v[126:127], v[132:133], v[124:125]
	s_waitcnt lgkmcnt(0)
	v_mul_f64 v[124:125], v[136:137], v[253:254]
	v_add_f64 v[10:11], v[10:11], -v[42:43]
	s_delay_alu instid0(VALU_DEP_2) | instskip(SKIP_1) | instid1(VALU_DEP_2)
	v_fma_f64 v[116:117], v[134:135], v[132:133], -v[124:125]
	v_mul_f64 v[124:125], v[134:135], v[253:254]
	v_add_f64 v[4:5], v[4:5], -v[116:117]
	s_delay_alu instid0(VALU_DEP_2) | instskip(SKIP_4) | instid1(VALU_DEP_2)
	v_fma_f64 v[134:135], v[136:137], v[132:133], v[124:125]
	ds_load_2addr_b64 v[124:127], v148 offset0:60 offset1:61
	s_waitcnt lgkmcnt(0)
	v_mul_f64 v[136:137], v[126:127], v[253:254]
	v_add_f64 v[6:7], v[6:7], -v[134:135]
	v_fma_f64 v[136:137], v[124:125], v[132:133], -v[136:137]
	v_mul_f64 v[124:125], v[124:125], v[253:254]
	s_delay_alu instid0(VALU_DEP_2) | instskip(NEXT) | instid1(VALU_DEP_2)
	v_add_f64 v[0:1], v[0:1], -v[136:137]
	v_fma_f64 v[124:125], v[126:127], v[132:133], v[124:125]
	s_delay_alu instid0(VALU_DEP_1)
	v_add_f64 v[2:3], v[2:3], -v[124:125]
.LBB60_41:
	s_or_b32 exec_lo, exec_lo, s2
	v_lshl_add_u32 v124, v150, 4, v148
	s_barrier
	buffer_gl0_inv
	v_mov_b32_e32 v132, 2
	ds_store_2addr_b64 v124, v[245:246], v[247:248] offset1:1
	s_waitcnt lgkmcnt(0)
	s_barrier
	buffer_gl0_inv
	ds_load_2addr_b64 v[124:127], v148 offset0:4 offset1:5
	s_cmp_lt_i32 s5, 4
	s_cbranch_scc1 .LBB60_44
; %bb.42:
	v_add3_u32 v133, v146, 0, 48
	v_mov_b32_e32 v132, 2
	s_mov_b32 s6, 3
	s_set_inst_prefetch_distance 0x1
	.p2align	6
.LBB60_43:                              ; =>This Inner Loop Header: Depth=1
	ds_load_2addr_b64 v[134:137], v133 offset1:1
	s_waitcnt lgkmcnt(1)
	v_cmp_gt_f64_e32 vcc_lo, 0, v[124:125]
	v_xor_b32_e32 v128, 0x80000000, v125
	v_cmp_gt_f64_e64 s2, 0, v[126:127]
	v_xor_b32_e32 v130, 0x80000000, v127
	v_add_nc_u32_e32 v133, 16, v133
	s_waitcnt lgkmcnt(0)
	v_cmp_gt_f64_e64 s3, 0, v[134:135]
	v_mov_b32_e32 v138, v134
	v_dual_mov_b32 v140, v136 :: v_dual_cndmask_b32 v129, v125, v128
	v_xor_b32_e32 v128, 0x80000000, v135
	v_cndmask_b32_e64 v131, v127, v130, s2
	v_xor_b32_e32 v130, 0x80000000, v137
	s_delay_alu instid0(VALU_DEP_3) | instskip(SKIP_2) | instid1(VALU_DEP_2)
	v_cndmask_b32_e64 v139, v135, v128, s3
	v_cmp_gt_f64_e64 s3, 0, v[136:137]
	v_cndmask_b32_e32 v128, v124, v124, vcc_lo
	v_cndmask_b32_e64 v141, v137, v130, s3
	v_cndmask_b32_e64 v130, v126, v126, s2
	s_delay_alu instid0(VALU_DEP_2) | instskip(NEXT) | instid1(VALU_DEP_2)
	v_add_f64 v[138:139], v[138:139], v[140:141]
	v_add_f64 v[128:129], v[128:129], v[130:131]
	s_delay_alu instid0(VALU_DEP_1)
	v_cmp_lt_f64_e32 vcc_lo, v[128:129], v[138:139]
	v_cndmask_b32_e32 v127, v127, v137, vcc_lo
	v_dual_cndmask_b32 v125, v125, v135 :: v_dual_cndmask_b32 v124, v124, v134
	v_cndmask_b32_e32 v126, v126, v136, vcc_lo
	v_cndmask_b32_e64 v132, v132, s6, vcc_lo
	s_add_i32 s6, s6, 1
	s_delay_alu instid0(SALU_CYCLE_1)
	s_cmp_lg_u32 s5, s6
	s_cbranch_scc1 .LBB60_43
.LBB60_44:
	s_set_inst_prefetch_distance 0x2
	s_waitcnt lgkmcnt(0)
	v_cmp_eq_f64_e32 vcc_lo, 0, v[124:125]
	v_cmp_eq_f64_e64 s2, 0, v[126:127]
	s_delay_alu instid0(VALU_DEP_1) | instskip(NEXT) | instid1(SALU_CYCLE_1)
	s_and_b32 s2, vcc_lo, s2
	s_and_saveexec_b32 s3, s2
	s_delay_alu instid0(SALU_CYCLE_1)
	s_xor_b32 s2, exec_lo, s3
; %bb.45:
	v_cmp_ne_u32_e32 vcc_lo, 0, v255
	v_cndmask_b32_e32 v255, 3, v255, vcc_lo
; %bb.46:
	s_and_not1_saveexec_b32 s3, s2
	s_cbranch_execz .LBB60_52
; %bb.47:
	v_cmp_gt_f64_e32 vcc_lo, 0, v[124:125]
	v_cmp_gt_f64_e64 s2, 0, v[126:127]
	v_xor_b32_e32 v128, 0x80000000, v125
	v_xor_b32_e32 v130, 0x80000000, v127
	s_delay_alu instid0(VALU_DEP_2) | instskip(NEXT) | instid1(VALU_DEP_2)
	v_cndmask_b32_e32 v129, v125, v128, vcc_lo
	v_cndmask_b32_e64 v131, v127, v130, s2
	v_cndmask_b32_e32 v128, v124, v124, vcc_lo
	v_cndmask_b32_e64 v130, v126, v126, s2
	s_mov_b32 s2, exec_lo
	s_delay_alu instid0(VALU_DEP_1)
	v_cmpx_ngt_f64_e32 v[128:129], v[130:131]
	s_xor_b32 s2, exec_lo, s2
	s_cbranch_execz .LBB60_49
; %bb.48:
	v_div_scale_f64 v[128:129], null, v[126:127], v[126:127], v[124:125]
	v_div_scale_f64 v[135:136], vcc_lo, v[124:125], v[126:127], v[124:125]
	s_delay_alu instid0(VALU_DEP_2) | instskip(SKIP_2) | instid1(VALU_DEP_1)
	v_rcp_f64_e32 v[130:131], v[128:129]
	s_waitcnt_depctr 0xfff
	v_fma_f64 v[133:134], -v[128:129], v[130:131], 1.0
	v_fma_f64 v[130:131], v[130:131], v[133:134], v[130:131]
	s_delay_alu instid0(VALU_DEP_1) | instskip(NEXT) | instid1(VALU_DEP_1)
	v_fma_f64 v[133:134], -v[128:129], v[130:131], 1.0
	v_fma_f64 v[130:131], v[130:131], v[133:134], v[130:131]
	s_delay_alu instid0(VALU_DEP_1) | instskip(NEXT) | instid1(VALU_DEP_1)
	v_mul_f64 v[133:134], v[135:136], v[130:131]
	v_fma_f64 v[128:129], -v[128:129], v[133:134], v[135:136]
	s_delay_alu instid0(VALU_DEP_1) | instskip(NEXT) | instid1(VALU_DEP_1)
	v_div_fmas_f64 v[128:129], v[128:129], v[130:131], v[133:134]
	v_div_fixup_f64 v[128:129], v[128:129], v[126:127], v[124:125]
	s_delay_alu instid0(VALU_DEP_1) | instskip(NEXT) | instid1(VALU_DEP_1)
	v_fma_f64 v[124:125], v[124:125], v[128:129], v[126:127]
	v_div_scale_f64 v[126:127], null, v[124:125], v[124:125], 1.0
	s_delay_alu instid0(VALU_DEP_1) | instskip(SKIP_2) | instid1(VALU_DEP_1)
	v_rcp_f64_e32 v[130:131], v[126:127]
	s_waitcnt_depctr 0xfff
	v_fma_f64 v[133:134], -v[126:127], v[130:131], 1.0
	v_fma_f64 v[130:131], v[130:131], v[133:134], v[130:131]
	s_delay_alu instid0(VALU_DEP_1) | instskip(NEXT) | instid1(VALU_DEP_1)
	v_fma_f64 v[133:134], -v[126:127], v[130:131], 1.0
	v_fma_f64 v[130:131], v[130:131], v[133:134], v[130:131]
	v_div_scale_f64 v[133:134], vcc_lo, 1.0, v[124:125], 1.0
	s_delay_alu instid0(VALU_DEP_1) | instskip(NEXT) | instid1(VALU_DEP_1)
	v_mul_f64 v[135:136], v[133:134], v[130:131]
	v_fma_f64 v[126:127], -v[126:127], v[135:136], v[133:134]
	s_delay_alu instid0(VALU_DEP_1) | instskip(NEXT) | instid1(VALU_DEP_1)
	v_div_fmas_f64 v[126:127], v[126:127], v[130:131], v[135:136]
	v_div_fixup_f64 v[126:127], v[126:127], v[124:125], 1.0
	s_delay_alu instid0(VALU_DEP_1)
	v_mul_f64 v[124:125], v[128:129], v[126:127]
	v_xor_b32_e32 v127, 0x80000000, v127
.LBB60_49:
	s_and_not1_saveexec_b32 s2, s2
	s_cbranch_execz .LBB60_51
; %bb.50:
	s_delay_alu instid0(VALU_DEP_1) | instskip(SKIP_1) | instid1(VALU_DEP_2)
	v_div_scale_f64 v[128:129], null, v[124:125], v[124:125], v[126:127]
	v_div_scale_f64 v[135:136], vcc_lo, v[126:127], v[124:125], v[126:127]
	v_rcp_f64_e32 v[130:131], v[128:129]
	s_waitcnt_depctr 0xfff
	v_fma_f64 v[133:134], -v[128:129], v[130:131], 1.0
	s_delay_alu instid0(VALU_DEP_1) | instskip(NEXT) | instid1(VALU_DEP_1)
	v_fma_f64 v[130:131], v[130:131], v[133:134], v[130:131]
	v_fma_f64 v[133:134], -v[128:129], v[130:131], 1.0
	s_delay_alu instid0(VALU_DEP_1) | instskip(NEXT) | instid1(VALU_DEP_1)
	v_fma_f64 v[130:131], v[130:131], v[133:134], v[130:131]
	v_mul_f64 v[133:134], v[135:136], v[130:131]
	s_delay_alu instid0(VALU_DEP_1) | instskip(NEXT) | instid1(VALU_DEP_1)
	v_fma_f64 v[128:129], -v[128:129], v[133:134], v[135:136]
	v_div_fmas_f64 v[128:129], v[128:129], v[130:131], v[133:134]
	s_delay_alu instid0(VALU_DEP_1) | instskip(NEXT) | instid1(VALU_DEP_1)
	v_div_fixup_f64 v[128:129], v[128:129], v[124:125], v[126:127]
	v_fma_f64 v[124:125], v[126:127], v[128:129], v[124:125]
	s_delay_alu instid0(VALU_DEP_1) | instskip(NEXT) | instid1(VALU_DEP_1)
	v_div_scale_f64 v[126:127], null, v[124:125], v[124:125], 1.0
	v_rcp_f64_e32 v[130:131], v[126:127]
	s_waitcnt_depctr 0xfff
	v_fma_f64 v[133:134], -v[126:127], v[130:131], 1.0
	s_delay_alu instid0(VALU_DEP_1) | instskip(NEXT) | instid1(VALU_DEP_1)
	v_fma_f64 v[130:131], v[130:131], v[133:134], v[130:131]
	v_fma_f64 v[133:134], -v[126:127], v[130:131], 1.0
	s_delay_alu instid0(VALU_DEP_1) | instskip(SKIP_1) | instid1(VALU_DEP_1)
	v_fma_f64 v[130:131], v[130:131], v[133:134], v[130:131]
	v_div_scale_f64 v[133:134], vcc_lo, 1.0, v[124:125], 1.0
	v_mul_f64 v[135:136], v[133:134], v[130:131]
	s_delay_alu instid0(VALU_DEP_1) | instskip(NEXT) | instid1(VALU_DEP_1)
	v_fma_f64 v[126:127], -v[126:127], v[135:136], v[133:134]
	v_div_fmas_f64 v[126:127], v[126:127], v[130:131], v[135:136]
	s_delay_alu instid0(VALU_DEP_1) | instskip(NEXT) | instid1(VALU_DEP_1)
	v_div_fixup_f64 v[124:125], v[126:127], v[124:125], 1.0
	v_mul_f64 v[126:127], v[128:129], -v[124:125]
.LBB60_51:
	s_or_b32 exec_lo, exec_lo, s2
.LBB60_52:
	s_delay_alu instid0(SALU_CYCLE_1) | instskip(NEXT) | instid1(SALU_CYCLE_1)
	s_or_b32 exec_lo, exec_lo, s3
	s_mov_b32 s2, exec_lo
	v_cmpx_ne_u32_e64 v150, v132
	s_xor_b32 s2, exec_lo, s2
	s_cbranch_execz .LBB60_58
; %bb.53:
	s_mov_b32 s3, exec_lo
	v_cmpx_eq_u32_e32 2, v150
	s_cbranch_execz .LBB60_57
; %bb.54:
	v_cmp_ne_u32_e32 vcc_lo, 2, v132
	s_xor_b32 s6, s4, -1
	s_delay_alu instid0(SALU_CYCLE_1) | instskip(NEXT) | instid1(SALU_CYCLE_1)
	s_and_b32 s7, s6, vcc_lo
	s_and_saveexec_b32 s6, s7
	s_cbranch_execz .LBB60_56
; %bb.55:
	scratch_load_b64 v[40:41], off, off     ; 8-byte Folded Reload
	v_ashrrev_i32_e32 v133, 31, v132
	s_delay_alu instid0(VALU_DEP_1) | instskip(SKIP_1) | instid1(VALU_DEP_1)
	v_lshlrev_b64 v[128:129], 2, v[132:133]
	s_waitcnt vmcnt(0)
	v_add_co_u32 v128, vcc_lo, v40, v128
	s_delay_alu instid0(VALU_DEP_2)
	v_add_co_ci_u32_e32 v129, vcc_lo, v41, v129, vcc_lo
	s_clause 0x1
	flat_load_b32 v130, v[128:129]
	flat_load_b32 v131, v[40:41] offset:8
	s_waitcnt vmcnt(1) lgkmcnt(1)
	flat_store_b32 v[40:41], v130 offset:8
	s_waitcnt vmcnt(0) lgkmcnt(1)
	flat_store_b32 v[128:129], v131
.LBB60_56:
	s_or_b32 exec_lo, exec_lo, s6
	v_mov_b32_e32 v150, v132
	v_mov_b32_e32 v149, v132
.LBB60_57:
	s_or_b32 exec_lo, exec_lo, s3
.LBB60_58:
	s_and_not1_saveexec_b32 s2, s2
	s_cbranch_execz .LBB60_60
; %bb.59:
	v_mov_b32_e32 v150, 2
	ds_store_2addr_b64 v148, v[120:121], v[122:123] offset0:6 offset1:7
	ds_store_2addr_b64 v148, v[108:109], v[110:111] offset0:8 offset1:9
	;; [unrolled: 1-line block ×28, first 2 shown]
.LBB60_60:
	s_or_b32 exec_lo, exec_lo, s2
	s_delay_alu instid0(SALU_CYCLE_1)
	s_mov_b32 s2, exec_lo
	s_waitcnt lgkmcnt(0)
	s_waitcnt_vscnt null, 0x0
	s_barrier
	buffer_gl0_inv
	v_cmpx_lt_i32_e32 2, v150
	s_cbranch_execz .LBB60_62
; %bb.61:
	v_dual_mov_b32 v40, v120 :: v_dual_mov_b32 v41, v121
	v_dual_mov_b32 v42, v122 :: v_dual_mov_b32 v43, v123
	v_mul_f64 v[122:123], v[124:125], v[247:248]
	v_mul_f64 v[128:129], v[126:127], v[247:248]
	s_delay_alu instid0(VALU_DEP_2) | instskip(NEXT) | instid1(VALU_DEP_2)
	v_fma_f64 v[247:248], v[126:127], v[245:246], v[122:123]
	v_fma_f64 v[132:133], v[124:125], v[245:246], -v[128:129]
	ds_load_2addr_b64 v[124:127], v148 offset0:6 offset1:7
	ds_load_2addr_b64 v[134:137], v148 offset0:8 offset1:9
	s_waitcnt lgkmcnt(1)
	v_mul_f64 v[120:121], v[126:127], v[247:248]
	v_dual_mov_b32 v246, v133 :: v_dual_mov_b32 v245, v132
	s_delay_alu instid0(VALU_DEP_2) | instskip(SKIP_1) | instid1(VALU_DEP_2)
	v_fma_f64 v[120:121], v[124:125], v[132:133], -v[120:121]
	v_mul_f64 v[124:125], v[124:125], v[247:248]
	v_add_f64 v[40:41], v[40:41], -v[120:121]
	s_delay_alu instid0(VALU_DEP_2) | instskip(SKIP_3) | instid1(VALU_DEP_4)
	v_fma_f64 v[128:129], v[126:127], v[132:133], v[124:125]
	s_waitcnt lgkmcnt(0)
	v_mul_f64 v[124:125], v[136:137], v[247:248]
	v_dual_mov_b32 v123, v43 :: v_dual_mov_b32 v122, v42
	v_dual_mov_b32 v121, v41 :: v_dual_mov_b32 v120, v40
	s_delay_alu instid0(VALU_DEP_3) | instskip(SKIP_1) | instid1(VALU_DEP_4)
	v_fma_f64 v[130:131], v[134:135], v[132:133], -v[124:125]
	v_mul_f64 v[124:125], v[134:135], v[247:248]
	v_add_f64 v[122:123], v[122:123], -v[128:129]
	s_delay_alu instid0(VALU_DEP_3) | instskip(NEXT) | instid1(VALU_DEP_3)
	v_add_f64 v[108:109], v[108:109], -v[130:131]
	v_fma_f64 v[138:139], v[136:137], v[132:133], v[124:125]
	ds_load_2addr_b64 v[124:127], v148 offset0:10 offset1:11
	ds_load_2addr_b64 v[134:137], v148 offset0:12 offset1:13
	s_waitcnt lgkmcnt(1)
	v_mul_f64 v[140:141], v[126:127], v[247:248]
	v_add_f64 v[110:111], v[110:111], -v[138:139]
	s_delay_alu instid0(VALU_DEP_2) | instskip(SKIP_1) | instid1(VALU_DEP_2)
	v_fma_f64 v[140:141], v[124:125], v[132:133], -v[140:141]
	v_mul_f64 v[124:125], v[124:125], v[247:248]
	v_add_f64 v[104:105], v[104:105], -v[140:141]
	s_delay_alu instid0(VALU_DEP_2) | instskip(SKIP_2) | instid1(VALU_DEP_2)
	v_fma_f64 v[142:143], v[126:127], v[132:133], v[124:125]
	s_waitcnt lgkmcnt(0)
	v_mul_f64 v[124:125], v[136:137], v[247:248]
	v_add_f64 v[106:107], v[106:107], -v[142:143]
	s_delay_alu instid0(VALU_DEP_2) | instskip(SKIP_1) | instid1(VALU_DEP_2)
	v_fma_f64 v[151:152], v[134:135], v[132:133], -v[124:125]
	v_mul_f64 v[124:125], v[134:135], v[247:248]
	v_add_f64 v[84:85], v[84:85], -v[151:152]
	s_delay_alu instid0(VALU_DEP_2)
	v_fma_f64 v[153:154], v[136:137], v[132:133], v[124:125]
	ds_load_2addr_b64 v[124:127], v148 offset0:14 offset1:15
	ds_load_2addr_b64 v[134:137], v148 offset0:16 offset1:17
	s_waitcnt lgkmcnt(1)
	v_mul_f64 v[155:156], v[126:127], v[247:248]
	v_add_f64 v[86:87], v[86:87], -v[153:154]
	s_delay_alu instid0(VALU_DEP_2) | instskip(SKIP_1) | instid1(VALU_DEP_2)
	v_fma_f64 v[155:156], v[124:125], v[132:133], -v[155:156]
	v_mul_f64 v[124:125], v[124:125], v[247:248]
	v_add_f64 v[80:81], v[80:81], -v[155:156]
	s_delay_alu instid0(VALU_DEP_2) | instskip(SKIP_2) | instid1(VALU_DEP_2)
	v_fma_f64 v[157:158], v[126:127], v[132:133], v[124:125]
	s_waitcnt lgkmcnt(0)
	v_mul_f64 v[124:125], v[136:137], v[247:248]
	v_add_f64 v[82:83], v[82:83], -v[157:158]
	s_delay_alu instid0(VALU_DEP_2) | instskip(SKIP_1) | instid1(VALU_DEP_2)
	v_fma_f64 v[159:160], v[134:135], v[132:133], -v[124:125]
	v_mul_f64 v[124:125], v[134:135], v[247:248]
	v_add_f64 v[100:101], v[100:101], -v[159:160]
	s_delay_alu instid0(VALU_DEP_2)
	;; [unrolled: 20-line block ×12, first 2 shown]
	v_fma_f64 v[241:242], v[136:137], v[132:133], v[124:125]
	ds_load_2addr_b64 v[124:127], v148 offset0:58 offset1:59
	ds_load_2addr_b64 v[134:137], v148 offset0:60 offset1:61
	s_waitcnt lgkmcnt(1)
	v_mul_f64 v[243:244], v[126:127], v[247:248]
	v_add_f64 v[10:11], v[10:11], -v[241:242]
	s_delay_alu instid0(VALU_DEP_2) | instskip(SKIP_1) | instid1(VALU_DEP_2)
	v_fma_f64 v[243:244], v[124:125], v[132:133], -v[243:244]
	v_mul_f64 v[124:125], v[124:125], v[247:248]
	v_add_f64 v[4:5], v[4:5], -v[243:244]
	s_delay_alu instid0(VALU_DEP_2) | instskip(SKIP_2) | instid1(VALU_DEP_2)
	v_fma_f64 v[124:125], v[126:127], v[132:133], v[124:125]
	s_waitcnt lgkmcnt(0)
	v_mul_f64 v[126:127], v[136:137], v[247:248]
	v_add_f64 v[6:7], v[6:7], -v[124:125]
	s_delay_alu instid0(VALU_DEP_2) | instskip(SKIP_1) | instid1(VALU_DEP_2)
	v_fma_f64 v[126:127], v[134:135], v[132:133], -v[126:127]
	v_mul_f64 v[134:135], v[134:135], v[247:248]
	v_add_f64 v[0:1], v[0:1], -v[126:127]
	s_delay_alu instid0(VALU_DEP_2) | instskip(NEXT) | instid1(VALU_DEP_1)
	v_fma_f64 v[134:135], v[136:137], v[132:133], v[134:135]
	v_add_f64 v[2:3], v[2:3], -v[134:135]
.LBB60_62:
	s_or_b32 exec_lo, exec_lo, s2
	v_lshl_add_u32 v124, v150, 4, v148
	s_barrier
	buffer_gl0_inv
	v_mov_b32_e32 v132, 3
	ds_store_2addr_b64 v124, v[120:121], v[122:123] offset1:1
	s_waitcnt lgkmcnt(0)
	s_barrier
	buffer_gl0_inv
	ds_load_2addr_b64 v[124:127], v148 offset0:6 offset1:7
	s_cmp_lt_i32 s5, 5
	s_mov_b32 s6, 4
	s_cbranch_scc1 .LBB60_65
; %bb.63:
	v_add3_u32 v133, v146, 0, 64
	v_mov_b32_e32 v132, 3
	s_set_inst_prefetch_distance 0x1
	.p2align	6
.LBB60_64:                              ; =>This Inner Loop Header: Depth=1
	ds_load_2addr_b64 v[134:137], v133 offset1:1
	s_waitcnt lgkmcnt(1)
	v_cmp_gt_f64_e32 vcc_lo, 0, v[124:125]
	v_xor_b32_e32 v128, 0x80000000, v125
	v_cmp_gt_f64_e64 s2, 0, v[126:127]
	v_xor_b32_e32 v130, 0x80000000, v127
	v_add_nc_u32_e32 v133, 16, v133
	s_waitcnt lgkmcnt(0)
	v_cmp_gt_f64_e64 s3, 0, v[134:135]
	v_mov_b32_e32 v138, v134
	v_dual_mov_b32 v140, v136 :: v_dual_cndmask_b32 v129, v125, v128
	v_xor_b32_e32 v128, 0x80000000, v135
	v_cndmask_b32_e64 v131, v127, v130, s2
	v_xor_b32_e32 v130, 0x80000000, v137
	s_delay_alu instid0(VALU_DEP_3) | instskip(SKIP_2) | instid1(VALU_DEP_2)
	v_cndmask_b32_e64 v139, v135, v128, s3
	v_cmp_gt_f64_e64 s3, 0, v[136:137]
	v_cndmask_b32_e32 v128, v124, v124, vcc_lo
	v_cndmask_b32_e64 v141, v137, v130, s3
	v_cndmask_b32_e64 v130, v126, v126, s2
	s_delay_alu instid0(VALU_DEP_2) | instskip(NEXT) | instid1(VALU_DEP_2)
	v_add_f64 v[138:139], v[138:139], v[140:141]
	v_add_f64 v[128:129], v[128:129], v[130:131]
	s_delay_alu instid0(VALU_DEP_1)
	v_cmp_lt_f64_e32 vcc_lo, v[128:129], v[138:139]
	v_cndmask_b32_e32 v127, v127, v137, vcc_lo
	v_dual_cndmask_b32 v125, v125, v135 :: v_dual_cndmask_b32 v124, v124, v134
	v_cndmask_b32_e32 v126, v126, v136, vcc_lo
	v_cndmask_b32_e64 v132, v132, s6, vcc_lo
	s_add_i32 s6, s6, 1
	s_delay_alu instid0(SALU_CYCLE_1)
	s_cmp_lg_u32 s5, s6
	s_cbranch_scc1 .LBB60_64
.LBB60_65:
	s_set_inst_prefetch_distance 0x2
	s_waitcnt lgkmcnt(0)
	v_cmp_eq_f64_e32 vcc_lo, 0, v[124:125]
	v_cmp_eq_f64_e64 s2, 0, v[126:127]
	s_delay_alu instid0(VALU_DEP_1) | instskip(NEXT) | instid1(SALU_CYCLE_1)
	s_and_b32 s2, vcc_lo, s2
	s_and_saveexec_b32 s3, s2
	s_delay_alu instid0(SALU_CYCLE_1)
	s_xor_b32 s2, exec_lo, s3
; %bb.66:
	v_cmp_ne_u32_e32 vcc_lo, 0, v255
	v_cndmask_b32_e32 v255, 4, v255, vcc_lo
; %bb.67:
	s_and_not1_saveexec_b32 s3, s2
	s_cbranch_execz .LBB60_73
; %bb.68:
	v_cmp_gt_f64_e32 vcc_lo, 0, v[124:125]
	v_cmp_gt_f64_e64 s2, 0, v[126:127]
	v_xor_b32_e32 v128, 0x80000000, v125
	v_xor_b32_e32 v130, 0x80000000, v127
	s_delay_alu instid0(VALU_DEP_2) | instskip(NEXT) | instid1(VALU_DEP_2)
	v_cndmask_b32_e32 v129, v125, v128, vcc_lo
	v_cndmask_b32_e64 v131, v127, v130, s2
	v_cndmask_b32_e32 v128, v124, v124, vcc_lo
	v_cndmask_b32_e64 v130, v126, v126, s2
	s_mov_b32 s2, exec_lo
	s_delay_alu instid0(VALU_DEP_1)
	v_cmpx_ngt_f64_e32 v[128:129], v[130:131]
	s_xor_b32 s2, exec_lo, s2
	s_cbranch_execz .LBB60_70
; %bb.69:
	v_div_scale_f64 v[128:129], null, v[126:127], v[126:127], v[124:125]
	v_div_scale_f64 v[135:136], vcc_lo, v[124:125], v[126:127], v[124:125]
	s_delay_alu instid0(VALU_DEP_2) | instskip(SKIP_2) | instid1(VALU_DEP_1)
	v_rcp_f64_e32 v[130:131], v[128:129]
	s_waitcnt_depctr 0xfff
	v_fma_f64 v[133:134], -v[128:129], v[130:131], 1.0
	v_fma_f64 v[130:131], v[130:131], v[133:134], v[130:131]
	s_delay_alu instid0(VALU_DEP_1) | instskip(NEXT) | instid1(VALU_DEP_1)
	v_fma_f64 v[133:134], -v[128:129], v[130:131], 1.0
	v_fma_f64 v[130:131], v[130:131], v[133:134], v[130:131]
	s_delay_alu instid0(VALU_DEP_1) | instskip(NEXT) | instid1(VALU_DEP_1)
	v_mul_f64 v[133:134], v[135:136], v[130:131]
	v_fma_f64 v[128:129], -v[128:129], v[133:134], v[135:136]
	s_delay_alu instid0(VALU_DEP_1) | instskip(NEXT) | instid1(VALU_DEP_1)
	v_div_fmas_f64 v[128:129], v[128:129], v[130:131], v[133:134]
	v_div_fixup_f64 v[128:129], v[128:129], v[126:127], v[124:125]
	s_delay_alu instid0(VALU_DEP_1) | instskip(NEXT) | instid1(VALU_DEP_1)
	v_fma_f64 v[124:125], v[124:125], v[128:129], v[126:127]
	v_div_scale_f64 v[126:127], null, v[124:125], v[124:125], 1.0
	s_delay_alu instid0(VALU_DEP_1) | instskip(SKIP_2) | instid1(VALU_DEP_1)
	v_rcp_f64_e32 v[130:131], v[126:127]
	s_waitcnt_depctr 0xfff
	v_fma_f64 v[133:134], -v[126:127], v[130:131], 1.0
	v_fma_f64 v[130:131], v[130:131], v[133:134], v[130:131]
	s_delay_alu instid0(VALU_DEP_1) | instskip(NEXT) | instid1(VALU_DEP_1)
	v_fma_f64 v[133:134], -v[126:127], v[130:131], 1.0
	v_fma_f64 v[130:131], v[130:131], v[133:134], v[130:131]
	v_div_scale_f64 v[133:134], vcc_lo, 1.0, v[124:125], 1.0
	s_delay_alu instid0(VALU_DEP_1) | instskip(NEXT) | instid1(VALU_DEP_1)
	v_mul_f64 v[135:136], v[133:134], v[130:131]
	v_fma_f64 v[126:127], -v[126:127], v[135:136], v[133:134]
	s_delay_alu instid0(VALU_DEP_1) | instskip(NEXT) | instid1(VALU_DEP_1)
	v_div_fmas_f64 v[126:127], v[126:127], v[130:131], v[135:136]
	v_div_fixup_f64 v[126:127], v[126:127], v[124:125], 1.0
	s_delay_alu instid0(VALU_DEP_1)
	v_mul_f64 v[124:125], v[128:129], v[126:127]
	v_xor_b32_e32 v127, 0x80000000, v127
.LBB60_70:
	s_and_not1_saveexec_b32 s2, s2
	s_cbranch_execz .LBB60_72
; %bb.71:
	s_delay_alu instid0(VALU_DEP_1) | instskip(SKIP_1) | instid1(VALU_DEP_2)
	v_div_scale_f64 v[128:129], null, v[124:125], v[124:125], v[126:127]
	v_div_scale_f64 v[135:136], vcc_lo, v[126:127], v[124:125], v[126:127]
	v_rcp_f64_e32 v[130:131], v[128:129]
	s_waitcnt_depctr 0xfff
	v_fma_f64 v[133:134], -v[128:129], v[130:131], 1.0
	s_delay_alu instid0(VALU_DEP_1) | instskip(NEXT) | instid1(VALU_DEP_1)
	v_fma_f64 v[130:131], v[130:131], v[133:134], v[130:131]
	v_fma_f64 v[133:134], -v[128:129], v[130:131], 1.0
	s_delay_alu instid0(VALU_DEP_1) | instskip(NEXT) | instid1(VALU_DEP_1)
	v_fma_f64 v[130:131], v[130:131], v[133:134], v[130:131]
	v_mul_f64 v[133:134], v[135:136], v[130:131]
	s_delay_alu instid0(VALU_DEP_1) | instskip(NEXT) | instid1(VALU_DEP_1)
	v_fma_f64 v[128:129], -v[128:129], v[133:134], v[135:136]
	v_div_fmas_f64 v[128:129], v[128:129], v[130:131], v[133:134]
	s_delay_alu instid0(VALU_DEP_1) | instskip(NEXT) | instid1(VALU_DEP_1)
	v_div_fixup_f64 v[128:129], v[128:129], v[124:125], v[126:127]
	v_fma_f64 v[124:125], v[126:127], v[128:129], v[124:125]
	s_delay_alu instid0(VALU_DEP_1) | instskip(NEXT) | instid1(VALU_DEP_1)
	v_div_scale_f64 v[126:127], null, v[124:125], v[124:125], 1.0
	v_rcp_f64_e32 v[130:131], v[126:127]
	s_waitcnt_depctr 0xfff
	v_fma_f64 v[133:134], -v[126:127], v[130:131], 1.0
	s_delay_alu instid0(VALU_DEP_1) | instskip(NEXT) | instid1(VALU_DEP_1)
	v_fma_f64 v[130:131], v[130:131], v[133:134], v[130:131]
	v_fma_f64 v[133:134], -v[126:127], v[130:131], 1.0
	s_delay_alu instid0(VALU_DEP_1) | instskip(SKIP_1) | instid1(VALU_DEP_1)
	v_fma_f64 v[130:131], v[130:131], v[133:134], v[130:131]
	v_div_scale_f64 v[133:134], vcc_lo, 1.0, v[124:125], 1.0
	v_mul_f64 v[135:136], v[133:134], v[130:131]
	s_delay_alu instid0(VALU_DEP_1) | instskip(NEXT) | instid1(VALU_DEP_1)
	v_fma_f64 v[126:127], -v[126:127], v[135:136], v[133:134]
	v_div_fmas_f64 v[126:127], v[126:127], v[130:131], v[135:136]
	s_delay_alu instid0(VALU_DEP_1) | instskip(NEXT) | instid1(VALU_DEP_1)
	v_div_fixup_f64 v[124:125], v[126:127], v[124:125], 1.0
	v_mul_f64 v[126:127], v[128:129], -v[124:125]
.LBB60_72:
	s_or_b32 exec_lo, exec_lo, s2
.LBB60_73:
	s_delay_alu instid0(SALU_CYCLE_1) | instskip(NEXT) | instid1(SALU_CYCLE_1)
	s_or_b32 exec_lo, exec_lo, s3
	s_mov_b32 s2, exec_lo
	v_cmpx_ne_u32_e64 v150, v132
	s_xor_b32 s2, exec_lo, s2
	s_cbranch_execz .LBB60_79
; %bb.74:
	s_mov_b32 s3, exec_lo
	v_cmpx_eq_u32_e32 3, v150
	s_cbranch_execz .LBB60_78
; %bb.75:
	v_cmp_ne_u32_e32 vcc_lo, 3, v132
	s_xor_b32 s6, s4, -1
	s_delay_alu instid0(SALU_CYCLE_1) | instskip(NEXT) | instid1(SALU_CYCLE_1)
	s_and_b32 s7, s6, vcc_lo
	s_and_saveexec_b32 s6, s7
	s_cbranch_execz .LBB60_77
; %bb.76:
	scratch_load_b64 v[40:41], off, off     ; 8-byte Folded Reload
	v_ashrrev_i32_e32 v133, 31, v132
	s_delay_alu instid0(VALU_DEP_1) | instskip(SKIP_1) | instid1(VALU_DEP_1)
	v_lshlrev_b64 v[128:129], 2, v[132:133]
	s_waitcnt vmcnt(0)
	v_add_co_u32 v128, vcc_lo, v40, v128
	s_delay_alu instid0(VALU_DEP_2)
	v_add_co_ci_u32_e32 v129, vcc_lo, v41, v129, vcc_lo
	s_clause 0x1
	flat_load_b32 v130, v[128:129]
	flat_load_b32 v131, v[40:41] offset:12
	s_waitcnt vmcnt(1) lgkmcnt(1)
	flat_store_b32 v[40:41], v130 offset:12
	s_waitcnt vmcnt(0) lgkmcnt(1)
	flat_store_b32 v[128:129], v131
.LBB60_77:
	s_or_b32 exec_lo, exec_lo, s6
	v_mov_b32_e32 v150, v132
	v_mov_b32_e32 v149, v132
.LBB60_78:
	s_or_b32 exec_lo, exec_lo, s3
.LBB60_79:
	s_and_not1_saveexec_b32 s2, s2
	s_cbranch_execz .LBB60_81
; %bb.80:
	v_mov_b32_e32 v150, 3
	ds_store_2addr_b64 v148, v[108:109], v[110:111] offset0:8 offset1:9
	ds_store_2addr_b64 v148, v[104:105], v[106:107] offset0:10 offset1:11
	ds_store_2addr_b64 v148, v[84:85], v[86:87] offset0:12 offset1:13
	ds_store_2addr_b64 v148, v[80:81], v[82:83] offset0:14 offset1:15
	ds_store_2addr_b64 v148, v[100:101], v[102:103] offset0:16 offset1:17
	ds_store_2addr_b64 v148, v[76:77], v[78:79] offset0:18 offset1:19
	ds_store_2addr_b64 v148, v[112:113], v[114:115] offset0:20 offset1:21
	ds_store_2addr_b64 v148, v[96:97], v[98:99] offset0:22 offset1:23
	ds_store_2addr_b64 v148, v[92:93], v[94:95] offset0:24 offset1:25
	ds_store_2addr_b64 v148, v[88:89], v[90:91] offset0:26 offset1:27
	ds_store_2addr_b64 v148, v[72:73], v[74:75] offset0:28 offset1:29
	ds_store_2addr_b64 v148, v[68:69], v[70:71] offset0:30 offset1:31
	ds_store_2addr_b64 v148, v[64:65], v[66:67] offset0:32 offset1:33
	ds_store_2addr_b64 v148, v[60:61], v[62:63] offset0:34 offset1:35
	ds_store_2addr_b64 v148, v[56:57], v[58:59] offset0:36 offset1:37
	ds_store_2addr_b64 v148, v[48:49], v[50:51] offset0:38 offset1:39
	ds_store_2addr_b64 v148, v[44:45], v[46:47] offset0:40 offset1:41
	ds_store_2addr_b64 v148, v[36:37], v[38:39] offset0:42 offset1:43
	ds_store_2addr_b64 v148, v[32:33], v[34:35] offset0:44 offset1:45
	ds_store_2addr_b64 v148, v[28:29], v[30:31] offset0:46 offset1:47
	ds_store_2addr_b64 v148, v[24:25], v[26:27] offset0:48 offset1:49
	ds_store_2addr_b64 v148, v[20:21], v[22:23] offset0:50 offset1:51
	ds_store_2addr_b64 v148, v[16:17], v[18:19] offset0:52 offset1:53
	ds_store_2addr_b64 v148, v[12:13], v[14:15] offset0:54 offset1:55
	ds_store_2addr_b64 v148, v[8:9], v[10:11] offset0:56 offset1:57
	ds_store_2addr_b64 v148, v[4:5], v[6:7] offset0:58 offset1:59
	ds_store_2addr_b64 v148, v[0:1], v[2:3] offset0:60 offset1:61
.LBB60_81:
	s_or_b32 exec_lo, exec_lo, s2
	s_delay_alu instid0(SALU_CYCLE_1)
	s_mov_b32 s2, exec_lo
	s_waitcnt lgkmcnt(0)
	s_waitcnt_vscnt null, 0x0
	s_barrier
	buffer_gl0_inv
	v_cmpx_lt_i32_e32 3, v150
	s_cbranch_execz .LBB60_83
; %bb.82:
	v_mul_f64 v[118:119], v[124:125], v[122:123]
	v_mul_f64 v[128:129], v[126:127], v[122:123]
	s_delay_alu instid0(VALU_DEP_2) | instskip(NEXT) | instid1(VALU_DEP_2)
	v_fma_f64 v[122:123], v[126:127], v[120:121], v[118:119]
	v_fma_f64 v[132:133], v[124:125], v[120:121], -v[128:129]
	ds_load_2addr_b64 v[124:127], v148 offset0:8 offset1:9
	ds_load_2addr_b64 v[134:137], v148 offset0:10 offset1:11
	s_waitcnt lgkmcnt(1)
	v_mul_f64 v[116:117], v[126:127], v[122:123]
	v_dual_mov_b32 v120, v132 :: v_dual_mov_b32 v121, v133
	s_delay_alu instid0(VALU_DEP_2) | instskip(SKIP_1) | instid1(VALU_DEP_2)
	v_fma_f64 v[116:117], v[124:125], v[132:133], -v[116:117]
	v_mul_f64 v[124:125], v[124:125], v[122:123]
	v_add_f64 v[108:109], v[108:109], -v[116:117]
	s_delay_alu instid0(VALU_DEP_2) | instskip(SKIP_2) | instid1(VALU_DEP_2)
	v_fma_f64 v[128:129], v[126:127], v[132:133], v[124:125]
	s_waitcnt lgkmcnt(0)
	v_mul_f64 v[124:125], v[136:137], v[122:123]
	v_add_f64 v[110:111], v[110:111], -v[128:129]
	s_delay_alu instid0(VALU_DEP_2) | instskip(SKIP_1) | instid1(VALU_DEP_2)
	v_fma_f64 v[130:131], v[134:135], v[132:133], -v[124:125]
	v_mul_f64 v[124:125], v[134:135], v[122:123]
	v_add_f64 v[104:105], v[104:105], -v[130:131]
	s_delay_alu instid0(VALU_DEP_2)
	v_fma_f64 v[138:139], v[136:137], v[132:133], v[124:125]
	ds_load_2addr_b64 v[124:127], v148 offset0:12 offset1:13
	ds_load_2addr_b64 v[134:137], v148 offset0:14 offset1:15
	s_waitcnt lgkmcnt(1)
	v_mul_f64 v[140:141], v[126:127], v[122:123]
	v_add_f64 v[106:107], v[106:107], -v[138:139]
	s_delay_alu instid0(VALU_DEP_2) | instskip(SKIP_1) | instid1(VALU_DEP_2)
	v_fma_f64 v[140:141], v[124:125], v[132:133], -v[140:141]
	v_mul_f64 v[124:125], v[124:125], v[122:123]
	v_add_f64 v[84:85], v[84:85], -v[140:141]
	s_delay_alu instid0(VALU_DEP_2) | instskip(SKIP_2) | instid1(VALU_DEP_2)
	v_fma_f64 v[142:143], v[126:127], v[132:133], v[124:125]
	s_waitcnt lgkmcnt(0)
	v_mul_f64 v[124:125], v[136:137], v[122:123]
	v_add_f64 v[86:87], v[86:87], -v[142:143]
	s_delay_alu instid0(VALU_DEP_2) | instskip(SKIP_1) | instid1(VALU_DEP_2)
	v_fma_f64 v[151:152], v[134:135], v[132:133], -v[124:125]
	v_mul_f64 v[124:125], v[134:135], v[122:123]
	v_add_f64 v[80:81], v[80:81], -v[151:152]
	s_delay_alu instid0(VALU_DEP_2)
	v_fma_f64 v[153:154], v[136:137], v[132:133], v[124:125]
	ds_load_2addr_b64 v[124:127], v148 offset0:16 offset1:17
	ds_load_2addr_b64 v[134:137], v148 offset0:18 offset1:19
	s_waitcnt lgkmcnt(1)
	v_mul_f64 v[155:156], v[126:127], v[122:123]
	v_add_f64 v[82:83], v[82:83], -v[153:154]
	;; [unrolled: 20-line block ×12, first 2 shown]
	s_delay_alu instid0(VALU_DEP_2) | instskip(SKIP_1) | instid1(VALU_DEP_2)
	v_fma_f64 v[235:236], v[124:125], v[132:133], -v[235:236]
	v_mul_f64 v[124:125], v[124:125], v[122:123]
	v_add_f64 v[8:9], v[8:9], -v[235:236]
	s_delay_alu instid0(VALU_DEP_2) | instskip(SKIP_2) | instid1(VALU_DEP_2)
	v_fma_f64 v[237:238], v[126:127], v[132:133], v[124:125]
	s_waitcnt lgkmcnt(0)
	v_mul_f64 v[124:125], v[136:137], v[122:123]
	v_add_f64 v[10:11], v[10:11], -v[237:238]
	s_delay_alu instid0(VALU_DEP_2) | instskip(SKIP_1) | instid1(VALU_DEP_2)
	v_fma_f64 v[239:240], v[134:135], v[132:133], -v[124:125]
	v_mul_f64 v[124:125], v[134:135], v[122:123]
	v_add_f64 v[4:5], v[4:5], -v[239:240]
	s_delay_alu instid0(VALU_DEP_2) | instskip(SKIP_4) | instid1(VALU_DEP_2)
	v_fma_f64 v[134:135], v[136:137], v[132:133], v[124:125]
	ds_load_2addr_b64 v[124:127], v148 offset0:60 offset1:61
	s_waitcnt lgkmcnt(0)
	v_mul_f64 v[136:137], v[126:127], v[122:123]
	v_add_f64 v[6:7], v[6:7], -v[134:135]
	v_fma_f64 v[136:137], v[124:125], v[132:133], -v[136:137]
	v_mul_f64 v[124:125], v[124:125], v[122:123]
	s_delay_alu instid0(VALU_DEP_2) | instskip(NEXT) | instid1(VALU_DEP_2)
	v_add_f64 v[0:1], v[0:1], -v[136:137]
	v_fma_f64 v[124:125], v[126:127], v[132:133], v[124:125]
	s_delay_alu instid0(VALU_DEP_1)
	v_add_f64 v[2:3], v[2:3], -v[124:125]
.LBB60_83:
	s_or_b32 exec_lo, exec_lo, s2
	v_lshl_add_u32 v124, v150, 4, v148
	s_barrier
	buffer_gl0_inv
	v_mov_b32_e32 v132, 4
	ds_store_2addr_b64 v124, v[108:109], v[110:111] offset1:1
	s_waitcnt lgkmcnt(0)
	s_barrier
	buffer_gl0_inv
	ds_load_2addr_b64 v[124:127], v148 offset0:8 offset1:9
	s_cmp_lt_i32 s5, 6
	s_cbranch_scc1 .LBB60_86
; %bb.84:
	v_add3_u32 v133, v146, 0, 0x50
	v_mov_b32_e32 v132, 4
	s_mov_b32 s6, 5
	s_set_inst_prefetch_distance 0x1
	.p2align	6
.LBB60_85:                              ; =>This Inner Loop Header: Depth=1
	ds_load_2addr_b64 v[134:137], v133 offset1:1
	s_waitcnt lgkmcnt(1)
	v_cmp_gt_f64_e32 vcc_lo, 0, v[124:125]
	v_xor_b32_e32 v128, 0x80000000, v125
	v_cmp_gt_f64_e64 s2, 0, v[126:127]
	v_xor_b32_e32 v130, 0x80000000, v127
	v_add_nc_u32_e32 v133, 16, v133
	s_waitcnt lgkmcnt(0)
	v_cmp_gt_f64_e64 s3, 0, v[134:135]
	v_mov_b32_e32 v138, v134
	v_dual_mov_b32 v140, v136 :: v_dual_cndmask_b32 v129, v125, v128
	v_xor_b32_e32 v128, 0x80000000, v135
	v_cndmask_b32_e64 v131, v127, v130, s2
	v_xor_b32_e32 v130, 0x80000000, v137
	s_delay_alu instid0(VALU_DEP_3) | instskip(SKIP_2) | instid1(VALU_DEP_2)
	v_cndmask_b32_e64 v139, v135, v128, s3
	v_cmp_gt_f64_e64 s3, 0, v[136:137]
	v_cndmask_b32_e32 v128, v124, v124, vcc_lo
	v_cndmask_b32_e64 v141, v137, v130, s3
	v_cndmask_b32_e64 v130, v126, v126, s2
	s_delay_alu instid0(VALU_DEP_2) | instskip(NEXT) | instid1(VALU_DEP_2)
	v_add_f64 v[138:139], v[138:139], v[140:141]
	v_add_f64 v[128:129], v[128:129], v[130:131]
	s_delay_alu instid0(VALU_DEP_1)
	v_cmp_lt_f64_e32 vcc_lo, v[128:129], v[138:139]
	v_cndmask_b32_e32 v127, v127, v137, vcc_lo
	v_dual_cndmask_b32 v125, v125, v135 :: v_dual_cndmask_b32 v124, v124, v134
	v_cndmask_b32_e32 v126, v126, v136, vcc_lo
	v_cndmask_b32_e64 v132, v132, s6, vcc_lo
	s_add_i32 s6, s6, 1
	s_delay_alu instid0(SALU_CYCLE_1)
	s_cmp_lg_u32 s5, s6
	s_cbranch_scc1 .LBB60_85
.LBB60_86:
	s_set_inst_prefetch_distance 0x2
	s_waitcnt lgkmcnt(0)
	v_cmp_eq_f64_e32 vcc_lo, 0, v[124:125]
	v_cmp_eq_f64_e64 s2, 0, v[126:127]
	s_delay_alu instid0(VALU_DEP_1) | instskip(NEXT) | instid1(SALU_CYCLE_1)
	s_and_b32 s2, vcc_lo, s2
	s_and_saveexec_b32 s3, s2
	s_delay_alu instid0(SALU_CYCLE_1)
	s_xor_b32 s2, exec_lo, s3
; %bb.87:
	v_cmp_ne_u32_e32 vcc_lo, 0, v255
	v_cndmask_b32_e32 v255, 5, v255, vcc_lo
; %bb.88:
	s_and_not1_saveexec_b32 s3, s2
	s_cbranch_execz .LBB60_94
; %bb.89:
	v_cmp_gt_f64_e32 vcc_lo, 0, v[124:125]
	v_cmp_gt_f64_e64 s2, 0, v[126:127]
	v_xor_b32_e32 v128, 0x80000000, v125
	v_xor_b32_e32 v130, 0x80000000, v127
	s_delay_alu instid0(VALU_DEP_2) | instskip(NEXT) | instid1(VALU_DEP_2)
	v_cndmask_b32_e32 v129, v125, v128, vcc_lo
	v_cndmask_b32_e64 v131, v127, v130, s2
	v_cndmask_b32_e32 v128, v124, v124, vcc_lo
	v_cndmask_b32_e64 v130, v126, v126, s2
	s_mov_b32 s2, exec_lo
	s_delay_alu instid0(VALU_DEP_1)
	v_cmpx_ngt_f64_e32 v[128:129], v[130:131]
	s_xor_b32 s2, exec_lo, s2
	s_cbranch_execz .LBB60_91
; %bb.90:
	v_div_scale_f64 v[128:129], null, v[126:127], v[126:127], v[124:125]
	v_div_scale_f64 v[135:136], vcc_lo, v[124:125], v[126:127], v[124:125]
	s_delay_alu instid0(VALU_DEP_2) | instskip(SKIP_2) | instid1(VALU_DEP_1)
	v_rcp_f64_e32 v[130:131], v[128:129]
	s_waitcnt_depctr 0xfff
	v_fma_f64 v[133:134], -v[128:129], v[130:131], 1.0
	v_fma_f64 v[130:131], v[130:131], v[133:134], v[130:131]
	s_delay_alu instid0(VALU_DEP_1) | instskip(NEXT) | instid1(VALU_DEP_1)
	v_fma_f64 v[133:134], -v[128:129], v[130:131], 1.0
	v_fma_f64 v[130:131], v[130:131], v[133:134], v[130:131]
	s_delay_alu instid0(VALU_DEP_1) | instskip(NEXT) | instid1(VALU_DEP_1)
	v_mul_f64 v[133:134], v[135:136], v[130:131]
	v_fma_f64 v[128:129], -v[128:129], v[133:134], v[135:136]
	s_delay_alu instid0(VALU_DEP_1) | instskip(NEXT) | instid1(VALU_DEP_1)
	v_div_fmas_f64 v[128:129], v[128:129], v[130:131], v[133:134]
	v_div_fixup_f64 v[128:129], v[128:129], v[126:127], v[124:125]
	s_delay_alu instid0(VALU_DEP_1) | instskip(NEXT) | instid1(VALU_DEP_1)
	v_fma_f64 v[124:125], v[124:125], v[128:129], v[126:127]
	v_div_scale_f64 v[126:127], null, v[124:125], v[124:125], 1.0
	s_delay_alu instid0(VALU_DEP_1) | instskip(SKIP_2) | instid1(VALU_DEP_1)
	v_rcp_f64_e32 v[130:131], v[126:127]
	s_waitcnt_depctr 0xfff
	v_fma_f64 v[133:134], -v[126:127], v[130:131], 1.0
	v_fma_f64 v[130:131], v[130:131], v[133:134], v[130:131]
	s_delay_alu instid0(VALU_DEP_1) | instskip(NEXT) | instid1(VALU_DEP_1)
	v_fma_f64 v[133:134], -v[126:127], v[130:131], 1.0
	v_fma_f64 v[130:131], v[130:131], v[133:134], v[130:131]
	v_div_scale_f64 v[133:134], vcc_lo, 1.0, v[124:125], 1.0
	s_delay_alu instid0(VALU_DEP_1) | instskip(NEXT) | instid1(VALU_DEP_1)
	v_mul_f64 v[135:136], v[133:134], v[130:131]
	v_fma_f64 v[126:127], -v[126:127], v[135:136], v[133:134]
	s_delay_alu instid0(VALU_DEP_1) | instskip(NEXT) | instid1(VALU_DEP_1)
	v_div_fmas_f64 v[126:127], v[126:127], v[130:131], v[135:136]
	v_div_fixup_f64 v[126:127], v[126:127], v[124:125], 1.0
	s_delay_alu instid0(VALU_DEP_1)
	v_mul_f64 v[124:125], v[128:129], v[126:127]
	v_xor_b32_e32 v127, 0x80000000, v127
.LBB60_91:
	s_and_not1_saveexec_b32 s2, s2
	s_cbranch_execz .LBB60_93
; %bb.92:
	s_delay_alu instid0(VALU_DEP_1) | instskip(SKIP_1) | instid1(VALU_DEP_2)
	v_div_scale_f64 v[128:129], null, v[124:125], v[124:125], v[126:127]
	v_div_scale_f64 v[135:136], vcc_lo, v[126:127], v[124:125], v[126:127]
	v_rcp_f64_e32 v[130:131], v[128:129]
	s_waitcnt_depctr 0xfff
	v_fma_f64 v[133:134], -v[128:129], v[130:131], 1.0
	s_delay_alu instid0(VALU_DEP_1) | instskip(NEXT) | instid1(VALU_DEP_1)
	v_fma_f64 v[130:131], v[130:131], v[133:134], v[130:131]
	v_fma_f64 v[133:134], -v[128:129], v[130:131], 1.0
	s_delay_alu instid0(VALU_DEP_1) | instskip(NEXT) | instid1(VALU_DEP_1)
	v_fma_f64 v[130:131], v[130:131], v[133:134], v[130:131]
	v_mul_f64 v[133:134], v[135:136], v[130:131]
	s_delay_alu instid0(VALU_DEP_1) | instskip(NEXT) | instid1(VALU_DEP_1)
	v_fma_f64 v[128:129], -v[128:129], v[133:134], v[135:136]
	v_div_fmas_f64 v[128:129], v[128:129], v[130:131], v[133:134]
	s_delay_alu instid0(VALU_DEP_1) | instskip(NEXT) | instid1(VALU_DEP_1)
	v_div_fixup_f64 v[128:129], v[128:129], v[124:125], v[126:127]
	v_fma_f64 v[124:125], v[126:127], v[128:129], v[124:125]
	s_delay_alu instid0(VALU_DEP_1) | instskip(NEXT) | instid1(VALU_DEP_1)
	v_div_scale_f64 v[126:127], null, v[124:125], v[124:125], 1.0
	v_rcp_f64_e32 v[130:131], v[126:127]
	s_waitcnt_depctr 0xfff
	v_fma_f64 v[133:134], -v[126:127], v[130:131], 1.0
	s_delay_alu instid0(VALU_DEP_1) | instskip(NEXT) | instid1(VALU_DEP_1)
	v_fma_f64 v[130:131], v[130:131], v[133:134], v[130:131]
	v_fma_f64 v[133:134], -v[126:127], v[130:131], 1.0
	s_delay_alu instid0(VALU_DEP_1) | instskip(SKIP_1) | instid1(VALU_DEP_1)
	v_fma_f64 v[130:131], v[130:131], v[133:134], v[130:131]
	v_div_scale_f64 v[133:134], vcc_lo, 1.0, v[124:125], 1.0
	v_mul_f64 v[135:136], v[133:134], v[130:131]
	s_delay_alu instid0(VALU_DEP_1) | instskip(NEXT) | instid1(VALU_DEP_1)
	v_fma_f64 v[126:127], -v[126:127], v[135:136], v[133:134]
	v_div_fmas_f64 v[126:127], v[126:127], v[130:131], v[135:136]
	s_delay_alu instid0(VALU_DEP_1) | instskip(NEXT) | instid1(VALU_DEP_1)
	v_div_fixup_f64 v[124:125], v[126:127], v[124:125], 1.0
	v_mul_f64 v[126:127], v[128:129], -v[124:125]
.LBB60_93:
	s_or_b32 exec_lo, exec_lo, s2
.LBB60_94:
	s_delay_alu instid0(SALU_CYCLE_1) | instskip(NEXT) | instid1(SALU_CYCLE_1)
	s_or_b32 exec_lo, exec_lo, s3
	s_mov_b32 s2, exec_lo
	v_cmpx_ne_u32_e64 v150, v132
	s_xor_b32 s2, exec_lo, s2
	s_cbranch_execz .LBB60_100
; %bb.95:
	s_mov_b32 s3, exec_lo
	v_cmpx_eq_u32_e32 4, v150
	s_cbranch_execz .LBB60_99
; %bb.96:
	v_cmp_ne_u32_e32 vcc_lo, 4, v132
	s_xor_b32 s6, s4, -1
	s_delay_alu instid0(SALU_CYCLE_1) | instskip(NEXT) | instid1(SALU_CYCLE_1)
	s_and_b32 s7, s6, vcc_lo
	s_and_saveexec_b32 s6, s7
	s_cbranch_execz .LBB60_98
; %bb.97:
	scratch_load_b64 v[40:41], off, off     ; 8-byte Folded Reload
	v_ashrrev_i32_e32 v133, 31, v132
	s_delay_alu instid0(VALU_DEP_1) | instskip(SKIP_1) | instid1(VALU_DEP_1)
	v_lshlrev_b64 v[128:129], 2, v[132:133]
	s_waitcnt vmcnt(0)
	v_add_co_u32 v128, vcc_lo, v40, v128
	s_delay_alu instid0(VALU_DEP_2)
	v_add_co_ci_u32_e32 v129, vcc_lo, v41, v129, vcc_lo
	s_clause 0x1
	flat_load_b32 v130, v[128:129]
	flat_load_b32 v131, v[40:41] offset:16
	s_waitcnt vmcnt(1) lgkmcnt(1)
	flat_store_b32 v[40:41], v130 offset:16
	s_waitcnt vmcnt(0) lgkmcnt(1)
	flat_store_b32 v[128:129], v131
.LBB60_98:
	s_or_b32 exec_lo, exec_lo, s6
	v_mov_b32_e32 v150, v132
	v_mov_b32_e32 v149, v132
.LBB60_99:
	s_or_b32 exec_lo, exec_lo, s3
.LBB60_100:
	s_and_not1_saveexec_b32 s2, s2
	s_cbranch_execz .LBB60_102
; %bb.101:
	v_mov_b32_e32 v150, 4
	ds_store_2addr_b64 v148, v[104:105], v[106:107] offset0:10 offset1:11
	ds_store_2addr_b64 v148, v[84:85], v[86:87] offset0:12 offset1:13
	;; [unrolled: 1-line block ×26, first 2 shown]
.LBB60_102:
	s_or_b32 exec_lo, exec_lo, s2
	s_delay_alu instid0(SALU_CYCLE_1)
	s_mov_b32 s2, exec_lo
	s_waitcnt lgkmcnt(0)
	s_waitcnt_vscnt null, 0x0
	s_barrier
	buffer_gl0_inv
	v_cmpx_lt_i32_e32 4, v150
	s_cbranch_execz .LBB60_104
; %bb.103:
	v_mul_f64 v[128:129], v[126:127], v[110:111]
	v_mul_f64 v[110:111], v[124:125], v[110:111]
	s_delay_alu instid0(VALU_DEP_2) | instskip(NEXT) | instid1(VALU_DEP_2)
	v_fma_f64 v[132:133], v[124:125], v[108:109], -v[128:129]
	v_fma_f64 v[110:111], v[126:127], v[108:109], v[110:111]
	ds_load_2addr_b64 v[124:127], v148 offset0:10 offset1:11
	ds_load_2addr_b64 v[134:137], v148 offset0:12 offset1:13
	s_waitcnt lgkmcnt(1)
	v_mul_f64 v[108:109], v[126:127], v[110:111]
	s_delay_alu instid0(VALU_DEP_1) | instskip(SKIP_1) | instid1(VALU_DEP_2)
	v_fma_f64 v[108:109], v[124:125], v[132:133], -v[108:109]
	v_mul_f64 v[124:125], v[124:125], v[110:111]
	v_add_f64 v[104:105], v[104:105], -v[108:109]
	s_delay_alu instid0(VALU_DEP_2) | instskip(SKIP_3) | instid1(VALU_DEP_3)
	v_fma_f64 v[128:129], v[126:127], v[132:133], v[124:125]
	s_waitcnt lgkmcnt(0)
	v_mul_f64 v[124:125], v[136:137], v[110:111]
	v_dual_mov_b32 v108, v132 :: v_dual_mov_b32 v109, v133
	v_add_f64 v[106:107], v[106:107], -v[128:129]
	s_delay_alu instid0(VALU_DEP_3) | instskip(SKIP_1) | instid1(VALU_DEP_2)
	v_fma_f64 v[130:131], v[134:135], v[132:133], -v[124:125]
	v_mul_f64 v[124:125], v[134:135], v[110:111]
	v_add_f64 v[84:85], v[84:85], -v[130:131]
	s_delay_alu instid0(VALU_DEP_2)
	v_fma_f64 v[138:139], v[136:137], v[132:133], v[124:125]
	ds_load_2addr_b64 v[124:127], v148 offset0:14 offset1:15
	ds_load_2addr_b64 v[134:137], v148 offset0:16 offset1:17
	s_waitcnt lgkmcnt(1)
	v_mul_f64 v[140:141], v[126:127], v[110:111]
	v_add_f64 v[86:87], v[86:87], -v[138:139]
	s_delay_alu instid0(VALU_DEP_2) | instskip(SKIP_1) | instid1(VALU_DEP_2)
	v_fma_f64 v[140:141], v[124:125], v[132:133], -v[140:141]
	v_mul_f64 v[124:125], v[124:125], v[110:111]
	v_add_f64 v[80:81], v[80:81], -v[140:141]
	s_delay_alu instid0(VALU_DEP_2) | instskip(SKIP_2) | instid1(VALU_DEP_2)
	v_fma_f64 v[142:143], v[126:127], v[132:133], v[124:125]
	s_waitcnt lgkmcnt(0)
	v_mul_f64 v[124:125], v[136:137], v[110:111]
	v_add_f64 v[82:83], v[82:83], -v[142:143]
	s_delay_alu instid0(VALU_DEP_2) | instskip(SKIP_1) | instid1(VALU_DEP_2)
	v_fma_f64 v[151:152], v[134:135], v[132:133], -v[124:125]
	v_mul_f64 v[124:125], v[134:135], v[110:111]
	v_add_f64 v[100:101], v[100:101], -v[151:152]
	s_delay_alu instid0(VALU_DEP_2)
	v_fma_f64 v[153:154], v[136:137], v[132:133], v[124:125]
	ds_load_2addr_b64 v[124:127], v148 offset0:18 offset1:19
	ds_load_2addr_b64 v[134:137], v148 offset0:20 offset1:21
	s_waitcnt lgkmcnt(1)
	v_mul_f64 v[155:156], v[126:127], v[110:111]
	v_add_f64 v[102:103], v[102:103], -v[153:154]
	s_delay_alu instid0(VALU_DEP_2) | instskip(SKIP_1) | instid1(VALU_DEP_2)
	v_fma_f64 v[155:156], v[124:125], v[132:133], -v[155:156]
	v_mul_f64 v[124:125], v[124:125], v[110:111]
	v_add_f64 v[76:77], v[76:77], -v[155:156]
	s_delay_alu instid0(VALU_DEP_2) | instskip(SKIP_2) | instid1(VALU_DEP_2)
	v_fma_f64 v[157:158], v[126:127], v[132:133], v[124:125]
	s_waitcnt lgkmcnt(0)
	v_mul_f64 v[124:125], v[136:137], v[110:111]
	v_add_f64 v[78:79], v[78:79], -v[157:158]
	s_delay_alu instid0(VALU_DEP_2) | instskip(SKIP_1) | instid1(VALU_DEP_2)
	;; [unrolled: 20-line block ×12, first 2 shown]
	v_fma_f64 v[126:127], v[134:135], v[132:133], -v[126:127]
	v_mul_f64 v[134:135], v[134:135], v[110:111]
	v_add_f64 v[0:1], v[0:1], -v[126:127]
	s_delay_alu instid0(VALU_DEP_2) | instskip(NEXT) | instid1(VALU_DEP_1)
	v_fma_f64 v[134:135], v[136:137], v[132:133], v[134:135]
	v_add_f64 v[2:3], v[2:3], -v[134:135]
.LBB60_104:
	s_or_b32 exec_lo, exec_lo, s2
	v_lshl_add_u32 v124, v150, 4, v148
	s_barrier
	buffer_gl0_inv
	v_mov_b32_e32 v132, 5
	ds_store_2addr_b64 v124, v[104:105], v[106:107] offset1:1
	s_waitcnt lgkmcnt(0)
	s_barrier
	buffer_gl0_inv
	ds_load_2addr_b64 v[124:127], v148 offset0:10 offset1:11
	s_cmp_lt_i32 s5, 7
	s_cbranch_scc1 .LBB60_107
; %bb.105:
	v_add3_u32 v133, v146, 0, 0x60
	v_mov_b32_e32 v132, 5
	s_mov_b32 s6, 6
	s_set_inst_prefetch_distance 0x1
	.p2align	6
.LBB60_106:                             ; =>This Inner Loop Header: Depth=1
	ds_load_2addr_b64 v[134:137], v133 offset1:1
	s_waitcnt lgkmcnt(1)
	v_cmp_gt_f64_e32 vcc_lo, 0, v[124:125]
	v_xor_b32_e32 v128, 0x80000000, v125
	v_cmp_gt_f64_e64 s2, 0, v[126:127]
	v_xor_b32_e32 v130, 0x80000000, v127
	v_add_nc_u32_e32 v133, 16, v133
	s_waitcnt lgkmcnt(0)
	v_cmp_gt_f64_e64 s3, 0, v[134:135]
	v_mov_b32_e32 v138, v134
	v_dual_mov_b32 v140, v136 :: v_dual_cndmask_b32 v129, v125, v128
	v_xor_b32_e32 v128, 0x80000000, v135
	v_cndmask_b32_e64 v131, v127, v130, s2
	v_xor_b32_e32 v130, 0x80000000, v137
	s_delay_alu instid0(VALU_DEP_3) | instskip(SKIP_2) | instid1(VALU_DEP_2)
	v_cndmask_b32_e64 v139, v135, v128, s3
	v_cmp_gt_f64_e64 s3, 0, v[136:137]
	v_cndmask_b32_e32 v128, v124, v124, vcc_lo
	v_cndmask_b32_e64 v141, v137, v130, s3
	v_cndmask_b32_e64 v130, v126, v126, s2
	s_delay_alu instid0(VALU_DEP_2) | instskip(NEXT) | instid1(VALU_DEP_2)
	v_add_f64 v[138:139], v[138:139], v[140:141]
	v_add_f64 v[128:129], v[128:129], v[130:131]
	s_delay_alu instid0(VALU_DEP_1)
	v_cmp_lt_f64_e32 vcc_lo, v[128:129], v[138:139]
	v_cndmask_b32_e32 v127, v127, v137, vcc_lo
	v_dual_cndmask_b32 v125, v125, v135 :: v_dual_cndmask_b32 v124, v124, v134
	v_cndmask_b32_e32 v126, v126, v136, vcc_lo
	v_cndmask_b32_e64 v132, v132, s6, vcc_lo
	s_add_i32 s6, s6, 1
	s_delay_alu instid0(SALU_CYCLE_1)
	s_cmp_lg_u32 s5, s6
	s_cbranch_scc1 .LBB60_106
.LBB60_107:
	s_set_inst_prefetch_distance 0x2
	s_waitcnt lgkmcnt(0)
	v_cmp_eq_f64_e32 vcc_lo, 0, v[124:125]
	v_cmp_eq_f64_e64 s2, 0, v[126:127]
	s_delay_alu instid0(VALU_DEP_1) | instskip(NEXT) | instid1(SALU_CYCLE_1)
	s_and_b32 s2, vcc_lo, s2
	s_and_saveexec_b32 s3, s2
	s_delay_alu instid0(SALU_CYCLE_1)
	s_xor_b32 s2, exec_lo, s3
; %bb.108:
	v_cmp_ne_u32_e32 vcc_lo, 0, v255
	v_cndmask_b32_e32 v255, 6, v255, vcc_lo
; %bb.109:
	s_and_not1_saveexec_b32 s3, s2
	s_cbranch_execz .LBB60_115
; %bb.110:
	v_cmp_gt_f64_e32 vcc_lo, 0, v[124:125]
	v_cmp_gt_f64_e64 s2, 0, v[126:127]
	v_xor_b32_e32 v128, 0x80000000, v125
	v_xor_b32_e32 v130, 0x80000000, v127
	s_delay_alu instid0(VALU_DEP_2) | instskip(NEXT) | instid1(VALU_DEP_2)
	v_cndmask_b32_e32 v129, v125, v128, vcc_lo
	v_cndmask_b32_e64 v131, v127, v130, s2
	v_cndmask_b32_e32 v128, v124, v124, vcc_lo
	v_cndmask_b32_e64 v130, v126, v126, s2
	s_mov_b32 s2, exec_lo
	s_delay_alu instid0(VALU_DEP_1)
	v_cmpx_ngt_f64_e32 v[128:129], v[130:131]
	s_xor_b32 s2, exec_lo, s2
	s_cbranch_execz .LBB60_112
; %bb.111:
	v_div_scale_f64 v[128:129], null, v[126:127], v[126:127], v[124:125]
	v_div_scale_f64 v[135:136], vcc_lo, v[124:125], v[126:127], v[124:125]
	s_delay_alu instid0(VALU_DEP_2) | instskip(SKIP_2) | instid1(VALU_DEP_1)
	v_rcp_f64_e32 v[130:131], v[128:129]
	s_waitcnt_depctr 0xfff
	v_fma_f64 v[133:134], -v[128:129], v[130:131], 1.0
	v_fma_f64 v[130:131], v[130:131], v[133:134], v[130:131]
	s_delay_alu instid0(VALU_DEP_1) | instskip(NEXT) | instid1(VALU_DEP_1)
	v_fma_f64 v[133:134], -v[128:129], v[130:131], 1.0
	v_fma_f64 v[130:131], v[130:131], v[133:134], v[130:131]
	s_delay_alu instid0(VALU_DEP_1) | instskip(NEXT) | instid1(VALU_DEP_1)
	v_mul_f64 v[133:134], v[135:136], v[130:131]
	v_fma_f64 v[128:129], -v[128:129], v[133:134], v[135:136]
	s_delay_alu instid0(VALU_DEP_1) | instskip(NEXT) | instid1(VALU_DEP_1)
	v_div_fmas_f64 v[128:129], v[128:129], v[130:131], v[133:134]
	v_div_fixup_f64 v[128:129], v[128:129], v[126:127], v[124:125]
	s_delay_alu instid0(VALU_DEP_1) | instskip(NEXT) | instid1(VALU_DEP_1)
	v_fma_f64 v[124:125], v[124:125], v[128:129], v[126:127]
	v_div_scale_f64 v[126:127], null, v[124:125], v[124:125], 1.0
	s_delay_alu instid0(VALU_DEP_1) | instskip(SKIP_2) | instid1(VALU_DEP_1)
	v_rcp_f64_e32 v[130:131], v[126:127]
	s_waitcnt_depctr 0xfff
	v_fma_f64 v[133:134], -v[126:127], v[130:131], 1.0
	v_fma_f64 v[130:131], v[130:131], v[133:134], v[130:131]
	s_delay_alu instid0(VALU_DEP_1) | instskip(NEXT) | instid1(VALU_DEP_1)
	v_fma_f64 v[133:134], -v[126:127], v[130:131], 1.0
	v_fma_f64 v[130:131], v[130:131], v[133:134], v[130:131]
	v_div_scale_f64 v[133:134], vcc_lo, 1.0, v[124:125], 1.0
	s_delay_alu instid0(VALU_DEP_1) | instskip(NEXT) | instid1(VALU_DEP_1)
	v_mul_f64 v[135:136], v[133:134], v[130:131]
	v_fma_f64 v[126:127], -v[126:127], v[135:136], v[133:134]
	s_delay_alu instid0(VALU_DEP_1) | instskip(NEXT) | instid1(VALU_DEP_1)
	v_div_fmas_f64 v[126:127], v[126:127], v[130:131], v[135:136]
	v_div_fixup_f64 v[126:127], v[126:127], v[124:125], 1.0
	s_delay_alu instid0(VALU_DEP_1)
	v_mul_f64 v[124:125], v[128:129], v[126:127]
	v_xor_b32_e32 v127, 0x80000000, v127
.LBB60_112:
	s_and_not1_saveexec_b32 s2, s2
	s_cbranch_execz .LBB60_114
; %bb.113:
	s_delay_alu instid0(VALU_DEP_1) | instskip(SKIP_1) | instid1(VALU_DEP_2)
	v_div_scale_f64 v[128:129], null, v[124:125], v[124:125], v[126:127]
	v_div_scale_f64 v[135:136], vcc_lo, v[126:127], v[124:125], v[126:127]
	v_rcp_f64_e32 v[130:131], v[128:129]
	s_waitcnt_depctr 0xfff
	v_fma_f64 v[133:134], -v[128:129], v[130:131], 1.0
	s_delay_alu instid0(VALU_DEP_1) | instskip(NEXT) | instid1(VALU_DEP_1)
	v_fma_f64 v[130:131], v[130:131], v[133:134], v[130:131]
	v_fma_f64 v[133:134], -v[128:129], v[130:131], 1.0
	s_delay_alu instid0(VALU_DEP_1) | instskip(NEXT) | instid1(VALU_DEP_1)
	v_fma_f64 v[130:131], v[130:131], v[133:134], v[130:131]
	v_mul_f64 v[133:134], v[135:136], v[130:131]
	s_delay_alu instid0(VALU_DEP_1) | instskip(NEXT) | instid1(VALU_DEP_1)
	v_fma_f64 v[128:129], -v[128:129], v[133:134], v[135:136]
	v_div_fmas_f64 v[128:129], v[128:129], v[130:131], v[133:134]
	s_delay_alu instid0(VALU_DEP_1) | instskip(NEXT) | instid1(VALU_DEP_1)
	v_div_fixup_f64 v[128:129], v[128:129], v[124:125], v[126:127]
	v_fma_f64 v[124:125], v[126:127], v[128:129], v[124:125]
	s_delay_alu instid0(VALU_DEP_1) | instskip(NEXT) | instid1(VALU_DEP_1)
	v_div_scale_f64 v[126:127], null, v[124:125], v[124:125], 1.0
	v_rcp_f64_e32 v[130:131], v[126:127]
	s_waitcnt_depctr 0xfff
	v_fma_f64 v[133:134], -v[126:127], v[130:131], 1.0
	s_delay_alu instid0(VALU_DEP_1) | instskip(NEXT) | instid1(VALU_DEP_1)
	v_fma_f64 v[130:131], v[130:131], v[133:134], v[130:131]
	v_fma_f64 v[133:134], -v[126:127], v[130:131], 1.0
	s_delay_alu instid0(VALU_DEP_1) | instskip(SKIP_1) | instid1(VALU_DEP_1)
	v_fma_f64 v[130:131], v[130:131], v[133:134], v[130:131]
	v_div_scale_f64 v[133:134], vcc_lo, 1.0, v[124:125], 1.0
	v_mul_f64 v[135:136], v[133:134], v[130:131]
	s_delay_alu instid0(VALU_DEP_1) | instskip(NEXT) | instid1(VALU_DEP_1)
	v_fma_f64 v[126:127], -v[126:127], v[135:136], v[133:134]
	v_div_fmas_f64 v[126:127], v[126:127], v[130:131], v[135:136]
	s_delay_alu instid0(VALU_DEP_1) | instskip(NEXT) | instid1(VALU_DEP_1)
	v_div_fixup_f64 v[124:125], v[126:127], v[124:125], 1.0
	v_mul_f64 v[126:127], v[128:129], -v[124:125]
.LBB60_114:
	s_or_b32 exec_lo, exec_lo, s2
.LBB60_115:
	s_delay_alu instid0(SALU_CYCLE_1) | instskip(NEXT) | instid1(SALU_CYCLE_1)
	s_or_b32 exec_lo, exec_lo, s3
	s_mov_b32 s2, exec_lo
	v_cmpx_ne_u32_e64 v150, v132
	s_xor_b32 s2, exec_lo, s2
	s_cbranch_execz .LBB60_121
; %bb.116:
	s_mov_b32 s3, exec_lo
	v_cmpx_eq_u32_e32 5, v150
	s_cbranch_execz .LBB60_120
; %bb.117:
	v_cmp_ne_u32_e32 vcc_lo, 5, v132
	s_xor_b32 s6, s4, -1
	s_delay_alu instid0(SALU_CYCLE_1) | instskip(NEXT) | instid1(SALU_CYCLE_1)
	s_and_b32 s7, s6, vcc_lo
	s_and_saveexec_b32 s6, s7
	s_cbranch_execz .LBB60_119
; %bb.118:
	scratch_load_b64 v[40:41], off, off     ; 8-byte Folded Reload
	v_ashrrev_i32_e32 v133, 31, v132
	s_delay_alu instid0(VALU_DEP_1) | instskip(SKIP_1) | instid1(VALU_DEP_1)
	v_lshlrev_b64 v[128:129], 2, v[132:133]
	s_waitcnt vmcnt(0)
	v_add_co_u32 v128, vcc_lo, v40, v128
	s_delay_alu instid0(VALU_DEP_2)
	v_add_co_ci_u32_e32 v129, vcc_lo, v41, v129, vcc_lo
	s_clause 0x1
	flat_load_b32 v130, v[128:129]
	flat_load_b32 v131, v[40:41] offset:20
	s_waitcnt vmcnt(1) lgkmcnt(1)
	flat_store_b32 v[40:41], v130 offset:20
	s_waitcnt vmcnt(0) lgkmcnt(1)
	flat_store_b32 v[128:129], v131
.LBB60_119:
	s_or_b32 exec_lo, exec_lo, s6
	v_mov_b32_e32 v150, v132
	v_mov_b32_e32 v149, v132
.LBB60_120:
	s_or_b32 exec_lo, exec_lo, s3
.LBB60_121:
	s_and_not1_saveexec_b32 s2, s2
	s_cbranch_execz .LBB60_123
; %bb.122:
	v_mov_b32_e32 v150, 5
	ds_store_2addr_b64 v148, v[84:85], v[86:87] offset0:12 offset1:13
	ds_store_2addr_b64 v148, v[80:81], v[82:83] offset0:14 offset1:15
	;; [unrolled: 1-line block ×25, first 2 shown]
.LBB60_123:
	s_or_b32 exec_lo, exec_lo, s2
	s_delay_alu instid0(SALU_CYCLE_1)
	s_mov_b32 s2, exec_lo
	s_waitcnt lgkmcnt(0)
	s_waitcnt_vscnt null, 0x0
	s_barrier
	buffer_gl0_inv
	v_cmpx_lt_i32_e32 5, v150
	s_cbranch_execz .LBB60_125
; %bb.124:
	v_mul_f64 v[128:129], v[126:127], v[106:107]
	v_mul_f64 v[106:107], v[124:125], v[106:107]
	s_delay_alu instid0(VALU_DEP_2) | instskip(NEXT) | instid1(VALU_DEP_2)
	v_fma_f64 v[132:133], v[124:125], v[104:105], -v[128:129]
	v_fma_f64 v[106:107], v[126:127], v[104:105], v[106:107]
	ds_load_2addr_b64 v[124:127], v148 offset0:12 offset1:13
	ds_load_2addr_b64 v[134:137], v148 offset0:14 offset1:15
	s_waitcnt lgkmcnt(1)
	v_mul_f64 v[104:105], v[126:127], v[106:107]
	s_delay_alu instid0(VALU_DEP_1) | instskip(SKIP_1) | instid1(VALU_DEP_2)
	v_fma_f64 v[104:105], v[124:125], v[132:133], -v[104:105]
	v_mul_f64 v[124:125], v[124:125], v[106:107]
	v_add_f64 v[84:85], v[84:85], -v[104:105]
	s_delay_alu instid0(VALU_DEP_2) | instskip(SKIP_3) | instid1(VALU_DEP_3)
	v_fma_f64 v[128:129], v[126:127], v[132:133], v[124:125]
	s_waitcnt lgkmcnt(0)
	v_mul_f64 v[124:125], v[136:137], v[106:107]
	v_dual_mov_b32 v104, v132 :: v_dual_mov_b32 v105, v133
	v_add_f64 v[86:87], v[86:87], -v[128:129]
	s_delay_alu instid0(VALU_DEP_3) | instskip(SKIP_1) | instid1(VALU_DEP_2)
	v_fma_f64 v[130:131], v[134:135], v[132:133], -v[124:125]
	v_mul_f64 v[124:125], v[134:135], v[106:107]
	v_add_f64 v[80:81], v[80:81], -v[130:131]
	s_delay_alu instid0(VALU_DEP_2)
	v_fma_f64 v[138:139], v[136:137], v[132:133], v[124:125]
	ds_load_2addr_b64 v[124:127], v148 offset0:16 offset1:17
	ds_load_2addr_b64 v[134:137], v148 offset0:18 offset1:19
	s_waitcnt lgkmcnt(1)
	v_mul_f64 v[140:141], v[126:127], v[106:107]
	v_add_f64 v[82:83], v[82:83], -v[138:139]
	s_delay_alu instid0(VALU_DEP_2) | instskip(SKIP_1) | instid1(VALU_DEP_2)
	v_fma_f64 v[140:141], v[124:125], v[132:133], -v[140:141]
	v_mul_f64 v[124:125], v[124:125], v[106:107]
	v_add_f64 v[100:101], v[100:101], -v[140:141]
	s_delay_alu instid0(VALU_DEP_2) | instskip(SKIP_2) | instid1(VALU_DEP_2)
	v_fma_f64 v[142:143], v[126:127], v[132:133], v[124:125]
	s_waitcnt lgkmcnt(0)
	v_mul_f64 v[124:125], v[136:137], v[106:107]
	v_add_f64 v[102:103], v[102:103], -v[142:143]
	s_delay_alu instid0(VALU_DEP_2) | instskip(SKIP_1) | instid1(VALU_DEP_2)
	v_fma_f64 v[151:152], v[134:135], v[132:133], -v[124:125]
	v_mul_f64 v[124:125], v[134:135], v[106:107]
	v_add_f64 v[76:77], v[76:77], -v[151:152]
	s_delay_alu instid0(VALU_DEP_2)
	v_fma_f64 v[153:154], v[136:137], v[132:133], v[124:125]
	ds_load_2addr_b64 v[124:127], v148 offset0:20 offset1:21
	ds_load_2addr_b64 v[134:137], v148 offset0:22 offset1:23
	s_waitcnt lgkmcnt(1)
	v_mul_f64 v[155:156], v[126:127], v[106:107]
	v_add_f64 v[78:79], v[78:79], -v[153:154]
	s_delay_alu instid0(VALU_DEP_2) | instskip(SKIP_1) | instid1(VALU_DEP_2)
	v_fma_f64 v[155:156], v[124:125], v[132:133], -v[155:156]
	v_mul_f64 v[124:125], v[124:125], v[106:107]
	v_add_f64 v[112:113], v[112:113], -v[155:156]
	s_delay_alu instid0(VALU_DEP_2) | instskip(SKIP_2) | instid1(VALU_DEP_2)
	v_fma_f64 v[157:158], v[126:127], v[132:133], v[124:125]
	s_waitcnt lgkmcnt(0)
	v_mul_f64 v[124:125], v[136:137], v[106:107]
	v_add_f64 v[114:115], v[114:115], -v[157:158]
	s_delay_alu instid0(VALU_DEP_2) | instskip(SKIP_1) | instid1(VALU_DEP_2)
	;; [unrolled: 20-line block ×11, first 2 shown]
	v_fma_f64 v[231:232], v[134:135], v[132:133], -v[124:125]
	v_mul_f64 v[124:125], v[134:135], v[106:107]
	v_add_f64 v[4:5], v[4:5], -v[231:232]
	s_delay_alu instid0(VALU_DEP_2) | instskip(SKIP_4) | instid1(VALU_DEP_2)
	v_fma_f64 v[134:135], v[136:137], v[132:133], v[124:125]
	ds_load_2addr_b64 v[124:127], v148 offset0:60 offset1:61
	s_waitcnt lgkmcnt(0)
	v_mul_f64 v[136:137], v[126:127], v[106:107]
	v_add_f64 v[6:7], v[6:7], -v[134:135]
	v_fma_f64 v[136:137], v[124:125], v[132:133], -v[136:137]
	v_mul_f64 v[124:125], v[124:125], v[106:107]
	s_delay_alu instid0(VALU_DEP_2) | instskip(NEXT) | instid1(VALU_DEP_2)
	v_add_f64 v[0:1], v[0:1], -v[136:137]
	v_fma_f64 v[124:125], v[126:127], v[132:133], v[124:125]
	s_delay_alu instid0(VALU_DEP_1)
	v_add_f64 v[2:3], v[2:3], -v[124:125]
.LBB60_125:
	s_or_b32 exec_lo, exec_lo, s2
	v_lshl_add_u32 v124, v150, 4, v148
	s_barrier
	buffer_gl0_inv
	v_mov_b32_e32 v132, 6
	ds_store_2addr_b64 v124, v[84:85], v[86:87] offset1:1
	s_waitcnt lgkmcnt(0)
	s_barrier
	buffer_gl0_inv
	ds_load_2addr_b64 v[124:127], v148 offset0:12 offset1:13
	s_cmp_lt_i32 s5, 8
	s_cbranch_scc1 .LBB60_128
; %bb.126:
	v_add3_u32 v133, v146, 0, 0x70
	v_mov_b32_e32 v132, 6
	s_mov_b32 s6, 7
	s_set_inst_prefetch_distance 0x1
	.p2align	6
.LBB60_127:                             ; =>This Inner Loop Header: Depth=1
	ds_load_2addr_b64 v[134:137], v133 offset1:1
	s_waitcnt lgkmcnt(1)
	v_cmp_gt_f64_e32 vcc_lo, 0, v[124:125]
	v_xor_b32_e32 v128, 0x80000000, v125
	v_cmp_gt_f64_e64 s2, 0, v[126:127]
	v_xor_b32_e32 v130, 0x80000000, v127
	v_add_nc_u32_e32 v133, 16, v133
	s_waitcnt lgkmcnt(0)
	v_cmp_gt_f64_e64 s3, 0, v[134:135]
	v_mov_b32_e32 v138, v134
	v_dual_mov_b32 v140, v136 :: v_dual_cndmask_b32 v129, v125, v128
	v_xor_b32_e32 v128, 0x80000000, v135
	v_cndmask_b32_e64 v131, v127, v130, s2
	v_xor_b32_e32 v130, 0x80000000, v137
	s_delay_alu instid0(VALU_DEP_3) | instskip(SKIP_2) | instid1(VALU_DEP_2)
	v_cndmask_b32_e64 v139, v135, v128, s3
	v_cmp_gt_f64_e64 s3, 0, v[136:137]
	v_cndmask_b32_e32 v128, v124, v124, vcc_lo
	v_cndmask_b32_e64 v141, v137, v130, s3
	v_cndmask_b32_e64 v130, v126, v126, s2
	s_delay_alu instid0(VALU_DEP_2) | instskip(NEXT) | instid1(VALU_DEP_2)
	v_add_f64 v[138:139], v[138:139], v[140:141]
	v_add_f64 v[128:129], v[128:129], v[130:131]
	s_delay_alu instid0(VALU_DEP_1)
	v_cmp_lt_f64_e32 vcc_lo, v[128:129], v[138:139]
	v_cndmask_b32_e32 v127, v127, v137, vcc_lo
	v_dual_cndmask_b32 v125, v125, v135 :: v_dual_cndmask_b32 v124, v124, v134
	v_cndmask_b32_e32 v126, v126, v136, vcc_lo
	v_cndmask_b32_e64 v132, v132, s6, vcc_lo
	s_add_i32 s6, s6, 1
	s_delay_alu instid0(SALU_CYCLE_1)
	s_cmp_lg_u32 s5, s6
	s_cbranch_scc1 .LBB60_127
.LBB60_128:
	s_set_inst_prefetch_distance 0x2
	s_waitcnt lgkmcnt(0)
	v_cmp_eq_f64_e32 vcc_lo, 0, v[124:125]
	v_cmp_eq_f64_e64 s2, 0, v[126:127]
	s_delay_alu instid0(VALU_DEP_1) | instskip(NEXT) | instid1(SALU_CYCLE_1)
	s_and_b32 s2, vcc_lo, s2
	s_and_saveexec_b32 s3, s2
	s_delay_alu instid0(SALU_CYCLE_1)
	s_xor_b32 s2, exec_lo, s3
; %bb.129:
	v_cmp_ne_u32_e32 vcc_lo, 0, v255
	v_cndmask_b32_e32 v255, 7, v255, vcc_lo
; %bb.130:
	s_and_not1_saveexec_b32 s3, s2
	s_cbranch_execz .LBB60_136
; %bb.131:
	v_cmp_gt_f64_e32 vcc_lo, 0, v[124:125]
	v_cmp_gt_f64_e64 s2, 0, v[126:127]
	v_xor_b32_e32 v128, 0x80000000, v125
	v_xor_b32_e32 v130, 0x80000000, v127
	s_delay_alu instid0(VALU_DEP_2) | instskip(NEXT) | instid1(VALU_DEP_2)
	v_cndmask_b32_e32 v129, v125, v128, vcc_lo
	v_cndmask_b32_e64 v131, v127, v130, s2
	v_cndmask_b32_e32 v128, v124, v124, vcc_lo
	v_cndmask_b32_e64 v130, v126, v126, s2
	s_mov_b32 s2, exec_lo
	s_delay_alu instid0(VALU_DEP_1)
	v_cmpx_ngt_f64_e32 v[128:129], v[130:131]
	s_xor_b32 s2, exec_lo, s2
	s_cbranch_execz .LBB60_133
; %bb.132:
	v_div_scale_f64 v[128:129], null, v[126:127], v[126:127], v[124:125]
	v_div_scale_f64 v[135:136], vcc_lo, v[124:125], v[126:127], v[124:125]
	s_delay_alu instid0(VALU_DEP_2) | instskip(SKIP_2) | instid1(VALU_DEP_1)
	v_rcp_f64_e32 v[130:131], v[128:129]
	s_waitcnt_depctr 0xfff
	v_fma_f64 v[133:134], -v[128:129], v[130:131], 1.0
	v_fma_f64 v[130:131], v[130:131], v[133:134], v[130:131]
	s_delay_alu instid0(VALU_DEP_1) | instskip(NEXT) | instid1(VALU_DEP_1)
	v_fma_f64 v[133:134], -v[128:129], v[130:131], 1.0
	v_fma_f64 v[130:131], v[130:131], v[133:134], v[130:131]
	s_delay_alu instid0(VALU_DEP_1) | instskip(NEXT) | instid1(VALU_DEP_1)
	v_mul_f64 v[133:134], v[135:136], v[130:131]
	v_fma_f64 v[128:129], -v[128:129], v[133:134], v[135:136]
	s_delay_alu instid0(VALU_DEP_1) | instskip(NEXT) | instid1(VALU_DEP_1)
	v_div_fmas_f64 v[128:129], v[128:129], v[130:131], v[133:134]
	v_div_fixup_f64 v[128:129], v[128:129], v[126:127], v[124:125]
	s_delay_alu instid0(VALU_DEP_1) | instskip(NEXT) | instid1(VALU_DEP_1)
	v_fma_f64 v[124:125], v[124:125], v[128:129], v[126:127]
	v_div_scale_f64 v[126:127], null, v[124:125], v[124:125], 1.0
	s_delay_alu instid0(VALU_DEP_1) | instskip(SKIP_2) | instid1(VALU_DEP_1)
	v_rcp_f64_e32 v[130:131], v[126:127]
	s_waitcnt_depctr 0xfff
	v_fma_f64 v[133:134], -v[126:127], v[130:131], 1.0
	v_fma_f64 v[130:131], v[130:131], v[133:134], v[130:131]
	s_delay_alu instid0(VALU_DEP_1) | instskip(NEXT) | instid1(VALU_DEP_1)
	v_fma_f64 v[133:134], -v[126:127], v[130:131], 1.0
	v_fma_f64 v[130:131], v[130:131], v[133:134], v[130:131]
	v_div_scale_f64 v[133:134], vcc_lo, 1.0, v[124:125], 1.0
	s_delay_alu instid0(VALU_DEP_1) | instskip(NEXT) | instid1(VALU_DEP_1)
	v_mul_f64 v[135:136], v[133:134], v[130:131]
	v_fma_f64 v[126:127], -v[126:127], v[135:136], v[133:134]
	s_delay_alu instid0(VALU_DEP_1) | instskip(NEXT) | instid1(VALU_DEP_1)
	v_div_fmas_f64 v[126:127], v[126:127], v[130:131], v[135:136]
	v_div_fixup_f64 v[126:127], v[126:127], v[124:125], 1.0
	s_delay_alu instid0(VALU_DEP_1)
	v_mul_f64 v[124:125], v[128:129], v[126:127]
	v_xor_b32_e32 v127, 0x80000000, v127
.LBB60_133:
	s_and_not1_saveexec_b32 s2, s2
	s_cbranch_execz .LBB60_135
; %bb.134:
	s_delay_alu instid0(VALU_DEP_1) | instskip(SKIP_1) | instid1(VALU_DEP_2)
	v_div_scale_f64 v[128:129], null, v[124:125], v[124:125], v[126:127]
	v_div_scale_f64 v[135:136], vcc_lo, v[126:127], v[124:125], v[126:127]
	v_rcp_f64_e32 v[130:131], v[128:129]
	s_waitcnt_depctr 0xfff
	v_fma_f64 v[133:134], -v[128:129], v[130:131], 1.0
	s_delay_alu instid0(VALU_DEP_1) | instskip(NEXT) | instid1(VALU_DEP_1)
	v_fma_f64 v[130:131], v[130:131], v[133:134], v[130:131]
	v_fma_f64 v[133:134], -v[128:129], v[130:131], 1.0
	s_delay_alu instid0(VALU_DEP_1) | instskip(NEXT) | instid1(VALU_DEP_1)
	v_fma_f64 v[130:131], v[130:131], v[133:134], v[130:131]
	v_mul_f64 v[133:134], v[135:136], v[130:131]
	s_delay_alu instid0(VALU_DEP_1) | instskip(NEXT) | instid1(VALU_DEP_1)
	v_fma_f64 v[128:129], -v[128:129], v[133:134], v[135:136]
	v_div_fmas_f64 v[128:129], v[128:129], v[130:131], v[133:134]
	s_delay_alu instid0(VALU_DEP_1) | instskip(NEXT) | instid1(VALU_DEP_1)
	v_div_fixup_f64 v[128:129], v[128:129], v[124:125], v[126:127]
	v_fma_f64 v[124:125], v[126:127], v[128:129], v[124:125]
	s_delay_alu instid0(VALU_DEP_1) | instskip(NEXT) | instid1(VALU_DEP_1)
	v_div_scale_f64 v[126:127], null, v[124:125], v[124:125], 1.0
	v_rcp_f64_e32 v[130:131], v[126:127]
	s_waitcnt_depctr 0xfff
	v_fma_f64 v[133:134], -v[126:127], v[130:131], 1.0
	s_delay_alu instid0(VALU_DEP_1) | instskip(NEXT) | instid1(VALU_DEP_1)
	v_fma_f64 v[130:131], v[130:131], v[133:134], v[130:131]
	v_fma_f64 v[133:134], -v[126:127], v[130:131], 1.0
	s_delay_alu instid0(VALU_DEP_1) | instskip(SKIP_1) | instid1(VALU_DEP_1)
	v_fma_f64 v[130:131], v[130:131], v[133:134], v[130:131]
	v_div_scale_f64 v[133:134], vcc_lo, 1.0, v[124:125], 1.0
	v_mul_f64 v[135:136], v[133:134], v[130:131]
	s_delay_alu instid0(VALU_DEP_1) | instskip(NEXT) | instid1(VALU_DEP_1)
	v_fma_f64 v[126:127], -v[126:127], v[135:136], v[133:134]
	v_div_fmas_f64 v[126:127], v[126:127], v[130:131], v[135:136]
	s_delay_alu instid0(VALU_DEP_1) | instskip(NEXT) | instid1(VALU_DEP_1)
	v_div_fixup_f64 v[124:125], v[126:127], v[124:125], 1.0
	v_mul_f64 v[126:127], v[128:129], -v[124:125]
.LBB60_135:
	s_or_b32 exec_lo, exec_lo, s2
.LBB60_136:
	s_delay_alu instid0(SALU_CYCLE_1) | instskip(NEXT) | instid1(SALU_CYCLE_1)
	s_or_b32 exec_lo, exec_lo, s3
	s_mov_b32 s2, exec_lo
	v_cmpx_ne_u32_e64 v150, v132
	s_xor_b32 s2, exec_lo, s2
	s_cbranch_execz .LBB60_142
; %bb.137:
	s_mov_b32 s3, exec_lo
	v_cmpx_eq_u32_e32 6, v150
	s_cbranch_execz .LBB60_141
; %bb.138:
	v_cmp_ne_u32_e32 vcc_lo, 6, v132
	s_xor_b32 s6, s4, -1
	s_delay_alu instid0(SALU_CYCLE_1) | instskip(NEXT) | instid1(SALU_CYCLE_1)
	s_and_b32 s7, s6, vcc_lo
	s_and_saveexec_b32 s6, s7
	s_cbranch_execz .LBB60_140
; %bb.139:
	scratch_load_b64 v[40:41], off, off     ; 8-byte Folded Reload
	v_ashrrev_i32_e32 v133, 31, v132
	s_delay_alu instid0(VALU_DEP_1) | instskip(SKIP_1) | instid1(VALU_DEP_1)
	v_lshlrev_b64 v[128:129], 2, v[132:133]
	s_waitcnt vmcnt(0)
	v_add_co_u32 v128, vcc_lo, v40, v128
	s_delay_alu instid0(VALU_DEP_2)
	v_add_co_ci_u32_e32 v129, vcc_lo, v41, v129, vcc_lo
	s_clause 0x1
	flat_load_b32 v130, v[128:129]
	flat_load_b32 v131, v[40:41] offset:24
	s_waitcnt vmcnt(1) lgkmcnt(1)
	flat_store_b32 v[40:41], v130 offset:24
	s_waitcnt vmcnt(0) lgkmcnt(1)
	flat_store_b32 v[128:129], v131
.LBB60_140:
	s_or_b32 exec_lo, exec_lo, s6
	v_mov_b32_e32 v150, v132
	v_mov_b32_e32 v149, v132
.LBB60_141:
	s_or_b32 exec_lo, exec_lo, s3
.LBB60_142:
	s_and_not1_saveexec_b32 s2, s2
	s_cbranch_execz .LBB60_144
; %bb.143:
	v_mov_b32_e32 v150, 6
	ds_store_2addr_b64 v148, v[80:81], v[82:83] offset0:14 offset1:15
	ds_store_2addr_b64 v148, v[100:101], v[102:103] offset0:16 offset1:17
	;; [unrolled: 1-line block ×24, first 2 shown]
.LBB60_144:
	s_or_b32 exec_lo, exec_lo, s2
	s_delay_alu instid0(SALU_CYCLE_1)
	s_mov_b32 s2, exec_lo
	s_waitcnt lgkmcnt(0)
	s_waitcnt_vscnt null, 0x0
	s_barrier
	buffer_gl0_inv
	v_cmpx_lt_i32_e32 6, v150
	s_cbranch_execz .LBB60_146
; %bb.145:
	v_mul_f64 v[128:129], v[126:127], v[86:87]
	v_mul_f64 v[86:87], v[124:125], v[86:87]
	s_delay_alu instid0(VALU_DEP_2) | instskip(NEXT) | instid1(VALU_DEP_2)
	v_fma_f64 v[128:129], v[124:125], v[84:85], -v[128:129]
	v_fma_f64 v[86:87], v[126:127], v[84:85], v[86:87]
	ds_load_2addr_b64 v[124:127], v148 offset0:14 offset1:15
	ds_load_2addr_b64 v[132:135], v148 offset0:16 offset1:17
	s_waitcnt lgkmcnt(1)
	v_mul_f64 v[84:85], v[126:127], v[86:87]
	s_delay_alu instid0(VALU_DEP_1) | instskip(SKIP_1) | instid1(VALU_DEP_2)
	v_fma_f64 v[84:85], v[124:125], v[128:129], -v[84:85]
	v_mul_f64 v[124:125], v[124:125], v[86:87]
	v_add_f64 v[80:81], v[80:81], -v[84:85]
	s_delay_alu instid0(VALU_DEP_2) | instskip(SKIP_3) | instid1(VALU_DEP_3)
	v_fma_f64 v[130:131], v[126:127], v[128:129], v[124:125]
	s_waitcnt lgkmcnt(0)
	v_mul_f64 v[124:125], v[134:135], v[86:87]
	v_dual_mov_b32 v84, v128 :: v_dual_mov_b32 v85, v129
	v_add_f64 v[82:83], v[82:83], -v[130:131]
	s_delay_alu instid0(VALU_DEP_3) | instskip(SKIP_1) | instid1(VALU_DEP_2)
	v_fma_f64 v[136:137], v[132:133], v[128:129], -v[124:125]
	v_mul_f64 v[124:125], v[132:133], v[86:87]
	v_add_f64 v[100:101], v[100:101], -v[136:137]
	s_delay_alu instid0(VALU_DEP_2)
	v_fma_f64 v[138:139], v[134:135], v[128:129], v[124:125]
	ds_load_2addr_b64 v[124:127], v148 offset0:18 offset1:19
	ds_load_2addr_b64 v[132:135], v148 offset0:20 offset1:21
	s_waitcnt lgkmcnt(1)
	v_mul_f64 v[140:141], v[126:127], v[86:87]
	v_add_f64 v[102:103], v[102:103], -v[138:139]
	s_delay_alu instid0(VALU_DEP_2) | instskip(SKIP_1) | instid1(VALU_DEP_2)
	v_fma_f64 v[140:141], v[124:125], v[128:129], -v[140:141]
	v_mul_f64 v[124:125], v[124:125], v[86:87]
	v_add_f64 v[76:77], v[76:77], -v[140:141]
	s_delay_alu instid0(VALU_DEP_2) | instskip(SKIP_2) | instid1(VALU_DEP_2)
	v_fma_f64 v[142:143], v[126:127], v[128:129], v[124:125]
	s_waitcnt lgkmcnt(0)
	v_mul_f64 v[124:125], v[134:135], v[86:87]
	v_add_f64 v[78:79], v[78:79], -v[142:143]
	s_delay_alu instid0(VALU_DEP_2) | instskip(SKIP_1) | instid1(VALU_DEP_2)
	v_fma_f64 v[151:152], v[132:133], v[128:129], -v[124:125]
	v_mul_f64 v[124:125], v[132:133], v[86:87]
	v_add_f64 v[112:113], v[112:113], -v[151:152]
	s_delay_alu instid0(VALU_DEP_2)
	v_fma_f64 v[153:154], v[134:135], v[128:129], v[124:125]
	ds_load_2addr_b64 v[124:127], v148 offset0:22 offset1:23
	ds_load_2addr_b64 v[132:135], v148 offset0:24 offset1:25
	s_waitcnt lgkmcnt(1)
	v_mul_f64 v[155:156], v[126:127], v[86:87]
	v_add_f64 v[114:115], v[114:115], -v[153:154]
	s_delay_alu instid0(VALU_DEP_2) | instskip(SKIP_1) | instid1(VALU_DEP_2)
	v_fma_f64 v[155:156], v[124:125], v[128:129], -v[155:156]
	v_mul_f64 v[124:125], v[124:125], v[86:87]
	v_add_f64 v[96:97], v[96:97], -v[155:156]
	s_delay_alu instid0(VALU_DEP_2) | instskip(SKIP_2) | instid1(VALU_DEP_2)
	v_fma_f64 v[157:158], v[126:127], v[128:129], v[124:125]
	s_waitcnt lgkmcnt(0)
	v_mul_f64 v[124:125], v[134:135], v[86:87]
	v_add_f64 v[98:99], v[98:99], -v[157:158]
	s_delay_alu instid0(VALU_DEP_2) | instskip(SKIP_1) | instid1(VALU_DEP_2)
	;; [unrolled: 20-line block ×11, first 2 shown]
	v_fma_f64 v[126:127], v[132:133], v[128:129], -v[126:127]
	v_mul_f64 v[132:133], v[132:133], v[86:87]
	v_add_f64 v[0:1], v[0:1], -v[126:127]
	s_delay_alu instid0(VALU_DEP_2) | instskip(NEXT) | instid1(VALU_DEP_1)
	v_fma_f64 v[132:133], v[134:135], v[128:129], v[132:133]
	v_add_f64 v[2:3], v[2:3], -v[132:133]
.LBB60_146:
	s_or_b32 exec_lo, exec_lo, s2
	v_lshl_add_u32 v124, v150, 4, v148
	s_barrier
	buffer_gl0_inv
	v_mov_b32_e32 v132, 7
	ds_store_2addr_b64 v124, v[80:81], v[82:83] offset1:1
	s_waitcnt lgkmcnt(0)
	s_barrier
	buffer_gl0_inv
	ds_load_2addr_b64 v[124:127], v148 offset0:14 offset1:15
	s_cmp_lt_i32 s5, 9
	s_cbranch_scc1 .LBB60_149
; %bb.147:
	v_add3_u32 v133, v146, 0, 0x80
	v_mov_b32_e32 v132, 7
	s_mov_b32 s6, 8
	s_set_inst_prefetch_distance 0x1
	.p2align	6
.LBB60_148:                             ; =>This Inner Loop Header: Depth=1
	ds_load_2addr_b64 v[134:137], v133 offset1:1
	s_waitcnt lgkmcnt(1)
	v_cmp_gt_f64_e32 vcc_lo, 0, v[124:125]
	v_xor_b32_e32 v128, 0x80000000, v125
	v_cmp_gt_f64_e64 s2, 0, v[126:127]
	v_xor_b32_e32 v130, 0x80000000, v127
	v_add_nc_u32_e32 v133, 16, v133
	s_waitcnt lgkmcnt(0)
	v_cmp_gt_f64_e64 s3, 0, v[134:135]
	v_mov_b32_e32 v138, v134
	v_dual_mov_b32 v140, v136 :: v_dual_cndmask_b32 v129, v125, v128
	v_xor_b32_e32 v128, 0x80000000, v135
	v_cndmask_b32_e64 v131, v127, v130, s2
	v_xor_b32_e32 v130, 0x80000000, v137
	s_delay_alu instid0(VALU_DEP_3) | instskip(SKIP_2) | instid1(VALU_DEP_2)
	v_cndmask_b32_e64 v139, v135, v128, s3
	v_cmp_gt_f64_e64 s3, 0, v[136:137]
	v_cndmask_b32_e32 v128, v124, v124, vcc_lo
	v_cndmask_b32_e64 v141, v137, v130, s3
	v_cndmask_b32_e64 v130, v126, v126, s2
	s_delay_alu instid0(VALU_DEP_2) | instskip(NEXT) | instid1(VALU_DEP_2)
	v_add_f64 v[138:139], v[138:139], v[140:141]
	v_add_f64 v[128:129], v[128:129], v[130:131]
	s_delay_alu instid0(VALU_DEP_1)
	v_cmp_lt_f64_e32 vcc_lo, v[128:129], v[138:139]
	v_cndmask_b32_e32 v127, v127, v137, vcc_lo
	v_dual_cndmask_b32 v125, v125, v135 :: v_dual_cndmask_b32 v124, v124, v134
	v_cndmask_b32_e32 v126, v126, v136, vcc_lo
	v_cndmask_b32_e64 v132, v132, s6, vcc_lo
	s_add_i32 s6, s6, 1
	s_delay_alu instid0(SALU_CYCLE_1)
	s_cmp_lg_u32 s5, s6
	s_cbranch_scc1 .LBB60_148
.LBB60_149:
	s_set_inst_prefetch_distance 0x2
	s_waitcnt lgkmcnt(0)
	v_cmp_eq_f64_e32 vcc_lo, 0, v[124:125]
	v_cmp_eq_f64_e64 s2, 0, v[126:127]
	s_delay_alu instid0(VALU_DEP_1) | instskip(NEXT) | instid1(SALU_CYCLE_1)
	s_and_b32 s2, vcc_lo, s2
	s_and_saveexec_b32 s3, s2
	s_delay_alu instid0(SALU_CYCLE_1)
	s_xor_b32 s2, exec_lo, s3
; %bb.150:
	v_cmp_ne_u32_e32 vcc_lo, 0, v255
	v_cndmask_b32_e32 v255, 8, v255, vcc_lo
; %bb.151:
	s_and_not1_saveexec_b32 s3, s2
	s_cbranch_execz .LBB60_157
; %bb.152:
	v_cmp_gt_f64_e32 vcc_lo, 0, v[124:125]
	v_cmp_gt_f64_e64 s2, 0, v[126:127]
	v_xor_b32_e32 v128, 0x80000000, v125
	v_xor_b32_e32 v130, 0x80000000, v127
	s_delay_alu instid0(VALU_DEP_2) | instskip(NEXT) | instid1(VALU_DEP_2)
	v_cndmask_b32_e32 v129, v125, v128, vcc_lo
	v_cndmask_b32_e64 v131, v127, v130, s2
	v_cndmask_b32_e32 v128, v124, v124, vcc_lo
	v_cndmask_b32_e64 v130, v126, v126, s2
	s_mov_b32 s2, exec_lo
	s_delay_alu instid0(VALU_DEP_1)
	v_cmpx_ngt_f64_e32 v[128:129], v[130:131]
	s_xor_b32 s2, exec_lo, s2
	s_cbranch_execz .LBB60_154
; %bb.153:
	v_div_scale_f64 v[128:129], null, v[126:127], v[126:127], v[124:125]
	v_div_scale_f64 v[135:136], vcc_lo, v[124:125], v[126:127], v[124:125]
	s_delay_alu instid0(VALU_DEP_2) | instskip(SKIP_2) | instid1(VALU_DEP_1)
	v_rcp_f64_e32 v[130:131], v[128:129]
	s_waitcnt_depctr 0xfff
	v_fma_f64 v[133:134], -v[128:129], v[130:131], 1.0
	v_fma_f64 v[130:131], v[130:131], v[133:134], v[130:131]
	s_delay_alu instid0(VALU_DEP_1) | instskip(NEXT) | instid1(VALU_DEP_1)
	v_fma_f64 v[133:134], -v[128:129], v[130:131], 1.0
	v_fma_f64 v[130:131], v[130:131], v[133:134], v[130:131]
	s_delay_alu instid0(VALU_DEP_1) | instskip(NEXT) | instid1(VALU_DEP_1)
	v_mul_f64 v[133:134], v[135:136], v[130:131]
	v_fma_f64 v[128:129], -v[128:129], v[133:134], v[135:136]
	s_delay_alu instid0(VALU_DEP_1) | instskip(NEXT) | instid1(VALU_DEP_1)
	v_div_fmas_f64 v[128:129], v[128:129], v[130:131], v[133:134]
	v_div_fixup_f64 v[128:129], v[128:129], v[126:127], v[124:125]
	s_delay_alu instid0(VALU_DEP_1) | instskip(NEXT) | instid1(VALU_DEP_1)
	v_fma_f64 v[124:125], v[124:125], v[128:129], v[126:127]
	v_div_scale_f64 v[126:127], null, v[124:125], v[124:125], 1.0
	s_delay_alu instid0(VALU_DEP_1) | instskip(SKIP_2) | instid1(VALU_DEP_1)
	v_rcp_f64_e32 v[130:131], v[126:127]
	s_waitcnt_depctr 0xfff
	v_fma_f64 v[133:134], -v[126:127], v[130:131], 1.0
	v_fma_f64 v[130:131], v[130:131], v[133:134], v[130:131]
	s_delay_alu instid0(VALU_DEP_1) | instskip(NEXT) | instid1(VALU_DEP_1)
	v_fma_f64 v[133:134], -v[126:127], v[130:131], 1.0
	v_fma_f64 v[130:131], v[130:131], v[133:134], v[130:131]
	v_div_scale_f64 v[133:134], vcc_lo, 1.0, v[124:125], 1.0
	s_delay_alu instid0(VALU_DEP_1) | instskip(NEXT) | instid1(VALU_DEP_1)
	v_mul_f64 v[135:136], v[133:134], v[130:131]
	v_fma_f64 v[126:127], -v[126:127], v[135:136], v[133:134]
	s_delay_alu instid0(VALU_DEP_1) | instskip(NEXT) | instid1(VALU_DEP_1)
	v_div_fmas_f64 v[126:127], v[126:127], v[130:131], v[135:136]
	v_div_fixup_f64 v[126:127], v[126:127], v[124:125], 1.0
	s_delay_alu instid0(VALU_DEP_1)
	v_mul_f64 v[124:125], v[128:129], v[126:127]
	v_xor_b32_e32 v127, 0x80000000, v127
.LBB60_154:
	s_and_not1_saveexec_b32 s2, s2
	s_cbranch_execz .LBB60_156
; %bb.155:
	s_delay_alu instid0(VALU_DEP_1) | instskip(SKIP_1) | instid1(VALU_DEP_2)
	v_div_scale_f64 v[128:129], null, v[124:125], v[124:125], v[126:127]
	v_div_scale_f64 v[135:136], vcc_lo, v[126:127], v[124:125], v[126:127]
	v_rcp_f64_e32 v[130:131], v[128:129]
	s_waitcnt_depctr 0xfff
	v_fma_f64 v[133:134], -v[128:129], v[130:131], 1.0
	s_delay_alu instid0(VALU_DEP_1) | instskip(NEXT) | instid1(VALU_DEP_1)
	v_fma_f64 v[130:131], v[130:131], v[133:134], v[130:131]
	v_fma_f64 v[133:134], -v[128:129], v[130:131], 1.0
	s_delay_alu instid0(VALU_DEP_1) | instskip(NEXT) | instid1(VALU_DEP_1)
	v_fma_f64 v[130:131], v[130:131], v[133:134], v[130:131]
	v_mul_f64 v[133:134], v[135:136], v[130:131]
	s_delay_alu instid0(VALU_DEP_1) | instskip(NEXT) | instid1(VALU_DEP_1)
	v_fma_f64 v[128:129], -v[128:129], v[133:134], v[135:136]
	v_div_fmas_f64 v[128:129], v[128:129], v[130:131], v[133:134]
	s_delay_alu instid0(VALU_DEP_1) | instskip(NEXT) | instid1(VALU_DEP_1)
	v_div_fixup_f64 v[128:129], v[128:129], v[124:125], v[126:127]
	v_fma_f64 v[124:125], v[126:127], v[128:129], v[124:125]
	s_delay_alu instid0(VALU_DEP_1) | instskip(NEXT) | instid1(VALU_DEP_1)
	v_div_scale_f64 v[126:127], null, v[124:125], v[124:125], 1.0
	v_rcp_f64_e32 v[130:131], v[126:127]
	s_waitcnt_depctr 0xfff
	v_fma_f64 v[133:134], -v[126:127], v[130:131], 1.0
	s_delay_alu instid0(VALU_DEP_1) | instskip(NEXT) | instid1(VALU_DEP_1)
	v_fma_f64 v[130:131], v[130:131], v[133:134], v[130:131]
	v_fma_f64 v[133:134], -v[126:127], v[130:131], 1.0
	s_delay_alu instid0(VALU_DEP_1) | instskip(SKIP_1) | instid1(VALU_DEP_1)
	v_fma_f64 v[130:131], v[130:131], v[133:134], v[130:131]
	v_div_scale_f64 v[133:134], vcc_lo, 1.0, v[124:125], 1.0
	v_mul_f64 v[135:136], v[133:134], v[130:131]
	s_delay_alu instid0(VALU_DEP_1) | instskip(NEXT) | instid1(VALU_DEP_1)
	v_fma_f64 v[126:127], -v[126:127], v[135:136], v[133:134]
	v_div_fmas_f64 v[126:127], v[126:127], v[130:131], v[135:136]
	s_delay_alu instid0(VALU_DEP_1) | instskip(NEXT) | instid1(VALU_DEP_1)
	v_div_fixup_f64 v[124:125], v[126:127], v[124:125], 1.0
	v_mul_f64 v[126:127], v[128:129], -v[124:125]
.LBB60_156:
	s_or_b32 exec_lo, exec_lo, s2
.LBB60_157:
	s_delay_alu instid0(SALU_CYCLE_1) | instskip(NEXT) | instid1(SALU_CYCLE_1)
	s_or_b32 exec_lo, exec_lo, s3
	s_mov_b32 s2, exec_lo
	v_cmpx_ne_u32_e64 v150, v132
	s_xor_b32 s2, exec_lo, s2
	s_cbranch_execz .LBB60_163
; %bb.158:
	s_mov_b32 s3, exec_lo
	v_cmpx_eq_u32_e32 7, v150
	s_cbranch_execz .LBB60_162
; %bb.159:
	v_cmp_ne_u32_e32 vcc_lo, 7, v132
	s_xor_b32 s6, s4, -1
	s_delay_alu instid0(SALU_CYCLE_1) | instskip(NEXT) | instid1(SALU_CYCLE_1)
	s_and_b32 s7, s6, vcc_lo
	s_and_saveexec_b32 s6, s7
	s_cbranch_execz .LBB60_161
; %bb.160:
	scratch_load_b64 v[40:41], off, off     ; 8-byte Folded Reload
	v_ashrrev_i32_e32 v133, 31, v132
	s_delay_alu instid0(VALU_DEP_1) | instskip(SKIP_1) | instid1(VALU_DEP_1)
	v_lshlrev_b64 v[128:129], 2, v[132:133]
	s_waitcnt vmcnt(0)
	v_add_co_u32 v128, vcc_lo, v40, v128
	s_delay_alu instid0(VALU_DEP_2)
	v_add_co_ci_u32_e32 v129, vcc_lo, v41, v129, vcc_lo
	s_clause 0x1
	flat_load_b32 v130, v[128:129]
	flat_load_b32 v131, v[40:41] offset:28
	s_waitcnt vmcnt(1) lgkmcnt(1)
	flat_store_b32 v[40:41], v130 offset:28
	s_waitcnt vmcnt(0) lgkmcnt(1)
	flat_store_b32 v[128:129], v131
.LBB60_161:
	s_or_b32 exec_lo, exec_lo, s6
	v_mov_b32_e32 v150, v132
	v_mov_b32_e32 v149, v132
.LBB60_162:
	s_or_b32 exec_lo, exec_lo, s3
.LBB60_163:
	s_and_not1_saveexec_b32 s2, s2
	s_cbranch_execz .LBB60_165
; %bb.164:
	v_mov_b32_e32 v150, 7
	ds_store_2addr_b64 v148, v[100:101], v[102:103] offset0:16 offset1:17
	ds_store_2addr_b64 v148, v[76:77], v[78:79] offset0:18 offset1:19
	;; [unrolled: 1-line block ×23, first 2 shown]
.LBB60_165:
	s_or_b32 exec_lo, exec_lo, s2
	s_delay_alu instid0(SALU_CYCLE_1)
	s_mov_b32 s2, exec_lo
	s_waitcnt lgkmcnt(0)
	s_waitcnt_vscnt null, 0x0
	s_barrier
	buffer_gl0_inv
	v_cmpx_lt_i32_e32 7, v150
	s_cbranch_execz .LBB60_167
; %bb.166:
	v_mul_f64 v[128:129], v[126:127], v[82:83]
	v_mul_f64 v[82:83], v[124:125], v[82:83]
	s_delay_alu instid0(VALU_DEP_2) | instskip(NEXT) | instid1(VALU_DEP_2)
	v_fma_f64 v[132:133], v[124:125], v[80:81], -v[128:129]
	v_fma_f64 v[82:83], v[126:127], v[80:81], v[82:83]
	ds_load_2addr_b64 v[124:127], v148 offset0:16 offset1:17
	ds_load_2addr_b64 v[134:137], v148 offset0:18 offset1:19
	;; [unrolled: 1-line block ×4, first 2 shown]
	s_waitcnt lgkmcnt(3)
	v_mul_f64 v[80:81], v[126:127], v[82:83]
	s_waitcnt lgkmcnt(2)
	v_mul_f64 v[128:129], v[134:135], v[82:83]
	s_delay_alu instid0(VALU_DEP_2) | instskip(SKIP_1) | instid1(VALU_DEP_2)
	v_fma_f64 v[80:81], v[124:125], v[132:133], -v[80:81]
	v_mul_f64 v[124:125], v[124:125], v[82:83]
	v_add_f64 v[100:101], v[100:101], -v[80:81]
	s_delay_alu instid0(VALU_DEP_2) | instskip(SKIP_2) | instid1(VALU_DEP_3)
	v_fma_f64 v[124:125], v[126:127], v[132:133], v[124:125]
	v_mul_f64 v[126:127], v[136:137], v[82:83]
	v_dual_mov_b32 v80, v132 :: v_dual_mov_b32 v81, v133
	v_add_f64 v[102:103], v[102:103], -v[124:125]
	s_delay_alu instid0(VALU_DEP_3) | instskip(SKIP_3) | instid1(VALU_DEP_3)
	v_fma_f64 v[126:127], v[134:135], v[132:133], -v[126:127]
	v_fma_f64 v[134:135], v[136:137], v[132:133], v[128:129]
	s_waitcnt lgkmcnt(1)
	v_mul_f64 v[128:129], v[140:141], v[82:83]
	v_add_f64 v[76:77], v[76:77], -v[126:127]
	s_delay_alu instid0(VALU_DEP_3) | instskip(NEXT) | instid1(VALU_DEP_3)
	v_add_f64 v[78:79], v[78:79], -v[134:135]
	v_fma_f64 v[136:137], v[138:139], v[132:133], -v[128:129]
	v_mul_f64 v[128:129], v[138:139], v[82:83]
	s_delay_alu instid0(VALU_DEP_2) | instskip(NEXT) | instid1(VALU_DEP_2)
	v_add_f64 v[112:113], v[112:113], -v[136:137]
	v_fma_f64 v[138:139], v[140:141], v[132:133], v[128:129]
	s_waitcnt lgkmcnt(0)
	v_mul_f64 v[128:129], v[153:154], v[82:83]
	s_delay_alu instid0(VALU_DEP_2) | instskip(NEXT) | instid1(VALU_DEP_2)
	v_add_f64 v[114:115], v[114:115], -v[138:139]
	v_fma_f64 v[140:141], v[151:152], v[132:133], -v[128:129]
	v_mul_f64 v[128:129], v[151:152], v[82:83]
	s_delay_alu instid0(VALU_DEP_2) | instskip(NEXT) | instid1(VALU_DEP_2)
	v_add_f64 v[96:97], v[96:97], -v[140:141]
	v_fma_f64 v[142:143], v[153:154], v[132:133], v[128:129]
	ds_load_2addr_b64 v[151:154], v148 offset0:24 offset1:25
	ds_load_2addr_b64 v[155:158], v148 offset0:26 offset1:27
	s_waitcnt lgkmcnt(1)
	v_mul_f64 v[128:129], v[153:154], v[82:83]
	v_mul_f64 v[130:131], v[151:152], v[82:83]
	v_add_f64 v[98:99], v[98:99], -v[142:143]
	s_delay_alu instid0(VALU_DEP_3) | instskip(SKIP_2) | instid1(VALU_DEP_4)
	v_fma_f64 v[128:129], v[151:152], v[132:133], -v[128:129]
	s_waitcnt lgkmcnt(0)
	v_mul_f64 v[151:152], v[157:158], v[82:83]
	v_fma_f64 v[130:131], v[153:154], v[132:133], v[130:131]
	s_delay_alu instid0(VALU_DEP_3) | instskip(NEXT) | instid1(VALU_DEP_3)
	v_add_f64 v[92:93], v[92:93], -v[128:129]
	v_fma_f64 v[159:160], v[155:156], v[132:133], -v[151:152]
	v_mul_f64 v[151:152], v[155:156], v[82:83]
	s_delay_alu instid0(VALU_DEP_4) | instskip(NEXT) | instid1(VALU_DEP_3)
	v_add_f64 v[94:95], v[94:95], -v[130:131]
	v_add_f64 v[88:89], v[88:89], -v[159:160]
	s_delay_alu instid0(VALU_DEP_3)
	v_fma_f64 v[161:162], v[157:158], v[132:133], v[151:152]
	ds_load_2addr_b64 v[151:154], v148 offset0:28 offset1:29
	ds_load_2addr_b64 v[155:158], v148 offset0:30 offset1:31
	s_waitcnt lgkmcnt(1)
	v_mul_f64 v[163:164], v[153:154], v[82:83]
	v_add_f64 v[90:91], v[90:91], -v[161:162]
	s_delay_alu instid0(VALU_DEP_2) | instskip(SKIP_1) | instid1(VALU_DEP_2)
	v_fma_f64 v[163:164], v[151:152], v[132:133], -v[163:164]
	v_mul_f64 v[151:152], v[151:152], v[82:83]
	v_add_f64 v[72:73], v[72:73], -v[163:164]
	s_delay_alu instid0(VALU_DEP_2) | instskip(SKIP_2) | instid1(VALU_DEP_2)
	v_fma_f64 v[165:166], v[153:154], v[132:133], v[151:152]
	s_waitcnt lgkmcnt(0)
	v_mul_f64 v[151:152], v[157:158], v[82:83]
	v_add_f64 v[74:75], v[74:75], -v[165:166]
	s_delay_alu instid0(VALU_DEP_2) | instskip(SKIP_1) | instid1(VALU_DEP_2)
	v_fma_f64 v[167:168], v[155:156], v[132:133], -v[151:152]
	v_mul_f64 v[151:152], v[155:156], v[82:83]
	v_add_f64 v[68:69], v[68:69], -v[167:168]
	s_delay_alu instid0(VALU_DEP_2)
	v_fma_f64 v[169:170], v[157:158], v[132:133], v[151:152]
	ds_load_2addr_b64 v[151:154], v148 offset0:32 offset1:33
	ds_load_2addr_b64 v[155:158], v148 offset0:34 offset1:35
	s_waitcnt lgkmcnt(1)
	v_mul_f64 v[171:172], v[153:154], v[82:83]
	v_add_f64 v[70:71], v[70:71], -v[169:170]
	s_delay_alu instid0(VALU_DEP_2) | instskip(SKIP_1) | instid1(VALU_DEP_2)
	v_fma_f64 v[171:172], v[151:152], v[132:133], -v[171:172]
	v_mul_f64 v[151:152], v[151:152], v[82:83]
	v_add_f64 v[64:65], v[64:65], -v[171:172]
	s_delay_alu instid0(VALU_DEP_2) | instskip(SKIP_2) | instid1(VALU_DEP_2)
	v_fma_f64 v[173:174], v[153:154], v[132:133], v[151:152]
	s_waitcnt lgkmcnt(0)
	v_mul_f64 v[151:152], v[157:158], v[82:83]
	v_add_f64 v[66:67], v[66:67], -v[173:174]
	s_delay_alu instid0(VALU_DEP_2) | instskip(SKIP_1) | instid1(VALU_DEP_2)
	v_fma_f64 v[175:176], v[155:156], v[132:133], -v[151:152]
	v_mul_f64 v[151:152], v[155:156], v[82:83]
	v_add_f64 v[60:61], v[60:61], -v[175:176]
	s_delay_alu instid0(VALU_DEP_2)
	;; [unrolled: 20-line block ×7, first 2 shown]
	v_fma_f64 v[217:218], v[157:158], v[132:133], v[151:152]
	ds_load_2addr_b64 v[151:154], v148 offset0:56 offset1:57
	ds_load_2addr_b64 v[155:158], v148 offset0:58 offset1:59
	s_waitcnt lgkmcnt(1)
	v_mul_f64 v[219:220], v[153:154], v[82:83]
	v_add_f64 v[14:15], v[14:15], -v[217:218]
	s_delay_alu instid0(VALU_DEP_2) | instskip(SKIP_1) | instid1(VALU_DEP_2)
	v_fma_f64 v[219:220], v[151:152], v[132:133], -v[219:220]
	v_mul_f64 v[151:152], v[151:152], v[82:83]
	v_add_f64 v[8:9], v[8:9], -v[219:220]
	s_delay_alu instid0(VALU_DEP_2) | instskip(SKIP_2) | instid1(VALU_DEP_2)
	v_fma_f64 v[221:222], v[153:154], v[132:133], v[151:152]
	s_waitcnt lgkmcnt(0)
	v_mul_f64 v[151:152], v[157:158], v[82:83]
	v_add_f64 v[10:11], v[10:11], -v[221:222]
	s_delay_alu instid0(VALU_DEP_2) | instskip(SKIP_1) | instid1(VALU_DEP_2)
	v_fma_f64 v[223:224], v[155:156], v[132:133], -v[151:152]
	v_mul_f64 v[151:152], v[155:156], v[82:83]
	v_add_f64 v[4:5], v[4:5], -v[223:224]
	s_delay_alu instid0(VALU_DEP_2) | instskip(SKIP_4) | instid1(VALU_DEP_2)
	v_fma_f64 v[155:156], v[157:158], v[132:133], v[151:152]
	ds_load_2addr_b64 v[151:154], v148 offset0:60 offset1:61
	s_waitcnt lgkmcnt(0)
	v_mul_f64 v[157:158], v[153:154], v[82:83]
	v_add_f64 v[6:7], v[6:7], -v[155:156]
	v_fma_f64 v[157:158], v[151:152], v[132:133], -v[157:158]
	v_mul_f64 v[151:152], v[151:152], v[82:83]
	s_delay_alu instid0(VALU_DEP_2) | instskip(NEXT) | instid1(VALU_DEP_2)
	v_add_f64 v[0:1], v[0:1], -v[157:158]
	v_fma_f64 v[151:152], v[153:154], v[132:133], v[151:152]
	s_delay_alu instid0(VALU_DEP_1)
	v_add_f64 v[2:3], v[2:3], -v[151:152]
.LBB60_167:
	s_or_b32 exec_lo, exec_lo, s2
	v_lshl_add_u32 v124, v150, 4, v148
	s_barrier
	buffer_gl0_inv
	v_mov_b32_e32 v132, 8
	ds_store_2addr_b64 v124, v[100:101], v[102:103] offset1:1
	s_waitcnt lgkmcnt(0)
	s_barrier
	buffer_gl0_inv
	ds_load_2addr_b64 v[124:127], v148 offset0:16 offset1:17
	s_cmp_lt_i32 s5, 10
	s_cbranch_scc1 .LBB60_170
; %bb.168:
	v_add3_u32 v133, v146, 0, 0x90
	v_mov_b32_e32 v132, 8
	s_mov_b32 s6, 9
	s_set_inst_prefetch_distance 0x1
	.p2align	6
.LBB60_169:                             ; =>This Inner Loop Header: Depth=1
	ds_load_2addr_b64 v[134:137], v133 offset1:1
	s_waitcnt lgkmcnt(1)
	v_cmp_gt_f64_e32 vcc_lo, 0, v[124:125]
	v_xor_b32_e32 v128, 0x80000000, v125
	v_cmp_gt_f64_e64 s2, 0, v[126:127]
	v_xor_b32_e32 v130, 0x80000000, v127
	v_add_nc_u32_e32 v133, 16, v133
	s_waitcnt lgkmcnt(0)
	v_cmp_gt_f64_e64 s3, 0, v[134:135]
	v_mov_b32_e32 v138, v134
	v_dual_mov_b32 v140, v136 :: v_dual_cndmask_b32 v129, v125, v128
	v_xor_b32_e32 v128, 0x80000000, v135
	v_cndmask_b32_e64 v131, v127, v130, s2
	v_xor_b32_e32 v130, 0x80000000, v137
	s_delay_alu instid0(VALU_DEP_3) | instskip(SKIP_2) | instid1(VALU_DEP_2)
	v_cndmask_b32_e64 v139, v135, v128, s3
	v_cmp_gt_f64_e64 s3, 0, v[136:137]
	v_cndmask_b32_e32 v128, v124, v124, vcc_lo
	v_cndmask_b32_e64 v141, v137, v130, s3
	v_cndmask_b32_e64 v130, v126, v126, s2
	s_delay_alu instid0(VALU_DEP_2) | instskip(NEXT) | instid1(VALU_DEP_2)
	v_add_f64 v[138:139], v[138:139], v[140:141]
	v_add_f64 v[128:129], v[128:129], v[130:131]
	s_delay_alu instid0(VALU_DEP_1)
	v_cmp_lt_f64_e32 vcc_lo, v[128:129], v[138:139]
	v_cndmask_b32_e32 v127, v127, v137, vcc_lo
	v_dual_cndmask_b32 v125, v125, v135 :: v_dual_cndmask_b32 v124, v124, v134
	v_cndmask_b32_e32 v126, v126, v136, vcc_lo
	v_cndmask_b32_e64 v132, v132, s6, vcc_lo
	s_add_i32 s6, s6, 1
	s_delay_alu instid0(SALU_CYCLE_1)
	s_cmp_lg_u32 s5, s6
	s_cbranch_scc1 .LBB60_169
.LBB60_170:
	s_set_inst_prefetch_distance 0x2
	s_waitcnt lgkmcnt(0)
	v_cmp_eq_f64_e32 vcc_lo, 0, v[124:125]
	v_cmp_eq_f64_e64 s2, 0, v[126:127]
	s_delay_alu instid0(VALU_DEP_1) | instskip(NEXT) | instid1(SALU_CYCLE_1)
	s_and_b32 s2, vcc_lo, s2
	s_and_saveexec_b32 s3, s2
	s_delay_alu instid0(SALU_CYCLE_1)
	s_xor_b32 s2, exec_lo, s3
; %bb.171:
	v_cmp_ne_u32_e32 vcc_lo, 0, v255
	v_cndmask_b32_e32 v255, 9, v255, vcc_lo
; %bb.172:
	s_and_not1_saveexec_b32 s3, s2
	s_cbranch_execz .LBB60_178
; %bb.173:
	v_cmp_gt_f64_e32 vcc_lo, 0, v[124:125]
	v_cmp_gt_f64_e64 s2, 0, v[126:127]
	v_xor_b32_e32 v128, 0x80000000, v125
	v_xor_b32_e32 v130, 0x80000000, v127
	s_delay_alu instid0(VALU_DEP_2) | instskip(NEXT) | instid1(VALU_DEP_2)
	v_cndmask_b32_e32 v129, v125, v128, vcc_lo
	v_cndmask_b32_e64 v131, v127, v130, s2
	v_cndmask_b32_e32 v128, v124, v124, vcc_lo
	v_cndmask_b32_e64 v130, v126, v126, s2
	s_mov_b32 s2, exec_lo
	s_delay_alu instid0(VALU_DEP_1)
	v_cmpx_ngt_f64_e32 v[128:129], v[130:131]
	s_xor_b32 s2, exec_lo, s2
	s_cbranch_execz .LBB60_175
; %bb.174:
	v_div_scale_f64 v[128:129], null, v[126:127], v[126:127], v[124:125]
	v_div_scale_f64 v[135:136], vcc_lo, v[124:125], v[126:127], v[124:125]
	s_delay_alu instid0(VALU_DEP_2) | instskip(SKIP_2) | instid1(VALU_DEP_1)
	v_rcp_f64_e32 v[130:131], v[128:129]
	s_waitcnt_depctr 0xfff
	v_fma_f64 v[133:134], -v[128:129], v[130:131], 1.0
	v_fma_f64 v[130:131], v[130:131], v[133:134], v[130:131]
	s_delay_alu instid0(VALU_DEP_1) | instskip(NEXT) | instid1(VALU_DEP_1)
	v_fma_f64 v[133:134], -v[128:129], v[130:131], 1.0
	v_fma_f64 v[130:131], v[130:131], v[133:134], v[130:131]
	s_delay_alu instid0(VALU_DEP_1) | instskip(NEXT) | instid1(VALU_DEP_1)
	v_mul_f64 v[133:134], v[135:136], v[130:131]
	v_fma_f64 v[128:129], -v[128:129], v[133:134], v[135:136]
	s_delay_alu instid0(VALU_DEP_1) | instskip(NEXT) | instid1(VALU_DEP_1)
	v_div_fmas_f64 v[128:129], v[128:129], v[130:131], v[133:134]
	v_div_fixup_f64 v[128:129], v[128:129], v[126:127], v[124:125]
	s_delay_alu instid0(VALU_DEP_1) | instskip(NEXT) | instid1(VALU_DEP_1)
	v_fma_f64 v[124:125], v[124:125], v[128:129], v[126:127]
	v_div_scale_f64 v[126:127], null, v[124:125], v[124:125], 1.0
	s_delay_alu instid0(VALU_DEP_1) | instskip(SKIP_2) | instid1(VALU_DEP_1)
	v_rcp_f64_e32 v[130:131], v[126:127]
	s_waitcnt_depctr 0xfff
	v_fma_f64 v[133:134], -v[126:127], v[130:131], 1.0
	v_fma_f64 v[130:131], v[130:131], v[133:134], v[130:131]
	s_delay_alu instid0(VALU_DEP_1) | instskip(NEXT) | instid1(VALU_DEP_1)
	v_fma_f64 v[133:134], -v[126:127], v[130:131], 1.0
	v_fma_f64 v[130:131], v[130:131], v[133:134], v[130:131]
	v_div_scale_f64 v[133:134], vcc_lo, 1.0, v[124:125], 1.0
	s_delay_alu instid0(VALU_DEP_1) | instskip(NEXT) | instid1(VALU_DEP_1)
	v_mul_f64 v[135:136], v[133:134], v[130:131]
	v_fma_f64 v[126:127], -v[126:127], v[135:136], v[133:134]
	s_delay_alu instid0(VALU_DEP_1) | instskip(NEXT) | instid1(VALU_DEP_1)
	v_div_fmas_f64 v[126:127], v[126:127], v[130:131], v[135:136]
	v_div_fixup_f64 v[126:127], v[126:127], v[124:125], 1.0
	s_delay_alu instid0(VALU_DEP_1)
	v_mul_f64 v[124:125], v[128:129], v[126:127]
	v_xor_b32_e32 v127, 0x80000000, v127
.LBB60_175:
	s_and_not1_saveexec_b32 s2, s2
	s_cbranch_execz .LBB60_177
; %bb.176:
	s_delay_alu instid0(VALU_DEP_1) | instskip(SKIP_1) | instid1(VALU_DEP_2)
	v_div_scale_f64 v[128:129], null, v[124:125], v[124:125], v[126:127]
	v_div_scale_f64 v[135:136], vcc_lo, v[126:127], v[124:125], v[126:127]
	v_rcp_f64_e32 v[130:131], v[128:129]
	s_waitcnt_depctr 0xfff
	v_fma_f64 v[133:134], -v[128:129], v[130:131], 1.0
	s_delay_alu instid0(VALU_DEP_1) | instskip(NEXT) | instid1(VALU_DEP_1)
	v_fma_f64 v[130:131], v[130:131], v[133:134], v[130:131]
	v_fma_f64 v[133:134], -v[128:129], v[130:131], 1.0
	s_delay_alu instid0(VALU_DEP_1) | instskip(NEXT) | instid1(VALU_DEP_1)
	v_fma_f64 v[130:131], v[130:131], v[133:134], v[130:131]
	v_mul_f64 v[133:134], v[135:136], v[130:131]
	s_delay_alu instid0(VALU_DEP_1) | instskip(NEXT) | instid1(VALU_DEP_1)
	v_fma_f64 v[128:129], -v[128:129], v[133:134], v[135:136]
	v_div_fmas_f64 v[128:129], v[128:129], v[130:131], v[133:134]
	s_delay_alu instid0(VALU_DEP_1) | instskip(NEXT) | instid1(VALU_DEP_1)
	v_div_fixup_f64 v[128:129], v[128:129], v[124:125], v[126:127]
	v_fma_f64 v[124:125], v[126:127], v[128:129], v[124:125]
	s_delay_alu instid0(VALU_DEP_1) | instskip(NEXT) | instid1(VALU_DEP_1)
	v_div_scale_f64 v[126:127], null, v[124:125], v[124:125], 1.0
	v_rcp_f64_e32 v[130:131], v[126:127]
	s_waitcnt_depctr 0xfff
	v_fma_f64 v[133:134], -v[126:127], v[130:131], 1.0
	s_delay_alu instid0(VALU_DEP_1) | instskip(NEXT) | instid1(VALU_DEP_1)
	v_fma_f64 v[130:131], v[130:131], v[133:134], v[130:131]
	v_fma_f64 v[133:134], -v[126:127], v[130:131], 1.0
	s_delay_alu instid0(VALU_DEP_1) | instskip(SKIP_1) | instid1(VALU_DEP_1)
	v_fma_f64 v[130:131], v[130:131], v[133:134], v[130:131]
	v_div_scale_f64 v[133:134], vcc_lo, 1.0, v[124:125], 1.0
	v_mul_f64 v[135:136], v[133:134], v[130:131]
	s_delay_alu instid0(VALU_DEP_1) | instskip(NEXT) | instid1(VALU_DEP_1)
	v_fma_f64 v[126:127], -v[126:127], v[135:136], v[133:134]
	v_div_fmas_f64 v[126:127], v[126:127], v[130:131], v[135:136]
	s_delay_alu instid0(VALU_DEP_1) | instskip(NEXT) | instid1(VALU_DEP_1)
	v_div_fixup_f64 v[124:125], v[126:127], v[124:125], 1.0
	v_mul_f64 v[126:127], v[128:129], -v[124:125]
.LBB60_177:
	s_or_b32 exec_lo, exec_lo, s2
.LBB60_178:
	s_delay_alu instid0(SALU_CYCLE_1) | instskip(NEXT) | instid1(SALU_CYCLE_1)
	s_or_b32 exec_lo, exec_lo, s3
	s_mov_b32 s2, exec_lo
	v_cmpx_ne_u32_e64 v150, v132
	s_xor_b32 s2, exec_lo, s2
	s_cbranch_execz .LBB60_184
; %bb.179:
	s_mov_b32 s3, exec_lo
	v_cmpx_eq_u32_e32 8, v150
	s_cbranch_execz .LBB60_183
; %bb.180:
	v_cmp_ne_u32_e32 vcc_lo, 8, v132
	s_xor_b32 s6, s4, -1
	s_delay_alu instid0(SALU_CYCLE_1) | instskip(NEXT) | instid1(SALU_CYCLE_1)
	s_and_b32 s7, s6, vcc_lo
	s_and_saveexec_b32 s6, s7
	s_cbranch_execz .LBB60_182
; %bb.181:
	scratch_load_b64 v[40:41], off, off     ; 8-byte Folded Reload
	v_ashrrev_i32_e32 v133, 31, v132
	s_delay_alu instid0(VALU_DEP_1) | instskip(SKIP_1) | instid1(VALU_DEP_1)
	v_lshlrev_b64 v[128:129], 2, v[132:133]
	s_waitcnt vmcnt(0)
	v_add_co_u32 v128, vcc_lo, v40, v128
	s_delay_alu instid0(VALU_DEP_2)
	v_add_co_ci_u32_e32 v129, vcc_lo, v41, v129, vcc_lo
	s_clause 0x1
	flat_load_b32 v130, v[128:129]
	flat_load_b32 v131, v[40:41] offset:32
	s_waitcnt vmcnt(1) lgkmcnt(1)
	flat_store_b32 v[40:41], v130 offset:32
	s_waitcnt vmcnt(0) lgkmcnt(1)
	flat_store_b32 v[128:129], v131
.LBB60_182:
	s_or_b32 exec_lo, exec_lo, s6
	v_mov_b32_e32 v150, v132
	v_mov_b32_e32 v149, v132
.LBB60_183:
	s_or_b32 exec_lo, exec_lo, s3
.LBB60_184:
	s_and_not1_saveexec_b32 s2, s2
	s_cbranch_execz .LBB60_186
; %bb.185:
	v_mov_b32_e32 v150, 8
	ds_store_2addr_b64 v148, v[76:77], v[78:79] offset0:18 offset1:19
	ds_store_2addr_b64 v148, v[112:113], v[114:115] offset0:20 offset1:21
	;; [unrolled: 1-line block ×22, first 2 shown]
.LBB60_186:
	s_or_b32 exec_lo, exec_lo, s2
	s_delay_alu instid0(SALU_CYCLE_1)
	s_mov_b32 s2, exec_lo
	s_waitcnt lgkmcnt(0)
	s_waitcnt_vscnt null, 0x0
	s_barrier
	buffer_gl0_inv
	v_cmpx_lt_i32_e32 8, v150
	s_cbranch_execz .LBB60_188
; %bb.187:
	v_mul_f64 v[128:129], v[126:127], v[102:103]
	v_mul_f64 v[102:103], v[124:125], v[102:103]
	s_delay_alu instid0(VALU_DEP_2) | instskip(NEXT) | instid1(VALU_DEP_2)
	v_fma_f64 v[132:133], v[124:125], v[100:101], -v[128:129]
	v_fma_f64 v[102:103], v[126:127], v[100:101], v[102:103]
	ds_load_2addr_b64 v[124:127], v148 offset0:18 offset1:19
	ds_load_2addr_b64 v[134:137], v148 offset0:20 offset1:21
	;; [unrolled: 1-line block ×4, first 2 shown]
	s_waitcnt lgkmcnt(3)
	v_mul_f64 v[100:101], v[126:127], v[102:103]
	s_waitcnt lgkmcnt(2)
	v_mul_f64 v[128:129], v[134:135], v[102:103]
	s_delay_alu instid0(VALU_DEP_2) | instskip(SKIP_1) | instid1(VALU_DEP_2)
	v_fma_f64 v[100:101], v[124:125], v[132:133], -v[100:101]
	v_mul_f64 v[124:125], v[124:125], v[102:103]
	v_add_f64 v[76:77], v[76:77], -v[100:101]
	s_delay_alu instid0(VALU_DEP_2) | instskip(SKIP_2) | instid1(VALU_DEP_3)
	v_fma_f64 v[124:125], v[126:127], v[132:133], v[124:125]
	v_mul_f64 v[126:127], v[136:137], v[102:103]
	v_dual_mov_b32 v100, v132 :: v_dual_mov_b32 v101, v133
	v_add_f64 v[78:79], v[78:79], -v[124:125]
	s_delay_alu instid0(VALU_DEP_3) | instskip(SKIP_3) | instid1(VALU_DEP_3)
	v_fma_f64 v[126:127], v[134:135], v[132:133], -v[126:127]
	v_fma_f64 v[134:135], v[136:137], v[132:133], v[128:129]
	s_waitcnt lgkmcnt(1)
	v_mul_f64 v[128:129], v[140:141], v[102:103]
	v_add_f64 v[112:113], v[112:113], -v[126:127]
	s_delay_alu instid0(VALU_DEP_3) | instskip(NEXT) | instid1(VALU_DEP_3)
	v_add_f64 v[114:115], v[114:115], -v[134:135]
	v_fma_f64 v[136:137], v[138:139], v[132:133], -v[128:129]
	v_mul_f64 v[128:129], v[138:139], v[102:103]
	s_delay_alu instid0(VALU_DEP_2) | instskip(NEXT) | instid1(VALU_DEP_2)
	v_add_f64 v[96:97], v[96:97], -v[136:137]
	v_fma_f64 v[138:139], v[140:141], v[132:133], v[128:129]
	s_waitcnt lgkmcnt(0)
	v_mul_f64 v[128:129], v[153:154], v[102:103]
	s_delay_alu instid0(VALU_DEP_2) | instskip(NEXT) | instid1(VALU_DEP_2)
	v_add_f64 v[98:99], v[98:99], -v[138:139]
	v_fma_f64 v[140:141], v[151:152], v[132:133], -v[128:129]
	v_mul_f64 v[128:129], v[151:152], v[102:103]
	s_delay_alu instid0(VALU_DEP_2) | instskip(NEXT) | instid1(VALU_DEP_2)
	v_add_f64 v[92:93], v[92:93], -v[140:141]
	v_fma_f64 v[142:143], v[153:154], v[132:133], v[128:129]
	ds_load_2addr_b64 v[151:154], v148 offset0:26 offset1:27
	ds_load_2addr_b64 v[155:158], v148 offset0:28 offset1:29
	s_waitcnt lgkmcnt(1)
	v_mul_f64 v[128:129], v[153:154], v[102:103]
	v_mul_f64 v[130:131], v[151:152], v[102:103]
	v_add_f64 v[94:95], v[94:95], -v[142:143]
	s_delay_alu instid0(VALU_DEP_3) | instskip(SKIP_2) | instid1(VALU_DEP_4)
	v_fma_f64 v[128:129], v[151:152], v[132:133], -v[128:129]
	s_waitcnt lgkmcnt(0)
	v_mul_f64 v[151:152], v[157:158], v[102:103]
	v_fma_f64 v[130:131], v[153:154], v[132:133], v[130:131]
	s_delay_alu instid0(VALU_DEP_3) | instskip(NEXT) | instid1(VALU_DEP_3)
	v_add_f64 v[88:89], v[88:89], -v[128:129]
	v_fma_f64 v[159:160], v[155:156], v[132:133], -v[151:152]
	v_mul_f64 v[151:152], v[155:156], v[102:103]
	s_delay_alu instid0(VALU_DEP_4) | instskip(NEXT) | instid1(VALU_DEP_3)
	v_add_f64 v[90:91], v[90:91], -v[130:131]
	v_add_f64 v[72:73], v[72:73], -v[159:160]
	s_delay_alu instid0(VALU_DEP_3)
	v_fma_f64 v[161:162], v[157:158], v[132:133], v[151:152]
	ds_load_2addr_b64 v[151:154], v148 offset0:30 offset1:31
	ds_load_2addr_b64 v[155:158], v148 offset0:32 offset1:33
	s_waitcnt lgkmcnt(1)
	v_mul_f64 v[163:164], v[153:154], v[102:103]
	v_add_f64 v[74:75], v[74:75], -v[161:162]
	s_delay_alu instid0(VALU_DEP_2) | instskip(SKIP_1) | instid1(VALU_DEP_2)
	v_fma_f64 v[163:164], v[151:152], v[132:133], -v[163:164]
	v_mul_f64 v[151:152], v[151:152], v[102:103]
	v_add_f64 v[68:69], v[68:69], -v[163:164]
	s_delay_alu instid0(VALU_DEP_2) | instskip(SKIP_2) | instid1(VALU_DEP_2)
	v_fma_f64 v[165:166], v[153:154], v[132:133], v[151:152]
	s_waitcnt lgkmcnt(0)
	v_mul_f64 v[151:152], v[157:158], v[102:103]
	v_add_f64 v[70:71], v[70:71], -v[165:166]
	s_delay_alu instid0(VALU_DEP_2) | instskip(SKIP_1) | instid1(VALU_DEP_2)
	v_fma_f64 v[167:168], v[155:156], v[132:133], -v[151:152]
	v_mul_f64 v[151:152], v[155:156], v[102:103]
	v_add_f64 v[64:65], v[64:65], -v[167:168]
	s_delay_alu instid0(VALU_DEP_2)
	v_fma_f64 v[169:170], v[157:158], v[132:133], v[151:152]
	ds_load_2addr_b64 v[151:154], v148 offset0:34 offset1:35
	ds_load_2addr_b64 v[155:158], v148 offset0:36 offset1:37
	s_waitcnt lgkmcnt(1)
	v_mul_f64 v[171:172], v[153:154], v[102:103]
	v_add_f64 v[66:67], v[66:67], -v[169:170]
	s_delay_alu instid0(VALU_DEP_2) | instskip(SKIP_1) | instid1(VALU_DEP_2)
	v_fma_f64 v[171:172], v[151:152], v[132:133], -v[171:172]
	v_mul_f64 v[151:152], v[151:152], v[102:103]
	v_add_f64 v[60:61], v[60:61], -v[171:172]
	s_delay_alu instid0(VALU_DEP_2) | instskip(SKIP_2) | instid1(VALU_DEP_2)
	v_fma_f64 v[173:174], v[153:154], v[132:133], v[151:152]
	s_waitcnt lgkmcnt(0)
	v_mul_f64 v[151:152], v[157:158], v[102:103]
	v_add_f64 v[62:63], v[62:63], -v[173:174]
	s_delay_alu instid0(VALU_DEP_2) | instskip(SKIP_1) | instid1(VALU_DEP_2)
	v_fma_f64 v[175:176], v[155:156], v[132:133], -v[151:152]
	v_mul_f64 v[151:152], v[155:156], v[102:103]
	v_add_f64 v[56:57], v[56:57], -v[175:176]
	s_delay_alu instid0(VALU_DEP_2)
	;; [unrolled: 20-line block ×7, first 2 shown]
	v_fma_f64 v[217:218], v[157:158], v[132:133], v[151:152]
	ds_load_2addr_b64 v[151:154], v148 offset0:58 offset1:59
	ds_load_2addr_b64 v[155:158], v148 offset0:60 offset1:61
	s_waitcnt lgkmcnt(1)
	v_mul_f64 v[219:220], v[153:154], v[102:103]
	v_add_f64 v[10:11], v[10:11], -v[217:218]
	s_delay_alu instid0(VALU_DEP_2) | instskip(SKIP_1) | instid1(VALU_DEP_2)
	v_fma_f64 v[219:220], v[151:152], v[132:133], -v[219:220]
	v_mul_f64 v[151:152], v[151:152], v[102:103]
	v_add_f64 v[4:5], v[4:5], -v[219:220]
	s_delay_alu instid0(VALU_DEP_2) | instskip(SKIP_2) | instid1(VALU_DEP_2)
	v_fma_f64 v[151:152], v[153:154], v[132:133], v[151:152]
	s_waitcnt lgkmcnt(0)
	v_mul_f64 v[153:154], v[157:158], v[102:103]
	v_add_f64 v[6:7], v[6:7], -v[151:152]
	s_delay_alu instid0(VALU_DEP_2) | instskip(SKIP_1) | instid1(VALU_DEP_2)
	v_fma_f64 v[153:154], v[155:156], v[132:133], -v[153:154]
	v_mul_f64 v[155:156], v[155:156], v[102:103]
	v_add_f64 v[0:1], v[0:1], -v[153:154]
	s_delay_alu instid0(VALU_DEP_2) | instskip(NEXT) | instid1(VALU_DEP_1)
	v_fma_f64 v[155:156], v[157:158], v[132:133], v[155:156]
	v_add_f64 v[2:3], v[2:3], -v[155:156]
.LBB60_188:
	s_or_b32 exec_lo, exec_lo, s2
	v_lshl_add_u32 v124, v150, 4, v148
	s_barrier
	buffer_gl0_inv
	v_mov_b32_e32 v132, 9
	ds_store_2addr_b64 v124, v[76:77], v[78:79] offset1:1
	s_waitcnt lgkmcnt(0)
	s_barrier
	buffer_gl0_inv
	ds_load_2addr_b64 v[124:127], v148 offset0:18 offset1:19
	s_cmp_lt_i32 s5, 11
	s_cbranch_scc1 .LBB60_191
; %bb.189:
	v_add3_u32 v133, v146, 0, 0xa0
	v_mov_b32_e32 v132, 9
	s_mov_b32 s6, 10
	s_set_inst_prefetch_distance 0x1
	.p2align	6
.LBB60_190:                             ; =>This Inner Loop Header: Depth=1
	ds_load_2addr_b64 v[134:137], v133 offset1:1
	s_waitcnt lgkmcnt(1)
	v_cmp_gt_f64_e32 vcc_lo, 0, v[124:125]
	v_xor_b32_e32 v128, 0x80000000, v125
	v_cmp_gt_f64_e64 s2, 0, v[126:127]
	v_xor_b32_e32 v130, 0x80000000, v127
	v_add_nc_u32_e32 v133, 16, v133
	s_waitcnt lgkmcnt(0)
	v_cmp_gt_f64_e64 s3, 0, v[134:135]
	v_mov_b32_e32 v138, v134
	v_dual_mov_b32 v140, v136 :: v_dual_cndmask_b32 v129, v125, v128
	v_xor_b32_e32 v128, 0x80000000, v135
	v_cndmask_b32_e64 v131, v127, v130, s2
	v_xor_b32_e32 v130, 0x80000000, v137
	s_delay_alu instid0(VALU_DEP_3) | instskip(SKIP_2) | instid1(VALU_DEP_2)
	v_cndmask_b32_e64 v139, v135, v128, s3
	v_cmp_gt_f64_e64 s3, 0, v[136:137]
	v_cndmask_b32_e32 v128, v124, v124, vcc_lo
	v_cndmask_b32_e64 v141, v137, v130, s3
	v_cndmask_b32_e64 v130, v126, v126, s2
	s_delay_alu instid0(VALU_DEP_2) | instskip(NEXT) | instid1(VALU_DEP_2)
	v_add_f64 v[138:139], v[138:139], v[140:141]
	v_add_f64 v[128:129], v[128:129], v[130:131]
	s_delay_alu instid0(VALU_DEP_1)
	v_cmp_lt_f64_e32 vcc_lo, v[128:129], v[138:139]
	v_cndmask_b32_e32 v127, v127, v137, vcc_lo
	v_dual_cndmask_b32 v125, v125, v135 :: v_dual_cndmask_b32 v124, v124, v134
	v_cndmask_b32_e32 v126, v126, v136, vcc_lo
	v_cndmask_b32_e64 v132, v132, s6, vcc_lo
	s_add_i32 s6, s6, 1
	s_delay_alu instid0(SALU_CYCLE_1)
	s_cmp_lg_u32 s5, s6
	s_cbranch_scc1 .LBB60_190
.LBB60_191:
	s_set_inst_prefetch_distance 0x2
	s_waitcnt lgkmcnt(0)
	v_cmp_eq_f64_e32 vcc_lo, 0, v[124:125]
	v_cmp_eq_f64_e64 s2, 0, v[126:127]
	s_delay_alu instid0(VALU_DEP_1) | instskip(NEXT) | instid1(SALU_CYCLE_1)
	s_and_b32 s2, vcc_lo, s2
	s_and_saveexec_b32 s3, s2
	s_delay_alu instid0(SALU_CYCLE_1)
	s_xor_b32 s2, exec_lo, s3
; %bb.192:
	v_cmp_ne_u32_e32 vcc_lo, 0, v255
	v_cndmask_b32_e32 v255, 10, v255, vcc_lo
; %bb.193:
	s_and_not1_saveexec_b32 s3, s2
	s_cbranch_execz .LBB60_199
; %bb.194:
	v_cmp_gt_f64_e32 vcc_lo, 0, v[124:125]
	v_cmp_gt_f64_e64 s2, 0, v[126:127]
	v_xor_b32_e32 v128, 0x80000000, v125
	v_xor_b32_e32 v130, 0x80000000, v127
	s_delay_alu instid0(VALU_DEP_2) | instskip(NEXT) | instid1(VALU_DEP_2)
	v_cndmask_b32_e32 v129, v125, v128, vcc_lo
	v_cndmask_b32_e64 v131, v127, v130, s2
	v_cndmask_b32_e32 v128, v124, v124, vcc_lo
	v_cndmask_b32_e64 v130, v126, v126, s2
	s_mov_b32 s2, exec_lo
	s_delay_alu instid0(VALU_DEP_1)
	v_cmpx_ngt_f64_e32 v[128:129], v[130:131]
	s_xor_b32 s2, exec_lo, s2
	s_cbranch_execz .LBB60_196
; %bb.195:
	v_div_scale_f64 v[128:129], null, v[126:127], v[126:127], v[124:125]
	v_div_scale_f64 v[135:136], vcc_lo, v[124:125], v[126:127], v[124:125]
	s_delay_alu instid0(VALU_DEP_2) | instskip(SKIP_2) | instid1(VALU_DEP_1)
	v_rcp_f64_e32 v[130:131], v[128:129]
	s_waitcnt_depctr 0xfff
	v_fma_f64 v[133:134], -v[128:129], v[130:131], 1.0
	v_fma_f64 v[130:131], v[130:131], v[133:134], v[130:131]
	s_delay_alu instid0(VALU_DEP_1) | instskip(NEXT) | instid1(VALU_DEP_1)
	v_fma_f64 v[133:134], -v[128:129], v[130:131], 1.0
	v_fma_f64 v[130:131], v[130:131], v[133:134], v[130:131]
	s_delay_alu instid0(VALU_DEP_1) | instskip(NEXT) | instid1(VALU_DEP_1)
	v_mul_f64 v[133:134], v[135:136], v[130:131]
	v_fma_f64 v[128:129], -v[128:129], v[133:134], v[135:136]
	s_delay_alu instid0(VALU_DEP_1) | instskip(NEXT) | instid1(VALU_DEP_1)
	v_div_fmas_f64 v[128:129], v[128:129], v[130:131], v[133:134]
	v_div_fixup_f64 v[128:129], v[128:129], v[126:127], v[124:125]
	s_delay_alu instid0(VALU_DEP_1) | instskip(NEXT) | instid1(VALU_DEP_1)
	v_fma_f64 v[124:125], v[124:125], v[128:129], v[126:127]
	v_div_scale_f64 v[126:127], null, v[124:125], v[124:125], 1.0
	s_delay_alu instid0(VALU_DEP_1) | instskip(SKIP_2) | instid1(VALU_DEP_1)
	v_rcp_f64_e32 v[130:131], v[126:127]
	s_waitcnt_depctr 0xfff
	v_fma_f64 v[133:134], -v[126:127], v[130:131], 1.0
	v_fma_f64 v[130:131], v[130:131], v[133:134], v[130:131]
	s_delay_alu instid0(VALU_DEP_1) | instskip(NEXT) | instid1(VALU_DEP_1)
	v_fma_f64 v[133:134], -v[126:127], v[130:131], 1.0
	v_fma_f64 v[130:131], v[130:131], v[133:134], v[130:131]
	v_div_scale_f64 v[133:134], vcc_lo, 1.0, v[124:125], 1.0
	s_delay_alu instid0(VALU_DEP_1) | instskip(NEXT) | instid1(VALU_DEP_1)
	v_mul_f64 v[135:136], v[133:134], v[130:131]
	v_fma_f64 v[126:127], -v[126:127], v[135:136], v[133:134]
	s_delay_alu instid0(VALU_DEP_1) | instskip(NEXT) | instid1(VALU_DEP_1)
	v_div_fmas_f64 v[126:127], v[126:127], v[130:131], v[135:136]
	v_div_fixup_f64 v[126:127], v[126:127], v[124:125], 1.0
	s_delay_alu instid0(VALU_DEP_1)
	v_mul_f64 v[124:125], v[128:129], v[126:127]
	v_xor_b32_e32 v127, 0x80000000, v127
.LBB60_196:
	s_and_not1_saveexec_b32 s2, s2
	s_cbranch_execz .LBB60_198
; %bb.197:
	s_delay_alu instid0(VALU_DEP_1) | instskip(SKIP_1) | instid1(VALU_DEP_2)
	v_div_scale_f64 v[128:129], null, v[124:125], v[124:125], v[126:127]
	v_div_scale_f64 v[135:136], vcc_lo, v[126:127], v[124:125], v[126:127]
	v_rcp_f64_e32 v[130:131], v[128:129]
	s_waitcnt_depctr 0xfff
	v_fma_f64 v[133:134], -v[128:129], v[130:131], 1.0
	s_delay_alu instid0(VALU_DEP_1) | instskip(NEXT) | instid1(VALU_DEP_1)
	v_fma_f64 v[130:131], v[130:131], v[133:134], v[130:131]
	v_fma_f64 v[133:134], -v[128:129], v[130:131], 1.0
	s_delay_alu instid0(VALU_DEP_1) | instskip(NEXT) | instid1(VALU_DEP_1)
	v_fma_f64 v[130:131], v[130:131], v[133:134], v[130:131]
	v_mul_f64 v[133:134], v[135:136], v[130:131]
	s_delay_alu instid0(VALU_DEP_1) | instskip(NEXT) | instid1(VALU_DEP_1)
	v_fma_f64 v[128:129], -v[128:129], v[133:134], v[135:136]
	v_div_fmas_f64 v[128:129], v[128:129], v[130:131], v[133:134]
	s_delay_alu instid0(VALU_DEP_1) | instskip(NEXT) | instid1(VALU_DEP_1)
	v_div_fixup_f64 v[128:129], v[128:129], v[124:125], v[126:127]
	v_fma_f64 v[124:125], v[126:127], v[128:129], v[124:125]
	s_delay_alu instid0(VALU_DEP_1) | instskip(NEXT) | instid1(VALU_DEP_1)
	v_div_scale_f64 v[126:127], null, v[124:125], v[124:125], 1.0
	v_rcp_f64_e32 v[130:131], v[126:127]
	s_waitcnt_depctr 0xfff
	v_fma_f64 v[133:134], -v[126:127], v[130:131], 1.0
	s_delay_alu instid0(VALU_DEP_1) | instskip(NEXT) | instid1(VALU_DEP_1)
	v_fma_f64 v[130:131], v[130:131], v[133:134], v[130:131]
	v_fma_f64 v[133:134], -v[126:127], v[130:131], 1.0
	s_delay_alu instid0(VALU_DEP_1) | instskip(SKIP_1) | instid1(VALU_DEP_1)
	v_fma_f64 v[130:131], v[130:131], v[133:134], v[130:131]
	v_div_scale_f64 v[133:134], vcc_lo, 1.0, v[124:125], 1.0
	v_mul_f64 v[135:136], v[133:134], v[130:131]
	s_delay_alu instid0(VALU_DEP_1) | instskip(NEXT) | instid1(VALU_DEP_1)
	v_fma_f64 v[126:127], -v[126:127], v[135:136], v[133:134]
	v_div_fmas_f64 v[126:127], v[126:127], v[130:131], v[135:136]
	s_delay_alu instid0(VALU_DEP_1) | instskip(NEXT) | instid1(VALU_DEP_1)
	v_div_fixup_f64 v[124:125], v[126:127], v[124:125], 1.0
	v_mul_f64 v[126:127], v[128:129], -v[124:125]
.LBB60_198:
	s_or_b32 exec_lo, exec_lo, s2
.LBB60_199:
	s_delay_alu instid0(SALU_CYCLE_1) | instskip(NEXT) | instid1(SALU_CYCLE_1)
	s_or_b32 exec_lo, exec_lo, s3
	s_mov_b32 s2, exec_lo
	v_cmpx_ne_u32_e64 v150, v132
	s_xor_b32 s2, exec_lo, s2
	s_cbranch_execz .LBB60_205
; %bb.200:
	s_mov_b32 s3, exec_lo
	v_cmpx_eq_u32_e32 9, v150
	s_cbranch_execz .LBB60_204
; %bb.201:
	v_cmp_ne_u32_e32 vcc_lo, 9, v132
	s_xor_b32 s6, s4, -1
	s_delay_alu instid0(SALU_CYCLE_1) | instskip(NEXT) | instid1(SALU_CYCLE_1)
	s_and_b32 s7, s6, vcc_lo
	s_and_saveexec_b32 s6, s7
	s_cbranch_execz .LBB60_203
; %bb.202:
	scratch_load_b64 v[40:41], off, off     ; 8-byte Folded Reload
	v_ashrrev_i32_e32 v133, 31, v132
	s_delay_alu instid0(VALU_DEP_1) | instskip(SKIP_1) | instid1(VALU_DEP_1)
	v_lshlrev_b64 v[128:129], 2, v[132:133]
	s_waitcnt vmcnt(0)
	v_add_co_u32 v128, vcc_lo, v40, v128
	s_delay_alu instid0(VALU_DEP_2)
	v_add_co_ci_u32_e32 v129, vcc_lo, v41, v129, vcc_lo
	s_clause 0x1
	flat_load_b32 v130, v[128:129]
	flat_load_b32 v131, v[40:41] offset:36
	s_waitcnt vmcnt(1) lgkmcnt(1)
	flat_store_b32 v[40:41], v130 offset:36
	s_waitcnt vmcnt(0) lgkmcnt(1)
	flat_store_b32 v[128:129], v131
.LBB60_203:
	s_or_b32 exec_lo, exec_lo, s6
	v_mov_b32_e32 v150, v132
	v_mov_b32_e32 v149, v132
.LBB60_204:
	s_or_b32 exec_lo, exec_lo, s3
.LBB60_205:
	s_and_not1_saveexec_b32 s2, s2
	s_cbranch_execz .LBB60_207
; %bb.206:
	v_mov_b32_e32 v150, 9
	ds_store_2addr_b64 v148, v[112:113], v[114:115] offset0:20 offset1:21
	ds_store_2addr_b64 v148, v[96:97], v[98:99] offset0:22 offset1:23
	;; [unrolled: 1-line block ×21, first 2 shown]
.LBB60_207:
	s_or_b32 exec_lo, exec_lo, s2
	s_delay_alu instid0(SALU_CYCLE_1)
	s_mov_b32 s2, exec_lo
	s_waitcnt lgkmcnt(0)
	s_waitcnt_vscnt null, 0x0
	s_barrier
	buffer_gl0_inv
	v_cmpx_lt_i32_e32 9, v150
	s_cbranch_execz .LBB60_209
; %bb.208:
	v_mul_f64 v[128:129], v[126:127], v[78:79]
	v_mul_f64 v[78:79], v[124:125], v[78:79]
	s_delay_alu instid0(VALU_DEP_2) | instskip(NEXT) | instid1(VALU_DEP_2)
	v_fma_f64 v[132:133], v[124:125], v[76:77], -v[128:129]
	v_fma_f64 v[78:79], v[126:127], v[76:77], v[78:79]
	ds_load_2addr_b64 v[124:127], v148 offset0:20 offset1:21
	ds_load_2addr_b64 v[134:137], v148 offset0:22 offset1:23
	s_waitcnt lgkmcnt(1)
	v_mul_f64 v[76:77], v[126:127], v[78:79]
	s_waitcnt lgkmcnt(0)
	v_mul_f64 v[128:129], v[134:135], v[78:79]
	s_delay_alu instid0(VALU_DEP_2) | instskip(SKIP_1) | instid1(VALU_DEP_2)
	v_fma_f64 v[76:77], v[124:125], v[132:133], -v[76:77]
	v_mul_f64 v[124:125], v[124:125], v[78:79]
	v_add_f64 v[112:113], v[112:113], -v[76:77]
	s_delay_alu instid0(VALU_DEP_2) | instskip(SKIP_2) | instid1(VALU_DEP_3)
	v_fma_f64 v[124:125], v[126:127], v[132:133], v[124:125]
	v_mul_f64 v[126:127], v[136:137], v[78:79]
	v_dual_mov_b32 v76, v132 :: v_dual_mov_b32 v77, v133
	v_add_f64 v[114:115], v[114:115], -v[124:125]
	s_delay_alu instid0(VALU_DEP_3)
	v_fma_f64 v[126:127], v[134:135], v[132:133], -v[126:127]
	v_fma_f64 v[134:135], v[136:137], v[132:133], v[128:129]
	ds_load_2addr_b64 v[136:139], v148 offset0:24 offset1:25
	ds_load_2addr_b64 v[140:143], v148 offset0:26 offset1:27
	s_waitcnt lgkmcnt(1)
	v_mul_f64 v[128:129], v[138:139], v[78:79]
	v_mul_f64 v[130:131], v[136:137], v[78:79]
	v_add_f64 v[96:97], v[96:97], -v[126:127]
	v_add_f64 v[98:99], v[98:99], -v[134:135]
	s_delay_alu instid0(VALU_DEP_4) | instskip(SKIP_3) | instid1(VALU_DEP_3)
	v_fma_f64 v[128:129], v[136:137], v[132:133], -v[128:129]
	s_waitcnt lgkmcnt(0)
	v_mul_f64 v[136:137], v[142:143], v[78:79]
	v_fma_f64 v[130:131], v[138:139], v[132:133], v[130:131]
	v_add_f64 v[92:93], v[92:93], -v[128:129]
	s_delay_alu instid0(VALU_DEP_3) | instskip(SKIP_1) | instid1(VALU_DEP_4)
	v_fma_f64 v[151:152], v[140:141], v[132:133], -v[136:137]
	v_mul_f64 v[136:137], v[140:141], v[78:79]
	v_add_f64 v[94:95], v[94:95], -v[130:131]
	s_delay_alu instid0(VALU_DEP_3) | instskip(NEXT) | instid1(VALU_DEP_3)
	v_add_f64 v[88:89], v[88:89], -v[151:152]
	v_fma_f64 v[153:154], v[142:143], v[132:133], v[136:137]
	ds_load_2addr_b64 v[136:139], v148 offset0:28 offset1:29
	ds_load_2addr_b64 v[140:143], v148 offset0:30 offset1:31
	s_waitcnt lgkmcnt(1)
	v_mul_f64 v[155:156], v[138:139], v[78:79]
	v_add_f64 v[90:91], v[90:91], -v[153:154]
	s_delay_alu instid0(VALU_DEP_2) | instskip(SKIP_1) | instid1(VALU_DEP_2)
	v_fma_f64 v[155:156], v[136:137], v[132:133], -v[155:156]
	v_mul_f64 v[136:137], v[136:137], v[78:79]
	v_add_f64 v[72:73], v[72:73], -v[155:156]
	s_delay_alu instid0(VALU_DEP_2) | instskip(SKIP_2) | instid1(VALU_DEP_2)
	v_fma_f64 v[157:158], v[138:139], v[132:133], v[136:137]
	s_waitcnt lgkmcnt(0)
	v_mul_f64 v[136:137], v[142:143], v[78:79]
	v_add_f64 v[74:75], v[74:75], -v[157:158]
	s_delay_alu instid0(VALU_DEP_2) | instskip(SKIP_1) | instid1(VALU_DEP_2)
	v_fma_f64 v[159:160], v[140:141], v[132:133], -v[136:137]
	v_mul_f64 v[136:137], v[140:141], v[78:79]
	v_add_f64 v[68:69], v[68:69], -v[159:160]
	s_delay_alu instid0(VALU_DEP_2)
	v_fma_f64 v[161:162], v[142:143], v[132:133], v[136:137]
	ds_load_2addr_b64 v[136:139], v148 offset0:32 offset1:33
	ds_load_2addr_b64 v[140:143], v148 offset0:34 offset1:35
	s_waitcnt lgkmcnt(1)
	v_mul_f64 v[163:164], v[138:139], v[78:79]
	v_add_f64 v[70:71], v[70:71], -v[161:162]
	s_delay_alu instid0(VALU_DEP_2) | instskip(SKIP_1) | instid1(VALU_DEP_2)
	v_fma_f64 v[163:164], v[136:137], v[132:133], -v[163:164]
	v_mul_f64 v[136:137], v[136:137], v[78:79]
	v_add_f64 v[64:65], v[64:65], -v[163:164]
	s_delay_alu instid0(VALU_DEP_2) | instskip(SKIP_2) | instid1(VALU_DEP_2)
	v_fma_f64 v[165:166], v[138:139], v[132:133], v[136:137]
	s_waitcnt lgkmcnt(0)
	v_mul_f64 v[136:137], v[142:143], v[78:79]
	v_add_f64 v[66:67], v[66:67], -v[165:166]
	s_delay_alu instid0(VALU_DEP_2) | instskip(SKIP_1) | instid1(VALU_DEP_2)
	v_fma_f64 v[167:168], v[140:141], v[132:133], -v[136:137]
	v_mul_f64 v[136:137], v[140:141], v[78:79]
	v_add_f64 v[60:61], v[60:61], -v[167:168]
	s_delay_alu instid0(VALU_DEP_2)
	v_fma_f64 v[169:170], v[142:143], v[132:133], v[136:137]
	ds_load_2addr_b64 v[136:139], v148 offset0:36 offset1:37
	ds_load_2addr_b64 v[140:143], v148 offset0:38 offset1:39
	s_waitcnt lgkmcnt(1)
	v_mul_f64 v[171:172], v[138:139], v[78:79]
	v_add_f64 v[62:63], v[62:63], -v[169:170]
	s_delay_alu instid0(VALU_DEP_2) | instskip(SKIP_1) | instid1(VALU_DEP_2)
	v_fma_f64 v[171:172], v[136:137], v[132:133], -v[171:172]
	v_mul_f64 v[136:137], v[136:137], v[78:79]
	v_add_f64 v[56:57], v[56:57], -v[171:172]
	s_delay_alu instid0(VALU_DEP_2) | instskip(SKIP_2) | instid1(VALU_DEP_2)
	v_fma_f64 v[173:174], v[138:139], v[132:133], v[136:137]
	s_waitcnt lgkmcnt(0)
	v_mul_f64 v[136:137], v[142:143], v[78:79]
	v_add_f64 v[58:59], v[58:59], -v[173:174]
	s_delay_alu instid0(VALU_DEP_2) | instskip(SKIP_1) | instid1(VALU_DEP_2)
	v_fma_f64 v[175:176], v[140:141], v[132:133], -v[136:137]
	v_mul_f64 v[136:137], v[140:141], v[78:79]
	v_add_f64 v[48:49], v[48:49], -v[175:176]
	s_delay_alu instid0(VALU_DEP_2)
	v_fma_f64 v[177:178], v[142:143], v[132:133], v[136:137]
	ds_load_2addr_b64 v[136:139], v148 offset0:40 offset1:41
	ds_load_2addr_b64 v[140:143], v148 offset0:42 offset1:43
	s_waitcnt lgkmcnt(1)
	v_mul_f64 v[179:180], v[138:139], v[78:79]
	v_add_f64 v[50:51], v[50:51], -v[177:178]
	s_delay_alu instid0(VALU_DEP_2) | instskip(SKIP_1) | instid1(VALU_DEP_2)
	v_fma_f64 v[179:180], v[136:137], v[132:133], -v[179:180]
	v_mul_f64 v[136:137], v[136:137], v[78:79]
	v_add_f64 v[44:45], v[44:45], -v[179:180]
	s_delay_alu instid0(VALU_DEP_2) | instskip(SKIP_2) | instid1(VALU_DEP_2)
	v_fma_f64 v[181:182], v[138:139], v[132:133], v[136:137]
	s_waitcnt lgkmcnt(0)
	v_mul_f64 v[136:137], v[142:143], v[78:79]
	v_add_f64 v[46:47], v[46:47], -v[181:182]
	s_delay_alu instid0(VALU_DEP_2) | instskip(SKIP_1) | instid1(VALU_DEP_2)
	v_fma_f64 v[183:184], v[140:141], v[132:133], -v[136:137]
	v_mul_f64 v[136:137], v[140:141], v[78:79]
	v_add_f64 v[36:37], v[36:37], -v[183:184]
	s_delay_alu instid0(VALU_DEP_2)
	v_fma_f64 v[185:186], v[142:143], v[132:133], v[136:137]
	ds_load_2addr_b64 v[136:139], v148 offset0:44 offset1:45
	ds_load_2addr_b64 v[140:143], v148 offset0:46 offset1:47
	s_waitcnt lgkmcnt(1)
	v_mul_f64 v[187:188], v[138:139], v[78:79]
	v_add_f64 v[38:39], v[38:39], -v[185:186]
	s_delay_alu instid0(VALU_DEP_2) | instskip(SKIP_1) | instid1(VALU_DEP_2)
	v_fma_f64 v[187:188], v[136:137], v[132:133], -v[187:188]
	v_mul_f64 v[136:137], v[136:137], v[78:79]
	v_add_f64 v[32:33], v[32:33], -v[187:188]
	s_delay_alu instid0(VALU_DEP_2) | instskip(SKIP_2) | instid1(VALU_DEP_2)
	v_fma_f64 v[189:190], v[138:139], v[132:133], v[136:137]
	s_waitcnt lgkmcnt(0)
	v_mul_f64 v[136:137], v[142:143], v[78:79]
	v_add_f64 v[34:35], v[34:35], -v[189:190]
	s_delay_alu instid0(VALU_DEP_2) | instskip(SKIP_1) | instid1(VALU_DEP_2)
	v_fma_f64 v[191:192], v[140:141], v[132:133], -v[136:137]
	v_mul_f64 v[136:137], v[140:141], v[78:79]
	v_add_f64 v[28:29], v[28:29], -v[191:192]
	s_delay_alu instid0(VALU_DEP_2)
	v_fma_f64 v[193:194], v[142:143], v[132:133], v[136:137]
	ds_load_2addr_b64 v[136:139], v148 offset0:48 offset1:49
	ds_load_2addr_b64 v[140:143], v148 offset0:50 offset1:51
	s_waitcnt lgkmcnt(1)
	v_mul_f64 v[195:196], v[138:139], v[78:79]
	v_add_f64 v[30:31], v[30:31], -v[193:194]
	s_delay_alu instid0(VALU_DEP_2) | instskip(SKIP_1) | instid1(VALU_DEP_2)
	v_fma_f64 v[195:196], v[136:137], v[132:133], -v[195:196]
	v_mul_f64 v[136:137], v[136:137], v[78:79]
	v_add_f64 v[24:25], v[24:25], -v[195:196]
	s_delay_alu instid0(VALU_DEP_2) | instskip(SKIP_2) | instid1(VALU_DEP_2)
	v_fma_f64 v[197:198], v[138:139], v[132:133], v[136:137]
	s_waitcnt lgkmcnt(0)
	v_mul_f64 v[136:137], v[142:143], v[78:79]
	v_add_f64 v[26:27], v[26:27], -v[197:198]
	s_delay_alu instid0(VALU_DEP_2) | instskip(SKIP_1) | instid1(VALU_DEP_2)
	v_fma_f64 v[199:200], v[140:141], v[132:133], -v[136:137]
	v_mul_f64 v[136:137], v[140:141], v[78:79]
	v_add_f64 v[20:21], v[20:21], -v[199:200]
	s_delay_alu instid0(VALU_DEP_2)
	v_fma_f64 v[201:202], v[142:143], v[132:133], v[136:137]
	ds_load_2addr_b64 v[136:139], v148 offset0:52 offset1:53
	ds_load_2addr_b64 v[140:143], v148 offset0:54 offset1:55
	s_waitcnt lgkmcnt(1)
	v_mul_f64 v[203:204], v[138:139], v[78:79]
	v_add_f64 v[22:23], v[22:23], -v[201:202]
	s_delay_alu instid0(VALU_DEP_2) | instskip(SKIP_1) | instid1(VALU_DEP_2)
	v_fma_f64 v[203:204], v[136:137], v[132:133], -v[203:204]
	v_mul_f64 v[136:137], v[136:137], v[78:79]
	v_add_f64 v[16:17], v[16:17], -v[203:204]
	s_delay_alu instid0(VALU_DEP_2) | instskip(SKIP_2) | instid1(VALU_DEP_2)
	v_fma_f64 v[205:206], v[138:139], v[132:133], v[136:137]
	s_waitcnt lgkmcnt(0)
	v_mul_f64 v[136:137], v[142:143], v[78:79]
	v_add_f64 v[18:19], v[18:19], -v[205:206]
	s_delay_alu instid0(VALU_DEP_2) | instskip(SKIP_1) | instid1(VALU_DEP_2)
	v_fma_f64 v[207:208], v[140:141], v[132:133], -v[136:137]
	v_mul_f64 v[136:137], v[140:141], v[78:79]
	v_add_f64 v[12:13], v[12:13], -v[207:208]
	s_delay_alu instid0(VALU_DEP_2)
	v_fma_f64 v[209:210], v[142:143], v[132:133], v[136:137]
	ds_load_2addr_b64 v[136:139], v148 offset0:56 offset1:57
	ds_load_2addr_b64 v[140:143], v148 offset0:58 offset1:59
	s_waitcnt lgkmcnt(1)
	v_mul_f64 v[211:212], v[138:139], v[78:79]
	v_add_f64 v[14:15], v[14:15], -v[209:210]
	s_delay_alu instid0(VALU_DEP_2) | instskip(SKIP_1) | instid1(VALU_DEP_2)
	v_fma_f64 v[211:212], v[136:137], v[132:133], -v[211:212]
	v_mul_f64 v[136:137], v[136:137], v[78:79]
	v_add_f64 v[8:9], v[8:9], -v[211:212]
	s_delay_alu instid0(VALU_DEP_2) | instskip(SKIP_2) | instid1(VALU_DEP_2)
	v_fma_f64 v[213:214], v[138:139], v[132:133], v[136:137]
	s_waitcnt lgkmcnt(0)
	v_mul_f64 v[136:137], v[142:143], v[78:79]
	v_add_f64 v[10:11], v[10:11], -v[213:214]
	s_delay_alu instid0(VALU_DEP_2) | instskip(SKIP_1) | instid1(VALU_DEP_2)
	v_fma_f64 v[215:216], v[140:141], v[132:133], -v[136:137]
	v_mul_f64 v[136:137], v[140:141], v[78:79]
	v_add_f64 v[4:5], v[4:5], -v[215:216]
	s_delay_alu instid0(VALU_DEP_2) | instskip(SKIP_4) | instid1(VALU_DEP_2)
	v_fma_f64 v[140:141], v[142:143], v[132:133], v[136:137]
	ds_load_2addr_b64 v[136:139], v148 offset0:60 offset1:61
	s_waitcnt lgkmcnt(0)
	v_mul_f64 v[142:143], v[138:139], v[78:79]
	v_add_f64 v[6:7], v[6:7], -v[140:141]
	v_fma_f64 v[142:143], v[136:137], v[132:133], -v[142:143]
	v_mul_f64 v[136:137], v[136:137], v[78:79]
	s_delay_alu instid0(VALU_DEP_2) | instskip(NEXT) | instid1(VALU_DEP_2)
	v_add_f64 v[0:1], v[0:1], -v[142:143]
	v_fma_f64 v[136:137], v[138:139], v[132:133], v[136:137]
	s_delay_alu instid0(VALU_DEP_1)
	v_add_f64 v[2:3], v[2:3], -v[136:137]
.LBB60_209:
	s_or_b32 exec_lo, exec_lo, s2
	v_lshl_add_u32 v124, v150, 4, v148
	s_barrier
	buffer_gl0_inv
	v_mov_b32_e32 v132, 10
	ds_store_2addr_b64 v124, v[112:113], v[114:115] offset1:1
	s_waitcnt lgkmcnt(0)
	s_barrier
	buffer_gl0_inv
	ds_load_2addr_b64 v[124:127], v148 offset0:20 offset1:21
	s_cmp_lt_i32 s5, 12
	s_cbranch_scc1 .LBB60_212
; %bb.210:
	v_add3_u32 v133, v146, 0, 0xb0
	v_mov_b32_e32 v132, 10
	s_mov_b32 s6, 11
	s_set_inst_prefetch_distance 0x1
	.p2align	6
.LBB60_211:                             ; =>This Inner Loop Header: Depth=1
	ds_load_2addr_b64 v[134:137], v133 offset1:1
	s_waitcnt lgkmcnt(1)
	v_cmp_gt_f64_e32 vcc_lo, 0, v[124:125]
	v_xor_b32_e32 v128, 0x80000000, v125
	v_cmp_gt_f64_e64 s2, 0, v[126:127]
	v_xor_b32_e32 v130, 0x80000000, v127
	v_add_nc_u32_e32 v133, 16, v133
	s_waitcnt lgkmcnt(0)
	v_cmp_gt_f64_e64 s3, 0, v[134:135]
	v_mov_b32_e32 v138, v134
	v_dual_mov_b32 v140, v136 :: v_dual_cndmask_b32 v129, v125, v128
	v_xor_b32_e32 v128, 0x80000000, v135
	v_cndmask_b32_e64 v131, v127, v130, s2
	v_xor_b32_e32 v130, 0x80000000, v137
	s_delay_alu instid0(VALU_DEP_3) | instskip(SKIP_2) | instid1(VALU_DEP_2)
	v_cndmask_b32_e64 v139, v135, v128, s3
	v_cmp_gt_f64_e64 s3, 0, v[136:137]
	v_cndmask_b32_e32 v128, v124, v124, vcc_lo
	v_cndmask_b32_e64 v141, v137, v130, s3
	v_cndmask_b32_e64 v130, v126, v126, s2
	s_delay_alu instid0(VALU_DEP_2) | instskip(NEXT) | instid1(VALU_DEP_2)
	v_add_f64 v[138:139], v[138:139], v[140:141]
	v_add_f64 v[128:129], v[128:129], v[130:131]
	s_delay_alu instid0(VALU_DEP_1)
	v_cmp_lt_f64_e32 vcc_lo, v[128:129], v[138:139]
	v_cndmask_b32_e32 v127, v127, v137, vcc_lo
	v_dual_cndmask_b32 v125, v125, v135 :: v_dual_cndmask_b32 v124, v124, v134
	v_cndmask_b32_e32 v126, v126, v136, vcc_lo
	v_cndmask_b32_e64 v132, v132, s6, vcc_lo
	s_add_i32 s6, s6, 1
	s_delay_alu instid0(SALU_CYCLE_1)
	s_cmp_lg_u32 s5, s6
	s_cbranch_scc1 .LBB60_211
.LBB60_212:
	s_set_inst_prefetch_distance 0x2
	s_waitcnt lgkmcnt(0)
	v_cmp_eq_f64_e32 vcc_lo, 0, v[124:125]
	v_cmp_eq_f64_e64 s2, 0, v[126:127]
	s_delay_alu instid0(VALU_DEP_1) | instskip(NEXT) | instid1(SALU_CYCLE_1)
	s_and_b32 s2, vcc_lo, s2
	s_and_saveexec_b32 s3, s2
	s_delay_alu instid0(SALU_CYCLE_1)
	s_xor_b32 s2, exec_lo, s3
; %bb.213:
	v_cmp_ne_u32_e32 vcc_lo, 0, v255
	v_cndmask_b32_e32 v255, 11, v255, vcc_lo
; %bb.214:
	s_and_not1_saveexec_b32 s3, s2
	s_cbranch_execz .LBB60_220
; %bb.215:
	v_cmp_gt_f64_e32 vcc_lo, 0, v[124:125]
	v_cmp_gt_f64_e64 s2, 0, v[126:127]
	v_xor_b32_e32 v128, 0x80000000, v125
	v_xor_b32_e32 v130, 0x80000000, v127
	s_delay_alu instid0(VALU_DEP_2) | instskip(NEXT) | instid1(VALU_DEP_2)
	v_cndmask_b32_e32 v129, v125, v128, vcc_lo
	v_cndmask_b32_e64 v131, v127, v130, s2
	v_cndmask_b32_e32 v128, v124, v124, vcc_lo
	v_cndmask_b32_e64 v130, v126, v126, s2
	s_mov_b32 s2, exec_lo
	s_delay_alu instid0(VALU_DEP_1)
	v_cmpx_ngt_f64_e32 v[128:129], v[130:131]
	s_xor_b32 s2, exec_lo, s2
	s_cbranch_execz .LBB60_217
; %bb.216:
	v_div_scale_f64 v[128:129], null, v[126:127], v[126:127], v[124:125]
	v_div_scale_f64 v[135:136], vcc_lo, v[124:125], v[126:127], v[124:125]
	s_delay_alu instid0(VALU_DEP_2) | instskip(SKIP_2) | instid1(VALU_DEP_1)
	v_rcp_f64_e32 v[130:131], v[128:129]
	s_waitcnt_depctr 0xfff
	v_fma_f64 v[133:134], -v[128:129], v[130:131], 1.0
	v_fma_f64 v[130:131], v[130:131], v[133:134], v[130:131]
	s_delay_alu instid0(VALU_DEP_1) | instskip(NEXT) | instid1(VALU_DEP_1)
	v_fma_f64 v[133:134], -v[128:129], v[130:131], 1.0
	v_fma_f64 v[130:131], v[130:131], v[133:134], v[130:131]
	s_delay_alu instid0(VALU_DEP_1) | instskip(NEXT) | instid1(VALU_DEP_1)
	v_mul_f64 v[133:134], v[135:136], v[130:131]
	v_fma_f64 v[128:129], -v[128:129], v[133:134], v[135:136]
	s_delay_alu instid0(VALU_DEP_1) | instskip(NEXT) | instid1(VALU_DEP_1)
	v_div_fmas_f64 v[128:129], v[128:129], v[130:131], v[133:134]
	v_div_fixup_f64 v[128:129], v[128:129], v[126:127], v[124:125]
	s_delay_alu instid0(VALU_DEP_1) | instskip(NEXT) | instid1(VALU_DEP_1)
	v_fma_f64 v[124:125], v[124:125], v[128:129], v[126:127]
	v_div_scale_f64 v[126:127], null, v[124:125], v[124:125], 1.0
	s_delay_alu instid0(VALU_DEP_1) | instskip(SKIP_2) | instid1(VALU_DEP_1)
	v_rcp_f64_e32 v[130:131], v[126:127]
	s_waitcnt_depctr 0xfff
	v_fma_f64 v[133:134], -v[126:127], v[130:131], 1.0
	v_fma_f64 v[130:131], v[130:131], v[133:134], v[130:131]
	s_delay_alu instid0(VALU_DEP_1) | instskip(NEXT) | instid1(VALU_DEP_1)
	v_fma_f64 v[133:134], -v[126:127], v[130:131], 1.0
	v_fma_f64 v[130:131], v[130:131], v[133:134], v[130:131]
	v_div_scale_f64 v[133:134], vcc_lo, 1.0, v[124:125], 1.0
	s_delay_alu instid0(VALU_DEP_1) | instskip(NEXT) | instid1(VALU_DEP_1)
	v_mul_f64 v[135:136], v[133:134], v[130:131]
	v_fma_f64 v[126:127], -v[126:127], v[135:136], v[133:134]
	s_delay_alu instid0(VALU_DEP_1) | instskip(NEXT) | instid1(VALU_DEP_1)
	v_div_fmas_f64 v[126:127], v[126:127], v[130:131], v[135:136]
	v_div_fixup_f64 v[126:127], v[126:127], v[124:125], 1.0
	s_delay_alu instid0(VALU_DEP_1)
	v_mul_f64 v[124:125], v[128:129], v[126:127]
	v_xor_b32_e32 v127, 0x80000000, v127
.LBB60_217:
	s_and_not1_saveexec_b32 s2, s2
	s_cbranch_execz .LBB60_219
; %bb.218:
	s_delay_alu instid0(VALU_DEP_1) | instskip(SKIP_1) | instid1(VALU_DEP_2)
	v_div_scale_f64 v[128:129], null, v[124:125], v[124:125], v[126:127]
	v_div_scale_f64 v[135:136], vcc_lo, v[126:127], v[124:125], v[126:127]
	v_rcp_f64_e32 v[130:131], v[128:129]
	s_waitcnt_depctr 0xfff
	v_fma_f64 v[133:134], -v[128:129], v[130:131], 1.0
	s_delay_alu instid0(VALU_DEP_1) | instskip(NEXT) | instid1(VALU_DEP_1)
	v_fma_f64 v[130:131], v[130:131], v[133:134], v[130:131]
	v_fma_f64 v[133:134], -v[128:129], v[130:131], 1.0
	s_delay_alu instid0(VALU_DEP_1) | instskip(NEXT) | instid1(VALU_DEP_1)
	v_fma_f64 v[130:131], v[130:131], v[133:134], v[130:131]
	v_mul_f64 v[133:134], v[135:136], v[130:131]
	s_delay_alu instid0(VALU_DEP_1) | instskip(NEXT) | instid1(VALU_DEP_1)
	v_fma_f64 v[128:129], -v[128:129], v[133:134], v[135:136]
	v_div_fmas_f64 v[128:129], v[128:129], v[130:131], v[133:134]
	s_delay_alu instid0(VALU_DEP_1) | instskip(NEXT) | instid1(VALU_DEP_1)
	v_div_fixup_f64 v[128:129], v[128:129], v[124:125], v[126:127]
	v_fma_f64 v[124:125], v[126:127], v[128:129], v[124:125]
	s_delay_alu instid0(VALU_DEP_1) | instskip(NEXT) | instid1(VALU_DEP_1)
	v_div_scale_f64 v[126:127], null, v[124:125], v[124:125], 1.0
	v_rcp_f64_e32 v[130:131], v[126:127]
	s_waitcnt_depctr 0xfff
	v_fma_f64 v[133:134], -v[126:127], v[130:131], 1.0
	s_delay_alu instid0(VALU_DEP_1) | instskip(NEXT) | instid1(VALU_DEP_1)
	v_fma_f64 v[130:131], v[130:131], v[133:134], v[130:131]
	v_fma_f64 v[133:134], -v[126:127], v[130:131], 1.0
	s_delay_alu instid0(VALU_DEP_1) | instskip(SKIP_1) | instid1(VALU_DEP_1)
	v_fma_f64 v[130:131], v[130:131], v[133:134], v[130:131]
	v_div_scale_f64 v[133:134], vcc_lo, 1.0, v[124:125], 1.0
	v_mul_f64 v[135:136], v[133:134], v[130:131]
	s_delay_alu instid0(VALU_DEP_1) | instskip(NEXT) | instid1(VALU_DEP_1)
	v_fma_f64 v[126:127], -v[126:127], v[135:136], v[133:134]
	v_div_fmas_f64 v[126:127], v[126:127], v[130:131], v[135:136]
	s_delay_alu instid0(VALU_DEP_1) | instskip(NEXT) | instid1(VALU_DEP_1)
	v_div_fixup_f64 v[124:125], v[126:127], v[124:125], 1.0
	v_mul_f64 v[126:127], v[128:129], -v[124:125]
.LBB60_219:
	s_or_b32 exec_lo, exec_lo, s2
.LBB60_220:
	s_delay_alu instid0(SALU_CYCLE_1) | instskip(NEXT) | instid1(SALU_CYCLE_1)
	s_or_b32 exec_lo, exec_lo, s3
	s_mov_b32 s2, exec_lo
	v_cmpx_ne_u32_e64 v150, v132
	s_xor_b32 s2, exec_lo, s2
	s_cbranch_execz .LBB60_226
; %bb.221:
	s_mov_b32 s3, exec_lo
	v_cmpx_eq_u32_e32 10, v150
	s_cbranch_execz .LBB60_225
; %bb.222:
	v_cmp_ne_u32_e32 vcc_lo, 10, v132
	s_xor_b32 s6, s4, -1
	s_delay_alu instid0(SALU_CYCLE_1) | instskip(NEXT) | instid1(SALU_CYCLE_1)
	s_and_b32 s7, s6, vcc_lo
	s_and_saveexec_b32 s6, s7
	s_cbranch_execz .LBB60_224
; %bb.223:
	scratch_load_b64 v[40:41], off, off     ; 8-byte Folded Reload
	v_ashrrev_i32_e32 v133, 31, v132
	s_delay_alu instid0(VALU_DEP_1) | instskip(SKIP_1) | instid1(VALU_DEP_1)
	v_lshlrev_b64 v[128:129], 2, v[132:133]
	s_waitcnt vmcnt(0)
	v_add_co_u32 v128, vcc_lo, v40, v128
	s_delay_alu instid0(VALU_DEP_2)
	v_add_co_ci_u32_e32 v129, vcc_lo, v41, v129, vcc_lo
	s_clause 0x1
	flat_load_b32 v130, v[128:129]
	flat_load_b32 v131, v[40:41] offset:40
	s_waitcnt vmcnt(1) lgkmcnt(1)
	flat_store_b32 v[40:41], v130 offset:40
	s_waitcnt vmcnt(0) lgkmcnt(1)
	flat_store_b32 v[128:129], v131
.LBB60_224:
	s_or_b32 exec_lo, exec_lo, s6
	v_mov_b32_e32 v150, v132
	v_mov_b32_e32 v149, v132
.LBB60_225:
	s_or_b32 exec_lo, exec_lo, s3
.LBB60_226:
	s_and_not1_saveexec_b32 s2, s2
	s_cbranch_execz .LBB60_228
; %bb.227:
	v_mov_b32_e32 v150, 10
	ds_store_2addr_b64 v148, v[96:97], v[98:99] offset0:22 offset1:23
	ds_store_2addr_b64 v148, v[92:93], v[94:95] offset0:24 offset1:25
	;; [unrolled: 1-line block ×20, first 2 shown]
.LBB60_228:
	s_or_b32 exec_lo, exec_lo, s2
	s_delay_alu instid0(SALU_CYCLE_1)
	s_mov_b32 s2, exec_lo
	s_waitcnt lgkmcnt(0)
	s_waitcnt_vscnt null, 0x0
	s_barrier
	buffer_gl0_inv
	v_cmpx_lt_i32_e32 10, v150
	s_cbranch_execz .LBB60_230
; %bb.229:
	v_mul_f64 v[128:129], v[126:127], v[114:115]
	v_mul_f64 v[114:115], v[124:125], v[114:115]
	s_delay_alu instid0(VALU_DEP_2) | instskip(NEXT) | instid1(VALU_DEP_2)
	v_fma_f64 v[132:133], v[124:125], v[112:113], -v[128:129]
	v_fma_f64 v[114:115], v[126:127], v[112:113], v[114:115]
	ds_load_2addr_b64 v[124:127], v148 offset0:22 offset1:23
	ds_load_2addr_b64 v[134:137], v148 offset0:24 offset1:25
	s_waitcnt lgkmcnt(1)
	v_mul_f64 v[112:113], v[126:127], v[114:115]
	s_delay_alu instid0(VALU_DEP_1) | instskip(SKIP_1) | instid1(VALU_DEP_2)
	v_fma_f64 v[112:113], v[124:125], v[132:133], -v[112:113]
	v_mul_f64 v[124:125], v[124:125], v[114:115]
	v_add_f64 v[96:97], v[96:97], -v[112:113]
	s_delay_alu instid0(VALU_DEP_2) | instskip(SKIP_3) | instid1(VALU_DEP_3)
	v_fma_f64 v[128:129], v[126:127], v[132:133], v[124:125]
	s_waitcnt lgkmcnt(0)
	v_mul_f64 v[124:125], v[136:137], v[114:115]
	v_dual_mov_b32 v112, v132 :: v_dual_mov_b32 v113, v133
	v_add_f64 v[98:99], v[98:99], -v[128:129]
	s_delay_alu instid0(VALU_DEP_3) | instskip(SKIP_1) | instid1(VALU_DEP_2)
	v_fma_f64 v[130:131], v[134:135], v[132:133], -v[124:125]
	v_mul_f64 v[124:125], v[134:135], v[114:115]
	v_add_f64 v[92:93], v[92:93], -v[130:131]
	s_delay_alu instid0(VALU_DEP_2)
	v_fma_f64 v[138:139], v[136:137], v[132:133], v[124:125]
	ds_load_2addr_b64 v[124:127], v148 offset0:26 offset1:27
	ds_load_2addr_b64 v[134:137], v148 offset0:28 offset1:29
	s_waitcnt lgkmcnt(1)
	v_mul_f64 v[140:141], v[126:127], v[114:115]
	v_add_f64 v[94:95], v[94:95], -v[138:139]
	s_delay_alu instid0(VALU_DEP_2) | instskip(SKIP_1) | instid1(VALU_DEP_2)
	v_fma_f64 v[140:141], v[124:125], v[132:133], -v[140:141]
	v_mul_f64 v[124:125], v[124:125], v[114:115]
	v_add_f64 v[88:89], v[88:89], -v[140:141]
	s_delay_alu instid0(VALU_DEP_2) | instskip(SKIP_2) | instid1(VALU_DEP_2)
	v_fma_f64 v[142:143], v[126:127], v[132:133], v[124:125]
	s_waitcnt lgkmcnt(0)
	v_mul_f64 v[124:125], v[136:137], v[114:115]
	v_add_f64 v[90:91], v[90:91], -v[142:143]
	s_delay_alu instid0(VALU_DEP_2) | instskip(SKIP_1) | instid1(VALU_DEP_2)
	v_fma_f64 v[151:152], v[134:135], v[132:133], -v[124:125]
	v_mul_f64 v[124:125], v[134:135], v[114:115]
	v_add_f64 v[72:73], v[72:73], -v[151:152]
	s_delay_alu instid0(VALU_DEP_2)
	v_fma_f64 v[153:154], v[136:137], v[132:133], v[124:125]
	ds_load_2addr_b64 v[124:127], v148 offset0:30 offset1:31
	ds_load_2addr_b64 v[134:137], v148 offset0:32 offset1:33
	s_waitcnt lgkmcnt(1)
	v_mul_f64 v[155:156], v[126:127], v[114:115]
	v_add_f64 v[74:75], v[74:75], -v[153:154]
	s_delay_alu instid0(VALU_DEP_2) | instskip(SKIP_1) | instid1(VALU_DEP_2)
	v_fma_f64 v[155:156], v[124:125], v[132:133], -v[155:156]
	v_mul_f64 v[124:125], v[124:125], v[114:115]
	v_add_f64 v[68:69], v[68:69], -v[155:156]
	s_delay_alu instid0(VALU_DEP_2) | instskip(SKIP_2) | instid1(VALU_DEP_2)
	v_fma_f64 v[157:158], v[126:127], v[132:133], v[124:125]
	s_waitcnt lgkmcnt(0)
	v_mul_f64 v[124:125], v[136:137], v[114:115]
	v_add_f64 v[70:71], v[70:71], -v[157:158]
	s_delay_alu instid0(VALU_DEP_2) | instskip(SKIP_1) | instid1(VALU_DEP_2)
	;; [unrolled: 20-line block ×9, first 2 shown]
	v_fma_f64 v[126:127], v[134:135], v[132:133], -v[126:127]
	v_mul_f64 v[134:135], v[134:135], v[114:115]
	v_add_f64 v[0:1], v[0:1], -v[126:127]
	s_delay_alu instid0(VALU_DEP_2) | instskip(NEXT) | instid1(VALU_DEP_1)
	v_fma_f64 v[134:135], v[136:137], v[132:133], v[134:135]
	v_add_f64 v[2:3], v[2:3], -v[134:135]
.LBB60_230:
	s_or_b32 exec_lo, exec_lo, s2
	v_lshl_add_u32 v124, v150, 4, v148
	s_barrier
	buffer_gl0_inv
	v_mov_b32_e32 v132, 11
	ds_store_2addr_b64 v124, v[96:97], v[98:99] offset1:1
	s_waitcnt lgkmcnt(0)
	s_barrier
	buffer_gl0_inv
	ds_load_2addr_b64 v[124:127], v148 offset0:22 offset1:23
	s_cmp_lt_i32 s5, 13
	s_cbranch_scc1 .LBB60_233
; %bb.231:
	v_add3_u32 v133, v146, 0, 0xc0
	v_mov_b32_e32 v132, 11
	s_mov_b32 s6, 12
	s_set_inst_prefetch_distance 0x1
	.p2align	6
.LBB60_232:                             ; =>This Inner Loop Header: Depth=1
	ds_load_2addr_b64 v[134:137], v133 offset1:1
	s_waitcnt lgkmcnt(1)
	v_cmp_gt_f64_e32 vcc_lo, 0, v[124:125]
	v_xor_b32_e32 v128, 0x80000000, v125
	v_cmp_gt_f64_e64 s2, 0, v[126:127]
	v_xor_b32_e32 v130, 0x80000000, v127
	v_add_nc_u32_e32 v133, 16, v133
	s_waitcnt lgkmcnt(0)
	v_cmp_gt_f64_e64 s3, 0, v[134:135]
	v_mov_b32_e32 v138, v134
	v_dual_mov_b32 v140, v136 :: v_dual_cndmask_b32 v129, v125, v128
	v_xor_b32_e32 v128, 0x80000000, v135
	v_cndmask_b32_e64 v131, v127, v130, s2
	v_xor_b32_e32 v130, 0x80000000, v137
	s_delay_alu instid0(VALU_DEP_3) | instskip(SKIP_2) | instid1(VALU_DEP_2)
	v_cndmask_b32_e64 v139, v135, v128, s3
	v_cmp_gt_f64_e64 s3, 0, v[136:137]
	v_cndmask_b32_e32 v128, v124, v124, vcc_lo
	v_cndmask_b32_e64 v141, v137, v130, s3
	v_cndmask_b32_e64 v130, v126, v126, s2
	s_delay_alu instid0(VALU_DEP_2) | instskip(NEXT) | instid1(VALU_DEP_2)
	v_add_f64 v[138:139], v[138:139], v[140:141]
	v_add_f64 v[128:129], v[128:129], v[130:131]
	s_delay_alu instid0(VALU_DEP_1)
	v_cmp_lt_f64_e32 vcc_lo, v[128:129], v[138:139]
	v_cndmask_b32_e32 v127, v127, v137, vcc_lo
	v_dual_cndmask_b32 v125, v125, v135 :: v_dual_cndmask_b32 v124, v124, v134
	v_cndmask_b32_e32 v126, v126, v136, vcc_lo
	v_cndmask_b32_e64 v132, v132, s6, vcc_lo
	s_add_i32 s6, s6, 1
	s_delay_alu instid0(SALU_CYCLE_1)
	s_cmp_lg_u32 s5, s6
	s_cbranch_scc1 .LBB60_232
.LBB60_233:
	s_set_inst_prefetch_distance 0x2
	s_waitcnt lgkmcnt(0)
	v_cmp_eq_f64_e32 vcc_lo, 0, v[124:125]
	v_cmp_eq_f64_e64 s2, 0, v[126:127]
	s_delay_alu instid0(VALU_DEP_1) | instskip(NEXT) | instid1(SALU_CYCLE_1)
	s_and_b32 s2, vcc_lo, s2
	s_and_saveexec_b32 s3, s2
	s_delay_alu instid0(SALU_CYCLE_1)
	s_xor_b32 s2, exec_lo, s3
; %bb.234:
	v_cmp_ne_u32_e32 vcc_lo, 0, v255
	v_cndmask_b32_e32 v255, 12, v255, vcc_lo
; %bb.235:
	s_and_not1_saveexec_b32 s3, s2
	s_cbranch_execz .LBB60_241
; %bb.236:
	v_cmp_gt_f64_e32 vcc_lo, 0, v[124:125]
	v_cmp_gt_f64_e64 s2, 0, v[126:127]
	v_xor_b32_e32 v128, 0x80000000, v125
	v_xor_b32_e32 v130, 0x80000000, v127
	s_delay_alu instid0(VALU_DEP_2) | instskip(NEXT) | instid1(VALU_DEP_2)
	v_cndmask_b32_e32 v129, v125, v128, vcc_lo
	v_cndmask_b32_e64 v131, v127, v130, s2
	v_cndmask_b32_e32 v128, v124, v124, vcc_lo
	v_cndmask_b32_e64 v130, v126, v126, s2
	s_mov_b32 s2, exec_lo
	s_delay_alu instid0(VALU_DEP_1)
	v_cmpx_ngt_f64_e32 v[128:129], v[130:131]
	s_xor_b32 s2, exec_lo, s2
	s_cbranch_execz .LBB60_238
; %bb.237:
	v_div_scale_f64 v[128:129], null, v[126:127], v[126:127], v[124:125]
	v_div_scale_f64 v[135:136], vcc_lo, v[124:125], v[126:127], v[124:125]
	s_delay_alu instid0(VALU_DEP_2) | instskip(SKIP_2) | instid1(VALU_DEP_1)
	v_rcp_f64_e32 v[130:131], v[128:129]
	s_waitcnt_depctr 0xfff
	v_fma_f64 v[133:134], -v[128:129], v[130:131], 1.0
	v_fma_f64 v[130:131], v[130:131], v[133:134], v[130:131]
	s_delay_alu instid0(VALU_DEP_1) | instskip(NEXT) | instid1(VALU_DEP_1)
	v_fma_f64 v[133:134], -v[128:129], v[130:131], 1.0
	v_fma_f64 v[130:131], v[130:131], v[133:134], v[130:131]
	s_delay_alu instid0(VALU_DEP_1) | instskip(NEXT) | instid1(VALU_DEP_1)
	v_mul_f64 v[133:134], v[135:136], v[130:131]
	v_fma_f64 v[128:129], -v[128:129], v[133:134], v[135:136]
	s_delay_alu instid0(VALU_DEP_1) | instskip(NEXT) | instid1(VALU_DEP_1)
	v_div_fmas_f64 v[128:129], v[128:129], v[130:131], v[133:134]
	v_div_fixup_f64 v[128:129], v[128:129], v[126:127], v[124:125]
	s_delay_alu instid0(VALU_DEP_1) | instskip(NEXT) | instid1(VALU_DEP_1)
	v_fma_f64 v[124:125], v[124:125], v[128:129], v[126:127]
	v_div_scale_f64 v[126:127], null, v[124:125], v[124:125], 1.0
	s_delay_alu instid0(VALU_DEP_1) | instskip(SKIP_2) | instid1(VALU_DEP_1)
	v_rcp_f64_e32 v[130:131], v[126:127]
	s_waitcnt_depctr 0xfff
	v_fma_f64 v[133:134], -v[126:127], v[130:131], 1.0
	v_fma_f64 v[130:131], v[130:131], v[133:134], v[130:131]
	s_delay_alu instid0(VALU_DEP_1) | instskip(NEXT) | instid1(VALU_DEP_1)
	v_fma_f64 v[133:134], -v[126:127], v[130:131], 1.0
	v_fma_f64 v[130:131], v[130:131], v[133:134], v[130:131]
	v_div_scale_f64 v[133:134], vcc_lo, 1.0, v[124:125], 1.0
	s_delay_alu instid0(VALU_DEP_1) | instskip(NEXT) | instid1(VALU_DEP_1)
	v_mul_f64 v[135:136], v[133:134], v[130:131]
	v_fma_f64 v[126:127], -v[126:127], v[135:136], v[133:134]
	s_delay_alu instid0(VALU_DEP_1) | instskip(NEXT) | instid1(VALU_DEP_1)
	v_div_fmas_f64 v[126:127], v[126:127], v[130:131], v[135:136]
	v_div_fixup_f64 v[126:127], v[126:127], v[124:125], 1.0
	s_delay_alu instid0(VALU_DEP_1)
	v_mul_f64 v[124:125], v[128:129], v[126:127]
	v_xor_b32_e32 v127, 0x80000000, v127
.LBB60_238:
	s_and_not1_saveexec_b32 s2, s2
	s_cbranch_execz .LBB60_240
; %bb.239:
	s_delay_alu instid0(VALU_DEP_1) | instskip(SKIP_1) | instid1(VALU_DEP_2)
	v_div_scale_f64 v[128:129], null, v[124:125], v[124:125], v[126:127]
	v_div_scale_f64 v[135:136], vcc_lo, v[126:127], v[124:125], v[126:127]
	v_rcp_f64_e32 v[130:131], v[128:129]
	s_waitcnt_depctr 0xfff
	v_fma_f64 v[133:134], -v[128:129], v[130:131], 1.0
	s_delay_alu instid0(VALU_DEP_1) | instskip(NEXT) | instid1(VALU_DEP_1)
	v_fma_f64 v[130:131], v[130:131], v[133:134], v[130:131]
	v_fma_f64 v[133:134], -v[128:129], v[130:131], 1.0
	s_delay_alu instid0(VALU_DEP_1) | instskip(NEXT) | instid1(VALU_DEP_1)
	v_fma_f64 v[130:131], v[130:131], v[133:134], v[130:131]
	v_mul_f64 v[133:134], v[135:136], v[130:131]
	s_delay_alu instid0(VALU_DEP_1) | instskip(NEXT) | instid1(VALU_DEP_1)
	v_fma_f64 v[128:129], -v[128:129], v[133:134], v[135:136]
	v_div_fmas_f64 v[128:129], v[128:129], v[130:131], v[133:134]
	s_delay_alu instid0(VALU_DEP_1) | instskip(NEXT) | instid1(VALU_DEP_1)
	v_div_fixup_f64 v[128:129], v[128:129], v[124:125], v[126:127]
	v_fma_f64 v[124:125], v[126:127], v[128:129], v[124:125]
	s_delay_alu instid0(VALU_DEP_1) | instskip(NEXT) | instid1(VALU_DEP_1)
	v_div_scale_f64 v[126:127], null, v[124:125], v[124:125], 1.0
	v_rcp_f64_e32 v[130:131], v[126:127]
	s_waitcnt_depctr 0xfff
	v_fma_f64 v[133:134], -v[126:127], v[130:131], 1.0
	s_delay_alu instid0(VALU_DEP_1) | instskip(NEXT) | instid1(VALU_DEP_1)
	v_fma_f64 v[130:131], v[130:131], v[133:134], v[130:131]
	v_fma_f64 v[133:134], -v[126:127], v[130:131], 1.0
	s_delay_alu instid0(VALU_DEP_1) | instskip(SKIP_1) | instid1(VALU_DEP_1)
	v_fma_f64 v[130:131], v[130:131], v[133:134], v[130:131]
	v_div_scale_f64 v[133:134], vcc_lo, 1.0, v[124:125], 1.0
	v_mul_f64 v[135:136], v[133:134], v[130:131]
	s_delay_alu instid0(VALU_DEP_1) | instskip(NEXT) | instid1(VALU_DEP_1)
	v_fma_f64 v[126:127], -v[126:127], v[135:136], v[133:134]
	v_div_fmas_f64 v[126:127], v[126:127], v[130:131], v[135:136]
	s_delay_alu instid0(VALU_DEP_1) | instskip(NEXT) | instid1(VALU_DEP_1)
	v_div_fixup_f64 v[124:125], v[126:127], v[124:125], 1.0
	v_mul_f64 v[126:127], v[128:129], -v[124:125]
.LBB60_240:
	s_or_b32 exec_lo, exec_lo, s2
.LBB60_241:
	s_delay_alu instid0(SALU_CYCLE_1) | instskip(NEXT) | instid1(SALU_CYCLE_1)
	s_or_b32 exec_lo, exec_lo, s3
	s_mov_b32 s2, exec_lo
	v_cmpx_ne_u32_e64 v150, v132
	s_xor_b32 s2, exec_lo, s2
	s_cbranch_execz .LBB60_247
; %bb.242:
	s_mov_b32 s3, exec_lo
	v_cmpx_eq_u32_e32 11, v150
	s_cbranch_execz .LBB60_246
; %bb.243:
	v_cmp_ne_u32_e32 vcc_lo, 11, v132
	s_xor_b32 s6, s4, -1
	s_delay_alu instid0(SALU_CYCLE_1) | instskip(NEXT) | instid1(SALU_CYCLE_1)
	s_and_b32 s7, s6, vcc_lo
	s_and_saveexec_b32 s6, s7
	s_cbranch_execz .LBB60_245
; %bb.244:
	scratch_load_b64 v[40:41], off, off     ; 8-byte Folded Reload
	v_ashrrev_i32_e32 v133, 31, v132
	s_delay_alu instid0(VALU_DEP_1) | instskip(SKIP_1) | instid1(VALU_DEP_1)
	v_lshlrev_b64 v[128:129], 2, v[132:133]
	s_waitcnt vmcnt(0)
	v_add_co_u32 v128, vcc_lo, v40, v128
	s_delay_alu instid0(VALU_DEP_2)
	v_add_co_ci_u32_e32 v129, vcc_lo, v41, v129, vcc_lo
	s_clause 0x1
	flat_load_b32 v130, v[128:129]
	flat_load_b32 v131, v[40:41] offset:44
	s_waitcnt vmcnt(1) lgkmcnt(1)
	flat_store_b32 v[40:41], v130 offset:44
	s_waitcnt vmcnt(0) lgkmcnt(1)
	flat_store_b32 v[128:129], v131
.LBB60_245:
	s_or_b32 exec_lo, exec_lo, s6
	v_mov_b32_e32 v150, v132
	v_mov_b32_e32 v149, v132
.LBB60_246:
	s_or_b32 exec_lo, exec_lo, s3
.LBB60_247:
	s_and_not1_saveexec_b32 s2, s2
	s_cbranch_execz .LBB60_249
; %bb.248:
	v_mov_b32_e32 v150, 11
	ds_store_2addr_b64 v148, v[92:93], v[94:95] offset0:24 offset1:25
	ds_store_2addr_b64 v148, v[88:89], v[90:91] offset0:26 offset1:27
	;; [unrolled: 1-line block ×19, first 2 shown]
.LBB60_249:
	s_or_b32 exec_lo, exec_lo, s2
	s_delay_alu instid0(SALU_CYCLE_1)
	s_mov_b32 s2, exec_lo
	s_waitcnt lgkmcnt(0)
	s_waitcnt_vscnt null, 0x0
	s_barrier
	buffer_gl0_inv
	v_cmpx_lt_i32_e32 11, v150
	s_cbranch_execz .LBB60_251
; %bb.250:
	v_mul_f64 v[128:129], v[126:127], v[98:99]
	v_mul_f64 v[98:99], v[124:125], v[98:99]
	s_delay_alu instid0(VALU_DEP_2) | instskip(NEXT) | instid1(VALU_DEP_2)
	v_fma_f64 v[132:133], v[124:125], v[96:97], -v[128:129]
	v_fma_f64 v[98:99], v[126:127], v[96:97], v[98:99]
	ds_load_2addr_b64 v[124:127], v148 offset0:24 offset1:25
	ds_load_2addr_b64 v[134:137], v148 offset0:26 offset1:27
	s_waitcnt lgkmcnt(1)
	v_mul_f64 v[96:97], v[126:127], v[98:99]
	s_delay_alu instid0(VALU_DEP_1) | instskip(SKIP_1) | instid1(VALU_DEP_2)
	v_fma_f64 v[96:97], v[124:125], v[132:133], -v[96:97]
	v_mul_f64 v[124:125], v[124:125], v[98:99]
	v_add_f64 v[92:93], v[92:93], -v[96:97]
	s_delay_alu instid0(VALU_DEP_2) | instskip(SKIP_3) | instid1(VALU_DEP_3)
	v_fma_f64 v[128:129], v[126:127], v[132:133], v[124:125]
	s_waitcnt lgkmcnt(0)
	v_mul_f64 v[124:125], v[136:137], v[98:99]
	v_dual_mov_b32 v96, v132 :: v_dual_mov_b32 v97, v133
	v_add_f64 v[94:95], v[94:95], -v[128:129]
	s_delay_alu instid0(VALU_DEP_3) | instskip(SKIP_1) | instid1(VALU_DEP_2)
	v_fma_f64 v[130:131], v[134:135], v[132:133], -v[124:125]
	v_mul_f64 v[124:125], v[134:135], v[98:99]
	v_add_f64 v[88:89], v[88:89], -v[130:131]
	s_delay_alu instid0(VALU_DEP_2)
	v_fma_f64 v[138:139], v[136:137], v[132:133], v[124:125]
	ds_load_2addr_b64 v[124:127], v148 offset0:28 offset1:29
	ds_load_2addr_b64 v[134:137], v148 offset0:30 offset1:31
	s_waitcnt lgkmcnt(1)
	v_mul_f64 v[140:141], v[126:127], v[98:99]
	v_add_f64 v[90:91], v[90:91], -v[138:139]
	s_delay_alu instid0(VALU_DEP_2) | instskip(SKIP_1) | instid1(VALU_DEP_2)
	v_fma_f64 v[140:141], v[124:125], v[132:133], -v[140:141]
	v_mul_f64 v[124:125], v[124:125], v[98:99]
	v_add_f64 v[72:73], v[72:73], -v[140:141]
	s_delay_alu instid0(VALU_DEP_2) | instskip(SKIP_2) | instid1(VALU_DEP_2)
	v_fma_f64 v[142:143], v[126:127], v[132:133], v[124:125]
	s_waitcnt lgkmcnt(0)
	v_mul_f64 v[124:125], v[136:137], v[98:99]
	v_add_f64 v[74:75], v[74:75], -v[142:143]
	s_delay_alu instid0(VALU_DEP_2) | instskip(SKIP_1) | instid1(VALU_DEP_2)
	v_fma_f64 v[151:152], v[134:135], v[132:133], -v[124:125]
	v_mul_f64 v[124:125], v[134:135], v[98:99]
	v_add_f64 v[68:69], v[68:69], -v[151:152]
	s_delay_alu instid0(VALU_DEP_2)
	v_fma_f64 v[153:154], v[136:137], v[132:133], v[124:125]
	ds_load_2addr_b64 v[124:127], v148 offset0:32 offset1:33
	ds_load_2addr_b64 v[134:137], v148 offset0:34 offset1:35
	s_waitcnt lgkmcnt(1)
	v_mul_f64 v[155:156], v[126:127], v[98:99]
	v_add_f64 v[70:71], v[70:71], -v[153:154]
	s_delay_alu instid0(VALU_DEP_2) | instskip(SKIP_1) | instid1(VALU_DEP_2)
	v_fma_f64 v[155:156], v[124:125], v[132:133], -v[155:156]
	v_mul_f64 v[124:125], v[124:125], v[98:99]
	v_add_f64 v[64:65], v[64:65], -v[155:156]
	s_delay_alu instid0(VALU_DEP_2) | instskip(SKIP_2) | instid1(VALU_DEP_2)
	v_fma_f64 v[157:158], v[126:127], v[132:133], v[124:125]
	s_waitcnt lgkmcnt(0)
	v_mul_f64 v[124:125], v[136:137], v[98:99]
	v_add_f64 v[66:67], v[66:67], -v[157:158]
	s_delay_alu instid0(VALU_DEP_2) | instskip(SKIP_1) | instid1(VALU_DEP_2)
	;; [unrolled: 20-line block ×8, first 2 shown]
	v_fma_f64 v[207:208], v[134:135], v[132:133], -v[124:125]
	v_mul_f64 v[124:125], v[134:135], v[98:99]
	v_add_f64 v[4:5], v[4:5], -v[207:208]
	s_delay_alu instid0(VALU_DEP_2) | instskip(SKIP_4) | instid1(VALU_DEP_2)
	v_fma_f64 v[134:135], v[136:137], v[132:133], v[124:125]
	ds_load_2addr_b64 v[124:127], v148 offset0:60 offset1:61
	s_waitcnt lgkmcnt(0)
	v_mul_f64 v[136:137], v[126:127], v[98:99]
	v_add_f64 v[6:7], v[6:7], -v[134:135]
	v_fma_f64 v[136:137], v[124:125], v[132:133], -v[136:137]
	v_mul_f64 v[124:125], v[124:125], v[98:99]
	s_delay_alu instid0(VALU_DEP_2) | instskip(NEXT) | instid1(VALU_DEP_2)
	v_add_f64 v[0:1], v[0:1], -v[136:137]
	v_fma_f64 v[124:125], v[126:127], v[132:133], v[124:125]
	s_delay_alu instid0(VALU_DEP_1)
	v_add_f64 v[2:3], v[2:3], -v[124:125]
.LBB60_251:
	s_or_b32 exec_lo, exec_lo, s2
	v_lshl_add_u32 v124, v150, 4, v148
	s_barrier
	buffer_gl0_inv
	v_mov_b32_e32 v132, 12
	ds_store_2addr_b64 v124, v[92:93], v[94:95] offset1:1
	s_waitcnt lgkmcnt(0)
	s_barrier
	buffer_gl0_inv
	ds_load_2addr_b64 v[124:127], v148 offset0:24 offset1:25
	s_cmp_lt_i32 s5, 14
	s_cbranch_scc1 .LBB60_254
; %bb.252:
	v_add3_u32 v133, v146, 0, 0xd0
	v_mov_b32_e32 v132, 12
	s_mov_b32 s6, 13
	s_set_inst_prefetch_distance 0x1
	.p2align	6
.LBB60_253:                             ; =>This Inner Loop Header: Depth=1
	ds_load_2addr_b64 v[134:137], v133 offset1:1
	s_waitcnt lgkmcnt(1)
	v_cmp_gt_f64_e32 vcc_lo, 0, v[124:125]
	v_xor_b32_e32 v128, 0x80000000, v125
	v_cmp_gt_f64_e64 s2, 0, v[126:127]
	v_xor_b32_e32 v130, 0x80000000, v127
	v_add_nc_u32_e32 v133, 16, v133
	s_waitcnt lgkmcnt(0)
	v_cmp_gt_f64_e64 s3, 0, v[134:135]
	v_mov_b32_e32 v138, v134
	v_dual_mov_b32 v140, v136 :: v_dual_cndmask_b32 v129, v125, v128
	v_xor_b32_e32 v128, 0x80000000, v135
	v_cndmask_b32_e64 v131, v127, v130, s2
	v_xor_b32_e32 v130, 0x80000000, v137
	s_delay_alu instid0(VALU_DEP_3) | instskip(SKIP_2) | instid1(VALU_DEP_2)
	v_cndmask_b32_e64 v139, v135, v128, s3
	v_cmp_gt_f64_e64 s3, 0, v[136:137]
	v_cndmask_b32_e32 v128, v124, v124, vcc_lo
	v_cndmask_b32_e64 v141, v137, v130, s3
	v_cndmask_b32_e64 v130, v126, v126, s2
	s_delay_alu instid0(VALU_DEP_2) | instskip(NEXT) | instid1(VALU_DEP_2)
	v_add_f64 v[138:139], v[138:139], v[140:141]
	v_add_f64 v[128:129], v[128:129], v[130:131]
	s_delay_alu instid0(VALU_DEP_1)
	v_cmp_lt_f64_e32 vcc_lo, v[128:129], v[138:139]
	v_cndmask_b32_e32 v127, v127, v137, vcc_lo
	v_dual_cndmask_b32 v125, v125, v135 :: v_dual_cndmask_b32 v124, v124, v134
	v_cndmask_b32_e32 v126, v126, v136, vcc_lo
	v_cndmask_b32_e64 v132, v132, s6, vcc_lo
	s_add_i32 s6, s6, 1
	s_delay_alu instid0(SALU_CYCLE_1)
	s_cmp_lg_u32 s5, s6
	s_cbranch_scc1 .LBB60_253
.LBB60_254:
	s_set_inst_prefetch_distance 0x2
	s_waitcnt lgkmcnt(0)
	v_cmp_eq_f64_e32 vcc_lo, 0, v[124:125]
	v_cmp_eq_f64_e64 s2, 0, v[126:127]
	s_delay_alu instid0(VALU_DEP_1) | instskip(NEXT) | instid1(SALU_CYCLE_1)
	s_and_b32 s2, vcc_lo, s2
	s_and_saveexec_b32 s3, s2
	s_delay_alu instid0(SALU_CYCLE_1)
	s_xor_b32 s2, exec_lo, s3
; %bb.255:
	v_cmp_ne_u32_e32 vcc_lo, 0, v255
	v_cndmask_b32_e32 v255, 13, v255, vcc_lo
; %bb.256:
	s_and_not1_saveexec_b32 s3, s2
	s_cbranch_execz .LBB60_262
; %bb.257:
	v_cmp_gt_f64_e32 vcc_lo, 0, v[124:125]
	v_cmp_gt_f64_e64 s2, 0, v[126:127]
	v_xor_b32_e32 v128, 0x80000000, v125
	v_xor_b32_e32 v130, 0x80000000, v127
	s_delay_alu instid0(VALU_DEP_2) | instskip(NEXT) | instid1(VALU_DEP_2)
	v_cndmask_b32_e32 v129, v125, v128, vcc_lo
	v_cndmask_b32_e64 v131, v127, v130, s2
	v_cndmask_b32_e32 v128, v124, v124, vcc_lo
	v_cndmask_b32_e64 v130, v126, v126, s2
	s_mov_b32 s2, exec_lo
	s_delay_alu instid0(VALU_DEP_1)
	v_cmpx_ngt_f64_e32 v[128:129], v[130:131]
	s_xor_b32 s2, exec_lo, s2
	s_cbranch_execz .LBB60_259
; %bb.258:
	v_div_scale_f64 v[128:129], null, v[126:127], v[126:127], v[124:125]
	v_div_scale_f64 v[135:136], vcc_lo, v[124:125], v[126:127], v[124:125]
	s_delay_alu instid0(VALU_DEP_2) | instskip(SKIP_2) | instid1(VALU_DEP_1)
	v_rcp_f64_e32 v[130:131], v[128:129]
	s_waitcnt_depctr 0xfff
	v_fma_f64 v[133:134], -v[128:129], v[130:131], 1.0
	v_fma_f64 v[130:131], v[130:131], v[133:134], v[130:131]
	s_delay_alu instid0(VALU_DEP_1) | instskip(NEXT) | instid1(VALU_DEP_1)
	v_fma_f64 v[133:134], -v[128:129], v[130:131], 1.0
	v_fma_f64 v[130:131], v[130:131], v[133:134], v[130:131]
	s_delay_alu instid0(VALU_DEP_1) | instskip(NEXT) | instid1(VALU_DEP_1)
	v_mul_f64 v[133:134], v[135:136], v[130:131]
	v_fma_f64 v[128:129], -v[128:129], v[133:134], v[135:136]
	s_delay_alu instid0(VALU_DEP_1) | instskip(NEXT) | instid1(VALU_DEP_1)
	v_div_fmas_f64 v[128:129], v[128:129], v[130:131], v[133:134]
	v_div_fixup_f64 v[128:129], v[128:129], v[126:127], v[124:125]
	s_delay_alu instid0(VALU_DEP_1) | instskip(NEXT) | instid1(VALU_DEP_1)
	v_fma_f64 v[124:125], v[124:125], v[128:129], v[126:127]
	v_div_scale_f64 v[126:127], null, v[124:125], v[124:125], 1.0
	s_delay_alu instid0(VALU_DEP_1) | instskip(SKIP_2) | instid1(VALU_DEP_1)
	v_rcp_f64_e32 v[130:131], v[126:127]
	s_waitcnt_depctr 0xfff
	v_fma_f64 v[133:134], -v[126:127], v[130:131], 1.0
	v_fma_f64 v[130:131], v[130:131], v[133:134], v[130:131]
	s_delay_alu instid0(VALU_DEP_1) | instskip(NEXT) | instid1(VALU_DEP_1)
	v_fma_f64 v[133:134], -v[126:127], v[130:131], 1.0
	v_fma_f64 v[130:131], v[130:131], v[133:134], v[130:131]
	v_div_scale_f64 v[133:134], vcc_lo, 1.0, v[124:125], 1.0
	s_delay_alu instid0(VALU_DEP_1) | instskip(NEXT) | instid1(VALU_DEP_1)
	v_mul_f64 v[135:136], v[133:134], v[130:131]
	v_fma_f64 v[126:127], -v[126:127], v[135:136], v[133:134]
	s_delay_alu instid0(VALU_DEP_1) | instskip(NEXT) | instid1(VALU_DEP_1)
	v_div_fmas_f64 v[126:127], v[126:127], v[130:131], v[135:136]
	v_div_fixup_f64 v[126:127], v[126:127], v[124:125], 1.0
	s_delay_alu instid0(VALU_DEP_1)
	v_mul_f64 v[124:125], v[128:129], v[126:127]
	v_xor_b32_e32 v127, 0x80000000, v127
.LBB60_259:
	s_and_not1_saveexec_b32 s2, s2
	s_cbranch_execz .LBB60_261
; %bb.260:
	s_delay_alu instid0(VALU_DEP_1) | instskip(SKIP_1) | instid1(VALU_DEP_2)
	v_div_scale_f64 v[128:129], null, v[124:125], v[124:125], v[126:127]
	v_div_scale_f64 v[135:136], vcc_lo, v[126:127], v[124:125], v[126:127]
	v_rcp_f64_e32 v[130:131], v[128:129]
	s_waitcnt_depctr 0xfff
	v_fma_f64 v[133:134], -v[128:129], v[130:131], 1.0
	s_delay_alu instid0(VALU_DEP_1) | instskip(NEXT) | instid1(VALU_DEP_1)
	v_fma_f64 v[130:131], v[130:131], v[133:134], v[130:131]
	v_fma_f64 v[133:134], -v[128:129], v[130:131], 1.0
	s_delay_alu instid0(VALU_DEP_1) | instskip(NEXT) | instid1(VALU_DEP_1)
	v_fma_f64 v[130:131], v[130:131], v[133:134], v[130:131]
	v_mul_f64 v[133:134], v[135:136], v[130:131]
	s_delay_alu instid0(VALU_DEP_1) | instskip(NEXT) | instid1(VALU_DEP_1)
	v_fma_f64 v[128:129], -v[128:129], v[133:134], v[135:136]
	v_div_fmas_f64 v[128:129], v[128:129], v[130:131], v[133:134]
	s_delay_alu instid0(VALU_DEP_1) | instskip(NEXT) | instid1(VALU_DEP_1)
	v_div_fixup_f64 v[128:129], v[128:129], v[124:125], v[126:127]
	v_fma_f64 v[124:125], v[126:127], v[128:129], v[124:125]
	s_delay_alu instid0(VALU_DEP_1) | instskip(NEXT) | instid1(VALU_DEP_1)
	v_div_scale_f64 v[126:127], null, v[124:125], v[124:125], 1.0
	v_rcp_f64_e32 v[130:131], v[126:127]
	s_waitcnt_depctr 0xfff
	v_fma_f64 v[133:134], -v[126:127], v[130:131], 1.0
	s_delay_alu instid0(VALU_DEP_1) | instskip(NEXT) | instid1(VALU_DEP_1)
	v_fma_f64 v[130:131], v[130:131], v[133:134], v[130:131]
	v_fma_f64 v[133:134], -v[126:127], v[130:131], 1.0
	s_delay_alu instid0(VALU_DEP_1) | instskip(SKIP_1) | instid1(VALU_DEP_1)
	v_fma_f64 v[130:131], v[130:131], v[133:134], v[130:131]
	v_div_scale_f64 v[133:134], vcc_lo, 1.0, v[124:125], 1.0
	v_mul_f64 v[135:136], v[133:134], v[130:131]
	s_delay_alu instid0(VALU_DEP_1) | instskip(NEXT) | instid1(VALU_DEP_1)
	v_fma_f64 v[126:127], -v[126:127], v[135:136], v[133:134]
	v_div_fmas_f64 v[126:127], v[126:127], v[130:131], v[135:136]
	s_delay_alu instid0(VALU_DEP_1) | instskip(NEXT) | instid1(VALU_DEP_1)
	v_div_fixup_f64 v[124:125], v[126:127], v[124:125], 1.0
	v_mul_f64 v[126:127], v[128:129], -v[124:125]
.LBB60_261:
	s_or_b32 exec_lo, exec_lo, s2
.LBB60_262:
	s_delay_alu instid0(SALU_CYCLE_1) | instskip(NEXT) | instid1(SALU_CYCLE_1)
	s_or_b32 exec_lo, exec_lo, s3
	s_mov_b32 s2, exec_lo
	v_cmpx_ne_u32_e64 v150, v132
	s_xor_b32 s2, exec_lo, s2
	s_cbranch_execz .LBB60_268
; %bb.263:
	s_mov_b32 s3, exec_lo
	v_cmpx_eq_u32_e32 12, v150
	s_cbranch_execz .LBB60_267
; %bb.264:
	v_cmp_ne_u32_e32 vcc_lo, 12, v132
	s_xor_b32 s6, s4, -1
	s_delay_alu instid0(SALU_CYCLE_1) | instskip(NEXT) | instid1(SALU_CYCLE_1)
	s_and_b32 s7, s6, vcc_lo
	s_and_saveexec_b32 s6, s7
	s_cbranch_execz .LBB60_266
; %bb.265:
	scratch_load_b64 v[40:41], off, off     ; 8-byte Folded Reload
	v_ashrrev_i32_e32 v133, 31, v132
	s_delay_alu instid0(VALU_DEP_1) | instskip(SKIP_1) | instid1(VALU_DEP_1)
	v_lshlrev_b64 v[128:129], 2, v[132:133]
	s_waitcnt vmcnt(0)
	v_add_co_u32 v128, vcc_lo, v40, v128
	s_delay_alu instid0(VALU_DEP_2)
	v_add_co_ci_u32_e32 v129, vcc_lo, v41, v129, vcc_lo
	s_clause 0x1
	flat_load_b32 v130, v[128:129]
	flat_load_b32 v131, v[40:41] offset:48
	s_waitcnt vmcnt(1) lgkmcnt(1)
	flat_store_b32 v[40:41], v130 offset:48
	s_waitcnt vmcnt(0) lgkmcnt(1)
	flat_store_b32 v[128:129], v131
.LBB60_266:
	s_or_b32 exec_lo, exec_lo, s6
	v_mov_b32_e32 v150, v132
	v_mov_b32_e32 v149, v132
.LBB60_267:
	s_or_b32 exec_lo, exec_lo, s3
.LBB60_268:
	s_and_not1_saveexec_b32 s2, s2
	s_cbranch_execz .LBB60_270
; %bb.269:
	v_mov_b32_e32 v150, 12
	ds_store_2addr_b64 v148, v[88:89], v[90:91] offset0:26 offset1:27
	ds_store_2addr_b64 v148, v[72:73], v[74:75] offset0:28 offset1:29
	;; [unrolled: 1-line block ×18, first 2 shown]
.LBB60_270:
	s_or_b32 exec_lo, exec_lo, s2
	s_delay_alu instid0(SALU_CYCLE_1)
	s_mov_b32 s2, exec_lo
	s_waitcnt lgkmcnt(0)
	s_waitcnt_vscnt null, 0x0
	s_barrier
	buffer_gl0_inv
	v_cmpx_lt_i32_e32 12, v150
	s_cbranch_execz .LBB60_272
; %bb.271:
	v_mul_f64 v[128:129], v[126:127], v[94:95]
	v_mul_f64 v[94:95], v[124:125], v[94:95]
	s_delay_alu instid0(VALU_DEP_2) | instskip(NEXT) | instid1(VALU_DEP_2)
	v_fma_f64 v[132:133], v[124:125], v[92:93], -v[128:129]
	v_fma_f64 v[94:95], v[126:127], v[92:93], v[94:95]
	ds_load_2addr_b64 v[124:127], v148 offset0:26 offset1:27
	ds_load_2addr_b64 v[134:137], v148 offset0:28 offset1:29
	s_waitcnt lgkmcnt(1)
	v_mul_f64 v[92:93], v[126:127], v[94:95]
	s_delay_alu instid0(VALU_DEP_1) | instskip(SKIP_1) | instid1(VALU_DEP_2)
	v_fma_f64 v[92:93], v[124:125], v[132:133], -v[92:93]
	v_mul_f64 v[124:125], v[124:125], v[94:95]
	v_add_f64 v[88:89], v[88:89], -v[92:93]
	s_delay_alu instid0(VALU_DEP_2) | instskip(SKIP_3) | instid1(VALU_DEP_3)
	v_fma_f64 v[128:129], v[126:127], v[132:133], v[124:125]
	s_waitcnt lgkmcnt(0)
	v_mul_f64 v[124:125], v[136:137], v[94:95]
	v_dual_mov_b32 v92, v132 :: v_dual_mov_b32 v93, v133
	v_add_f64 v[90:91], v[90:91], -v[128:129]
	s_delay_alu instid0(VALU_DEP_3) | instskip(SKIP_1) | instid1(VALU_DEP_2)
	v_fma_f64 v[130:131], v[134:135], v[132:133], -v[124:125]
	v_mul_f64 v[124:125], v[134:135], v[94:95]
	v_add_f64 v[72:73], v[72:73], -v[130:131]
	s_delay_alu instid0(VALU_DEP_2)
	v_fma_f64 v[138:139], v[136:137], v[132:133], v[124:125]
	ds_load_2addr_b64 v[124:127], v148 offset0:30 offset1:31
	ds_load_2addr_b64 v[134:137], v148 offset0:32 offset1:33
	s_waitcnt lgkmcnt(1)
	v_mul_f64 v[140:141], v[126:127], v[94:95]
	v_add_f64 v[74:75], v[74:75], -v[138:139]
	s_delay_alu instid0(VALU_DEP_2) | instskip(SKIP_1) | instid1(VALU_DEP_2)
	v_fma_f64 v[140:141], v[124:125], v[132:133], -v[140:141]
	v_mul_f64 v[124:125], v[124:125], v[94:95]
	v_add_f64 v[68:69], v[68:69], -v[140:141]
	s_delay_alu instid0(VALU_DEP_2) | instskip(SKIP_2) | instid1(VALU_DEP_2)
	v_fma_f64 v[142:143], v[126:127], v[132:133], v[124:125]
	s_waitcnt lgkmcnt(0)
	v_mul_f64 v[124:125], v[136:137], v[94:95]
	v_add_f64 v[70:71], v[70:71], -v[142:143]
	s_delay_alu instid0(VALU_DEP_2) | instskip(SKIP_1) | instid1(VALU_DEP_2)
	v_fma_f64 v[151:152], v[134:135], v[132:133], -v[124:125]
	v_mul_f64 v[124:125], v[134:135], v[94:95]
	v_add_f64 v[64:65], v[64:65], -v[151:152]
	s_delay_alu instid0(VALU_DEP_2)
	v_fma_f64 v[153:154], v[136:137], v[132:133], v[124:125]
	ds_load_2addr_b64 v[124:127], v148 offset0:34 offset1:35
	ds_load_2addr_b64 v[134:137], v148 offset0:36 offset1:37
	s_waitcnt lgkmcnt(1)
	v_mul_f64 v[155:156], v[126:127], v[94:95]
	v_add_f64 v[66:67], v[66:67], -v[153:154]
	s_delay_alu instid0(VALU_DEP_2) | instskip(SKIP_1) | instid1(VALU_DEP_2)
	v_fma_f64 v[155:156], v[124:125], v[132:133], -v[155:156]
	v_mul_f64 v[124:125], v[124:125], v[94:95]
	v_add_f64 v[60:61], v[60:61], -v[155:156]
	s_delay_alu instid0(VALU_DEP_2) | instskip(SKIP_2) | instid1(VALU_DEP_2)
	v_fma_f64 v[157:158], v[126:127], v[132:133], v[124:125]
	s_waitcnt lgkmcnt(0)
	v_mul_f64 v[124:125], v[136:137], v[94:95]
	v_add_f64 v[62:63], v[62:63], -v[157:158]
	s_delay_alu instid0(VALU_DEP_2) | instskip(SKIP_1) | instid1(VALU_DEP_2)
	;; [unrolled: 20-line block ×8, first 2 shown]
	v_fma_f64 v[126:127], v[134:135], v[132:133], -v[126:127]
	v_mul_f64 v[134:135], v[134:135], v[94:95]
	v_add_f64 v[0:1], v[0:1], -v[126:127]
	s_delay_alu instid0(VALU_DEP_2) | instskip(NEXT) | instid1(VALU_DEP_1)
	v_fma_f64 v[134:135], v[136:137], v[132:133], v[134:135]
	v_add_f64 v[2:3], v[2:3], -v[134:135]
.LBB60_272:
	s_or_b32 exec_lo, exec_lo, s2
	v_lshl_add_u32 v124, v150, 4, v148
	s_barrier
	buffer_gl0_inv
	v_mov_b32_e32 v132, 13
	ds_store_2addr_b64 v124, v[88:89], v[90:91] offset1:1
	s_waitcnt lgkmcnt(0)
	s_barrier
	buffer_gl0_inv
	ds_load_2addr_b64 v[124:127], v148 offset0:26 offset1:27
	s_cmp_lt_i32 s5, 15
	s_cbranch_scc1 .LBB60_275
; %bb.273:
	v_add3_u32 v133, v146, 0, 0xe0
	v_mov_b32_e32 v132, 13
	s_mov_b32 s6, 14
	s_set_inst_prefetch_distance 0x1
	.p2align	6
.LBB60_274:                             ; =>This Inner Loop Header: Depth=1
	ds_load_2addr_b64 v[134:137], v133 offset1:1
	s_waitcnt lgkmcnt(1)
	v_cmp_gt_f64_e32 vcc_lo, 0, v[124:125]
	v_xor_b32_e32 v128, 0x80000000, v125
	v_cmp_gt_f64_e64 s2, 0, v[126:127]
	v_xor_b32_e32 v130, 0x80000000, v127
	v_add_nc_u32_e32 v133, 16, v133
	s_waitcnt lgkmcnt(0)
	v_cmp_gt_f64_e64 s3, 0, v[134:135]
	v_mov_b32_e32 v138, v134
	v_dual_mov_b32 v140, v136 :: v_dual_cndmask_b32 v129, v125, v128
	v_xor_b32_e32 v128, 0x80000000, v135
	v_cndmask_b32_e64 v131, v127, v130, s2
	v_xor_b32_e32 v130, 0x80000000, v137
	s_delay_alu instid0(VALU_DEP_3) | instskip(SKIP_2) | instid1(VALU_DEP_2)
	v_cndmask_b32_e64 v139, v135, v128, s3
	v_cmp_gt_f64_e64 s3, 0, v[136:137]
	v_cndmask_b32_e32 v128, v124, v124, vcc_lo
	v_cndmask_b32_e64 v141, v137, v130, s3
	v_cndmask_b32_e64 v130, v126, v126, s2
	s_delay_alu instid0(VALU_DEP_2) | instskip(NEXT) | instid1(VALU_DEP_2)
	v_add_f64 v[138:139], v[138:139], v[140:141]
	v_add_f64 v[128:129], v[128:129], v[130:131]
	s_delay_alu instid0(VALU_DEP_1)
	v_cmp_lt_f64_e32 vcc_lo, v[128:129], v[138:139]
	v_cndmask_b32_e32 v127, v127, v137, vcc_lo
	v_dual_cndmask_b32 v125, v125, v135 :: v_dual_cndmask_b32 v124, v124, v134
	v_cndmask_b32_e32 v126, v126, v136, vcc_lo
	v_cndmask_b32_e64 v132, v132, s6, vcc_lo
	s_add_i32 s6, s6, 1
	s_delay_alu instid0(SALU_CYCLE_1)
	s_cmp_lg_u32 s5, s6
	s_cbranch_scc1 .LBB60_274
.LBB60_275:
	s_set_inst_prefetch_distance 0x2
	s_waitcnt lgkmcnt(0)
	v_cmp_eq_f64_e32 vcc_lo, 0, v[124:125]
	v_cmp_eq_f64_e64 s2, 0, v[126:127]
	s_delay_alu instid0(VALU_DEP_1) | instskip(NEXT) | instid1(SALU_CYCLE_1)
	s_and_b32 s2, vcc_lo, s2
	s_and_saveexec_b32 s3, s2
	s_delay_alu instid0(SALU_CYCLE_1)
	s_xor_b32 s2, exec_lo, s3
; %bb.276:
	v_cmp_ne_u32_e32 vcc_lo, 0, v255
	v_cndmask_b32_e32 v255, 14, v255, vcc_lo
; %bb.277:
	s_and_not1_saveexec_b32 s3, s2
	s_cbranch_execz .LBB60_283
; %bb.278:
	v_cmp_gt_f64_e32 vcc_lo, 0, v[124:125]
	v_cmp_gt_f64_e64 s2, 0, v[126:127]
	v_xor_b32_e32 v128, 0x80000000, v125
	v_xor_b32_e32 v130, 0x80000000, v127
	s_delay_alu instid0(VALU_DEP_2) | instskip(NEXT) | instid1(VALU_DEP_2)
	v_cndmask_b32_e32 v129, v125, v128, vcc_lo
	v_cndmask_b32_e64 v131, v127, v130, s2
	v_cndmask_b32_e32 v128, v124, v124, vcc_lo
	v_cndmask_b32_e64 v130, v126, v126, s2
	s_mov_b32 s2, exec_lo
	s_delay_alu instid0(VALU_DEP_1)
	v_cmpx_ngt_f64_e32 v[128:129], v[130:131]
	s_xor_b32 s2, exec_lo, s2
	s_cbranch_execz .LBB60_280
; %bb.279:
	v_div_scale_f64 v[128:129], null, v[126:127], v[126:127], v[124:125]
	v_div_scale_f64 v[135:136], vcc_lo, v[124:125], v[126:127], v[124:125]
	s_delay_alu instid0(VALU_DEP_2) | instskip(SKIP_2) | instid1(VALU_DEP_1)
	v_rcp_f64_e32 v[130:131], v[128:129]
	s_waitcnt_depctr 0xfff
	v_fma_f64 v[133:134], -v[128:129], v[130:131], 1.0
	v_fma_f64 v[130:131], v[130:131], v[133:134], v[130:131]
	s_delay_alu instid0(VALU_DEP_1) | instskip(NEXT) | instid1(VALU_DEP_1)
	v_fma_f64 v[133:134], -v[128:129], v[130:131], 1.0
	v_fma_f64 v[130:131], v[130:131], v[133:134], v[130:131]
	s_delay_alu instid0(VALU_DEP_1) | instskip(NEXT) | instid1(VALU_DEP_1)
	v_mul_f64 v[133:134], v[135:136], v[130:131]
	v_fma_f64 v[128:129], -v[128:129], v[133:134], v[135:136]
	s_delay_alu instid0(VALU_DEP_1) | instskip(NEXT) | instid1(VALU_DEP_1)
	v_div_fmas_f64 v[128:129], v[128:129], v[130:131], v[133:134]
	v_div_fixup_f64 v[128:129], v[128:129], v[126:127], v[124:125]
	s_delay_alu instid0(VALU_DEP_1) | instskip(NEXT) | instid1(VALU_DEP_1)
	v_fma_f64 v[124:125], v[124:125], v[128:129], v[126:127]
	v_div_scale_f64 v[126:127], null, v[124:125], v[124:125], 1.0
	s_delay_alu instid0(VALU_DEP_1) | instskip(SKIP_2) | instid1(VALU_DEP_1)
	v_rcp_f64_e32 v[130:131], v[126:127]
	s_waitcnt_depctr 0xfff
	v_fma_f64 v[133:134], -v[126:127], v[130:131], 1.0
	v_fma_f64 v[130:131], v[130:131], v[133:134], v[130:131]
	s_delay_alu instid0(VALU_DEP_1) | instskip(NEXT) | instid1(VALU_DEP_1)
	v_fma_f64 v[133:134], -v[126:127], v[130:131], 1.0
	v_fma_f64 v[130:131], v[130:131], v[133:134], v[130:131]
	v_div_scale_f64 v[133:134], vcc_lo, 1.0, v[124:125], 1.0
	s_delay_alu instid0(VALU_DEP_1) | instskip(NEXT) | instid1(VALU_DEP_1)
	v_mul_f64 v[135:136], v[133:134], v[130:131]
	v_fma_f64 v[126:127], -v[126:127], v[135:136], v[133:134]
	s_delay_alu instid0(VALU_DEP_1) | instskip(NEXT) | instid1(VALU_DEP_1)
	v_div_fmas_f64 v[126:127], v[126:127], v[130:131], v[135:136]
	v_div_fixup_f64 v[126:127], v[126:127], v[124:125], 1.0
	s_delay_alu instid0(VALU_DEP_1)
	v_mul_f64 v[124:125], v[128:129], v[126:127]
	v_xor_b32_e32 v127, 0x80000000, v127
.LBB60_280:
	s_and_not1_saveexec_b32 s2, s2
	s_cbranch_execz .LBB60_282
; %bb.281:
	s_delay_alu instid0(VALU_DEP_1) | instskip(SKIP_1) | instid1(VALU_DEP_2)
	v_div_scale_f64 v[128:129], null, v[124:125], v[124:125], v[126:127]
	v_div_scale_f64 v[135:136], vcc_lo, v[126:127], v[124:125], v[126:127]
	v_rcp_f64_e32 v[130:131], v[128:129]
	s_waitcnt_depctr 0xfff
	v_fma_f64 v[133:134], -v[128:129], v[130:131], 1.0
	s_delay_alu instid0(VALU_DEP_1) | instskip(NEXT) | instid1(VALU_DEP_1)
	v_fma_f64 v[130:131], v[130:131], v[133:134], v[130:131]
	v_fma_f64 v[133:134], -v[128:129], v[130:131], 1.0
	s_delay_alu instid0(VALU_DEP_1) | instskip(NEXT) | instid1(VALU_DEP_1)
	v_fma_f64 v[130:131], v[130:131], v[133:134], v[130:131]
	v_mul_f64 v[133:134], v[135:136], v[130:131]
	s_delay_alu instid0(VALU_DEP_1) | instskip(NEXT) | instid1(VALU_DEP_1)
	v_fma_f64 v[128:129], -v[128:129], v[133:134], v[135:136]
	v_div_fmas_f64 v[128:129], v[128:129], v[130:131], v[133:134]
	s_delay_alu instid0(VALU_DEP_1) | instskip(NEXT) | instid1(VALU_DEP_1)
	v_div_fixup_f64 v[128:129], v[128:129], v[124:125], v[126:127]
	v_fma_f64 v[124:125], v[126:127], v[128:129], v[124:125]
	s_delay_alu instid0(VALU_DEP_1) | instskip(NEXT) | instid1(VALU_DEP_1)
	v_div_scale_f64 v[126:127], null, v[124:125], v[124:125], 1.0
	v_rcp_f64_e32 v[130:131], v[126:127]
	s_waitcnt_depctr 0xfff
	v_fma_f64 v[133:134], -v[126:127], v[130:131], 1.0
	s_delay_alu instid0(VALU_DEP_1) | instskip(NEXT) | instid1(VALU_DEP_1)
	v_fma_f64 v[130:131], v[130:131], v[133:134], v[130:131]
	v_fma_f64 v[133:134], -v[126:127], v[130:131], 1.0
	s_delay_alu instid0(VALU_DEP_1) | instskip(SKIP_1) | instid1(VALU_DEP_1)
	v_fma_f64 v[130:131], v[130:131], v[133:134], v[130:131]
	v_div_scale_f64 v[133:134], vcc_lo, 1.0, v[124:125], 1.0
	v_mul_f64 v[135:136], v[133:134], v[130:131]
	s_delay_alu instid0(VALU_DEP_1) | instskip(NEXT) | instid1(VALU_DEP_1)
	v_fma_f64 v[126:127], -v[126:127], v[135:136], v[133:134]
	v_div_fmas_f64 v[126:127], v[126:127], v[130:131], v[135:136]
	s_delay_alu instid0(VALU_DEP_1) | instskip(NEXT) | instid1(VALU_DEP_1)
	v_div_fixup_f64 v[124:125], v[126:127], v[124:125], 1.0
	v_mul_f64 v[126:127], v[128:129], -v[124:125]
.LBB60_282:
	s_or_b32 exec_lo, exec_lo, s2
.LBB60_283:
	s_delay_alu instid0(SALU_CYCLE_1) | instskip(NEXT) | instid1(SALU_CYCLE_1)
	s_or_b32 exec_lo, exec_lo, s3
	s_mov_b32 s2, exec_lo
	v_cmpx_ne_u32_e64 v150, v132
	s_xor_b32 s2, exec_lo, s2
	s_cbranch_execz .LBB60_289
; %bb.284:
	s_mov_b32 s3, exec_lo
	v_cmpx_eq_u32_e32 13, v150
	s_cbranch_execz .LBB60_288
; %bb.285:
	v_cmp_ne_u32_e32 vcc_lo, 13, v132
	s_xor_b32 s6, s4, -1
	s_delay_alu instid0(SALU_CYCLE_1) | instskip(NEXT) | instid1(SALU_CYCLE_1)
	s_and_b32 s7, s6, vcc_lo
	s_and_saveexec_b32 s6, s7
	s_cbranch_execz .LBB60_287
; %bb.286:
	scratch_load_b64 v[40:41], off, off     ; 8-byte Folded Reload
	v_ashrrev_i32_e32 v133, 31, v132
	s_delay_alu instid0(VALU_DEP_1) | instskip(SKIP_1) | instid1(VALU_DEP_1)
	v_lshlrev_b64 v[128:129], 2, v[132:133]
	s_waitcnt vmcnt(0)
	v_add_co_u32 v128, vcc_lo, v40, v128
	s_delay_alu instid0(VALU_DEP_2)
	v_add_co_ci_u32_e32 v129, vcc_lo, v41, v129, vcc_lo
	s_clause 0x1
	flat_load_b32 v130, v[128:129]
	flat_load_b32 v131, v[40:41] offset:52
	s_waitcnt vmcnt(1) lgkmcnt(1)
	flat_store_b32 v[40:41], v130 offset:52
	s_waitcnt vmcnt(0) lgkmcnt(1)
	flat_store_b32 v[128:129], v131
.LBB60_287:
	s_or_b32 exec_lo, exec_lo, s6
	v_mov_b32_e32 v150, v132
	v_mov_b32_e32 v149, v132
.LBB60_288:
	s_or_b32 exec_lo, exec_lo, s3
.LBB60_289:
	s_and_not1_saveexec_b32 s2, s2
	s_cbranch_execz .LBB60_291
; %bb.290:
	v_mov_b32_e32 v150, 13
	ds_store_2addr_b64 v148, v[72:73], v[74:75] offset0:28 offset1:29
	ds_store_2addr_b64 v148, v[68:69], v[70:71] offset0:30 offset1:31
	;; [unrolled: 1-line block ×17, first 2 shown]
.LBB60_291:
	s_or_b32 exec_lo, exec_lo, s2
	s_delay_alu instid0(SALU_CYCLE_1)
	s_mov_b32 s2, exec_lo
	s_waitcnt lgkmcnt(0)
	s_waitcnt_vscnt null, 0x0
	s_barrier
	buffer_gl0_inv
	v_cmpx_lt_i32_e32 13, v150
	s_cbranch_execz .LBB60_293
; %bb.292:
	v_mul_f64 v[128:129], v[126:127], v[90:91]
	v_mul_f64 v[90:91], v[124:125], v[90:91]
	s_delay_alu instid0(VALU_DEP_2) | instskip(NEXT) | instid1(VALU_DEP_2)
	v_fma_f64 v[132:133], v[124:125], v[88:89], -v[128:129]
	v_fma_f64 v[90:91], v[126:127], v[88:89], v[90:91]
	ds_load_2addr_b64 v[124:127], v148 offset0:28 offset1:29
	ds_load_2addr_b64 v[134:137], v148 offset0:30 offset1:31
	s_waitcnt lgkmcnt(1)
	v_mul_f64 v[88:89], v[126:127], v[90:91]
	s_delay_alu instid0(VALU_DEP_1) | instskip(SKIP_1) | instid1(VALU_DEP_2)
	v_fma_f64 v[88:89], v[124:125], v[132:133], -v[88:89]
	v_mul_f64 v[124:125], v[124:125], v[90:91]
	v_add_f64 v[72:73], v[72:73], -v[88:89]
	s_delay_alu instid0(VALU_DEP_2) | instskip(SKIP_3) | instid1(VALU_DEP_3)
	v_fma_f64 v[128:129], v[126:127], v[132:133], v[124:125]
	s_waitcnt lgkmcnt(0)
	v_mul_f64 v[124:125], v[136:137], v[90:91]
	v_dual_mov_b32 v88, v132 :: v_dual_mov_b32 v89, v133
	v_add_f64 v[74:75], v[74:75], -v[128:129]
	s_delay_alu instid0(VALU_DEP_3) | instskip(SKIP_1) | instid1(VALU_DEP_2)
	v_fma_f64 v[130:131], v[134:135], v[132:133], -v[124:125]
	v_mul_f64 v[124:125], v[134:135], v[90:91]
	v_add_f64 v[68:69], v[68:69], -v[130:131]
	s_delay_alu instid0(VALU_DEP_2)
	v_fma_f64 v[138:139], v[136:137], v[132:133], v[124:125]
	ds_load_2addr_b64 v[124:127], v148 offset0:32 offset1:33
	ds_load_2addr_b64 v[134:137], v148 offset0:34 offset1:35
	s_waitcnt lgkmcnt(1)
	v_mul_f64 v[140:141], v[126:127], v[90:91]
	v_add_f64 v[70:71], v[70:71], -v[138:139]
	s_delay_alu instid0(VALU_DEP_2) | instskip(SKIP_1) | instid1(VALU_DEP_2)
	v_fma_f64 v[140:141], v[124:125], v[132:133], -v[140:141]
	v_mul_f64 v[124:125], v[124:125], v[90:91]
	v_add_f64 v[64:65], v[64:65], -v[140:141]
	s_delay_alu instid0(VALU_DEP_2) | instskip(SKIP_2) | instid1(VALU_DEP_2)
	v_fma_f64 v[142:143], v[126:127], v[132:133], v[124:125]
	s_waitcnt lgkmcnt(0)
	v_mul_f64 v[124:125], v[136:137], v[90:91]
	v_add_f64 v[66:67], v[66:67], -v[142:143]
	s_delay_alu instid0(VALU_DEP_2) | instskip(SKIP_1) | instid1(VALU_DEP_2)
	v_fma_f64 v[151:152], v[134:135], v[132:133], -v[124:125]
	v_mul_f64 v[124:125], v[134:135], v[90:91]
	v_add_f64 v[60:61], v[60:61], -v[151:152]
	s_delay_alu instid0(VALU_DEP_2)
	v_fma_f64 v[153:154], v[136:137], v[132:133], v[124:125]
	ds_load_2addr_b64 v[124:127], v148 offset0:36 offset1:37
	ds_load_2addr_b64 v[134:137], v148 offset0:38 offset1:39
	s_waitcnt lgkmcnt(1)
	v_mul_f64 v[155:156], v[126:127], v[90:91]
	v_add_f64 v[62:63], v[62:63], -v[153:154]
	s_delay_alu instid0(VALU_DEP_2) | instskip(SKIP_1) | instid1(VALU_DEP_2)
	v_fma_f64 v[155:156], v[124:125], v[132:133], -v[155:156]
	v_mul_f64 v[124:125], v[124:125], v[90:91]
	v_add_f64 v[56:57], v[56:57], -v[155:156]
	s_delay_alu instid0(VALU_DEP_2) | instskip(SKIP_2) | instid1(VALU_DEP_2)
	v_fma_f64 v[157:158], v[126:127], v[132:133], v[124:125]
	s_waitcnt lgkmcnt(0)
	v_mul_f64 v[124:125], v[136:137], v[90:91]
	v_add_f64 v[58:59], v[58:59], -v[157:158]
	s_delay_alu instid0(VALU_DEP_2) | instskip(SKIP_1) | instid1(VALU_DEP_2)
	v_fma_f64 v[159:160], v[134:135], v[132:133], -v[124:125]
	v_mul_f64 v[124:125], v[134:135], v[90:91]
	v_add_f64 v[48:49], v[48:49], -v[159:160]
	s_delay_alu instid0(VALU_DEP_2)
	v_fma_f64 v[161:162], v[136:137], v[132:133], v[124:125]
	ds_load_2addr_b64 v[124:127], v148 offset0:40 offset1:41
	ds_load_2addr_b64 v[134:137], v148 offset0:42 offset1:43
	s_waitcnt lgkmcnt(1)
	v_mul_f64 v[163:164], v[126:127], v[90:91]
	v_add_f64 v[50:51], v[50:51], -v[161:162]
	s_delay_alu instid0(VALU_DEP_2) | instskip(SKIP_1) | instid1(VALU_DEP_2)
	v_fma_f64 v[163:164], v[124:125], v[132:133], -v[163:164]
	v_mul_f64 v[124:125], v[124:125], v[90:91]
	v_add_f64 v[44:45], v[44:45], -v[163:164]
	s_delay_alu instid0(VALU_DEP_2) | instskip(SKIP_2) | instid1(VALU_DEP_2)
	v_fma_f64 v[165:166], v[126:127], v[132:133], v[124:125]
	s_waitcnt lgkmcnt(0)
	v_mul_f64 v[124:125], v[136:137], v[90:91]
	v_add_f64 v[46:47], v[46:47], -v[165:166]
	s_delay_alu instid0(VALU_DEP_2) | instskip(SKIP_1) | instid1(VALU_DEP_2)
	v_fma_f64 v[167:168], v[134:135], v[132:133], -v[124:125]
	v_mul_f64 v[124:125], v[134:135], v[90:91]
	v_add_f64 v[36:37], v[36:37], -v[167:168]
	s_delay_alu instid0(VALU_DEP_2)
	v_fma_f64 v[169:170], v[136:137], v[132:133], v[124:125]
	ds_load_2addr_b64 v[124:127], v148 offset0:44 offset1:45
	ds_load_2addr_b64 v[134:137], v148 offset0:46 offset1:47
	s_waitcnt lgkmcnt(1)
	v_mul_f64 v[171:172], v[126:127], v[90:91]
	v_add_f64 v[38:39], v[38:39], -v[169:170]
	s_delay_alu instid0(VALU_DEP_2) | instskip(SKIP_1) | instid1(VALU_DEP_2)
	v_fma_f64 v[171:172], v[124:125], v[132:133], -v[171:172]
	v_mul_f64 v[124:125], v[124:125], v[90:91]
	v_add_f64 v[32:33], v[32:33], -v[171:172]
	s_delay_alu instid0(VALU_DEP_2) | instskip(SKIP_2) | instid1(VALU_DEP_2)
	v_fma_f64 v[173:174], v[126:127], v[132:133], v[124:125]
	s_waitcnt lgkmcnt(0)
	v_mul_f64 v[124:125], v[136:137], v[90:91]
	v_add_f64 v[34:35], v[34:35], -v[173:174]
	s_delay_alu instid0(VALU_DEP_2) | instskip(SKIP_1) | instid1(VALU_DEP_2)
	v_fma_f64 v[175:176], v[134:135], v[132:133], -v[124:125]
	v_mul_f64 v[124:125], v[134:135], v[90:91]
	v_add_f64 v[28:29], v[28:29], -v[175:176]
	s_delay_alu instid0(VALU_DEP_2)
	v_fma_f64 v[177:178], v[136:137], v[132:133], v[124:125]
	ds_load_2addr_b64 v[124:127], v148 offset0:48 offset1:49
	ds_load_2addr_b64 v[134:137], v148 offset0:50 offset1:51
	s_waitcnt lgkmcnt(1)
	v_mul_f64 v[179:180], v[126:127], v[90:91]
	v_add_f64 v[30:31], v[30:31], -v[177:178]
	s_delay_alu instid0(VALU_DEP_2) | instskip(SKIP_1) | instid1(VALU_DEP_2)
	v_fma_f64 v[179:180], v[124:125], v[132:133], -v[179:180]
	v_mul_f64 v[124:125], v[124:125], v[90:91]
	v_add_f64 v[24:25], v[24:25], -v[179:180]
	s_delay_alu instid0(VALU_DEP_2) | instskip(SKIP_2) | instid1(VALU_DEP_2)
	v_fma_f64 v[181:182], v[126:127], v[132:133], v[124:125]
	s_waitcnt lgkmcnt(0)
	v_mul_f64 v[124:125], v[136:137], v[90:91]
	v_add_f64 v[26:27], v[26:27], -v[181:182]
	s_delay_alu instid0(VALU_DEP_2) | instskip(SKIP_1) | instid1(VALU_DEP_2)
	v_fma_f64 v[183:184], v[134:135], v[132:133], -v[124:125]
	v_mul_f64 v[124:125], v[134:135], v[90:91]
	v_add_f64 v[20:21], v[20:21], -v[183:184]
	s_delay_alu instid0(VALU_DEP_2)
	v_fma_f64 v[185:186], v[136:137], v[132:133], v[124:125]
	ds_load_2addr_b64 v[124:127], v148 offset0:52 offset1:53
	ds_load_2addr_b64 v[134:137], v148 offset0:54 offset1:55
	s_waitcnt lgkmcnt(1)
	v_mul_f64 v[187:188], v[126:127], v[90:91]
	v_add_f64 v[22:23], v[22:23], -v[185:186]
	s_delay_alu instid0(VALU_DEP_2) | instskip(SKIP_1) | instid1(VALU_DEP_2)
	v_fma_f64 v[187:188], v[124:125], v[132:133], -v[187:188]
	v_mul_f64 v[124:125], v[124:125], v[90:91]
	v_add_f64 v[16:17], v[16:17], -v[187:188]
	s_delay_alu instid0(VALU_DEP_2) | instskip(SKIP_2) | instid1(VALU_DEP_2)
	v_fma_f64 v[189:190], v[126:127], v[132:133], v[124:125]
	s_waitcnt lgkmcnt(0)
	v_mul_f64 v[124:125], v[136:137], v[90:91]
	v_add_f64 v[18:19], v[18:19], -v[189:190]
	s_delay_alu instid0(VALU_DEP_2) | instskip(SKIP_1) | instid1(VALU_DEP_2)
	v_fma_f64 v[191:192], v[134:135], v[132:133], -v[124:125]
	v_mul_f64 v[124:125], v[134:135], v[90:91]
	v_add_f64 v[12:13], v[12:13], -v[191:192]
	s_delay_alu instid0(VALU_DEP_2)
	v_fma_f64 v[193:194], v[136:137], v[132:133], v[124:125]
	ds_load_2addr_b64 v[124:127], v148 offset0:56 offset1:57
	ds_load_2addr_b64 v[134:137], v148 offset0:58 offset1:59
	s_waitcnt lgkmcnt(1)
	v_mul_f64 v[195:196], v[126:127], v[90:91]
	v_add_f64 v[14:15], v[14:15], -v[193:194]
	s_delay_alu instid0(VALU_DEP_2) | instskip(SKIP_1) | instid1(VALU_DEP_2)
	v_fma_f64 v[195:196], v[124:125], v[132:133], -v[195:196]
	v_mul_f64 v[124:125], v[124:125], v[90:91]
	v_add_f64 v[8:9], v[8:9], -v[195:196]
	s_delay_alu instid0(VALU_DEP_2) | instskip(SKIP_2) | instid1(VALU_DEP_2)
	v_fma_f64 v[197:198], v[126:127], v[132:133], v[124:125]
	s_waitcnt lgkmcnt(0)
	v_mul_f64 v[124:125], v[136:137], v[90:91]
	v_add_f64 v[10:11], v[10:11], -v[197:198]
	s_delay_alu instid0(VALU_DEP_2) | instskip(SKIP_1) | instid1(VALU_DEP_2)
	v_fma_f64 v[199:200], v[134:135], v[132:133], -v[124:125]
	v_mul_f64 v[124:125], v[134:135], v[90:91]
	v_add_f64 v[4:5], v[4:5], -v[199:200]
	s_delay_alu instid0(VALU_DEP_2) | instskip(SKIP_4) | instid1(VALU_DEP_2)
	v_fma_f64 v[134:135], v[136:137], v[132:133], v[124:125]
	ds_load_2addr_b64 v[124:127], v148 offset0:60 offset1:61
	s_waitcnt lgkmcnt(0)
	v_mul_f64 v[136:137], v[126:127], v[90:91]
	v_add_f64 v[6:7], v[6:7], -v[134:135]
	v_fma_f64 v[136:137], v[124:125], v[132:133], -v[136:137]
	v_mul_f64 v[124:125], v[124:125], v[90:91]
	s_delay_alu instid0(VALU_DEP_2) | instskip(NEXT) | instid1(VALU_DEP_2)
	v_add_f64 v[0:1], v[0:1], -v[136:137]
	v_fma_f64 v[124:125], v[126:127], v[132:133], v[124:125]
	s_delay_alu instid0(VALU_DEP_1)
	v_add_f64 v[2:3], v[2:3], -v[124:125]
.LBB60_293:
	s_or_b32 exec_lo, exec_lo, s2
	v_lshl_add_u32 v124, v150, 4, v148
	s_barrier
	buffer_gl0_inv
	v_mov_b32_e32 v132, 14
	ds_store_2addr_b64 v124, v[72:73], v[74:75] offset1:1
	s_waitcnt lgkmcnt(0)
	s_barrier
	buffer_gl0_inv
	ds_load_2addr_b64 v[124:127], v148 offset0:28 offset1:29
	s_cmp_lt_i32 s5, 16
	s_cbranch_scc1 .LBB60_296
; %bb.294:
	v_add3_u32 v133, v146, 0, 0xf0
	v_mov_b32_e32 v132, 14
	s_mov_b32 s6, 15
	s_set_inst_prefetch_distance 0x1
	.p2align	6
.LBB60_295:                             ; =>This Inner Loop Header: Depth=1
	ds_load_2addr_b64 v[134:137], v133 offset1:1
	s_waitcnt lgkmcnt(1)
	v_cmp_gt_f64_e32 vcc_lo, 0, v[124:125]
	v_xor_b32_e32 v128, 0x80000000, v125
	v_cmp_gt_f64_e64 s2, 0, v[126:127]
	v_xor_b32_e32 v130, 0x80000000, v127
	v_add_nc_u32_e32 v133, 16, v133
	s_waitcnt lgkmcnt(0)
	v_cmp_gt_f64_e64 s3, 0, v[134:135]
	v_mov_b32_e32 v138, v134
	v_dual_mov_b32 v140, v136 :: v_dual_cndmask_b32 v129, v125, v128
	v_xor_b32_e32 v128, 0x80000000, v135
	v_cndmask_b32_e64 v131, v127, v130, s2
	v_xor_b32_e32 v130, 0x80000000, v137
	s_delay_alu instid0(VALU_DEP_3) | instskip(SKIP_2) | instid1(VALU_DEP_2)
	v_cndmask_b32_e64 v139, v135, v128, s3
	v_cmp_gt_f64_e64 s3, 0, v[136:137]
	v_cndmask_b32_e32 v128, v124, v124, vcc_lo
	v_cndmask_b32_e64 v141, v137, v130, s3
	v_cndmask_b32_e64 v130, v126, v126, s2
	s_delay_alu instid0(VALU_DEP_2) | instskip(NEXT) | instid1(VALU_DEP_2)
	v_add_f64 v[138:139], v[138:139], v[140:141]
	v_add_f64 v[128:129], v[128:129], v[130:131]
	s_delay_alu instid0(VALU_DEP_1)
	v_cmp_lt_f64_e32 vcc_lo, v[128:129], v[138:139]
	v_cndmask_b32_e32 v127, v127, v137, vcc_lo
	v_dual_cndmask_b32 v125, v125, v135 :: v_dual_cndmask_b32 v124, v124, v134
	v_cndmask_b32_e32 v126, v126, v136, vcc_lo
	v_cndmask_b32_e64 v132, v132, s6, vcc_lo
	s_add_i32 s6, s6, 1
	s_delay_alu instid0(SALU_CYCLE_1)
	s_cmp_lg_u32 s5, s6
	s_cbranch_scc1 .LBB60_295
.LBB60_296:
	s_set_inst_prefetch_distance 0x2
	s_waitcnt lgkmcnt(0)
	v_cmp_eq_f64_e32 vcc_lo, 0, v[124:125]
	v_cmp_eq_f64_e64 s2, 0, v[126:127]
	s_delay_alu instid0(VALU_DEP_1) | instskip(NEXT) | instid1(SALU_CYCLE_1)
	s_and_b32 s2, vcc_lo, s2
	s_and_saveexec_b32 s3, s2
	s_delay_alu instid0(SALU_CYCLE_1)
	s_xor_b32 s2, exec_lo, s3
; %bb.297:
	v_cmp_ne_u32_e32 vcc_lo, 0, v255
	v_cndmask_b32_e32 v255, 15, v255, vcc_lo
; %bb.298:
	s_and_not1_saveexec_b32 s3, s2
	s_cbranch_execz .LBB60_304
; %bb.299:
	v_cmp_gt_f64_e32 vcc_lo, 0, v[124:125]
	v_cmp_gt_f64_e64 s2, 0, v[126:127]
	v_xor_b32_e32 v128, 0x80000000, v125
	v_xor_b32_e32 v130, 0x80000000, v127
	s_delay_alu instid0(VALU_DEP_2) | instskip(NEXT) | instid1(VALU_DEP_2)
	v_cndmask_b32_e32 v129, v125, v128, vcc_lo
	v_cndmask_b32_e64 v131, v127, v130, s2
	v_cndmask_b32_e32 v128, v124, v124, vcc_lo
	v_cndmask_b32_e64 v130, v126, v126, s2
	s_mov_b32 s2, exec_lo
	s_delay_alu instid0(VALU_DEP_1)
	v_cmpx_ngt_f64_e32 v[128:129], v[130:131]
	s_xor_b32 s2, exec_lo, s2
	s_cbranch_execz .LBB60_301
; %bb.300:
	v_div_scale_f64 v[128:129], null, v[126:127], v[126:127], v[124:125]
	v_div_scale_f64 v[135:136], vcc_lo, v[124:125], v[126:127], v[124:125]
	s_delay_alu instid0(VALU_DEP_2) | instskip(SKIP_2) | instid1(VALU_DEP_1)
	v_rcp_f64_e32 v[130:131], v[128:129]
	s_waitcnt_depctr 0xfff
	v_fma_f64 v[133:134], -v[128:129], v[130:131], 1.0
	v_fma_f64 v[130:131], v[130:131], v[133:134], v[130:131]
	s_delay_alu instid0(VALU_DEP_1) | instskip(NEXT) | instid1(VALU_DEP_1)
	v_fma_f64 v[133:134], -v[128:129], v[130:131], 1.0
	v_fma_f64 v[130:131], v[130:131], v[133:134], v[130:131]
	s_delay_alu instid0(VALU_DEP_1) | instskip(NEXT) | instid1(VALU_DEP_1)
	v_mul_f64 v[133:134], v[135:136], v[130:131]
	v_fma_f64 v[128:129], -v[128:129], v[133:134], v[135:136]
	s_delay_alu instid0(VALU_DEP_1) | instskip(NEXT) | instid1(VALU_DEP_1)
	v_div_fmas_f64 v[128:129], v[128:129], v[130:131], v[133:134]
	v_div_fixup_f64 v[128:129], v[128:129], v[126:127], v[124:125]
	s_delay_alu instid0(VALU_DEP_1) | instskip(NEXT) | instid1(VALU_DEP_1)
	v_fma_f64 v[124:125], v[124:125], v[128:129], v[126:127]
	v_div_scale_f64 v[126:127], null, v[124:125], v[124:125], 1.0
	s_delay_alu instid0(VALU_DEP_1) | instskip(SKIP_2) | instid1(VALU_DEP_1)
	v_rcp_f64_e32 v[130:131], v[126:127]
	s_waitcnt_depctr 0xfff
	v_fma_f64 v[133:134], -v[126:127], v[130:131], 1.0
	v_fma_f64 v[130:131], v[130:131], v[133:134], v[130:131]
	s_delay_alu instid0(VALU_DEP_1) | instskip(NEXT) | instid1(VALU_DEP_1)
	v_fma_f64 v[133:134], -v[126:127], v[130:131], 1.0
	v_fma_f64 v[130:131], v[130:131], v[133:134], v[130:131]
	v_div_scale_f64 v[133:134], vcc_lo, 1.0, v[124:125], 1.0
	s_delay_alu instid0(VALU_DEP_1) | instskip(NEXT) | instid1(VALU_DEP_1)
	v_mul_f64 v[135:136], v[133:134], v[130:131]
	v_fma_f64 v[126:127], -v[126:127], v[135:136], v[133:134]
	s_delay_alu instid0(VALU_DEP_1) | instskip(NEXT) | instid1(VALU_DEP_1)
	v_div_fmas_f64 v[126:127], v[126:127], v[130:131], v[135:136]
	v_div_fixup_f64 v[126:127], v[126:127], v[124:125], 1.0
	s_delay_alu instid0(VALU_DEP_1)
	v_mul_f64 v[124:125], v[128:129], v[126:127]
	v_xor_b32_e32 v127, 0x80000000, v127
.LBB60_301:
	s_and_not1_saveexec_b32 s2, s2
	s_cbranch_execz .LBB60_303
; %bb.302:
	s_delay_alu instid0(VALU_DEP_1) | instskip(SKIP_1) | instid1(VALU_DEP_2)
	v_div_scale_f64 v[128:129], null, v[124:125], v[124:125], v[126:127]
	v_div_scale_f64 v[135:136], vcc_lo, v[126:127], v[124:125], v[126:127]
	v_rcp_f64_e32 v[130:131], v[128:129]
	s_waitcnt_depctr 0xfff
	v_fma_f64 v[133:134], -v[128:129], v[130:131], 1.0
	s_delay_alu instid0(VALU_DEP_1) | instskip(NEXT) | instid1(VALU_DEP_1)
	v_fma_f64 v[130:131], v[130:131], v[133:134], v[130:131]
	v_fma_f64 v[133:134], -v[128:129], v[130:131], 1.0
	s_delay_alu instid0(VALU_DEP_1) | instskip(NEXT) | instid1(VALU_DEP_1)
	v_fma_f64 v[130:131], v[130:131], v[133:134], v[130:131]
	v_mul_f64 v[133:134], v[135:136], v[130:131]
	s_delay_alu instid0(VALU_DEP_1) | instskip(NEXT) | instid1(VALU_DEP_1)
	v_fma_f64 v[128:129], -v[128:129], v[133:134], v[135:136]
	v_div_fmas_f64 v[128:129], v[128:129], v[130:131], v[133:134]
	s_delay_alu instid0(VALU_DEP_1) | instskip(NEXT) | instid1(VALU_DEP_1)
	v_div_fixup_f64 v[128:129], v[128:129], v[124:125], v[126:127]
	v_fma_f64 v[124:125], v[126:127], v[128:129], v[124:125]
	s_delay_alu instid0(VALU_DEP_1) | instskip(NEXT) | instid1(VALU_DEP_1)
	v_div_scale_f64 v[126:127], null, v[124:125], v[124:125], 1.0
	v_rcp_f64_e32 v[130:131], v[126:127]
	s_waitcnt_depctr 0xfff
	v_fma_f64 v[133:134], -v[126:127], v[130:131], 1.0
	s_delay_alu instid0(VALU_DEP_1) | instskip(NEXT) | instid1(VALU_DEP_1)
	v_fma_f64 v[130:131], v[130:131], v[133:134], v[130:131]
	v_fma_f64 v[133:134], -v[126:127], v[130:131], 1.0
	s_delay_alu instid0(VALU_DEP_1) | instskip(SKIP_1) | instid1(VALU_DEP_1)
	v_fma_f64 v[130:131], v[130:131], v[133:134], v[130:131]
	v_div_scale_f64 v[133:134], vcc_lo, 1.0, v[124:125], 1.0
	v_mul_f64 v[135:136], v[133:134], v[130:131]
	s_delay_alu instid0(VALU_DEP_1) | instskip(NEXT) | instid1(VALU_DEP_1)
	v_fma_f64 v[126:127], -v[126:127], v[135:136], v[133:134]
	v_div_fmas_f64 v[126:127], v[126:127], v[130:131], v[135:136]
	s_delay_alu instid0(VALU_DEP_1) | instskip(NEXT) | instid1(VALU_DEP_1)
	v_div_fixup_f64 v[124:125], v[126:127], v[124:125], 1.0
	v_mul_f64 v[126:127], v[128:129], -v[124:125]
.LBB60_303:
	s_or_b32 exec_lo, exec_lo, s2
.LBB60_304:
	s_delay_alu instid0(SALU_CYCLE_1) | instskip(NEXT) | instid1(SALU_CYCLE_1)
	s_or_b32 exec_lo, exec_lo, s3
	s_mov_b32 s2, exec_lo
	v_cmpx_ne_u32_e64 v150, v132
	s_xor_b32 s2, exec_lo, s2
	s_cbranch_execz .LBB60_310
; %bb.305:
	s_mov_b32 s3, exec_lo
	v_cmpx_eq_u32_e32 14, v150
	s_cbranch_execz .LBB60_309
; %bb.306:
	v_cmp_ne_u32_e32 vcc_lo, 14, v132
	s_xor_b32 s6, s4, -1
	s_delay_alu instid0(SALU_CYCLE_1) | instskip(NEXT) | instid1(SALU_CYCLE_1)
	s_and_b32 s7, s6, vcc_lo
	s_and_saveexec_b32 s6, s7
	s_cbranch_execz .LBB60_308
; %bb.307:
	scratch_load_b64 v[40:41], off, off     ; 8-byte Folded Reload
	v_ashrrev_i32_e32 v133, 31, v132
	s_delay_alu instid0(VALU_DEP_1) | instskip(SKIP_1) | instid1(VALU_DEP_1)
	v_lshlrev_b64 v[128:129], 2, v[132:133]
	s_waitcnt vmcnt(0)
	v_add_co_u32 v128, vcc_lo, v40, v128
	s_delay_alu instid0(VALU_DEP_2)
	v_add_co_ci_u32_e32 v129, vcc_lo, v41, v129, vcc_lo
	s_clause 0x1
	flat_load_b32 v130, v[128:129]
	flat_load_b32 v131, v[40:41] offset:56
	s_waitcnt vmcnt(1) lgkmcnt(1)
	flat_store_b32 v[40:41], v130 offset:56
	s_waitcnt vmcnt(0) lgkmcnt(1)
	flat_store_b32 v[128:129], v131
.LBB60_308:
	s_or_b32 exec_lo, exec_lo, s6
	v_mov_b32_e32 v150, v132
	v_mov_b32_e32 v149, v132
.LBB60_309:
	s_or_b32 exec_lo, exec_lo, s3
.LBB60_310:
	s_and_not1_saveexec_b32 s2, s2
	s_cbranch_execz .LBB60_312
; %bb.311:
	v_mov_b32_e32 v150, 14
	ds_store_2addr_b64 v148, v[68:69], v[70:71] offset0:30 offset1:31
	ds_store_2addr_b64 v148, v[64:65], v[66:67] offset0:32 offset1:33
	;; [unrolled: 1-line block ×16, first 2 shown]
.LBB60_312:
	s_or_b32 exec_lo, exec_lo, s2
	s_delay_alu instid0(SALU_CYCLE_1)
	s_mov_b32 s2, exec_lo
	s_waitcnt lgkmcnt(0)
	s_waitcnt_vscnt null, 0x0
	s_barrier
	buffer_gl0_inv
	v_cmpx_lt_i32_e32 14, v150
	s_cbranch_execz .LBB60_314
; %bb.313:
	v_mul_f64 v[128:129], v[124:125], v[74:75]
	v_mul_f64 v[74:75], v[126:127], v[74:75]
	s_delay_alu instid0(VALU_DEP_2) | instskip(NEXT) | instid1(VALU_DEP_2)
	v_fma_f64 v[132:133], v[126:127], v[72:73], v[128:129]
	v_fma_f64 v[72:73], v[124:125], v[72:73], -v[74:75]
	ds_load_2addr_b64 v[124:127], v148 offset0:30 offset1:31
	ds_load_2addr_b64 v[134:137], v148 offset0:32 offset1:33
	s_waitcnt lgkmcnt(1)
	v_mul_f64 v[74:75], v[126:127], v[132:133]
	s_delay_alu instid0(VALU_DEP_1) | instskip(SKIP_1) | instid1(VALU_DEP_2)
	v_fma_f64 v[74:75], v[124:125], v[72:73], -v[74:75]
	v_mul_f64 v[124:125], v[124:125], v[132:133]
	v_add_f64 v[68:69], v[68:69], -v[74:75]
	s_delay_alu instid0(VALU_DEP_2) | instskip(SKIP_3) | instid1(VALU_DEP_3)
	v_fma_f64 v[128:129], v[126:127], v[72:73], v[124:125]
	s_waitcnt lgkmcnt(0)
	v_mul_f64 v[124:125], v[136:137], v[132:133]
	v_dual_mov_b32 v74, v132 :: v_dual_mov_b32 v75, v133
	v_add_f64 v[70:71], v[70:71], -v[128:129]
	s_delay_alu instid0(VALU_DEP_3) | instskip(SKIP_1) | instid1(VALU_DEP_2)
	v_fma_f64 v[130:131], v[134:135], v[72:73], -v[124:125]
	v_mul_f64 v[124:125], v[134:135], v[132:133]
	v_add_f64 v[64:65], v[64:65], -v[130:131]
	s_delay_alu instid0(VALU_DEP_2)
	v_fma_f64 v[138:139], v[136:137], v[72:73], v[124:125]
	ds_load_2addr_b64 v[124:127], v148 offset0:34 offset1:35
	ds_load_2addr_b64 v[134:137], v148 offset0:36 offset1:37
	s_waitcnt lgkmcnt(1)
	v_mul_f64 v[140:141], v[126:127], v[132:133]
	v_add_f64 v[66:67], v[66:67], -v[138:139]
	s_delay_alu instid0(VALU_DEP_2) | instskip(SKIP_1) | instid1(VALU_DEP_2)
	v_fma_f64 v[140:141], v[124:125], v[72:73], -v[140:141]
	v_mul_f64 v[124:125], v[124:125], v[132:133]
	v_add_f64 v[60:61], v[60:61], -v[140:141]
	s_delay_alu instid0(VALU_DEP_2) | instskip(SKIP_2) | instid1(VALU_DEP_2)
	v_fma_f64 v[142:143], v[126:127], v[72:73], v[124:125]
	s_waitcnt lgkmcnt(0)
	v_mul_f64 v[124:125], v[136:137], v[132:133]
	v_add_f64 v[62:63], v[62:63], -v[142:143]
	s_delay_alu instid0(VALU_DEP_2) | instskip(SKIP_1) | instid1(VALU_DEP_2)
	v_fma_f64 v[151:152], v[134:135], v[72:73], -v[124:125]
	v_mul_f64 v[124:125], v[134:135], v[132:133]
	v_add_f64 v[56:57], v[56:57], -v[151:152]
	s_delay_alu instid0(VALU_DEP_2)
	v_fma_f64 v[153:154], v[136:137], v[72:73], v[124:125]
	ds_load_2addr_b64 v[124:127], v148 offset0:38 offset1:39
	ds_load_2addr_b64 v[134:137], v148 offset0:40 offset1:41
	s_waitcnt lgkmcnt(1)
	v_mul_f64 v[155:156], v[126:127], v[132:133]
	v_add_f64 v[58:59], v[58:59], -v[153:154]
	s_delay_alu instid0(VALU_DEP_2) | instskip(SKIP_1) | instid1(VALU_DEP_2)
	v_fma_f64 v[155:156], v[124:125], v[72:73], -v[155:156]
	v_mul_f64 v[124:125], v[124:125], v[132:133]
	v_add_f64 v[48:49], v[48:49], -v[155:156]
	s_delay_alu instid0(VALU_DEP_2) | instskip(SKIP_2) | instid1(VALU_DEP_2)
	v_fma_f64 v[157:158], v[126:127], v[72:73], v[124:125]
	s_waitcnt lgkmcnt(0)
	v_mul_f64 v[124:125], v[136:137], v[132:133]
	v_add_f64 v[50:51], v[50:51], -v[157:158]
	s_delay_alu instid0(VALU_DEP_2) | instskip(SKIP_1) | instid1(VALU_DEP_2)
	;; [unrolled: 20-line block ×7, first 2 shown]
	v_fma_f64 v[126:127], v[134:135], v[72:73], -v[126:127]
	v_mul_f64 v[134:135], v[134:135], v[132:133]
	v_add_f64 v[0:1], v[0:1], -v[126:127]
	s_delay_alu instid0(VALU_DEP_2) | instskip(NEXT) | instid1(VALU_DEP_1)
	v_fma_f64 v[134:135], v[136:137], v[72:73], v[134:135]
	v_add_f64 v[2:3], v[2:3], -v[134:135]
.LBB60_314:
	s_or_b32 exec_lo, exec_lo, s2
	v_lshl_add_u32 v124, v150, 4, v148
	s_barrier
	buffer_gl0_inv
	v_mov_b32_e32 v132, 15
	ds_store_2addr_b64 v124, v[68:69], v[70:71] offset1:1
	s_waitcnt lgkmcnt(0)
	s_barrier
	buffer_gl0_inv
	ds_load_2addr_b64 v[124:127], v148 offset0:30 offset1:31
	s_cmp_lt_i32 s5, 17
	s_cbranch_scc1 .LBB60_317
; %bb.315:
	v_add3_u32 v133, v146, 0, 0x100
	v_mov_b32_e32 v132, 15
	s_mov_b32 s6, 16
	s_set_inst_prefetch_distance 0x1
	.p2align	6
.LBB60_316:                             ; =>This Inner Loop Header: Depth=1
	ds_load_2addr_b64 v[134:137], v133 offset1:1
	s_waitcnt lgkmcnt(1)
	v_cmp_gt_f64_e32 vcc_lo, 0, v[124:125]
	v_xor_b32_e32 v128, 0x80000000, v125
	v_cmp_gt_f64_e64 s2, 0, v[126:127]
	v_xor_b32_e32 v130, 0x80000000, v127
	v_add_nc_u32_e32 v133, 16, v133
	s_waitcnt lgkmcnt(0)
	v_cmp_gt_f64_e64 s3, 0, v[134:135]
	v_mov_b32_e32 v138, v134
	v_dual_mov_b32 v140, v136 :: v_dual_cndmask_b32 v129, v125, v128
	v_xor_b32_e32 v128, 0x80000000, v135
	v_cndmask_b32_e64 v131, v127, v130, s2
	v_xor_b32_e32 v130, 0x80000000, v137
	s_delay_alu instid0(VALU_DEP_3) | instskip(SKIP_2) | instid1(VALU_DEP_2)
	v_cndmask_b32_e64 v139, v135, v128, s3
	v_cmp_gt_f64_e64 s3, 0, v[136:137]
	v_cndmask_b32_e32 v128, v124, v124, vcc_lo
	v_cndmask_b32_e64 v141, v137, v130, s3
	v_cndmask_b32_e64 v130, v126, v126, s2
	s_delay_alu instid0(VALU_DEP_2) | instskip(NEXT) | instid1(VALU_DEP_2)
	v_add_f64 v[138:139], v[138:139], v[140:141]
	v_add_f64 v[128:129], v[128:129], v[130:131]
	s_delay_alu instid0(VALU_DEP_1)
	v_cmp_lt_f64_e32 vcc_lo, v[128:129], v[138:139]
	v_cndmask_b32_e32 v127, v127, v137, vcc_lo
	v_dual_cndmask_b32 v125, v125, v135 :: v_dual_cndmask_b32 v124, v124, v134
	v_cndmask_b32_e32 v126, v126, v136, vcc_lo
	v_cndmask_b32_e64 v132, v132, s6, vcc_lo
	s_add_i32 s6, s6, 1
	s_delay_alu instid0(SALU_CYCLE_1)
	s_cmp_lg_u32 s5, s6
	s_cbranch_scc1 .LBB60_316
.LBB60_317:
	s_set_inst_prefetch_distance 0x2
	s_waitcnt lgkmcnt(0)
	v_cmp_eq_f64_e32 vcc_lo, 0, v[124:125]
	v_cmp_eq_f64_e64 s2, 0, v[126:127]
	s_delay_alu instid0(VALU_DEP_1) | instskip(NEXT) | instid1(SALU_CYCLE_1)
	s_and_b32 s2, vcc_lo, s2
	s_and_saveexec_b32 s3, s2
	s_delay_alu instid0(SALU_CYCLE_1)
	s_xor_b32 s2, exec_lo, s3
; %bb.318:
	v_cmp_ne_u32_e32 vcc_lo, 0, v255
	v_cndmask_b32_e32 v255, 16, v255, vcc_lo
; %bb.319:
	s_and_not1_saveexec_b32 s3, s2
	s_cbranch_execz .LBB60_325
; %bb.320:
	v_cmp_gt_f64_e32 vcc_lo, 0, v[124:125]
	v_cmp_gt_f64_e64 s2, 0, v[126:127]
	v_xor_b32_e32 v128, 0x80000000, v125
	v_xor_b32_e32 v130, 0x80000000, v127
	s_delay_alu instid0(VALU_DEP_2) | instskip(NEXT) | instid1(VALU_DEP_2)
	v_cndmask_b32_e32 v129, v125, v128, vcc_lo
	v_cndmask_b32_e64 v131, v127, v130, s2
	v_cndmask_b32_e32 v128, v124, v124, vcc_lo
	v_cndmask_b32_e64 v130, v126, v126, s2
	s_mov_b32 s2, exec_lo
	s_delay_alu instid0(VALU_DEP_1)
	v_cmpx_ngt_f64_e32 v[128:129], v[130:131]
	s_xor_b32 s2, exec_lo, s2
	s_cbranch_execz .LBB60_322
; %bb.321:
	v_div_scale_f64 v[128:129], null, v[126:127], v[126:127], v[124:125]
	v_div_scale_f64 v[135:136], vcc_lo, v[124:125], v[126:127], v[124:125]
	s_delay_alu instid0(VALU_DEP_2) | instskip(SKIP_2) | instid1(VALU_DEP_1)
	v_rcp_f64_e32 v[130:131], v[128:129]
	s_waitcnt_depctr 0xfff
	v_fma_f64 v[133:134], -v[128:129], v[130:131], 1.0
	v_fma_f64 v[130:131], v[130:131], v[133:134], v[130:131]
	s_delay_alu instid0(VALU_DEP_1) | instskip(NEXT) | instid1(VALU_DEP_1)
	v_fma_f64 v[133:134], -v[128:129], v[130:131], 1.0
	v_fma_f64 v[130:131], v[130:131], v[133:134], v[130:131]
	s_delay_alu instid0(VALU_DEP_1) | instskip(NEXT) | instid1(VALU_DEP_1)
	v_mul_f64 v[133:134], v[135:136], v[130:131]
	v_fma_f64 v[128:129], -v[128:129], v[133:134], v[135:136]
	s_delay_alu instid0(VALU_DEP_1) | instskip(NEXT) | instid1(VALU_DEP_1)
	v_div_fmas_f64 v[128:129], v[128:129], v[130:131], v[133:134]
	v_div_fixup_f64 v[128:129], v[128:129], v[126:127], v[124:125]
	s_delay_alu instid0(VALU_DEP_1) | instskip(NEXT) | instid1(VALU_DEP_1)
	v_fma_f64 v[124:125], v[124:125], v[128:129], v[126:127]
	v_div_scale_f64 v[126:127], null, v[124:125], v[124:125], 1.0
	s_delay_alu instid0(VALU_DEP_1) | instskip(SKIP_2) | instid1(VALU_DEP_1)
	v_rcp_f64_e32 v[130:131], v[126:127]
	s_waitcnt_depctr 0xfff
	v_fma_f64 v[133:134], -v[126:127], v[130:131], 1.0
	v_fma_f64 v[130:131], v[130:131], v[133:134], v[130:131]
	s_delay_alu instid0(VALU_DEP_1) | instskip(NEXT) | instid1(VALU_DEP_1)
	v_fma_f64 v[133:134], -v[126:127], v[130:131], 1.0
	v_fma_f64 v[130:131], v[130:131], v[133:134], v[130:131]
	v_div_scale_f64 v[133:134], vcc_lo, 1.0, v[124:125], 1.0
	s_delay_alu instid0(VALU_DEP_1) | instskip(NEXT) | instid1(VALU_DEP_1)
	v_mul_f64 v[135:136], v[133:134], v[130:131]
	v_fma_f64 v[126:127], -v[126:127], v[135:136], v[133:134]
	s_delay_alu instid0(VALU_DEP_1) | instskip(NEXT) | instid1(VALU_DEP_1)
	v_div_fmas_f64 v[126:127], v[126:127], v[130:131], v[135:136]
	v_div_fixup_f64 v[126:127], v[126:127], v[124:125], 1.0
	s_delay_alu instid0(VALU_DEP_1)
	v_mul_f64 v[124:125], v[128:129], v[126:127]
	v_xor_b32_e32 v127, 0x80000000, v127
.LBB60_322:
	s_and_not1_saveexec_b32 s2, s2
	s_cbranch_execz .LBB60_324
; %bb.323:
	s_delay_alu instid0(VALU_DEP_1) | instskip(SKIP_1) | instid1(VALU_DEP_2)
	v_div_scale_f64 v[128:129], null, v[124:125], v[124:125], v[126:127]
	v_div_scale_f64 v[135:136], vcc_lo, v[126:127], v[124:125], v[126:127]
	v_rcp_f64_e32 v[130:131], v[128:129]
	s_waitcnt_depctr 0xfff
	v_fma_f64 v[133:134], -v[128:129], v[130:131], 1.0
	s_delay_alu instid0(VALU_DEP_1) | instskip(NEXT) | instid1(VALU_DEP_1)
	v_fma_f64 v[130:131], v[130:131], v[133:134], v[130:131]
	v_fma_f64 v[133:134], -v[128:129], v[130:131], 1.0
	s_delay_alu instid0(VALU_DEP_1) | instskip(NEXT) | instid1(VALU_DEP_1)
	v_fma_f64 v[130:131], v[130:131], v[133:134], v[130:131]
	v_mul_f64 v[133:134], v[135:136], v[130:131]
	s_delay_alu instid0(VALU_DEP_1) | instskip(NEXT) | instid1(VALU_DEP_1)
	v_fma_f64 v[128:129], -v[128:129], v[133:134], v[135:136]
	v_div_fmas_f64 v[128:129], v[128:129], v[130:131], v[133:134]
	s_delay_alu instid0(VALU_DEP_1) | instskip(NEXT) | instid1(VALU_DEP_1)
	v_div_fixup_f64 v[128:129], v[128:129], v[124:125], v[126:127]
	v_fma_f64 v[124:125], v[126:127], v[128:129], v[124:125]
	s_delay_alu instid0(VALU_DEP_1) | instskip(NEXT) | instid1(VALU_DEP_1)
	v_div_scale_f64 v[126:127], null, v[124:125], v[124:125], 1.0
	v_rcp_f64_e32 v[130:131], v[126:127]
	s_waitcnt_depctr 0xfff
	v_fma_f64 v[133:134], -v[126:127], v[130:131], 1.0
	s_delay_alu instid0(VALU_DEP_1) | instskip(NEXT) | instid1(VALU_DEP_1)
	v_fma_f64 v[130:131], v[130:131], v[133:134], v[130:131]
	v_fma_f64 v[133:134], -v[126:127], v[130:131], 1.0
	s_delay_alu instid0(VALU_DEP_1) | instskip(SKIP_1) | instid1(VALU_DEP_1)
	v_fma_f64 v[130:131], v[130:131], v[133:134], v[130:131]
	v_div_scale_f64 v[133:134], vcc_lo, 1.0, v[124:125], 1.0
	v_mul_f64 v[135:136], v[133:134], v[130:131]
	s_delay_alu instid0(VALU_DEP_1) | instskip(NEXT) | instid1(VALU_DEP_1)
	v_fma_f64 v[126:127], -v[126:127], v[135:136], v[133:134]
	v_div_fmas_f64 v[126:127], v[126:127], v[130:131], v[135:136]
	s_delay_alu instid0(VALU_DEP_1) | instskip(NEXT) | instid1(VALU_DEP_1)
	v_div_fixup_f64 v[124:125], v[126:127], v[124:125], 1.0
	v_mul_f64 v[126:127], v[128:129], -v[124:125]
.LBB60_324:
	s_or_b32 exec_lo, exec_lo, s2
.LBB60_325:
	s_delay_alu instid0(SALU_CYCLE_1) | instskip(NEXT) | instid1(SALU_CYCLE_1)
	s_or_b32 exec_lo, exec_lo, s3
	s_mov_b32 s2, exec_lo
	v_cmpx_ne_u32_e64 v150, v132
	s_xor_b32 s2, exec_lo, s2
	s_cbranch_execz .LBB60_331
; %bb.326:
	s_mov_b32 s3, exec_lo
	v_cmpx_eq_u32_e32 15, v150
	s_cbranch_execz .LBB60_330
; %bb.327:
	v_cmp_ne_u32_e32 vcc_lo, 15, v132
	s_xor_b32 s6, s4, -1
	s_delay_alu instid0(SALU_CYCLE_1) | instskip(NEXT) | instid1(SALU_CYCLE_1)
	s_and_b32 s7, s6, vcc_lo
	s_and_saveexec_b32 s6, s7
	s_cbranch_execz .LBB60_329
; %bb.328:
	scratch_load_b64 v[40:41], off, off     ; 8-byte Folded Reload
	v_ashrrev_i32_e32 v133, 31, v132
	s_delay_alu instid0(VALU_DEP_1) | instskip(SKIP_1) | instid1(VALU_DEP_1)
	v_lshlrev_b64 v[128:129], 2, v[132:133]
	s_waitcnt vmcnt(0)
	v_add_co_u32 v128, vcc_lo, v40, v128
	s_delay_alu instid0(VALU_DEP_2)
	v_add_co_ci_u32_e32 v129, vcc_lo, v41, v129, vcc_lo
	s_clause 0x1
	flat_load_b32 v130, v[128:129]
	flat_load_b32 v131, v[40:41] offset:60
	s_waitcnt vmcnt(1) lgkmcnt(1)
	flat_store_b32 v[40:41], v130 offset:60
	s_waitcnt vmcnt(0) lgkmcnt(1)
	flat_store_b32 v[128:129], v131
.LBB60_329:
	s_or_b32 exec_lo, exec_lo, s6
	v_mov_b32_e32 v150, v132
	v_mov_b32_e32 v149, v132
.LBB60_330:
	s_or_b32 exec_lo, exec_lo, s3
.LBB60_331:
	s_and_not1_saveexec_b32 s2, s2
	s_cbranch_execz .LBB60_333
; %bb.332:
	v_mov_b32_e32 v150, 15
	ds_store_2addr_b64 v148, v[64:65], v[66:67] offset0:32 offset1:33
	ds_store_2addr_b64 v148, v[60:61], v[62:63] offset0:34 offset1:35
	ds_store_2addr_b64 v148, v[56:57], v[58:59] offset0:36 offset1:37
	ds_store_2addr_b64 v148, v[48:49], v[50:51] offset0:38 offset1:39
	ds_store_2addr_b64 v148, v[44:45], v[46:47] offset0:40 offset1:41
	ds_store_2addr_b64 v148, v[36:37], v[38:39] offset0:42 offset1:43
	ds_store_2addr_b64 v148, v[32:33], v[34:35] offset0:44 offset1:45
	ds_store_2addr_b64 v148, v[28:29], v[30:31] offset0:46 offset1:47
	ds_store_2addr_b64 v148, v[24:25], v[26:27] offset0:48 offset1:49
	ds_store_2addr_b64 v148, v[20:21], v[22:23] offset0:50 offset1:51
	ds_store_2addr_b64 v148, v[16:17], v[18:19] offset0:52 offset1:53
	ds_store_2addr_b64 v148, v[12:13], v[14:15] offset0:54 offset1:55
	ds_store_2addr_b64 v148, v[8:9], v[10:11] offset0:56 offset1:57
	ds_store_2addr_b64 v148, v[4:5], v[6:7] offset0:58 offset1:59
	ds_store_2addr_b64 v148, v[0:1], v[2:3] offset0:60 offset1:61
.LBB60_333:
	s_or_b32 exec_lo, exec_lo, s2
	s_delay_alu instid0(SALU_CYCLE_1)
	s_mov_b32 s2, exec_lo
	s_waitcnt lgkmcnt(0)
	s_waitcnt_vscnt null, 0x0
	s_barrier
	buffer_gl0_inv
	v_cmpx_lt_i32_e32 15, v150
	s_cbranch_execz .LBB60_335
; %bb.334:
	v_mul_f64 v[128:129], v[124:125], v[70:71]
	v_mul_f64 v[70:71], v[126:127], v[70:71]
	s_delay_alu instid0(VALU_DEP_2) | instskip(NEXT) | instid1(VALU_DEP_2)
	v_fma_f64 v[128:129], v[126:127], v[68:69], v[128:129]
	v_fma_f64 v[68:69], v[124:125], v[68:69], -v[70:71]
	ds_load_2addr_b64 v[124:127], v148 offset0:32 offset1:33
	ds_load_2addr_b64 v[132:135], v148 offset0:34 offset1:35
	s_waitcnt lgkmcnt(1)
	v_mul_f64 v[70:71], v[126:127], v[128:129]
	s_delay_alu instid0(VALU_DEP_1) | instskip(SKIP_1) | instid1(VALU_DEP_2)
	v_fma_f64 v[70:71], v[124:125], v[68:69], -v[70:71]
	v_mul_f64 v[124:125], v[124:125], v[128:129]
	v_add_f64 v[64:65], v[64:65], -v[70:71]
	s_delay_alu instid0(VALU_DEP_2) | instskip(SKIP_3) | instid1(VALU_DEP_3)
	v_fma_f64 v[130:131], v[126:127], v[68:69], v[124:125]
	s_waitcnt lgkmcnt(0)
	v_mul_f64 v[124:125], v[134:135], v[128:129]
	v_dual_mov_b32 v70, v128 :: v_dual_mov_b32 v71, v129
	v_add_f64 v[66:67], v[66:67], -v[130:131]
	s_delay_alu instid0(VALU_DEP_3) | instskip(SKIP_1) | instid1(VALU_DEP_2)
	v_fma_f64 v[136:137], v[132:133], v[68:69], -v[124:125]
	v_mul_f64 v[124:125], v[132:133], v[128:129]
	v_add_f64 v[60:61], v[60:61], -v[136:137]
	s_delay_alu instid0(VALU_DEP_2)
	v_fma_f64 v[138:139], v[134:135], v[68:69], v[124:125]
	ds_load_2addr_b64 v[124:127], v148 offset0:36 offset1:37
	ds_load_2addr_b64 v[132:135], v148 offset0:38 offset1:39
	s_waitcnt lgkmcnt(1)
	v_mul_f64 v[140:141], v[126:127], v[128:129]
	v_add_f64 v[62:63], v[62:63], -v[138:139]
	s_delay_alu instid0(VALU_DEP_2) | instskip(SKIP_1) | instid1(VALU_DEP_2)
	v_fma_f64 v[140:141], v[124:125], v[68:69], -v[140:141]
	v_mul_f64 v[124:125], v[124:125], v[128:129]
	v_add_f64 v[56:57], v[56:57], -v[140:141]
	s_delay_alu instid0(VALU_DEP_2) | instskip(SKIP_2) | instid1(VALU_DEP_2)
	v_fma_f64 v[142:143], v[126:127], v[68:69], v[124:125]
	s_waitcnt lgkmcnt(0)
	v_mul_f64 v[124:125], v[134:135], v[128:129]
	v_add_f64 v[58:59], v[58:59], -v[142:143]
	s_delay_alu instid0(VALU_DEP_2) | instskip(SKIP_1) | instid1(VALU_DEP_2)
	v_fma_f64 v[151:152], v[132:133], v[68:69], -v[124:125]
	v_mul_f64 v[124:125], v[132:133], v[128:129]
	v_add_f64 v[48:49], v[48:49], -v[151:152]
	s_delay_alu instid0(VALU_DEP_2)
	v_fma_f64 v[153:154], v[134:135], v[68:69], v[124:125]
	ds_load_2addr_b64 v[124:127], v148 offset0:40 offset1:41
	ds_load_2addr_b64 v[132:135], v148 offset0:42 offset1:43
	s_waitcnt lgkmcnt(1)
	v_mul_f64 v[155:156], v[126:127], v[128:129]
	v_add_f64 v[50:51], v[50:51], -v[153:154]
	s_delay_alu instid0(VALU_DEP_2) | instskip(SKIP_1) | instid1(VALU_DEP_2)
	v_fma_f64 v[155:156], v[124:125], v[68:69], -v[155:156]
	v_mul_f64 v[124:125], v[124:125], v[128:129]
	v_add_f64 v[44:45], v[44:45], -v[155:156]
	s_delay_alu instid0(VALU_DEP_2) | instskip(SKIP_2) | instid1(VALU_DEP_2)
	v_fma_f64 v[157:158], v[126:127], v[68:69], v[124:125]
	s_waitcnt lgkmcnt(0)
	v_mul_f64 v[124:125], v[134:135], v[128:129]
	v_add_f64 v[46:47], v[46:47], -v[157:158]
	s_delay_alu instid0(VALU_DEP_2) | instskip(SKIP_1) | instid1(VALU_DEP_2)
	;; [unrolled: 20-line block ×6, first 2 shown]
	v_fma_f64 v[191:192], v[132:133], v[68:69], -v[124:125]
	v_mul_f64 v[124:125], v[132:133], v[128:129]
	v_add_f64 v[4:5], v[4:5], -v[191:192]
	s_delay_alu instid0(VALU_DEP_2) | instskip(SKIP_4) | instid1(VALU_DEP_2)
	v_fma_f64 v[132:133], v[134:135], v[68:69], v[124:125]
	ds_load_2addr_b64 v[124:127], v148 offset0:60 offset1:61
	s_waitcnt lgkmcnt(0)
	v_mul_f64 v[134:135], v[126:127], v[128:129]
	v_add_f64 v[6:7], v[6:7], -v[132:133]
	v_fma_f64 v[134:135], v[124:125], v[68:69], -v[134:135]
	v_mul_f64 v[124:125], v[124:125], v[128:129]
	s_delay_alu instid0(VALU_DEP_2) | instskip(NEXT) | instid1(VALU_DEP_2)
	v_add_f64 v[0:1], v[0:1], -v[134:135]
	v_fma_f64 v[124:125], v[126:127], v[68:69], v[124:125]
	s_delay_alu instid0(VALU_DEP_1)
	v_add_f64 v[2:3], v[2:3], -v[124:125]
.LBB60_335:
	s_or_b32 exec_lo, exec_lo, s2
	v_lshl_add_u32 v124, v150, 4, v148
	s_barrier
	buffer_gl0_inv
	v_mov_b32_e32 v132, 16
	ds_store_2addr_b64 v124, v[64:65], v[66:67] offset1:1
	s_waitcnt lgkmcnt(0)
	s_barrier
	buffer_gl0_inv
	ds_load_2addr_b64 v[124:127], v148 offset0:32 offset1:33
	s_cmp_lt_i32 s5, 18
	s_cbranch_scc1 .LBB60_338
; %bb.336:
	v_add3_u32 v133, v146, 0, 0x110
	v_mov_b32_e32 v132, 16
	s_mov_b32 s6, 17
	s_set_inst_prefetch_distance 0x1
	.p2align	6
.LBB60_337:                             ; =>This Inner Loop Header: Depth=1
	ds_load_2addr_b64 v[134:137], v133 offset1:1
	s_waitcnt lgkmcnt(1)
	v_cmp_gt_f64_e32 vcc_lo, 0, v[124:125]
	v_xor_b32_e32 v128, 0x80000000, v125
	v_cmp_gt_f64_e64 s2, 0, v[126:127]
	v_xor_b32_e32 v130, 0x80000000, v127
	v_add_nc_u32_e32 v133, 16, v133
	s_waitcnt lgkmcnt(0)
	v_cmp_gt_f64_e64 s3, 0, v[134:135]
	v_mov_b32_e32 v138, v134
	v_dual_mov_b32 v140, v136 :: v_dual_cndmask_b32 v129, v125, v128
	v_xor_b32_e32 v128, 0x80000000, v135
	v_cndmask_b32_e64 v131, v127, v130, s2
	v_xor_b32_e32 v130, 0x80000000, v137
	s_delay_alu instid0(VALU_DEP_3) | instskip(SKIP_2) | instid1(VALU_DEP_2)
	v_cndmask_b32_e64 v139, v135, v128, s3
	v_cmp_gt_f64_e64 s3, 0, v[136:137]
	v_cndmask_b32_e32 v128, v124, v124, vcc_lo
	v_cndmask_b32_e64 v141, v137, v130, s3
	v_cndmask_b32_e64 v130, v126, v126, s2
	s_delay_alu instid0(VALU_DEP_2) | instskip(NEXT) | instid1(VALU_DEP_2)
	v_add_f64 v[138:139], v[138:139], v[140:141]
	v_add_f64 v[128:129], v[128:129], v[130:131]
	s_delay_alu instid0(VALU_DEP_1)
	v_cmp_lt_f64_e32 vcc_lo, v[128:129], v[138:139]
	v_cndmask_b32_e32 v127, v127, v137, vcc_lo
	v_dual_cndmask_b32 v125, v125, v135 :: v_dual_cndmask_b32 v124, v124, v134
	v_cndmask_b32_e32 v126, v126, v136, vcc_lo
	v_cndmask_b32_e64 v132, v132, s6, vcc_lo
	s_add_i32 s6, s6, 1
	s_delay_alu instid0(SALU_CYCLE_1)
	s_cmp_lg_u32 s5, s6
	s_cbranch_scc1 .LBB60_337
.LBB60_338:
	s_set_inst_prefetch_distance 0x2
	s_waitcnt lgkmcnt(0)
	v_cmp_eq_f64_e32 vcc_lo, 0, v[124:125]
	v_cmp_eq_f64_e64 s2, 0, v[126:127]
	s_delay_alu instid0(VALU_DEP_1) | instskip(NEXT) | instid1(SALU_CYCLE_1)
	s_and_b32 s2, vcc_lo, s2
	s_and_saveexec_b32 s3, s2
	s_delay_alu instid0(SALU_CYCLE_1)
	s_xor_b32 s2, exec_lo, s3
; %bb.339:
	v_cmp_ne_u32_e32 vcc_lo, 0, v255
	v_cndmask_b32_e32 v255, 17, v255, vcc_lo
; %bb.340:
	s_and_not1_saveexec_b32 s3, s2
	s_cbranch_execz .LBB60_346
; %bb.341:
	v_cmp_gt_f64_e32 vcc_lo, 0, v[124:125]
	v_cmp_gt_f64_e64 s2, 0, v[126:127]
	v_xor_b32_e32 v128, 0x80000000, v125
	v_xor_b32_e32 v130, 0x80000000, v127
	s_delay_alu instid0(VALU_DEP_2) | instskip(NEXT) | instid1(VALU_DEP_2)
	v_cndmask_b32_e32 v129, v125, v128, vcc_lo
	v_cndmask_b32_e64 v131, v127, v130, s2
	v_cndmask_b32_e32 v128, v124, v124, vcc_lo
	v_cndmask_b32_e64 v130, v126, v126, s2
	s_mov_b32 s2, exec_lo
	s_delay_alu instid0(VALU_DEP_1)
	v_cmpx_ngt_f64_e32 v[128:129], v[130:131]
	s_xor_b32 s2, exec_lo, s2
	s_cbranch_execz .LBB60_343
; %bb.342:
	v_div_scale_f64 v[128:129], null, v[126:127], v[126:127], v[124:125]
	v_div_scale_f64 v[135:136], vcc_lo, v[124:125], v[126:127], v[124:125]
	s_delay_alu instid0(VALU_DEP_2) | instskip(SKIP_2) | instid1(VALU_DEP_1)
	v_rcp_f64_e32 v[130:131], v[128:129]
	s_waitcnt_depctr 0xfff
	v_fma_f64 v[133:134], -v[128:129], v[130:131], 1.0
	v_fma_f64 v[130:131], v[130:131], v[133:134], v[130:131]
	s_delay_alu instid0(VALU_DEP_1) | instskip(NEXT) | instid1(VALU_DEP_1)
	v_fma_f64 v[133:134], -v[128:129], v[130:131], 1.0
	v_fma_f64 v[130:131], v[130:131], v[133:134], v[130:131]
	s_delay_alu instid0(VALU_DEP_1) | instskip(NEXT) | instid1(VALU_DEP_1)
	v_mul_f64 v[133:134], v[135:136], v[130:131]
	v_fma_f64 v[128:129], -v[128:129], v[133:134], v[135:136]
	s_delay_alu instid0(VALU_DEP_1) | instskip(NEXT) | instid1(VALU_DEP_1)
	v_div_fmas_f64 v[128:129], v[128:129], v[130:131], v[133:134]
	v_div_fixup_f64 v[128:129], v[128:129], v[126:127], v[124:125]
	s_delay_alu instid0(VALU_DEP_1) | instskip(NEXT) | instid1(VALU_DEP_1)
	v_fma_f64 v[124:125], v[124:125], v[128:129], v[126:127]
	v_div_scale_f64 v[126:127], null, v[124:125], v[124:125], 1.0
	s_delay_alu instid0(VALU_DEP_1) | instskip(SKIP_2) | instid1(VALU_DEP_1)
	v_rcp_f64_e32 v[130:131], v[126:127]
	s_waitcnt_depctr 0xfff
	v_fma_f64 v[133:134], -v[126:127], v[130:131], 1.0
	v_fma_f64 v[130:131], v[130:131], v[133:134], v[130:131]
	s_delay_alu instid0(VALU_DEP_1) | instskip(NEXT) | instid1(VALU_DEP_1)
	v_fma_f64 v[133:134], -v[126:127], v[130:131], 1.0
	v_fma_f64 v[130:131], v[130:131], v[133:134], v[130:131]
	v_div_scale_f64 v[133:134], vcc_lo, 1.0, v[124:125], 1.0
	s_delay_alu instid0(VALU_DEP_1) | instskip(NEXT) | instid1(VALU_DEP_1)
	v_mul_f64 v[135:136], v[133:134], v[130:131]
	v_fma_f64 v[126:127], -v[126:127], v[135:136], v[133:134]
	s_delay_alu instid0(VALU_DEP_1) | instskip(NEXT) | instid1(VALU_DEP_1)
	v_div_fmas_f64 v[126:127], v[126:127], v[130:131], v[135:136]
	v_div_fixup_f64 v[126:127], v[126:127], v[124:125], 1.0
	s_delay_alu instid0(VALU_DEP_1)
	v_mul_f64 v[124:125], v[128:129], v[126:127]
	v_xor_b32_e32 v127, 0x80000000, v127
.LBB60_343:
	s_and_not1_saveexec_b32 s2, s2
	s_cbranch_execz .LBB60_345
; %bb.344:
	s_delay_alu instid0(VALU_DEP_1) | instskip(SKIP_1) | instid1(VALU_DEP_2)
	v_div_scale_f64 v[128:129], null, v[124:125], v[124:125], v[126:127]
	v_div_scale_f64 v[135:136], vcc_lo, v[126:127], v[124:125], v[126:127]
	v_rcp_f64_e32 v[130:131], v[128:129]
	s_waitcnt_depctr 0xfff
	v_fma_f64 v[133:134], -v[128:129], v[130:131], 1.0
	s_delay_alu instid0(VALU_DEP_1) | instskip(NEXT) | instid1(VALU_DEP_1)
	v_fma_f64 v[130:131], v[130:131], v[133:134], v[130:131]
	v_fma_f64 v[133:134], -v[128:129], v[130:131], 1.0
	s_delay_alu instid0(VALU_DEP_1) | instskip(NEXT) | instid1(VALU_DEP_1)
	v_fma_f64 v[130:131], v[130:131], v[133:134], v[130:131]
	v_mul_f64 v[133:134], v[135:136], v[130:131]
	s_delay_alu instid0(VALU_DEP_1) | instskip(NEXT) | instid1(VALU_DEP_1)
	v_fma_f64 v[128:129], -v[128:129], v[133:134], v[135:136]
	v_div_fmas_f64 v[128:129], v[128:129], v[130:131], v[133:134]
	s_delay_alu instid0(VALU_DEP_1) | instskip(NEXT) | instid1(VALU_DEP_1)
	v_div_fixup_f64 v[128:129], v[128:129], v[124:125], v[126:127]
	v_fma_f64 v[124:125], v[126:127], v[128:129], v[124:125]
	s_delay_alu instid0(VALU_DEP_1) | instskip(NEXT) | instid1(VALU_DEP_1)
	v_div_scale_f64 v[126:127], null, v[124:125], v[124:125], 1.0
	v_rcp_f64_e32 v[130:131], v[126:127]
	s_waitcnt_depctr 0xfff
	v_fma_f64 v[133:134], -v[126:127], v[130:131], 1.0
	s_delay_alu instid0(VALU_DEP_1) | instskip(NEXT) | instid1(VALU_DEP_1)
	v_fma_f64 v[130:131], v[130:131], v[133:134], v[130:131]
	v_fma_f64 v[133:134], -v[126:127], v[130:131], 1.0
	s_delay_alu instid0(VALU_DEP_1) | instskip(SKIP_1) | instid1(VALU_DEP_1)
	v_fma_f64 v[130:131], v[130:131], v[133:134], v[130:131]
	v_div_scale_f64 v[133:134], vcc_lo, 1.0, v[124:125], 1.0
	v_mul_f64 v[135:136], v[133:134], v[130:131]
	s_delay_alu instid0(VALU_DEP_1) | instskip(NEXT) | instid1(VALU_DEP_1)
	v_fma_f64 v[126:127], -v[126:127], v[135:136], v[133:134]
	v_div_fmas_f64 v[126:127], v[126:127], v[130:131], v[135:136]
	s_delay_alu instid0(VALU_DEP_1) | instskip(NEXT) | instid1(VALU_DEP_1)
	v_div_fixup_f64 v[124:125], v[126:127], v[124:125], 1.0
	v_mul_f64 v[126:127], v[128:129], -v[124:125]
.LBB60_345:
	s_or_b32 exec_lo, exec_lo, s2
.LBB60_346:
	s_delay_alu instid0(SALU_CYCLE_1) | instskip(NEXT) | instid1(SALU_CYCLE_1)
	s_or_b32 exec_lo, exec_lo, s3
	s_mov_b32 s2, exec_lo
	v_cmpx_ne_u32_e64 v150, v132
	s_xor_b32 s2, exec_lo, s2
	s_cbranch_execz .LBB60_352
; %bb.347:
	s_mov_b32 s3, exec_lo
	v_cmpx_eq_u32_e32 16, v150
	s_cbranch_execz .LBB60_351
; %bb.348:
	v_cmp_ne_u32_e32 vcc_lo, 16, v132
	s_xor_b32 s6, s4, -1
	s_delay_alu instid0(SALU_CYCLE_1) | instskip(NEXT) | instid1(SALU_CYCLE_1)
	s_and_b32 s7, s6, vcc_lo
	s_and_saveexec_b32 s6, s7
	s_cbranch_execz .LBB60_350
; %bb.349:
	scratch_load_b64 v[40:41], off, off     ; 8-byte Folded Reload
	v_ashrrev_i32_e32 v133, 31, v132
	s_delay_alu instid0(VALU_DEP_1) | instskip(SKIP_1) | instid1(VALU_DEP_1)
	v_lshlrev_b64 v[128:129], 2, v[132:133]
	s_waitcnt vmcnt(0)
	v_add_co_u32 v128, vcc_lo, v40, v128
	s_delay_alu instid0(VALU_DEP_2)
	v_add_co_ci_u32_e32 v129, vcc_lo, v41, v129, vcc_lo
	s_clause 0x1
	flat_load_b32 v130, v[128:129]
	flat_load_b32 v131, v[40:41] offset:64
	s_waitcnt vmcnt(1) lgkmcnt(1)
	flat_store_b32 v[40:41], v130 offset:64
	s_waitcnt vmcnt(0) lgkmcnt(1)
	flat_store_b32 v[128:129], v131
.LBB60_350:
	s_or_b32 exec_lo, exec_lo, s6
	v_mov_b32_e32 v150, v132
	v_mov_b32_e32 v149, v132
.LBB60_351:
	s_or_b32 exec_lo, exec_lo, s3
.LBB60_352:
	s_and_not1_saveexec_b32 s2, s2
	s_cbranch_execz .LBB60_354
; %bb.353:
	v_mov_b32_e32 v150, 16
	ds_store_2addr_b64 v148, v[60:61], v[62:63] offset0:34 offset1:35
	ds_store_2addr_b64 v148, v[56:57], v[58:59] offset0:36 offset1:37
	;; [unrolled: 1-line block ×14, first 2 shown]
.LBB60_354:
	s_or_b32 exec_lo, exec_lo, s2
	s_delay_alu instid0(SALU_CYCLE_1)
	s_mov_b32 s2, exec_lo
	s_waitcnt lgkmcnt(0)
	s_waitcnt_vscnt null, 0x0
	s_barrier
	buffer_gl0_inv
	v_cmpx_lt_i32_e32 16, v150
	s_cbranch_execz .LBB60_356
; %bb.355:
	v_mul_f64 v[128:129], v[124:125], v[66:67]
	v_mul_f64 v[66:67], v[126:127], v[66:67]
	ds_load_2addr_b64 v[132:135], v148 offset0:34 offset1:35
	ds_load_2addr_b64 v[136:139], v148 offset0:36 offset1:37
	;; [unrolled: 1-line block ×14, first 2 shown]
	v_fma_f64 v[126:127], v[126:127], v[64:65], v[128:129]
	v_fma_f64 v[64:65], v[124:125], v[64:65], -v[66:67]
	s_waitcnt lgkmcnt(13)
	s_delay_alu instid0(VALU_DEP_2)
	v_mul_f64 v[66:67], v[134:135], v[126:127]
	v_mul_f64 v[124:125], v[132:133], v[126:127]
	s_waitcnt lgkmcnt(12)
	v_mul_f64 v[128:129], v[138:139], v[126:127]
	v_mul_f64 v[130:131], v[136:137], v[126:127]
	s_waitcnt lgkmcnt(11)
	;; [unrolled: 3-line block ×13, first 2 shown]
	v_mul_f64 v[239:240], v[193:194], v[126:127]
	v_mul_f64 v[241:242], v[191:192], v[126:127]
	v_fma_f64 v[66:67], v[132:133], v[64:65], -v[66:67]
	v_fma_f64 v[124:125], v[134:135], v[64:65], v[124:125]
	v_fma_f64 v[128:129], v[136:137], v[64:65], -v[128:129]
	v_fma_f64 v[130:131], v[138:139], v[64:65], v[130:131]
	;; [unrolled: 2-line block ×14, first 2 shown]
	v_add_f64 v[60:61], v[60:61], -v[66:67]
	v_add_f64 v[62:63], v[62:63], -v[124:125]
	;; [unrolled: 1-line block ×28, first 2 shown]
	v_dual_mov_b32 v66, v126 :: v_dual_mov_b32 v67, v127
.LBB60_356:
	s_or_b32 exec_lo, exec_lo, s2
	v_lshl_add_u32 v124, v150, 4, v148
	s_barrier
	buffer_gl0_inv
	v_mov_b32_e32 v132, 17
	ds_store_2addr_b64 v124, v[60:61], v[62:63] offset1:1
	s_waitcnt lgkmcnt(0)
	s_barrier
	buffer_gl0_inv
	ds_load_2addr_b64 v[124:127], v148 offset0:34 offset1:35
	s_cmp_lt_i32 s5, 19
	s_cbranch_scc1 .LBB60_359
; %bb.357:
	v_add3_u32 v133, v146, 0, 0x120
	v_mov_b32_e32 v132, 17
	s_mov_b32 s6, 18
	s_set_inst_prefetch_distance 0x1
	.p2align	6
.LBB60_358:                             ; =>This Inner Loop Header: Depth=1
	ds_load_2addr_b64 v[134:137], v133 offset1:1
	s_waitcnt lgkmcnt(1)
	v_cmp_gt_f64_e32 vcc_lo, 0, v[124:125]
	v_xor_b32_e32 v128, 0x80000000, v125
	v_cmp_gt_f64_e64 s2, 0, v[126:127]
	v_xor_b32_e32 v130, 0x80000000, v127
	v_add_nc_u32_e32 v133, 16, v133
	s_waitcnt lgkmcnt(0)
	v_cmp_gt_f64_e64 s3, 0, v[134:135]
	v_mov_b32_e32 v138, v134
	v_dual_mov_b32 v140, v136 :: v_dual_cndmask_b32 v129, v125, v128
	v_xor_b32_e32 v128, 0x80000000, v135
	v_cndmask_b32_e64 v131, v127, v130, s2
	v_xor_b32_e32 v130, 0x80000000, v137
	s_delay_alu instid0(VALU_DEP_3) | instskip(SKIP_2) | instid1(VALU_DEP_2)
	v_cndmask_b32_e64 v139, v135, v128, s3
	v_cmp_gt_f64_e64 s3, 0, v[136:137]
	v_cndmask_b32_e32 v128, v124, v124, vcc_lo
	v_cndmask_b32_e64 v141, v137, v130, s3
	v_cndmask_b32_e64 v130, v126, v126, s2
	s_delay_alu instid0(VALU_DEP_2) | instskip(NEXT) | instid1(VALU_DEP_2)
	v_add_f64 v[138:139], v[138:139], v[140:141]
	v_add_f64 v[128:129], v[128:129], v[130:131]
	s_delay_alu instid0(VALU_DEP_1)
	v_cmp_lt_f64_e32 vcc_lo, v[128:129], v[138:139]
	v_cndmask_b32_e32 v127, v127, v137, vcc_lo
	v_dual_cndmask_b32 v125, v125, v135 :: v_dual_cndmask_b32 v124, v124, v134
	v_cndmask_b32_e32 v126, v126, v136, vcc_lo
	v_cndmask_b32_e64 v132, v132, s6, vcc_lo
	s_add_i32 s6, s6, 1
	s_delay_alu instid0(SALU_CYCLE_1)
	s_cmp_lg_u32 s5, s6
	s_cbranch_scc1 .LBB60_358
.LBB60_359:
	s_set_inst_prefetch_distance 0x2
	s_waitcnt lgkmcnt(0)
	v_cmp_eq_f64_e32 vcc_lo, 0, v[124:125]
	v_cmp_eq_f64_e64 s2, 0, v[126:127]
	s_delay_alu instid0(VALU_DEP_1) | instskip(NEXT) | instid1(SALU_CYCLE_1)
	s_and_b32 s2, vcc_lo, s2
	s_and_saveexec_b32 s3, s2
	s_delay_alu instid0(SALU_CYCLE_1)
	s_xor_b32 s2, exec_lo, s3
; %bb.360:
	v_cmp_ne_u32_e32 vcc_lo, 0, v255
	v_cndmask_b32_e32 v255, 18, v255, vcc_lo
; %bb.361:
	s_and_not1_saveexec_b32 s3, s2
	s_cbranch_execz .LBB60_367
; %bb.362:
	v_cmp_gt_f64_e32 vcc_lo, 0, v[124:125]
	v_cmp_gt_f64_e64 s2, 0, v[126:127]
	v_xor_b32_e32 v128, 0x80000000, v125
	v_xor_b32_e32 v130, 0x80000000, v127
	s_delay_alu instid0(VALU_DEP_2) | instskip(NEXT) | instid1(VALU_DEP_2)
	v_cndmask_b32_e32 v129, v125, v128, vcc_lo
	v_cndmask_b32_e64 v131, v127, v130, s2
	v_cndmask_b32_e32 v128, v124, v124, vcc_lo
	v_cndmask_b32_e64 v130, v126, v126, s2
	s_mov_b32 s2, exec_lo
	s_delay_alu instid0(VALU_DEP_1)
	v_cmpx_ngt_f64_e32 v[128:129], v[130:131]
	s_xor_b32 s2, exec_lo, s2
	s_cbranch_execz .LBB60_364
; %bb.363:
	v_div_scale_f64 v[128:129], null, v[126:127], v[126:127], v[124:125]
	v_div_scale_f64 v[135:136], vcc_lo, v[124:125], v[126:127], v[124:125]
	s_delay_alu instid0(VALU_DEP_2) | instskip(SKIP_2) | instid1(VALU_DEP_1)
	v_rcp_f64_e32 v[130:131], v[128:129]
	s_waitcnt_depctr 0xfff
	v_fma_f64 v[133:134], -v[128:129], v[130:131], 1.0
	v_fma_f64 v[130:131], v[130:131], v[133:134], v[130:131]
	s_delay_alu instid0(VALU_DEP_1) | instskip(NEXT) | instid1(VALU_DEP_1)
	v_fma_f64 v[133:134], -v[128:129], v[130:131], 1.0
	v_fma_f64 v[130:131], v[130:131], v[133:134], v[130:131]
	s_delay_alu instid0(VALU_DEP_1) | instskip(NEXT) | instid1(VALU_DEP_1)
	v_mul_f64 v[133:134], v[135:136], v[130:131]
	v_fma_f64 v[128:129], -v[128:129], v[133:134], v[135:136]
	s_delay_alu instid0(VALU_DEP_1) | instskip(NEXT) | instid1(VALU_DEP_1)
	v_div_fmas_f64 v[128:129], v[128:129], v[130:131], v[133:134]
	v_div_fixup_f64 v[128:129], v[128:129], v[126:127], v[124:125]
	s_delay_alu instid0(VALU_DEP_1) | instskip(NEXT) | instid1(VALU_DEP_1)
	v_fma_f64 v[124:125], v[124:125], v[128:129], v[126:127]
	v_div_scale_f64 v[126:127], null, v[124:125], v[124:125], 1.0
	s_delay_alu instid0(VALU_DEP_1) | instskip(SKIP_2) | instid1(VALU_DEP_1)
	v_rcp_f64_e32 v[130:131], v[126:127]
	s_waitcnt_depctr 0xfff
	v_fma_f64 v[133:134], -v[126:127], v[130:131], 1.0
	v_fma_f64 v[130:131], v[130:131], v[133:134], v[130:131]
	s_delay_alu instid0(VALU_DEP_1) | instskip(NEXT) | instid1(VALU_DEP_1)
	v_fma_f64 v[133:134], -v[126:127], v[130:131], 1.0
	v_fma_f64 v[130:131], v[130:131], v[133:134], v[130:131]
	v_div_scale_f64 v[133:134], vcc_lo, 1.0, v[124:125], 1.0
	s_delay_alu instid0(VALU_DEP_1) | instskip(NEXT) | instid1(VALU_DEP_1)
	v_mul_f64 v[135:136], v[133:134], v[130:131]
	v_fma_f64 v[126:127], -v[126:127], v[135:136], v[133:134]
	s_delay_alu instid0(VALU_DEP_1) | instskip(NEXT) | instid1(VALU_DEP_1)
	v_div_fmas_f64 v[126:127], v[126:127], v[130:131], v[135:136]
	v_div_fixup_f64 v[126:127], v[126:127], v[124:125], 1.0
	s_delay_alu instid0(VALU_DEP_1)
	v_mul_f64 v[124:125], v[128:129], v[126:127]
	v_xor_b32_e32 v127, 0x80000000, v127
.LBB60_364:
	s_and_not1_saveexec_b32 s2, s2
	s_cbranch_execz .LBB60_366
; %bb.365:
	s_delay_alu instid0(VALU_DEP_1) | instskip(SKIP_1) | instid1(VALU_DEP_2)
	v_div_scale_f64 v[128:129], null, v[124:125], v[124:125], v[126:127]
	v_div_scale_f64 v[135:136], vcc_lo, v[126:127], v[124:125], v[126:127]
	v_rcp_f64_e32 v[130:131], v[128:129]
	s_waitcnt_depctr 0xfff
	v_fma_f64 v[133:134], -v[128:129], v[130:131], 1.0
	s_delay_alu instid0(VALU_DEP_1) | instskip(NEXT) | instid1(VALU_DEP_1)
	v_fma_f64 v[130:131], v[130:131], v[133:134], v[130:131]
	v_fma_f64 v[133:134], -v[128:129], v[130:131], 1.0
	s_delay_alu instid0(VALU_DEP_1) | instskip(NEXT) | instid1(VALU_DEP_1)
	v_fma_f64 v[130:131], v[130:131], v[133:134], v[130:131]
	v_mul_f64 v[133:134], v[135:136], v[130:131]
	s_delay_alu instid0(VALU_DEP_1) | instskip(NEXT) | instid1(VALU_DEP_1)
	v_fma_f64 v[128:129], -v[128:129], v[133:134], v[135:136]
	v_div_fmas_f64 v[128:129], v[128:129], v[130:131], v[133:134]
	s_delay_alu instid0(VALU_DEP_1) | instskip(NEXT) | instid1(VALU_DEP_1)
	v_div_fixup_f64 v[128:129], v[128:129], v[124:125], v[126:127]
	v_fma_f64 v[124:125], v[126:127], v[128:129], v[124:125]
	s_delay_alu instid0(VALU_DEP_1) | instskip(NEXT) | instid1(VALU_DEP_1)
	v_div_scale_f64 v[126:127], null, v[124:125], v[124:125], 1.0
	v_rcp_f64_e32 v[130:131], v[126:127]
	s_waitcnt_depctr 0xfff
	v_fma_f64 v[133:134], -v[126:127], v[130:131], 1.0
	s_delay_alu instid0(VALU_DEP_1) | instskip(NEXT) | instid1(VALU_DEP_1)
	v_fma_f64 v[130:131], v[130:131], v[133:134], v[130:131]
	v_fma_f64 v[133:134], -v[126:127], v[130:131], 1.0
	s_delay_alu instid0(VALU_DEP_1) | instskip(SKIP_1) | instid1(VALU_DEP_1)
	v_fma_f64 v[130:131], v[130:131], v[133:134], v[130:131]
	v_div_scale_f64 v[133:134], vcc_lo, 1.0, v[124:125], 1.0
	v_mul_f64 v[135:136], v[133:134], v[130:131]
	s_delay_alu instid0(VALU_DEP_1) | instskip(NEXT) | instid1(VALU_DEP_1)
	v_fma_f64 v[126:127], -v[126:127], v[135:136], v[133:134]
	v_div_fmas_f64 v[126:127], v[126:127], v[130:131], v[135:136]
	s_delay_alu instid0(VALU_DEP_1) | instskip(NEXT) | instid1(VALU_DEP_1)
	v_div_fixup_f64 v[124:125], v[126:127], v[124:125], 1.0
	v_mul_f64 v[126:127], v[128:129], -v[124:125]
.LBB60_366:
	s_or_b32 exec_lo, exec_lo, s2
.LBB60_367:
	s_delay_alu instid0(SALU_CYCLE_1) | instskip(NEXT) | instid1(SALU_CYCLE_1)
	s_or_b32 exec_lo, exec_lo, s3
	s_mov_b32 s2, exec_lo
	v_cmpx_ne_u32_e64 v150, v132
	s_xor_b32 s2, exec_lo, s2
	s_cbranch_execz .LBB60_373
; %bb.368:
	s_mov_b32 s3, exec_lo
	v_cmpx_eq_u32_e32 17, v150
	s_cbranch_execz .LBB60_372
; %bb.369:
	v_cmp_ne_u32_e32 vcc_lo, 17, v132
	s_xor_b32 s6, s4, -1
	s_delay_alu instid0(SALU_CYCLE_1) | instskip(NEXT) | instid1(SALU_CYCLE_1)
	s_and_b32 s7, s6, vcc_lo
	s_and_saveexec_b32 s6, s7
	s_cbranch_execz .LBB60_371
; %bb.370:
	scratch_load_b64 v[40:41], off, off     ; 8-byte Folded Reload
	v_ashrrev_i32_e32 v133, 31, v132
	s_delay_alu instid0(VALU_DEP_1) | instskip(SKIP_1) | instid1(VALU_DEP_1)
	v_lshlrev_b64 v[128:129], 2, v[132:133]
	s_waitcnt vmcnt(0)
	v_add_co_u32 v128, vcc_lo, v40, v128
	s_delay_alu instid0(VALU_DEP_2)
	v_add_co_ci_u32_e32 v129, vcc_lo, v41, v129, vcc_lo
	s_clause 0x1
	flat_load_b32 v130, v[128:129]
	flat_load_b32 v131, v[40:41] offset:68
	s_waitcnt vmcnt(1) lgkmcnt(1)
	flat_store_b32 v[40:41], v130 offset:68
	s_waitcnt vmcnt(0) lgkmcnt(1)
	flat_store_b32 v[128:129], v131
.LBB60_371:
	s_or_b32 exec_lo, exec_lo, s6
	v_mov_b32_e32 v150, v132
	v_mov_b32_e32 v149, v132
.LBB60_372:
	s_or_b32 exec_lo, exec_lo, s3
.LBB60_373:
	s_and_not1_saveexec_b32 s2, s2
	s_cbranch_execz .LBB60_375
; %bb.374:
	v_mov_b32_e32 v150, 17
	ds_store_2addr_b64 v148, v[56:57], v[58:59] offset0:36 offset1:37
	ds_store_2addr_b64 v148, v[48:49], v[50:51] offset0:38 offset1:39
	;; [unrolled: 1-line block ×13, first 2 shown]
.LBB60_375:
	s_or_b32 exec_lo, exec_lo, s2
	s_delay_alu instid0(SALU_CYCLE_1)
	s_mov_b32 s2, exec_lo
	s_waitcnt lgkmcnt(0)
	s_waitcnt_vscnt null, 0x0
	s_barrier
	buffer_gl0_inv
	v_cmpx_lt_i32_e32 17, v150
	s_cbranch_execz .LBB60_377
; %bb.376:
	v_mul_f64 v[128:129], v[124:125], v[62:63]
	v_mul_f64 v[62:63], v[126:127], v[62:63]
	ds_load_2addr_b64 v[132:135], v148 offset0:36 offset1:37
	ds_load_2addr_b64 v[136:139], v148 offset0:38 offset1:39
	;; [unrolled: 1-line block ×13, first 2 shown]
	v_fma_f64 v[126:127], v[126:127], v[60:61], v[128:129]
	v_fma_f64 v[60:61], v[124:125], v[60:61], -v[62:63]
	s_waitcnt lgkmcnt(12)
	s_delay_alu instid0(VALU_DEP_2)
	v_mul_f64 v[62:63], v[134:135], v[126:127]
	v_mul_f64 v[124:125], v[132:133], v[126:127]
	s_waitcnt lgkmcnt(11)
	v_mul_f64 v[128:129], v[138:139], v[126:127]
	v_mul_f64 v[130:131], v[136:137], v[126:127]
	s_waitcnt lgkmcnt(10)
	;; [unrolled: 3-line block ×12, first 2 shown]
	v_mul_f64 v[231:232], v[189:190], v[126:127]
	v_mul_f64 v[233:234], v[187:188], v[126:127]
	v_fma_f64 v[62:63], v[132:133], v[60:61], -v[62:63]
	v_fma_f64 v[124:125], v[134:135], v[60:61], v[124:125]
	v_fma_f64 v[128:129], v[136:137], v[60:61], -v[128:129]
	v_fma_f64 v[130:131], v[138:139], v[60:61], v[130:131]
	;; [unrolled: 2-line block ×13, first 2 shown]
	v_add_f64 v[56:57], v[56:57], -v[62:63]
	v_add_f64 v[58:59], v[58:59], -v[124:125]
	;; [unrolled: 1-line block ×26, first 2 shown]
	v_dual_mov_b32 v62, v126 :: v_dual_mov_b32 v63, v127
.LBB60_377:
	s_or_b32 exec_lo, exec_lo, s2
	v_lshl_add_u32 v124, v150, 4, v148
	s_barrier
	buffer_gl0_inv
	v_mov_b32_e32 v132, 18
	ds_store_2addr_b64 v124, v[56:57], v[58:59] offset1:1
	s_waitcnt lgkmcnt(0)
	s_barrier
	buffer_gl0_inv
	ds_load_2addr_b64 v[124:127], v148 offset0:36 offset1:37
	s_cmp_lt_i32 s5, 20
	s_cbranch_scc1 .LBB60_380
; %bb.378:
	v_add3_u32 v133, v146, 0, 0x130
	v_mov_b32_e32 v132, 18
	s_mov_b32 s6, 19
	s_set_inst_prefetch_distance 0x1
	.p2align	6
.LBB60_379:                             ; =>This Inner Loop Header: Depth=1
	ds_load_2addr_b64 v[134:137], v133 offset1:1
	s_waitcnt lgkmcnt(1)
	v_cmp_gt_f64_e32 vcc_lo, 0, v[124:125]
	v_xor_b32_e32 v128, 0x80000000, v125
	v_cmp_gt_f64_e64 s2, 0, v[126:127]
	v_xor_b32_e32 v130, 0x80000000, v127
	v_add_nc_u32_e32 v133, 16, v133
	s_waitcnt lgkmcnt(0)
	v_cmp_gt_f64_e64 s3, 0, v[134:135]
	v_mov_b32_e32 v138, v134
	v_dual_mov_b32 v140, v136 :: v_dual_cndmask_b32 v129, v125, v128
	v_xor_b32_e32 v128, 0x80000000, v135
	v_cndmask_b32_e64 v131, v127, v130, s2
	v_xor_b32_e32 v130, 0x80000000, v137
	s_delay_alu instid0(VALU_DEP_3) | instskip(SKIP_2) | instid1(VALU_DEP_2)
	v_cndmask_b32_e64 v139, v135, v128, s3
	v_cmp_gt_f64_e64 s3, 0, v[136:137]
	v_cndmask_b32_e32 v128, v124, v124, vcc_lo
	v_cndmask_b32_e64 v141, v137, v130, s3
	v_cndmask_b32_e64 v130, v126, v126, s2
	s_delay_alu instid0(VALU_DEP_2) | instskip(NEXT) | instid1(VALU_DEP_2)
	v_add_f64 v[138:139], v[138:139], v[140:141]
	v_add_f64 v[128:129], v[128:129], v[130:131]
	s_delay_alu instid0(VALU_DEP_1)
	v_cmp_lt_f64_e32 vcc_lo, v[128:129], v[138:139]
	v_cndmask_b32_e32 v127, v127, v137, vcc_lo
	v_dual_cndmask_b32 v125, v125, v135 :: v_dual_cndmask_b32 v124, v124, v134
	v_cndmask_b32_e32 v126, v126, v136, vcc_lo
	v_cndmask_b32_e64 v132, v132, s6, vcc_lo
	s_add_i32 s6, s6, 1
	s_delay_alu instid0(SALU_CYCLE_1)
	s_cmp_lg_u32 s5, s6
	s_cbranch_scc1 .LBB60_379
.LBB60_380:
	s_set_inst_prefetch_distance 0x2
	s_waitcnt lgkmcnt(0)
	v_cmp_eq_f64_e32 vcc_lo, 0, v[124:125]
	v_cmp_eq_f64_e64 s2, 0, v[126:127]
	s_delay_alu instid0(VALU_DEP_1) | instskip(NEXT) | instid1(SALU_CYCLE_1)
	s_and_b32 s2, vcc_lo, s2
	s_and_saveexec_b32 s3, s2
	s_delay_alu instid0(SALU_CYCLE_1)
	s_xor_b32 s2, exec_lo, s3
; %bb.381:
	v_cmp_ne_u32_e32 vcc_lo, 0, v255
	v_cndmask_b32_e32 v255, 19, v255, vcc_lo
; %bb.382:
	s_and_not1_saveexec_b32 s3, s2
	s_cbranch_execz .LBB60_388
; %bb.383:
	v_cmp_gt_f64_e32 vcc_lo, 0, v[124:125]
	v_cmp_gt_f64_e64 s2, 0, v[126:127]
	v_xor_b32_e32 v128, 0x80000000, v125
	v_xor_b32_e32 v130, 0x80000000, v127
	s_delay_alu instid0(VALU_DEP_2) | instskip(NEXT) | instid1(VALU_DEP_2)
	v_cndmask_b32_e32 v129, v125, v128, vcc_lo
	v_cndmask_b32_e64 v131, v127, v130, s2
	v_cndmask_b32_e32 v128, v124, v124, vcc_lo
	v_cndmask_b32_e64 v130, v126, v126, s2
	s_mov_b32 s2, exec_lo
	s_delay_alu instid0(VALU_DEP_1)
	v_cmpx_ngt_f64_e32 v[128:129], v[130:131]
	s_xor_b32 s2, exec_lo, s2
	s_cbranch_execz .LBB60_385
; %bb.384:
	v_div_scale_f64 v[128:129], null, v[126:127], v[126:127], v[124:125]
	v_div_scale_f64 v[135:136], vcc_lo, v[124:125], v[126:127], v[124:125]
	s_delay_alu instid0(VALU_DEP_2) | instskip(SKIP_2) | instid1(VALU_DEP_1)
	v_rcp_f64_e32 v[130:131], v[128:129]
	s_waitcnt_depctr 0xfff
	v_fma_f64 v[133:134], -v[128:129], v[130:131], 1.0
	v_fma_f64 v[130:131], v[130:131], v[133:134], v[130:131]
	s_delay_alu instid0(VALU_DEP_1) | instskip(NEXT) | instid1(VALU_DEP_1)
	v_fma_f64 v[133:134], -v[128:129], v[130:131], 1.0
	v_fma_f64 v[130:131], v[130:131], v[133:134], v[130:131]
	s_delay_alu instid0(VALU_DEP_1) | instskip(NEXT) | instid1(VALU_DEP_1)
	v_mul_f64 v[133:134], v[135:136], v[130:131]
	v_fma_f64 v[128:129], -v[128:129], v[133:134], v[135:136]
	s_delay_alu instid0(VALU_DEP_1) | instskip(NEXT) | instid1(VALU_DEP_1)
	v_div_fmas_f64 v[128:129], v[128:129], v[130:131], v[133:134]
	v_div_fixup_f64 v[128:129], v[128:129], v[126:127], v[124:125]
	s_delay_alu instid0(VALU_DEP_1) | instskip(NEXT) | instid1(VALU_DEP_1)
	v_fma_f64 v[124:125], v[124:125], v[128:129], v[126:127]
	v_div_scale_f64 v[126:127], null, v[124:125], v[124:125], 1.0
	s_delay_alu instid0(VALU_DEP_1) | instskip(SKIP_2) | instid1(VALU_DEP_1)
	v_rcp_f64_e32 v[130:131], v[126:127]
	s_waitcnt_depctr 0xfff
	v_fma_f64 v[133:134], -v[126:127], v[130:131], 1.0
	v_fma_f64 v[130:131], v[130:131], v[133:134], v[130:131]
	s_delay_alu instid0(VALU_DEP_1) | instskip(NEXT) | instid1(VALU_DEP_1)
	v_fma_f64 v[133:134], -v[126:127], v[130:131], 1.0
	v_fma_f64 v[130:131], v[130:131], v[133:134], v[130:131]
	v_div_scale_f64 v[133:134], vcc_lo, 1.0, v[124:125], 1.0
	s_delay_alu instid0(VALU_DEP_1) | instskip(NEXT) | instid1(VALU_DEP_1)
	v_mul_f64 v[135:136], v[133:134], v[130:131]
	v_fma_f64 v[126:127], -v[126:127], v[135:136], v[133:134]
	s_delay_alu instid0(VALU_DEP_1) | instskip(NEXT) | instid1(VALU_DEP_1)
	v_div_fmas_f64 v[126:127], v[126:127], v[130:131], v[135:136]
	v_div_fixup_f64 v[126:127], v[126:127], v[124:125], 1.0
	s_delay_alu instid0(VALU_DEP_1)
	v_mul_f64 v[124:125], v[128:129], v[126:127]
	v_xor_b32_e32 v127, 0x80000000, v127
.LBB60_385:
	s_and_not1_saveexec_b32 s2, s2
	s_cbranch_execz .LBB60_387
; %bb.386:
	s_delay_alu instid0(VALU_DEP_1) | instskip(SKIP_1) | instid1(VALU_DEP_2)
	v_div_scale_f64 v[128:129], null, v[124:125], v[124:125], v[126:127]
	v_div_scale_f64 v[135:136], vcc_lo, v[126:127], v[124:125], v[126:127]
	v_rcp_f64_e32 v[130:131], v[128:129]
	s_waitcnt_depctr 0xfff
	v_fma_f64 v[133:134], -v[128:129], v[130:131], 1.0
	s_delay_alu instid0(VALU_DEP_1) | instskip(NEXT) | instid1(VALU_DEP_1)
	v_fma_f64 v[130:131], v[130:131], v[133:134], v[130:131]
	v_fma_f64 v[133:134], -v[128:129], v[130:131], 1.0
	s_delay_alu instid0(VALU_DEP_1) | instskip(NEXT) | instid1(VALU_DEP_1)
	v_fma_f64 v[130:131], v[130:131], v[133:134], v[130:131]
	v_mul_f64 v[133:134], v[135:136], v[130:131]
	s_delay_alu instid0(VALU_DEP_1) | instskip(NEXT) | instid1(VALU_DEP_1)
	v_fma_f64 v[128:129], -v[128:129], v[133:134], v[135:136]
	v_div_fmas_f64 v[128:129], v[128:129], v[130:131], v[133:134]
	s_delay_alu instid0(VALU_DEP_1) | instskip(NEXT) | instid1(VALU_DEP_1)
	v_div_fixup_f64 v[128:129], v[128:129], v[124:125], v[126:127]
	v_fma_f64 v[124:125], v[126:127], v[128:129], v[124:125]
	s_delay_alu instid0(VALU_DEP_1) | instskip(NEXT) | instid1(VALU_DEP_1)
	v_div_scale_f64 v[126:127], null, v[124:125], v[124:125], 1.0
	v_rcp_f64_e32 v[130:131], v[126:127]
	s_waitcnt_depctr 0xfff
	v_fma_f64 v[133:134], -v[126:127], v[130:131], 1.0
	s_delay_alu instid0(VALU_DEP_1) | instskip(NEXT) | instid1(VALU_DEP_1)
	v_fma_f64 v[130:131], v[130:131], v[133:134], v[130:131]
	v_fma_f64 v[133:134], -v[126:127], v[130:131], 1.0
	s_delay_alu instid0(VALU_DEP_1) | instskip(SKIP_1) | instid1(VALU_DEP_1)
	v_fma_f64 v[130:131], v[130:131], v[133:134], v[130:131]
	v_div_scale_f64 v[133:134], vcc_lo, 1.0, v[124:125], 1.0
	v_mul_f64 v[135:136], v[133:134], v[130:131]
	s_delay_alu instid0(VALU_DEP_1) | instskip(NEXT) | instid1(VALU_DEP_1)
	v_fma_f64 v[126:127], -v[126:127], v[135:136], v[133:134]
	v_div_fmas_f64 v[126:127], v[126:127], v[130:131], v[135:136]
	s_delay_alu instid0(VALU_DEP_1) | instskip(NEXT) | instid1(VALU_DEP_1)
	v_div_fixup_f64 v[124:125], v[126:127], v[124:125], 1.0
	v_mul_f64 v[126:127], v[128:129], -v[124:125]
.LBB60_387:
	s_or_b32 exec_lo, exec_lo, s2
.LBB60_388:
	s_delay_alu instid0(SALU_CYCLE_1) | instskip(NEXT) | instid1(SALU_CYCLE_1)
	s_or_b32 exec_lo, exec_lo, s3
	s_mov_b32 s2, exec_lo
	v_cmpx_ne_u32_e64 v150, v132
	s_xor_b32 s2, exec_lo, s2
	s_cbranch_execz .LBB60_394
; %bb.389:
	s_mov_b32 s3, exec_lo
	v_cmpx_eq_u32_e32 18, v150
	s_cbranch_execz .LBB60_393
; %bb.390:
	v_cmp_ne_u32_e32 vcc_lo, 18, v132
	s_xor_b32 s6, s4, -1
	s_delay_alu instid0(SALU_CYCLE_1) | instskip(NEXT) | instid1(SALU_CYCLE_1)
	s_and_b32 s7, s6, vcc_lo
	s_and_saveexec_b32 s6, s7
	s_cbranch_execz .LBB60_392
; %bb.391:
	scratch_load_b64 v[40:41], off, off     ; 8-byte Folded Reload
	v_ashrrev_i32_e32 v133, 31, v132
	s_delay_alu instid0(VALU_DEP_1) | instskip(SKIP_1) | instid1(VALU_DEP_1)
	v_lshlrev_b64 v[128:129], 2, v[132:133]
	s_waitcnt vmcnt(0)
	v_add_co_u32 v128, vcc_lo, v40, v128
	s_delay_alu instid0(VALU_DEP_2)
	v_add_co_ci_u32_e32 v129, vcc_lo, v41, v129, vcc_lo
	s_clause 0x1
	flat_load_b32 v130, v[128:129]
	flat_load_b32 v131, v[40:41] offset:72
	s_waitcnt vmcnt(1) lgkmcnt(1)
	flat_store_b32 v[40:41], v130 offset:72
	s_waitcnt vmcnt(0) lgkmcnt(1)
	flat_store_b32 v[128:129], v131
.LBB60_392:
	s_or_b32 exec_lo, exec_lo, s6
	v_mov_b32_e32 v150, v132
	v_mov_b32_e32 v149, v132
.LBB60_393:
	s_or_b32 exec_lo, exec_lo, s3
.LBB60_394:
	s_and_not1_saveexec_b32 s2, s2
	s_cbranch_execz .LBB60_396
; %bb.395:
	v_mov_b32_e32 v150, 18
	ds_store_2addr_b64 v148, v[48:49], v[50:51] offset0:38 offset1:39
	ds_store_2addr_b64 v148, v[44:45], v[46:47] offset0:40 offset1:41
	;; [unrolled: 1-line block ×12, first 2 shown]
.LBB60_396:
	s_or_b32 exec_lo, exec_lo, s2
	s_delay_alu instid0(SALU_CYCLE_1)
	s_mov_b32 s2, exec_lo
	s_waitcnt lgkmcnt(0)
	s_waitcnt_vscnt null, 0x0
	s_barrier
	buffer_gl0_inv
	v_cmpx_lt_i32_e32 18, v150
	s_cbranch_execz .LBB60_398
; %bb.397:
	v_mul_f64 v[128:129], v[124:125], v[58:59]
	v_mul_f64 v[58:59], v[126:127], v[58:59]
	ds_load_2addr_b64 v[132:135], v148 offset0:38 offset1:39
	ds_load_2addr_b64 v[136:139], v148 offset0:40 offset1:41
	;; [unrolled: 1-line block ×12, first 2 shown]
	v_fma_f64 v[126:127], v[126:127], v[56:57], v[128:129]
	v_fma_f64 v[56:57], v[124:125], v[56:57], -v[58:59]
	s_waitcnt lgkmcnt(11)
	s_delay_alu instid0(VALU_DEP_2)
	v_mul_f64 v[58:59], v[134:135], v[126:127]
	v_mul_f64 v[124:125], v[132:133], v[126:127]
	s_waitcnt lgkmcnt(10)
	v_mul_f64 v[128:129], v[138:139], v[126:127]
	v_mul_f64 v[130:131], v[136:137], v[126:127]
	s_waitcnt lgkmcnt(9)
	;; [unrolled: 3-line block ×11, first 2 shown]
	v_mul_f64 v[223:224], v[185:186], v[126:127]
	v_mul_f64 v[225:226], v[183:184], v[126:127]
	v_fma_f64 v[58:59], v[132:133], v[56:57], -v[58:59]
	v_fma_f64 v[124:125], v[134:135], v[56:57], v[124:125]
	v_fma_f64 v[128:129], v[136:137], v[56:57], -v[128:129]
	v_fma_f64 v[130:131], v[138:139], v[56:57], v[130:131]
	;; [unrolled: 2-line block ×12, first 2 shown]
	v_add_f64 v[48:49], v[48:49], -v[58:59]
	v_add_f64 v[50:51], v[50:51], -v[124:125]
	;; [unrolled: 1-line block ×24, first 2 shown]
	v_dual_mov_b32 v58, v126 :: v_dual_mov_b32 v59, v127
.LBB60_398:
	s_or_b32 exec_lo, exec_lo, s2
	v_lshl_add_u32 v124, v150, 4, v148
	s_barrier
	buffer_gl0_inv
	v_mov_b32_e32 v132, 19
	ds_store_2addr_b64 v124, v[48:49], v[50:51] offset1:1
	s_waitcnt lgkmcnt(0)
	s_barrier
	buffer_gl0_inv
	ds_load_2addr_b64 v[124:127], v148 offset0:38 offset1:39
	s_cmp_lt_i32 s5, 21
	s_cbranch_scc1 .LBB60_401
; %bb.399:
	v_add3_u32 v133, v146, 0, 0x140
	v_mov_b32_e32 v132, 19
	s_mov_b32 s6, 20
	s_set_inst_prefetch_distance 0x1
	.p2align	6
.LBB60_400:                             ; =>This Inner Loop Header: Depth=1
	ds_load_2addr_b64 v[134:137], v133 offset1:1
	s_waitcnt lgkmcnt(1)
	v_cmp_gt_f64_e32 vcc_lo, 0, v[124:125]
	v_xor_b32_e32 v128, 0x80000000, v125
	v_cmp_gt_f64_e64 s2, 0, v[126:127]
	v_xor_b32_e32 v130, 0x80000000, v127
	v_add_nc_u32_e32 v133, 16, v133
	s_waitcnt lgkmcnt(0)
	v_cmp_gt_f64_e64 s3, 0, v[134:135]
	v_mov_b32_e32 v138, v134
	v_dual_mov_b32 v140, v136 :: v_dual_cndmask_b32 v129, v125, v128
	v_xor_b32_e32 v128, 0x80000000, v135
	v_cndmask_b32_e64 v131, v127, v130, s2
	v_xor_b32_e32 v130, 0x80000000, v137
	s_delay_alu instid0(VALU_DEP_3) | instskip(SKIP_2) | instid1(VALU_DEP_2)
	v_cndmask_b32_e64 v139, v135, v128, s3
	v_cmp_gt_f64_e64 s3, 0, v[136:137]
	v_cndmask_b32_e32 v128, v124, v124, vcc_lo
	v_cndmask_b32_e64 v141, v137, v130, s3
	v_cndmask_b32_e64 v130, v126, v126, s2
	s_delay_alu instid0(VALU_DEP_2) | instskip(NEXT) | instid1(VALU_DEP_2)
	v_add_f64 v[138:139], v[138:139], v[140:141]
	v_add_f64 v[128:129], v[128:129], v[130:131]
	s_delay_alu instid0(VALU_DEP_1)
	v_cmp_lt_f64_e32 vcc_lo, v[128:129], v[138:139]
	v_cndmask_b32_e32 v127, v127, v137, vcc_lo
	v_dual_cndmask_b32 v125, v125, v135 :: v_dual_cndmask_b32 v124, v124, v134
	v_cndmask_b32_e32 v126, v126, v136, vcc_lo
	v_cndmask_b32_e64 v132, v132, s6, vcc_lo
	s_add_i32 s6, s6, 1
	s_delay_alu instid0(SALU_CYCLE_1)
	s_cmp_lg_u32 s5, s6
	s_cbranch_scc1 .LBB60_400
.LBB60_401:
	s_set_inst_prefetch_distance 0x2
	s_waitcnt lgkmcnt(0)
	v_cmp_eq_f64_e32 vcc_lo, 0, v[124:125]
	v_cmp_eq_f64_e64 s2, 0, v[126:127]
	s_delay_alu instid0(VALU_DEP_1) | instskip(NEXT) | instid1(SALU_CYCLE_1)
	s_and_b32 s2, vcc_lo, s2
	s_and_saveexec_b32 s3, s2
	s_delay_alu instid0(SALU_CYCLE_1)
	s_xor_b32 s2, exec_lo, s3
; %bb.402:
	v_cmp_ne_u32_e32 vcc_lo, 0, v255
	v_cndmask_b32_e32 v255, 20, v255, vcc_lo
; %bb.403:
	s_and_not1_saveexec_b32 s3, s2
	s_cbranch_execz .LBB60_409
; %bb.404:
	v_cmp_gt_f64_e32 vcc_lo, 0, v[124:125]
	v_cmp_gt_f64_e64 s2, 0, v[126:127]
	v_xor_b32_e32 v128, 0x80000000, v125
	v_xor_b32_e32 v130, 0x80000000, v127
	s_delay_alu instid0(VALU_DEP_2) | instskip(NEXT) | instid1(VALU_DEP_2)
	v_cndmask_b32_e32 v129, v125, v128, vcc_lo
	v_cndmask_b32_e64 v131, v127, v130, s2
	v_cndmask_b32_e32 v128, v124, v124, vcc_lo
	v_cndmask_b32_e64 v130, v126, v126, s2
	s_mov_b32 s2, exec_lo
	s_delay_alu instid0(VALU_DEP_1)
	v_cmpx_ngt_f64_e32 v[128:129], v[130:131]
	s_xor_b32 s2, exec_lo, s2
	s_cbranch_execz .LBB60_406
; %bb.405:
	v_div_scale_f64 v[128:129], null, v[126:127], v[126:127], v[124:125]
	v_div_scale_f64 v[135:136], vcc_lo, v[124:125], v[126:127], v[124:125]
	s_delay_alu instid0(VALU_DEP_2) | instskip(SKIP_2) | instid1(VALU_DEP_1)
	v_rcp_f64_e32 v[130:131], v[128:129]
	s_waitcnt_depctr 0xfff
	v_fma_f64 v[133:134], -v[128:129], v[130:131], 1.0
	v_fma_f64 v[130:131], v[130:131], v[133:134], v[130:131]
	s_delay_alu instid0(VALU_DEP_1) | instskip(NEXT) | instid1(VALU_DEP_1)
	v_fma_f64 v[133:134], -v[128:129], v[130:131], 1.0
	v_fma_f64 v[130:131], v[130:131], v[133:134], v[130:131]
	s_delay_alu instid0(VALU_DEP_1) | instskip(NEXT) | instid1(VALU_DEP_1)
	v_mul_f64 v[133:134], v[135:136], v[130:131]
	v_fma_f64 v[128:129], -v[128:129], v[133:134], v[135:136]
	s_delay_alu instid0(VALU_DEP_1) | instskip(NEXT) | instid1(VALU_DEP_1)
	v_div_fmas_f64 v[128:129], v[128:129], v[130:131], v[133:134]
	v_div_fixup_f64 v[128:129], v[128:129], v[126:127], v[124:125]
	s_delay_alu instid0(VALU_DEP_1) | instskip(NEXT) | instid1(VALU_DEP_1)
	v_fma_f64 v[124:125], v[124:125], v[128:129], v[126:127]
	v_div_scale_f64 v[126:127], null, v[124:125], v[124:125], 1.0
	s_delay_alu instid0(VALU_DEP_1) | instskip(SKIP_2) | instid1(VALU_DEP_1)
	v_rcp_f64_e32 v[130:131], v[126:127]
	s_waitcnt_depctr 0xfff
	v_fma_f64 v[133:134], -v[126:127], v[130:131], 1.0
	v_fma_f64 v[130:131], v[130:131], v[133:134], v[130:131]
	s_delay_alu instid0(VALU_DEP_1) | instskip(NEXT) | instid1(VALU_DEP_1)
	v_fma_f64 v[133:134], -v[126:127], v[130:131], 1.0
	v_fma_f64 v[130:131], v[130:131], v[133:134], v[130:131]
	v_div_scale_f64 v[133:134], vcc_lo, 1.0, v[124:125], 1.0
	s_delay_alu instid0(VALU_DEP_1) | instskip(NEXT) | instid1(VALU_DEP_1)
	v_mul_f64 v[135:136], v[133:134], v[130:131]
	v_fma_f64 v[126:127], -v[126:127], v[135:136], v[133:134]
	s_delay_alu instid0(VALU_DEP_1) | instskip(NEXT) | instid1(VALU_DEP_1)
	v_div_fmas_f64 v[126:127], v[126:127], v[130:131], v[135:136]
	v_div_fixup_f64 v[126:127], v[126:127], v[124:125], 1.0
	s_delay_alu instid0(VALU_DEP_1)
	v_mul_f64 v[124:125], v[128:129], v[126:127]
	v_xor_b32_e32 v127, 0x80000000, v127
.LBB60_406:
	s_and_not1_saveexec_b32 s2, s2
	s_cbranch_execz .LBB60_408
; %bb.407:
	s_delay_alu instid0(VALU_DEP_1) | instskip(SKIP_1) | instid1(VALU_DEP_2)
	v_div_scale_f64 v[128:129], null, v[124:125], v[124:125], v[126:127]
	v_div_scale_f64 v[135:136], vcc_lo, v[126:127], v[124:125], v[126:127]
	v_rcp_f64_e32 v[130:131], v[128:129]
	s_waitcnt_depctr 0xfff
	v_fma_f64 v[133:134], -v[128:129], v[130:131], 1.0
	s_delay_alu instid0(VALU_DEP_1) | instskip(NEXT) | instid1(VALU_DEP_1)
	v_fma_f64 v[130:131], v[130:131], v[133:134], v[130:131]
	v_fma_f64 v[133:134], -v[128:129], v[130:131], 1.0
	s_delay_alu instid0(VALU_DEP_1) | instskip(NEXT) | instid1(VALU_DEP_1)
	v_fma_f64 v[130:131], v[130:131], v[133:134], v[130:131]
	v_mul_f64 v[133:134], v[135:136], v[130:131]
	s_delay_alu instid0(VALU_DEP_1) | instskip(NEXT) | instid1(VALU_DEP_1)
	v_fma_f64 v[128:129], -v[128:129], v[133:134], v[135:136]
	v_div_fmas_f64 v[128:129], v[128:129], v[130:131], v[133:134]
	s_delay_alu instid0(VALU_DEP_1) | instskip(NEXT) | instid1(VALU_DEP_1)
	v_div_fixup_f64 v[128:129], v[128:129], v[124:125], v[126:127]
	v_fma_f64 v[124:125], v[126:127], v[128:129], v[124:125]
	s_delay_alu instid0(VALU_DEP_1) | instskip(NEXT) | instid1(VALU_DEP_1)
	v_div_scale_f64 v[126:127], null, v[124:125], v[124:125], 1.0
	v_rcp_f64_e32 v[130:131], v[126:127]
	s_waitcnt_depctr 0xfff
	v_fma_f64 v[133:134], -v[126:127], v[130:131], 1.0
	s_delay_alu instid0(VALU_DEP_1) | instskip(NEXT) | instid1(VALU_DEP_1)
	v_fma_f64 v[130:131], v[130:131], v[133:134], v[130:131]
	v_fma_f64 v[133:134], -v[126:127], v[130:131], 1.0
	s_delay_alu instid0(VALU_DEP_1) | instskip(SKIP_1) | instid1(VALU_DEP_1)
	v_fma_f64 v[130:131], v[130:131], v[133:134], v[130:131]
	v_div_scale_f64 v[133:134], vcc_lo, 1.0, v[124:125], 1.0
	v_mul_f64 v[135:136], v[133:134], v[130:131]
	s_delay_alu instid0(VALU_DEP_1) | instskip(NEXT) | instid1(VALU_DEP_1)
	v_fma_f64 v[126:127], -v[126:127], v[135:136], v[133:134]
	v_div_fmas_f64 v[126:127], v[126:127], v[130:131], v[135:136]
	s_delay_alu instid0(VALU_DEP_1) | instskip(NEXT) | instid1(VALU_DEP_1)
	v_div_fixup_f64 v[124:125], v[126:127], v[124:125], 1.0
	v_mul_f64 v[126:127], v[128:129], -v[124:125]
.LBB60_408:
	s_or_b32 exec_lo, exec_lo, s2
.LBB60_409:
	s_delay_alu instid0(SALU_CYCLE_1) | instskip(NEXT) | instid1(SALU_CYCLE_1)
	s_or_b32 exec_lo, exec_lo, s3
	s_mov_b32 s2, exec_lo
	v_cmpx_ne_u32_e64 v150, v132
	s_xor_b32 s2, exec_lo, s2
	s_cbranch_execz .LBB60_415
; %bb.410:
	s_mov_b32 s3, exec_lo
	v_cmpx_eq_u32_e32 19, v150
	s_cbranch_execz .LBB60_414
; %bb.411:
	v_cmp_ne_u32_e32 vcc_lo, 19, v132
	s_xor_b32 s6, s4, -1
	s_delay_alu instid0(SALU_CYCLE_1) | instskip(NEXT) | instid1(SALU_CYCLE_1)
	s_and_b32 s7, s6, vcc_lo
	s_and_saveexec_b32 s6, s7
	s_cbranch_execz .LBB60_413
; %bb.412:
	scratch_load_b64 v[40:41], off, off     ; 8-byte Folded Reload
	v_ashrrev_i32_e32 v133, 31, v132
	s_delay_alu instid0(VALU_DEP_1) | instskip(SKIP_1) | instid1(VALU_DEP_1)
	v_lshlrev_b64 v[128:129], 2, v[132:133]
	s_waitcnt vmcnt(0)
	v_add_co_u32 v128, vcc_lo, v40, v128
	s_delay_alu instid0(VALU_DEP_2)
	v_add_co_ci_u32_e32 v129, vcc_lo, v41, v129, vcc_lo
	s_clause 0x1
	flat_load_b32 v130, v[128:129]
	flat_load_b32 v131, v[40:41] offset:76
	s_waitcnt vmcnt(1) lgkmcnt(1)
	flat_store_b32 v[40:41], v130 offset:76
	s_waitcnt vmcnt(0) lgkmcnt(1)
	flat_store_b32 v[128:129], v131
.LBB60_413:
	s_or_b32 exec_lo, exec_lo, s6
	v_mov_b32_e32 v150, v132
	v_mov_b32_e32 v149, v132
.LBB60_414:
	s_or_b32 exec_lo, exec_lo, s3
.LBB60_415:
	s_and_not1_saveexec_b32 s2, s2
	s_cbranch_execz .LBB60_417
; %bb.416:
	v_mov_b32_e32 v150, 19
	ds_store_2addr_b64 v148, v[44:45], v[46:47] offset0:40 offset1:41
	ds_store_2addr_b64 v148, v[36:37], v[38:39] offset0:42 offset1:43
	;; [unrolled: 1-line block ×11, first 2 shown]
.LBB60_417:
	s_or_b32 exec_lo, exec_lo, s2
	s_delay_alu instid0(SALU_CYCLE_1)
	s_mov_b32 s2, exec_lo
	s_waitcnt lgkmcnt(0)
	s_waitcnt_vscnt null, 0x0
	s_barrier
	buffer_gl0_inv
	v_cmpx_lt_i32_e32 19, v150
	s_cbranch_execz .LBB60_419
; %bb.418:
	v_mul_f64 v[128:129], v[124:125], v[50:51]
	v_mul_f64 v[50:51], v[126:127], v[50:51]
	ds_load_2addr_b64 v[132:135], v148 offset0:40 offset1:41
	ds_load_2addr_b64 v[136:139], v148 offset0:42 offset1:43
	;; [unrolled: 1-line block ×11, first 2 shown]
	v_fma_f64 v[126:127], v[126:127], v[48:49], v[128:129]
	v_fma_f64 v[48:49], v[124:125], v[48:49], -v[50:51]
	s_waitcnt lgkmcnt(10)
	s_delay_alu instid0(VALU_DEP_2)
	v_mul_f64 v[50:51], v[134:135], v[126:127]
	v_mul_f64 v[124:125], v[132:133], v[126:127]
	s_waitcnt lgkmcnt(9)
	v_mul_f64 v[128:129], v[138:139], v[126:127]
	v_mul_f64 v[130:131], v[136:137], v[126:127]
	s_waitcnt lgkmcnt(8)
	;; [unrolled: 3-line block ×10, first 2 shown]
	v_mul_f64 v[215:216], v[181:182], v[126:127]
	v_mul_f64 v[217:218], v[179:180], v[126:127]
	v_fma_f64 v[50:51], v[132:133], v[48:49], -v[50:51]
	v_fma_f64 v[124:125], v[134:135], v[48:49], v[124:125]
	v_fma_f64 v[128:129], v[136:137], v[48:49], -v[128:129]
	v_fma_f64 v[130:131], v[138:139], v[48:49], v[130:131]
	;; [unrolled: 2-line block ×11, first 2 shown]
	v_add_f64 v[44:45], v[44:45], -v[50:51]
	v_add_f64 v[46:47], v[46:47], -v[124:125]
	;; [unrolled: 1-line block ×22, first 2 shown]
	v_dual_mov_b32 v50, v126 :: v_dual_mov_b32 v51, v127
.LBB60_419:
	s_or_b32 exec_lo, exec_lo, s2
	v_lshl_add_u32 v124, v150, 4, v148
	s_barrier
	buffer_gl0_inv
	v_mov_b32_e32 v132, 20
	ds_store_2addr_b64 v124, v[44:45], v[46:47] offset1:1
	s_waitcnt lgkmcnt(0)
	s_barrier
	buffer_gl0_inv
	ds_load_2addr_b64 v[124:127], v148 offset0:40 offset1:41
	s_cmp_lt_i32 s5, 22
	s_cbranch_scc1 .LBB60_422
; %bb.420:
	v_add3_u32 v133, v146, 0, 0x150
	v_mov_b32_e32 v132, 20
	s_mov_b32 s6, 21
	s_set_inst_prefetch_distance 0x1
	.p2align	6
.LBB60_421:                             ; =>This Inner Loop Header: Depth=1
	ds_load_2addr_b64 v[134:137], v133 offset1:1
	s_waitcnt lgkmcnt(1)
	v_cmp_gt_f64_e32 vcc_lo, 0, v[124:125]
	v_xor_b32_e32 v128, 0x80000000, v125
	v_cmp_gt_f64_e64 s2, 0, v[126:127]
	v_xor_b32_e32 v130, 0x80000000, v127
	v_add_nc_u32_e32 v133, 16, v133
	s_waitcnt lgkmcnt(0)
	v_cmp_gt_f64_e64 s3, 0, v[134:135]
	v_mov_b32_e32 v138, v134
	v_dual_mov_b32 v140, v136 :: v_dual_cndmask_b32 v129, v125, v128
	v_xor_b32_e32 v128, 0x80000000, v135
	v_cndmask_b32_e64 v131, v127, v130, s2
	v_xor_b32_e32 v130, 0x80000000, v137
	s_delay_alu instid0(VALU_DEP_3) | instskip(SKIP_2) | instid1(VALU_DEP_2)
	v_cndmask_b32_e64 v139, v135, v128, s3
	v_cmp_gt_f64_e64 s3, 0, v[136:137]
	v_cndmask_b32_e32 v128, v124, v124, vcc_lo
	v_cndmask_b32_e64 v141, v137, v130, s3
	v_cndmask_b32_e64 v130, v126, v126, s2
	s_delay_alu instid0(VALU_DEP_2) | instskip(NEXT) | instid1(VALU_DEP_2)
	v_add_f64 v[138:139], v[138:139], v[140:141]
	v_add_f64 v[128:129], v[128:129], v[130:131]
	s_delay_alu instid0(VALU_DEP_1)
	v_cmp_lt_f64_e32 vcc_lo, v[128:129], v[138:139]
	v_cndmask_b32_e32 v127, v127, v137, vcc_lo
	v_dual_cndmask_b32 v125, v125, v135 :: v_dual_cndmask_b32 v124, v124, v134
	v_cndmask_b32_e32 v126, v126, v136, vcc_lo
	v_cndmask_b32_e64 v132, v132, s6, vcc_lo
	s_add_i32 s6, s6, 1
	s_delay_alu instid0(SALU_CYCLE_1)
	s_cmp_lg_u32 s5, s6
	s_cbranch_scc1 .LBB60_421
.LBB60_422:
	s_set_inst_prefetch_distance 0x2
	s_waitcnt lgkmcnt(0)
	v_cmp_eq_f64_e32 vcc_lo, 0, v[124:125]
	v_cmp_eq_f64_e64 s2, 0, v[126:127]
	s_delay_alu instid0(VALU_DEP_1) | instskip(NEXT) | instid1(SALU_CYCLE_1)
	s_and_b32 s2, vcc_lo, s2
	s_and_saveexec_b32 s3, s2
	s_delay_alu instid0(SALU_CYCLE_1)
	s_xor_b32 s2, exec_lo, s3
; %bb.423:
	v_cmp_ne_u32_e32 vcc_lo, 0, v255
	v_cndmask_b32_e32 v255, 21, v255, vcc_lo
; %bb.424:
	s_and_not1_saveexec_b32 s3, s2
	s_cbranch_execz .LBB60_430
; %bb.425:
	v_cmp_gt_f64_e32 vcc_lo, 0, v[124:125]
	v_cmp_gt_f64_e64 s2, 0, v[126:127]
	v_xor_b32_e32 v128, 0x80000000, v125
	v_xor_b32_e32 v130, 0x80000000, v127
	s_delay_alu instid0(VALU_DEP_2) | instskip(NEXT) | instid1(VALU_DEP_2)
	v_cndmask_b32_e32 v129, v125, v128, vcc_lo
	v_cndmask_b32_e64 v131, v127, v130, s2
	v_cndmask_b32_e32 v128, v124, v124, vcc_lo
	v_cndmask_b32_e64 v130, v126, v126, s2
	s_mov_b32 s2, exec_lo
	s_delay_alu instid0(VALU_DEP_1)
	v_cmpx_ngt_f64_e32 v[128:129], v[130:131]
	s_xor_b32 s2, exec_lo, s2
	s_cbranch_execz .LBB60_427
; %bb.426:
	v_div_scale_f64 v[128:129], null, v[126:127], v[126:127], v[124:125]
	v_div_scale_f64 v[135:136], vcc_lo, v[124:125], v[126:127], v[124:125]
	s_delay_alu instid0(VALU_DEP_2) | instskip(SKIP_2) | instid1(VALU_DEP_1)
	v_rcp_f64_e32 v[130:131], v[128:129]
	s_waitcnt_depctr 0xfff
	v_fma_f64 v[133:134], -v[128:129], v[130:131], 1.0
	v_fma_f64 v[130:131], v[130:131], v[133:134], v[130:131]
	s_delay_alu instid0(VALU_DEP_1) | instskip(NEXT) | instid1(VALU_DEP_1)
	v_fma_f64 v[133:134], -v[128:129], v[130:131], 1.0
	v_fma_f64 v[130:131], v[130:131], v[133:134], v[130:131]
	s_delay_alu instid0(VALU_DEP_1) | instskip(NEXT) | instid1(VALU_DEP_1)
	v_mul_f64 v[133:134], v[135:136], v[130:131]
	v_fma_f64 v[128:129], -v[128:129], v[133:134], v[135:136]
	s_delay_alu instid0(VALU_DEP_1) | instskip(NEXT) | instid1(VALU_DEP_1)
	v_div_fmas_f64 v[128:129], v[128:129], v[130:131], v[133:134]
	v_div_fixup_f64 v[128:129], v[128:129], v[126:127], v[124:125]
	s_delay_alu instid0(VALU_DEP_1) | instskip(NEXT) | instid1(VALU_DEP_1)
	v_fma_f64 v[124:125], v[124:125], v[128:129], v[126:127]
	v_div_scale_f64 v[126:127], null, v[124:125], v[124:125], 1.0
	s_delay_alu instid0(VALU_DEP_1) | instskip(SKIP_2) | instid1(VALU_DEP_1)
	v_rcp_f64_e32 v[130:131], v[126:127]
	s_waitcnt_depctr 0xfff
	v_fma_f64 v[133:134], -v[126:127], v[130:131], 1.0
	v_fma_f64 v[130:131], v[130:131], v[133:134], v[130:131]
	s_delay_alu instid0(VALU_DEP_1) | instskip(NEXT) | instid1(VALU_DEP_1)
	v_fma_f64 v[133:134], -v[126:127], v[130:131], 1.0
	v_fma_f64 v[130:131], v[130:131], v[133:134], v[130:131]
	v_div_scale_f64 v[133:134], vcc_lo, 1.0, v[124:125], 1.0
	s_delay_alu instid0(VALU_DEP_1) | instskip(NEXT) | instid1(VALU_DEP_1)
	v_mul_f64 v[135:136], v[133:134], v[130:131]
	v_fma_f64 v[126:127], -v[126:127], v[135:136], v[133:134]
	s_delay_alu instid0(VALU_DEP_1) | instskip(NEXT) | instid1(VALU_DEP_1)
	v_div_fmas_f64 v[126:127], v[126:127], v[130:131], v[135:136]
	v_div_fixup_f64 v[126:127], v[126:127], v[124:125], 1.0
	s_delay_alu instid0(VALU_DEP_1)
	v_mul_f64 v[124:125], v[128:129], v[126:127]
	v_xor_b32_e32 v127, 0x80000000, v127
.LBB60_427:
	s_and_not1_saveexec_b32 s2, s2
	s_cbranch_execz .LBB60_429
; %bb.428:
	s_delay_alu instid0(VALU_DEP_1) | instskip(SKIP_1) | instid1(VALU_DEP_2)
	v_div_scale_f64 v[128:129], null, v[124:125], v[124:125], v[126:127]
	v_div_scale_f64 v[135:136], vcc_lo, v[126:127], v[124:125], v[126:127]
	v_rcp_f64_e32 v[130:131], v[128:129]
	s_waitcnt_depctr 0xfff
	v_fma_f64 v[133:134], -v[128:129], v[130:131], 1.0
	s_delay_alu instid0(VALU_DEP_1) | instskip(NEXT) | instid1(VALU_DEP_1)
	v_fma_f64 v[130:131], v[130:131], v[133:134], v[130:131]
	v_fma_f64 v[133:134], -v[128:129], v[130:131], 1.0
	s_delay_alu instid0(VALU_DEP_1) | instskip(NEXT) | instid1(VALU_DEP_1)
	v_fma_f64 v[130:131], v[130:131], v[133:134], v[130:131]
	v_mul_f64 v[133:134], v[135:136], v[130:131]
	s_delay_alu instid0(VALU_DEP_1) | instskip(NEXT) | instid1(VALU_DEP_1)
	v_fma_f64 v[128:129], -v[128:129], v[133:134], v[135:136]
	v_div_fmas_f64 v[128:129], v[128:129], v[130:131], v[133:134]
	s_delay_alu instid0(VALU_DEP_1) | instskip(NEXT) | instid1(VALU_DEP_1)
	v_div_fixup_f64 v[128:129], v[128:129], v[124:125], v[126:127]
	v_fma_f64 v[124:125], v[126:127], v[128:129], v[124:125]
	s_delay_alu instid0(VALU_DEP_1) | instskip(NEXT) | instid1(VALU_DEP_1)
	v_div_scale_f64 v[126:127], null, v[124:125], v[124:125], 1.0
	v_rcp_f64_e32 v[130:131], v[126:127]
	s_waitcnt_depctr 0xfff
	v_fma_f64 v[133:134], -v[126:127], v[130:131], 1.0
	s_delay_alu instid0(VALU_DEP_1) | instskip(NEXT) | instid1(VALU_DEP_1)
	v_fma_f64 v[130:131], v[130:131], v[133:134], v[130:131]
	v_fma_f64 v[133:134], -v[126:127], v[130:131], 1.0
	s_delay_alu instid0(VALU_DEP_1) | instskip(SKIP_1) | instid1(VALU_DEP_1)
	v_fma_f64 v[130:131], v[130:131], v[133:134], v[130:131]
	v_div_scale_f64 v[133:134], vcc_lo, 1.0, v[124:125], 1.0
	v_mul_f64 v[135:136], v[133:134], v[130:131]
	s_delay_alu instid0(VALU_DEP_1) | instskip(NEXT) | instid1(VALU_DEP_1)
	v_fma_f64 v[126:127], -v[126:127], v[135:136], v[133:134]
	v_div_fmas_f64 v[126:127], v[126:127], v[130:131], v[135:136]
	s_delay_alu instid0(VALU_DEP_1) | instskip(NEXT) | instid1(VALU_DEP_1)
	v_div_fixup_f64 v[124:125], v[126:127], v[124:125], 1.0
	v_mul_f64 v[126:127], v[128:129], -v[124:125]
.LBB60_429:
	s_or_b32 exec_lo, exec_lo, s2
.LBB60_430:
	s_delay_alu instid0(SALU_CYCLE_1) | instskip(NEXT) | instid1(SALU_CYCLE_1)
	s_or_b32 exec_lo, exec_lo, s3
	s_mov_b32 s2, exec_lo
	v_cmpx_ne_u32_e64 v150, v132
	s_xor_b32 s2, exec_lo, s2
	s_cbranch_execz .LBB60_436
; %bb.431:
	s_mov_b32 s3, exec_lo
	v_cmpx_eq_u32_e32 20, v150
	s_cbranch_execz .LBB60_435
; %bb.432:
	v_cmp_ne_u32_e32 vcc_lo, 20, v132
	s_xor_b32 s6, s4, -1
	s_delay_alu instid0(SALU_CYCLE_1) | instskip(NEXT) | instid1(SALU_CYCLE_1)
	s_and_b32 s7, s6, vcc_lo
	s_and_saveexec_b32 s6, s7
	s_cbranch_execz .LBB60_434
; %bb.433:
	scratch_load_b64 v[40:41], off, off     ; 8-byte Folded Reload
	v_ashrrev_i32_e32 v133, 31, v132
	s_delay_alu instid0(VALU_DEP_1) | instskip(SKIP_1) | instid1(VALU_DEP_1)
	v_lshlrev_b64 v[128:129], 2, v[132:133]
	s_waitcnt vmcnt(0)
	v_add_co_u32 v128, vcc_lo, v40, v128
	s_delay_alu instid0(VALU_DEP_2)
	v_add_co_ci_u32_e32 v129, vcc_lo, v41, v129, vcc_lo
	s_clause 0x1
	flat_load_b32 v130, v[128:129]
	flat_load_b32 v131, v[40:41] offset:80
	s_waitcnt vmcnt(1) lgkmcnt(1)
	flat_store_b32 v[40:41], v130 offset:80
	s_waitcnt vmcnt(0) lgkmcnt(1)
	flat_store_b32 v[128:129], v131
.LBB60_434:
	s_or_b32 exec_lo, exec_lo, s6
	v_mov_b32_e32 v150, v132
	v_mov_b32_e32 v149, v132
.LBB60_435:
	s_or_b32 exec_lo, exec_lo, s3
.LBB60_436:
	s_and_not1_saveexec_b32 s2, s2
	s_cbranch_execz .LBB60_438
; %bb.437:
	v_mov_b32_e32 v150, 20
	ds_store_2addr_b64 v148, v[36:37], v[38:39] offset0:42 offset1:43
	ds_store_2addr_b64 v148, v[32:33], v[34:35] offset0:44 offset1:45
	;; [unrolled: 1-line block ×10, first 2 shown]
.LBB60_438:
	s_or_b32 exec_lo, exec_lo, s2
	s_delay_alu instid0(SALU_CYCLE_1)
	s_mov_b32 s2, exec_lo
	s_waitcnt lgkmcnt(0)
	s_waitcnt_vscnt null, 0x0
	s_barrier
	buffer_gl0_inv
	v_cmpx_lt_i32_e32 20, v150
	s_cbranch_execz .LBB60_440
; %bb.439:
	v_mul_f64 v[128:129], v[124:125], v[46:47]
	v_mul_f64 v[46:47], v[126:127], v[46:47]
	ds_load_2addr_b64 v[132:135], v148 offset0:42 offset1:43
	ds_load_2addr_b64 v[136:139], v148 offset0:44 offset1:45
	;; [unrolled: 1-line block ×10, first 2 shown]
	v_fma_f64 v[126:127], v[126:127], v[44:45], v[128:129]
	v_fma_f64 v[44:45], v[124:125], v[44:45], -v[46:47]
	s_waitcnt lgkmcnt(9)
	s_delay_alu instid0(VALU_DEP_2)
	v_mul_f64 v[46:47], v[134:135], v[126:127]
	v_mul_f64 v[124:125], v[132:133], v[126:127]
	s_waitcnt lgkmcnt(8)
	v_mul_f64 v[128:129], v[138:139], v[126:127]
	v_mul_f64 v[130:131], v[136:137], v[126:127]
	s_waitcnt lgkmcnt(7)
	;; [unrolled: 3-line block ×9, first 2 shown]
	v_mul_f64 v[207:208], v[177:178], v[126:127]
	v_mul_f64 v[209:210], v[175:176], v[126:127]
	v_fma_f64 v[46:47], v[132:133], v[44:45], -v[46:47]
	v_fma_f64 v[124:125], v[134:135], v[44:45], v[124:125]
	v_fma_f64 v[128:129], v[136:137], v[44:45], -v[128:129]
	v_fma_f64 v[130:131], v[138:139], v[44:45], v[130:131]
	;; [unrolled: 2-line block ×10, first 2 shown]
	v_add_f64 v[36:37], v[36:37], -v[46:47]
	v_add_f64 v[38:39], v[38:39], -v[124:125]
	;; [unrolled: 1-line block ×20, first 2 shown]
	v_dual_mov_b32 v46, v126 :: v_dual_mov_b32 v47, v127
.LBB60_440:
	s_or_b32 exec_lo, exec_lo, s2
	v_lshl_add_u32 v124, v150, 4, v148
	s_barrier
	buffer_gl0_inv
	v_mov_b32_e32 v132, 21
	ds_store_2addr_b64 v124, v[36:37], v[38:39] offset1:1
	s_waitcnt lgkmcnt(0)
	s_barrier
	buffer_gl0_inv
	ds_load_2addr_b64 v[124:127], v148 offset0:42 offset1:43
	s_cmp_lt_i32 s5, 23
	s_cbranch_scc1 .LBB60_443
; %bb.441:
	v_add3_u32 v133, v146, 0, 0x160
	v_mov_b32_e32 v132, 21
	s_mov_b32 s6, 22
	s_set_inst_prefetch_distance 0x1
	.p2align	6
.LBB60_442:                             ; =>This Inner Loop Header: Depth=1
	ds_load_2addr_b64 v[134:137], v133 offset1:1
	s_waitcnt lgkmcnt(1)
	v_cmp_gt_f64_e32 vcc_lo, 0, v[124:125]
	v_xor_b32_e32 v128, 0x80000000, v125
	v_cmp_gt_f64_e64 s2, 0, v[126:127]
	v_xor_b32_e32 v130, 0x80000000, v127
	v_add_nc_u32_e32 v133, 16, v133
	s_waitcnt lgkmcnt(0)
	v_cmp_gt_f64_e64 s3, 0, v[134:135]
	v_mov_b32_e32 v138, v134
	v_dual_mov_b32 v140, v136 :: v_dual_cndmask_b32 v129, v125, v128
	v_xor_b32_e32 v128, 0x80000000, v135
	v_cndmask_b32_e64 v131, v127, v130, s2
	v_xor_b32_e32 v130, 0x80000000, v137
	s_delay_alu instid0(VALU_DEP_3) | instskip(SKIP_2) | instid1(VALU_DEP_2)
	v_cndmask_b32_e64 v139, v135, v128, s3
	v_cmp_gt_f64_e64 s3, 0, v[136:137]
	v_cndmask_b32_e32 v128, v124, v124, vcc_lo
	v_cndmask_b32_e64 v141, v137, v130, s3
	v_cndmask_b32_e64 v130, v126, v126, s2
	s_delay_alu instid0(VALU_DEP_2) | instskip(NEXT) | instid1(VALU_DEP_2)
	v_add_f64 v[138:139], v[138:139], v[140:141]
	v_add_f64 v[128:129], v[128:129], v[130:131]
	s_delay_alu instid0(VALU_DEP_1)
	v_cmp_lt_f64_e32 vcc_lo, v[128:129], v[138:139]
	v_cndmask_b32_e32 v127, v127, v137, vcc_lo
	v_dual_cndmask_b32 v125, v125, v135 :: v_dual_cndmask_b32 v124, v124, v134
	v_cndmask_b32_e32 v126, v126, v136, vcc_lo
	v_cndmask_b32_e64 v132, v132, s6, vcc_lo
	s_add_i32 s6, s6, 1
	s_delay_alu instid0(SALU_CYCLE_1)
	s_cmp_lg_u32 s5, s6
	s_cbranch_scc1 .LBB60_442
.LBB60_443:
	s_set_inst_prefetch_distance 0x2
	s_waitcnt lgkmcnt(0)
	v_cmp_eq_f64_e32 vcc_lo, 0, v[124:125]
	v_cmp_eq_f64_e64 s2, 0, v[126:127]
	s_delay_alu instid0(VALU_DEP_1) | instskip(NEXT) | instid1(SALU_CYCLE_1)
	s_and_b32 s2, vcc_lo, s2
	s_and_saveexec_b32 s3, s2
	s_delay_alu instid0(SALU_CYCLE_1)
	s_xor_b32 s2, exec_lo, s3
; %bb.444:
	v_cmp_ne_u32_e32 vcc_lo, 0, v255
	v_cndmask_b32_e32 v255, 22, v255, vcc_lo
; %bb.445:
	s_and_not1_saveexec_b32 s3, s2
	s_cbranch_execz .LBB60_451
; %bb.446:
	v_cmp_gt_f64_e32 vcc_lo, 0, v[124:125]
	v_cmp_gt_f64_e64 s2, 0, v[126:127]
	v_xor_b32_e32 v128, 0x80000000, v125
	v_xor_b32_e32 v130, 0x80000000, v127
	s_delay_alu instid0(VALU_DEP_2) | instskip(NEXT) | instid1(VALU_DEP_2)
	v_cndmask_b32_e32 v129, v125, v128, vcc_lo
	v_cndmask_b32_e64 v131, v127, v130, s2
	v_cndmask_b32_e32 v128, v124, v124, vcc_lo
	v_cndmask_b32_e64 v130, v126, v126, s2
	s_mov_b32 s2, exec_lo
	s_delay_alu instid0(VALU_DEP_1)
	v_cmpx_ngt_f64_e32 v[128:129], v[130:131]
	s_xor_b32 s2, exec_lo, s2
	s_cbranch_execz .LBB60_448
; %bb.447:
	v_div_scale_f64 v[128:129], null, v[126:127], v[126:127], v[124:125]
	v_div_scale_f64 v[135:136], vcc_lo, v[124:125], v[126:127], v[124:125]
	s_delay_alu instid0(VALU_DEP_2) | instskip(SKIP_2) | instid1(VALU_DEP_1)
	v_rcp_f64_e32 v[130:131], v[128:129]
	s_waitcnt_depctr 0xfff
	v_fma_f64 v[133:134], -v[128:129], v[130:131], 1.0
	v_fma_f64 v[130:131], v[130:131], v[133:134], v[130:131]
	s_delay_alu instid0(VALU_DEP_1) | instskip(NEXT) | instid1(VALU_DEP_1)
	v_fma_f64 v[133:134], -v[128:129], v[130:131], 1.0
	v_fma_f64 v[130:131], v[130:131], v[133:134], v[130:131]
	s_delay_alu instid0(VALU_DEP_1) | instskip(NEXT) | instid1(VALU_DEP_1)
	v_mul_f64 v[133:134], v[135:136], v[130:131]
	v_fma_f64 v[128:129], -v[128:129], v[133:134], v[135:136]
	s_delay_alu instid0(VALU_DEP_1) | instskip(NEXT) | instid1(VALU_DEP_1)
	v_div_fmas_f64 v[128:129], v[128:129], v[130:131], v[133:134]
	v_div_fixup_f64 v[128:129], v[128:129], v[126:127], v[124:125]
	s_delay_alu instid0(VALU_DEP_1) | instskip(NEXT) | instid1(VALU_DEP_1)
	v_fma_f64 v[124:125], v[124:125], v[128:129], v[126:127]
	v_div_scale_f64 v[126:127], null, v[124:125], v[124:125], 1.0
	s_delay_alu instid0(VALU_DEP_1) | instskip(SKIP_2) | instid1(VALU_DEP_1)
	v_rcp_f64_e32 v[130:131], v[126:127]
	s_waitcnt_depctr 0xfff
	v_fma_f64 v[133:134], -v[126:127], v[130:131], 1.0
	v_fma_f64 v[130:131], v[130:131], v[133:134], v[130:131]
	s_delay_alu instid0(VALU_DEP_1) | instskip(NEXT) | instid1(VALU_DEP_1)
	v_fma_f64 v[133:134], -v[126:127], v[130:131], 1.0
	v_fma_f64 v[130:131], v[130:131], v[133:134], v[130:131]
	v_div_scale_f64 v[133:134], vcc_lo, 1.0, v[124:125], 1.0
	s_delay_alu instid0(VALU_DEP_1) | instskip(NEXT) | instid1(VALU_DEP_1)
	v_mul_f64 v[135:136], v[133:134], v[130:131]
	v_fma_f64 v[126:127], -v[126:127], v[135:136], v[133:134]
	s_delay_alu instid0(VALU_DEP_1) | instskip(NEXT) | instid1(VALU_DEP_1)
	v_div_fmas_f64 v[126:127], v[126:127], v[130:131], v[135:136]
	v_div_fixup_f64 v[126:127], v[126:127], v[124:125], 1.0
	s_delay_alu instid0(VALU_DEP_1)
	v_mul_f64 v[124:125], v[128:129], v[126:127]
	v_xor_b32_e32 v127, 0x80000000, v127
.LBB60_448:
	s_and_not1_saveexec_b32 s2, s2
	s_cbranch_execz .LBB60_450
; %bb.449:
	s_delay_alu instid0(VALU_DEP_1) | instskip(SKIP_1) | instid1(VALU_DEP_2)
	v_div_scale_f64 v[128:129], null, v[124:125], v[124:125], v[126:127]
	v_div_scale_f64 v[135:136], vcc_lo, v[126:127], v[124:125], v[126:127]
	v_rcp_f64_e32 v[130:131], v[128:129]
	s_waitcnt_depctr 0xfff
	v_fma_f64 v[133:134], -v[128:129], v[130:131], 1.0
	s_delay_alu instid0(VALU_DEP_1) | instskip(NEXT) | instid1(VALU_DEP_1)
	v_fma_f64 v[130:131], v[130:131], v[133:134], v[130:131]
	v_fma_f64 v[133:134], -v[128:129], v[130:131], 1.0
	s_delay_alu instid0(VALU_DEP_1) | instskip(NEXT) | instid1(VALU_DEP_1)
	v_fma_f64 v[130:131], v[130:131], v[133:134], v[130:131]
	v_mul_f64 v[133:134], v[135:136], v[130:131]
	s_delay_alu instid0(VALU_DEP_1) | instskip(NEXT) | instid1(VALU_DEP_1)
	v_fma_f64 v[128:129], -v[128:129], v[133:134], v[135:136]
	v_div_fmas_f64 v[128:129], v[128:129], v[130:131], v[133:134]
	s_delay_alu instid0(VALU_DEP_1) | instskip(NEXT) | instid1(VALU_DEP_1)
	v_div_fixup_f64 v[128:129], v[128:129], v[124:125], v[126:127]
	v_fma_f64 v[124:125], v[126:127], v[128:129], v[124:125]
	s_delay_alu instid0(VALU_DEP_1) | instskip(NEXT) | instid1(VALU_DEP_1)
	v_div_scale_f64 v[126:127], null, v[124:125], v[124:125], 1.0
	v_rcp_f64_e32 v[130:131], v[126:127]
	s_waitcnt_depctr 0xfff
	v_fma_f64 v[133:134], -v[126:127], v[130:131], 1.0
	s_delay_alu instid0(VALU_DEP_1) | instskip(NEXT) | instid1(VALU_DEP_1)
	v_fma_f64 v[130:131], v[130:131], v[133:134], v[130:131]
	v_fma_f64 v[133:134], -v[126:127], v[130:131], 1.0
	s_delay_alu instid0(VALU_DEP_1) | instskip(SKIP_1) | instid1(VALU_DEP_1)
	v_fma_f64 v[130:131], v[130:131], v[133:134], v[130:131]
	v_div_scale_f64 v[133:134], vcc_lo, 1.0, v[124:125], 1.0
	v_mul_f64 v[135:136], v[133:134], v[130:131]
	s_delay_alu instid0(VALU_DEP_1) | instskip(NEXT) | instid1(VALU_DEP_1)
	v_fma_f64 v[126:127], -v[126:127], v[135:136], v[133:134]
	v_div_fmas_f64 v[126:127], v[126:127], v[130:131], v[135:136]
	s_delay_alu instid0(VALU_DEP_1) | instskip(NEXT) | instid1(VALU_DEP_1)
	v_div_fixup_f64 v[124:125], v[126:127], v[124:125], 1.0
	v_mul_f64 v[126:127], v[128:129], -v[124:125]
.LBB60_450:
	s_or_b32 exec_lo, exec_lo, s2
.LBB60_451:
	s_delay_alu instid0(SALU_CYCLE_1) | instskip(NEXT) | instid1(SALU_CYCLE_1)
	s_or_b32 exec_lo, exec_lo, s3
	s_mov_b32 s2, exec_lo
	v_cmpx_ne_u32_e64 v150, v132
	s_xor_b32 s2, exec_lo, s2
	s_cbranch_execz .LBB60_457
; %bb.452:
	s_mov_b32 s3, exec_lo
	v_cmpx_eq_u32_e32 21, v150
	s_cbranch_execz .LBB60_456
; %bb.453:
	v_cmp_ne_u32_e32 vcc_lo, 21, v132
	s_xor_b32 s6, s4, -1
	s_delay_alu instid0(SALU_CYCLE_1) | instskip(NEXT) | instid1(SALU_CYCLE_1)
	s_and_b32 s7, s6, vcc_lo
	s_and_saveexec_b32 s6, s7
	s_cbranch_execz .LBB60_455
; %bb.454:
	scratch_load_b64 v[40:41], off, off     ; 8-byte Folded Reload
	v_ashrrev_i32_e32 v133, 31, v132
	s_delay_alu instid0(VALU_DEP_1) | instskip(SKIP_1) | instid1(VALU_DEP_1)
	v_lshlrev_b64 v[128:129], 2, v[132:133]
	s_waitcnt vmcnt(0)
	v_add_co_u32 v128, vcc_lo, v40, v128
	s_delay_alu instid0(VALU_DEP_2)
	v_add_co_ci_u32_e32 v129, vcc_lo, v41, v129, vcc_lo
	s_clause 0x1
	flat_load_b32 v130, v[128:129]
	flat_load_b32 v131, v[40:41] offset:84
	s_waitcnt vmcnt(1) lgkmcnt(1)
	flat_store_b32 v[40:41], v130 offset:84
	s_waitcnt vmcnt(0) lgkmcnt(1)
	flat_store_b32 v[128:129], v131
.LBB60_455:
	s_or_b32 exec_lo, exec_lo, s6
	v_mov_b32_e32 v150, v132
	v_mov_b32_e32 v149, v132
.LBB60_456:
	s_or_b32 exec_lo, exec_lo, s3
.LBB60_457:
	s_and_not1_saveexec_b32 s2, s2
	s_cbranch_execz .LBB60_459
; %bb.458:
	v_mov_b32_e32 v150, 21
	ds_store_2addr_b64 v148, v[32:33], v[34:35] offset0:44 offset1:45
	ds_store_2addr_b64 v148, v[28:29], v[30:31] offset0:46 offset1:47
	;; [unrolled: 1-line block ×9, first 2 shown]
.LBB60_459:
	s_or_b32 exec_lo, exec_lo, s2
	s_delay_alu instid0(SALU_CYCLE_1)
	s_mov_b32 s2, exec_lo
	s_waitcnt lgkmcnt(0)
	s_waitcnt_vscnt null, 0x0
	s_barrier
	buffer_gl0_inv
	v_cmpx_lt_i32_e32 21, v150
	s_cbranch_execz .LBB60_461
; %bb.460:
	v_mul_f64 v[128:129], v[124:125], v[38:39]
	v_mul_f64 v[38:39], v[126:127], v[38:39]
	ds_load_2addr_b64 v[132:135], v148 offset0:44 offset1:45
	ds_load_2addr_b64 v[136:139], v148 offset0:46 offset1:47
	ds_load_2addr_b64 v[140:143], v148 offset0:48 offset1:49
	ds_load_2addr_b64 v[151:154], v148 offset0:50 offset1:51
	ds_load_2addr_b64 v[155:158], v148 offset0:52 offset1:53
	ds_load_2addr_b64 v[159:162], v148 offset0:54 offset1:55
	ds_load_2addr_b64 v[163:166], v148 offset0:56 offset1:57
	ds_load_2addr_b64 v[167:170], v148 offset0:58 offset1:59
	ds_load_2addr_b64 v[171:174], v148 offset0:60 offset1:61
	v_fma_f64 v[126:127], v[126:127], v[36:37], v[128:129]
	v_fma_f64 v[36:37], v[124:125], v[36:37], -v[38:39]
	s_waitcnt lgkmcnt(8)
	s_delay_alu instid0(VALU_DEP_2)
	v_mul_f64 v[38:39], v[134:135], v[126:127]
	v_mul_f64 v[124:125], v[132:133], v[126:127]
	s_waitcnt lgkmcnt(7)
	v_mul_f64 v[128:129], v[138:139], v[126:127]
	v_mul_f64 v[130:131], v[136:137], v[126:127]
	s_waitcnt lgkmcnt(6)
	;; [unrolled: 3-line block ×8, first 2 shown]
	v_mul_f64 v[199:200], v[173:174], v[126:127]
	v_mul_f64 v[201:202], v[171:172], v[126:127]
	v_fma_f64 v[38:39], v[132:133], v[36:37], -v[38:39]
	v_fma_f64 v[124:125], v[134:135], v[36:37], v[124:125]
	v_fma_f64 v[128:129], v[136:137], v[36:37], -v[128:129]
	v_fma_f64 v[130:131], v[138:139], v[36:37], v[130:131]
	;; [unrolled: 2-line block ×9, first 2 shown]
	v_add_f64 v[32:33], v[32:33], -v[38:39]
	v_add_f64 v[34:35], v[34:35], -v[124:125]
	;; [unrolled: 1-line block ×18, first 2 shown]
	v_dual_mov_b32 v38, v126 :: v_dual_mov_b32 v39, v127
.LBB60_461:
	s_or_b32 exec_lo, exec_lo, s2
	v_lshl_add_u32 v124, v150, 4, v148
	s_barrier
	buffer_gl0_inv
	v_mov_b32_e32 v132, 22
	ds_store_2addr_b64 v124, v[32:33], v[34:35] offset1:1
	s_waitcnt lgkmcnt(0)
	s_barrier
	buffer_gl0_inv
	ds_load_2addr_b64 v[124:127], v148 offset0:44 offset1:45
	s_cmp_lt_i32 s5, 24
	s_cbranch_scc1 .LBB60_464
; %bb.462:
	v_add3_u32 v133, v146, 0, 0x170
	v_mov_b32_e32 v132, 22
	s_mov_b32 s6, 23
	s_set_inst_prefetch_distance 0x1
	.p2align	6
.LBB60_463:                             ; =>This Inner Loop Header: Depth=1
	ds_load_2addr_b64 v[134:137], v133 offset1:1
	s_waitcnt lgkmcnt(1)
	v_cmp_gt_f64_e32 vcc_lo, 0, v[124:125]
	v_xor_b32_e32 v128, 0x80000000, v125
	v_cmp_gt_f64_e64 s2, 0, v[126:127]
	v_xor_b32_e32 v130, 0x80000000, v127
	v_add_nc_u32_e32 v133, 16, v133
	s_waitcnt lgkmcnt(0)
	v_cmp_gt_f64_e64 s3, 0, v[134:135]
	v_mov_b32_e32 v138, v134
	v_dual_mov_b32 v140, v136 :: v_dual_cndmask_b32 v129, v125, v128
	v_xor_b32_e32 v128, 0x80000000, v135
	v_cndmask_b32_e64 v131, v127, v130, s2
	v_xor_b32_e32 v130, 0x80000000, v137
	s_delay_alu instid0(VALU_DEP_3) | instskip(SKIP_2) | instid1(VALU_DEP_2)
	v_cndmask_b32_e64 v139, v135, v128, s3
	v_cmp_gt_f64_e64 s3, 0, v[136:137]
	v_cndmask_b32_e32 v128, v124, v124, vcc_lo
	v_cndmask_b32_e64 v141, v137, v130, s3
	v_cndmask_b32_e64 v130, v126, v126, s2
	s_delay_alu instid0(VALU_DEP_2) | instskip(NEXT) | instid1(VALU_DEP_2)
	v_add_f64 v[138:139], v[138:139], v[140:141]
	v_add_f64 v[128:129], v[128:129], v[130:131]
	s_delay_alu instid0(VALU_DEP_1)
	v_cmp_lt_f64_e32 vcc_lo, v[128:129], v[138:139]
	v_cndmask_b32_e32 v127, v127, v137, vcc_lo
	v_dual_cndmask_b32 v125, v125, v135 :: v_dual_cndmask_b32 v124, v124, v134
	v_cndmask_b32_e32 v126, v126, v136, vcc_lo
	v_cndmask_b32_e64 v132, v132, s6, vcc_lo
	s_add_i32 s6, s6, 1
	s_delay_alu instid0(SALU_CYCLE_1)
	s_cmp_lg_u32 s5, s6
	s_cbranch_scc1 .LBB60_463
.LBB60_464:
	s_set_inst_prefetch_distance 0x2
	s_waitcnt lgkmcnt(0)
	v_cmp_eq_f64_e32 vcc_lo, 0, v[124:125]
	v_cmp_eq_f64_e64 s2, 0, v[126:127]
	s_delay_alu instid0(VALU_DEP_1) | instskip(NEXT) | instid1(SALU_CYCLE_1)
	s_and_b32 s2, vcc_lo, s2
	s_and_saveexec_b32 s3, s2
	s_delay_alu instid0(SALU_CYCLE_1)
	s_xor_b32 s2, exec_lo, s3
; %bb.465:
	v_cmp_ne_u32_e32 vcc_lo, 0, v255
	v_cndmask_b32_e32 v255, 23, v255, vcc_lo
; %bb.466:
	s_and_not1_saveexec_b32 s3, s2
	s_cbranch_execz .LBB60_472
; %bb.467:
	v_cmp_gt_f64_e32 vcc_lo, 0, v[124:125]
	v_cmp_gt_f64_e64 s2, 0, v[126:127]
	v_xor_b32_e32 v128, 0x80000000, v125
	v_xor_b32_e32 v130, 0x80000000, v127
	s_delay_alu instid0(VALU_DEP_2) | instskip(NEXT) | instid1(VALU_DEP_2)
	v_cndmask_b32_e32 v129, v125, v128, vcc_lo
	v_cndmask_b32_e64 v131, v127, v130, s2
	v_cndmask_b32_e32 v128, v124, v124, vcc_lo
	v_cndmask_b32_e64 v130, v126, v126, s2
	s_mov_b32 s2, exec_lo
	s_delay_alu instid0(VALU_DEP_1)
	v_cmpx_ngt_f64_e32 v[128:129], v[130:131]
	s_xor_b32 s2, exec_lo, s2
	s_cbranch_execz .LBB60_469
; %bb.468:
	v_div_scale_f64 v[128:129], null, v[126:127], v[126:127], v[124:125]
	v_div_scale_f64 v[135:136], vcc_lo, v[124:125], v[126:127], v[124:125]
	s_delay_alu instid0(VALU_DEP_2) | instskip(SKIP_2) | instid1(VALU_DEP_1)
	v_rcp_f64_e32 v[130:131], v[128:129]
	s_waitcnt_depctr 0xfff
	v_fma_f64 v[133:134], -v[128:129], v[130:131], 1.0
	v_fma_f64 v[130:131], v[130:131], v[133:134], v[130:131]
	s_delay_alu instid0(VALU_DEP_1) | instskip(NEXT) | instid1(VALU_DEP_1)
	v_fma_f64 v[133:134], -v[128:129], v[130:131], 1.0
	v_fma_f64 v[130:131], v[130:131], v[133:134], v[130:131]
	s_delay_alu instid0(VALU_DEP_1) | instskip(NEXT) | instid1(VALU_DEP_1)
	v_mul_f64 v[133:134], v[135:136], v[130:131]
	v_fma_f64 v[128:129], -v[128:129], v[133:134], v[135:136]
	s_delay_alu instid0(VALU_DEP_1) | instskip(NEXT) | instid1(VALU_DEP_1)
	v_div_fmas_f64 v[128:129], v[128:129], v[130:131], v[133:134]
	v_div_fixup_f64 v[128:129], v[128:129], v[126:127], v[124:125]
	s_delay_alu instid0(VALU_DEP_1) | instskip(NEXT) | instid1(VALU_DEP_1)
	v_fma_f64 v[124:125], v[124:125], v[128:129], v[126:127]
	v_div_scale_f64 v[126:127], null, v[124:125], v[124:125], 1.0
	s_delay_alu instid0(VALU_DEP_1) | instskip(SKIP_2) | instid1(VALU_DEP_1)
	v_rcp_f64_e32 v[130:131], v[126:127]
	s_waitcnt_depctr 0xfff
	v_fma_f64 v[133:134], -v[126:127], v[130:131], 1.0
	v_fma_f64 v[130:131], v[130:131], v[133:134], v[130:131]
	s_delay_alu instid0(VALU_DEP_1) | instskip(NEXT) | instid1(VALU_DEP_1)
	v_fma_f64 v[133:134], -v[126:127], v[130:131], 1.0
	v_fma_f64 v[130:131], v[130:131], v[133:134], v[130:131]
	v_div_scale_f64 v[133:134], vcc_lo, 1.0, v[124:125], 1.0
	s_delay_alu instid0(VALU_DEP_1) | instskip(NEXT) | instid1(VALU_DEP_1)
	v_mul_f64 v[135:136], v[133:134], v[130:131]
	v_fma_f64 v[126:127], -v[126:127], v[135:136], v[133:134]
	s_delay_alu instid0(VALU_DEP_1) | instskip(NEXT) | instid1(VALU_DEP_1)
	v_div_fmas_f64 v[126:127], v[126:127], v[130:131], v[135:136]
	v_div_fixup_f64 v[126:127], v[126:127], v[124:125], 1.0
	s_delay_alu instid0(VALU_DEP_1)
	v_mul_f64 v[124:125], v[128:129], v[126:127]
	v_xor_b32_e32 v127, 0x80000000, v127
.LBB60_469:
	s_and_not1_saveexec_b32 s2, s2
	s_cbranch_execz .LBB60_471
; %bb.470:
	s_delay_alu instid0(VALU_DEP_1) | instskip(SKIP_1) | instid1(VALU_DEP_2)
	v_div_scale_f64 v[128:129], null, v[124:125], v[124:125], v[126:127]
	v_div_scale_f64 v[135:136], vcc_lo, v[126:127], v[124:125], v[126:127]
	v_rcp_f64_e32 v[130:131], v[128:129]
	s_waitcnt_depctr 0xfff
	v_fma_f64 v[133:134], -v[128:129], v[130:131], 1.0
	s_delay_alu instid0(VALU_DEP_1) | instskip(NEXT) | instid1(VALU_DEP_1)
	v_fma_f64 v[130:131], v[130:131], v[133:134], v[130:131]
	v_fma_f64 v[133:134], -v[128:129], v[130:131], 1.0
	s_delay_alu instid0(VALU_DEP_1) | instskip(NEXT) | instid1(VALU_DEP_1)
	v_fma_f64 v[130:131], v[130:131], v[133:134], v[130:131]
	v_mul_f64 v[133:134], v[135:136], v[130:131]
	s_delay_alu instid0(VALU_DEP_1) | instskip(NEXT) | instid1(VALU_DEP_1)
	v_fma_f64 v[128:129], -v[128:129], v[133:134], v[135:136]
	v_div_fmas_f64 v[128:129], v[128:129], v[130:131], v[133:134]
	s_delay_alu instid0(VALU_DEP_1) | instskip(NEXT) | instid1(VALU_DEP_1)
	v_div_fixup_f64 v[128:129], v[128:129], v[124:125], v[126:127]
	v_fma_f64 v[124:125], v[126:127], v[128:129], v[124:125]
	s_delay_alu instid0(VALU_DEP_1) | instskip(NEXT) | instid1(VALU_DEP_1)
	v_div_scale_f64 v[126:127], null, v[124:125], v[124:125], 1.0
	v_rcp_f64_e32 v[130:131], v[126:127]
	s_waitcnt_depctr 0xfff
	v_fma_f64 v[133:134], -v[126:127], v[130:131], 1.0
	s_delay_alu instid0(VALU_DEP_1) | instskip(NEXT) | instid1(VALU_DEP_1)
	v_fma_f64 v[130:131], v[130:131], v[133:134], v[130:131]
	v_fma_f64 v[133:134], -v[126:127], v[130:131], 1.0
	s_delay_alu instid0(VALU_DEP_1) | instskip(SKIP_1) | instid1(VALU_DEP_1)
	v_fma_f64 v[130:131], v[130:131], v[133:134], v[130:131]
	v_div_scale_f64 v[133:134], vcc_lo, 1.0, v[124:125], 1.0
	v_mul_f64 v[135:136], v[133:134], v[130:131]
	s_delay_alu instid0(VALU_DEP_1) | instskip(NEXT) | instid1(VALU_DEP_1)
	v_fma_f64 v[126:127], -v[126:127], v[135:136], v[133:134]
	v_div_fmas_f64 v[126:127], v[126:127], v[130:131], v[135:136]
	s_delay_alu instid0(VALU_DEP_1) | instskip(NEXT) | instid1(VALU_DEP_1)
	v_div_fixup_f64 v[124:125], v[126:127], v[124:125], 1.0
	v_mul_f64 v[126:127], v[128:129], -v[124:125]
.LBB60_471:
	s_or_b32 exec_lo, exec_lo, s2
.LBB60_472:
	s_delay_alu instid0(SALU_CYCLE_1) | instskip(NEXT) | instid1(SALU_CYCLE_1)
	s_or_b32 exec_lo, exec_lo, s3
	s_mov_b32 s2, exec_lo
	v_cmpx_ne_u32_e64 v150, v132
	s_xor_b32 s2, exec_lo, s2
	s_cbranch_execz .LBB60_478
; %bb.473:
	s_mov_b32 s3, exec_lo
	v_cmpx_eq_u32_e32 22, v150
	s_cbranch_execz .LBB60_477
; %bb.474:
	v_cmp_ne_u32_e32 vcc_lo, 22, v132
	s_xor_b32 s6, s4, -1
	s_delay_alu instid0(SALU_CYCLE_1) | instskip(NEXT) | instid1(SALU_CYCLE_1)
	s_and_b32 s7, s6, vcc_lo
	s_and_saveexec_b32 s6, s7
	s_cbranch_execz .LBB60_476
; %bb.475:
	scratch_load_b64 v[40:41], off, off     ; 8-byte Folded Reload
	v_ashrrev_i32_e32 v133, 31, v132
	s_delay_alu instid0(VALU_DEP_1) | instskip(SKIP_1) | instid1(VALU_DEP_1)
	v_lshlrev_b64 v[128:129], 2, v[132:133]
	s_waitcnt vmcnt(0)
	v_add_co_u32 v128, vcc_lo, v40, v128
	s_delay_alu instid0(VALU_DEP_2)
	v_add_co_ci_u32_e32 v129, vcc_lo, v41, v129, vcc_lo
	s_clause 0x1
	flat_load_b32 v130, v[128:129]
	flat_load_b32 v131, v[40:41] offset:88
	s_waitcnt vmcnt(1) lgkmcnt(1)
	flat_store_b32 v[40:41], v130 offset:88
	s_waitcnt vmcnt(0) lgkmcnt(1)
	flat_store_b32 v[128:129], v131
.LBB60_476:
	s_or_b32 exec_lo, exec_lo, s6
	v_mov_b32_e32 v150, v132
	v_mov_b32_e32 v149, v132
.LBB60_477:
	s_or_b32 exec_lo, exec_lo, s3
.LBB60_478:
	s_and_not1_saveexec_b32 s2, s2
	s_cbranch_execz .LBB60_480
; %bb.479:
	v_mov_b32_e32 v150, 22
	ds_store_2addr_b64 v148, v[28:29], v[30:31] offset0:46 offset1:47
	ds_store_2addr_b64 v148, v[24:25], v[26:27] offset0:48 offset1:49
	;; [unrolled: 1-line block ×8, first 2 shown]
.LBB60_480:
	s_or_b32 exec_lo, exec_lo, s2
	s_delay_alu instid0(SALU_CYCLE_1)
	s_mov_b32 s2, exec_lo
	s_waitcnt lgkmcnt(0)
	s_waitcnt_vscnt null, 0x0
	s_barrier
	buffer_gl0_inv
	v_cmpx_lt_i32_e32 22, v150
	s_cbranch_execz .LBB60_482
; %bb.481:
	v_mul_f64 v[128:129], v[124:125], v[34:35]
	v_mul_f64 v[34:35], v[126:127], v[34:35]
	ds_load_2addr_b64 v[132:135], v148 offset0:46 offset1:47
	ds_load_2addr_b64 v[136:139], v148 offset0:48 offset1:49
	;; [unrolled: 1-line block ×8, first 2 shown]
	v_fma_f64 v[126:127], v[126:127], v[32:33], v[128:129]
	v_fma_f64 v[32:33], v[124:125], v[32:33], -v[34:35]
	s_waitcnt lgkmcnt(7)
	s_delay_alu instid0(VALU_DEP_2)
	v_mul_f64 v[34:35], v[134:135], v[126:127]
	v_mul_f64 v[124:125], v[132:133], v[126:127]
	s_waitcnt lgkmcnt(6)
	v_mul_f64 v[128:129], v[138:139], v[126:127]
	v_mul_f64 v[130:131], v[136:137], v[126:127]
	s_waitcnt lgkmcnt(5)
	;; [unrolled: 3-line block ×7, first 2 shown]
	v_mul_f64 v[191:192], v[169:170], v[126:127]
	v_mul_f64 v[193:194], v[167:168], v[126:127]
	v_fma_f64 v[34:35], v[132:133], v[32:33], -v[34:35]
	v_fma_f64 v[124:125], v[134:135], v[32:33], v[124:125]
	v_fma_f64 v[128:129], v[136:137], v[32:33], -v[128:129]
	v_fma_f64 v[130:131], v[138:139], v[32:33], v[130:131]
	;; [unrolled: 2-line block ×8, first 2 shown]
	v_add_f64 v[28:29], v[28:29], -v[34:35]
	v_add_f64 v[30:31], v[30:31], -v[124:125]
	v_add_f64 v[24:25], v[24:25], -v[128:129]
	v_add_f64 v[26:27], v[26:27], -v[130:131]
	v_add_f64 v[20:21], v[20:21], -v[132:133]
	v_add_f64 v[22:23], v[22:23], -v[134:135]
	v_add_f64 v[16:17], v[16:17], -v[136:137]
	v_add_f64 v[18:19], v[18:19], -v[138:139]
	v_add_f64 v[12:13], v[12:13], -v[140:141]
	v_add_f64 v[14:15], v[14:15], -v[142:143]
	v_add_f64 v[8:9], v[8:9], -v[151:152]
	v_add_f64 v[10:11], v[10:11], -v[153:154]
	v_add_f64 v[4:5], v[4:5], -v[155:156]
	v_add_f64 v[6:7], v[6:7], -v[157:158]
	v_add_f64 v[0:1], v[0:1], -v[159:160]
	v_add_f64 v[2:3], v[2:3], -v[161:162]
	v_dual_mov_b32 v34, v126 :: v_dual_mov_b32 v35, v127
.LBB60_482:
	s_or_b32 exec_lo, exec_lo, s2
	v_lshl_add_u32 v124, v150, 4, v148
	s_barrier
	buffer_gl0_inv
	v_mov_b32_e32 v132, 23
	ds_store_2addr_b64 v124, v[28:29], v[30:31] offset1:1
	s_waitcnt lgkmcnt(0)
	s_barrier
	buffer_gl0_inv
	ds_load_2addr_b64 v[124:127], v148 offset0:46 offset1:47
	s_cmp_lt_i32 s5, 25
	s_cbranch_scc1 .LBB60_485
; %bb.483:
	v_add3_u32 v133, v146, 0, 0x180
	v_mov_b32_e32 v132, 23
	s_mov_b32 s6, 24
	s_set_inst_prefetch_distance 0x1
	.p2align	6
.LBB60_484:                             ; =>This Inner Loop Header: Depth=1
	ds_load_2addr_b64 v[134:137], v133 offset1:1
	s_waitcnt lgkmcnt(1)
	v_cmp_gt_f64_e32 vcc_lo, 0, v[124:125]
	v_xor_b32_e32 v128, 0x80000000, v125
	v_cmp_gt_f64_e64 s2, 0, v[126:127]
	v_xor_b32_e32 v130, 0x80000000, v127
	v_add_nc_u32_e32 v133, 16, v133
	s_waitcnt lgkmcnt(0)
	v_cmp_gt_f64_e64 s3, 0, v[134:135]
	v_mov_b32_e32 v138, v134
	v_dual_mov_b32 v140, v136 :: v_dual_cndmask_b32 v129, v125, v128
	v_xor_b32_e32 v128, 0x80000000, v135
	v_cndmask_b32_e64 v131, v127, v130, s2
	v_xor_b32_e32 v130, 0x80000000, v137
	s_delay_alu instid0(VALU_DEP_3) | instskip(SKIP_2) | instid1(VALU_DEP_2)
	v_cndmask_b32_e64 v139, v135, v128, s3
	v_cmp_gt_f64_e64 s3, 0, v[136:137]
	v_cndmask_b32_e32 v128, v124, v124, vcc_lo
	v_cndmask_b32_e64 v141, v137, v130, s3
	v_cndmask_b32_e64 v130, v126, v126, s2
	s_delay_alu instid0(VALU_DEP_2) | instskip(NEXT) | instid1(VALU_DEP_2)
	v_add_f64 v[138:139], v[138:139], v[140:141]
	v_add_f64 v[128:129], v[128:129], v[130:131]
	s_delay_alu instid0(VALU_DEP_1)
	v_cmp_lt_f64_e32 vcc_lo, v[128:129], v[138:139]
	v_cndmask_b32_e32 v127, v127, v137, vcc_lo
	v_dual_cndmask_b32 v125, v125, v135 :: v_dual_cndmask_b32 v124, v124, v134
	v_cndmask_b32_e32 v126, v126, v136, vcc_lo
	v_cndmask_b32_e64 v132, v132, s6, vcc_lo
	s_add_i32 s6, s6, 1
	s_delay_alu instid0(SALU_CYCLE_1)
	s_cmp_lg_u32 s5, s6
	s_cbranch_scc1 .LBB60_484
.LBB60_485:
	s_set_inst_prefetch_distance 0x2
	s_waitcnt lgkmcnt(0)
	v_cmp_eq_f64_e32 vcc_lo, 0, v[124:125]
	v_cmp_eq_f64_e64 s2, 0, v[126:127]
	s_delay_alu instid0(VALU_DEP_1) | instskip(NEXT) | instid1(SALU_CYCLE_1)
	s_and_b32 s2, vcc_lo, s2
	s_and_saveexec_b32 s3, s2
	s_delay_alu instid0(SALU_CYCLE_1)
	s_xor_b32 s2, exec_lo, s3
; %bb.486:
	v_cmp_ne_u32_e32 vcc_lo, 0, v255
	v_cndmask_b32_e32 v255, 24, v255, vcc_lo
; %bb.487:
	s_and_not1_saveexec_b32 s3, s2
	s_cbranch_execz .LBB60_493
; %bb.488:
	v_cmp_gt_f64_e32 vcc_lo, 0, v[124:125]
	v_cmp_gt_f64_e64 s2, 0, v[126:127]
	v_xor_b32_e32 v128, 0x80000000, v125
	v_xor_b32_e32 v130, 0x80000000, v127
	s_delay_alu instid0(VALU_DEP_2) | instskip(NEXT) | instid1(VALU_DEP_2)
	v_cndmask_b32_e32 v129, v125, v128, vcc_lo
	v_cndmask_b32_e64 v131, v127, v130, s2
	v_cndmask_b32_e32 v128, v124, v124, vcc_lo
	v_cndmask_b32_e64 v130, v126, v126, s2
	s_mov_b32 s2, exec_lo
	s_delay_alu instid0(VALU_DEP_1)
	v_cmpx_ngt_f64_e32 v[128:129], v[130:131]
	s_xor_b32 s2, exec_lo, s2
	s_cbranch_execz .LBB60_490
; %bb.489:
	v_div_scale_f64 v[128:129], null, v[126:127], v[126:127], v[124:125]
	v_div_scale_f64 v[135:136], vcc_lo, v[124:125], v[126:127], v[124:125]
	s_delay_alu instid0(VALU_DEP_2) | instskip(SKIP_2) | instid1(VALU_DEP_1)
	v_rcp_f64_e32 v[130:131], v[128:129]
	s_waitcnt_depctr 0xfff
	v_fma_f64 v[133:134], -v[128:129], v[130:131], 1.0
	v_fma_f64 v[130:131], v[130:131], v[133:134], v[130:131]
	s_delay_alu instid0(VALU_DEP_1) | instskip(NEXT) | instid1(VALU_DEP_1)
	v_fma_f64 v[133:134], -v[128:129], v[130:131], 1.0
	v_fma_f64 v[130:131], v[130:131], v[133:134], v[130:131]
	s_delay_alu instid0(VALU_DEP_1) | instskip(NEXT) | instid1(VALU_DEP_1)
	v_mul_f64 v[133:134], v[135:136], v[130:131]
	v_fma_f64 v[128:129], -v[128:129], v[133:134], v[135:136]
	s_delay_alu instid0(VALU_DEP_1) | instskip(NEXT) | instid1(VALU_DEP_1)
	v_div_fmas_f64 v[128:129], v[128:129], v[130:131], v[133:134]
	v_div_fixup_f64 v[128:129], v[128:129], v[126:127], v[124:125]
	s_delay_alu instid0(VALU_DEP_1) | instskip(NEXT) | instid1(VALU_DEP_1)
	v_fma_f64 v[124:125], v[124:125], v[128:129], v[126:127]
	v_div_scale_f64 v[126:127], null, v[124:125], v[124:125], 1.0
	s_delay_alu instid0(VALU_DEP_1) | instskip(SKIP_2) | instid1(VALU_DEP_1)
	v_rcp_f64_e32 v[130:131], v[126:127]
	s_waitcnt_depctr 0xfff
	v_fma_f64 v[133:134], -v[126:127], v[130:131], 1.0
	v_fma_f64 v[130:131], v[130:131], v[133:134], v[130:131]
	s_delay_alu instid0(VALU_DEP_1) | instskip(NEXT) | instid1(VALU_DEP_1)
	v_fma_f64 v[133:134], -v[126:127], v[130:131], 1.0
	v_fma_f64 v[130:131], v[130:131], v[133:134], v[130:131]
	v_div_scale_f64 v[133:134], vcc_lo, 1.0, v[124:125], 1.0
	s_delay_alu instid0(VALU_DEP_1) | instskip(NEXT) | instid1(VALU_DEP_1)
	v_mul_f64 v[135:136], v[133:134], v[130:131]
	v_fma_f64 v[126:127], -v[126:127], v[135:136], v[133:134]
	s_delay_alu instid0(VALU_DEP_1) | instskip(NEXT) | instid1(VALU_DEP_1)
	v_div_fmas_f64 v[126:127], v[126:127], v[130:131], v[135:136]
	v_div_fixup_f64 v[126:127], v[126:127], v[124:125], 1.0
	s_delay_alu instid0(VALU_DEP_1)
	v_mul_f64 v[124:125], v[128:129], v[126:127]
	v_xor_b32_e32 v127, 0x80000000, v127
.LBB60_490:
	s_and_not1_saveexec_b32 s2, s2
	s_cbranch_execz .LBB60_492
; %bb.491:
	s_delay_alu instid0(VALU_DEP_1) | instskip(SKIP_1) | instid1(VALU_DEP_2)
	v_div_scale_f64 v[128:129], null, v[124:125], v[124:125], v[126:127]
	v_div_scale_f64 v[135:136], vcc_lo, v[126:127], v[124:125], v[126:127]
	v_rcp_f64_e32 v[130:131], v[128:129]
	s_waitcnt_depctr 0xfff
	v_fma_f64 v[133:134], -v[128:129], v[130:131], 1.0
	s_delay_alu instid0(VALU_DEP_1) | instskip(NEXT) | instid1(VALU_DEP_1)
	v_fma_f64 v[130:131], v[130:131], v[133:134], v[130:131]
	v_fma_f64 v[133:134], -v[128:129], v[130:131], 1.0
	s_delay_alu instid0(VALU_DEP_1) | instskip(NEXT) | instid1(VALU_DEP_1)
	v_fma_f64 v[130:131], v[130:131], v[133:134], v[130:131]
	v_mul_f64 v[133:134], v[135:136], v[130:131]
	s_delay_alu instid0(VALU_DEP_1) | instskip(NEXT) | instid1(VALU_DEP_1)
	v_fma_f64 v[128:129], -v[128:129], v[133:134], v[135:136]
	v_div_fmas_f64 v[128:129], v[128:129], v[130:131], v[133:134]
	s_delay_alu instid0(VALU_DEP_1) | instskip(NEXT) | instid1(VALU_DEP_1)
	v_div_fixup_f64 v[128:129], v[128:129], v[124:125], v[126:127]
	v_fma_f64 v[124:125], v[126:127], v[128:129], v[124:125]
	s_delay_alu instid0(VALU_DEP_1) | instskip(NEXT) | instid1(VALU_DEP_1)
	v_div_scale_f64 v[126:127], null, v[124:125], v[124:125], 1.0
	v_rcp_f64_e32 v[130:131], v[126:127]
	s_waitcnt_depctr 0xfff
	v_fma_f64 v[133:134], -v[126:127], v[130:131], 1.0
	s_delay_alu instid0(VALU_DEP_1) | instskip(NEXT) | instid1(VALU_DEP_1)
	v_fma_f64 v[130:131], v[130:131], v[133:134], v[130:131]
	v_fma_f64 v[133:134], -v[126:127], v[130:131], 1.0
	s_delay_alu instid0(VALU_DEP_1) | instskip(SKIP_1) | instid1(VALU_DEP_1)
	v_fma_f64 v[130:131], v[130:131], v[133:134], v[130:131]
	v_div_scale_f64 v[133:134], vcc_lo, 1.0, v[124:125], 1.0
	v_mul_f64 v[135:136], v[133:134], v[130:131]
	s_delay_alu instid0(VALU_DEP_1) | instskip(NEXT) | instid1(VALU_DEP_1)
	v_fma_f64 v[126:127], -v[126:127], v[135:136], v[133:134]
	v_div_fmas_f64 v[126:127], v[126:127], v[130:131], v[135:136]
	s_delay_alu instid0(VALU_DEP_1) | instskip(NEXT) | instid1(VALU_DEP_1)
	v_div_fixup_f64 v[124:125], v[126:127], v[124:125], 1.0
	v_mul_f64 v[126:127], v[128:129], -v[124:125]
.LBB60_492:
	s_or_b32 exec_lo, exec_lo, s2
.LBB60_493:
	s_delay_alu instid0(SALU_CYCLE_1) | instskip(NEXT) | instid1(SALU_CYCLE_1)
	s_or_b32 exec_lo, exec_lo, s3
	s_mov_b32 s2, exec_lo
	v_cmpx_ne_u32_e64 v150, v132
	s_xor_b32 s2, exec_lo, s2
	s_cbranch_execz .LBB60_499
; %bb.494:
	s_mov_b32 s3, exec_lo
	v_cmpx_eq_u32_e32 23, v150
	s_cbranch_execz .LBB60_498
; %bb.495:
	v_cmp_ne_u32_e32 vcc_lo, 23, v132
	s_xor_b32 s6, s4, -1
	s_delay_alu instid0(SALU_CYCLE_1) | instskip(NEXT) | instid1(SALU_CYCLE_1)
	s_and_b32 s7, s6, vcc_lo
	s_and_saveexec_b32 s6, s7
	s_cbranch_execz .LBB60_497
; %bb.496:
	scratch_load_b64 v[40:41], off, off     ; 8-byte Folded Reload
	v_ashrrev_i32_e32 v133, 31, v132
	s_delay_alu instid0(VALU_DEP_1) | instskip(SKIP_1) | instid1(VALU_DEP_1)
	v_lshlrev_b64 v[128:129], 2, v[132:133]
	s_waitcnt vmcnt(0)
	v_add_co_u32 v128, vcc_lo, v40, v128
	s_delay_alu instid0(VALU_DEP_2)
	v_add_co_ci_u32_e32 v129, vcc_lo, v41, v129, vcc_lo
	s_clause 0x1
	flat_load_b32 v130, v[128:129]
	flat_load_b32 v131, v[40:41] offset:92
	s_waitcnt vmcnt(1) lgkmcnt(1)
	flat_store_b32 v[40:41], v130 offset:92
	s_waitcnt vmcnt(0) lgkmcnt(1)
	flat_store_b32 v[128:129], v131
.LBB60_497:
	s_or_b32 exec_lo, exec_lo, s6
	v_mov_b32_e32 v150, v132
	v_mov_b32_e32 v149, v132
.LBB60_498:
	s_or_b32 exec_lo, exec_lo, s3
.LBB60_499:
	s_and_not1_saveexec_b32 s2, s2
	s_cbranch_execz .LBB60_501
; %bb.500:
	v_mov_b32_e32 v150, 23
	ds_store_2addr_b64 v148, v[24:25], v[26:27] offset0:48 offset1:49
	ds_store_2addr_b64 v148, v[20:21], v[22:23] offset0:50 offset1:51
	;; [unrolled: 1-line block ×7, first 2 shown]
.LBB60_501:
	s_or_b32 exec_lo, exec_lo, s2
	s_delay_alu instid0(SALU_CYCLE_1)
	s_mov_b32 s2, exec_lo
	s_waitcnt lgkmcnt(0)
	s_waitcnt_vscnt null, 0x0
	s_barrier
	buffer_gl0_inv
	v_cmpx_lt_i32_e32 23, v150
	s_cbranch_execz .LBB60_503
; %bb.502:
	v_mul_f64 v[128:129], v[124:125], v[30:31]
	v_mul_f64 v[30:31], v[126:127], v[30:31]
	ds_load_2addr_b64 v[132:135], v148 offset0:48 offset1:49
	ds_load_2addr_b64 v[136:139], v148 offset0:50 offset1:51
	;; [unrolled: 1-line block ×7, first 2 shown]
	v_fma_f64 v[126:127], v[126:127], v[28:29], v[128:129]
	v_fma_f64 v[28:29], v[124:125], v[28:29], -v[30:31]
	s_waitcnt lgkmcnt(6)
	s_delay_alu instid0(VALU_DEP_2)
	v_mul_f64 v[30:31], v[134:135], v[126:127]
	v_mul_f64 v[124:125], v[132:133], v[126:127]
	s_waitcnt lgkmcnt(5)
	v_mul_f64 v[128:129], v[138:139], v[126:127]
	v_mul_f64 v[130:131], v[136:137], v[126:127]
	s_waitcnt lgkmcnt(4)
	;; [unrolled: 3-line block ×6, first 2 shown]
	v_mul_f64 v[183:184], v[165:166], v[126:127]
	v_mul_f64 v[185:186], v[163:164], v[126:127]
	v_fma_f64 v[30:31], v[132:133], v[28:29], -v[30:31]
	v_fma_f64 v[124:125], v[134:135], v[28:29], v[124:125]
	v_fma_f64 v[128:129], v[136:137], v[28:29], -v[128:129]
	v_fma_f64 v[130:131], v[138:139], v[28:29], v[130:131]
	;; [unrolled: 2-line block ×7, first 2 shown]
	v_add_f64 v[24:25], v[24:25], -v[30:31]
	v_add_f64 v[26:27], v[26:27], -v[124:125]
	;; [unrolled: 1-line block ×14, first 2 shown]
	v_dual_mov_b32 v30, v126 :: v_dual_mov_b32 v31, v127
.LBB60_503:
	s_or_b32 exec_lo, exec_lo, s2
	v_lshl_add_u32 v124, v150, 4, v148
	s_barrier
	buffer_gl0_inv
	v_mov_b32_e32 v132, 24
	ds_store_2addr_b64 v124, v[24:25], v[26:27] offset1:1
	s_waitcnt lgkmcnt(0)
	s_barrier
	buffer_gl0_inv
	ds_load_2addr_b64 v[124:127], v148 offset0:48 offset1:49
	s_cmp_lt_i32 s5, 26
	s_cbranch_scc1 .LBB60_506
; %bb.504:
	v_add3_u32 v133, v146, 0, 0x190
	v_mov_b32_e32 v132, 24
	s_mov_b32 s6, 25
	s_set_inst_prefetch_distance 0x1
	.p2align	6
.LBB60_505:                             ; =>This Inner Loop Header: Depth=1
	ds_load_2addr_b64 v[134:137], v133 offset1:1
	s_waitcnt lgkmcnt(1)
	v_cmp_gt_f64_e32 vcc_lo, 0, v[124:125]
	v_xor_b32_e32 v128, 0x80000000, v125
	v_cmp_gt_f64_e64 s2, 0, v[126:127]
	v_xor_b32_e32 v130, 0x80000000, v127
	v_add_nc_u32_e32 v133, 16, v133
	s_waitcnt lgkmcnt(0)
	v_cmp_gt_f64_e64 s3, 0, v[134:135]
	v_mov_b32_e32 v138, v134
	v_dual_mov_b32 v140, v136 :: v_dual_cndmask_b32 v129, v125, v128
	v_xor_b32_e32 v128, 0x80000000, v135
	v_cndmask_b32_e64 v131, v127, v130, s2
	v_xor_b32_e32 v130, 0x80000000, v137
	s_delay_alu instid0(VALU_DEP_3) | instskip(SKIP_2) | instid1(VALU_DEP_2)
	v_cndmask_b32_e64 v139, v135, v128, s3
	v_cmp_gt_f64_e64 s3, 0, v[136:137]
	v_cndmask_b32_e32 v128, v124, v124, vcc_lo
	v_cndmask_b32_e64 v141, v137, v130, s3
	v_cndmask_b32_e64 v130, v126, v126, s2
	s_delay_alu instid0(VALU_DEP_2) | instskip(NEXT) | instid1(VALU_DEP_2)
	v_add_f64 v[138:139], v[138:139], v[140:141]
	v_add_f64 v[128:129], v[128:129], v[130:131]
	s_delay_alu instid0(VALU_DEP_1)
	v_cmp_lt_f64_e32 vcc_lo, v[128:129], v[138:139]
	v_cndmask_b32_e32 v127, v127, v137, vcc_lo
	v_dual_cndmask_b32 v125, v125, v135 :: v_dual_cndmask_b32 v124, v124, v134
	v_cndmask_b32_e32 v126, v126, v136, vcc_lo
	v_cndmask_b32_e64 v132, v132, s6, vcc_lo
	s_add_i32 s6, s6, 1
	s_delay_alu instid0(SALU_CYCLE_1)
	s_cmp_lg_u32 s5, s6
	s_cbranch_scc1 .LBB60_505
.LBB60_506:
	s_set_inst_prefetch_distance 0x2
	s_waitcnt lgkmcnt(0)
	v_cmp_eq_f64_e32 vcc_lo, 0, v[124:125]
	v_cmp_eq_f64_e64 s2, 0, v[126:127]
	s_delay_alu instid0(VALU_DEP_1) | instskip(NEXT) | instid1(SALU_CYCLE_1)
	s_and_b32 s2, vcc_lo, s2
	s_and_saveexec_b32 s3, s2
	s_delay_alu instid0(SALU_CYCLE_1)
	s_xor_b32 s2, exec_lo, s3
; %bb.507:
	v_cmp_ne_u32_e32 vcc_lo, 0, v255
	v_cndmask_b32_e32 v255, 25, v255, vcc_lo
; %bb.508:
	s_and_not1_saveexec_b32 s3, s2
	s_cbranch_execz .LBB60_514
; %bb.509:
	v_cmp_gt_f64_e32 vcc_lo, 0, v[124:125]
	v_cmp_gt_f64_e64 s2, 0, v[126:127]
	v_xor_b32_e32 v128, 0x80000000, v125
	v_xor_b32_e32 v130, 0x80000000, v127
	s_delay_alu instid0(VALU_DEP_2) | instskip(NEXT) | instid1(VALU_DEP_2)
	v_cndmask_b32_e32 v129, v125, v128, vcc_lo
	v_cndmask_b32_e64 v131, v127, v130, s2
	v_cndmask_b32_e32 v128, v124, v124, vcc_lo
	v_cndmask_b32_e64 v130, v126, v126, s2
	s_mov_b32 s2, exec_lo
	s_delay_alu instid0(VALU_DEP_1)
	v_cmpx_ngt_f64_e32 v[128:129], v[130:131]
	s_xor_b32 s2, exec_lo, s2
	s_cbranch_execz .LBB60_511
; %bb.510:
	v_div_scale_f64 v[128:129], null, v[126:127], v[126:127], v[124:125]
	v_div_scale_f64 v[135:136], vcc_lo, v[124:125], v[126:127], v[124:125]
	s_delay_alu instid0(VALU_DEP_2) | instskip(SKIP_2) | instid1(VALU_DEP_1)
	v_rcp_f64_e32 v[130:131], v[128:129]
	s_waitcnt_depctr 0xfff
	v_fma_f64 v[133:134], -v[128:129], v[130:131], 1.0
	v_fma_f64 v[130:131], v[130:131], v[133:134], v[130:131]
	s_delay_alu instid0(VALU_DEP_1) | instskip(NEXT) | instid1(VALU_DEP_1)
	v_fma_f64 v[133:134], -v[128:129], v[130:131], 1.0
	v_fma_f64 v[130:131], v[130:131], v[133:134], v[130:131]
	s_delay_alu instid0(VALU_DEP_1) | instskip(NEXT) | instid1(VALU_DEP_1)
	v_mul_f64 v[133:134], v[135:136], v[130:131]
	v_fma_f64 v[128:129], -v[128:129], v[133:134], v[135:136]
	s_delay_alu instid0(VALU_DEP_1) | instskip(NEXT) | instid1(VALU_DEP_1)
	v_div_fmas_f64 v[128:129], v[128:129], v[130:131], v[133:134]
	v_div_fixup_f64 v[128:129], v[128:129], v[126:127], v[124:125]
	s_delay_alu instid0(VALU_DEP_1) | instskip(NEXT) | instid1(VALU_DEP_1)
	v_fma_f64 v[124:125], v[124:125], v[128:129], v[126:127]
	v_div_scale_f64 v[126:127], null, v[124:125], v[124:125], 1.0
	s_delay_alu instid0(VALU_DEP_1) | instskip(SKIP_2) | instid1(VALU_DEP_1)
	v_rcp_f64_e32 v[130:131], v[126:127]
	s_waitcnt_depctr 0xfff
	v_fma_f64 v[133:134], -v[126:127], v[130:131], 1.0
	v_fma_f64 v[130:131], v[130:131], v[133:134], v[130:131]
	s_delay_alu instid0(VALU_DEP_1) | instskip(NEXT) | instid1(VALU_DEP_1)
	v_fma_f64 v[133:134], -v[126:127], v[130:131], 1.0
	v_fma_f64 v[130:131], v[130:131], v[133:134], v[130:131]
	v_div_scale_f64 v[133:134], vcc_lo, 1.0, v[124:125], 1.0
	s_delay_alu instid0(VALU_DEP_1) | instskip(NEXT) | instid1(VALU_DEP_1)
	v_mul_f64 v[135:136], v[133:134], v[130:131]
	v_fma_f64 v[126:127], -v[126:127], v[135:136], v[133:134]
	s_delay_alu instid0(VALU_DEP_1) | instskip(NEXT) | instid1(VALU_DEP_1)
	v_div_fmas_f64 v[126:127], v[126:127], v[130:131], v[135:136]
	v_div_fixup_f64 v[126:127], v[126:127], v[124:125], 1.0
	s_delay_alu instid0(VALU_DEP_1)
	v_mul_f64 v[124:125], v[128:129], v[126:127]
	v_xor_b32_e32 v127, 0x80000000, v127
.LBB60_511:
	s_and_not1_saveexec_b32 s2, s2
	s_cbranch_execz .LBB60_513
; %bb.512:
	s_delay_alu instid0(VALU_DEP_1) | instskip(SKIP_1) | instid1(VALU_DEP_2)
	v_div_scale_f64 v[128:129], null, v[124:125], v[124:125], v[126:127]
	v_div_scale_f64 v[135:136], vcc_lo, v[126:127], v[124:125], v[126:127]
	v_rcp_f64_e32 v[130:131], v[128:129]
	s_waitcnt_depctr 0xfff
	v_fma_f64 v[133:134], -v[128:129], v[130:131], 1.0
	s_delay_alu instid0(VALU_DEP_1) | instskip(NEXT) | instid1(VALU_DEP_1)
	v_fma_f64 v[130:131], v[130:131], v[133:134], v[130:131]
	v_fma_f64 v[133:134], -v[128:129], v[130:131], 1.0
	s_delay_alu instid0(VALU_DEP_1) | instskip(NEXT) | instid1(VALU_DEP_1)
	v_fma_f64 v[130:131], v[130:131], v[133:134], v[130:131]
	v_mul_f64 v[133:134], v[135:136], v[130:131]
	s_delay_alu instid0(VALU_DEP_1) | instskip(NEXT) | instid1(VALU_DEP_1)
	v_fma_f64 v[128:129], -v[128:129], v[133:134], v[135:136]
	v_div_fmas_f64 v[128:129], v[128:129], v[130:131], v[133:134]
	s_delay_alu instid0(VALU_DEP_1) | instskip(NEXT) | instid1(VALU_DEP_1)
	v_div_fixup_f64 v[128:129], v[128:129], v[124:125], v[126:127]
	v_fma_f64 v[124:125], v[126:127], v[128:129], v[124:125]
	s_delay_alu instid0(VALU_DEP_1) | instskip(NEXT) | instid1(VALU_DEP_1)
	v_div_scale_f64 v[126:127], null, v[124:125], v[124:125], 1.0
	v_rcp_f64_e32 v[130:131], v[126:127]
	s_waitcnt_depctr 0xfff
	v_fma_f64 v[133:134], -v[126:127], v[130:131], 1.0
	s_delay_alu instid0(VALU_DEP_1) | instskip(NEXT) | instid1(VALU_DEP_1)
	v_fma_f64 v[130:131], v[130:131], v[133:134], v[130:131]
	v_fma_f64 v[133:134], -v[126:127], v[130:131], 1.0
	s_delay_alu instid0(VALU_DEP_1) | instskip(SKIP_1) | instid1(VALU_DEP_1)
	v_fma_f64 v[130:131], v[130:131], v[133:134], v[130:131]
	v_div_scale_f64 v[133:134], vcc_lo, 1.0, v[124:125], 1.0
	v_mul_f64 v[135:136], v[133:134], v[130:131]
	s_delay_alu instid0(VALU_DEP_1) | instskip(NEXT) | instid1(VALU_DEP_1)
	v_fma_f64 v[126:127], -v[126:127], v[135:136], v[133:134]
	v_div_fmas_f64 v[126:127], v[126:127], v[130:131], v[135:136]
	s_delay_alu instid0(VALU_DEP_1) | instskip(NEXT) | instid1(VALU_DEP_1)
	v_div_fixup_f64 v[124:125], v[126:127], v[124:125], 1.0
	v_mul_f64 v[126:127], v[128:129], -v[124:125]
.LBB60_513:
	s_or_b32 exec_lo, exec_lo, s2
.LBB60_514:
	s_delay_alu instid0(SALU_CYCLE_1) | instskip(NEXT) | instid1(SALU_CYCLE_1)
	s_or_b32 exec_lo, exec_lo, s3
	s_mov_b32 s2, exec_lo
	v_cmpx_ne_u32_e64 v150, v132
	s_xor_b32 s2, exec_lo, s2
	s_cbranch_execz .LBB60_520
; %bb.515:
	s_mov_b32 s3, exec_lo
	v_cmpx_eq_u32_e32 24, v150
	s_cbranch_execz .LBB60_519
; %bb.516:
	v_cmp_ne_u32_e32 vcc_lo, 24, v132
	s_xor_b32 s6, s4, -1
	s_delay_alu instid0(SALU_CYCLE_1) | instskip(NEXT) | instid1(SALU_CYCLE_1)
	s_and_b32 s7, s6, vcc_lo
	s_and_saveexec_b32 s6, s7
	s_cbranch_execz .LBB60_518
; %bb.517:
	scratch_load_b64 v[40:41], off, off     ; 8-byte Folded Reload
	v_ashrrev_i32_e32 v133, 31, v132
	s_delay_alu instid0(VALU_DEP_1) | instskip(SKIP_1) | instid1(VALU_DEP_1)
	v_lshlrev_b64 v[128:129], 2, v[132:133]
	s_waitcnt vmcnt(0)
	v_add_co_u32 v128, vcc_lo, v40, v128
	s_delay_alu instid0(VALU_DEP_2)
	v_add_co_ci_u32_e32 v129, vcc_lo, v41, v129, vcc_lo
	s_clause 0x1
	flat_load_b32 v130, v[128:129]
	flat_load_b32 v131, v[40:41] offset:96
	s_waitcnt vmcnt(1) lgkmcnt(1)
	flat_store_b32 v[40:41], v130 offset:96
	s_waitcnt vmcnt(0) lgkmcnt(1)
	flat_store_b32 v[128:129], v131
.LBB60_518:
	s_or_b32 exec_lo, exec_lo, s6
	v_mov_b32_e32 v150, v132
	v_mov_b32_e32 v149, v132
.LBB60_519:
	s_or_b32 exec_lo, exec_lo, s3
.LBB60_520:
	s_and_not1_saveexec_b32 s2, s2
	s_cbranch_execz .LBB60_522
; %bb.521:
	v_mov_b32_e32 v150, 24
	ds_store_2addr_b64 v148, v[20:21], v[22:23] offset0:50 offset1:51
	ds_store_2addr_b64 v148, v[16:17], v[18:19] offset0:52 offset1:53
	;; [unrolled: 1-line block ×6, first 2 shown]
.LBB60_522:
	s_or_b32 exec_lo, exec_lo, s2
	s_delay_alu instid0(SALU_CYCLE_1)
	s_mov_b32 s2, exec_lo
	s_waitcnt lgkmcnt(0)
	s_waitcnt_vscnt null, 0x0
	s_barrier
	buffer_gl0_inv
	v_cmpx_lt_i32_e32 24, v150
	s_cbranch_execz .LBB60_524
; %bb.523:
	v_mul_f64 v[128:129], v[124:125], v[26:27]
	v_mul_f64 v[26:27], v[126:127], v[26:27]
	ds_load_2addr_b64 v[132:135], v148 offset0:50 offset1:51
	ds_load_2addr_b64 v[136:139], v148 offset0:52 offset1:53
	;; [unrolled: 1-line block ×6, first 2 shown]
	v_fma_f64 v[126:127], v[126:127], v[24:25], v[128:129]
	v_fma_f64 v[24:25], v[124:125], v[24:25], -v[26:27]
	s_waitcnt lgkmcnt(5)
	s_delay_alu instid0(VALU_DEP_2)
	v_mul_f64 v[26:27], v[134:135], v[126:127]
	v_mul_f64 v[124:125], v[132:133], v[126:127]
	s_waitcnt lgkmcnt(4)
	v_mul_f64 v[128:129], v[138:139], v[126:127]
	v_mul_f64 v[130:131], v[136:137], v[126:127]
	s_waitcnt lgkmcnt(3)
	;; [unrolled: 3-line block ×5, first 2 shown]
	v_mul_f64 v[175:176], v[161:162], v[126:127]
	v_mul_f64 v[177:178], v[159:160], v[126:127]
	v_fma_f64 v[26:27], v[132:133], v[24:25], -v[26:27]
	v_fma_f64 v[124:125], v[134:135], v[24:25], v[124:125]
	v_fma_f64 v[128:129], v[136:137], v[24:25], -v[128:129]
	v_fma_f64 v[130:131], v[138:139], v[24:25], v[130:131]
	;; [unrolled: 2-line block ×6, first 2 shown]
	v_add_f64 v[20:21], v[20:21], -v[26:27]
	v_add_f64 v[22:23], v[22:23], -v[124:125]
	;; [unrolled: 1-line block ×12, first 2 shown]
	v_dual_mov_b32 v26, v126 :: v_dual_mov_b32 v27, v127
.LBB60_524:
	s_or_b32 exec_lo, exec_lo, s2
	v_lshl_add_u32 v124, v150, 4, v148
	s_barrier
	buffer_gl0_inv
	v_mov_b32_e32 v132, 25
	ds_store_2addr_b64 v124, v[20:21], v[22:23] offset1:1
	s_waitcnt lgkmcnt(0)
	s_barrier
	buffer_gl0_inv
	ds_load_2addr_b64 v[124:127], v148 offset0:50 offset1:51
	s_cmp_lt_i32 s5, 27
	s_cbranch_scc1 .LBB60_527
; %bb.525:
	v_add3_u32 v133, v146, 0, 0x1a0
	v_mov_b32_e32 v132, 25
	s_mov_b32 s6, 26
	s_set_inst_prefetch_distance 0x1
	.p2align	6
.LBB60_526:                             ; =>This Inner Loop Header: Depth=1
	ds_load_2addr_b64 v[134:137], v133 offset1:1
	s_waitcnt lgkmcnt(1)
	v_cmp_gt_f64_e32 vcc_lo, 0, v[124:125]
	v_xor_b32_e32 v128, 0x80000000, v125
	v_cmp_gt_f64_e64 s2, 0, v[126:127]
	v_xor_b32_e32 v130, 0x80000000, v127
	v_add_nc_u32_e32 v133, 16, v133
	s_waitcnt lgkmcnt(0)
	v_cmp_gt_f64_e64 s3, 0, v[134:135]
	v_mov_b32_e32 v138, v134
	v_dual_mov_b32 v140, v136 :: v_dual_cndmask_b32 v129, v125, v128
	v_xor_b32_e32 v128, 0x80000000, v135
	v_cndmask_b32_e64 v131, v127, v130, s2
	v_xor_b32_e32 v130, 0x80000000, v137
	s_delay_alu instid0(VALU_DEP_3) | instskip(SKIP_2) | instid1(VALU_DEP_2)
	v_cndmask_b32_e64 v139, v135, v128, s3
	v_cmp_gt_f64_e64 s3, 0, v[136:137]
	v_cndmask_b32_e32 v128, v124, v124, vcc_lo
	v_cndmask_b32_e64 v141, v137, v130, s3
	v_cndmask_b32_e64 v130, v126, v126, s2
	s_delay_alu instid0(VALU_DEP_2) | instskip(NEXT) | instid1(VALU_DEP_2)
	v_add_f64 v[138:139], v[138:139], v[140:141]
	v_add_f64 v[128:129], v[128:129], v[130:131]
	s_delay_alu instid0(VALU_DEP_1)
	v_cmp_lt_f64_e32 vcc_lo, v[128:129], v[138:139]
	v_cndmask_b32_e32 v127, v127, v137, vcc_lo
	v_dual_cndmask_b32 v125, v125, v135 :: v_dual_cndmask_b32 v124, v124, v134
	v_cndmask_b32_e32 v126, v126, v136, vcc_lo
	v_cndmask_b32_e64 v132, v132, s6, vcc_lo
	s_add_i32 s6, s6, 1
	s_delay_alu instid0(SALU_CYCLE_1)
	s_cmp_lg_u32 s5, s6
	s_cbranch_scc1 .LBB60_526
.LBB60_527:
	s_set_inst_prefetch_distance 0x2
	s_waitcnt lgkmcnt(0)
	v_cmp_eq_f64_e32 vcc_lo, 0, v[124:125]
	v_cmp_eq_f64_e64 s2, 0, v[126:127]
	s_delay_alu instid0(VALU_DEP_1) | instskip(NEXT) | instid1(SALU_CYCLE_1)
	s_and_b32 s2, vcc_lo, s2
	s_and_saveexec_b32 s3, s2
	s_delay_alu instid0(SALU_CYCLE_1)
	s_xor_b32 s2, exec_lo, s3
; %bb.528:
	v_cmp_ne_u32_e32 vcc_lo, 0, v255
	v_cndmask_b32_e32 v255, 26, v255, vcc_lo
; %bb.529:
	s_and_not1_saveexec_b32 s3, s2
	s_cbranch_execz .LBB60_535
; %bb.530:
	v_cmp_gt_f64_e32 vcc_lo, 0, v[124:125]
	v_cmp_gt_f64_e64 s2, 0, v[126:127]
	v_xor_b32_e32 v128, 0x80000000, v125
	v_xor_b32_e32 v130, 0x80000000, v127
	s_delay_alu instid0(VALU_DEP_2) | instskip(NEXT) | instid1(VALU_DEP_2)
	v_cndmask_b32_e32 v129, v125, v128, vcc_lo
	v_cndmask_b32_e64 v131, v127, v130, s2
	v_cndmask_b32_e32 v128, v124, v124, vcc_lo
	v_cndmask_b32_e64 v130, v126, v126, s2
	s_mov_b32 s2, exec_lo
	s_delay_alu instid0(VALU_DEP_1)
	v_cmpx_ngt_f64_e32 v[128:129], v[130:131]
	s_xor_b32 s2, exec_lo, s2
	s_cbranch_execz .LBB60_532
; %bb.531:
	v_div_scale_f64 v[128:129], null, v[126:127], v[126:127], v[124:125]
	v_div_scale_f64 v[135:136], vcc_lo, v[124:125], v[126:127], v[124:125]
	s_delay_alu instid0(VALU_DEP_2) | instskip(SKIP_2) | instid1(VALU_DEP_1)
	v_rcp_f64_e32 v[130:131], v[128:129]
	s_waitcnt_depctr 0xfff
	v_fma_f64 v[133:134], -v[128:129], v[130:131], 1.0
	v_fma_f64 v[130:131], v[130:131], v[133:134], v[130:131]
	s_delay_alu instid0(VALU_DEP_1) | instskip(NEXT) | instid1(VALU_DEP_1)
	v_fma_f64 v[133:134], -v[128:129], v[130:131], 1.0
	v_fma_f64 v[130:131], v[130:131], v[133:134], v[130:131]
	s_delay_alu instid0(VALU_DEP_1) | instskip(NEXT) | instid1(VALU_DEP_1)
	v_mul_f64 v[133:134], v[135:136], v[130:131]
	v_fma_f64 v[128:129], -v[128:129], v[133:134], v[135:136]
	s_delay_alu instid0(VALU_DEP_1) | instskip(NEXT) | instid1(VALU_DEP_1)
	v_div_fmas_f64 v[128:129], v[128:129], v[130:131], v[133:134]
	v_div_fixup_f64 v[128:129], v[128:129], v[126:127], v[124:125]
	s_delay_alu instid0(VALU_DEP_1) | instskip(NEXT) | instid1(VALU_DEP_1)
	v_fma_f64 v[124:125], v[124:125], v[128:129], v[126:127]
	v_div_scale_f64 v[126:127], null, v[124:125], v[124:125], 1.0
	s_delay_alu instid0(VALU_DEP_1) | instskip(SKIP_2) | instid1(VALU_DEP_1)
	v_rcp_f64_e32 v[130:131], v[126:127]
	s_waitcnt_depctr 0xfff
	v_fma_f64 v[133:134], -v[126:127], v[130:131], 1.0
	v_fma_f64 v[130:131], v[130:131], v[133:134], v[130:131]
	s_delay_alu instid0(VALU_DEP_1) | instskip(NEXT) | instid1(VALU_DEP_1)
	v_fma_f64 v[133:134], -v[126:127], v[130:131], 1.0
	v_fma_f64 v[130:131], v[130:131], v[133:134], v[130:131]
	v_div_scale_f64 v[133:134], vcc_lo, 1.0, v[124:125], 1.0
	s_delay_alu instid0(VALU_DEP_1) | instskip(NEXT) | instid1(VALU_DEP_1)
	v_mul_f64 v[135:136], v[133:134], v[130:131]
	v_fma_f64 v[126:127], -v[126:127], v[135:136], v[133:134]
	s_delay_alu instid0(VALU_DEP_1) | instskip(NEXT) | instid1(VALU_DEP_1)
	v_div_fmas_f64 v[126:127], v[126:127], v[130:131], v[135:136]
	v_div_fixup_f64 v[126:127], v[126:127], v[124:125], 1.0
	s_delay_alu instid0(VALU_DEP_1)
	v_mul_f64 v[124:125], v[128:129], v[126:127]
	v_xor_b32_e32 v127, 0x80000000, v127
.LBB60_532:
	s_and_not1_saveexec_b32 s2, s2
	s_cbranch_execz .LBB60_534
; %bb.533:
	s_delay_alu instid0(VALU_DEP_1) | instskip(SKIP_1) | instid1(VALU_DEP_2)
	v_div_scale_f64 v[128:129], null, v[124:125], v[124:125], v[126:127]
	v_div_scale_f64 v[135:136], vcc_lo, v[126:127], v[124:125], v[126:127]
	v_rcp_f64_e32 v[130:131], v[128:129]
	s_waitcnt_depctr 0xfff
	v_fma_f64 v[133:134], -v[128:129], v[130:131], 1.0
	s_delay_alu instid0(VALU_DEP_1) | instskip(NEXT) | instid1(VALU_DEP_1)
	v_fma_f64 v[130:131], v[130:131], v[133:134], v[130:131]
	v_fma_f64 v[133:134], -v[128:129], v[130:131], 1.0
	s_delay_alu instid0(VALU_DEP_1) | instskip(NEXT) | instid1(VALU_DEP_1)
	v_fma_f64 v[130:131], v[130:131], v[133:134], v[130:131]
	v_mul_f64 v[133:134], v[135:136], v[130:131]
	s_delay_alu instid0(VALU_DEP_1) | instskip(NEXT) | instid1(VALU_DEP_1)
	v_fma_f64 v[128:129], -v[128:129], v[133:134], v[135:136]
	v_div_fmas_f64 v[128:129], v[128:129], v[130:131], v[133:134]
	s_delay_alu instid0(VALU_DEP_1) | instskip(NEXT) | instid1(VALU_DEP_1)
	v_div_fixup_f64 v[128:129], v[128:129], v[124:125], v[126:127]
	v_fma_f64 v[124:125], v[126:127], v[128:129], v[124:125]
	s_delay_alu instid0(VALU_DEP_1) | instskip(NEXT) | instid1(VALU_DEP_1)
	v_div_scale_f64 v[126:127], null, v[124:125], v[124:125], 1.0
	v_rcp_f64_e32 v[130:131], v[126:127]
	s_waitcnt_depctr 0xfff
	v_fma_f64 v[133:134], -v[126:127], v[130:131], 1.0
	s_delay_alu instid0(VALU_DEP_1) | instskip(NEXT) | instid1(VALU_DEP_1)
	v_fma_f64 v[130:131], v[130:131], v[133:134], v[130:131]
	v_fma_f64 v[133:134], -v[126:127], v[130:131], 1.0
	s_delay_alu instid0(VALU_DEP_1) | instskip(SKIP_1) | instid1(VALU_DEP_1)
	v_fma_f64 v[130:131], v[130:131], v[133:134], v[130:131]
	v_div_scale_f64 v[133:134], vcc_lo, 1.0, v[124:125], 1.0
	v_mul_f64 v[135:136], v[133:134], v[130:131]
	s_delay_alu instid0(VALU_DEP_1) | instskip(NEXT) | instid1(VALU_DEP_1)
	v_fma_f64 v[126:127], -v[126:127], v[135:136], v[133:134]
	v_div_fmas_f64 v[126:127], v[126:127], v[130:131], v[135:136]
	s_delay_alu instid0(VALU_DEP_1) | instskip(NEXT) | instid1(VALU_DEP_1)
	v_div_fixup_f64 v[124:125], v[126:127], v[124:125], 1.0
	v_mul_f64 v[126:127], v[128:129], -v[124:125]
.LBB60_534:
	s_or_b32 exec_lo, exec_lo, s2
.LBB60_535:
	s_delay_alu instid0(SALU_CYCLE_1) | instskip(NEXT) | instid1(SALU_CYCLE_1)
	s_or_b32 exec_lo, exec_lo, s3
	s_mov_b32 s2, exec_lo
	v_cmpx_ne_u32_e64 v150, v132
	s_xor_b32 s2, exec_lo, s2
	s_cbranch_execz .LBB60_541
; %bb.536:
	s_mov_b32 s3, exec_lo
	v_cmpx_eq_u32_e32 25, v150
	s_cbranch_execz .LBB60_540
; %bb.537:
	v_cmp_ne_u32_e32 vcc_lo, 25, v132
	s_xor_b32 s6, s4, -1
	s_delay_alu instid0(SALU_CYCLE_1) | instskip(NEXT) | instid1(SALU_CYCLE_1)
	s_and_b32 s7, s6, vcc_lo
	s_and_saveexec_b32 s6, s7
	s_cbranch_execz .LBB60_539
; %bb.538:
	scratch_load_b64 v[40:41], off, off     ; 8-byte Folded Reload
	v_ashrrev_i32_e32 v133, 31, v132
	s_delay_alu instid0(VALU_DEP_1) | instskip(SKIP_1) | instid1(VALU_DEP_1)
	v_lshlrev_b64 v[128:129], 2, v[132:133]
	s_waitcnt vmcnt(0)
	v_add_co_u32 v128, vcc_lo, v40, v128
	s_delay_alu instid0(VALU_DEP_2)
	v_add_co_ci_u32_e32 v129, vcc_lo, v41, v129, vcc_lo
	s_clause 0x1
	flat_load_b32 v130, v[128:129]
	flat_load_b32 v131, v[40:41] offset:100
	s_waitcnt vmcnt(1) lgkmcnt(1)
	flat_store_b32 v[40:41], v130 offset:100
	s_waitcnt vmcnt(0) lgkmcnt(1)
	flat_store_b32 v[128:129], v131
.LBB60_539:
	s_or_b32 exec_lo, exec_lo, s6
	v_mov_b32_e32 v150, v132
	v_mov_b32_e32 v149, v132
.LBB60_540:
	s_or_b32 exec_lo, exec_lo, s3
.LBB60_541:
	s_and_not1_saveexec_b32 s2, s2
	s_cbranch_execz .LBB60_543
; %bb.542:
	v_mov_b32_e32 v150, 25
	ds_store_2addr_b64 v148, v[16:17], v[18:19] offset0:52 offset1:53
	ds_store_2addr_b64 v148, v[12:13], v[14:15] offset0:54 offset1:55
	;; [unrolled: 1-line block ×5, first 2 shown]
.LBB60_543:
	s_or_b32 exec_lo, exec_lo, s2
	s_delay_alu instid0(SALU_CYCLE_1)
	s_mov_b32 s2, exec_lo
	s_waitcnt lgkmcnt(0)
	s_waitcnt_vscnt null, 0x0
	s_barrier
	buffer_gl0_inv
	v_cmpx_lt_i32_e32 25, v150
	s_cbranch_execz .LBB60_545
; %bb.544:
	v_mul_f64 v[128:129], v[124:125], v[22:23]
	v_mul_f64 v[22:23], v[126:127], v[22:23]
	ds_load_2addr_b64 v[132:135], v148 offset0:52 offset1:53
	ds_load_2addr_b64 v[136:139], v148 offset0:54 offset1:55
	;; [unrolled: 1-line block ×5, first 2 shown]
	v_fma_f64 v[126:127], v[126:127], v[20:21], v[128:129]
	v_fma_f64 v[20:21], v[124:125], v[20:21], -v[22:23]
	s_waitcnt lgkmcnt(4)
	s_delay_alu instid0(VALU_DEP_2)
	v_mul_f64 v[22:23], v[134:135], v[126:127]
	v_mul_f64 v[124:125], v[132:133], v[126:127]
	s_waitcnt lgkmcnt(3)
	v_mul_f64 v[128:129], v[138:139], v[126:127]
	v_mul_f64 v[130:131], v[136:137], v[126:127]
	s_waitcnt lgkmcnt(2)
	v_mul_f64 v[159:160], v[142:143], v[126:127]
	v_mul_f64 v[161:162], v[140:141], v[126:127]
	s_waitcnt lgkmcnt(1)
	v_mul_f64 v[163:164], v[153:154], v[126:127]
	v_mul_f64 v[165:166], v[151:152], v[126:127]
	s_waitcnt lgkmcnt(0)
	v_mul_f64 v[167:168], v[157:158], v[126:127]
	v_mul_f64 v[169:170], v[155:156], v[126:127]
	v_fma_f64 v[22:23], v[132:133], v[20:21], -v[22:23]
	v_fma_f64 v[124:125], v[134:135], v[20:21], v[124:125]
	v_fma_f64 v[128:129], v[136:137], v[20:21], -v[128:129]
	v_fma_f64 v[130:131], v[138:139], v[20:21], v[130:131]
	;; [unrolled: 2-line block ×5, first 2 shown]
	v_add_f64 v[16:17], v[16:17], -v[22:23]
	v_add_f64 v[18:19], v[18:19], -v[124:125]
	;; [unrolled: 1-line block ×10, first 2 shown]
	v_dual_mov_b32 v22, v126 :: v_dual_mov_b32 v23, v127
.LBB60_545:
	s_or_b32 exec_lo, exec_lo, s2
	v_lshl_add_u32 v124, v150, 4, v148
	s_barrier
	buffer_gl0_inv
	v_mov_b32_e32 v132, 26
	ds_store_2addr_b64 v124, v[16:17], v[18:19] offset1:1
	s_waitcnt lgkmcnt(0)
	s_barrier
	buffer_gl0_inv
	ds_load_2addr_b64 v[124:127], v148 offset0:52 offset1:53
	s_cmp_lt_i32 s5, 28
	s_cbranch_scc1 .LBB60_548
; %bb.546:
	v_add3_u32 v133, v146, 0, 0x1b0
	v_mov_b32_e32 v132, 26
	s_mov_b32 s6, 27
	s_set_inst_prefetch_distance 0x1
	.p2align	6
.LBB60_547:                             ; =>This Inner Loop Header: Depth=1
	ds_load_2addr_b64 v[134:137], v133 offset1:1
	s_waitcnt lgkmcnt(1)
	v_cmp_gt_f64_e32 vcc_lo, 0, v[124:125]
	v_xor_b32_e32 v128, 0x80000000, v125
	v_cmp_gt_f64_e64 s2, 0, v[126:127]
	v_xor_b32_e32 v130, 0x80000000, v127
	v_add_nc_u32_e32 v133, 16, v133
	s_waitcnt lgkmcnt(0)
	v_cmp_gt_f64_e64 s3, 0, v[134:135]
	v_mov_b32_e32 v138, v134
	v_dual_mov_b32 v140, v136 :: v_dual_cndmask_b32 v129, v125, v128
	v_xor_b32_e32 v128, 0x80000000, v135
	v_cndmask_b32_e64 v131, v127, v130, s2
	v_xor_b32_e32 v130, 0x80000000, v137
	s_delay_alu instid0(VALU_DEP_3) | instskip(SKIP_2) | instid1(VALU_DEP_2)
	v_cndmask_b32_e64 v139, v135, v128, s3
	v_cmp_gt_f64_e64 s3, 0, v[136:137]
	v_cndmask_b32_e32 v128, v124, v124, vcc_lo
	v_cndmask_b32_e64 v141, v137, v130, s3
	v_cndmask_b32_e64 v130, v126, v126, s2
	s_delay_alu instid0(VALU_DEP_2) | instskip(NEXT) | instid1(VALU_DEP_2)
	v_add_f64 v[138:139], v[138:139], v[140:141]
	v_add_f64 v[128:129], v[128:129], v[130:131]
	s_delay_alu instid0(VALU_DEP_1)
	v_cmp_lt_f64_e32 vcc_lo, v[128:129], v[138:139]
	v_cndmask_b32_e32 v127, v127, v137, vcc_lo
	v_dual_cndmask_b32 v125, v125, v135 :: v_dual_cndmask_b32 v124, v124, v134
	v_cndmask_b32_e32 v126, v126, v136, vcc_lo
	v_cndmask_b32_e64 v132, v132, s6, vcc_lo
	s_add_i32 s6, s6, 1
	s_delay_alu instid0(SALU_CYCLE_1)
	s_cmp_lg_u32 s5, s6
	s_cbranch_scc1 .LBB60_547
.LBB60_548:
	s_set_inst_prefetch_distance 0x2
	s_waitcnt lgkmcnt(0)
	v_cmp_eq_f64_e32 vcc_lo, 0, v[124:125]
	v_cmp_eq_f64_e64 s2, 0, v[126:127]
	s_delay_alu instid0(VALU_DEP_1) | instskip(NEXT) | instid1(SALU_CYCLE_1)
	s_and_b32 s2, vcc_lo, s2
	s_and_saveexec_b32 s3, s2
	s_delay_alu instid0(SALU_CYCLE_1)
	s_xor_b32 s2, exec_lo, s3
; %bb.549:
	v_cmp_ne_u32_e32 vcc_lo, 0, v255
	v_cndmask_b32_e32 v255, 27, v255, vcc_lo
; %bb.550:
	s_and_not1_saveexec_b32 s3, s2
	s_cbranch_execz .LBB60_556
; %bb.551:
	v_cmp_gt_f64_e32 vcc_lo, 0, v[124:125]
	v_cmp_gt_f64_e64 s2, 0, v[126:127]
	v_xor_b32_e32 v128, 0x80000000, v125
	v_xor_b32_e32 v130, 0x80000000, v127
	s_delay_alu instid0(VALU_DEP_2) | instskip(NEXT) | instid1(VALU_DEP_2)
	v_cndmask_b32_e32 v129, v125, v128, vcc_lo
	v_cndmask_b32_e64 v131, v127, v130, s2
	v_cndmask_b32_e32 v128, v124, v124, vcc_lo
	v_cndmask_b32_e64 v130, v126, v126, s2
	s_mov_b32 s2, exec_lo
	s_delay_alu instid0(VALU_DEP_1)
	v_cmpx_ngt_f64_e32 v[128:129], v[130:131]
	s_xor_b32 s2, exec_lo, s2
	s_cbranch_execz .LBB60_553
; %bb.552:
	v_div_scale_f64 v[128:129], null, v[126:127], v[126:127], v[124:125]
	v_div_scale_f64 v[135:136], vcc_lo, v[124:125], v[126:127], v[124:125]
	s_delay_alu instid0(VALU_DEP_2) | instskip(SKIP_2) | instid1(VALU_DEP_1)
	v_rcp_f64_e32 v[130:131], v[128:129]
	s_waitcnt_depctr 0xfff
	v_fma_f64 v[133:134], -v[128:129], v[130:131], 1.0
	v_fma_f64 v[130:131], v[130:131], v[133:134], v[130:131]
	s_delay_alu instid0(VALU_DEP_1) | instskip(NEXT) | instid1(VALU_DEP_1)
	v_fma_f64 v[133:134], -v[128:129], v[130:131], 1.0
	v_fma_f64 v[130:131], v[130:131], v[133:134], v[130:131]
	s_delay_alu instid0(VALU_DEP_1) | instskip(NEXT) | instid1(VALU_DEP_1)
	v_mul_f64 v[133:134], v[135:136], v[130:131]
	v_fma_f64 v[128:129], -v[128:129], v[133:134], v[135:136]
	s_delay_alu instid0(VALU_DEP_1) | instskip(NEXT) | instid1(VALU_DEP_1)
	v_div_fmas_f64 v[128:129], v[128:129], v[130:131], v[133:134]
	v_div_fixup_f64 v[128:129], v[128:129], v[126:127], v[124:125]
	s_delay_alu instid0(VALU_DEP_1) | instskip(NEXT) | instid1(VALU_DEP_1)
	v_fma_f64 v[124:125], v[124:125], v[128:129], v[126:127]
	v_div_scale_f64 v[126:127], null, v[124:125], v[124:125], 1.0
	s_delay_alu instid0(VALU_DEP_1) | instskip(SKIP_2) | instid1(VALU_DEP_1)
	v_rcp_f64_e32 v[130:131], v[126:127]
	s_waitcnt_depctr 0xfff
	v_fma_f64 v[133:134], -v[126:127], v[130:131], 1.0
	v_fma_f64 v[130:131], v[130:131], v[133:134], v[130:131]
	s_delay_alu instid0(VALU_DEP_1) | instskip(NEXT) | instid1(VALU_DEP_1)
	v_fma_f64 v[133:134], -v[126:127], v[130:131], 1.0
	v_fma_f64 v[130:131], v[130:131], v[133:134], v[130:131]
	v_div_scale_f64 v[133:134], vcc_lo, 1.0, v[124:125], 1.0
	s_delay_alu instid0(VALU_DEP_1) | instskip(NEXT) | instid1(VALU_DEP_1)
	v_mul_f64 v[135:136], v[133:134], v[130:131]
	v_fma_f64 v[126:127], -v[126:127], v[135:136], v[133:134]
	s_delay_alu instid0(VALU_DEP_1) | instskip(NEXT) | instid1(VALU_DEP_1)
	v_div_fmas_f64 v[126:127], v[126:127], v[130:131], v[135:136]
	v_div_fixup_f64 v[126:127], v[126:127], v[124:125], 1.0
	s_delay_alu instid0(VALU_DEP_1)
	v_mul_f64 v[124:125], v[128:129], v[126:127]
	v_xor_b32_e32 v127, 0x80000000, v127
.LBB60_553:
	s_and_not1_saveexec_b32 s2, s2
	s_cbranch_execz .LBB60_555
; %bb.554:
	s_delay_alu instid0(VALU_DEP_1) | instskip(SKIP_1) | instid1(VALU_DEP_2)
	v_div_scale_f64 v[128:129], null, v[124:125], v[124:125], v[126:127]
	v_div_scale_f64 v[135:136], vcc_lo, v[126:127], v[124:125], v[126:127]
	v_rcp_f64_e32 v[130:131], v[128:129]
	s_waitcnt_depctr 0xfff
	v_fma_f64 v[133:134], -v[128:129], v[130:131], 1.0
	s_delay_alu instid0(VALU_DEP_1) | instskip(NEXT) | instid1(VALU_DEP_1)
	v_fma_f64 v[130:131], v[130:131], v[133:134], v[130:131]
	v_fma_f64 v[133:134], -v[128:129], v[130:131], 1.0
	s_delay_alu instid0(VALU_DEP_1) | instskip(NEXT) | instid1(VALU_DEP_1)
	v_fma_f64 v[130:131], v[130:131], v[133:134], v[130:131]
	v_mul_f64 v[133:134], v[135:136], v[130:131]
	s_delay_alu instid0(VALU_DEP_1) | instskip(NEXT) | instid1(VALU_DEP_1)
	v_fma_f64 v[128:129], -v[128:129], v[133:134], v[135:136]
	v_div_fmas_f64 v[128:129], v[128:129], v[130:131], v[133:134]
	s_delay_alu instid0(VALU_DEP_1) | instskip(NEXT) | instid1(VALU_DEP_1)
	v_div_fixup_f64 v[128:129], v[128:129], v[124:125], v[126:127]
	v_fma_f64 v[124:125], v[126:127], v[128:129], v[124:125]
	s_delay_alu instid0(VALU_DEP_1) | instskip(NEXT) | instid1(VALU_DEP_1)
	v_div_scale_f64 v[126:127], null, v[124:125], v[124:125], 1.0
	v_rcp_f64_e32 v[130:131], v[126:127]
	s_waitcnt_depctr 0xfff
	v_fma_f64 v[133:134], -v[126:127], v[130:131], 1.0
	s_delay_alu instid0(VALU_DEP_1) | instskip(NEXT) | instid1(VALU_DEP_1)
	v_fma_f64 v[130:131], v[130:131], v[133:134], v[130:131]
	v_fma_f64 v[133:134], -v[126:127], v[130:131], 1.0
	s_delay_alu instid0(VALU_DEP_1) | instskip(SKIP_1) | instid1(VALU_DEP_1)
	v_fma_f64 v[130:131], v[130:131], v[133:134], v[130:131]
	v_div_scale_f64 v[133:134], vcc_lo, 1.0, v[124:125], 1.0
	v_mul_f64 v[135:136], v[133:134], v[130:131]
	s_delay_alu instid0(VALU_DEP_1) | instskip(NEXT) | instid1(VALU_DEP_1)
	v_fma_f64 v[126:127], -v[126:127], v[135:136], v[133:134]
	v_div_fmas_f64 v[126:127], v[126:127], v[130:131], v[135:136]
	s_delay_alu instid0(VALU_DEP_1) | instskip(NEXT) | instid1(VALU_DEP_1)
	v_div_fixup_f64 v[124:125], v[126:127], v[124:125], 1.0
	v_mul_f64 v[126:127], v[128:129], -v[124:125]
.LBB60_555:
	s_or_b32 exec_lo, exec_lo, s2
.LBB60_556:
	s_delay_alu instid0(SALU_CYCLE_1) | instskip(NEXT) | instid1(SALU_CYCLE_1)
	s_or_b32 exec_lo, exec_lo, s3
	s_mov_b32 s2, exec_lo
	v_cmpx_ne_u32_e64 v150, v132
	s_xor_b32 s2, exec_lo, s2
	s_cbranch_execz .LBB60_562
; %bb.557:
	s_mov_b32 s3, exec_lo
	v_cmpx_eq_u32_e32 26, v150
	s_cbranch_execz .LBB60_561
; %bb.558:
	v_cmp_ne_u32_e32 vcc_lo, 26, v132
	s_xor_b32 s6, s4, -1
	s_delay_alu instid0(SALU_CYCLE_1) | instskip(NEXT) | instid1(SALU_CYCLE_1)
	s_and_b32 s7, s6, vcc_lo
	s_and_saveexec_b32 s6, s7
	s_cbranch_execz .LBB60_560
; %bb.559:
	scratch_load_b64 v[40:41], off, off     ; 8-byte Folded Reload
	v_ashrrev_i32_e32 v133, 31, v132
	s_delay_alu instid0(VALU_DEP_1) | instskip(SKIP_1) | instid1(VALU_DEP_1)
	v_lshlrev_b64 v[128:129], 2, v[132:133]
	s_waitcnt vmcnt(0)
	v_add_co_u32 v128, vcc_lo, v40, v128
	s_delay_alu instid0(VALU_DEP_2)
	v_add_co_ci_u32_e32 v129, vcc_lo, v41, v129, vcc_lo
	s_clause 0x1
	flat_load_b32 v130, v[128:129]
	flat_load_b32 v131, v[40:41] offset:104
	s_waitcnt vmcnt(1) lgkmcnt(1)
	flat_store_b32 v[40:41], v130 offset:104
	s_waitcnt vmcnt(0) lgkmcnt(1)
	flat_store_b32 v[128:129], v131
.LBB60_560:
	s_or_b32 exec_lo, exec_lo, s6
	v_mov_b32_e32 v150, v132
	v_mov_b32_e32 v149, v132
.LBB60_561:
	s_or_b32 exec_lo, exec_lo, s3
.LBB60_562:
	s_and_not1_saveexec_b32 s2, s2
	s_cbranch_execz .LBB60_564
; %bb.563:
	v_mov_b32_e32 v150, 26
	ds_store_2addr_b64 v148, v[12:13], v[14:15] offset0:54 offset1:55
	ds_store_2addr_b64 v148, v[8:9], v[10:11] offset0:56 offset1:57
	;; [unrolled: 1-line block ×4, first 2 shown]
.LBB60_564:
	s_or_b32 exec_lo, exec_lo, s2
	s_delay_alu instid0(SALU_CYCLE_1)
	s_mov_b32 s2, exec_lo
	s_waitcnt lgkmcnt(0)
	s_waitcnt_vscnt null, 0x0
	s_barrier
	buffer_gl0_inv
	v_cmpx_lt_i32_e32 26, v150
	s_cbranch_execz .LBB60_566
; %bb.565:
	v_mul_f64 v[128:129], v[124:125], v[18:19]
	v_mul_f64 v[18:19], v[126:127], v[18:19]
	ds_load_2addr_b64 v[132:135], v148 offset0:54 offset1:55
	ds_load_2addr_b64 v[136:139], v148 offset0:56 offset1:57
	;; [unrolled: 1-line block ×4, first 2 shown]
	v_fma_f64 v[126:127], v[126:127], v[16:17], v[128:129]
	v_fma_f64 v[16:17], v[124:125], v[16:17], -v[18:19]
	s_waitcnt lgkmcnt(3)
	s_delay_alu instid0(VALU_DEP_2)
	v_mul_f64 v[18:19], v[134:135], v[126:127]
	v_mul_f64 v[124:125], v[132:133], v[126:127]
	s_waitcnt lgkmcnt(2)
	v_mul_f64 v[128:129], v[138:139], v[126:127]
	v_mul_f64 v[130:131], v[136:137], v[126:127]
	s_waitcnt lgkmcnt(1)
	;; [unrolled: 3-line block ×3, first 2 shown]
	v_mul_f64 v[159:160], v[153:154], v[126:127]
	v_mul_f64 v[161:162], v[151:152], v[126:127]
	v_fma_f64 v[18:19], v[132:133], v[16:17], -v[18:19]
	v_fma_f64 v[124:125], v[134:135], v[16:17], v[124:125]
	v_fma_f64 v[128:129], v[136:137], v[16:17], -v[128:129]
	v_fma_f64 v[130:131], v[138:139], v[16:17], v[130:131]
	;; [unrolled: 2-line block ×4, first 2 shown]
	v_add_f64 v[12:13], v[12:13], -v[18:19]
	v_add_f64 v[14:15], v[14:15], -v[124:125]
	;; [unrolled: 1-line block ×8, first 2 shown]
	v_dual_mov_b32 v18, v126 :: v_dual_mov_b32 v19, v127
.LBB60_566:
	s_or_b32 exec_lo, exec_lo, s2
	v_lshl_add_u32 v124, v150, 4, v148
	s_barrier
	buffer_gl0_inv
	v_mov_b32_e32 v132, 27
	ds_store_2addr_b64 v124, v[12:13], v[14:15] offset1:1
	s_waitcnt lgkmcnt(0)
	s_barrier
	buffer_gl0_inv
	ds_load_2addr_b64 v[124:127], v148 offset0:54 offset1:55
	s_cmp_lt_i32 s5, 29
	s_cbranch_scc1 .LBB60_569
; %bb.567:
	v_add3_u32 v133, v146, 0, 0x1c0
	v_mov_b32_e32 v132, 27
	s_mov_b32 s6, 28
	s_set_inst_prefetch_distance 0x1
	.p2align	6
.LBB60_568:                             ; =>This Inner Loop Header: Depth=1
	ds_load_2addr_b64 v[134:137], v133 offset1:1
	s_waitcnt lgkmcnt(1)
	v_cmp_gt_f64_e32 vcc_lo, 0, v[124:125]
	v_xor_b32_e32 v128, 0x80000000, v125
	v_cmp_gt_f64_e64 s2, 0, v[126:127]
	v_xor_b32_e32 v130, 0x80000000, v127
	v_add_nc_u32_e32 v133, 16, v133
	s_waitcnt lgkmcnt(0)
	v_cmp_gt_f64_e64 s3, 0, v[134:135]
	v_mov_b32_e32 v138, v134
	v_dual_mov_b32 v140, v136 :: v_dual_cndmask_b32 v129, v125, v128
	v_xor_b32_e32 v128, 0x80000000, v135
	v_cndmask_b32_e64 v131, v127, v130, s2
	v_xor_b32_e32 v130, 0x80000000, v137
	s_delay_alu instid0(VALU_DEP_3) | instskip(SKIP_2) | instid1(VALU_DEP_2)
	v_cndmask_b32_e64 v139, v135, v128, s3
	v_cmp_gt_f64_e64 s3, 0, v[136:137]
	v_cndmask_b32_e32 v128, v124, v124, vcc_lo
	v_cndmask_b32_e64 v141, v137, v130, s3
	v_cndmask_b32_e64 v130, v126, v126, s2
	s_delay_alu instid0(VALU_DEP_2) | instskip(NEXT) | instid1(VALU_DEP_2)
	v_add_f64 v[138:139], v[138:139], v[140:141]
	v_add_f64 v[128:129], v[128:129], v[130:131]
	s_delay_alu instid0(VALU_DEP_1)
	v_cmp_lt_f64_e32 vcc_lo, v[128:129], v[138:139]
	v_cndmask_b32_e32 v127, v127, v137, vcc_lo
	v_dual_cndmask_b32 v125, v125, v135 :: v_dual_cndmask_b32 v124, v124, v134
	v_cndmask_b32_e32 v126, v126, v136, vcc_lo
	v_cndmask_b32_e64 v132, v132, s6, vcc_lo
	s_add_i32 s6, s6, 1
	s_delay_alu instid0(SALU_CYCLE_1)
	s_cmp_lg_u32 s5, s6
	s_cbranch_scc1 .LBB60_568
.LBB60_569:
	s_set_inst_prefetch_distance 0x2
	s_waitcnt lgkmcnt(0)
	v_cmp_eq_f64_e32 vcc_lo, 0, v[124:125]
	v_cmp_eq_f64_e64 s2, 0, v[126:127]
	s_delay_alu instid0(VALU_DEP_1) | instskip(NEXT) | instid1(SALU_CYCLE_1)
	s_and_b32 s2, vcc_lo, s2
	s_and_saveexec_b32 s3, s2
	s_delay_alu instid0(SALU_CYCLE_1)
	s_xor_b32 s2, exec_lo, s3
; %bb.570:
	v_cmp_ne_u32_e32 vcc_lo, 0, v255
	v_cndmask_b32_e32 v255, 28, v255, vcc_lo
; %bb.571:
	s_and_not1_saveexec_b32 s3, s2
	s_cbranch_execz .LBB60_577
; %bb.572:
	v_cmp_gt_f64_e32 vcc_lo, 0, v[124:125]
	v_cmp_gt_f64_e64 s2, 0, v[126:127]
	v_xor_b32_e32 v128, 0x80000000, v125
	v_xor_b32_e32 v130, 0x80000000, v127
	s_delay_alu instid0(VALU_DEP_2) | instskip(NEXT) | instid1(VALU_DEP_2)
	v_cndmask_b32_e32 v129, v125, v128, vcc_lo
	v_cndmask_b32_e64 v131, v127, v130, s2
	v_cndmask_b32_e32 v128, v124, v124, vcc_lo
	v_cndmask_b32_e64 v130, v126, v126, s2
	s_mov_b32 s2, exec_lo
	s_delay_alu instid0(VALU_DEP_1)
	v_cmpx_ngt_f64_e32 v[128:129], v[130:131]
	s_xor_b32 s2, exec_lo, s2
	s_cbranch_execz .LBB60_574
; %bb.573:
	v_div_scale_f64 v[128:129], null, v[126:127], v[126:127], v[124:125]
	v_div_scale_f64 v[135:136], vcc_lo, v[124:125], v[126:127], v[124:125]
	s_delay_alu instid0(VALU_DEP_2) | instskip(SKIP_2) | instid1(VALU_DEP_1)
	v_rcp_f64_e32 v[130:131], v[128:129]
	s_waitcnt_depctr 0xfff
	v_fma_f64 v[133:134], -v[128:129], v[130:131], 1.0
	v_fma_f64 v[130:131], v[130:131], v[133:134], v[130:131]
	s_delay_alu instid0(VALU_DEP_1) | instskip(NEXT) | instid1(VALU_DEP_1)
	v_fma_f64 v[133:134], -v[128:129], v[130:131], 1.0
	v_fma_f64 v[130:131], v[130:131], v[133:134], v[130:131]
	s_delay_alu instid0(VALU_DEP_1) | instskip(NEXT) | instid1(VALU_DEP_1)
	v_mul_f64 v[133:134], v[135:136], v[130:131]
	v_fma_f64 v[128:129], -v[128:129], v[133:134], v[135:136]
	s_delay_alu instid0(VALU_DEP_1) | instskip(NEXT) | instid1(VALU_DEP_1)
	v_div_fmas_f64 v[128:129], v[128:129], v[130:131], v[133:134]
	v_div_fixup_f64 v[128:129], v[128:129], v[126:127], v[124:125]
	s_delay_alu instid0(VALU_DEP_1) | instskip(NEXT) | instid1(VALU_DEP_1)
	v_fma_f64 v[124:125], v[124:125], v[128:129], v[126:127]
	v_div_scale_f64 v[126:127], null, v[124:125], v[124:125], 1.0
	s_delay_alu instid0(VALU_DEP_1) | instskip(SKIP_2) | instid1(VALU_DEP_1)
	v_rcp_f64_e32 v[130:131], v[126:127]
	s_waitcnt_depctr 0xfff
	v_fma_f64 v[133:134], -v[126:127], v[130:131], 1.0
	v_fma_f64 v[130:131], v[130:131], v[133:134], v[130:131]
	s_delay_alu instid0(VALU_DEP_1) | instskip(NEXT) | instid1(VALU_DEP_1)
	v_fma_f64 v[133:134], -v[126:127], v[130:131], 1.0
	v_fma_f64 v[130:131], v[130:131], v[133:134], v[130:131]
	v_div_scale_f64 v[133:134], vcc_lo, 1.0, v[124:125], 1.0
	s_delay_alu instid0(VALU_DEP_1) | instskip(NEXT) | instid1(VALU_DEP_1)
	v_mul_f64 v[135:136], v[133:134], v[130:131]
	v_fma_f64 v[126:127], -v[126:127], v[135:136], v[133:134]
	s_delay_alu instid0(VALU_DEP_1) | instskip(NEXT) | instid1(VALU_DEP_1)
	v_div_fmas_f64 v[126:127], v[126:127], v[130:131], v[135:136]
	v_div_fixup_f64 v[126:127], v[126:127], v[124:125], 1.0
	s_delay_alu instid0(VALU_DEP_1)
	v_mul_f64 v[124:125], v[128:129], v[126:127]
	v_xor_b32_e32 v127, 0x80000000, v127
.LBB60_574:
	s_and_not1_saveexec_b32 s2, s2
	s_cbranch_execz .LBB60_576
; %bb.575:
	s_delay_alu instid0(VALU_DEP_1) | instskip(SKIP_1) | instid1(VALU_DEP_2)
	v_div_scale_f64 v[128:129], null, v[124:125], v[124:125], v[126:127]
	v_div_scale_f64 v[135:136], vcc_lo, v[126:127], v[124:125], v[126:127]
	v_rcp_f64_e32 v[130:131], v[128:129]
	s_waitcnt_depctr 0xfff
	v_fma_f64 v[133:134], -v[128:129], v[130:131], 1.0
	s_delay_alu instid0(VALU_DEP_1) | instskip(NEXT) | instid1(VALU_DEP_1)
	v_fma_f64 v[130:131], v[130:131], v[133:134], v[130:131]
	v_fma_f64 v[133:134], -v[128:129], v[130:131], 1.0
	s_delay_alu instid0(VALU_DEP_1) | instskip(NEXT) | instid1(VALU_DEP_1)
	v_fma_f64 v[130:131], v[130:131], v[133:134], v[130:131]
	v_mul_f64 v[133:134], v[135:136], v[130:131]
	s_delay_alu instid0(VALU_DEP_1) | instskip(NEXT) | instid1(VALU_DEP_1)
	v_fma_f64 v[128:129], -v[128:129], v[133:134], v[135:136]
	v_div_fmas_f64 v[128:129], v[128:129], v[130:131], v[133:134]
	s_delay_alu instid0(VALU_DEP_1) | instskip(NEXT) | instid1(VALU_DEP_1)
	v_div_fixup_f64 v[128:129], v[128:129], v[124:125], v[126:127]
	v_fma_f64 v[124:125], v[126:127], v[128:129], v[124:125]
	s_delay_alu instid0(VALU_DEP_1) | instskip(NEXT) | instid1(VALU_DEP_1)
	v_div_scale_f64 v[126:127], null, v[124:125], v[124:125], 1.0
	v_rcp_f64_e32 v[130:131], v[126:127]
	s_waitcnt_depctr 0xfff
	v_fma_f64 v[133:134], -v[126:127], v[130:131], 1.0
	s_delay_alu instid0(VALU_DEP_1) | instskip(NEXT) | instid1(VALU_DEP_1)
	v_fma_f64 v[130:131], v[130:131], v[133:134], v[130:131]
	v_fma_f64 v[133:134], -v[126:127], v[130:131], 1.0
	s_delay_alu instid0(VALU_DEP_1) | instskip(SKIP_1) | instid1(VALU_DEP_1)
	v_fma_f64 v[130:131], v[130:131], v[133:134], v[130:131]
	v_div_scale_f64 v[133:134], vcc_lo, 1.0, v[124:125], 1.0
	v_mul_f64 v[135:136], v[133:134], v[130:131]
	s_delay_alu instid0(VALU_DEP_1) | instskip(NEXT) | instid1(VALU_DEP_1)
	v_fma_f64 v[126:127], -v[126:127], v[135:136], v[133:134]
	v_div_fmas_f64 v[126:127], v[126:127], v[130:131], v[135:136]
	s_delay_alu instid0(VALU_DEP_1) | instskip(NEXT) | instid1(VALU_DEP_1)
	v_div_fixup_f64 v[124:125], v[126:127], v[124:125], 1.0
	v_mul_f64 v[126:127], v[128:129], -v[124:125]
.LBB60_576:
	s_or_b32 exec_lo, exec_lo, s2
.LBB60_577:
	s_delay_alu instid0(SALU_CYCLE_1) | instskip(NEXT) | instid1(SALU_CYCLE_1)
	s_or_b32 exec_lo, exec_lo, s3
	s_mov_b32 s2, exec_lo
	v_cmpx_ne_u32_e64 v150, v132
	s_xor_b32 s2, exec_lo, s2
	s_cbranch_execz .LBB60_583
; %bb.578:
	s_mov_b32 s3, exec_lo
	v_cmpx_eq_u32_e32 27, v150
	s_cbranch_execz .LBB60_582
; %bb.579:
	v_cmp_ne_u32_e32 vcc_lo, 27, v132
	s_xor_b32 s6, s4, -1
	s_delay_alu instid0(SALU_CYCLE_1) | instskip(NEXT) | instid1(SALU_CYCLE_1)
	s_and_b32 s7, s6, vcc_lo
	s_and_saveexec_b32 s6, s7
	s_cbranch_execz .LBB60_581
; %bb.580:
	scratch_load_b64 v[40:41], off, off     ; 8-byte Folded Reload
	v_ashrrev_i32_e32 v133, 31, v132
	s_delay_alu instid0(VALU_DEP_1) | instskip(SKIP_1) | instid1(VALU_DEP_1)
	v_lshlrev_b64 v[128:129], 2, v[132:133]
	s_waitcnt vmcnt(0)
	v_add_co_u32 v128, vcc_lo, v40, v128
	s_delay_alu instid0(VALU_DEP_2)
	v_add_co_ci_u32_e32 v129, vcc_lo, v41, v129, vcc_lo
	s_clause 0x1
	flat_load_b32 v130, v[128:129]
	flat_load_b32 v131, v[40:41] offset:108
	s_waitcnt vmcnt(1) lgkmcnt(1)
	flat_store_b32 v[40:41], v130 offset:108
	s_waitcnt vmcnt(0) lgkmcnt(1)
	flat_store_b32 v[128:129], v131
.LBB60_581:
	s_or_b32 exec_lo, exec_lo, s6
	v_mov_b32_e32 v150, v132
	v_mov_b32_e32 v149, v132
.LBB60_582:
	s_or_b32 exec_lo, exec_lo, s3
.LBB60_583:
	s_and_not1_saveexec_b32 s2, s2
	s_cbranch_execz .LBB60_585
; %bb.584:
	v_mov_b32_e32 v150, 27
	ds_store_2addr_b64 v148, v[8:9], v[10:11] offset0:56 offset1:57
	ds_store_2addr_b64 v148, v[4:5], v[6:7] offset0:58 offset1:59
	;; [unrolled: 1-line block ×3, first 2 shown]
.LBB60_585:
	s_or_b32 exec_lo, exec_lo, s2
	s_delay_alu instid0(SALU_CYCLE_1)
	s_mov_b32 s2, exec_lo
	s_waitcnt lgkmcnt(0)
	s_waitcnt_vscnt null, 0x0
	s_barrier
	buffer_gl0_inv
	v_cmpx_lt_i32_e32 27, v150
	s_cbranch_execz .LBB60_587
; %bb.586:
	v_mul_f64 v[128:129], v[124:125], v[14:15]
	v_mul_f64 v[14:15], v[126:127], v[14:15]
	ds_load_2addr_b64 v[132:135], v148 offset0:56 offset1:57
	ds_load_2addr_b64 v[136:139], v148 offset0:58 offset1:59
	;; [unrolled: 1-line block ×3, first 2 shown]
	v_fma_f64 v[126:127], v[126:127], v[12:13], v[128:129]
	v_fma_f64 v[12:13], v[124:125], v[12:13], -v[14:15]
	s_waitcnt lgkmcnt(2)
	s_delay_alu instid0(VALU_DEP_2)
	v_mul_f64 v[14:15], v[134:135], v[126:127]
	v_mul_f64 v[124:125], v[132:133], v[126:127]
	s_waitcnt lgkmcnt(1)
	v_mul_f64 v[128:129], v[138:139], v[126:127]
	v_mul_f64 v[130:131], v[136:137], v[126:127]
	s_waitcnt lgkmcnt(0)
	v_mul_f64 v[151:152], v[142:143], v[126:127]
	v_mul_f64 v[153:154], v[140:141], v[126:127]
	v_fma_f64 v[14:15], v[132:133], v[12:13], -v[14:15]
	v_fma_f64 v[124:125], v[134:135], v[12:13], v[124:125]
	v_fma_f64 v[128:129], v[136:137], v[12:13], -v[128:129]
	v_fma_f64 v[130:131], v[138:139], v[12:13], v[130:131]
	;; [unrolled: 2-line block ×3, first 2 shown]
	v_add_f64 v[8:9], v[8:9], -v[14:15]
	v_add_f64 v[10:11], v[10:11], -v[124:125]
	;; [unrolled: 1-line block ×6, first 2 shown]
	v_dual_mov_b32 v14, v126 :: v_dual_mov_b32 v15, v127
.LBB60_587:
	s_or_b32 exec_lo, exec_lo, s2
	v_lshl_add_u32 v124, v150, 4, v148
	s_barrier
	buffer_gl0_inv
	v_mov_b32_e32 v132, 28
	ds_store_2addr_b64 v124, v[8:9], v[10:11] offset1:1
	s_waitcnt lgkmcnt(0)
	s_barrier
	buffer_gl0_inv
	ds_load_2addr_b64 v[124:127], v148 offset0:56 offset1:57
	s_cmp_lt_i32 s5, 30
	s_cbranch_scc1 .LBB60_590
; %bb.588:
	v_add3_u32 v133, v146, 0, 0x1d0
	v_mov_b32_e32 v132, 28
	s_mov_b32 s6, 29
	s_set_inst_prefetch_distance 0x1
	.p2align	6
.LBB60_589:                             ; =>This Inner Loop Header: Depth=1
	ds_load_2addr_b64 v[134:137], v133 offset1:1
	s_waitcnt lgkmcnt(1)
	v_cmp_gt_f64_e32 vcc_lo, 0, v[124:125]
	v_xor_b32_e32 v128, 0x80000000, v125
	v_cmp_gt_f64_e64 s2, 0, v[126:127]
	v_xor_b32_e32 v130, 0x80000000, v127
	v_add_nc_u32_e32 v133, 16, v133
	s_waitcnt lgkmcnt(0)
	v_cmp_gt_f64_e64 s3, 0, v[134:135]
	v_mov_b32_e32 v138, v134
	v_dual_mov_b32 v140, v136 :: v_dual_cndmask_b32 v129, v125, v128
	v_xor_b32_e32 v128, 0x80000000, v135
	v_cndmask_b32_e64 v131, v127, v130, s2
	v_xor_b32_e32 v130, 0x80000000, v137
	s_delay_alu instid0(VALU_DEP_3) | instskip(SKIP_2) | instid1(VALU_DEP_2)
	v_cndmask_b32_e64 v139, v135, v128, s3
	v_cmp_gt_f64_e64 s3, 0, v[136:137]
	v_cndmask_b32_e32 v128, v124, v124, vcc_lo
	v_cndmask_b32_e64 v141, v137, v130, s3
	v_cndmask_b32_e64 v130, v126, v126, s2
	s_delay_alu instid0(VALU_DEP_2) | instskip(NEXT) | instid1(VALU_DEP_2)
	v_add_f64 v[138:139], v[138:139], v[140:141]
	v_add_f64 v[128:129], v[128:129], v[130:131]
	s_delay_alu instid0(VALU_DEP_1)
	v_cmp_lt_f64_e32 vcc_lo, v[128:129], v[138:139]
	v_cndmask_b32_e32 v127, v127, v137, vcc_lo
	v_dual_cndmask_b32 v125, v125, v135 :: v_dual_cndmask_b32 v124, v124, v134
	v_cndmask_b32_e32 v126, v126, v136, vcc_lo
	v_cndmask_b32_e64 v132, v132, s6, vcc_lo
	s_add_i32 s6, s6, 1
	s_delay_alu instid0(SALU_CYCLE_1)
	s_cmp_lg_u32 s5, s6
	s_cbranch_scc1 .LBB60_589
.LBB60_590:
	s_set_inst_prefetch_distance 0x2
	s_waitcnt lgkmcnt(0)
	v_cmp_eq_f64_e32 vcc_lo, 0, v[124:125]
	v_cmp_eq_f64_e64 s2, 0, v[126:127]
	s_delay_alu instid0(VALU_DEP_1) | instskip(NEXT) | instid1(SALU_CYCLE_1)
	s_and_b32 s2, vcc_lo, s2
	s_and_saveexec_b32 s3, s2
	s_delay_alu instid0(SALU_CYCLE_1)
	s_xor_b32 s2, exec_lo, s3
; %bb.591:
	v_cmp_ne_u32_e32 vcc_lo, 0, v255
	v_cndmask_b32_e32 v255, 29, v255, vcc_lo
; %bb.592:
	s_and_not1_saveexec_b32 s3, s2
	s_cbranch_execz .LBB60_598
; %bb.593:
	v_cmp_gt_f64_e32 vcc_lo, 0, v[124:125]
	v_cmp_gt_f64_e64 s2, 0, v[126:127]
	v_xor_b32_e32 v128, 0x80000000, v125
	v_xor_b32_e32 v130, 0x80000000, v127
	s_delay_alu instid0(VALU_DEP_2) | instskip(NEXT) | instid1(VALU_DEP_2)
	v_cndmask_b32_e32 v129, v125, v128, vcc_lo
	v_cndmask_b32_e64 v131, v127, v130, s2
	v_cndmask_b32_e32 v128, v124, v124, vcc_lo
	v_cndmask_b32_e64 v130, v126, v126, s2
	s_mov_b32 s2, exec_lo
	s_delay_alu instid0(VALU_DEP_1)
	v_cmpx_ngt_f64_e32 v[128:129], v[130:131]
	s_xor_b32 s2, exec_lo, s2
	s_cbranch_execz .LBB60_595
; %bb.594:
	v_div_scale_f64 v[128:129], null, v[126:127], v[126:127], v[124:125]
	v_div_scale_f64 v[135:136], vcc_lo, v[124:125], v[126:127], v[124:125]
	s_delay_alu instid0(VALU_DEP_2) | instskip(SKIP_2) | instid1(VALU_DEP_1)
	v_rcp_f64_e32 v[130:131], v[128:129]
	s_waitcnt_depctr 0xfff
	v_fma_f64 v[133:134], -v[128:129], v[130:131], 1.0
	v_fma_f64 v[130:131], v[130:131], v[133:134], v[130:131]
	s_delay_alu instid0(VALU_DEP_1) | instskip(NEXT) | instid1(VALU_DEP_1)
	v_fma_f64 v[133:134], -v[128:129], v[130:131], 1.0
	v_fma_f64 v[130:131], v[130:131], v[133:134], v[130:131]
	s_delay_alu instid0(VALU_DEP_1) | instskip(NEXT) | instid1(VALU_DEP_1)
	v_mul_f64 v[133:134], v[135:136], v[130:131]
	v_fma_f64 v[128:129], -v[128:129], v[133:134], v[135:136]
	s_delay_alu instid0(VALU_DEP_1) | instskip(NEXT) | instid1(VALU_DEP_1)
	v_div_fmas_f64 v[128:129], v[128:129], v[130:131], v[133:134]
	v_div_fixup_f64 v[128:129], v[128:129], v[126:127], v[124:125]
	s_delay_alu instid0(VALU_DEP_1) | instskip(NEXT) | instid1(VALU_DEP_1)
	v_fma_f64 v[124:125], v[124:125], v[128:129], v[126:127]
	v_div_scale_f64 v[126:127], null, v[124:125], v[124:125], 1.0
	s_delay_alu instid0(VALU_DEP_1) | instskip(SKIP_2) | instid1(VALU_DEP_1)
	v_rcp_f64_e32 v[130:131], v[126:127]
	s_waitcnt_depctr 0xfff
	v_fma_f64 v[133:134], -v[126:127], v[130:131], 1.0
	v_fma_f64 v[130:131], v[130:131], v[133:134], v[130:131]
	s_delay_alu instid0(VALU_DEP_1) | instskip(NEXT) | instid1(VALU_DEP_1)
	v_fma_f64 v[133:134], -v[126:127], v[130:131], 1.0
	v_fma_f64 v[130:131], v[130:131], v[133:134], v[130:131]
	v_div_scale_f64 v[133:134], vcc_lo, 1.0, v[124:125], 1.0
	s_delay_alu instid0(VALU_DEP_1) | instskip(NEXT) | instid1(VALU_DEP_1)
	v_mul_f64 v[135:136], v[133:134], v[130:131]
	v_fma_f64 v[126:127], -v[126:127], v[135:136], v[133:134]
	s_delay_alu instid0(VALU_DEP_1) | instskip(NEXT) | instid1(VALU_DEP_1)
	v_div_fmas_f64 v[126:127], v[126:127], v[130:131], v[135:136]
	v_div_fixup_f64 v[126:127], v[126:127], v[124:125], 1.0
	s_delay_alu instid0(VALU_DEP_1)
	v_mul_f64 v[124:125], v[128:129], v[126:127]
	v_xor_b32_e32 v127, 0x80000000, v127
.LBB60_595:
	s_and_not1_saveexec_b32 s2, s2
	s_cbranch_execz .LBB60_597
; %bb.596:
	s_delay_alu instid0(VALU_DEP_1) | instskip(SKIP_1) | instid1(VALU_DEP_2)
	v_div_scale_f64 v[128:129], null, v[124:125], v[124:125], v[126:127]
	v_div_scale_f64 v[135:136], vcc_lo, v[126:127], v[124:125], v[126:127]
	v_rcp_f64_e32 v[130:131], v[128:129]
	s_waitcnt_depctr 0xfff
	v_fma_f64 v[133:134], -v[128:129], v[130:131], 1.0
	s_delay_alu instid0(VALU_DEP_1) | instskip(NEXT) | instid1(VALU_DEP_1)
	v_fma_f64 v[130:131], v[130:131], v[133:134], v[130:131]
	v_fma_f64 v[133:134], -v[128:129], v[130:131], 1.0
	s_delay_alu instid0(VALU_DEP_1) | instskip(NEXT) | instid1(VALU_DEP_1)
	v_fma_f64 v[130:131], v[130:131], v[133:134], v[130:131]
	v_mul_f64 v[133:134], v[135:136], v[130:131]
	s_delay_alu instid0(VALU_DEP_1) | instskip(NEXT) | instid1(VALU_DEP_1)
	v_fma_f64 v[128:129], -v[128:129], v[133:134], v[135:136]
	v_div_fmas_f64 v[128:129], v[128:129], v[130:131], v[133:134]
	s_delay_alu instid0(VALU_DEP_1) | instskip(NEXT) | instid1(VALU_DEP_1)
	v_div_fixup_f64 v[128:129], v[128:129], v[124:125], v[126:127]
	v_fma_f64 v[124:125], v[126:127], v[128:129], v[124:125]
	s_delay_alu instid0(VALU_DEP_1) | instskip(NEXT) | instid1(VALU_DEP_1)
	v_div_scale_f64 v[126:127], null, v[124:125], v[124:125], 1.0
	v_rcp_f64_e32 v[130:131], v[126:127]
	s_waitcnt_depctr 0xfff
	v_fma_f64 v[133:134], -v[126:127], v[130:131], 1.0
	s_delay_alu instid0(VALU_DEP_1) | instskip(NEXT) | instid1(VALU_DEP_1)
	v_fma_f64 v[130:131], v[130:131], v[133:134], v[130:131]
	v_fma_f64 v[133:134], -v[126:127], v[130:131], 1.0
	s_delay_alu instid0(VALU_DEP_1) | instskip(SKIP_1) | instid1(VALU_DEP_1)
	v_fma_f64 v[130:131], v[130:131], v[133:134], v[130:131]
	v_div_scale_f64 v[133:134], vcc_lo, 1.0, v[124:125], 1.0
	v_mul_f64 v[135:136], v[133:134], v[130:131]
	s_delay_alu instid0(VALU_DEP_1) | instskip(NEXT) | instid1(VALU_DEP_1)
	v_fma_f64 v[126:127], -v[126:127], v[135:136], v[133:134]
	v_div_fmas_f64 v[126:127], v[126:127], v[130:131], v[135:136]
	s_delay_alu instid0(VALU_DEP_1) | instskip(NEXT) | instid1(VALU_DEP_1)
	v_div_fixup_f64 v[124:125], v[126:127], v[124:125], 1.0
	v_mul_f64 v[126:127], v[128:129], -v[124:125]
.LBB60_597:
	s_or_b32 exec_lo, exec_lo, s2
.LBB60_598:
	s_delay_alu instid0(SALU_CYCLE_1) | instskip(NEXT) | instid1(SALU_CYCLE_1)
	s_or_b32 exec_lo, exec_lo, s3
	s_mov_b32 s2, exec_lo
	v_cmpx_ne_u32_e64 v150, v132
	s_xor_b32 s2, exec_lo, s2
	s_cbranch_execz .LBB60_604
; %bb.599:
	s_mov_b32 s3, exec_lo
	v_cmpx_eq_u32_e32 28, v150
	s_cbranch_execz .LBB60_603
; %bb.600:
	v_cmp_ne_u32_e32 vcc_lo, 28, v132
	s_xor_b32 s6, s4, -1
	s_delay_alu instid0(SALU_CYCLE_1) | instskip(NEXT) | instid1(SALU_CYCLE_1)
	s_and_b32 s7, s6, vcc_lo
	s_and_saveexec_b32 s6, s7
	s_cbranch_execz .LBB60_602
; %bb.601:
	scratch_load_b64 v[40:41], off, off     ; 8-byte Folded Reload
	v_ashrrev_i32_e32 v133, 31, v132
	s_delay_alu instid0(VALU_DEP_1) | instskip(SKIP_1) | instid1(VALU_DEP_1)
	v_lshlrev_b64 v[128:129], 2, v[132:133]
	s_waitcnt vmcnt(0)
	v_add_co_u32 v128, vcc_lo, v40, v128
	s_delay_alu instid0(VALU_DEP_2)
	v_add_co_ci_u32_e32 v129, vcc_lo, v41, v129, vcc_lo
	s_clause 0x1
	flat_load_b32 v130, v[128:129]
	flat_load_b32 v131, v[40:41] offset:112
	s_waitcnt vmcnt(1) lgkmcnt(1)
	flat_store_b32 v[40:41], v130 offset:112
	s_waitcnt vmcnt(0) lgkmcnt(1)
	flat_store_b32 v[128:129], v131
.LBB60_602:
	s_or_b32 exec_lo, exec_lo, s6
	v_mov_b32_e32 v150, v132
	v_mov_b32_e32 v149, v132
.LBB60_603:
	s_or_b32 exec_lo, exec_lo, s3
.LBB60_604:
	s_and_not1_saveexec_b32 s2, s2
	s_cbranch_execz .LBB60_606
; %bb.605:
	v_mov_b32_e32 v150, 28
	ds_store_2addr_b64 v148, v[4:5], v[6:7] offset0:58 offset1:59
	ds_store_2addr_b64 v148, v[0:1], v[2:3] offset0:60 offset1:61
.LBB60_606:
	s_or_b32 exec_lo, exec_lo, s2
	s_delay_alu instid0(SALU_CYCLE_1)
	s_mov_b32 s2, exec_lo
	s_waitcnt lgkmcnt(0)
	s_waitcnt_vscnt null, 0x0
	s_barrier
	buffer_gl0_inv
	v_cmpx_lt_i32_e32 28, v150
	s_cbranch_execz .LBB60_608
; %bb.607:
	v_mul_f64 v[128:129], v[124:125], v[10:11]
	v_mul_f64 v[10:11], v[126:127], v[10:11]
	ds_load_2addr_b64 v[132:135], v148 offset0:58 offset1:59
	ds_load_2addr_b64 v[136:139], v148 offset0:60 offset1:61
	v_fma_f64 v[126:127], v[126:127], v[8:9], v[128:129]
	v_fma_f64 v[8:9], v[124:125], v[8:9], -v[10:11]
	s_waitcnt lgkmcnt(1)
	s_delay_alu instid0(VALU_DEP_2) | instskip(SKIP_4) | instid1(VALU_DEP_4)
	v_mul_f64 v[10:11], v[134:135], v[126:127]
	v_mul_f64 v[124:125], v[132:133], v[126:127]
	s_waitcnt lgkmcnt(0)
	v_mul_f64 v[128:129], v[138:139], v[126:127]
	v_mul_f64 v[130:131], v[136:137], v[126:127]
	v_fma_f64 v[10:11], v[132:133], v[8:9], -v[10:11]
	s_delay_alu instid0(VALU_DEP_4) | instskip(NEXT) | instid1(VALU_DEP_4)
	v_fma_f64 v[124:125], v[134:135], v[8:9], v[124:125]
	v_fma_f64 v[128:129], v[136:137], v[8:9], -v[128:129]
	s_delay_alu instid0(VALU_DEP_4) | instskip(NEXT) | instid1(VALU_DEP_4)
	v_fma_f64 v[130:131], v[138:139], v[8:9], v[130:131]
	v_add_f64 v[4:5], v[4:5], -v[10:11]
	s_delay_alu instid0(VALU_DEP_4) | instskip(NEXT) | instid1(VALU_DEP_4)
	v_add_f64 v[6:7], v[6:7], -v[124:125]
	v_add_f64 v[0:1], v[0:1], -v[128:129]
	s_delay_alu instid0(VALU_DEP_4)
	v_add_f64 v[2:3], v[2:3], -v[130:131]
	v_dual_mov_b32 v10, v126 :: v_dual_mov_b32 v11, v127
.LBB60_608:
	s_or_b32 exec_lo, exec_lo, s2
	v_lshl_add_u32 v124, v150, 4, v148
	s_barrier
	buffer_gl0_inv
	v_mov_b32_e32 v132, 29
	ds_store_2addr_b64 v124, v[4:5], v[6:7] offset1:1
	s_waitcnt lgkmcnt(0)
	s_barrier
	buffer_gl0_inv
	ds_load_2addr_b64 v[124:127], v148 offset0:58 offset1:59
	s_cmp_lt_i32 s5, 31
	s_cbranch_scc1 .LBB60_611
; %bb.609:
	v_add3_u32 v133, v146, 0, 0x1e0
	v_mov_b32_e32 v132, 29
	s_mov_b32 s6, 30
	s_set_inst_prefetch_distance 0x1
	.p2align	6
.LBB60_610:                             ; =>This Inner Loop Header: Depth=1
	ds_load_2addr_b64 v[134:137], v133 offset1:1
	s_waitcnt lgkmcnt(1)
	v_cmp_gt_f64_e32 vcc_lo, 0, v[124:125]
	v_xor_b32_e32 v128, 0x80000000, v125
	v_cmp_gt_f64_e64 s2, 0, v[126:127]
	v_xor_b32_e32 v130, 0x80000000, v127
	v_add_nc_u32_e32 v133, 16, v133
	s_waitcnt lgkmcnt(0)
	v_cmp_gt_f64_e64 s3, 0, v[134:135]
	v_mov_b32_e32 v138, v134
	v_dual_mov_b32 v140, v136 :: v_dual_cndmask_b32 v129, v125, v128
	v_xor_b32_e32 v128, 0x80000000, v135
	v_cndmask_b32_e64 v131, v127, v130, s2
	v_xor_b32_e32 v130, 0x80000000, v137
	s_delay_alu instid0(VALU_DEP_3) | instskip(SKIP_2) | instid1(VALU_DEP_2)
	v_cndmask_b32_e64 v139, v135, v128, s3
	v_cmp_gt_f64_e64 s3, 0, v[136:137]
	v_cndmask_b32_e32 v128, v124, v124, vcc_lo
	v_cndmask_b32_e64 v141, v137, v130, s3
	v_cndmask_b32_e64 v130, v126, v126, s2
	s_delay_alu instid0(VALU_DEP_2) | instskip(NEXT) | instid1(VALU_DEP_2)
	v_add_f64 v[138:139], v[138:139], v[140:141]
	v_add_f64 v[128:129], v[128:129], v[130:131]
	s_delay_alu instid0(VALU_DEP_1)
	v_cmp_lt_f64_e32 vcc_lo, v[128:129], v[138:139]
	v_cndmask_b32_e32 v127, v127, v137, vcc_lo
	v_dual_cndmask_b32 v125, v125, v135 :: v_dual_cndmask_b32 v124, v124, v134
	v_cndmask_b32_e32 v126, v126, v136, vcc_lo
	v_cndmask_b32_e64 v132, v132, s6, vcc_lo
	s_add_i32 s6, s6, 1
	s_delay_alu instid0(SALU_CYCLE_1)
	s_cmp_lg_u32 s5, s6
	s_cbranch_scc1 .LBB60_610
.LBB60_611:
	s_set_inst_prefetch_distance 0x2
	s_waitcnt lgkmcnt(0)
	v_cmp_eq_f64_e32 vcc_lo, 0, v[124:125]
	v_cmp_eq_f64_e64 s2, 0, v[126:127]
	s_delay_alu instid0(VALU_DEP_1) | instskip(NEXT) | instid1(SALU_CYCLE_1)
	s_and_b32 s2, vcc_lo, s2
	s_and_saveexec_b32 s3, s2
	s_delay_alu instid0(SALU_CYCLE_1)
	s_xor_b32 s2, exec_lo, s3
; %bb.612:
	v_cmp_ne_u32_e32 vcc_lo, 0, v255
	v_cndmask_b32_e32 v255, 30, v255, vcc_lo
; %bb.613:
	s_and_not1_saveexec_b32 s3, s2
	s_cbranch_execz .LBB60_619
; %bb.614:
	v_cmp_gt_f64_e32 vcc_lo, 0, v[124:125]
	v_cmp_gt_f64_e64 s2, 0, v[126:127]
	v_xor_b32_e32 v128, 0x80000000, v125
	v_xor_b32_e32 v130, 0x80000000, v127
	s_delay_alu instid0(VALU_DEP_2) | instskip(NEXT) | instid1(VALU_DEP_2)
	v_cndmask_b32_e32 v129, v125, v128, vcc_lo
	v_cndmask_b32_e64 v131, v127, v130, s2
	v_cndmask_b32_e32 v128, v124, v124, vcc_lo
	v_cndmask_b32_e64 v130, v126, v126, s2
	s_mov_b32 s2, exec_lo
	s_delay_alu instid0(VALU_DEP_1)
	v_cmpx_ngt_f64_e32 v[128:129], v[130:131]
	s_xor_b32 s2, exec_lo, s2
	s_cbranch_execz .LBB60_616
; %bb.615:
	v_div_scale_f64 v[128:129], null, v[126:127], v[126:127], v[124:125]
	v_div_scale_f64 v[135:136], vcc_lo, v[124:125], v[126:127], v[124:125]
	s_delay_alu instid0(VALU_DEP_2) | instskip(SKIP_2) | instid1(VALU_DEP_1)
	v_rcp_f64_e32 v[130:131], v[128:129]
	s_waitcnt_depctr 0xfff
	v_fma_f64 v[133:134], -v[128:129], v[130:131], 1.0
	v_fma_f64 v[130:131], v[130:131], v[133:134], v[130:131]
	s_delay_alu instid0(VALU_DEP_1) | instskip(NEXT) | instid1(VALU_DEP_1)
	v_fma_f64 v[133:134], -v[128:129], v[130:131], 1.0
	v_fma_f64 v[130:131], v[130:131], v[133:134], v[130:131]
	s_delay_alu instid0(VALU_DEP_1) | instskip(NEXT) | instid1(VALU_DEP_1)
	v_mul_f64 v[133:134], v[135:136], v[130:131]
	v_fma_f64 v[128:129], -v[128:129], v[133:134], v[135:136]
	s_delay_alu instid0(VALU_DEP_1) | instskip(NEXT) | instid1(VALU_DEP_1)
	v_div_fmas_f64 v[128:129], v[128:129], v[130:131], v[133:134]
	v_div_fixup_f64 v[128:129], v[128:129], v[126:127], v[124:125]
	s_delay_alu instid0(VALU_DEP_1) | instskip(NEXT) | instid1(VALU_DEP_1)
	v_fma_f64 v[124:125], v[124:125], v[128:129], v[126:127]
	v_div_scale_f64 v[126:127], null, v[124:125], v[124:125], 1.0
	s_delay_alu instid0(VALU_DEP_1) | instskip(SKIP_2) | instid1(VALU_DEP_1)
	v_rcp_f64_e32 v[130:131], v[126:127]
	s_waitcnt_depctr 0xfff
	v_fma_f64 v[133:134], -v[126:127], v[130:131], 1.0
	v_fma_f64 v[130:131], v[130:131], v[133:134], v[130:131]
	s_delay_alu instid0(VALU_DEP_1) | instskip(NEXT) | instid1(VALU_DEP_1)
	v_fma_f64 v[133:134], -v[126:127], v[130:131], 1.0
	v_fma_f64 v[130:131], v[130:131], v[133:134], v[130:131]
	v_div_scale_f64 v[133:134], vcc_lo, 1.0, v[124:125], 1.0
	s_delay_alu instid0(VALU_DEP_1) | instskip(NEXT) | instid1(VALU_DEP_1)
	v_mul_f64 v[135:136], v[133:134], v[130:131]
	v_fma_f64 v[126:127], -v[126:127], v[135:136], v[133:134]
	s_delay_alu instid0(VALU_DEP_1) | instskip(NEXT) | instid1(VALU_DEP_1)
	v_div_fmas_f64 v[126:127], v[126:127], v[130:131], v[135:136]
	v_div_fixup_f64 v[126:127], v[126:127], v[124:125], 1.0
	s_delay_alu instid0(VALU_DEP_1)
	v_mul_f64 v[124:125], v[128:129], v[126:127]
	v_xor_b32_e32 v127, 0x80000000, v127
.LBB60_616:
	s_and_not1_saveexec_b32 s2, s2
	s_cbranch_execz .LBB60_618
; %bb.617:
	s_delay_alu instid0(VALU_DEP_1) | instskip(SKIP_1) | instid1(VALU_DEP_2)
	v_div_scale_f64 v[128:129], null, v[124:125], v[124:125], v[126:127]
	v_div_scale_f64 v[135:136], vcc_lo, v[126:127], v[124:125], v[126:127]
	v_rcp_f64_e32 v[130:131], v[128:129]
	s_waitcnt_depctr 0xfff
	v_fma_f64 v[133:134], -v[128:129], v[130:131], 1.0
	s_delay_alu instid0(VALU_DEP_1) | instskip(NEXT) | instid1(VALU_DEP_1)
	v_fma_f64 v[130:131], v[130:131], v[133:134], v[130:131]
	v_fma_f64 v[133:134], -v[128:129], v[130:131], 1.0
	s_delay_alu instid0(VALU_DEP_1) | instskip(NEXT) | instid1(VALU_DEP_1)
	v_fma_f64 v[130:131], v[130:131], v[133:134], v[130:131]
	v_mul_f64 v[133:134], v[135:136], v[130:131]
	s_delay_alu instid0(VALU_DEP_1) | instskip(NEXT) | instid1(VALU_DEP_1)
	v_fma_f64 v[128:129], -v[128:129], v[133:134], v[135:136]
	v_div_fmas_f64 v[128:129], v[128:129], v[130:131], v[133:134]
	s_delay_alu instid0(VALU_DEP_1) | instskip(NEXT) | instid1(VALU_DEP_1)
	v_div_fixup_f64 v[128:129], v[128:129], v[124:125], v[126:127]
	v_fma_f64 v[124:125], v[126:127], v[128:129], v[124:125]
	s_delay_alu instid0(VALU_DEP_1) | instskip(NEXT) | instid1(VALU_DEP_1)
	v_div_scale_f64 v[126:127], null, v[124:125], v[124:125], 1.0
	v_rcp_f64_e32 v[130:131], v[126:127]
	s_waitcnt_depctr 0xfff
	v_fma_f64 v[133:134], -v[126:127], v[130:131], 1.0
	s_delay_alu instid0(VALU_DEP_1) | instskip(NEXT) | instid1(VALU_DEP_1)
	v_fma_f64 v[130:131], v[130:131], v[133:134], v[130:131]
	v_fma_f64 v[133:134], -v[126:127], v[130:131], 1.0
	s_delay_alu instid0(VALU_DEP_1) | instskip(SKIP_1) | instid1(VALU_DEP_1)
	v_fma_f64 v[130:131], v[130:131], v[133:134], v[130:131]
	v_div_scale_f64 v[133:134], vcc_lo, 1.0, v[124:125], 1.0
	v_mul_f64 v[135:136], v[133:134], v[130:131]
	s_delay_alu instid0(VALU_DEP_1) | instskip(NEXT) | instid1(VALU_DEP_1)
	v_fma_f64 v[126:127], -v[126:127], v[135:136], v[133:134]
	v_div_fmas_f64 v[126:127], v[126:127], v[130:131], v[135:136]
	s_delay_alu instid0(VALU_DEP_1) | instskip(NEXT) | instid1(VALU_DEP_1)
	v_div_fixup_f64 v[124:125], v[126:127], v[124:125], 1.0
	v_mul_f64 v[126:127], v[128:129], -v[124:125]
.LBB60_618:
	s_or_b32 exec_lo, exec_lo, s2
.LBB60_619:
	s_delay_alu instid0(SALU_CYCLE_1) | instskip(NEXT) | instid1(SALU_CYCLE_1)
	s_or_b32 exec_lo, exec_lo, s3
	s_mov_b32 s2, exec_lo
	v_cmpx_ne_u32_e64 v150, v132
	s_xor_b32 s2, exec_lo, s2
	s_cbranch_execz .LBB60_625
; %bb.620:
	s_mov_b32 s3, exec_lo
	v_cmpx_eq_u32_e32 29, v150
	s_cbranch_execz .LBB60_624
; %bb.621:
	v_cmp_ne_u32_e32 vcc_lo, 29, v132
	s_xor_b32 s6, s4, -1
	s_delay_alu instid0(SALU_CYCLE_1) | instskip(NEXT) | instid1(SALU_CYCLE_1)
	s_and_b32 s7, s6, vcc_lo
	s_and_saveexec_b32 s6, s7
	s_cbranch_execz .LBB60_623
; %bb.622:
	scratch_load_b64 v[40:41], off, off     ; 8-byte Folded Reload
	v_ashrrev_i32_e32 v133, 31, v132
	s_delay_alu instid0(VALU_DEP_1) | instskip(SKIP_1) | instid1(VALU_DEP_1)
	v_lshlrev_b64 v[128:129], 2, v[132:133]
	s_waitcnt vmcnt(0)
	v_add_co_u32 v128, vcc_lo, v40, v128
	s_delay_alu instid0(VALU_DEP_2)
	v_add_co_ci_u32_e32 v129, vcc_lo, v41, v129, vcc_lo
	s_clause 0x1
	flat_load_b32 v130, v[128:129]
	flat_load_b32 v131, v[40:41] offset:116
	s_waitcnt vmcnt(1) lgkmcnt(1)
	flat_store_b32 v[40:41], v130 offset:116
	s_waitcnt vmcnt(0) lgkmcnt(1)
	flat_store_b32 v[128:129], v131
.LBB60_623:
	s_or_b32 exec_lo, exec_lo, s6
	v_mov_b32_e32 v150, v132
	v_mov_b32_e32 v149, v132
.LBB60_624:
	s_or_b32 exec_lo, exec_lo, s3
.LBB60_625:
	s_and_not1_saveexec_b32 s2, s2
	s_cbranch_execz .LBB60_627
; %bb.626:
	v_mov_b32_e32 v150, 29
	ds_store_2addr_b64 v148, v[0:1], v[2:3] offset0:60 offset1:61
.LBB60_627:
	s_or_b32 exec_lo, exec_lo, s2
	s_delay_alu instid0(SALU_CYCLE_1)
	s_mov_b32 s2, exec_lo
	s_waitcnt lgkmcnt(0)
	s_waitcnt_vscnt null, 0x0
	s_barrier
	buffer_gl0_inv
	v_cmpx_lt_i32_e32 29, v150
	s_cbranch_execz .LBB60_629
; %bb.628:
	v_mul_f64 v[128:129], v[124:125], v[6:7]
	v_mul_f64 v[6:7], v[126:127], v[6:7]
	ds_load_2addr_b64 v[132:135], v148 offset0:60 offset1:61
	v_fma_f64 v[126:127], v[126:127], v[4:5], v[128:129]
	v_fma_f64 v[4:5], v[124:125], v[4:5], -v[6:7]
	s_waitcnt lgkmcnt(0)
	s_delay_alu instid0(VALU_DEP_2) | instskip(SKIP_1) | instid1(VALU_DEP_2)
	v_mul_f64 v[6:7], v[134:135], v[126:127]
	v_mul_f64 v[124:125], v[132:133], v[126:127]
	v_fma_f64 v[6:7], v[132:133], v[4:5], -v[6:7]
	s_delay_alu instid0(VALU_DEP_2) | instskip(NEXT) | instid1(VALU_DEP_2)
	v_fma_f64 v[124:125], v[134:135], v[4:5], v[124:125]
	v_add_f64 v[0:1], v[0:1], -v[6:7]
	s_delay_alu instid0(VALU_DEP_2)
	v_add_f64 v[2:3], v[2:3], -v[124:125]
	v_dual_mov_b32 v6, v126 :: v_dual_mov_b32 v7, v127
.LBB60_629:
	s_or_b32 exec_lo, exec_lo, s2
	v_lshl_add_u32 v124, v150, 4, v148
	s_barrier
	buffer_gl0_inv
	v_mov_b32_e32 v132, 30
	ds_store_2addr_b64 v124, v[0:1], v[2:3] offset1:1
	s_waitcnt lgkmcnt(0)
	s_barrier
	buffer_gl0_inv
	ds_load_2addr_b64 v[124:127], v148 offset0:60 offset1:61
	s_cmp_lt_i32 s5, 32
	s_cbranch_scc1 .LBB60_632
; %bb.630:
	v_add3_u32 v133, v146, 0, 0x1f0
	v_mov_b32_e32 v132, 30
	s_mov_b32 s6, 31
	s_set_inst_prefetch_distance 0x1
	.p2align	6
.LBB60_631:                             ; =>This Inner Loop Header: Depth=1
	ds_load_2addr_b64 v[134:137], v133 offset1:1
	s_waitcnt lgkmcnt(1)
	v_cmp_gt_f64_e32 vcc_lo, 0, v[124:125]
	v_xor_b32_e32 v128, 0x80000000, v125
	v_cmp_gt_f64_e64 s2, 0, v[126:127]
	v_xor_b32_e32 v130, 0x80000000, v127
	v_add_nc_u32_e32 v133, 16, v133
	s_waitcnt lgkmcnt(0)
	v_cmp_gt_f64_e64 s3, 0, v[134:135]
	v_mov_b32_e32 v138, v134
	v_dual_mov_b32 v140, v136 :: v_dual_cndmask_b32 v129, v125, v128
	v_xor_b32_e32 v128, 0x80000000, v135
	v_cndmask_b32_e64 v131, v127, v130, s2
	v_xor_b32_e32 v130, 0x80000000, v137
	s_delay_alu instid0(VALU_DEP_3) | instskip(SKIP_2) | instid1(VALU_DEP_2)
	v_cndmask_b32_e64 v139, v135, v128, s3
	v_cmp_gt_f64_e64 s3, 0, v[136:137]
	v_cndmask_b32_e32 v128, v124, v124, vcc_lo
	v_cndmask_b32_e64 v141, v137, v130, s3
	v_cndmask_b32_e64 v130, v126, v126, s2
	s_delay_alu instid0(VALU_DEP_2) | instskip(NEXT) | instid1(VALU_DEP_2)
	v_add_f64 v[138:139], v[138:139], v[140:141]
	v_add_f64 v[128:129], v[128:129], v[130:131]
	s_delay_alu instid0(VALU_DEP_1)
	v_cmp_lt_f64_e32 vcc_lo, v[128:129], v[138:139]
	v_cndmask_b32_e32 v127, v127, v137, vcc_lo
	v_dual_cndmask_b32 v125, v125, v135 :: v_dual_cndmask_b32 v124, v124, v134
	v_cndmask_b32_e32 v126, v126, v136, vcc_lo
	v_cndmask_b32_e64 v132, v132, s6, vcc_lo
	s_add_i32 s6, s6, 1
	s_delay_alu instid0(SALU_CYCLE_1)
	s_cmp_lg_u32 s5, s6
	s_cbranch_scc1 .LBB60_631
.LBB60_632:
	s_set_inst_prefetch_distance 0x2
	s_waitcnt lgkmcnt(0)
	v_cmp_eq_f64_e32 vcc_lo, 0, v[124:125]
	v_cmp_eq_f64_e64 s2, 0, v[126:127]
	s_delay_alu instid0(VALU_DEP_1) | instskip(NEXT) | instid1(SALU_CYCLE_1)
	s_and_b32 s2, vcc_lo, s2
	s_and_saveexec_b32 s3, s2
	s_delay_alu instid0(SALU_CYCLE_1)
	s_xor_b32 s2, exec_lo, s3
; %bb.633:
	v_cmp_ne_u32_e32 vcc_lo, 0, v255
	v_cndmask_b32_e32 v255, 31, v255, vcc_lo
; %bb.634:
	s_and_not1_saveexec_b32 s3, s2
	s_cbranch_execz .LBB60_640
; %bb.635:
	v_cmp_gt_f64_e32 vcc_lo, 0, v[124:125]
	v_cmp_gt_f64_e64 s2, 0, v[126:127]
	v_xor_b32_e32 v128, 0x80000000, v125
	v_xor_b32_e32 v130, 0x80000000, v127
	s_delay_alu instid0(VALU_DEP_2) | instskip(NEXT) | instid1(VALU_DEP_2)
	v_cndmask_b32_e32 v129, v125, v128, vcc_lo
	v_cndmask_b32_e64 v131, v127, v130, s2
	v_cndmask_b32_e32 v128, v124, v124, vcc_lo
	v_cndmask_b32_e64 v130, v126, v126, s2
	s_mov_b32 s2, exec_lo
	s_delay_alu instid0(VALU_DEP_1)
	v_cmpx_ngt_f64_e32 v[128:129], v[130:131]
	s_xor_b32 s2, exec_lo, s2
	s_cbranch_execz .LBB60_637
; %bb.636:
	v_div_scale_f64 v[128:129], null, v[126:127], v[126:127], v[124:125]
	v_div_scale_f64 v[135:136], vcc_lo, v[124:125], v[126:127], v[124:125]
	s_delay_alu instid0(VALU_DEP_2) | instskip(SKIP_2) | instid1(VALU_DEP_1)
	v_rcp_f64_e32 v[130:131], v[128:129]
	s_waitcnt_depctr 0xfff
	v_fma_f64 v[133:134], -v[128:129], v[130:131], 1.0
	v_fma_f64 v[130:131], v[130:131], v[133:134], v[130:131]
	s_delay_alu instid0(VALU_DEP_1) | instskip(NEXT) | instid1(VALU_DEP_1)
	v_fma_f64 v[133:134], -v[128:129], v[130:131], 1.0
	v_fma_f64 v[130:131], v[130:131], v[133:134], v[130:131]
	s_delay_alu instid0(VALU_DEP_1) | instskip(NEXT) | instid1(VALU_DEP_1)
	v_mul_f64 v[133:134], v[135:136], v[130:131]
	v_fma_f64 v[128:129], -v[128:129], v[133:134], v[135:136]
	s_delay_alu instid0(VALU_DEP_1) | instskip(NEXT) | instid1(VALU_DEP_1)
	v_div_fmas_f64 v[128:129], v[128:129], v[130:131], v[133:134]
	v_div_fixup_f64 v[128:129], v[128:129], v[126:127], v[124:125]
	s_delay_alu instid0(VALU_DEP_1) | instskip(NEXT) | instid1(VALU_DEP_1)
	v_fma_f64 v[124:125], v[124:125], v[128:129], v[126:127]
	v_div_scale_f64 v[126:127], null, v[124:125], v[124:125], 1.0
	s_delay_alu instid0(VALU_DEP_1) | instskip(SKIP_2) | instid1(VALU_DEP_1)
	v_rcp_f64_e32 v[130:131], v[126:127]
	s_waitcnt_depctr 0xfff
	v_fma_f64 v[133:134], -v[126:127], v[130:131], 1.0
	v_fma_f64 v[130:131], v[130:131], v[133:134], v[130:131]
	s_delay_alu instid0(VALU_DEP_1) | instskip(NEXT) | instid1(VALU_DEP_1)
	v_fma_f64 v[133:134], -v[126:127], v[130:131], 1.0
	v_fma_f64 v[130:131], v[130:131], v[133:134], v[130:131]
	v_div_scale_f64 v[133:134], vcc_lo, 1.0, v[124:125], 1.0
	s_delay_alu instid0(VALU_DEP_1) | instskip(NEXT) | instid1(VALU_DEP_1)
	v_mul_f64 v[135:136], v[133:134], v[130:131]
	v_fma_f64 v[126:127], -v[126:127], v[135:136], v[133:134]
	s_delay_alu instid0(VALU_DEP_1) | instskip(NEXT) | instid1(VALU_DEP_1)
	v_div_fmas_f64 v[126:127], v[126:127], v[130:131], v[135:136]
	v_div_fixup_f64 v[126:127], v[126:127], v[124:125], 1.0
	s_delay_alu instid0(VALU_DEP_1)
	v_mul_f64 v[124:125], v[128:129], v[126:127]
	v_xor_b32_e32 v127, 0x80000000, v127
.LBB60_637:
	s_and_not1_saveexec_b32 s2, s2
	s_cbranch_execz .LBB60_639
; %bb.638:
	s_delay_alu instid0(VALU_DEP_1) | instskip(SKIP_1) | instid1(VALU_DEP_2)
	v_div_scale_f64 v[128:129], null, v[124:125], v[124:125], v[126:127]
	v_div_scale_f64 v[135:136], vcc_lo, v[126:127], v[124:125], v[126:127]
	v_rcp_f64_e32 v[130:131], v[128:129]
	s_waitcnt_depctr 0xfff
	v_fma_f64 v[133:134], -v[128:129], v[130:131], 1.0
	s_delay_alu instid0(VALU_DEP_1) | instskip(NEXT) | instid1(VALU_DEP_1)
	v_fma_f64 v[130:131], v[130:131], v[133:134], v[130:131]
	v_fma_f64 v[133:134], -v[128:129], v[130:131], 1.0
	s_delay_alu instid0(VALU_DEP_1) | instskip(NEXT) | instid1(VALU_DEP_1)
	v_fma_f64 v[130:131], v[130:131], v[133:134], v[130:131]
	v_mul_f64 v[133:134], v[135:136], v[130:131]
	s_delay_alu instid0(VALU_DEP_1) | instskip(NEXT) | instid1(VALU_DEP_1)
	v_fma_f64 v[128:129], -v[128:129], v[133:134], v[135:136]
	v_div_fmas_f64 v[128:129], v[128:129], v[130:131], v[133:134]
	s_delay_alu instid0(VALU_DEP_1) | instskip(NEXT) | instid1(VALU_DEP_1)
	v_div_fixup_f64 v[128:129], v[128:129], v[124:125], v[126:127]
	v_fma_f64 v[124:125], v[126:127], v[128:129], v[124:125]
	s_delay_alu instid0(VALU_DEP_1) | instskip(NEXT) | instid1(VALU_DEP_1)
	v_div_scale_f64 v[126:127], null, v[124:125], v[124:125], 1.0
	v_rcp_f64_e32 v[130:131], v[126:127]
	s_waitcnt_depctr 0xfff
	v_fma_f64 v[133:134], -v[126:127], v[130:131], 1.0
	s_delay_alu instid0(VALU_DEP_1) | instskip(NEXT) | instid1(VALU_DEP_1)
	v_fma_f64 v[130:131], v[130:131], v[133:134], v[130:131]
	v_fma_f64 v[133:134], -v[126:127], v[130:131], 1.0
	s_delay_alu instid0(VALU_DEP_1) | instskip(SKIP_1) | instid1(VALU_DEP_1)
	v_fma_f64 v[130:131], v[130:131], v[133:134], v[130:131]
	v_div_scale_f64 v[133:134], vcc_lo, 1.0, v[124:125], 1.0
	v_mul_f64 v[135:136], v[133:134], v[130:131]
	s_delay_alu instid0(VALU_DEP_1) | instskip(NEXT) | instid1(VALU_DEP_1)
	v_fma_f64 v[126:127], -v[126:127], v[135:136], v[133:134]
	v_div_fmas_f64 v[126:127], v[126:127], v[130:131], v[135:136]
	s_delay_alu instid0(VALU_DEP_1) | instskip(NEXT) | instid1(VALU_DEP_1)
	v_div_fixup_f64 v[124:125], v[126:127], v[124:125], 1.0
	v_mul_f64 v[126:127], v[128:129], -v[124:125]
.LBB60_639:
	s_or_b32 exec_lo, exec_lo, s2
.LBB60_640:
	s_delay_alu instid0(SALU_CYCLE_1)
	s_or_b32 exec_lo, exec_lo, s3
	v_mov_b32_e32 v133, 30
	s_mov_b32 s2, exec_lo
	v_cmpx_ne_u32_e64 v150, v132
	s_cbranch_execz .LBB60_646
; %bb.641:
	s_mov_b32 s3, exec_lo
	v_cmpx_eq_u32_e32 30, v150
	s_cbranch_execz .LBB60_645
; %bb.642:
	v_cmp_ne_u32_e32 vcc_lo, 30, v132
	s_xor_b32 s4, s4, -1
	s_delay_alu instid0(SALU_CYCLE_1) | instskip(NEXT) | instid1(SALU_CYCLE_1)
	s_and_b32 s5, s4, vcc_lo
	s_and_saveexec_b32 s4, s5
	s_cbranch_execz .LBB60_644
; %bb.643:
	scratch_load_b64 v[40:41], off, off     ; 8-byte Folded Reload
	v_ashrrev_i32_e32 v133, 31, v132
	s_delay_alu instid0(VALU_DEP_1) | instskip(SKIP_1) | instid1(VALU_DEP_1)
	v_lshlrev_b64 v[128:129], 2, v[132:133]
	s_waitcnt vmcnt(0)
	v_add_co_u32 v128, vcc_lo, v40, v128
	s_delay_alu instid0(VALU_DEP_2)
	v_add_co_ci_u32_e32 v129, vcc_lo, v41, v129, vcc_lo
	s_clause 0x1
	flat_load_b32 v130, v[128:129]
	flat_load_b32 v131, v[40:41] offset:120
	s_waitcnt vmcnt(1) lgkmcnt(1)
	flat_store_b32 v[40:41], v130 offset:120
	s_waitcnt vmcnt(0) lgkmcnt(1)
	flat_store_b32 v[128:129], v131
.LBB60_644:
	s_or_b32 exec_lo, exec_lo, s4
	v_mov_b32_e32 v150, v132
	v_mov_b32_e32 v149, v132
.LBB60_645:
	s_or_b32 exec_lo, exec_lo, s3
	s_delay_alu instid0(VALU_DEP_2)
	v_mov_b32_e32 v133, v150
.LBB60_646:
	s_or_b32 exec_lo, exec_lo, s2
	s_delay_alu instid0(SALU_CYCLE_1)
	s_mov_b32 s2, exec_lo
	s_waitcnt lgkmcnt(0)
	s_waitcnt_vscnt null, 0x0
	s_barrier
	buffer_gl0_inv
	v_cmpx_lt_i32_e32 30, v133
; %bb.647:
	v_mul_f64 v[128:129], v[126:127], v[2:3]
	v_mul_f64 v[2:3], v[124:125], v[2:3]
	s_delay_alu instid0(VALU_DEP_2) | instskip(NEXT) | instid1(VALU_DEP_2)
	v_fma_f64 v[124:125], v[124:125], v[0:1], -v[128:129]
	v_fma_f64 v[2:3], v[126:127], v[0:1], v[2:3]
	s_delay_alu instid0(VALU_DEP_2)
	v_dual_mov_b32 v0, v124 :: v_dual_mov_b32 v1, v125
; %bb.648:
	s_or_b32 exec_lo, exec_lo, s2
	s_load_b256 s[0:7], s[0:1], 0x28
	v_ashrrev_i32_e32 v134, 31, v133
	s_mov_b32 s9, exec_lo
	s_waitcnt lgkmcnt(0)
	s_barrier
	buffer_gl0_inv
	v_cmpx_gt_i32_e32 31, v133
	s_cbranch_execz .LBB60_650
; %bb.649:
	v_mul_lo_u32 v126, v250, s4
	v_mul_lo_u32 v127, v249, s5
	v_mad_u64_u32 v[124:125], null, v249, s4, 0
	s_lshl_b64 s[2:3], s[2:3], 2
	s_delay_alu instid0(SALU_CYCLE_1) | instskip(SKIP_1) | instid1(VALU_DEP_1)
	s_add_u32 s0, s2, s0
	s_addc_u32 s1, s3, s1
	v_add3_u32 v125, v125, v127, v126
	v_lshlrev_b64 v[126:127], 2, v[133:134]
	s_delay_alu instid0(VALU_DEP_2) | instskip(NEXT) | instid1(VALU_DEP_1)
	v_lshlrev_b64 v[124:125], 2, v[124:125]
	v_add_co_u32 v124, vcc_lo, s0, v124
	s_delay_alu instid0(VALU_DEP_2) | instskip(NEXT) | instid1(VALU_DEP_2)
	v_add_co_ci_u32_e32 v125, vcc_lo, s1, v125, vcc_lo
	v_add_co_u32 v124, vcc_lo, v124, v126
	s_delay_alu instid0(VALU_DEP_2)
	v_add_co_ci_u32_e32 v125, vcc_lo, v125, v127, vcc_lo
	v_add3_u32 v126, v149, s13, 1
	global_store_b32 v[124:125], v126, off
.LBB60_650:
	s_or_b32 exec_lo, exec_lo, s9
	s_delay_alu instid0(SALU_CYCLE_1)
	s_mov_b32 s1, exec_lo
	v_cmpx_eq_u32_e32 0, v133
	s_cbranch_execz .LBB60_653
; %bb.651:
	v_lshlrev_b64 v[124:125], 2, v[249:250]
	v_cmp_lt_i32_e64 s0, 0, v255
	s_delay_alu instid0(VALU_DEP_2) | instskip(NEXT) | instid1(VALU_DEP_3)
	v_add_co_u32 v124, vcc_lo, s6, v124
	v_add_co_ci_u32_e32 v125, vcc_lo, s7, v125, vcc_lo
	global_load_b32 v126, v[124:125], off
	s_waitcnt vmcnt(0)
	v_cmp_eq_u32_e32 vcc_lo, 0, v126
	s_and_b32 s0, vcc_lo, s0
	s_delay_alu instid0(SALU_CYCLE_1)
	s_and_b32 exec_lo, exec_lo, s0
	s_cbranch_execz .LBB60_653
; %bb.652:
	v_add_nc_u32_e32 v126, s13, v255
	global_store_b32 v[124:125], v126, off
.LBB60_653:
	s_or_b32 exec_lo, exec_lo, s1
	v_lshlrev_b64 v[126:127], 4, v[133:134]
	v_add3_u32 v124, s8, s8, v133
	s_delay_alu instid0(VALU_DEP_1) | instskip(NEXT) | instid1(VALU_DEP_3)
	v_add_nc_u32_e32 v128, s8, v124
	v_add_co_u32 v126, vcc_lo, v144, v126
	v_ashrrev_i32_e32 v125, 31, v124
	v_add_co_ci_u32_e32 v127, vcc_lo, v145, v127, vcc_lo
	s_delay_alu instid0(VALU_DEP_4) | instskip(NEXT) | instid1(VALU_DEP_3)
	v_ashrrev_i32_e32 v129, 31, v128
	v_lshlrev_b64 v[124:125], 4, v[124:125]
	global_store_b128 v[126:127], v[52:55], off
	v_add_co_u32 v52, vcc_lo, v126, s10
	v_add_nc_u32_e32 v126, s8, v128
	v_lshlrev_b64 v[54:55], 4, v[128:129]
	v_add_co_ci_u32_e32 v53, vcc_lo, s11, v127, vcc_lo
	v_add_co_u32 v124, vcc_lo, v144, v124
	s_delay_alu instid0(VALU_DEP_4) | instskip(SKIP_3) | instid1(VALU_DEP_4)
	v_add_nc_u32_e32 v128, s8, v126
	v_ashrrev_i32_e32 v127, 31, v126
	v_add_co_ci_u32_e32 v125, vcc_lo, v145, v125, vcc_lo
	v_add_co_u32 v54, vcc_lo, v144, v54
	v_ashrrev_i32_e32 v129, 31, v128
	global_store_b128 v[52:53], v[251:254], off
	v_add_nc_u32_e32 v52, s8, v128
	v_add_co_ci_u32_e32 v55, vcc_lo, v145, v55, vcc_lo
	v_lshlrev_b64 v[40:41], 4, v[126:127]
	s_clause 0x1
	global_store_b128 v[124:125], v[245:248], off
	global_store_b128 v[54:55], v[120:123], off
	v_lshlrev_b64 v[42:43], 4, v[128:129]
	v_add_nc_u32_e32 v54, s8, v52
	v_ashrrev_i32_e32 v53, 31, v52
	v_add_co_u32 v40, vcc_lo, v144, v40
	v_add_co_ci_u32_e32 v41, vcc_lo, v145, v41, vcc_lo
	s_delay_alu instid0(VALU_DEP_4)
	v_add_nc_u32_e32 v116, s8, v54
	v_add_co_u32 v42, vcc_lo, v144, v42
	v_ashrrev_i32_e32 v55, 31, v54
	v_lshlrev_b64 v[52:53], 4, v[52:53]
	v_add_co_ci_u32_e32 v43, vcc_lo, v145, v43, vcc_lo
	v_ashrrev_i32_e32 v117, 31, v116
	s_clause 0x1
	global_store_b128 v[40:41], v[108:111], off
	global_store_b128 v[42:43], v[104:107], off
	v_lshlrev_b64 v[40:41], 4, v[54:55]
	v_add_co_u32 v42, vcc_lo, v144, v52
	v_add_co_ci_u32_e32 v43, vcc_lo, v145, v53, vcc_lo
	v_lshlrev_b64 v[52:53], 4, v[116:117]
	v_add_nc_u32_e32 v54, s8, v116
	v_add_co_u32 v40, vcc_lo, v144, v40
	v_add_co_ci_u32_e32 v41, vcc_lo, v145, v41, vcc_lo
	s_delay_alu instid0(VALU_DEP_4) | instskip(NEXT) | instid1(VALU_DEP_4)
	v_add_co_u32 v52, vcc_lo, v144, v52
	v_add_nc_u32_e32 v104, s8, v54
	v_add_co_ci_u32_e32 v53, vcc_lo, v145, v53, vcc_lo
	v_ashrrev_i32_e32 v55, 31, v54
	global_store_b128 v[42:43], v[84:87], off
	v_ashrrev_i32_e32 v105, 31, v104
	s_clause 0x1
	global_store_b128 v[40:41], v[80:83], off
	global_store_b128 v[52:53], v[100:103], off
	v_add_nc_u32_e32 v52, s8, v104
	v_lshlrev_b64 v[42:43], 4, v[54:55]
	v_lshlrev_b64 v[40:41], 4, v[104:105]
	s_delay_alu instid0(VALU_DEP_3) | instskip(SKIP_1) | instid1(VALU_DEP_4)
	v_add_nc_u32_e32 v54, s8, v52
	v_ashrrev_i32_e32 v53, 31, v52
	v_add_co_u32 v42, vcc_lo, v144, v42
	v_add_co_ci_u32_e32 v43, vcc_lo, v145, v43, vcc_lo
	s_delay_alu instid0(VALU_DEP_4)
	v_add_nc_u32_e32 v80, s8, v54
	v_add_co_u32 v40, vcc_lo, v144, v40
	v_ashrrev_i32_e32 v55, 31, v54
	v_lshlrev_b64 v[52:53], 4, v[52:53]
	v_add_co_ci_u32_e32 v41, vcc_lo, v145, v41, vcc_lo
	v_ashrrev_i32_e32 v81, 31, v80
	s_clause 0x1
	global_store_b128 v[42:43], v[76:79], off
	global_store_b128 v[40:41], v[112:115], off
	v_lshlrev_b64 v[40:41], 4, v[54:55]
	v_add_co_u32 v42, vcc_lo, v144, v52
	v_add_co_ci_u32_e32 v43, vcc_lo, v145, v53, vcc_lo
	v_lshlrev_b64 v[52:53], 4, v[80:81]
	v_add_nc_u32_e32 v54, s8, v80
	v_add_co_u32 v40, vcc_lo, v144, v40
	v_add_co_ci_u32_e32 v41, vcc_lo, v145, v41, vcc_lo
	s_delay_alu instid0(VALU_DEP_4) | instskip(NEXT) | instid1(VALU_DEP_4)
	v_add_co_u32 v52, vcc_lo, v144, v52
	v_add_nc_u32_e32 v76, s8, v54
	v_add_co_ci_u32_e32 v53, vcc_lo, v145, v53, vcc_lo
	v_ashrrev_i32_e32 v55, 31, v54
	global_store_b128 v[42:43], v[96:99], off
	v_ashrrev_i32_e32 v77, 31, v76
	s_clause 0x1
	global_store_b128 v[40:41], v[92:95], off
	global_store_b128 v[52:53], v[88:91], off
	v_add_nc_u32_e32 v52, s8, v76
	v_lshlrev_b64 v[42:43], 4, v[54:55]
	v_lshlrev_b64 v[40:41], 4, v[76:77]
	s_delay_alu instid0(VALU_DEP_3) | instskip(SKIP_1) | instid1(VALU_DEP_4)
	v_add_nc_u32_e32 v54, s8, v52
	v_ashrrev_i32_e32 v53, 31, v52
	v_add_co_u32 v42, vcc_lo, v144, v42
	v_add_co_ci_u32_e32 v43, vcc_lo, v145, v43, vcc_lo
	s_delay_alu instid0(VALU_DEP_4)
	v_add_nc_u32_e32 v76, s8, v54
	v_add_co_u32 v40, vcc_lo, v144, v40
	v_ashrrev_i32_e32 v55, 31, v54
	v_lshlrev_b64 v[52:53], 4, v[52:53]
	v_add_co_ci_u32_e32 v41, vcc_lo, v145, v41, vcc_lo
	v_ashrrev_i32_e32 v77, 31, v76
	s_clause 0x1
	global_store_b128 v[42:43], v[72:75], off
	global_store_b128 v[40:41], v[68:71], off
	v_lshlrev_b64 v[40:41], 4, v[54:55]
	v_add_co_u32 v42, vcc_lo, v144, v52
	v_add_co_ci_u32_e32 v43, vcc_lo, v145, v53, vcc_lo
	v_lshlrev_b64 v[52:53], 4, v[76:77]
	v_add_nc_u32_e32 v54, s8, v76
	v_add_co_u32 v40, vcc_lo, v144, v40
	v_add_co_ci_u32_e32 v41, vcc_lo, v145, v41, vcc_lo
	s_delay_alu instid0(VALU_DEP_4) | instskip(NEXT) | instid1(VALU_DEP_4)
	v_add_co_u32 v52, vcc_lo, v144, v52
	v_add_nc_u32_e32 v68, s8, v54
	v_add_co_ci_u32_e32 v53, vcc_lo, v145, v53, vcc_lo
	v_ashrrev_i32_e32 v55, 31, v54
	global_store_b128 v[42:43], v[64:67], off
	v_ashrrev_i32_e32 v69, 31, v68
	s_clause 0x1
	global_store_b128 v[40:41], v[60:63], off
	global_store_b128 v[52:53], v[56:59], off
	v_add_nc_u32_e32 v52, s8, v68
	v_lshlrev_b64 v[42:43], 4, v[54:55]
	v_lshlrev_b64 v[40:41], 4, v[68:69]
	s_delay_alu instid0(VALU_DEP_3) | instskip(SKIP_1) | instid1(VALU_DEP_4)
	v_add_nc_u32_e32 v54, s8, v52
	v_ashrrev_i32_e32 v53, 31, v52
	v_add_co_u32 v42, vcc_lo, v144, v42
	v_add_co_ci_u32_e32 v43, vcc_lo, v145, v43, vcc_lo
	s_delay_alu instid0(VALU_DEP_4)
	v_add_nc_u32_e32 v56, s8, v54
	v_add_co_u32 v40, vcc_lo, v144, v40
	v_ashrrev_i32_e32 v55, 31, v54
	v_add_co_ci_u32_e32 v41, vcc_lo, v145, v41, vcc_lo
	v_lshlrev_b64 v[52:53], 4, v[52:53]
	v_ashrrev_i32_e32 v57, 31, v56
	s_clause 0x1
	global_store_b128 v[42:43], v[48:51], off
	global_store_b128 v[40:41], v[44:47], off
	v_lshlrev_b64 v[40:41], 4, v[54:55]
	v_add_nc_u32_e32 v46, s8, v56
	v_add_co_u32 v42, vcc_lo, v144, v52
	v_lshlrev_b64 v[44:45], 4, v[56:57]
	v_add_co_ci_u32_e32 v43, vcc_lo, v145, v53, vcc_lo
	v_add_co_u32 v40, vcc_lo, v144, v40
	v_add_nc_u32_e32 v48, s8, v46
	v_add_co_ci_u32_e32 v41, vcc_lo, v145, v41, vcc_lo
	v_ashrrev_i32_e32 v47, 31, v46
	v_add_co_u32 v44, vcc_lo, v144, v44
	v_add_co_ci_u32_e32 v45, vcc_lo, v145, v45, vcc_lo
	v_ashrrev_i32_e32 v49, 31, v48
	global_store_b128 v[42:43], v[36:39], off
	v_lshlrev_b64 v[36:37], 4, v[46:47]
	s_clause 0x1
	global_store_b128 v[40:41], v[32:35], off
	global_store_b128 v[44:45], v[28:31], off
	v_add_nc_u32_e32 v30, s8, v48
	v_lshlrev_b64 v[28:29], 4, v[48:49]
	v_add_co_u32 v32, vcc_lo, v144, v36
	s_delay_alu instid0(VALU_DEP_3) | instskip(SKIP_1) | instid1(VALU_DEP_4)
	v_add_nc_u32_e32 v34, s8, v30
	v_add_co_ci_u32_e32 v33, vcc_lo, v145, v37, vcc_lo
	v_add_co_u32 v28, vcc_lo, v144, v28
	v_add_co_ci_u32_e32 v29, vcc_lo, v145, v29, vcc_lo
	s_delay_alu instid0(VALU_DEP_4)
	v_add_nc_u32_e32 v36, s8, v34
	v_ashrrev_i32_e32 v31, 31, v30
	s_clause 0x1
	global_store_b128 v[32:33], v[24:27], off
	global_store_b128 v[28:29], v[20:23], off
	v_ashrrev_i32_e32 v35, 31, v34
	v_add_nc_u32_e32 v22, s8, v36
	v_lshlrev_b64 v[24:25], 4, v[30:31]
	v_ashrrev_i32_e32 v37, 31, v36
	s_delay_alu instid0(VALU_DEP_4) | instskip(NEXT) | instid1(VALU_DEP_4)
	v_lshlrev_b64 v[20:21], 4, v[34:35]
	v_add_nc_u32_e32 v28, s8, v22
	v_ashrrev_i32_e32 v23, 31, v22
	v_add_co_u32 v24, vcc_lo, v144, v24
	v_lshlrev_b64 v[26:27], 4, v[36:37]
	s_delay_alu instid0(VALU_DEP_4)
	v_ashrrev_i32_e32 v29, 31, v28
	v_add_co_ci_u32_e32 v25, vcc_lo, v145, v25, vcc_lo
	v_add_co_u32 v20, vcc_lo, v144, v20
	v_lshlrev_b64 v[22:23], 4, v[22:23]
	v_add_co_ci_u32_e32 v21, vcc_lo, v145, v21, vcc_lo
	v_add_co_u32 v26, vcc_lo, v144, v26
	v_lshlrev_b64 v[28:29], 4, v[28:29]
	v_add_co_ci_u32_e32 v27, vcc_lo, v145, v27, vcc_lo
	v_add_co_u32 v22, vcc_lo, v144, v22
	v_add_co_ci_u32_e32 v23, vcc_lo, v145, v23, vcc_lo
	s_delay_alu instid0(VALU_DEP_4)
	v_add_co_u32 v28, vcc_lo, v144, v28
	v_add_co_ci_u32_e32 v29, vcc_lo, v145, v29, vcc_lo
	s_clause 0x4
	global_store_b128 v[24:25], v[16:19], off
	global_store_b128 v[20:21], v[12:15], off
	;; [unrolled: 1-line block ×5, first 2 shown]
.LBB60_654:
	s_nop 0
	s_sendmsg sendmsg(MSG_DEALLOC_VGPRS)
	s_endpgm
	.section	.rodata,"a",@progbits
	.p2align	6, 0x0
	.amdhsa_kernel _ZN9rocsolver6v33100L18getf2_small_kernelILi31E19rocblas_complex_numIdEiiPKPS3_EEvT1_T3_lS7_lPS7_llPT2_S7_S7_S9_l
		.amdhsa_group_segment_fixed_size 0
		.amdhsa_private_segment_fixed_size 12
		.amdhsa_kernarg_size 352
		.amdhsa_user_sgpr_count 14
		.amdhsa_user_sgpr_dispatch_ptr 0
		.amdhsa_user_sgpr_queue_ptr 0
		.amdhsa_user_sgpr_kernarg_segment_ptr 1
		.amdhsa_user_sgpr_dispatch_id 0
		.amdhsa_user_sgpr_private_segment_size 0
		.amdhsa_wavefront_size32 1
		.amdhsa_uses_dynamic_stack 0
		.amdhsa_enable_private_segment 1
		.amdhsa_system_sgpr_workgroup_id_x 1
		.amdhsa_system_sgpr_workgroup_id_y 1
		.amdhsa_system_sgpr_workgroup_id_z 0
		.amdhsa_system_sgpr_workgroup_info 0
		.amdhsa_system_vgpr_workitem_id 1
		.amdhsa_next_free_vgpr 256
		.amdhsa_next_free_sgpr 16
		.amdhsa_reserve_vcc 1
		.amdhsa_float_round_mode_32 0
		.amdhsa_float_round_mode_16_64 0
		.amdhsa_float_denorm_mode_32 3
		.amdhsa_float_denorm_mode_16_64 3
		.amdhsa_dx10_clamp 1
		.amdhsa_ieee_mode 1
		.amdhsa_fp16_overflow 0
		.amdhsa_workgroup_processor_mode 1
		.amdhsa_memory_ordered 1
		.amdhsa_forward_progress 0
		.amdhsa_shared_vgpr_count 0
		.amdhsa_exception_fp_ieee_invalid_op 0
		.amdhsa_exception_fp_denorm_src 0
		.amdhsa_exception_fp_ieee_div_zero 0
		.amdhsa_exception_fp_ieee_overflow 0
		.amdhsa_exception_fp_ieee_underflow 0
		.amdhsa_exception_fp_ieee_inexact 0
		.amdhsa_exception_int_div_zero 0
	.end_amdhsa_kernel
	.section	.text._ZN9rocsolver6v33100L18getf2_small_kernelILi31E19rocblas_complex_numIdEiiPKPS3_EEvT1_T3_lS7_lPS7_llPT2_S7_S7_S9_l,"axG",@progbits,_ZN9rocsolver6v33100L18getf2_small_kernelILi31E19rocblas_complex_numIdEiiPKPS3_EEvT1_T3_lS7_lPS7_llPT2_S7_S7_S9_l,comdat
.Lfunc_end60:
	.size	_ZN9rocsolver6v33100L18getf2_small_kernelILi31E19rocblas_complex_numIdEiiPKPS3_EEvT1_T3_lS7_lPS7_llPT2_S7_S7_S9_l, .Lfunc_end60-_ZN9rocsolver6v33100L18getf2_small_kernelILi31E19rocblas_complex_numIdEiiPKPS3_EEvT1_T3_lS7_lPS7_llPT2_S7_S7_S9_l
                                        ; -- End function
	.section	.AMDGPU.csdata,"",@progbits
; Kernel info:
; codeLenInByte = 73868
; NumSgprs: 18
; NumVgprs: 256
; ScratchSize: 12
; MemoryBound: 0
; FloatMode: 240
; IeeeMode: 1
; LDSByteSize: 0 bytes/workgroup (compile time only)
; SGPRBlocks: 2
; VGPRBlocks: 31
; NumSGPRsForWavesPerEU: 18
; NumVGPRsForWavesPerEU: 256
; Occupancy: 5
; WaveLimiterHint : 1
; COMPUTE_PGM_RSRC2:SCRATCH_EN: 1
; COMPUTE_PGM_RSRC2:USER_SGPR: 14
; COMPUTE_PGM_RSRC2:TRAP_HANDLER: 0
; COMPUTE_PGM_RSRC2:TGID_X_EN: 1
; COMPUTE_PGM_RSRC2:TGID_Y_EN: 1
; COMPUTE_PGM_RSRC2:TGID_Z_EN: 0
; COMPUTE_PGM_RSRC2:TIDIG_COMP_CNT: 1
	.section	.text._ZN9rocsolver6v33100L23getf2_npvt_small_kernelILi31E19rocblas_complex_numIdEiiPKPS3_EEvT1_T3_lS7_lPT2_S7_S7_,"axG",@progbits,_ZN9rocsolver6v33100L23getf2_npvt_small_kernelILi31E19rocblas_complex_numIdEiiPKPS3_EEvT1_T3_lS7_lPT2_S7_S7_,comdat
	.globl	_ZN9rocsolver6v33100L23getf2_npvt_small_kernelILi31E19rocblas_complex_numIdEiiPKPS3_EEvT1_T3_lS7_lPT2_S7_S7_ ; -- Begin function _ZN9rocsolver6v33100L23getf2_npvt_small_kernelILi31E19rocblas_complex_numIdEiiPKPS3_EEvT1_T3_lS7_lPT2_S7_S7_
	.p2align	8
	.type	_ZN9rocsolver6v33100L23getf2_npvt_small_kernelILi31E19rocblas_complex_numIdEiiPKPS3_EEvT1_T3_lS7_lPT2_S7_S7_,@function
_ZN9rocsolver6v33100L23getf2_npvt_small_kernelILi31E19rocblas_complex_numIdEiiPKPS3_EEvT1_T3_lS7_lPT2_S7_S7_: ; @_ZN9rocsolver6v33100L23getf2_npvt_small_kernelILi31E19rocblas_complex_numIdEiiPKPS3_EEvT1_T3_lS7_lPT2_S7_S7_
; %bb.0:
	s_clause 0x1
	s_load_b32 s2, s[0:1], 0x44
	s_load_b64 s[8:9], s[0:1], 0x30
	v_bfe_u32 v124, v0, 10, 10
	s_waitcnt lgkmcnt(0)
	s_lshr_b32 s10, s2, 16
	s_mov_b32 s2, exec_lo
	s_delay_alu instid0(VALU_DEP_1) | instskip(NEXT) | instid1(VALU_DEP_1)
	v_mad_u64_u32 v[251:252], null, s15, s10, v[124:125]
	v_cmpx_gt_i32_e64 s8, v251
	s_cbranch_execz .LBB61_284
; %bb.1:
	s_clause 0x1
	s_load_b128 s[4:7], s[0:1], 0x8
	s_load_b32 s2, s[0:1], 0x18
	v_ashrrev_i32_e32 v252, 31, v251
	v_and_b32_e32 v248, 0x3ff, v0
	v_lshlrev_b32_e32 v125, 4, v124
	s_mulk_i32 s10, 0x1f0
	v_mad_u32_u24 v250, 0x1f0, v124, 0
	v_lshlrev_b64 v[1:2], 3, v[251:252]
	v_lshlrev_b32_e32 v61, 4, v248
	v_add3_u32 v249, 0, s10, v125
	s_waitcnt lgkmcnt(0)
	s_delay_alu instid0(VALU_DEP_3) | instskip(NEXT) | instid1(VALU_DEP_4)
	v_add_co_u32 v1, vcc_lo, s4, v1
	v_add_co_ci_u32_e32 v2, vcc_lo, s5, v2, vcc_lo
	v_add3_u32 v3, s2, s2, v248
	s_lshl_b64 s[6:7], s[6:7], 4
	s_ashr_i32 s3, s2, 31
	global_load_b64 v[1:2], v[1:2], off
	s_lshl_b64 s[4:5], s[2:3], 4
	v_add_nc_u32_e32 v5, s2, v3
	v_ashrrev_i32_e32 v4, 31, v3
	v_cmp_ne_u32_e64 s3, 0, v248
	s_delay_alu instid0(VALU_DEP_3) | instskip(SKIP_1) | instid1(VALU_DEP_4)
	v_add_nc_u32_e32 v7, s2, v5
	v_ashrrev_i32_e32 v6, 31, v5
	v_lshlrev_b64 v[3:4], 4, v[3:4]
	s_delay_alu instid0(VALU_DEP_3) | instskip(SKIP_1) | instid1(VALU_DEP_4)
	v_add_nc_u32_e32 v9, s2, v7
	v_ashrrev_i32_e32 v8, 31, v7
	v_lshlrev_b64 v[5:6], 4, v[5:6]
	;; [unrolled: 4-line block ×27, first 2 shown]
	v_cmp_eq_u32_e64 s2, 0, v248
	s_delay_alu instid0(VALU_DEP_4) | instskip(NEXT) | instid1(VALU_DEP_4)
	v_ashrrev_i32_e32 v60, 31, v59
	v_lshlrev_b64 v[57:58], 4, v[57:58]
	s_waitcnt vmcnt(0)
	v_add_co_u32 v62, vcc_lo, v1, s6
	v_add_co_ci_u32_e32 v2, vcc_lo, s7, v2, vcc_lo
	v_lshlrev_b64 v[0:1], 4, v[59:60]
	s_delay_alu instid0(VALU_DEP_3) | instskip(NEXT) | instid1(VALU_DEP_3)
	v_add_co_u32 v118, vcc_lo, v62, v61
	v_add_co_ci_u32_e32 v119, vcc_lo, 0, v2, vcc_lo
	v_add_co_u32 v87, vcc_lo, v62, v3
	v_add_co_ci_u32_e32 v88, vcc_lo, v2, v4, vcc_lo
	;; [unrolled: 2-line block ×31, first 2 shown]
	s_clause 0x3
	scratch_store_b64 off, v[87:88], off offset:240
	scratch_store_b64 off, v[85:86], off offset:232
	;; [unrolled: 1-line block ×4, first 2 shown]
	s_clause 0x4
	global_load_b128 v[112:115], v[87:88], off
	global_load_b128 v[108:111], v[85:86], off
	;; [unrolled: 1-line block ×5, first 2 shown]
	s_clause 0x3
	scratch_store_b64 off, v[79:80], off offset:208
	scratch_store_b64 off, v[77:78], off offset:200
	;; [unrolled: 1-line block ×4, first 2 shown]
	s_clause 0x3
	global_load_b128 v[92:95], v[77:78], off
	global_load_b128 v[88:91], v[75:76], off
	;; [unrolled: 1-line block ×4, first 2 shown]
	s_clause 0x3
	scratch_store_b64 off, v[71:72], off offset:176
	scratch_store_b64 off, v[69:70], off offset:168
	;; [unrolled: 1-line block ×4, first 2 shown]
	s_clause 0x2
	global_load_b128 v[76:79], v[69:70], off
	global_load_b128 v[72:75], v[67:68], off
	global_load_b128 v[68:71], v[65:66], off
	s_clause 0x3
	scratch_store_b64 off, v[63:64], off offset:144
	scratch_store_b64 off, v[59:60], off offset:136
	scratch_store_b64 off, v[29:30], off offset:128
	scratch_store_b64 off, v[27:28], off offset:120
	s_clause 0x3
	global_load_b128 v[64:67], v[63:64], off
	global_load_b128 v[60:63], v[59:60], off
	global_load_b128 v[56:59], v[29:30], off
	global_load_b128 v[52:55], v[27:28], off
	s_clause 0x3
	scratch_store_b64 off, v[25:26], off offset:112
	scratch_store_b64 off, v[23:24], off offset:104
	scratch_store_b64 off, v[21:22], off offset:96
	scratch_store_b64 off, v[19:20], off offset:88
	s_clause 0x3
	global_load_b128 v[48:51], v[25:26], off
	;; [unrolled: 10-line block ×4, first 2 shown]
	global_load_b128 v[12:15], v[7:8], off
	global_load_b128 v[8:11], v[5:6], off
	;; [unrolled: 1-line block ×3, first 2 shown]
	scratch_store_b64 off, v[118:119], off offset:272 ; 8-byte Folded Spill
	global_load_b128 v[118:121], v[118:119], off
	s_waitcnt vmcnt(0)
	s_clause 0x1
	scratch_store_b128 off, v[118:121], off
	scratch_store_b64 off, v[116:117], off offset:248
	global_load_b128 v[116:119], v[116:117], off
	scratch_store_b64 off, v[0:1], off offset:16 ; 8-byte Folded Spill
	global_load_b128 v[0:3], v[0:1], off
	s_and_saveexec_b32 s5, s2
	s_cbranch_execz .LBB61_8
; %bb.2:
	scratch_load_b128 v[120:123], off, off  ; 16-byte Folded Reload
	s_waitcnt vmcnt(0)
	ds_store_2addr_b64 v249, v[120:121], v[122:123] offset1:1
	ds_store_2addr_b64 v250, v[116:117], v[118:119] offset0:2 offset1:3
	ds_store_2addr_b64 v250, v[112:113], v[114:115] offset0:4 offset1:5
	ds_store_2addr_b64 v250, v[108:109], v[110:111] offset0:6 offset1:7
	ds_store_2addr_b64 v250, v[104:105], v[106:107] offset0:8 offset1:9
	ds_store_2addr_b64 v250, v[100:101], v[102:103] offset0:10 offset1:11
	ds_store_2addr_b64 v250, v[96:97], v[98:99] offset0:12 offset1:13
	ds_store_2addr_b64 v250, v[92:93], v[94:95] offset0:14 offset1:15
	ds_store_2addr_b64 v250, v[88:89], v[90:91] offset0:16 offset1:17
	ds_store_2addr_b64 v250, v[84:85], v[86:87] offset0:18 offset1:19
	ds_store_2addr_b64 v250, v[80:81], v[82:83] offset0:20 offset1:21
	ds_store_2addr_b64 v250, v[76:77], v[78:79] offset0:22 offset1:23
	ds_store_2addr_b64 v250, v[72:73], v[74:75] offset0:24 offset1:25
	ds_store_2addr_b64 v250, v[68:69], v[70:71] offset0:26 offset1:27
	ds_store_2addr_b64 v250, v[64:65], v[66:67] offset0:28 offset1:29
	ds_store_2addr_b64 v250, v[60:61], v[62:63] offset0:30 offset1:31
	ds_store_2addr_b64 v250, v[56:57], v[58:59] offset0:32 offset1:33
	ds_store_2addr_b64 v250, v[52:53], v[54:55] offset0:34 offset1:35
	ds_store_2addr_b64 v250, v[48:49], v[50:51] offset0:36 offset1:37
	ds_store_2addr_b64 v250, v[44:45], v[46:47] offset0:38 offset1:39
	ds_store_2addr_b64 v250, v[40:41], v[42:43] offset0:40 offset1:41
	ds_store_2addr_b64 v250, v[36:37], v[38:39] offset0:42 offset1:43
	ds_store_2addr_b64 v250, v[32:33], v[34:35] offset0:44 offset1:45
	ds_store_2addr_b64 v250, v[28:29], v[30:31] offset0:46 offset1:47
	ds_store_2addr_b64 v250, v[24:25], v[26:27] offset0:48 offset1:49
	ds_store_2addr_b64 v250, v[20:21], v[22:23] offset0:50 offset1:51
	ds_store_2addr_b64 v250, v[16:17], v[18:19] offset0:52 offset1:53
	ds_store_2addr_b64 v250, v[12:13], v[14:15] offset0:54 offset1:55
	ds_store_2addr_b64 v250, v[8:9], v[10:11] offset0:56 offset1:57
	ds_store_2addr_b64 v250, v[4:5], v[6:7] offset0:58 offset1:59
	ds_store_2addr_b64 v250, v[0:1], v[2:3] offset0:60 offset1:61
	ds_load_2addr_b64 v[124:127], v249 offset1:1
	s_waitcnt lgkmcnt(0)
	v_cmp_neq_f64_e32 vcc_lo, 0, v[124:125]
	v_cmp_neq_f64_e64 s4, 0, v[126:127]
	s_delay_alu instid0(VALU_DEP_1) | instskip(NEXT) | instid1(SALU_CYCLE_1)
	s_or_b32 s4, vcc_lo, s4
	s_and_b32 exec_lo, exec_lo, s4
	s_cbranch_execz .LBB61_8
; %bb.3:
	v_cmp_gt_f64_e32 vcc_lo, 0, v[124:125]
	v_cmp_gt_f64_e64 s4, 0, v[126:127]
	v_xor_b32_e32 v128, 0x80000000, v125
	v_xor_b32_e32 v130, 0x80000000, v127
                                        ; implicit-def: $vgpr132_vgpr133
	s_delay_alu instid0(VALU_DEP_2) | instskip(NEXT) | instid1(VALU_DEP_2)
	v_cndmask_b32_e32 v129, v125, v128, vcc_lo
	v_cndmask_b32_e64 v131, v127, v130, s4
	v_cndmask_b32_e32 v128, v124, v124, vcc_lo
	v_cndmask_b32_e64 v130, v126, v126, s4
	s_mov_b32 s4, exec_lo
	s_delay_alu instid0(VALU_DEP_1)
	v_cmpx_ngt_f64_e32 v[128:129], v[130:131]
	s_xor_b32 s4, exec_lo, s4
                                        ; implicit-def: $vgpr128_vgpr129_vgpr130_vgpr131
	s_cbranch_execz .LBB61_5
; %bb.4:
	v_div_scale_f64 v[128:129], null, v[126:127], v[126:127], v[124:125]
	v_div_scale_f64 v[134:135], vcc_lo, v[124:125], v[126:127], v[124:125]
	s_delay_alu instid0(VALU_DEP_2) | instskip(SKIP_2) | instid1(VALU_DEP_1)
	v_rcp_f64_e32 v[130:131], v[128:129]
	s_waitcnt_depctr 0xfff
	v_fma_f64 v[132:133], -v[128:129], v[130:131], 1.0
	v_fma_f64 v[130:131], v[130:131], v[132:133], v[130:131]
	s_delay_alu instid0(VALU_DEP_1) | instskip(NEXT) | instid1(VALU_DEP_1)
	v_fma_f64 v[132:133], -v[128:129], v[130:131], 1.0
	v_fma_f64 v[130:131], v[130:131], v[132:133], v[130:131]
	s_delay_alu instid0(VALU_DEP_1) | instskip(NEXT) | instid1(VALU_DEP_1)
	v_mul_f64 v[132:133], v[134:135], v[130:131]
	v_fma_f64 v[128:129], -v[128:129], v[132:133], v[134:135]
	s_delay_alu instid0(VALU_DEP_1) | instskip(NEXT) | instid1(VALU_DEP_1)
	v_div_fmas_f64 v[128:129], v[128:129], v[130:131], v[132:133]
	v_div_fixup_f64 v[128:129], v[128:129], v[126:127], v[124:125]
	s_delay_alu instid0(VALU_DEP_1) | instskip(NEXT) | instid1(VALU_DEP_1)
	v_fma_f64 v[124:125], v[124:125], v[128:129], v[126:127]
	v_div_scale_f64 v[126:127], null, v[124:125], v[124:125], 1.0
	s_delay_alu instid0(VALU_DEP_1) | instskip(SKIP_2) | instid1(VALU_DEP_1)
	v_rcp_f64_e32 v[130:131], v[126:127]
	s_waitcnt_depctr 0xfff
	v_fma_f64 v[132:133], -v[126:127], v[130:131], 1.0
	v_fma_f64 v[130:131], v[130:131], v[132:133], v[130:131]
	s_delay_alu instid0(VALU_DEP_1) | instskip(NEXT) | instid1(VALU_DEP_1)
	v_fma_f64 v[132:133], -v[126:127], v[130:131], 1.0
	v_fma_f64 v[130:131], v[130:131], v[132:133], v[130:131]
	v_div_scale_f64 v[132:133], vcc_lo, 1.0, v[124:125], 1.0
	s_delay_alu instid0(VALU_DEP_1) | instskip(NEXT) | instid1(VALU_DEP_1)
	v_mul_f64 v[134:135], v[132:133], v[130:131]
	v_fma_f64 v[126:127], -v[126:127], v[134:135], v[132:133]
	s_delay_alu instid0(VALU_DEP_1) | instskip(NEXT) | instid1(VALU_DEP_1)
	v_div_fmas_f64 v[126:127], v[126:127], v[130:131], v[134:135]
	v_div_fixup_f64 v[130:131], v[126:127], v[124:125], 1.0
                                        ; implicit-def: $vgpr124_vgpr125
	s_delay_alu instid0(VALU_DEP_1)
	v_mul_f64 v[132:133], v[128:129], v[130:131]
	v_xor_b32_e32 v131, 0x80000000, v131
.LBB61_5:
	s_and_not1_saveexec_b32 s4, s4
	s_cbranch_execz .LBB61_7
; %bb.6:
	v_div_scale_f64 v[128:129], null, v[124:125], v[124:125], v[126:127]
	v_div_scale_f64 v[134:135], vcc_lo, v[126:127], v[124:125], v[126:127]
	s_delay_alu instid0(VALU_DEP_2) | instskip(SKIP_2) | instid1(VALU_DEP_1)
	v_rcp_f64_e32 v[130:131], v[128:129]
	s_waitcnt_depctr 0xfff
	v_fma_f64 v[132:133], -v[128:129], v[130:131], 1.0
	v_fma_f64 v[130:131], v[130:131], v[132:133], v[130:131]
	s_delay_alu instid0(VALU_DEP_1) | instskip(NEXT) | instid1(VALU_DEP_1)
	v_fma_f64 v[132:133], -v[128:129], v[130:131], 1.0
	v_fma_f64 v[130:131], v[130:131], v[132:133], v[130:131]
	s_delay_alu instid0(VALU_DEP_1) | instskip(NEXT) | instid1(VALU_DEP_1)
	v_mul_f64 v[132:133], v[134:135], v[130:131]
	v_fma_f64 v[128:129], -v[128:129], v[132:133], v[134:135]
	s_delay_alu instid0(VALU_DEP_1) | instskip(NEXT) | instid1(VALU_DEP_1)
	v_div_fmas_f64 v[128:129], v[128:129], v[130:131], v[132:133]
	v_div_fixup_f64 v[128:129], v[128:129], v[124:125], v[126:127]
	s_delay_alu instid0(VALU_DEP_1) | instskip(NEXT) | instid1(VALU_DEP_1)
	v_fma_f64 v[124:125], v[126:127], v[128:129], v[124:125]
	v_div_scale_f64 v[126:127], null, v[124:125], v[124:125], 1.0
	s_delay_alu instid0(VALU_DEP_1) | instskip(SKIP_2) | instid1(VALU_DEP_1)
	v_rcp_f64_e32 v[130:131], v[126:127]
	s_waitcnt_depctr 0xfff
	v_fma_f64 v[132:133], -v[126:127], v[130:131], 1.0
	v_fma_f64 v[130:131], v[130:131], v[132:133], v[130:131]
	s_delay_alu instid0(VALU_DEP_1) | instskip(NEXT) | instid1(VALU_DEP_1)
	v_fma_f64 v[132:133], -v[126:127], v[130:131], 1.0
	v_fma_f64 v[130:131], v[130:131], v[132:133], v[130:131]
	v_div_scale_f64 v[132:133], vcc_lo, 1.0, v[124:125], 1.0
	s_delay_alu instid0(VALU_DEP_1) | instskip(NEXT) | instid1(VALU_DEP_1)
	v_mul_f64 v[134:135], v[132:133], v[130:131]
	v_fma_f64 v[126:127], -v[126:127], v[134:135], v[132:133]
	s_delay_alu instid0(VALU_DEP_1) | instskip(NEXT) | instid1(VALU_DEP_1)
	v_div_fmas_f64 v[126:127], v[126:127], v[130:131], v[134:135]
	v_div_fixup_f64 v[132:133], v[126:127], v[124:125], 1.0
	s_delay_alu instid0(VALU_DEP_1)
	v_mul_f64 v[130:131], v[128:129], -v[132:133]
.LBB61_7:
	s_or_b32 exec_lo, exec_lo, s4
	ds_store_2addr_b64 v249, v[132:133], v[130:131] offset1:1
.LBB61_8:
	s_or_b32 exec_lo, exec_lo, s5
	s_waitcnt vmcnt(0) lgkmcnt(0)
	s_waitcnt_vscnt null, 0x0
	s_barrier
	buffer_gl0_inv
	ds_load_2addr_b64 v[124:127], v249 offset1:1
	s_waitcnt lgkmcnt(0)
	scratch_store_b128 off, v[124:127], off offset:256 ; 16-byte Folded Spill
	s_and_saveexec_b32 s4, s3
	s_cbranch_execz .LBB61_10
; %bb.9:
	s_clause 0x1
	scratch_load_b128 v[130:133], off, off offset:256
	scratch_load_b128 v[120:123], off, off
	s_waitcnt vmcnt(0)
	v_mul_f64 v[124:125], v[132:133], v[122:123]
	v_mul_f64 v[122:123], v[130:131], v[122:123]
	s_delay_alu instid0(VALU_DEP_2) | instskip(NEXT) | instid1(VALU_DEP_2)
	v_fma_f64 v[128:129], v[130:131], v[120:121], -v[124:125]
	v_fma_f64 v[122:123], v[132:133], v[120:121], v[122:123]
	ds_load_2addr_b64 v[124:127], v250 offset0:2 offset1:3
	s_waitcnt lgkmcnt(0)
	v_mul_f64 v[120:121], v[126:127], v[122:123]
	s_delay_alu instid0(VALU_DEP_1) | instskip(SKIP_1) | instid1(VALU_DEP_2)
	v_fma_f64 v[120:121], v[124:125], v[128:129], -v[120:121]
	v_mul_f64 v[124:125], v[124:125], v[122:123]
	v_add_f64 v[116:117], v[116:117], -v[120:121]
	s_delay_alu instid0(VALU_DEP_2) | instskip(NEXT) | instid1(VALU_DEP_1)
	v_fma_f64 v[124:125], v[126:127], v[128:129], v[124:125]
	v_add_f64 v[118:119], v[118:119], -v[124:125]
	ds_load_2addr_b64 v[124:127], v250 offset0:4 offset1:5
	s_waitcnt lgkmcnt(0)
	v_mul_f64 v[120:121], v[126:127], v[122:123]
	s_delay_alu instid0(VALU_DEP_1) | instskip(SKIP_1) | instid1(VALU_DEP_2)
	v_fma_f64 v[120:121], v[124:125], v[128:129], -v[120:121]
	v_mul_f64 v[124:125], v[124:125], v[122:123]
	v_add_f64 v[112:113], v[112:113], -v[120:121]
	s_delay_alu instid0(VALU_DEP_2) | instskip(NEXT) | instid1(VALU_DEP_1)
	v_fma_f64 v[124:125], v[126:127], v[128:129], v[124:125]
	v_add_f64 v[114:115], v[114:115], -v[124:125]
	;; [unrolled: 10-line block ×29, first 2 shown]
	ds_load_2addr_b64 v[124:127], v250 offset0:60 offset1:61
	s_waitcnt lgkmcnt(0)
	v_mul_f64 v[120:121], v[126:127], v[122:123]
	s_delay_alu instid0(VALU_DEP_1) | instskip(SKIP_1) | instid1(VALU_DEP_2)
	v_fma_f64 v[120:121], v[124:125], v[128:129], -v[120:121]
	v_mul_f64 v[124:125], v[124:125], v[122:123]
	v_add_f64 v[0:1], v[0:1], -v[120:121]
	s_delay_alu instid0(VALU_DEP_2)
	v_fma_f64 v[124:125], v[126:127], v[128:129], v[124:125]
	v_dual_mov_b32 v120, v128 :: v_dual_mov_b32 v121, v129
	scratch_store_b128 off, v[120:123], off ; 16-byte Folded Spill
	v_add_f64 v[2:3], v[2:3], -v[124:125]
.LBB61_10:
	s_or_b32 exec_lo, exec_lo, s4
	s_delay_alu instid0(SALU_CYCLE_1)
	s_mov_b32 s4, exec_lo
	s_waitcnt_vscnt null, 0x0
	s_barrier
	buffer_gl0_inv
	v_cmpx_eq_u32_e32 1, v248
	s_cbranch_execz .LBB61_17
; %bb.11:
	ds_store_2addr_b64 v249, v[116:117], v[118:119] offset1:1
	ds_store_2addr_b64 v250, v[112:113], v[114:115] offset0:4 offset1:5
	ds_store_2addr_b64 v250, v[108:109], v[110:111] offset0:6 offset1:7
	;; [unrolled: 1-line block ×29, first 2 shown]
	ds_load_2addr_b64 v[128:131], v249 offset1:1
	s_waitcnt lgkmcnt(0)
	v_cmp_neq_f64_e32 vcc_lo, 0, v[128:129]
	v_cmp_neq_f64_e64 s3, 0, v[130:131]
	s_delay_alu instid0(VALU_DEP_1) | instskip(NEXT) | instid1(SALU_CYCLE_1)
	s_or_b32 s3, vcc_lo, s3
	s_and_b32 exec_lo, exec_lo, s3
	s_cbranch_execz .LBB61_17
; %bb.12:
	v_cmp_gt_f64_e32 vcc_lo, 0, v[128:129]
	v_cmp_gt_f64_e64 s3, 0, v[130:131]
	v_xor_b32_e32 v124, 0x80000000, v129
	v_xor_b32_e32 v126, 0x80000000, v131
	s_delay_alu instid0(VALU_DEP_2) | instskip(NEXT) | instid1(VALU_DEP_2)
	v_cndmask_b32_e32 v125, v129, v124, vcc_lo
	v_cndmask_b32_e64 v127, v131, v126, s3
	v_cndmask_b32_e32 v124, v128, v128, vcc_lo
	v_cndmask_b32_e64 v126, v130, v130, s3
	s_delay_alu instid0(VALU_DEP_1) | instskip(SKIP_1) | instid1(SALU_CYCLE_1)
	v_cmp_ngt_f64_e32 vcc_lo, v[124:125], v[126:127]
                                        ; implicit-def: $vgpr124_vgpr125
	s_and_saveexec_b32 s3, vcc_lo
	s_xor_b32 s3, exec_lo, s3
                                        ; implicit-def: $vgpr132_vgpr133_vgpr134_vgpr135
	s_cbranch_execz .LBB61_14
; %bb.13:
	v_div_scale_f64 v[124:125], null, v[130:131], v[130:131], v[128:129]
	v_div_scale_f64 v[134:135], vcc_lo, v[128:129], v[130:131], v[128:129]
	s_delay_alu instid0(VALU_DEP_2) | instskip(SKIP_2) | instid1(VALU_DEP_1)
	v_rcp_f64_e32 v[126:127], v[124:125]
	s_waitcnt_depctr 0xfff
	v_fma_f64 v[132:133], -v[124:125], v[126:127], 1.0
	v_fma_f64 v[126:127], v[126:127], v[132:133], v[126:127]
	s_delay_alu instid0(VALU_DEP_1) | instskip(NEXT) | instid1(VALU_DEP_1)
	v_fma_f64 v[132:133], -v[124:125], v[126:127], 1.0
	v_fma_f64 v[126:127], v[126:127], v[132:133], v[126:127]
	s_delay_alu instid0(VALU_DEP_1) | instskip(NEXT) | instid1(VALU_DEP_1)
	v_mul_f64 v[132:133], v[134:135], v[126:127]
	v_fma_f64 v[124:125], -v[124:125], v[132:133], v[134:135]
	s_delay_alu instid0(VALU_DEP_1) | instskip(NEXT) | instid1(VALU_DEP_1)
	v_div_fmas_f64 v[124:125], v[124:125], v[126:127], v[132:133]
	v_div_fixup_f64 v[124:125], v[124:125], v[130:131], v[128:129]
	s_delay_alu instid0(VALU_DEP_1) | instskip(NEXT) | instid1(VALU_DEP_1)
	v_fma_f64 v[126:127], v[128:129], v[124:125], v[130:131]
	v_div_scale_f64 v[128:129], null, v[126:127], v[126:127], 1.0
	s_delay_alu instid0(VALU_DEP_1) | instskip(SKIP_2) | instid1(VALU_DEP_1)
	v_rcp_f64_e32 v[130:131], v[128:129]
	s_waitcnt_depctr 0xfff
	v_fma_f64 v[132:133], -v[128:129], v[130:131], 1.0
	v_fma_f64 v[130:131], v[130:131], v[132:133], v[130:131]
	s_delay_alu instid0(VALU_DEP_1) | instskip(NEXT) | instid1(VALU_DEP_1)
	v_fma_f64 v[132:133], -v[128:129], v[130:131], 1.0
	v_fma_f64 v[130:131], v[130:131], v[132:133], v[130:131]
	v_div_scale_f64 v[132:133], vcc_lo, 1.0, v[126:127], 1.0
	s_delay_alu instid0(VALU_DEP_1) | instskip(NEXT) | instid1(VALU_DEP_1)
	v_mul_f64 v[134:135], v[132:133], v[130:131]
	v_fma_f64 v[128:129], -v[128:129], v[134:135], v[132:133]
	s_delay_alu instid0(VALU_DEP_1) | instskip(NEXT) | instid1(VALU_DEP_1)
	v_div_fmas_f64 v[128:129], v[128:129], v[130:131], v[134:135]
	v_div_fixup_f64 v[134:135], v[128:129], v[126:127], 1.0
                                        ; implicit-def: $vgpr128_vgpr129
	s_delay_alu instid0(VALU_DEP_1)
	v_mul_f64 v[124:125], v[124:125], v[134:135]
	v_xor_b32_e32 v135, 0x80000000, v135
.LBB61_14:
	s_and_not1_saveexec_b32 s3, s3
	s_cbranch_execz .LBB61_16
; %bb.15:
	v_div_scale_f64 v[124:125], null, v[128:129], v[128:129], v[130:131]
	v_div_scale_f64 v[134:135], vcc_lo, v[130:131], v[128:129], v[130:131]
	s_delay_alu instid0(VALU_DEP_2) | instskip(SKIP_2) | instid1(VALU_DEP_1)
	v_rcp_f64_e32 v[126:127], v[124:125]
	s_waitcnt_depctr 0xfff
	v_fma_f64 v[132:133], -v[124:125], v[126:127], 1.0
	v_fma_f64 v[126:127], v[126:127], v[132:133], v[126:127]
	s_delay_alu instid0(VALU_DEP_1) | instskip(NEXT) | instid1(VALU_DEP_1)
	v_fma_f64 v[132:133], -v[124:125], v[126:127], 1.0
	v_fma_f64 v[126:127], v[126:127], v[132:133], v[126:127]
	s_delay_alu instid0(VALU_DEP_1) | instskip(NEXT) | instid1(VALU_DEP_1)
	v_mul_f64 v[132:133], v[134:135], v[126:127]
	v_fma_f64 v[124:125], -v[124:125], v[132:133], v[134:135]
	s_delay_alu instid0(VALU_DEP_1) | instskip(NEXT) | instid1(VALU_DEP_1)
	v_div_fmas_f64 v[124:125], v[124:125], v[126:127], v[132:133]
	v_div_fixup_f64 v[126:127], v[124:125], v[128:129], v[130:131]
	s_delay_alu instid0(VALU_DEP_1) | instskip(NEXT) | instid1(VALU_DEP_1)
	v_fma_f64 v[124:125], v[130:131], v[126:127], v[128:129]
	v_div_scale_f64 v[128:129], null, v[124:125], v[124:125], 1.0
	s_delay_alu instid0(VALU_DEP_1) | instskip(SKIP_2) | instid1(VALU_DEP_1)
	v_rcp_f64_e32 v[130:131], v[128:129]
	s_waitcnt_depctr 0xfff
	v_fma_f64 v[132:133], -v[128:129], v[130:131], 1.0
	v_fma_f64 v[130:131], v[130:131], v[132:133], v[130:131]
	s_delay_alu instid0(VALU_DEP_1) | instskip(NEXT) | instid1(VALU_DEP_1)
	v_fma_f64 v[132:133], -v[128:129], v[130:131], 1.0
	v_fma_f64 v[130:131], v[130:131], v[132:133], v[130:131]
	v_div_scale_f64 v[132:133], vcc_lo, 1.0, v[124:125], 1.0
	s_delay_alu instid0(VALU_DEP_1) | instskip(NEXT) | instid1(VALU_DEP_1)
	v_mul_f64 v[134:135], v[132:133], v[130:131]
	v_fma_f64 v[128:129], -v[128:129], v[134:135], v[132:133]
	s_delay_alu instid0(VALU_DEP_1) | instskip(NEXT) | instid1(VALU_DEP_1)
	v_div_fmas_f64 v[128:129], v[128:129], v[130:131], v[134:135]
	v_div_fixup_f64 v[124:125], v[128:129], v[124:125], 1.0
	s_delay_alu instid0(VALU_DEP_1)
	v_mul_f64 v[134:135], v[126:127], -v[124:125]
.LBB61_16:
	s_or_b32 exec_lo, exec_lo, s3
	ds_store_2addr_b64 v249, v[124:125], v[134:135] offset1:1
.LBB61_17:
	s_or_b32 exec_lo, exec_lo, s4
	s_waitcnt lgkmcnt(0)
	s_barrier
	buffer_gl0_inv
	ds_load_2addr_b64 v[120:123], v249 offset1:1
	s_mov_b32 s3, exec_lo
	s_waitcnt lgkmcnt(0)
	scratch_store_b128 off, v[120:123], off offset:280 ; 16-byte Folded Spill
	v_cmpx_lt_u32_e32 1, v248
	s_cbranch_execz .LBB61_19
; %bb.18:
	scratch_load_b128 v[120:123], off, off offset:280 ; 16-byte Folded Reload
	s_waitcnt vmcnt(0)
	v_mul_f64 v[124:125], v[122:123], v[118:119]
	v_mul_f64 v[118:119], v[120:121], v[118:119]
	s_delay_alu instid0(VALU_DEP_2) | instskip(NEXT) | instid1(VALU_DEP_2)
	v_fma_f64 v[132:133], v[120:121], v[116:117], -v[124:125]
	v_fma_f64 v[118:119], v[122:123], v[116:117], v[118:119]
	ds_load_2addr_b64 v[124:127], v250 offset0:4 offset1:5
	s_waitcnt lgkmcnt(0)
	v_mul_f64 v[116:117], v[126:127], v[118:119]
	s_delay_alu instid0(VALU_DEP_1) | instskip(SKIP_1) | instid1(VALU_DEP_2)
	v_fma_f64 v[116:117], v[124:125], v[132:133], -v[116:117]
	v_mul_f64 v[124:125], v[124:125], v[118:119]
	v_add_f64 v[112:113], v[112:113], -v[116:117]
	s_delay_alu instid0(VALU_DEP_2) | instskip(NEXT) | instid1(VALU_DEP_1)
	v_fma_f64 v[124:125], v[126:127], v[132:133], v[124:125]
	v_add_f64 v[114:115], v[114:115], -v[124:125]
	ds_load_2addr_b64 v[124:127], v250 offset0:6 offset1:7
	s_waitcnt lgkmcnt(0)
	v_mul_f64 v[116:117], v[126:127], v[118:119]
	s_delay_alu instid0(VALU_DEP_1) | instskip(SKIP_1) | instid1(VALU_DEP_2)
	v_fma_f64 v[116:117], v[124:125], v[132:133], -v[116:117]
	v_mul_f64 v[124:125], v[124:125], v[118:119]
	v_add_f64 v[108:109], v[108:109], -v[116:117]
	s_delay_alu instid0(VALU_DEP_2) | instskip(NEXT) | instid1(VALU_DEP_1)
	v_fma_f64 v[124:125], v[126:127], v[132:133], v[124:125]
	v_add_f64 v[110:111], v[110:111], -v[124:125]
	;; [unrolled: 10-line block ×28, first 2 shown]
	ds_load_2addr_b64 v[124:127], v250 offset0:60 offset1:61
	s_waitcnt lgkmcnt(0)
	v_mul_f64 v[116:117], v[126:127], v[118:119]
	s_delay_alu instid0(VALU_DEP_1) | instskip(SKIP_1) | instid1(VALU_DEP_2)
	v_fma_f64 v[116:117], v[124:125], v[132:133], -v[116:117]
	v_mul_f64 v[124:125], v[124:125], v[118:119]
	v_add_f64 v[0:1], v[0:1], -v[116:117]
	s_delay_alu instid0(VALU_DEP_2) | instskip(SKIP_1) | instid1(VALU_DEP_2)
	v_fma_f64 v[124:125], v[126:127], v[132:133], v[124:125]
	v_dual_mov_b32 v116, v132 :: v_dual_mov_b32 v117, v133
	v_add_f64 v[2:3], v[2:3], -v[124:125]
.LBB61_19:
	s_or_b32 exec_lo, exec_lo, s3
	s_delay_alu instid0(SALU_CYCLE_1)
	s_mov_b32 s4, exec_lo
	s_waitcnt_vscnt null, 0x0
	s_barrier
	buffer_gl0_inv
	v_cmpx_eq_u32_e32 2, v248
	s_cbranch_execz .LBB61_26
; %bb.20:
	ds_store_2addr_b64 v249, v[112:113], v[114:115] offset1:1
	ds_store_2addr_b64 v250, v[108:109], v[110:111] offset0:6 offset1:7
	ds_store_2addr_b64 v250, v[104:105], v[106:107] offset0:8 offset1:9
	;; [unrolled: 1-line block ×28, first 2 shown]
	ds_load_2addr_b64 v[132:135], v249 offset1:1
	s_waitcnt lgkmcnt(0)
	v_cmp_neq_f64_e32 vcc_lo, 0, v[132:133]
	v_cmp_neq_f64_e64 s3, 0, v[134:135]
	s_delay_alu instid0(VALU_DEP_1) | instskip(NEXT) | instid1(SALU_CYCLE_1)
	s_or_b32 s3, vcc_lo, s3
	s_and_b32 exec_lo, exec_lo, s3
	s_cbranch_execz .LBB61_26
; %bb.21:
	v_cmp_gt_f64_e32 vcc_lo, 0, v[132:133]
	v_cmp_gt_f64_e64 s3, 0, v[134:135]
	v_xor_b32_e32 v124, 0x80000000, v133
	v_xor_b32_e32 v126, 0x80000000, v135
	s_delay_alu instid0(VALU_DEP_2) | instskip(NEXT) | instid1(VALU_DEP_2)
	v_cndmask_b32_e32 v125, v133, v124, vcc_lo
	v_cndmask_b32_e64 v127, v135, v126, s3
	v_cndmask_b32_e32 v124, v132, v132, vcc_lo
	v_cndmask_b32_e64 v126, v134, v134, s3
	s_delay_alu instid0(VALU_DEP_1) | instskip(SKIP_1) | instid1(SALU_CYCLE_1)
	v_cmp_ngt_f64_e32 vcc_lo, v[124:125], v[126:127]
                                        ; implicit-def: $vgpr124_vgpr125
	s_and_saveexec_b32 s3, vcc_lo
	s_xor_b32 s3, exec_lo, s3
                                        ; implicit-def: $vgpr136_vgpr137_vgpr138_vgpr139
	s_cbranch_execz .LBB61_23
; %bb.22:
	v_div_scale_f64 v[124:125], null, v[134:135], v[134:135], v[132:133]
	v_div_scale_f64 v[138:139], vcc_lo, v[132:133], v[134:135], v[132:133]
	s_delay_alu instid0(VALU_DEP_2) | instskip(SKIP_2) | instid1(VALU_DEP_1)
	v_rcp_f64_e32 v[126:127], v[124:125]
	s_waitcnt_depctr 0xfff
	v_fma_f64 v[136:137], -v[124:125], v[126:127], 1.0
	v_fma_f64 v[126:127], v[126:127], v[136:137], v[126:127]
	s_delay_alu instid0(VALU_DEP_1) | instskip(NEXT) | instid1(VALU_DEP_1)
	v_fma_f64 v[136:137], -v[124:125], v[126:127], 1.0
	v_fma_f64 v[126:127], v[126:127], v[136:137], v[126:127]
	s_delay_alu instid0(VALU_DEP_1) | instskip(NEXT) | instid1(VALU_DEP_1)
	v_mul_f64 v[136:137], v[138:139], v[126:127]
	v_fma_f64 v[124:125], -v[124:125], v[136:137], v[138:139]
	s_delay_alu instid0(VALU_DEP_1) | instskip(NEXT) | instid1(VALU_DEP_1)
	v_div_fmas_f64 v[124:125], v[124:125], v[126:127], v[136:137]
	v_div_fixup_f64 v[124:125], v[124:125], v[134:135], v[132:133]
	s_delay_alu instid0(VALU_DEP_1) | instskip(NEXT) | instid1(VALU_DEP_1)
	v_fma_f64 v[126:127], v[132:133], v[124:125], v[134:135]
	v_div_scale_f64 v[132:133], null, v[126:127], v[126:127], 1.0
	s_delay_alu instid0(VALU_DEP_1) | instskip(SKIP_2) | instid1(VALU_DEP_1)
	v_rcp_f64_e32 v[134:135], v[132:133]
	s_waitcnt_depctr 0xfff
	v_fma_f64 v[136:137], -v[132:133], v[134:135], 1.0
	v_fma_f64 v[134:135], v[134:135], v[136:137], v[134:135]
	s_delay_alu instid0(VALU_DEP_1) | instskip(NEXT) | instid1(VALU_DEP_1)
	v_fma_f64 v[136:137], -v[132:133], v[134:135], 1.0
	v_fma_f64 v[134:135], v[134:135], v[136:137], v[134:135]
	v_div_scale_f64 v[136:137], vcc_lo, 1.0, v[126:127], 1.0
	s_delay_alu instid0(VALU_DEP_1) | instskip(NEXT) | instid1(VALU_DEP_1)
	v_mul_f64 v[138:139], v[136:137], v[134:135]
	v_fma_f64 v[132:133], -v[132:133], v[138:139], v[136:137]
	s_delay_alu instid0(VALU_DEP_1) | instskip(NEXT) | instid1(VALU_DEP_1)
	v_div_fmas_f64 v[132:133], v[132:133], v[134:135], v[138:139]
	v_div_fixup_f64 v[138:139], v[132:133], v[126:127], 1.0
                                        ; implicit-def: $vgpr132_vgpr133
	s_delay_alu instid0(VALU_DEP_1)
	v_mul_f64 v[124:125], v[124:125], v[138:139]
	v_xor_b32_e32 v139, 0x80000000, v139
.LBB61_23:
	s_and_not1_saveexec_b32 s3, s3
	s_cbranch_execz .LBB61_25
; %bb.24:
	v_div_scale_f64 v[124:125], null, v[132:133], v[132:133], v[134:135]
	v_div_scale_f64 v[138:139], vcc_lo, v[134:135], v[132:133], v[134:135]
	s_delay_alu instid0(VALU_DEP_2) | instskip(SKIP_2) | instid1(VALU_DEP_1)
	v_rcp_f64_e32 v[126:127], v[124:125]
	s_waitcnt_depctr 0xfff
	v_fma_f64 v[136:137], -v[124:125], v[126:127], 1.0
	v_fma_f64 v[126:127], v[126:127], v[136:137], v[126:127]
	s_delay_alu instid0(VALU_DEP_1) | instskip(NEXT) | instid1(VALU_DEP_1)
	v_fma_f64 v[136:137], -v[124:125], v[126:127], 1.0
	v_fma_f64 v[126:127], v[126:127], v[136:137], v[126:127]
	s_delay_alu instid0(VALU_DEP_1) | instskip(NEXT) | instid1(VALU_DEP_1)
	v_mul_f64 v[136:137], v[138:139], v[126:127]
	v_fma_f64 v[124:125], -v[124:125], v[136:137], v[138:139]
	s_delay_alu instid0(VALU_DEP_1) | instskip(NEXT) | instid1(VALU_DEP_1)
	v_div_fmas_f64 v[124:125], v[124:125], v[126:127], v[136:137]
	v_div_fixup_f64 v[126:127], v[124:125], v[132:133], v[134:135]
	s_delay_alu instid0(VALU_DEP_1) | instskip(NEXT) | instid1(VALU_DEP_1)
	v_fma_f64 v[124:125], v[134:135], v[126:127], v[132:133]
	v_div_scale_f64 v[132:133], null, v[124:125], v[124:125], 1.0
	s_delay_alu instid0(VALU_DEP_1) | instskip(SKIP_2) | instid1(VALU_DEP_1)
	v_rcp_f64_e32 v[134:135], v[132:133]
	s_waitcnt_depctr 0xfff
	v_fma_f64 v[136:137], -v[132:133], v[134:135], 1.0
	v_fma_f64 v[134:135], v[134:135], v[136:137], v[134:135]
	s_delay_alu instid0(VALU_DEP_1) | instskip(NEXT) | instid1(VALU_DEP_1)
	v_fma_f64 v[136:137], -v[132:133], v[134:135], 1.0
	v_fma_f64 v[134:135], v[134:135], v[136:137], v[134:135]
	v_div_scale_f64 v[136:137], vcc_lo, 1.0, v[124:125], 1.0
	s_delay_alu instid0(VALU_DEP_1) | instskip(NEXT) | instid1(VALU_DEP_1)
	v_mul_f64 v[138:139], v[136:137], v[134:135]
	v_fma_f64 v[132:133], -v[132:133], v[138:139], v[136:137]
	s_delay_alu instid0(VALU_DEP_1) | instskip(NEXT) | instid1(VALU_DEP_1)
	v_div_fmas_f64 v[132:133], v[132:133], v[134:135], v[138:139]
	v_div_fixup_f64 v[124:125], v[132:133], v[124:125], 1.0
	s_delay_alu instid0(VALU_DEP_1)
	v_mul_f64 v[138:139], v[126:127], -v[124:125]
.LBB61_25:
	s_or_b32 exec_lo, exec_lo, s3
	ds_store_2addr_b64 v249, v[124:125], v[138:139] offset1:1
.LBB61_26:
	s_or_b32 exec_lo, exec_lo, s4
	s_waitcnt lgkmcnt(0)
	s_barrier
	buffer_gl0_inv
	ds_load_2addr_b64 v[120:123], v249 offset1:1
	s_mov_b32 s3, exec_lo
	s_waitcnt lgkmcnt(0)
	scratch_store_b128 off, v[120:123], off offset:296 ; 16-byte Folded Spill
	v_cmpx_lt_u32_e32 2, v248
	s_cbranch_execz .LBB61_28
; %bb.27:
	scratch_load_b128 v[120:123], off, off offset:296 ; 16-byte Folded Reload
	s_waitcnt vmcnt(0)
	v_mul_f64 v[124:125], v[122:123], v[114:115]
	v_mul_f64 v[114:115], v[120:121], v[114:115]
	s_delay_alu instid0(VALU_DEP_2) | instskip(NEXT) | instid1(VALU_DEP_2)
	v_fma_f64 v[136:137], v[120:121], v[112:113], -v[124:125]
	v_fma_f64 v[114:115], v[122:123], v[112:113], v[114:115]
	ds_load_2addr_b64 v[124:127], v250 offset0:6 offset1:7
	s_waitcnt lgkmcnt(0)
	v_mul_f64 v[112:113], v[126:127], v[114:115]
	s_delay_alu instid0(VALU_DEP_1) | instskip(SKIP_1) | instid1(VALU_DEP_2)
	v_fma_f64 v[112:113], v[124:125], v[136:137], -v[112:113]
	v_mul_f64 v[124:125], v[124:125], v[114:115]
	v_add_f64 v[108:109], v[108:109], -v[112:113]
	s_delay_alu instid0(VALU_DEP_2) | instskip(NEXT) | instid1(VALU_DEP_1)
	v_fma_f64 v[124:125], v[126:127], v[136:137], v[124:125]
	v_add_f64 v[110:111], v[110:111], -v[124:125]
	ds_load_2addr_b64 v[124:127], v250 offset0:8 offset1:9
	s_waitcnt lgkmcnt(0)
	v_mul_f64 v[112:113], v[126:127], v[114:115]
	s_delay_alu instid0(VALU_DEP_1) | instskip(SKIP_1) | instid1(VALU_DEP_2)
	v_fma_f64 v[112:113], v[124:125], v[136:137], -v[112:113]
	v_mul_f64 v[124:125], v[124:125], v[114:115]
	v_add_f64 v[104:105], v[104:105], -v[112:113]
	s_delay_alu instid0(VALU_DEP_2) | instskip(NEXT) | instid1(VALU_DEP_1)
	v_fma_f64 v[124:125], v[126:127], v[136:137], v[124:125]
	v_add_f64 v[106:107], v[106:107], -v[124:125]
	;; [unrolled: 10-line block ×27, first 2 shown]
	ds_load_2addr_b64 v[124:127], v250 offset0:60 offset1:61
	s_waitcnt lgkmcnt(0)
	v_mul_f64 v[112:113], v[126:127], v[114:115]
	s_delay_alu instid0(VALU_DEP_1) | instskip(SKIP_1) | instid1(VALU_DEP_2)
	v_fma_f64 v[112:113], v[124:125], v[136:137], -v[112:113]
	v_mul_f64 v[124:125], v[124:125], v[114:115]
	v_add_f64 v[0:1], v[0:1], -v[112:113]
	s_delay_alu instid0(VALU_DEP_2) | instskip(SKIP_1) | instid1(VALU_DEP_2)
	v_fma_f64 v[124:125], v[126:127], v[136:137], v[124:125]
	v_dual_mov_b32 v112, v136 :: v_dual_mov_b32 v113, v137
	v_add_f64 v[2:3], v[2:3], -v[124:125]
.LBB61_28:
	s_or_b32 exec_lo, exec_lo, s3
	s_delay_alu instid0(SALU_CYCLE_1)
	s_mov_b32 s4, exec_lo
	s_waitcnt_vscnt null, 0x0
	s_barrier
	buffer_gl0_inv
	v_cmpx_eq_u32_e32 3, v248
	s_cbranch_execz .LBB61_35
; %bb.29:
	ds_store_2addr_b64 v249, v[108:109], v[110:111] offset1:1
	ds_store_2addr_b64 v250, v[104:105], v[106:107] offset0:8 offset1:9
	ds_store_2addr_b64 v250, v[100:101], v[102:103] offset0:10 offset1:11
	;; [unrolled: 1-line block ×27, first 2 shown]
	ds_load_2addr_b64 v[136:139], v249 offset1:1
	s_waitcnt lgkmcnt(0)
	v_cmp_neq_f64_e32 vcc_lo, 0, v[136:137]
	v_cmp_neq_f64_e64 s3, 0, v[138:139]
	s_delay_alu instid0(VALU_DEP_1) | instskip(NEXT) | instid1(SALU_CYCLE_1)
	s_or_b32 s3, vcc_lo, s3
	s_and_b32 exec_lo, exec_lo, s3
	s_cbranch_execz .LBB61_35
; %bb.30:
	v_cmp_gt_f64_e32 vcc_lo, 0, v[136:137]
	v_cmp_gt_f64_e64 s3, 0, v[138:139]
	v_xor_b32_e32 v124, 0x80000000, v137
	v_xor_b32_e32 v126, 0x80000000, v139
	s_delay_alu instid0(VALU_DEP_2) | instskip(NEXT) | instid1(VALU_DEP_2)
	v_cndmask_b32_e32 v125, v137, v124, vcc_lo
	v_cndmask_b32_e64 v127, v139, v126, s3
	v_cndmask_b32_e32 v124, v136, v136, vcc_lo
	v_cndmask_b32_e64 v126, v138, v138, s3
	s_delay_alu instid0(VALU_DEP_1) | instskip(SKIP_1) | instid1(SALU_CYCLE_1)
	v_cmp_ngt_f64_e32 vcc_lo, v[124:125], v[126:127]
                                        ; implicit-def: $vgpr124_vgpr125
	s_and_saveexec_b32 s3, vcc_lo
	s_xor_b32 s3, exec_lo, s3
                                        ; implicit-def: $vgpr140_vgpr141_vgpr142_vgpr143
	s_cbranch_execz .LBB61_32
; %bb.31:
	v_div_scale_f64 v[124:125], null, v[138:139], v[138:139], v[136:137]
	v_div_scale_f64 v[142:143], vcc_lo, v[136:137], v[138:139], v[136:137]
	s_delay_alu instid0(VALU_DEP_2) | instskip(SKIP_2) | instid1(VALU_DEP_1)
	v_rcp_f64_e32 v[126:127], v[124:125]
	s_waitcnt_depctr 0xfff
	v_fma_f64 v[140:141], -v[124:125], v[126:127], 1.0
	v_fma_f64 v[126:127], v[126:127], v[140:141], v[126:127]
	s_delay_alu instid0(VALU_DEP_1) | instskip(NEXT) | instid1(VALU_DEP_1)
	v_fma_f64 v[140:141], -v[124:125], v[126:127], 1.0
	v_fma_f64 v[126:127], v[126:127], v[140:141], v[126:127]
	s_delay_alu instid0(VALU_DEP_1) | instskip(NEXT) | instid1(VALU_DEP_1)
	v_mul_f64 v[140:141], v[142:143], v[126:127]
	v_fma_f64 v[124:125], -v[124:125], v[140:141], v[142:143]
	s_delay_alu instid0(VALU_DEP_1) | instskip(NEXT) | instid1(VALU_DEP_1)
	v_div_fmas_f64 v[124:125], v[124:125], v[126:127], v[140:141]
	v_div_fixup_f64 v[124:125], v[124:125], v[138:139], v[136:137]
	s_delay_alu instid0(VALU_DEP_1) | instskip(NEXT) | instid1(VALU_DEP_1)
	v_fma_f64 v[126:127], v[136:137], v[124:125], v[138:139]
	v_div_scale_f64 v[136:137], null, v[126:127], v[126:127], 1.0
	s_delay_alu instid0(VALU_DEP_1) | instskip(SKIP_2) | instid1(VALU_DEP_1)
	v_rcp_f64_e32 v[138:139], v[136:137]
	s_waitcnt_depctr 0xfff
	v_fma_f64 v[140:141], -v[136:137], v[138:139], 1.0
	v_fma_f64 v[138:139], v[138:139], v[140:141], v[138:139]
	s_delay_alu instid0(VALU_DEP_1) | instskip(NEXT) | instid1(VALU_DEP_1)
	v_fma_f64 v[140:141], -v[136:137], v[138:139], 1.0
	v_fma_f64 v[138:139], v[138:139], v[140:141], v[138:139]
	v_div_scale_f64 v[140:141], vcc_lo, 1.0, v[126:127], 1.0
	s_delay_alu instid0(VALU_DEP_1) | instskip(NEXT) | instid1(VALU_DEP_1)
	v_mul_f64 v[142:143], v[140:141], v[138:139]
	v_fma_f64 v[136:137], -v[136:137], v[142:143], v[140:141]
	s_delay_alu instid0(VALU_DEP_1) | instskip(NEXT) | instid1(VALU_DEP_1)
	v_div_fmas_f64 v[136:137], v[136:137], v[138:139], v[142:143]
	v_div_fixup_f64 v[142:143], v[136:137], v[126:127], 1.0
                                        ; implicit-def: $vgpr136_vgpr137
	s_delay_alu instid0(VALU_DEP_1)
	v_mul_f64 v[124:125], v[124:125], v[142:143]
	v_xor_b32_e32 v143, 0x80000000, v143
.LBB61_32:
	s_and_not1_saveexec_b32 s3, s3
	s_cbranch_execz .LBB61_34
; %bb.33:
	v_div_scale_f64 v[124:125], null, v[136:137], v[136:137], v[138:139]
	v_div_scale_f64 v[142:143], vcc_lo, v[138:139], v[136:137], v[138:139]
	s_delay_alu instid0(VALU_DEP_2) | instskip(SKIP_2) | instid1(VALU_DEP_1)
	v_rcp_f64_e32 v[126:127], v[124:125]
	s_waitcnt_depctr 0xfff
	v_fma_f64 v[140:141], -v[124:125], v[126:127], 1.0
	v_fma_f64 v[126:127], v[126:127], v[140:141], v[126:127]
	s_delay_alu instid0(VALU_DEP_1) | instskip(NEXT) | instid1(VALU_DEP_1)
	v_fma_f64 v[140:141], -v[124:125], v[126:127], 1.0
	v_fma_f64 v[126:127], v[126:127], v[140:141], v[126:127]
	s_delay_alu instid0(VALU_DEP_1) | instskip(NEXT) | instid1(VALU_DEP_1)
	v_mul_f64 v[140:141], v[142:143], v[126:127]
	v_fma_f64 v[124:125], -v[124:125], v[140:141], v[142:143]
	s_delay_alu instid0(VALU_DEP_1) | instskip(NEXT) | instid1(VALU_DEP_1)
	v_div_fmas_f64 v[124:125], v[124:125], v[126:127], v[140:141]
	v_div_fixup_f64 v[126:127], v[124:125], v[136:137], v[138:139]
	s_delay_alu instid0(VALU_DEP_1) | instskip(NEXT) | instid1(VALU_DEP_1)
	v_fma_f64 v[124:125], v[138:139], v[126:127], v[136:137]
	v_div_scale_f64 v[136:137], null, v[124:125], v[124:125], 1.0
	s_delay_alu instid0(VALU_DEP_1) | instskip(SKIP_2) | instid1(VALU_DEP_1)
	v_rcp_f64_e32 v[138:139], v[136:137]
	s_waitcnt_depctr 0xfff
	v_fma_f64 v[140:141], -v[136:137], v[138:139], 1.0
	v_fma_f64 v[138:139], v[138:139], v[140:141], v[138:139]
	s_delay_alu instid0(VALU_DEP_1) | instskip(NEXT) | instid1(VALU_DEP_1)
	v_fma_f64 v[140:141], -v[136:137], v[138:139], 1.0
	v_fma_f64 v[138:139], v[138:139], v[140:141], v[138:139]
	v_div_scale_f64 v[140:141], vcc_lo, 1.0, v[124:125], 1.0
	s_delay_alu instid0(VALU_DEP_1) | instskip(NEXT) | instid1(VALU_DEP_1)
	v_mul_f64 v[142:143], v[140:141], v[138:139]
	v_fma_f64 v[136:137], -v[136:137], v[142:143], v[140:141]
	s_delay_alu instid0(VALU_DEP_1) | instskip(NEXT) | instid1(VALU_DEP_1)
	v_div_fmas_f64 v[136:137], v[136:137], v[138:139], v[142:143]
	v_div_fixup_f64 v[124:125], v[136:137], v[124:125], 1.0
	s_delay_alu instid0(VALU_DEP_1)
	v_mul_f64 v[142:143], v[126:127], -v[124:125]
.LBB61_34:
	s_or_b32 exec_lo, exec_lo, s3
	ds_store_2addr_b64 v249, v[124:125], v[142:143] offset1:1
.LBB61_35:
	s_or_b32 exec_lo, exec_lo, s4
	s_waitcnt lgkmcnt(0)
	s_barrier
	buffer_gl0_inv
	ds_load_2addr_b64 v[136:139], v249 offset1:1
	s_mov_b32 s3, exec_lo
	v_cmpx_lt_u32_e32 3, v248
	s_cbranch_execz .LBB61_37
; %bb.36:
	s_waitcnt lgkmcnt(0)
	v_mul_f64 v[124:125], v[138:139], v[110:111]
	v_mul_f64 v[110:111], v[136:137], v[110:111]
	s_delay_alu instid0(VALU_DEP_2) | instskip(NEXT) | instid1(VALU_DEP_2)
	v_fma_f64 v[140:141], v[136:137], v[108:109], -v[124:125]
	v_fma_f64 v[110:111], v[138:139], v[108:109], v[110:111]
	ds_load_2addr_b64 v[124:127], v250 offset0:8 offset1:9
	s_waitcnt lgkmcnt(0)
	v_mul_f64 v[108:109], v[126:127], v[110:111]
	s_delay_alu instid0(VALU_DEP_1) | instskip(SKIP_1) | instid1(VALU_DEP_2)
	v_fma_f64 v[108:109], v[124:125], v[140:141], -v[108:109]
	v_mul_f64 v[124:125], v[124:125], v[110:111]
	v_add_f64 v[104:105], v[104:105], -v[108:109]
	s_delay_alu instid0(VALU_DEP_2) | instskip(NEXT) | instid1(VALU_DEP_1)
	v_fma_f64 v[124:125], v[126:127], v[140:141], v[124:125]
	v_add_f64 v[106:107], v[106:107], -v[124:125]
	ds_load_2addr_b64 v[124:127], v250 offset0:10 offset1:11
	s_waitcnt lgkmcnt(0)
	v_mul_f64 v[108:109], v[126:127], v[110:111]
	s_delay_alu instid0(VALU_DEP_1) | instskip(SKIP_1) | instid1(VALU_DEP_2)
	v_fma_f64 v[108:109], v[124:125], v[140:141], -v[108:109]
	v_mul_f64 v[124:125], v[124:125], v[110:111]
	v_add_f64 v[100:101], v[100:101], -v[108:109]
	s_delay_alu instid0(VALU_DEP_2) | instskip(NEXT) | instid1(VALU_DEP_1)
	v_fma_f64 v[124:125], v[126:127], v[140:141], v[124:125]
	v_add_f64 v[102:103], v[102:103], -v[124:125]
	;; [unrolled: 10-line block ×26, first 2 shown]
	ds_load_2addr_b64 v[124:127], v250 offset0:60 offset1:61
	s_waitcnt lgkmcnt(0)
	v_mul_f64 v[108:109], v[126:127], v[110:111]
	s_delay_alu instid0(VALU_DEP_1) | instskip(SKIP_1) | instid1(VALU_DEP_2)
	v_fma_f64 v[108:109], v[124:125], v[140:141], -v[108:109]
	v_mul_f64 v[124:125], v[124:125], v[110:111]
	v_add_f64 v[0:1], v[0:1], -v[108:109]
	s_delay_alu instid0(VALU_DEP_2) | instskip(SKIP_1) | instid1(VALU_DEP_2)
	v_fma_f64 v[124:125], v[126:127], v[140:141], v[124:125]
	v_dual_mov_b32 v108, v140 :: v_dual_mov_b32 v109, v141
	v_add_f64 v[2:3], v[2:3], -v[124:125]
.LBB61_37:
	s_or_b32 exec_lo, exec_lo, s3
	s_delay_alu instid0(SALU_CYCLE_1)
	s_mov_b32 s4, exec_lo
	s_waitcnt lgkmcnt(0)
	s_barrier
	buffer_gl0_inv
	v_cmpx_eq_u32_e32 4, v248
	s_cbranch_execz .LBB61_44
; %bb.38:
	ds_store_2addr_b64 v249, v[104:105], v[106:107] offset1:1
	ds_store_2addr_b64 v250, v[100:101], v[102:103] offset0:10 offset1:11
	ds_store_2addr_b64 v250, v[96:97], v[98:99] offset0:12 offset1:13
	;; [unrolled: 1-line block ×26, first 2 shown]
	ds_load_2addr_b64 v[140:143], v249 offset1:1
	s_waitcnt lgkmcnt(0)
	v_cmp_neq_f64_e32 vcc_lo, 0, v[140:141]
	v_cmp_neq_f64_e64 s3, 0, v[142:143]
	s_delay_alu instid0(VALU_DEP_1) | instskip(NEXT) | instid1(SALU_CYCLE_1)
	s_or_b32 s3, vcc_lo, s3
	s_and_b32 exec_lo, exec_lo, s3
	s_cbranch_execz .LBB61_44
; %bb.39:
	v_cmp_gt_f64_e32 vcc_lo, 0, v[140:141]
	v_cmp_gt_f64_e64 s3, 0, v[142:143]
	v_xor_b32_e32 v124, 0x80000000, v141
	v_xor_b32_e32 v126, 0x80000000, v143
	s_delay_alu instid0(VALU_DEP_2) | instskip(NEXT) | instid1(VALU_DEP_2)
	v_cndmask_b32_e32 v125, v141, v124, vcc_lo
	v_cndmask_b32_e64 v127, v143, v126, s3
	v_cndmask_b32_e32 v124, v140, v140, vcc_lo
	v_cndmask_b32_e64 v126, v142, v142, s3
	s_delay_alu instid0(VALU_DEP_1) | instskip(SKIP_1) | instid1(SALU_CYCLE_1)
	v_cmp_ngt_f64_e32 vcc_lo, v[124:125], v[126:127]
                                        ; implicit-def: $vgpr124_vgpr125
	s_and_saveexec_b32 s3, vcc_lo
	s_xor_b32 s3, exec_lo, s3
                                        ; implicit-def: $vgpr144_vgpr145_vgpr146_vgpr147
	s_cbranch_execz .LBB61_41
; %bb.40:
	v_div_scale_f64 v[124:125], null, v[142:143], v[142:143], v[140:141]
	v_div_scale_f64 v[146:147], vcc_lo, v[140:141], v[142:143], v[140:141]
	s_delay_alu instid0(VALU_DEP_2) | instskip(SKIP_2) | instid1(VALU_DEP_1)
	v_rcp_f64_e32 v[126:127], v[124:125]
	s_waitcnt_depctr 0xfff
	v_fma_f64 v[144:145], -v[124:125], v[126:127], 1.0
	v_fma_f64 v[126:127], v[126:127], v[144:145], v[126:127]
	s_delay_alu instid0(VALU_DEP_1) | instskip(NEXT) | instid1(VALU_DEP_1)
	v_fma_f64 v[144:145], -v[124:125], v[126:127], 1.0
	v_fma_f64 v[126:127], v[126:127], v[144:145], v[126:127]
	s_delay_alu instid0(VALU_DEP_1) | instskip(NEXT) | instid1(VALU_DEP_1)
	v_mul_f64 v[144:145], v[146:147], v[126:127]
	v_fma_f64 v[124:125], -v[124:125], v[144:145], v[146:147]
	s_delay_alu instid0(VALU_DEP_1) | instskip(NEXT) | instid1(VALU_DEP_1)
	v_div_fmas_f64 v[124:125], v[124:125], v[126:127], v[144:145]
	v_div_fixup_f64 v[124:125], v[124:125], v[142:143], v[140:141]
	s_delay_alu instid0(VALU_DEP_1) | instskip(NEXT) | instid1(VALU_DEP_1)
	v_fma_f64 v[126:127], v[140:141], v[124:125], v[142:143]
	v_div_scale_f64 v[140:141], null, v[126:127], v[126:127], 1.0
	s_delay_alu instid0(VALU_DEP_1) | instskip(SKIP_2) | instid1(VALU_DEP_1)
	v_rcp_f64_e32 v[142:143], v[140:141]
	s_waitcnt_depctr 0xfff
	v_fma_f64 v[144:145], -v[140:141], v[142:143], 1.0
	v_fma_f64 v[142:143], v[142:143], v[144:145], v[142:143]
	s_delay_alu instid0(VALU_DEP_1) | instskip(NEXT) | instid1(VALU_DEP_1)
	v_fma_f64 v[144:145], -v[140:141], v[142:143], 1.0
	v_fma_f64 v[142:143], v[142:143], v[144:145], v[142:143]
	v_div_scale_f64 v[144:145], vcc_lo, 1.0, v[126:127], 1.0
	s_delay_alu instid0(VALU_DEP_1) | instskip(NEXT) | instid1(VALU_DEP_1)
	v_mul_f64 v[146:147], v[144:145], v[142:143]
	v_fma_f64 v[140:141], -v[140:141], v[146:147], v[144:145]
	s_delay_alu instid0(VALU_DEP_1) | instskip(NEXT) | instid1(VALU_DEP_1)
	v_div_fmas_f64 v[140:141], v[140:141], v[142:143], v[146:147]
	v_div_fixup_f64 v[146:147], v[140:141], v[126:127], 1.0
                                        ; implicit-def: $vgpr140_vgpr141
	s_delay_alu instid0(VALU_DEP_1)
	v_mul_f64 v[124:125], v[124:125], v[146:147]
	v_xor_b32_e32 v147, 0x80000000, v147
.LBB61_41:
	s_and_not1_saveexec_b32 s3, s3
	s_cbranch_execz .LBB61_43
; %bb.42:
	v_div_scale_f64 v[124:125], null, v[140:141], v[140:141], v[142:143]
	v_div_scale_f64 v[146:147], vcc_lo, v[142:143], v[140:141], v[142:143]
	s_delay_alu instid0(VALU_DEP_2) | instskip(SKIP_2) | instid1(VALU_DEP_1)
	v_rcp_f64_e32 v[126:127], v[124:125]
	s_waitcnt_depctr 0xfff
	v_fma_f64 v[144:145], -v[124:125], v[126:127], 1.0
	v_fma_f64 v[126:127], v[126:127], v[144:145], v[126:127]
	s_delay_alu instid0(VALU_DEP_1) | instskip(NEXT) | instid1(VALU_DEP_1)
	v_fma_f64 v[144:145], -v[124:125], v[126:127], 1.0
	v_fma_f64 v[126:127], v[126:127], v[144:145], v[126:127]
	s_delay_alu instid0(VALU_DEP_1) | instskip(NEXT) | instid1(VALU_DEP_1)
	v_mul_f64 v[144:145], v[146:147], v[126:127]
	v_fma_f64 v[124:125], -v[124:125], v[144:145], v[146:147]
	s_delay_alu instid0(VALU_DEP_1) | instskip(NEXT) | instid1(VALU_DEP_1)
	v_div_fmas_f64 v[124:125], v[124:125], v[126:127], v[144:145]
	v_div_fixup_f64 v[126:127], v[124:125], v[140:141], v[142:143]
	s_delay_alu instid0(VALU_DEP_1) | instskip(NEXT) | instid1(VALU_DEP_1)
	v_fma_f64 v[124:125], v[142:143], v[126:127], v[140:141]
	v_div_scale_f64 v[140:141], null, v[124:125], v[124:125], 1.0
	s_delay_alu instid0(VALU_DEP_1) | instskip(SKIP_2) | instid1(VALU_DEP_1)
	v_rcp_f64_e32 v[142:143], v[140:141]
	s_waitcnt_depctr 0xfff
	v_fma_f64 v[144:145], -v[140:141], v[142:143], 1.0
	v_fma_f64 v[142:143], v[142:143], v[144:145], v[142:143]
	s_delay_alu instid0(VALU_DEP_1) | instskip(NEXT) | instid1(VALU_DEP_1)
	v_fma_f64 v[144:145], -v[140:141], v[142:143], 1.0
	v_fma_f64 v[142:143], v[142:143], v[144:145], v[142:143]
	v_div_scale_f64 v[144:145], vcc_lo, 1.0, v[124:125], 1.0
	s_delay_alu instid0(VALU_DEP_1) | instskip(NEXT) | instid1(VALU_DEP_1)
	v_mul_f64 v[146:147], v[144:145], v[142:143]
	v_fma_f64 v[140:141], -v[140:141], v[146:147], v[144:145]
	s_delay_alu instid0(VALU_DEP_1) | instskip(NEXT) | instid1(VALU_DEP_1)
	v_div_fmas_f64 v[140:141], v[140:141], v[142:143], v[146:147]
	v_div_fixup_f64 v[124:125], v[140:141], v[124:125], 1.0
	s_delay_alu instid0(VALU_DEP_1)
	v_mul_f64 v[146:147], v[126:127], -v[124:125]
.LBB61_43:
	s_or_b32 exec_lo, exec_lo, s3
	ds_store_2addr_b64 v249, v[124:125], v[146:147] offset1:1
.LBB61_44:
	s_or_b32 exec_lo, exec_lo, s4
	s_waitcnt lgkmcnt(0)
	s_barrier
	buffer_gl0_inv
	ds_load_2addr_b64 v[140:143], v249 offset1:1
	s_mov_b32 s3, exec_lo
	v_cmpx_lt_u32_e32 4, v248
	s_cbranch_execz .LBB61_46
; %bb.45:
	s_waitcnt lgkmcnt(0)
	v_mul_f64 v[124:125], v[142:143], v[106:107]
	v_mul_f64 v[106:107], v[140:141], v[106:107]
	s_delay_alu instid0(VALU_DEP_2) | instskip(NEXT) | instid1(VALU_DEP_2)
	v_fma_f64 v[144:145], v[140:141], v[104:105], -v[124:125]
	v_fma_f64 v[106:107], v[142:143], v[104:105], v[106:107]
	ds_load_2addr_b64 v[124:127], v250 offset0:10 offset1:11
	s_waitcnt lgkmcnt(0)
	v_mul_f64 v[104:105], v[126:127], v[106:107]
	s_delay_alu instid0(VALU_DEP_1) | instskip(SKIP_1) | instid1(VALU_DEP_2)
	v_fma_f64 v[104:105], v[124:125], v[144:145], -v[104:105]
	v_mul_f64 v[124:125], v[124:125], v[106:107]
	v_add_f64 v[100:101], v[100:101], -v[104:105]
	s_delay_alu instid0(VALU_DEP_2) | instskip(NEXT) | instid1(VALU_DEP_1)
	v_fma_f64 v[124:125], v[126:127], v[144:145], v[124:125]
	v_add_f64 v[102:103], v[102:103], -v[124:125]
	ds_load_2addr_b64 v[124:127], v250 offset0:12 offset1:13
	s_waitcnt lgkmcnt(0)
	v_mul_f64 v[104:105], v[126:127], v[106:107]
	s_delay_alu instid0(VALU_DEP_1) | instskip(SKIP_1) | instid1(VALU_DEP_2)
	v_fma_f64 v[104:105], v[124:125], v[144:145], -v[104:105]
	v_mul_f64 v[124:125], v[124:125], v[106:107]
	v_add_f64 v[96:97], v[96:97], -v[104:105]
	s_delay_alu instid0(VALU_DEP_2) | instskip(NEXT) | instid1(VALU_DEP_1)
	v_fma_f64 v[124:125], v[126:127], v[144:145], v[124:125]
	v_add_f64 v[98:99], v[98:99], -v[124:125]
	;; [unrolled: 10-line block ×25, first 2 shown]
	ds_load_2addr_b64 v[124:127], v250 offset0:60 offset1:61
	s_waitcnt lgkmcnt(0)
	v_mul_f64 v[104:105], v[126:127], v[106:107]
	s_delay_alu instid0(VALU_DEP_1) | instskip(SKIP_1) | instid1(VALU_DEP_2)
	v_fma_f64 v[104:105], v[124:125], v[144:145], -v[104:105]
	v_mul_f64 v[124:125], v[124:125], v[106:107]
	v_add_f64 v[0:1], v[0:1], -v[104:105]
	s_delay_alu instid0(VALU_DEP_2) | instskip(SKIP_1) | instid1(VALU_DEP_2)
	v_fma_f64 v[124:125], v[126:127], v[144:145], v[124:125]
	v_dual_mov_b32 v104, v144 :: v_dual_mov_b32 v105, v145
	v_add_f64 v[2:3], v[2:3], -v[124:125]
.LBB61_46:
	s_or_b32 exec_lo, exec_lo, s3
	s_delay_alu instid0(SALU_CYCLE_1)
	s_mov_b32 s4, exec_lo
	s_waitcnt lgkmcnt(0)
	s_barrier
	buffer_gl0_inv
	v_cmpx_eq_u32_e32 5, v248
	s_cbranch_execz .LBB61_53
; %bb.47:
	ds_store_2addr_b64 v249, v[100:101], v[102:103] offset1:1
	ds_store_2addr_b64 v250, v[96:97], v[98:99] offset0:12 offset1:13
	ds_store_2addr_b64 v250, v[92:93], v[94:95] offset0:14 offset1:15
	;; [unrolled: 1-line block ×25, first 2 shown]
	ds_load_2addr_b64 v[144:147], v249 offset1:1
	s_waitcnt lgkmcnt(0)
	v_cmp_neq_f64_e32 vcc_lo, 0, v[144:145]
	v_cmp_neq_f64_e64 s3, 0, v[146:147]
	s_delay_alu instid0(VALU_DEP_1) | instskip(NEXT) | instid1(SALU_CYCLE_1)
	s_or_b32 s3, vcc_lo, s3
	s_and_b32 exec_lo, exec_lo, s3
	s_cbranch_execz .LBB61_53
; %bb.48:
	v_cmp_gt_f64_e32 vcc_lo, 0, v[144:145]
	v_cmp_gt_f64_e64 s3, 0, v[146:147]
	v_xor_b32_e32 v124, 0x80000000, v145
	v_xor_b32_e32 v126, 0x80000000, v147
	s_delay_alu instid0(VALU_DEP_2) | instskip(NEXT) | instid1(VALU_DEP_2)
	v_cndmask_b32_e32 v125, v145, v124, vcc_lo
	v_cndmask_b32_e64 v127, v147, v126, s3
	v_cndmask_b32_e32 v124, v144, v144, vcc_lo
	v_cndmask_b32_e64 v126, v146, v146, s3
	s_delay_alu instid0(VALU_DEP_1) | instskip(SKIP_1) | instid1(SALU_CYCLE_1)
	v_cmp_ngt_f64_e32 vcc_lo, v[124:125], v[126:127]
                                        ; implicit-def: $vgpr124_vgpr125
	s_and_saveexec_b32 s3, vcc_lo
	s_xor_b32 s3, exec_lo, s3
                                        ; implicit-def: $vgpr148_vgpr149_vgpr150_vgpr151
	s_cbranch_execz .LBB61_50
; %bb.49:
	v_div_scale_f64 v[124:125], null, v[146:147], v[146:147], v[144:145]
	v_div_scale_f64 v[150:151], vcc_lo, v[144:145], v[146:147], v[144:145]
	s_delay_alu instid0(VALU_DEP_2) | instskip(SKIP_2) | instid1(VALU_DEP_1)
	v_rcp_f64_e32 v[126:127], v[124:125]
	s_waitcnt_depctr 0xfff
	v_fma_f64 v[148:149], -v[124:125], v[126:127], 1.0
	v_fma_f64 v[126:127], v[126:127], v[148:149], v[126:127]
	s_delay_alu instid0(VALU_DEP_1) | instskip(NEXT) | instid1(VALU_DEP_1)
	v_fma_f64 v[148:149], -v[124:125], v[126:127], 1.0
	v_fma_f64 v[126:127], v[126:127], v[148:149], v[126:127]
	s_delay_alu instid0(VALU_DEP_1) | instskip(NEXT) | instid1(VALU_DEP_1)
	v_mul_f64 v[148:149], v[150:151], v[126:127]
	v_fma_f64 v[124:125], -v[124:125], v[148:149], v[150:151]
	s_delay_alu instid0(VALU_DEP_1) | instskip(NEXT) | instid1(VALU_DEP_1)
	v_div_fmas_f64 v[124:125], v[124:125], v[126:127], v[148:149]
	v_div_fixup_f64 v[124:125], v[124:125], v[146:147], v[144:145]
	s_delay_alu instid0(VALU_DEP_1) | instskip(NEXT) | instid1(VALU_DEP_1)
	v_fma_f64 v[126:127], v[144:145], v[124:125], v[146:147]
	v_div_scale_f64 v[144:145], null, v[126:127], v[126:127], 1.0
	s_delay_alu instid0(VALU_DEP_1) | instskip(SKIP_2) | instid1(VALU_DEP_1)
	v_rcp_f64_e32 v[146:147], v[144:145]
	s_waitcnt_depctr 0xfff
	v_fma_f64 v[148:149], -v[144:145], v[146:147], 1.0
	v_fma_f64 v[146:147], v[146:147], v[148:149], v[146:147]
	s_delay_alu instid0(VALU_DEP_1) | instskip(NEXT) | instid1(VALU_DEP_1)
	v_fma_f64 v[148:149], -v[144:145], v[146:147], 1.0
	v_fma_f64 v[146:147], v[146:147], v[148:149], v[146:147]
	v_div_scale_f64 v[148:149], vcc_lo, 1.0, v[126:127], 1.0
	s_delay_alu instid0(VALU_DEP_1) | instskip(NEXT) | instid1(VALU_DEP_1)
	v_mul_f64 v[150:151], v[148:149], v[146:147]
	v_fma_f64 v[144:145], -v[144:145], v[150:151], v[148:149]
	s_delay_alu instid0(VALU_DEP_1) | instskip(NEXT) | instid1(VALU_DEP_1)
	v_div_fmas_f64 v[144:145], v[144:145], v[146:147], v[150:151]
	v_div_fixup_f64 v[150:151], v[144:145], v[126:127], 1.0
                                        ; implicit-def: $vgpr144_vgpr145
	s_delay_alu instid0(VALU_DEP_1)
	v_mul_f64 v[124:125], v[124:125], v[150:151]
	v_xor_b32_e32 v151, 0x80000000, v151
.LBB61_50:
	s_and_not1_saveexec_b32 s3, s3
	s_cbranch_execz .LBB61_52
; %bb.51:
	v_div_scale_f64 v[124:125], null, v[144:145], v[144:145], v[146:147]
	v_div_scale_f64 v[150:151], vcc_lo, v[146:147], v[144:145], v[146:147]
	s_delay_alu instid0(VALU_DEP_2) | instskip(SKIP_2) | instid1(VALU_DEP_1)
	v_rcp_f64_e32 v[126:127], v[124:125]
	s_waitcnt_depctr 0xfff
	v_fma_f64 v[148:149], -v[124:125], v[126:127], 1.0
	v_fma_f64 v[126:127], v[126:127], v[148:149], v[126:127]
	s_delay_alu instid0(VALU_DEP_1) | instskip(NEXT) | instid1(VALU_DEP_1)
	v_fma_f64 v[148:149], -v[124:125], v[126:127], 1.0
	v_fma_f64 v[126:127], v[126:127], v[148:149], v[126:127]
	s_delay_alu instid0(VALU_DEP_1) | instskip(NEXT) | instid1(VALU_DEP_1)
	v_mul_f64 v[148:149], v[150:151], v[126:127]
	v_fma_f64 v[124:125], -v[124:125], v[148:149], v[150:151]
	s_delay_alu instid0(VALU_DEP_1) | instskip(NEXT) | instid1(VALU_DEP_1)
	v_div_fmas_f64 v[124:125], v[124:125], v[126:127], v[148:149]
	v_div_fixup_f64 v[126:127], v[124:125], v[144:145], v[146:147]
	s_delay_alu instid0(VALU_DEP_1) | instskip(NEXT) | instid1(VALU_DEP_1)
	v_fma_f64 v[124:125], v[146:147], v[126:127], v[144:145]
	v_div_scale_f64 v[144:145], null, v[124:125], v[124:125], 1.0
	s_delay_alu instid0(VALU_DEP_1) | instskip(SKIP_2) | instid1(VALU_DEP_1)
	v_rcp_f64_e32 v[146:147], v[144:145]
	s_waitcnt_depctr 0xfff
	v_fma_f64 v[148:149], -v[144:145], v[146:147], 1.0
	v_fma_f64 v[146:147], v[146:147], v[148:149], v[146:147]
	s_delay_alu instid0(VALU_DEP_1) | instskip(NEXT) | instid1(VALU_DEP_1)
	v_fma_f64 v[148:149], -v[144:145], v[146:147], 1.0
	v_fma_f64 v[146:147], v[146:147], v[148:149], v[146:147]
	v_div_scale_f64 v[148:149], vcc_lo, 1.0, v[124:125], 1.0
	s_delay_alu instid0(VALU_DEP_1) | instskip(NEXT) | instid1(VALU_DEP_1)
	v_mul_f64 v[150:151], v[148:149], v[146:147]
	v_fma_f64 v[144:145], -v[144:145], v[150:151], v[148:149]
	s_delay_alu instid0(VALU_DEP_1) | instskip(NEXT) | instid1(VALU_DEP_1)
	v_div_fmas_f64 v[144:145], v[144:145], v[146:147], v[150:151]
	v_div_fixup_f64 v[124:125], v[144:145], v[124:125], 1.0
	s_delay_alu instid0(VALU_DEP_1)
	v_mul_f64 v[150:151], v[126:127], -v[124:125]
.LBB61_52:
	s_or_b32 exec_lo, exec_lo, s3
	ds_store_2addr_b64 v249, v[124:125], v[150:151] offset1:1
.LBB61_53:
	s_or_b32 exec_lo, exec_lo, s4
	s_waitcnt lgkmcnt(0)
	s_barrier
	buffer_gl0_inv
	ds_load_2addr_b64 v[144:147], v249 offset1:1
	s_mov_b32 s3, exec_lo
	v_cmpx_lt_u32_e32 5, v248
	s_cbranch_execz .LBB61_55
; %bb.54:
	s_waitcnt lgkmcnt(0)
	v_mul_f64 v[124:125], v[146:147], v[102:103]
	v_mul_f64 v[102:103], v[144:145], v[102:103]
	s_delay_alu instid0(VALU_DEP_2) | instskip(NEXT) | instid1(VALU_DEP_2)
	v_fma_f64 v[148:149], v[144:145], v[100:101], -v[124:125]
	v_fma_f64 v[102:103], v[146:147], v[100:101], v[102:103]
	ds_load_2addr_b64 v[124:127], v250 offset0:12 offset1:13
	s_waitcnt lgkmcnt(0)
	v_mul_f64 v[100:101], v[126:127], v[102:103]
	s_delay_alu instid0(VALU_DEP_1) | instskip(SKIP_1) | instid1(VALU_DEP_2)
	v_fma_f64 v[100:101], v[124:125], v[148:149], -v[100:101]
	v_mul_f64 v[124:125], v[124:125], v[102:103]
	v_add_f64 v[96:97], v[96:97], -v[100:101]
	s_delay_alu instid0(VALU_DEP_2) | instskip(NEXT) | instid1(VALU_DEP_1)
	v_fma_f64 v[124:125], v[126:127], v[148:149], v[124:125]
	v_add_f64 v[98:99], v[98:99], -v[124:125]
	ds_load_2addr_b64 v[124:127], v250 offset0:14 offset1:15
	s_waitcnt lgkmcnt(0)
	v_mul_f64 v[100:101], v[126:127], v[102:103]
	s_delay_alu instid0(VALU_DEP_1) | instskip(SKIP_1) | instid1(VALU_DEP_2)
	v_fma_f64 v[100:101], v[124:125], v[148:149], -v[100:101]
	v_mul_f64 v[124:125], v[124:125], v[102:103]
	v_add_f64 v[92:93], v[92:93], -v[100:101]
	s_delay_alu instid0(VALU_DEP_2) | instskip(NEXT) | instid1(VALU_DEP_1)
	v_fma_f64 v[124:125], v[126:127], v[148:149], v[124:125]
	v_add_f64 v[94:95], v[94:95], -v[124:125]
	;; [unrolled: 10-line block ×24, first 2 shown]
	ds_load_2addr_b64 v[124:127], v250 offset0:60 offset1:61
	s_waitcnt lgkmcnt(0)
	v_mul_f64 v[100:101], v[126:127], v[102:103]
	s_delay_alu instid0(VALU_DEP_1) | instskip(SKIP_1) | instid1(VALU_DEP_2)
	v_fma_f64 v[100:101], v[124:125], v[148:149], -v[100:101]
	v_mul_f64 v[124:125], v[124:125], v[102:103]
	v_add_f64 v[0:1], v[0:1], -v[100:101]
	s_delay_alu instid0(VALU_DEP_2) | instskip(SKIP_1) | instid1(VALU_DEP_2)
	v_fma_f64 v[124:125], v[126:127], v[148:149], v[124:125]
	v_dual_mov_b32 v100, v148 :: v_dual_mov_b32 v101, v149
	v_add_f64 v[2:3], v[2:3], -v[124:125]
.LBB61_55:
	s_or_b32 exec_lo, exec_lo, s3
	s_delay_alu instid0(SALU_CYCLE_1)
	s_mov_b32 s4, exec_lo
	s_waitcnt lgkmcnt(0)
	s_barrier
	buffer_gl0_inv
	v_cmpx_eq_u32_e32 6, v248
	s_cbranch_execz .LBB61_62
; %bb.56:
	ds_store_2addr_b64 v249, v[96:97], v[98:99] offset1:1
	ds_store_2addr_b64 v250, v[92:93], v[94:95] offset0:14 offset1:15
	ds_store_2addr_b64 v250, v[88:89], v[90:91] offset0:16 offset1:17
	;; [unrolled: 1-line block ×24, first 2 shown]
	ds_load_2addr_b64 v[148:151], v249 offset1:1
	s_waitcnt lgkmcnt(0)
	v_cmp_neq_f64_e32 vcc_lo, 0, v[148:149]
	v_cmp_neq_f64_e64 s3, 0, v[150:151]
	s_delay_alu instid0(VALU_DEP_1) | instskip(NEXT) | instid1(SALU_CYCLE_1)
	s_or_b32 s3, vcc_lo, s3
	s_and_b32 exec_lo, exec_lo, s3
	s_cbranch_execz .LBB61_62
; %bb.57:
	v_cmp_gt_f64_e32 vcc_lo, 0, v[148:149]
	v_cmp_gt_f64_e64 s3, 0, v[150:151]
	v_xor_b32_e32 v124, 0x80000000, v149
	v_xor_b32_e32 v126, 0x80000000, v151
	s_delay_alu instid0(VALU_DEP_2) | instskip(NEXT) | instid1(VALU_DEP_2)
	v_cndmask_b32_e32 v125, v149, v124, vcc_lo
	v_cndmask_b32_e64 v127, v151, v126, s3
	v_cndmask_b32_e32 v124, v148, v148, vcc_lo
	v_cndmask_b32_e64 v126, v150, v150, s3
	s_delay_alu instid0(VALU_DEP_1) | instskip(SKIP_1) | instid1(SALU_CYCLE_1)
	v_cmp_ngt_f64_e32 vcc_lo, v[124:125], v[126:127]
                                        ; implicit-def: $vgpr124_vgpr125
	s_and_saveexec_b32 s3, vcc_lo
	s_xor_b32 s3, exec_lo, s3
                                        ; implicit-def: $vgpr152_vgpr153_vgpr154_vgpr155
	s_cbranch_execz .LBB61_59
; %bb.58:
	v_div_scale_f64 v[124:125], null, v[150:151], v[150:151], v[148:149]
	v_div_scale_f64 v[154:155], vcc_lo, v[148:149], v[150:151], v[148:149]
	s_delay_alu instid0(VALU_DEP_2) | instskip(SKIP_2) | instid1(VALU_DEP_1)
	v_rcp_f64_e32 v[126:127], v[124:125]
	s_waitcnt_depctr 0xfff
	v_fma_f64 v[152:153], -v[124:125], v[126:127], 1.0
	v_fma_f64 v[126:127], v[126:127], v[152:153], v[126:127]
	s_delay_alu instid0(VALU_DEP_1) | instskip(NEXT) | instid1(VALU_DEP_1)
	v_fma_f64 v[152:153], -v[124:125], v[126:127], 1.0
	v_fma_f64 v[126:127], v[126:127], v[152:153], v[126:127]
	s_delay_alu instid0(VALU_DEP_1) | instskip(NEXT) | instid1(VALU_DEP_1)
	v_mul_f64 v[152:153], v[154:155], v[126:127]
	v_fma_f64 v[124:125], -v[124:125], v[152:153], v[154:155]
	s_delay_alu instid0(VALU_DEP_1) | instskip(NEXT) | instid1(VALU_DEP_1)
	v_div_fmas_f64 v[124:125], v[124:125], v[126:127], v[152:153]
	v_div_fixup_f64 v[124:125], v[124:125], v[150:151], v[148:149]
	s_delay_alu instid0(VALU_DEP_1) | instskip(NEXT) | instid1(VALU_DEP_1)
	v_fma_f64 v[126:127], v[148:149], v[124:125], v[150:151]
	v_div_scale_f64 v[148:149], null, v[126:127], v[126:127], 1.0
	s_delay_alu instid0(VALU_DEP_1) | instskip(SKIP_2) | instid1(VALU_DEP_1)
	v_rcp_f64_e32 v[150:151], v[148:149]
	s_waitcnt_depctr 0xfff
	v_fma_f64 v[152:153], -v[148:149], v[150:151], 1.0
	v_fma_f64 v[150:151], v[150:151], v[152:153], v[150:151]
	s_delay_alu instid0(VALU_DEP_1) | instskip(NEXT) | instid1(VALU_DEP_1)
	v_fma_f64 v[152:153], -v[148:149], v[150:151], 1.0
	v_fma_f64 v[150:151], v[150:151], v[152:153], v[150:151]
	v_div_scale_f64 v[152:153], vcc_lo, 1.0, v[126:127], 1.0
	s_delay_alu instid0(VALU_DEP_1) | instskip(NEXT) | instid1(VALU_DEP_1)
	v_mul_f64 v[154:155], v[152:153], v[150:151]
	v_fma_f64 v[148:149], -v[148:149], v[154:155], v[152:153]
	s_delay_alu instid0(VALU_DEP_1) | instskip(NEXT) | instid1(VALU_DEP_1)
	v_div_fmas_f64 v[148:149], v[148:149], v[150:151], v[154:155]
	v_div_fixup_f64 v[154:155], v[148:149], v[126:127], 1.0
                                        ; implicit-def: $vgpr148_vgpr149
	s_delay_alu instid0(VALU_DEP_1)
	v_mul_f64 v[124:125], v[124:125], v[154:155]
	v_xor_b32_e32 v155, 0x80000000, v155
.LBB61_59:
	s_and_not1_saveexec_b32 s3, s3
	s_cbranch_execz .LBB61_61
; %bb.60:
	v_div_scale_f64 v[124:125], null, v[148:149], v[148:149], v[150:151]
	v_div_scale_f64 v[154:155], vcc_lo, v[150:151], v[148:149], v[150:151]
	s_delay_alu instid0(VALU_DEP_2) | instskip(SKIP_2) | instid1(VALU_DEP_1)
	v_rcp_f64_e32 v[126:127], v[124:125]
	s_waitcnt_depctr 0xfff
	v_fma_f64 v[152:153], -v[124:125], v[126:127], 1.0
	v_fma_f64 v[126:127], v[126:127], v[152:153], v[126:127]
	s_delay_alu instid0(VALU_DEP_1) | instskip(NEXT) | instid1(VALU_DEP_1)
	v_fma_f64 v[152:153], -v[124:125], v[126:127], 1.0
	v_fma_f64 v[126:127], v[126:127], v[152:153], v[126:127]
	s_delay_alu instid0(VALU_DEP_1) | instskip(NEXT) | instid1(VALU_DEP_1)
	v_mul_f64 v[152:153], v[154:155], v[126:127]
	v_fma_f64 v[124:125], -v[124:125], v[152:153], v[154:155]
	s_delay_alu instid0(VALU_DEP_1) | instskip(NEXT) | instid1(VALU_DEP_1)
	v_div_fmas_f64 v[124:125], v[124:125], v[126:127], v[152:153]
	v_div_fixup_f64 v[126:127], v[124:125], v[148:149], v[150:151]
	s_delay_alu instid0(VALU_DEP_1) | instskip(NEXT) | instid1(VALU_DEP_1)
	v_fma_f64 v[124:125], v[150:151], v[126:127], v[148:149]
	v_div_scale_f64 v[148:149], null, v[124:125], v[124:125], 1.0
	s_delay_alu instid0(VALU_DEP_1) | instskip(SKIP_2) | instid1(VALU_DEP_1)
	v_rcp_f64_e32 v[150:151], v[148:149]
	s_waitcnt_depctr 0xfff
	v_fma_f64 v[152:153], -v[148:149], v[150:151], 1.0
	v_fma_f64 v[150:151], v[150:151], v[152:153], v[150:151]
	s_delay_alu instid0(VALU_DEP_1) | instskip(NEXT) | instid1(VALU_DEP_1)
	v_fma_f64 v[152:153], -v[148:149], v[150:151], 1.0
	v_fma_f64 v[150:151], v[150:151], v[152:153], v[150:151]
	v_div_scale_f64 v[152:153], vcc_lo, 1.0, v[124:125], 1.0
	s_delay_alu instid0(VALU_DEP_1) | instskip(NEXT) | instid1(VALU_DEP_1)
	v_mul_f64 v[154:155], v[152:153], v[150:151]
	v_fma_f64 v[148:149], -v[148:149], v[154:155], v[152:153]
	s_delay_alu instid0(VALU_DEP_1) | instskip(NEXT) | instid1(VALU_DEP_1)
	v_div_fmas_f64 v[148:149], v[148:149], v[150:151], v[154:155]
	v_div_fixup_f64 v[124:125], v[148:149], v[124:125], 1.0
	s_delay_alu instid0(VALU_DEP_1)
	v_mul_f64 v[154:155], v[126:127], -v[124:125]
.LBB61_61:
	s_or_b32 exec_lo, exec_lo, s3
	ds_store_2addr_b64 v249, v[124:125], v[154:155] offset1:1
.LBB61_62:
	s_or_b32 exec_lo, exec_lo, s4
	s_waitcnt lgkmcnt(0)
	s_barrier
	buffer_gl0_inv
	ds_load_2addr_b64 v[148:151], v249 offset1:1
	s_mov_b32 s3, exec_lo
	v_cmpx_lt_u32_e32 6, v248
	s_cbranch_execz .LBB61_64
; %bb.63:
	s_waitcnt lgkmcnt(0)
	v_mul_f64 v[124:125], v[150:151], v[98:99]
	v_mul_f64 v[98:99], v[148:149], v[98:99]
	s_delay_alu instid0(VALU_DEP_2) | instskip(NEXT) | instid1(VALU_DEP_2)
	v_fma_f64 v[152:153], v[148:149], v[96:97], -v[124:125]
	v_fma_f64 v[98:99], v[150:151], v[96:97], v[98:99]
	ds_load_2addr_b64 v[124:127], v250 offset0:14 offset1:15
	s_waitcnt lgkmcnt(0)
	v_mul_f64 v[96:97], v[126:127], v[98:99]
	s_delay_alu instid0(VALU_DEP_1) | instskip(SKIP_1) | instid1(VALU_DEP_2)
	v_fma_f64 v[96:97], v[124:125], v[152:153], -v[96:97]
	v_mul_f64 v[124:125], v[124:125], v[98:99]
	v_add_f64 v[92:93], v[92:93], -v[96:97]
	s_delay_alu instid0(VALU_DEP_2) | instskip(NEXT) | instid1(VALU_DEP_1)
	v_fma_f64 v[124:125], v[126:127], v[152:153], v[124:125]
	v_add_f64 v[94:95], v[94:95], -v[124:125]
	ds_load_2addr_b64 v[124:127], v250 offset0:16 offset1:17
	s_waitcnt lgkmcnt(0)
	v_mul_f64 v[96:97], v[126:127], v[98:99]
	s_delay_alu instid0(VALU_DEP_1) | instskip(SKIP_1) | instid1(VALU_DEP_2)
	v_fma_f64 v[96:97], v[124:125], v[152:153], -v[96:97]
	v_mul_f64 v[124:125], v[124:125], v[98:99]
	v_add_f64 v[88:89], v[88:89], -v[96:97]
	s_delay_alu instid0(VALU_DEP_2) | instskip(NEXT) | instid1(VALU_DEP_1)
	v_fma_f64 v[124:125], v[126:127], v[152:153], v[124:125]
	v_add_f64 v[90:91], v[90:91], -v[124:125]
	;; [unrolled: 10-line block ×23, first 2 shown]
	ds_load_2addr_b64 v[124:127], v250 offset0:60 offset1:61
	s_waitcnt lgkmcnt(0)
	v_mul_f64 v[96:97], v[126:127], v[98:99]
	s_delay_alu instid0(VALU_DEP_1) | instskip(SKIP_1) | instid1(VALU_DEP_2)
	v_fma_f64 v[96:97], v[124:125], v[152:153], -v[96:97]
	v_mul_f64 v[124:125], v[124:125], v[98:99]
	v_add_f64 v[0:1], v[0:1], -v[96:97]
	s_delay_alu instid0(VALU_DEP_2) | instskip(SKIP_1) | instid1(VALU_DEP_2)
	v_fma_f64 v[124:125], v[126:127], v[152:153], v[124:125]
	v_dual_mov_b32 v96, v152 :: v_dual_mov_b32 v97, v153
	v_add_f64 v[2:3], v[2:3], -v[124:125]
.LBB61_64:
	s_or_b32 exec_lo, exec_lo, s3
	s_delay_alu instid0(SALU_CYCLE_1)
	s_mov_b32 s4, exec_lo
	s_waitcnt lgkmcnt(0)
	s_barrier
	buffer_gl0_inv
	v_cmpx_eq_u32_e32 7, v248
	s_cbranch_execz .LBB61_71
; %bb.65:
	ds_store_2addr_b64 v249, v[92:93], v[94:95] offset1:1
	ds_store_2addr_b64 v250, v[88:89], v[90:91] offset0:16 offset1:17
	ds_store_2addr_b64 v250, v[84:85], v[86:87] offset0:18 offset1:19
	;; [unrolled: 1-line block ×23, first 2 shown]
	ds_load_2addr_b64 v[152:155], v249 offset1:1
	s_waitcnt lgkmcnt(0)
	v_cmp_neq_f64_e32 vcc_lo, 0, v[152:153]
	v_cmp_neq_f64_e64 s3, 0, v[154:155]
	s_delay_alu instid0(VALU_DEP_1) | instskip(NEXT) | instid1(SALU_CYCLE_1)
	s_or_b32 s3, vcc_lo, s3
	s_and_b32 exec_lo, exec_lo, s3
	s_cbranch_execz .LBB61_71
; %bb.66:
	v_cmp_gt_f64_e32 vcc_lo, 0, v[152:153]
	v_cmp_gt_f64_e64 s3, 0, v[154:155]
	v_xor_b32_e32 v124, 0x80000000, v153
	v_xor_b32_e32 v126, 0x80000000, v155
	s_delay_alu instid0(VALU_DEP_2) | instskip(NEXT) | instid1(VALU_DEP_2)
	v_cndmask_b32_e32 v125, v153, v124, vcc_lo
	v_cndmask_b32_e64 v127, v155, v126, s3
	v_cndmask_b32_e32 v124, v152, v152, vcc_lo
	v_cndmask_b32_e64 v126, v154, v154, s3
	s_delay_alu instid0(VALU_DEP_1) | instskip(SKIP_1) | instid1(SALU_CYCLE_1)
	v_cmp_ngt_f64_e32 vcc_lo, v[124:125], v[126:127]
                                        ; implicit-def: $vgpr124_vgpr125
	s_and_saveexec_b32 s3, vcc_lo
	s_xor_b32 s3, exec_lo, s3
                                        ; implicit-def: $vgpr156_vgpr157_vgpr158_vgpr159
	s_cbranch_execz .LBB61_68
; %bb.67:
	v_div_scale_f64 v[124:125], null, v[154:155], v[154:155], v[152:153]
	v_div_scale_f64 v[158:159], vcc_lo, v[152:153], v[154:155], v[152:153]
	s_delay_alu instid0(VALU_DEP_2) | instskip(SKIP_2) | instid1(VALU_DEP_1)
	v_rcp_f64_e32 v[126:127], v[124:125]
	s_waitcnt_depctr 0xfff
	v_fma_f64 v[156:157], -v[124:125], v[126:127], 1.0
	v_fma_f64 v[126:127], v[126:127], v[156:157], v[126:127]
	s_delay_alu instid0(VALU_DEP_1) | instskip(NEXT) | instid1(VALU_DEP_1)
	v_fma_f64 v[156:157], -v[124:125], v[126:127], 1.0
	v_fma_f64 v[126:127], v[126:127], v[156:157], v[126:127]
	s_delay_alu instid0(VALU_DEP_1) | instskip(NEXT) | instid1(VALU_DEP_1)
	v_mul_f64 v[156:157], v[158:159], v[126:127]
	v_fma_f64 v[124:125], -v[124:125], v[156:157], v[158:159]
	s_delay_alu instid0(VALU_DEP_1) | instskip(NEXT) | instid1(VALU_DEP_1)
	v_div_fmas_f64 v[124:125], v[124:125], v[126:127], v[156:157]
	v_div_fixup_f64 v[124:125], v[124:125], v[154:155], v[152:153]
	s_delay_alu instid0(VALU_DEP_1) | instskip(NEXT) | instid1(VALU_DEP_1)
	v_fma_f64 v[126:127], v[152:153], v[124:125], v[154:155]
	v_div_scale_f64 v[152:153], null, v[126:127], v[126:127], 1.0
	s_delay_alu instid0(VALU_DEP_1) | instskip(SKIP_2) | instid1(VALU_DEP_1)
	v_rcp_f64_e32 v[154:155], v[152:153]
	s_waitcnt_depctr 0xfff
	v_fma_f64 v[156:157], -v[152:153], v[154:155], 1.0
	v_fma_f64 v[154:155], v[154:155], v[156:157], v[154:155]
	s_delay_alu instid0(VALU_DEP_1) | instskip(NEXT) | instid1(VALU_DEP_1)
	v_fma_f64 v[156:157], -v[152:153], v[154:155], 1.0
	v_fma_f64 v[154:155], v[154:155], v[156:157], v[154:155]
	v_div_scale_f64 v[156:157], vcc_lo, 1.0, v[126:127], 1.0
	s_delay_alu instid0(VALU_DEP_1) | instskip(NEXT) | instid1(VALU_DEP_1)
	v_mul_f64 v[158:159], v[156:157], v[154:155]
	v_fma_f64 v[152:153], -v[152:153], v[158:159], v[156:157]
	s_delay_alu instid0(VALU_DEP_1) | instskip(NEXT) | instid1(VALU_DEP_1)
	v_div_fmas_f64 v[152:153], v[152:153], v[154:155], v[158:159]
	v_div_fixup_f64 v[158:159], v[152:153], v[126:127], 1.0
                                        ; implicit-def: $vgpr152_vgpr153
	s_delay_alu instid0(VALU_DEP_1)
	v_mul_f64 v[124:125], v[124:125], v[158:159]
	v_xor_b32_e32 v159, 0x80000000, v159
.LBB61_68:
	s_and_not1_saveexec_b32 s3, s3
	s_cbranch_execz .LBB61_70
; %bb.69:
	v_div_scale_f64 v[124:125], null, v[152:153], v[152:153], v[154:155]
	v_div_scale_f64 v[158:159], vcc_lo, v[154:155], v[152:153], v[154:155]
	s_delay_alu instid0(VALU_DEP_2) | instskip(SKIP_2) | instid1(VALU_DEP_1)
	v_rcp_f64_e32 v[126:127], v[124:125]
	s_waitcnt_depctr 0xfff
	v_fma_f64 v[156:157], -v[124:125], v[126:127], 1.0
	v_fma_f64 v[126:127], v[126:127], v[156:157], v[126:127]
	s_delay_alu instid0(VALU_DEP_1) | instskip(NEXT) | instid1(VALU_DEP_1)
	v_fma_f64 v[156:157], -v[124:125], v[126:127], 1.0
	v_fma_f64 v[126:127], v[126:127], v[156:157], v[126:127]
	s_delay_alu instid0(VALU_DEP_1) | instskip(NEXT) | instid1(VALU_DEP_1)
	v_mul_f64 v[156:157], v[158:159], v[126:127]
	v_fma_f64 v[124:125], -v[124:125], v[156:157], v[158:159]
	s_delay_alu instid0(VALU_DEP_1) | instskip(NEXT) | instid1(VALU_DEP_1)
	v_div_fmas_f64 v[124:125], v[124:125], v[126:127], v[156:157]
	v_div_fixup_f64 v[126:127], v[124:125], v[152:153], v[154:155]
	s_delay_alu instid0(VALU_DEP_1) | instskip(NEXT) | instid1(VALU_DEP_1)
	v_fma_f64 v[124:125], v[154:155], v[126:127], v[152:153]
	v_div_scale_f64 v[152:153], null, v[124:125], v[124:125], 1.0
	s_delay_alu instid0(VALU_DEP_1) | instskip(SKIP_2) | instid1(VALU_DEP_1)
	v_rcp_f64_e32 v[154:155], v[152:153]
	s_waitcnt_depctr 0xfff
	v_fma_f64 v[156:157], -v[152:153], v[154:155], 1.0
	v_fma_f64 v[154:155], v[154:155], v[156:157], v[154:155]
	s_delay_alu instid0(VALU_DEP_1) | instskip(NEXT) | instid1(VALU_DEP_1)
	v_fma_f64 v[156:157], -v[152:153], v[154:155], 1.0
	v_fma_f64 v[154:155], v[154:155], v[156:157], v[154:155]
	v_div_scale_f64 v[156:157], vcc_lo, 1.0, v[124:125], 1.0
	s_delay_alu instid0(VALU_DEP_1) | instskip(NEXT) | instid1(VALU_DEP_1)
	v_mul_f64 v[158:159], v[156:157], v[154:155]
	v_fma_f64 v[152:153], -v[152:153], v[158:159], v[156:157]
	s_delay_alu instid0(VALU_DEP_1) | instskip(NEXT) | instid1(VALU_DEP_1)
	v_div_fmas_f64 v[152:153], v[152:153], v[154:155], v[158:159]
	v_div_fixup_f64 v[124:125], v[152:153], v[124:125], 1.0
	s_delay_alu instid0(VALU_DEP_1)
	v_mul_f64 v[158:159], v[126:127], -v[124:125]
.LBB61_70:
	s_or_b32 exec_lo, exec_lo, s3
	ds_store_2addr_b64 v249, v[124:125], v[158:159] offset1:1
.LBB61_71:
	s_or_b32 exec_lo, exec_lo, s4
	s_waitcnt lgkmcnt(0)
	s_barrier
	buffer_gl0_inv
	ds_load_2addr_b64 v[132:135], v249 offset1:1
	s_mov_b32 s3, exec_lo
	v_cmpx_lt_u32_e32 7, v248
	s_cbranch_execz .LBB61_73
; %bb.72:
	s_waitcnt lgkmcnt(0)
	v_mul_f64 v[124:125], v[134:135], v[94:95]
	v_mul_f64 v[94:95], v[132:133], v[94:95]
	s_delay_alu instid0(VALU_DEP_2) | instskip(NEXT) | instid1(VALU_DEP_2)
	v_fma_f64 v[156:157], v[132:133], v[92:93], -v[124:125]
	v_fma_f64 v[94:95], v[134:135], v[92:93], v[94:95]
	ds_load_2addr_b64 v[124:127], v250 offset0:16 offset1:17
	s_waitcnt lgkmcnt(0)
	v_mul_f64 v[92:93], v[126:127], v[94:95]
	s_delay_alu instid0(VALU_DEP_1) | instskip(SKIP_1) | instid1(VALU_DEP_2)
	v_fma_f64 v[92:93], v[124:125], v[156:157], -v[92:93]
	v_mul_f64 v[124:125], v[124:125], v[94:95]
	v_add_f64 v[88:89], v[88:89], -v[92:93]
	s_delay_alu instid0(VALU_DEP_2) | instskip(NEXT) | instid1(VALU_DEP_1)
	v_fma_f64 v[124:125], v[126:127], v[156:157], v[124:125]
	v_add_f64 v[90:91], v[90:91], -v[124:125]
	ds_load_2addr_b64 v[124:127], v250 offset0:18 offset1:19
	s_waitcnt lgkmcnt(0)
	v_mul_f64 v[92:93], v[126:127], v[94:95]
	s_delay_alu instid0(VALU_DEP_1) | instskip(SKIP_1) | instid1(VALU_DEP_2)
	v_fma_f64 v[92:93], v[124:125], v[156:157], -v[92:93]
	v_mul_f64 v[124:125], v[124:125], v[94:95]
	v_add_f64 v[84:85], v[84:85], -v[92:93]
	s_delay_alu instid0(VALU_DEP_2) | instskip(NEXT) | instid1(VALU_DEP_1)
	v_fma_f64 v[124:125], v[126:127], v[156:157], v[124:125]
	v_add_f64 v[86:87], v[86:87], -v[124:125]
	;; [unrolled: 10-line block ×22, first 2 shown]
	ds_load_2addr_b64 v[124:127], v250 offset0:60 offset1:61
	s_waitcnt lgkmcnt(0)
	v_mul_f64 v[92:93], v[126:127], v[94:95]
	s_delay_alu instid0(VALU_DEP_1) | instskip(SKIP_1) | instid1(VALU_DEP_2)
	v_fma_f64 v[92:93], v[124:125], v[156:157], -v[92:93]
	v_mul_f64 v[124:125], v[124:125], v[94:95]
	v_add_f64 v[0:1], v[0:1], -v[92:93]
	s_delay_alu instid0(VALU_DEP_2) | instskip(SKIP_1) | instid1(VALU_DEP_2)
	v_fma_f64 v[124:125], v[126:127], v[156:157], v[124:125]
	v_dual_mov_b32 v92, v156 :: v_dual_mov_b32 v93, v157
	v_add_f64 v[2:3], v[2:3], -v[124:125]
.LBB61_73:
	s_or_b32 exec_lo, exec_lo, s3
	s_delay_alu instid0(SALU_CYCLE_1)
	s_mov_b32 s4, exec_lo
	s_waitcnt lgkmcnt(0)
	s_barrier
	buffer_gl0_inv
	v_cmpx_eq_u32_e32 8, v248
	s_cbranch_execz .LBB61_80
; %bb.74:
	ds_store_2addr_b64 v249, v[88:89], v[90:91] offset1:1
	ds_store_2addr_b64 v250, v[84:85], v[86:87] offset0:18 offset1:19
	ds_store_2addr_b64 v250, v[80:81], v[82:83] offset0:20 offset1:21
	;; [unrolled: 1-line block ×22, first 2 shown]
	ds_load_2addr_b64 v[156:159], v249 offset1:1
	s_waitcnt lgkmcnt(0)
	v_cmp_neq_f64_e32 vcc_lo, 0, v[156:157]
	v_cmp_neq_f64_e64 s3, 0, v[158:159]
	s_delay_alu instid0(VALU_DEP_1) | instskip(NEXT) | instid1(SALU_CYCLE_1)
	s_or_b32 s3, vcc_lo, s3
	s_and_b32 exec_lo, exec_lo, s3
	s_cbranch_execz .LBB61_80
; %bb.75:
	v_cmp_gt_f64_e32 vcc_lo, 0, v[156:157]
	v_cmp_gt_f64_e64 s3, 0, v[158:159]
	v_xor_b32_e32 v124, 0x80000000, v157
	v_xor_b32_e32 v126, 0x80000000, v159
	s_delay_alu instid0(VALU_DEP_2) | instskip(NEXT) | instid1(VALU_DEP_2)
	v_cndmask_b32_e32 v125, v157, v124, vcc_lo
	v_cndmask_b32_e64 v127, v159, v126, s3
	v_cndmask_b32_e32 v124, v156, v156, vcc_lo
	v_cndmask_b32_e64 v126, v158, v158, s3
	s_delay_alu instid0(VALU_DEP_1) | instskip(SKIP_1) | instid1(SALU_CYCLE_1)
	v_cmp_ngt_f64_e32 vcc_lo, v[124:125], v[126:127]
                                        ; implicit-def: $vgpr124_vgpr125
	s_and_saveexec_b32 s3, vcc_lo
	s_xor_b32 s3, exec_lo, s3
                                        ; implicit-def: $vgpr160_vgpr161_vgpr162_vgpr163
	s_cbranch_execz .LBB61_77
; %bb.76:
	v_div_scale_f64 v[124:125], null, v[158:159], v[158:159], v[156:157]
	v_div_scale_f64 v[162:163], vcc_lo, v[156:157], v[158:159], v[156:157]
	s_delay_alu instid0(VALU_DEP_2) | instskip(SKIP_2) | instid1(VALU_DEP_1)
	v_rcp_f64_e32 v[126:127], v[124:125]
	s_waitcnt_depctr 0xfff
	v_fma_f64 v[160:161], -v[124:125], v[126:127], 1.0
	v_fma_f64 v[126:127], v[126:127], v[160:161], v[126:127]
	s_delay_alu instid0(VALU_DEP_1) | instskip(NEXT) | instid1(VALU_DEP_1)
	v_fma_f64 v[160:161], -v[124:125], v[126:127], 1.0
	v_fma_f64 v[126:127], v[126:127], v[160:161], v[126:127]
	s_delay_alu instid0(VALU_DEP_1) | instskip(NEXT) | instid1(VALU_DEP_1)
	v_mul_f64 v[160:161], v[162:163], v[126:127]
	v_fma_f64 v[124:125], -v[124:125], v[160:161], v[162:163]
	s_delay_alu instid0(VALU_DEP_1) | instskip(NEXT) | instid1(VALU_DEP_1)
	v_div_fmas_f64 v[124:125], v[124:125], v[126:127], v[160:161]
	v_div_fixup_f64 v[124:125], v[124:125], v[158:159], v[156:157]
	s_delay_alu instid0(VALU_DEP_1) | instskip(NEXT) | instid1(VALU_DEP_1)
	v_fma_f64 v[126:127], v[156:157], v[124:125], v[158:159]
	v_div_scale_f64 v[156:157], null, v[126:127], v[126:127], 1.0
	s_delay_alu instid0(VALU_DEP_1) | instskip(SKIP_2) | instid1(VALU_DEP_1)
	v_rcp_f64_e32 v[158:159], v[156:157]
	s_waitcnt_depctr 0xfff
	v_fma_f64 v[160:161], -v[156:157], v[158:159], 1.0
	v_fma_f64 v[158:159], v[158:159], v[160:161], v[158:159]
	s_delay_alu instid0(VALU_DEP_1) | instskip(NEXT) | instid1(VALU_DEP_1)
	v_fma_f64 v[160:161], -v[156:157], v[158:159], 1.0
	v_fma_f64 v[158:159], v[158:159], v[160:161], v[158:159]
	v_div_scale_f64 v[160:161], vcc_lo, 1.0, v[126:127], 1.0
	s_delay_alu instid0(VALU_DEP_1) | instskip(NEXT) | instid1(VALU_DEP_1)
	v_mul_f64 v[162:163], v[160:161], v[158:159]
	v_fma_f64 v[156:157], -v[156:157], v[162:163], v[160:161]
	s_delay_alu instid0(VALU_DEP_1) | instskip(NEXT) | instid1(VALU_DEP_1)
	v_div_fmas_f64 v[156:157], v[156:157], v[158:159], v[162:163]
	v_div_fixup_f64 v[162:163], v[156:157], v[126:127], 1.0
                                        ; implicit-def: $vgpr156_vgpr157
	s_delay_alu instid0(VALU_DEP_1)
	v_mul_f64 v[124:125], v[124:125], v[162:163]
	v_xor_b32_e32 v163, 0x80000000, v163
.LBB61_77:
	s_and_not1_saveexec_b32 s3, s3
	s_cbranch_execz .LBB61_79
; %bb.78:
	v_div_scale_f64 v[124:125], null, v[156:157], v[156:157], v[158:159]
	v_div_scale_f64 v[162:163], vcc_lo, v[158:159], v[156:157], v[158:159]
	s_delay_alu instid0(VALU_DEP_2) | instskip(SKIP_2) | instid1(VALU_DEP_1)
	v_rcp_f64_e32 v[126:127], v[124:125]
	s_waitcnt_depctr 0xfff
	v_fma_f64 v[160:161], -v[124:125], v[126:127], 1.0
	v_fma_f64 v[126:127], v[126:127], v[160:161], v[126:127]
	s_delay_alu instid0(VALU_DEP_1) | instskip(NEXT) | instid1(VALU_DEP_1)
	v_fma_f64 v[160:161], -v[124:125], v[126:127], 1.0
	v_fma_f64 v[126:127], v[126:127], v[160:161], v[126:127]
	s_delay_alu instid0(VALU_DEP_1) | instskip(NEXT) | instid1(VALU_DEP_1)
	v_mul_f64 v[160:161], v[162:163], v[126:127]
	v_fma_f64 v[124:125], -v[124:125], v[160:161], v[162:163]
	s_delay_alu instid0(VALU_DEP_1) | instskip(NEXT) | instid1(VALU_DEP_1)
	v_div_fmas_f64 v[124:125], v[124:125], v[126:127], v[160:161]
	v_div_fixup_f64 v[126:127], v[124:125], v[156:157], v[158:159]
	s_delay_alu instid0(VALU_DEP_1) | instskip(NEXT) | instid1(VALU_DEP_1)
	v_fma_f64 v[124:125], v[158:159], v[126:127], v[156:157]
	v_div_scale_f64 v[156:157], null, v[124:125], v[124:125], 1.0
	s_delay_alu instid0(VALU_DEP_1) | instskip(SKIP_2) | instid1(VALU_DEP_1)
	v_rcp_f64_e32 v[158:159], v[156:157]
	s_waitcnt_depctr 0xfff
	v_fma_f64 v[160:161], -v[156:157], v[158:159], 1.0
	v_fma_f64 v[158:159], v[158:159], v[160:161], v[158:159]
	s_delay_alu instid0(VALU_DEP_1) | instskip(NEXT) | instid1(VALU_DEP_1)
	v_fma_f64 v[160:161], -v[156:157], v[158:159], 1.0
	v_fma_f64 v[158:159], v[158:159], v[160:161], v[158:159]
	v_div_scale_f64 v[160:161], vcc_lo, 1.0, v[124:125], 1.0
	s_delay_alu instid0(VALU_DEP_1) | instskip(NEXT) | instid1(VALU_DEP_1)
	v_mul_f64 v[162:163], v[160:161], v[158:159]
	v_fma_f64 v[156:157], -v[156:157], v[162:163], v[160:161]
	s_delay_alu instid0(VALU_DEP_1) | instskip(NEXT) | instid1(VALU_DEP_1)
	v_div_fmas_f64 v[156:157], v[156:157], v[158:159], v[162:163]
	v_div_fixup_f64 v[124:125], v[156:157], v[124:125], 1.0
	s_delay_alu instid0(VALU_DEP_1)
	v_mul_f64 v[162:163], v[126:127], -v[124:125]
.LBB61_79:
	s_or_b32 exec_lo, exec_lo, s3
	ds_store_2addr_b64 v249, v[124:125], v[162:163] offset1:1
.LBB61_80:
	s_or_b32 exec_lo, exec_lo, s4
	s_waitcnt lgkmcnt(0)
	s_barrier
	buffer_gl0_inv
	ds_load_2addr_b64 v[156:159], v249 offset1:1
	s_mov_b32 s3, exec_lo
	v_cmpx_lt_u32_e32 8, v248
	s_cbranch_execz .LBB61_82
; %bb.81:
	s_waitcnt lgkmcnt(0)
	v_mul_f64 v[124:125], v[158:159], v[90:91]
	v_mul_f64 v[90:91], v[156:157], v[90:91]
	s_delay_alu instid0(VALU_DEP_2) | instskip(NEXT) | instid1(VALU_DEP_2)
	v_fma_f64 v[160:161], v[156:157], v[88:89], -v[124:125]
	v_fma_f64 v[90:91], v[158:159], v[88:89], v[90:91]
	ds_load_2addr_b64 v[124:127], v250 offset0:18 offset1:19
	s_waitcnt lgkmcnt(0)
	v_mul_f64 v[88:89], v[126:127], v[90:91]
	s_delay_alu instid0(VALU_DEP_1) | instskip(SKIP_1) | instid1(VALU_DEP_2)
	v_fma_f64 v[88:89], v[124:125], v[160:161], -v[88:89]
	v_mul_f64 v[124:125], v[124:125], v[90:91]
	v_add_f64 v[84:85], v[84:85], -v[88:89]
	s_delay_alu instid0(VALU_DEP_2) | instskip(NEXT) | instid1(VALU_DEP_1)
	v_fma_f64 v[124:125], v[126:127], v[160:161], v[124:125]
	v_add_f64 v[86:87], v[86:87], -v[124:125]
	ds_load_2addr_b64 v[124:127], v250 offset0:20 offset1:21
	s_waitcnt lgkmcnt(0)
	v_mul_f64 v[88:89], v[126:127], v[90:91]
	s_delay_alu instid0(VALU_DEP_1) | instskip(SKIP_1) | instid1(VALU_DEP_2)
	v_fma_f64 v[88:89], v[124:125], v[160:161], -v[88:89]
	v_mul_f64 v[124:125], v[124:125], v[90:91]
	v_add_f64 v[80:81], v[80:81], -v[88:89]
	s_delay_alu instid0(VALU_DEP_2) | instskip(NEXT) | instid1(VALU_DEP_1)
	v_fma_f64 v[124:125], v[126:127], v[160:161], v[124:125]
	v_add_f64 v[82:83], v[82:83], -v[124:125]
	;; [unrolled: 10-line block ×21, first 2 shown]
	ds_load_2addr_b64 v[124:127], v250 offset0:60 offset1:61
	s_waitcnt lgkmcnt(0)
	v_mul_f64 v[88:89], v[126:127], v[90:91]
	s_delay_alu instid0(VALU_DEP_1) | instskip(SKIP_1) | instid1(VALU_DEP_2)
	v_fma_f64 v[88:89], v[124:125], v[160:161], -v[88:89]
	v_mul_f64 v[124:125], v[124:125], v[90:91]
	v_add_f64 v[0:1], v[0:1], -v[88:89]
	s_delay_alu instid0(VALU_DEP_2) | instskip(SKIP_1) | instid1(VALU_DEP_2)
	v_fma_f64 v[124:125], v[126:127], v[160:161], v[124:125]
	v_dual_mov_b32 v88, v160 :: v_dual_mov_b32 v89, v161
	v_add_f64 v[2:3], v[2:3], -v[124:125]
.LBB61_82:
	s_or_b32 exec_lo, exec_lo, s3
	s_delay_alu instid0(SALU_CYCLE_1)
	s_mov_b32 s4, exec_lo
	s_waitcnt lgkmcnt(0)
	s_barrier
	buffer_gl0_inv
	v_cmpx_eq_u32_e32 9, v248
	s_cbranch_execz .LBB61_89
; %bb.83:
	ds_store_2addr_b64 v249, v[84:85], v[86:87] offset1:1
	ds_store_2addr_b64 v250, v[80:81], v[82:83] offset0:20 offset1:21
	ds_store_2addr_b64 v250, v[76:77], v[78:79] offset0:22 offset1:23
	ds_store_2addr_b64 v250, v[72:73], v[74:75] offset0:24 offset1:25
	ds_store_2addr_b64 v250, v[68:69], v[70:71] offset0:26 offset1:27
	ds_store_2addr_b64 v250, v[64:65], v[66:67] offset0:28 offset1:29
	ds_store_2addr_b64 v250, v[60:61], v[62:63] offset0:30 offset1:31
	ds_store_2addr_b64 v250, v[56:57], v[58:59] offset0:32 offset1:33
	ds_store_2addr_b64 v250, v[52:53], v[54:55] offset0:34 offset1:35
	ds_store_2addr_b64 v250, v[48:49], v[50:51] offset0:36 offset1:37
	ds_store_2addr_b64 v250, v[44:45], v[46:47] offset0:38 offset1:39
	ds_store_2addr_b64 v250, v[40:41], v[42:43] offset0:40 offset1:41
	ds_store_2addr_b64 v250, v[36:37], v[38:39] offset0:42 offset1:43
	ds_store_2addr_b64 v250, v[32:33], v[34:35] offset0:44 offset1:45
	ds_store_2addr_b64 v250, v[28:29], v[30:31] offset0:46 offset1:47
	ds_store_2addr_b64 v250, v[24:25], v[26:27] offset0:48 offset1:49
	ds_store_2addr_b64 v250, v[20:21], v[22:23] offset0:50 offset1:51
	ds_store_2addr_b64 v250, v[16:17], v[18:19] offset0:52 offset1:53
	ds_store_2addr_b64 v250, v[12:13], v[14:15] offset0:54 offset1:55
	ds_store_2addr_b64 v250, v[8:9], v[10:11] offset0:56 offset1:57
	ds_store_2addr_b64 v250, v[4:5], v[6:7] offset0:58 offset1:59
	ds_store_2addr_b64 v250, v[0:1], v[2:3] offset0:60 offset1:61
	ds_load_2addr_b64 v[160:163], v249 offset1:1
	s_waitcnt lgkmcnt(0)
	v_cmp_neq_f64_e32 vcc_lo, 0, v[160:161]
	v_cmp_neq_f64_e64 s3, 0, v[162:163]
	s_delay_alu instid0(VALU_DEP_1) | instskip(NEXT) | instid1(SALU_CYCLE_1)
	s_or_b32 s3, vcc_lo, s3
	s_and_b32 exec_lo, exec_lo, s3
	s_cbranch_execz .LBB61_89
; %bb.84:
	v_cmp_gt_f64_e32 vcc_lo, 0, v[160:161]
	v_cmp_gt_f64_e64 s3, 0, v[162:163]
	v_xor_b32_e32 v124, 0x80000000, v161
	v_xor_b32_e32 v126, 0x80000000, v163
	s_delay_alu instid0(VALU_DEP_2) | instskip(NEXT) | instid1(VALU_DEP_2)
	v_cndmask_b32_e32 v125, v161, v124, vcc_lo
	v_cndmask_b32_e64 v127, v163, v126, s3
	v_cndmask_b32_e32 v124, v160, v160, vcc_lo
	v_cndmask_b32_e64 v126, v162, v162, s3
	s_delay_alu instid0(VALU_DEP_1) | instskip(SKIP_1) | instid1(SALU_CYCLE_1)
	v_cmp_ngt_f64_e32 vcc_lo, v[124:125], v[126:127]
                                        ; implicit-def: $vgpr124_vgpr125
	s_and_saveexec_b32 s3, vcc_lo
	s_xor_b32 s3, exec_lo, s3
                                        ; implicit-def: $vgpr164_vgpr165_vgpr166_vgpr167
	s_cbranch_execz .LBB61_86
; %bb.85:
	v_div_scale_f64 v[124:125], null, v[162:163], v[162:163], v[160:161]
	v_div_scale_f64 v[166:167], vcc_lo, v[160:161], v[162:163], v[160:161]
	s_delay_alu instid0(VALU_DEP_2) | instskip(SKIP_2) | instid1(VALU_DEP_1)
	v_rcp_f64_e32 v[126:127], v[124:125]
	s_waitcnt_depctr 0xfff
	v_fma_f64 v[164:165], -v[124:125], v[126:127], 1.0
	v_fma_f64 v[126:127], v[126:127], v[164:165], v[126:127]
	s_delay_alu instid0(VALU_DEP_1) | instskip(NEXT) | instid1(VALU_DEP_1)
	v_fma_f64 v[164:165], -v[124:125], v[126:127], 1.0
	v_fma_f64 v[126:127], v[126:127], v[164:165], v[126:127]
	s_delay_alu instid0(VALU_DEP_1) | instskip(NEXT) | instid1(VALU_DEP_1)
	v_mul_f64 v[164:165], v[166:167], v[126:127]
	v_fma_f64 v[124:125], -v[124:125], v[164:165], v[166:167]
	s_delay_alu instid0(VALU_DEP_1) | instskip(NEXT) | instid1(VALU_DEP_1)
	v_div_fmas_f64 v[124:125], v[124:125], v[126:127], v[164:165]
	v_div_fixup_f64 v[124:125], v[124:125], v[162:163], v[160:161]
	s_delay_alu instid0(VALU_DEP_1) | instskip(NEXT) | instid1(VALU_DEP_1)
	v_fma_f64 v[126:127], v[160:161], v[124:125], v[162:163]
	v_div_scale_f64 v[160:161], null, v[126:127], v[126:127], 1.0
	s_delay_alu instid0(VALU_DEP_1) | instskip(SKIP_2) | instid1(VALU_DEP_1)
	v_rcp_f64_e32 v[162:163], v[160:161]
	s_waitcnt_depctr 0xfff
	v_fma_f64 v[164:165], -v[160:161], v[162:163], 1.0
	v_fma_f64 v[162:163], v[162:163], v[164:165], v[162:163]
	s_delay_alu instid0(VALU_DEP_1) | instskip(NEXT) | instid1(VALU_DEP_1)
	v_fma_f64 v[164:165], -v[160:161], v[162:163], 1.0
	v_fma_f64 v[162:163], v[162:163], v[164:165], v[162:163]
	v_div_scale_f64 v[164:165], vcc_lo, 1.0, v[126:127], 1.0
	s_delay_alu instid0(VALU_DEP_1) | instskip(NEXT) | instid1(VALU_DEP_1)
	v_mul_f64 v[166:167], v[164:165], v[162:163]
	v_fma_f64 v[160:161], -v[160:161], v[166:167], v[164:165]
	s_delay_alu instid0(VALU_DEP_1) | instskip(NEXT) | instid1(VALU_DEP_1)
	v_div_fmas_f64 v[160:161], v[160:161], v[162:163], v[166:167]
	v_div_fixup_f64 v[166:167], v[160:161], v[126:127], 1.0
                                        ; implicit-def: $vgpr160_vgpr161
	s_delay_alu instid0(VALU_DEP_1)
	v_mul_f64 v[124:125], v[124:125], v[166:167]
	v_xor_b32_e32 v167, 0x80000000, v167
.LBB61_86:
	s_and_not1_saveexec_b32 s3, s3
	s_cbranch_execz .LBB61_88
; %bb.87:
	v_div_scale_f64 v[124:125], null, v[160:161], v[160:161], v[162:163]
	v_div_scale_f64 v[166:167], vcc_lo, v[162:163], v[160:161], v[162:163]
	s_delay_alu instid0(VALU_DEP_2) | instskip(SKIP_2) | instid1(VALU_DEP_1)
	v_rcp_f64_e32 v[126:127], v[124:125]
	s_waitcnt_depctr 0xfff
	v_fma_f64 v[164:165], -v[124:125], v[126:127], 1.0
	v_fma_f64 v[126:127], v[126:127], v[164:165], v[126:127]
	s_delay_alu instid0(VALU_DEP_1) | instskip(NEXT) | instid1(VALU_DEP_1)
	v_fma_f64 v[164:165], -v[124:125], v[126:127], 1.0
	v_fma_f64 v[126:127], v[126:127], v[164:165], v[126:127]
	s_delay_alu instid0(VALU_DEP_1) | instskip(NEXT) | instid1(VALU_DEP_1)
	v_mul_f64 v[164:165], v[166:167], v[126:127]
	v_fma_f64 v[124:125], -v[124:125], v[164:165], v[166:167]
	s_delay_alu instid0(VALU_DEP_1) | instskip(NEXT) | instid1(VALU_DEP_1)
	v_div_fmas_f64 v[124:125], v[124:125], v[126:127], v[164:165]
	v_div_fixup_f64 v[126:127], v[124:125], v[160:161], v[162:163]
	s_delay_alu instid0(VALU_DEP_1) | instskip(NEXT) | instid1(VALU_DEP_1)
	v_fma_f64 v[124:125], v[162:163], v[126:127], v[160:161]
	v_div_scale_f64 v[160:161], null, v[124:125], v[124:125], 1.0
	s_delay_alu instid0(VALU_DEP_1) | instskip(SKIP_2) | instid1(VALU_DEP_1)
	v_rcp_f64_e32 v[162:163], v[160:161]
	s_waitcnt_depctr 0xfff
	v_fma_f64 v[164:165], -v[160:161], v[162:163], 1.0
	v_fma_f64 v[162:163], v[162:163], v[164:165], v[162:163]
	s_delay_alu instid0(VALU_DEP_1) | instskip(NEXT) | instid1(VALU_DEP_1)
	v_fma_f64 v[164:165], -v[160:161], v[162:163], 1.0
	v_fma_f64 v[162:163], v[162:163], v[164:165], v[162:163]
	v_div_scale_f64 v[164:165], vcc_lo, 1.0, v[124:125], 1.0
	s_delay_alu instid0(VALU_DEP_1) | instskip(NEXT) | instid1(VALU_DEP_1)
	v_mul_f64 v[166:167], v[164:165], v[162:163]
	v_fma_f64 v[160:161], -v[160:161], v[166:167], v[164:165]
	s_delay_alu instid0(VALU_DEP_1) | instskip(NEXT) | instid1(VALU_DEP_1)
	v_div_fmas_f64 v[160:161], v[160:161], v[162:163], v[166:167]
	v_div_fixup_f64 v[124:125], v[160:161], v[124:125], 1.0
	s_delay_alu instid0(VALU_DEP_1)
	v_mul_f64 v[166:167], v[126:127], -v[124:125]
.LBB61_88:
	s_or_b32 exec_lo, exec_lo, s3
	ds_store_2addr_b64 v249, v[124:125], v[166:167] offset1:1
.LBB61_89:
	s_or_b32 exec_lo, exec_lo, s4
	s_waitcnt lgkmcnt(0)
	s_barrier
	buffer_gl0_inv
	ds_load_2addr_b64 v[160:163], v249 offset1:1
	s_mov_b32 s3, exec_lo
	v_cmpx_lt_u32_e32 9, v248
	s_cbranch_execz .LBB61_91
; %bb.90:
	s_waitcnt lgkmcnt(0)
	v_mul_f64 v[124:125], v[162:163], v[86:87]
	v_mul_f64 v[86:87], v[160:161], v[86:87]
	s_delay_alu instid0(VALU_DEP_2) | instskip(NEXT) | instid1(VALU_DEP_2)
	v_fma_f64 v[164:165], v[160:161], v[84:85], -v[124:125]
	v_fma_f64 v[86:87], v[162:163], v[84:85], v[86:87]
	ds_load_2addr_b64 v[124:127], v250 offset0:20 offset1:21
	s_waitcnt lgkmcnt(0)
	v_mul_f64 v[84:85], v[126:127], v[86:87]
	s_delay_alu instid0(VALU_DEP_1) | instskip(SKIP_1) | instid1(VALU_DEP_2)
	v_fma_f64 v[84:85], v[124:125], v[164:165], -v[84:85]
	v_mul_f64 v[124:125], v[124:125], v[86:87]
	v_add_f64 v[80:81], v[80:81], -v[84:85]
	s_delay_alu instid0(VALU_DEP_2) | instskip(NEXT) | instid1(VALU_DEP_1)
	v_fma_f64 v[124:125], v[126:127], v[164:165], v[124:125]
	v_add_f64 v[82:83], v[82:83], -v[124:125]
	ds_load_2addr_b64 v[124:127], v250 offset0:22 offset1:23
	s_waitcnt lgkmcnt(0)
	v_mul_f64 v[84:85], v[126:127], v[86:87]
	s_delay_alu instid0(VALU_DEP_1) | instskip(SKIP_1) | instid1(VALU_DEP_2)
	v_fma_f64 v[84:85], v[124:125], v[164:165], -v[84:85]
	v_mul_f64 v[124:125], v[124:125], v[86:87]
	v_add_f64 v[76:77], v[76:77], -v[84:85]
	s_delay_alu instid0(VALU_DEP_2) | instskip(NEXT) | instid1(VALU_DEP_1)
	v_fma_f64 v[124:125], v[126:127], v[164:165], v[124:125]
	v_add_f64 v[78:79], v[78:79], -v[124:125]
	;; [unrolled: 10-line block ×20, first 2 shown]
	ds_load_2addr_b64 v[124:127], v250 offset0:60 offset1:61
	s_waitcnt lgkmcnt(0)
	v_mul_f64 v[84:85], v[126:127], v[86:87]
	s_delay_alu instid0(VALU_DEP_1) | instskip(SKIP_1) | instid1(VALU_DEP_2)
	v_fma_f64 v[84:85], v[124:125], v[164:165], -v[84:85]
	v_mul_f64 v[124:125], v[124:125], v[86:87]
	v_add_f64 v[0:1], v[0:1], -v[84:85]
	s_delay_alu instid0(VALU_DEP_2) | instskip(SKIP_1) | instid1(VALU_DEP_2)
	v_fma_f64 v[124:125], v[126:127], v[164:165], v[124:125]
	v_dual_mov_b32 v84, v164 :: v_dual_mov_b32 v85, v165
	v_add_f64 v[2:3], v[2:3], -v[124:125]
.LBB61_91:
	s_or_b32 exec_lo, exec_lo, s3
	s_delay_alu instid0(SALU_CYCLE_1)
	s_mov_b32 s4, exec_lo
	s_waitcnt lgkmcnt(0)
	s_barrier
	buffer_gl0_inv
	v_cmpx_eq_u32_e32 10, v248
	s_cbranch_execz .LBB61_98
; %bb.92:
	ds_store_2addr_b64 v249, v[80:81], v[82:83] offset1:1
	ds_store_2addr_b64 v250, v[76:77], v[78:79] offset0:22 offset1:23
	ds_store_2addr_b64 v250, v[72:73], v[74:75] offset0:24 offset1:25
	;; [unrolled: 1-line block ×20, first 2 shown]
	ds_load_2addr_b64 v[164:167], v249 offset1:1
	s_waitcnt lgkmcnt(0)
	v_cmp_neq_f64_e32 vcc_lo, 0, v[164:165]
	v_cmp_neq_f64_e64 s3, 0, v[166:167]
	s_delay_alu instid0(VALU_DEP_1) | instskip(NEXT) | instid1(SALU_CYCLE_1)
	s_or_b32 s3, vcc_lo, s3
	s_and_b32 exec_lo, exec_lo, s3
	s_cbranch_execz .LBB61_98
; %bb.93:
	v_cmp_gt_f64_e32 vcc_lo, 0, v[164:165]
	v_cmp_gt_f64_e64 s3, 0, v[166:167]
	v_xor_b32_e32 v124, 0x80000000, v165
	v_xor_b32_e32 v126, 0x80000000, v167
	s_delay_alu instid0(VALU_DEP_2) | instskip(NEXT) | instid1(VALU_DEP_2)
	v_cndmask_b32_e32 v125, v165, v124, vcc_lo
	v_cndmask_b32_e64 v127, v167, v126, s3
	v_cndmask_b32_e32 v124, v164, v164, vcc_lo
	v_cndmask_b32_e64 v126, v166, v166, s3
	s_delay_alu instid0(VALU_DEP_1) | instskip(SKIP_1) | instid1(SALU_CYCLE_1)
	v_cmp_ngt_f64_e32 vcc_lo, v[124:125], v[126:127]
                                        ; implicit-def: $vgpr124_vgpr125
	s_and_saveexec_b32 s3, vcc_lo
	s_xor_b32 s3, exec_lo, s3
                                        ; implicit-def: $vgpr168_vgpr169_vgpr170_vgpr171
	s_cbranch_execz .LBB61_95
; %bb.94:
	v_div_scale_f64 v[124:125], null, v[166:167], v[166:167], v[164:165]
	v_div_scale_f64 v[170:171], vcc_lo, v[164:165], v[166:167], v[164:165]
	s_delay_alu instid0(VALU_DEP_2) | instskip(SKIP_2) | instid1(VALU_DEP_1)
	v_rcp_f64_e32 v[126:127], v[124:125]
	s_waitcnt_depctr 0xfff
	v_fma_f64 v[168:169], -v[124:125], v[126:127], 1.0
	v_fma_f64 v[126:127], v[126:127], v[168:169], v[126:127]
	s_delay_alu instid0(VALU_DEP_1) | instskip(NEXT) | instid1(VALU_DEP_1)
	v_fma_f64 v[168:169], -v[124:125], v[126:127], 1.0
	v_fma_f64 v[126:127], v[126:127], v[168:169], v[126:127]
	s_delay_alu instid0(VALU_DEP_1) | instskip(NEXT) | instid1(VALU_DEP_1)
	v_mul_f64 v[168:169], v[170:171], v[126:127]
	v_fma_f64 v[124:125], -v[124:125], v[168:169], v[170:171]
	s_delay_alu instid0(VALU_DEP_1) | instskip(NEXT) | instid1(VALU_DEP_1)
	v_div_fmas_f64 v[124:125], v[124:125], v[126:127], v[168:169]
	v_div_fixup_f64 v[124:125], v[124:125], v[166:167], v[164:165]
	s_delay_alu instid0(VALU_DEP_1) | instskip(NEXT) | instid1(VALU_DEP_1)
	v_fma_f64 v[126:127], v[164:165], v[124:125], v[166:167]
	v_div_scale_f64 v[164:165], null, v[126:127], v[126:127], 1.0
	s_delay_alu instid0(VALU_DEP_1) | instskip(SKIP_2) | instid1(VALU_DEP_1)
	v_rcp_f64_e32 v[166:167], v[164:165]
	s_waitcnt_depctr 0xfff
	v_fma_f64 v[168:169], -v[164:165], v[166:167], 1.0
	v_fma_f64 v[166:167], v[166:167], v[168:169], v[166:167]
	s_delay_alu instid0(VALU_DEP_1) | instskip(NEXT) | instid1(VALU_DEP_1)
	v_fma_f64 v[168:169], -v[164:165], v[166:167], 1.0
	v_fma_f64 v[166:167], v[166:167], v[168:169], v[166:167]
	v_div_scale_f64 v[168:169], vcc_lo, 1.0, v[126:127], 1.0
	s_delay_alu instid0(VALU_DEP_1) | instskip(NEXT) | instid1(VALU_DEP_1)
	v_mul_f64 v[170:171], v[168:169], v[166:167]
	v_fma_f64 v[164:165], -v[164:165], v[170:171], v[168:169]
	s_delay_alu instid0(VALU_DEP_1) | instskip(NEXT) | instid1(VALU_DEP_1)
	v_div_fmas_f64 v[164:165], v[164:165], v[166:167], v[170:171]
	v_div_fixup_f64 v[170:171], v[164:165], v[126:127], 1.0
                                        ; implicit-def: $vgpr164_vgpr165
	s_delay_alu instid0(VALU_DEP_1)
	v_mul_f64 v[124:125], v[124:125], v[170:171]
	v_xor_b32_e32 v171, 0x80000000, v171
.LBB61_95:
	s_and_not1_saveexec_b32 s3, s3
	s_cbranch_execz .LBB61_97
; %bb.96:
	v_div_scale_f64 v[124:125], null, v[164:165], v[164:165], v[166:167]
	v_div_scale_f64 v[170:171], vcc_lo, v[166:167], v[164:165], v[166:167]
	s_delay_alu instid0(VALU_DEP_2) | instskip(SKIP_2) | instid1(VALU_DEP_1)
	v_rcp_f64_e32 v[126:127], v[124:125]
	s_waitcnt_depctr 0xfff
	v_fma_f64 v[168:169], -v[124:125], v[126:127], 1.0
	v_fma_f64 v[126:127], v[126:127], v[168:169], v[126:127]
	s_delay_alu instid0(VALU_DEP_1) | instskip(NEXT) | instid1(VALU_DEP_1)
	v_fma_f64 v[168:169], -v[124:125], v[126:127], 1.0
	v_fma_f64 v[126:127], v[126:127], v[168:169], v[126:127]
	s_delay_alu instid0(VALU_DEP_1) | instskip(NEXT) | instid1(VALU_DEP_1)
	v_mul_f64 v[168:169], v[170:171], v[126:127]
	v_fma_f64 v[124:125], -v[124:125], v[168:169], v[170:171]
	s_delay_alu instid0(VALU_DEP_1) | instskip(NEXT) | instid1(VALU_DEP_1)
	v_div_fmas_f64 v[124:125], v[124:125], v[126:127], v[168:169]
	v_div_fixup_f64 v[126:127], v[124:125], v[164:165], v[166:167]
	s_delay_alu instid0(VALU_DEP_1) | instskip(NEXT) | instid1(VALU_DEP_1)
	v_fma_f64 v[124:125], v[166:167], v[126:127], v[164:165]
	v_div_scale_f64 v[164:165], null, v[124:125], v[124:125], 1.0
	s_delay_alu instid0(VALU_DEP_1) | instskip(SKIP_2) | instid1(VALU_DEP_1)
	v_rcp_f64_e32 v[166:167], v[164:165]
	s_waitcnt_depctr 0xfff
	v_fma_f64 v[168:169], -v[164:165], v[166:167], 1.0
	v_fma_f64 v[166:167], v[166:167], v[168:169], v[166:167]
	s_delay_alu instid0(VALU_DEP_1) | instskip(NEXT) | instid1(VALU_DEP_1)
	v_fma_f64 v[168:169], -v[164:165], v[166:167], 1.0
	v_fma_f64 v[166:167], v[166:167], v[168:169], v[166:167]
	v_div_scale_f64 v[168:169], vcc_lo, 1.0, v[124:125], 1.0
	s_delay_alu instid0(VALU_DEP_1) | instskip(NEXT) | instid1(VALU_DEP_1)
	v_mul_f64 v[170:171], v[168:169], v[166:167]
	v_fma_f64 v[164:165], -v[164:165], v[170:171], v[168:169]
	s_delay_alu instid0(VALU_DEP_1) | instskip(NEXT) | instid1(VALU_DEP_1)
	v_div_fmas_f64 v[164:165], v[164:165], v[166:167], v[170:171]
	v_div_fixup_f64 v[124:125], v[164:165], v[124:125], 1.0
	s_delay_alu instid0(VALU_DEP_1)
	v_mul_f64 v[170:171], v[126:127], -v[124:125]
.LBB61_97:
	s_or_b32 exec_lo, exec_lo, s3
	ds_store_2addr_b64 v249, v[124:125], v[170:171] offset1:1
.LBB61_98:
	s_or_b32 exec_lo, exec_lo, s4
	s_waitcnt lgkmcnt(0)
	s_barrier
	buffer_gl0_inv
	ds_load_2addr_b64 v[164:167], v249 offset1:1
	s_mov_b32 s3, exec_lo
	v_cmpx_lt_u32_e32 10, v248
	s_cbranch_execz .LBB61_100
; %bb.99:
	s_waitcnt lgkmcnt(0)
	v_mul_f64 v[124:125], v[166:167], v[82:83]
	v_mul_f64 v[82:83], v[164:165], v[82:83]
	s_delay_alu instid0(VALU_DEP_2) | instskip(NEXT) | instid1(VALU_DEP_2)
	v_fma_f64 v[168:169], v[164:165], v[80:81], -v[124:125]
	v_fma_f64 v[82:83], v[166:167], v[80:81], v[82:83]
	ds_load_2addr_b64 v[124:127], v250 offset0:22 offset1:23
	s_waitcnt lgkmcnt(0)
	v_mul_f64 v[80:81], v[126:127], v[82:83]
	s_delay_alu instid0(VALU_DEP_1) | instskip(SKIP_1) | instid1(VALU_DEP_2)
	v_fma_f64 v[80:81], v[124:125], v[168:169], -v[80:81]
	v_mul_f64 v[124:125], v[124:125], v[82:83]
	v_add_f64 v[76:77], v[76:77], -v[80:81]
	s_delay_alu instid0(VALU_DEP_2) | instskip(NEXT) | instid1(VALU_DEP_1)
	v_fma_f64 v[124:125], v[126:127], v[168:169], v[124:125]
	v_add_f64 v[78:79], v[78:79], -v[124:125]
	ds_load_2addr_b64 v[124:127], v250 offset0:24 offset1:25
	s_waitcnt lgkmcnt(0)
	v_mul_f64 v[80:81], v[126:127], v[82:83]
	s_delay_alu instid0(VALU_DEP_1) | instskip(SKIP_1) | instid1(VALU_DEP_2)
	v_fma_f64 v[80:81], v[124:125], v[168:169], -v[80:81]
	v_mul_f64 v[124:125], v[124:125], v[82:83]
	v_add_f64 v[72:73], v[72:73], -v[80:81]
	s_delay_alu instid0(VALU_DEP_2) | instskip(NEXT) | instid1(VALU_DEP_1)
	v_fma_f64 v[124:125], v[126:127], v[168:169], v[124:125]
	v_add_f64 v[74:75], v[74:75], -v[124:125]
	;; [unrolled: 10-line block ×19, first 2 shown]
	ds_load_2addr_b64 v[124:127], v250 offset0:60 offset1:61
	s_waitcnt lgkmcnt(0)
	v_mul_f64 v[80:81], v[126:127], v[82:83]
	s_delay_alu instid0(VALU_DEP_1) | instskip(SKIP_1) | instid1(VALU_DEP_2)
	v_fma_f64 v[80:81], v[124:125], v[168:169], -v[80:81]
	v_mul_f64 v[124:125], v[124:125], v[82:83]
	v_add_f64 v[0:1], v[0:1], -v[80:81]
	s_delay_alu instid0(VALU_DEP_2) | instskip(SKIP_1) | instid1(VALU_DEP_2)
	v_fma_f64 v[124:125], v[126:127], v[168:169], v[124:125]
	v_dual_mov_b32 v80, v168 :: v_dual_mov_b32 v81, v169
	v_add_f64 v[2:3], v[2:3], -v[124:125]
.LBB61_100:
	s_or_b32 exec_lo, exec_lo, s3
	s_delay_alu instid0(SALU_CYCLE_1)
	s_mov_b32 s4, exec_lo
	s_waitcnt lgkmcnt(0)
	s_barrier
	buffer_gl0_inv
	v_cmpx_eq_u32_e32 11, v248
	s_cbranch_execz .LBB61_107
; %bb.101:
	ds_store_2addr_b64 v249, v[76:77], v[78:79] offset1:1
	ds_store_2addr_b64 v250, v[72:73], v[74:75] offset0:24 offset1:25
	ds_store_2addr_b64 v250, v[68:69], v[70:71] offset0:26 offset1:27
	;; [unrolled: 1-line block ×19, first 2 shown]
	ds_load_2addr_b64 v[168:171], v249 offset1:1
	s_waitcnt lgkmcnt(0)
	v_cmp_neq_f64_e32 vcc_lo, 0, v[168:169]
	v_cmp_neq_f64_e64 s3, 0, v[170:171]
	s_delay_alu instid0(VALU_DEP_1) | instskip(NEXT) | instid1(SALU_CYCLE_1)
	s_or_b32 s3, vcc_lo, s3
	s_and_b32 exec_lo, exec_lo, s3
	s_cbranch_execz .LBB61_107
; %bb.102:
	v_cmp_gt_f64_e32 vcc_lo, 0, v[168:169]
	v_cmp_gt_f64_e64 s3, 0, v[170:171]
	v_xor_b32_e32 v124, 0x80000000, v169
	v_xor_b32_e32 v126, 0x80000000, v171
	s_delay_alu instid0(VALU_DEP_2) | instskip(NEXT) | instid1(VALU_DEP_2)
	v_cndmask_b32_e32 v125, v169, v124, vcc_lo
	v_cndmask_b32_e64 v127, v171, v126, s3
	v_cndmask_b32_e32 v124, v168, v168, vcc_lo
	v_cndmask_b32_e64 v126, v170, v170, s3
	s_delay_alu instid0(VALU_DEP_1) | instskip(SKIP_1) | instid1(SALU_CYCLE_1)
	v_cmp_ngt_f64_e32 vcc_lo, v[124:125], v[126:127]
                                        ; implicit-def: $vgpr124_vgpr125
	s_and_saveexec_b32 s3, vcc_lo
	s_xor_b32 s3, exec_lo, s3
                                        ; implicit-def: $vgpr172_vgpr173_vgpr174_vgpr175
	s_cbranch_execz .LBB61_104
; %bb.103:
	v_div_scale_f64 v[124:125], null, v[170:171], v[170:171], v[168:169]
	v_div_scale_f64 v[174:175], vcc_lo, v[168:169], v[170:171], v[168:169]
	s_delay_alu instid0(VALU_DEP_2) | instskip(SKIP_2) | instid1(VALU_DEP_1)
	v_rcp_f64_e32 v[126:127], v[124:125]
	s_waitcnt_depctr 0xfff
	v_fma_f64 v[172:173], -v[124:125], v[126:127], 1.0
	v_fma_f64 v[126:127], v[126:127], v[172:173], v[126:127]
	s_delay_alu instid0(VALU_DEP_1) | instskip(NEXT) | instid1(VALU_DEP_1)
	v_fma_f64 v[172:173], -v[124:125], v[126:127], 1.0
	v_fma_f64 v[126:127], v[126:127], v[172:173], v[126:127]
	s_delay_alu instid0(VALU_DEP_1) | instskip(NEXT) | instid1(VALU_DEP_1)
	v_mul_f64 v[172:173], v[174:175], v[126:127]
	v_fma_f64 v[124:125], -v[124:125], v[172:173], v[174:175]
	s_delay_alu instid0(VALU_DEP_1) | instskip(NEXT) | instid1(VALU_DEP_1)
	v_div_fmas_f64 v[124:125], v[124:125], v[126:127], v[172:173]
	v_div_fixup_f64 v[124:125], v[124:125], v[170:171], v[168:169]
	s_delay_alu instid0(VALU_DEP_1) | instskip(NEXT) | instid1(VALU_DEP_1)
	v_fma_f64 v[126:127], v[168:169], v[124:125], v[170:171]
	v_div_scale_f64 v[168:169], null, v[126:127], v[126:127], 1.0
	s_delay_alu instid0(VALU_DEP_1) | instskip(SKIP_2) | instid1(VALU_DEP_1)
	v_rcp_f64_e32 v[170:171], v[168:169]
	s_waitcnt_depctr 0xfff
	v_fma_f64 v[172:173], -v[168:169], v[170:171], 1.0
	v_fma_f64 v[170:171], v[170:171], v[172:173], v[170:171]
	s_delay_alu instid0(VALU_DEP_1) | instskip(NEXT) | instid1(VALU_DEP_1)
	v_fma_f64 v[172:173], -v[168:169], v[170:171], 1.0
	v_fma_f64 v[170:171], v[170:171], v[172:173], v[170:171]
	v_div_scale_f64 v[172:173], vcc_lo, 1.0, v[126:127], 1.0
	s_delay_alu instid0(VALU_DEP_1) | instskip(NEXT) | instid1(VALU_DEP_1)
	v_mul_f64 v[174:175], v[172:173], v[170:171]
	v_fma_f64 v[168:169], -v[168:169], v[174:175], v[172:173]
	s_delay_alu instid0(VALU_DEP_1) | instskip(NEXT) | instid1(VALU_DEP_1)
	v_div_fmas_f64 v[168:169], v[168:169], v[170:171], v[174:175]
	v_div_fixup_f64 v[174:175], v[168:169], v[126:127], 1.0
                                        ; implicit-def: $vgpr168_vgpr169
	s_delay_alu instid0(VALU_DEP_1)
	v_mul_f64 v[124:125], v[124:125], v[174:175]
	v_xor_b32_e32 v175, 0x80000000, v175
.LBB61_104:
	s_and_not1_saveexec_b32 s3, s3
	s_cbranch_execz .LBB61_106
; %bb.105:
	v_div_scale_f64 v[124:125], null, v[168:169], v[168:169], v[170:171]
	v_div_scale_f64 v[174:175], vcc_lo, v[170:171], v[168:169], v[170:171]
	s_delay_alu instid0(VALU_DEP_2) | instskip(SKIP_2) | instid1(VALU_DEP_1)
	v_rcp_f64_e32 v[126:127], v[124:125]
	s_waitcnt_depctr 0xfff
	v_fma_f64 v[172:173], -v[124:125], v[126:127], 1.0
	v_fma_f64 v[126:127], v[126:127], v[172:173], v[126:127]
	s_delay_alu instid0(VALU_DEP_1) | instskip(NEXT) | instid1(VALU_DEP_1)
	v_fma_f64 v[172:173], -v[124:125], v[126:127], 1.0
	v_fma_f64 v[126:127], v[126:127], v[172:173], v[126:127]
	s_delay_alu instid0(VALU_DEP_1) | instskip(NEXT) | instid1(VALU_DEP_1)
	v_mul_f64 v[172:173], v[174:175], v[126:127]
	v_fma_f64 v[124:125], -v[124:125], v[172:173], v[174:175]
	s_delay_alu instid0(VALU_DEP_1) | instskip(NEXT) | instid1(VALU_DEP_1)
	v_div_fmas_f64 v[124:125], v[124:125], v[126:127], v[172:173]
	v_div_fixup_f64 v[126:127], v[124:125], v[168:169], v[170:171]
	s_delay_alu instid0(VALU_DEP_1) | instskip(NEXT) | instid1(VALU_DEP_1)
	v_fma_f64 v[124:125], v[170:171], v[126:127], v[168:169]
	v_div_scale_f64 v[168:169], null, v[124:125], v[124:125], 1.0
	s_delay_alu instid0(VALU_DEP_1) | instskip(SKIP_2) | instid1(VALU_DEP_1)
	v_rcp_f64_e32 v[170:171], v[168:169]
	s_waitcnt_depctr 0xfff
	v_fma_f64 v[172:173], -v[168:169], v[170:171], 1.0
	v_fma_f64 v[170:171], v[170:171], v[172:173], v[170:171]
	s_delay_alu instid0(VALU_DEP_1) | instskip(NEXT) | instid1(VALU_DEP_1)
	v_fma_f64 v[172:173], -v[168:169], v[170:171], 1.0
	v_fma_f64 v[170:171], v[170:171], v[172:173], v[170:171]
	v_div_scale_f64 v[172:173], vcc_lo, 1.0, v[124:125], 1.0
	s_delay_alu instid0(VALU_DEP_1) | instskip(NEXT) | instid1(VALU_DEP_1)
	v_mul_f64 v[174:175], v[172:173], v[170:171]
	v_fma_f64 v[168:169], -v[168:169], v[174:175], v[172:173]
	s_delay_alu instid0(VALU_DEP_1) | instskip(NEXT) | instid1(VALU_DEP_1)
	v_div_fmas_f64 v[168:169], v[168:169], v[170:171], v[174:175]
	v_div_fixup_f64 v[124:125], v[168:169], v[124:125], 1.0
	s_delay_alu instid0(VALU_DEP_1)
	v_mul_f64 v[174:175], v[126:127], -v[124:125]
.LBB61_106:
	s_or_b32 exec_lo, exec_lo, s3
	ds_store_2addr_b64 v249, v[124:125], v[174:175] offset1:1
.LBB61_107:
	s_or_b32 exec_lo, exec_lo, s4
	s_waitcnt lgkmcnt(0)
	s_barrier
	buffer_gl0_inv
	ds_load_2addr_b64 v[168:171], v249 offset1:1
	s_mov_b32 s3, exec_lo
	v_cmpx_lt_u32_e32 11, v248
	s_cbranch_execz .LBB61_109
; %bb.108:
	s_waitcnt lgkmcnt(0)
	v_mul_f64 v[124:125], v[170:171], v[78:79]
	v_mul_f64 v[78:79], v[168:169], v[78:79]
	s_delay_alu instid0(VALU_DEP_2) | instskip(NEXT) | instid1(VALU_DEP_2)
	v_fma_f64 v[172:173], v[168:169], v[76:77], -v[124:125]
	v_fma_f64 v[78:79], v[170:171], v[76:77], v[78:79]
	ds_load_2addr_b64 v[124:127], v250 offset0:24 offset1:25
	s_waitcnt lgkmcnt(0)
	v_mul_f64 v[76:77], v[126:127], v[78:79]
	s_delay_alu instid0(VALU_DEP_1) | instskip(SKIP_1) | instid1(VALU_DEP_2)
	v_fma_f64 v[76:77], v[124:125], v[172:173], -v[76:77]
	v_mul_f64 v[124:125], v[124:125], v[78:79]
	v_add_f64 v[72:73], v[72:73], -v[76:77]
	s_delay_alu instid0(VALU_DEP_2) | instskip(NEXT) | instid1(VALU_DEP_1)
	v_fma_f64 v[124:125], v[126:127], v[172:173], v[124:125]
	v_add_f64 v[74:75], v[74:75], -v[124:125]
	ds_load_2addr_b64 v[124:127], v250 offset0:26 offset1:27
	s_waitcnt lgkmcnt(0)
	v_mul_f64 v[76:77], v[126:127], v[78:79]
	s_delay_alu instid0(VALU_DEP_1) | instskip(SKIP_1) | instid1(VALU_DEP_2)
	v_fma_f64 v[76:77], v[124:125], v[172:173], -v[76:77]
	v_mul_f64 v[124:125], v[124:125], v[78:79]
	v_add_f64 v[68:69], v[68:69], -v[76:77]
	s_delay_alu instid0(VALU_DEP_2) | instskip(NEXT) | instid1(VALU_DEP_1)
	v_fma_f64 v[124:125], v[126:127], v[172:173], v[124:125]
	v_add_f64 v[70:71], v[70:71], -v[124:125]
	ds_load_2addr_b64 v[124:127], v250 offset0:28 offset1:29
	s_waitcnt lgkmcnt(0)
	v_mul_f64 v[76:77], v[126:127], v[78:79]
	s_delay_alu instid0(VALU_DEP_1) | instskip(SKIP_1) | instid1(VALU_DEP_2)
	v_fma_f64 v[76:77], v[124:125], v[172:173], -v[76:77]
	v_mul_f64 v[124:125], v[124:125], v[78:79]
	v_add_f64 v[64:65], v[64:65], -v[76:77]
	s_delay_alu instid0(VALU_DEP_2) | instskip(NEXT) | instid1(VALU_DEP_1)
	v_fma_f64 v[124:125], v[126:127], v[172:173], v[124:125]
	v_add_f64 v[66:67], v[66:67], -v[124:125]
	ds_load_2addr_b64 v[124:127], v250 offset0:30 offset1:31
	s_waitcnt lgkmcnt(0)
	v_mul_f64 v[76:77], v[126:127], v[78:79]
	s_delay_alu instid0(VALU_DEP_1) | instskip(SKIP_1) | instid1(VALU_DEP_2)
	v_fma_f64 v[76:77], v[124:125], v[172:173], -v[76:77]
	v_mul_f64 v[124:125], v[124:125], v[78:79]
	v_add_f64 v[60:61], v[60:61], -v[76:77]
	s_delay_alu instid0(VALU_DEP_2) | instskip(NEXT) | instid1(VALU_DEP_1)
	v_fma_f64 v[124:125], v[126:127], v[172:173], v[124:125]
	v_add_f64 v[62:63], v[62:63], -v[124:125]
	ds_load_2addr_b64 v[124:127], v250 offset0:32 offset1:33
	s_waitcnt lgkmcnt(0)
	v_mul_f64 v[76:77], v[126:127], v[78:79]
	s_delay_alu instid0(VALU_DEP_1) | instskip(SKIP_1) | instid1(VALU_DEP_2)
	v_fma_f64 v[76:77], v[124:125], v[172:173], -v[76:77]
	v_mul_f64 v[124:125], v[124:125], v[78:79]
	v_add_f64 v[56:57], v[56:57], -v[76:77]
	s_delay_alu instid0(VALU_DEP_2) | instskip(NEXT) | instid1(VALU_DEP_1)
	v_fma_f64 v[124:125], v[126:127], v[172:173], v[124:125]
	v_add_f64 v[58:59], v[58:59], -v[124:125]
	ds_load_2addr_b64 v[124:127], v250 offset0:34 offset1:35
	s_waitcnt lgkmcnt(0)
	v_mul_f64 v[76:77], v[126:127], v[78:79]
	s_delay_alu instid0(VALU_DEP_1) | instskip(SKIP_1) | instid1(VALU_DEP_2)
	v_fma_f64 v[76:77], v[124:125], v[172:173], -v[76:77]
	v_mul_f64 v[124:125], v[124:125], v[78:79]
	v_add_f64 v[52:53], v[52:53], -v[76:77]
	s_delay_alu instid0(VALU_DEP_2) | instskip(NEXT) | instid1(VALU_DEP_1)
	v_fma_f64 v[124:125], v[126:127], v[172:173], v[124:125]
	v_add_f64 v[54:55], v[54:55], -v[124:125]
	ds_load_2addr_b64 v[124:127], v250 offset0:36 offset1:37
	s_waitcnt lgkmcnt(0)
	v_mul_f64 v[76:77], v[126:127], v[78:79]
	s_delay_alu instid0(VALU_DEP_1) | instskip(SKIP_1) | instid1(VALU_DEP_2)
	v_fma_f64 v[76:77], v[124:125], v[172:173], -v[76:77]
	v_mul_f64 v[124:125], v[124:125], v[78:79]
	v_add_f64 v[48:49], v[48:49], -v[76:77]
	s_delay_alu instid0(VALU_DEP_2) | instskip(NEXT) | instid1(VALU_DEP_1)
	v_fma_f64 v[124:125], v[126:127], v[172:173], v[124:125]
	v_add_f64 v[50:51], v[50:51], -v[124:125]
	ds_load_2addr_b64 v[124:127], v250 offset0:38 offset1:39
	s_waitcnt lgkmcnt(0)
	v_mul_f64 v[76:77], v[126:127], v[78:79]
	s_delay_alu instid0(VALU_DEP_1) | instskip(SKIP_1) | instid1(VALU_DEP_2)
	v_fma_f64 v[76:77], v[124:125], v[172:173], -v[76:77]
	v_mul_f64 v[124:125], v[124:125], v[78:79]
	v_add_f64 v[44:45], v[44:45], -v[76:77]
	s_delay_alu instid0(VALU_DEP_2) | instskip(NEXT) | instid1(VALU_DEP_1)
	v_fma_f64 v[124:125], v[126:127], v[172:173], v[124:125]
	v_add_f64 v[46:47], v[46:47], -v[124:125]
	ds_load_2addr_b64 v[124:127], v250 offset0:40 offset1:41
	s_waitcnt lgkmcnt(0)
	v_mul_f64 v[76:77], v[126:127], v[78:79]
	s_delay_alu instid0(VALU_DEP_1) | instskip(SKIP_1) | instid1(VALU_DEP_2)
	v_fma_f64 v[76:77], v[124:125], v[172:173], -v[76:77]
	v_mul_f64 v[124:125], v[124:125], v[78:79]
	v_add_f64 v[40:41], v[40:41], -v[76:77]
	s_delay_alu instid0(VALU_DEP_2) | instskip(NEXT) | instid1(VALU_DEP_1)
	v_fma_f64 v[124:125], v[126:127], v[172:173], v[124:125]
	v_add_f64 v[42:43], v[42:43], -v[124:125]
	ds_load_2addr_b64 v[124:127], v250 offset0:42 offset1:43
	s_waitcnt lgkmcnt(0)
	v_mul_f64 v[76:77], v[126:127], v[78:79]
	s_delay_alu instid0(VALU_DEP_1) | instskip(SKIP_1) | instid1(VALU_DEP_2)
	v_fma_f64 v[76:77], v[124:125], v[172:173], -v[76:77]
	v_mul_f64 v[124:125], v[124:125], v[78:79]
	v_add_f64 v[36:37], v[36:37], -v[76:77]
	s_delay_alu instid0(VALU_DEP_2) | instskip(NEXT) | instid1(VALU_DEP_1)
	v_fma_f64 v[124:125], v[126:127], v[172:173], v[124:125]
	v_add_f64 v[38:39], v[38:39], -v[124:125]
	ds_load_2addr_b64 v[124:127], v250 offset0:44 offset1:45
	s_waitcnt lgkmcnt(0)
	v_mul_f64 v[76:77], v[126:127], v[78:79]
	s_delay_alu instid0(VALU_DEP_1) | instskip(SKIP_1) | instid1(VALU_DEP_2)
	v_fma_f64 v[76:77], v[124:125], v[172:173], -v[76:77]
	v_mul_f64 v[124:125], v[124:125], v[78:79]
	v_add_f64 v[32:33], v[32:33], -v[76:77]
	s_delay_alu instid0(VALU_DEP_2) | instskip(NEXT) | instid1(VALU_DEP_1)
	v_fma_f64 v[124:125], v[126:127], v[172:173], v[124:125]
	v_add_f64 v[34:35], v[34:35], -v[124:125]
	ds_load_2addr_b64 v[124:127], v250 offset0:46 offset1:47
	s_waitcnt lgkmcnt(0)
	v_mul_f64 v[76:77], v[126:127], v[78:79]
	s_delay_alu instid0(VALU_DEP_1) | instskip(SKIP_1) | instid1(VALU_DEP_2)
	v_fma_f64 v[76:77], v[124:125], v[172:173], -v[76:77]
	v_mul_f64 v[124:125], v[124:125], v[78:79]
	v_add_f64 v[28:29], v[28:29], -v[76:77]
	s_delay_alu instid0(VALU_DEP_2) | instskip(NEXT) | instid1(VALU_DEP_1)
	v_fma_f64 v[124:125], v[126:127], v[172:173], v[124:125]
	v_add_f64 v[30:31], v[30:31], -v[124:125]
	ds_load_2addr_b64 v[124:127], v250 offset0:48 offset1:49
	s_waitcnt lgkmcnt(0)
	v_mul_f64 v[76:77], v[126:127], v[78:79]
	s_delay_alu instid0(VALU_DEP_1) | instskip(SKIP_1) | instid1(VALU_DEP_2)
	v_fma_f64 v[76:77], v[124:125], v[172:173], -v[76:77]
	v_mul_f64 v[124:125], v[124:125], v[78:79]
	v_add_f64 v[24:25], v[24:25], -v[76:77]
	s_delay_alu instid0(VALU_DEP_2) | instskip(NEXT) | instid1(VALU_DEP_1)
	v_fma_f64 v[124:125], v[126:127], v[172:173], v[124:125]
	v_add_f64 v[26:27], v[26:27], -v[124:125]
	ds_load_2addr_b64 v[124:127], v250 offset0:50 offset1:51
	s_waitcnt lgkmcnt(0)
	v_mul_f64 v[76:77], v[126:127], v[78:79]
	s_delay_alu instid0(VALU_DEP_1) | instskip(SKIP_1) | instid1(VALU_DEP_2)
	v_fma_f64 v[76:77], v[124:125], v[172:173], -v[76:77]
	v_mul_f64 v[124:125], v[124:125], v[78:79]
	v_add_f64 v[20:21], v[20:21], -v[76:77]
	s_delay_alu instid0(VALU_DEP_2) | instskip(NEXT) | instid1(VALU_DEP_1)
	v_fma_f64 v[124:125], v[126:127], v[172:173], v[124:125]
	v_add_f64 v[22:23], v[22:23], -v[124:125]
	ds_load_2addr_b64 v[124:127], v250 offset0:52 offset1:53
	s_waitcnt lgkmcnt(0)
	v_mul_f64 v[76:77], v[126:127], v[78:79]
	s_delay_alu instid0(VALU_DEP_1) | instskip(SKIP_1) | instid1(VALU_DEP_2)
	v_fma_f64 v[76:77], v[124:125], v[172:173], -v[76:77]
	v_mul_f64 v[124:125], v[124:125], v[78:79]
	v_add_f64 v[16:17], v[16:17], -v[76:77]
	s_delay_alu instid0(VALU_DEP_2) | instskip(NEXT) | instid1(VALU_DEP_1)
	v_fma_f64 v[124:125], v[126:127], v[172:173], v[124:125]
	v_add_f64 v[18:19], v[18:19], -v[124:125]
	ds_load_2addr_b64 v[124:127], v250 offset0:54 offset1:55
	s_waitcnt lgkmcnt(0)
	v_mul_f64 v[76:77], v[126:127], v[78:79]
	s_delay_alu instid0(VALU_DEP_1) | instskip(SKIP_1) | instid1(VALU_DEP_2)
	v_fma_f64 v[76:77], v[124:125], v[172:173], -v[76:77]
	v_mul_f64 v[124:125], v[124:125], v[78:79]
	v_add_f64 v[12:13], v[12:13], -v[76:77]
	s_delay_alu instid0(VALU_DEP_2) | instskip(NEXT) | instid1(VALU_DEP_1)
	v_fma_f64 v[124:125], v[126:127], v[172:173], v[124:125]
	v_add_f64 v[14:15], v[14:15], -v[124:125]
	ds_load_2addr_b64 v[124:127], v250 offset0:56 offset1:57
	s_waitcnt lgkmcnt(0)
	v_mul_f64 v[76:77], v[126:127], v[78:79]
	s_delay_alu instid0(VALU_DEP_1) | instskip(SKIP_1) | instid1(VALU_DEP_2)
	v_fma_f64 v[76:77], v[124:125], v[172:173], -v[76:77]
	v_mul_f64 v[124:125], v[124:125], v[78:79]
	v_add_f64 v[8:9], v[8:9], -v[76:77]
	s_delay_alu instid0(VALU_DEP_2) | instskip(NEXT) | instid1(VALU_DEP_1)
	v_fma_f64 v[124:125], v[126:127], v[172:173], v[124:125]
	v_add_f64 v[10:11], v[10:11], -v[124:125]
	ds_load_2addr_b64 v[124:127], v250 offset0:58 offset1:59
	s_waitcnt lgkmcnt(0)
	v_mul_f64 v[76:77], v[126:127], v[78:79]
	s_delay_alu instid0(VALU_DEP_1) | instskip(SKIP_1) | instid1(VALU_DEP_2)
	v_fma_f64 v[76:77], v[124:125], v[172:173], -v[76:77]
	v_mul_f64 v[124:125], v[124:125], v[78:79]
	v_add_f64 v[4:5], v[4:5], -v[76:77]
	s_delay_alu instid0(VALU_DEP_2) | instskip(NEXT) | instid1(VALU_DEP_1)
	v_fma_f64 v[124:125], v[126:127], v[172:173], v[124:125]
	v_add_f64 v[6:7], v[6:7], -v[124:125]
	ds_load_2addr_b64 v[124:127], v250 offset0:60 offset1:61
	s_waitcnt lgkmcnt(0)
	v_mul_f64 v[76:77], v[126:127], v[78:79]
	s_delay_alu instid0(VALU_DEP_1) | instskip(SKIP_1) | instid1(VALU_DEP_2)
	v_fma_f64 v[76:77], v[124:125], v[172:173], -v[76:77]
	v_mul_f64 v[124:125], v[124:125], v[78:79]
	v_add_f64 v[0:1], v[0:1], -v[76:77]
	s_delay_alu instid0(VALU_DEP_2) | instskip(SKIP_1) | instid1(VALU_DEP_2)
	v_fma_f64 v[124:125], v[126:127], v[172:173], v[124:125]
	v_dual_mov_b32 v76, v172 :: v_dual_mov_b32 v77, v173
	v_add_f64 v[2:3], v[2:3], -v[124:125]
.LBB61_109:
	s_or_b32 exec_lo, exec_lo, s3
	s_delay_alu instid0(SALU_CYCLE_1)
	s_mov_b32 s4, exec_lo
	s_waitcnt lgkmcnt(0)
	s_barrier
	buffer_gl0_inv
	v_cmpx_eq_u32_e32 12, v248
	s_cbranch_execz .LBB61_116
; %bb.110:
	ds_store_2addr_b64 v249, v[72:73], v[74:75] offset1:1
	ds_store_2addr_b64 v250, v[68:69], v[70:71] offset0:26 offset1:27
	ds_store_2addr_b64 v250, v[64:65], v[66:67] offset0:28 offset1:29
	;; [unrolled: 1-line block ×18, first 2 shown]
	ds_load_2addr_b64 v[172:175], v249 offset1:1
	s_waitcnt lgkmcnt(0)
	v_cmp_neq_f64_e32 vcc_lo, 0, v[172:173]
	v_cmp_neq_f64_e64 s3, 0, v[174:175]
	s_delay_alu instid0(VALU_DEP_1) | instskip(NEXT) | instid1(SALU_CYCLE_1)
	s_or_b32 s3, vcc_lo, s3
	s_and_b32 exec_lo, exec_lo, s3
	s_cbranch_execz .LBB61_116
; %bb.111:
	v_cmp_gt_f64_e32 vcc_lo, 0, v[172:173]
	v_cmp_gt_f64_e64 s3, 0, v[174:175]
	v_xor_b32_e32 v124, 0x80000000, v173
	v_xor_b32_e32 v126, 0x80000000, v175
	s_delay_alu instid0(VALU_DEP_2) | instskip(NEXT) | instid1(VALU_DEP_2)
	v_cndmask_b32_e32 v125, v173, v124, vcc_lo
	v_cndmask_b32_e64 v127, v175, v126, s3
	v_cndmask_b32_e32 v124, v172, v172, vcc_lo
	v_cndmask_b32_e64 v126, v174, v174, s3
	s_delay_alu instid0(VALU_DEP_1) | instskip(SKIP_1) | instid1(SALU_CYCLE_1)
	v_cmp_ngt_f64_e32 vcc_lo, v[124:125], v[126:127]
                                        ; implicit-def: $vgpr124_vgpr125
	s_and_saveexec_b32 s3, vcc_lo
	s_xor_b32 s3, exec_lo, s3
                                        ; implicit-def: $vgpr176_vgpr177_vgpr178_vgpr179
	s_cbranch_execz .LBB61_113
; %bb.112:
	v_div_scale_f64 v[124:125], null, v[174:175], v[174:175], v[172:173]
	v_div_scale_f64 v[178:179], vcc_lo, v[172:173], v[174:175], v[172:173]
	s_delay_alu instid0(VALU_DEP_2) | instskip(SKIP_2) | instid1(VALU_DEP_1)
	v_rcp_f64_e32 v[126:127], v[124:125]
	s_waitcnt_depctr 0xfff
	v_fma_f64 v[176:177], -v[124:125], v[126:127], 1.0
	v_fma_f64 v[126:127], v[126:127], v[176:177], v[126:127]
	s_delay_alu instid0(VALU_DEP_1) | instskip(NEXT) | instid1(VALU_DEP_1)
	v_fma_f64 v[176:177], -v[124:125], v[126:127], 1.0
	v_fma_f64 v[126:127], v[126:127], v[176:177], v[126:127]
	s_delay_alu instid0(VALU_DEP_1) | instskip(NEXT) | instid1(VALU_DEP_1)
	v_mul_f64 v[176:177], v[178:179], v[126:127]
	v_fma_f64 v[124:125], -v[124:125], v[176:177], v[178:179]
	s_delay_alu instid0(VALU_DEP_1) | instskip(NEXT) | instid1(VALU_DEP_1)
	v_div_fmas_f64 v[124:125], v[124:125], v[126:127], v[176:177]
	v_div_fixup_f64 v[124:125], v[124:125], v[174:175], v[172:173]
	s_delay_alu instid0(VALU_DEP_1) | instskip(NEXT) | instid1(VALU_DEP_1)
	v_fma_f64 v[126:127], v[172:173], v[124:125], v[174:175]
	v_div_scale_f64 v[172:173], null, v[126:127], v[126:127], 1.0
	s_delay_alu instid0(VALU_DEP_1) | instskip(SKIP_2) | instid1(VALU_DEP_1)
	v_rcp_f64_e32 v[174:175], v[172:173]
	s_waitcnt_depctr 0xfff
	v_fma_f64 v[176:177], -v[172:173], v[174:175], 1.0
	v_fma_f64 v[174:175], v[174:175], v[176:177], v[174:175]
	s_delay_alu instid0(VALU_DEP_1) | instskip(NEXT) | instid1(VALU_DEP_1)
	v_fma_f64 v[176:177], -v[172:173], v[174:175], 1.0
	v_fma_f64 v[174:175], v[174:175], v[176:177], v[174:175]
	v_div_scale_f64 v[176:177], vcc_lo, 1.0, v[126:127], 1.0
	s_delay_alu instid0(VALU_DEP_1) | instskip(NEXT) | instid1(VALU_DEP_1)
	v_mul_f64 v[178:179], v[176:177], v[174:175]
	v_fma_f64 v[172:173], -v[172:173], v[178:179], v[176:177]
	s_delay_alu instid0(VALU_DEP_1) | instskip(NEXT) | instid1(VALU_DEP_1)
	v_div_fmas_f64 v[172:173], v[172:173], v[174:175], v[178:179]
	v_div_fixup_f64 v[178:179], v[172:173], v[126:127], 1.0
                                        ; implicit-def: $vgpr172_vgpr173
	s_delay_alu instid0(VALU_DEP_1)
	v_mul_f64 v[124:125], v[124:125], v[178:179]
	v_xor_b32_e32 v179, 0x80000000, v179
.LBB61_113:
	s_and_not1_saveexec_b32 s3, s3
	s_cbranch_execz .LBB61_115
; %bb.114:
	v_div_scale_f64 v[124:125], null, v[172:173], v[172:173], v[174:175]
	v_div_scale_f64 v[178:179], vcc_lo, v[174:175], v[172:173], v[174:175]
	s_delay_alu instid0(VALU_DEP_2) | instskip(SKIP_2) | instid1(VALU_DEP_1)
	v_rcp_f64_e32 v[126:127], v[124:125]
	s_waitcnt_depctr 0xfff
	v_fma_f64 v[176:177], -v[124:125], v[126:127], 1.0
	v_fma_f64 v[126:127], v[126:127], v[176:177], v[126:127]
	s_delay_alu instid0(VALU_DEP_1) | instskip(NEXT) | instid1(VALU_DEP_1)
	v_fma_f64 v[176:177], -v[124:125], v[126:127], 1.0
	v_fma_f64 v[126:127], v[126:127], v[176:177], v[126:127]
	s_delay_alu instid0(VALU_DEP_1) | instskip(NEXT) | instid1(VALU_DEP_1)
	v_mul_f64 v[176:177], v[178:179], v[126:127]
	v_fma_f64 v[124:125], -v[124:125], v[176:177], v[178:179]
	s_delay_alu instid0(VALU_DEP_1) | instskip(NEXT) | instid1(VALU_DEP_1)
	v_div_fmas_f64 v[124:125], v[124:125], v[126:127], v[176:177]
	v_div_fixup_f64 v[126:127], v[124:125], v[172:173], v[174:175]
	s_delay_alu instid0(VALU_DEP_1) | instskip(NEXT) | instid1(VALU_DEP_1)
	v_fma_f64 v[124:125], v[174:175], v[126:127], v[172:173]
	v_div_scale_f64 v[172:173], null, v[124:125], v[124:125], 1.0
	s_delay_alu instid0(VALU_DEP_1) | instskip(SKIP_2) | instid1(VALU_DEP_1)
	v_rcp_f64_e32 v[174:175], v[172:173]
	s_waitcnt_depctr 0xfff
	v_fma_f64 v[176:177], -v[172:173], v[174:175], 1.0
	v_fma_f64 v[174:175], v[174:175], v[176:177], v[174:175]
	s_delay_alu instid0(VALU_DEP_1) | instskip(NEXT) | instid1(VALU_DEP_1)
	v_fma_f64 v[176:177], -v[172:173], v[174:175], 1.0
	v_fma_f64 v[174:175], v[174:175], v[176:177], v[174:175]
	v_div_scale_f64 v[176:177], vcc_lo, 1.0, v[124:125], 1.0
	s_delay_alu instid0(VALU_DEP_1) | instskip(NEXT) | instid1(VALU_DEP_1)
	v_mul_f64 v[178:179], v[176:177], v[174:175]
	v_fma_f64 v[172:173], -v[172:173], v[178:179], v[176:177]
	s_delay_alu instid0(VALU_DEP_1) | instskip(NEXT) | instid1(VALU_DEP_1)
	v_div_fmas_f64 v[172:173], v[172:173], v[174:175], v[178:179]
	v_div_fixup_f64 v[124:125], v[172:173], v[124:125], 1.0
	s_delay_alu instid0(VALU_DEP_1)
	v_mul_f64 v[178:179], v[126:127], -v[124:125]
.LBB61_115:
	s_or_b32 exec_lo, exec_lo, s3
	ds_store_2addr_b64 v249, v[124:125], v[178:179] offset1:1
.LBB61_116:
	s_or_b32 exec_lo, exec_lo, s4
	s_waitcnt lgkmcnt(0)
	s_barrier
	buffer_gl0_inv
	ds_load_2addr_b64 v[172:175], v249 offset1:1
	s_mov_b32 s3, exec_lo
	v_cmpx_lt_u32_e32 12, v248
	s_cbranch_execz .LBB61_118
; %bb.117:
	s_waitcnt lgkmcnt(0)
	v_mul_f64 v[124:125], v[174:175], v[74:75]
	v_mul_f64 v[74:75], v[172:173], v[74:75]
	s_delay_alu instid0(VALU_DEP_2) | instskip(NEXT) | instid1(VALU_DEP_2)
	v_fma_f64 v[176:177], v[172:173], v[72:73], -v[124:125]
	v_fma_f64 v[74:75], v[174:175], v[72:73], v[74:75]
	ds_load_2addr_b64 v[124:127], v250 offset0:26 offset1:27
	s_waitcnt lgkmcnt(0)
	v_mul_f64 v[72:73], v[126:127], v[74:75]
	s_delay_alu instid0(VALU_DEP_1) | instskip(SKIP_1) | instid1(VALU_DEP_2)
	v_fma_f64 v[72:73], v[124:125], v[176:177], -v[72:73]
	v_mul_f64 v[124:125], v[124:125], v[74:75]
	v_add_f64 v[68:69], v[68:69], -v[72:73]
	s_delay_alu instid0(VALU_DEP_2) | instskip(NEXT) | instid1(VALU_DEP_1)
	v_fma_f64 v[124:125], v[126:127], v[176:177], v[124:125]
	v_add_f64 v[70:71], v[70:71], -v[124:125]
	ds_load_2addr_b64 v[124:127], v250 offset0:28 offset1:29
	s_waitcnt lgkmcnt(0)
	v_mul_f64 v[72:73], v[126:127], v[74:75]
	s_delay_alu instid0(VALU_DEP_1) | instskip(SKIP_1) | instid1(VALU_DEP_2)
	v_fma_f64 v[72:73], v[124:125], v[176:177], -v[72:73]
	v_mul_f64 v[124:125], v[124:125], v[74:75]
	v_add_f64 v[64:65], v[64:65], -v[72:73]
	s_delay_alu instid0(VALU_DEP_2) | instskip(NEXT) | instid1(VALU_DEP_1)
	v_fma_f64 v[124:125], v[126:127], v[176:177], v[124:125]
	v_add_f64 v[66:67], v[66:67], -v[124:125]
	;; [unrolled: 10-line block ×17, first 2 shown]
	ds_load_2addr_b64 v[124:127], v250 offset0:60 offset1:61
	s_waitcnt lgkmcnt(0)
	v_mul_f64 v[72:73], v[126:127], v[74:75]
	s_delay_alu instid0(VALU_DEP_1) | instskip(SKIP_1) | instid1(VALU_DEP_2)
	v_fma_f64 v[72:73], v[124:125], v[176:177], -v[72:73]
	v_mul_f64 v[124:125], v[124:125], v[74:75]
	v_add_f64 v[0:1], v[0:1], -v[72:73]
	s_delay_alu instid0(VALU_DEP_2) | instskip(SKIP_1) | instid1(VALU_DEP_2)
	v_fma_f64 v[124:125], v[126:127], v[176:177], v[124:125]
	v_dual_mov_b32 v72, v176 :: v_dual_mov_b32 v73, v177
	v_add_f64 v[2:3], v[2:3], -v[124:125]
.LBB61_118:
	s_or_b32 exec_lo, exec_lo, s3
	s_delay_alu instid0(SALU_CYCLE_1)
	s_mov_b32 s4, exec_lo
	s_waitcnt lgkmcnt(0)
	s_barrier
	buffer_gl0_inv
	v_cmpx_eq_u32_e32 13, v248
	s_cbranch_execz .LBB61_125
; %bb.119:
	ds_store_2addr_b64 v249, v[68:69], v[70:71] offset1:1
	ds_store_2addr_b64 v250, v[64:65], v[66:67] offset0:28 offset1:29
	ds_store_2addr_b64 v250, v[60:61], v[62:63] offset0:30 offset1:31
	;; [unrolled: 1-line block ×17, first 2 shown]
	ds_load_2addr_b64 v[176:179], v249 offset1:1
	s_waitcnt lgkmcnt(0)
	v_cmp_neq_f64_e32 vcc_lo, 0, v[176:177]
	v_cmp_neq_f64_e64 s3, 0, v[178:179]
	s_delay_alu instid0(VALU_DEP_1) | instskip(NEXT) | instid1(SALU_CYCLE_1)
	s_or_b32 s3, vcc_lo, s3
	s_and_b32 exec_lo, exec_lo, s3
	s_cbranch_execz .LBB61_125
; %bb.120:
	v_cmp_gt_f64_e32 vcc_lo, 0, v[176:177]
	v_cmp_gt_f64_e64 s3, 0, v[178:179]
	v_xor_b32_e32 v124, 0x80000000, v177
	v_xor_b32_e32 v126, 0x80000000, v179
	s_delay_alu instid0(VALU_DEP_2) | instskip(NEXT) | instid1(VALU_DEP_2)
	v_cndmask_b32_e32 v125, v177, v124, vcc_lo
	v_cndmask_b32_e64 v127, v179, v126, s3
	v_cndmask_b32_e32 v124, v176, v176, vcc_lo
	v_cndmask_b32_e64 v126, v178, v178, s3
	s_delay_alu instid0(VALU_DEP_1) | instskip(SKIP_1) | instid1(SALU_CYCLE_1)
	v_cmp_ngt_f64_e32 vcc_lo, v[124:125], v[126:127]
                                        ; implicit-def: $vgpr124_vgpr125
	s_and_saveexec_b32 s3, vcc_lo
	s_xor_b32 s3, exec_lo, s3
                                        ; implicit-def: $vgpr180_vgpr181_vgpr182_vgpr183
	s_cbranch_execz .LBB61_122
; %bb.121:
	v_div_scale_f64 v[124:125], null, v[178:179], v[178:179], v[176:177]
	v_div_scale_f64 v[182:183], vcc_lo, v[176:177], v[178:179], v[176:177]
	s_delay_alu instid0(VALU_DEP_2) | instskip(SKIP_2) | instid1(VALU_DEP_1)
	v_rcp_f64_e32 v[126:127], v[124:125]
	s_waitcnt_depctr 0xfff
	v_fma_f64 v[180:181], -v[124:125], v[126:127], 1.0
	v_fma_f64 v[126:127], v[126:127], v[180:181], v[126:127]
	s_delay_alu instid0(VALU_DEP_1) | instskip(NEXT) | instid1(VALU_DEP_1)
	v_fma_f64 v[180:181], -v[124:125], v[126:127], 1.0
	v_fma_f64 v[126:127], v[126:127], v[180:181], v[126:127]
	s_delay_alu instid0(VALU_DEP_1) | instskip(NEXT) | instid1(VALU_DEP_1)
	v_mul_f64 v[180:181], v[182:183], v[126:127]
	v_fma_f64 v[124:125], -v[124:125], v[180:181], v[182:183]
	s_delay_alu instid0(VALU_DEP_1) | instskip(NEXT) | instid1(VALU_DEP_1)
	v_div_fmas_f64 v[124:125], v[124:125], v[126:127], v[180:181]
	v_div_fixup_f64 v[124:125], v[124:125], v[178:179], v[176:177]
	s_delay_alu instid0(VALU_DEP_1) | instskip(NEXT) | instid1(VALU_DEP_1)
	v_fma_f64 v[126:127], v[176:177], v[124:125], v[178:179]
	v_div_scale_f64 v[176:177], null, v[126:127], v[126:127], 1.0
	s_delay_alu instid0(VALU_DEP_1) | instskip(SKIP_2) | instid1(VALU_DEP_1)
	v_rcp_f64_e32 v[178:179], v[176:177]
	s_waitcnt_depctr 0xfff
	v_fma_f64 v[180:181], -v[176:177], v[178:179], 1.0
	v_fma_f64 v[178:179], v[178:179], v[180:181], v[178:179]
	s_delay_alu instid0(VALU_DEP_1) | instskip(NEXT) | instid1(VALU_DEP_1)
	v_fma_f64 v[180:181], -v[176:177], v[178:179], 1.0
	v_fma_f64 v[178:179], v[178:179], v[180:181], v[178:179]
	v_div_scale_f64 v[180:181], vcc_lo, 1.0, v[126:127], 1.0
	s_delay_alu instid0(VALU_DEP_1) | instskip(NEXT) | instid1(VALU_DEP_1)
	v_mul_f64 v[182:183], v[180:181], v[178:179]
	v_fma_f64 v[176:177], -v[176:177], v[182:183], v[180:181]
	s_delay_alu instid0(VALU_DEP_1) | instskip(NEXT) | instid1(VALU_DEP_1)
	v_div_fmas_f64 v[176:177], v[176:177], v[178:179], v[182:183]
	v_div_fixup_f64 v[182:183], v[176:177], v[126:127], 1.0
                                        ; implicit-def: $vgpr176_vgpr177
	s_delay_alu instid0(VALU_DEP_1)
	v_mul_f64 v[124:125], v[124:125], v[182:183]
	v_xor_b32_e32 v183, 0x80000000, v183
.LBB61_122:
	s_and_not1_saveexec_b32 s3, s3
	s_cbranch_execz .LBB61_124
; %bb.123:
	v_div_scale_f64 v[124:125], null, v[176:177], v[176:177], v[178:179]
	v_div_scale_f64 v[182:183], vcc_lo, v[178:179], v[176:177], v[178:179]
	s_delay_alu instid0(VALU_DEP_2) | instskip(SKIP_2) | instid1(VALU_DEP_1)
	v_rcp_f64_e32 v[126:127], v[124:125]
	s_waitcnt_depctr 0xfff
	v_fma_f64 v[180:181], -v[124:125], v[126:127], 1.0
	v_fma_f64 v[126:127], v[126:127], v[180:181], v[126:127]
	s_delay_alu instid0(VALU_DEP_1) | instskip(NEXT) | instid1(VALU_DEP_1)
	v_fma_f64 v[180:181], -v[124:125], v[126:127], 1.0
	v_fma_f64 v[126:127], v[126:127], v[180:181], v[126:127]
	s_delay_alu instid0(VALU_DEP_1) | instskip(NEXT) | instid1(VALU_DEP_1)
	v_mul_f64 v[180:181], v[182:183], v[126:127]
	v_fma_f64 v[124:125], -v[124:125], v[180:181], v[182:183]
	s_delay_alu instid0(VALU_DEP_1) | instskip(NEXT) | instid1(VALU_DEP_1)
	v_div_fmas_f64 v[124:125], v[124:125], v[126:127], v[180:181]
	v_div_fixup_f64 v[126:127], v[124:125], v[176:177], v[178:179]
	s_delay_alu instid0(VALU_DEP_1) | instskip(NEXT) | instid1(VALU_DEP_1)
	v_fma_f64 v[124:125], v[178:179], v[126:127], v[176:177]
	v_div_scale_f64 v[176:177], null, v[124:125], v[124:125], 1.0
	s_delay_alu instid0(VALU_DEP_1) | instskip(SKIP_2) | instid1(VALU_DEP_1)
	v_rcp_f64_e32 v[178:179], v[176:177]
	s_waitcnt_depctr 0xfff
	v_fma_f64 v[180:181], -v[176:177], v[178:179], 1.0
	v_fma_f64 v[178:179], v[178:179], v[180:181], v[178:179]
	s_delay_alu instid0(VALU_DEP_1) | instskip(NEXT) | instid1(VALU_DEP_1)
	v_fma_f64 v[180:181], -v[176:177], v[178:179], 1.0
	v_fma_f64 v[178:179], v[178:179], v[180:181], v[178:179]
	v_div_scale_f64 v[180:181], vcc_lo, 1.0, v[124:125], 1.0
	s_delay_alu instid0(VALU_DEP_1) | instskip(NEXT) | instid1(VALU_DEP_1)
	v_mul_f64 v[182:183], v[180:181], v[178:179]
	v_fma_f64 v[176:177], -v[176:177], v[182:183], v[180:181]
	s_delay_alu instid0(VALU_DEP_1) | instskip(NEXT) | instid1(VALU_DEP_1)
	v_div_fmas_f64 v[176:177], v[176:177], v[178:179], v[182:183]
	v_div_fixup_f64 v[124:125], v[176:177], v[124:125], 1.0
	s_delay_alu instid0(VALU_DEP_1)
	v_mul_f64 v[182:183], v[126:127], -v[124:125]
.LBB61_124:
	s_or_b32 exec_lo, exec_lo, s3
	ds_store_2addr_b64 v249, v[124:125], v[182:183] offset1:1
.LBB61_125:
	s_or_b32 exec_lo, exec_lo, s4
	s_waitcnt lgkmcnt(0)
	s_barrier
	buffer_gl0_inv
	ds_load_2addr_b64 v[176:179], v249 offset1:1
	s_mov_b32 s3, exec_lo
	v_cmpx_lt_u32_e32 13, v248
	s_cbranch_execz .LBB61_127
; %bb.126:
	s_waitcnt lgkmcnt(0)
	v_mul_f64 v[124:125], v[178:179], v[70:71]
	v_mul_f64 v[70:71], v[176:177], v[70:71]
	s_delay_alu instid0(VALU_DEP_2) | instskip(NEXT) | instid1(VALU_DEP_2)
	v_fma_f64 v[180:181], v[176:177], v[68:69], -v[124:125]
	v_fma_f64 v[70:71], v[178:179], v[68:69], v[70:71]
	ds_load_2addr_b64 v[124:127], v250 offset0:28 offset1:29
	s_waitcnt lgkmcnt(0)
	v_mul_f64 v[68:69], v[126:127], v[70:71]
	s_delay_alu instid0(VALU_DEP_1) | instskip(SKIP_1) | instid1(VALU_DEP_2)
	v_fma_f64 v[68:69], v[124:125], v[180:181], -v[68:69]
	v_mul_f64 v[124:125], v[124:125], v[70:71]
	v_add_f64 v[64:65], v[64:65], -v[68:69]
	s_delay_alu instid0(VALU_DEP_2) | instskip(NEXT) | instid1(VALU_DEP_1)
	v_fma_f64 v[124:125], v[126:127], v[180:181], v[124:125]
	v_add_f64 v[66:67], v[66:67], -v[124:125]
	ds_load_2addr_b64 v[124:127], v250 offset0:30 offset1:31
	s_waitcnt lgkmcnt(0)
	v_mul_f64 v[68:69], v[126:127], v[70:71]
	s_delay_alu instid0(VALU_DEP_1) | instskip(SKIP_1) | instid1(VALU_DEP_2)
	v_fma_f64 v[68:69], v[124:125], v[180:181], -v[68:69]
	v_mul_f64 v[124:125], v[124:125], v[70:71]
	v_add_f64 v[60:61], v[60:61], -v[68:69]
	s_delay_alu instid0(VALU_DEP_2) | instskip(NEXT) | instid1(VALU_DEP_1)
	v_fma_f64 v[124:125], v[126:127], v[180:181], v[124:125]
	v_add_f64 v[62:63], v[62:63], -v[124:125]
	;; [unrolled: 10-line block ×16, first 2 shown]
	ds_load_2addr_b64 v[124:127], v250 offset0:60 offset1:61
	s_waitcnt lgkmcnt(0)
	v_mul_f64 v[68:69], v[126:127], v[70:71]
	s_delay_alu instid0(VALU_DEP_1) | instskip(SKIP_1) | instid1(VALU_DEP_2)
	v_fma_f64 v[68:69], v[124:125], v[180:181], -v[68:69]
	v_mul_f64 v[124:125], v[124:125], v[70:71]
	v_add_f64 v[0:1], v[0:1], -v[68:69]
	s_delay_alu instid0(VALU_DEP_2) | instskip(SKIP_1) | instid1(VALU_DEP_2)
	v_fma_f64 v[124:125], v[126:127], v[180:181], v[124:125]
	v_dual_mov_b32 v68, v180 :: v_dual_mov_b32 v69, v181
	v_add_f64 v[2:3], v[2:3], -v[124:125]
.LBB61_127:
	s_or_b32 exec_lo, exec_lo, s3
	s_delay_alu instid0(SALU_CYCLE_1)
	s_mov_b32 s4, exec_lo
	s_waitcnt lgkmcnt(0)
	s_barrier
	buffer_gl0_inv
	v_cmpx_eq_u32_e32 14, v248
	s_cbranch_execz .LBB61_134
; %bb.128:
	ds_store_2addr_b64 v249, v[64:65], v[66:67] offset1:1
	ds_store_2addr_b64 v250, v[60:61], v[62:63] offset0:30 offset1:31
	ds_store_2addr_b64 v250, v[56:57], v[58:59] offset0:32 offset1:33
	ds_store_2addr_b64 v250, v[52:53], v[54:55] offset0:34 offset1:35
	ds_store_2addr_b64 v250, v[48:49], v[50:51] offset0:36 offset1:37
	ds_store_2addr_b64 v250, v[44:45], v[46:47] offset0:38 offset1:39
	ds_store_2addr_b64 v250, v[40:41], v[42:43] offset0:40 offset1:41
	ds_store_2addr_b64 v250, v[36:37], v[38:39] offset0:42 offset1:43
	ds_store_2addr_b64 v250, v[32:33], v[34:35] offset0:44 offset1:45
	ds_store_2addr_b64 v250, v[28:29], v[30:31] offset0:46 offset1:47
	ds_store_2addr_b64 v250, v[24:25], v[26:27] offset0:48 offset1:49
	ds_store_2addr_b64 v250, v[20:21], v[22:23] offset0:50 offset1:51
	ds_store_2addr_b64 v250, v[16:17], v[18:19] offset0:52 offset1:53
	ds_store_2addr_b64 v250, v[12:13], v[14:15] offset0:54 offset1:55
	ds_store_2addr_b64 v250, v[8:9], v[10:11] offset0:56 offset1:57
	ds_store_2addr_b64 v250, v[4:5], v[6:7] offset0:58 offset1:59
	ds_store_2addr_b64 v250, v[0:1], v[2:3] offset0:60 offset1:61
	ds_load_2addr_b64 v[180:183], v249 offset1:1
	s_waitcnt lgkmcnt(0)
	v_cmp_neq_f64_e32 vcc_lo, 0, v[180:181]
	v_cmp_neq_f64_e64 s3, 0, v[182:183]
	s_delay_alu instid0(VALU_DEP_1) | instskip(NEXT) | instid1(SALU_CYCLE_1)
	s_or_b32 s3, vcc_lo, s3
	s_and_b32 exec_lo, exec_lo, s3
	s_cbranch_execz .LBB61_134
; %bb.129:
	v_cmp_gt_f64_e32 vcc_lo, 0, v[180:181]
	v_cmp_gt_f64_e64 s3, 0, v[182:183]
	v_xor_b32_e32 v124, 0x80000000, v181
	v_xor_b32_e32 v126, 0x80000000, v183
	s_delay_alu instid0(VALU_DEP_2) | instskip(NEXT) | instid1(VALU_DEP_2)
	v_cndmask_b32_e32 v125, v181, v124, vcc_lo
	v_cndmask_b32_e64 v127, v183, v126, s3
	v_cndmask_b32_e32 v124, v180, v180, vcc_lo
	v_cndmask_b32_e64 v126, v182, v182, s3
	s_delay_alu instid0(VALU_DEP_1) | instskip(SKIP_1) | instid1(SALU_CYCLE_1)
	v_cmp_ngt_f64_e32 vcc_lo, v[124:125], v[126:127]
                                        ; implicit-def: $vgpr124_vgpr125
	s_and_saveexec_b32 s3, vcc_lo
	s_xor_b32 s3, exec_lo, s3
                                        ; implicit-def: $vgpr184_vgpr185_vgpr186_vgpr187
	s_cbranch_execz .LBB61_131
; %bb.130:
	v_div_scale_f64 v[124:125], null, v[182:183], v[182:183], v[180:181]
	v_div_scale_f64 v[186:187], vcc_lo, v[180:181], v[182:183], v[180:181]
	s_delay_alu instid0(VALU_DEP_2) | instskip(SKIP_2) | instid1(VALU_DEP_1)
	v_rcp_f64_e32 v[126:127], v[124:125]
	s_waitcnt_depctr 0xfff
	v_fma_f64 v[184:185], -v[124:125], v[126:127], 1.0
	v_fma_f64 v[126:127], v[126:127], v[184:185], v[126:127]
	s_delay_alu instid0(VALU_DEP_1) | instskip(NEXT) | instid1(VALU_DEP_1)
	v_fma_f64 v[184:185], -v[124:125], v[126:127], 1.0
	v_fma_f64 v[126:127], v[126:127], v[184:185], v[126:127]
	s_delay_alu instid0(VALU_DEP_1) | instskip(NEXT) | instid1(VALU_DEP_1)
	v_mul_f64 v[184:185], v[186:187], v[126:127]
	v_fma_f64 v[124:125], -v[124:125], v[184:185], v[186:187]
	s_delay_alu instid0(VALU_DEP_1) | instskip(NEXT) | instid1(VALU_DEP_1)
	v_div_fmas_f64 v[124:125], v[124:125], v[126:127], v[184:185]
	v_div_fixup_f64 v[124:125], v[124:125], v[182:183], v[180:181]
	s_delay_alu instid0(VALU_DEP_1) | instskip(NEXT) | instid1(VALU_DEP_1)
	v_fma_f64 v[126:127], v[180:181], v[124:125], v[182:183]
	v_div_scale_f64 v[180:181], null, v[126:127], v[126:127], 1.0
	s_delay_alu instid0(VALU_DEP_1) | instskip(SKIP_2) | instid1(VALU_DEP_1)
	v_rcp_f64_e32 v[182:183], v[180:181]
	s_waitcnt_depctr 0xfff
	v_fma_f64 v[184:185], -v[180:181], v[182:183], 1.0
	v_fma_f64 v[182:183], v[182:183], v[184:185], v[182:183]
	s_delay_alu instid0(VALU_DEP_1) | instskip(NEXT) | instid1(VALU_DEP_1)
	v_fma_f64 v[184:185], -v[180:181], v[182:183], 1.0
	v_fma_f64 v[182:183], v[182:183], v[184:185], v[182:183]
	v_div_scale_f64 v[184:185], vcc_lo, 1.0, v[126:127], 1.0
	s_delay_alu instid0(VALU_DEP_1) | instskip(NEXT) | instid1(VALU_DEP_1)
	v_mul_f64 v[186:187], v[184:185], v[182:183]
	v_fma_f64 v[180:181], -v[180:181], v[186:187], v[184:185]
	s_delay_alu instid0(VALU_DEP_1) | instskip(NEXT) | instid1(VALU_DEP_1)
	v_div_fmas_f64 v[180:181], v[180:181], v[182:183], v[186:187]
	v_div_fixup_f64 v[186:187], v[180:181], v[126:127], 1.0
                                        ; implicit-def: $vgpr180_vgpr181
	s_delay_alu instid0(VALU_DEP_1)
	v_mul_f64 v[124:125], v[124:125], v[186:187]
	v_xor_b32_e32 v187, 0x80000000, v187
.LBB61_131:
	s_and_not1_saveexec_b32 s3, s3
	s_cbranch_execz .LBB61_133
; %bb.132:
	v_div_scale_f64 v[124:125], null, v[180:181], v[180:181], v[182:183]
	v_div_scale_f64 v[186:187], vcc_lo, v[182:183], v[180:181], v[182:183]
	s_delay_alu instid0(VALU_DEP_2) | instskip(SKIP_2) | instid1(VALU_DEP_1)
	v_rcp_f64_e32 v[126:127], v[124:125]
	s_waitcnt_depctr 0xfff
	v_fma_f64 v[184:185], -v[124:125], v[126:127], 1.0
	v_fma_f64 v[126:127], v[126:127], v[184:185], v[126:127]
	s_delay_alu instid0(VALU_DEP_1) | instskip(NEXT) | instid1(VALU_DEP_1)
	v_fma_f64 v[184:185], -v[124:125], v[126:127], 1.0
	v_fma_f64 v[126:127], v[126:127], v[184:185], v[126:127]
	s_delay_alu instid0(VALU_DEP_1) | instskip(NEXT) | instid1(VALU_DEP_1)
	v_mul_f64 v[184:185], v[186:187], v[126:127]
	v_fma_f64 v[124:125], -v[124:125], v[184:185], v[186:187]
	s_delay_alu instid0(VALU_DEP_1) | instskip(NEXT) | instid1(VALU_DEP_1)
	v_div_fmas_f64 v[124:125], v[124:125], v[126:127], v[184:185]
	v_div_fixup_f64 v[126:127], v[124:125], v[180:181], v[182:183]
	s_delay_alu instid0(VALU_DEP_1) | instskip(NEXT) | instid1(VALU_DEP_1)
	v_fma_f64 v[124:125], v[182:183], v[126:127], v[180:181]
	v_div_scale_f64 v[180:181], null, v[124:125], v[124:125], 1.0
	s_delay_alu instid0(VALU_DEP_1) | instskip(SKIP_2) | instid1(VALU_DEP_1)
	v_rcp_f64_e32 v[182:183], v[180:181]
	s_waitcnt_depctr 0xfff
	v_fma_f64 v[184:185], -v[180:181], v[182:183], 1.0
	v_fma_f64 v[182:183], v[182:183], v[184:185], v[182:183]
	s_delay_alu instid0(VALU_DEP_1) | instskip(NEXT) | instid1(VALU_DEP_1)
	v_fma_f64 v[184:185], -v[180:181], v[182:183], 1.0
	v_fma_f64 v[182:183], v[182:183], v[184:185], v[182:183]
	v_div_scale_f64 v[184:185], vcc_lo, 1.0, v[124:125], 1.0
	s_delay_alu instid0(VALU_DEP_1) | instskip(NEXT) | instid1(VALU_DEP_1)
	v_mul_f64 v[186:187], v[184:185], v[182:183]
	v_fma_f64 v[180:181], -v[180:181], v[186:187], v[184:185]
	s_delay_alu instid0(VALU_DEP_1) | instskip(NEXT) | instid1(VALU_DEP_1)
	v_div_fmas_f64 v[180:181], v[180:181], v[182:183], v[186:187]
	v_div_fixup_f64 v[124:125], v[180:181], v[124:125], 1.0
	s_delay_alu instid0(VALU_DEP_1)
	v_mul_f64 v[186:187], v[126:127], -v[124:125]
.LBB61_133:
	s_or_b32 exec_lo, exec_lo, s3
	ds_store_2addr_b64 v249, v[124:125], v[186:187] offset1:1
.LBB61_134:
	s_or_b32 exec_lo, exec_lo, s4
	s_waitcnt lgkmcnt(0)
	s_barrier
	buffer_gl0_inv
	ds_load_2addr_b64 v[180:183], v249 offset1:1
	s_mov_b32 s3, exec_lo
	v_cmpx_lt_u32_e32 14, v248
	s_cbranch_execz .LBB61_136
; %bb.135:
	s_waitcnt lgkmcnt(0)
	v_mul_f64 v[124:125], v[180:181], v[66:67]
	v_mul_f64 v[66:67], v[182:183], v[66:67]
	s_delay_alu instid0(VALU_DEP_2) | instskip(SKIP_4) | instid1(VALU_DEP_1)
	v_fma_f64 v[184:185], v[182:183], v[64:65], v[124:125]
	ds_load_2addr_b64 v[124:127], v250 offset0:30 offset1:31
	v_fma_f64 v[64:65], v[180:181], v[64:65], -v[66:67]
	s_waitcnt lgkmcnt(0)
	v_mul_f64 v[66:67], v[126:127], v[184:185]
	v_fma_f64 v[66:67], v[124:125], v[64:65], -v[66:67]
	v_mul_f64 v[124:125], v[124:125], v[184:185]
	s_delay_alu instid0(VALU_DEP_2) | instskip(NEXT) | instid1(VALU_DEP_2)
	v_add_f64 v[60:61], v[60:61], -v[66:67]
	v_fma_f64 v[124:125], v[126:127], v[64:65], v[124:125]
	s_delay_alu instid0(VALU_DEP_1) | instskip(SKIP_3) | instid1(VALU_DEP_1)
	v_add_f64 v[62:63], v[62:63], -v[124:125]
	ds_load_2addr_b64 v[124:127], v250 offset0:32 offset1:33
	s_waitcnt lgkmcnt(0)
	v_mul_f64 v[66:67], v[126:127], v[184:185]
	v_fma_f64 v[66:67], v[124:125], v[64:65], -v[66:67]
	v_mul_f64 v[124:125], v[124:125], v[184:185]
	s_delay_alu instid0(VALU_DEP_2) | instskip(NEXT) | instid1(VALU_DEP_2)
	v_add_f64 v[56:57], v[56:57], -v[66:67]
	v_fma_f64 v[124:125], v[126:127], v[64:65], v[124:125]
	s_delay_alu instid0(VALU_DEP_1) | instskip(SKIP_3) | instid1(VALU_DEP_1)
	v_add_f64 v[58:59], v[58:59], -v[124:125]
	ds_load_2addr_b64 v[124:127], v250 offset0:34 offset1:35
	;; [unrolled: 10-line block ×15, first 2 shown]
	s_waitcnt lgkmcnt(0)
	v_mul_f64 v[66:67], v[126:127], v[184:185]
	v_fma_f64 v[66:67], v[124:125], v[64:65], -v[66:67]
	v_mul_f64 v[124:125], v[124:125], v[184:185]
	s_delay_alu instid0(VALU_DEP_2) | instskip(NEXT) | instid1(VALU_DEP_2)
	v_add_f64 v[0:1], v[0:1], -v[66:67]
	v_fma_f64 v[124:125], v[126:127], v[64:65], v[124:125]
	v_dual_mov_b32 v66, v184 :: v_dual_mov_b32 v67, v185
	s_delay_alu instid0(VALU_DEP_2)
	v_add_f64 v[2:3], v[2:3], -v[124:125]
.LBB61_136:
	s_or_b32 exec_lo, exec_lo, s3
	s_delay_alu instid0(SALU_CYCLE_1)
	s_mov_b32 s4, exec_lo
	s_waitcnt lgkmcnt(0)
	s_barrier
	buffer_gl0_inv
	v_cmpx_eq_u32_e32 15, v248
	s_cbranch_execz .LBB61_143
; %bb.137:
	ds_store_2addr_b64 v249, v[60:61], v[62:63] offset1:1
	ds_store_2addr_b64 v250, v[56:57], v[58:59] offset0:32 offset1:33
	ds_store_2addr_b64 v250, v[52:53], v[54:55] offset0:34 offset1:35
	;; [unrolled: 1-line block ×15, first 2 shown]
	ds_load_2addr_b64 v[184:187], v249 offset1:1
	s_waitcnt lgkmcnt(0)
	v_cmp_neq_f64_e32 vcc_lo, 0, v[184:185]
	v_cmp_neq_f64_e64 s3, 0, v[186:187]
	s_delay_alu instid0(VALU_DEP_1) | instskip(NEXT) | instid1(SALU_CYCLE_1)
	s_or_b32 s3, vcc_lo, s3
	s_and_b32 exec_lo, exec_lo, s3
	s_cbranch_execz .LBB61_143
; %bb.138:
	v_cmp_gt_f64_e32 vcc_lo, 0, v[184:185]
	v_xor_b32_e32 v124, 0x80000000, v185
	v_xor_b32_e32 v126, 0x80000000, v187
	s_delay_alu instid0(VALU_DEP_2) | instskip(SKIP_2) | instid1(VALU_DEP_4)
	v_cndmask_b32_e32 v125, v185, v124, vcc_lo
	v_cndmask_b32_e32 v124, v184, v184, vcc_lo
	v_cmp_gt_f64_e32 vcc_lo, 0, v[186:187]
	v_cndmask_b32_e32 v127, v187, v126, vcc_lo
	v_cndmask_b32_e32 v126, v186, v186, vcc_lo
	s_delay_alu instid0(VALU_DEP_1) | instskip(SKIP_1) | instid1(SALU_CYCLE_1)
	v_cmp_ngt_f64_e32 vcc_lo, v[124:125], v[126:127]
                                        ; implicit-def: $vgpr124_vgpr125
	s_and_saveexec_b32 s3, vcc_lo
	s_xor_b32 s3, exec_lo, s3
                                        ; implicit-def: $vgpr188_vgpr189_vgpr190_vgpr191
	s_cbranch_execz .LBB61_140
; %bb.139:
	v_div_scale_f64 v[124:125], null, v[186:187], v[186:187], v[184:185]
	v_div_scale_f64 v[190:191], vcc_lo, v[184:185], v[186:187], v[184:185]
	s_delay_alu instid0(VALU_DEP_2) | instskip(SKIP_2) | instid1(VALU_DEP_1)
	v_rcp_f64_e32 v[126:127], v[124:125]
	s_waitcnt_depctr 0xfff
	v_fma_f64 v[188:189], -v[124:125], v[126:127], 1.0
	v_fma_f64 v[126:127], v[126:127], v[188:189], v[126:127]
	s_delay_alu instid0(VALU_DEP_1) | instskip(NEXT) | instid1(VALU_DEP_1)
	v_fma_f64 v[188:189], -v[124:125], v[126:127], 1.0
	v_fma_f64 v[126:127], v[126:127], v[188:189], v[126:127]
	s_delay_alu instid0(VALU_DEP_1) | instskip(NEXT) | instid1(VALU_DEP_1)
	v_mul_f64 v[188:189], v[190:191], v[126:127]
	v_fma_f64 v[124:125], -v[124:125], v[188:189], v[190:191]
	s_delay_alu instid0(VALU_DEP_1) | instskip(NEXT) | instid1(VALU_DEP_1)
	v_div_fmas_f64 v[124:125], v[124:125], v[126:127], v[188:189]
	v_div_fixup_f64 v[124:125], v[124:125], v[186:187], v[184:185]
	s_delay_alu instid0(VALU_DEP_1) | instskip(NEXT) | instid1(VALU_DEP_1)
	v_fma_f64 v[126:127], v[184:185], v[124:125], v[186:187]
	v_div_scale_f64 v[184:185], null, v[126:127], v[126:127], 1.0
	s_delay_alu instid0(VALU_DEP_1) | instskip(SKIP_2) | instid1(VALU_DEP_1)
	v_rcp_f64_e32 v[186:187], v[184:185]
	s_waitcnt_depctr 0xfff
	v_fma_f64 v[188:189], -v[184:185], v[186:187], 1.0
	v_fma_f64 v[186:187], v[186:187], v[188:189], v[186:187]
	s_delay_alu instid0(VALU_DEP_1) | instskip(NEXT) | instid1(VALU_DEP_1)
	v_fma_f64 v[188:189], -v[184:185], v[186:187], 1.0
	v_fma_f64 v[186:187], v[186:187], v[188:189], v[186:187]
	v_div_scale_f64 v[188:189], vcc_lo, 1.0, v[126:127], 1.0
	s_delay_alu instid0(VALU_DEP_1) | instskip(NEXT) | instid1(VALU_DEP_1)
	v_mul_f64 v[190:191], v[188:189], v[186:187]
	v_fma_f64 v[184:185], -v[184:185], v[190:191], v[188:189]
	s_delay_alu instid0(VALU_DEP_1) | instskip(NEXT) | instid1(VALU_DEP_1)
	v_div_fmas_f64 v[184:185], v[184:185], v[186:187], v[190:191]
	v_div_fixup_f64 v[190:191], v[184:185], v[126:127], 1.0
                                        ; implicit-def: $vgpr184_vgpr185
	s_delay_alu instid0(VALU_DEP_1)
	v_mul_f64 v[124:125], v[124:125], v[190:191]
	v_xor_b32_e32 v191, 0x80000000, v191
.LBB61_140:
	s_and_not1_saveexec_b32 s3, s3
	s_cbranch_execz .LBB61_142
; %bb.141:
	v_div_scale_f64 v[124:125], null, v[184:185], v[184:185], v[186:187]
	v_div_scale_f64 v[190:191], vcc_lo, v[186:187], v[184:185], v[186:187]
	s_delay_alu instid0(VALU_DEP_2) | instskip(SKIP_2) | instid1(VALU_DEP_1)
	v_rcp_f64_e32 v[126:127], v[124:125]
	s_waitcnt_depctr 0xfff
	v_fma_f64 v[188:189], -v[124:125], v[126:127], 1.0
	v_fma_f64 v[126:127], v[126:127], v[188:189], v[126:127]
	s_delay_alu instid0(VALU_DEP_1) | instskip(NEXT) | instid1(VALU_DEP_1)
	v_fma_f64 v[188:189], -v[124:125], v[126:127], 1.0
	v_fma_f64 v[126:127], v[126:127], v[188:189], v[126:127]
	s_delay_alu instid0(VALU_DEP_1) | instskip(NEXT) | instid1(VALU_DEP_1)
	v_mul_f64 v[188:189], v[190:191], v[126:127]
	v_fma_f64 v[124:125], -v[124:125], v[188:189], v[190:191]
	s_delay_alu instid0(VALU_DEP_1) | instskip(NEXT) | instid1(VALU_DEP_1)
	v_div_fmas_f64 v[124:125], v[124:125], v[126:127], v[188:189]
	v_div_fixup_f64 v[126:127], v[124:125], v[184:185], v[186:187]
	s_delay_alu instid0(VALU_DEP_1) | instskip(NEXT) | instid1(VALU_DEP_1)
	v_fma_f64 v[124:125], v[186:187], v[126:127], v[184:185]
	v_div_scale_f64 v[184:185], null, v[124:125], v[124:125], 1.0
	s_delay_alu instid0(VALU_DEP_1) | instskip(SKIP_2) | instid1(VALU_DEP_1)
	v_rcp_f64_e32 v[186:187], v[184:185]
	s_waitcnt_depctr 0xfff
	v_fma_f64 v[188:189], -v[184:185], v[186:187], 1.0
	v_fma_f64 v[186:187], v[186:187], v[188:189], v[186:187]
	s_delay_alu instid0(VALU_DEP_1) | instskip(NEXT) | instid1(VALU_DEP_1)
	v_fma_f64 v[188:189], -v[184:185], v[186:187], 1.0
	v_fma_f64 v[186:187], v[186:187], v[188:189], v[186:187]
	v_div_scale_f64 v[188:189], vcc_lo, 1.0, v[124:125], 1.0
	s_delay_alu instid0(VALU_DEP_1) | instskip(NEXT) | instid1(VALU_DEP_1)
	v_mul_f64 v[190:191], v[188:189], v[186:187]
	v_fma_f64 v[184:185], -v[184:185], v[190:191], v[188:189]
	s_delay_alu instid0(VALU_DEP_1) | instskip(NEXT) | instid1(VALU_DEP_1)
	v_div_fmas_f64 v[184:185], v[184:185], v[186:187], v[190:191]
	v_div_fixup_f64 v[124:125], v[184:185], v[124:125], 1.0
	s_delay_alu instid0(VALU_DEP_1)
	v_mul_f64 v[190:191], v[126:127], -v[124:125]
.LBB61_142:
	s_or_b32 exec_lo, exec_lo, s3
	ds_store_2addr_b64 v249, v[124:125], v[190:191] offset1:1
.LBB61_143:
	s_or_b32 exec_lo, exec_lo, s4
	s_waitcnt lgkmcnt(0)
	s_barrier
	buffer_gl0_inv
	ds_load_2addr_b64 v[184:187], v249 offset1:1
	s_mov_b32 s3, exec_lo
	v_cmpx_lt_u32_e32 15, v248
	s_cbranch_execz .LBB61_145
; %bb.144:
	s_waitcnt lgkmcnt(0)
	v_mul_f64 v[124:125], v[184:185], v[62:63]
	v_mul_f64 v[62:63], v[186:187], v[62:63]
	s_delay_alu instid0(VALU_DEP_2) | instskip(SKIP_4) | instid1(VALU_DEP_1)
	v_fma_f64 v[188:189], v[186:187], v[60:61], v[124:125]
	ds_load_2addr_b64 v[124:127], v250 offset0:32 offset1:33
	v_fma_f64 v[60:61], v[184:185], v[60:61], -v[62:63]
	s_waitcnt lgkmcnt(0)
	v_mul_f64 v[62:63], v[126:127], v[188:189]
	v_fma_f64 v[62:63], v[124:125], v[60:61], -v[62:63]
	v_mul_f64 v[124:125], v[124:125], v[188:189]
	s_delay_alu instid0(VALU_DEP_2) | instskip(NEXT) | instid1(VALU_DEP_2)
	v_add_f64 v[56:57], v[56:57], -v[62:63]
	v_fma_f64 v[124:125], v[126:127], v[60:61], v[124:125]
	s_delay_alu instid0(VALU_DEP_1) | instskip(SKIP_3) | instid1(VALU_DEP_1)
	v_add_f64 v[58:59], v[58:59], -v[124:125]
	ds_load_2addr_b64 v[124:127], v250 offset0:34 offset1:35
	s_waitcnt lgkmcnt(0)
	v_mul_f64 v[62:63], v[126:127], v[188:189]
	v_fma_f64 v[62:63], v[124:125], v[60:61], -v[62:63]
	v_mul_f64 v[124:125], v[124:125], v[188:189]
	s_delay_alu instid0(VALU_DEP_2) | instskip(NEXT) | instid1(VALU_DEP_2)
	v_add_f64 v[52:53], v[52:53], -v[62:63]
	v_fma_f64 v[124:125], v[126:127], v[60:61], v[124:125]
	s_delay_alu instid0(VALU_DEP_1) | instskip(SKIP_3) | instid1(VALU_DEP_1)
	v_add_f64 v[54:55], v[54:55], -v[124:125]
	ds_load_2addr_b64 v[124:127], v250 offset0:36 offset1:37
	;; [unrolled: 10-line block ×14, first 2 shown]
	s_waitcnt lgkmcnt(0)
	v_mul_f64 v[62:63], v[126:127], v[188:189]
	v_fma_f64 v[62:63], v[124:125], v[60:61], -v[62:63]
	v_mul_f64 v[124:125], v[124:125], v[188:189]
	s_delay_alu instid0(VALU_DEP_2) | instskip(NEXT) | instid1(VALU_DEP_2)
	v_add_f64 v[0:1], v[0:1], -v[62:63]
	v_fma_f64 v[124:125], v[126:127], v[60:61], v[124:125]
	v_dual_mov_b32 v62, v188 :: v_dual_mov_b32 v63, v189
	s_delay_alu instid0(VALU_DEP_2)
	v_add_f64 v[2:3], v[2:3], -v[124:125]
.LBB61_145:
	s_or_b32 exec_lo, exec_lo, s3
	s_delay_alu instid0(SALU_CYCLE_1)
	s_mov_b32 s4, exec_lo
	s_waitcnt lgkmcnt(0)
	s_barrier
	buffer_gl0_inv
	v_cmpx_eq_u32_e32 16, v248
	s_cbranch_execz .LBB61_152
; %bb.146:
	ds_store_2addr_b64 v249, v[56:57], v[58:59] offset1:1
	ds_store_2addr_b64 v250, v[52:53], v[54:55] offset0:34 offset1:35
	ds_store_2addr_b64 v250, v[48:49], v[50:51] offset0:36 offset1:37
	;; [unrolled: 1-line block ×14, first 2 shown]
	ds_load_2addr_b64 v[188:191], v249 offset1:1
	s_waitcnt lgkmcnt(0)
	v_cmp_neq_f64_e32 vcc_lo, 0, v[188:189]
	v_cmp_neq_f64_e64 s3, 0, v[190:191]
	s_delay_alu instid0(VALU_DEP_1) | instskip(NEXT) | instid1(SALU_CYCLE_1)
	s_or_b32 s3, vcc_lo, s3
	s_and_b32 exec_lo, exec_lo, s3
	s_cbranch_execz .LBB61_152
; %bb.147:
	v_cmp_gt_f64_e32 vcc_lo, 0, v[188:189]
	v_xor_b32_e32 v124, 0x80000000, v189
	v_xor_b32_e32 v126, 0x80000000, v191
	s_delay_alu instid0(VALU_DEP_2) | instskip(SKIP_2) | instid1(VALU_DEP_4)
	v_cndmask_b32_e32 v125, v189, v124, vcc_lo
	v_cndmask_b32_e32 v124, v188, v188, vcc_lo
	v_cmp_gt_f64_e32 vcc_lo, 0, v[190:191]
	v_cndmask_b32_e32 v127, v191, v126, vcc_lo
	v_cndmask_b32_e32 v126, v190, v190, vcc_lo
	s_delay_alu instid0(VALU_DEP_1) | instskip(SKIP_1) | instid1(SALU_CYCLE_1)
	v_cmp_ngt_f64_e32 vcc_lo, v[124:125], v[126:127]
                                        ; implicit-def: $vgpr124_vgpr125
	s_and_saveexec_b32 s3, vcc_lo
	s_xor_b32 s3, exec_lo, s3
                                        ; implicit-def: $vgpr192_vgpr193_vgpr194_vgpr195
	s_cbranch_execz .LBB61_149
; %bb.148:
	v_div_scale_f64 v[124:125], null, v[190:191], v[190:191], v[188:189]
	v_div_scale_f64 v[194:195], vcc_lo, v[188:189], v[190:191], v[188:189]
	s_delay_alu instid0(VALU_DEP_2) | instskip(SKIP_2) | instid1(VALU_DEP_1)
	v_rcp_f64_e32 v[126:127], v[124:125]
	s_waitcnt_depctr 0xfff
	v_fma_f64 v[192:193], -v[124:125], v[126:127], 1.0
	v_fma_f64 v[126:127], v[126:127], v[192:193], v[126:127]
	s_delay_alu instid0(VALU_DEP_1) | instskip(NEXT) | instid1(VALU_DEP_1)
	v_fma_f64 v[192:193], -v[124:125], v[126:127], 1.0
	v_fma_f64 v[126:127], v[126:127], v[192:193], v[126:127]
	s_delay_alu instid0(VALU_DEP_1) | instskip(NEXT) | instid1(VALU_DEP_1)
	v_mul_f64 v[192:193], v[194:195], v[126:127]
	v_fma_f64 v[124:125], -v[124:125], v[192:193], v[194:195]
	s_delay_alu instid0(VALU_DEP_1) | instskip(NEXT) | instid1(VALU_DEP_1)
	v_div_fmas_f64 v[124:125], v[124:125], v[126:127], v[192:193]
	v_div_fixup_f64 v[124:125], v[124:125], v[190:191], v[188:189]
	s_delay_alu instid0(VALU_DEP_1) | instskip(NEXT) | instid1(VALU_DEP_1)
	v_fma_f64 v[126:127], v[188:189], v[124:125], v[190:191]
	v_div_scale_f64 v[188:189], null, v[126:127], v[126:127], 1.0
	s_delay_alu instid0(VALU_DEP_1) | instskip(SKIP_2) | instid1(VALU_DEP_1)
	v_rcp_f64_e32 v[190:191], v[188:189]
	s_waitcnt_depctr 0xfff
	v_fma_f64 v[192:193], -v[188:189], v[190:191], 1.0
	v_fma_f64 v[190:191], v[190:191], v[192:193], v[190:191]
	s_delay_alu instid0(VALU_DEP_1) | instskip(NEXT) | instid1(VALU_DEP_1)
	v_fma_f64 v[192:193], -v[188:189], v[190:191], 1.0
	v_fma_f64 v[190:191], v[190:191], v[192:193], v[190:191]
	v_div_scale_f64 v[192:193], vcc_lo, 1.0, v[126:127], 1.0
	s_delay_alu instid0(VALU_DEP_1) | instskip(NEXT) | instid1(VALU_DEP_1)
	v_mul_f64 v[194:195], v[192:193], v[190:191]
	v_fma_f64 v[188:189], -v[188:189], v[194:195], v[192:193]
	s_delay_alu instid0(VALU_DEP_1) | instskip(NEXT) | instid1(VALU_DEP_1)
	v_div_fmas_f64 v[188:189], v[188:189], v[190:191], v[194:195]
	v_div_fixup_f64 v[194:195], v[188:189], v[126:127], 1.0
                                        ; implicit-def: $vgpr188_vgpr189
	s_delay_alu instid0(VALU_DEP_1)
	v_mul_f64 v[124:125], v[124:125], v[194:195]
	v_xor_b32_e32 v195, 0x80000000, v195
.LBB61_149:
	s_and_not1_saveexec_b32 s3, s3
	s_cbranch_execz .LBB61_151
; %bb.150:
	v_div_scale_f64 v[124:125], null, v[188:189], v[188:189], v[190:191]
	v_div_scale_f64 v[194:195], vcc_lo, v[190:191], v[188:189], v[190:191]
	s_delay_alu instid0(VALU_DEP_2) | instskip(SKIP_2) | instid1(VALU_DEP_1)
	v_rcp_f64_e32 v[126:127], v[124:125]
	s_waitcnt_depctr 0xfff
	v_fma_f64 v[192:193], -v[124:125], v[126:127], 1.0
	v_fma_f64 v[126:127], v[126:127], v[192:193], v[126:127]
	s_delay_alu instid0(VALU_DEP_1) | instskip(NEXT) | instid1(VALU_DEP_1)
	v_fma_f64 v[192:193], -v[124:125], v[126:127], 1.0
	v_fma_f64 v[126:127], v[126:127], v[192:193], v[126:127]
	s_delay_alu instid0(VALU_DEP_1) | instskip(NEXT) | instid1(VALU_DEP_1)
	v_mul_f64 v[192:193], v[194:195], v[126:127]
	v_fma_f64 v[124:125], -v[124:125], v[192:193], v[194:195]
	s_delay_alu instid0(VALU_DEP_1) | instskip(NEXT) | instid1(VALU_DEP_1)
	v_div_fmas_f64 v[124:125], v[124:125], v[126:127], v[192:193]
	v_div_fixup_f64 v[126:127], v[124:125], v[188:189], v[190:191]
	s_delay_alu instid0(VALU_DEP_1) | instskip(NEXT) | instid1(VALU_DEP_1)
	v_fma_f64 v[124:125], v[190:191], v[126:127], v[188:189]
	v_div_scale_f64 v[188:189], null, v[124:125], v[124:125], 1.0
	s_delay_alu instid0(VALU_DEP_1) | instskip(SKIP_2) | instid1(VALU_DEP_1)
	v_rcp_f64_e32 v[190:191], v[188:189]
	s_waitcnt_depctr 0xfff
	v_fma_f64 v[192:193], -v[188:189], v[190:191], 1.0
	v_fma_f64 v[190:191], v[190:191], v[192:193], v[190:191]
	s_delay_alu instid0(VALU_DEP_1) | instskip(NEXT) | instid1(VALU_DEP_1)
	v_fma_f64 v[192:193], -v[188:189], v[190:191], 1.0
	v_fma_f64 v[190:191], v[190:191], v[192:193], v[190:191]
	v_div_scale_f64 v[192:193], vcc_lo, 1.0, v[124:125], 1.0
	s_delay_alu instid0(VALU_DEP_1) | instskip(NEXT) | instid1(VALU_DEP_1)
	v_mul_f64 v[194:195], v[192:193], v[190:191]
	v_fma_f64 v[188:189], -v[188:189], v[194:195], v[192:193]
	s_delay_alu instid0(VALU_DEP_1) | instskip(NEXT) | instid1(VALU_DEP_1)
	v_div_fmas_f64 v[188:189], v[188:189], v[190:191], v[194:195]
	v_div_fixup_f64 v[124:125], v[188:189], v[124:125], 1.0
	s_delay_alu instid0(VALU_DEP_1)
	v_mul_f64 v[194:195], v[126:127], -v[124:125]
.LBB61_151:
	s_or_b32 exec_lo, exec_lo, s3
	ds_store_2addr_b64 v249, v[124:125], v[194:195] offset1:1
.LBB61_152:
	s_or_b32 exec_lo, exec_lo, s4
	s_waitcnt lgkmcnt(0)
	s_barrier
	buffer_gl0_inv
	ds_load_2addr_b64 v[188:191], v249 offset1:1
	s_mov_b32 s3, exec_lo
	v_cmpx_lt_u32_e32 16, v248
	s_cbranch_execz .LBB61_154
; %bb.153:
	s_waitcnt lgkmcnt(0)
	v_mul_f64 v[124:125], v[188:189], v[58:59]
	v_mul_f64 v[58:59], v[190:191], v[58:59]
	s_delay_alu instid0(VALU_DEP_2) | instskip(SKIP_4) | instid1(VALU_DEP_1)
	v_fma_f64 v[192:193], v[190:191], v[56:57], v[124:125]
	ds_load_2addr_b64 v[124:127], v250 offset0:34 offset1:35
	v_fma_f64 v[56:57], v[188:189], v[56:57], -v[58:59]
	s_waitcnt lgkmcnt(0)
	v_mul_f64 v[58:59], v[126:127], v[192:193]
	v_fma_f64 v[58:59], v[124:125], v[56:57], -v[58:59]
	v_mul_f64 v[124:125], v[124:125], v[192:193]
	s_delay_alu instid0(VALU_DEP_2) | instskip(NEXT) | instid1(VALU_DEP_2)
	v_add_f64 v[52:53], v[52:53], -v[58:59]
	v_fma_f64 v[124:125], v[126:127], v[56:57], v[124:125]
	s_delay_alu instid0(VALU_DEP_1) | instskip(SKIP_3) | instid1(VALU_DEP_1)
	v_add_f64 v[54:55], v[54:55], -v[124:125]
	ds_load_2addr_b64 v[124:127], v250 offset0:36 offset1:37
	s_waitcnt lgkmcnt(0)
	v_mul_f64 v[58:59], v[126:127], v[192:193]
	v_fma_f64 v[58:59], v[124:125], v[56:57], -v[58:59]
	v_mul_f64 v[124:125], v[124:125], v[192:193]
	s_delay_alu instid0(VALU_DEP_2) | instskip(NEXT) | instid1(VALU_DEP_2)
	v_add_f64 v[48:49], v[48:49], -v[58:59]
	v_fma_f64 v[124:125], v[126:127], v[56:57], v[124:125]
	s_delay_alu instid0(VALU_DEP_1) | instskip(SKIP_3) | instid1(VALU_DEP_1)
	v_add_f64 v[50:51], v[50:51], -v[124:125]
	ds_load_2addr_b64 v[124:127], v250 offset0:38 offset1:39
	s_waitcnt lgkmcnt(0)
	v_mul_f64 v[58:59], v[126:127], v[192:193]
	v_fma_f64 v[58:59], v[124:125], v[56:57], -v[58:59]
	v_mul_f64 v[124:125], v[124:125], v[192:193]
	s_delay_alu instid0(VALU_DEP_2) | instskip(NEXT) | instid1(VALU_DEP_2)
	v_add_f64 v[44:45], v[44:45], -v[58:59]
	v_fma_f64 v[124:125], v[126:127], v[56:57], v[124:125]
	s_delay_alu instid0(VALU_DEP_1) | instskip(SKIP_3) | instid1(VALU_DEP_1)
	v_add_f64 v[46:47], v[46:47], -v[124:125]
	ds_load_2addr_b64 v[124:127], v250 offset0:40 offset1:41
	s_waitcnt lgkmcnt(0)
	v_mul_f64 v[58:59], v[126:127], v[192:193]
	v_fma_f64 v[58:59], v[124:125], v[56:57], -v[58:59]
	v_mul_f64 v[124:125], v[124:125], v[192:193]
	s_delay_alu instid0(VALU_DEP_2) | instskip(NEXT) | instid1(VALU_DEP_2)
	v_add_f64 v[40:41], v[40:41], -v[58:59]
	v_fma_f64 v[124:125], v[126:127], v[56:57], v[124:125]
	s_delay_alu instid0(VALU_DEP_1) | instskip(SKIP_3) | instid1(VALU_DEP_1)
	v_add_f64 v[42:43], v[42:43], -v[124:125]
	ds_load_2addr_b64 v[124:127], v250 offset0:42 offset1:43
	s_waitcnt lgkmcnt(0)
	v_mul_f64 v[58:59], v[126:127], v[192:193]
	v_fma_f64 v[58:59], v[124:125], v[56:57], -v[58:59]
	v_mul_f64 v[124:125], v[124:125], v[192:193]
	s_delay_alu instid0(VALU_DEP_2) | instskip(NEXT) | instid1(VALU_DEP_2)
	v_add_f64 v[36:37], v[36:37], -v[58:59]
	v_fma_f64 v[124:125], v[126:127], v[56:57], v[124:125]
	s_delay_alu instid0(VALU_DEP_1) | instskip(SKIP_3) | instid1(VALU_DEP_1)
	v_add_f64 v[38:39], v[38:39], -v[124:125]
	ds_load_2addr_b64 v[124:127], v250 offset0:44 offset1:45
	s_waitcnt lgkmcnt(0)
	v_mul_f64 v[58:59], v[126:127], v[192:193]
	v_fma_f64 v[58:59], v[124:125], v[56:57], -v[58:59]
	v_mul_f64 v[124:125], v[124:125], v[192:193]
	s_delay_alu instid0(VALU_DEP_2) | instskip(NEXT) | instid1(VALU_DEP_2)
	v_add_f64 v[32:33], v[32:33], -v[58:59]
	v_fma_f64 v[124:125], v[126:127], v[56:57], v[124:125]
	s_delay_alu instid0(VALU_DEP_1) | instskip(SKIP_3) | instid1(VALU_DEP_1)
	v_add_f64 v[34:35], v[34:35], -v[124:125]
	ds_load_2addr_b64 v[124:127], v250 offset0:46 offset1:47
	s_waitcnt lgkmcnt(0)
	v_mul_f64 v[58:59], v[126:127], v[192:193]
	v_fma_f64 v[58:59], v[124:125], v[56:57], -v[58:59]
	v_mul_f64 v[124:125], v[124:125], v[192:193]
	s_delay_alu instid0(VALU_DEP_2) | instskip(NEXT) | instid1(VALU_DEP_2)
	v_add_f64 v[28:29], v[28:29], -v[58:59]
	v_fma_f64 v[124:125], v[126:127], v[56:57], v[124:125]
	s_delay_alu instid0(VALU_DEP_1) | instskip(SKIP_3) | instid1(VALU_DEP_1)
	v_add_f64 v[30:31], v[30:31], -v[124:125]
	ds_load_2addr_b64 v[124:127], v250 offset0:48 offset1:49
	s_waitcnt lgkmcnt(0)
	v_mul_f64 v[58:59], v[126:127], v[192:193]
	v_fma_f64 v[58:59], v[124:125], v[56:57], -v[58:59]
	v_mul_f64 v[124:125], v[124:125], v[192:193]
	s_delay_alu instid0(VALU_DEP_2) | instskip(NEXT) | instid1(VALU_DEP_2)
	v_add_f64 v[24:25], v[24:25], -v[58:59]
	v_fma_f64 v[124:125], v[126:127], v[56:57], v[124:125]
	s_delay_alu instid0(VALU_DEP_1) | instskip(SKIP_3) | instid1(VALU_DEP_1)
	v_add_f64 v[26:27], v[26:27], -v[124:125]
	ds_load_2addr_b64 v[124:127], v250 offset0:50 offset1:51
	s_waitcnt lgkmcnt(0)
	v_mul_f64 v[58:59], v[126:127], v[192:193]
	v_fma_f64 v[58:59], v[124:125], v[56:57], -v[58:59]
	v_mul_f64 v[124:125], v[124:125], v[192:193]
	s_delay_alu instid0(VALU_DEP_2) | instskip(NEXT) | instid1(VALU_DEP_2)
	v_add_f64 v[20:21], v[20:21], -v[58:59]
	v_fma_f64 v[124:125], v[126:127], v[56:57], v[124:125]
	s_delay_alu instid0(VALU_DEP_1) | instskip(SKIP_3) | instid1(VALU_DEP_1)
	v_add_f64 v[22:23], v[22:23], -v[124:125]
	ds_load_2addr_b64 v[124:127], v250 offset0:52 offset1:53
	s_waitcnt lgkmcnt(0)
	v_mul_f64 v[58:59], v[126:127], v[192:193]
	v_fma_f64 v[58:59], v[124:125], v[56:57], -v[58:59]
	v_mul_f64 v[124:125], v[124:125], v[192:193]
	s_delay_alu instid0(VALU_DEP_2) | instskip(NEXT) | instid1(VALU_DEP_2)
	v_add_f64 v[16:17], v[16:17], -v[58:59]
	v_fma_f64 v[124:125], v[126:127], v[56:57], v[124:125]
	s_delay_alu instid0(VALU_DEP_1) | instskip(SKIP_3) | instid1(VALU_DEP_1)
	v_add_f64 v[18:19], v[18:19], -v[124:125]
	ds_load_2addr_b64 v[124:127], v250 offset0:54 offset1:55
	s_waitcnt lgkmcnt(0)
	v_mul_f64 v[58:59], v[126:127], v[192:193]
	v_fma_f64 v[58:59], v[124:125], v[56:57], -v[58:59]
	v_mul_f64 v[124:125], v[124:125], v[192:193]
	s_delay_alu instid0(VALU_DEP_2) | instskip(NEXT) | instid1(VALU_DEP_2)
	v_add_f64 v[12:13], v[12:13], -v[58:59]
	v_fma_f64 v[124:125], v[126:127], v[56:57], v[124:125]
	s_delay_alu instid0(VALU_DEP_1) | instskip(SKIP_3) | instid1(VALU_DEP_1)
	v_add_f64 v[14:15], v[14:15], -v[124:125]
	ds_load_2addr_b64 v[124:127], v250 offset0:56 offset1:57
	s_waitcnt lgkmcnt(0)
	v_mul_f64 v[58:59], v[126:127], v[192:193]
	v_fma_f64 v[58:59], v[124:125], v[56:57], -v[58:59]
	v_mul_f64 v[124:125], v[124:125], v[192:193]
	s_delay_alu instid0(VALU_DEP_2) | instskip(NEXT) | instid1(VALU_DEP_2)
	v_add_f64 v[8:9], v[8:9], -v[58:59]
	v_fma_f64 v[124:125], v[126:127], v[56:57], v[124:125]
	s_delay_alu instid0(VALU_DEP_1) | instskip(SKIP_3) | instid1(VALU_DEP_1)
	v_add_f64 v[10:11], v[10:11], -v[124:125]
	ds_load_2addr_b64 v[124:127], v250 offset0:58 offset1:59
	s_waitcnt lgkmcnt(0)
	v_mul_f64 v[58:59], v[126:127], v[192:193]
	v_fma_f64 v[58:59], v[124:125], v[56:57], -v[58:59]
	v_mul_f64 v[124:125], v[124:125], v[192:193]
	s_delay_alu instid0(VALU_DEP_2) | instskip(NEXT) | instid1(VALU_DEP_2)
	v_add_f64 v[4:5], v[4:5], -v[58:59]
	v_fma_f64 v[124:125], v[126:127], v[56:57], v[124:125]
	s_delay_alu instid0(VALU_DEP_1) | instskip(SKIP_3) | instid1(VALU_DEP_1)
	v_add_f64 v[6:7], v[6:7], -v[124:125]
	ds_load_2addr_b64 v[124:127], v250 offset0:60 offset1:61
	s_waitcnt lgkmcnt(0)
	v_mul_f64 v[58:59], v[126:127], v[192:193]
	v_fma_f64 v[58:59], v[124:125], v[56:57], -v[58:59]
	v_mul_f64 v[124:125], v[124:125], v[192:193]
	s_delay_alu instid0(VALU_DEP_2) | instskip(NEXT) | instid1(VALU_DEP_2)
	v_add_f64 v[0:1], v[0:1], -v[58:59]
	v_fma_f64 v[124:125], v[126:127], v[56:57], v[124:125]
	v_dual_mov_b32 v58, v192 :: v_dual_mov_b32 v59, v193
	s_delay_alu instid0(VALU_DEP_2)
	v_add_f64 v[2:3], v[2:3], -v[124:125]
.LBB61_154:
	s_or_b32 exec_lo, exec_lo, s3
	s_delay_alu instid0(SALU_CYCLE_1)
	s_mov_b32 s4, exec_lo
	s_waitcnt lgkmcnt(0)
	s_barrier
	buffer_gl0_inv
	v_cmpx_eq_u32_e32 17, v248
	s_cbranch_execz .LBB61_161
; %bb.155:
	ds_store_2addr_b64 v249, v[52:53], v[54:55] offset1:1
	ds_store_2addr_b64 v250, v[48:49], v[50:51] offset0:36 offset1:37
	ds_store_2addr_b64 v250, v[44:45], v[46:47] offset0:38 offset1:39
	;; [unrolled: 1-line block ×13, first 2 shown]
	ds_load_2addr_b64 v[192:195], v249 offset1:1
	s_waitcnt lgkmcnt(0)
	v_cmp_neq_f64_e32 vcc_lo, 0, v[192:193]
	v_cmp_neq_f64_e64 s3, 0, v[194:195]
	s_delay_alu instid0(VALU_DEP_1) | instskip(NEXT) | instid1(SALU_CYCLE_1)
	s_or_b32 s3, vcc_lo, s3
	s_and_b32 exec_lo, exec_lo, s3
	s_cbranch_execz .LBB61_161
; %bb.156:
	v_cmp_gt_f64_e32 vcc_lo, 0, v[192:193]
	v_xor_b32_e32 v124, 0x80000000, v193
	v_xor_b32_e32 v126, 0x80000000, v195
	s_delay_alu instid0(VALU_DEP_2) | instskip(SKIP_2) | instid1(VALU_DEP_4)
	v_cndmask_b32_e32 v125, v193, v124, vcc_lo
	v_cndmask_b32_e32 v124, v192, v192, vcc_lo
	v_cmp_gt_f64_e32 vcc_lo, 0, v[194:195]
	v_cndmask_b32_e32 v127, v195, v126, vcc_lo
	v_cndmask_b32_e32 v126, v194, v194, vcc_lo
	s_delay_alu instid0(VALU_DEP_1) | instskip(SKIP_1) | instid1(SALU_CYCLE_1)
	v_cmp_ngt_f64_e32 vcc_lo, v[124:125], v[126:127]
                                        ; implicit-def: $vgpr124_vgpr125
	s_and_saveexec_b32 s3, vcc_lo
	s_xor_b32 s3, exec_lo, s3
                                        ; implicit-def: $vgpr196_vgpr197_vgpr198_vgpr199
	s_cbranch_execz .LBB61_158
; %bb.157:
	v_div_scale_f64 v[124:125], null, v[194:195], v[194:195], v[192:193]
	v_div_scale_f64 v[198:199], vcc_lo, v[192:193], v[194:195], v[192:193]
	s_delay_alu instid0(VALU_DEP_2) | instskip(SKIP_2) | instid1(VALU_DEP_1)
	v_rcp_f64_e32 v[126:127], v[124:125]
	s_waitcnt_depctr 0xfff
	v_fma_f64 v[196:197], -v[124:125], v[126:127], 1.0
	v_fma_f64 v[126:127], v[126:127], v[196:197], v[126:127]
	s_delay_alu instid0(VALU_DEP_1) | instskip(NEXT) | instid1(VALU_DEP_1)
	v_fma_f64 v[196:197], -v[124:125], v[126:127], 1.0
	v_fma_f64 v[126:127], v[126:127], v[196:197], v[126:127]
	s_delay_alu instid0(VALU_DEP_1) | instskip(NEXT) | instid1(VALU_DEP_1)
	v_mul_f64 v[196:197], v[198:199], v[126:127]
	v_fma_f64 v[124:125], -v[124:125], v[196:197], v[198:199]
	s_delay_alu instid0(VALU_DEP_1) | instskip(NEXT) | instid1(VALU_DEP_1)
	v_div_fmas_f64 v[124:125], v[124:125], v[126:127], v[196:197]
	v_div_fixup_f64 v[124:125], v[124:125], v[194:195], v[192:193]
	s_delay_alu instid0(VALU_DEP_1) | instskip(NEXT) | instid1(VALU_DEP_1)
	v_fma_f64 v[126:127], v[192:193], v[124:125], v[194:195]
	v_div_scale_f64 v[192:193], null, v[126:127], v[126:127], 1.0
	s_delay_alu instid0(VALU_DEP_1) | instskip(SKIP_2) | instid1(VALU_DEP_1)
	v_rcp_f64_e32 v[194:195], v[192:193]
	s_waitcnt_depctr 0xfff
	v_fma_f64 v[196:197], -v[192:193], v[194:195], 1.0
	v_fma_f64 v[194:195], v[194:195], v[196:197], v[194:195]
	s_delay_alu instid0(VALU_DEP_1) | instskip(NEXT) | instid1(VALU_DEP_1)
	v_fma_f64 v[196:197], -v[192:193], v[194:195], 1.0
	v_fma_f64 v[194:195], v[194:195], v[196:197], v[194:195]
	v_div_scale_f64 v[196:197], vcc_lo, 1.0, v[126:127], 1.0
	s_delay_alu instid0(VALU_DEP_1) | instskip(NEXT) | instid1(VALU_DEP_1)
	v_mul_f64 v[198:199], v[196:197], v[194:195]
	v_fma_f64 v[192:193], -v[192:193], v[198:199], v[196:197]
	s_delay_alu instid0(VALU_DEP_1) | instskip(NEXT) | instid1(VALU_DEP_1)
	v_div_fmas_f64 v[192:193], v[192:193], v[194:195], v[198:199]
	v_div_fixup_f64 v[198:199], v[192:193], v[126:127], 1.0
                                        ; implicit-def: $vgpr192_vgpr193
	s_delay_alu instid0(VALU_DEP_1)
	v_mul_f64 v[124:125], v[124:125], v[198:199]
	v_xor_b32_e32 v199, 0x80000000, v199
.LBB61_158:
	s_and_not1_saveexec_b32 s3, s3
	s_cbranch_execz .LBB61_160
; %bb.159:
	v_div_scale_f64 v[124:125], null, v[192:193], v[192:193], v[194:195]
	v_div_scale_f64 v[198:199], vcc_lo, v[194:195], v[192:193], v[194:195]
	s_delay_alu instid0(VALU_DEP_2) | instskip(SKIP_2) | instid1(VALU_DEP_1)
	v_rcp_f64_e32 v[126:127], v[124:125]
	s_waitcnt_depctr 0xfff
	v_fma_f64 v[196:197], -v[124:125], v[126:127], 1.0
	v_fma_f64 v[126:127], v[126:127], v[196:197], v[126:127]
	s_delay_alu instid0(VALU_DEP_1) | instskip(NEXT) | instid1(VALU_DEP_1)
	v_fma_f64 v[196:197], -v[124:125], v[126:127], 1.0
	v_fma_f64 v[126:127], v[126:127], v[196:197], v[126:127]
	s_delay_alu instid0(VALU_DEP_1) | instskip(NEXT) | instid1(VALU_DEP_1)
	v_mul_f64 v[196:197], v[198:199], v[126:127]
	v_fma_f64 v[124:125], -v[124:125], v[196:197], v[198:199]
	s_delay_alu instid0(VALU_DEP_1) | instskip(NEXT) | instid1(VALU_DEP_1)
	v_div_fmas_f64 v[124:125], v[124:125], v[126:127], v[196:197]
	v_div_fixup_f64 v[126:127], v[124:125], v[192:193], v[194:195]
	s_delay_alu instid0(VALU_DEP_1) | instskip(NEXT) | instid1(VALU_DEP_1)
	v_fma_f64 v[124:125], v[194:195], v[126:127], v[192:193]
	v_div_scale_f64 v[192:193], null, v[124:125], v[124:125], 1.0
	s_delay_alu instid0(VALU_DEP_1) | instskip(SKIP_2) | instid1(VALU_DEP_1)
	v_rcp_f64_e32 v[194:195], v[192:193]
	s_waitcnt_depctr 0xfff
	v_fma_f64 v[196:197], -v[192:193], v[194:195], 1.0
	v_fma_f64 v[194:195], v[194:195], v[196:197], v[194:195]
	s_delay_alu instid0(VALU_DEP_1) | instskip(NEXT) | instid1(VALU_DEP_1)
	v_fma_f64 v[196:197], -v[192:193], v[194:195], 1.0
	v_fma_f64 v[194:195], v[194:195], v[196:197], v[194:195]
	v_div_scale_f64 v[196:197], vcc_lo, 1.0, v[124:125], 1.0
	s_delay_alu instid0(VALU_DEP_1) | instskip(NEXT) | instid1(VALU_DEP_1)
	v_mul_f64 v[198:199], v[196:197], v[194:195]
	v_fma_f64 v[192:193], -v[192:193], v[198:199], v[196:197]
	s_delay_alu instid0(VALU_DEP_1) | instskip(NEXT) | instid1(VALU_DEP_1)
	v_div_fmas_f64 v[192:193], v[192:193], v[194:195], v[198:199]
	v_div_fixup_f64 v[124:125], v[192:193], v[124:125], 1.0
	s_delay_alu instid0(VALU_DEP_1)
	v_mul_f64 v[198:199], v[126:127], -v[124:125]
.LBB61_160:
	s_or_b32 exec_lo, exec_lo, s3
	ds_store_2addr_b64 v249, v[124:125], v[198:199] offset1:1
.LBB61_161:
	s_or_b32 exec_lo, exec_lo, s4
	s_waitcnt lgkmcnt(0)
	s_barrier
	buffer_gl0_inv
	ds_load_2addr_b64 v[192:195], v249 offset1:1
	s_mov_b32 s3, exec_lo
	v_cmpx_lt_u32_e32 17, v248
	s_cbranch_execz .LBB61_163
; %bb.162:
	s_waitcnt lgkmcnt(0)
	v_mul_f64 v[124:125], v[192:193], v[54:55]
	v_mul_f64 v[54:55], v[194:195], v[54:55]
	s_delay_alu instid0(VALU_DEP_2) | instskip(SKIP_4) | instid1(VALU_DEP_1)
	v_fma_f64 v[196:197], v[194:195], v[52:53], v[124:125]
	ds_load_2addr_b64 v[124:127], v250 offset0:36 offset1:37
	v_fma_f64 v[52:53], v[192:193], v[52:53], -v[54:55]
	s_waitcnt lgkmcnt(0)
	v_mul_f64 v[54:55], v[126:127], v[196:197]
	v_fma_f64 v[54:55], v[124:125], v[52:53], -v[54:55]
	v_mul_f64 v[124:125], v[124:125], v[196:197]
	s_delay_alu instid0(VALU_DEP_2) | instskip(NEXT) | instid1(VALU_DEP_2)
	v_add_f64 v[48:49], v[48:49], -v[54:55]
	v_fma_f64 v[124:125], v[126:127], v[52:53], v[124:125]
	s_delay_alu instid0(VALU_DEP_1) | instskip(SKIP_3) | instid1(VALU_DEP_1)
	v_add_f64 v[50:51], v[50:51], -v[124:125]
	ds_load_2addr_b64 v[124:127], v250 offset0:38 offset1:39
	s_waitcnt lgkmcnt(0)
	v_mul_f64 v[54:55], v[126:127], v[196:197]
	v_fma_f64 v[54:55], v[124:125], v[52:53], -v[54:55]
	v_mul_f64 v[124:125], v[124:125], v[196:197]
	s_delay_alu instid0(VALU_DEP_2) | instskip(NEXT) | instid1(VALU_DEP_2)
	v_add_f64 v[44:45], v[44:45], -v[54:55]
	v_fma_f64 v[124:125], v[126:127], v[52:53], v[124:125]
	s_delay_alu instid0(VALU_DEP_1) | instskip(SKIP_3) | instid1(VALU_DEP_1)
	v_add_f64 v[46:47], v[46:47], -v[124:125]
	ds_load_2addr_b64 v[124:127], v250 offset0:40 offset1:41
	;; [unrolled: 10-line block ×12, first 2 shown]
	s_waitcnt lgkmcnt(0)
	v_mul_f64 v[54:55], v[126:127], v[196:197]
	v_fma_f64 v[54:55], v[124:125], v[52:53], -v[54:55]
	v_mul_f64 v[124:125], v[124:125], v[196:197]
	s_delay_alu instid0(VALU_DEP_2) | instskip(NEXT) | instid1(VALU_DEP_2)
	v_add_f64 v[0:1], v[0:1], -v[54:55]
	v_fma_f64 v[124:125], v[126:127], v[52:53], v[124:125]
	v_dual_mov_b32 v54, v196 :: v_dual_mov_b32 v55, v197
	s_delay_alu instid0(VALU_DEP_2)
	v_add_f64 v[2:3], v[2:3], -v[124:125]
.LBB61_163:
	s_or_b32 exec_lo, exec_lo, s3
	s_delay_alu instid0(SALU_CYCLE_1)
	s_mov_b32 s4, exec_lo
	s_waitcnt lgkmcnt(0)
	s_barrier
	buffer_gl0_inv
	v_cmpx_eq_u32_e32 18, v248
	s_cbranch_execz .LBB61_170
; %bb.164:
	ds_store_2addr_b64 v249, v[48:49], v[50:51] offset1:1
	ds_store_2addr_b64 v250, v[44:45], v[46:47] offset0:38 offset1:39
	ds_store_2addr_b64 v250, v[40:41], v[42:43] offset0:40 offset1:41
	;; [unrolled: 1-line block ×12, first 2 shown]
	ds_load_2addr_b64 v[196:199], v249 offset1:1
	s_waitcnt lgkmcnt(0)
	v_cmp_neq_f64_e32 vcc_lo, 0, v[196:197]
	v_cmp_neq_f64_e64 s3, 0, v[198:199]
	s_delay_alu instid0(VALU_DEP_1) | instskip(NEXT) | instid1(SALU_CYCLE_1)
	s_or_b32 s3, vcc_lo, s3
	s_and_b32 exec_lo, exec_lo, s3
	s_cbranch_execz .LBB61_170
; %bb.165:
	v_cmp_gt_f64_e32 vcc_lo, 0, v[196:197]
	v_xor_b32_e32 v124, 0x80000000, v197
	v_xor_b32_e32 v126, 0x80000000, v199
	s_delay_alu instid0(VALU_DEP_2) | instskip(SKIP_2) | instid1(VALU_DEP_4)
	v_cndmask_b32_e32 v125, v197, v124, vcc_lo
	v_cndmask_b32_e32 v124, v196, v196, vcc_lo
	v_cmp_gt_f64_e32 vcc_lo, 0, v[198:199]
	v_cndmask_b32_e32 v127, v199, v126, vcc_lo
	v_cndmask_b32_e32 v126, v198, v198, vcc_lo
	s_delay_alu instid0(VALU_DEP_1) | instskip(SKIP_1) | instid1(SALU_CYCLE_1)
	v_cmp_ngt_f64_e32 vcc_lo, v[124:125], v[126:127]
                                        ; implicit-def: $vgpr124_vgpr125
	s_and_saveexec_b32 s3, vcc_lo
	s_xor_b32 s3, exec_lo, s3
                                        ; implicit-def: $vgpr200_vgpr201_vgpr202_vgpr203
	s_cbranch_execz .LBB61_167
; %bb.166:
	v_div_scale_f64 v[124:125], null, v[198:199], v[198:199], v[196:197]
	v_div_scale_f64 v[202:203], vcc_lo, v[196:197], v[198:199], v[196:197]
	s_delay_alu instid0(VALU_DEP_2) | instskip(SKIP_2) | instid1(VALU_DEP_1)
	v_rcp_f64_e32 v[126:127], v[124:125]
	s_waitcnt_depctr 0xfff
	v_fma_f64 v[200:201], -v[124:125], v[126:127], 1.0
	v_fma_f64 v[126:127], v[126:127], v[200:201], v[126:127]
	s_delay_alu instid0(VALU_DEP_1) | instskip(NEXT) | instid1(VALU_DEP_1)
	v_fma_f64 v[200:201], -v[124:125], v[126:127], 1.0
	v_fma_f64 v[126:127], v[126:127], v[200:201], v[126:127]
	s_delay_alu instid0(VALU_DEP_1) | instskip(NEXT) | instid1(VALU_DEP_1)
	v_mul_f64 v[200:201], v[202:203], v[126:127]
	v_fma_f64 v[124:125], -v[124:125], v[200:201], v[202:203]
	s_delay_alu instid0(VALU_DEP_1) | instskip(NEXT) | instid1(VALU_DEP_1)
	v_div_fmas_f64 v[124:125], v[124:125], v[126:127], v[200:201]
	v_div_fixup_f64 v[124:125], v[124:125], v[198:199], v[196:197]
	s_delay_alu instid0(VALU_DEP_1) | instskip(NEXT) | instid1(VALU_DEP_1)
	v_fma_f64 v[126:127], v[196:197], v[124:125], v[198:199]
	v_div_scale_f64 v[196:197], null, v[126:127], v[126:127], 1.0
	s_delay_alu instid0(VALU_DEP_1) | instskip(SKIP_2) | instid1(VALU_DEP_1)
	v_rcp_f64_e32 v[198:199], v[196:197]
	s_waitcnt_depctr 0xfff
	v_fma_f64 v[200:201], -v[196:197], v[198:199], 1.0
	v_fma_f64 v[198:199], v[198:199], v[200:201], v[198:199]
	s_delay_alu instid0(VALU_DEP_1) | instskip(NEXT) | instid1(VALU_DEP_1)
	v_fma_f64 v[200:201], -v[196:197], v[198:199], 1.0
	v_fma_f64 v[198:199], v[198:199], v[200:201], v[198:199]
	v_div_scale_f64 v[200:201], vcc_lo, 1.0, v[126:127], 1.0
	s_delay_alu instid0(VALU_DEP_1) | instskip(NEXT) | instid1(VALU_DEP_1)
	v_mul_f64 v[202:203], v[200:201], v[198:199]
	v_fma_f64 v[196:197], -v[196:197], v[202:203], v[200:201]
	s_delay_alu instid0(VALU_DEP_1) | instskip(NEXT) | instid1(VALU_DEP_1)
	v_div_fmas_f64 v[196:197], v[196:197], v[198:199], v[202:203]
	v_div_fixup_f64 v[202:203], v[196:197], v[126:127], 1.0
                                        ; implicit-def: $vgpr196_vgpr197
	s_delay_alu instid0(VALU_DEP_1)
	v_mul_f64 v[124:125], v[124:125], v[202:203]
	v_xor_b32_e32 v203, 0x80000000, v203
.LBB61_167:
	s_and_not1_saveexec_b32 s3, s3
	s_cbranch_execz .LBB61_169
; %bb.168:
	v_div_scale_f64 v[124:125], null, v[196:197], v[196:197], v[198:199]
	v_div_scale_f64 v[202:203], vcc_lo, v[198:199], v[196:197], v[198:199]
	s_delay_alu instid0(VALU_DEP_2) | instskip(SKIP_2) | instid1(VALU_DEP_1)
	v_rcp_f64_e32 v[126:127], v[124:125]
	s_waitcnt_depctr 0xfff
	v_fma_f64 v[200:201], -v[124:125], v[126:127], 1.0
	v_fma_f64 v[126:127], v[126:127], v[200:201], v[126:127]
	s_delay_alu instid0(VALU_DEP_1) | instskip(NEXT) | instid1(VALU_DEP_1)
	v_fma_f64 v[200:201], -v[124:125], v[126:127], 1.0
	v_fma_f64 v[126:127], v[126:127], v[200:201], v[126:127]
	s_delay_alu instid0(VALU_DEP_1) | instskip(NEXT) | instid1(VALU_DEP_1)
	v_mul_f64 v[200:201], v[202:203], v[126:127]
	v_fma_f64 v[124:125], -v[124:125], v[200:201], v[202:203]
	s_delay_alu instid0(VALU_DEP_1) | instskip(NEXT) | instid1(VALU_DEP_1)
	v_div_fmas_f64 v[124:125], v[124:125], v[126:127], v[200:201]
	v_div_fixup_f64 v[126:127], v[124:125], v[196:197], v[198:199]
	s_delay_alu instid0(VALU_DEP_1) | instskip(NEXT) | instid1(VALU_DEP_1)
	v_fma_f64 v[124:125], v[198:199], v[126:127], v[196:197]
	v_div_scale_f64 v[196:197], null, v[124:125], v[124:125], 1.0
	s_delay_alu instid0(VALU_DEP_1) | instskip(SKIP_2) | instid1(VALU_DEP_1)
	v_rcp_f64_e32 v[198:199], v[196:197]
	s_waitcnt_depctr 0xfff
	v_fma_f64 v[200:201], -v[196:197], v[198:199], 1.0
	v_fma_f64 v[198:199], v[198:199], v[200:201], v[198:199]
	s_delay_alu instid0(VALU_DEP_1) | instskip(NEXT) | instid1(VALU_DEP_1)
	v_fma_f64 v[200:201], -v[196:197], v[198:199], 1.0
	v_fma_f64 v[198:199], v[198:199], v[200:201], v[198:199]
	v_div_scale_f64 v[200:201], vcc_lo, 1.0, v[124:125], 1.0
	s_delay_alu instid0(VALU_DEP_1) | instskip(NEXT) | instid1(VALU_DEP_1)
	v_mul_f64 v[202:203], v[200:201], v[198:199]
	v_fma_f64 v[196:197], -v[196:197], v[202:203], v[200:201]
	s_delay_alu instid0(VALU_DEP_1) | instskip(NEXT) | instid1(VALU_DEP_1)
	v_div_fmas_f64 v[196:197], v[196:197], v[198:199], v[202:203]
	v_div_fixup_f64 v[124:125], v[196:197], v[124:125], 1.0
	s_delay_alu instid0(VALU_DEP_1)
	v_mul_f64 v[202:203], v[126:127], -v[124:125]
.LBB61_169:
	s_or_b32 exec_lo, exec_lo, s3
	ds_store_2addr_b64 v249, v[124:125], v[202:203] offset1:1
.LBB61_170:
	s_or_b32 exec_lo, exec_lo, s4
	s_waitcnt lgkmcnt(0)
	s_barrier
	buffer_gl0_inv
	ds_load_2addr_b64 v[196:199], v249 offset1:1
	s_mov_b32 s3, exec_lo
	v_cmpx_lt_u32_e32 18, v248
	s_cbranch_execz .LBB61_172
; %bb.171:
	s_waitcnt lgkmcnt(0)
	v_mul_f64 v[124:125], v[196:197], v[50:51]
	v_mul_f64 v[50:51], v[198:199], v[50:51]
	s_delay_alu instid0(VALU_DEP_2) | instskip(SKIP_4) | instid1(VALU_DEP_1)
	v_fma_f64 v[200:201], v[198:199], v[48:49], v[124:125]
	ds_load_2addr_b64 v[124:127], v250 offset0:38 offset1:39
	v_fma_f64 v[48:49], v[196:197], v[48:49], -v[50:51]
	s_waitcnt lgkmcnt(0)
	v_mul_f64 v[50:51], v[126:127], v[200:201]
	v_fma_f64 v[50:51], v[124:125], v[48:49], -v[50:51]
	v_mul_f64 v[124:125], v[124:125], v[200:201]
	s_delay_alu instid0(VALU_DEP_2) | instskip(NEXT) | instid1(VALU_DEP_2)
	v_add_f64 v[44:45], v[44:45], -v[50:51]
	v_fma_f64 v[124:125], v[126:127], v[48:49], v[124:125]
	s_delay_alu instid0(VALU_DEP_1) | instskip(SKIP_3) | instid1(VALU_DEP_1)
	v_add_f64 v[46:47], v[46:47], -v[124:125]
	ds_load_2addr_b64 v[124:127], v250 offset0:40 offset1:41
	s_waitcnt lgkmcnt(0)
	v_mul_f64 v[50:51], v[126:127], v[200:201]
	v_fma_f64 v[50:51], v[124:125], v[48:49], -v[50:51]
	v_mul_f64 v[124:125], v[124:125], v[200:201]
	s_delay_alu instid0(VALU_DEP_2) | instskip(NEXT) | instid1(VALU_DEP_2)
	v_add_f64 v[40:41], v[40:41], -v[50:51]
	v_fma_f64 v[124:125], v[126:127], v[48:49], v[124:125]
	s_delay_alu instid0(VALU_DEP_1) | instskip(SKIP_3) | instid1(VALU_DEP_1)
	v_add_f64 v[42:43], v[42:43], -v[124:125]
	ds_load_2addr_b64 v[124:127], v250 offset0:42 offset1:43
	s_waitcnt lgkmcnt(0)
	v_mul_f64 v[50:51], v[126:127], v[200:201]
	v_fma_f64 v[50:51], v[124:125], v[48:49], -v[50:51]
	v_mul_f64 v[124:125], v[124:125], v[200:201]
	s_delay_alu instid0(VALU_DEP_2) | instskip(NEXT) | instid1(VALU_DEP_2)
	v_add_f64 v[36:37], v[36:37], -v[50:51]
	v_fma_f64 v[124:125], v[126:127], v[48:49], v[124:125]
	s_delay_alu instid0(VALU_DEP_1) | instskip(SKIP_3) | instid1(VALU_DEP_1)
	v_add_f64 v[38:39], v[38:39], -v[124:125]
	ds_load_2addr_b64 v[124:127], v250 offset0:44 offset1:45
	s_waitcnt lgkmcnt(0)
	v_mul_f64 v[50:51], v[126:127], v[200:201]
	v_fma_f64 v[50:51], v[124:125], v[48:49], -v[50:51]
	v_mul_f64 v[124:125], v[124:125], v[200:201]
	s_delay_alu instid0(VALU_DEP_2) | instskip(NEXT) | instid1(VALU_DEP_2)
	v_add_f64 v[32:33], v[32:33], -v[50:51]
	v_fma_f64 v[124:125], v[126:127], v[48:49], v[124:125]
	s_delay_alu instid0(VALU_DEP_1) | instskip(SKIP_3) | instid1(VALU_DEP_1)
	v_add_f64 v[34:35], v[34:35], -v[124:125]
	ds_load_2addr_b64 v[124:127], v250 offset0:46 offset1:47
	s_waitcnt lgkmcnt(0)
	v_mul_f64 v[50:51], v[126:127], v[200:201]
	v_fma_f64 v[50:51], v[124:125], v[48:49], -v[50:51]
	v_mul_f64 v[124:125], v[124:125], v[200:201]
	s_delay_alu instid0(VALU_DEP_2) | instskip(NEXT) | instid1(VALU_DEP_2)
	v_add_f64 v[28:29], v[28:29], -v[50:51]
	v_fma_f64 v[124:125], v[126:127], v[48:49], v[124:125]
	s_delay_alu instid0(VALU_DEP_1) | instskip(SKIP_3) | instid1(VALU_DEP_1)
	v_add_f64 v[30:31], v[30:31], -v[124:125]
	ds_load_2addr_b64 v[124:127], v250 offset0:48 offset1:49
	s_waitcnt lgkmcnt(0)
	v_mul_f64 v[50:51], v[126:127], v[200:201]
	v_fma_f64 v[50:51], v[124:125], v[48:49], -v[50:51]
	v_mul_f64 v[124:125], v[124:125], v[200:201]
	s_delay_alu instid0(VALU_DEP_2) | instskip(NEXT) | instid1(VALU_DEP_2)
	v_add_f64 v[24:25], v[24:25], -v[50:51]
	v_fma_f64 v[124:125], v[126:127], v[48:49], v[124:125]
	s_delay_alu instid0(VALU_DEP_1) | instskip(SKIP_3) | instid1(VALU_DEP_1)
	v_add_f64 v[26:27], v[26:27], -v[124:125]
	ds_load_2addr_b64 v[124:127], v250 offset0:50 offset1:51
	s_waitcnt lgkmcnt(0)
	v_mul_f64 v[50:51], v[126:127], v[200:201]
	v_fma_f64 v[50:51], v[124:125], v[48:49], -v[50:51]
	v_mul_f64 v[124:125], v[124:125], v[200:201]
	s_delay_alu instid0(VALU_DEP_2) | instskip(NEXT) | instid1(VALU_DEP_2)
	v_add_f64 v[20:21], v[20:21], -v[50:51]
	v_fma_f64 v[124:125], v[126:127], v[48:49], v[124:125]
	s_delay_alu instid0(VALU_DEP_1) | instskip(SKIP_3) | instid1(VALU_DEP_1)
	v_add_f64 v[22:23], v[22:23], -v[124:125]
	ds_load_2addr_b64 v[124:127], v250 offset0:52 offset1:53
	s_waitcnt lgkmcnt(0)
	v_mul_f64 v[50:51], v[126:127], v[200:201]
	v_fma_f64 v[50:51], v[124:125], v[48:49], -v[50:51]
	v_mul_f64 v[124:125], v[124:125], v[200:201]
	s_delay_alu instid0(VALU_DEP_2) | instskip(NEXT) | instid1(VALU_DEP_2)
	v_add_f64 v[16:17], v[16:17], -v[50:51]
	v_fma_f64 v[124:125], v[126:127], v[48:49], v[124:125]
	s_delay_alu instid0(VALU_DEP_1) | instskip(SKIP_3) | instid1(VALU_DEP_1)
	v_add_f64 v[18:19], v[18:19], -v[124:125]
	ds_load_2addr_b64 v[124:127], v250 offset0:54 offset1:55
	s_waitcnt lgkmcnt(0)
	v_mul_f64 v[50:51], v[126:127], v[200:201]
	v_fma_f64 v[50:51], v[124:125], v[48:49], -v[50:51]
	v_mul_f64 v[124:125], v[124:125], v[200:201]
	s_delay_alu instid0(VALU_DEP_2) | instskip(NEXT) | instid1(VALU_DEP_2)
	v_add_f64 v[12:13], v[12:13], -v[50:51]
	v_fma_f64 v[124:125], v[126:127], v[48:49], v[124:125]
	s_delay_alu instid0(VALU_DEP_1) | instskip(SKIP_3) | instid1(VALU_DEP_1)
	v_add_f64 v[14:15], v[14:15], -v[124:125]
	ds_load_2addr_b64 v[124:127], v250 offset0:56 offset1:57
	s_waitcnt lgkmcnt(0)
	v_mul_f64 v[50:51], v[126:127], v[200:201]
	v_fma_f64 v[50:51], v[124:125], v[48:49], -v[50:51]
	v_mul_f64 v[124:125], v[124:125], v[200:201]
	s_delay_alu instid0(VALU_DEP_2) | instskip(NEXT) | instid1(VALU_DEP_2)
	v_add_f64 v[8:9], v[8:9], -v[50:51]
	v_fma_f64 v[124:125], v[126:127], v[48:49], v[124:125]
	s_delay_alu instid0(VALU_DEP_1) | instskip(SKIP_3) | instid1(VALU_DEP_1)
	v_add_f64 v[10:11], v[10:11], -v[124:125]
	ds_load_2addr_b64 v[124:127], v250 offset0:58 offset1:59
	s_waitcnt lgkmcnt(0)
	v_mul_f64 v[50:51], v[126:127], v[200:201]
	v_fma_f64 v[50:51], v[124:125], v[48:49], -v[50:51]
	v_mul_f64 v[124:125], v[124:125], v[200:201]
	s_delay_alu instid0(VALU_DEP_2) | instskip(NEXT) | instid1(VALU_DEP_2)
	v_add_f64 v[4:5], v[4:5], -v[50:51]
	v_fma_f64 v[124:125], v[126:127], v[48:49], v[124:125]
	s_delay_alu instid0(VALU_DEP_1) | instskip(SKIP_3) | instid1(VALU_DEP_1)
	v_add_f64 v[6:7], v[6:7], -v[124:125]
	ds_load_2addr_b64 v[124:127], v250 offset0:60 offset1:61
	s_waitcnt lgkmcnt(0)
	v_mul_f64 v[50:51], v[126:127], v[200:201]
	v_fma_f64 v[50:51], v[124:125], v[48:49], -v[50:51]
	v_mul_f64 v[124:125], v[124:125], v[200:201]
	s_delay_alu instid0(VALU_DEP_2) | instskip(NEXT) | instid1(VALU_DEP_2)
	v_add_f64 v[0:1], v[0:1], -v[50:51]
	v_fma_f64 v[124:125], v[126:127], v[48:49], v[124:125]
	v_dual_mov_b32 v50, v200 :: v_dual_mov_b32 v51, v201
	s_delay_alu instid0(VALU_DEP_2)
	v_add_f64 v[2:3], v[2:3], -v[124:125]
.LBB61_172:
	s_or_b32 exec_lo, exec_lo, s3
	s_delay_alu instid0(SALU_CYCLE_1)
	s_mov_b32 s4, exec_lo
	s_waitcnt lgkmcnt(0)
	s_barrier
	buffer_gl0_inv
	v_cmpx_eq_u32_e32 19, v248
	s_cbranch_execz .LBB61_179
; %bb.173:
	ds_store_2addr_b64 v249, v[44:45], v[46:47] offset1:1
	ds_store_2addr_b64 v250, v[40:41], v[42:43] offset0:40 offset1:41
	ds_store_2addr_b64 v250, v[36:37], v[38:39] offset0:42 offset1:43
	;; [unrolled: 1-line block ×11, first 2 shown]
	ds_load_2addr_b64 v[200:203], v249 offset1:1
	s_waitcnt lgkmcnt(0)
	v_cmp_neq_f64_e32 vcc_lo, 0, v[200:201]
	v_cmp_neq_f64_e64 s3, 0, v[202:203]
	s_delay_alu instid0(VALU_DEP_1) | instskip(NEXT) | instid1(SALU_CYCLE_1)
	s_or_b32 s3, vcc_lo, s3
	s_and_b32 exec_lo, exec_lo, s3
	s_cbranch_execz .LBB61_179
; %bb.174:
	v_cmp_gt_f64_e32 vcc_lo, 0, v[200:201]
	v_xor_b32_e32 v124, 0x80000000, v201
	v_xor_b32_e32 v126, 0x80000000, v203
	s_delay_alu instid0(VALU_DEP_2) | instskip(SKIP_2) | instid1(VALU_DEP_4)
	v_cndmask_b32_e32 v125, v201, v124, vcc_lo
	v_cndmask_b32_e32 v124, v200, v200, vcc_lo
	v_cmp_gt_f64_e32 vcc_lo, 0, v[202:203]
	v_cndmask_b32_e32 v127, v203, v126, vcc_lo
	v_cndmask_b32_e32 v126, v202, v202, vcc_lo
	s_delay_alu instid0(VALU_DEP_1) | instskip(SKIP_1) | instid1(SALU_CYCLE_1)
	v_cmp_ngt_f64_e32 vcc_lo, v[124:125], v[126:127]
                                        ; implicit-def: $vgpr124_vgpr125
	s_and_saveexec_b32 s3, vcc_lo
	s_xor_b32 s3, exec_lo, s3
                                        ; implicit-def: $vgpr204_vgpr205_vgpr206_vgpr207
	s_cbranch_execz .LBB61_176
; %bb.175:
	v_div_scale_f64 v[124:125], null, v[202:203], v[202:203], v[200:201]
	v_div_scale_f64 v[206:207], vcc_lo, v[200:201], v[202:203], v[200:201]
	s_delay_alu instid0(VALU_DEP_2) | instskip(SKIP_2) | instid1(VALU_DEP_1)
	v_rcp_f64_e32 v[126:127], v[124:125]
	s_waitcnt_depctr 0xfff
	v_fma_f64 v[204:205], -v[124:125], v[126:127], 1.0
	v_fma_f64 v[126:127], v[126:127], v[204:205], v[126:127]
	s_delay_alu instid0(VALU_DEP_1) | instskip(NEXT) | instid1(VALU_DEP_1)
	v_fma_f64 v[204:205], -v[124:125], v[126:127], 1.0
	v_fma_f64 v[126:127], v[126:127], v[204:205], v[126:127]
	s_delay_alu instid0(VALU_DEP_1) | instskip(NEXT) | instid1(VALU_DEP_1)
	v_mul_f64 v[204:205], v[206:207], v[126:127]
	v_fma_f64 v[124:125], -v[124:125], v[204:205], v[206:207]
	s_delay_alu instid0(VALU_DEP_1) | instskip(NEXT) | instid1(VALU_DEP_1)
	v_div_fmas_f64 v[124:125], v[124:125], v[126:127], v[204:205]
	v_div_fixup_f64 v[124:125], v[124:125], v[202:203], v[200:201]
	s_delay_alu instid0(VALU_DEP_1) | instskip(NEXT) | instid1(VALU_DEP_1)
	v_fma_f64 v[126:127], v[200:201], v[124:125], v[202:203]
	v_div_scale_f64 v[200:201], null, v[126:127], v[126:127], 1.0
	s_delay_alu instid0(VALU_DEP_1) | instskip(SKIP_2) | instid1(VALU_DEP_1)
	v_rcp_f64_e32 v[202:203], v[200:201]
	s_waitcnt_depctr 0xfff
	v_fma_f64 v[204:205], -v[200:201], v[202:203], 1.0
	v_fma_f64 v[202:203], v[202:203], v[204:205], v[202:203]
	s_delay_alu instid0(VALU_DEP_1) | instskip(NEXT) | instid1(VALU_DEP_1)
	v_fma_f64 v[204:205], -v[200:201], v[202:203], 1.0
	v_fma_f64 v[202:203], v[202:203], v[204:205], v[202:203]
	v_div_scale_f64 v[204:205], vcc_lo, 1.0, v[126:127], 1.0
	s_delay_alu instid0(VALU_DEP_1) | instskip(NEXT) | instid1(VALU_DEP_1)
	v_mul_f64 v[206:207], v[204:205], v[202:203]
	v_fma_f64 v[200:201], -v[200:201], v[206:207], v[204:205]
	s_delay_alu instid0(VALU_DEP_1) | instskip(NEXT) | instid1(VALU_DEP_1)
	v_div_fmas_f64 v[200:201], v[200:201], v[202:203], v[206:207]
	v_div_fixup_f64 v[206:207], v[200:201], v[126:127], 1.0
                                        ; implicit-def: $vgpr200_vgpr201
	s_delay_alu instid0(VALU_DEP_1)
	v_mul_f64 v[124:125], v[124:125], v[206:207]
	v_xor_b32_e32 v207, 0x80000000, v207
.LBB61_176:
	s_and_not1_saveexec_b32 s3, s3
	s_cbranch_execz .LBB61_178
; %bb.177:
	v_div_scale_f64 v[124:125], null, v[200:201], v[200:201], v[202:203]
	v_div_scale_f64 v[206:207], vcc_lo, v[202:203], v[200:201], v[202:203]
	s_delay_alu instid0(VALU_DEP_2) | instskip(SKIP_2) | instid1(VALU_DEP_1)
	v_rcp_f64_e32 v[126:127], v[124:125]
	s_waitcnt_depctr 0xfff
	v_fma_f64 v[204:205], -v[124:125], v[126:127], 1.0
	v_fma_f64 v[126:127], v[126:127], v[204:205], v[126:127]
	s_delay_alu instid0(VALU_DEP_1) | instskip(NEXT) | instid1(VALU_DEP_1)
	v_fma_f64 v[204:205], -v[124:125], v[126:127], 1.0
	v_fma_f64 v[126:127], v[126:127], v[204:205], v[126:127]
	s_delay_alu instid0(VALU_DEP_1) | instskip(NEXT) | instid1(VALU_DEP_1)
	v_mul_f64 v[204:205], v[206:207], v[126:127]
	v_fma_f64 v[124:125], -v[124:125], v[204:205], v[206:207]
	s_delay_alu instid0(VALU_DEP_1) | instskip(NEXT) | instid1(VALU_DEP_1)
	v_div_fmas_f64 v[124:125], v[124:125], v[126:127], v[204:205]
	v_div_fixup_f64 v[126:127], v[124:125], v[200:201], v[202:203]
	s_delay_alu instid0(VALU_DEP_1) | instskip(NEXT) | instid1(VALU_DEP_1)
	v_fma_f64 v[124:125], v[202:203], v[126:127], v[200:201]
	v_div_scale_f64 v[200:201], null, v[124:125], v[124:125], 1.0
	s_delay_alu instid0(VALU_DEP_1) | instskip(SKIP_2) | instid1(VALU_DEP_1)
	v_rcp_f64_e32 v[202:203], v[200:201]
	s_waitcnt_depctr 0xfff
	v_fma_f64 v[204:205], -v[200:201], v[202:203], 1.0
	v_fma_f64 v[202:203], v[202:203], v[204:205], v[202:203]
	s_delay_alu instid0(VALU_DEP_1) | instskip(NEXT) | instid1(VALU_DEP_1)
	v_fma_f64 v[204:205], -v[200:201], v[202:203], 1.0
	v_fma_f64 v[202:203], v[202:203], v[204:205], v[202:203]
	v_div_scale_f64 v[204:205], vcc_lo, 1.0, v[124:125], 1.0
	s_delay_alu instid0(VALU_DEP_1) | instskip(NEXT) | instid1(VALU_DEP_1)
	v_mul_f64 v[206:207], v[204:205], v[202:203]
	v_fma_f64 v[200:201], -v[200:201], v[206:207], v[204:205]
	s_delay_alu instid0(VALU_DEP_1) | instskip(NEXT) | instid1(VALU_DEP_1)
	v_div_fmas_f64 v[200:201], v[200:201], v[202:203], v[206:207]
	v_div_fixup_f64 v[124:125], v[200:201], v[124:125], 1.0
	s_delay_alu instid0(VALU_DEP_1)
	v_mul_f64 v[206:207], v[126:127], -v[124:125]
.LBB61_178:
	s_or_b32 exec_lo, exec_lo, s3
	ds_store_2addr_b64 v249, v[124:125], v[206:207] offset1:1
.LBB61_179:
	s_or_b32 exec_lo, exec_lo, s4
	s_waitcnt lgkmcnt(0)
	s_barrier
	buffer_gl0_inv
	ds_load_2addr_b64 v[200:203], v249 offset1:1
	s_mov_b32 s3, exec_lo
	v_cmpx_lt_u32_e32 19, v248
	s_cbranch_execz .LBB61_181
; %bb.180:
	s_waitcnt lgkmcnt(0)
	v_mul_f64 v[124:125], v[200:201], v[46:47]
	v_mul_f64 v[46:47], v[202:203], v[46:47]
	s_delay_alu instid0(VALU_DEP_2) | instskip(SKIP_4) | instid1(VALU_DEP_1)
	v_fma_f64 v[204:205], v[202:203], v[44:45], v[124:125]
	ds_load_2addr_b64 v[124:127], v250 offset0:40 offset1:41
	v_fma_f64 v[44:45], v[200:201], v[44:45], -v[46:47]
	s_waitcnt lgkmcnt(0)
	v_mul_f64 v[46:47], v[126:127], v[204:205]
	v_fma_f64 v[46:47], v[124:125], v[44:45], -v[46:47]
	v_mul_f64 v[124:125], v[124:125], v[204:205]
	s_delay_alu instid0(VALU_DEP_2) | instskip(NEXT) | instid1(VALU_DEP_2)
	v_add_f64 v[40:41], v[40:41], -v[46:47]
	v_fma_f64 v[124:125], v[126:127], v[44:45], v[124:125]
	s_delay_alu instid0(VALU_DEP_1) | instskip(SKIP_3) | instid1(VALU_DEP_1)
	v_add_f64 v[42:43], v[42:43], -v[124:125]
	ds_load_2addr_b64 v[124:127], v250 offset0:42 offset1:43
	s_waitcnt lgkmcnt(0)
	v_mul_f64 v[46:47], v[126:127], v[204:205]
	v_fma_f64 v[46:47], v[124:125], v[44:45], -v[46:47]
	v_mul_f64 v[124:125], v[124:125], v[204:205]
	s_delay_alu instid0(VALU_DEP_2) | instskip(NEXT) | instid1(VALU_DEP_2)
	v_add_f64 v[36:37], v[36:37], -v[46:47]
	v_fma_f64 v[124:125], v[126:127], v[44:45], v[124:125]
	s_delay_alu instid0(VALU_DEP_1) | instskip(SKIP_3) | instid1(VALU_DEP_1)
	v_add_f64 v[38:39], v[38:39], -v[124:125]
	ds_load_2addr_b64 v[124:127], v250 offset0:44 offset1:45
	;; [unrolled: 10-line block ×10, first 2 shown]
	s_waitcnt lgkmcnt(0)
	v_mul_f64 v[46:47], v[126:127], v[204:205]
	v_fma_f64 v[46:47], v[124:125], v[44:45], -v[46:47]
	v_mul_f64 v[124:125], v[124:125], v[204:205]
	s_delay_alu instid0(VALU_DEP_2) | instskip(NEXT) | instid1(VALU_DEP_2)
	v_add_f64 v[0:1], v[0:1], -v[46:47]
	v_fma_f64 v[124:125], v[126:127], v[44:45], v[124:125]
	v_dual_mov_b32 v46, v204 :: v_dual_mov_b32 v47, v205
	s_delay_alu instid0(VALU_DEP_2)
	v_add_f64 v[2:3], v[2:3], -v[124:125]
.LBB61_181:
	s_or_b32 exec_lo, exec_lo, s3
	s_delay_alu instid0(SALU_CYCLE_1)
	s_mov_b32 s4, exec_lo
	s_waitcnt lgkmcnt(0)
	s_barrier
	buffer_gl0_inv
	v_cmpx_eq_u32_e32 20, v248
	s_cbranch_execz .LBB61_188
; %bb.182:
	ds_store_2addr_b64 v249, v[40:41], v[42:43] offset1:1
	ds_store_2addr_b64 v250, v[36:37], v[38:39] offset0:42 offset1:43
	ds_store_2addr_b64 v250, v[32:33], v[34:35] offset0:44 offset1:45
	;; [unrolled: 1-line block ×10, first 2 shown]
	ds_load_2addr_b64 v[204:207], v249 offset1:1
	s_waitcnt lgkmcnt(0)
	v_cmp_neq_f64_e32 vcc_lo, 0, v[204:205]
	v_cmp_neq_f64_e64 s3, 0, v[206:207]
	s_delay_alu instid0(VALU_DEP_1) | instskip(NEXT) | instid1(SALU_CYCLE_1)
	s_or_b32 s3, vcc_lo, s3
	s_and_b32 exec_lo, exec_lo, s3
	s_cbranch_execz .LBB61_188
; %bb.183:
	v_cmp_gt_f64_e32 vcc_lo, 0, v[204:205]
	v_xor_b32_e32 v124, 0x80000000, v205
	v_xor_b32_e32 v126, 0x80000000, v207
	s_delay_alu instid0(VALU_DEP_2) | instskip(SKIP_2) | instid1(VALU_DEP_4)
	v_cndmask_b32_e32 v125, v205, v124, vcc_lo
	v_cndmask_b32_e32 v124, v204, v204, vcc_lo
	v_cmp_gt_f64_e32 vcc_lo, 0, v[206:207]
	v_cndmask_b32_e32 v127, v207, v126, vcc_lo
	v_cndmask_b32_e32 v126, v206, v206, vcc_lo
	s_delay_alu instid0(VALU_DEP_1) | instskip(SKIP_1) | instid1(SALU_CYCLE_1)
	v_cmp_ngt_f64_e32 vcc_lo, v[124:125], v[126:127]
                                        ; implicit-def: $vgpr124_vgpr125
	s_and_saveexec_b32 s3, vcc_lo
	s_xor_b32 s3, exec_lo, s3
                                        ; implicit-def: $vgpr208_vgpr209_vgpr210_vgpr211
	s_cbranch_execz .LBB61_185
; %bb.184:
	v_div_scale_f64 v[124:125], null, v[206:207], v[206:207], v[204:205]
	v_div_scale_f64 v[210:211], vcc_lo, v[204:205], v[206:207], v[204:205]
	s_delay_alu instid0(VALU_DEP_2) | instskip(SKIP_2) | instid1(VALU_DEP_1)
	v_rcp_f64_e32 v[126:127], v[124:125]
	s_waitcnt_depctr 0xfff
	v_fma_f64 v[208:209], -v[124:125], v[126:127], 1.0
	v_fma_f64 v[126:127], v[126:127], v[208:209], v[126:127]
	s_delay_alu instid0(VALU_DEP_1) | instskip(NEXT) | instid1(VALU_DEP_1)
	v_fma_f64 v[208:209], -v[124:125], v[126:127], 1.0
	v_fma_f64 v[126:127], v[126:127], v[208:209], v[126:127]
	s_delay_alu instid0(VALU_DEP_1) | instskip(NEXT) | instid1(VALU_DEP_1)
	v_mul_f64 v[208:209], v[210:211], v[126:127]
	v_fma_f64 v[124:125], -v[124:125], v[208:209], v[210:211]
	s_delay_alu instid0(VALU_DEP_1) | instskip(NEXT) | instid1(VALU_DEP_1)
	v_div_fmas_f64 v[124:125], v[124:125], v[126:127], v[208:209]
	v_div_fixup_f64 v[124:125], v[124:125], v[206:207], v[204:205]
	s_delay_alu instid0(VALU_DEP_1) | instskip(NEXT) | instid1(VALU_DEP_1)
	v_fma_f64 v[126:127], v[204:205], v[124:125], v[206:207]
	v_div_scale_f64 v[204:205], null, v[126:127], v[126:127], 1.0
	s_delay_alu instid0(VALU_DEP_1) | instskip(SKIP_2) | instid1(VALU_DEP_1)
	v_rcp_f64_e32 v[206:207], v[204:205]
	s_waitcnt_depctr 0xfff
	v_fma_f64 v[208:209], -v[204:205], v[206:207], 1.0
	v_fma_f64 v[206:207], v[206:207], v[208:209], v[206:207]
	s_delay_alu instid0(VALU_DEP_1) | instskip(NEXT) | instid1(VALU_DEP_1)
	v_fma_f64 v[208:209], -v[204:205], v[206:207], 1.0
	v_fma_f64 v[206:207], v[206:207], v[208:209], v[206:207]
	v_div_scale_f64 v[208:209], vcc_lo, 1.0, v[126:127], 1.0
	s_delay_alu instid0(VALU_DEP_1) | instskip(NEXT) | instid1(VALU_DEP_1)
	v_mul_f64 v[210:211], v[208:209], v[206:207]
	v_fma_f64 v[204:205], -v[204:205], v[210:211], v[208:209]
	s_delay_alu instid0(VALU_DEP_1) | instskip(NEXT) | instid1(VALU_DEP_1)
	v_div_fmas_f64 v[204:205], v[204:205], v[206:207], v[210:211]
	v_div_fixup_f64 v[210:211], v[204:205], v[126:127], 1.0
                                        ; implicit-def: $vgpr204_vgpr205
	s_delay_alu instid0(VALU_DEP_1)
	v_mul_f64 v[124:125], v[124:125], v[210:211]
	v_xor_b32_e32 v211, 0x80000000, v211
.LBB61_185:
	s_and_not1_saveexec_b32 s3, s3
	s_cbranch_execz .LBB61_187
; %bb.186:
	v_div_scale_f64 v[124:125], null, v[204:205], v[204:205], v[206:207]
	v_div_scale_f64 v[210:211], vcc_lo, v[206:207], v[204:205], v[206:207]
	s_delay_alu instid0(VALU_DEP_2) | instskip(SKIP_2) | instid1(VALU_DEP_1)
	v_rcp_f64_e32 v[126:127], v[124:125]
	s_waitcnt_depctr 0xfff
	v_fma_f64 v[208:209], -v[124:125], v[126:127], 1.0
	v_fma_f64 v[126:127], v[126:127], v[208:209], v[126:127]
	s_delay_alu instid0(VALU_DEP_1) | instskip(NEXT) | instid1(VALU_DEP_1)
	v_fma_f64 v[208:209], -v[124:125], v[126:127], 1.0
	v_fma_f64 v[126:127], v[126:127], v[208:209], v[126:127]
	s_delay_alu instid0(VALU_DEP_1) | instskip(NEXT) | instid1(VALU_DEP_1)
	v_mul_f64 v[208:209], v[210:211], v[126:127]
	v_fma_f64 v[124:125], -v[124:125], v[208:209], v[210:211]
	s_delay_alu instid0(VALU_DEP_1) | instskip(NEXT) | instid1(VALU_DEP_1)
	v_div_fmas_f64 v[124:125], v[124:125], v[126:127], v[208:209]
	v_div_fixup_f64 v[126:127], v[124:125], v[204:205], v[206:207]
	s_delay_alu instid0(VALU_DEP_1) | instskip(NEXT) | instid1(VALU_DEP_1)
	v_fma_f64 v[124:125], v[206:207], v[126:127], v[204:205]
	v_div_scale_f64 v[204:205], null, v[124:125], v[124:125], 1.0
	s_delay_alu instid0(VALU_DEP_1) | instskip(SKIP_2) | instid1(VALU_DEP_1)
	v_rcp_f64_e32 v[206:207], v[204:205]
	s_waitcnt_depctr 0xfff
	v_fma_f64 v[208:209], -v[204:205], v[206:207], 1.0
	v_fma_f64 v[206:207], v[206:207], v[208:209], v[206:207]
	s_delay_alu instid0(VALU_DEP_1) | instskip(NEXT) | instid1(VALU_DEP_1)
	v_fma_f64 v[208:209], -v[204:205], v[206:207], 1.0
	v_fma_f64 v[206:207], v[206:207], v[208:209], v[206:207]
	v_div_scale_f64 v[208:209], vcc_lo, 1.0, v[124:125], 1.0
	s_delay_alu instid0(VALU_DEP_1) | instskip(NEXT) | instid1(VALU_DEP_1)
	v_mul_f64 v[210:211], v[208:209], v[206:207]
	v_fma_f64 v[204:205], -v[204:205], v[210:211], v[208:209]
	s_delay_alu instid0(VALU_DEP_1) | instskip(NEXT) | instid1(VALU_DEP_1)
	v_div_fmas_f64 v[204:205], v[204:205], v[206:207], v[210:211]
	v_div_fixup_f64 v[124:125], v[204:205], v[124:125], 1.0
	s_delay_alu instid0(VALU_DEP_1)
	v_mul_f64 v[210:211], v[126:127], -v[124:125]
.LBB61_187:
	s_or_b32 exec_lo, exec_lo, s3
	ds_store_2addr_b64 v249, v[124:125], v[210:211] offset1:1
.LBB61_188:
	s_or_b32 exec_lo, exec_lo, s4
	s_waitcnt lgkmcnt(0)
	s_barrier
	buffer_gl0_inv
	ds_load_2addr_b64 v[204:207], v249 offset1:1
	s_mov_b32 s3, exec_lo
	v_cmpx_lt_u32_e32 20, v248
	s_cbranch_execz .LBB61_190
; %bb.189:
	s_waitcnt lgkmcnt(0)
	v_mul_f64 v[124:125], v[204:205], v[42:43]
	v_mul_f64 v[42:43], v[206:207], v[42:43]
	s_delay_alu instid0(VALU_DEP_2) | instskip(SKIP_4) | instid1(VALU_DEP_1)
	v_fma_f64 v[208:209], v[206:207], v[40:41], v[124:125]
	ds_load_2addr_b64 v[124:127], v250 offset0:42 offset1:43
	v_fma_f64 v[40:41], v[204:205], v[40:41], -v[42:43]
	s_waitcnt lgkmcnt(0)
	v_mul_f64 v[42:43], v[126:127], v[208:209]
	v_fma_f64 v[42:43], v[124:125], v[40:41], -v[42:43]
	v_mul_f64 v[124:125], v[124:125], v[208:209]
	s_delay_alu instid0(VALU_DEP_2) | instskip(NEXT) | instid1(VALU_DEP_2)
	v_add_f64 v[36:37], v[36:37], -v[42:43]
	v_fma_f64 v[124:125], v[126:127], v[40:41], v[124:125]
	s_delay_alu instid0(VALU_DEP_1) | instskip(SKIP_3) | instid1(VALU_DEP_1)
	v_add_f64 v[38:39], v[38:39], -v[124:125]
	ds_load_2addr_b64 v[124:127], v250 offset0:44 offset1:45
	s_waitcnt lgkmcnt(0)
	v_mul_f64 v[42:43], v[126:127], v[208:209]
	v_fma_f64 v[42:43], v[124:125], v[40:41], -v[42:43]
	v_mul_f64 v[124:125], v[124:125], v[208:209]
	s_delay_alu instid0(VALU_DEP_2) | instskip(NEXT) | instid1(VALU_DEP_2)
	v_add_f64 v[32:33], v[32:33], -v[42:43]
	v_fma_f64 v[124:125], v[126:127], v[40:41], v[124:125]
	s_delay_alu instid0(VALU_DEP_1) | instskip(SKIP_3) | instid1(VALU_DEP_1)
	v_add_f64 v[34:35], v[34:35], -v[124:125]
	ds_load_2addr_b64 v[124:127], v250 offset0:46 offset1:47
	;; [unrolled: 10-line block ×9, first 2 shown]
	s_waitcnt lgkmcnt(0)
	v_mul_f64 v[42:43], v[126:127], v[208:209]
	v_fma_f64 v[42:43], v[124:125], v[40:41], -v[42:43]
	v_mul_f64 v[124:125], v[124:125], v[208:209]
	s_delay_alu instid0(VALU_DEP_2) | instskip(NEXT) | instid1(VALU_DEP_2)
	v_add_f64 v[0:1], v[0:1], -v[42:43]
	v_fma_f64 v[124:125], v[126:127], v[40:41], v[124:125]
	v_dual_mov_b32 v42, v208 :: v_dual_mov_b32 v43, v209
	s_delay_alu instid0(VALU_DEP_2)
	v_add_f64 v[2:3], v[2:3], -v[124:125]
.LBB61_190:
	s_or_b32 exec_lo, exec_lo, s3
	s_delay_alu instid0(SALU_CYCLE_1)
	s_mov_b32 s4, exec_lo
	s_waitcnt lgkmcnt(0)
	s_barrier
	buffer_gl0_inv
	v_cmpx_eq_u32_e32 21, v248
	s_cbranch_execz .LBB61_197
; %bb.191:
	ds_store_2addr_b64 v249, v[36:37], v[38:39] offset1:1
	ds_store_2addr_b64 v250, v[32:33], v[34:35] offset0:44 offset1:45
	ds_store_2addr_b64 v250, v[28:29], v[30:31] offset0:46 offset1:47
	;; [unrolled: 1-line block ×9, first 2 shown]
	ds_load_2addr_b64 v[208:211], v249 offset1:1
	s_waitcnt lgkmcnt(0)
	v_cmp_neq_f64_e32 vcc_lo, 0, v[208:209]
	v_cmp_neq_f64_e64 s3, 0, v[210:211]
	s_delay_alu instid0(VALU_DEP_1) | instskip(NEXT) | instid1(SALU_CYCLE_1)
	s_or_b32 s3, vcc_lo, s3
	s_and_b32 exec_lo, exec_lo, s3
	s_cbranch_execz .LBB61_197
; %bb.192:
	v_cmp_gt_f64_e32 vcc_lo, 0, v[208:209]
	v_xor_b32_e32 v124, 0x80000000, v209
	v_xor_b32_e32 v126, 0x80000000, v211
	s_delay_alu instid0(VALU_DEP_2) | instskip(SKIP_2) | instid1(VALU_DEP_4)
	v_cndmask_b32_e32 v125, v209, v124, vcc_lo
	v_cndmask_b32_e32 v124, v208, v208, vcc_lo
	v_cmp_gt_f64_e32 vcc_lo, 0, v[210:211]
	v_cndmask_b32_e32 v127, v211, v126, vcc_lo
	v_cndmask_b32_e32 v126, v210, v210, vcc_lo
	s_delay_alu instid0(VALU_DEP_1) | instskip(SKIP_1) | instid1(SALU_CYCLE_1)
	v_cmp_ngt_f64_e32 vcc_lo, v[124:125], v[126:127]
                                        ; implicit-def: $vgpr124_vgpr125
	s_and_saveexec_b32 s3, vcc_lo
	s_xor_b32 s3, exec_lo, s3
                                        ; implicit-def: $vgpr212_vgpr213_vgpr214_vgpr215
	s_cbranch_execz .LBB61_194
; %bb.193:
	v_div_scale_f64 v[124:125], null, v[210:211], v[210:211], v[208:209]
	v_div_scale_f64 v[214:215], vcc_lo, v[208:209], v[210:211], v[208:209]
	s_delay_alu instid0(VALU_DEP_2) | instskip(SKIP_2) | instid1(VALU_DEP_1)
	v_rcp_f64_e32 v[126:127], v[124:125]
	s_waitcnt_depctr 0xfff
	v_fma_f64 v[212:213], -v[124:125], v[126:127], 1.0
	v_fma_f64 v[126:127], v[126:127], v[212:213], v[126:127]
	s_delay_alu instid0(VALU_DEP_1) | instskip(NEXT) | instid1(VALU_DEP_1)
	v_fma_f64 v[212:213], -v[124:125], v[126:127], 1.0
	v_fma_f64 v[126:127], v[126:127], v[212:213], v[126:127]
	s_delay_alu instid0(VALU_DEP_1) | instskip(NEXT) | instid1(VALU_DEP_1)
	v_mul_f64 v[212:213], v[214:215], v[126:127]
	v_fma_f64 v[124:125], -v[124:125], v[212:213], v[214:215]
	s_delay_alu instid0(VALU_DEP_1) | instskip(NEXT) | instid1(VALU_DEP_1)
	v_div_fmas_f64 v[124:125], v[124:125], v[126:127], v[212:213]
	v_div_fixup_f64 v[124:125], v[124:125], v[210:211], v[208:209]
	s_delay_alu instid0(VALU_DEP_1) | instskip(NEXT) | instid1(VALU_DEP_1)
	v_fma_f64 v[126:127], v[208:209], v[124:125], v[210:211]
	v_div_scale_f64 v[208:209], null, v[126:127], v[126:127], 1.0
	s_delay_alu instid0(VALU_DEP_1) | instskip(SKIP_2) | instid1(VALU_DEP_1)
	v_rcp_f64_e32 v[210:211], v[208:209]
	s_waitcnt_depctr 0xfff
	v_fma_f64 v[212:213], -v[208:209], v[210:211], 1.0
	v_fma_f64 v[210:211], v[210:211], v[212:213], v[210:211]
	s_delay_alu instid0(VALU_DEP_1) | instskip(NEXT) | instid1(VALU_DEP_1)
	v_fma_f64 v[212:213], -v[208:209], v[210:211], 1.0
	v_fma_f64 v[210:211], v[210:211], v[212:213], v[210:211]
	v_div_scale_f64 v[212:213], vcc_lo, 1.0, v[126:127], 1.0
	s_delay_alu instid0(VALU_DEP_1) | instskip(NEXT) | instid1(VALU_DEP_1)
	v_mul_f64 v[214:215], v[212:213], v[210:211]
	v_fma_f64 v[208:209], -v[208:209], v[214:215], v[212:213]
	s_delay_alu instid0(VALU_DEP_1) | instskip(NEXT) | instid1(VALU_DEP_1)
	v_div_fmas_f64 v[208:209], v[208:209], v[210:211], v[214:215]
	v_div_fixup_f64 v[214:215], v[208:209], v[126:127], 1.0
                                        ; implicit-def: $vgpr208_vgpr209
	s_delay_alu instid0(VALU_DEP_1)
	v_mul_f64 v[124:125], v[124:125], v[214:215]
	v_xor_b32_e32 v215, 0x80000000, v215
.LBB61_194:
	s_and_not1_saveexec_b32 s3, s3
	s_cbranch_execz .LBB61_196
; %bb.195:
	v_div_scale_f64 v[124:125], null, v[208:209], v[208:209], v[210:211]
	v_div_scale_f64 v[214:215], vcc_lo, v[210:211], v[208:209], v[210:211]
	s_delay_alu instid0(VALU_DEP_2) | instskip(SKIP_2) | instid1(VALU_DEP_1)
	v_rcp_f64_e32 v[126:127], v[124:125]
	s_waitcnt_depctr 0xfff
	v_fma_f64 v[212:213], -v[124:125], v[126:127], 1.0
	v_fma_f64 v[126:127], v[126:127], v[212:213], v[126:127]
	s_delay_alu instid0(VALU_DEP_1) | instskip(NEXT) | instid1(VALU_DEP_1)
	v_fma_f64 v[212:213], -v[124:125], v[126:127], 1.0
	v_fma_f64 v[126:127], v[126:127], v[212:213], v[126:127]
	s_delay_alu instid0(VALU_DEP_1) | instskip(NEXT) | instid1(VALU_DEP_1)
	v_mul_f64 v[212:213], v[214:215], v[126:127]
	v_fma_f64 v[124:125], -v[124:125], v[212:213], v[214:215]
	s_delay_alu instid0(VALU_DEP_1) | instskip(NEXT) | instid1(VALU_DEP_1)
	v_div_fmas_f64 v[124:125], v[124:125], v[126:127], v[212:213]
	v_div_fixup_f64 v[126:127], v[124:125], v[208:209], v[210:211]
	s_delay_alu instid0(VALU_DEP_1) | instskip(NEXT) | instid1(VALU_DEP_1)
	v_fma_f64 v[124:125], v[210:211], v[126:127], v[208:209]
	v_div_scale_f64 v[208:209], null, v[124:125], v[124:125], 1.0
	s_delay_alu instid0(VALU_DEP_1) | instskip(SKIP_2) | instid1(VALU_DEP_1)
	v_rcp_f64_e32 v[210:211], v[208:209]
	s_waitcnt_depctr 0xfff
	v_fma_f64 v[212:213], -v[208:209], v[210:211], 1.0
	v_fma_f64 v[210:211], v[210:211], v[212:213], v[210:211]
	s_delay_alu instid0(VALU_DEP_1) | instskip(NEXT) | instid1(VALU_DEP_1)
	v_fma_f64 v[212:213], -v[208:209], v[210:211], 1.0
	v_fma_f64 v[210:211], v[210:211], v[212:213], v[210:211]
	v_div_scale_f64 v[212:213], vcc_lo, 1.0, v[124:125], 1.0
	s_delay_alu instid0(VALU_DEP_1) | instskip(NEXT) | instid1(VALU_DEP_1)
	v_mul_f64 v[214:215], v[212:213], v[210:211]
	v_fma_f64 v[208:209], -v[208:209], v[214:215], v[212:213]
	s_delay_alu instid0(VALU_DEP_1) | instskip(NEXT) | instid1(VALU_DEP_1)
	v_div_fmas_f64 v[208:209], v[208:209], v[210:211], v[214:215]
	v_div_fixup_f64 v[124:125], v[208:209], v[124:125], 1.0
	s_delay_alu instid0(VALU_DEP_1)
	v_mul_f64 v[214:215], v[126:127], -v[124:125]
.LBB61_196:
	s_or_b32 exec_lo, exec_lo, s3
	ds_store_2addr_b64 v249, v[124:125], v[214:215] offset1:1
.LBB61_197:
	s_or_b32 exec_lo, exec_lo, s4
	s_waitcnt lgkmcnt(0)
	s_barrier
	buffer_gl0_inv
	ds_load_2addr_b64 v[208:211], v249 offset1:1
	s_mov_b32 s3, exec_lo
	v_cmpx_lt_u32_e32 21, v248
	s_cbranch_execz .LBB61_199
; %bb.198:
	s_waitcnt lgkmcnt(0)
	v_mul_f64 v[124:125], v[208:209], v[38:39]
	v_mul_f64 v[38:39], v[210:211], v[38:39]
	s_delay_alu instid0(VALU_DEP_2) | instskip(SKIP_4) | instid1(VALU_DEP_1)
	v_fma_f64 v[212:213], v[210:211], v[36:37], v[124:125]
	ds_load_2addr_b64 v[124:127], v250 offset0:44 offset1:45
	v_fma_f64 v[36:37], v[208:209], v[36:37], -v[38:39]
	s_waitcnt lgkmcnt(0)
	v_mul_f64 v[38:39], v[126:127], v[212:213]
	v_fma_f64 v[38:39], v[124:125], v[36:37], -v[38:39]
	v_mul_f64 v[124:125], v[124:125], v[212:213]
	s_delay_alu instid0(VALU_DEP_2) | instskip(NEXT) | instid1(VALU_DEP_2)
	v_add_f64 v[32:33], v[32:33], -v[38:39]
	v_fma_f64 v[124:125], v[126:127], v[36:37], v[124:125]
	s_delay_alu instid0(VALU_DEP_1) | instskip(SKIP_3) | instid1(VALU_DEP_1)
	v_add_f64 v[34:35], v[34:35], -v[124:125]
	ds_load_2addr_b64 v[124:127], v250 offset0:46 offset1:47
	s_waitcnt lgkmcnt(0)
	v_mul_f64 v[38:39], v[126:127], v[212:213]
	v_fma_f64 v[38:39], v[124:125], v[36:37], -v[38:39]
	v_mul_f64 v[124:125], v[124:125], v[212:213]
	s_delay_alu instid0(VALU_DEP_2) | instskip(NEXT) | instid1(VALU_DEP_2)
	v_add_f64 v[28:29], v[28:29], -v[38:39]
	v_fma_f64 v[124:125], v[126:127], v[36:37], v[124:125]
	s_delay_alu instid0(VALU_DEP_1) | instskip(SKIP_3) | instid1(VALU_DEP_1)
	v_add_f64 v[30:31], v[30:31], -v[124:125]
	ds_load_2addr_b64 v[124:127], v250 offset0:48 offset1:49
	;; [unrolled: 10-line block ×8, first 2 shown]
	s_waitcnt lgkmcnt(0)
	v_mul_f64 v[38:39], v[126:127], v[212:213]
	v_fma_f64 v[38:39], v[124:125], v[36:37], -v[38:39]
	v_mul_f64 v[124:125], v[124:125], v[212:213]
	s_delay_alu instid0(VALU_DEP_2) | instskip(NEXT) | instid1(VALU_DEP_2)
	v_add_f64 v[0:1], v[0:1], -v[38:39]
	v_fma_f64 v[124:125], v[126:127], v[36:37], v[124:125]
	v_dual_mov_b32 v38, v212 :: v_dual_mov_b32 v39, v213
	s_delay_alu instid0(VALU_DEP_2)
	v_add_f64 v[2:3], v[2:3], -v[124:125]
.LBB61_199:
	s_or_b32 exec_lo, exec_lo, s3
	s_delay_alu instid0(SALU_CYCLE_1)
	s_mov_b32 s4, exec_lo
	s_waitcnt lgkmcnt(0)
	s_barrier
	buffer_gl0_inv
	v_cmpx_eq_u32_e32 22, v248
	s_cbranch_execz .LBB61_206
; %bb.200:
	ds_store_2addr_b64 v249, v[32:33], v[34:35] offset1:1
	ds_store_2addr_b64 v250, v[28:29], v[30:31] offset0:46 offset1:47
	ds_store_2addr_b64 v250, v[24:25], v[26:27] offset0:48 offset1:49
	;; [unrolled: 1-line block ×8, first 2 shown]
	ds_load_2addr_b64 v[212:215], v249 offset1:1
	s_waitcnt lgkmcnt(0)
	v_cmp_neq_f64_e32 vcc_lo, 0, v[212:213]
	v_cmp_neq_f64_e64 s3, 0, v[214:215]
	s_delay_alu instid0(VALU_DEP_1) | instskip(NEXT) | instid1(SALU_CYCLE_1)
	s_or_b32 s3, vcc_lo, s3
	s_and_b32 exec_lo, exec_lo, s3
	s_cbranch_execz .LBB61_206
; %bb.201:
	v_cmp_gt_f64_e32 vcc_lo, 0, v[212:213]
	v_xor_b32_e32 v124, 0x80000000, v213
	v_xor_b32_e32 v126, 0x80000000, v215
	s_delay_alu instid0(VALU_DEP_2) | instskip(SKIP_2) | instid1(VALU_DEP_4)
	v_cndmask_b32_e32 v125, v213, v124, vcc_lo
	v_cndmask_b32_e32 v124, v212, v212, vcc_lo
	v_cmp_gt_f64_e32 vcc_lo, 0, v[214:215]
	v_cndmask_b32_e32 v127, v215, v126, vcc_lo
	v_cndmask_b32_e32 v126, v214, v214, vcc_lo
	s_delay_alu instid0(VALU_DEP_1) | instskip(SKIP_1) | instid1(SALU_CYCLE_1)
	v_cmp_ngt_f64_e32 vcc_lo, v[124:125], v[126:127]
                                        ; implicit-def: $vgpr124_vgpr125
	s_and_saveexec_b32 s3, vcc_lo
	s_xor_b32 s3, exec_lo, s3
                                        ; implicit-def: $vgpr216_vgpr217_vgpr218_vgpr219
	s_cbranch_execz .LBB61_203
; %bb.202:
	v_div_scale_f64 v[124:125], null, v[214:215], v[214:215], v[212:213]
	v_div_scale_f64 v[218:219], vcc_lo, v[212:213], v[214:215], v[212:213]
	s_delay_alu instid0(VALU_DEP_2) | instskip(SKIP_2) | instid1(VALU_DEP_1)
	v_rcp_f64_e32 v[126:127], v[124:125]
	s_waitcnt_depctr 0xfff
	v_fma_f64 v[216:217], -v[124:125], v[126:127], 1.0
	v_fma_f64 v[126:127], v[126:127], v[216:217], v[126:127]
	s_delay_alu instid0(VALU_DEP_1) | instskip(NEXT) | instid1(VALU_DEP_1)
	v_fma_f64 v[216:217], -v[124:125], v[126:127], 1.0
	v_fma_f64 v[126:127], v[126:127], v[216:217], v[126:127]
	s_delay_alu instid0(VALU_DEP_1) | instskip(NEXT) | instid1(VALU_DEP_1)
	v_mul_f64 v[216:217], v[218:219], v[126:127]
	v_fma_f64 v[124:125], -v[124:125], v[216:217], v[218:219]
	s_delay_alu instid0(VALU_DEP_1) | instskip(NEXT) | instid1(VALU_DEP_1)
	v_div_fmas_f64 v[124:125], v[124:125], v[126:127], v[216:217]
	v_div_fixup_f64 v[124:125], v[124:125], v[214:215], v[212:213]
	s_delay_alu instid0(VALU_DEP_1) | instskip(NEXT) | instid1(VALU_DEP_1)
	v_fma_f64 v[126:127], v[212:213], v[124:125], v[214:215]
	v_div_scale_f64 v[212:213], null, v[126:127], v[126:127], 1.0
	s_delay_alu instid0(VALU_DEP_1) | instskip(SKIP_2) | instid1(VALU_DEP_1)
	v_rcp_f64_e32 v[214:215], v[212:213]
	s_waitcnt_depctr 0xfff
	v_fma_f64 v[216:217], -v[212:213], v[214:215], 1.0
	v_fma_f64 v[214:215], v[214:215], v[216:217], v[214:215]
	s_delay_alu instid0(VALU_DEP_1) | instskip(NEXT) | instid1(VALU_DEP_1)
	v_fma_f64 v[216:217], -v[212:213], v[214:215], 1.0
	v_fma_f64 v[214:215], v[214:215], v[216:217], v[214:215]
	v_div_scale_f64 v[216:217], vcc_lo, 1.0, v[126:127], 1.0
	s_delay_alu instid0(VALU_DEP_1) | instskip(NEXT) | instid1(VALU_DEP_1)
	v_mul_f64 v[218:219], v[216:217], v[214:215]
	v_fma_f64 v[212:213], -v[212:213], v[218:219], v[216:217]
	s_delay_alu instid0(VALU_DEP_1) | instskip(NEXT) | instid1(VALU_DEP_1)
	v_div_fmas_f64 v[212:213], v[212:213], v[214:215], v[218:219]
	v_div_fixup_f64 v[218:219], v[212:213], v[126:127], 1.0
                                        ; implicit-def: $vgpr212_vgpr213
	s_delay_alu instid0(VALU_DEP_1)
	v_mul_f64 v[124:125], v[124:125], v[218:219]
	v_xor_b32_e32 v219, 0x80000000, v219
.LBB61_203:
	s_and_not1_saveexec_b32 s3, s3
	s_cbranch_execz .LBB61_205
; %bb.204:
	v_div_scale_f64 v[124:125], null, v[212:213], v[212:213], v[214:215]
	v_div_scale_f64 v[218:219], vcc_lo, v[214:215], v[212:213], v[214:215]
	s_delay_alu instid0(VALU_DEP_2) | instskip(SKIP_2) | instid1(VALU_DEP_1)
	v_rcp_f64_e32 v[126:127], v[124:125]
	s_waitcnt_depctr 0xfff
	v_fma_f64 v[216:217], -v[124:125], v[126:127], 1.0
	v_fma_f64 v[126:127], v[126:127], v[216:217], v[126:127]
	s_delay_alu instid0(VALU_DEP_1) | instskip(NEXT) | instid1(VALU_DEP_1)
	v_fma_f64 v[216:217], -v[124:125], v[126:127], 1.0
	v_fma_f64 v[126:127], v[126:127], v[216:217], v[126:127]
	s_delay_alu instid0(VALU_DEP_1) | instskip(NEXT) | instid1(VALU_DEP_1)
	v_mul_f64 v[216:217], v[218:219], v[126:127]
	v_fma_f64 v[124:125], -v[124:125], v[216:217], v[218:219]
	s_delay_alu instid0(VALU_DEP_1) | instskip(NEXT) | instid1(VALU_DEP_1)
	v_div_fmas_f64 v[124:125], v[124:125], v[126:127], v[216:217]
	v_div_fixup_f64 v[126:127], v[124:125], v[212:213], v[214:215]
	s_delay_alu instid0(VALU_DEP_1) | instskip(NEXT) | instid1(VALU_DEP_1)
	v_fma_f64 v[124:125], v[214:215], v[126:127], v[212:213]
	v_div_scale_f64 v[212:213], null, v[124:125], v[124:125], 1.0
	s_delay_alu instid0(VALU_DEP_1) | instskip(SKIP_2) | instid1(VALU_DEP_1)
	v_rcp_f64_e32 v[214:215], v[212:213]
	s_waitcnt_depctr 0xfff
	v_fma_f64 v[216:217], -v[212:213], v[214:215], 1.0
	v_fma_f64 v[214:215], v[214:215], v[216:217], v[214:215]
	s_delay_alu instid0(VALU_DEP_1) | instskip(NEXT) | instid1(VALU_DEP_1)
	v_fma_f64 v[216:217], -v[212:213], v[214:215], 1.0
	v_fma_f64 v[214:215], v[214:215], v[216:217], v[214:215]
	v_div_scale_f64 v[216:217], vcc_lo, 1.0, v[124:125], 1.0
	s_delay_alu instid0(VALU_DEP_1) | instskip(NEXT) | instid1(VALU_DEP_1)
	v_mul_f64 v[218:219], v[216:217], v[214:215]
	v_fma_f64 v[212:213], -v[212:213], v[218:219], v[216:217]
	s_delay_alu instid0(VALU_DEP_1) | instskip(NEXT) | instid1(VALU_DEP_1)
	v_div_fmas_f64 v[212:213], v[212:213], v[214:215], v[218:219]
	v_div_fixup_f64 v[124:125], v[212:213], v[124:125], 1.0
	s_delay_alu instid0(VALU_DEP_1)
	v_mul_f64 v[218:219], v[126:127], -v[124:125]
.LBB61_205:
	s_or_b32 exec_lo, exec_lo, s3
	ds_store_2addr_b64 v249, v[124:125], v[218:219] offset1:1
.LBB61_206:
	s_or_b32 exec_lo, exec_lo, s4
	s_waitcnt lgkmcnt(0)
	s_barrier
	buffer_gl0_inv
	ds_load_2addr_b64 v[212:215], v249 offset1:1
	s_mov_b32 s3, exec_lo
	v_cmpx_lt_u32_e32 22, v248
	s_cbranch_execz .LBB61_208
; %bb.207:
	s_waitcnt lgkmcnt(0)
	v_mul_f64 v[124:125], v[212:213], v[34:35]
	v_mul_f64 v[34:35], v[214:215], v[34:35]
	s_delay_alu instid0(VALU_DEP_2) | instskip(SKIP_4) | instid1(VALU_DEP_1)
	v_fma_f64 v[216:217], v[214:215], v[32:33], v[124:125]
	ds_load_2addr_b64 v[124:127], v250 offset0:46 offset1:47
	v_fma_f64 v[32:33], v[212:213], v[32:33], -v[34:35]
	s_waitcnt lgkmcnt(0)
	v_mul_f64 v[34:35], v[126:127], v[216:217]
	v_fma_f64 v[34:35], v[124:125], v[32:33], -v[34:35]
	v_mul_f64 v[124:125], v[124:125], v[216:217]
	s_delay_alu instid0(VALU_DEP_2) | instskip(NEXT) | instid1(VALU_DEP_2)
	v_add_f64 v[28:29], v[28:29], -v[34:35]
	v_fma_f64 v[124:125], v[126:127], v[32:33], v[124:125]
	s_delay_alu instid0(VALU_DEP_1) | instskip(SKIP_3) | instid1(VALU_DEP_1)
	v_add_f64 v[30:31], v[30:31], -v[124:125]
	ds_load_2addr_b64 v[124:127], v250 offset0:48 offset1:49
	s_waitcnt lgkmcnt(0)
	v_mul_f64 v[34:35], v[126:127], v[216:217]
	v_fma_f64 v[34:35], v[124:125], v[32:33], -v[34:35]
	v_mul_f64 v[124:125], v[124:125], v[216:217]
	s_delay_alu instid0(VALU_DEP_2) | instskip(NEXT) | instid1(VALU_DEP_2)
	v_add_f64 v[24:25], v[24:25], -v[34:35]
	v_fma_f64 v[124:125], v[126:127], v[32:33], v[124:125]
	s_delay_alu instid0(VALU_DEP_1) | instskip(SKIP_3) | instid1(VALU_DEP_1)
	v_add_f64 v[26:27], v[26:27], -v[124:125]
	ds_load_2addr_b64 v[124:127], v250 offset0:50 offset1:51
	;; [unrolled: 10-line block ×7, first 2 shown]
	s_waitcnt lgkmcnt(0)
	v_mul_f64 v[34:35], v[126:127], v[216:217]
	v_fma_f64 v[34:35], v[124:125], v[32:33], -v[34:35]
	v_mul_f64 v[124:125], v[124:125], v[216:217]
	s_delay_alu instid0(VALU_DEP_2) | instskip(NEXT) | instid1(VALU_DEP_2)
	v_add_f64 v[0:1], v[0:1], -v[34:35]
	v_fma_f64 v[124:125], v[126:127], v[32:33], v[124:125]
	v_dual_mov_b32 v34, v216 :: v_dual_mov_b32 v35, v217
	s_delay_alu instid0(VALU_DEP_2)
	v_add_f64 v[2:3], v[2:3], -v[124:125]
.LBB61_208:
	s_or_b32 exec_lo, exec_lo, s3
	s_delay_alu instid0(SALU_CYCLE_1)
	s_mov_b32 s4, exec_lo
	s_waitcnt lgkmcnt(0)
	s_barrier
	buffer_gl0_inv
	v_cmpx_eq_u32_e32 23, v248
	s_cbranch_execz .LBB61_215
; %bb.209:
	ds_store_2addr_b64 v249, v[28:29], v[30:31] offset1:1
	ds_store_2addr_b64 v250, v[24:25], v[26:27] offset0:48 offset1:49
	ds_store_2addr_b64 v250, v[20:21], v[22:23] offset0:50 offset1:51
	;; [unrolled: 1-line block ×7, first 2 shown]
	ds_load_2addr_b64 v[216:219], v249 offset1:1
	s_waitcnt lgkmcnt(0)
	v_cmp_neq_f64_e32 vcc_lo, 0, v[216:217]
	v_cmp_neq_f64_e64 s3, 0, v[218:219]
	s_delay_alu instid0(VALU_DEP_1) | instskip(NEXT) | instid1(SALU_CYCLE_1)
	s_or_b32 s3, vcc_lo, s3
	s_and_b32 exec_lo, exec_lo, s3
	s_cbranch_execz .LBB61_215
; %bb.210:
	v_cmp_gt_f64_e32 vcc_lo, 0, v[216:217]
	v_xor_b32_e32 v124, 0x80000000, v217
	v_xor_b32_e32 v126, 0x80000000, v219
	s_delay_alu instid0(VALU_DEP_2) | instskip(SKIP_2) | instid1(VALU_DEP_4)
	v_cndmask_b32_e32 v125, v217, v124, vcc_lo
	v_cndmask_b32_e32 v124, v216, v216, vcc_lo
	v_cmp_gt_f64_e32 vcc_lo, 0, v[218:219]
	v_cndmask_b32_e32 v127, v219, v126, vcc_lo
	v_cndmask_b32_e32 v126, v218, v218, vcc_lo
	s_delay_alu instid0(VALU_DEP_1) | instskip(SKIP_1) | instid1(SALU_CYCLE_1)
	v_cmp_ngt_f64_e32 vcc_lo, v[124:125], v[126:127]
                                        ; implicit-def: $vgpr124_vgpr125
	s_and_saveexec_b32 s3, vcc_lo
	s_xor_b32 s3, exec_lo, s3
                                        ; implicit-def: $vgpr220_vgpr221_vgpr222_vgpr223
	s_cbranch_execz .LBB61_212
; %bb.211:
	v_div_scale_f64 v[124:125], null, v[218:219], v[218:219], v[216:217]
	v_div_scale_f64 v[222:223], vcc_lo, v[216:217], v[218:219], v[216:217]
	s_delay_alu instid0(VALU_DEP_2) | instskip(SKIP_2) | instid1(VALU_DEP_1)
	v_rcp_f64_e32 v[126:127], v[124:125]
	s_waitcnt_depctr 0xfff
	v_fma_f64 v[220:221], -v[124:125], v[126:127], 1.0
	v_fma_f64 v[126:127], v[126:127], v[220:221], v[126:127]
	s_delay_alu instid0(VALU_DEP_1) | instskip(NEXT) | instid1(VALU_DEP_1)
	v_fma_f64 v[220:221], -v[124:125], v[126:127], 1.0
	v_fma_f64 v[126:127], v[126:127], v[220:221], v[126:127]
	s_delay_alu instid0(VALU_DEP_1) | instskip(NEXT) | instid1(VALU_DEP_1)
	v_mul_f64 v[220:221], v[222:223], v[126:127]
	v_fma_f64 v[124:125], -v[124:125], v[220:221], v[222:223]
	s_delay_alu instid0(VALU_DEP_1) | instskip(NEXT) | instid1(VALU_DEP_1)
	v_div_fmas_f64 v[124:125], v[124:125], v[126:127], v[220:221]
	v_div_fixup_f64 v[124:125], v[124:125], v[218:219], v[216:217]
	s_delay_alu instid0(VALU_DEP_1) | instskip(NEXT) | instid1(VALU_DEP_1)
	v_fma_f64 v[126:127], v[216:217], v[124:125], v[218:219]
	v_div_scale_f64 v[216:217], null, v[126:127], v[126:127], 1.0
	s_delay_alu instid0(VALU_DEP_1) | instskip(SKIP_2) | instid1(VALU_DEP_1)
	v_rcp_f64_e32 v[218:219], v[216:217]
	s_waitcnt_depctr 0xfff
	v_fma_f64 v[220:221], -v[216:217], v[218:219], 1.0
	v_fma_f64 v[218:219], v[218:219], v[220:221], v[218:219]
	s_delay_alu instid0(VALU_DEP_1) | instskip(NEXT) | instid1(VALU_DEP_1)
	v_fma_f64 v[220:221], -v[216:217], v[218:219], 1.0
	v_fma_f64 v[218:219], v[218:219], v[220:221], v[218:219]
	v_div_scale_f64 v[220:221], vcc_lo, 1.0, v[126:127], 1.0
	s_delay_alu instid0(VALU_DEP_1) | instskip(NEXT) | instid1(VALU_DEP_1)
	v_mul_f64 v[222:223], v[220:221], v[218:219]
	v_fma_f64 v[216:217], -v[216:217], v[222:223], v[220:221]
	s_delay_alu instid0(VALU_DEP_1) | instskip(NEXT) | instid1(VALU_DEP_1)
	v_div_fmas_f64 v[216:217], v[216:217], v[218:219], v[222:223]
	v_div_fixup_f64 v[222:223], v[216:217], v[126:127], 1.0
                                        ; implicit-def: $vgpr216_vgpr217
	s_delay_alu instid0(VALU_DEP_1)
	v_mul_f64 v[124:125], v[124:125], v[222:223]
	v_xor_b32_e32 v223, 0x80000000, v223
.LBB61_212:
	s_and_not1_saveexec_b32 s3, s3
	s_cbranch_execz .LBB61_214
; %bb.213:
	v_div_scale_f64 v[124:125], null, v[216:217], v[216:217], v[218:219]
	v_div_scale_f64 v[222:223], vcc_lo, v[218:219], v[216:217], v[218:219]
	s_delay_alu instid0(VALU_DEP_2) | instskip(SKIP_2) | instid1(VALU_DEP_1)
	v_rcp_f64_e32 v[126:127], v[124:125]
	s_waitcnt_depctr 0xfff
	v_fma_f64 v[220:221], -v[124:125], v[126:127], 1.0
	v_fma_f64 v[126:127], v[126:127], v[220:221], v[126:127]
	s_delay_alu instid0(VALU_DEP_1) | instskip(NEXT) | instid1(VALU_DEP_1)
	v_fma_f64 v[220:221], -v[124:125], v[126:127], 1.0
	v_fma_f64 v[126:127], v[126:127], v[220:221], v[126:127]
	s_delay_alu instid0(VALU_DEP_1) | instskip(NEXT) | instid1(VALU_DEP_1)
	v_mul_f64 v[220:221], v[222:223], v[126:127]
	v_fma_f64 v[124:125], -v[124:125], v[220:221], v[222:223]
	s_delay_alu instid0(VALU_DEP_1) | instskip(NEXT) | instid1(VALU_DEP_1)
	v_div_fmas_f64 v[124:125], v[124:125], v[126:127], v[220:221]
	v_div_fixup_f64 v[126:127], v[124:125], v[216:217], v[218:219]
	s_delay_alu instid0(VALU_DEP_1) | instskip(NEXT) | instid1(VALU_DEP_1)
	v_fma_f64 v[124:125], v[218:219], v[126:127], v[216:217]
	v_div_scale_f64 v[216:217], null, v[124:125], v[124:125], 1.0
	s_delay_alu instid0(VALU_DEP_1) | instskip(SKIP_2) | instid1(VALU_DEP_1)
	v_rcp_f64_e32 v[218:219], v[216:217]
	s_waitcnt_depctr 0xfff
	v_fma_f64 v[220:221], -v[216:217], v[218:219], 1.0
	v_fma_f64 v[218:219], v[218:219], v[220:221], v[218:219]
	s_delay_alu instid0(VALU_DEP_1) | instskip(NEXT) | instid1(VALU_DEP_1)
	v_fma_f64 v[220:221], -v[216:217], v[218:219], 1.0
	v_fma_f64 v[218:219], v[218:219], v[220:221], v[218:219]
	v_div_scale_f64 v[220:221], vcc_lo, 1.0, v[124:125], 1.0
	s_delay_alu instid0(VALU_DEP_1) | instskip(NEXT) | instid1(VALU_DEP_1)
	v_mul_f64 v[222:223], v[220:221], v[218:219]
	v_fma_f64 v[216:217], -v[216:217], v[222:223], v[220:221]
	s_delay_alu instid0(VALU_DEP_1) | instskip(NEXT) | instid1(VALU_DEP_1)
	v_div_fmas_f64 v[216:217], v[216:217], v[218:219], v[222:223]
	v_div_fixup_f64 v[124:125], v[216:217], v[124:125], 1.0
	s_delay_alu instid0(VALU_DEP_1)
	v_mul_f64 v[222:223], v[126:127], -v[124:125]
.LBB61_214:
	s_or_b32 exec_lo, exec_lo, s3
	ds_store_2addr_b64 v249, v[124:125], v[222:223] offset1:1
.LBB61_215:
	s_or_b32 exec_lo, exec_lo, s4
	s_waitcnt lgkmcnt(0)
	s_barrier
	buffer_gl0_inv
	ds_load_2addr_b64 v[216:219], v249 offset1:1
	s_mov_b32 s3, exec_lo
	v_cmpx_lt_u32_e32 23, v248
	s_cbranch_execz .LBB61_217
; %bb.216:
	s_waitcnt lgkmcnt(0)
	v_mul_f64 v[124:125], v[216:217], v[30:31]
	v_mul_f64 v[30:31], v[218:219], v[30:31]
	s_delay_alu instid0(VALU_DEP_2) | instskip(SKIP_4) | instid1(VALU_DEP_1)
	v_fma_f64 v[220:221], v[218:219], v[28:29], v[124:125]
	ds_load_2addr_b64 v[124:127], v250 offset0:48 offset1:49
	v_fma_f64 v[28:29], v[216:217], v[28:29], -v[30:31]
	s_waitcnt lgkmcnt(0)
	v_mul_f64 v[30:31], v[126:127], v[220:221]
	v_fma_f64 v[30:31], v[124:125], v[28:29], -v[30:31]
	v_mul_f64 v[124:125], v[124:125], v[220:221]
	s_delay_alu instid0(VALU_DEP_2) | instskip(NEXT) | instid1(VALU_DEP_2)
	v_add_f64 v[24:25], v[24:25], -v[30:31]
	v_fma_f64 v[124:125], v[126:127], v[28:29], v[124:125]
	s_delay_alu instid0(VALU_DEP_1) | instskip(SKIP_3) | instid1(VALU_DEP_1)
	v_add_f64 v[26:27], v[26:27], -v[124:125]
	ds_load_2addr_b64 v[124:127], v250 offset0:50 offset1:51
	s_waitcnt lgkmcnt(0)
	v_mul_f64 v[30:31], v[126:127], v[220:221]
	v_fma_f64 v[30:31], v[124:125], v[28:29], -v[30:31]
	v_mul_f64 v[124:125], v[124:125], v[220:221]
	s_delay_alu instid0(VALU_DEP_2) | instskip(NEXT) | instid1(VALU_DEP_2)
	v_add_f64 v[20:21], v[20:21], -v[30:31]
	v_fma_f64 v[124:125], v[126:127], v[28:29], v[124:125]
	s_delay_alu instid0(VALU_DEP_1) | instskip(SKIP_3) | instid1(VALU_DEP_1)
	v_add_f64 v[22:23], v[22:23], -v[124:125]
	ds_load_2addr_b64 v[124:127], v250 offset0:52 offset1:53
	;; [unrolled: 10-line block ×6, first 2 shown]
	s_waitcnt lgkmcnt(0)
	v_mul_f64 v[30:31], v[126:127], v[220:221]
	v_fma_f64 v[30:31], v[124:125], v[28:29], -v[30:31]
	v_mul_f64 v[124:125], v[124:125], v[220:221]
	s_delay_alu instid0(VALU_DEP_2) | instskip(NEXT) | instid1(VALU_DEP_2)
	v_add_f64 v[0:1], v[0:1], -v[30:31]
	v_fma_f64 v[124:125], v[126:127], v[28:29], v[124:125]
	v_dual_mov_b32 v30, v220 :: v_dual_mov_b32 v31, v221
	s_delay_alu instid0(VALU_DEP_2)
	v_add_f64 v[2:3], v[2:3], -v[124:125]
.LBB61_217:
	s_or_b32 exec_lo, exec_lo, s3
	s_delay_alu instid0(SALU_CYCLE_1)
	s_mov_b32 s4, exec_lo
	s_waitcnt lgkmcnt(0)
	s_barrier
	buffer_gl0_inv
	v_cmpx_eq_u32_e32 24, v248
	s_cbranch_execz .LBB61_224
; %bb.218:
	ds_store_2addr_b64 v249, v[24:25], v[26:27] offset1:1
	ds_store_2addr_b64 v250, v[20:21], v[22:23] offset0:50 offset1:51
	ds_store_2addr_b64 v250, v[16:17], v[18:19] offset0:52 offset1:53
	;; [unrolled: 1-line block ×6, first 2 shown]
	ds_load_2addr_b64 v[220:223], v249 offset1:1
	s_waitcnt lgkmcnt(0)
	v_cmp_neq_f64_e32 vcc_lo, 0, v[220:221]
	v_cmp_neq_f64_e64 s3, 0, v[222:223]
	s_delay_alu instid0(VALU_DEP_1) | instskip(NEXT) | instid1(SALU_CYCLE_1)
	s_or_b32 s3, vcc_lo, s3
	s_and_b32 exec_lo, exec_lo, s3
	s_cbranch_execz .LBB61_224
; %bb.219:
	v_cmp_gt_f64_e32 vcc_lo, 0, v[220:221]
	v_xor_b32_e32 v124, 0x80000000, v221
	v_xor_b32_e32 v126, 0x80000000, v223
	s_delay_alu instid0(VALU_DEP_2) | instskip(SKIP_2) | instid1(VALU_DEP_4)
	v_cndmask_b32_e32 v125, v221, v124, vcc_lo
	v_cndmask_b32_e32 v124, v220, v220, vcc_lo
	v_cmp_gt_f64_e32 vcc_lo, 0, v[222:223]
	v_cndmask_b32_e32 v127, v223, v126, vcc_lo
	v_cndmask_b32_e32 v126, v222, v222, vcc_lo
	s_delay_alu instid0(VALU_DEP_1) | instskip(SKIP_1) | instid1(SALU_CYCLE_1)
	v_cmp_ngt_f64_e32 vcc_lo, v[124:125], v[126:127]
                                        ; implicit-def: $vgpr124_vgpr125
	s_and_saveexec_b32 s3, vcc_lo
	s_xor_b32 s3, exec_lo, s3
                                        ; implicit-def: $vgpr224_vgpr225_vgpr226_vgpr227
	s_cbranch_execz .LBB61_221
; %bb.220:
	v_div_scale_f64 v[124:125], null, v[222:223], v[222:223], v[220:221]
	v_div_scale_f64 v[226:227], vcc_lo, v[220:221], v[222:223], v[220:221]
	s_delay_alu instid0(VALU_DEP_2) | instskip(SKIP_2) | instid1(VALU_DEP_1)
	v_rcp_f64_e32 v[126:127], v[124:125]
	s_waitcnt_depctr 0xfff
	v_fma_f64 v[224:225], -v[124:125], v[126:127], 1.0
	v_fma_f64 v[126:127], v[126:127], v[224:225], v[126:127]
	s_delay_alu instid0(VALU_DEP_1) | instskip(NEXT) | instid1(VALU_DEP_1)
	v_fma_f64 v[224:225], -v[124:125], v[126:127], 1.0
	v_fma_f64 v[126:127], v[126:127], v[224:225], v[126:127]
	s_delay_alu instid0(VALU_DEP_1) | instskip(NEXT) | instid1(VALU_DEP_1)
	v_mul_f64 v[224:225], v[226:227], v[126:127]
	v_fma_f64 v[124:125], -v[124:125], v[224:225], v[226:227]
	s_delay_alu instid0(VALU_DEP_1) | instskip(NEXT) | instid1(VALU_DEP_1)
	v_div_fmas_f64 v[124:125], v[124:125], v[126:127], v[224:225]
	v_div_fixup_f64 v[124:125], v[124:125], v[222:223], v[220:221]
	s_delay_alu instid0(VALU_DEP_1) | instskip(NEXT) | instid1(VALU_DEP_1)
	v_fma_f64 v[126:127], v[220:221], v[124:125], v[222:223]
	v_div_scale_f64 v[220:221], null, v[126:127], v[126:127], 1.0
	s_delay_alu instid0(VALU_DEP_1) | instskip(SKIP_2) | instid1(VALU_DEP_1)
	v_rcp_f64_e32 v[222:223], v[220:221]
	s_waitcnt_depctr 0xfff
	v_fma_f64 v[224:225], -v[220:221], v[222:223], 1.0
	v_fma_f64 v[222:223], v[222:223], v[224:225], v[222:223]
	s_delay_alu instid0(VALU_DEP_1) | instskip(NEXT) | instid1(VALU_DEP_1)
	v_fma_f64 v[224:225], -v[220:221], v[222:223], 1.0
	v_fma_f64 v[222:223], v[222:223], v[224:225], v[222:223]
	v_div_scale_f64 v[224:225], vcc_lo, 1.0, v[126:127], 1.0
	s_delay_alu instid0(VALU_DEP_1) | instskip(NEXT) | instid1(VALU_DEP_1)
	v_mul_f64 v[226:227], v[224:225], v[222:223]
	v_fma_f64 v[220:221], -v[220:221], v[226:227], v[224:225]
	s_delay_alu instid0(VALU_DEP_1) | instskip(NEXT) | instid1(VALU_DEP_1)
	v_div_fmas_f64 v[220:221], v[220:221], v[222:223], v[226:227]
	v_div_fixup_f64 v[226:227], v[220:221], v[126:127], 1.0
                                        ; implicit-def: $vgpr220_vgpr221
	s_delay_alu instid0(VALU_DEP_1)
	v_mul_f64 v[124:125], v[124:125], v[226:227]
	v_xor_b32_e32 v227, 0x80000000, v227
.LBB61_221:
	s_and_not1_saveexec_b32 s3, s3
	s_cbranch_execz .LBB61_223
; %bb.222:
	v_div_scale_f64 v[124:125], null, v[220:221], v[220:221], v[222:223]
	v_div_scale_f64 v[226:227], vcc_lo, v[222:223], v[220:221], v[222:223]
	s_delay_alu instid0(VALU_DEP_2) | instskip(SKIP_2) | instid1(VALU_DEP_1)
	v_rcp_f64_e32 v[126:127], v[124:125]
	s_waitcnt_depctr 0xfff
	v_fma_f64 v[224:225], -v[124:125], v[126:127], 1.0
	v_fma_f64 v[126:127], v[126:127], v[224:225], v[126:127]
	s_delay_alu instid0(VALU_DEP_1) | instskip(NEXT) | instid1(VALU_DEP_1)
	v_fma_f64 v[224:225], -v[124:125], v[126:127], 1.0
	v_fma_f64 v[126:127], v[126:127], v[224:225], v[126:127]
	s_delay_alu instid0(VALU_DEP_1) | instskip(NEXT) | instid1(VALU_DEP_1)
	v_mul_f64 v[224:225], v[226:227], v[126:127]
	v_fma_f64 v[124:125], -v[124:125], v[224:225], v[226:227]
	s_delay_alu instid0(VALU_DEP_1) | instskip(NEXT) | instid1(VALU_DEP_1)
	v_div_fmas_f64 v[124:125], v[124:125], v[126:127], v[224:225]
	v_div_fixup_f64 v[126:127], v[124:125], v[220:221], v[222:223]
	s_delay_alu instid0(VALU_DEP_1) | instskip(NEXT) | instid1(VALU_DEP_1)
	v_fma_f64 v[124:125], v[222:223], v[126:127], v[220:221]
	v_div_scale_f64 v[220:221], null, v[124:125], v[124:125], 1.0
	s_delay_alu instid0(VALU_DEP_1) | instskip(SKIP_2) | instid1(VALU_DEP_1)
	v_rcp_f64_e32 v[222:223], v[220:221]
	s_waitcnt_depctr 0xfff
	v_fma_f64 v[224:225], -v[220:221], v[222:223], 1.0
	v_fma_f64 v[222:223], v[222:223], v[224:225], v[222:223]
	s_delay_alu instid0(VALU_DEP_1) | instskip(NEXT) | instid1(VALU_DEP_1)
	v_fma_f64 v[224:225], -v[220:221], v[222:223], 1.0
	v_fma_f64 v[222:223], v[222:223], v[224:225], v[222:223]
	v_div_scale_f64 v[224:225], vcc_lo, 1.0, v[124:125], 1.0
	s_delay_alu instid0(VALU_DEP_1) | instskip(NEXT) | instid1(VALU_DEP_1)
	v_mul_f64 v[226:227], v[224:225], v[222:223]
	v_fma_f64 v[220:221], -v[220:221], v[226:227], v[224:225]
	s_delay_alu instid0(VALU_DEP_1) | instskip(NEXT) | instid1(VALU_DEP_1)
	v_div_fmas_f64 v[220:221], v[220:221], v[222:223], v[226:227]
	v_div_fixup_f64 v[124:125], v[220:221], v[124:125], 1.0
	s_delay_alu instid0(VALU_DEP_1)
	v_mul_f64 v[226:227], v[126:127], -v[124:125]
.LBB61_223:
	s_or_b32 exec_lo, exec_lo, s3
	ds_store_2addr_b64 v249, v[124:125], v[226:227] offset1:1
.LBB61_224:
	s_or_b32 exec_lo, exec_lo, s4
	s_waitcnt lgkmcnt(0)
	s_barrier
	buffer_gl0_inv
	ds_load_2addr_b64 v[220:223], v249 offset1:1
	s_mov_b32 s3, exec_lo
	v_cmpx_lt_u32_e32 24, v248
	s_cbranch_execz .LBB61_226
; %bb.225:
	s_waitcnt lgkmcnt(0)
	v_mul_f64 v[124:125], v[220:221], v[26:27]
	v_mul_f64 v[26:27], v[222:223], v[26:27]
	s_delay_alu instid0(VALU_DEP_2) | instskip(SKIP_4) | instid1(VALU_DEP_1)
	v_fma_f64 v[224:225], v[222:223], v[24:25], v[124:125]
	ds_load_2addr_b64 v[124:127], v250 offset0:50 offset1:51
	v_fma_f64 v[24:25], v[220:221], v[24:25], -v[26:27]
	s_waitcnt lgkmcnt(0)
	v_mul_f64 v[26:27], v[126:127], v[224:225]
	v_fma_f64 v[26:27], v[124:125], v[24:25], -v[26:27]
	v_mul_f64 v[124:125], v[124:125], v[224:225]
	s_delay_alu instid0(VALU_DEP_2) | instskip(NEXT) | instid1(VALU_DEP_2)
	v_add_f64 v[20:21], v[20:21], -v[26:27]
	v_fma_f64 v[124:125], v[126:127], v[24:25], v[124:125]
	s_delay_alu instid0(VALU_DEP_1) | instskip(SKIP_3) | instid1(VALU_DEP_1)
	v_add_f64 v[22:23], v[22:23], -v[124:125]
	ds_load_2addr_b64 v[124:127], v250 offset0:52 offset1:53
	s_waitcnt lgkmcnt(0)
	v_mul_f64 v[26:27], v[126:127], v[224:225]
	v_fma_f64 v[26:27], v[124:125], v[24:25], -v[26:27]
	v_mul_f64 v[124:125], v[124:125], v[224:225]
	s_delay_alu instid0(VALU_DEP_2) | instskip(NEXT) | instid1(VALU_DEP_2)
	v_add_f64 v[16:17], v[16:17], -v[26:27]
	v_fma_f64 v[124:125], v[126:127], v[24:25], v[124:125]
	s_delay_alu instid0(VALU_DEP_1) | instskip(SKIP_3) | instid1(VALU_DEP_1)
	v_add_f64 v[18:19], v[18:19], -v[124:125]
	ds_load_2addr_b64 v[124:127], v250 offset0:54 offset1:55
	;; [unrolled: 10-line block ×5, first 2 shown]
	s_waitcnt lgkmcnt(0)
	v_mul_f64 v[26:27], v[126:127], v[224:225]
	v_fma_f64 v[26:27], v[124:125], v[24:25], -v[26:27]
	v_mul_f64 v[124:125], v[124:125], v[224:225]
	s_delay_alu instid0(VALU_DEP_2) | instskip(NEXT) | instid1(VALU_DEP_2)
	v_add_f64 v[0:1], v[0:1], -v[26:27]
	v_fma_f64 v[124:125], v[126:127], v[24:25], v[124:125]
	v_dual_mov_b32 v26, v224 :: v_dual_mov_b32 v27, v225
	s_delay_alu instid0(VALU_DEP_2)
	v_add_f64 v[2:3], v[2:3], -v[124:125]
.LBB61_226:
	s_or_b32 exec_lo, exec_lo, s3
	s_delay_alu instid0(SALU_CYCLE_1)
	s_mov_b32 s4, exec_lo
	s_waitcnt lgkmcnt(0)
	s_barrier
	buffer_gl0_inv
	v_cmpx_eq_u32_e32 25, v248
	s_cbranch_execz .LBB61_233
; %bb.227:
	ds_store_2addr_b64 v249, v[20:21], v[22:23] offset1:1
	ds_store_2addr_b64 v250, v[16:17], v[18:19] offset0:52 offset1:53
	ds_store_2addr_b64 v250, v[12:13], v[14:15] offset0:54 offset1:55
	;; [unrolled: 1-line block ×5, first 2 shown]
	ds_load_2addr_b64 v[224:227], v249 offset1:1
	s_waitcnt lgkmcnt(0)
	v_cmp_neq_f64_e32 vcc_lo, 0, v[224:225]
	v_cmp_neq_f64_e64 s3, 0, v[226:227]
	s_delay_alu instid0(VALU_DEP_1) | instskip(NEXT) | instid1(SALU_CYCLE_1)
	s_or_b32 s3, vcc_lo, s3
	s_and_b32 exec_lo, exec_lo, s3
	s_cbranch_execz .LBB61_233
; %bb.228:
	v_cmp_gt_f64_e32 vcc_lo, 0, v[224:225]
	v_xor_b32_e32 v124, 0x80000000, v225
	v_xor_b32_e32 v126, 0x80000000, v227
	s_delay_alu instid0(VALU_DEP_2) | instskip(SKIP_2) | instid1(VALU_DEP_4)
	v_cndmask_b32_e32 v125, v225, v124, vcc_lo
	v_cndmask_b32_e32 v124, v224, v224, vcc_lo
	v_cmp_gt_f64_e32 vcc_lo, 0, v[226:227]
	v_cndmask_b32_e32 v127, v227, v126, vcc_lo
	v_cndmask_b32_e32 v126, v226, v226, vcc_lo
	s_delay_alu instid0(VALU_DEP_1) | instskip(SKIP_1) | instid1(SALU_CYCLE_1)
	v_cmp_ngt_f64_e32 vcc_lo, v[124:125], v[126:127]
                                        ; implicit-def: $vgpr124_vgpr125
	s_and_saveexec_b32 s3, vcc_lo
	s_xor_b32 s3, exec_lo, s3
                                        ; implicit-def: $vgpr228_vgpr229_vgpr230_vgpr231
	s_cbranch_execz .LBB61_230
; %bb.229:
	v_div_scale_f64 v[124:125], null, v[226:227], v[226:227], v[224:225]
	v_div_scale_f64 v[230:231], vcc_lo, v[224:225], v[226:227], v[224:225]
	s_delay_alu instid0(VALU_DEP_2) | instskip(SKIP_2) | instid1(VALU_DEP_1)
	v_rcp_f64_e32 v[126:127], v[124:125]
	s_waitcnt_depctr 0xfff
	v_fma_f64 v[228:229], -v[124:125], v[126:127], 1.0
	v_fma_f64 v[126:127], v[126:127], v[228:229], v[126:127]
	s_delay_alu instid0(VALU_DEP_1) | instskip(NEXT) | instid1(VALU_DEP_1)
	v_fma_f64 v[228:229], -v[124:125], v[126:127], 1.0
	v_fma_f64 v[126:127], v[126:127], v[228:229], v[126:127]
	s_delay_alu instid0(VALU_DEP_1) | instskip(NEXT) | instid1(VALU_DEP_1)
	v_mul_f64 v[228:229], v[230:231], v[126:127]
	v_fma_f64 v[124:125], -v[124:125], v[228:229], v[230:231]
	s_delay_alu instid0(VALU_DEP_1) | instskip(NEXT) | instid1(VALU_DEP_1)
	v_div_fmas_f64 v[124:125], v[124:125], v[126:127], v[228:229]
	v_div_fixup_f64 v[124:125], v[124:125], v[226:227], v[224:225]
	s_delay_alu instid0(VALU_DEP_1) | instskip(NEXT) | instid1(VALU_DEP_1)
	v_fma_f64 v[126:127], v[224:225], v[124:125], v[226:227]
	v_div_scale_f64 v[224:225], null, v[126:127], v[126:127], 1.0
	s_delay_alu instid0(VALU_DEP_1) | instskip(SKIP_2) | instid1(VALU_DEP_1)
	v_rcp_f64_e32 v[226:227], v[224:225]
	s_waitcnt_depctr 0xfff
	v_fma_f64 v[228:229], -v[224:225], v[226:227], 1.0
	v_fma_f64 v[226:227], v[226:227], v[228:229], v[226:227]
	s_delay_alu instid0(VALU_DEP_1) | instskip(NEXT) | instid1(VALU_DEP_1)
	v_fma_f64 v[228:229], -v[224:225], v[226:227], 1.0
	v_fma_f64 v[226:227], v[226:227], v[228:229], v[226:227]
	v_div_scale_f64 v[228:229], vcc_lo, 1.0, v[126:127], 1.0
	s_delay_alu instid0(VALU_DEP_1) | instskip(NEXT) | instid1(VALU_DEP_1)
	v_mul_f64 v[230:231], v[228:229], v[226:227]
	v_fma_f64 v[224:225], -v[224:225], v[230:231], v[228:229]
	s_delay_alu instid0(VALU_DEP_1) | instskip(NEXT) | instid1(VALU_DEP_1)
	v_div_fmas_f64 v[224:225], v[224:225], v[226:227], v[230:231]
	v_div_fixup_f64 v[230:231], v[224:225], v[126:127], 1.0
                                        ; implicit-def: $vgpr224_vgpr225
	s_delay_alu instid0(VALU_DEP_1)
	v_mul_f64 v[124:125], v[124:125], v[230:231]
	v_xor_b32_e32 v231, 0x80000000, v231
.LBB61_230:
	s_and_not1_saveexec_b32 s3, s3
	s_cbranch_execz .LBB61_232
; %bb.231:
	v_div_scale_f64 v[124:125], null, v[224:225], v[224:225], v[226:227]
	v_div_scale_f64 v[230:231], vcc_lo, v[226:227], v[224:225], v[226:227]
	s_delay_alu instid0(VALU_DEP_2) | instskip(SKIP_2) | instid1(VALU_DEP_1)
	v_rcp_f64_e32 v[126:127], v[124:125]
	s_waitcnt_depctr 0xfff
	v_fma_f64 v[228:229], -v[124:125], v[126:127], 1.0
	v_fma_f64 v[126:127], v[126:127], v[228:229], v[126:127]
	s_delay_alu instid0(VALU_DEP_1) | instskip(NEXT) | instid1(VALU_DEP_1)
	v_fma_f64 v[228:229], -v[124:125], v[126:127], 1.0
	v_fma_f64 v[126:127], v[126:127], v[228:229], v[126:127]
	s_delay_alu instid0(VALU_DEP_1) | instskip(NEXT) | instid1(VALU_DEP_1)
	v_mul_f64 v[228:229], v[230:231], v[126:127]
	v_fma_f64 v[124:125], -v[124:125], v[228:229], v[230:231]
	s_delay_alu instid0(VALU_DEP_1) | instskip(NEXT) | instid1(VALU_DEP_1)
	v_div_fmas_f64 v[124:125], v[124:125], v[126:127], v[228:229]
	v_div_fixup_f64 v[126:127], v[124:125], v[224:225], v[226:227]
	s_delay_alu instid0(VALU_DEP_1) | instskip(NEXT) | instid1(VALU_DEP_1)
	v_fma_f64 v[124:125], v[226:227], v[126:127], v[224:225]
	v_div_scale_f64 v[224:225], null, v[124:125], v[124:125], 1.0
	s_delay_alu instid0(VALU_DEP_1) | instskip(SKIP_2) | instid1(VALU_DEP_1)
	v_rcp_f64_e32 v[226:227], v[224:225]
	s_waitcnt_depctr 0xfff
	v_fma_f64 v[228:229], -v[224:225], v[226:227], 1.0
	v_fma_f64 v[226:227], v[226:227], v[228:229], v[226:227]
	s_delay_alu instid0(VALU_DEP_1) | instskip(NEXT) | instid1(VALU_DEP_1)
	v_fma_f64 v[228:229], -v[224:225], v[226:227], 1.0
	v_fma_f64 v[226:227], v[226:227], v[228:229], v[226:227]
	v_div_scale_f64 v[228:229], vcc_lo, 1.0, v[124:125], 1.0
	s_delay_alu instid0(VALU_DEP_1) | instskip(NEXT) | instid1(VALU_DEP_1)
	v_mul_f64 v[230:231], v[228:229], v[226:227]
	v_fma_f64 v[224:225], -v[224:225], v[230:231], v[228:229]
	s_delay_alu instid0(VALU_DEP_1) | instskip(NEXT) | instid1(VALU_DEP_1)
	v_div_fmas_f64 v[224:225], v[224:225], v[226:227], v[230:231]
	v_div_fixup_f64 v[124:125], v[224:225], v[124:125], 1.0
	s_delay_alu instid0(VALU_DEP_1)
	v_mul_f64 v[230:231], v[126:127], -v[124:125]
.LBB61_232:
	s_or_b32 exec_lo, exec_lo, s3
	ds_store_2addr_b64 v249, v[124:125], v[230:231] offset1:1
.LBB61_233:
	s_or_b32 exec_lo, exec_lo, s4
	s_waitcnt lgkmcnt(0)
	s_barrier
	buffer_gl0_inv
	ds_load_2addr_b64 v[224:227], v249 offset1:1
	s_mov_b32 s3, exec_lo
	v_cmpx_lt_u32_e32 25, v248
	s_cbranch_execz .LBB61_235
; %bb.234:
	s_waitcnt lgkmcnt(0)
	v_mul_f64 v[124:125], v[224:225], v[22:23]
	v_mul_f64 v[22:23], v[226:227], v[22:23]
	s_delay_alu instid0(VALU_DEP_2) | instskip(SKIP_4) | instid1(VALU_DEP_1)
	v_fma_f64 v[228:229], v[226:227], v[20:21], v[124:125]
	ds_load_2addr_b64 v[124:127], v250 offset0:52 offset1:53
	v_fma_f64 v[20:21], v[224:225], v[20:21], -v[22:23]
	s_waitcnt lgkmcnt(0)
	v_mul_f64 v[22:23], v[126:127], v[228:229]
	v_fma_f64 v[22:23], v[124:125], v[20:21], -v[22:23]
	v_mul_f64 v[124:125], v[124:125], v[228:229]
	s_delay_alu instid0(VALU_DEP_2) | instskip(NEXT) | instid1(VALU_DEP_2)
	v_add_f64 v[16:17], v[16:17], -v[22:23]
	v_fma_f64 v[124:125], v[126:127], v[20:21], v[124:125]
	s_delay_alu instid0(VALU_DEP_1) | instskip(SKIP_3) | instid1(VALU_DEP_1)
	v_add_f64 v[18:19], v[18:19], -v[124:125]
	ds_load_2addr_b64 v[124:127], v250 offset0:54 offset1:55
	s_waitcnt lgkmcnt(0)
	v_mul_f64 v[22:23], v[126:127], v[228:229]
	v_fma_f64 v[22:23], v[124:125], v[20:21], -v[22:23]
	v_mul_f64 v[124:125], v[124:125], v[228:229]
	s_delay_alu instid0(VALU_DEP_2) | instskip(NEXT) | instid1(VALU_DEP_2)
	v_add_f64 v[12:13], v[12:13], -v[22:23]
	v_fma_f64 v[124:125], v[126:127], v[20:21], v[124:125]
	s_delay_alu instid0(VALU_DEP_1) | instskip(SKIP_3) | instid1(VALU_DEP_1)
	v_add_f64 v[14:15], v[14:15], -v[124:125]
	ds_load_2addr_b64 v[124:127], v250 offset0:56 offset1:57
	;; [unrolled: 10-line block ×4, first 2 shown]
	s_waitcnt lgkmcnt(0)
	v_mul_f64 v[22:23], v[126:127], v[228:229]
	v_fma_f64 v[22:23], v[124:125], v[20:21], -v[22:23]
	v_mul_f64 v[124:125], v[124:125], v[228:229]
	s_delay_alu instid0(VALU_DEP_2) | instskip(NEXT) | instid1(VALU_DEP_2)
	v_add_f64 v[0:1], v[0:1], -v[22:23]
	v_fma_f64 v[124:125], v[126:127], v[20:21], v[124:125]
	v_dual_mov_b32 v22, v228 :: v_dual_mov_b32 v23, v229
	s_delay_alu instid0(VALU_DEP_2)
	v_add_f64 v[2:3], v[2:3], -v[124:125]
.LBB61_235:
	s_or_b32 exec_lo, exec_lo, s3
	s_delay_alu instid0(SALU_CYCLE_1)
	s_mov_b32 s4, exec_lo
	s_waitcnt lgkmcnt(0)
	s_barrier
	buffer_gl0_inv
	v_cmpx_eq_u32_e32 26, v248
	s_cbranch_execz .LBB61_242
; %bb.236:
	ds_store_2addr_b64 v249, v[16:17], v[18:19] offset1:1
	ds_store_2addr_b64 v250, v[12:13], v[14:15] offset0:54 offset1:55
	ds_store_2addr_b64 v250, v[8:9], v[10:11] offset0:56 offset1:57
	;; [unrolled: 1-line block ×4, first 2 shown]
	ds_load_2addr_b64 v[228:231], v249 offset1:1
	s_waitcnt lgkmcnt(0)
	v_cmp_neq_f64_e32 vcc_lo, 0, v[228:229]
	v_cmp_neq_f64_e64 s3, 0, v[230:231]
	s_delay_alu instid0(VALU_DEP_1) | instskip(NEXT) | instid1(SALU_CYCLE_1)
	s_or_b32 s3, vcc_lo, s3
	s_and_b32 exec_lo, exec_lo, s3
	s_cbranch_execz .LBB61_242
; %bb.237:
	v_cmp_gt_f64_e32 vcc_lo, 0, v[228:229]
	v_xor_b32_e32 v124, 0x80000000, v229
	v_xor_b32_e32 v126, 0x80000000, v231
	s_delay_alu instid0(VALU_DEP_2) | instskip(SKIP_2) | instid1(VALU_DEP_4)
	v_cndmask_b32_e32 v125, v229, v124, vcc_lo
	v_cndmask_b32_e32 v124, v228, v228, vcc_lo
	v_cmp_gt_f64_e32 vcc_lo, 0, v[230:231]
	v_cndmask_b32_e32 v127, v231, v126, vcc_lo
	v_cndmask_b32_e32 v126, v230, v230, vcc_lo
	s_delay_alu instid0(VALU_DEP_1) | instskip(SKIP_1) | instid1(SALU_CYCLE_1)
	v_cmp_ngt_f64_e32 vcc_lo, v[124:125], v[126:127]
                                        ; implicit-def: $vgpr124_vgpr125
	s_and_saveexec_b32 s3, vcc_lo
	s_xor_b32 s3, exec_lo, s3
                                        ; implicit-def: $vgpr232_vgpr233_vgpr234_vgpr235
	s_cbranch_execz .LBB61_239
; %bb.238:
	v_div_scale_f64 v[124:125], null, v[230:231], v[230:231], v[228:229]
	v_div_scale_f64 v[234:235], vcc_lo, v[228:229], v[230:231], v[228:229]
	s_delay_alu instid0(VALU_DEP_2) | instskip(SKIP_2) | instid1(VALU_DEP_1)
	v_rcp_f64_e32 v[126:127], v[124:125]
	s_waitcnt_depctr 0xfff
	v_fma_f64 v[232:233], -v[124:125], v[126:127], 1.0
	v_fma_f64 v[126:127], v[126:127], v[232:233], v[126:127]
	s_delay_alu instid0(VALU_DEP_1) | instskip(NEXT) | instid1(VALU_DEP_1)
	v_fma_f64 v[232:233], -v[124:125], v[126:127], 1.0
	v_fma_f64 v[126:127], v[126:127], v[232:233], v[126:127]
	s_delay_alu instid0(VALU_DEP_1) | instskip(NEXT) | instid1(VALU_DEP_1)
	v_mul_f64 v[232:233], v[234:235], v[126:127]
	v_fma_f64 v[124:125], -v[124:125], v[232:233], v[234:235]
	s_delay_alu instid0(VALU_DEP_1) | instskip(NEXT) | instid1(VALU_DEP_1)
	v_div_fmas_f64 v[124:125], v[124:125], v[126:127], v[232:233]
	v_div_fixup_f64 v[124:125], v[124:125], v[230:231], v[228:229]
	s_delay_alu instid0(VALU_DEP_1) | instskip(NEXT) | instid1(VALU_DEP_1)
	v_fma_f64 v[126:127], v[228:229], v[124:125], v[230:231]
	v_div_scale_f64 v[228:229], null, v[126:127], v[126:127], 1.0
	s_delay_alu instid0(VALU_DEP_1) | instskip(SKIP_2) | instid1(VALU_DEP_1)
	v_rcp_f64_e32 v[230:231], v[228:229]
	s_waitcnt_depctr 0xfff
	v_fma_f64 v[232:233], -v[228:229], v[230:231], 1.0
	v_fma_f64 v[230:231], v[230:231], v[232:233], v[230:231]
	s_delay_alu instid0(VALU_DEP_1) | instskip(NEXT) | instid1(VALU_DEP_1)
	v_fma_f64 v[232:233], -v[228:229], v[230:231], 1.0
	v_fma_f64 v[230:231], v[230:231], v[232:233], v[230:231]
	v_div_scale_f64 v[232:233], vcc_lo, 1.0, v[126:127], 1.0
	s_delay_alu instid0(VALU_DEP_1) | instskip(NEXT) | instid1(VALU_DEP_1)
	v_mul_f64 v[234:235], v[232:233], v[230:231]
	v_fma_f64 v[228:229], -v[228:229], v[234:235], v[232:233]
	s_delay_alu instid0(VALU_DEP_1) | instskip(NEXT) | instid1(VALU_DEP_1)
	v_div_fmas_f64 v[228:229], v[228:229], v[230:231], v[234:235]
	v_div_fixup_f64 v[234:235], v[228:229], v[126:127], 1.0
                                        ; implicit-def: $vgpr228_vgpr229
	s_delay_alu instid0(VALU_DEP_1)
	v_mul_f64 v[124:125], v[124:125], v[234:235]
	v_xor_b32_e32 v235, 0x80000000, v235
.LBB61_239:
	s_and_not1_saveexec_b32 s3, s3
	s_cbranch_execz .LBB61_241
; %bb.240:
	v_div_scale_f64 v[124:125], null, v[228:229], v[228:229], v[230:231]
	v_div_scale_f64 v[234:235], vcc_lo, v[230:231], v[228:229], v[230:231]
	s_delay_alu instid0(VALU_DEP_2) | instskip(SKIP_2) | instid1(VALU_DEP_1)
	v_rcp_f64_e32 v[126:127], v[124:125]
	s_waitcnt_depctr 0xfff
	v_fma_f64 v[232:233], -v[124:125], v[126:127], 1.0
	v_fma_f64 v[126:127], v[126:127], v[232:233], v[126:127]
	s_delay_alu instid0(VALU_DEP_1) | instskip(NEXT) | instid1(VALU_DEP_1)
	v_fma_f64 v[232:233], -v[124:125], v[126:127], 1.0
	v_fma_f64 v[126:127], v[126:127], v[232:233], v[126:127]
	s_delay_alu instid0(VALU_DEP_1) | instskip(NEXT) | instid1(VALU_DEP_1)
	v_mul_f64 v[232:233], v[234:235], v[126:127]
	v_fma_f64 v[124:125], -v[124:125], v[232:233], v[234:235]
	s_delay_alu instid0(VALU_DEP_1) | instskip(NEXT) | instid1(VALU_DEP_1)
	v_div_fmas_f64 v[124:125], v[124:125], v[126:127], v[232:233]
	v_div_fixup_f64 v[126:127], v[124:125], v[228:229], v[230:231]
	s_delay_alu instid0(VALU_DEP_1) | instskip(NEXT) | instid1(VALU_DEP_1)
	v_fma_f64 v[124:125], v[230:231], v[126:127], v[228:229]
	v_div_scale_f64 v[228:229], null, v[124:125], v[124:125], 1.0
	s_delay_alu instid0(VALU_DEP_1) | instskip(SKIP_2) | instid1(VALU_DEP_1)
	v_rcp_f64_e32 v[230:231], v[228:229]
	s_waitcnt_depctr 0xfff
	v_fma_f64 v[232:233], -v[228:229], v[230:231], 1.0
	v_fma_f64 v[230:231], v[230:231], v[232:233], v[230:231]
	s_delay_alu instid0(VALU_DEP_1) | instskip(NEXT) | instid1(VALU_DEP_1)
	v_fma_f64 v[232:233], -v[228:229], v[230:231], 1.0
	v_fma_f64 v[230:231], v[230:231], v[232:233], v[230:231]
	v_div_scale_f64 v[232:233], vcc_lo, 1.0, v[124:125], 1.0
	s_delay_alu instid0(VALU_DEP_1) | instskip(NEXT) | instid1(VALU_DEP_1)
	v_mul_f64 v[234:235], v[232:233], v[230:231]
	v_fma_f64 v[228:229], -v[228:229], v[234:235], v[232:233]
	s_delay_alu instid0(VALU_DEP_1) | instskip(NEXT) | instid1(VALU_DEP_1)
	v_div_fmas_f64 v[228:229], v[228:229], v[230:231], v[234:235]
	v_div_fixup_f64 v[124:125], v[228:229], v[124:125], 1.0
	s_delay_alu instid0(VALU_DEP_1)
	v_mul_f64 v[234:235], v[126:127], -v[124:125]
.LBB61_241:
	s_or_b32 exec_lo, exec_lo, s3
	ds_store_2addr_b64 v249, v[124:125], v[234:235] offset1:1
.LBB61_242:
	s_or_b32 exec_lo, exec_lo, s4
	s_waitcnt lgkmcnt(0)
	s_barrier
	buffer_gl0_inv
	ds_load_2addr_b64 v[228:231], v249 offset1:1
	s_mov_b32 s3, exec_lo
	v_cmpx_lt_u32_e32 26, v248
	s_cbranch_execz .LBB61_244
; %bb.243:
	s_waitcnt lgkmcnt(0)
	v_mul_f64 v[124:125], v[228:229], v[18:19]
	v_mul_f64 v[18:19], v[230:231], v[18:19]
	s_delay_alu instid0(VALU_DEP_2) | instskip(SKIP_4) | instid1(VALU_DEP_1)
	v_fma_f64 v[232:233], v[230:231], v[16:17], v[124:125]
	ds_load_2addr_b64 v[124:127], v250 offset0:54 offset1:55
	v_fma_f64 v[16:17], v[228:229], v[16:17], -v[18:19]
	s_waitcnt lgkmcnt(0)
	v_mul_f64 v[18:19], v[126:127], v[232:233]
	v_fma_f64 v[18:19], v[124:125], v[16:17], -v[18:19]
	v_mul_f64 v[124:125], v[124:125], v[232:233]
	s_delay_alu instid0(VALU_DEP_2) | instskip(NEXT) | instid1(VALU_DEP_2)
	v_add_f64 v[12:13], v[12:13], -v[18:19]
	v_fma_f64 v[124:125], v[126:127], v[16:17], v[124:125]
	s_delay_alu instid0(VALU_DEP_1) | instskip(SKIP_3) | instid1(VALU_DEP_1)
	v_add_f64 v[14:15], v[14:15], -v[124:125]
	ds_load_2addr_b64 v[124:127], v250 offset0:56 offset1:57
	s_waitcnt lgkmcnt(0)
	v_mul_f64 v[18:19], v[126:127], v[232:233]
	v_fma_f64 v[18:19], v[124:125], v[16:17], -v[18:19]
	v_mul_f64 v[124:125], v[124:125], v[232:233]
	s_delay_alu instid0(VALU_DEP_2) | instskip(NEXT) | instid1(VALU_DEP_2)
	v_add_f64 v[8:9], v[8:9], -v[18:19]
	v_fma_f64 v[124:125], v[126:127], v[16:17], v[124:125]
	s_delay_alu instid0(VALU_DEP_1) | instskip(SKIP_3) | instid1(VALU_DEP_1)
	v_add_f64 v[10:11], v[10:11], -v[124:125]
	ds_load_2addr_b64 v[124:127], v250 offset0:58 offset1:59
	;; [unrolled: 10-line block ×3, first 2 shown]
	s_waitcnt lgkmcnt(0)
	v_mul_f64 v[18:19], v[126:127], v[232:233]
	v_fma_f64 v[18:19], v[124:125], v[16:17], -v[18:19]
	v_mul_f64 v[124:125], v[124:125], v[232:233]
	s_delay_alu instid0(VALU_DEP_2) | instskip(NEXT) | instid1(VALU_DEP_2)
	v_add_f64 v[0:1], v[0:1], -v[18:19]
	v_fma_f64 v[124:125], v[126:127], v[16:17], v[124:125]
	v_dual_mov_b32 v18, v232 :: v_dual_mov_b32 v19, v233
	s_delay_alu instid0(VALU_DEP_2)
	v_add_f64 v[2:3], v[2:3], -v[124:125]
.LBB61_244:
	s_or_b32 exec_lo, exec_lo, s3
	s_delay_alu instid0(SALU_CYCLE_1)
	s_mov_b32 s4, exec_lo
	s_waitcnt lgkmcnt(0)
	s_barrier
	buffer_gl0_inv
	v_cmpx_eq_u32_e32 27, v248
	s_cbranch_execz .LBB61_251
; %bb.245:
	ds_store_2addr_b64 v249, v[12:13], v[14:15] offset1:1
	ds_store_2addr_b64 v250, v[8:9], v[10:11] offset0:56 offset1:57
	ds_store_2addr_b64 v250, v[4:5], v[6:7] offset0:58 offset1:59
	;; [unrolled: 1-line block ×3, first 2 shown]
	ds_load_2addr_b64 v[232:235], v249 offset1:1
	s_waitcnt lgkmcnt(0)
	v_cmp_neq_f64_e32 vcc_lo, 0, v[232:233]
	v_cmp_neq_f64_e64 s3, 0, v[234:235]
	s_delay_alu instid0(VALU_DEP_1) | instskip(NEXT) | instid1(SALU_CYCLE_1)
	s_or_b32 s3, vcc_lo, s3
	s_and_b32 exec_lo, exec_lo, s3
	s_cbranch_execz .LBB61_251
; %bb.246:
	v_cmp_gt_f64_e32 vcc_lo, 0, v[232:233]
	v_xor_b32_e32 v124, 0x80000000, v233
	v_xor_b32_e32 v126, 0x80000000, v235
	s_delay_alu instid0(VALU_DEP_2) | instskip(SKIP_2) | instid1(VALU_DEP_4)
	v_cndmask_b32_e32 v125, v233, v124, vcc_lo
	v_cndmask_b32_e32 v124, v232, v232, vcc_lo
	v_cmp_gt_f64_e32 vcc_lo, 0, v[234:235]
	v_cndmask_b32_e32 v127, v235, v126, vcc_lo
	v_cndmask_b32_e32 v126, v234, v234, vcc_lo
	s_delay_alu instid0(VALU_DEP_1) | instskip(SKIP_1) | instid1(SALU_CYCLE_1)
	v_cmp_ngt_f64_e32 vcc_lo, v[124:125], v[126:127]
                                        ; implicit-def: $vgpr124_vgpr125
	s_and_saveexec_b32 s3, vcc_lo
	s_xor_b32 s3, exec_lo, s3
                                        ; implicit-def: $vgpr236_vgpr237_vgpr238_vgpr239
	s_cbranch_execz .LBB61_248
; %bb.247:
	v_div_scale_f64 v[124:125], null, v[234:235], v[234:235], v[232:233]
	v_div_scale_f64 v[238:239], vcc_lo, v[232:233], v[234:235], v[232:233]
	s_delay_alu instid0(VALU_DEP_2) | instskip(SKIP_2) | instid1(VALU_DEP_1)
	v_rcp_f64_e32 v[126:127], v[124:125]
	s_waitcnt_depctr 0xfff
	v_fma_f64 v[236:237], -v[124:125], v[126:127], 1.0
	v_fma_f64 v[126:127], v[126:127], v[236:237], v[126:127]
	s_delay_alu instid0(VALU_DEP_1) | instskip(NEXT) | instid1(VALU_DEP_1)
	v_fma_f64 v[236:237], -v[124:125], v[126:127], 1.0
	v_fma_f64 v[126:127], v[126:127], v[236:237], v[126:127]
	s_delay_alu instid0(VALU_DEP_1) | instskip(NEXT) | instid1(VALU_DEP_1)
	v_mul_f64 v[236:237], v[238:239], v[126:127]
	v_fma_f64 v[124:125], -v[124:125], v[236:237], v[238:239]
	s_delay_alu instid0(VALU_DEP_1) | instskip(NEXT) | instid1(VALU_DEP_1)
	v_div_fmas_f64 v[124:125], v[124:125], v[126:127], v[236:237]
	v_div_fixup_f64 v[124:125], v[124:125], v[234:235], v[232:233]
	s_delay_alu instid0(VALU_DEP_1) | instskip(NEXT) | instid1(VALU_DEP_1)
	v_fma_f64 v[126:127], v[232:233], v[124:125], v[234:235]
	v_div_scale_f64 v[232:233], null, v[126:127], v[126:127], 1.0
	s_delay_alu instid0(VALU_DEP_1) | instskip(SKIP_2) | instid1(VALU_DEP_1)
	v_rcp_f64_e32 v[234:235], v[232:233]
	s_waitcnt_depctr 0xfff
	v_fma_f64 v[236:237], -v[232:233], v[234:235], 1.0
	v_fma_f64 v[234:235], v[234:235], v[236:237], v[234:235]
	s_delay_alu instid0(VALU_DEP_1) | instskip(NEXT) | instid1(VALU_DEP_1)
	v_fma_f64 v[236:237], -v[232:233], v[234:235], 1.0
	v_fma_f64 v[234:235], v[234:235], v[236:237], v[234:235]
	v_div_scale_f64 v[236:237], vcc_lo, 1.0, v[126:127], 1.0
	s_delay_alu instid0(VALU_DEP_1) | instskip(NEXT) | instid1(VALU_DEP_1)
	v_mul_f64 v[238:239], v[236:237], v[234:235]
	v_fma_f64 v[232:233], -v[232:233], v[238:239], v[236:237]
	s_delay_alu instid0(VALU_DEP_1) | instskip(NEXT) | instid1(VALU_DEP_1)
	v_div_fmas_f64 v[232:233], v[232:233], v[234:235], v[238:239]
	v_div_fixup_f64 v[238:239], v[232:233], v[126:127], 1.0
                                        ; implicit-def: $vgpr232_vgpr233
	s_delay_alu instid0(VALU_DEP_1)
	v_mul_f64 v[124:125], v[124:125], v[238:239]
	v_xor_b32_e32 v239, 0x80000000, v239
.LBB61_248:
	s_and_not1_saveexec_b32 s3, s3
	s_cbranch_execz .LBB61_250
; %bb.249:
	v_div_scale_f64 v[124:125], null, v[232:233], v[232:233], v[234:235]
	v_div_scale_f64 v[238:239], vcc_lo, v[234:235], v[232:233], v[234:235]
	s_delay_alu instid0(VALU_DEP_2) | instskip(SKIP_2) | instid1(VALU_DEP_1)
	v_rcp_f64_e32 v[126:127], v[124:125]
	s_waitcnt_depctr 0xfff
	v_fma_f64 v[236:237], -v[124:125], v[126:127], 1.0
	v_fma_f64 v[126:127], v[126:127], v[236:237], v[126:127]
	s_delay_alu instid0(VALU_DEP_1) | instskip(NEXT) | instid1(VALU_DEP_1)
	v_fma_f64 v[236:237], -v[124:125], v[126:127], 1.0
	v_fma_f64 v[126:127], v[126:127], v[236:237], v[126:127]
	s_delay_alu instid0(VALU_DEP_1) | instskip(NEXT) | instid1(VALU_DEP_1)
	v_mul_f64 v[236:237], v[238:239], v[126:127]
	v_fma_f64 v[124:125], -v[124:125], v[236:237], v[238:239]
	s_delay_alu instid0(VALU_DEP_1) | instskip(NEXT) | instid1(VALU_DEP_1)
	v_div_fmas_f64 v[124:125], v[124:125], v[126:127], v[236:237]
	v_div_fixup_f64 v[126:127], v[124:125], v[232:233], v[234:235]
	s_delay_alu instid0(VALU_DEP_1) | instskip(NEXT) | instid1(VALU_DEP_1)
	v_fma_f64 v[124:125], v[234:235], v[126:127], v[232:233]
	v_div_scale_f64 v[232:233], null, v[124:125], v[124:125], 1.0
	s_delay_alu instid0(VALU_DEP_1) | instskip(SKIP_2) | instid1(VALU_DEP_1)
	v_rcp_f64_e32 v[234:235], v[232:233]
	s_waitcnt_depctr 0xfff
	v_fma_f64 v[236:237], -v[232:233], v[234:235], 1.0
	v_fma_f64 v[234:235], v[234:235], v[236:237], v[234:235]
	s_delay_alu instid0(VALU_DEP_1) | instskip(NEXT) | instid1(VALU_DEP_1)
	v_fma_f64 v[236:237], -v[232:233], v[234:235], 1.0
	v_fma_f64 v[234:235], v[234:235], v[236:237], v[234:235]
	v_div_scale_f64 v[236:237], vcc_lo, 1.0, v[124:125], 1.0
	s_delay_alu instid0(VALU_DEP_1) | instskip(NEXT) | instid1(VALU_DEP_1)
	v_mul_f64 v[238:239], v[236:237], v[234:235]
	v_fma_f64 v[232:233], -v[232:233], v[238:239], v[236:237]
	s_delay_alu instid0(VALU_DEP_1) | instskip(NEXT) | instid1(VALU_DEP_1)
	v_div_fmas_f64 v[232:233], v[232:233], v[234:235], v[238:239]
	v_div_fixup_f64 v[124:125], v[232:233], v[124:125], 1.0
	s_delay_alu instid0(VALU_DEP_1)
	v_mul_f64 v[238:239], v[126:127], -v[124:125]
.LBB61_250:
	s_or_b32 exec_lo, exec_lo, s3
	ds_store_2addr_b64 v249, v[124:125], v[238:239] offset1:1
.LBB61_251:
	s_or_b32 exec_lo, exec_lo, s4
	s_waitcnt lgkmcnt(0)
	s_barrier
	buffer_gl0_inv
	ds_load_2addr_b64 v[232:235], v249 offset1:1
	s_mov_b32 s3, exec_lo
	v_cmpx_lt_u32_e32 27, v248
	s_cbranch_execz .LBB61_253
; %bb.252:
	s_waitcnt lgkmcnt(0)
	v_mul_f64 v[124:125], v[232:233], v[14:15]
	v_mul_f64 v[14:15], v[234:235], v[14:15]
	s_delay_alu instid0(VALU_DEP_2) | instskip(SKIP_4) | instid1(VALU_DEP_1)
	v_fma_f64 v[236:237], v[234:235], v[12:13], v[124:125]
	ds_load_2addr_b64 v[124:127], v250 offset0:56 offset1:57
	v_fma_f64 v[12:13], v[232:233], v[12:13], -v[14:15]
	s_waitcnt lgkmcnt(0)
	v_mul_f64 v[14:15], v[126:127], v[236:237]
	v_fma_f64 v[14:15], v[124:125], v[12:13], -v[14:15]
	v_mul_f64 v[124:125], v[124:125], v[236:237]
	s_delay_alu instid0(VALU_DEP_2) | instskip(NEXT) | instid1(VALU_DEP_2)
	v_add_f64 v[8:9], v[8:9], -v[14:15]
	v_fma_f64 v[124:125], v[126:127], v[12:13], v[124:125]
	s_delay_alu instid0(VALU_DEP_1) | instskip(SKIP_3) | instid1(VALU_DEP_1)
	v_add_f64 v[10:11], v[10:11], -v[124:125]
	ds_load_2addr_b64 v[124:127], v250 offset0:58 offset1:59
	s_waitcnt lgkmcnt(0)
	v_mul_f64 v[14:15], v[126:127], v[236:237]
	v_fma_f64 v[14:15], v[124:125], v[12:13], -v[14:15]
	v_mul_f64 v[124:125], v[124:125], v[236:237]
	s_delay_alu instid0(VALU_DEP_2) | instskip(NEXT) | instid1(VALU_DEP_2)
	v_add_f64 v[4:5], v[4:5], -v[14:15]
	v_fma_f64 v[124:125], v[126:127], v[12:13], v[124:125]
	s_delay_alu instid0(VALU_DEP_1) | instskip(SKIP_3) | instid1(VALU_DEP_1)
	v_add_f64 v[6:7], v[6:7], -v[124:125]
	ds_load_2addr_b64 v[124:127], v250 offset0:60 offset1:61
	s_waitcnt lgkmcnt(0)
	v_mul_f64 v[14:15], v[126:127], v[236:237]
	v_fma_f64 v[14:15], v[124:125], v[12:13], -v[14:15]
	v_mul_f64 v[124:125], v[124:125], v[236:237]
	s_delay_alu instid0(VALU_DEP_2) | instskip(NEXT) | instid1(VALU_DEP_2)
	v_add_f64 v[0:1], v[0:1], -v[14:15]
	v_fma_f64 v[124:125], v[126:127], v[12:13], v[124:125]
	v_dual_mov_b32 v14, v236 :: v_dual_mov_b32 v15, v237
	s_delay_alu instid0(VALU_DEP_2)
	v_add_f64 v[2:3], v[2:3], -v[124:125]
.LBB61_253:
	s_or_b32 exec_lo, exec_lo, s3
	s_delay_alu instid0(SALU_CYCLE_1)
	s_mov_b32 s4, exec_lo
	s_waitcnt lgkmcnt(0)
	s_barrier
	buffer_gl0_inv
	v_cmpx_eq_u32_e32 28, v248
	s_cbranch_execz .LBB61_260
; %bb.254:
	ds_store_2addr_b64 v249, v[8:9], v[10:11] offset1:1
	ds_store_2addr_b64 v250, v[4:5], v[6:7] offset0:58 offset1:59
	ds_store_2addr_b64 v250, v[0:1], v[2:3] offset0:60 offset1:61
	ds_load_2addr_b64 v[236:239], v249 offset1:1
	s_waitcnt lgkmcnt(0)
	v_cmp_neq_f64_e32 vcc_lo, 0, v[236:237]
	v_cmp_neq_f64_e64 s3, 0, v[238:239]
	s_delay_alu instid0(VALU_DEP_1) | instskip(NEXT) | instid1(SALU_CYCLE_1)
	s_or_b32 s3, vcc_lo, s3
	s_and_b32 exec_lo, exec_lo, s3
	s_cbranch_execz .LBB61_260
; %bb.255:
	v_cmp_gt_f64_e32 vcc_lo, 0, v[236:237]
	v_xor_b32_e32 v124, 0x80000000, v237
	v_xor_b32_e32 v126, 0x80000000, v239
	s_delay_alu instid0(VALU_DEP_2) | instskip(SKIP_2) | instid1(VALU_DEP_4)
	v_cndmask_b32_e32 v125, v237, v124, vcc_lo
	v_cndmask_b32_e32 v124, v236, v236, vcc_lo
	v_cmp_gt_f64_e32 vcc_lo, 0, v[238:239]
	v_cndmask_b32_e32 v127, v239, v126, vcc_lo
	v_cndmask_b32_e32 v126, v238, v238, vcc_lo
	s_delay_alu instid0(VALU_DEP_1) | instskip(SKIP_1) | instid1(SALU_CYCLE_1)
	v_cmp_ngt_f64_e32 vcc_lo, v[124:125], v[126:127]
                                        ; implicit-def: $vgpr124_vgpr125
	s_and_saveexec_b32 s3, vcc_lo
	s_xor_b32 s3, exec_lo, s3
                                        ; implicit-def: $vgpr240_vgpr241_vgpr242_vgpr243
	s_cbranch_execz .LBB61_257
; %bb.256:
	v_div_scale_f64 v[124:125], null, v[238:239], v[238:239], v[236:237]
	v_div_scale_f64 v[242:243], vcc_lo, v[236:237], v[238:239], v[236:237]
	s_delay_alu instid0(VALU_DEP_2) | instskip(SKIP_2) | instid1(VALU_DEP_1)
	v_rcp_f64_e32 v[126:127], v[124:125]
	s_waitcnt_depctr 0xfff
	v_fma_f64 v[240:241], -v[124:125], v[126:127], 1.0
	v_fma_f64 v[126:127], v[126:127], v[240:241], v[126:127]
	s_delay_alu instid0(VALU_DEP_1) | instskip(NEXT) | instid1(VALU_DEP_1)
	v_fma_f64 v[240:241], -v[124:125], v[126:127], 1.0
	v_fma_f64 v[126:127], v[126:127], v[240:241], v[126:127]
	s_delay_alu instid0(VALU_DEP_1) | instskip(NEXT) | instid1(VALU_DEP_1)
	v_mul_f64 v[240:241], v[242:243], v[126:127]
	v_fma_f64 v[124:125], -v[124:125], v[240:241], v[242:243]
	s_delay_alu instid0(VALU_DEP_1) | instskip(NEXT) | instid1(VALU_DEP_1)
	v_div_fmas_f64 v[124:125], v[124:125], v[126:127], v[240:241]
	v_div_fixup_f64 v[124:125], v[124:125], v[238:239], v[236:237]
	s_delay_alu instid0(VALU_DEP_1) | instskip(NEXT) | instid1(VALU_DEP_1)
	v_fma_f64 v[126:127], v[236:237], v[124:125], v[238:239]
	v_div_scale_f64 v[236:237], null, v[126:127], v[126:127], 1.0
	s_delay_alu instid0(VALU_DEP_1) | instskip(SKIP_2) | instid1(VALU_DEP_1)
	v_rcp_f64_e32 v[238:239], v[236:237]
	s_waitcnt_depctr 0xfff
	v_fma_f64 v[240:241], -v[236:237], v[238:239], 1.0
	v_fma_f64 v[238:239], v[238:239], v[240:241], v[238:239]
	s_delay_alu instid0(VALU_DEP_1) | instskip(NEXT) | instid1(VALU_DEP_1)
	v_fma_f64 v[240:241], -v[236:237], v[238:239], 1.0
	v_fma_f64 v[238:239], v[238:239], v[240:241], v[238:239]
	v_div_scale_f64 v[240:241], vcc_lo, 1.0, v[126:127], 1.0
	s_delay_alu instid0(VALU_DEP_1) | instskip(NEXT) | instid1(VALU_DEP_1)
	v_mul_f64 v[242:243], v[240:241], v[238:239]
	v_fma_f64 v[236:237], -v[236:237], v[242:243], v[240:241]
	s_delay_alu instid0(VALU_DEP_1) | instskip(NEXT) | instid1(VALU_DEP_1)
	v_div_fmas_f64 v[236:237], v[236:237], v[238:239], v[242:243]
	v_div_fixup_f64 v[242:243], v[236:237], v[126:127], 1.0
                                        ; implicit-def: $vgpr236_vgpr237
	s_delay_alu instid0(VALU_DEP_1)
	v_mul_f64 v[124:125], v[124:125], v[242:243]
	v_xor_b32_e32 v243, 0x80000000, v243
.LBB61_257:
	s_and_not1_saveexec_b32 s3, s3
	s_cbranch_execz .LBB61_259
; %bb.258:
	v_div_scale_f64 v[124:125], null, v[236:237], v[236:237], v[238:239]
	v_div_scale_f64 v[242:243], vcc_lo, v[238:239], v[236:237], v[238:239]
	s_delay_alu instid0(VALU_DEP_2) | instskip(SKIP_2) | instid1(VALU_DEP_1)
	v_rcp_f64_e32 v[126:127], v[124:125]
	s_waitcnt_depctr 0xfff
	v_fma_f64 v[240:241], -v[124:125], v[126:127], 1.0
	v_fma_f64 v[126:127], v[126:127], v[240:241], v[126:127]
	s_delay_alu instid0(VALU_DEP_1) | instskip(NEXT) | instid1(VALU_DEP_1)
	v_fma_f64 v[240:241], -v[124:125], v[126:127], 1.0
	v_fma_f64 v[126:127], v[126:127], v[240:241], v[126:127]
	s_delay_alu instid0(VALU_DEP_1) | instskip(NEXT) | instid1(VALU_DEP_1)
	v_mul_f64 v[240:241], v[242:243], v[126:127]
	v_fma_f64 v[124:125], -v[124:125], v[240:241], v[242:243]
	s_delay_alu instid0(VALU_DEP_1) | instskip(NEXT) | instid1(VALU_DEP_1)
	v_div_fmas_f64 v[124:125], v[124:125], v[126:127], v[240:241]
	v_div_fixup_f64 v[126:127], v[124:125], v[236:237], v[238:239]
	s_delay_alu instid0(VALU_DEP_1) | instskip(NEXT) | instid1(VALU_DEP_1)
	v_fma_f64 v[124:125], v[238:239], v[126:127], v[236:237]
	v_div_scale_f64 v[236:237], null, v[124:125], v[124:125], 1.0
	s_delay_alu instid0(VALU_DEP_1) | instskip(SKIP_2) | instid1(VALU_DEP_1)
	v_rcp_f64_e32 v[238:239], v[236:237]
	s_waitcnt_depctr 0xfff
	v_fma_f64 v[240:241], -v[236:237], v[238:239], 1.0
	v_fma_f64 v[238:239], v[238:239], v[240:241], v[238:239]
	s_delay_alu instid0(VALU_DEP_1) | instskip(NEXT) | instid1(VALU_DEP_1)
	v_fma_f64 v[240:241], -v[236:237], v[238:239], 1.0
	v_fma_f64 v[238:239], v[238:239], v[240:241], v[238:239]
	v_div_scale_f64 v[240:241], vcc_lo, 1.0, v[124:125], 1.0
	s_delay_alu instid0(VALU_DEP_1) | instskip(NEXT) | instid1(VALU_DEP_1)
	v_mul_f64 v[242:243], v[240:241], v[238:239]
	v_fma_f64 v[236:237], -v[236:237], v[242:243], v[240:241]
	s_delay_alu instid0(VALU_DEP_1) | instskip(NEXT) | instid1(VALU_DEP_1)
	v_div_fmas_f64 v[236:237], v[236:237], v[238:239], v[242:243]
	v_div_fixup_f64 v[124:125], v[236:237], v[124:125], 1.0
	s_delay_alu instid0(VALU_DEP_1)
	v_mul_f64 v[242:243], v[126:127], -v[124:125]
.LBB61_259:
	s_or_b32 exec_lo, exec_lo, s3
	ds_store_2addr_b64 v249, v[124:125], v[242:243] offset1:1
.LBB61_260:
	s_or_b32 exec_lo, exec_lo, s4
	s_waitcnt lgkmcnt(0)
	s_barrier
	buffer_gl0_inv
	ds_load_2addr_b64 v[236:239], v249 offset1:1
	s_mov_b32 s3, exec_lo
	v_cmpx_lt_u32_e32 28, v248
	s_cbranch_execz .LBB61_262
; %bb.261:
	s_waitcnt lgkmcnt(0)
	v_mul_f64 v[124:125], v[236:237], v[10:11]
	v_mul_f64 v[10:11], v[238:239], v[10:11]
	s_delay_alu instid0(VALU_DEP_2) | instskip(SKIP_4) | instid1(VALU_DEP_1)
	v_fma_f64 v[240:241], v[238:239], v[8:9], v[124:125]
	ds_load_2addr_b64 v[124:127], v250 offset0:58 offset1:59
	v_fma_f64 v[8:9], v[236:237], v[8:9], -v[10:11]
	s_waitcnt lgkmcnt(0)
	v_mul_f64 v[10:11], v[126:127], v[240:241]
	v_fma_f64 v[10:11], v[124:125], v[8:9], -v[10:11]
	v_mul_f64 v[124:125], v[124:125], v[240:241]
	s_delay_alu instid0(VALU_DEP_2) | instskip(NEXT) | instid1(VALU_DEP_2)
	v_add_f64 v[4:5], v[4:5], -v[10:11]
	v_fma_f64 v[124:125], v[126:127], v[8:9], v[124:125]
	s_delay_alu instid0(VALU_DEP_1) | instskip(SKIP_3) | instid1(VALU_DEP_1)
	v_add_f64 v[6:7], v[6:7], -v[124:125]
	ds_load_2addr_b64 v[124:127], v250 offset0:60 offset1:61
	s_waitcnt lgkmcnt(0)
	v_mul_f64 v[10:11], v[126:127], v[240:241]
	v_fma_f64 v[10:11], v[124:125], v[8:9], -v[10:11]
	v_mul_f64 v[124:125], v[124:125], v[240:241]
	s_delay_alu instid0(VALU_DEP_2) | instskip(NEXT) | instid1(VALU_DEP_2)
	v_add_f64 v[0:1], v[0:1], -v[10:11]
	v_fma_f64 v[124:125], v[126:127], v[8:9], v[124:125]
	v_dual_mov_b32 v10, v240 :: v_dual_mov_b32 v11, v241
	s_delay_alu instid0(VALU_DEP_2)
	v_add_f64 v[2:3], v[2:3], -v[124:125]
.LBB61_262:
	s_or_b32 exec_lo, exec_lo, s3
	s_delay_alu instid0(SALU_CYCLE_1)
	s_mov_b32 s4, exec_lo
	s_waitcnt lgkmcnt(0)
	s_barrier
	buffer_gl0_inv
	v_cmpx_eq_u32_e32 29, v248
	s_cbranch_execz .LBB61_269
; %bb.263:
	ds_store_2addr_b64 v249, v[4:5], v[6:7] offset1:1
	ds_store_2addr_b64 v250, v[0:1], v[2:3] offset0:60 offset1:61
	ds_load_2addr_b64 v[240:243], v249 offset1:1
	s_waitcnt lgkmcnt(0)
	v_cmp_neq_f64_e32 vcc_lo, 0, v[240:241]
	v_cmp_neq_f64_e64 s3, 0, v[242:243]
	s_delay_alu instid0(VALU_DEP_1) | instskip(NEXT) | instid1(SALU_CYCLE_1)
	s_or_b32 s3, vcc_lo, s3
	s_and_b32 exec_lo, exec_lo, s3
	s_cbranch_execz .LBB61_269
; %bb.264:
	v_cmp_gt_f64_e32 vcc_lo, 0, v[240:241]
	v_xor_b32_e32 v124, 0x80000000, v241
	v_xor_b32_e32 v126, 0x80000000, v243
	s_delay_alu instid0(VALU_DEP_2) | instskip(SKIP_2) | instid1(VALU_DEP_4)
	v_cndmask_b32_e32 v125, v241, v124, vcc_lo
	v_cndmask_b32_e32 v124, v240, v240, vcc_lo
	v_cmp_gt_f64_e32 vcc_lo, 0, v[242:243]
	v_cndmask_b32_e32 v127, v243, v126, vcc_lo
	v_cndmask_b32_e32 v126, v242, v242, vcc_lo
	s_delay_alu instid0(VALU_DEP_1) | instskip(SKIP_1) | instid1(SALU_CYCLE_1)
	v_cmp_ngt_f64_e32 vcc_lo, v[124:125], v[126:127]
                                        ; implicit-def: $vgpr124_vgpr125
	s_and_saveexec_b32 s3, vcc_lo
	s_xor_b32 s3, exec_lo, s3
                                        ; implicit-def: $vgpr244_vgpr245_vgpr246_vgpr247
	s_cbranch_execz .LBB61_266
; %bb.265:
	v_div_scale_f64 v[124:125], null, v[242:243], v[242:243], v[240:241]
	v_div_scale_f64 v[246:247], vcc_lo, v[240:241], v[242:243], v[240:241]
	s_delay_alu instid0(VALU_DEP_2) | instskip(SKIP_2) | instid1(VALU_DEP_1)
	v_rcp_f64_e32 v[126:127], v[124:125]
	s_waitcnt_depctr 0xfff
	v_fma_f64 v[244:245], -v[124:125], v[126:127], 1.0
	v_fma_f64 v[126:127], v[126:127], v[244:245], v[126:127]
	s_delay_alu instid0(VALU_DEP_1) | instskip(NEXT) | instid1(VALU_DEP_1)
	v_fma_f64 v[244:245], -v[124:125], v[126:127], 1.0
	v_fma_f64 v[126:127], v[126:127], v[244:245], v[126:127]
	s_delay_alu instid0(VALU_DEP_1) | instskip(NEXT) | instid1(VALU_DEP_1)
	v_mul_f64 v[244:245], v[246:247], v[126:127]
	v_fma_f64 v[124:125], -v[124:125], v[244:245], v[246:247]
	s_delay_alu instid0(VALU_DEP_1) | instskip(NEXT) | instid1(VALU_DEP_1)
	v_div_fmas_f64 v[124:125], v[124:125], v[126:127], v[244:245]
	v_div_fixup_f64 v[124:125], v[124:125], v[242:243], v[240:241]
	s_delay_alu instid0(VALU_DEP_1) | instskip(NEXT) | instid1(VALU_DEP_1)
	v_fma_f64 v[126:127], v[240:241], v[124:125], v[242:243]
	v_div_scale_f64 v[240:241], null, v[126:127], v[126:127], 1.0
	s_delay_alu instid0(VALU_DEP_1) | instskip(SKIP_2) | instid1(VALU_DEP_1)
	v_rcp_f64_e32 v[242:243], v[240:241]
	s_waitcnt_depctr 0xfff
	v_fma_f64 v[244:245], -v[240:241], v[242:243], 1.0
	v_fma_f64 v[242:243], v[242:243], v[244:245], v[242:243]
	s_delay_alu instid0(VALU_DEP_1) | instskip(NEXT) | instid1(VALU_DEP_1)
	v_fma_f64 v[244:245], -v[240:241], v[242:243], 1.0
	v_fma_f64 v[242:243], v[242:243], v[244:245], v[242:243]
	v_div_scale_f64 v[244:245], vcc_lo, 1.0, v[126:127], 1.0
	s_delay_alu instid0(VALU_DEP_1) | instskip(NEXT) | instid1(VALU_DEP_1)
	v_mul_f64 v[246:247], v[244:245], v[242:243]
	v_fma_f64 v[240:241], -v[240:241], v[246:247], v[244:245]
	s_delay_alu instid0(VALU_DEP_1) | instskip(NEXT) | instid1(VALU_DEP_1)
	v_div_fmas_f64 v[240:241], v[240:241], v[242:243], v[246:247]
	v_div_fixup_f64 v[246:247], v[240:241], v[126:127], 1.0
                                        ; implicit-def: $vgpr240_vgpr241
	s_delay_alu instid0(VALU_DEP_1)
	v_mul_f64 v[124:125], v[124:125], v[246:247]
	v_xor_b32_e32 v247, 0x80000000, v247
.LBB61_266:
	s_and_not1_saveexec_b32 s3, s3
	s_cbranch_execz .LBB61_268
; %bb.267:
	v_div_scale_f64 v[124:125], null, v[240:241], v[240:241], v[242:243]
	v_div_scale_f64 v[246:247], vcc_lo, v[242:243], v[240:241], v[242:243]
	s_delay_alu instid0(VALU_DEP_2) | instskip(SKIP_2) | instid1(VALU_DEP_1)
	v_rcp_f64_e32 v[126:127], v[124:125]
	s_waitcnt_depctr 0xfff
	v_fma_f64 v[244:245], -v[124:125], v[126:127], 1.0
	v_fma_f64 v[126:127], v[126:127], v[244:245], v[126:127]
	s_delay_alu instid0(VALU_DEP_1) | instskip(NEXT) | instid1(VALU_DEP_1)
	v_fma_f64 v[244:245], -v[124:125], v[126:127], 1.0
	v_fma_f64 v[126:127], v[126:127], v[244:245], v[126:127]
	s_delay_alu instid0(VALU_DEP_1) | instskip(NEXT) | instid1(VALU_DEP_1)
	v_mul_f64 v[244:245], v[246:247], v[126:127]
	v_fma_f64 v[124:125], -v[124:125], v[244:245], v[246:247]
	s_delay_alu instid0(VALU_DEP_1) | instskip(NEXT) | instid1(VALU_DEP_1)
	v_div_fmas_f64 v[124:125], v[124:125], v[126:127], v[244:245]
	v_div_fixup_f64 v[126:127], v[124:125], v[240:241], v[242:243]
	s_delay_alu instid0(VALU_DEP_1) | instskip(NEXT) | instid1(VALU_DEP_1)
	v_fma_f64 v[124:125], v[242:243], v[126:127], v[240:241]
	v_div_scale_f64 v[240:241], null, v[124:125], v[124:125], 1.0
	s_delay_alu instid0(VALU_DEP_1) | instskip(SKIP_2) | instid1(VALU_DEP_1)
	v_rcp_f64_e32 v[242:243], v[240:241]
	s_waitcnt_depctr 0xfff
	v_fma_f64 v[244:245], -v[240:241], v[242:243], 1.0
	v_fma_f64 v[242:243], v[242:243], v[244:245], v[242:243]
	s_delay_alu instid0(VALU_DEP_1) | instskip(NEXT) | instid1(VALU_DEP_1)
	v_fma_f64 v[244:245], -v[240:241], v[242:243], 1.0
	v_fma_f64 v[242:243], v[242:243], v[244:245], v[242:243]
	v_div_scale_f64 v[244:245], vcc_lo, 1.0, v[124:125], 1.0
	s_delay_alu instid0(VALU_DEP_1) | instskip(NEXT) | instid1(VALU_DEP_1)
	v_mul_f64 v[246:247], v[244:245], v[242:243]
	v_fma_f64 v[240:241], -v[240:241], v[246:247], v[244:245]
	s_delay_alu instid0(VALU_DEP_1) | instskip(NEXT) | instid1(VALU_DEP_1)
	v_div_fmas_f64 v[240:241], v[240:241], v[242:243], v[246:247]
	v_div_fixup_f64 v[124:125], v[240:241], v[124:125], 1.0
	s_delay_alu instid0(VALU_DEP_1)
	v_mul_f64 v[246:247], v[126:127], -v[124:125]
.LBB61_268:
	s_or_b32 exec_lo, exec_lo, s3
	ds_store_2addr_b64 v249, v[124:125], v[246:247] offset1:1
.LBB61_269:
	s_or_b32 exec_lo, exec_lo, s4
	s_waitcnt lgkmcnt(0)
	s_barrier
	buffer_gl0_inv
	ds_load_2addr_b64 v[240:243], v249 offset1:1
	s_mov_b32 s3, exec_lo
	v_cmpx_lt_u32_e32 29, v248
	s_cbranch_execz .LBB61_271
; %bb.270:
	s_waitcnt lgkmcnt(0)
	v_mul_f64 v[124:125], v[240:241], v[6:7]
	v_mul_f64 v[6:7], v[242:243], v[6:7]
	s_delay_alu instid0(VALU_DEP_2) | instskip(SKIP_4) | instid1(VALU_DEP_1)
	v_fma_f64 v[244:245], v[242:243], v[4:5], v[124:125]
	ds_load_2addr_b64 v[124:127], v250 offset0:60 offset1:61
	v_fma_f64 v[4:5], v[240:241], v[4:5], -v[6:7]
	s_waitcnt lgkmcnt(0)
	v_mul_f64 v[6:7], v[126:127], v[244:245]
	v_fma_f64 v[6:7], v[124:125], v[4:5], -v[6:7]
	v_mul_f64 v[124:125], v[124:125], v[244:245]
	s_delay_alu instid0(VALU_DEP_2) | instskip(NEXT) | instid1(VALU_DEP_2)
	v_add_f64 v[0:1], v[0:1], -v[6:7]
	v_fma_f64 v[124:125], v[126:127], v[4:5], v[124:125]
	v_dual_mov_b32 v6, v244 :: v_dual_mov_b32 v7, v245
	s_delay_alu instid0(VALU_DEP_2)
	v_add_f64 v[2:3], v[2:3], -v[124:125]
.LBB61_271:
	s_or_b32 exec_lo, exec_lo, s3
	s_delay_alu instid0(SALU_CYCLE_1)
	s_mov_b32 s4, exec_lo
	s_waitcnt lgkmcnt(0)
	s_barrier
	buffer_gl0_inv
	v_cmpx_eq_u32_e32 30, v248
	s_cbranch_execz .LBB61_278
; %bb.272:
	v_cmp_neq_f64_e32 vcc_lo, 0, v[0:1]
	v_cmp_neq_f64_e64 s3, 0, v[2:3]
	ds_store_2addr_b64 v249, v[0:1], v[2:3] offset1:1
	s_or_b32 s3, vcc_lo, s3
	s_delay_alu instid0(SALU_CYCLE_1)
	s_and_b32 exec_lo, exec_lo, s3
	s_cbranch_execz .LBB61_278
; %bb.273:
	v_cmp_gt_f64_e32 vcc_lo, 0, v[0:1]
	v_xor_b32_e32 v124, 0x80000000, v1
	v_xor_b32_e32 v126, 0x80000000, v3
	s_delay_alu instid0(VALU_DEP_2) | instskip(SKIP_2) | instid1(VALU_DEP_4)
	v_cndmask_b32_e32 v125, v1, v124, vcc_lo
	v_cndmask_b32_e32 v124, v0, v0, vcc_lo
	v_cmp_gt_f64_e32 vcc_lo, 0, v[2:3]
	v_cndmask_b32_e32 v127, v3, v126, vcc_lo
	v_cndmask_b32_e32 v126, v2, v2, vcc_lo
	s_delay_alu instid0(VALU_DEP_1) | instskip(SKIP_1) | instid1(SALU_CYCLE_1)
	v_cmp_ngt_f64_e32 vcc_lo, v[124:125], v[126:127]
                                        ; implicit-def: $vgpr124_vgpr125
	s_and_saveexec_b32 s3, vcc_lo
	s_xor_b32 s3, exec_lo, s3
                                        ; implicit-def: $vgpr244_vgpr245_vgpr246_vgpr247
	s_cbranch_execz .LBB61_275
; %bb.274:
	v_div_scale_f64 v[124:125], null, v[2:3], v[2:3], v[0:1]
	v_div_scale_f64 v[246:247], vcc_lo, v[0:1], v[2:3], v[0:1]
	v_dual_mov_b32 v120, v119 :: v_dual_mov_b32 v121, v249
	v_mov_b32_e32 v119, v118
	v_mov_b32_e32 v118, v117
	;; [unrolled: 1-line block ×4, first 2 shown]
	v_dual_mov_b32 v248, v251 :: v_dual_mov_b32 v249, v252
	v_dual_mov_b32 v255, v219 :: v_dual_mov_b32 v254, v218
	;; [unrolled: 1-line block ×14, first 2 shown]
	v_rcp_f64_e32 v[126:127], v[124:125]
	v_dual_mov_b32 v197, v193 :: v_dual_mov_b32 v196, v192
	v_dual_mov_b32 v195, v191 :: v_dual_mov_b32 v194, v190
	;; [unrolled: 1-line block ×17, first 2 shown]
	s_delay_alu instid0(VALU_DEP_3) | instskip(SKIP_2) | instid1(TRANS32_DEP_1)
	v_dual_mov_b32 v164, v168 :: v_dual_mov_b32 v165, v169
	v_dual_mov_b32 v166, v170 :: v_dual_mov_b32 v167, v171
	;; [unrolled: 1-line block ×3, first 2 shown]
	v_fma_f64 v[244:245], -v[124:125], v[126:127], 1.0
	v_dual_mov_b32 v170, v174 :: v_dual_mov_b32 v171, v175
	v_dual_mov_b32 v172, v176 :: v_dual_mov_b32 v173, v177
	;; [unrolled: 1-line block ×19, first 2 shown]
	v_fma_f64 v[126:127], v[126:127], v[244:245], v[126:127]
	v_dual_mov_b32 v204, v208 :: v_dual_mov_b32 v205, v209
	v_dual_mov_b32 v206, v210 :: v_dual_mov_b32 v207, v211
	v_dual_mov_b32 v208, v212 :: v_dual_mov_b32 v209, v213
	v_dual_mov_b32 v210, v214 :: v_dual_mov_b32 v211, v215
	v_dual_mov_b32 v212, v216 :: v_dual_mov_b32 v213, v217
	v_dual_mov_b32 v144, v148 :: v_dual_mov_b32 v145, v149
	v_dual_mov_b32 v214, v218 :: v_dual_mov_b32 v215, v219
	v_dual_mov_b32 v216, v252 :: v_dual_mov_b32 v217, v253
	v_dual_mov_b32 v146, v150 :: v_dual_mov_b32 v147, v151
	v_dual_mov_b32 v148, v152 :: v_dual_mov_b32 v149, v153
	v_dual_mov_b32 v218, v254 :: v_dual_mov_b32 v219, v255
	v_dual_mov_b32 v150, v154 :: v_dual_mov_b32 v151, v155
	v_fma_f64 v[244:245], -v[124:125], v[126:127], 1.0
	s_delay_alu instid0(VALU_DEP_1) | instskip(NEXT) | instid1(VALU_DEP_1)
	v_fma_f64 v[126:127], v[126:127], v[244:245], v[126:127]
	v_mul_f64 v[244:245], v[246:247], v[126:127]
	s_delay_alu instid0(VALU_DEP_1) | instskip(NEXT) | instid1(VALU_DEP_1)
	v_fma_f64 v[124:125], -v[124:125], v[244:245], v[246:247]
	v_div_fmas_f64 v[124:125], v[124:125], v[126:127], v[244:245]
	s_delay_alu instid0(VALU_DEP_1) | instskip(NEXT) | instid1(VALU_DEP_1)
	v_div_fixup_f64 v[124:125], v[124:125], v[2:3], v[0:1]
	v_fma_f64 v[126:127], v[0:1], v[124:125], v[2:3]
	s_delay_alu instid0(VALU_DEP_1) | instskip(NEXT) | instid1(VALU_DEP_1)
	v_div_scale_f64 v[244:245], null, v[126:127], v[126:127], 1.0
	v_rcp_f64_e32 v[246:247], v[244:245]
	s_waitcnt_depctr 0xfff
	v_fma_f64 v[250:251], -v[244:245], v[246:247], 1.0
	s_delay_alu instid0(VALU_DEP_1) | instskip(NEXT) | instid1(VALU_DEP_1)
	v_fma_f64 v[246:247], v[246:247], v[250:251], v[246:247]
	v_fma_f64 v[250:251], -v[244:245], v[246:247], 1.0
	s_delay_alu instid0(VALU_DEP_1) | instskip(SKIP_1) | instid1(VALU_DEP_1)
	v_fma_f64 v[246:247], v[246:247], v[250:251], v[246:247]
	v_div_scale_f64 v[250:251], vcc_lo, 1.0, v[126:127], 1.0
	v_mul_f64 v[128:129], v[250:251], v[246:247]
	s_delay_alu instid0(VALU_DEP_1)
	v_fma_f64 v[130:131], -v[244:245], v[128:129], v[250:251]
	v_dual_mov_b32 v252, v249 :: v_dual_mov_b32 v251, v248
	v_dual_mov_b32 v249, v121 :: v_dual_mov_b32 v248, v116
	v_mov_b32_e32 v116, v117
	v_mov_b32_e32 v117, v118
	;; [unrolled: 1-line block ×4, first 2 shown]
	v_div_fmas_f64 v[128:129], v[130:131], v[246:247], v[128:129]
	s_delay_alu instid0(VALU_DEP_1) | instskip(NEXT) | instid1(VALU_DEP_1)
	v_div_fixup_f64 v[246:247], v[128:129], v[126:127], 1.0
	v_mul_f64 v[124:125], v[124:125], v[246:247]
	v_xor_b32_e32 v247, 0x80000000, v247
.LBB61_275:
	s_and_not1_saveexec_b32 s3, s3
	s_cbranch_execz .LBB61_277
; %bb.276:
	v_div_scale_f64 v[124:125], null, v[0:1], v[0:1], v[2:3]
	v_div_scale_f64 v[130:131], vcc_lo, v[2:3], v[0:1], v[2:3]
	v_dual_mov_b32 v120, v172 :: v_dual_mov_b32 v121, v173
	v_dual_mov_b32 v122, v174 :: v_dual_mov_b32 v123, v175
	v_mov_b32_e32 v173, v171
	v_dual_mov_b32 v172, v170 :: v_dual_mov_b32 v171, v169
	v_dual_mov_b32 v170, v168 :: v_dual_mov_b32 v169, v167
	;; [unrolled: 1-line block ×8, first 2 shown]
	v_mov_b32_e32 v154, v150
	v_dual_mov_b32 v158, v156 :: v_dual_mov_b32 v153, v149
	v_dual_mov_b32 v151, v147 :: v_dual_mov_b32 v150, v146
	;; [unrolled: 1-line block ×3, first 2 shown]
	s_delay_alu instid0(VALU_DEP_3)
	v_mov_b32_e32 v156, v158
	v_dual_mov_b32 v157, v159 :: v_dual_mov_b32 v158, v160
	v_dual_mov_b32 v159, v161 :: v_dual_mov_b32 v160, v162
	v_mov_b32_e32 v161, v163
	v_rcp_f64_e32 v[126:127], v[124:125]
	v_mov_b32_e32 v162, v164
	v_dual_mov_b32 v163, v165 :: v_dual_mov_b32 v164, v166
	v_dual_mov_b32 v144, v148 :: v_dual_mov_b32 v145, v149
	;; [unrolled: 1-line block ×7, first 2 shown]
	v_mov_b32_e32 v171, v173
	v_dual_mov_b32 v175, v123 :: v_dual_mov_b32 v174, v122
	v_dual_mov_b32 v150, v154 :: v_dual_mov_b32 v151, v155
	;; [unrolled: 1-line block ×3, first 2 shown]
	s_delay_alu instid0(TRANS32_DEP_1) | instskip(NEXT) | instid1(VALU_DEP_1)
	v_fma_f64 v[128:129], -v[124:125], v[126:127], 1.0
	v_fma_f64 v[126:127], v[126:127], v[128:129], v[126:127]
	s_delay_alu instid0(VALU_DEP_1) | instskip(NEXT) | instid1(VALU_DEP_1)
	v_fma_f64 v[128:129], -v[124:125], v[126:127], 1.0
	v_fma_f64 v[126:127], v[126:127], v[128:129], v[126:127]
	s_delay_alu instid0(VALU_DEP_1) | instskip(NEXT) | instid1(VALU_DEP_1)
	v_mul_f64 v[128:129], v[130:131], v[126:127]
	v_fma_f64 v[124:125], -v[124:125], v[128:129], v[130:131]
	s_delay_alu instid0(VALU_DEP_1) | instskip(NEXT) | instid1(VALU_DEP_1)
	v_div_fmas_f64 v[124:125], v[124:125], v[126:127], v[128:129]
	v_div_fixup_f64 v[126:127], v[124:125], v[0:1], v[2:3]
	s_delay_alu instid0(VALU_DEP_1) | instskip(NEXT) | instid1(VALU_DEP_1)
	v_fma_f64 v[124:125], v[2:3], v[126:127], v[0:1]
	v_div_scale_f64 v[128:129], null, v[124:125], v[124:125], 1.0
	s_delay_alu instid0(VALU_DEP_1) | instskip(SKIP_2) | instid1(VALU_DEP_1)
	v_rcp_f64_e32 v[130:131], v[128:129]
	s_waitcnt_depctr 0xfff
	v_fma_f64 v[244:245], -v[128:129], v[130:131], 1.0
	v_fma_f64 v[130:131], v[130:131], v[244:245], v[130:131]
	s_delay_alu instid0(VALU_DEP_1) | instskip(NEXT) | instid1(VALU_DEP_1)
	v_fma_f64 v[244:245], -v[128:129], v[130:131], 1.0
	v_fma_f64 v[130:131], v[130:131], v[244:245], v[130:131]
	v_div_scale_f64 v[244:245], vcc_lo, 1.0, v[124:125], 1.0
	s_delay_alu instid0(VALU_DEP_1) | instskip(NEXT) | instid1(VALU_DEP_1)
	v_mul_f64 v[246:247], v[244:245], v[130:131]
	v_fma_f64 v[128:129], -v[128:129], v[246:247], v[244:245]
	s_delay_alu instid0(VALU_DEP_1) | instskip(NEXT) | instid1(VALU_DEP_1)
	v_div_fmas_f64 v[128:129], v[128:129], v[130:131], v[246:247]
	v_div_fixup_f64 v[124:125], v[128:129], v[124:125], 1.0
	s_delay_alu instid0(VALU_DEP_1)
	v_mul_f64 v[246:247], v[126:127], -v[124:125]
.LBB61_277:
	s_or_b32 exec_lo, exec_lo, s3
	ds_store_2addr_b64 v249, v[124:125], v[246:247] offset1:1
.LBB61_278:
	s_or_b32 exec_lo, exec_lo, s4
	s_waitcnt lgkmcnt(0)
	s_barrier
	buffer_gl0_inv
	ds_load_2addr_b64 v[244:247], v249 offset1:1
	s_mov_b32 s3, exec_lo
	v_cmpx_lt_u32_e32 30, v248
	s_cbranch_execz .LBB61_280
; %bb.279:
	s_waitcnt lgkmcnt(0)
	v_mul_f64 v[124:125], v[246:247], v[2:3]
	v_mul_f64 v[2:3], v[244:245], v[2:3]
	s_delay_alu instid0(VALU_DEP_2) | instskip(NEXT) | instid1(VALU_DEP_2)
	v_fma_f64 v[124:125], v[244:245], v[0:1], -v[124:125]
	v_fma_f64 v[2:3], v[246:247], v[0:1], v[2:3]
	s_delay_alu instid0(VALU_DEP_2)
	v_dual_mov_b32 v0, v124 :: v_dual_mov_b32 v1, v125
.LBB61_280:
	s_or_b32 exec_lo, exec_lo, s3
	v_dual_mov_b32 v131, v119 :: v_dual_mov_b32 v130, v118
	v_dual_mov_b32 v129, v117 :: v_dual_mov_b32 v128, v116
	s_waitcnt lgkmcnt(0)
	s_barrier
	buffer_gl0_inv
	s_and_saveexec_b32 s10, s2
	s_cbranch_execz .LBB61_283
; %bb.281:
	s_clause 0x1
	scratch_load_b128 v[124:127], off, off offset:256
	scratch_load_b128 v[116:119], off, off offset:280
	s_load_b64 s[12:13], s[0:1], 0x28
	v_cmp_eq_f64_e64 s1, 0, v[136:137]
	v_cmp_eq_f64_e64 s8, 0, v[138:139]
	v_cmp_eq_f64_e32 vcc_lo, 0, v[140:141]
	v_cmp_eq_f64_e64 s0, 0, v[142:143]
	s_delay_alu instid0(VALU_DEP_3) | instskip(NEXT) | instid1(VALU_DEP_1)
	s_and_b32 s1, s1, s8
	s_and_b32 s0, vcc_lo, s0
	v_cmp_eq_f64_e32 vcc_lo, 0, v[156:157]
	s_waitcnt vmcnt(1)
	v_cmp_eq_f64_e64 s2, 0, v[124:125]
	s_waitcnt vmcnt(0)
	v_cmp_neq_f64_e64 s4, 0, v[116:117]
	v_cmp_neq_f64_e64 s5, 0, v[118:119]
	scratch_load_b128 v[116:119], off, off offset:296 ; 16-byte Folded Reload
	v_cmp_eq_f64_e64 s3, 0, v[126:127]
	v_lshlrev_b64 v[124:125], 2, v[251:252]
	s_or_b32 s4, s4, s5
	s_delay_alu instid0(VALU_DEP_2) | instskip(SKIP_1) | instid1(VALU_DEP_1)
	s_and_b32 s3, s2, s3
	s_waitcnt lgkmcnt(0)
	v_add_co_u32 v124, s2, s12, v124
	v_cndmask_b32_e64 v126, 0, 1, s3
	v_add_co_ci_u32_e64 v125, s2, s13, v125, s2
	s_or_b32 s2, s4, s3
	v_cmp_eq_f64_e64 s3, 0, v[146:147]
	s_delay_alu instid0(VALU_DEP_3)
	v_cndmask_b32_e64 v127, 2, v126, s2
	v_cmp_eq_f64_e64 s2, 0, v[144:145]
	global_load_b32 v126, v[124:125], off
	v_cmp_eq_u32_e64 s4, 0, v127
	s_and_b32 s2, s2, s3
	v_cmp_eq_f64_e64 s3, 0, v[162:163]
	s_waitcnt vmcnt(1)
	v_cmp_eq_f64_e64 s6, 0, v[116:117]
	v_cmp_eq_f64_e64 s7, 0, v[118:119]
	s_delay_alu instid0(VALU_DEP_1) | instskip(NEXT) | instid1(SALU_CYCLE_1)
	s_and_b32 s5, s6, s7
	s_and_b32 s4, s5, s4
	v_cmp_eq_f64_e64 s5, 0, v[150:151]
	v_cndmask_b32_e64 v127, v127, 3, s4
	v_cmp_eq_f64_e64 s4, 0, v[148:149]
	s_delay_alu instid0(VALU_DEP_2) | instskip(NEXT) | instid1(VALU_DEP_1)
	v_cmp_eq_u32_e64 s6, 0, v127
	s_and_b32 s1, s1, s6
	v_cmp_eq_f64_e64 s6, 0, v[134:135]
	v_cndmask_b32_e64 v127, v127, 4, s1
	v_cmp_eq_f64_e64 s1, 0, v[132:133]
	s_delay_alu instid0(VALU_DEP_2) | instskip(NEXT) | instid1(VALU_DEP_1)
	v_cmp_eq_u32_e64 s7, 0, v127
	s_and_b32 s0, s0, s7
	s_delay_alu instid0(SALU_CYCLE_1) | instskip(SKIP_1) | instid1(VALU_DEP_2)
	v_cndmask_b32_e64 v127, v127, 5, s0
	v_cmp_eq_f64_e64 s0, 0, v[158:159]
	v_cmp_eq_u32_e64 s7, 0, v127
	s_delay_alu instid0(VALU_DEP_1) | instskip(NEXT) | instid1(SALU_CYCLE_1)
	s_and_b32 s2, s2, s7
	v_cndmask_b32_e64 v127, v127, 6, s2
	v_cmp_eq_f64_e64 s2, 0, v[160:161]
	s_and_b32 s4, s4, s5
	v_cmp_eq_f64_e64 s5, 0, v[166:167]
	s_delay_alu instid0(VALU_DEP_3) | instskip(NEXT) | instid1(VALU_DEP_1)
	v_cmp_eq_u32_e64 s7, 0, v127
	s_and_b32 s4, s4, s7
	s_delay_alu instid0(SALU_CYCLE_1) | instskip(SKIP_3) | instid1(VALU_DEP_3)
	v_cndmask_b32_e64 v127, v127, 7, s4
	v_cmp_eq_f64_e64 s4, 0, v[164:165]
	s_and_b32 s1, s1, s6
	v_cmp_eq_f64_e64 s6, 0, v[170:171]
	v_cmp_eq_u32_e64 s7, 0, v127
	s_delay_alu instid0(VALU_DEP_1) | instskip(NEXT) | instid1(SALU_CYCLE_1)
	s_and_b32 s1, s1, s7
	v_cndmask_b32_e64 v127, v127, 8, s1
	v_cmp_eq_f64_e64 s1, 0, v[168:169]
	s_and_b32 s0, vcc_lo, s0
	v_cmp_eq_f64_e32 vcc_lo, 0, v[172:173]
	s_delay_alu instid0(VALU_DEP_3) | instskip(NEXT) | instid1(VALU_DEP_1)
	v_cmp_eq_u32_e64 s7, 0, v127
	s_and_b32 s0, s0, s7
	s_delay_alu instid0(SALU_CYCLE_1) | instskip(SKIP_3) | instid1(VALU_DEP_3)
	v_cndmask_b32_e64 v127, v127, 9, s0
	v_cmp_eq_f64_e64 s0, 0, v[174:175]
	s_and_b32 s2, s2, s3
	v_cmp_eq_f64_e64 s3, 0, v[178:179]
	v_cmp_eq_u32_e64 s7, 0, v127
	s_delay_alu instid0(VALU_DEP_1) | instskip(NEXT) | instid1(SALU_CYCLE_1)
	s_and_b32 s2, s2, s7
	v_cndmask_b32_e64 v127, v127, 10, s2
	v_cmp_eq_f64_e64 s2, 0, v[176:177]
	s_and_b32 s4, s4, s5
	v_cmp_eq_f64_e64 s5, 0, v[182:183]
	s_delay_alu instid0(VALU_DEP_3) | instskip(NEXT) | instid1(VALU_DEP_1)
	v_cmp_eq_u32_e64 s7, 0, v127
	s_and_b32 s4, s4, s7
	s_delay_alu instid0(SALU_CYCLE_1) | instskip(SKIP_3) | instid1(VALU_DEP_3)
	v_cndmask_b32_e64 v127, v127, 11, s4
	v_cmp_eq_f64_e64 s4, 0, v[180:181]
	s_and_b32 s1, s1, s6
	v_cmp_eq_f64_e64 s6, 0, v[186:187]
	v_cmp_eq_u32_e64 s7, 0, v127
	s_delay_alu instid0(VALU_DEP_1) | instskip(NEXT) | instid1(SALU_CYCLE_1)
	s_and_b32 s1, s1, s7
	v_cndmask_b32_e64 v127, v127, 12, s1
	v_cmp_eq_f64_e64 s1, 0, v[184:185]
	s_and_b32 s0, vcc_lo, s0
	v_cmp_eq_f64_e32 vcc_lo, 0, v[188:189]
	s_delay_alu instid0(VALU_DEP_3) | instskip(NEXT) | instid1(VALU_DEP_1)
	v_cmp_eq_u32_e64 s7, 0, v127
	s_and_b32 s0, s0, s7
	s_delay_alu instid0(SALU_CYCLE_1) | instskip(SKIP_3) | instid1(VALU_DEP_3)
	v_cndmask_b32_e64 v127, v127, 13, s0
	v_cmp_eq_f64_e64 s0, 0, v[190:191]
	s_and_b32 s2, s2, s3
	;; [unrolled: 30-line block ×5, first 2 shown]
	v_cmp_eq_f64_e64 s3, 0, v[242:243]
	v_cmp_eq_u32_e64 s7, 0, v127
	s_delay_alu instid0(VALU_DEP_1) | instskip(NEXT) | instid1(SALU_CYCLE_1)
	s_and_b32 s2, s2, s7
	v_cndmask_b32_e64 v127, v127, 26, s2
	v_cmp_eq_f64_e64 s2, 0, v[240:241]
	s_and_b32 s4, s4, s5
	v_cmp_eq_f64_e64 s5, 0, v[246:247]
	s_delay_alu instid0(VALU_DEP_3) | instskip(NEXT) | instid1(VALU_DEP_1)
	v_cmp_eq_u32_e64 s7, 0, v127
	s_and_b32 s4, s4, s7
	s_delay_alu instid0(SALU_CYCLE_1) | instskip(SKIP_2) | instid1(VALU_DEP_2)
	v_cndmask_b32_e64 v127, v127, 27, s4
	v_cmp_eq_f64_e64 s4, 0, v[244:245]
	s_and_b32 s1, s1, s6
	v_cmp_eq_u32_e64 s7, 0, v127
	s_delay_alu instid0(VALU_DEP_1) | instskip(NEXT) | instid1(SALU_CYCLE_1)
	s_and_b32 s1, s1, s7
	v_cndmask_b32_e64 v127, v127, 28, s1
	s_and_b32 s0, vcc_lo, s0
	s_delay_alu instid0(VALU_DEP_1) | instskip(NEXT) | instid1(VALU_DEP_1)
	v_cmp_eq_u32_e64 s1, 0, v127
	s_and_b32 s0, s0, s1
	s_delay_alu instid0(SALU_CYCLE_1) | instskip(SKIP_1) | instid1(VALU_DEP_1)
	v_cndmask_b32_e64 v127, v127, 29, s0
	s_and_b32 s0, s2, s3
	v_cmp_eq_u32_e32 vcc_lo, 0, v127
	s_and_b32 s0, s0, vcc_lo
	s_delay_alu instid0(SALU_CYCLE_1) | instskip(SKIP_1) | instid1(VALU_DEP_1)
	v_cndmask_b32_e64 v127, v127, 30, s0
	s_and_b32 s0, s4, s5
	v_cmp_eq_u32_e32 vcc_lo, 0, v127
	s_and_b32 s0, s0, vcc_lo
	s_waitcnt vmcnt(0)
	v_cmp_eq_u32_e32 vcc_lo, 0, v126
	v_cndmask_b32_e64 v127, v127, 31, s0
	s_delay_alu instid0(VALU_DEP_1) | instskip(NEXT) | instid1(VALU_DEP_1)
	v_cmp_ne_u32_e64 s0, 0, v127
	s_and_b32 s0, vcc_lo, s0
	s_delay_alu instid0(SALU_CYCLE_1)
	s_and_b32 exec_lo, exec_lo, s0
	s_cbranch_execz .LBB61_283
; %bb.282:
	v_add_nc_u32_e32 v126, s9, v127
	global_store_b32 v[124:125], v126, off
.LBB61_283:
	s_or_b32 exec_lo, exec_lo, s10
	s_clause 0x1
	scratch_load_b64 v[116:117], off, off offset:272
	scratch_load_b128 v[118:121], off, off
	s_waitcnt vmcnt(0)
	global_store_b128 v[116:117], v[118:121], off
	s_clause 0x1
	scratch_load_b64 v[120:121], off, off offset:248
	scratch_load_b64 v[116:117], off, off offset:240
	s_waitcnt vmcnt(1)
	global_store_b128 v[120:121], v[128:131], off
	s_waitcnt vmcnt(0)
	global_store_b128 v[116:117], v[112:115], off
	scratch_load_b64 v[112:113], off, off offset:232 ; 8-byte Folded Reload
	s_waitcnt vmcnt(0)
	global_store_b128 v[112:113], v[108:111], off
	scratch_load_b64 v[108:109], off, off offset:224 ; 8-byte Folded Reload
	;; [unrolled: 3-line block ×28, first 2 shown]
	s_waitcnt vmcnt(0)
	global_store_b128 v[4:5], v[0:3], off
.LBB61_284:
	s_nop 0
	s_sendmsg sendmsg(MSG_DEALLOC_VGPRS)
	s_endpgm
	.section	.rodata,"a",@progbits
	.p2align	6, 0x0
	.amdhsa_kernel _ZN9rocsolver6v33100L23getf2_npvt_small_kernelILi31E19rocblas_complex_numIdEiiPKPS3_EEvT1_T3_lS7_lPT2_S7_S7_
		.amdhsa_group_segment_fixed_size 0
		.amdhsa_private_segment_fixed_size 316
		.amdhsa_kernarg_size 312
		.amdhsa_user_sgpr_count 14
		.amdhsa_user_sgpr_dispatch_ptr 0
		.amdhsa_user_sgpr_queue_ptr 0
		.amdhsa_user_sgpr_kernarg_segment_ptr 1
		.amdhsa_user_sgpr_dispatch_id 0
		.amdhsa_user_sgpr_private_segment_size 0
		.amdhsa_wavefront_size32 1
		.amdhsa_uses_dynamic_stack 0
		.amdhsa_enable_private_segment 1
		.amdhsa_system_sgpr_workgroup_id_x 1
		.amdhsa_system_sgpr_workgroup_id_y 1
		.amdhsa_system_sgpr_workgroup_id_z 0
		.amdhsa_system_sgpr_workgroup_info 0
		.amdhsa_system_vgpr_workitem_id 1
		.amdhsa_next_free_vgpr 256
		.amdhsa_next_free_sgpr 16
		.amdhsa_reserve_vcc 1
		.amdhsa_float_round_mode_32 0
		.amdhsa_float_round_mode_16_64 0
		.amdhsa_float_denorm_mode_32 3
		.amdhsa_float_denorm_mode_16_64 3
		.amdhsa_dx10_clamp 1
		.amdhsa_ieee_mode 1
		.amdhsa_fp16_overflow 0
		.amdhsa_workgroup_processor_mode 1
		.amdhsa_memory_ordered 1
		.amdhsa_forward_progress 0
		.amdhsa_shared_vgpr_count 0
		.amdhsa_exception_fp_ieee_invalid_op 0
		.amdhsa_exception_fp_denorm_src 0
		.amdhsa_exception_fp_ieee_div_zero 0
		.amdhsa_exception_fp_ieee_overflow 0
		.amdhsa_exception_fp_ieee_underflow 0
		.amdhsa_exception_fp_ieee_inexact 0
		.amdhsa_exception_int_div_zero 0
	.end_amdhsa_kernel
	.section	.text._ZN9rocsolver6v33100L23getf2_npvt_small_kernelILi31E19rocblas_complex_numIdEiiPKPS3_EEvT1_T3_lS7_lPT2_S7_S7_,"axG",@progbits,_ZN9rocsolver6v33100L23getf2_npvt_small_kernelILi31E19rocblas_complex_numIdEiiPKPS3_EEvT1_T3_lS7_lPT2_S7_S7_,comdat
.Lfunc_end61:
	.size	_ZN9rocsolver6v33100L23getf2_npvt_small_kernelILi31E19rocblas_complex_numIdEiiPKPS3_EEvT1_T3_lS7_lPT2_S7_S7_, .Lfunc_end61-_ZN9rocsolver6v33100L23getf2_npvt_small_kernelILi31E19rocblas_complex_numIdEiiPKPS3_EEvT1_T3_lS7_lPT2_S7_S7_
                                        ; -- End function
	.section	.AMDGPU.csdata,"",@progbits
; Kernel info:
; codeLenInByte = 62856
; NumSgprs: 18
; NumVgprs: 256
; ScratchSize: 316
; MemoryBound: 1
; FloatMode: 240
; IeeeMode: 1
; LDSByteSize: 0 bytes/workgroup (compile time only)
; SGPRBlocks: 2
; VGPRBlocks: 31
; NumSGPRsForWavesPerEU: 18
; NumVGPRsForWavesPerEU: 256
; Occupancy: 5
; WaveLimiterHint : 1
; COMPUTE_PGM_RSRC2:SCRATCH_EN: 1
; COMPUTE_PGM_RSRC2:USER_SGPR: 14
; COMPUTE_PGM_RSRC2:TRAP_HANDLER: 0
; COMPUTE_PGM_RSRC2:TGID_X_EN: 1
; COMPUTE_PGM_RSRC2:TGID_Y_EN: 1
; COMPUTE_PGM_RSRC2:TGID_Z_EN: 0
; COMPUTE_PGM_RSRC2:TIDIG_COMP_CNT: 1
	.section	.text._ZN9rocsolver6v33100L18getf2_small_kernelILi32E19rocblas_complex_numIdEiiPKPS3_EEvT1_T3_lS7_lPS7_llPT2_S7_S7_S9_l,"axG",@progbits,_ZN9rocsolver6v33100L18getf2_small_kernelILi32E19rocblas_complex_numIdEiiPKPS3_EEvT1_T3_lS7_lPS7_llPT2_S7_S7_S9_l,comdat
	.globl	_ZN9rocsolver6v33100L18getf2_small_kernelILi32E19rocblas_complex_numIdEiiPKPS3_EEvT1_T3_lS7_lPS7_llPT2_S7_S7_S9_l ; -- Begin function _ZN9rocsolver6v33100L18getf2_small_kernelILi32E19rocblas_complex_numIdEiiPKPS3_EEvT1_T3_lS7_lPS7_llPT2_S7_S7_S9_l
	.p2align	8
	.type	_ZN9rocsolver6v33100L18getf2_small_kernelILi32E19rocblas_complex_numIdEiiPKPS3_EEvT1_T3_lS7_lPS7_llPT2_S7_S7_S9_l,@function
_ZN9rocsolver6v33100L18getf2_small_kernelILi32E19rocblas_complex_numIdEiiPKPS3_EEvT1_T3_lS7_lPS7_llPT2_S7_S7_S9_l: ; @_ZN9rocsolver6v33100L18getf2_small_kernelILi32E19rocblas_complex_numIdEiiPKPS3_EEvT1_T3_lS7_lPS7_llPT2_S7_S7_S9_l
; %bb.0:
	s_clause 0x1
	s_load_b32 s2, s[0:1], 0x6c
	s_load_b64 s[12:13], s[0:1], 0x48
	v_bfe_u32 v128, v0, 10, 10
	s_waitcnt lgkmcnt(0)
	s_lshr_b32 s2, s2, 16
	s_delay_alu instid0(VALU_DEP_1) | instid1(SALU_CYCLE_1)
	v_mad_u64_u32 v[251:252], null, s15, s2, v[128:129]
	s_mov_b32 s2, exec_lo
	s_delay_alu instid0(VALU_DEP_1)
	v_cmpx_gt_i32_e64 s12, v251
	s_cbranch_execz .LBB62_675
; %bb.1:
	s_clause 0x1
	s_load_b128 s[4:7], s[0:1], 0x8
	s_load_b128 s[8:11], s[0:1], 0x50
	v_ashrrev_i32_e32 v252, 31, v251
	v_mov_b32_e32 v118, 0
	v_mov_b32_e32 v119, 0
	s_delay_alu instid0(VALU_DEP_3) | instskip(SKIP_1) | instid1(VALU_DEP_1)
	v_lshlrev_b64 v[1:2], 3, v[251:252]
	s_waitcnt lgkmcnt(0)
	v_add_co_u32 v1, vcc_lo, s4, v1
	s_delay_alu instid0(VALU_DEP_2)
	v_add_co_ci_u32_e32 v2, vcc_lo, s5, v2, vcc_lo
	s_cmp_eq_u64 s[8:9], 0
	s_cselect_b32 s4, -1, 0
	global_load_b64 v[1:2], v[1:2], off
	s_and_b32 vcc_lo, exec_lo, s4
	s_cbranch_vccnz .LBB62_3
; %bb.2:
	v_mul_lo_u32 v5, v252, s10
	v_mul_lo_u32 v6, v251, s11
	v_mad_u64_u32 v[3:4], null, v251, s10, 0
	s_delay_alu instid0(VALU_DEP_1) | instskip(NEXT) | instid1(VALU_DEP_1)
	v_add3_u32 v4, v4, v6, v5
	v_lshlrev_b64 v[3:4], 2, v[3:4]
	s_delay_alu instid0(VALU_DEP_1) | instskip(NEXT) | instid1(VALU_DEP_2)
	v_add_co_u32 v118, vcc_lo, s8, v3
	v_add_co_ci_u32_e32 v119, vcc_lo, s9, v4, vcc_lo
.LBB62_3:
	s_clause 0x1
	s_load_b32 s8, s[0:1], 0x18
	s_load_b32 s5, s[0:1], 0x0
	v_and_b32_e32 v0, 0x3ff, v0
	s_lshl_b64 s[2:3], s[6:7], 4
	s_waitcnt vmcnt(0)
	v_add_co_u32 v161, vcc_lo, v1, s2
	s_delay_alu instid0(VALU_DEP_2) | instskip(SKIP_3) | instid1(VALU_DEP_2)
	v_lshlrev_b32_e32 v129, 4, v0
	scratch_store_b32 off, v0, off          ; 4-byte Folded Spill
	v_add_co_ci_u32_e32 v157, vcc_lo, s3, v2, vcc_lo
	v_add_co_u32 v2, vcc_lo, v161, v129
	v_add_co_ci_u32_e32 v3, vcc_lo, 0, v157, vcc_lo
	s_waitcnt lgkmcnt(0)
	v_add3_u32 v0, s8, s8, v0
	s_ashr_i32 s9, s8, 31
	s_max_i32 s2, s5, 32
	s_lshl_b64 s[10:11], s[8:9], 4
	v_mul_lo_u32 v40, s2, v128
	v_ashrrev_i32_e32 v1, 31, v0
	v_add_nc_u32_e32 v4, s8, v0
	v_add_co_u32 v6, vcc_lo, v2, s10
	v_add_co_ci_u32_e32 v7, vcc_lo, s11, v3, vcc_lo
	s_delay_alu instid0(VALU_DEP_4)
	v_lshlrev_b64 v[0:1], 4, v[0:1]
	s_clause 0x1
	global_load_b128 v[120:123], v[2:3], off
	global_load_b128 v[241:244], v[6:7], off
	v_ashrrev_i32_e32 v5, 31, v4
	v_add_nc_u32_e32 v8, s8, v4
	v_lshl_add_u32 v160, v40, 4, 0
	v_add_co_u32 v0, vcc_lo, v161, v0
	v_add_co_ci_u32_e32 v1, vcc_lo, v157, v1, vcc_lo
	v_lshlrev_b64 v[2:3], 4, v[4:5]
	v_ashrrev_i32_e32 v9, 31, v8
	v_add_nc_u32_e32 v4, s8, v8
	global_load_b128 v[11:14], v[0:1], off
	v_lshlrev_b32_e32 v156, 4, v40
	s_cmp_lt_i32 s5, 2
	v_lshlrev_b64 v[6:7], 4, v[8:9]
	v_add_nc_u32_e32 v8, s8, v4
	v_add_co_u32 v2, vcc_lo, v161, v2
	v_add_co_ci_u32_e32 v3, vcc_lo, v157, v3, vcc_lo
	s_delay_alu instid0(VALU_DEP_3)
	v_add_nc_u32_e32 v10, s8, v8
	v_ashrrev_i32_e32 v9, 31, v8
	v_ashrrev_i32_e32 v5, 31, v4
	global_load_b128 v[124:127], v[2:3], off
	v_add_co_u32 v0, vcc_lo, v161, v6
	v_add_co_ci_u32_e32 v1, vcc_lo, v157, v7, vcc_lo
	v_lshlrev_b64 v[2:3], 4, v[8:9]
	v_lshlrev_b64 v[4:5], 4, v[4:5]
	v_add_nc_u32_e32 v6, s8, v10
	s_delay_alu instid0(VALU_DEP_2) | instskip(NEXT) | instid1(VALU_DEP_3)
	v_add_co_u32 v4, vcc_lo, v161, v4
	v_add_co_ci_u32_e32 v5, vcc_lo, v157, v5, vcc_lo
	s_delay_alu instid0(VALU_DEP_3) | instskip(SKIP_4) | instid1(VALU_DEP_1)
	v_ashrrev_i32_e32 v7, 31, v6
	global_load_b128 v[100:103], v[4:5], off
	s_waitcnt vmcnt(2)
	scratch_store_b128 off, v[11:14], off offset:20 ; 16-byte Folded Spill
	v_ashrrev_i32_e32 v11, 31, v10
	v_lshlrev_b64 v[8:9], 4, v[10:11]
	global_load_b128 v[11:14], v[0:1], off
	v_add_nc_u32_e32 v10, s8, v6
	v_add_co_u32 v0, vcc_lo, v161, v2
	v_add_co_ci_u32_e32 v1, vcc_lo, v157, v3, vcc_lo
	s_delay_alu instid0(VALU_DEP_3) | instskip(SKIP_3) | instid1(VALU_DEP_4)
	v_add_nc_u32_e32 v4, s8, v10
	v_lshlrev_b64 v[2:3], 4, v[6:7]
	v_add_co_u32 v6, vcc_lo, v161, v8
	v_add_co_ci_u32_e32 v7, vcc_lo, v157, v9, vcc_lo
	v_ashrrev_i32_e32 v5, 31, v4
	s_waitcnt vmcnt(0)
	scratch_store_b128 off, v[11:14], off offset:4 ; 16-byte Folded Spill
	v_ashrrev_i32_e32 v11, 31, v10
	s_clause 0x1
	global_load_b128 v[104:107], v[0:1], off
	global_load_b128 v[76:79], v[6:7], off
	v_add_co_u32 v0, vcc_lo, v161, v2
	v_add_co_ci_u32_e32 v1, vcc_lo, v157, v3, vcc_lo
	v_lshlrev_b64 v[8:9], 4, v[10:11]
	v_add_nc_u32_e32 v10, s8, v4
	v_lshlrev_b64 v[2:3], 4, v[4:5]
	s_delay_alu instid0(VALU_DEP_2) | instskip(SKIP_3) | instid1(VALU_DEP_4)
	v_ashrrev_i32_e32 v11, 31, v10
	v_add_nc_u32_e32 v4, s8, v10
	v_add_co_u32 v6, vcc_lo, v161, v8
	v_add_co_ci_u32_e32 v7, vcc_lo, v157, v9, vcc_lo
	v_lshlrev_b64 v[8:9], 4, v[10:11]
	s_delay_alu instid0(VALU_DEP_4)
	v_ashrrev_i32_e32 v5, 31, v4
	v_add_nc_u32_e32 v10, s8, v4
	s_clause 0x1
	global_load_b128 v[96:99], v[0:1], off
	global_load_b128 v[92:95], v[6:7], off
	v_add_co_u32 v0, vcc_lo, v161, v2
	v_add_co_ci_u32_e32 v1, vcc_lo, v157, v3, vcc_lo
	v_lshlrev_b64 v[2:3], 4, v[4:5]
	v_ashrrev_i32_e32 v11, 31, v10
	v_add_nc_u32_e32 v4, s8, v10
	v_add_co_u32 v6, vcc_lo, v161, v8
	v_add_co_ci_u32_e32 v7, vcc_lo, v157, v9, vcc_lo
	s_delay_alu instid0(VALU_DEP_4) | instskip(NEXT) | instid1(VALU_DEP_4)
	v_lshlrev_b64 v[8:9], 4, v[10:11]
	v_add_nc_u32_e32 v10, s8, v4
	v_ashrrev_i32_e32 v5, 31, v4
	v_add_co_u32 v2, vcc_lo, v161, v2
	v_add_co_ci_u32_e32 v3, vcc_lo, v157, v3, vcc_lo
	s_delay_alu instid0(VALU_DEP_4) | instskip(SKIP_3) | instid1(VALU_DEP_4)
	v_add_nc_u32_e32 v12, s8, v10
	v_ashrrev_i32_e32 v11, 31, v10
	v_lshlrev_b64 v[4:5], 4, v[4:5]
	v_add_co_u32 v8, vcc_lo, v161, v8
	v_add_nc_u32_e32 v14, s8, v12
	v_ashrrev_i32_e32 v13, 31, v12
	v_lshlrev_b64 v[10:11], 4, v[10:11]
	v_add_co_ci_u32_e32 v9, vcc_lo, v157, v9, vcc_lo
	s_delay_alu instid0(VALU_DEP_4) | instskip(SKIP_3) | instid1(VALU_DEP_4)
	v_add_nc_u32_e32 v16, s8, v14
	v_ashrrev_i32_e32 v15, 31, v14
	v_add_co_u32 v4, vcc_lo, v161, v4
	v_lshlrev_b64 v[12:13], 4, v[12:13]
	v_add_nc_u32_e32 v18, s8, v16
	v_ashrrev_i32_e32 v17, 31, v16
	v_add_co_ci_u32_e32 v5, vcc_lo, v157, v5, vcc_lo
	v_add_co_u32 v10, vcc_lo, v161, v10
	s_delay_alu instid0(VALU_DEP_4) | instskip(SKIP_3) | instid1(VALU_DEP_4)
	v_add_nc_u32_e32 v20, s8, v18
	v_lshlrev_b64 v[14:15], 4, v[14:15]
	v_ashrrev_i32_e32 v19, 31, v18
	v_add_co_ci_u32_e32 v11, vcc_lo, v157, v11, vcc_lo
	v_add_nc_u32_e32 v22, s8, v20
	v_add_co_u32 v12, vcc_lo, v161, v12
	v_lshlrev_b64 v[16:17], 4, v[16:17]
	v_ashrrev_i32_e32 v21, 31, v20
	s_delay_alu instid0(VALU_DEP_4) | instskip(SKIP_2) | instid1(VALU_DEP_3)
	v_add_nc_u32_e32 v24, s8, v22
	v_add_co_ci_u32_e32 v13, vcc_lo, v157, v13, vcc_lo
	v_add_co_u32 v14, vcc_lo, v161, v14
	v_add_nc_u32_e32 v26, s8, v24
	v_lshlrev_b64 v[18:19], 4, v[18:19]
	v_ashrrev_i32_e32 v23, 31, v22
	v_add_co_ci_u32_e32 v15, vcc_lo, v157, v15, vcc_lo
	s_delay_alu instid0(VALU_DEP_4)
	v_add_nc_u32_e32 v28, s8, v26
	v_add_co_u32 v16, vcc_lo, v161, v16
	v_lshlrev_b64 v[20:21], 4, v[20:21]
	v_ashrrev_i32_e32 v25, 31, v24
	v_add_co_ci_u32_e32 v17, vcc_lo, v157, v17, vcc_lo
	v_add_co_u32 v18, vcc_lo, v161, v18
	v_lshlrev_b64 v[22:23], 4, v[22:23]
	v_add_nc_u32_e32 v30, s8, v28
	v_ashrrev_i32_e32 v27, 31, v26
	v_add_co_ci_u32_e32 v19, vcc_lo, v157, v19, vcc_lo
	v_add_co_u32 v20, vcc_lo, v161, v20
	v_lshlrev_b64 v[24:25], 4, v[24:25]
	v_ashrrev_i32_e32 v29, 31, v28
	v_add_co_ci_u32_e32 v21, vcc_lo, v157, v21, vcc_lo
	v_add_nc_u32_e32 v32, s8, v30
	v_add_co_u32 v22, vcc_lo, v161, v22
	v_lshlrev_b64 v[26:27], 4, v[26:27]
	v_ashrrev_i32_e32 v31, 31, v30
	v_add_co_ci_u32_e32 v23, vcc_lo, v157, v23, vcc_lo
	v_add_co_u32 v24, vcc_lo, v161, v24
	v_lshlrev_b64 v[28:29], 4, v[28:29]
	v_add_nc_u32_e32 v34, s8, v32
	v_add_co_ci_u32_e32 v25, vcc_lo, v157, v25, vcc_lo
	v_add_co_u32 v26, vcc_lo, v161, v26
	v_lshlrev_b64 v[30:31], 4, v[30:31]
	v_ashrrev_i32_e32 v33, 31, v32
	v_add_co_ci_u32_e32 v27, vcc_lo, v157, v27, vcc_lo
	v_add_co_u32 v28, vcc_lo, v161, v28
	v_ashrrev_i32_e32 v35, 31, v34
	v_add_nc_u32_e32 v36, s8, v34
	v_add_co_ci_u32_e32 v29, vcc_lo, v157, v29, vcc_lo
	v_lshlrev_b64 v[32:33], 4, v[32:33]
	v_add_co_u32 v130, vcc_lo, v161, v30
	v_add_co_ci_u32_e32 v131, vcc_lo, v157, v31, vcc_lo
	v_lshlrev_b64 v[30:31], 4, v[34:35]
	v_ashrrev_i32_e32 v37, 31, v36
	v_add_nc_u32_e32 v34, s8, v36
	v_add_co_u32 v136, vcc_lo, v161, v32
	v_add_co_ci_u32_e32 v137, vcc_lo, v157, v33, vcc_lo
	s_delay_alu instid0(VALU_DEP_4) | instskip(NEXT) | instid1(VALU_DEP_4)
	v_lshlrev_b64 v[32:33], 4, v[36:37]
	v_ashrrev_i32_e32 v35, 31, v34
	v_add_nc_u32_e32 v36, s8, v34
	v_add_co_u32 v138, vcc_lo, v161, v30
	v_add_co_ci_u32_e32 v139, vcc_lo, v157, v31, vcc_lo
	s_delay_alu instid0(VALU_DEP_4) | instskip(NEXT) | instid1(VALU_DEP_4)
	v_lshlrev_b64 v[30:31], 4, v[34:35]
	v_add_nc_u32_e32 v34, s8, v36
	v_ashrrev_i32_e32 v37, 31, v36
	v_add_co_u32 v140, vcc_lo, v161, v32
	v_add_co_ci_u32_e32 v141, vcc_lo, v157, v33, vcc_lo
	s_delay_alu instid0(VALU_DEP_4) | instskip(NEXT) | instid1(VALU_DEP_4)
	v_ashrrev_i32_e32 v35, 31, v34
	v_lshlrev_b64 v[32:33], 4, v[36:37]
	v_add_co_u32 v142, vcc_lo, v161, v30
	v_add_co_ci_u32_e32 v143, vcc_lo, v157, v31, vcc_lo
	s_delay_alu instid0(VALU_DEP_4) | instskip(NEXT) | instid1(VALU_DEP_4)
	v_lshlrev_b64 v[30:31], 4, v[34:35]
	v_add_co_u32 v144, vcc_lo, v161, v32
	v_add_co_ci_u32_e32 v145, vcc_lo, v157, v33, vcc_lo
	s_delay_alu instid0(VALU_DEP_3) | instskip(NEXT) | instid1(VALU_DEP_4)
	v_add_co_u32 v146, vcc_lo, v161, v30
	v_add_co_ci_u32_e32 v147, vcc_lo, v157, v31, vcc_lo
	s_clause 0x15
	global_load_b128 v[112:115], v[0:1], off
	global_load_b128 v[108:111], v[6:7], off
	;; [unrolled: 1-line block ×22, first 2 shown]
	v_dual_mov_b32 v136, 0 :: v_dual_add_nc_u32 v41, v160, v129
	ds_store_2addr_b64 v41, v[120:121], v[122:123] offset1:1
	s_waitcnt vmcnt(0) lgkmcnt(0)
	s_waitcnt_vscnt null, 0x0
	s_barrier
	buffer_gl0_inv
	ds_load_2addr_b64 v[128:131], v160 offset1:1
	s_cbranch_scc1 .LBB62_6
; %bb.4:
	v_add3_u32 v137, v156, 0, 16
	v_mov_b32_e32 v136, 0
	s_mov_b32 s6, 1
	s_set_inst_prefetch_distance 0x1
	.p2align	6
.LBB62_5:                               ; =>This Inner Loop Header: Depth=1
	ds_load_2addr_b64 v[138:141], v137 offset1:1
	s_waitcnt lgkmcnt(1)
	v_cmp_gt_f64_e32 vcc_lo, 0, v[128:129]
	v_xor_b32_e32 v40, 0x80000000, v129
	v_cmp_gt_f64_e64 s2, 0, v[130:131]
	v_xor_b32_e32 v41, 0x80000000, v131
	v_add_nc_u32_e32 v137, 16, v137
	s_waitcnt lgkmcnt(0)
	v_cmp_gt_f64_e64 s3, 0, v[138:139]
	v_mov_b32_e32 v146, v138
	v_dual_mov_b32 v148, v140 :: v_dual_cndmask_b32 v143, v129, v40
	v_xor_b32_e32 v40, 0x80000000, v139
	v_cndmask_b32_e64 v145, v131, v41, s2
	v_xor_b32_e32 v41, 0x80000000, v141
	v_cndmask_b32_e32 v142, v128, v128, vcc_lo
	v_cndmask_b32_e64 v144, v130, v130, s2
	s_delay_alu instid0(VALU_DEP_1) | instskip(SKIP_2) | instid1(VALU_DEP_1)
	v_add_f64 v[142:143], v[142:143], v[144:145]
	v_cndmask_b32_e64 v147, v139, v40, s3
	v_cmp_gt_f64_e64 s3, 0, v[140:141]
	v_cndmask_b32_e64 v149, v141, v41, s3
	s_delay_alu instid0(VALU_DEP_1) | instskip(NEXT) | instid1(VALU_DEP_1)
	v_add_f64 v[146:147], v[146:147], v[148:149]
	v_cmp_lt_f64_e32 vcc_lo, v[142:143], v[146:147]
	v_cndmask_b32_e32 v131, v131, v141, vcc_lo
	v_dual_cndmask_b32 v129, v129, v139 :: v_dual_cndmask_b32 v128, v128, v138
	v_cndmask_b32_e32 v130, v130, v140, vcc_lo
	v_cndmask_b32_e64 v136, v136, s6, vcc_lo
	s_add_i32 s6, s6, 1
	s_delay_alu instid0(SALU_CYCLE_1)
	s_cmp_eq_u32 s5, s6
	s_cbranch_scc0 .LBB62_5
.LBB62_6:
	s_set_inst_prefetch_distance 0x2
	s_waitcnt lgkmcnt(0)
	v_cmp_neq_f64_e32 vcc_lo, 0, v[128:129]
	v_cmp_neq_f64_e64 s2, 0, v[130:131]
	v_dual_mov_b32 v255, 1 :: v_dual_mov_b32 v148, 1
	s_delay_alu instid0(VALU_DEP_2) | instskip(NEXT) | instid1(SALU_CYCLE_1)
	s_or_b32 s2, vcc_lo, s2
	s_and_saveexec_b32 s3, s2
	s_cbranch_execz .LBB62_12
; %bb.7:
	v_cmp_gt_f64_e32 vcc_lo, 0, v[128:129]
	v_cmp_gt_f64_e64 s2, 0, v[130:131]
	v_xor_b32_e32 v40, 0x80000000, v129
	v_xor_b32_e32 v41, 0x80000000, v131
                                        ; implicit-def: $sgpr6
                                        ; implicit-def: $sgpr7
	s_delay_alu instid0(VALU_DEP_2) | instskip(NEXT) | instid1(VALU_DEP_2)
	v_cndmask_b32_e32 v138, v129, v40, vcc_lo
	v_cndmask_b32_e64 v140, v131, v41, s2
	v_cndmask_b32_e32 v137, v128, v128, vcc_lo
	v_cndmask_b32_e64 v139, v130, v130, s2
	s_mov_b32 s2, exec_lo
	s_delay_alu instid0(VALU_DEP_1)
	v_cmpx_ngt_f64_e32 v[137:138], v[139:140]
	s_xor_b32 s2, exec_lo, s2
	s_cbranch_execz .LBB62_9
; %bb.8:
	v_div_scale_f64 v[137:138], null, v[130:131], v[130:131], v[128:129]
	v_div_scale_f64 v[143:144], vcc_lo, v[128:129], v[130:131], v[128:129]
	s_mov_b32 s7, 2
	s_mov_b32 s6, 0
	s_delay_alu instid0(VALU_DEP_2) | instskip(SKIP_2) | instid1(VALU_DEP_1)
	v_rcp_f64_e32 v[139:140], v[137:138]
	s_waitcnt_depctr 0xfff
	v_fma_f64 v[141:142], -v[137:138], v[139:140], 1.0
	v_fma_f64 v[139:140], v[139:140], v[141:142], v[139:140]
	s_delay_alu instid0(VALU_DEP_1) | instskip(NEXT) | instid1(VALU_DEP_1)
	v_fma_f64 v[141:142], -v[137:138], v[139:140], 1.0
	v_fma_f64 v[139:140], v[139:140], v[141:142], v[139:140]
	s_delay_alu instid0(VALU_DEP_1) | instskip(NEXT) | instid1(VALU_DEP_1)
	v_mul_f64 v[141:142], v[143:144], v[139:140]
	v_fma_f64 v[137:138], -v[137:138], v[141:142], v[143:144]
	s_delay_alu instid0(VALU_DEP_1) | instskip(NEXT) | instid1(VALU_DEP_1)
	v_div_fmas_f64 v[137:138], v[137:138], v[139:140], v[141:142]
	v_div_fixup_f64 v[137:138], v[137:138], v[130:131], v[128:129]
	s_delay_alu instid0(VALU_DEP_1) | instskip(NEXT) | instid1(VALU_DEP_1)
	v_fma_f64 v[128:129], v[128:129], v[137:138], v[130:131]
	v_div_scale_f64 v[130:131], null, v[128:129], v[128:129], 1.0
	s_delay_alu instid0(VALU_DEP_1) | instskip(SKIP_2) | instid1(VALU_DEP_1)
	v_rcp_f64_e32 v[139:140], v[130:131]
	s_waitcnt_depctr 0xfff
	v_fma_f64 v[141:142], -v[130:131], v[139:140], 1.0
	v_fma_f64 v[139:140], v[139:140], v[141:142], v[139:140]
	s_delay_alu instid0(VALU_DEP_1) | instskip(NEXT) | instid1(VALU_DEP_1)
	v_fma_f64 v[141:142], -v[130:131], v[139:140], 1.0
	v_fma_f64 v[139:140], v[139:140], v[141:142], v[139:140]
	v_div_scale_f64 v[141:142], vcc_lo, 1.0, v[128:129], 1.0
	s_delay_alu instid0(VALU_DEP_1) | instskip(NEXT) | instid1(VALU_DEP_1)
	v_mul_f64 v[143:144], v[141:142], v[139:140]
	v_fma_f64 v[130:131], -v[130:131], v[143:144], v[141:142]
	s_delay_alu instid0(VALU_DEP_1) | instskip(NEXT) | instid1(VALU_DEP_1)
	v_div_fmas_f64 v[130:131], v[130:131], v[139:140], v[143:144]
	v_div_fixup_f64 v[130:131], v[130:131], v[128:129], 1.0
	s_delay_alu instid0(VALU_DEP_1)
	v_mul_f64 v[128:129], v[137:138], v[130:131]
	v_xor_b32_e32 v131, 0x80000000, v131
.LBB62_9:
	s_or_saveexec_b32 s2, s2
	v_dual_mov_b32 v148, s6 :: v_dual_mov_b32 v255, s7
	s_xor_b32 exec_lo, exec_lo, s2
	s_cbranch_execz .LBB62_11
; %bb.10:
	s_delay_alu instid0(VALU_DEP_3) | instskip(SKIP_2) | instid1(VALU_DEP_3)
	v_div_scale_f64 v[137:138], null, v[128:129], v[128:129], v[130:131]
	v_div_scale_f64 v[143:144], vcc_lo, v[130:131], v[128:129], v[130:131]
	v_dual_mov_b32 v148, 0 :: v_dual_mov_b32 v255, 2
	v_rcp_f64_e32 v[139:140], v[137:138]
	s_waitcnt_depctr 0xfff
	v_fma_f64 v[141:142], -v[137:138], v[139:140], 1.0
	s_delay_alu instid0(VALU_DEP_1) | instskip(NEXT) | instid1(VALU_DEP_1)
	v_fma_f64 v[139:140], v[139:140], v[141:142], v[139:140]
	v_fma_f64 v[141:142], -v[137:138], v[139:140], 1.0
	s_delay_alu instid0(VALU_DEP_1) | instskip(NEXT) | instid1(VALU_DEP_1)
	v_fma_f64 v[139:140], v[139:140], v[141:142], v[139:140]
	v_mul_f64 v[141:142], v[143:144], v[139:140]
	s_delay_alu instid0(VALU_DEP_1) | instskip(NEXT) | instid1(VALU_DEP_1)
	v_fma_f64 v[137:138], -v[137:138], v[141:142], v[143:144]
	v_div_fmas_f64 v[137:138], v[137:138], v[139:140], v[141:142]
	s_delay_alu instid0(VALU_DEP_1) | instskip(NEXT) | instid1(VALU_DEP_1)
	v_div_fixup_f64 v[137:138], v[137:138], v[128:129], v[130:131]
	v_fma_f64 v[128:129], v[130:131], v[137:138], v[128:129]
	s_delay_alu instid0(VALU_DEP_1) | instskip(NEXT) | instid1(VALU_DEP_1)
	v_div_scale_f64 v[130:131], null, v[128:129], v[128:129], 1.0
	v_rcp_f64_e32 v[139:140], v[130:131]
	s_waitcnt_depctr 0xfff
	v_fma_f64 v[141:142], -v[130:131], v[139:140], 1.0
	s_delay_alu instid0(VALU_DEP_1) | instskip(NEXT) | instid1(VALU_DEP_1)
	v_fma_f64 v[139:140], v[139:140], v[141:142], v[139:140]
	v_fma_f64 v[141:142], -v[130:131], v[139:140], 1.0
	s_delay_alu instid0(VALU_DEP_1) | instskip(SKIP_1) | instid1(VALU_DEP_1)
	v_fma_f64 v[139:140], v[139:140], v[141:142], v[139:140]
	v_div_scale_f64 v[141:142], vcc_lo, 1.0, v[128:129], 1.0
	v_mul_f64 v[143:144], v[141:142], v[139:140]
	s_delay_alu instid0(VALU_DEP_1) | instskip(NEXT) | instid1(VALU_DEP_1)
	v_fma_f64 v[130:131], -v[130:131], v[143:144], v[141:142]
	v_div_fmas_f64 v[130:131], v[130:131], v[139:140], v[143:144]
	s_delay_alu instid0(VALU_DEP_1) | instskip(NEXT) | instid1(VALU_DEP_1)
	v_div_fixup_f64 v[128:129], v[130:131], v[128:129], 1.0
	v_mul_f64 v[130:131], v[137:138], -v[128:129]
.LBB62_11:
	s_or_b32 exec_lo, exec_lo, s2
.LBB62_12:
	s_delay_alu instid0(SALU_CYCLE_1)
	s_or_b32 exec_lo, exec_lo, s3
	scratch_load_b32 v40, off, off          ; 4-byte Folded Reload
	s_mov_b32 s2, exec_lo
	s_waitcnt vmcnt(0)
	v_cmpx_ne_u32_e64 v40, v136
	s_xor_b32 s2, exec_lo, s2
	s_cbranch_execz .LBB62_18
; %bb.13:
	scratch_load_b32 v40, off, off          ; 4-byte Folded Reload
	s_mov_b32 s3, exec_lo
	s_waitcnt vmcnt(0)
	v_cmpx_eq_u32_e32 0, v40
	s_cbranch_execz .LBB62_17
; %bb.14:
	v_cmp_ne_u32_e32 vcc_lo, 0, v136
	s_xor_b32 s6, s4, -1
	s_delay_alu instid0(SALU_CYCLE_1) | instskip(NEXT) | instid1(SALU_CYCLE_1)
	s_and_b32 s7, s6, vcc_lo
	s_and_saveexec_b32 s6, s7
	s_cbranch_execz .LBB62_16
; %bb.15:
	v_ashrrev_i32_e32 v137, 31, v136
	s_delay_alu instid0(VALU_DEP_1) | instskip(NEXT) | instid1(VALU_DEP_1)
	v_lshlrev_b64 v[137:138], 2, v[136:137]
	v_add_co_u32 v137, vcc_lo, v118, v137
	s_delay_alu instid0(VALU_DEP_2)
	v_add_co_ci_u32_e32 v138, vcc_lo, v119, v138, vcc_lo
	s_clause 0x1
	flat_load_b32 v40, v[137:138]
	flat_load_b32 v41, v[118:119]
	s_waitcnt vmcnt(1) lgkmcnt(1)
	flat_store_b32 v[118:119], v40
	s_waitcnt vmcnt(0) lgkmcnt(1)
	flat_store_b32 v[137:138], v41
.LBB62_16:
	s_or_b32 exec_lo, exec_lo, s6
	v_mov_b32_e32 v40, v136
	scratch_store_b32 off, v40, off         ; 4-byte Folded Spill
.LBB62_17:
	s_or_b32 exec_lo, exec_lo, s3
.LBB62_18:
	s_or_saveexec_b32 s2, s2
	scratch_load_b32 v162, off, off         ; 4-byte Folded Reload
	s_xor_b32 exec_lo, exec_lo, s2
	s_cbranch_execz .LBB62_20
; %bb.19:
	scratch_load_b128 v[40:43], off, off offset:20 ; 16-byte Folded Reload
	ds_store_2addr_b64 v160, v[241:242], v[243:244] offset0:2 offset1:3
	s_waitcnt vmcnt(1)
	v_mov_b32_e32 v162, 0
	s_waitcnt vmcnt(0)
	ds_store_2addr_b64 v160, v[40:41], v[42:43] offset0:4 offset1:5
	ds_store_2addr_b64 v160, v[124:125], v[126:127] offset0:6 offset1:7
	scratch_load_b128 v[40:43], off, off offset:4 ; 16-byte Folded Reload
	s_waitcnt vmcnt(0)
	ds_store_2addr_b64 v160, v[40:41], v[42:43] offset0:8 offset1:9
	ds_store_2addr_b64 v160, v[100:101], v[102:103] offset0:10 offset1:11
	;; [unrolled: 1-line block ×28, first 2 shown]
.LBB62_20:
	s_or_b32 exec_lo, exec_lo, s2
	s_delay_alu instid0(SALU_CYCLE_1)
	s_mov_b32 s2, exec_lo
	s_waitcnt vmcnt(0) lgkmcnt(0)
	s_waitcnt_vscnt null, 0x0
	s_barrier
	buffer_gl0_inv
	v_cmpx_lt_i32_e32 0, v162
	s_cbranch_execz .LBB62_22
; %bb.21:
	v_mul_f64 v[42:43], v[128:129], v[122:123]
	v_mul_f64 v[136:137], v[130:131], v[122:123]
	s_delay_alu instid0(VALU_DEP_2) | instskip(NEXT) | instid1(VALU_DEP_2)
	v_fma_f64 v[122:123], v[130:131], v[120:121], v[42:43]
	v_fma_f64 v[136:137], v[128:129], v[120:121], -v[136:137]
	ds_load_2addr_b64 v[128:131], v160 offset0:2 offset1:3
	ds_load_2addr_b64 v[138:141], v160 offset0:4 offset1:5
	v_dual_mov_b32 v45, v3 :: v_dual_mov_b32 v44, v2
	v_dual_mov_b32 v43, v1 :: v_dual_mov_b32 v42, v0
	;; [unrolled: 1-line block ×18, first 2 shown]
	s_waitcnt lgkmcnt(1)
	v_mul_f64 v[40:41], v[130:131], v[122:123]
	v_dual_mov_b32 v32, v36 :: v_dual_mov_b32 v33, v37
	v_dual_mov_b32 v34, v38 :: v_dual_mov_b32 v35, v39
	;; [unrolled: 1-line block ×19, first 2 shown]
	v_fma_f64 v[40:41], v[128:129], v[136:137], -v[40:41]
	v_mul_f64 v[128:129], v[128:129], v[122:123]
	v_dual_mov_b32 v82, v86 :: v_dual_mov_b32 v83, v87
	v_dual_mov_b32 v84, v88 :: v_dual_mov_b32 v85, v89
	;; [unrolled: 1-line block ×9, first 2 shown]
	scratch_store_b64 off, v[40:41], off offset:36 ; 8-byte Folded Spill
	v_fma_f64 v[40:41], v[130:131], v[136:137], v[128:129]
	s_waitcnt lgkmcnt(0)
	v_mul_f64 v[130:131], v[140:141], v[122:123]
	scratch_store_b64 off, v[40:41], off offset:44 ; 8-byte Folded Spill
	v_fma_f64 v[40:41], v[138:139], v[136:137], -v[130:131]
	v_mul_f64 v[138:139], v[138:139], v[122:123]
	scratch_store_b64 off, v[40:41], off offset:52 ; 8-byte Folded Spill
	ds_load_2addr_b64 v[142:145], v160 offset0:6 offset1:7
	ds_load_2addr_b64 v[149:152], v160 offset0:8 offset1:9
	v_fma_f64 v[138:139], v[140:141], v[136:137], v[138:139]
	s_waitcnt lgkmcnt(1)
	v_mul_f64 v[140:141], v[144:145], v[122:123]
	s_waitcnt lgkmcnt(0)
	v_mul_f64 v[146:147], v[149:150], v[122:123]
	s_delay_alu instid0(VALU_DEP_2) | instskip(SKIP_1) | instid1(VALU_DEP_3)
	v_fma_f64 v[140:141], v[142:143], v[136:137], -v[140:141]
	v_mul_f64 v[142:143], v[142:143], v[122:123]
	v_fma_f64 v[146:147], v[151:152], v[136:137], v[146:147]
	s_delay_alu instid0(VALU_DEP_3) | instskip(NEXT) | instid1(VALU_DEP_3)
	v_add_f64 v[124:125], v[124:125], -v[140:141]
	v_fma_f64 v[142:143], v[144:145], v[136:137], v[142:143]
	v_mul_f64 v[144:145], v[151:152], v[122:123]
	s_delay_alu instid0(VALU_DEP_2) | instskip(NEXT) | instid1(VALU_DEP_2)
	v_add_f64 v[126:127], v[126:127], -v[142:143]
	v_fma_f64 v[144:145], v[149:150], v[136:137], -v[144:145]
	ds_load_2addr_b64 v[149:152], v160 offset0:10 offset1:11
	ds_load_2addr_b64 v[163:166], v160 offset0:12 offset1:13
	s_waitcnt lgkmcnt(1)
	v_mul_f64 v[153:154], v[151:152], v[122:123]
	s_delay_alu instid0(VALU_DEP_1) | instskip(SKIP_1) | instid1(VALU_DEP_2)
	v_fma_f64 v[153:154], v[149:150], v[136:137], -v[153:154]
	v_mul_f64 v[149:150], v[149:150], v[122:123]
	v_add_f64 v[100:101], v[100:101], -v[153:154]
	s_delay_alu instid0(VALU_DEP_2) | instskip(SKIP_2) | instid1(VALU_DEP_2)
	v_fma_f64 v[167:168], v[151:152], v[136:137], v[149:150]
	s_waitcnt lgkmcnt(0)
	v_mul_f64 v[149:150], v[165:166], v[122:123]
	v_add_f64 v[102:103], v[102:103], -v[167:168]
	s_delay_alu instid0(VALU_DEP_2) | instskip(SKIP_1) | instid1(VALU_DEP_2)
	v_fma_f64 v[169:170], v[163:164], v[136:137], -v[149:150]
	v_mul_f64 v[149:150], v[163:164], v[122:123]
	v_add_f64 v[104:105], v[104:105], -v[169:170]
	s_delay_alu instid0(VALU_DEP_2)
	v_fma_f64 v[171:172], v[165:166], v[136:137], v[149:150]
	ds_load_2addr_b64 v[149:152], v160 offset0:14 offset1:15
	ds_load_2addr_b64 v[163:166], v160 offset0:16 offset1:17
	s_waitcnt lgkmcnt(1)
	v_mul_f64 v[173:174], v[151:152], v[122:123]
	v_add_f64 v[106:107], v[106:107], -v[171:172]
	s_delay_alu instid0(VALU_DEP_2) | instskip(SKIP_1) | instid1(VALU_DEP_2)
	v_fma_f64 v[173:174], v[149:150], v[136:137], -v[173:174]
	v_mul_f64 v[149:150], v[149:150], v[122:123]
	v_add_f64 v[76:77], v[76:77], -v[173:174]
	s_delay_alu instid0(VALU_DEP_2) | instskip(SKIP_2) | instid1(VALU_DEP_2)
	v_fma_f64 v[175:176], v[151:152], v[136:137], v[149:150]
	s_waitcnt lgkmcnt(0)
	v_mul_f64 v[149:150], v[165:166], v[122:123]
	v_add_f64 v[78:79], v[78:79], -v[175:176]
	s_delay_alu instid0(VALU_DEP_2) | instskip(SKIP_1) | instid1(VALU_DEP_2)
	v_fma_f64 v[177:178], v[163:164], v[136:137], -v[149:150]
	v_mul_f64 v[149:150], v[163:164], v[122:123]
	v_add_f64 v[96:97], v[96:97], -v[177:178]
	s_delay_alu instid0(VALU_DEP_2)
	v_fma_f64 v[179:180], v[165:166], v[136:137], v[149:150]
	ds_load_2addr_b64 v[149:152], v160 offset0:18 offset1:19
	ds_load_2addr_b64 v[163:166], v160 offset0:20 offset1:21
	s_waitcnt lgkmcnt(1)
	v_mul_f64 v[181:182], v[151:152], v[122:123]
	v_add_f64 v[98:99], v[98:99], -v[179:180]
	s_delay_alu instid0(VALU_DEP_2) | instskip(SKIP_1) | instid1(VALU_DEP_2)
	;; [unrolled: 20-line block ×9, first 2 shown]
	v_fma_f64 v[237:238], v[149:150], v[136:137], -v[237:238]
	v_mul_f64 v[149:150], v[149:150], v[122:123]
	v_add_f64 v[28:29], v[28:29], -v[237:238]
	s_delay_alu instid0(VALU_DEP_2) | instskip(SKIP_2) | instid1(VALU_DEP_2)
	v_fma_f64 v[239:240], v[151:152], v[136:137], v[149:150]
	s_waitcnt lgkmcnt(0)
	v_mul_f64 v[149:150], v[165:166], v[122:123]
	v_add_f64 v[30:31], v[30:31], -v[239:240]
	s_delay_alu instid0(VALU_DEP_2) | instskip(SKIP_1) | instid1(VALU_DEP_2)
	v_fma_f64 v[130:131], v[163:164], v[136:137], -v[149:150]
	v_mul_f64 v[149:150], v[163:164], v[122:123]
	v_add_f64 v[24:25], v[24:25], -v[130:131]
	s_delay_alu instid0(VALU_DEP_2)
	v_fma_f64 v[158:159], v[165:166], v[136:137], v[149:150]
	ds_load_2addr_b64 v[149:152], v160 offset0:50 offset1:51
	ds_load_2addr_b64 v[163:166], v160 offset0:52 offset1:53
	scratch_load_b128 v[92:95], off, off offset:20 ; 16-byte Folded Reload
	s_waitcnt lgkmcnt(1)
	v_mul_f64 v[245:246], v[151:152], v[122:123]
	v_add_f64 v[26:27], v[26:27], -v[158:159]
	s_delay_alu instid0(VALU_DEP_2) | instskip(SKIP_1) | instid1(VALU_DEP_2)
	v_fma_f64 v[245:246], v[149:150], v[136:137], -v[245:246]
	v_mul_f64 v[149:150], v[149:150], v[122:123]
	v_add_f64 v[20:21], v[20:21], -v[245:246]
	s_delay_alu instid0(VALU_DEP_2) | instskip(SKIP_2) | instid1(VALU_DEP_2)
	v_fma_f64 v[247:248], v[151:152], v[136:137], v[149:150]
	s_waitcnt lgkmcnt(0)
	v_mul_f64 v[149:150], v[165:166], v[122:123]
	v_add_f64 v[22:23], v[22:23], -v[247:248]
	s_delay_alu instid0(VALU_DEP_2) | instskip(SKIP_1) | instid1(VALU_DEP_1)
	v_fma_f64 v[249:250], v[163:164], v[136:137], -v[149:150]
	v_mul_f64 v[149:150], v[163:164], v[122:123]
	v_fma_f64 v[128:129], v[165:166], v[136:137], v[149:150]
	ds_load_2addr_b64 v[149:152], v160 offset0:54 offset1:55
	ds_load_2addr_b64 v[163:166], v160 offset0:56 offset1:57
	s_waitcnt lgkmcnt(1)
	v_mul_f64 v[253:254], v[151:152], v[122:123]
	s_delay_alu instid0(VALU_DEP_1) | instskip(SKIP_1) | instid1(VALU_DEP_1)
	v_fma_f64 v[253:254], v[149:150], v[136:137], -v[253:254]
	v_mul_f64 v[149:150], v[149:150], v[122:123]
	v_fma_f64 v[132:133], v[151:152], v[136:137], v[149:150]
	s_waitcnt lgkmcnt(0)
	v_mul_f64 v[149:150], v[165:166], v[122:123]
	s_delay_alu instid0(VALU_DEP_1) | instskip(SKIP_3) | instid1(VALU_DEP_2)
	v_fma_f64 v[134:135], v[163:164], v[136:137], -v[149:150]
	v_mul_f64 v[149:150], v[163:164], v[122:123]
	s_waitcnt vmcnt(0)
	v_add_f64 v[94:95], v[94:95], -v[138:139]
	v_fma_f64 v[120:121], v[165:166], v[136:137], v[149:150]
	ds_load_2addr_b64 v[149:152], v160 offset0:58 offset1:59
	ds_load_2addr_b64 v[163:166], v160 offset0:60 offset1:61
	s_waitcnt lgkmcnt(1)
	v_mul_f64 v[40:41], v[151:152], v[122:123]
	s_waitcnt lgkmcnt(0)
	v_mul_f64 v[46:47], v[165:166], v[122:123]
	s_delay_alu instid0(VALU_DEP_2) | instskip(SKIP_1) | instid1(VALU_DEP_3)
	v_fma_f64 v[116:117], v[149:150], v[136:137], -v[40:41]
	v_mul_f64 v[149:150], v[149:150], v[122:123]
	v_fma_f64 v[46:47], v[163:164], v[136:137], -v[46:47]
	s_delay_alu instid0(VALU_DEP_2) | instskip(SKIP_1) | instid1(VALU_DEP_1)
	v_fma_f64 v[40:41], v[151:152], v[136:137], v[149:150]
	v_mul_f64 v[149:150], v[163:164], v[122:123]
	v_fma_f64 v[163:164], v[165:166], v[136:137], v[149:150]
	ds_load_2addr_b64 v[149:152], v160 offset0:62 offset1:63
	s_waitcnt lgkmcnt(0)
	v_mul_f64 v[165:166], v[151:152], v[122:123]
	s_delay_alu instid0(VALU_DEP_1) | instskip(SKIP_1) | instid1(VALU_DEP_1)
	v_fma_f64 v[165:166], v[149:150], v[136:137], -v[165:166]
	v_mul_f64 v[149:150], v[149:150], v[122:123]
	v_fma_f64 v[149:150], v[151:152], v[136:137], v[149:150]
	scratch_load_b64 v[151:152], off, off offset:36 ; 8-byte Folded Reload
	s_waitcnt vmcnt(0)
	v_add_f64 v[241:242], v[241:242], -v[151:152]
	scratch_load_b64 v[151:152], off, off offset:44 ; 8-byte Folded Reload
	s_waitcnt vmcnt(0)
	v_add_f64 v[243:244], v[243:244], -v[151:152]
	scratch_load_b64 v[151:152], off, off offset:52 ; 8-byte Folded Reload
	s_waitcnt vmcnt(0)
	v_add_f64 v[92:93], v[92:93], -v[151:152]
	scratch_store_b128 off, v[92:95], off offset:20 ; 16-byte Folded Spill
	scratch_load_b128 v[92:95], off, off offset:4 ; 16-byte Folded Reload
	s_waitcnt vmcnt(0)
	v_add_f64 v[92:93], v[92:93], -v[144:145]
	v_add_f64 v[94:95], v[94:95], -v[146:147]
	scratch_store_b128 off, v[92:95], off offset:4 ; 16-byte Folded Spill
	v_dual_mov_b32 v92, v112 :: v_dual_mov_b32 v93, v113
	v_dual_mov_b32 v94, v114 :: v_dual_mov_b32 v95, v115
	;; [unrolled: 1-line block ×46, first 2 shown]
	v_add_f64 v[20:21], v[20:21], -v[249:250]
	v_add_f64 v[22:23], v[22:23], -v[128:129]
	;; [unrolled: 1-line block ×12, first 2 shown]
	v_dual_mov_b32 v120, v136 :: v_dual_mov_b32 v121, v137
.LBB62_22:
	s_or_b32 exec_lo, exec_lo, s2
	v_lshl_add_u32 v40, v162, 4, v160
	s_waitcnt_vscnt null, 0x0
	s_barrier
	buffer_gl0_inv
	v_mov_b32_e32 v136, 1
	ds_store_2addr_b64 v40, v[241:242], v[243:244] offset1:1
	s_waitcnt lgkmcnt(0)
	s_barrier
	buffer_gl0_inv
	ds_load_2addr_b64 v[128:131], v160 offset0:2 offset1:3
	s_cmp_lt_i32 s5, 3
	s_cbranch_scc1 .LBB62_25
; %bb.23:
	v_add3_u32 v137, v156, 0, 32
	v_mov_b32_e32 v136, 1
	s_mov_b32 s6, 2
	s_set_inst_prefetch_distance 0x1
	.p2align	6
.LBB62_24:                              ; =>This Inner Loop Header: Depth=1
	ds_load_2addr_b64 v[138:141], v137 offset1:1
	s_waitcnt lgkmcnt(1)
	v_cmp_gt_f64_e32 vcc_lo, 0, v[128:129]
	v_xor_b32_e32 v40, 0x80000000, v129
	v_cmp_gt_f64_e64 s2, 0, v[130:131]
	v_xor_b32_e32 v42, 0x80000000, v131
	v_add_nc_u32_e32 v137, 16, v137
	s_waitcnt lgkmcnt(0)
	v_cmp_gt_f64_e64 s3, 0, v[138:139]
	v_mov_b32_e32 v44, v138
	v_dual_mov_b32 v46, v140 :: v_dual_cndmask_b32 v41, v129, v40
	v_xor_b32_e32 v40, 0x80000000, v139
	v_cndmask_b32_e64 v43, v131, v42, s2
	v_xor_b32_e32 v42, 0x80000000, v141
	s_delay_alu instid0(VALU_DEP_3) | instskip(SKIP_2) | instid1(VALU_DEP_2)
	v_cndmask_b32_e64 v45, v139, v40, s3
	v_cmp_gt_f64_e64 s3, 0, v[140:141]
	v_cndmask_b32_e32 v40, v128, v128, vcc_lo
	v_cndmask_b32_e64 v47, v141, v42, s3
	v_cndmask_b32_e64 v42, v130, v130, s2
	s_delay_alu instid0(VALU_DEP_2) | instskip(NEXT) | instid1(VALU_DEP_2)
	v_add_f64 v[44:45], v[44:45], v[46:47]
	v_add_f64 v[40:41], v[40:41], v[42:43]
	s_delay_alu instid0(VALU_DEP_1)
	v_cmp_lt_f64_e32 vcc_lo, v[40:41], v[44:45]
	v_cndmask_b32_e32 v131, v131, v141, vcc_lo
	v_dual_cndmask_b32 v129, v129, v139 :: v_dual_cndmask_b32 v128, v128, v138
	v_cndmask_b32_e32 v130, v130, v140, vcc_lo
	v_cndmask_b32_e64 v136, v136, s6, vcc_lo
	s_add_i32 s6, s6, 1
	s_delay_alu instid0(SALU_CYCLE_1)
	s_cmp_lg_u32 s5, s6
	s_cbranch_scc1 .LBB62_24
.LBB62_25:
	s_set_inst_prefetch_distance 0x2
	s_waitcnt lgkmcnt(0)
	v_cmp_neq_f64_e32 vcc_lo, 0, v[128:129]
	v_cmp_neq_f64_e64 s2, 0, v[130:131]
	s_delay_alu instid0(VALU_DEP_1) | instskip(NEXT) | instid1(SALU_CYCLE_1)
	s_or_b32 s2, vcc_lo, s2
	s_and_saveexec_b32 s3, s2
	s_cbranch_execz .LBB62_31
; %bb.26:
	v_cmp_gt_f64_e32 vcc_lo, 0, v[128:129]
	v_cmp_gt_f64_e64 s2, 0, v[130:131]
	v_xor_b32_e32 v40, 0x80000000, v129
	v_xor_b32_e32 v42, 0x80000000, v131
	s_delay_alu instid0(VALU_DEP_2) | instskip(NEXT) | instid1(VALU_DEP_2)
	v_cndmask_b32_e32 v41, v129, v40, vcc_lo
	v_cndmask_b32_e64 v43, v131, v42, s2
	v_cndmask_b32_e32 v40, v128, v128, vcc_lo
	v_cndmask_b32_e64 v42, v130, v130, s2
	s_mov_b32 s2, exec_lo
	s_delay_alu instid0(VALU_DEP_1)
	v_cmpx_ngt_f64_e32 v[40:41], v[42:43]
	s_xor_b32 s2, exec_lo, s2
	s_cbranch_execz .LBB62_28
; %bb.27:
	v_div_scale_f64 v[40:41], null, v[130:131], v[130:131], v[128:129]
	v_div_scale_f64 v[46:47], vcc_lo, v[128:129], v[130:131], v[128:129]
	s_delay_alu instid0(VALU_DEP_2) | instskip(SKIP_2) | instid1(VALU_DEP_1)
	v_rcp_f64_e32 v[42:43], v[40:41]
	s_waitcnt_depctr 0xfff
	v_fma_f64 v[44:45], -v[40:41], v[42:43], 1.0
	v_fma_f64 v[42:43], v[42:43], v[44:45], v[42:43]
	s_delay_alu instid0(VALU_DEP_1) | instskip(NEXT) | instid1(VALU_DEP_1)
	v_fma_f64 v[44:45], -v[40:41], v[42:43], 1.0
	v_fma_f64 v[42:43], v[42:43], v[44:45], v[42:43]
	s_delay_alu instid0(VALU_DEP_1) | instskip(NEXT) | instid1(VALU_DEP_1)
	v_mul_f64 v[44:45], v[46:47], v[42:43]
	v_fma_f64 v[40:41], -v[40:41], v[44:45], v[46:47]
	s_delay_alu instid0(VALU_DEP_1) | instskip(NEXT) | instid1(VALU_DEP_1)
	v_div_fmas_f64 v[40:41], v[40:41], v[42:43], v[44:45]
	v_div_fixup_f64 v[40:41], v[40:41], v[130:131], v[128:129]
	s_delay_alu instid0(VALU_DEP_1) | instskip(NEXT) | instid1(VALU_DEP_1)
	v_fma_f64 v[42:43], v[128:129], v[40:41], v[130:131]
	v_div_scale_f64 v[44:45], null, v[42:43], v[42:43], 1.0
	s_delay_alu instid0(VALU_DEP_1) | instskip(SKIP_2) | instid1(VALU_DEP_1)
	v_rcp_f64_e32 v[46:47], v[44:45]
	s_waitcnt_depctr 0xfff
	v_fma_f64 v[128:129], -v[44:45], v[46:47], 1.0
	v_fma_f64 v[46:47], v[46:47], v[128:129], v[46:47]
	s_delay_alu instid0(VALU_DEP_1) | instskip(NEXT) | instid1(VALU_DEP_1)
	v_fma_f64 v[128:129], -v[44:45], v[46:47], 1.0
	v_fma_f64 v[46:47], v[46:47], v[128:129], v[46:47]
	v_div_scale_f64 v[128:129], vcc_lo, 1.0, v[42:43], 1.0
	s_delay_alu instid0(VALU_DEP_1) | instskip(NEXT) | instid1(VALU_DEP_1)
	v_mul_f64 v[130:131], v[128:129], v[46:47]
	v_fma_f64 v[44:45], -v[44:45], v[130:131], v[128:129]
	s_delay_alu instid0(VALU_DEP_1) | instskip(NEXT) | instid1(VALU_DEP_1)
	v_div_fmas_f64 v[44:45], v[44:45], v[46:47], v[130:131]
	v_div_fixup_f64 v[130:131], v[44:45], v[42:43], 1.0
	s_delay_alu instid0(VALU_DEP_1)
	v_mul_f64 v[128:129], v[40:41], v[130:131]
	v_xor_b32_e32 v131, 0x80000000, v131
.LBB62_28:
	s_and_not1_saveexec_b32 s2, s2
	s_cbranch_execz .LBB62_30
; %bb.29:
	s_delay_alu instid0(VALU_DEP_1) | instskip(SKIP_1) | instid1(VALU_DEP_2)
	v_div_scale_f64 v[40:41], null, v[128:129], v[128:129], v[130:131]
	v_div_scale_f64 v[46:47], vcc_lo, v[130:131], v[128:129], v[130:131]
	v_rcp_f64_e32 v[42:43], v[40:41]
	s_waitcnt_depctr 0xfff
	v_fma_f64 v[44:45], -v[40:41], v[42:43], 1.0
	s_delay_alu instid0(VALU_DEP_1) | instskip(NEXT) | instid1(VALU_DEP_1)
	v_fma_f64 v[42:43], v[42:43], v[44:45], v[42:43]
	v_fma_f64 v[44:45], -v[40:41], v[42:43], 1.0
	s_delay_alu instid0(VALU_DEP_1) | instskip(NEXT) | instid1(VALU_DEP_1)
	v_fma_f64 v[42:43], v[42:43], v[44:45], v[42:43]
	v_mul_f64 v[44:45], v[46:47], v[42:43]
	s_delay_alu instid0(VALU_DEP_1) | instskip(NEXT) | instid1(VALU_DEP_1)
	v_fma_f64 v[40:41], -v[40:41], v[44:45], v[46:47]
	v_div_fmas_f64 v[40:41], v[40:41], v[42:43], v[44:45]
	s_delay_alu instid0(VALU_DEP_1) | instskip(NEXT) | instid1(VALU_DEP_1)
	v_div_fixup_f64 v[40:41], v[40:41], v[128:129], v[130:131]
	v_fma_f64 v[42:43], v[130:131], v[40:41], v[128:129]
	s_delay_alu instid0(VALU_DEP_1) | instskip(NEXT) | instid1(VALU_DEP_1)
	v_div_scale_f64 v[44:45], null, v[42:43], v[42:43], 1.0
	v_rcp_f64_e32 v[46:47], v[44:45]
	s_waitcnt_depctr 0xfff
	v_fma_f64 v[128:129], -v[44:45], v[46:47], 1.0
	s_delay_alu instid0(VALU_DEP_1) | instskip(NEXT) | instid1(VALU_DEP_1)
	v_fma_f64 v[46:47], v[46:47], v[128:129], v[46:47]
	v_fma_f64 v[128:129], -v[44:45], v[46:47], 1.0
	s_delay_alu instid0(VALU_DEP_1) | instskip(SKIP_1) | instid1(VALU_DEP_1)
	v_fma_f64 v[46:47], v[46:47], v[128:129], v[46:47]
	v_div_scale_f64 v[128:129], vcc_lo, 1.0, v[42:43], 1.0
	v_mul_f64 v[130:131], v[128:129], v[46:47]
	s_delay_alu instid0(VALU_DEP_1) | instskip(NEXT) | instid1(VALU_DEP_1)
	v_fma_f64 v[44:45], -v[44:45], v[130:131], v[128:129]
	v_div_fmas_f64 v[44:45], v[44:45], v[46:47], v[130:131]
	s_delay_alu instid0(VALU_DEP_1) | instskip(NEXT) | instid1(VALU_DEP_1)
	v_div_fixup_f64 v[128:129], v[44:45], v[42:43], 1.0
	v_mul_f64 v[130:131], v[40:41], -v[128:129]
.LBB62_30:
	s_or_b32 exec_lo, exec_lo, s2
	v_mov_b32_e32 v255, v148
.LBB62_31:
	s_or_b32 exec_lo, exec_lo, s3
	s_delay_alu instid0(SALU_CYCLE_1)
	s_mov_b32 s2, exec_lo
	v_cmpx_ne_u32_e64 v162, v136
	s_xor_b32 s2, exec_lo, s2
	s_cbranch_execz .LBB62_37
; %bb.32:
	s_mov_b32 s3, exec_lo
	v_cmpx_eq_u32_e32 1, v162
	s_cbranch_execz .LBB62_36
; %bb.33:
	v_cmp_ne_u32_e32 vcc_lo, 1, v136
	s_xor_b32 s6, s4, -1
	s_delay_alu instid0(SALU_CYCLE_1) | instskip(NEXT) | instid1(SALU_CYCLE_1)
	s_and_b32 s7, s6, vcc_lo
	s_and_saveexec_b32 s6, s7
	s_cbranch_execz .LBB62_35
; %bb.34:
	v_ashrrev_i32_e32 v137, 31, v136
	s_delay_alu instid0(VALU_DEP_1) | instskip(NEXT) | instid1(VALU_DEP_1)
	v_lshlrev_b64 v[40:41], 2, v[136:137]
	v_add_co_u32 v40, vcc_lo, v118, v40
	s_delay_alu instid0(VALU_DEP_2)
	v_add_co_ci_u32_e32 v41, vcc_lo, v119, v41, vcc_lo
	s_clause 0x1
	flat_load_b32 v42, v[40:41]
	flat_load_b32 v43, v[118:119] offset:4
	s_waitcnt vmcnt(1) lgkmcnt(1)
	flat_store_b32 v[118:119], v42 offset:4
	s_waitcnt vmcnt(0) lgkmcnt(1)
	flat_store_b32 v[40:41], v43
.LBB62_35:
	s_or_b32 exec_lo, exec_lo, s6
	v_mov_b32_e32 v162, v136
	v_mov_b32_e32 v40, v136
	scratch_store_b32 off, v40, off         ; 4-byte Folded Spill
.LBB62_36:
	s_or_b32 exec_lo, exec_lo, s3
.LBB62_37:
	s_and_not1_saveexec_b32 s2, s2
	s_cbranch_execz .LBB62_39
; %bb.38:
	scratch_load_b128 v[40:43], off, off offset:20 ; 16-byte Folded Reload
	v_mov_b32_e32 v162, 1
	s_waitcnt vmcnt(0)
	ds_store_2addr_b64 v160, v[40:41], v[42:43] offset0:4 offset1:5
	ds_store_2addr_b64 v160, v[124:125], v[126:127] offset0:6 offset1:7
	scratch_load_b128 v[40:43], off, off offset:4 ; 16-byte Folded Reload
	s_waitcnt vmcnt(0)
	ds_store_2addr_b64 v160, v[40:41], v[42:43] offset0:8 offset1:9
	ds_store_2addr_b64 v160, v[100:101], v[102:103] offset0:10 offset1:11
	;; [unrolled: 1-line block ×28, first 2 shown]
.LBB62_39:
	s_or_b32 exec_lo, exec_lo, s2
	s_delay_alu instid0(SALU_CYCLE_1)
	s_mov_b32 s2, exec_lo
	s_waitcnt lgkmcnt(0)
	s_waitcnt_vscnt null, 0x0
	s_barrier
	buffer_gl0_inv
	v_cmpx_lt_i32_e32 1, v162
	s_cbranch_execz .LBB62_41
; %bb.40:
	v_mul_f64 v[40:41], v[130:131], v[243:244]
	s_delay_alu instid0(VALU_DEP_1) | instskip(SKIP_1) | instid1(VALU_DEP_1)
	v_fma_f64 v[136:137], v[128:129], v[241:242], -v[40:41]
	v_mul_f64 v[40:41], v[128:129], v[243:244]
	v_fma_f64 v[243:244], v[130:131], v[241:242], v[40:41]
	ds_load_2addr_b64 v[128:131], v160 offset0:4 offset1:5
	ds_load_2addr_b64 v[138:141], v160 offset0:6 offset1:7
	s_waitcnt lgkmcnt(1)
	v_mul_f64 v[40:41], v[130:131], v[243:244]
	v_mul_f64 v[42:43], v[128:129], v[243:244]
	s_waitcnt lgkmcnt(0)
	v_mul_f64 v[44:45], v[140:141], v[243:244]
	v_mul_f64 v[46:47], v[138:139], v[243:244]
	v_dual_mov_b32 v254, v244 :: v_dual_mov_b32 v253, v243
	v_fma_f64 v[116:117], v[128:129], v[136:137], -v[40:41]
	v_fma_f64 v[158:159], v[130:131], v[136:137], v[42:43]
	v_fma_f64 v[44:45], v[138:139], v[136:137], -v[44:45]
	v_fma_f64 v[46:47], v[140:141], v[136:137], v[46:47]
	ds_load_2addr_b64 v[128:131], v160 offset0:8 offset1:9
	ds_load_2addr_b64 v[138:141], v160 offset0:10 offset1:11
	v_dual_mov_b32 v43, v3 :: v_dual_mov_b32 v42, v2
	v_dual_mov_b32 v41, v1 :: v_dual_mov_b32 v40, v0
	;; [unrolled: 1-line block ×9, first 2 shown]
	s_waitcnt lgkmcnt(1)
	v_mul_f64 v[132:133], v[130:131], v[243:244]
	v_dual_mov_b32 v14, v18 :: v_dual_mov_b32 v15, v19
	v_dual_mov_b32 v16, v20 :: v_dual_mov_b32 v17, v21
	;; [unrolled: 1-line block ×19, first 2 shown]
	v_fma_f64 v[132:133], v[128:129], v[136:137], -v[132:133]
	v_mul_f64 v[128:129], v[128:129], v[243:244]
	v_dual_mov_b32 v60, v64 :: v_dual_mov_b32 v61, v65
	v_dual_mov_b32 v62, v66 :: v_dual_mov_b32 v63, v67
	;; [unrolled: 1-line block ×18, first 2 shown]
	v_add_f64 v[124:125], v[124:125], -v[44:45]
	v_fma_f64 v[134:135], v[130:131], v[136:137], v[128:129]
	s_waitcnt lgkmcnt(0)
	v_mul_f64 v[128:129], v[140:141], v[243:244]
	v_add_f64 v[126:127], v[126:127], -v[46:47]
	s_delay_alu instid0(VALU_DEP_2) | instskip(SKIP_1) | instid1(VALU_DEP_2)
	v_fma_f64 v[142:143], v[138:139], v[136:137], -v[128:129]
	v_mul_f64 v[128:129], v[138:139], v[243:244]
	v_add_f64 v[100:101], v[100:101], -v[142:143]
	s_delay_alu instid0(VALU_DEP_2)
	v_fma_f64 v[144:145], v[140:141], v[136:137], v[128:129]
	ds_load_2addr_b64 v[128:131], v160 offset0:12 offset1:13
	ds_load_2addr_b64 v[138:141], v160 offset0:14 offset1:15
	s_waitcnt lgkmcnt(1)
	v_mul_f64 v[146:147], v[130:131], v[243:244]
	v_add_f64 v[102:103], v[102:103], -v[144:145]
	s_delay_alu instid0(VALU_DEP_2) | instskip(SKIP_1) | instid1(VALU_DEP_2)
	v_fma_f64 v[146:147], v[128:129], v[136:137], -v[146:147]
	v_mul_f64 v[128:129], v[128:129], v[243:244]
	v_add_f64 v[104:105], v[104:105], -v[146:147]
	s_delay_alu instid0(VALU_DEP_2) | instskip(SKIP_2) | instid1(VALU_DEP_2)
	v_fma_f64 v[148:149], v[130:131], v[136:137], v[128:129]
	s_waitcnt lgkmcnt(0)
	v_mul_f64 v[128:129], v[140:141], v[243:244]
	v_add_f64 v[106:107], v[106:107], -v[148:149]
	s_delay_alu instid0(VALU_DEP_2) | instskip(SKIP_1) | instid1(VALU_DEP_2)
	v_fma_f64 v[150:151], v[138:139], v[136:137], -v[128:129]
	v_mul_f64 v[128:129], v[138:139], v[243:244]
	v_add_f64 v[76:77], v[76:77], -v[150:151]
	s_delay_alu instid0(VALU_DEP_2)
	v_fma_f64 v[152:153], v[140:141], v[136:137], v[128:129]
	ds_load_2addr_b64 v[128:131], v160 offset0:16 offset1:17
	ds_load_2addr_b64 v[138:141], v160 offset0:18 offset1:19
	s_waitcnt lgkmcnt(1)
	v_mul_f64 v[154:155], v[130:131], v[243:244]
	v_add_f64 v[78:79], v[78:79], -v[152:153]
	s_delay_alu instid0(VALU_DEP_2) | instskip(SKIP_1) | instid1(VALU_DEP_2)
	v_fma_f64 v[154:155], v[128:129], v[136:137], -v[154:155]
	v_mul_f64 v[128:129], v[128:129], v[243:244]
	v_add_f64 v[96:97], v[96:97], -v[154:155]
	s_delay_alu instid0(VALU_DEP_2) | instskip(SKIP_2) | instid1(VALU_DEP_2)
	;; [unrolled: 20-line block ×11, first 2 shown]
	v_fma_f64 v[235:236], v[130:131], v[136:137], v[128:129]
	s_waitcnt lgkmcnt(0)
	v_mul_f64 v[128:129], v[140:141], v[243:244]
	v_add_f64 v[18:19], v[18:19], -v[235:236]
	s_delay_alu instid0(VALU_DEP_2) | instskip(SKIP_1) | instid1(VALU_DEP_2)
	v_fma_f64 v[237:238], v[138:139], v[136:137], -v[128:129]
	v_mul_f64 v[128:129], v[138:139], v[243:244]
	v_add_f64 v[12:13], v[12:13], -v[237:238]
	s_delay_alu instid0(VALU_DEP_2)
	v_fma_f64 v[239:240], v[140:141], v[136:137], v[128:129]
	ds_load_2addr_b64 v[128:131], v160 offset0:56 offset1:57
	ds_load_2addr_b64 v[138:141], v160 offset0:58 offset1:59
	scratch_load_b128 v[92:95], off, off offset:20 ; 16-byte Folded Reload
	s_waitcnt lgkmcnt(1)
	v_mul_f64 v[241:242], v[130:131], v[253:254]
	v_add_f64 v[14:15], v[14:15], -v[239:240]
	s_delay_alu instid0(VALU_DEP_2) | instskip(SKIP_1) | instid1(VALU_DEP_2)
	v_fma_f64 v[241:242], v[128:129], v[136:137], -v[241:242]
	v_mul_f64 v[128:129], v[128:129], v[253:254]
	v_add_f64 v[8:9], v[8:9], -v[241:242]
	s_delay_alu instid0(VALU_DEP_2) | instskip(SKIP_3) | instid1(VALU_DEP_3)
	v_fma_f64 v[243:244], v[130:131], v[136:137], v[128:129]
	s_waitcnt lgkmcnt(0)
	v_mul_f64 v[128:129], v[140:141], v[253:254]
	v_dual_mov_b32 v242, v137 :: v_dual_mov_b32 v241, v136
	v_add_f64 v[10:11], v[10:11], -v[243:244]
	s_delay_alu instid0(VALU_DEP_3) | instskip(SKIP_2) | instid1(VALU_DEP_3)
	v_fma_f64 v[245:246], v[138:139], v[136:137], -v[128:129]
	v_mul_f64 v[128:129], v[138:139], v[253:254]
	v_dual_mov_b32 v243, v253 :: v_dual_mov_b32 v244, v254
	v_add_f64 v[4:5], v[4:5], -v[245:246]
	s_delay_alu instid0(VALU_DEP_3)
	v_fma_f64 v[247:248], v[140:141], v[136:137], v[128:129]
	ds_load_2addr_b64 v[128:131], v160 offset0:60 offset1:61
	ds_load_2addr_b64 v[138:141], v160 offset0:62 offset1:63
	scratch_load_b128 v[44:47], off, off offset:4 ; 16-byte Folded Reload
	s_waitcnt lgkmcnt(1)
	v_mul_f64 v[249:250], v[130:131], v[253:254]
	v_add_f64 v[6:7], v[6:7], -v[247:248]
	s_delay_alu instid0(VALU_DEP_2) | instskip(SKIP_1) | instid1(VALU_DEP_1)
	v_fma_f64 v[249:250], v[128:129], v[136:137], -v[249:250]
	v_mul_f64 v[128:129], v[128:129], v[253:254]
	v_fma_f64 v[128:129], v[130:131], v[136:137], v[128:129]
	s_waitcnt lgkmcnt(0)
	v_mul_f64 v[130:131], v[140:141], v[253:254]
	s_delay_alu instid0(VALU_DEP_1) | instskip(SKIP_4) | instid1(VALU_DEP_3)
	v_fma_f64 v[130:131], v[138:139], v[136:137], -v[130:131]
	v_mul_f64 v[138:139], v[138:139], v[253:254]
	s_waitcnt vmcnt(1)
	v_add_f64 v[92:93], v[92:93], -v[116:117]
	v_add_f64 v[94:95], v[94:95], -v[158:159]
	v_fma_f64 v[138:139], v[140:141], v[136:137], v[138:139]
	s_waitcnt vmcnt(0)
	v_add_f64 v[44:45], v[44:45], -v[132:133]
	v_add_f64 v[46:47], v[46:47], -v[134:135]
	scratch_store_b128 off, v[92:95], off offset:20 ; 16-byte Folded Spill
	v_dual_mov_b32 v92, v112 :: v_dual_mov_b32 v93, v113
	v_dual_mov_b32 v94, v114 :: v_dual_mov_b32 v95, v115
	;; [unrolled: 1-line block ×46, first 2 shown]
	s_delay_alu instid0(VALU_DEP_3) | instskip(SKIP_1) | instid1(VALU_DEP_4)
	v_add_f64 v[4:5], v[4:5], -v[249:250]
	v_add_f64 v[6:7], v[6:7], -v[128:129]
	;; [unrolled: 1-line block ×3, first 2 shown]
	scratch_store_b128 off, v[44:47], off offset:4 ; 16-byte Folded Spill
	v_add_f64 v[2:3], v[2:3], -v[138:139]
.LBB62_41:
	s_or_b32 exec_lo, exec_lo, s2
	s_waitcnt_vscnt null, 0x0
	s_barrier
	buffer_gl0_inv
	scratch_load_b128 v[41:44], off, off offset:20 ; 16-byte Folded Reload
	v_lshl_add_u32 v40, v162, 4, v160
	v_mov_b32_e32 v136, 2
	s_cmp_lt_i32 s5, 4
	s_waitcnt vmcnt(0)
	ds_store_2addr_b64 v40, v[41:42], v[43:44] offset1:1
	s_waitcnt lgkmcnt(0)
	s_barrier
	buffer_gl0_inv
	ds_load_2addr_b64 v[128:131], v160 offset0:4 offset1:5
	s_cbranch_scc1 .LBB62_44
; %bb.42:
	v_add3_u32 v137, v156, 0, 48
	v_mov_b32_e32 v136, 2
	s_mov_b32 s6, 3
	s_set_inst_prefetch_distance 0x1
	.p2align	6
.LBB62_43:                              ; =>This Inner Loop Header: Depth=1
	ds_load_2addr_b64 v[138:141], v137 offset1:1
	s_waitcnt lgkmcnt(1)
	v_cmp_gt_f64_e32 vcc_lo, 0, v[128:129]
	v_xor_b32_e32 v40, 0x80000000, v129
	v_cmp_gt_f64_e64 s2, 0, v[130:131]
	v_xor_b32_e32 v42, 0x80000000, v131
	v_add_nc_u32_e32 v137, 16, v137
	s_waitcnt lgkmcnt(0)
	v_cmp_gt_f64_e64 s3, 0, v[138:139]
	v_mov_b32_e32 v44, v138
	v_dual_mov_b32 v46, v140 :: v_dual_cndmask_b32 v41, v129, v40
	v_xor_b32_e32 v40, 0x80000000, v139
	v_cndmask_b32_e64 v43, v131, v42, s2
	v_xor_b32_e32 v42, 0x80000000, v141
	s_delay_alu instid0(VALU_DEP_3) | instskip(SKIP_2) | instid1(VALU_DEP_2)
	v_cndmask_b32_e64 v45, v139, v40, s3
	v_cmp_gt_f64_e64 s3, 0, v[140:141]
	v_cndmask_b32_e32 v40, v128, v128, vcc_lo
	v_cndmask_b32_e64 v47, v141, v42, s3
	v_cndmask_b32_e64 v42, v130, v130, s2
	s_delay_alu instid0(VALU_DEP_2) | instskip(NEXT) | instid1(VALU_DEP_2)
	v_add_f64 v[44:45], v[44:45], v[46:47]
	v_add_f64 v[40:41], v[40:41], v[42:43]
	s_delay_alu instid0(VALU_DEP_1)
	v_cmp_lt_f64_e32 vcc_lo, v[40:41], v[44:45]
	v_cndmask_b32_e32 v131, v131, v141, vcc_lo
	v_dual_cndmask_b32 v129, v129, v139 :: v_dual_cndmask_b32 v128, v128, v138
	v_cndmask_b32_e32 v130, v130, v140, vcc_lo
	v_cndmask_b32_e64 v136, v136, s6, vcc_lo
	s_add_i32 s6, s6, 1
	s_delay_alu instid0(SALU_CYCLE_1)
	s_cmp_lg_u32 s5, s6
	s_cbranch_scc1 .LBB62_43
.LBB62_44:
	s_set_inst_prefetch_distance 0x2
	s_waitcnt lgkmcnt(0)
	v_cmp_eq_f64_e32 vcc_lo, 0, v[128:129]
	v_cmp_eq_f64_e64 s2, 0, v[130:131]
	s_delay_alu instid0(VALU_DEP_1) | instskip(NEXT) | instid1(SALU_CYCLE_1)
	s_and_b32 s2, vcc_lo, s2
	s_and_saveexec_b32 s3, s2
	s_delay_alu instid0(SALU_CYCLE_1)
	s_xor_b32 s2, exec_lo, s3
; %bb.45:
	v_cmp_ne_u32_e32 vcc_lo, 0, v255
	v_cndmask_b32_e32 v255, 3, v255, vcc_lo
; %bb.46:
	s_and_not1_saveexec_b32 s3, s2
	s_cbranch_execz .LBB62_52
; %bb.47:
	v_cmp_gt_f64_e32 vcc_lo, 0, v[128:129]
	v_cmp_gt_f64_e64 s2, 0, v[130:131]
	v_xor_b32_e32 v40, 0x80000000, v129
	v_xor_b32_e32 v42, 0x80000000, v131
	s_delay_alu instid0(VALU_DEP_2) | instskip(NEXT) | instid1(VALU_DEP_2)
	v_cndmask_b32_e32 v41, v129, v40, vcc_lo
	v_cndmask_b32_e64 v43, v131, v42, s2
	v_cndmask_b32_e32 v40, v128, v128, vcc_lo
	v_cndmask_b32_e64 v42, v130, v130, s2
	s_mov_b32 s2, exec_lo
	s_delay_alu instid0(VALU_DEP_1)
	v_cmpx_ngt_f64_e32 v[40:41], v[42:43]
	s_xor_b32 s2, exec_lo, s2
	s_cbranch_execz .LBB62_49
; %bb.48:
	v_div_scale_f64 v[40:41], null, v[130:131], v[130:131], v[128:129]
	v_div_scale_f64 v[46:47], vcc_lo, v[128:129], v[130:131], v[128:129]
	s_delay_alu instid0(VALU_DEP_2) | instskip(SKIP_2) | instid1(VALU_DEP_1)
	v_rcp_f64_e32 v[42:43], v[40:41]
	s_waitcnt_depctr 0xfff
	v_fma_f64 v[44:45], -v[40:41], v[42:43], 1.0
	v_fma_f64 v[42:43], v[42:43], v[44:45], v[42:43]
	s_delay_alu instid0(VALU_DEP_1) | instskip(NEXT) | instid1(VALU_DEP_1)
	v_fma_f64 v[44:45], -v[40:41], v[42:43], 1.0
	v_fma_f64 v[42:43], v[42:43], v[44:45], v[42:43]
	s_delay_alu instid0(VALU_DEP_1) | instskip(NEXT) | instid1(VALU_DEP_1)
	v_mul_f64 v[44:45], v[46:47], v[42:43]
	v_fma_f64 v[40:41], -v[40:41], v[44:45], v[46:47]
	s_delay_alu instid0(VALU_DEP_1) | instskip(NEXT) | instid1(VALU_DEP_1)
	v_div_fmas_f64 v[40:41], v[40:41], v[42:43], v[44:45]
	v_div_fixup_f64 v[40:41], v[40:41], v[130:131], v[128:129]
	s_delay_alu instid0(VALU_DEP_1) | instskip(NEXT) | instid1(VALU_DEP_1)
	v_fma_f64 v[42:43], v[128:129], v[40:41], v[130:131]
	v_div_scale_f64 v[44:45], null, v[42:43], v[42:43], 1.0
	s_delay_alu instid0(VALU_DEP_1) | instskip(SKIP_2) | instid1(VALU_DEP_1)
	v_rcp_f64_e32 v[46:47], v[44:45]
	s_waitcnt_depctr 0xfff
	v_fma_f64 v[128:129], -v[44:45], v[46:47], 1.0
	v_fma_f64 v[46:47], v[46:47], v[128:129], v[46:47]
	s_delay_alu instid0(VALU_DEP_1) | instskip(NEXT) | instid1(VALU_DEP_1)
	v_fma_f64 v[128:129], -v[44:45], v[46:47], 1.0
	v_fma_f64 v[46:47], v[46:47], v[128:129], v[46:47]
	v_div_scale_f64 v[128:129], vcc_lo, 1.0, v[42:43], 1.0
	s_delay_alu instid0(VALU_DEP_1) | instskip(NEXT) | instid1(VALU_DEP_1)
	v_mul_f64 v[130:131], v[128:129], v[46:47]
	v_fma_f64 v[44:45], -v[44:45], v[130:131], v[128:129]
	s_delay_alu instid0(VALU_DEP_1) | instskip(NEXT) | instid1(VALU_DEP_1)
	v_div_fmas_f64 v[44:45], v[44:45], v[46:47], v[130:131]
	v_div_fixup_f64 v[130:131], v[44:45], v[42:43], 1.0
	s_delay_alu instid0(VALU_DEP_1)
	v_mul_f64 v[128:129], v[40:41], v[130:131]
	v_xor_b32_e32 v131, 0x80000000, v131
.LBB62_49:
	s_and_not1_saveexec_b32 s2, s2
	s_cbranch_execz .LBB62_51
; %bb.50:
	s_delay_alu instid0(VALU_DEP_1) | instskip(SKIP_1) | instid1(VALU_DEP_2)
	v_div_scale_f64 v[40:41], null, v[128:129], v[128:129], v[130:131]
	v_div_scale_f64 v[46:47], vcc_lo, v[130:131], v[128:129], v[130:131]
	v_rcp_f64_e32 v[42:43], v[40:41]
	s_waitcnt_depctr 0xfff
	v_fma_f64 v[44:45], -v[40:41], v[42:43], 1.0
	s_delay_alu instid0(VALU_DEP_1) | instskip(NEXT) | instid1(VALU_DEP_1)
	v_fma_f64 v[42:43], v[42:43], v[44:45], v[42:43]
	v_fma_f64 v[44:45], -v[40:41], v[42:43], 1.0
	s_delay_alu instid0(VALU_DEP_1) | instskip(NEXT) | instid1(VALU_DEP_1)
	v_fma_f64 v[42:43], v[42:43], v[44:45], v[42:43]
	v_mul_f64 v[44:45], v[46:47], v[42:43]
	s_delay_alu instid0(VALU_DEP_1) | instskip(NEXT) | instid1(VALU_DEP_1)
	v_fma_f64 v[40:41], -v[40:41], v[44:45], v[46:47]
	v_div_fmas_f64 v[40:41], v[40:41], v[42:43], v[44:45]
	s_delay_alu instid0(VALU_DEP_1) | instskip(NEXT) | instid1(VALU_DEP_1)
	v_div_fixup_f64 v[40:41], v[40:41], v[128:129], v[130:131]
	v_fma_f64 v[42:43], v[130:131], v[40:41], v[128:129]
	s_delay_alu instid0(VALU_DEP_1) | instskip(NEXT) | instid1(VALU_DEP_1)
	v_div_scale_f64 v[44:45], null, v[42:43], v[42:43], 1.0
	v_rcp_f64_e32 v[46:47], v[44:45]
	s_waitcnt_depctr 0xfff
	v_fma_f64 v[128:129], -v[44:45], v[46:47], 1.0
	s_delay_alu instid0(VALU_DEP_1) | instskip(NEXT) | instid1(VALU_DEP_1)
	v_fma_f64 v[46:47], v[46:47], v[128:129], v[46:47]
	v_fma_f64 v[128:129], -v[44:45], v[46:47], 1.0
	s_delay_alu instid0(VALU_DEP_1) | instskip(SKIP_1) | instid1(VALU_DEP_1)
	v_fma_f64 v[46:47], v[46:47], v[128:129], v[46:47]
	v_div_scale_f64 v[128:129], vcc_lo, 1.0, v[42:43], 1.0
	v_mul_f64 v[130:131], v[128:129], v[46:47]
	s_delay_alu instid0(VALU_DEP_1) | instskip(NEXT) | instid1(VALU_DEP_1)
	v_fma_f64 v[44:45], -v[44:45], v[130:131], v[128:129]
	v_div_fmas_f64 v[44:45], v[44:45], v[46:47], v[130:131]
	s_delay_alu instid0(VALU_DEP_1) | instskip(NEXT) | instid1(VALU_DEP_1)
	v_div_fixup_f64 v[128:129], v[44:45], v[42:43], 1.0
	v_mul_f64 v[130:131], v[40:41], -v[128:129]
.LBB62_51:
	s_or_b32 exec_lo, exec_lo, s2
.LBB62_52:
	s_delay_alu instid0(SALU_CYCLE_1) | instskip(NEXT) | instid1(SALU_CYCLE_1)
	s_or_b32 exec_lo, exec_lo, s3
	s_mov_b32 s2, exec_lo
	v_cmpx_ne_u32_e64 v162, v136
	s_xor_b32 s2, exec_lo, s2
	s_cbranch_execz .LBB62_58
; %bb.53:
	s_mov_b32 s3, exec_lo
	v_cmpx_eq_u32_e32 2, v162
	s_cbranch_execz .LBB62_57
; %bb.54:
	v_cmp_ne_u32_e32 vcc_lo, 2, v136
	s_xor_b32 s6, s4, -1
	s_delay_alu instid0(SALU_CYCLE_1) | instskip(NEXT) | instid1(SALU_CYCLE_1)
	s_and_b32 s7, s6, vcc_lo
	s_and_saveexec_b32 s6, s7
	s_cbranch_execz .LBB62_56
; %bb.55:
	v_ashrrev_i32_e32 v137, 31, v136
	s_delay_alu instid0(VALU_DEP_1) | instskip(NEXT) | instid1(VALU_DEP_1)
	v_lshlrev_b64 v[40:41], 2, v[136:137]
	v_add_co_u32 v40, vcc_lo, v118, v40
	s_delay_alu instid0(VALU_DEP_2)
	v_add_co_ci_u32_e32 v41, vcc_lo, v119, v41, vcc_lo
	s_clause 0x1
	flat_load_b32 v42, v[40:41]
	flat_load_b32 v43, v[118:119] offset:8
	s_waitcnt vmcnt(1) lgkmcnt(1)
	flat_store_b32 v[118:119], v42 offset:8
	s_waitcnt vmcnt(0) lgkmcnt(1)
	flat_store_b32 v[40:41], v43
.LBB62_56:
	s_or_b32 exec_lo, exec_lo, s6
	v_mov_b32_e32 v162, v136
	v_mov_b32_e32 v40, v136
	scratch_store_b32 off, v40, off         ; 4-byte Folded Spill
.LBB62_57:
	s_or_b32 exec_lo, exec_lo, s3
.LBB62_58:
	s_and_not1_saveexec_b32 s2, s2
	s_cbranch_execz .LBB62_60
; %bb.59:
	scratch_load_b128 v[40:43], off, off offset:4 ; 16-byte Folded Reload
	v_mov_b32_e32 v162, 2
	ds_store_2addr_b64 v160, v[124:125], v[126:127] offset0:6 offset1:7
	s_waitcnt vmcnt(0)
	ds_store_2addr_b64 v160, v[40:41], v[42:43] offset0:8 offset1:9
	ds_store_2addr_b64 v160, v[100:101], v[102:103] offset0:10 offset1:11
	;; [unrolled: 1-line block ×28, first 2 shown]
.LBB62_60:
	s_or_b32 exec_lo, exec_lo, s2
	s_delay_alu instid0(SALU_CYCLE_1)
	s_mov_b32 s2, exec_lo
	s_waitcnt lgkmcnt(0)
	s_waitcnt_vscnt null, 0x0
	s_barrier
	buffer_gl0_inv
	v_cmpx_lt_i32_e32 2, v162
	s_cbranch_execz .LBB62_62
; %bb.61:
	scratch_load_b128 v[132:135], off, off offset:20 ; 16-byte Folded Reload
	v_dual_mov_b32 v248, v123 :: v_dual_mov_b32 v247, v122
	v_dual_mov_b32 v246, v121 :: v_dual_mov_b32 v245, v120
	;; [unrolled: 1-line block ×3, first 2 shown]
	s_waitcnt vmcnt(0)
	v_mul_f64 v[40:41], v[130:131], v[134:135]
	s_delay_alu instid0(VALU_DEP_1) | instskip(SKIP_1) | instid1(VALU_DEP_1)
	v_fma_f64 v[136:137], v[128:129], v[132:133], -v[40:41]
	v_mul_f64 v[40:41], v[128:129], v[134:135]
	v_fma_f64 v[134:135], v[130:131], v[132:133], v[40:41]
	ds_load_2addr_b64 v[128:131], v160 offset0:6 offset1:7
	ds_load_2addr_b64 v[138:141], v160 offset0:8 offset1:9
	s_waitcnt lgkmcnt(1)
	v_mul_f64 v[40:41], v[130:131], v[134:135]
	v_mul_f64 v[42:43], v[128:129], v[134:135]
	s_waitcnt lgkmcnt(0)
	v_mul_f64 v[44:45], v[140:141], v[134:135]
	v_mul_f64 v[46:47], v[138:139], v[134:135]
	v_dual_mov_b32 v159, v135 :: v_dual_mov_b32 v158, v134
	v_fma_f64 v[40:41], v[128:129], v[136:137], -v[40:41]
	v_fma_f64 v[42:43], v[130:131], v[136:137], v[42:43]
	v_fma_f64 v[44:45], v[138:139], v[136:137], -v[44:45]
	v_fma_f64 v[46:47], v[140:141], v[136:137], v[46:47]
	ds_load_2addr_b64 v[128:131], v160 offset0:10 offset1:11
	ds_load_2addr_b64 v[138:141], v160 offset0:12 offset1:13
	s_waitcnt lgkmcnt(1)
	v_mul_f64 v[120:121], v[130:131], v[158:159]
	v_add_f64 v[124:125], v[124:125], -v[40:41]
	v_add_f64 v[126:127], v[126:127], -v[42:43]
	s_delay_alu instid0(VALU_DEP_3) | instskip(SKIP_1) | instid1(VALU_DEP_2)
	v_fma_f64 v[120:121], v[128:129], v[136:137], -v[120:121]
	v_mul_f64 v[128:129], v[128:129], v[158:159]
	v_add_f64 v[100:101], v[100:101], -v[120:121]
	s_delay_alu instid0(VALU_DEP_2) | instskip(SKIP_4) | instid1(VALU_DEP_4)
	v_fma_f64 v[132:133], v[130:131], v[136:137], v[128:129]
	s_waitcnt lgkmcnt(0)
	v_mul_f64 v[128:129], v[140:141], v[158:159]
	v_dual_mov_b32 v120, v245 :: v_dual_mov_b32 v121, v246
	v_dual_mov_b32 v122, v247 :: v_dual_mov_b32 v123, v248
	v_add_f64 v[102:103], v[102:103], -v[132:133]
	s_delay_alu instid0(VALU_DEP_4) | instskip(SKIP_1) | instid1(VALU_DEP_2)
	v_fma_f64 v[134:135], v[138:139], v[136:137], -v[128:129]
	v_mul_f64 v[128:129], v[138:139], v[158:159]
	v_add_f64 v[104:105], v[104:105], -v[134:135]
	s_delay_alu instid0(VALU_DEP_2)
	v_fma_f64 v[142:143], v[140:141], v[136:137], v[128:129]
	ds_load_2addr_b64 v[128:131], v160 offset0:14 offset1:15
	ds_load_2addr_b64 v[138:141], v160 offset0:16 offset1:17
	s_waitcnt lgkmcnt(1)
	v_mul_f64 v[144:145], v[130:131], v[158:159]
	v_add_f64 v[106:107], v[106:107], -v[142:143]
	s_delay_alu instid0(VALU_DEP_2) | instskip(SKIP_1) | instid1(VALU_DEP_2)
	v_fma_f64 v[144:145], v[128:129], v[136:137], -v[144:145]
	v_mul_f64 v[128:129], v[128:129], v[158:159]
	v_add_f64 v[76:77], v[76:77], -v[144:145]
	s_delay_alu instid0(VALU_DEP_2) | instskip(SKIP_2) | instid1(VALU_DEP_2)
	v_fma_f64 v[146:147], v[130:131], v[136:137], v[128:129]
	s_waitcnt lgkmcnt(0)
	v_mul_f64 v[128:129], v[140:141], v[158:159]
	v_add_f64 v[78:79], v[78:79], -v[146:147]
	s_delay_alu instid0(VALU_DEP_2) | instskip(SKIP_1) | instid1(VALU_DEP_2)
	v_fma_f64 v[148:149], v[138:139], v[136:137], -v[128:129]
	v_mul_f64 v[128:129], v[138:139], v[158:159]
	v_add_f64 v[96:97], v[96:97], -v[148:149]
	s_delay_alu instid0(VALU_DEP_2)
	v_fma_f64 v[150:151], v[140:141], v[136:137], v[128:129]
	ds_load_2addr_b64 v[128:131], v160 offset0:18 offset1:19
	ds_load_2addr_b64 v[138:141], v160 offset0:20 offset1:21
	s_waitcnt lgkmcnt(1)
	v_mul_f64 v[152:153], v[130:131], v[158:159]
	v_add_f64 v[98:99], v[98:99], -v[150:151]
	s_delay_alu instid0(VALU_DEP_2) | instskip(SKIP_1) | instid1(VALU_DEP_2)
	v_fma_f64 v[152:153], v[128:129], v[136:137], -v[152:153]
	v_mul_f64 v[128:129], v[128:129], v[158:159]
	v_add_f64 v[92:93], v[92:93], -v[152:153]
	s_delay_alu instid0(VALU_DEP_2) | instskip(SKIP_2) | instid1(VALU_DEP_2)
	v_fma_f64 v[154:155], v[130:131], v[136:137], v[128:129]
	s_waitcnt lgkmcnt(0)
	v_mul_f64 v[128:129], v[140:141], v[158:159]
	v_add_f64 v[94:95], v[94:95], -v[154:155]
	s_delay_alu instid0(VALU_DEP_2) | instskip(SKIP_1) | instid1(VALU_DEP_2)
	;; [unrolled: 20-line block ×11, first 2 shown]
	v_fma_f64 v[235:236], v[138:139], v[136:137], -v[128:129]
	v_mul_f64 v[128:129], v[138:139], v[158:159]
	v_add_f64 v[12:13], v[12:13], -v[235:236]
	s_delay_alu instid0(VALU_DEP_2)
	v_fma_f64 v[237:238], v[140:141], v[136:137], v[128:129]
	ds_load_2addr_b64 v[128:131], v160 offset0:58 offset1:59
	ds_load_2addr_b64 v[138:141], v160 offset0:60 offset1:61
	scratch_load_b128 v[40:43], off, off offset:4 ; 16-byte Folded Reload
	s_waitcnt lgkmcnt(1)
	v_mul_f64 v[239:240], v[130:131], v[158:159]
	v_add_f64 v[14:15], v[14:15], -v[237:238]
	s_delay_alu instid0(VALU_DEP_2) | instskip(SKIP_1) | instid1(VALU_DEP_2)
	v_fma_f64 v[239:240], v[128:129], v[136:137], -v[239:240]
	v_mul_f64 v[128:129], v[128:129], v[158:159]
	v_add_f64 v[8:9], v[8:9], -v[239:240]
	s_delay_alu instid0(VALU_DEP_2) | instskip(SKIP_2) | instid1(VALU_DEP_2)
	v_fma_f64 v[116:117], v[130:131], v[136:137], v[128:129]
	s_waitcnt lgkmcnt(0)
	v_mul_f64 v[128:129], v[140:141], v[158:159]
	v_add_f64 v[10:11], v[10:11], -v[116:117]
	s_delay_alu instid0(VALU_DEP_2) | instskip(SKIP_1) | instid1(VALU_DEP_2)
	v_fma_f64 v[118:119], v[138:139], v[136:137], -v[128:129]
	v_mul_f64 v[128:129], v[138:139], v[158:159]
	v_add_f64 v[4:5], v[4:5], -v[118:119]
	s_delay_alu instid0(VALU_DEP_2)
	v_fma_f64 v[138:139], v[140:141], v[136:137], v[128:129]
	ds_load_2addr_b64 v[128:131], v160 offset0:62 offset1:63
	v_dual_mov_b32 v118, v249 :: v_dual_mov_b32 v119, v250
	s_waitcnt lgkmcnt(0)
	v_mul_f64 v[140:141], v[130:131], v[158:159]
	v_add_f64 v[6:7], v[6:7], -v[138:139]
	s_delay_alu instid0(VALU_DEP_2) | instskip(SKIP_1) | instid1(VALU_DEP_2)
	v_fma_f64 v[140:141], v[128:129], v[136:137], -v[140:141]
	v_mul_f64 v[128:129], v[128:129], v[158:159]
	v_add_f64 v[0:1], v[0:1], -v[140:141]
	s_delay_alu instid0(VALU_DEP_2) | instskip(NEXT) | instid1(VALU_DEP_1)
	v_fma_f64 v[128:129], v[130:131], v[136:137], v[128:129]
	v_add_f64 v[2:3], v[2:3], -v[128:129]
	s_waitcnt vmcnt(0)
	v_add_f64 v[40:41], v[40:41], -v[44:45]
	v_add_f64 v[42:43], v[42:43], -v[46:47]
	scratch_store_b128 off, v[40:43], off offset:4 ; 16-byte Folded Spill
	v_dual_mov_b32 v42, v158 :: v_dual_mov_b32 v43, v159
	v_dual_mov_b32 v40, v136 :: v_dual_mov_b32 v41, v137
	scratch_store_b128 off, v[40:43], off offset:20 ; 16-byte Folded Spill
.LBB62_62:
	s_or_b32 exec_lo, exec_lo, s2
	v_lshl_add_u32 v40, v162, 4, v160
	s_waitcnt_vscnt null, 0x0
	s_barrier
	buffer_gl0_inv
	v_mov_b32_e32 v136, 3
	ds_store_2addr_b64 v40, v[124:125], v[126:127] offset1:1
	s_waitcnt lgkmcnt(0)
	s_barrier
	buffer_gl0_inv
	ds_load_2addr_b64 v[128:131], v160 offset0:6 offset1:7
	s_cmp_lt_i32 s5, 5
	s_mov_b32 s6, 4
	s_cbranch_scc1 .LBB62_65
; %bb.63:
	v_add3_u32 v137, v156, 0, 64
	v_mov_b32_e32 v136, 3
	s_set_inst_prefetch_distance 0x1
	.p2align	6
.LBB62_64:                              ; =>This Inner Loop Header: Depth=1
	ds_load_2addr_b64 v[138:141], v137 offset1:1
	s_waitcnt lgkmcnt(1)
	v_cmp_gt_f64_e32 vcc_lo, 0, v[128:129]
	v_xor_b32_e32 v40, 0x80000000, v129
	v_cmp_gt_f64_e64 s2, 0, v[130:131]
	v_xor_b32_e32 v42, 0x80000000, v131
	v_add_nc_u32_e32 v137, 16, v137
	s_waitcnt lgkmcnt(0)
	v_cmp_gt_f64_e64 s3, 0, v[138:139]
	v_mov_b32_e32 v44, v138
	v_dual_mov_b32 v46, v140 :: v_dual_cndmask_b32 v41, v129, v40
	v_xor_b32_e32 v40, 0x80000000, v139
	v_cndmask_b32_e64 v43, v131, v42, s2
	v_xor_b32_e32 v42, 0x80000000, v141
	s_delay_alu instid0(VALU_DEP_3) | instskip(SKIP_2) | instid1(VALU_DEP_2)
	v_cndmask_b32_e64 v45, v139, v40, s3
	v_cmp_gt_f64_e64 s3, 0, v[140:141]
	v_cndmask_b32_e32 v40, v128, v128, vcc_lo
	v_cndmask_b32_e64 v47, v141, v42, s3
	v_cndmask_b32_e64 v42, v130, v130, s2
	s_delay_alu instid0(VALU_DEP_2) | instskip(NEXT) | instid1(VALU_DEP_2)
	v_add_f64 v[44:45], v[44:45], v[46:47]
	v_add_f64 v[40:41], v[40:41], v[42:43]
	s_delay_alu instid0(VALU_DEP_1)
	v_cmp_lt_f64_e32 vcc_lo, v[40:41], v[44:45]
	v_cndmask_b32_e32 v131, v131, v141, vcc_lo
	v_dual_cndmask_b32 v129, v129, v139 :: v_dual_cndmask_b32 v128, v128, v138
	v_cndmask_b32_e32 v130, v130, v140, vcc_lo
	v_cndmask_b32_e64 v136, v136, s6, vcc_lo
	s_add_i32 s6, s6, 1
	s_delay_alu instid0(SALU_CYCLE_1)
	s_cmp_lg_u32 s5, s6
	s_cbranch_scc1 .LBB62_64
.LBB62_65:
	s_set_inst_prefetch_distance 0x2
	s_waitcnt lgkmcnt(0)
	v_cmp_eq_f64_e32 vcc_lo, 0, v[128:129]
	v_cmp_eq_f64_e64 s2, 0, v[130:131]
	s_delay_alu instid0(VALU_DEP_1) | instskip(NEXT) | instid1(SALU_CYCLE_1)
	s_and_b32 s2, vcc_lo, s2
	s_and_saveexec_b32 s3, s2
	s_delay_alu instid0(SALU_CYCLE_1)
	s_xor_b32 s2, exec_lo, s3
; %bb.66:
	v_cmp_ne_u32_e32 vcc_lo, 0, v255
	v_cndmask_b32_e32 v255, 4, v255, vcc_lo
; %bb.67:
	s_and_not1_saveexec_b32 s3, s2
	s_cbranch_execz .LBB62_73
; %bb.68:
	v_cmp_gt_f64_e32 vcc_lo, 0, v[128:129]
	v_cmp_gt_f64_e64 s2, 0, v[130:131]
	v_xor_b32_e32 v40, 0x80000000, v129
	v_xor_b32_e32 v42, 0x80000000, v131
	s_delay_alu instid0(VALU_DEP_2) | instskip(NEXT) | instid1(VALU_DEP_2)
	v_cndmask_b32_e32 v41, v129, v40, vcc_lo
	v_cndmask_b32_e64 v43, v131, v42, s2
	v_cndmask_b32_e32 v40, v128, v128, vcc_lo
	v_cndmask_b32_e64 v42, v130, v130, s2
	s_mov_b32 s2, exec_lo
	s_delay_alu instid0(VALU_DEP_1)
	v_cmpx_ngt_f64_e32 v[40:41], v[42:43]
	s_xor_b32 s2, exec_lo, s2
	s_cbranch_execz .LBB62_70
; %bb.69:
	v_div_scale_f64 v[40:41], null, v[130:131], v[130:131], v[128:129]
	v_div_scale_f64 v[46:47], vcc_lo, v[128:129], v[130:131], v[128:129]
	s_delay_alu instid0(VALU_DEP_2) | instskip(SKIP_2) | instid1(VALU_DEP_1)
	v_rcp_f64_e32 v[42:43], v[40:41]
	s_waitcnt_depctr 0xfff
	v_fma_f64 v[44:45], -v[40:41], v[42:43], 1.0
	v_fma_f64 v[42:43], v[42:43], v[44:45], v[42:43]
	s_delay_alu instid0(VALU_DEP_1) | instskip(NEXT) | instid1(VALU_DEP_1)
	v_fma_f64 v[44:45], -v[40:41], v[42:43], 1.0
	v_fma_f64 v[42:43], v[42:43], v[44:45], v[42:43]
	s_delay_alu instid0(VALU_DEP_1) | instskip(NEXT) | instid1(VALU_DEP_1)
	v_mul_f64 v[44:45], v[46:47], v[42:43]
	v_fma_f64 v[40:41], -v[40:41], v[44:45], v[46:47]
	s_delay_alu instid0(VALU_DEP_1) | instskip(NEXT) | instid1(VALU_DEP_1)
	v_div_fmas_f64 v[40:41], v[40:41], v[42:43], v[44:45]
	v_div_fixup_f64 v[40:41], v[40:41], v[130:131], v[128:129]
	s_delay_alu instid0(VALU_DEP_1) | instskip(NEXT) | instid1(VALU_DEP_1)
	v_fma_f64 v[42:43], v[128:129], v[40:41], v[130:131]
	v_div_scale_f64 v[44:45], null, v[42:43], v[42:43], 1.0
	s_delay_alu instid0(VALU_DEP_1) | instskip(SKIP_2) | instid1(VALU_DEP_1)
	v_rcp_f64_e32 v[46:47], v[44:45]
	s_waitcnt_depctr 0xfff
	v_fma_f64 v[128:129], -v[44:45], v[46:47], 1.0
	v_fma_f64 v[46:47], v[46:47], v[128:129], v[46:47]
	s_delay_alu instid0(VALU_DEP_1) | instskip(NEXT) | instid1(VALU_DEP_1)
	v_fma_f64 v[128:129], -v[44:45], v[46:47], 1.0
	v_fma_f64 v[46:47], v[46:47], v[128:129], v[46:47]
	v_div_scale_f64 v[128:129], vcc_lo, 1.0, v[42:43], 1.0
	s_delay_alu instid0(VALU_DEP_1) | instskip(NEXT) | instid1(VALU_DEP_1)
	v_mul_f64 v[130:131], v[128:129], v[46:47]
	v_fma_f64 v[44:45], -v[44:45], v[130:131], v[128:129]
	s_delay_alu instid0(VALU_DEP_1) | instskip(NEXT) | instid1(VALU_DEP_1)
	v_div_fmas_f64 v[44:45], v[44:45], v[46:47], v[130:131]
	v_div_fixup_f64 v[130:131], v[44:45], v[42:43], 1.0
	s_delay_alu instid0(VALU_DEP_1)
	v_mul_f64 v[128:129], v[40:41], v[130:131]
	v_xor_b32_e32 v131, 0x80000000, v131
.LBB62_70:
	s_and_not1_saveexec_b32 s2, s2
	s_cbranch_execz .LBB62_72
; %bb.71:
	s_delay_alu instid0(VALU_DEP_1) | instskip(SKIP_1) | instid1(VALU_DEP_2)
	v_div_scale_f64 v[40:41], null, v[128:129], v[128:129], v[130:131]
	v_div_scale_f64 v[46:47], vcc_lo, v[130:131], v[128:129], v[130:131]
	v_rcp_f64_e32 v[42:43], v[40:41]
	s_waitcnt_depctr 0xfff
	v_fma_f64 v[44:45], -v[40:41], v[42:43], 1.0
	s_delay_alu instid0(VALU_DEP_1) | instskip(NEXT) | instid1(VALU_DEP_1)
	v_fma_f64 v[42:43], v[42:43], v[44:45], v[42:43]
	v_fma_f64 v[44:45], -v[40:41], v[42:43], 1.0
	s_delay_alu instid0(VALU_DEP_1) | instskip(NEXT) | instid1(VALU_DEP_1)
	v_fma_f64 v[42:43], v[42:43], v[44:45], v[42:43]
	v_mul_f64 v[44:45], v[46:47], v[42:43]
	s_delay_alu instid0(VALU_DEP_1) | instskip(NEXT) | instid1(VALU_DEP_1)
	v_fma_f64 v[40:41], -v[40:41], v[44:45], v[46:47]
	v_div_fmas_f64 v[40:41], v[40:41], v[42:43], v[44:45]
	s_delay_alu instid0(VALU_DEP_1) | instskip(NEXT) | instid1(VALU_DEP_1)
	v_div_fixup_f64 v[40:41], v[40:41], v[128:129], v[130:131]
	v_fma_f64 v[42:43], v[130:131], v[40:41], v[128:129]
	s_delay_alu instid0(VALU_DEP_1) | instskip(NEXT) | instid1(VALU_DEP_1)
	v_div_scale_f64 v[44:45], null, v[42:43], v[42:43], 1.0
	v_rcp_f64_e32 v[46:47], v[44:45]
	s_waitcnt_depctr 0xfff
	v_fma_f64 v[128:129], -v[44:45], v[46:47], 1.0
	s_delay_alu instid0(VALU_DEP_1) | instskip(NEXT) | instid1(VALU_DEP_1)
	v_fma_f64 v[46:47], v[46:47], v[128:129], v[46:47]
	v_fma_f64 v[128:129], -v[44:45], v[46:47], 1.0
	s_delay_alu instid0(VALU_DEP_1) | instskip(SKIP_1) | instid1(VALU_DEP_1)
	v_fma_f64 v[46:47], v[46:47], v[128:129], v[46:47]
	v_div_scale_f64 v[128:129], vcc_lo, 1.0, v[42:43], 1.0
	v_mul_f64 v[130:131], v[128:129], v[46:47]
	s_delay_alu instid0(VALU_DEP_1) | instskip(NEXT) | instid1(VALU_DEP_1)
	v_fma_f64 v[44:45], -v[44:45], v[130:131], v[128:129]
	v_div_fmas_f64 v[44:45], v[44:45], v[46:47], v[130:131]
	s_delay_alu instid0(VALU_DEP_1) | instskip(NEXT) | instid1(VALU_DEP_1)
	v_div_fixup_f64 v[128:129], v[44:45], v[42:43], 1.0
	v_mul_f64 v[130:131], v[40:41], -v[128:129]
.LBB62_72:
	s_or_b32 exec_lo, exec_lo, s2
.LBB62_73:
	s_delay_alu instid0(SALU_CYCLE_1) | instskip(NEXT) | instid1(SALU_CYCLE_1)
	s_or_b32 exec_lo, exec_lo, s3
	s_mov_b32 s2, exec_lo
	v_cmpx_ne_u32_e64 v162, v136
	s_xor_b32 s2, exec_lo, s2
	s_cbranch_execz .LBB62_79
; %bb.74:
	s_mov_b32 s3, exec_lo
	v_cmpx_eq_u32_e32 3, v162
	s_cbranch_execz .LBB62_78
; %bb.75:
	v_cmp_ne_u32_e32 vcc_lo, 3, v136
	s_xor_b32 s6, s4, -1
	s_delay_alu instid0(SALU_CYCLE_1) | instskip(NEXT) | instid1(SALU_CYCLE_1)
	s_and_b32 s7, s6, vcc_lo
	s_and_saveexec_b32 s6, s7
	s_cbranch_execz .LBB62_77
; %bb.76:
	v_ashrrev_i32_e32 v137, 31, v136
	s_delay_alu instid0(VALU_DEP_1) | instskip(NEXT) | instid1(VALU_DEP_1)
	v_lshlrev_b64 v[40:41], 2, v[136:137]
	v_add_co_u32 v40, vcc_lo, v118, v40
	s_delay_alu instid0(VALU_DEP_2)
	v_add_co_ci_u32_e32 v41, vcc_lo, v119, v41, vcc_lo
	s_clause 0x1
	flat_load_b32 v42, v[40:41]
	flat_load_b32 v43, v[118:119] offset:12
	s_waitcnt vmcnt(1) lgkmcnt(1)
	flat_store_b32 v[118:119], v42 offset:12
	s_waitcnt vmcnt(0) lgkmcnt(1)
	flat_store_b32 v[40:41], v43
.LBB62_77:
	s_or_b32 exec_lo, exec_lo, s6
	v_mov_b32_e32 v162, v136
	v_mov_b32_e32 v40, v136
	scratch_store_b32 off, v40, off         ; 4-byte Folded Spill
.LBB62_78:
	s_or_b32 exec_lo, exec_lo, s3
.LBB62_79:
	s_and_not1_saveexec_b32 s2, s2
	s_cbranch_execz .LBB62_81
; %bb.80:
	scratch_load_b128 v[40:43], off, off offset:4 ; 16-byte Folded Reload
	v_mov_b32_e32 v162, 3
	s_waitcnt vmcnt(0)
	ds_store_2addr_b64 v160, v[40:41], v[42:43] offset0:8 offset1:9
	ds_store_2addr_b64 v160, v[100:101], v[102:103] offset0:10 offset1:11
	;; [unrolled: 1-line block ×28, first 2 shown]
.LBB62_81:
	s_or_b32 exec_lo, exec_lo, s2
	s_delay_alu instid0(SALU_CYCLE_1)
	s_mov_b32 s2, exec_lo
	s_waitcnt lgkmcnt(0)
	s_waitcnt_vscnt null, 0x0
	s_barrier
	buffer_gl0_inv
	v_cmpx_lt_i32_e32 3, v162
	s_cbranch_execz .LBB62_83
; %bb.82:
	v_mul_f64 v[40:41], v[130:131], v[126:127]
	s_delay_alu instid0(VALU_DEP_1) | instskip(SKIP_1) | instid1(VALU_DEP_1)
	v_fma_f64 v[136:137], v[128:129], v[124:125], -v[40:41]
	v_mul_f64 v[40:41], v[128:129], v[126:127]
	v_fma_f64 v[126:127], v[130:131], v[124:125], v[40:41]
	ds_load_2addr_b64 v[128:131], v160 offset0:8 offset1:9
	ds_load_2addr_b64 v[138:141], v160 offset0:10 offset1:11
	v_dual_mov_b32 v124, v136 :: v_dual_mov_b32 v125, v137
	s_waitcnt lgkmcnt(1)
	v_mul_f64 v[40:41], v[130:131], v[126:127]
	v_mul_f64 v[42:43], v[128:129], v[126:127]
	s_waitcnt lgkmcnt(0)
	v_mul_f64 v[44:45], v[140:141], v[126:127]
	v_mul_f64 v[46:47], v[138:139], v[126:127]
	s_delay_alu instid0(VALU_DEP_4) | instskip(NEXT) | instid1(VALU_DEP_4)
	v_fma_f64 v[40:41], v[128:129], v[136:137], -v[40:41]
	v_fma_f64 v[42:43], v[130:131], v[136:137], v[42:43]
	s_delay_alu instid0(VALU_DEP_4) | instskip(NEXT) | instid1(VALU_DEP_4)
	v_fma_f64 v[44:45], v[138:139], v[136:137], -v[44:45]
	v_fma_f64 v[46:47], v[140:141], v[136:137], v[46:47]
	ds_load_2addr_b64 v[128:131], v160 offset0:12 offset1:13
	ds_load_2addr_b64 v[138:141], v160 offset0:14 offset1:15
	s_waitcnt lgkmcnt(1)
	v_mul_f64 v[116:117], v[130:131], v[126:127]
	v_add_f64 v[100:101], v[100:101], -v[44:45]
	v_add_f64 v[102:103], v[102:103], -v[46:47]
	s_delay_alu instid0(VALU_DEP_3) | instskip(SKIP_1) | instid1(VALU_DEP_2)
	v_fma_f64 v[116:117], v[128:129], v[136:137], -v[116:117]
	v_mul_f64 v[128:129], v[128:129], v[126:127]
	v_add_f64 v[104:105], v[104:105], -v[116:117]
	s_delay_alu instid0(VALU_DEP_2) | instskip(SKIP_2) | instid1(VALU_DEP_2)
	v_fma_f64 v[132:133], v[130:131], v[136:137], v[128:129]
	s_waitcnt lgkmcnt(0)
	v_mul_f64 v[128:129], v[140:141], v[126:127]
	v_add_f64 v[106:107], v[106:107], -v[132:133]
	s_delay_alu instid0(VALU_DEP_2) | instskip(SKIP_1) | instid1(VALU_DEP_2)
	v_fma_f64 v[134:135], v[138:139], v[136:137], -v[128:129]
	v_mul_f64 v[128:129], v[138:139], v[126:127]
	v_add_f64 v[76:77], v[76:77], -v[134:135]
	s_delay_alu instid0(VALU_DEP_2)
	v_fma_f64 v[142:143], v[140:141], v[136:137], v[128:129]
	ds_load_2addr_b64 v[128:131], v160 offset0:16 offset1:17
	ds_load_2addr_b64 v[138:141], v160 offset0:18 offset1:19
	s_waitcnt lgkmcnt(1)
	v_mul_f64 v[144:145], v[130:131], v[126:127]
	v_add_f64 v[78:79], v[78:79], -v[142:143]
	s_delay_alu instid0(VALU_DEP_2) | instskip(SKIP_1) | instid1(VALU_DEP_2)
	v_fma_f64 v[144:145], v[128:129], v[136:137], -v[144:145]
	v_mul_f64 v[128:129], v[128:129], v[126:127]
	v_add_f64 v[96:97], v[96:97], -v[144:145]
	s_delay_alu instid0(VALU_DEP_2) | instskip(SKIP_2) | instid1(VALU_DEP_2)
	v_fma_f64 v[146:147], v[130:131], v[136:137], v[128:129]
	s_waitcnt lgkmcnt(0)
	v_mul_f64 v[128:129], v[140:141], v[126:127]
	v_add_f64 v[98:99], v[98:99], -v[146:147]
	s_delay_alu instid0(VALU_DEP_2) | instskip(SKIP_1) | instid1(VALU_DEP_2)
	v_fma_f64 v[148:149], v[138:139], v[136:137], -v[128:129]
	v_mul_f64 v[128:129], v[138:139], v[126:127]
	v_add_f64 v[92:93], v[92:93], -v[148:149]
	s_delay_alu instid0(VALU_DEP_2)
	v_fma_f64 v[150:151], v[140:141], v[136:137], v[128:129]
	ds_load_2addr_b64 v[128:131], v160 offset0:20 offset1:21
	ds_load_2addr_b64 v[138:141], v160 offset0:22 offset1:23
	s_waitcnt lgkmcnt(1)
	v_mul_f64 v[152:153], v[130:131], v[126:127]
	v_add_f64 v[94:95], v[94:95], -v[150:151]
	s_delay_alu instid0(VALU_DEP_2) | instskip(SKIP_1) | instid1(VALU_DEP_2)
	;; [unrolled: 20-line block ×11, first 2 shown]
	v_fma_f64 v[231:232], v[128:129], v[136:137], -v[231:232]
	v_mul_f64 v[128:129], v[128:129], v[126:127]
	v_add_f64 v[12:13], v[12:13], -v[231:232]
	s_delay_alu instid0(VALU_DEP_2) | instskip(SKIP_2) | instid1(VALU_DEP_2)
	v_fma_f64 v[233:234], v[130:131], v[136:137], v[128:129]
	s_waitcnt lgkmcnt(0)
	v_mul_f64 v[128:129], v[140:141], v[126:127]
	v_add_f64 v[14:15], v[14:15], -v[233:234]
	s_delay_alu instid0(VALU_DEP_2) | instskip(SKIP_1) | instid1(VALU_DEP_2)
	v_fma_f64 v[235:236], v[138:139], v[136:137], -v[128:129]
	v_mul_f64 v[128:129], v[138:139], v[126:127]
	v_add_f64 v[8:9], v[8:9], -v[235:236]
	s_delay_alu instid0(VALU_DEP_2)
	v_fma_f64 v[237:238], v[140:141], v[136:137], v[128:129]
	ds_load_2addr_b64 v[128:131], v160 offset0:60 offset1:61
	ds_load_2addr_b64 v[138:141], v160 offset0:62 offset1:63
	scratch_load_b128 v[245:248], off, off offset:4 ; 16-byte Folded Reload
	s_waitcnt lgkmcnt(1)
	v_mul_f64 v[239:240], v[130:131], v[126:127]
	v_add_f64 v[10:11], v[10:11], -v[237:238]
	s_delay_alu instid0(VALU_DEP_2) | instskip(SKIP_1) | instid1(VALU_DEP_2)
	v_fma_f64 v[239:240], v[128:129], v[136:137], -v[239:240]
	v_mul_f64 v[128:129], v[128:129], v[126:127]
	v_add_f64 v[4:5], v[4:5], -v[239:240]
	s_delay_alu instid0(VALU_DEP_2) | instskip(SKIP_2) | instid1(VALU_DEP_2)
	v_fma_f64 v[128:129], v[130:131], v[136:137], v[128:129]
	s_waitcnt lgkmcnt(0)
	v_mul_f64 v[130:131], v[140:141], v[126:127]
	v_add_f64 v[6:7], v[6:7], -v[128:129]
	s_delay_alu instid0(VALU_DEP_2) | instskip(SKIP_1) | instid1(VALU_DEP_2)
	v_fma_f64 v[130:131], v[138:139], v[136:137], -v[130:131]
	v_mul_f64 v[138:139], v[138:139], v[126:127]
	v_add_f64 v[0:1], v[0:1], -v[130:131]
	s_delay_alu instid0(VALU_DEP_2) | instskip(NEXT) | instid1(VALU_DEP_1)
	v_fma_f64 v[138:139], v[140:141], v[136:137], v[138:139]
	v_add_f64 v[2:3], v[2:3], -v[138:139]
	s_waitcnt vmcnt(0)
	v_add_f64 v[245:246], v[245:246], -v[40:41]
	v_add_f64 v[247:248], v[247:248], -v[42:43]
	scratch_store_b128 off, v[245:248], off offset:4 ; 16-byte Folded Spill
.LBB62_83:
	s_or_b32 exec_lo, exec_lo, s2
	s_waitcnt_vscnt null, 0x0
	s_barrier
	buffer_gl0_inv
	scratch_load_b128 v[41:44], off, off offset:4 ; 16-byte Folded Reload
	v_lshl_add_u32 v40, v162, 4, v160
	v_mov_b32_e32 v136, 4
	s_cmp_lt_i32 s5, 6
	s_waitcnt vmcnt(0)
	ds_store_2addr_b64 v40, v[41:42], v[43:44] offset1:1
	s_waitcnt lgkmcnt(0)
	s_barrier
	buffer_gl0_inv
	ds_load_2addr_b64 v[128:131], v160 offset0:8 offset1:9
	s_cbranch_scc1 .LBB62_86
; %bb.84:
	v_add3_u32 v137, v156, 0, 0x50
	v_mov_b32_e32 v136, 4
	s_mov_b32 s6, 5
	s_set_inst_prefetch_distance 0x1
	.p2align	6
.LBB62_85:                              ; =>This Inner Loop Header: Depth=1
	ds_load_2addr_b64 v[138:141], v137 offset1:1
	s_waitcnt lgkmcnt(1)
	v_cmp_gt_f64_e32 vcc_lo, 0, v[128:129]
	v_xor_b32_e32 v40, 0x80000000, v129
	v_cmp_gt_f64_e64 s2, 0, v[130:131]
	v_xor_b32_e32 v42, 0x80000000, v131
	v_add_nc_u32_e32 v137, 16, v137
	s_waitcnt lgkmcnt(0)
	v_cmp_gt_f64_e64 s3, 0, v[138:139]
	v_mov_b32_e32 v44, v138
	v_dual_mov_b32 v46, v140 :: v_dual_cndmask_b32 v41, v129, v40
	v_xor_b32_e32 v40, 0x80000000, v139
	v_cndmask_b32_e64 v43, v131, v42, s2
	v_xor_b32_e32 v42, 0x80000000, v141
	s_delay_alu instid0(VALU_DEP_3) | instskip(SKIP_2) | instid1(VALU_DEP_2)
	v_cndmask_b32_e64 v45, v139, v40, s3
	v_cmp_gt_f64_e64 s3, 0, v[140:141]
	v_cndmask_b32_e32 v40, v128, v128, vcc_lo
	v_cndmask_b32_e64 v47, v141, v42, s3
	v_cndmask_b32_e64 v42, v130, v130, s2
	s_delay_alu instid0(VALU_DEP_2) | instskip(NEXT) | instid1(VALU_DEP_2)
	v_add_f64 v[44:45], v[44:45], v[46:47]
	v_add_f64 v[40:41], v[40:41], v[42:43]
	s_delay_alu instid0(VALU_DEP_1)
	v_cmp_lt_f64_e32 vcc_lo, v[40:41], v[44:45]
	v_cndmask_b32_e32 v131, v131, v141, vcc_lo
	v_dual_cndmask_b32 v129, v129, v139 :: v_dual_cndmask_b32 v128, v128, v138
	v_cndmask_b32_e32 v130, v130, v140, vcc_lo
	v_cndmask_b32_e64 v136, v136, s6, vcc_lo
	s_add_i32 s6, s6, 1
	s_delay_alu instid0(SALU_CYCLE_1)
	s_cmp_lg_u32 s5, s6
	s_cbranch_scc1 .LBB62_85
.LBB62_86:
	s_set_inst_prefetch_distance 0x2
	s_waitcnt lgkmcnt(0)
	v_cmp_eq_f64_e32 vcc_lo, 0, v[128:129]
	v_cmp_eq_f64_e64 s2, 0, v[130:131]
	s_delay_alu instid0(VALU_DEP_1) | instskip(NEXT) | instid1(SALU_CYCLE_1)
	s_and_b32 s2, vcc_lo, s2
	s_and_saveexec_b32 s3, s2
	s_delay_alu instid0(SALU_CYCLE_1)
	s_xor_b32 s2, exec_lo, s3
; %bb.87:
	v_cmp_ne_u32_e32 vcc_lo, 0, v255
	v_cndmask_b32_e32 v255, 5, v255, vcc_lo
; %bb.88:
	s_and_not1_saveexec_b32 s3, s2
	s_cbranch_execz .LBB62_94
; %bb.89:
	v_cmp_gt_f64_e32 vcc_lo, 0, v[128:129]
	v_cmp_gt_f64_e64 s2, 0, v[130:131]
	v_xor_b32_e32 v40, 0x80000000, v129
	v_xor_b32_e32 v42, 0x80000000, v131
	s_delay_alu instid0(VALU_DEP_2) | instskip(NEXT) | instid1(VALU_DEP_2)
	v_cndmask_b32_e32 v41, v129, v40, vcc_lo
	v_cndmask_b32_e64 v43, v131, v42, s2
	v_cndmask_b32_e32 v40, v128, v128, vcc_lo
	v_cndmask_b32_e64 v42, v130, v130, s2
	s_mov_b32 s2, exec_lo
	s_delay_alu instid0(VALU_DEP_1)
	v_cmpx_ngt_f64_e32 v[40:41], v[42:43]
	s_xor_b32 s2, exec_lo, s2
	s_cbranch_execz .LBB62_91
; %bb.90:
	v_div_scale_f64 v[40:41], null, v[130:131], v[130:131], v[128:129]
	v_div_scale_f64 v[46:47], vcc_lo, v[128:129], v[130:131], v[128:129]
	s_delay_alu instid0(VALU_DEP_2) | instskip(SKIP_2) | instid1(VALU_DEP_1)
	v_rcp_f64_e32 v[42:43], v[40:41]
	s_waitcnt_depctr 0xfff
	v_fma_f64 v[44:45], -v[40:41], v[42:43], 1.0
	v_fma_f64 v[42:43], v[42:43], v[44:45], v[42:43]
	s_delay_alu instid0(VALU_DEP_1) | instskip(NEXT) | instid1(VALU_DEP_1)
	v_fma_f64 v[44:45], -v[40:41], v[42:43], 1.0
	v_fma_f64 v[42:43], v[42:43], v[44:45], v[42:43]
	s_delay_alu instid0(VALU_DEP_1) | instskip(NEXT) | instid1(VALU_DEP_1)
	v_mul_f64 v[44:45], v[46:47], v[42:43]
	v_fma_f64 v[40:41], -v[40:41], v[44:45], v[46:47]
	s_delay_alu instid0(VALU_DEP_1) | instskip(NEXT) | instid1(VALU_DEP_1)
	v_div_fmas_f64 v[40:41], v[40:41], v[42:43], v[44:45]
	v_div_fixup_f64 v[40:41], v[40:41], v[130:131], v[128:129]
	s_delay_alu instid0(VALU_DEP_1) | instskip(NEXT) | instid1(VALU_DEP_1)
	v_fma_f64 v[42:43], v[128:129], v[40:41], v[130:131]
	v_div_scale_f64 v[44:45], null, v[42:43], v[42:43], 1.0
	s_delay_alu instid0(VALU_DEP_1) | instskip(SKIP_2) | instid1(VALU_DEP_1)
	v_rcp_f64_e32 v[46:47], v[44:45]
	s_waitcnt_depctr 0xfff
	v_fma_f64 v[128:129], -v[44:45], v[46:47], 1.0
	v_fma_f64 v[46:47], v[46:47], v[128:129], v[46:47]
	s_delay_alu instid0(VALU_DEP_1) | instskip(NEXT) | instid1(VALU_DEP_1)
	v_fma_f64 v[128:129], -v[44:45], v[46:47], 1.0
	v_fma_f64 v[46:47], v[46:47], v[128:129], v[46:47]
	v_div_scale_f64 v[128:129], vcc_lo, 1.0, v[42:43], 1.0
	s_delay_alu instid0(VALU_DEP_1) | instskip(NEXT) | instid1(VALU_DEP_1)
	v_mul_f64 v[130:131], v[128:129], v[46:47]
	v_fma_f64 v[44:45], -v[44:45], v[130:131], v[128:129]
	s_delay_alu instid0(VALU_DEP_1) | instskip(NEXT) | instid1(VALU_DEP_1)
	v_div_fmas_f64 v[44:45], v[44:45], v[46:47], v[130:131]
	v_div_fixup_f64 v[130:131], v[44:45], v[42:43], 1.0
	s_delay_alu instid0(VALU_DEP_1)
	v_mul_f64 v[128:129], v[40:41], v[130:131]
	v_xor_b32_e32 v131, 0x80000000, v131
.LBB62_91:
	s_and_not1_saveexec_b32 s2, s2
	s_cbranch_execz .LBB62_93
; %bb.92:
	s_delay_alu instid0(VALU_DEP_1) | instskip(SKIP_1) | instid1(VALU_DEP_2)
	v_div_scale_f64 v[40:41], null, v[128:129], v[128:129], v[130:131]
	v_div_scale_f64 v[46:47], vcc_lo, v[130:131], v[128:129], v[130:131]
	v_rcp_f64_e32 v[42:43], v[40:41]
	s_waitcnt_depctr 0xfff
	v_fma_f64 v[44:45], -v[40:41], v[42:43], 1.0
	s_delay_alu instid0(VALU_DEP_1) | instskip(NEXT) | instid1(VALU_DEP_1)
	v_fma_f64 v[42:43], v[42:43], v[44:45], v[42:43]
	v_fma_f64 v[44:45], -v[40:41], v[42:43], 1.0
	s_delay_alu instid0(VALU_DEP_1) | instskip(NEXT) | instid1(VALU_DEP_1)
	v_fma_f64 v[42:43], v[42:43], v[44:45], v[42:43]
	v_mul_f64 v[44:45], v[46:47], v[42:43]
	s_delay_alu instid0(VALU_DEP_1) | instskip(NEXT) | instid1(VALU_DEP_1)
	v_fma_f64 v[40:41], -v[40:41], v[44:45], v[46:47]
	v_div_fmas_f64 v[40:41], v[40:41], v[42:43], v[44:45]
	s_delay_alu instid0(VALU_DEP_1) | instskip(NEXT) | instid1(VALU_DEP_1)
	v_div_fixup_f64 v[40:41], v[40:41], v[128:129], v[130:131]
	v_fma_f64 v[42:43], v[130:131], v[40:41], v[128:129]
	s_delay_alu instid0(VALU_DEP_1) | instskip(NEXT) | instid1(VALU_DEP_1)
	v_div_scale_f64 v[44:45], null, v[42:43], v[42:43], 1.0
	v_rcp_f64_e32 v[46:47], v[44:45]
	s_waitcnt_depctr 0xfff
	v_fma_f64 v[128:129], -v[44:45], v[46:47], 1.0
	s_delay_alu instid0(VALU_DEP_1) | instskip(NEXT) | instid1(VALU_DEP_1)
	v_fma_f64 v[46:47], v[46:47], v[128:129], v[46:47]
	v_fma_f64 v[128:129], -v[44:45], v[46:47], 1.0
	s_delay_alu instid0(VALU_DEP_1) | instskip(SKIP_1) | instid1(VALU_DEP_1)
	v_fma_f64 v[46:47], v[46:47], v[128:129], v[46:47]
	v_div_scale_f64 v[128:129], vcc_lo, 1.0, v[42:43], 1.0
	v_mul_f64 v[130:131], v[128:129], v[46:47]
	s_delay_alu instid0(VALU_DEP_1) | instskip(NEXT) | instid1(VALU_DEP_1)
	v_fma_f64 v[44:45], -v[44:45], v[130:131], v[128:129]
	v_div_fmas_f64 v[44:45], v[44:45], v[46:47], v[130:131]
	s_delay_alu instid0(VALU_DEP_1) | instskip(NEXT) | instid1(VALU_DEP_1)
	v_div_fixup_f64 v[128:129], v[44:45], v[42:43], 1.0
	v_mul_f64 v[130:131], v[40:41], -v[128:129]
.LBB62_93:
	s_or_b32 exec_lo, exec_lo, s2
.LBB62_94:
	s_delay_alu instid0(SALU_CYCLE_1) | instskip(NEXT) | instid1(SALU_CYCLE_1)
	s_or_b32 exec_lo, exec_lo, s3
	s_mov_b32 s2, exec_lo
	v_cmpx_ne_u32_e64 v162, v136
	s_xor_b32 s2, exec_lo, s2
	s_cbranch_execz .LBB62_100
; %bb.95:
	s_mov_b32 s3, exec_lo
	v_cmpx_eq_u32_e32 4, v162
	s_cbranch_execz .LBB62_99
; %bb.96:
	v_cmp_ne_u32_e32 vcc_lo, 4, v136
	s_xor_b32 s6, s4, -1
	s_delay_alu instid0(SALU_CYCLE_1) | instskip(NEXT) | instid1(SALU_CYCLE_1)
	s_and_b32 s7, s6, vcc_lo
	s_and_saveexec_b32 s6, s7
	s_cbranch_execz .LBB62_98
; %bb.97:
	v_ashrrev_i32_e32 v137, 31, v136
	s_delay_alu instid0(VALU_DEP_1) | instskip(NEXT) | instid1(VALU_DEP_1)
	v_lshlrev_b64 v[40:41], 2, v[136:137]
	v_add_co_u32 v40, vcc_lo, v118, v40
	s_delay_alu instid0(VALU_DEP_2)
	v_add_co_ci_u32_e32 v41, vcc_lo, v119, v41, vcc_lo
	s_clause 0x1
	flat_load_b32 v42, v[40:41]
	flat_load_b32 v43, v[118:119] offset:16
	s_waitcnt vmcnt(1) lgkmcnt(1)
	flat_store_b32 v[118:119], v42 offset:16
	s_waitcnt vmcnt(0) lgkmcnt(1)
	flat_store_b32 v[40:41], v43
.LBB62_98:
	s_or_b32 exec_lo, exec_lo, s6
	v_mov_b32_e32 v162, v136
	v_mov_b32_e32 v40, v136
	scratch_store_b32 off, v40, off         ; 4-byte Folded Spill
.LBB62_99:
	s_or_b32 exec_lo, exec_lo, s3
.LBB62_100:
	s_and_not1_saveexec_b32 s2, s2
	s_cbranch_execz .LBB62_102
; %bb.101:
	v_mov_b32_e32 v162, 4
	ds_store_2addr_b64 v160, v[100:101], v[102:103] offset0:10 offset1:11
	ds_store_2addr_b64 v160, v[104:105], v[106:107] offset0:12 offset1:13
	;; [unrolled: 1-line block ×27, first 2 shown]
.LBB62_102:
	s_or_b32 exec_lo, exec_lo, s2
	s_delay_alu instid0(SALU_CYCLE_1)
	s_mov_b32 s2, exec_lo
	s_waitcnt lgkmcnt(0)
	s_waitcnt_vscnt null, 0x0
	s_barrier
	buffer_gl0_inv
	v_cmpx_lt_i32_e32 4, v162
	s_cbranch_execz .LBB62_104
; %bb.103:
	scratch_load_b128 v[245:248], off, off offset:4 ; 16-byte Folded Reload
	v_dual_mov_b32 v240, v127 :: v_dual_mov_b32 v239, v126
	v_dual_mov_b32 v238, v125 :: v_dual_mov_b32 v237, v124
	s_waitcnt vmcnt(0)
	v_mul_f64 v[40:41], v[130:131], v[247:248]
	s_delay_alu instid0(VALU_DEP_1) | instskip(SKIP_1) | instid1(VALU_DEP_1)
	v_fma_f64 v[136:137], v[128:129], v[245:246], -v[40:41]
	v_mul_f64 v[40:41], v[128:129], v[247:248]
	v_fma_f64 v[247:248], v[130:131], v[245:246], v[40:41]
	ds_load_2addr_b64 v[128:131], v160 offset0:10 offset1:11
	ds_load_2addr_b64 v[138:141], v160 offset0:12 offset1:13
	v_dual_mov_b32 v246, v137 :: v_dual_mov_b32 v245, v136
	s_waitcnt lgkmcnt(1)
	v_mul_f64 v[40:41], v[130:131], v[247:248]
	v_mul_f64 v[42:43], v[128:129], v[247:248]
	s_waitcnt lgkmcnt(0)
	v_mul_f64 v[44:45], v[140:141], v[247:248]
	v_mul_f64 v[46:47], v[138:139], v[247:248]
	s_delay_alu instid0(VALU_DEP_4) | instskip(NEXT) | instid1(VALU_DEP_4)
	v_fma_f64 v[40:41], v[128:129], v[136:137], -v[40:41]
	v_fma_f64 v[42:43], v[130:131], v[136:137], v[42:43]
	s_delay_alu instid0(VALU_DEP_4) | instskip(NEXT) | instid1(VALU_DEP_4)
	v_fma_f64 v[44:45], v[138:139], v[136:137], -v[44:45]
	v_fma_f64 v[46:47], v[140:141], v[136:137], v[46:47]
	ds_load_2addr_b64 v[128:131], v160 offset0:14 offset1:15
	ds_load_2addr_b64 v[138:141], v160 offset0:16 offset1:17
	s_waitcnt lgkmcnt(1)
	v_mul_f64 v[124:125], v[130:131], v[247:248]
	v_add_f64 v[100:101], v[100:101], -v[40:41]
	v_add_f64 v[102:103], v[102:103], -v[42:43]
	;; [unrolled: 1-line block ×4, first 2 shown]
	v_fma_f64 v[124:125], v[128:129], v[136:137], -v[124:125]
	v_mul_f64 v[128:129], v[128:129], v[247:248]
	s_delay_alu instid0(VALU_DEP_2) | instskip(NEXT) | instid1(VALU_DEP_2)
	v_add_f64 v[76:77], v[76:77], -v[124:125]
	v_fma_f64 v[132:133], v[130:131], v[136:137], v[128:129]
	s_waitcnt lgkmcnt(0)
	v_mul_f64 v[128:129], v[140:141], v[247:248]
	v_dual_mov_b32 v124, v237 :: v_dual_mov_b32 v125, v238
	v_dual_mov_b32 v126, v239 :: v_dual_mov_b32 v127, v240
	s_delay_alu instid0(VALU_DEP_4) | instskip(NEXT) | instid1(VALU_DEP_4)
	v_add_f64 v[78:79], v[78:79], -v[132:133]
	v_fma_f64 v[134:135], v[138:139], v[136:137], -v[128:129]
	v_mul_f64 v[128:129], v[138:139], v[247:248]
	s_delay_alu instid0(VALU_DEP_2) | instskip(NEXT) | instid1(VALU_DEP_2)
	v_add_f64 v[96:97], v[96:97], -v[134:135]
	v_fma_f64 v[142:143], v[140:141], v[136:137], v[128:129]
	ds_load_2addr_b64 v[128:131], v160 offset0:18 offset1:19
	ds_load_2addr_b64 v[138:141], v160 offset0:20 offset1:21
	s_waitcnt lgkmcnt(1)
	v_mul_f64 v[144:145], v[130:131], v[247:248]
	v_add_f64 v[98:99], v[98:99], -v[142:143]
	s_delay_alu instid0(VALU_DEP_2) | instskip(SKIP_1) | instid1(VALU_DEP_2)
	v_fma_f64 v[144:145], v[128:129], v[136:137], -v[144:145]
	v_mul_f64 v[128:129], v[128:129], v[247:248]
	v_add_f64 v[92:93], v[92:93], -v[144:145]
	s_delay_alu instid0(VALU_DEP_2) | instskip(SKIP_2) | instid1(VALU_DEP_2)
	v_fma_f64 v[146:147], v[130:131], v[136:137], v[128:129]
	s_waitcnt lgkmcnt(0)
	v_mul_f64 v[128:129], v[140:141], v[247:248]
	v_add_f64 v[94:95], v[94:95], -v[146:147]
	s_delay_alu instid0(VALU_DEP_2) | instskip(SKIP_1) | instid1(VALU_DEP_2)
	v_fma_f64 v[148:149], v[138:139], v[136:137], -v[128:129]
	v_mul_f64 v[128:129], v[138:139], v[247:248]
	v_add_f64 v[112:113], v[112:113], -v[148:149]
	s_delay_alu instid0(VALU_DEP_2)
	v_fma_f64 v[150:151], v[140:141], v[136:137], v[128:129]
	ds_load_2addr_b64 v[128:131], v160 offset0:22 offset1:23
	ds_load_2addr_b64 v[138:141], v160 offset0:24 offset1:25
	s_waitcnt lgkmcnt(1)
	v_mul_f64 v[152:153], v[130:131], v[247:248]
	v_add_f64 v[114:115], v[114:115], -v[150:151]
	s_delay_alu instid0(VALU_DEP_2) | instskip(SKIP_1) | instid1(VALU_DEP_2)
	v_fma_f64 v[152:153], v[128:129], v[136:137], -v[152:153]
	v_mul_f64 v[128:129], v[128:129], v[247:248]
	v_add_f64 v[108:109], v[108:109], -v[152:153]
	s_delay_alu instid0(VALU_DEP_2) | instskip(SKIP_2) | instid1(VALU_DEP_2)
	v_fma_f64 v[154:155], v[130:131], v[136:137], v[128:129]
	s_waitcnt lgkmcnt(0)
	v_mul_f64 v[128:129], v[140:141], v[247:248]
	v_add_f64 v[110:111], v[110:111], -v[154:155]
	s_delay_alu instid0(VALU_DEP_2) | instskip(SKIP_1) | instid1(VALU_DEP_2)
	v_fma_f64 v[163:164], v[138:139], v[136:137], -v[128:129]
	v_mul_f64 v[128:129], v[138:139], v[247:248]
	v_add_f64 v[88:89], v[88:89], -v[163:164]
	s_delay_alu instid0(VALU_DEP_2)
	;; [unrolled: 20-line block ×10, first 2 shown]
	v_fma_f64 v[229:230], v[140:141], v[136:137], v[128:129]
	ds_load_2addr_b64 v[128:131], v160 offset0:58 offset1:59
	ds_load_2addr_b64 v[138:141], v160 offset0:60 offset1:61
	scratch_store_b128 off, v[245:248], off offset:4 ; 16-byte Folded Spill
	s_waitcnt lgkmcnt(1)
	v_mul_f64 v[231:232], v[130:131], v[247:248]
	v_add_f64 v[14:15], v[14:15], -v[229:230]
	s_delay_alu instid0(VALU_DEP_2) | instskip(SKIP_1) | instid1(VALU_DEP_2)
	v_fma_f64 v[231:232], v[128:129], v[136:137], -v[231:232]
	v_mul_f64 v[128:129], v[128:129], v[247:248]
	v_add_f64 v[8:9], v[8:9], -v[231:232]
	s_delay_alu instid0(VALU_DEP_2) | instskip(SKIP_2) | instid1(VALU_DEP_2)
	v_fma_f64 v[233:234], v[130:131], v[136:137], v[128:129]
	s_waitcnt lgkmcnt(0)
	v_mul_f64 v[128:129], v[140:141], v[247:248]
	v_add_f64 v[10:11], v[10:11], -v[233:234]
	s_delay_alu instid0(VALU_DEP_2) | instskip(SKIP_1) | instid1(VALU_DEP_2)
	v_fma_f64 v[235:236], v[138:139], v[136:137], -v[128:129]
	v_mul_f64 v[128:129], v[138:139], v[247:248]
	v_add_f64 v[4:5], v[4:5], -v[235:236]
	s_delay_alu instid0(VALU_DEP_2) | instskip(SKIP_4) | instid1(VALU_DEP_2)
	v_fma_f64 v[138:139], v[140:141], v[136:137], v[128:129]
	ds_load_2addr_b64 v[128:131], v160 offset0:62 offset1:63
	s_waitcnt lgkmcnt(0)
	v_mul_f64 v[140:141], v[130:131], v[247:248]
	v_add_f64 v[6:7], v[6:7], -v[138:139]
	v_fma_f64 v[140:141], v[128:129], v[136:137], -v[140:141]
	v_mul_f64 v[128:129], v[128:129], v[247:248]
	s_delay_alu instid0(VALU_DEP_2) | instskip(NEXT) | instid1(VALU_DEP_2)
	v_add_f64 v[0:1], v[0:1], -v[140:141]
	v_fma_f64 v[128:129], v[130:131], v[136:137], v[128:129]
	s_delay_alu instid0(VALU_DEP_1)
	v_add_f64 v[2:3], v[2:3], -v[128:129]
.LBB62_104:
	s_or_b32 exec_lo, exec_lo, s2
	v_lshl_add_u32 v40, v162, 4, v160
	s_waitcnt_vscnt null, 0x0
	s_barrier
	buffer_gl0_inv
	v_mov_b32_e32 v136, 5
	ds_store_2addr_b64 v40, v[100:101], v[102:103] offset1:1
	s_waitcnt lgkmcnt(0)
	s_barrier
	buffer_gl0_inv
	ds_load_2addr_b64 v[128:131], v160 offset0:10 offset1:11
	s_cmp_lt_i32 s5, 7
	s_cbranch_scc1 .LBB62_107
; %bb.105:
	v_add3_u32 v137, v156, 0, 0x60
	v_mov_b32_e32 v136, 5
	s_mov_b32 s6, 6
	s_set_inst_prefetch_distance 0x1
	.p2align	6
.LBB62_106:                             ; =>This Inner Loop Header: Depth=1
	ds_load_2addr_b64 v[138:141], v137 offset1:1
	s_waitcnt lgkmcnt(1)
	v_cmp_gt_f64_e32 vcc_lo, 0, v[128:129]
	v_xor_b32_e32 v40, 0x80000000, v129
	v_cmp_gt_f64_e64 s2, 0, v[130:131]
	v_xor_b32_e32 v42, 0x80000000, v131
	v_add_nc_u32_e32 v137, 16, v137
	s_waitcnt lgkmcnt(0)
	v_cmp_gt_f64_e64 s3, 0, v[138:139]
	v_mov_b32_e32 v44, v138
	v_dual_mov_b32 v46, v140 :: v_dual_cndmask_b32 v41, v129, v40
	v_xor_b32_e32 v40, 0x80000000, v139
	v_cndmask_b32_e64 v43, v131, v42, s2
	v_xor_b32_e32 v42, 0x80000000, v141
	s_delay_alu instid0(VALU_DEP_3) | instskip(SKIP_2) | instid1(VALU_DEP_2)
	v_cndmask_b32_e64 v45, v139, v40, s3
	v_cmp_gt_f64_e64 s3, 0, v[140:141]
	v_cndmask_b32_e32 v40, v128, v128, vcc_lo
	v_cndmask_b32_e64 v47, v141, v42, s3
	v_cndmask_b32_e64 v42, v130, v130, s2
	s_delay_alu instid0(VALU_DEP_2) | instskip(NEXT) | instid1(VALU_DEP_2)
	v_add_f64 v[44:45], v[44:45], v[46:47]
	v_add_f64 v[40:41], v[40:41], v[42:43]
	s_delay_alu instid0(VALU_DEP_1)
	v_cmp_lt_f64_e32 vcc_lo, v[40:41], v[44:45]
	v_cndmask_b32_e32 v131, v131, v141, vcc_lo
	v_dual_cndmask_b32 v129, v129, v139 :: v_dual_cndmask_b32 v128, v128, v138
	v_cndmask_b32_e32 v130, v130, v140, vcc_lo
	v_cndmask_b32_e64 v136, v136, s6, vcc_lo
	s_add_i32 s6, s6, 1
	s_delay_alu instid0(SALU_CYCLE_1)
	s_cmp_lg_u32 s5, s6
	s_cbranch_scc1 .LBB62_106
.LBB62_107:
	s_set_inst_prefetch_distance 0x2
	s_waitcnt lgkmcnt(0)
	v_cmp_eq_f64_e32 vcc_lo, 0, v[128:129]
	v_cmp_eq_f64_e64 s2, 0, v[130:131]
	s_delay_alu instid0(VALU_DEP_1) | instskip(NEXT) | instid1(SALU_CYCLE_1)
	s_and_b32 s2, vcc_lo, s2
	s_and_saveexec_b32 s3, s2
	s_delay_alu instid0(SALU_CYCLE_1)
	s_xor_b32 s2, exec_lo, s3
; %bb.108:
	v_cmp_ne_u32_e32 vcc_lo, 0, v255
	v_cndmask_b32_e32 v255, 6, v255, vcc_lo
; %bb.109:
	s_and_not1_saveexec_b32 s3, s2
	s_cbranch_execz .LBB62_115
; %bb.110:
	v_cmp_gt_f64_e32 vcc_lo, 0, v[128:129]
	v_cmp_gt_f64_e64 s2, 0, v[130:131]
	v_xor_b32_e32 v40, 0x80000000, v129
	v_xor_b32_e32 v42, 0x80000000, v131
	s_delay_alu instid0(VALU_DEP_2) | instskip(NEXT) | instid1(VALU_DEP_2)
	v_cndmask_b32_e32 v41, v129, v40, vcc_lo
	v_cndmask_b32_e64 v43, v131, v42, s2
	v_cndmask_b32_e32 v40, v128, v128, vcc_lo
	v_cndmask_b32_e64 v42, v130, v130, s2
	s_mov_b32 s2, exec_lo
	s_delay_alu instid0(VALU_DEP_1)
	v_cmpx_ngt_f64_e32 v[40:41], v[42:43]
	s_xor_b32 s2, exec_lo, s2
	s_cbranch_execz .LBB62_112
; %bb.111:
	v_div_scale_f64 v[40:41], null, v[130:131], v[130:131], v[128:129]
	v_div_scale_f64 v[46:47], vcc_lo, v[128:129], v[130:131], v[128:129]
	s_delay_alu instid0(VALU_DEP_2) | instskip(SKIP_2) | instid1(VALU_DEP_1)
	v_rcp_f64_e32 v[42:43], v[40:41]
	s_waitcnt_depctr 0xfff
	v_fma_f64 v[44:45], -v[40:41], v[42:43], 1.0
	v_fma_f64 v[42:43], v[42:43], v[44:45], v[42:43]
	s_delay_alu instid0(VALU_DEP_1) | instskip(NEXT) | instid1(VALU_DEP_1)
	v_fma_f64 v[44:45], -v[40:41], v[42:43], 1.0
	v_fma_f64 v[42:43], v[42:43], v[44:45], v[42:43]
	s_delay_alu instid0(VALU_DEP_1) | instskip(NEXT) | instid1(VALU_DEP_1)
	v_mul_f64 v[44:45], v[46:47], v[42:43]
	v_fma_f64 v[40:41], -v[40:41], v[44:45], v[46:47]
	s_delay_alu instid0(VALU_DEP_1) | instskip(NEXT) | instid1(VALU_DEP_1)
	v_div_fmas_f64 v[40:41], v[40:41], v[42:43], v[44:45]
	v_div_fixup_f64 v[40:41], v[40:41], v[130:131], v[128:129]
	s_delay_alu instid0(VALU_DEP_1) | instskip(NEXT) | instid1(VALU_DEP_1)
	v_fma_f64 v[42:43], v[128:129], v[40:41], v[130:131]
	v_div_scale_f64 v[44:45], null, v[42:43], v[42:43], 1.0
	s_delay_alu instid0(VALU_DEP_1) | instskip(SKIP_2) | instid1(VALU_DEP_1)
	v_rcp_f64_e32 v[46:47], v[44:45]
	s_waitcnt_depctr 0xfff
	v_fma_f64 v[128:129], -v[44:45], v[46:47], 1.0
	v_fma_f64 v[46:47], v[46:47], v[128:129], v[46:47]
	s_delay_alu instid0(VALU_DEP_1) | instskip(NEXT) | instid1(VALU_DEP_1)
	v_fma_f64 v[128:129], -v[44:45], v[46:47], 1.0
	v_fma_f64 v[46:47], v[46:47], v[128:129], v[46:47]
	v_div_scale_f64 v[128:129], vcc_lo, 1.0, v[42:43], 1.0
	s_delay_alu instid0(VALU_DEP_1) | instskip(NEXT) | instid1(VALU_DEP_1)
	v_mul_f64 v[130:131], v[128:129], v[46:47]
	v_fma_f64 v[44:45], -v[44:45], v[130:131], v[128:129]
	s_delay_alu instid0(VALU_DEP_1) | instskip(NEXT) | instid1(VALU_DEP_1)
	v_div_fmas_f64 v[44:45], v[44:45], v[46:47], v[130:131]
	v_div_fixup_f64 v[130:131], v[44:45], v[42:43], 1.0
	s_delay_alu instid0(VALU_DEP_1)
	v_mul_f64 v[128:129], v[40:41], v[130:131]
	v_xor_b32_e32 v131, 0x80000000, v131
.LBB62_112:
	s_and_not1_saveexec_b32 s2, s2
	s_cbranch_execz .LBB62_114
; %bb.113:
	s_delay_alu instid0(VALU_DEP_1) | instskip(SKIP_1) | instid1(VALU_DEP_2)
	v_div_scale_f64 v[40:41], null, v[128:129], v[128:129], v[130:131]
	v_div_scale_f64 v[46:47], vcc_lo, v[130:131], v[128:129], v[130:131]
	v_rcp_f64_e32 v[42:43], v[40:41]
	s_waitcnt_depctr 0xfff
	v_fma_f64 v[44:45], -v[40:41], v[42:43], 1.0
	s_delay_alu instid0(VALU_DEP_1) | instskip(NEXT) | instid1(VALU_DEP_1)
	v_fma_f64 v[42:43], v[42:43], v[44:45], v[42:43]
	v_fma_f64 v[44:45], -v[40:41], v[42:43], 1.0
	s_delay_alu instid0(VALU_DEP_1) | instskip(NEXT) | instid1(VALU_DEP_1)
	v_fma_f64 v[42:43], v[42:43], v[44:45], v[42:43]
	v_mul_f64 v[44:45], v[46:47], v[42:43]
	s_delay_alu instid0(VALU_DEP_1) | instskip(NEXT) | instid1(VALU_DEP_1)
	v_fma_f64 v[40:41], -v[40:41], v[44:45], v[46:47]
	v_div_fmas_f64 v[40:41], v[40:41], v[42:43], v[44:45]
	s_delay_alu instid0(VALU_DEP_1) | instskip(NEXT) | instid1(VALU_DEP_1)
	v_div_fixup_f64 v[40:41], v[40:41], v[128:129], v[130:131]
	v_fma_f64 v[42:43], v[130:131], v[40:41], v[128:129]
	s_delay_alu instid0(VALU_DEP_1) | instskip(NEXT) | instid1(VALU_DEP_1)
	v_div_scale_f64 v[44:45], null, v[42:43], v[42:43], 1.0
	v_rcp_f64_e32 v[46:47], v[44:45]
	s_waitcnt_depctr 0xfff
	v_fma_f64 v[128:129], -v[44:45], v[46:47], 1.0
	s_delay_alu instid0(VALU_DEP_1) | instskip(NEXT) | instid1(VALU_DEP_1)
	v_fma_f64 v[46:47], v[46:47], v[128:129], v[46:47]
	v_fma_f64 v[128:129], -v[44:45], v[46:47], 1.0
	s_delay_alu instid0(VALU_DEP_1) | instskip(SKIP_1) | instid1(VALU_DEP_1)
	v_fma_f64 v[46:47], v[46:47], v[128:129], v[46:47]
	v_div_scale_f64 v[128:129], vcc_lo, 1.0, v[42:43], 1.0
	v_mul_f64 v[130:131], v[128:129], v[46:47]
	s_delay_alu instid0(VALU_DEP_1) | instskip(NEXT) | instid1(VALU_DEP_1)
	v_fma_f64 v[44:45], -v[44:45], v[130:131], v[128:129]
	v_div_fmas_f64 v[44:45], v[44:45], v[46:47], v[130:131]
	s_delay_alu instid0(VALU_DEP_1) | instskip(NEXT) | instid1(VALU_DEP_1)
	v_div_fixup_f64 v[128:129], v[44:45], v[42:43], 1.0
	v_mul_f64 v[130:131], v[40:41], -v[128:129]
.LBB62_114:
	s_or_b32 exec_lo, exec_lo, s2
.LBB62_115:
	s_delay_alu instid0(SALU_CYCLE_1) | instskip(NEXT) | instid1(SALU_CYCLE_1)
	s_or_b32 exec_lo, exec_lo, s3
	s_mov_b32 s2, exec_lo
	v_cmpx_ne_u32_e64 v162, v136
	s_xor_b32 s2, exec_lo, s2
	s_cbranch_execz .LBB62_121
; %bb.116:
	s_mov_b32 s3, exec_lo
	v_cmpx_eq_u32_e32 5, v162
	s_cbranch_execz .LBB62_120
; %bb.117:
	v_cmp_ne_u32_e32 vcc_lo, 5, v136
	s_xor_b32 s6, s4, -1
	s_delay_alu instid0(SALU_CYCLE_1) | instskip(NEXT) | instid1(SALU_CYCLE_1)
	s_and_b32 s7, s6, vcc_lo
	s_and_saveexec_b32 s6, s7
	s_cbranch_execz .LBB62_119
; %bb.118:
	v_ashrrev_i32_e32 v137, 31, v136
	s_delay_alu instid0(VALU_DEP_1) | instskip(NEXT) | instid1(VALU_DEP_1)
	v_lshlrev_b64 v[40:41], 2, v[136:137]
	v_add_co_u32 v40, vcc_lo, v118, v40
	s_delay_alu instid0(VALU_DEP_2)
	v_add_co_ci_u32_e32 v41, vcc_lo, v119, v41, vcc_lo
	s_clause 0x1
	flat_load_b32 v42, v[40:41]
	flat_load_b32 v43, v[118:119] offset:20
	s_waitcnt vmcnt(1) lgkmcnt(1)
	flat_store_b32 v[118:119], v42 offset:20
	s_waitcnt vmcnt(0) lgkmcnt(1)
	flat_store_b32 v[40:41], v43
.LBB62_119:
	s_or_b32 exec_lo, exec_lo, s6
	v_mov_b32_e32 v162, v136
	v_mov_b32_e32 v40, v136
	scratch_store_b32 off, v40, off         ; 4-byte Folded Spill
.LBB62_120:
	s_or_b32 exec_lo, exec_lo, s3
.LBB62_121:
	s_and_not1_saveexec_b32 s2, s2
	s_cbranch_execz .LBB62_123
; %bb.122:
	v_mov_b32_e32 v162, 5
	ds_store_2addr_b64 v160, v[104:105], v[106:107] offset0:12 offset1:13
	ds_store_2addr_b64 v160, v[76:77], v[78:79] offset0:14 offset1:15
	;; [unrolled: 1-line block ×26, first 2 shown]
.LBB62_123:
	s_or_b32 exec_lo, exec_lo, s2
	s_delay_alu instid0(SALU_CYCLE_1)
	s_mov_b32 s2, exec_lo
	s_waitcnt lgkmcnt(0)
	s_waitcnt_vscnt null, 0x0
	s_barrier
	buffer_gl0_inv
	v_cmpx_lt_i32_e32 5, v162
	s_cbranch_execz .LBB62_125
; %bb.124:
	v_mul_f64 v[40:41], v[130:131], v[102:103]
	s_delay_alu instid0(VALU_DEP_1) | instskip(SKIP_1) | instid1(VALU_DEP_1)
	v_fma_f64 v[136:137], v[128:129], v[100:101], -v[40:41]
	v_mul_f64 v[40:41], v[128:129], v[102:103]
	v_fma_f64 v[102:103], v[130:131], v[100:101], v[40:41]
	ds_load_2addr_b64 v[128:131], v160 offset0:12 offset1:13
	ds_load_2addr_b64 v[138:141], v160 offset0:14 offset1:15
	s_waitcnt lgkmcnt(1)
	v_mul_f64 v[40:41], v[130:131], v[102:103]
	v_mul_f64 v[42:43], v[128:129], v[102:103]
	s_waitcnt lgkmcnt(0)
	v_mul_f64 v[44:45], v[140:141], v[102:103]
	v_mul_f64 v[46:47], v[138:139], v[102:103]
	s_delay_alu instid0(VALU_DEP_4) | instskip(NEXT) | instid1(VALU_DEP_4)
	v_fma_f64 v[40:41], v[128:129], v[136:137], -v[40:41]
	v_fma_f64 v[42:43], v[130:131], v[136:137], v[42:43]
	s_delay_alu instid0(VALU_DEP_4) | instskip(NEXT) | instid1(VALU_DEP_4)
	v_fma_f64 v[44:45], v[138:139], v[136:137], -v[44:45]
	v_fma_f64 v[46:47], v[140:141], v[136:137], v[46:47]
	ds_load_2addr_b64 v[128:131], v160 offset0:16 offset1:17
	ds_load_2addr_b64 v[138:141], v160 offset0:18 offset1:19
	s_waitcnt lgkmcnt(1)
	v_mul_f64 v[100:101], v[130:131], v[102:103]
	v_add_f64 v[104:105], v[104:105], -v[40:41]
	v_add_f64 v[106:107], v[106:107], -v[42:43]
	;; [unrolled: 1-line block ×4, first 2 shown]
	v_fma_f64 v[100:101], v[128:129], v[136:137], -v[100:101]
	v_mul_f64 v[128:129], v[128:129], v[102:103]
	s_delay_alu instid0(VALU_DEP_2) | instskip(NEXT) | instid1(VALU_DEP_2)
	v_add_f64 v[96:97], v[96:97], -v[100:101]
	v_fma_f64 v[132:133], v[130:131], v[136:137], v[128:129]
	s_waitcnt lgkmcnt(0)
	v_mul_f64 v[128:129], v[140:141], v[102:103]
	v_dual_mov_b32 v100, v136 :: v_dual_mov_b32 v101, v137
	s_delay_alu instid0(VALU_DEP_3) | instskip(NEXT) | instid1(VALU_DEP_3)
	v_add_f64 v[98:99], v[98:99], -v[132:133]
	v_fma_f64 v[134:135], v[138:139], v[136:137], -v[128:129]
	v_mul_f64 v[128:129], v[138:139], v[102:103]
	s_delay_alu instid0(VALU_DEP_2) | instskip(NEXT) | instid1(VALU_DEP_2)
	v_add_f64 v[92:93], v[92:93], -v[134:135]
	v_fma_f64 v[142:143], v[140:141], v[136:137], v[128:129]
	ds_load_2addr_b64 v[128:131], v160 offset0:20 offset1:21
	ds_load_2addr_b64 v[138:141], v160 offset0:22 offset1:23
	s_waitcnt lgkmcnt(1)
	v_mul_f64 v[144:145], v[130:131], v[102:103]
	v_add_f64 v[94:95], v[94:95], -v[142:143]
	s_delay_alu instid0(VALU_DEP_2) | instskip(SKIP_1) | instid1(VALU_DEP_2)
	v_fma_f64 v[144:145], v[128:129], v[136:137], -v[144:145]
	v_mul_f64 v[128:129], v[128:129], v[102:103]
	v_add_f64 v[112:113], v[112:113], -v[144:145]
	s_delay_alu instid0(VALU_DEP_2) | instskip(SKIP_2) | instid1(VALU_DEP_2)
	v_fma_f64 v[146:147], v[130:131], v[136:137], v[128:129]
	s_waitcnt lgkmcnt(0)
	v_mul_f64 v[128:129], v[140:141], v[102:103]
	v_add_f64 v[114:115], v[114:115], -v[146:147]
	s_delay_alu instid0(VALU_DEP_2) | instskip(SKIP_1) | instid1(VALU_DEP_2)
	v_fma_f64 v[148:149], v[138:139], v[136:137], -v[128:129]
	v_mul_f64 v[128:129], v[138:139], v[102:103]
	v_add_f64 v[108:109], v[108:109], -v[148:149]
	s_delay_alu instid0(VALU_DEP_2)
	v_fma_f64 v[150:151], v[140:141], v[136:137], v[128:129]
	ds_load_2addr_b64 v[128:131], v160 offset0:24 offset1:25
	ds_load_2addr_b64 v[138:141], v160 offset0:26 offset1:27
	s_waitcnt lgkmcnt(1)
	v_mul_f64 v[152:153], v[130:131], v[102:103]
	v_add_f64 v[110:111], v[110:111], -v[150:151]
	s_delay_alu instid0(VALU_DEP_2) | instskip(SKIP_1) | instid1(VALU_DEP_2)
	v_fma_f64 v[152:153], v[128:129], v[136:137], -v[152:153]
	v_mul_f64 v[128:129], v[128:129], v[102:103]
	v_add_f64 v[88:89], v[88:89], -v[152:153]
	s_delay_alu instid0(VALU_DEP_2) | instskip(SKIP_2) | instid1(VALU_DEP_2)
	v_fma_f64 v[154:155], v[130:131], v[136:137], v[128:129]
	s_waitcnt lgkmcnt(0)
	v_mul_f64 v[128:129], v[140:141], v[102:103]
	v_add_f64 v[90:91], v[90:91], -v[154:155]
	s_delay_alu instid0(VALU_DEP_2) | instskip(SKIP_1) | instid1(VALU_DEP_2)
	v_fma_f64 v[163:164], v[138:139], v[136:137], -v[128:129]
	v_mul_f64 v[128:129], v[138:139], v[102:103]
	v_add_f64 v[84:85], v[84:85], -v[163:164]
	s_delay_alu instid0(VALU_DEP_2)
	;; [unrolled: 20-line block ×10, first 2 shown]
	v_fma_f64 v[229:230], v[140:141], v[136:137], v[128:129]
	ds_load_2addr_b64 v[128:131], v160 offset0:60 offset1:61
	ds_load_2addr_b64 v[138:141], v160 offset0:62 offset1:63
	s_waitcnt lgkmcnt(1)
	v_mul_f64 v[231:232], v[130:131], v[102:103]
	v_add_f64 v[10:11], v[10:11], -v[229:230]
	s_delay_alu instid0(VALU_DEP_2) | instskip(SKIP_1) | instid1(VALU_DEP_2)
	v_fma_f64 v[231:232], v[128:129], v[136:137], -v[231:232]
	v_mul_f64 v[128:129], v[128:129], v[102:103]
	v_add_f64 v[4:5], v[4:5], -v[231:232]
	s_delay_alu instid0(VALU_DEP_2) | instskip(SKIP_2) | instid1(VALU_DEP_2)
	v_fma_f64 v[128:129], v[130:131], v[136:137], v[128:129]
	s_waitcnt lgkmcnt(0)
	v_mul_f64 v[130:131], v[140:141], v[102:103]
	v_add_f64 v[6:7], v[6:7], -v[128:129]
	s_delay_alu instid0(VALU_DEP_2) | instskip(SKIP_1) | instid1(VALU_DEP_2)
	v_fma_f64 v[130:131], v[138:139], v[136:137], -v[130:131]
	v_mul_f64 v[138:139], v[138:139], v[102:103]
	v_add_f64 v[0:1], v[0:1], -v[130:131]
	s_delay_alu instid0(VALU_DEP_2) | instskip(NEXT) | instid1(VALU_DEP_1)
	v_fma_f64 v[138:139], v[140:141], v[136:137], v[138:139]
	v_add_f64 v[2:3], v[2:3], -v[138:139]
.LBB62_125:
	s_or_b32 exec_lo, exec_lo, s2
	v_lshl_add_u32 v40, v162, 4, v160
	s_barrier
	buffer_gl0_inv
	v_mov_b32_e32 v136, 6
	ds_store_2addr_b64 v40, v[104:105], v[106:107] offset1:1
	s_waitcnt lgkmcnt(0)
	s_barrier
	buffer_gl0_inv
	ds_load_2addr_b64 v[128:131], v160 offset0:12 offset1:13
	s_cmp_lt_i32 s5, 8
	s_cbranch_scc1 .LBB62_128
; %bb.126:
	v_add3_u32 v137, v156, 0, 0x70
	v_mov_b32_e32 v136, 6
	s_mov_b32 s6, 7
	s_set_inst_prefetch_distance 0x1
	.p2align	6
.LBB62_127:                             ; =>This Inner Loop Header: Depth=1
	ds_load_2addr_b64 v[138:141], v137 offset1:1
	s_waitcnt lgkmcnt(1)
	v_cmp_gt_f64_e32 vcc_lo, 0, v[128:129]
	v_xor_b32_e32 v40, 0x80000000, v129
	v_cmp_gt_f64_e64 s2, 0, v[130:131]
	v_xor_b32_e32 v42, 0x80000000, v131
	v_add_nc_u32_e32 v137, 16, v137
	s_waitcnt lgkmcnt(0)
	v_cmp_gt_f64_e64 s3, 0, v[138:139]
	v_mov_b32_e32 v44, v138
	v_dual_mov_b32 v46, v140 :: v_dual_cndmask_b32 v41, v129, v40
	v_xor_b32_e32 v40, 0x80000000, v139
	v_cndmask_b32_e64 v43, v131, v42, s2
	v_xor_b32_e32 v42, 0x80000000, v141
	s_delay_alu instid0(VALU_DEP_3) | instskip(SKIP_2) | instid1(VALU_DEP_2)
	v_cndmask_b32_e64 v45, v139, v40, s3
	v_cmp_gt_f64_e64 s3, 0, v[140:141]
	v_cndmask_b32_e32 v40, v128, v128, vcc_lo
	v_cndmask_b32_e64 v47, v141, v42, s3
	v_cndmask_b32_e64 v42, v130, v130, s2
	s_delay_alu instid0(VALU_DEP_2) | instskip(NEXT) | instid1(VALU_DEP_2)
	v_add_f64 v[44:45], v[44:45], v[46:47]
	v_add_f64 v[40:41], v[40:41], v[42:43]
	s_delay_alu instid0(VALU_DEP_1)
	v_cmp_lt_f64_e32 vcc_lo, v[40:41], v[44:45]
	v_cndmask_b32_e32 v131, v131, v141, vcc_lo
	v_dual_cndmask_b32 v129, v129, v139 :: v_dual_cndmask_b32 v128, v128, v138
	v_cndmask_b32_e32 v130, v130, v140, vcc_lo
	v_cndmask_b32_e64 v136, v136, s6, vcc_lo
	s_add_i32 s6, s6, 1
	s_delay_alu instid0(SALU_CYCLE_1)
	s_cmp_lg_u32 s5, s6
	s_cbranch_scc1 .LBB62_127
.LBB62_128:
	s_set_inst_prefetch_distance 0x2
	s_waitcnt lgkmcnt(0)
	v_cmp_eq_f64_e32 vcc_lo, 0, v[128:129]
	v_cmp_eq_f64_e64 s2, 0, v[130:131]
	s_delay_alu instid0(VALU_DEP_1) | instskip(NEXT) | instid1(SALU_CYCLE_1)
	s_and_b32 s2, vcc_lo, s2
	s_and_saveexec_b32 s3, s2
	s_delay_alu instid0(SALU_CYCLE_1)
	s_xor_b32 s2, exec_lo, s3
; %bb.129:
	v_cmp_ne_u32_e32 vcc_lo, 0, v255
	v_cndmask_b32_e32 v255, 7, v255, vcc_lo
; %bb.130:
	s_and_not1_saveexec_b32 s3, s2
	s_cbranch_execz .LBB62_136
; %bb.131:
	v_cmp_gt_f64_e32 vcc_lo, 0, v[128:129]
	v_cmp_gt_f64_e64 s2, 0, v[130:131]
	v_xor_b32_e32 v40, 0x80000000, v129
	v_xor_b32_e32 v42, 0x80000000, v131
	s_delay_alu instid0(VALU_DEP_2) | instskip(NEXT) | instid1(VALU_DEP_2)
	v_cndmask_b32_e32 v41, v129, v40, vcc_lo
	v_cndmask_b32_e64 v43, v131, v42, s2
	v_cndmask_b32_e32 v40, v128, v128, vcc_lo
	v_cndmask_b32_e64 v42, v130, v130, s2
	s_mov_b32 s2, exec_lo
	s_delay_alu instid0(VALU_DEP_1)
	v_cmpx_ngt_f64_e32 v[40:41], v[42:43]
	s_xor_b32 s2, exec_lo, s2
	s_cbranch_execz .LBB62_133
; %bb.132:
	v_div_scale_f64 v[40:41], null, v[130:131], v[130:131], v[128:129]
	v_div_scale_f64 v[46:47], vcc_lo, v[128:129], v[130:131], v[128:129]
	s_delay_alu instid0(VALU_DEP_2) | instskip(SKIP_2) | instid1(VALU_DEP_1)
	v_rcp_f64_e32 v[42:43], v[40:41]
	s_waitcnt_depctr 0xfff
	v_fma_f64 v[44:45], -v[40:41], v[42:43], 1.0
	v_fma_f64 v[42:43], v[42:43], v[44:45], v[42:43]
	s_delay_alu instid0(VALU_DEP_1) | instskip(NEXT) | instid1(VALU_DEP_1)
	v_fma_f64 v[44:45], -v[40:41], v[42:43], 1.0
	v_fma_f64 v[42:43], v[42:43], v[44:45], v[42:43]
	s_delay_alu instid0(VALU_DEP_1) | instskip(NEXT) | instid1(VALU_DEP_1)
	v_mul_f64 v[44:45], v[46:47], v[42:43]
	v_fma_f64 v[40:41], -v[40:41], v[44:45], v[46:47]
	s_delay_alu instid0(VALU_DEP_1) | instskip(NEXT) | instid1(VALU_DEP_1)
	v_div_fmas_f64 v[40:41], v[40:41], v[42:43], v[44:45]
	v_div_fixup_f64 v[40:41], v[40:41], v[130:131], v[128:129]
	s_delay_alu instid0(VALU_DEP_1) | instskip(NEXT) | instid1(VALU_DEP_1)
	v_fma_f64 v[42:43], v[128:129], v[40:41], v[130:131]
	v_div_scale_f64 v[44:45], null, v[42:43], v[42:43], 1.0
	s_delay_alu instid0(VALU_DEP_1) | instskip(SKIP_2) | instid1(VALU_DEP_1)
	v_rcp_f64_e32 v[46:47], v[44:45]
	s_waitcnt_depctr 0xfff
	v_fma_f64 v[128:129], -v[44:45], v[46:47], 1.0
	v_fma_f64 v[46:47], v[46:47], v[128:129], v[46:47]
	s_delay_alu instid0(VALU_DEP_1) | instskip(NEXT) | instid1(VALU_DEP_1)
	v_fma_f64 v[128:129], -v[44:45], v[46:47], 1.0
	v_fma_f64 v[46:47], v[46:47], v[128:129], v[46:47]
	v_div_scale_f64 v[128:129], vcc_lo, 1.0, v[42:43], 1.0
	s_delay_alu instid0(VALU_DEP_1) | instskip(NEXT) | instid1(VALU_DEP_1)
	v_mul_f64 v[130:131], v[128:129], v[46:47]
	v_fma_f64 v[44:45], -v[44:45], v[130:131], v[128:129]
	s_delay_alu instid0(VALU_DEP_1) | instskip(NEXT) | instid1(VALU_DEP_1)
	v_div_fmas_f64 v[44:45], v[44:45], v[46:47], v[130:131]
	v_div_fixup_f64 v[130:131], v[44:45], v[42:43], 1.0
	s_delay_alu instid0(VALU_DEP_1)
	v_mul_f64 v[128:129], v[40:41], v[130:131]
	v_xor_b32_e32 v131, 0x80000000, v131
.LBB62_133:
	s_and_not1_saveexec_b32 s2, s2
	s_cbranch_execz .LBB62_135
; %bb.134:
	s_delay_alu instid0(VALU_DEP_1) | instskip(SKIP_1) | instid1(VALU_DEP_2)
	v_div_scale_f64 v[40:41], null, v[128:129], v[128:129], v[130:131]
	v_div_scale_f64 v[46:47], vcc_lo, v[130:131], v[128:129], v[130:131]
	v_rcp_f64_e32 v[42:43], v[40:41]
	s_waitcnt_depctr 0xfff
	v_fma_f64 v[44:45], -v[40:41], v[42:43], 1.0
	s_delay_alu instid0(VALU_DEP_1) | instskip(NEXT) | instid1(VALU_DEP_1)
	v_fma_f64 v[42:43], v[42:43], v[44:45], v[42:43]
	v_fma_f64 v[44:45], -v[40:41], v[42:43], 1.0
	s_delay_alu instid0(VALU_DEP_1) | instskip(NEXT) | instid1(VALU_DEP_1)
	v_fma_f64 v[42:43], v[42:43], v[44:45], v[42:43]
	v_mul_f64 v[44:45], v[46:47], v[42:43]
	s_delay_alu instid0(VALU_DEP_1) | instskip(NEXT) | instid1(VALU_DEP_1)
	v_fma_f64 v[40:41], -v[40:41], v[44:45], v[46:47]
	v_div_fmas_f64 v[40:41], v[40:41], v[42:43], v[44:45]
	s_delay_alu instid0(VALU_DEP_1) | instskip(NEXT) | instid1(VALU_DEP_1)
	v_div_fixup_f64 v[40:41], v[40:41], v[128:129], v[130:131]
	v_fma_f64 v[42:43], v[130:131], v[40:41], v[128:129]
	s_delay_alu instid0(VALU_DEP_1) | instskip(NEXT) | instid1(VALU_DEP_1)
	v_div_scale_f64 v[44:45], null, v[42:43], v[42:43], 1.0
	v_rcp_f64_e32 v[46:47], v[44:45]
	s_waitcnt_depctr 0xfff
	v_fma_f64 v[128:129], -v[44:45], v[46:47], 1.0
	s_delay_alu instid0(VALU_DEP_1) | instskip(NEXT) | instid1(VALU_DEP_1)
	v_fma_f64 v[46:47], v[46:47], v[128:129], v[46:47]
	v_fma_f64 v[128:129], -v[44:45], v[46:47], 1.0
	s_delay_alu instid0(VALU_DEP_1) | instskip(SKIP_1) | instid1(VALU_DEP_1)
	v_fma_f64 v[46:47], v[46:47], v[128:129], v[46:47]
	v_div_scale_f64 v[128:129], vcc_lo, 1.0, v[42:43], 1.0
	v_mul_f64 v[130:131], v[128:129], v[46:47]
	s_delay_alu instid0(VALU_DEP_1) | instskip(NEXT) | instid1(VALU_DEP_1)
	v_fma_f64 v[44:45], -v[44:45], v[130:131], v[128:129]
	v_div_fmas_f64 v[44:45], v[44:45], v[46:47], v[130:131]
	s_delay_alu instid0(VALU_DEP_1) | instskip(NEXT) | instid1(VALU_DEP_1)
	v_div_fixup_f64 v[128:129], v[44:45], v[42:43], 1.0
	v_mul_f64 v[130:131], v[40:41], -v[128:129]
.LBB62_135:
	s_or_b32 exec_lo, exec_lo, s2
.LBB62_136:
	s_delay_alu instid0(SALU_CYCLE_1) | instskip(NEXT) | instid1(SALU_CYCLE_1)
	s_or_b32 exec_lo, exec_lo, s3
	s_mov_b32 s2, exec_lo
	v_cmpx_ne_u32_e64 v162, v136
	s_xor_b32 s2, exec_lo, s2
	s_cbranch_execz .LBB62_142
; %bb.137:
	s_mov_b32 s3, exec_lo
	v_cmpx_eq_u32_e32 6, v162
	s_cbranch_execz .LBB62_141
; %bb.138:
	v_cmp_ne_u32_e32 vcc_lo, 6, v136
	s_xor_b32 s6, s4, -1
	s_delay_alu instid0(SALU_CYCLE_1) | instskip(NEXT) | instid1(SALU_CYCLE_1)
	s_and_b32 s7, s6, vcc_lo
	s_and_saveexec_b32 s6, s7
	s_cbranch_execz .LBB62_140
; %bb.139:
	v_ashrrev_i32_e32 v137, 31, v136
	s_delay_alu instid0(VALU_DEP_1) | instskip(NEXT) | instid1(VALU_DEP_1)
	v_lshlrev_b64 v[40:41], 2, v[136:137]
	v_add_co_u32 v40, vcc_lo, v118, v40
	s_delay_alu instid0(VALU_DEP_2)
	v_add_co_ci_u32_e32 v41, vcc_lo, v119, v41, vcc_lo
	s_clause 0x1
	flat_load_b32 v42, v[40:41]
	flat_load_b32 v43, v[118:119] offset:24
	s_waitcnt vmcnt(1) lgkmcnt(1)
	flat_store_b32 v[118:119], v42 offset:24
	s_waitcnt vmcnt(0) lgkmcnt(1)
	flat_store_b32 v[40:41], v43
.LBB62_140:
	s_or_b32 exec_lo, exec_lo, s6
	v_mov_b32_e32 v162, v136
	v_mov_b32_e32 v40, v136
	scratch_store_b32 off, v40, off         ; 4-byte Folded Spill
.LBB62_141:
	s_or_b32 exec_lo, exec_lo, s3
.LBB62_142:
	s_and_not1_saveexec_b32 s2, s2
	s_cbranch_execz .LBB62_144
; %bb.143:
	v_mov_b32_e32 v162, 6
	ds_store_2addr_b64 v160, v[76:77], v[78:79] offset0:14 offset1:15
	ds_store_2addr_b64 v160, v[96:97], v[98:99] offset0:16 offset1:17
	;; [unrolled: 1-line block ×25, first 2 shown]
.LBB62_144:
	s_or_b32 exec_lo, exec_lo, s2
	s_delay_alu instid0(SALU_CYCLE_1)
	s_mov_b32 s2, exec_lo
	s_waitcnt lgkmcnt(0)
	s_waitcnt_vscnt null, 0x0
	s_barrier
	buffer_gl0_inv
	v_cmpx_lt_i32_e32 6, v162
	s_cbranch_execz .LBB62_146
; %bb.145:
	v_mul_f64 v[40:41], v[130:131], v[106:107]
	s_delay_alu instid0(VALU_DEP_1) | instskip(SKIP_1) | instid1(VALU_DEP_1)
	v_fma_f64 v[136:137], v[128:129], v[104:105], -v[40:41]
	v_mul_f64 v[40:41], v[128:129], v[106:107]
	v_fma_f64 v[106:107], v[130:131], v[104:105], v[40:41]
	ds_load_2addr_b64 v[128:131], v160 offset0:14 offset1:15
	ds_load_2addr_b64 v[138:141], v160 offset0:16 offset1:17
	s_waitcnt lgkmcnt(1)
	v_mul_f64 v[40:41], v[130:131], v[106:107]
	v_mul_f64 v[42:43], v[128:129], v[106:107]
	s_waitcnt lgkmcnt(0)
	v_mul_f64 v[44:45], v[140:141], v[106:107]
	v_mul_f64 v[46:47], v[138:139], v[106:107]
	s_delay_alu instid0(VALU_DEP_4) | instskip(NEXT) | instid1(VALU_DEP_4)
	v_fma_f64 v[40:41], v[128:129], v[136:137], -v[40:41]
	v_fma_f64 v[42:43], v[130:131], v[136:137], v[42:43]
	s_delay_alu instid0(VALU_DEP_4) | instskip(NEXT) | instid1(VALU_DEP_4)
	v_fma_f64 v[44:45], v[138:139], v[136:137], -v[44:45]
	v_fma_f64 v[46:47], v[140:141], v[136:137], v[46:47]
	ds_load_2addr_b64 v[128:131], v160 offset0:18 offset1:19
	ds_load_2addr_b64 v[138:141], v160 offset0:20 offset1:21
	s_waitcnt lgkmcnt(1)
	v_mul_f64 v[104:105], v[130:131], v[106:107]
	v_add_f64 v[76:77], v[76:77], -v[40:41]
	v_add_f64 v[78:79], v[78:79], -v[42:43]
	;; [unrolled: 1-line block ×4, first 2 shown]
	v_fma_f64 v[104:105], v[128:129], v[136:137], -v[104:105]
	v_mul_f64 v[128:129], v[128:129], v[106:107]
	s_delay_alu instid0(VALU_DEP_2) | instskip(NEXT) | instid1(VALU_DEP_2)
	v_add_f64 v[92:93], v[92:93], -v[104:105]
	v_fma_f64 v[132:133], v[130:131], v[136:137], v[128:129]
	s_waitcnt lgkmcnt(0)
	v_mul_f64 v[128:129], v[140:141], v[106:107]
	v_dual_mov_b32 v104, v136 :: v_dual_mov_b32 v105, v137
	s_delay_alu instid0(VALU_DEP_3) | instskip(NEXT) | instid1(VALU_DEP_3)
	v_add_f64 v[94:95], v[94:95], -v[132:133]
	v_fma_f64 v[134:135], v[138:139], v[136:137], -v[128:129]
	v_mul_f64 v[128:129], v[138:139], v[106:107]
	s_delay_alu instid0(VALU_DEP_2) | instskip(NEXT) | instid1(VALU_DEP_2)
	v_add_f64 v[112:113], v[112:113], -v[134:135]
	v_fma_f64 v[142:143], v[140:141], v[136:137], v[128:129]
	ds_load_2addr_b64 v[128:131], v160 offset0:22 offset1:23
	ds_load_2addr_b64 v[138:141], v160 offset0:24 offset1:25
	s_waitcnt lgkmcnt(1)
	v_mul_f64 v[144:145], v[130:131], v[106:107]
	v_add_f64 v[114:115], v[114:115], -v[142:143]
	s_delay_alu instid0(VALU_DEP_2) | instskip(SKIP_1) | instid1(VALU_DEP_2)
	v_fma_f64 v[144:145], v[128:129], v[136:137], -v[144:145]
	v_mul_f64 v[128:129], v[128:129], v[106:107]
	v_add_f64 v[108:109], v[108:109], -v[144:145]
	s_delay_alu instid0(VALU_DEP_2) | instskip(SKIP_2) | instid1(VALU_DEP_2)
	v_fma_f64 v[146:147], v[130:131], v[136:137], v[128:129]
	s_waitcnt lgkmcnt(0)
	v_mul_f64 v[128:129], v[140:141], v[106:107]
	v_add_f64 v[110:111], v[110:111], -v[146:147]
	s_delay_alu instid0(VALU_DEP_2) | instskip(SKIP_1) | instid1(VALU_DEP_2)
	v_fma_f64 v[148:149], v[138:139], v[136:137], -v[128:129]
	v_mul_f64 v[128:129], v[138:139], v[106:107]
	v_add_f64 v[88:89], v[88:89], -v[148:149]
	s_delay_alu instid0(VALU_DEP_2)
	v_fma_f64 v[150:151], v[140:141], v[136:137], v[128:129]
	ds_load_2addr_b64 v[128:131], v160 offset0:26 offset1:27
	ds_load_2addr_b64 v[138:141], v160 offset0:28 offset1:29
	s_waitcnt lgkmcnt(1)
	v_mul_f64 v[152:153], v[130:131], v[106:107]
	v_add_f64 v[90:91], v[90:91], -v[150:151]
	s_delay_alu instid0(VALU_DEP_2) | instskip(SKIP_1) | instid1(VALU_DEP_2)
	v_fma_f64 v[152:153], v[128:129], v[136:137], -v[152:153]
	v_mul_f64 v[128:129], v[128:129], v[106:107]
	v_add_f64 v[84:85], v[84:85], -v[152:153]
	s_delay_alu instid0(VALU_DEP_2) | instskip(SKIP_2) | instid1(VALU_DEP_2)
	v_fma_f64 v[154:155], v[130:131], v[136:137], v[128:129]
	s_waitcnt lgkmcnt(0)
	v_mul_f64 v[128:129], v[140:141], v[106:107]
	v_add_f64 v[86:87], v[86:87], -v[154:155]
	s_delay_alu instid0(VALU_DEP_2) | instskip(SKIP_1) | instid1(VALU_DEP_2)
	v_fma_f64 v[163:164], v[138:139], v[136:137], -v[128:129]
	v_mul_f64 v[128:129], v[138:139], v[106:107]
	v_add_f64 v[80:81], v[80:81], -v[163:164]
	s_delay_alu instid0(VALU_DEP_2)
	v_fma_f64 v[165:166], v[140:141], v[136:137], v[128:129]
	ds_load_2addr_b64 v[128:131], v160 offset0:30 offset1:31
	ds_load_2addr_b64 v[138:141], v160 offset0:32 offset1:33
	s_waitcnt lgkmcnt(1)
	v_mul_f64 v[167:168], v[130:131], v[106:107]
	v_add_f64 v[82:83], v[82:83], -v[165:166]
	s_delay_alu instid0(VALU_DEP_2) | instskip(SKIP_1) | instid1(VALU_DEP_2)
	v_fma_f64 v[167:168], v[128:129], v[136:137], -v[167:168]
	v_mul_f64 v[128:129], v[128:129], v[106:107]
	v_add_f64 v[72:73], v[72:73], -v[167:168]
	s_delay_alu instid0(VALU_DEP_2) | instskip(SKIP_2) | instid1(VALU_DEP_2)
	v_fma_f64 v[169:170], v[130:131], v[136:137], v[128:129]
	s_waitcnt lgkmcnt(0)
	v_mul_f64 v[128:129], v[140:141], v[106:107]
	v_add_f64 v[74:75], v[74:75], -v[169:170]
	s_delay_alu instid0(VALU_DEP_2) | instskip(SKIP_1) | instid1(VALU_DEP_2)
	v_fma_f64 v[171:172], v[138:139], v[136:137], -v[128:129]
	v_mul_f64 v[128:129], v[138:139], v[106:107]
	v_add_f64 v[68:69], v[68:69], -v[171:172]
	s_delay_alu instid0(VALU_DEP_2)
	v_fma_f64 v[173:174], v[140:141], v[136:137], v[128:129]
	ds_load_2addr_b64 v[128:131], v160 offset0:34 offset1:35
	ds_load_2addr_b64 v[138:141], v160 offset0:36 offset1:37
	s_waitcnt lgkmcnt(1)
	v_mul_f64 v[175:176], v[130:131], v[106:107]
	v_add_f64 v[70:71], v[70:71], -v[173:174]
	s_delay_alu instid0(VALU_DEP_2) | instskip(SKIP_1) | instid1(VALU_DEP_2)
	v_fma_f64 v[175:176], v[128:129], v[136:137], -v[175:176]
	v_mul_f64 v[128:129], v[128:129], v[106:107]
	v_add_f64 v[64:65], v[64:65], -v[175:176]
	s_delay_alu instid0(VALU_DEP_2) | instskip(SKIP_2) | instid1(VALU_DEP_2)
	v_fma_f64 v[177:178], v[130:131], v[136:137], v[128:129]
	s_waitcnt lgkmcnt(0)
	v_mul_f64 v[128:129], v[140:141], v[106:107]
	v_add_f64 v[66:67], v[66:67], -v[177:178]
	s_delay_alu instid0(VALU_DEP_2) | instskip(SKIP_1) | instid1(VALU_DEP_2)
	v_fma_f64 v[179:180], v[138:139], v[136:137], -v[128:129]
	v_mul_f64 v[128:129], v[138:139], v[106:107]
	v_add_f64 v[60:61], v[60:61], -v[179:180]
	s_delay_alu instid0(VALU_DEP_2)
	v_fma_f64 v[181:182], v[140:141], v[136:137], v[128:129]
	ds_load_2addr_b64 v[128:131], v160 offset0:38 offset1:39
	ds_load_2addr_b64 v[138:141], v160 offset0:40 offset1:41
	s_waitcnt lgkmcnt(1)
	v_mul_f64 v[183:184], v[130:131], v[106:107]
	v_add_f64 v[62:63], v[62:63], -v[181:182]
	s_delay_alu instid0(VALU_DEP_2) | instskip(SKIP_1) | instid1(VALU_DEP_2)
	v_fma_f64 v[183:184], v[128:129], v[136:137], -v[183:184]
	v_mul_f64 v[128:129], v[128:129], v[106:107]
	v_add_f64 v[56:57], v[56:57], -v[183:184]
	s_delay_alu instid0(VALU_DEP_2) | instskip(SKIP_2) | instid1(VALU_DEP_2)
	v_fma_f64 v[185:186], v[130:131], v[136:137], v[128:129]
	s_waitcnt lgkmcnt(0)
	v_mul_f64 v[128:129], v[140:141], v[106:107]
	v_add_f64 v[58:59], v[58:59], -v[185:186]
	s_delay_alu instid0(VALU_DEP_2) | instskip(SKIP_1) | instid1(VALU_DEP_2)
	v_fma_f64 v[187:188], v[138:139], v[136:137], -v[128:129]
	v_mul_f64 v[128:129], v[138:139], v[106:107]
	v_add_f64 v[52:53], v[52:53], -v[187:188]
	s_delay_alu instid0(VALU_DEP_2)
	v_fma_f64 v[189:190], v[140:141], v[136:137], v[128:129]
	ds_load_2addr_b64 v[128:131], v160 offset0:42 offset1:43
	ds_load_2addr_b64 v[138:141], v160 offset0:44 offset1:45
	s_waitcnt lgkmcnt(1)
	v_mul_f64 v[191:192], v[130:131], v[106:107]
	v_add_f64 v[54:55], v[54:55], -v[189:190]
	s_delay_alu instid0(VALU_DEP_2) | instskip(SKIP_1) | instid1(VALU_DEP_2)
	v_fma_f64 v[191:192], v[128:129], v[136:137], -v[191:192]
	v_mul_f64 v[128:129], v[128:129], v[106:107]
	v_add_f64 v[48:49], v[48:49], -v[191:192]
	s_delay_alu instid0(VALU_DEP_2) | instskip(SKIP_2) | instid1(VALU_DEP_2)
	v_fma_f64 v[193:194], v[130:131], v[136:137], v[128:129]
	s_waitcnt lgkmcnt(0)
	v_mul_f64 v[128:129], v[140:141], v[106:107]
	v_add_f64 v[50:51], v[50:51], -v[193:194]
	s_delay_alu instid0(VALU_DEP_2) | instskip(SKIP_1) | instid1(VALU_DEP_2)
	v_fma_f64 v[195:196], v[138:139], v[136:137], -v[128:129]
	v_mul_f64 v[128:129], v[138:139], v[106:107]
	v_add_f64 v[36:37], v[36:37], -v[195:196]
	s_delay_alu instid0(VALU_DEP_2)
	v_fma_f64 v[197:198], v[140:141], v[136:137], v[128:129]
	ds_load_2addr_b64 v[128:131], v160 offset0:46 offset1:47
	ds_load_2addr_b64 v[138:141], v160 offset0:48 offset1:49
	s_waitcnt lgkmcnt(1)
	v_mul_f64 v[199:200], v[130:131], v[106:107]
	v_add_f64 v[38:39], v[38:39], -v[197:198]
	s_delay_alu instid0(VALU_DEP_2) | instskip(SKIP_1) | instid1(VALU_DEP_2)
	v_fma_f64 v[199:200], v[128:129], v[136:137], -v[199:200]
	v_mul_f64 v[128:129], v[128:129], v[106:107]
	v_add_f64 v[32:33], v[32:33], -v[199:200]
	s_delay_alu instid0(VALU_DEP_2) | instskip(SKIP_2) | instid1(VALU_DEP_2)
	v_fma_f64 v[201:202], v[130:131], v[136:137], v[128:129]
	s_waitcnt lgkmcnt(0)
	v_mul_f64 v[128:129], v[140:141], v[106:107]
	v_add_f64 v[34:35], v[34:35], -v[201:202]
	s_delay_alu instid0(VALU_DEP_2) | instskip(SKIP_1) | instid1(VALU_DEP_2)
	v_fma_f64 v[203:204], v[138:139], v[136:137], -v[128:129]
	v_mul_f64 v[128:129], v[138:139], v[106:107]
	v_add_f64 v[28:29], v[28:29], -v[203:204]
	s_delay_alu instid0(VALU_DEP_2)
	v_fma_f64 v[205:206], v[140:141], v[136:137], v[128:129]
	ds_load_2addr_b64 v[128:131], v160 offset0:50 offset1:51
	ds_load_2addr_b64 v[138:141], v160 offset0:52 offset1:53
	s_waitcnt lgkmcnt(1)
	v_mul_f64 v[207:208], v[130:131], v[106:107]
	v_add_f64 v[30:31], v[30:31], -v[205:206]
	s_delay_alu instid0(VALU_DEP_2) | instskip(SKIP_1) | instid1(VALU_DEP_2)
	v_fma_f64 v[207:208], v[128:129], v[136:137], -v[207:208]
	v_mul_f64 v[128:129], v[128:129], v[106:107]
	v_add_f64 v[24:25], v[24:25], -v[207:208]
	s_delay_alu instid0(VALU_DEP_2) | instskip(SKIP_2) | instid1(VALU_DEP_2)
	v_fma_f64 v[209:210], v[130:131], v[136:137], v[128:129]
	s_waitcnt lgkmcnt(0)
	v_mul_f64 v[128:129], v[140:141], v[106:107]
	v_add_f64 v[26:27], v[26:27], -v[209:210]
	s_delay_alu instid0(VALU_DEP_2) | instskip(SKIP_1) | instid1(VALU_DEP_2)
	v_fma_f64 v[211:212], v[138:139], v[136:137], -v[128:129]
	v_mul_f64 v[128:129], v[138:139], v[106:107]
	v_add_f64 v[20:21], v[20:21], -v[211:212]
	s_delay_alu instid0(VALU_DEP_2)
	v_fma_f64 v[213:214], v[140:141], v[136:137], v[128:129]
	ds_load_2addr_b64 v[128:131], v160 offset0:54 offset1:55
	ds_load_2addr_b64 v[138:141], v160 offset0:56 offset1:57
	s_waitcnt lgkmcnt(1)
	v_mul_f64 v[215:216], v[130:131], v[106:107]
	v_add_f64 v[22:23], v[22:23], -v[213:214]
	s_delay_alu instid0(VALU_DEP_2) | instskip(SKIP_1) | instid1(VALU_DEP_2)
	v_fma_f64 v[215:216], v[128:129], v[136:137], -v[215:216]
	v_mul_f64 v[128:129], v[128:129], v[106:107]
	v_add_f64 v[16:17], v[16:17], -v[215:216]
	s_delay_alu instid0(VALU_DEP_2) | instskip(SKIP_2) | instid1(VALU_DEP_2)
	v_fma_f64 v[217:218], v[130:131], v[136:137], v[128:129]
	s_waitcnt lgkmcnt(0)
	v_mul_f64 v[128:129], v[140:141], v[106:107]
	v_add_f64 v[18:19], v[18:19], -v[217:218]
	s_delay_alu instid0(VALU_DEP_2) | instskip(SKIP_1) | instid1(VALU_DEP_2)
	v_fma_f64 v[219:220], v[138:139], v[136:137], -v[128:129]
	v_mul_f64 v[128:129], v[138:139], v[106:107]
	v_add_f64 v[12:13], v[12:13], -v[219:220]
	s_delay_alu instid0(VALU_DEP_2)
	v_fma_f64 v[221:222], v[140:141], v[136:137], v[128:129]
	ds_load_2addr_b64 v[128:131], v160 offset0:58 offset1:59
	ds_load_2addr_b64 v[138:141], v160 offset0:60 offset1:61
	s_waitcnt lgkmcnt(1)
	v_mul_f64 v[223:224], v[130:131], v[106:107]
	v_add_f64 v[14:15], v[14:15], -v[221:222]
	s_delay_alu instid0(VALU_DEP_2) | instskip(SKIP_1) | instid1(VALU_DEP_2)
	v_fma_f64 v[223:224], v[128:129], v[136:137], -v[223:224]
	v_mul_f64 v[128:129], v[128:129], v[106:107]
	v_add_f64 v[8:9], v[8:9], -v[223:224]
	s_delay_alu instid0(VALU_DEP_2) | instskip(SKIP_2) | instid1(VALU_DEP_2)
	v_fma_f64 v[225:226], v[130:131], v[136:137], v[128:129]
	s_waitcnt lgkmcnt(0)
	v_mul_f64 v[128:129], v[140:141], v[106:107]
	v_add_f64 v[10:11], v[10:11], -v[225:226]
	s_delay_alu instid0(VALU_DEP_2) | instskip(SKIP_1) | instid1(VALU_DEP_2)
	v_fma_f64 v[227:228], v[138:139], v[136:137], -v[128:129]
	v_mul_f64 v[128:129], v[138:139], v[106:107]
	v_add_f64 v[4:5], v[4:5], -v[227:228]
	s_delay_alu instid0(VALU_DEP_2) | instskip(SKIP_4) | instid1(VALU_DEP_2)
	v_fma_f64 v[138:139], v[140:141], v[136:137], v[128:129]
	ds_load_2addr_b64 v[128:131], v160 offset0:62 offset1:63
	s_waitcnt lgkmcnt(0)
	v_mul_f64 v[140:141], v[130:131], v[106:107]
	v_add_f64 v[6:7], v[6:7], -v[138:139]
	v_fma_f64 v[140:141], v[128:129], v[136:137], -v[140:141]
	v_mul_f64 v[128:129], v[128:129], v[106:107]
	s_delay_alu instid0(VALU_DEP_2) | instskip(NEXT) | instid1(VALU_DEP_2)
	v_add_f64 v[0:1], v[0:1], -v[140:141]
	v_fma_f64 v[128:129], v[130:131], v[136:137], v[128:129]
	s_delay_alu instid0(VALU_DEP_1)
	v_add_f64 v[2:3], v[2:3], -v[128:129]
.LBB62_146:
	s_or_b32 exec_lo, exec_lo, s2
	v_lshl_add_u32 v40, v162, 4, v160
	s_barrier
	buffer_gl0_inv
	v_mov_b32_e32 v136, 7
	ds_store_2addr_b64 v40, v[76:77], v[78:79] offset1:1
	s_waitcnt lgkmcnt(0)
	s_barrier
	buffer_gl0_inv
	ds_load_2addr_b64 v[128:131], v160 offset0:14 offset1:15
	s_cmp_lt_i32 s5, 9
	s_cbranch_scc1 .LBB62_149
; %bb.147:
	v_add3_u32 v137, v156, 0, 0x80
	v_mov_b32_e32 v136, 7
	s_mov_b32 s6, 8
	s_set_inst_prefetch_distance 0x1
	.p2align	6
.LBB62_148:                             ; =>This Inner Loop Header: Depth=1
	ds_load_2addr_b64 v[138:141], v137 offset1:1
	s_waitcnt lgkmcnt(1)
	v_cmp_gt_f64_e32 vcc_lo, 0, v[128:129]
	v_xor_b32_e32 v40, 0x80000000, v129
	v_cmp_gt_f64_e64 s2, 0, v[130:131]
	v_xor_b32_e32 v42, 0x80000000, v131
	v_add_nc_u32_e32 v137, 16, v137
	s_waitcnt lgkmcnt(0)
	v_cmp_gt_f64_e64 s3, 0, v[138:139]
	v_mov_b32_e32 v44, v138
	v_dual_mov_b32 v46, v140 :: v_dual_cndmask_b32 v41, v129, v40
	v_xor_b32_e32 v40, 0x80000000, v139
	v_cndmask_b32_e64 v43, v131, v42, s2
	v_xor_b32_e32 v42, 0x80000000, v141
	s_delay_alu instid0(VALU_DEP_3) | instskip(SKIP_2) | instid1(VALU_DEP_2)
	v_cndmask_b32_e64 v45, v139, v40, s3
	v_cmp_gt_f64_e64 s3, 0, v[140:141]
	v_cndmask_b32_e32 v40, v128, v128, vcc_lo
	v_cndmask_b32_e64 v47, v141, v42, s3
	v_cndmask_b32_e64 v42, v130, v130, s2
	s_delay_alu instid0(VALU_DEP_2) | instskip(NEXT) | instid1(VALU_DEP_2)
	v_add_f64 v[44:45], v[44:45], v[46:47]
	v_add_f64 v[40:41], v[40:41], v[42:43]
	s_delay_alu instid0(VALU_DEP_1)
	v_cmp_lt_f64_e32 vcc_lo, v[40:41], v[44:45]
	v_cndmask_b32_e32 v131, v131, v141, vcc_lo
	v_dual_cndmask_b32 v129, v129, v139 :: v_dual_cndmask_b32 v128, v128, v138
	v_cndmask_b32_e32 v130, v130, v140, vcc_lo
	v_cndmask_b32_e64 v136, v136, s6, vcc_lo
	s_add_i32 s6, s6, 1
	s_delay_alu instid0(SALU_CYCLE_1)
	s_cmp_lg_u32 s5, s6
	s_cbranch_scc1 .LBB62_148
.LBB62_149:
	s_set_inst_prefetch_distance 0x2
	s_waitcnt lgkmcnt(0)
	v_cmp_eq_f64_e32 vcc_lo, 0, v[128:129]
	v_cmp_eq_f64_e64 s2, 0, v[130:131]
	s_delay_alu instid0(VALU_DEP_1) | instskip(NEXT) | instid1(SALU_CYCLE_1)
	s_and_b32 s2, vcc_lo, s2
	s_and_saveexec_b32 s3, s2
	s_delay_alu instid0(SALU_CYCLE_1)
	s_xor_b32 s2, exec_lo, s3
; %bb.150:
	v_cmp_ne_u32_e32 vcc_lo, 0, v255
	v_cndmask_b32_e32 v255, 8, v255, vcc_lo
; %bb.151:
	s_and_not1_saveexec_b32 s3, s2
	s_cbranch_execz .LBB62_157
; %bb.152:
	v_cmp_gt_f64_e32 vcc_lo, 0, v[128:129]
	v_cmp_gt_f64_e64 s2, 0, v[130:131]
	v_xor_b32_e32 v40, 0x80000000, v129
	v_xor_b32_e32 v42, 0x80000000, v131
	s_delay_alu instid0(VALU_DEP_2) | instskip(NEXT) | instid1(VALU_DEP_2)
	v_cndmask_b32_e32 v41, v129, v40, vcc_lo
	v_cndmask_b32_e64 v43, v131, v42, s2
	v_cndmask_b32_e32 v40, v128, v128, vcc_lo
	v_cndmask_b32_e64 v42, v130, v130, s2
	s_mov_b32 s2, exec_lo
	s_delay_alu instid0(VALU_DEP_1)
	v_cmpx_ngt_f64_e32 v[40:41], v[42:43]
	s_xor_b32 s2, exec_lo, s2
	s_cbranch_execz .LBB62_154
; %bb.153:
	v_div_scale_f64 v[40:41], null, v[130:131], v[130:131], v[128:129]
	v_div_scale_f64 v[46:47], vcc_lo, v[128:129], v[130:131], v[128:129]
	s_delay_alu instid0(VALU_DEP_2) | instskip(SKIP_2) | instid1(VALU_DEP_1)
	v_rcp_f64_e32 v[42:43], v[40:41]
	s_waitcnt_depctr 0xfff
	v_fma_f64 v[44:45], -v[40:41], v[42:43], 1.0
	v_fma_f64 v[42:43], v[42:43], v[44:45], v[42:43]
	s_delay_alu instid0(VALU_DEP_1) | instskip(NEXT) | instid1(VALU_DEP_1)
	v_fma_f64 v[44:45], -v[40:41], v[42:43], 1.0
	v_fma_f64 v[42:43], v[42:43], v[44:45], v[42:43]
	s_delay_alu instid0(VALU_DEP_1) | instskip(NEXT) | instid1(VALU_DEP_1)
	v_mul_f64 v[44:45], v[46:47], v[42:43]
	v_fma_f64 v[40:41], -v[40:41], v[44:45], v[46:47]
	s_delay_alu instid0(VALU_DEP_1) | instskip(NEXT) | instid1(VALU_DEP_1)
	v_div_fmas_f64 v[40:41], v[40:41], v[42:43], v[44:45]
	v_div_fixup_f64 v[40:41], v[40:41], v[130:131], v[128:129]
	s_delay_alu instid0(VALU_DEP_1) | instskip(NEXT) | instid1(VALU_DEP_1)
	v_fma_f64 v[42:43], v[128:129], v[40:41], v[130:131]
	v_div_scale_f64 v[44:45], null, v[42:43], v[42:43], 1.0
	s_delay_alu instid0(VALU_DEP_1) | instskip(SKIP_2) | instid1(VALU_DEP_1)
	v_rcp_f64_e32 v[46:47], v[44:45]
	s_waitcnt_depctr 0xfff
	v_fma_f64 v[128:129], -v[44:45], v[46:47], 1.0
	v_fma_f64 v[46:47], v[46:47], v[128:129], v[46:47]
	s_delay_alu instid0(VALU_DEP_1) | instskip(NEXT) | instid1(VALU_DEP_1)
	v_fma_f64 v[128:129], -v[44:45], v[46:47], 1.0
	v_fma_f64 v[46:47], v[46:47], v[128:129], v[46:47]
	v_div_scale_f64 v[128:129], vcc_lo, 1.0, v[42:43], 1.0
	s_delay_alu instid0(VALU_DEP_1) | instskip(NEXT) | instid1(VALU_DEP_1)
	v_mul_f64 v[130:131], v[128:129], v[46:47]
	v_fma_f64 v[44:45], -v[44:45], v[130:131], v[128:129]
	s_delay_alu instid0(VALU_DEP_1) | instskip(NEXT) | instid1(VALU_DEP_1)
	v_div_fmas_f64 v[44:45], v[44:45], v[46:47], v[130:131]
	v_div_fixup_f64 v[130:131], v[44:45], v[42:43], 1.0
	s_delay_alu instid0(VALU_DEP_1)
	v_mul_f64 v[128:129], v[40:41], v[130:131]
	v_xor_b32_e32 v131, 0x80000000, v131
.LBB62_154:
	s_and_not1_saveexec_b32 s2, s2
	s_cbranch_execz .LBB62_156
; %bb.155:
	s_delay_alu instid0(VALU_DEP_1) | instskip(SKIP_1) | instid1(VALU_DEP_2)
	v_div_scale_f64 v[40:41], null, v[128:129], v[128:129], v[130:131]
	v_div_scale_f64 v[46:47], vcc_lo, v[130:131], v[128:129], v[130:131]
	v_rcp_f64_e32 v[42:43], v[40:41]
	s_waitcnt_depctr 0xfff
	v_fma_f64 v[44:45], -v[40:41], v[42:43], 1.0
	s_delay_alu instid0(VALU_DEP_1) | instskip(NEXT) | instid1(VALU_DEP_1)
	v_fma_f64 v[42:43], v[42:43], v[44:45], v[42:43]
	v_fma_f64 v[44:45], -v[40:41], v[42:43], 1.0
	s_delay_alu instid0(VALU_DEP_1) | instskip(NEXT) | instid1(VALU_DEP_1)
	v_fma_f64 v[42:43], v[42:43], v[44:45], v[42:43]
	v_mul_f64 v[44:45], v[46:47], v[42:43]
	s_delay_alu instid0(VALU_DEP_1) | instskip(NEXT) | instid1(VALU_DEP_1)
	v_fma_f64 v[40:41], -v[40:41], v[44:45], v[46:47]
	v_div_fmas_f64 v[40:41], v[40:41], v[42:43], v[44:45]
	s_delay_alu instid0(VALU_DEP_1) | instskip(NEXT) | instid1(VALU_DEP_1)
	v_div_fixup_f64 v[40:41], v[40:41], v[128:129], v[130:131]
	v_fma_f64 v[42:43], v[130:131], v[40:41], v[128:129]
	s_delay_alu instid0(VALU_DEP_1) | instskip(NEXT) | instid1(VALU_DEP_1)
	v_div_scale_f64 v[44:45], null, v[42:43], v[42:43], 1.0
	v_rcp_f64_e32 v[46:47], v[44:45]
	s_waitcnt_depctr 0xfff
	v_fma_f64 v[128:129], -v[44:45], v[46:47], 1.0
	s_delay_alu instid0(VALU_DEP_1) | instskip(NEXT) | instid1(VALU_DEP_1)
	v_fma_f64 v[46:47], v[46:47], v[128:129], v[46:47]
	v_fma_f64 v[128:129], -v[44:45], v[46:47], 1.0
	s_delay_alu instid0(VALU_DEP_1) | instskip(SKIP_1) | instid1(VALU_DEP_1)
	v_fma_f64 v[46:47], v[46:47], v[128:129], v[46:47]
	v_div_scale_f64 v[128:129], vcc_lo, 1.0, v[42:43], 1.0
	v_mul_f64 v[130:131], v[128:129], v[46:47]
	s_delay_alu instid0(VALU_DEP_1) | instskip(NEXT) | instid1(VALU_DEP_1)
	v_fma_f64 v[44:45], -v[44:45], v[130:131], v[128:129]
	v_div_fmas_f64 v[44:45], v[44:45], v[46:47], v[130:131]
	s_delay_alu instid0(VALU_DEP_1) | instskip(NEXT) | instid1(VALU_DEP_1)
	v_div_fixup_f64 v[128:129], v[44:45], v[42:43], 1.0
	v_mul_f64 v[130:131], v[40:41], -v[128:129]
.LBB62_156:
	s_or_b32 exec_lo, exec_lo, s2
.LBB62_157:
	s_delay_alu instid0(SALU_CYCLE_1) | instskip(NEXT) | instid1(SALU_CYCLE_1)
	s_or_b32 exec_lo, exec_lo, s3
	s_mov_b32 s2, exec_lo
	v_cmpx_ne_u32_e64 v162, v136
	s_xor_b32 s2, exec_lo, s2
	s_cbranch_execz .LBB62_163
; %bb.158:
	s_mov_b32 s3, exec_lo
	v_cmpx_eq_u32_e32 7, v162
	s_cbranch_execz .LBB62_162
; %bb.159:
	v_cmp_ne_u32_e32 vcc_lo, 7, v136
	s_xor_b32 s6, s4, -1
	s_delay_alu instid0(SALU_CYCLE_1) | instskip(NEXT) | instid1(SALU_CYCLE_1)
	s_and_b32 s7, s6, vcc_lo
	s_and_saveexec_b32 s6, s7
	s_cbranch_execz .LBB62_161
; %bb.160:
	v_ashrrev_i32_e32 v137, 31, v136
	s_delay_alu instid0(VALU_DEP_1) | instskip(NEXT) | instid1(VALU_DEP_1)
	v_lshlrev_b64 v[40:41], 2, v[136:137]
	v_add_co_u32 v40, vcc_lo, v118, v40
	s_delay_alu instid0(VALU_DEP_2)
	v_add_co_ci_u32_e32 v41, vcc_lo, v119, v41, vcc_lo
	s_clause 0x1
	flat_load_b32 v42, v[40:41]
	flat_load_b32 v43, v[118:119] offset:28
	s_waitcnt vmcnt(1) lgkmcnt(1)
	flat_store_b32 v[118:119], v42 offset:28
	s_waitcnt vmcnt(0) lgkmcnt(1)
	flat_store_b32 v[40:41], v43
.LBB62_161:
	s_or_b32 exec_lo, exec_lo, s6
	v_mov_b32_e32 v162, v136
	v_mov_b32_e32 v40, v136
	scratch_store_b32 off, v40, off         ; 4-byte Folded Spill
.LBB62_162:
	s_or_b32 exec_lo, exec_lo, s3
.LBB62_163:
	s_and_not1_saveexec_b32 s2, s2
	s_cbranch_execz .LBB62_165
; %bb.164:
	v_mov_b32_e32 v162, 7
	ds_store_2addr_b64 v160, v[96:97], v[98:99] offset0:16 offset1:17
	ds_store_2addr_b64 v160, v[92:93], v[94:95] offset0:18 offset1:19
	;; [unrolled: 1-line block ×24, first 2 shown]
.LBB62_165:
	s_or_b32 exec_lo, exec_lo, s2
	s_delay_alu instid0(SALU_CYCLE_1)
	s_mov_b32 s2, exec_lo
	s_waitcnt lgkmcnt(0)
	s_waitcnt_vscnt null, 0x0
	s_barrier
	buffer_gl0_inv
	v_cmpx_lt_i32_e32 7, v162
	s_cbranch_execz .LBB62_167
; %bb.166:
	v_mul_f64 v[40:41], v[130:131], v[78:79]
	s_delay_alu instid0(VALU_DEP_1) | instskip(SKIP_1) | instid1(VALU_DEP_1)
	v_fma_f64 v[136:137], v[128:129], v[76:77], -v[40:41]
	v_mul_f64 v[40:41], v[128:129], v[78:79]
	v_fma_f64 v[78:79], v[130:131], v[76:77], v[40:41]
	ds_load_2addr_b64 v[128:131], v160 offset0:16 offset1:17
	ds_load_2addr_b64 v[138:141], v160 offset0:18 offset1:19
	;; [unrolled: 1-line block ×6, first 2 shown]
	s_waitcnt lgkmcnt(5)
	v_mul_f64 v[40:41], v[130:131], v[78:79]
	s_delay_alu instid0(VALU_DEP_1) | instskip(SKIP_1) | instid1(VALU_DEP_2)
	v_fma_f64 v[76:77], v[128:129], v[136:137], -v[40:41]
	v_mul_f64 v[40:41], v[128:129], v[78:79]
	v_add_f64 v[96:97], v[96:97], -v[76:77]
	s_delay_alu instid0(VALU_DEP_2) | instskip(SKIP_3) | instid1(VALU_DEP_3)
	v_fma_f64 v[128:129], v[130:131], v[136:137], v[40:41]
	s_waitcnt lgkmcnt(4)
	v_mul_f64 v[40:41], v[140:141], v[78:79]
	v_dual_mov_b32 v76, v136 :: v_dual_mov_b32 v77, v137
	v_add_f64 v[98:99], v[98:99], -v[128:129]
	s_delay_alu instid0(VALU_DEP_3) | instskip(SKIP_1) | instid1(VALU_DEP_2)
	v_fma_f64 v[130:131], v[138:139], v[136:137], -v[40:41]
	v_mul_f64 v[40:41], v[138:139], v[78:79]
	v_add_f64 v[92:93], v[92:93], -v[130:131]
	s_delay_alu instid0(VALU_DEP_2) | instskip(SKIP_2) | instid1(VALU_DEP_2)
	v_fma_f64 v[138:139], v[140:141], v[136:137], v[40:41]
	s_waitcnt lgkmcnt(3)
	v_mul_f64 v[40:41], v[144:145], v[78:79]
	v_add_f64 v[94:95], v[94:95], -v[138:139]
	s_delay_alu instid0(VALU_DEP_2) | instskip(SKIP_1) | instid1(VALU_DEP_2)
	v_fma_f64 v[140:141], v[142:143], v[136:137], -v[40:41]
	v_mul_f64 v[40:41], v[142:143], v[78:79]
	v_add_f64 v[112:113], v[112:113], -v[140:141]
	s_delay_alu instid0(VALU_DEP_2) | instskip(SKIP_2) | instid1(VALU_DEP_2)
	v_fma_f64 v[142:143], v[144:145], v[136:137], v[40:41]
	s_waitcnt lgkmcnt(2)
	v_mul_f64 v[40:41], v[148:149], v[78:79]
	v_add_f64 v[114:115], v[114:115], -v[142:143]
	s_delay_alu instid0(VALU_DEP_2) | instskip(SKIP_1) | instid1(VALU_DEP_2)
	;; [unrolled: 9-line block ×4, first 2 shown]
	v_fma_f64 v[152:153], v[163:164], v[136:137], -v[40:41]
	v_mul_f64 v[40:41], v[163:164], v[78:79]
	v_add_f64 v[84:85], v[84:85], -v[152:153]
	s_delay_alu instid0(VALU_DEP_2)
	v_fma_f64 v[154:155], v[165:166], v[136:137], v[40:41]
	ds_load_2addr_b64 v[163:166], v160 offset0:28 offset1:29
	ds_load_2addr_b64 v[167:170], v160 offset0:30 offset1:31
	s_waitcnt lgkmcnt(1)
	v_mul_f64 v[40:41], v[165:166], v[78:79]
	v_mul_f64 v[42:43], v[163:164], v[78:79]
	s_waitcnt lgkmcnt(0)
	v_mul_f64 v[44:45], v[169:170], v[78:79]
	v_mul_f64 v[46:47], v[167:168], v[78:79]
	v_add_f64 v[86:87], v[86:87], -v[154:155]
	v_fma_f64 v[40:41], v[163:164], v[136:137], -v[40:41]
	v_fma_f64 v[42:43], v[165:166], v[136:137], v[42:43]
	v_fma_f64 v[44:45], v[167:168], v[136:137], -v[44:45]
	v_fma_f64 v[46:47], v[169:170], v[136:137], v[46:47]
	ds_load_2addr_b64 v[163:166], v160 offset0:32 offset1:33
	ds_load_2addr_b64 v[167:170], v160 offset0:34 offset1:35
	s_waitcnt lgkmcnt(1)
	v_mul_f64 v[132:133], v[165:166], v[78:79]
	v_mul_f64 v[134:135], v[163:164], v[78:79]
	v_add_f64 v[80:81], v[80:81], -v[40:41]
	v_add_f64 v[82:83], v[82:83], -v[42:43]
	;; [unrolled: 1-line block ×4, first 2 shown]
	v_fma_f64 v[132:133], v[163:164], v[136:137], -v[132:133]
	s_waitcnt lgkmcnt(0)
	v_mul_f64 v[163:164], v[169:170], v[78:79]
	v_fma_f64 v[134:135], v[165:166], v[136:137], v[134:135]
	s_delay_alu instid0(VALU_DEP_3) | instskip(NEXT) | instid1(VALU_DEP_3)
	v_add_f64 v[68:69], v[68:69], -v[132:133]
	v_fma_f64 v[171:172], v[167:168], v[136:137], -v[163:164]
	v_mul_f64 v[163:164], v[167:168], v[78:79]
	s_delay_alu instid0(VALU_DEP_4) | instskip(NEXT) | instid1(VALU_DEP_3)
	v_add_f64 v[70:71], v[70:71], -v[134:135]
	v_add_f64 v[64:65], v[64:65], -v[171:172]
	s_delay_alu instid0(VALU_DEP_3)
	v_fma_f64 v[173:174], v[169:170], v[136:137], v[163:164]
	ds_load_2addr_b64 v[163:166], v160 offset0:36 offset1:37
	ds_load_2addr_b64 v[167:170], v160 offset0:38 offset1:39
	s_waitcnt lgkmcnt(1)
	v_mul_f64 v[175:176], v[165:166], v[78:79]
	v_add_f64 v[66:67], v[66:67], -v[173:174]
	s_delay_alu instid0(VALU_DEP_2) | instskip(SKIP_1) | instid1(VALU_DEP_2)
	v_fma_f64 v[175:176], v[163:164], v[136:137], -v[175:176]
	v_mul_f64 v[163:164], v[163:164], v[78:79]
	v_add_f64 v[60:61], v[60:61], -v[175:176]
	s_delay_alu instid0(VALU_DEP_2) | instskip(SKIP_2) | instid1(VALU_DEP_2)
	v_fma_f64 v[177:178], v[165:166], v[136:137], v[163:164]
	s_waitcnt lgkmcnt(0)
	v_mul_f64 v[163:164], v[169:170], v[78:79]
	v_add_f64 v[62:63], v[62:63], -v[177:178]
	s_delay_alu instid0(VALU_DEP_2) | instskip(SKIP_1) | instid1(VALU_DEP_2)
	v_fma_f64 v[179:180], v[167:168], v[136:137], -v[163:164]
	v_mul_f64 v[163:164], v[167:168], v[78:79]
	v_add_f64 v[56:57], v[56:57], -v[179:180]
	s_delay_alu instid0(VALU_DEP_2)
	v_fma_f64 v[181:182], v[169:170], v[136:137], v[163:164]
	ds_load_2addr_b64 v[163:166], v160 offset0:40 offset1:41
	ds_load_2addr_b64 v[167:170], v160 offset0:42 offset1:43
	s_waitcnt lgkmcnt(1)
	v_mul_f64 v[183:184], v[165:166], v[78:79]
	v_add_f64 v[58:59], v[58:59], -v[181:182]
	s_delay_alu instid0(VALU_DEP_2) | instskip(SKIP_1) | instid1(VALU_DEP_2)
	v_fma_f64 v[183:184], v[163:164], v[136:137], -v[183:184]
	v_mul_f64 v[163:164], v[163:164], v[78:79]
	v_add_f64 v[52:53], v[52:53], -v[183:184]
	s_delay_alu instid0(VALU_DEP_2) | instskip(SKIP_2) | instid1(VALU_DEP_2)
	v_fma_f64 v[185:186], v[165:166], v[136:137], v[163:164]
	s_waitcnt lgkmcnt(0)
	v_mul_f64 v[163:164], v[169:170], v[78:79]
	v_add_f64 v[54:55], v[54:55], -v[185:186]
	s_delay_alu instid0(VALU_DEP_2) | instskip(SKIP_1) | instid1(VALU_DEP_2)
	v_fma_f64 v[187:188], v[167:168], v[136:137], -v[163:164]
	v_mul_f64 v[163:164], v[167:168], v[78:79]
	v_add_f64 v[48:49], v[48:49], -v[187:188]
	s_delay_alu instid0(VALU_DEP_2)
	;; [unrolled: 20-line block ×6, first 2 shown]
	v_fma_f64 v[221:222], v[169:170], v[136:137], v[163:164]
	ds_load_2addr_b64 v[163:166], v160 offset0:60 offset1:61
	ds_load_2addr_b64 v[167:170], v160 offset0:62 offset1:63
	s_waitcnt lgkmcnt(1)
	v_mul_f64 v[223:224], v[165:166], v[78:79]
	v_add_f64 v[10:11], v[10:11], -v[221:222]
	s_delay_alu instid0(VALU_DEP_2) | instskip(SKIP_1) | instid1(VALU_DEP_2)
	v_fma_f64 v[223:224], v[163:164], v[136:137], -v[223:224]
	v_mul_f64 v[163:164], v[163:164], v[78:79]
	v_add_f64 v[4:5], v[4:5], -v[223:224]
	s_delay_alu instid0(VALU_DEP_2) | instskip(SKIP_2) | instid1(VALU_DEP_2)
	v_fma_f64 v[163:164], v[165:166], v[136:137], v[163:164]
	s_waitcnt lgkmcnt(0)
	v_mul_f64 v[165:166], v[169:170], v[78:79]
	v_add_f64 v[6:7], v[6:7], -v[163:164]
	s_delay_alu instid0(VALU_DEP_2) | instskip(SKIP_1) | instid1(VALU_DEP_2)
	v_fma_f64 v[165:166], v[167:168], v[136:137], -v[165:166]
	v_mul_f64 v[167:168], v[167:168], v[78:79]
	v_add_f64 v[0:1], v[0:1], -v[165:166]
	s_delay_alu instid0(VALU_DEP_2) | instskip(NEXT) | instid1(VALU_DEP_1)
	v_fma_f64 v[167:168], v[169:170], v[136:137], v[167:168]
	v_add_f64 v[2:3], v[2:3], -v[167:168]
.LBB62_167:
	s_or_b32 exec_lo, exec_lo, s2
	v_lshl_add_u32 v40, v162, 4, v160
	s_barrier
	buffer_gl0_inv
	v_mov_b32_e32 v136, 8
	ds_store_2addr_b64 v40, v[96:97], v[98:99] offset1:1
	s_waitcnt lgkmcnt(0)
	s_barrier
	buffer_gl0_inv
	ds_load_2addr_b64 v[128:131], v160 offset0:16 offset1:17
	s_cmp_lt_i32 s5, 10
	s_cbranch_scc1 .LBB62_170
; %bb.168:
	v_add3_u32 v137, v156, 0, 0x90
	v_mov_b32_e32 v136, 8
	s_mov_b32 s6, 9
	s_set_inst_prefetch_distance 0x1
	.p2align	6
.LBB62_169:                             ; =>This Inner Loop Header: Depth=1
	ds_load_2addr_b64 v[138:141], v137 offset1:1
	s_waitcnt lgkmcnt(1)
	v_cmp_gt_f64_e32 vcc_lo, 0, v[128:129]
	v_xor_b32_e32 v40, 0x80000000, v129
	v_cmp_gt_f64_e64 s2, 0, v[130:131]
	v_xor_b32_e32 v42, 0x80000000, v131
	v_add_nc_u32_e32 v137, 16, v137
	s_waitcnt lgkmcnt(0)
	v_cmp_gt_f64_e64 s3, 0, v[138:139]
	v_mov_b32_e32 v44, v138
	v_dual_mov_b32 v46, v140 :: v_dual_cndmask_b32 v41, v129, v40
	v_xor_b32_e32 v40, 0x80000000, v139
	v_cndmask_b32_e64 v43, v131, v42, s2
	v_xor_b32_e32 v42, 0x80000000, v141
	s_delay_alu instid0(VALU_DEP_3) | instskip(SKIP_2) | instid1(VALU_DEP_2)
	v_cndmask_b32_e64 v45, v139, v40, s3
	v_cmp_gt_f64_e64 s3, 0, v[140:141]
	v_cndmask_b32_e32 v40, v128, v128, vcc_lo
	v_cndmask_b32_e64 v47, v141, v42, s3
	v_cndmask_b32_e64 v42, v130, v130, s2
	s_delay_alu instid0(VALU_DEP_2) | instskip(NEXT) | instid1(VALU_DEP_2)
	v_add_f64 v[44:45], v[44:45], v[46:47]
	v_add_f64 v[40:41], v[40:41], v[42:43]
	s_delay_alu instid0(VALU_DEP_1)
	v_cmp_lt_f64_e32 vcc_lo, v[40:41], v[44:45]
	v_cndmask_b32_e32 v131, v131, v141, vcc_lo
	v_dual_cndmask_b32 v129, v129, v139 :: v_dual_cndmask_b32 v128, v128, v138
	v_cndmask_b32_e32 v130, v130, v140, vcc_lo
	v_cndmask_b32_e64 v136, v136, s6, vcc_lo
	s_add_i32 s6, s6, 1
	s_delay_alu instid0(SALU_CYCLE_1)
	s_cmp_lg_u32 s5, s6
	s_cbranch_scc1 .LBB62_169
.LBB62_170:
	s_set_inst_prefetch_distance 0x2
	s_waitcnt lgkmcnt(0)
	v_cmp_eq_f64_e32 vcc_lo, 0, v[128:129]
	v_cmp_eq_f64_e64 s2, 0, v[130:131]
	s_delay_alu instid0(VALU_DEP_1) | instskip(NEXT) | instid1(SALU_CYCLE_1)
	s_and_b32 s2, vcc_lo, s2
	s_and_saveexec_b32 s3, s2
	s_delay_alu instid0(SALU_CYCLE_1)
	s_xor_b32 s2, exec_lo, s3
; %bb.171:
	v_cmp_ne_u32_e32 vcc_lo, 0, v255
	v_cndmask_b32_e32 v255, 9, v255, vcc_lo
; %bb.172:
	s_and_not1_saveexec_b32 s3, s2
	s_cbranch_execz .LBB62_178
; %bb.173:
	v_cmp_gt_f64_e32 vcc_lo, 0, v[128:129]
	v_cmp_gt_f64_e64 s2, 0, v[130:131]
	v_xor_b32_e32 v40, 0x80000000, v129
	v_xor_b32_e32 v42, 0x80000000, v131
	s_delay_alu instid0(VALU_DEP_2) | instskip(NEXT) | instid1(VALU_DEP_2)
	v_cndmask_b32_e32 v41, v129, v40, vcc_lo
	v_cndmask_b32_e64 v43, v131, v42, s2
	v_cndmask_b32_e32 v40, v128, v128, vcc_lo
	v_cndmask_b32_e64 v42, v130, v130, s2
	s_mov_b32 s2, exec_lo
	s_delay_alu instid0(VALU_DEP_1)
	v_cmpx_ngt_f64_e32 v[40:41], v[42:43]
	s_xor_b32 s2, exec_lo, s2
	s_cbranch_execz .LBB62_175
; %bb.174:
	v_div_scale_f64 v[40:41], null, v[130:131], v[130:131], v[128:129]
	v_div_scale_f64 v[46:47], vcc_lo, v[128:129], v[130:131], v[128:129]
	s_delay_alu instid0(VALU_DEP_2) | instskip(SKIP_2) | instid1(VALU_DEP_1)
	v_rcp_f64_e32 v[42:43], v[40:41]
	s_waitcnt_depctr 0xfff
	v_fma_f64 v[44:45], -v[40:41], v[42:43], 1.0
	v_fma_f64 v[42:43], v[42:43], v[44:45], v[42:43]
	s_delay_alu instid0(VALU_DEP_1) | instskip(NEXT) | instid1(VALU_DEP_1)
	v_fma_f64 v[44:45], -v[40:41], v[42:43], 1.0
	v_fma_f64 v[42:43], v[42:43], v[44:45], v[42:43]
	s_delay_alu instid0(VALU_DEP_1) | instskip(NEXT) | instid1(VALU_DEP_1)
	v_mul_f64 v[44:45], v[46:47], v[42:43]
	v_fma_f64 v[40:41], -v[40:41], v[44:45], v[46:47]
	s_delay_alu instid0(VALU_DEP_1) | instskip(NEXT) | instid1(VALU_DEP_1)
	v_div_fmas_f64 v[40:41], v[40:41], v[42:43], v[44:45]
	v_div_fixup_f64 v[40:41], v[40:41], v[130:131], v[128:129]
	s_delay_alu instid0(VALU_DEP_1) | instskip(NEXT) | instid1(VALU_DEP_1)
	v_fma_f64 v[42:43], v[128:129], v[40:41], v[130:131]
	v_div_scale_f64 v[44:45], null, v[42:43], v[42:43], 1.0
	s_delay_alu instid0(VALU_DEP_1) | instskip(SKIP_2) | instid1(VALU_DEP_1)
	v_rcp_f64_e32 v[46:47], v[44:45]
	s_waitcnt_depctr 0xfff
	v_fma_f64 v[128:129], -v[44:45], v[46:47], 1.0
	v_fma_f64 v[46:47], v[46:47], v[128:129], v[46:47]
	s_delay_alu instid0(VALU_DEP_1) | instskip(NEXT) | instid1(VALU_DEP_1)
	v_fma_f64 v[128:129], -v[44:45], v[46:47], 1.0
	v_fma_f64 v[46:47], v[46:47], v[128:129], v[46:47]
	v_div_scale_f64 v[128:129], vcc_lo, 1.0, v[42:43], 1.0
	s_delay_alu instid0(VALU_DEP_1) | instskip(NEXT) | instid1(VALU_DEP_1)
	v_mul_f64 v[130:131], v[128:129], v[46:47]
	v_fma_f64 v[44:45], -v[44:45], v[130:131], v[128:129]
	s_delay_alu instid0(VALU_DEP_1) | instskip(NEXT) | instid1(VALU_DEP_1)
	v_div_fmas_f64 v[44:45], v[44:45], v[46:47], v[130:131]
	v_div_fixup_f64 v[130:131], v[44:45], v[42:43], 1.0
	s_delay_alu instid0(VALU_DEP_1)
	v_mul_f64 v[128:129], v[40:41], v[130:131]
	v_xor_b32_e32 v131, 0x80000000, v131
.LBB62_175:
	s_and_not1_saveexec_b32 s2, s2
	s_cbranch_execz .LBB62_177
; %bb.176:
	s_delay_alu instid0(VALU_DEP_1) | instskip(SKIP_1) | instid1(VALU_DEP_2)
	v_div_scale_f64 v[40:41], null, v[128:129], v[128:129], v[130:131]
	v_div_scale_f64 v[46:47], vcc_lo, v[130:131], v[128:129], v[130:131]
	v_rcp_f64_e32 v[42:43], v[40:41]
	s_waitcnt_depctr 0xfff
	v_fma_f64 v[44:45], -v[40:41], v[42:43], 1.0
	s_delay_alu instid0(VALU_DEP_1) | instskip(NEXT) | instid1(VALU_DEP_1)
	v_fma_f64 v[42:43], v[42:43], v[44:45], v[42:43]
	v_fma_f64 v[44:45], -v[40:41], v[42:43], 1.0
	s_delay_alu instid0(VALU_DEP_1) | instskip(NEXT) | instid1(VALU_DEP_1)
	v_fma_f64 v[42:43], v[42:43], v[44:45], v[42:43]
	v_mul_f64 v[44:45], v[46:47], v[42:43]
	s_delay_alu instid0(VALU_DEP_1) | instskip(NEXT) | instid1(VALU_DEP_1)
	v_fma_f64 v[40:41], -v[40:41], v[44:45], v[46:47]
	v_div_fmas_f64 v[40:41], v[40:41], v[42:43], v[44:45]
	s_delay_alu instid0(VALU_DEP_1) | instskip(NEXT) | instid1(VALU_DEP_1)
	v_div_fixup_f64 v[40:41], v[40:41], v[128:129], v[130:131]
	v_fma_f64 v[42:43], v[130:131], v[40:41], v[128:129]
	s_delay_alu instid0(VALU_DEP_1) | instskip(NEXT) | instid1(VALU_DEP_1)
	v_div_scale_f64 v[44:45], null, v[42:43], v[42:43], 1.0
	v_rcp_f64_e32 v[46:47], v[44:45]
	s_waitcnt_depctr 0xfff
	v_fma_f64 v[128:129], -v[44:45], v[46:47], 1.0
	s_delay_alu instid0(VALU_DEP_1) | instskip(NEXT) | instid1(VALU_DEP_1)
	v_fma_f64 v[46:47], v[46:47], v[128:129], v[46:47]
	v_fma_f64 v[128:129], -v[44:45], v[46:47], 1.0
	s_delay_alu instid0(VALU_DEP_1) | instskip(SKIP_1) | instid1(VALU_DEP_1)
	v_fma_f64 v[46:47], v[46:47], v[128:129], v[46:47]
	v_div_scale_f64 v[128:129], vcc_lo, 1.0, v[42:43], 1.0
	v_mul_f64 v[130:131], v[128:129], v[46:47]
	s_delay_alu instid0(VALU_DEP_1) | instskip(NEXT) | instid1(VALU_DEP_1)
	v_fma_f64 v[44:45], -v[44:45], v[130:131], v[128:129]
	v_div_fmas_f64 v[44:45], v[44:45], v[46:47], v[130:131]
	s_delay_alu instid0(VALU_DEP_1) | instskip(NEXT) | instid1(VALU_DEP_1)
	v_div_fixup_f64 v[128:129], v[44:45], v[42:43], 1.0
	v_mul_f64 v[130:131], v[40:41], -v[128:129]
.LBB62_177:
	s_or_b32 exec_lo, exec_lo, s2
.LBB62_178:
	s_delay_alu instid0(SALU_CYCLE_1) | instskip(NEXT) | instid1(SALU_CYCLE_1)
	s_or_b32 exec_lo, exec_lo, s3
	s_mov_b32 s2, exec_lo
	v_cmpx_ne_u32_e64 v162, v136
	s_xor_b32 s2, exec_lo, s2
	s_cbranch_execz .LBB62_184
; %bb.179:
	s_mov_b32 s3, exec_lo
	v_cmpx_eq_u32_e32 8, v162
	s_cbranch_execz .LBB62_183
; %bb.180:
	v_cmp_ne_u32_e32 vcc_lo, 8, v136
	s_xor_b32 s6, s4, -1
	s_delay_alu instid0(SALU_CYCLE_1) | instskip(NEXT) | instid1(SALU_CYCLE_1)
	s_and_b32 s7, s6, vcc_lo
	s_and_saveexec_b32 s6, s7
	s_cbranch_execz .LBB62_182
; %bb.181:
	v_ashrrev_i32_e32 v137, 31, v136
	s_delay_alu instid0(VALU_DEP_1) | instskip(NEXT) | instid1(VALU_DEP_1)
	v_lshlrev_b64 v[40:41], 2, v[136:137]
	v_add_co_u32 v40, vcc_lo, v118, v40
	s_delay_alu instid0(VALU_DEP_2)
	v_add_co_ci_u32_e32 v41, vcc_lo, v119, v41, vcc_lo
	s_clause 0x1
	flat_load_b32 v42, v[40:41]
	flat_load_b32 v43, v[118:119] offset:32
	s_waitcnt vmcnt(1) lgkmcnt(1)
	flat_store_b32 v[118:119], v42 offset:32
	s_waitcnt vmcnt(0) lgkmcnt(1)
	flat_store_b32 v[40:41], v43
.LBB62_182:
	s_or_b32 exec_lo, exec_lo, s6
	v_mov_b32_e32 v162, v136
	v_mov_b32_e32 v40, v136
	scratch_store_b32 off, v40, off         ; 4-byte Folded Spill
.LBB62_183:
	s_or_b32 exec_lo, exec_lo, s3
.LBB62_184:
	s_and_not1_saveexec_b32 s2, s2
	s_cbranch_execz .LBB62_186
; %bb.185:
	v_mov_b32_e32 v162, 8
	ds_store_2addr_b64 v160, v[92:93], v[94:95] offset0:18 offset1:19
	ds_store_2addr_b64 v160, v[112:113], v[114:115] offset0:20 offset1:21
	;; [unrolled: 1-line block ×23, first 2 shown]
.LBB62_186:
	s_or_b32 exec_lo, exec_lo, s2
	s_delay_alu instid0(SALU_CYCLE_1)
	s_mov_b32 s2, exec_lo
	s_waitcnt lgkmcnt(0)
	s_waitcnt_vscnt null, 0x0
	s_barrier
	buffer_gl0_inv
	v_cmpx_lt_i32_e32 8, v162
	s_cbranch_execz .LBB62_188
; %bb.187:
	v_mul_f64 v[40:41], v[130:131], v[98:99]
	s_delay_alu instid0(VALU_DEP_1) | instskip(SKIP_1) | instid1(VALU_DEP_1)
	v_fma_f64 v[136:137], v[128:129], v[96:97], -v[40:41]
	v_mul_f64 v[40:41], v[128:129], v[98:99]
	v_fma_f64 v[98:99], v[130:131], v[96:97], v[40:41]
	ds_load_2addr_b64 v[128:131], v160 offset0:18 offset1:19
	ds_load_2addr_b64 v[138:141], v160 offset0:20 offset1:21
	ds_load_2addr_b64 v[142:145], v160 offset0:22 offset1:23
	ds_load_2addr_b64 v[146:149], v160 offset0:24 offset1:25
	s_waitcnt lgkmcnt(3)
	v_mul_f64 v[40:41], v[130:131], v[98:99]
	s_delay_alu instid0(VALU_DEP_1) | instskip(SKIP_1) | instid1(VALU_DEP_2)
	v_fma_f64 v[96:97], v[128:129], v[136:137], -v[40:41]
	v_mul_f64 v[40:41], v[128:129], v[98:99]
	v_add_f64 v[92:93], v[92:93], -v[96:97]
	s_delay_alu instid0(VALU_DEP_2) | instskip(SKIP_3) | instid1(VALU_DEP_3)
	v_fma_f64 v[128:129], v[130:131], v[136:137], v[40:41]
	s_waitcnt lgkmcnt(2)
	v_mul_f64 v[40:41], v[140:141], v[98:99]
	v_dual_mov_b32 v96, v136 :: v_dual_mov_b32 v97, v137
	v_add_f64 v[94:95], v[94:95], -v[128:129]
	s_delay_alu instid0(VALU_DEP_3) | instskip(SKIP_1) | instid1(VALU_DEP_2)
	v_fma_f64 v[130:131], v[138:139], v[136:137], -v[40:41]
	v_mul_f64 v[40:41], v[138:139], v[98:99]
	v_add_f64 v[112:113], v[112:113], -v[130:131]
	s_delay_alu instid0(VALU_DEP_2) | instskip(SKIP_2) | instid1(VALU_DEP_2)
	v_fma_f64 v[138:139], v[140:141], v[136:137], v[40:41]
	s_waitcnt lgkmcnt(1)
	v_mul_f64 v[40:41], v[144:145], v[98:99]
	v_add_f64 v[114:115], v[114:115], -v[138:139]
	s_delay_alu instid0(VALU_DEP_2) | instskip(SKIP_1) | instid1(VALU_DEP_2)
	v_fma_f64 v[140:141], v[142:143], v[136:137], -v[40:41]
	v_mul_f64 v[40:41], v[142:143], v[98:99]
	v_add_f64 v[108:109], v[108:109], -v[140:141]
	s_delay_alu instid0(VALU_DEP_2) | instskip(SKIP_2) | instid1(VALU_DEP_2)
	v_fma_f64 v[142:143], v[144:145], v[136:137], v[40:41]
	s_waitcnt lgkmcnt(0)
	v_mul_f64 v[40:41], v[148:149], v[98:99]
	v_add_f64 v[110:111], v[110:111], -v[142:143]
	s_delay_alu instid0(VALU_DEP_2) | instskip(SKIP_1) | instid1(VALU_DEP_2)
	v_fma_f64 v[144:145], v[146:147], v[136:137], -v[40:41]
	v_mul_f64 v[40:41], v[146:147], v[98:99]
	v_add_f64 v[88:89], v[88:89], -v[144:145]
	s_delay_alu instid0(VALU_DEP_2)
	v_fma_f64 v[146:147], v[148:149], v[136:137], v[40:41]
	ds_load_2addr_b64 v[148:151], v160 offset0:26 offset1:27
	ds_load_2addr_b64 v[152:155], v160 offset0:28 offset1:29
	s_waitcnt lgkmcnt(1)
	v_mul_f64 v[40:41], v[150:151], v[98:99]
	v_mul_f64 v[42:43], v[148:149], v[98:99]
	s_waitcnt lgkmcnt(0)
	v_mul_f64 v[44:45], v[154:155], v[98:99]
	v_mul_f64 v[46:47], v[152:153], v[98:99]
	v_add_f64 v[90:91], v[90:91], -v[146:147]
	v_fma_f64 v[40:41], v[148:149], v[136:137], -v[40:41]
	v_fma_f64 v[42:43], v[150:151], v[136:137], v[42:43]
	v_fma_f64 v[44:45], v[152:153], v[136:137], -v[44:45]
	v_fma_f64 v[46:47], v[154:155], v[136:137], v[46:47]
	ds_load_2addr_b64 v[148:151], v160 offset0:30 offset1:31
	ds_load_2addr_b64 v[152:155], v160 offset0:32 offset1:33
	s_waitcnt lgkmcnt(1)
	v_mul_f64 v[132:133], v[150:151], v[98:99]
	v_mul_f64 v[134:135], v[148:149], v[98:99]
	v_add_f64 v[84:85], v[84:85], -v[40:41]
	v_add_f64 v[86:87], v[86:87], -v[42:43]
	;; [unrolled: 1-line block ×4, first 2 shown]
	v_fma_f64 v[132:133], v[148:149], v[136:137], -v[132:133]
	s_waitcnt lgkmcnt(0)
	v_mul_f64 v[148:149], v[154:155], v[98:99]
	v_fma_f64 v[134:135], v[150:151], v[136:137], v[134:135]
	s_delay_alu instid0(VALU_DEP_3) | instskip(NEXT) | instid1(VALU_DEP_3)
	v_add_f64 v[72:73], v[72:73], -v[132:133]
	v_fma_f64 v[163:164], v[152:153], v[136:137], -v[148:149]
	v_mul_f64 v[148:149], v[152:153], v[98:99]
	s_delay_alu instid0(VALU_DEP_4) | instskip(NEXT) | instid1(VALU_DEP_3)
	v_add_f64 v[74:75], v[74:75], -v[134:135]
	v_add_f64 v[68:69], v[68:69], -v[163:164]
	s_delay_alu instid0(VALU_DEP_3)
	v_fma_f64 v[165:166], v[154:155], v[136:137], v[148:149]
	ds_load_2addr_b64 v[148:151], v160 offset0:34 offset1:35
	ds_load_2addr_b64 v[152:155], v160 offset0:36 offset1:37
	s_waitcnt lgkmcnt(1)
	v_mul_f64 v[167:168], v[150:151], v[98:99]
	v_add_f64 v[70:71], v[70:71], -v[165:166]
	s_delay_alu instid0(VALU_DEP_2) | instskip(SKIP_1) | instid1(VALU_DEP_2)
	v_fma_f64 v[167:168], v[148:149], v[136:137], -v[167:168]
	v_mul_f64 v[148:149], v[148:149], v[98:99]
	v_add_f64 v[64:65], v[64:65], -v[167:168]
	s_delay_alu instid0(VALU_DEP_2) | instskip(SKIP_2) | instid1(VALU_DEP_2)
	v_fma_f64 v[169:170], v[150:151], v[136:137], v[148:149]
	s_waitcnt lgkmcnt(0)
	v_mul_f64 v[148:149], v[154:155], v[98:99]
	v_add_f64 v[66:67], v[66:67], -v[169:170]
	s_delay_alu instid0(VALU_DEP_2) | instskip(SKIP_1) | instid1(VALU_DEP_2)
	v_fma_f64 v[171:172], v[152:153], v[136:137], -v[148:149]
	v_mul_f64 v[148:149], v[152:153], v[98:99]
	v_add_f64 v[60:61], v[60:61], -v[171:172]
	s_delay_alu instid0(VALU_DEP_2)
	v_fma_f64 v[173:174], v[154:155], v[136:137], v[148:149]
	ds_load_2addr_b64 v[148:151], v160 offset0:38 offset1:39
	ds_load_2addr_b64 v[152:155], v160 offset0:40 offset1:41
	s_waitcnt lgkmcnt(1)
	v_mul_f64 v[175:176], v[150:151], v[98:99]
	v_add_f64 v[62:63], v[62:63], -v[173:174]
	s_delay_alu instid0(VALU_DEP_2) | instskip(SKIP_1) | instid1(VALU_DEP_2)
	v_fma_f64 v[175:176], v[148:149], v[136:137], -v[175:176]
	v_mul_f64 v[148:149], v[148:149], v[98:99]
	v_add_f64 v[56:57], v[56:57], -v[175:176]
	s_delay_alu instid0(VALU_DEP_2) | instskip(SKIP_2) | instid1(VALU_DEP_2)
	v_fma_f64 v[177:178], v[150:151], v[136:137], v[148:149]
	s_waitcnt lgkmcnt(0)
	v_mul_f64 v[148:149], v[154:155], v[98:99]
	v_add_f64 v[58:59], v[58:59], -v[177:178]
	s_delay_alu instid0(VALU_DEP_2) | instskip(SKIP_1) | instid1(VALU_DEP_2)
	v_fma_f64 v[179:180], v[152:153], v[136:137], -v[148:149]
	v_mul_f64 v[148:149], v[152:153], v[98:99]
	v_add_f64 v[52:53], v[52:53], -v[179:180]
	s_delay_alu instid0(VALU_DEP_2)
	v_fma_f64 v[181:182], v[154:155], v[136:137], v[148:149]
	ds_load_2addr_b64 v[148:151], v160 offset0:42 offset1:43
	ds_load_2addr_b64 v[152:155], v160 offset0:44 offset1:45
	s_waitcnt lgkmcnt(1)
	v_mul_f64 v[183:184], v[150:151], v[98:99]
	v_add_f64 v[54:55], v[54:55], -v[181:182]
	s_delay_alu instid0(VALU_DEP_2) | instskip(SKIP_1) | instid1(VALU_DEP_2)
	v_fma_f64 v[183:184], v[148:149], v[136:137], -v[183:184]
	v_mul_f64 v[148:149], v[148:149], v[98:99]
	v_add_f64 v[48:49], v[48:49], -v[183:184]
	s_delay_alu instid0(VALU_DEP_2) | instskip(SKIP_2) | instid1(VALU_DEP_2)
	v_fma_f64 v[185:186], v[150:151], v[136:137], v[148:149]
	s_waitcnt lgkmcnt(0)
	v_mul_f64 v[148:149], v[154:155], v[98:99]
	v_add_f64 v[50:51], v[50:51], -v[185:186]
	s_delay_alu instid0(VALU_DEP_2) | instskip(SKIP_1) | instid1(VALU_DEP_2)
	v_fma_f64 v[187:188], v[152:153], v[136:137], -v[148:149]
	v_mul_f64 v[148:149], v[152:153], v[98:99]
	v_add_f64 v[36:37], v[36:37], -v[187:188]
	s_delay_alu instid0(VALU_DEP_2)
	v_fma_f64 v[189:190], v[154:155], v[136:137], v[148:149]
	ds_load_2addr_b64 v[148:151], v160 offset0:46 offset1:47
	ds_load_2addr_b64 v[152:155], v160 offset0:48 offset1:49
	s_waitcnt lgkmcnt(1)
	v_mul_f64 v[191:192], v[150:151], v[98:99]
	v_add_f64 v[38:39], v[38:39], -v[189:190]
	s_delay_alu instid0(VALU_DEP_2) | instskip(SKIP_1) | instid1(VALU_DEP_2)
	v_fma_f64 v[191:192], v[148:149], v[136:137], -v[191:192]
	v_mul_f64 v[148:149], v[148:149], v[98:99]
	v_add_f64 v[32:33], v[32:33], -v[191:192]
	s_delay_alu instid0(VALU_DEP_2) | instskip(SKIP_2) | instid1(VALU_DEP_2)
	v_fma_f64 v[193:194], v[150:151], v[136:137], v[148:149]
	s_waitcnt lgkmcnt(0)
	v_mul_f64 v[148:149], v[154:155], v[98:99]
	v_add_f64 v[34:35], v[34:35], -v[193:194]
	s_delay_alu instid0(VALU_DEP_2) | instskip(SKIP_1) | instid1(VALU_DEP_2)
	v_fma_f64 v[195:196], v[152:153], v[136:137], -v[148:149]
	v_mul_f64 v[148:149], v[152:153], v[98:99]
	v_add_f64 v[28:29], v[28:29], -v[195:196]
	s_delay_alu instid0(VALU_DEP_2)
	v_fma_f64 v[197:198], v[154:155], v[136:137], v[148:149]
	ds_load_2addr_b64 v[148:151], v160 offset0:50 offset1:51
	ds_load_2addr_b64 v[152:155], v160 offset0:52 offset1:53
	s_waitcnt lgkmcnt(1)
	v_mul_f64 v[199:200], v[150:151], v[98:99]
	v_add_f64 v[30:31], v[30:31], -v[197:198]
	s_delay_alu instid0(VALU_DEP_2) | instskip(SKIP_1) | instid1(VALU_DEP_2)
	v_fma_f64 v[199:200], v[148:149], v[136:137], -v[199:200]
	v_mul_f64 v[148:149], v[148:149], v[98:99]
	v_add_f64 v[24:25], v[24:25], -v[199:200]
	s_delay_alu instid0(VALU_DEP_2) | instskip(SKIP_2) | instid1(VALU_DEP_2)
	v_fma_f64 v[201:202], v[150:151], v[136:137], v[148:149]
	s_waitcnt lgkmcnt(0)
	v_mul_f64 v[148:149], v[154:155], v[98:99]
	v_add_f64 v[26:27], v[26:27], -v[201:202]
	s_delay_alu instid0(VALU_DEP_2) | instskip(SKIP_1) | instid1(VALU_DEP_2)
	v_fma_f64 v[203:204], v[152:153], v[136:137], -v[148:149]
	v_mul_f64 v[148:149], v[152:153], v[98:99]
	v_add_f64 v[20:21], v[20:21], -v[203:204]
	s_delay_alu instid0(VALU_DEP_2)
	v_fma_f64 v[205:206], v[154:155], v[136:137], v[148:149]
	ds_load_2addr_b64 v[148:151], v160 offset0:54 offset1:55
	ds_load_2addr_b64 v[152:155], v160 offset0:56 offset1:57
	s_waitcnt lgkmcnt(1)
	v_mul_f64 v[207:208], v[150:151], v[98:99]
	v_add_f64 v[22:23], v[22:23], -v[205:206]
	s_delay_alu instid0(VALU_DEP_2) | instskip(SKIP_1) | instid1(VALU_DEP_2)
	v_fma_f64 v[207:208], v[148:149], v[136:137], -v[207:208]
	v_mul_f64 v[148:149], v[148:149], v[98:99]
	v_add_f64 v[16:17], v[16:17], -v[207:208]
	s_delay_alu instid0(VALU_DEP_2) | instskip(SKIP_2) | instid1(VALU_DEP_2)
	v_fma_f64 v[209:210], v[150:151], v[136:137], v[148:149]
	s_waitcnt lgkmcnt(0)
	v_mul_f64 v[148:149], v[154:155], v[98:99]
	v_add_f64 v[18:19], v[18:19], -v[209:210]
	s_delay_alu instid0(VALU_DEP_2) | instskip(SKIP_1) | instid1(VALU_DEP_2)
	v_fma_f64 v[211:212], v[152:153], v[136:137], -v[148:149]
	v_mul_f64 v[148:149], v[152:153], v[98:99]
	v_add_f64 v[12:13], v[12:13], -v[211:212]
	s_delay_alu instid0(VALU_DEP_2)
	v_fma_f64 v[213:214], v[154:155], v[136:137], v[148:149]
	ds_load_2addr_b64 v[148:151], v160 offset0:58 offset1:59
	ds_load_2addr_b64 v[152:155], v160 offset0:60 offset1:61
	s_waitcnt lgkmcnt(1)
	v_mul_f64 v[215:216], v[150:151], v[98:99]
	v_add_f64 v[14:15], v[14:15], -v[213:214]
	s_delay_alu instid0(VALU_DEP_2) | instskip(SKIP_1) | instid1(VALU_DEP_2)
	v_fma_f64 v[215:216], v[148:149], v[136:137], -v[215:216]
	v_mul_f64 v[148:149], v[148:149], v[98:99]
	v_add_f64 v[8:9], v[8:9], -v[215:216]
	s_delay_alu instid0(VALU_DEP_2) | instskip(SKIP_2) | instid1(VALU_DEP_2)
	v_fma_f64 v[217:218], v[150:151], v[136:137], v[148:149]
	s_waitcnt lgkmcnt(0)
	v_mul_f64 v[148:149], v[154:155], v[98:99]
	v_add_f64 v[10:11], v[10:11], -v[217:218]
	s_delay_alu instid0(VALU_DEP_2) | instskip(SKIP_1) | instid1(VALU_DEP_2)
	v_fma_f64 v[219:220], v[152:153], v[136:137], -v[148:149]
	v_mul_f64 v[148:149], v[152:153], v[98:99]
	v_add_f64 v[4:5], v[4:5], -v[219:220]
	s_delay_alu instid0(VALU_DEP_2) | instskip(SKIP_4) | instid1(VALU_DEP_2)
	v_fma_f64 v[152:153], v[154:155], v[136:137], v[148:149]
	ds_load_2addr_b64 v[148:151], v160 offset0:62 offset1:63
	s_waitcnt lgkmcnt(0)
	v_mul_f64 v[154:155], v[150:151], v[98:99]
	v_add_f64 v[6:7], v[6:7], -v[152:153]
	v_fma_f64 v[154:155], v[148:149], v[136:137], -v[154:155]
	v_mul_f64 v[148:149], v[148:149], v[98:99]
	s_delay_alu instid0(VALU_DEP_2) | instskip(NEXT) | instid1(VALU_DEP_2)
	v_add_f64 v[0:1], v[0:1], -v[154:155]
	v_fma_f64 v[148:149], v[150:151], v[136:137], v[148:149]
	s_delay_alu instid0(VALU_DEP_1)
	v_add_f64 v[2:3], v[2:3], -v[148:149]
.LBB62_188:
	s_or_b32 exec_lo, exec_lo, s2
	v_lshl_add_u32 v40, v162, 4, v160
	s_barrier
	buffer_gl0_inv
	v_mov_b32_e32 v136, 9
	ds_store_2addr_b64 v40, v[92:93], v[94:95] offset1:1
	s_waitcnt lgkmcnt(0)
	s_barrier
	buffer_gl0_inv
	ds_load_2addr_b64 v[128:131], v160 offset0:18 offset1:19
	s_cmp_lt_i32 s5, 11
	s_cbranch_scc1 .LBB62_191
; %bb.189:
	v_add3_u32 v137, v156, 0, 0xa0
	v_mov_b32_e32 v136, 9
	s_mov_b32 s6, 10
	s_set_inst_prefetch_distance 0x1
	.p2align	6
.LBB62_190:                             ; =>This Inner Loop Header: Depth=1
	ds_load_2addr_b64 v[138:141], v137 offset1:1
	s_waitcnt lgkmcnt(1)
	v_cmp_gt_f64_e32 vcc_lo, 0, v[128:129]
	v_xor_b32_e32 v40, 0x80000000, v129
	v_cmp_gt_f64_e64 s2, 0, v[130:131]
	v_xor_b32_e32 v42, 0x80000000, v131
	v_add_nc_u32_e32 v137, 16, v137
	s_waitcnt lgkmcnt(0)
	v_cmp_gt_f64_e64 s3, 0, v[138:139]
	v_mov_b32_e32 v44, v138
	v_dual_mov_b32 v46, v140 :: v_dual_cndmask_b32 v41, v129, v40
	v_xor_b32_e32 v40, 0x80000000, v139
	v_cndmask_b32_e64 v43, v131, v42, s2
	v_xor_b32_e32 v42, 0x80000000, v141
	s_delay_alu instid0(VALU_DEP_3) | instskip(SKIP_2) | instid1(VALU_DEP_2)
	v_cndmask_b32_e64 v45, v139, v40, s3
	v_cmp_gt_f64_e64 s3, 0, v[140:141]
	v_cndmask_b32_e32 v40, v128, v128, vcc_lo
	v_cndmask_b32_e64 v47, v141, v42, s3
	v_cndmask_b32_e64 v42, v130, v130, s2
	s_delay_alu instid0(VALU_DEP_2) | instskip(NEXT) | instid1(VALU_DEP_2)
	v_add_f64 v[44:45], v[44:45], v[46:47]
	v_add_f64 v[40:41], v[40:41], v[42:43]
	s_delay_alu instid0(VALU_DEP_1)
	v_cmp_lt_f64_e32 vcc_lo, v[40:41], v[44:45]
	v_cndmask_b32_e32 v131, v131, v141, vcc_lo
	v_dual_cndmask_b32 v129, v129, v139 :: v_dual_cndmask_b32 v128, v128, v138
	v_cndmask_b32_e32 v130, v130, v140, vcc_lo
	v_cndmask_b32_e64 v136, v136, s6, vcc_lo
	s_add_i32 s6, s6, 1
	s_delay_alu instid0(SALU_CYCLE_1)
	s_cmp_lg_u32 s5, s6
	s_cbranch_scc1 .LBB62_190
.LBB62_191:
	s_set_inst_prefetch_distance 0x2
	s_waitcnt lgkmcnt(0)
	v_cmp_eq_f64_e32 vcc_lo, 0, v[128:129]
	v_cmp_eq_f64_e64 s2, 0, v[130:131]
	s_delay_alu instid0(VALU_DEP_1) | instskip(NEXT) | instid1(SALU_CYCLE_1)
	s_and_b32 s2, vcc_lo, s2
	s_and_saveexec_b32 s3, s2
	s_delay_alu instid0(SALU_CYCLE_1)
	s_xor_b32 s2, exec_lo, s3
; %bb.192:
	v_cmp_ne_u32_e32 vcc_lo, 0, v255
	v_cndmask_b32_e32 v255, 10, v255, vcc_lo
; %bb.193:
	s_and_not1_saveexec_b32 s3, s2
	s_cbranch_execz .LBB62_199
; %bb.194:
	v_cmp_gt_f64_e32 vcc_lo, 0, v[128:129]
	v_cmp_gt_f64_e64 s2, 0, v[130:131]
	v_xor_b32_e32 v40, 0x80000000, v129
	v_xor_b32_e32 v42, 0x80000000, v131
	s_delay_alu instid0(VALU_DEP_2) | instskip(NEXT) | instid1(VALU_DEP_2)
	v_cndmask_b32_e32 v41, v129, v40, vcc_lo
	v_cndmask_b32_e64 v43, v131, v42, s2
	v_cndmask_b32_e32 v40, v128, v128, vcc_lo
	v_cndmask_b32_e64 v42, v130, v130, s2
	s_mov_b32 s2, exec_lo
	s_delay_alu instid0(VALU_DEP_1)
	v_cmpx_ngt_f64_e32 v[40:41], v[42:43]
	s_xor_b32 s2, exec_lo, s2
	s_cbranch_execz .LBB62_196
; %bb.195:
	v_div_scale_f64 v[40:41], null, v[130:131], v[130:131], v[128:129]
	v_div_scale_f64 v[46:47], vcc_lo, v[128:129], v[130:131], v[128:129]
	s_delay_alu instid0(VALU_DEP_2) | instskip(SKIP_2) | instid1(VALU_DEP_1)
	v_rcp_f64_e32 v[42:43], v[40:41]
	s_waitcnt_depctr 0xfff
	v_fma_f64 v[44:45], -v[40:41], v[42:43], 1.0
	v_fma_f64 v[42:43], v[42:43], v[44:45], v[42:43]
	s_delay_alu instid0(VALU_DEP_1) | instskip(NEXT) | instid1(VALU_DEP_1)
	v_fma_f64 v[44:45], -v[40:41], v[42:43], 1.0
	v_fma_f64 v[42:43], v[42:43], v[44:45], v[42:43]
	s_delay_alu instid0(VALU_DEP_1) | instskip(NEXT) | instid1(VALU_DEP_1)
	v_mul_f64 v[44:45], v[46:47], v[42:43]
	v_fma_f64 v[40:41], -v[40:41], v[44:45], v[46:47]
	s_delay_alu instid0(VALU_DEP_1) | instskip(NEXT) | instid1(VALU_DEP_1)
	v_div_fmas_f64 v[40:41], v[40:41], v[42:43], v[44:45]
	v_div_fixup_f64 v[40:41], v[40:41], v[130:131], v[128:129]
	s_delay_alu instid0(VALU_DEP_1) | instskip(NEXT) | instid1(VALU_DEP_1)
	v_fma_f64 v[42:43], v[128:129], v[40:41], v[130:131]
	v_div_scale_f64 v[44:45], null, v[42:43], v[42:43], 1.0
	s_delay_alu instid0(VALU_DEP_1) | instskip(SKIP_2) | instid1(VALU_DEP_1)
	v_rcp_f64_e32 v[46:47], v[44:45]
	s_waitcnt_depctr 0xfff
	v_fma_f64 v[128:129], -v[44:45], v[46:47], 1.0
	v_fma_f64 v[46:47], v[46:47], v[128:129], v[46:47]
	s_delay_alu instid0(VALU_DEP_1) | instskip(NEXT) | instid1(VALU_DEP_1)
	v_fma_f64 v[128:129], -v[44:45], v[46:47], 1.0
	v_fma_f64 v[46:47], v[46:47], v[128:129], v[46:47]
	v_div_scale_f64 v[128:129], vcc_lo, 1.0, v[42:43], 1.0
	s_delay_alu instid0(VALU_DEP_1) | instskip(NEXT) | instid1(VALU_DEP_1)
	v_mul_f64 v[130:131], v[128:129], v[46:47]
	v_fma_f64 v[44:45], -v[44:45], v[130:131], v[128:129]
	s_delay_alu instid0(VALU_DEP_1) | instskip(NEXT) | instid1(VALU_DEP_1)
	v_div_fmas_f64 v[44:45], v[44:45], v[46:47], v[130:131]
	v_div_fixup_f64 v[130:131], v[44:45], v[42:43], 1.0
	s_delay_alu instid0(VALU_DEP_1)
	v_mul_f64 v[128:129], v[40:41], v[130:131]
	v_xor_b32_e32 v131, 0x80000000, v131
.LBB62_196:
	s_and_not1_saveexec_b32 s2, s2
	s_cbranch_execz .LBB62_198
; %bb.197:
	s_delay_alu instid0(VALU_DEP_1) | instskip(SKIP_1) | instid1(VALU_DEP_2)
	v_div_scale_f64 v[40:41], null, v[128:129], v[128:129], v[130:131]
	v_div_scale_f64 v[46:47], vcc_lo, v[130:131], v[128:129], v[130:131]
	v_rcp_f64_e32 v[42:43], v[40:41]
	s_waitcnt_depctr 0xfff
	v_fma_f64 v[44:45], -v[40:41], v[42:43], 1.0
	s_delay_alu instid0(VALU_DEP_1) | instskip(NEXT) | instid1(VALU_DEP_1)
	v_fma_f64 v[42:43], v[42:43], v[44:45], v[42:43]
	v_fma_f64 v[44:45], -v[40:41], v[42:43], 1.0
	s_delay_alu instid0(VALU_DEP_1) | instskip(NEXT) | instid1(VALU_DEP_1)
	v_fma_f64 v[42:43], v[42:43], v[44:45], v[42:43]
	v_mul_f64 v[44:45], v[46:47], v[42:43]
	s_delay_alu instid0(VALU_DEP_1) | instskip(NEXT) | instid1(VALU_DEP_1)
	v_fma_f64 v[40:41], -v[40:41], v[44:45], v[46:47]
	v_div_fmas_f64 v[40:41], v[40:41], v[42:43], v[44:45]
	s_delay_alu instid0(VALU_DEP_1) | instskip(NEXT) | instid1(VALU_DEP_1)
	v_div_fixup_f64 v[40:41], v[40:41], v[128:129], v[130:131]
	v_fma_f64 v[42:43], v[130:131], v[40:41], v[128:129]
	s_delay_alu instid0(VALU_DEP_1) | instskip(NEXT) | instid1(VALU_DEP_1)
	v_div_scale_f64 v[44:45], null, v[42:43], v[42:43], 1.0
	v_rcp_f64_e32 v[46:47], v[44:45]
	s_waitcnt_depctr 0xfff
	v_fma_f64 v[128:129], -v[44:45], v[46:47], 1.0
	s_delay_alu instid0(VALU_DEP_1) | instskip(NEXT) | instid1(VALU_DEP_1)
	v_fma_f64 v[46:47], v[46:47], v[128:129], v[46:47]
	v_fma_f64 v[128:129], -v[44:45], v[46:47], 1.0
	s_delay_alu instid0(VALU_DEP_1) | instskip(SKIP_1) | instid1(VALU_DEP_1)
	v_fma_f64 v[46:47], v[46:47], v[128:129], v[46:47]
	v_div_scale_f64 v[128:129], vcc_lo, 1.0, v[42:43], 1.0
	v_mul_f64 v[130:131], v[128:129], v[46:47]
	s_delay_alu instid0(VALU_DEP_1) | instskip(NEXT) | instid1(VALU_DEP_1)
	v_fma_f64 v[44:45], -v[44:45], v[130:131], v[128:129]
	v_div_fmas_f64 v[44:45], v[44:45], v[46:47], v[130:131]
	s_delay_alu instid0(VALU_DEP_1) | instskip(NEXT) | instid1(VALU_DEP_1)
	v_div_fixup_f64 v[128:129], v[44:45], v[42:43], 1.0
	v_mul_f64 v[130:131], v[40:41], -v[128:129]
.LBB62_198:
	s_or_b32 exec_lo, exec_lo, s2
.LBB62_199:
	s_delay_alu instid0(SALU_CYCLE_1) | instskip(NEXT) | instid1(SALU_CYCLE_1)
	s_or_b32 exec_lo, exec_lo, s3
	s_mov_b32 s2, exec_lo
	v_cmpx_ne_u32_e64 v162, v136
	s_xor_b32 s2, exec_lo, s2
	s_cbranch_execz .LBB62_205
; %bb.200:
	s_mov_b32 s3, exec_lo
	v_cmpx_eq_u32_e32 9, v162
	s_cbranch_execz .LBB62_204
; %bb.201:
	v_cmp_ne_u32_e32 vcc_lo, 9, v136
	s_xor_b32 s6, s4, -1
	s_delay_alu instid0(SALU_CYCLE_1) | instskip(NEXT) | instid1(SALU_CYCLE_1)
	s_and_b32 s7, s6, vcc_lo
	s_and_saveexec_b32 s6, s7
	s_cbranch_execz .LBB62_203
; %bb.202:
	v_ashrrev_i32_e32 v137, 31, v136
	s_delay_alu instid0(VALU_DEP_1) | instskip(NEXT) | instid1(VALU_DEP_1)
	v_lshlrev_b64 v[40:41], 2, v[136:137]
	v_add_co_u32 v40, vcc_lo, v118, v40
	s_delay_alu instid0(VALU_DEP_2)
	v_add_co_ci_u32_e32 v41, vcc_lo, v119, v41, vcc_lo
	s_clause 0x1
	flat_load_b32 v42, v[40:41]
	flat_load_b32 v43, v[118:119] offset:36
	s_waitcnt vmcnt(1) lgkmcnt(1)
	flat_store_b32 v[118:119], v42 offset:36
	s_waitcnt vmcnt(0) lgkmcnt(1)
	flat_store_b32 v[40:41], v43
.LBB62_203:
	s_or_b32 exec_lo, exec_lo, s6
	v_mov_b32_e32 v162, v136
	v_mov_b32_e32 v40, v136
	scratch_store_b32 off, v40, off         ; 4-byte Folded Spill
.LBB62_204:
	s_or_b32 exec_lo, exec_lo, s3
.LBB62_205:
	s_and_not1_saveexec_b32 s2, s2
	s_cbranch_execz .LBB62_207
; %bb.206:
	v_mov_b32_e32 v162, 9
	ds_store_2addr_b64 v160, v[112:113], v[114:115] offset0:20 offset1:21
	ds_store_2addr_b64 v160, v[108:109], v[110:111] offset0:22 offset1:23
	;; [unrolled: 1-line block ×22, first 2 shown]
.LBB62_207:
	s_or_b32 exec_lo, exec_lo, s2
	s_delay_alu instid0(SALU_CYCLE_1)
	s_mov_b32 s2, exec_lo
	s_waitcnt lgkmcnt(0)
	s_waitcnt_vscnt null, 0x0
	s_barrier
	buffer_gl0_inv
	v_cmpx_lt_i32_e32 9, v162
	s_cbranch_execz .LBB62_209
; %bb.208:
	v_mul_f64 v[40:41], v[130:131], v[94:95]
	s_delay_alu instid0(VALU_DEP_1) | instskip(SKIP_1) | instid1(VALU_DEP_1)
	v_fma_f64 v[136:137], v[128:129], v[92:93], -v[40:41]
	v_mul_f64 v[40:41], v[128:129], v[94:95]
	v_fma_f64 v[94:95], v[130:131], v[92:93], v[40:41]
	ds_load_2addr_b64 v[128:131], v160 offset0:20 offset1:21
	ds_load_2addr_b64 v[138:141], v160 offset0:22 offset1:23
	ds_load_2addr_b64 v[142:145], v160 offset0:24 offset1:25
	ds_load_2addr_b64 v[146:149], v160 offset0:26 offset1:27
	s_waitcnt lgkmcnt(3)
	v_mul_f64 v[40:41], v[130:131], v[94:95]
	s_delay_alu instid0(VALU_DEP_1) | instskip(SKIP_1) | instid1(VALU_DEP_2)
	v_fma_f64 v[92:93], v[128:129], v[136:137], -v[40:41]
	v_mul_f64 v[40:41], v[128:129], v[94:95]
	v_add_f64 v[112:113], v[112:113], -v[92:93]
	s_delay_alu instid0(VALU_DEP_2) | instskip(SKIP_3) | instid1(VALU_DEP_3)
	v_fma_f64 v[128:129], v[130:131], v[136:137], v[40:41]
	s_waitcnt lgkmcnt(2)
	v_mul_f64 v[40:41], v[140:141], v[94:95]
	v_dual_mov_b32 v92, v136 :: v_dual_mov_b32 v93, v137
	v_add_f64 v[114:115], v[114:115], -v[128:129]
	s_delay_alu instid0(VALU_DEP_3) | instskip(SKIP_1) | instid1(VALU_DEP_2)
	v_fma_f64 v[130:131], v[138:139], v[136:137], -v[40:41]
	v_mul_f64 v[40:41], v[138:139], v[94:95]
	v_add_f64 v[108:109], v[108:109], -v[130:131]
	s_delay_alu instid0(VALU_DEP_2) | instskip(SKIP_2) | instid1(VALU_DEP_2)
	v_fma_f64 v[138:139], v[140:141], v[136:137], v[40:41]
	s_waitcnt lgkmcnt(1)
	v_mul_f64 v[40:41], v[144:145], v[94:95]
	v_add_f64 v[110:111], v[110:111], -v[138:139]
	s_delay_alu instid0(VALU_DEP_2) | instskip(SKIP_1) | instid1(VALU_DEP_2)
	v_fma_f64 v[140:141], v[142:143], v[136:137], -v[40:41]
	v_mul_f64 v[40:41], v[142:143], v[94:95]
	v_add_f64 v[88:89], v[88:89], -v[140:141]
	s_delay_alu instid0(VALU_DEP_2) | instskip(SKIP_2) | instid1(VALU_DEP_2)
	v_fma_f64 v[142:143], v[144:145], v[136:137], v[40:41]
	s_waitcnt lgkmcnt(0)
	v_mul_f64 v[40:41], v[148:149], v[94:95]
	v_add_f64 v[90:91], v[90:91], -v[142:143]
	s_delay_alu instid0(VALU_DEP_2) | instskip(SKIP_1) | instid1(VALU_DEP_2)
	v_fma_f64 v[144:145], v[146:147], v[136:137], -v[40:41]
	v_mul_f64 v[40:41], v[146:147], v[94:95]
	v_add_f64 v[84:85], v[84:85], -v[144:145]
	s_delay_alu instid0(VALU_DEP_2)
	v_fma_f64 v[146:147], v[148:149], v[136:137], v[40:41]
	ds_load_2addr_b64 v[148:151], v160 offset0:28 offset1:29
	ds_load_2addr_b64 v[152:155], v160 offset0:30 offset1:31
	s_waitcnt lgkmcnt(1)
	v_mul_f64 v[40:41], v[150:151], v[94:95]
	v_mul_f64 v[42:43], v[148:149], v[94:95]
	s_waitcnt lgkmcnt(0)
	v_mul_f64 v[44:45], v[154:155], v[94:95]
	v_mul_f64 v[46:47], v[152:153], v[94:95]
	v_add_f64 v[86:87], v[86:87], -v[146:147]
	v_fma_f64 v[40:41], v[148:149], v[136:137], -v[40:41]
	v_fma_f64 v[42:43], v[150:151], v[136:137], v[42:43]
	v_fma_f64 v[44:45], v[152:153], v[136:137], -v[44:45]
	v_fma_f64 v[46:47], v[154:155], v[136:137], v[46:47]
	ds_load_2addr_b64 v[148:151], v160 offset0:32 offset1:33
	ds_load_2addr_b64 v[152:155], v160 offset0:34 offset1:35
	s_waitcnt lgkmcnt(1)
	v_mul_f64 v[132:133], v[150:151], v[94:95]
	v_mul_f64 v[134:135], v[148:149], v[94:95]
	v_add_f64 v[80:81], v[80:81], -v[40:41]
	v_add_f64 v[82:83], v[82:83], -v[42:43]
	;; [unrolled: 1-line block ×4, first 2 shown]
	v_fma_f64 v[132:133], v[148:149], v[136:137], -v[132:133]
	s_waitcnt lgkmcnt(0)
	v_mul_f64 v[148:149], v[154:155], v[94:95]
	v_fma_f64 v[134:135], v[150:151], v[136:137], v[134:135]
	s_delay_alu instid0(VALU_DEP_3) | instskip(NEXT) | instid1(VALU_DEP_3)
	v_add_f64 v[68:69], v[68:69], -v[132:133]
	v_fma_f64 v[163:164], v[152:153], v[136:137], -v[148:149]
	v_mul_f64 v[148:149], v[152:153], v[94:95]
	s_delay_alu instid0(VALU_DEP_4) | instskip(NEXT) | instid1(VALU_DEP_3)
	v_add_f64 v[70:71], v[70:71], -v[134:135]
	v_add_f64 v[64:65], v[64:65], -v[163:164]
	s_delay_alu instid0(VALU_DEP_3)
	v_fma_f64 v[165:166], v[154:155], v[136:137], v[148:149]
	ds_load_2addr_b64 v[148:151], v160 offset0:36 offset1:37
	ds_load_2addr_b64 v[152:155], v160 offset0:38 offset1:39
	s_waitcnt lgkmcnt(1)
	v_mul_f64 v[167:168], v[150:151], v[94:95]
	v_add_f64 v[66:67], v[66:67], -v[165:166]
	s_delay_alu instid0(VALU_DEP_2) | instskip(SKIP_1) | instid1(VALU_DEP_2)
	v_fma_f64 v[167:168], v[148:149], v[136:137], -v[167:168]
	v_mul_f64 v[148:149], v[148:149], v[94:95]
	v_add_f64 v[60:61], v[60:61], -v[167:168]
	s_delay_alu instid0(VALU_DEP_2) | instskip(SKIP_2) | instid1(VALU_DEP_2)
	v_fma_f64 v[169:170], v[150:151], v[136:137], v[148:149]
	s_waitcnt lgkmcnt(0)
	v_mul_f64 v[148:149], v[154:155], v[94:95]
	v_add_f64 v[62:63], v[62:63], -v[169:170]
	s_delay_alu instid0(VALU_DEP_2) | instskip(SKIP_1) | instid1(VALU_DEP_2)
	v_fma_f64 v[171:172], v[152:153], v[136:137], -v[148:149]
	v_mul_f64 v[148:149], v[152:153], v[94:95]
	v_add_f64 v[56:57], v[56:57], -v[171:172]
	s_delay_alu instid0(VALU_DEP_2)
	v_fma_f64 v[173:174], v[154:155], v[136:137], v[148:149]
	ds_load_2addr_b64 v[148:151], v160 offset0:40 offset1:41
	ds_load_2addr_b64 v[152:155], v160 offset0:42 offset1:43
	s_waitcnt lgkmcnt(1)
	v_mul_f64 v[175:176], v[150:151], v[94:95]
	v_add_f64 v[58:59], v[58:59], -v[173:174]
	s_delay_alu instid0(VALU_DEP_2) | instskip(SKIP_1) | instid1(VALU_DEP_2)
	v_fma_f64 v[175:176], v[148:149], v[136:137], -v[175:176]
	v_mul_f64 v[148:149], v[148:149], v[94:95]
	v_add_f64 v[52:53], v[52:53], -v[175:176]
	s_delay_alu instid0(VALU_DEP_2) | instskip(SKIP_2) | instid1(VALU_DEP_2)
	v_fma_f64 v[177:178], v[150:151], v[136:137], v[148:149]
	s_waitcnt lgkmcnt(0)
	v_mul_f64 v[148:149], v[154:155], v[94:95]
	v_add_f64 v[54:55], v[54:55], -v[177:178]
	s_delay_alu instid0(VALU_DEP_2) | instskip(SKIP_1) | instid1(VALU_DEP_2)
	v_fma_f64 v[179:180], v[152:153], v[136:137], -v[148:149]
	v_mul_f64 v[148:149], v[152:153], v[94:95]
	v_add_f64 v[48:49], v[48:49], -v[179:180]
	s_delay_alu instid0(VALU_DEP_2)
	;; [unrolled: 20-line block ×6, first 2 shown]
	v_fma_f64 v[213:214], v[154:155], v[136:137], v[148:149]
	ds_load_2addr_b64 v[148:151], v160 offset0:60 offset1:61
	ds_load_2addr_b64 v[152:155], v160 offset0:62 offset1:63
	s_waitcnt lgkmcnt(1)
	v_mul_f64 v[215:216], v[150:151], v[94:95]
	v_add_f64 v[10:11], v[10:11], -v[213:214]
	s_delay_alu instid0(VALU_DEP_2) | instskip(SKIP_1) | instid1(VALU_DEP_2)
	v_fma_f64 v[215:216], v[148:149], v[136:137], -v[215:216]
	v_mul_f64 v[148:149], v[148:149], v[94:95]
	v_add_f64 v[4:5], v[4:5], -v[215:216]
	s_delay_alu instid0(VALU_DEP_2) | instskip(SKIP_2) | instid1(VALU_DEP_2)
	v_fma_f64 v[148:149], v[150:151], v[136:137], v[148:149]
	s_waitcnt lgkmcnt(0)
	v_mul_f64 v[150:151], v[154:155], v[94:95]
	v_add_f64 v[6:7], v[6:7], -v[148:149]
	s_delay_alu instid0(VALU_DEP_2) | instskip(SKIP_1) | instid1(VALU_DEP_2)
	v_fma_f64 v[150:151], v[152:153], v[136:137], -v[150:151]
	v_mul_f64 v[152:153], v[152:153], v[94:95]
	v_add_f64 v[0:1], v[0:1], -v[150:151]
	s_delay_alu instid0(VALU_DEP_2) | instskip(NEXT) | instid1(VALU_DEP_1)
	v_fma_f64 v[152:153], v[154:155], v[136:137], v[152:153]
	v_add_f64 v[2:3], v[2:3], -v[152:153]
.LBB62_209:
	s_or_b32 exec_lo, exec_lo, s2
	v_lshl_add_u32 v40, v162, 4, v160
	s_barrier
	buffer_gl0_inv
	v_mov_b32_e32 v136, 10
	ds_store_2addr_b64 v40, v[112:113], v[114:115] offset1:1
	s_waitcnt lgkmcnt(0)
	s_barrier
	buffer_gl0_inv
	ds_load_2addr_b64 v[128:131], v160 offset0:20 offset1:21
	s_cmp_lt_i32 s5, 12
	s_cbranch_scc1 .LBB62_212
; %bb.210:
	v_add3_u32 v137, v156, 0, 0xb0
	v_mov_b32_e32 v136, 10
	s_mov_b32 s6, 11
	s_set_inst_prefetch_distance 0x1
	.p2align	6
.LBB62_211:                             ; =>This Inner Loop Header: Depth=1
	ds_load_2addr_b64 v[138:141], v137 offset1:1
	s_waitcnt lgkmcnt(1)
	v_cmp_gt_f64_e32 vcc_lo, 0, v[128:129]
	v_xor_b32_e32 v40, 0x80000000, v129
	v_cmp_gt_f64_e64 s2, 0, v[130:131]
	v_xor_b32_e32 v42, 0x80000000, v131
	v_add_nc_u32_e32 v137, 16, v137
	s_waitcnt lgkmcnt(0)
	v_cmp_gt_f64_e64 s3, 0, v[138:139]
	v_mov_b32_e32 v44, v138
	v_dual_mov_b32 v46, v140 :: v_dual_cndmask_b32 v41, v129, v40
	v_xor_b32_e32 v40, 0x80000000, v139
	v_cndmask_b32_e64 v43, v131, v42, s2
	v_xor_b32_e32 v42, 0x80000000, v141
	s_delay_alu instid0(VALU_DEP_3) | instskip(SKIP_2) | instid1(VALU_DEP_2)
	v_cndmask_b32_e64 v45, v139, v40, s3
	v_cmp_gt_f64_e64 s3, 0, v[140:141]
	v_cndmask_b32_e32 v40, v128, v128, vcc_lo
	v_cndmask_b32_e64 v47, v141, v42, s3
	v_cndmask_b32_e64 v42, v130, v130, s2
	s_delay_alu instid0(VALU_DEP_2) | instskip(NEXT) | instid1(VALU_DEP_2)
	v_add_f64 v[44:45], v[44:45], v[46:47]
	v_add_f64 v[40:41], v[40:41], v[42:43]
	s_delay_alu instid0(VALU_DEP_1)
	v_cmp_lt_f64_e32 vcc_lo, v[40:41], v[44:45]
	v_cndmask_b32_e32 v131, v131, v141, vcc_lo
	v_dual_cndmask_b32 v129, v129, v139 :: v_dual_cndmask_b32 v128, v128, v138
	v_cndmask_b32_e32 v130, v130, v140, vcc_lo
	v_cndmask_b32_e64 v136, v136, s6, vcc_lo
	s_add_i32 s6, s6, 1
	s_delay_alu instid0(SALU_CYCLE_1)
	s_cmp_lg_u32 s5, s6
	s_cbranch_scc1 .LBB62_211
.LBB62_212:
	s_set_inst_prefetch_distance 0x2
	s_waitcnt lgkmcnt(0)
	v_cmp_eq_f64_e32 vcc_lo, 0, v[128:129]
	v_cmp_eq_f64_e64 s2, 0, v[130:131]
	s_delay_alu instid0(VALU_DEP_1) | instskip(NEXT) | instid1(SALU_CYCLE_1)
	s_and_b32 s2, vcc_lo, s2
	s_and_saveexec_b32 s3, s2
	s_delay_alu instid0(SALU_CYCLE_1)
	s_xor_b32 s2, exec_lo, s3
; %bb.213:
	v_cmp_ne_u32_e32 vcc_lo, 0, v255
	v_cndmask_b32_e32 v255, 11, v255, vcc_lo
; %bb.214:
	s_and_not1_saveexec_b32 s3, s2
	s_cbranch_execz .LBB62_220
; %bb.215:
	v_cmp_gt_f64_e32 vcc_lo, 0, v[128:129]
	v_cmp_gt_f64_e64 s2, 0, v[130:131]
	v_xor_b32_e32 v40, 0x80000000, v129
	v_xor_b32_e32 v42, 0x80000000, v131
	s_delay_alu instid0(VALU_DEP_2) | instskip(NEXT) | instid1(VALU_DEP_2)
	v_cndmask_b32_e32 v41, v129, v40, vcc_lo
	v_cndmask_b32_e64 v43, v131, v42, s2
	v_cndmask_b32_e32 v40, v128, v128, vcc_lo
	v_cndmask_b32_e64 v42, v130, v130, s2
	s_mov_b32 s2, exec_lo
	s_delay_alu instid0(VALU_DEP_1)
	v_cmpx_ngt_f64_e32 v[40:41], v[42:43]
	s_xor_b32 s2, exec_lo, s2
	s_cbranch_execz .LBB62_217
; %bb.216:
	v_div_scale_f64 v[40:41], null, v[130:131], v[130:131], v[128:129]
	v_div_scale_f64 v[46:47], vcc_lo, v[128:129], v[130:131], v[128:129]
	s_delay_alu instid0(VALU_DEP_2) | instskip(SKIP_2) | instid1(VALU_DEP_1)
	v_rcp_f64_e32 v[42:43], v[40:41]
	s_waitcnt_depctr 0xfff
	v_fma_f64 v[44:45], -v[40:41], v[42:43], 1.0
	v_fma_f64 v[42:43], v[42:43], v[44:45], v[42:43]
	s_delay_alu instid0(VALU_DEP_1) | instskip(NEXT) | instid1(VALU_DEP_1)
	v_fma_f64 v[44:45], -v[40:41], v[42:43], 1.0
	v_fma_f64 v[42:43], v[42:43], v[44:45], v[42:43]
	s_delay_alu instid0(VALU_DEP_1) | instskip(NEXT) | instid1(VALU_DEP_1)
	v_mul_f64 v[44:45], v[46:47], v[42:43]
	v_fma_f64 v[40:41], -v[40:41], v[44:45], v[46:47]
	s_delay_alu instid0(VALU_DEP_1) | instskip(NEXT) | instid1(VALU_DEP_1)
	v_div_fmas_f64 v[40:41], v[40:41], v[42:43], v[44:45]
	v_div_fixup_f64 v[40:41], v[40:41], v[130:131], v[128:129]
	s_delay_alu instid0(VALU_DEP_1) | instskip(NEXT) | instid1(VALU_DEP_1)
	v_fma_f64 v[42:43], v[128:129], v[40:41], v[130:131]
	v_div_scale_f64 v[44:45], null, v[42:43], v[42:43], 1.0
	s_delay_alu instid0(VALU_DEP_1) | instskip(SKIP_2) | instid1(VALU_DEP_1)
	v_rcp_f64_e32 v[46:47], v[44:45]
	s_waitcnt_depctr 0xfff
	v_fma_f64 v[128:129], -v[44:45], v[46:47], 1.0
	v_fma_f64 v[46:47], v[46:47], v[128:129], v[46:47]
	s_delay_alu instid0(VALU_DEP_1) | instskip(NEXT) | instid1(VALU_DEP_1)
	v_fma_f64 v[128:129], -v[44:45], v[46:47], 1.0
	v_fma_f64 v[46:47], v[46:47], v[128:129], v[46:47]
	v_div_scale_f64 v[128:129], vcc_lo, 1.0, v[42:43], 1.0
	s_delay_alu instid0(VALU_DEP_1) | instskip(NEXT) | instid1(VALU_DEP_1)
	v_mul_f64 v[130:131], v[128:129], v[46:47]
	v_fma_f64 v[44:45], -v[44:45], v[130:131], v[128:129]
	s_delay_alu instid0(VALU_DEP_1) | instskip(NEXT) | instid1(VALU_DEP_1)
	v_div_fmas_f64 v[44:45], v[44:45], v[46:47], v[130:131]
	v_div_fixup_f64 v[130:131], v[44:45], v[42:43], 1.0
	s_delay_alu instid0(VALU_DEP_1)
	v_mul_f64 v[128:129], v[40:41], v[130:131]
	v_xor_b32_e32 v131, 0x80000000, v131
.LBB62_217:
	s_and_not1_saveexec_b32 s2, s2
	s_cbranch_execz .LBB62_219
; %bb.218:
	s_delay_alu instid0(VALU_DEP_1) | instskip(SKIP_1) | instid1(VALU_DEP_2)
	v_div_scale_f64 v[40:41], null, v[128:129], v[128:129], v[130:131]
	v_div_scale_f64 v[46:47], vcc_lo, v[130:131], v[128:129], v[130:131]
	v_rcp_f64_e32 v[42:43], v[40:41]
	s_waitcnt_depctr 0xfff
	v_fma_f64 v[44:45], -v[40:41], v[42:43], 1.0
	s_delay_alu instid0(VALU_DEP_1) | instskip(NEXT) | instid1(VALU_DEP_1)
	v_fma_f64 v[42:43], v[42:43], v[44:45], v[42:43]
	v_fma_f64 v[44:45], -v[40:41], v[42:43], 1.0
	s_delay_alu instid0(VALU_DEP_1) | instskip(NEXT) | instid1(VALU_DEP_1)
	v_fma_f64 v[42:43], v[42:43], v[44:45], v[42:43]
	v_mul_f64 v[44:45], v[46:47], v[42:43]
	s_delay_alu instid0(VALU_DEP_1) | instskip(NEXT) | instid1(VALU_DEP_1)
	v_fma_f64 v[40:41], -v[40:41], v[44:45], v[46:47]
	v_div_fmas_f64 v[40:41], v[40:41], v[42:43], v[44:45]
	s_delay_alu instid0(VALU_DEP_1) | instskip(NEXT) | instid1(VALU_DEP_1)
	v_div_fixup_f64 v[40:41], v[40:41], v[128:129], v[130:131]
	v_fma_f64 v[42:43], v[130:131], v[40:41], v[128:129]
	s_delay_alu instid0(VALU_DEP_1) | instskip(NEXT) | instid1(VALU_DEP_1)
	v_div_scale_f64 v[44:45], null, v[42:43], v[42:43], 1.0
	v_rcp_f64_e32 v[46:47], v[44:45]
	s_waitcnt_depctr 0xfff
	v_fma_f64 v[128:129], -v[44:45], v[46:47], 1.0
	s_delay_alu instid0(VALU_DEP_1) | instskip(NEXT) | instid1(VALU_DEP_1)
	v_fma_f64 v[46:47], v[46:47], v[128:129], v[46:47]
	v_fma_f64 v[128:129], -v[44:45], v[46:47], 1.0
	s_delay_alu instid0(VALU_DEP_1) | instskip(SKIP_1) | instid1(VALU_DEP_1)
	v_fma_f64 v[46:47], v[46:47], v[128:129], v[46:47]
	v_div_scale_f64 v[128:129], vcc_lo, 1.0, v[42:43], 1.0
	v_mul_f64 v[130:131], v[128:129], v[46:47]
	s_delay_alu instid0(VALU_DEP_1) | instskip(NEXT) | instid1(VALU_DEP_1)
	v_fma_f64 v[44:45], -v[44:45], v[130:131], v[128:129]
	v_div_fmas_f64 v[44:45], v[44:45], v[46:47], v[130:131]
	s_delay_alu instid0(VALU_DEP_1) | instskip(NEXT) | instid1(VALU_DEP_1)
	v_div_fixup_f64 v[128:129], v[44:45], v[42:43], 1.0
	v_mul_f64 v[130:131], v[40:41], -v[128:129]
.LBB62_219:
	s_or_b32 exec_lo, exec_lo, s2
.LBB62_220:
	s_delay_alu instid0(SALU_CYCLE_1) | instskip(NEXT) | instid1(SALU_CYCLE_1)
	s_or_b32 exec_lo, exec_lo, s3
	s_mov_b32 s2, exec_lo
	v_cmpx_ne_u32_e64 v162, v136
	s_xor_b32 s2, exec_lo, s2
	s_cbranch_execz .LBB62_226
; %bb.221:
	s_mov_b32 s3, exec_lo
	v_cmpx_eq_u32_e32 10, v162
	s_cbranch_execz .LBB62_225
; %bb.222:
	v_cmp_ne_u32_e32 vcc_lo, 10, v136
	s_xor_b32 s6, s4, -1
	s_delay_alu instid0(SALU_CYCLE_1) | instskip(NEXT) | instid1(SALU_CYCLE_1)
	s_and_b32 s7, s6, vcc_lo
	s_and_saveexec_b32 s6, s7
	s_cbranch_execz .LBB62_224
; %bb.223:
	v_ashrrev_i32_e32 v137, 31, v136
	s_delay_alu instid0(VALU_DEP_1) | instskip(NEXT) | instid1(VALU_DEP_1)
	v_lshlrev_b64 v[40:41], 2, v[136:137]
	v_add_co_u32 v40, vcc_lo, v118, v40
	s_delay_alu instid0(VALU_DEP_2)
	v_add_co_ci_u32_e32 v41, vcc_lo, v119, v41, vcc_lo
	s_clause 0x1
	flat_load_b32 v42, v[40:41]
	flat_load_b32 v43, v[118:119] offset:40
	s_waitcnt vmcnt(1) lgkmcnt(1)
	flat_store_b32 v[118:119], v42 offset:40
	s_waitcnt vmcnt(0) lgkmcnt(1)
	flat_store_b32 v[40:41], v43
.LBB62_224:
	s_or_b32 exec_lo, exec_lo, s6
	v_mov_b32_e32 v162, v136
	v_mov_b32_e32 v40, v136
	scratch_store_b32 off, v40, off         ; 4-byte Folded Spill
.LBB62_225:
	s_or_b32 exec_lo, exec_lo, s3
.LBB62_226:
	s_and_not1_saveexec_b32 s2, s2
	s_cbranch_execz .LBB62_228
; %bb.227:
	v_mov_b32_e32 v162, 10
	ds_store_2addr_b64 v160, v[108:109], v[110:111] offset0:22 offset1:23
	ds_store_2addr_b64 v160, v[88:89], v[90:91] offset0:24 offset1:25
	;; [unrolled: 1-line block ×21, first 2 shown]
.LBB62_228:
	s_or_b32 exec_lo, exec_lo, s2
	s_delay_alu instid0(SALU_CYCLE_1)
	s_mov_b32 s2, exec_lo
	s_waitcnt lgkmcnt(0)
	s_waitcnt_vscnt null, 0x0
	s_barrier
	buffer_gl0_inv
	v_cmpx_lt_i32_e32 10, v162
	s_cbranch_execz .LBB62_230
; %bb.229:
	v_mul_f64 v[40:41], v[130:131], v[114:115]
	s_delay_alu instid0(VALU_DEP_1) | instskip(SKIP_1) | instid1(VALU_DEP_1)
	v_fma_f64 v[136:137], v[128:129], v[112:113], -v[40:41]
	v_mul_f64 v[40:41], v[128:129], v[114:115]
	v_fma_f64 v[114:115], v[130:131], v[112:113], v[40:41]
	ds_load_2addr_b64 v[128:131], v160 offset0:22 offset1:23
	ds_load_2addr_b64 v[138:141], v160 offset0:24 offset1:25
	s_waitcnt lgkmcnt(1)
	v_mul_f64 v[40:41], v[130:131], v[114:115]
	s_delay_alu instid0(VALU_DEP_1) | instskip(SKIP_1) | instid1(VALU_DEP_2)
	v_fma_f64 v[112:113], v[128:129], v[136:137], -v[40:41]
	v_mul_f64 v[40:41], v[128:129], v[114:115]
	v_add_f64 v[108:109], v[108:109], -v[112:113]
	s_delay_alu instid0(VALU_DEP_2) | instskip(SKIP_3) | instid1(VALU_DEP_3)
	v_fma_f64 v[128:129], v[130:131], v[136:137], v[40:41]
	s_waitcnt lgkmcnt(0)
	v_mul_f64 v[40:41], v[140:141], v[114:115]
	v_dual_mov_b32 v112, v136 :: v_dual_mov_b32 v113, v137
	v_add_f64 v[110:111], v[110:111], -v[128:129]
	s_delay_alu instid0(VALU_DEP_3) | instskip(SKIP_1) | instid1(VALU_DEP_2)
	v_fma_f64 v[130:131], v[138:139], v[136:137], -v[40:41]
	v_mul_f64 v[40:41], v[138:139], v[114:115]
	v_add_f64 v[88:89], v[88:89], -v[130:131]
	s_delay_alu instid0(VALU_DEP_2)
	v_fma_f64 v[138:139], v[140:141], v[136:137], v[40:41]
	ds_load_2addr_b64 v[140:143], v160 offset0:26 offset1:27
	ds_load_2addr_b64 v[144:147], v160 offset0:28 offset1:29
	s_waitcnt lgkmcnt(1)
	v_mul_f64 v[40:41], v[142:143], v[114:115]
	v_mul_f64 v[42:43], v[140:141], v[114:115]
	s_waitcnt lgkmcnt(0)
	v_mul_f64 v[44:45], v[146:147], v[114:115]
	v_mul_f64 v[46:47], v[144:145], v[114:115]
	v_add_f64 v[90:91], v[90:91], -v[138:139]
	v_fma_f64 v[40:41], v[140:141], v[136:137], -v[40:41]
	v_fma_f64 v[42:43], v[142:143], v[136:137], v[42:43]
	v_fma_f64 v[44:45], v[144:145], v[136:137], -v[44:45]
	v_fma_f64 v[46:47], v[146:147], v[136:137], v[46:47]
	ds_load_2addr_b64 v[140:143], v160 offset0:30 offset1:31
	ds_load_2addr_b64 v[144:147], v160 offset0:32 offset1:33
	s_waitcnt lgkmcnt(1)
	v_mul_f64 v[132:133], v[142:143], v[114:115]
	v_mul_f64 v[134:135], v[140:141], v[114:115]
	v_add_f64 v[84:85], v[84:85], -v[40:41]
	v_add_f64 v[86:87], v[86:87], -v[42:43]
	;; [unrolled: 1-line block ×4, first 2 shown]
	v_fma_f64 v[132:133], v[140:141], v[136:137], -v[132:133]
	s_waitcnt lgkmcnt(0)
	v_mul_f64 v[140:141], v[146:147], v[114:115]
	v_fma_f64 v[134:135], v[142:143], v[136:137], v[134:135]
	s_delay_alu instid0(VALU_DEP_3) | instskip(NEXT) | instid1(VALU_DEP_3)
	v_add_f64 v[72:73], v[72:73], -v[132:133]
	v_fma_f64 v[148:149], v[144:145], v[136:137], -v[140:141]
	v_mul_f64 v[140:141], v[144:145], v[114:115]
	s_delay_alu instid0(VALU_DEP_4) | instskip(NEXT) | instid1(VALU_DEP_3)
	v_add_f64 v[74:75], v[74:75], -v[134:135]
	v_add_f64 v[68:69], v[68:69], -v[148:149]
	s_delay_alu instid0(VALU_DEP_3)
	v_fma_f64 v[150:151], v[146:147], v[136:137], v[140:141]
	ds_load_2addr_b64 v[140:143], v160 offset0:34 offset1:35
	ds_load_2addr_b64 v[144:147], v160 offset0:36 offset1:37
	s_waitcnt lgkmcnt(1)
	v_mul_f64 v[152:153], v[142:143], v[114:115]
	v_add_f64 v[70:71], v[70:71], -v[150:151]
	s_delay_alu instid0(VALU_DEP_2) | instskip(SKIP_1) | instid1(VALU_DEP_2)
	v_fma_f64 v[152:153], v[140:141], v[136:137], -v[152:153]
	v_mul_f64 v[140:141], v[140:141], v[114:115]
	v_add_f64 v[64:65], v[64:65], -v[152:153]
	s_delay_alu instid0(VALU_DEP_2) | instskip(SKIP_2) | instid1(VALU_DEP_2)
	v_fma_f64 v[154:155], v[142:143], v[136:137], v[140:141]
	s_waitcnt lgkmcnt(0)
	v_mul_f64 v[140:141], v[146:147], v[114:115]
	v_add_f64 v[66:67], v[66:67], -v[154:155]
	s_delay_alu instid0(VALU_DEP_2) | instskip(SKIP_1) | instid1(VALU_DEP_2)
	v_fma_f64 v[163:164], v[144:145], v[136:137], -v[140:141]
	v_mul_f64 v[140:141], v[144:145], v[114:115]
	v_add_f64 v[60:61], v[60:61], -v[163:164]
	s_delay_alu instid0(VALU_DEP_2)
	v_fma_f64 v[165:166], v[146:147], v[136:137], v[140:141]
	ds_load_2addr_b64 v[140:143], v160 offset0:38 offset1:39
	ds_load_2addr_b64 v[144:147], v160 offset0:40 offset1:41
	s_waitcnt lgkmcnt(1)
	v_mul_f64 v[167:168], v[142:143], v[114:115]
	v_add_f64 v[62:63], v[62:63], -v[165:166]
	s_delay_alu instid0(VALU_DEP_2) | instskip(SKIP_1) | instid1(VALU_DEP_2)
	v_fma_f64 v[167:168], v[140:141], v[136:137], -v[167:168]
	v_mul_f64 v[140:141], v[140:141], v[114:115]
	v_add_f64 v[56:57], v[56:57], -v[167:168]
	s_delay_alu instid0(VALU_DEP_2) | instskip(SKIP_2) | instid1(VALU_DEP_2)
	v_fma_f64 v[169:170], v[142:143], v[136:137], v[140:141]
	s_waitcnt lgkmcnt(0)
	v_mul_f64 v[140:141], v[146:147], v[114:115]
	v_add_f64 v[58:59], v[58:59], -v[169:170]
	s_delay_alu instid0(VALU_DEP_2) | instskip(SKIP_1) | instid1(VALU_DEP_2)
	v_fma_f64 v[171:172], v[144:145], v[136:137], -v[140:141]
	v_mul_f64 v[140:141], v[144:145], v[114:115]
	v_add_f64 v[52:53], v[52:53], -v[171:172]
	s_delay_alu instid0(VALU_DEP_2)
	;; [unrolled: 20-line block ×6, first 2 shown]
	v_fma_f64 v[205:206], v[146:147], v[136:137], v[140:141]
	ds_load_2addr_b64 v[140:143], v160 offset0:58 offset1:59
	ds_load_2addr_b64 v[144:147], v160 offset0:60 offset1:61
	s_waitcnt lgkmcnt(1)
	v_mul_f64 v[207:208], v[142:143], v[114:115]
	v_add_f64 v[14:15], v[14:15], -v[205:206]
	s_delay_alu instid0(VALU_DEP_2) | instskip(SKIP_1) | instid1(VALU_DEP_2)
	v_fma_f64 v[207:208], v[140:141], v[136:137], -v[207:208]
	v_mul_f64 v[140:141], v[140:141], v[114:115]
	v_add_f64 v[8:9], v[8:9], -v[207:208]
	s_delay_alu instid0(VALU_DEP_2) | instskip(SKIP_2) | instid1(VALU_DEP_2)
	v_fma_f64 v[209:210], v[142:143], v[136:137], v[140:141]
	s_waitcnt lgkmcnt(0)
	v_mul_f64 v[140:141], v[146:147], v[114:115]
	v_add_f64 v[10:11], v[10:11], -v[209:210]
	s_delay_alu instid0(VALU_DEP_2) | instskip(SKIP_1) | instid1(VALU_DEP_2)
	v_fma_f64 v[211:212], v[144:145], v[136:137], -v[140:141]
	v_mul_f64 v[140:141], v[144:145], v[114:115]
	v_add_f64 v[4:5], v[4:5], -v[211:212]
	s_delay_alu instid0(VALU_DEP_2) | instskip(SKIP_4) | instid1(VALU_DEP_2)
	v_fma_f64 v[144:145], v[146:147], v[136:137], v[140:141]
	ds_load_2addr_b64 v[140:143], v160 offset0:62 offset1:63
	s_waitcnt lgkmcnt(0)
	v_mul_f64 v[146:147], v[142:143], v[114:115]
	v_add_f64 v[6:7], v[6:7], -v[144:145]
	v_fma_f64 v[146:147], v[140:141], v[136:137], -v[146:147]
	v_mul_f64 v[140:141], v[140:141], v[114:115]
	s_delay_alu instid0(VALU_DEP_2) | instskip(NEXT) | instid1(VALU_DEP_2)
	v_add_f64 v[0:1], v[0:1], -v[146:147]
	v_fma_f64 v[140:141], v[142:143], v[136:137], v[140:141]
	s_delay_alu instid0(VALU_DEP_1)
	v_add_f64 v[2:3], v[2:3], -v[140:141]
.LBB62_230:
	s_or_b32 exec_lo, exec_lo, s2
	v_lshl_add_u32 v40, v162, 4, v160
	s_barrier
	buffer_gl0_inv
	v_mov_b32_e32 v136, 11
	ds_store_2addr_b64 v40, v[108:109], v[110:111] offset1:1
	s_waitcnt lgkmcnt(0)
	s_barrier
	buffer_gl0_inv
	ds_load_2addr_b64 v[128:131], v160 offset0:22 offset1:23
	s_cmp_lt_i32 s5, 13
	s_cbranch_scc1 .LBB62_233
; %bb.231:
	v_add3_u32 v137, v156, 0, 0xc0
	v_mov_b32_e32 v136, 11
	s_mov_b32 s6, 12
	s_set_inst_prefetch_distance 0x1
	.p2align	6
.LBB62_232:                             ; =>This Inner Loop Header: Depth=1
	ds_load_2addr_b64 v[138:141], v137 offset1:1
	s_waitcnt lgkmcnt(1)
	v_cmp_gt_f64_e32 vcc_lo, 0, v[128:129]
	v_xor_b32_e32 v40, 0x80000000, v129
	v_cmp_gt_f64_e64 s2, 0, v[130:131]
	v_xor_b32_e32 v42, 0x80000000, v131
	v_add_nc_u32_e32 v137, 16, v137
	s_waitcnt lgkmcnt(0)
	v_cmp_gt_f64_e64 s3, 0, v[138:139]
	v_mov_b32_e32 v44, v138
	v_dual_mov_b32 v46, v140 :: v_dual_cndmask_b32 v41, v129, v40
	v_xor_b32_e32 v40, 0x80000000, v139
	v_cndmask_b32_e64 v43, v131, v42, s2
	v_xor_b32_e32 v42, 0x80000000, v141
	s_delay_alu instid0(VALU_DEP_3) | instskip(SKIP_2) | instid1(VALU_DEP_2)
	v_cndmask_b32_e64 v45, v139, v40, s3
	v_cmp_gt_f64_e64 s3, 0, v[140:141]
	v_cndmask_b32_e32 v40, v128, v128, vcc_lo
	v_cndmask_b32_e64 v47, v141, v42, s3
	v_cndmask_b32_e64 v42, v130, v130, s2
	s_delay_alu instid0(VALU_DEP_2) | instskip(NEXT) | instid1(VALU_DEP_2)
	v_add_f64 v[44:45], v[44:45], v[46:47]
	v_add_f64 v[40:41], v[40:41], v[42:43]
	s_delay_alu instid0(VALU_DEP_1)
	v_cmp_lt_f64_e32 vcc_lo, v[40:41], v[44:45]
	v_cndmask_b32_e32 v131, v131, v141, vcc_lo
	v_dual_cndmask_b32 v129, v129, v139 :: v_dual_cndmask_b32 v128, v128, v138
	v_cndmask_b32_e32 v130, v130, v140, vcc_lo
	v_cndmask_b32_e64 v136, v136, s6, vcc_lo
	s_add_i32 s6, s6, 1
	s_delay_alu instid0(SALU_CYCLE_1)
	s_cmp_lg_u32 s5, s6
	s_cbranch_scc1 .LBB62_232
.LBB62_233:
	s_set_inst_prefetch_distance 0x2
	s_waitcnt lgkmcnt(0)
	v_cmp_eq_f64_e32 vcc_lo, 0, v[128:129]
	v_cmp_eq_f64_e64 s2, 0, v[130:131]
	s_delay_alu instid0(VALU_DEP_1) | instskip(NEXT) | instid1(SALU_CYCLE_1)
	s_and_b32 s2, vcc_lo, s2
	s_and_saveexec_b32 s3, s2
	s_delay_alu instid0(SALU_CYCLE_1)
	s_xor_b32 s2, exec_lo, s3
; %bb.234:
	v_cmp_ne_u32_e32 vcc_lo, 0, v255
	v_cndmask_b32_e32 v255, 12, v255, vcc_lo
; %bb.235:
	s_and_not1_saveexec_b32 s3, s2
	s_cbranch_execz .LBB62_241
; %bb.236:
	v_cmp_gt_f64_e32 vcc_lo, 0, v[128:129]
	v_cmp_gt_f64_e64 s2, 0, v[130:131]
	v_xor_b32_e32 v40, 0x80000000, v129
	v_xor_b32_e32 v42, 0x80000000, v131
	s_delay_alu instid0(VALU_DEP_2) | instskip(NEXT) | instid1(VALU_DEP_2)
	v_cndmask_b32_e32 v41, v129, v40, vcc_lo
	v_cndmask_b32_e64 v43, v131, v42, s2
	v_cndmask_b32_e32 v40, v128, v128, vcc_lo
	v_cndmask_b32_e64 v42, v130, v130, s2
	s_mov_b32 s2, exec_lo
	s_delay_alu instid0(VALU_DEP_1)
	v_cmpx_ngt_f64_e32 v[40:41], v[42:43]
	s_xor_b32 s2, exec_lo, s2
	s_cbranch_execz .LBB62_238
; %bb.237:
	v_div_scale_f64 v[40:41], null, v[130:131], v[130:131], v[128:129]
	v_div_scale_f64 v[46:47], vcc_lo, v[128:129], v[130:131], v[128:129]
	s_delay_alu instid0(VALU_DEP_2) | instskip(SKIP_2) | instid1(VALU_DEP_1)
	v_rcp_f64_e32 v[42:43], v[40:41]
	s_waitcnt_depctr 0xfff
	v_fma_f64 v[44:45], -v[40:41], v[42:43], 1.0
	v_fma_f64 v[42:43], v[42:43], v[44:45], v[42:43]
	s_delay_alu instid0(VALU_DEP_1) | instskip(NEXT) | instid1(VALU_DEP_1)
	v_fma_f64 v[44:45], -v[40:41], v[42:43], 1.0
	v_fma_f64 v[42:43], v[42:43], v[44:45], v[42:43]
	s_delay_alu instid0(VALU_DEP_1) | instskip(NEXT) | instid1(VALU_DEP_1)
	v_mul_f64 v[44:45], v[46:47], v[42:43]
	v_fma_f64 v[40:41], -v[40:41], v[44:45], v[46:47]
	s_delay_alu instid0(VALU_DEP_1) | instskip(NEXT) | instid1(VALU_DEP_1)
	v_div_fmas_f64 v[40:41], v[40:41], v[42:43], v[44:45]
	v_div_fixup_f64 v[40:41], v[40:41], v[130:131], v[128:129]
	s_delay_alu instid0(VALU_DEP_1) | instskip(NEXT) | instid1(VALU_DEP_1)
	v_fma_f64 v[42:43], v[128:129], v[40:41], v[130:131]
	v_div_scale_f64 v[44:45], null, v[42:43], v[42:43], 1.0
	s_delay_alu instid0(VALU_DEP_1) | instskip(SKIP_2) | instid1(VALU_DEP_1)
	v_rcp_f64_e32 v[46:47], v[44:45]
	s_waitcnt_depctr 0xfff
	v_fma_f64 v[128:129], -v[44:45], v[46:47], 1.0
	v_fma_f64 v[46:47], v[46:47], v[128:129], v[46:47]
	s_delay_alu instid0(VALU_DEP_1) | instskip(NEXT) | instid1(VALU_DEP_1)
	v_fma_f64 v[128:129], -v[44:45], v[46:47], 1.0
	v_fma_f64 v[46:47], v[46:47], v[128:129], v[46:47]
	v_div_scale_f64 v[128:129], vcc_lo, 1.0, v[42:43], 1.0
	s_delay_alu instid0(VALU_DEP_1) | instskip(NEXT) | instid1(VALU_DEP_1)
	v_mul_f64 v[130:131], v[128:129], v[46:47]
	v_fma_f64 v[44:45], -v[44:45], v[130:131], v[128:129]
	s_delay_alu instid0(VALU_DEP_1) | instskip(NEXT) | instid1(VALU_DEP_1)
	v_div_fmas_f64 v[44:45], v[44:45], v[46:47], v[130:131]
	v_div_fixup_f64 v[130:131], v[44:45], v[42:43], 1.0
	s_delay_alu instid0(VALU_DEP_1)
	v_mul_f64 v[128:129], v[40:41], v[130:131]
	v_xor_b32_e32 v131, 0x80000000, v131
.LBB62_238:
	s_and_not1_saveexec_b32 s2, s2
	s_cbranch_execz .LBB62_240
; %bb.239:
	s_delay_alu instid0(VALU_DEP_1) | instskip(SKIP_1) | instid1(VALU_DEP_2)
	v_div_scale_f64 v[40:41], null, v[128:129], v[128:129], v[130:131]
	v_div_scale_f64 v[46:47], vcc_lo, v[130:131], v[128:129], v[130:131]
	v_rcp_f64_e32 v[42:43], v[40:41]
	s_waitcnt_depctr 0xfff
	v_fma_f64 v[44:45], -v[40:41], v[42:43], 1.0
	s_delay_alu instid0(VALU_DEP_1) | instskip(NEXT) | instid1(VALU_DEP_1)
	v_fma_f64 v[42:43], v[42:43], v[44:45], v[42:43]
	v_fma_f64 v[44:45], -v[40:41], v[42:43], 1.0
	s_delay_alu instid0(VALU_DEP_1) | instskip(NEXT) | instid1(VALU_DEP_1)
	v_fma_f64 v[42:43], v[42:43], v[44:45], v[42:43]
	v_mul_f64 v[44:45], v[46:47], v[42:43]
	s_delay_alu instid0(VALU_DEP_1) | instskip(NEXT) | instid1(VALU_DEP_1)
	v_fma_f64 v[40:41], -v[40:41], v[44:45], v[46:47]
	v_div_fmas_f64 v[40:41], v[40:41], v[42:43], v[44:45]
	s_delay_alu instid0(VALU_DEP_1) | instskip(NEXT) | instid1(VALU_DEP_1)
	v_div_fixup_f64 v[40:41], v[40:41], v[128:129], v[130:131]
	v_fma_f64 v[42:43], v[130:131], v[40:41], v[128:129]
	s_delay_alu instid0(VALU_DEP_1) | instskip(NEXT) | instid1(VALU_DEP_1)
	v_div_scale_f64 v[44:45], null, v[42:43], v[42:43], 1.0
	v_rcp_f64_e32 v[46:47], v[44:45]
	s_waitcnt_depctr 0xfff
	v_fma_f64 v[128:129], -v[44:45], v[46:47], 1.0
	s_delay_alu instid0(VALU_DEP_1) | instskip(NEXT) | instid1(VALU_DEP_1)
	v_fma_f64 v[46:47], v[46:47], v[128:129], v[46:47]
	v_fma_f64 v[128:129], -v[44:45], v[46:47], 1.0
	s_delay_alu instid0(VALU_DEP_1) | instskip(SKIP_1) | instid1(VALU_DEP_1)
	v_fma_f64 v[46:47], v[46:47], v[128:129], v[46:47]
	v_div_scale_f64 v[128:129], vcc_lo, 1.0, v[42:43], 1.0
	v_mul_f64 v[130:131], v[128:129], v[46:47]
	s_delay_alu instid0(VALU_DEP_1) | instskip(NEXT) | instid1(VALU_DEP_1)
	v_fma_f64 v[44:45], -v[44:45], v[130:131], v[128:129]
	v_div_fmas_f64 v[44:45], v[44:45], v[46:47], v[130:131]
	s_delay_alu instid0(VALU_DEP_1) | instskip(NEXT) | instid1(VALU_DEP_1)
	v_div_fixup_f64 v[128:129], v[44:45], v[42:43], 1.0
	v_mul_f64 v[130:131], v[40:41], -v[128:129]
.LBB62_240:
	s_or_b32 exec_lo, exec_lo, s2
.LBB62_241:
	s_delay_alu instid0(SALU_CYCLE_1) | instskip(NEXT) | instid1(SALU_CYCLE_1)
	s_or_b32 exec_lo, exec_lo, s3
	s_mov_b32 s2, exec_lo
	v_cmpx_ne_u32_e64 v162, v136
	s_xor_b32 s2, exec_lo, s2
	s_cbranch_execz .LBB62_247
; %bb.242:
	s_mov_b32 s3, exec_lo
	v_cmpx_eq_u32_e32 11, v162
	s_cbranch_execz .LBB62_246
; %bb.243:
	v_cmp_ne_u32_e32 vcc_lo, 11, v136
	s_xor_b32 s6, s4, -1
	s_delay_alu instid0(SALU_CYCLE_1) | instskip(NEXT) | instid1(SALU_CYCLE_1)
	s_and_b32 s7, s6, vcc_lo
	s_and_saveexec_b32 s6, s7
	s_cbranch_execz .LBB62_245
; %bb.244:
	v_ashrrev_i32_e32 v137, 31, v136
	s_delay_alu instid0(VALU_DEP_1) | instskip(NEXT) | instid1(VALU_DEP_1)
	v_lshlrev_b64 v[40:41], 2, v[136:137]
	v_add_co_u32 v40, vcc_lo, v118, v40
	s_delay_alu instid0(VALU_DEP_2)
	v_add_co_ci_u32_e32 v41, vcc_lo, v119, v41, vcc_lo
	s_clause 0x1
	flat_load_b32 v42, v[40:41]
	flat_load_b32 v43, v[118:119] offset:44
	s_waitcnt vmcnt(1) lgkmcnt(1)
	flat_store_b32 v[118:119], v42 offset:44
	s_waitcnt vmcnt(0) lgkmcnt(1)
	flat_store_b32 v[40:41], v43
.LBB62_245:
	s_or_b32 exec_lo, exec_lo, s6
	v_mov_b32_e32 v162, v136
	v_mov_b32_e32 v40, v136
	scratch_store_b32 off, v40, off         ; 4-byte Folded Spill
.LBB62_246:
	s_or_b32 exec_lo, exec_lo, s3
.LBB62_247:
	s_and_not1_saveexec_b32 s2, s2
	s_cbranch_execz .LBB62_249
; %bb.248:
	v_mov_b32_e32 v162, 11
	ds_store_2addr_b64 v160, v[88:89], v[90:91] offset0:24 offset1:25
	ds_store_2addr_b64 v160, v[84:85], v[86:87] offset0:26 offset1:27
	;; [unrolled: 1-line block ×20, first 2 shown]
.LBB62_249:
	s_or_b32 exec_lo, exec_lo, s2
	s_delay_alu instid0(SALU_CYCLE_1)
	s_mov_b32 s2, exec_lo
	s_waitcnt lgkmcnt(0)
	s_waitcnt_vscnt null, 0x0
	s_barrier
	buffer_gl0_inv
	v_cmpx_lt_i32_e32 11, v162
	s_cbranch_execz .LBB62_251
; %bb.250:
	v_mul_f64 v[40:41], v[130:131], v[110:111]
	s_delay_alu instid0(VALU_DEP_1) | instskip(SKIP_1) | instid1(VALU_DEP_1)
	v_fma_f64 v[136:137], v[128:129], v[108:109], -v[40:41]
	v_mul_f64 v[40:41], v[128:129], v[110:111]
	v_fma_f64 v[110:111], v[130:131], v[108:109], v[40:41]
	ds_load_2addr_b64 v[128:131], v160 offset0:24 offset1:25
	ds_load_2addr_b64 v[138:141], v160 offset0:26 offset1:27
	s_waitcnt lgkmcnt(1)
	v_mul_f64 v[40:41], v[130:131], v[110:111]
	v_mul_f64 v[42:43], v[128:129], v[110:111]
	s_waitcnt lgkmcnt(0)
	v_mul_f64 v[44:45], v[140:141], v[110:111]
	v_mul_f64 v[46:47], v[138:139], v[110:111]
	s_delay_alu instid0(VALU_DEP_4) | instskip(NEXT) | instid1(VALU_DEP_4)
	v_fma_f64 v[40:41], v[128:129], v[136:137], -v[40:41]
	v_fma_f64 v[42:43], v[130:131], v[136:137], v[42:43]
	s_delay_alu instid0(VALU_DEP_4) | instskip(NEXT) | instid1(VALU_DEP_4)
	v_fma_f64 v[44:45], v[138:139], v[136:137], -v[44:45]
	v_fma_f64 v[46:47], v[140:141], v[136:137], v[46:47]
	ds_load_2addr_b64 v[128:131], v160 offset0:28 offset1:29
	ds_load_2addr_b64 v[138:141], v160 offset0:30 offset1:31
	s_waitcnt lgkmcnt(1)
	v_mul_f64 v[108:109], v[130:131], v[110:111]
	v_add_f64 v[88:89], v[88:89], -v[40:41]
	v_add_f64 v[90:91], v[90:91], -v[42:43]
	;; [unrolled: 1-line block ×4, first 2 shown]
	v_fma_f64 v[108:109], v[128:129], v[136:137], -v[108:109]
	v_mul_f64 v[128:129], v[128:129], v[110:111]
	s_delay_alu instid0(VALU_DEP_2) | instskip(NEXT) | instid1(VALU_DEP_2)
	v_add_f64 v[80:81], v[80:81], -v[108:109]
	v_fma_f64 v[132:133], v[130:131], v[136:137], v[128:129]
	s_waitcnt lgkmcnt(0)
	v_mul_f64 v[128:129], v[140:141], v[110:111]
	v_dual_mov_b32 v108, v136 :: v_dual_mov_b32 v109, v137
	s_delay_alu instid0(VALU_DEP_3) | instskip(NEXT) | instid1(VALU_DEP_3)
	v_add_f64 v[82:83], v[82:83], -v[132:133]
	v_fma_f64 v[134:135], v[138:139], v[136:137], -v[128:129]
	v_mul_f64 v[128:129], v[138:139], v[110:111]
	s_delay_alu instid0(VALU_DEP_2) | instskip(NEXT) | instid1(VALU_DEP_2)
	v_add_f64 v[72:73], v[72:73], -v[134:135]
	v_fma_f64 v[142:143], v[140:141], v[136:137], v[128:129]
	ds_load_2addr_b64 v[128:131], v160 offset0:32 offset1:33
	ds_load_2addr_b64 v[138:141], v160 offset0:34 offset1:35
	s_waitcnt lgkmcnt(1)
	v_mul_f64 v[144:145], v[130:131], v[110:111]
	v_add_f64 v[74:75], v[74:75], -v[142:143]
	s_delay_alu instid0(VALU_DEP_2) | instskip(SKIP_1) | instid1(VALU_DEP_2)
	v_fma_f64 v[144:145], v[128:129], v[136:137], -v[144:145]
	v_mul_f64 v[128:129], v[128:129], v[110:111]
	v_add_f64 v[68:69], v[68:69], -v[144:145]
	s_delay_alu instid0(VALU_DEP_2) | instskip(SKIP_2) | instid1(VALU_DEP_2)
	v_fma_f64 v[146:147], v[130:131], v[136:137], v[128:129]
	s_waitcnt lgkmcnt(0)
	v_mul_f64 v[128:129], v[140:141], v[110:111]
	v_add_f64 v[70:71], v[70:71], -v[146:147]
	s_delay_alu instid0(VALU_DEP_2) | instskip(SKIP_1) | instid1(VALU_DEP_2)
	v_fma_f64 v[148:149], v[138:139], v[136:137], -v[128:129]
	v_mul_f64 v[128:129], v[138:139], v[110:111]
	v_add_f64 v[64:65], v[64:65], -v[148:149]
	s_delay_alu instid0(VALU_DEP_2)
	v_fma_f64 v[150:151], v[140:141], v[136:137], v[128:129]
	ds_load_2addr_b64 v[128:131], v160 offset0:36 offset1:37
	ds_load_2addr_b64 v[138:141], v160 offset0:38 offset1:39
	s_waitcnt lgkmcnt(1)
	v_mul_f64 v[152:153], v[130:131], v[110:111]
	v_add_f64 v[66:67], v[66:67], -v[150:151]
	s_delay_alu instid0(VALU_DEP_2) | instskip(SKIP_1) | instid1(VALU_DEP_2)
	v_fma_f64 v[152:153], v[128:129], v[136:137], -v[152:153]
	v_mul_f64 v[128:129], v[128:129], v[110:111]
	v_add_f64 v[60:61], v[60:61], -v[152:153]
	s_delay_alu instid0(VALU_DEP_2) | instskip(SKIP_2) | instid1(VALU_DEP_2)
	v_fma_f64 v[154:155], v[130:131], v[136:137], v[128:129]
	s_waitcnt lgkmcnt(0)
	v_mul_f64 v[128:129], v[140:141], v[110:111]
	v_add_f64 v[62:63], v[62:63], -v[154:155]
	s_delay_alu instid0(VALU_DEP_2) | instskip(SKIP_1) | instid1(VALU_DEP_2)
	v_fma_f64 v[163:164], v[138:139], v[136:137], -v[128:129]
	v_mul_f64 v[128:129], v[138:139], v[110:111]
	v_add_f64 v[56:57], v[56:57], -v[163:164]
	s_delay_alu instid0(VALU_DEP_2)
	;; [unrolled: 20-line block ×7, first 2 shown]
	v_fma_f64 v[205:206], v[140:141], v[136:137], v[128:129]
	ds_load_2addr_b64 v[128:131], v160 offset0:60 offset1:61
	ds_load_2addr_b64 v[138:141], v160 offset0:62 offset1:63
	s_waitcnt lgkmcnt(1)
	v_mul_f64 v[207:208], v[130:131], v[110:111]
	v_add_f64 v[10:11], v[10:11], -v[205:206]
	s_delay_alu instid0(VALU_DEP_2) | instskip(SKIP_1) | instid1(VALU_DEP_2)
	v_fma_f64 v[207:208], v[128:129], v[136:137], -v[207:208]
	v_mul_f64 v[128:129], v[128:129], v[110:111]
	v_add_f64 v[4:5], v[4:5], -v[207:208]
	s_delay_alu instid0(VALU_DEP_2) | instskip(SKIP_2) | instid1(VALU_DEP_2)
	v_fma_f64 v[128:129], v[130:131], v[136:137], v[128:129]
	s_waitcnt lgkmcnt(0)
	v_mul_f64 v[130:131], v[140:141], v[110:111]
	v_add_f64 v[6:7], v[6:7], -v[128:129]
	s_delay_alu instid0(VALU_DEP_2) | instskip(SKIP_1) | instid1(VALU_DEP_2)
	v_fma_f64 v[130:131], v[138:139], v[136:137], -v[130:131]
	v_mul_f64 v[138:139], v[138:139], v[110:111]
	v_add_f64 v[0:1], v[0:1], -v[130:131]
	s_delay_alu instid0(VALU_DEP_2) | instskip(NEXT) | instid1(VALU_DEP_1)
	v_fma_f64 v[138:139], v[140:141], v[136:137], v[138:139]
	v_add_f64 v[2:3], v[2:3], -v[138:139]
.LBB62_251:
	s_or_b32 exec_lo, exec_lo, s2
	v_lshl_add_u32 v40, v162, 4, v160
	s_barrier
	buffer_gl0_inv
	v_mov_b32_e32 v136, 12
	ds_store_2addr_b64 v40, v[88:89], v[90:91] offset1:1
	s_waitcnt lgkmcnt(0)
	s_barrier
	buffer_gl0_inv
	ds_load_2addr_b64 v[128:131], v160 offset0:24 offset1:25
	s_cmp_lt_i32 s5, 14
	s_cbranch_scc1 .LBB62_254
; %bb.252:
	v_add3_u32 v137, v156, 0, 0xd0
	v_mov_b32_e32 v136, 12
	s_mov_b32 s6, 13
	s_set_inst_prefetch_distance 0x1
	.p2align	6
.LBB62_253:                             ; =>This Inner Loop Header: Depth=1
	ds_load_2addr_b64 v[138:141], v137 offset1:1
	s_waitcnt lgkmcnt(1)
	v_cmp_gt_f64_e32 vcc_lo, 0, v[128:129]
	v_xor_b32_e32 v40, 0x80000000, v129
	v_cmp_gt_f64_e64 s2, 0, v[130:131]
	v_xor_b32_e32 v42, 0x80000000, v131
	v_add_nc_u32_e32 v137, 16, v137
	s_waitcnt lgkmcnt(0)
	v_cmp_gt_f64_e64 s3, 0, v[138:139]
	v_mov_b32_e32 v44, v138
	v_dual_mov_b32 v46, v140 :: v_dual_cndmask_b32 v41, v129, v40
	v_xor_b32_e32 v40, 0x80000000, v139
	v_cndmask_b32_e64 v43, v131, v42, s2
	v_xor_b32_e32 v42, 0x80000000, v141
	s_delay_alu instid0(VALU_DEP_3) | instskip(SKIP_2) | instid1(VALU_DEP_2)
	v_cndmask_b32_e64 v45, v139, v40, s3
	v_cmp_gt_f64_e64 s3, 0, v[140:141]
	v_cndmask_b32_e32 v40, v128, v128, vcc_lo
	v_cndmask_b32_e64 v47, v141, v42, s3
	v_cndmask_b32_e64 v42, v130, v130, s2
	s_delay_alu instid0(VALU_DEP_2) | instskip(NEXT) | instid1(VALU_DEP_2)
	v_add_f64 v[44:45], v[44:45], v[46:47]
	v_add_f64 v[40:41], v[40:41], v[42:43]
	s_delay_alu instid0(VALU_DEP_1)
	v_cmp_lt_f64_e32 vcc_lo, v[40:41], v[44:45]
	v_cndmask_b32_e32 v131, v131, v141, vcc_lo
	v_dual_cndmask_b32 v129, v129, v139 :: v_dual_cndmask_b32 v128, v128, v138
	v_cndmask_b32_e32 v130, v130, v140, vcc_lo
	v_cndmask_b32_e64 v136, v136, s6, vcc_lo
	s_add_i32 s6, s6, 1
	s_delay_alu instid0(SALU_CYCLE_1)
	s_cmp_lg_u32 s5, s6
	s_cbranch_scc1 .LBB62_253
.LBB62_254:
	s_set_inst_prefetch_distance 0x2
	s_waitcnt lgkmcnt(0)
	v_cmp_eq_f64_e32 vcc_lo, 0, v[128:129]
	v_cmp_eq_f64_e64 s2, 0, v[130:131]
	s_delay_alu instid0(VALU_DEP_1) | instskip(NEXT) | instid1(SALU_CYCLE_1)
	s_and_b32 s2, vcc_lo, s2
	s_and_saveexec_b32 s3, s2
	s_delay_alu instid0(SALU_CYCLE_1)
	s_xor_b32 s2, exec_lo, s3
; %bb.255:
	v_cmp_ne_u32_e32 vcc_lo, 0, v255
	v_cndmask_b32_e32 v255, 13, v255, vcc_lo
; %bb.256:
	s_and_not1_saveexec_b32 s3, s2
	s_cbranch_execz .LBB62_262
; %bb.257:
	v_cmp_gt_f64_e32 vcc_lo, 0, v[128:129]
	v_cmp_gt_f64_e64 s2, 0, v[130:131]
	v_xor_b32_e32 v40, 0x80000000, v129
	v_xor_b32_e32 v42, 0x80000000, v131
	s_delay_alu instid0(VALU_DEP_2) | instskip(NEXT) | instid1(VALU_DEP_2)
	v_cndmask_b32_e32 v41, v129, v40, vcc_lo
	v_cndmask_b32_e64 v43, v131, v42, s2
	v_cndmask_b32_e32 v40, v128, v128, vcc_lo
	v_cndmask_b32_e64 v42, v130, v130, s2
	s_mov_b32 s2, exec_lo
	s_delay_alu instid0(VALU_DEP_1)
	v_cmpx_ngt_f64_e32 v[40:41], v[42:43]
	s_xor_b32 s2, exec_lo, s2
	s_cbranch_execz .LBB62_259
; %bb.258:
	v_div_scale_f64 v[40:41], null, v[130:131], v[130:131], v[128:129]
	v_div_scale_f64 v[46:47], vcc_lo, v[128:129], v[130:131], v[128:129]
	s_delay_alu instid0(VALU_DEP_2) | instskip(SKIP_2) | instid1(VALU_DEP_1)
	v_rcp_f64_e32 v[42:43], v[40:41]
	s_waitcnt_depctr 0xfff
	v_fma_f64 v[44:45], -v[40:41], v[42:43], 1.0
	v_fma_f64 v[42:43], v[42:43], v[44:45], v[42:43]
	s_delay_alu instid0(VALU_DEP_1) | instskip(NEXT) | instid1(VALU_DEP_1)
	v_fma_f64 v[44:45], -v[40:41], v[42:43], 1.0
	v_fma_f64 v[42:43], v[42:43], v[44:45], v[42:43]
	s_delay_alu instid0(VALU_DEP_1) | instskip(NEXT) | instid1(VALU_DEP_1)
	v_mul_f64 v[44:45], v[46:47], v[42:43]
	v_fma_f64 v[40:41], -v[40:41], v[44:45], v[46:47]
	s_delay_alu instid0(VALU_DEP_1) | instskip(NEXT) | instid1(VALU_DEP_1)
	v_div_fmas_f64 v[40:41], v[40:41], v[42:43], v[44:45]
	v_div_fixup_f64 v[40:41], v[40:41], v[130:131], v[128:129]
	s_delay_alu instid0(VALU_DEP_1) | instskip(NEXT) | instid1(VALU_DEP_1)
	v_fma_f64 v[42:43], v[128:129], v[40:41], v[130:131]
	v_div_scale_f64 v[44:45], null, v[42:43], v[42:43], 1.0
	s_delay_alu instid0(VALU_DEP_1) | instskip(SKIP_2) | instid1(VALU_DEP_1)
	v_rcp_f64_e32 v[46:47], v[44:45]
	s_waitcnt_depctr 0xfff
	v_fma_f64 v[128:129], -v[44:45], v[46:47], 1.0
	v_fma_f64 v[46:47], v[46:47], v[128:129], v[46:47]
	s_delay_alu instid0(VALU_DEP_1) | instskip(NEXT) | instid1(VALU_DEP_1)
	v_fma_f64 v[128:129], -v[44:45], v[46:47], 1.0
	v_fma_f64 v[46:47], v[46:47], v[128:129], v[46:47]
	v_div_scale_f64 v[128:129], vcc_lo, 1.0, v[42:43], 1.0
	s_delay_alu instid0(VALU_DEP_1) | instskip(NEXT) | instid1(VALU_DEP_1)
	v_mul_f64 v[130:131], v[128:129], v[46:47]
	v_fma_f64 v[44:45], -v[44:45], v[130:131], v[128:129]
	s_delay_alu instid0(VALU_DEP_1) | instskip(NEXT) | instid1(VALU_DEP_1)
	v_div_fmas_f64 v[44:45], v[44:45], v[46:47], v[130:131]
	v_div_fixup_f64 v[130:131], v[44:45], v[42:43], 1.0
	s_delay_alu instid0(VALU_DEP_1)
	v_mul_f64 v[128:129], v[40:41], v[130:131]
	v_xor_b32_e32 v131, 0x80000000, v131
.LBB62_259:
	s_and_not1_saveexec_b32 s2, s2
	s_cbranch_execz .LBB62_261
; %bb.260:
	s_delay_alu instid0(VALU_DEP_1) | instskip(SKIP_1) | instid1(VALU_DEP_2)
	v_div_scale_f64 v[40:41], null, v[128:129], v[128:129], v[130:131]
	v_div_scale_f64 v[46:47], vcc_lo, v[130:131], v[128:129], v[130:131]
	v_rcp_f64_e32 v[42:43], v[40:41]
	s_waitcnt_depctr 0xfff
	v_fma_f64 v[44:45], -v[40:41], v[42:43], 1.0
	s_delay_alu instid0(VALU_DEP_1) | instskip(NEXT) | instid1(VALU_DEP_1)
	v_fma_f64 v[42:43], v[42:43], v[44:45], v[42:43]
	v_fma_f64 v[44:45], -v[40:41], v[42:43], 1.0
	s_delay_alu instid0(VALU_DEP_1) | instskip(NEXT) | instid1(VALU_DEP_1)
	v_fma_f64 v[42:43], v[42:43], v[44:45], v[42:43]
	v_mul_f64 v[44:45], v[46:47], v[42:43]
	s_delay_alu instid0(VALU_DEP_1) | instskip(NEXT) | instid1(VALU_DEP_1)
	v_fma_f64 v[40:41], -v[40:41], v[44:45], v[46:47]
	v_div_fmas_f64 v[40:41], v[40:41], v[42:43], v[44:45]
	s_delay_alu instid0(VALU_DEP_1) | instskip(NEXT) | instid1(VALU_DEP_1)
	v_div_fixup_f64 v[40:41], v[40:41], v[128:129], v[130:131]
	v_fma_f64 v[42:43], v[130:131], v[40:41], v[128:129]
	s_delay_alu instid0(VALU_DEP_1) | instskip(NEXT) | instid1(VALU_DEP_1)
	v_div_scale_f64 v[44:45], null, v[42:43], v[42:43], 1.0
	v_rcp_f64_e32 v[46:47], v[44:45]
	s_waitcnt_depctr 0xfff
	v_fma_f64 v[128:129], -v[44:45], v[46:47], 1.0
	s_delay_alu instid0(VALU_DEP_1) | instskip(NEXT) | instid1(VALU_DEP_1)
	v_fma_f64 v[46:47], v[46:47], v[128:129], v[46:47]
	v_fma_f64 v[128:129], -v[44:45], v[46:47], 1.0
	s_delay_alu instid0(VALU_DEP_1) | instskip(SKIP_1) | instid1(VALU_DEP_1)
	v_fma_f64 v[46:47], v[46:47], v[128:129], v[46:47]
	v_div_scale_f64 v[128:129], vcc_lo, 1.0, v[42:43], 1.0
	v_mul_f64 v[130:131], v[128:129], v[46:47]
	s_delay_alu instid0(VALU_DEP_1) | instskip(NEXT) | instid1(VALU_DEP_1)
	v_fma_f64 v[44:45], -v[44:45], v[130:131], v[128:129]
	v_div_fmas_f64 v[44:45], v[44:45], v[46:47], v[130:131]
	s_delay_alu instid0(VALU_DEP_1) | instskip(NEXT) | instid1(VALU_DEP_1)
	v_div_fixup_f64 v[128:129], v[44:45], v[42:43], 1.0
	v_mul_f64 v[130:131], v[40:41], -v[128:129]
.LBB62_261:
	s_or_b32 exec_lo, exec_lo, s2
.LBB62_262:
	s_delay_alu instid0(SALU_CYCLE_1) | instskip(NEXT) | instid1(SALU_CYCLE_1)
	s_or_b32 exec_lo, exec_lo, s3
	s_mov_b32 s2, exec_lo
	v_cmpx_ne_u32_e64 v162, v136
	s_xor_b32 s2, exec_lo, s2
	s_cbranch_execz .LBB62_268
; %bb.263:
	s_mov_b32 s3, exec_lo
	v_cmpx_eq_u32_e32 12, v162
	s_cbranch_execz .LBB62_267
; %bb.264:
	v_cmp_ne_u32_e32 vcc_lo, 12, v136
	s_xor_b32 s6, s4, -1
	s_delay_alu instid0(SALU_CYCLE_1) | instskip(NEXT) | instid1(SALU_CYCLE_1)
	s_and_b32 s7, s6, vcc_lo
	s_and_saveexec_b32 s6, s7
	s_cbranch_execz .LBB62_266
; %bb.265:
	v_ashrrev_i32_e32 v137, 31, v136
	s_delay_alu instid0(VALU_DEP_1) | instskip(NEXT) | instid1(VALU_DEP_1)
	v_lshlrev_b64 v[40:41], 2, v[136:137]
	v_add_co_u32 v40, vcc_lo, v118, v40
	s_delay_alu instid0(VALU_DEP_2)
	v_add_co_ci_u32_e32 v41, vcc_lo, v119, v41, vcc_lo
	s_clause 0x1
	flat_load_b32 v42, v[40:41]
	flat_load_b32 v43, v[118:119] offset:48
	s_waitcnt vmcnt(1) lgkmcnt(1)
	flat_store_b32 v[118:119], v42 offset:48
	s_waitcnt vmcnt(0) lgkmcnt(1)
	flat_store_b32 v[40:41], v43
.LBB62_266:
	s_or_b32 exec_lo, exec_lo, s6
	v_mov_b32_e32 v162, v136
	v_mov_b32_e32 v40, v136
	scratch_store_b32 off, v40, off         ; 4-byte Folded Spill
.LBB62_267:
	s_or_b32 exec_lo, exec_lo, s3
.LBB62_268:
	s_and_not1_saveexec_b32 s2, s2
	s_cbranch_execz .LBB62_270
; %bb.269:
	v_mov_b32_e32 v162, 12
	ds_store_2addr_b64 v160, v[84:85], v[86:87] offset0:26 offset1:27
	ds_store_2addr_b64 v160, v[80:81], v[82:83] offset0:28 offset1:29
	;; [unrolled: 1-line block ×19, first 2 shown]
.LBB62_270:
	s_or_b32 exec_lo, exec_lo, s2
	s_delay_alu instid0(SALU_CYCLE_1)
	s_mov_b32 s2, exec_lo
	s_waitcnt lgkmcnt(0)
	s_waitcnt_vscnt null, 0x0
	s_barrier
	buffer_gl0_inv
	v_cmpx_lt_i32_e32 12, v162
	s_cbranch_execz .LBB62_272
; %bb.271:
	v_mul_f64 v[40:41], v[130:131], v[90:91]
	s_delay_alu instid0(VALU_DEP_1) | instskip(SKIP_1) | instid1(VALU_DEP_1)
	v_fma_f64 v[136:137], v[128:129], v[88:89], -v[40:41]
	v_mul_f64 v[40:41], v[128:129], v[90:91]
	v_fma_f64 v[90:91], v[130:131], v[88:89], v[40:41]
	ds_load_2addr_b64 v[128:131], v160 offset0:26 offset1:27
	ds_load_2addr_b64 v[138:141], v160 offset0:28 offset1:29
	s_waitcnt lgkmcnt(1)
	v_mul_f64 v[40:41], v[130:131], v[90:91]
	v_mul_f64 v[42:43], v[128:129], v[90:91]
	s_waitcnt lgkmcnt(0)
	v_mul_f64 v[44:45], v[140:141], v[90:91]
	v_mul_f64 v[46:47], v[138:139], v[90:91]
	s_delay_alu instid0(VALU_DEP_4) | instskip(NEXT) | instid1(VALU_DEP_4)
	v_fma_f64 v[40:41], v[128:129], v[136:137], -v[40:41]
	v_fma_f64 v[42:43], v[130:131], v[136:137], v[42:43]
	s_delay_alu instid0(VALU_DEP_4) | instskip(NEXT) | instid1(VALU_DEP_4)
	v_fma_f64 v[44:45], v[138:139], v[136:137], -v[44:45]
	v_fma_f64 v[46:47], v[140:141], v[136:137], v[46:47]
	ds_load_2addr_b64 v[128:131], v160 offset0:30 offset1:31
	ds_load_2addr_b64 v[138:141], v160 offset0:32 offset1:33
	s_waitcnt lgkmcnt(1)
	v_mul_f64 v[88:89], v[130:131], v[90:91]
	v_add_f64 v[84:85], v[84:85], -v[40:41]
	v_add_f64 v[86:87], v[86:87], -v[42:43]
	;; [unrolled: 1-line block ×4, first 2 shown]
	v_fma_f64 v[88:89], v[128:129], v[136:137], -v[88:89]
	v_mul_f64 v[128:129], v[128:129], v[90:91]
	s_delay_alu instid0(VALU_DEP_2) | instskip(NEXT) | instid1(VALU_DEP_2)
	v_add_f64 v[72:73], v[72:73], -v[88:89]
	v_fma_f64 v[132:133], v[130:131], v[136:137], v[128:129]
	s_waitcnt lgkmcnt(0)
	v_mul_f64 v[128:129], v[140:141], v[90:91]
	v_dual_mov_b32 v88, v136 :: v_dual_mov_b32 v89, v137
	s_delay_alu instid0(VALU_DEP_3) | instskip(NEXT) | instid1(VALU_DEP_3)
	v_add_f64 v[74:75], v[74:75], -v[132:133]
	v_fma_f64 v[134:135], v[138:139], v[136:137], -v[128:129]
	v_mul_f64 v[128:129], v[138:139], v[90:91]
	s_delay_alu instid0(VALU_DEP_2) | instskip(NEXT) | instid1(VALU_DEP_2)
	v_add_f64 v[68:69], v[68:69], -v[134:135]
	v_fma_f64 v[142:143], v[140:141], v[136:137], v[128:129]
	ds_load_2addr_b64 v[128:131], v160 offset0:34 offset1:35
	ds_load_2addr_b64 v[138:141], v160 offset0:36 offset1:37
	s_waitcnt lgkmcnt(1)
	v_mul_f64 v[144:145], v[130:131], v[90:91]
	v_add_f64 v[70:71], v[70:71], -v[142:143]
	s_delay_alu instid0(VALU_DEP_2) | instskip(SKIP_1) | instid1(VALU_DEP_2)
	v_fma_f64 v[144:145], v[128:129], v[136:137], -v[144:145]
	v_mul_f64 v[128:129], v[128:129], v[90:91]
	v_add_f64 v[64:65], v[64:65], -v[144:145]
	s_delay_alu instid0(VALU_DEP_2) | instskip(SKIP_2) | instid1(VALU_DEP_2)
	v_fma_f64 v[146:147], v[130:131], v[136:137], v[128:129]
	s_waitcnt lgkmcnt(0)
	v_mul_f64 v[128:129], v[140:141], v[90:91]
	v_add_f64 v[66:67], v[66:67], -v[146:147]
	s_delay_alu instid0(VALU_DEP_2) | instskip(SKIP_1) | instid1(VALU_DEP_2)
	v_fma_f64 v[148:149], v[138:139], v[136:137], -v[128:129]
	v_mul_f64 v[128:129], v[138:139], v[90:91]
	v_add_f64 v[60:61], v[60:61], -v[148:149]
	s_delay_alu instid0(VALU_DEP_2)
	v_fma_f64 v[150:151], v[140:141], v[136:137], v[128:129]
	ds_load_2addr_b64 v[128:131], v160 offset0:38 offset1:39
	ds_load_2addr_b64 v[138:141], v160 offset0:40 offset1:41
	s_waitcnt lgkmcnt(1)
	v_mul_f64 v[152:153], v[130:131], v[90:91]
	v_add_f64 v[62:63], v[62:63], -v[150:151]
	s_delay_alu instid0(VALU_DEP_2) | instskip(SKIP_1) | instid1(VALU_DEP_2)
	v_fma_f64 v[152:153], v[128:129], v[136:137], -v[152:153]
	v_mul_f64 v[128:129], v[128:129], v[90:91]
	v_add_f64 v[56:57], v[56:57], -v[152:153]
	s_delay_alu instid0(VALU_DEP_2) | instskip(SKIP_2) | instid1(VALU_DEP_2)
	v_fma_f64 v[154:155], v[130:131], v[136:137], v[128:129]
	s_waitcnt lgkmcnt(0)
	v_mul_f64 v[128:129], v[140:141], v[90:91]
	v_add_f64 v[58:59], v[58:59], -v[154:155]
	s_delay_alu instid0(VALU_DEP_2) | instskip(SKIP_1) | instid1(VALU_DEP_2)
	v_fma_f64 v[163:164], v[138:139], v[136:137], -v[128:129]
	v_mul_f64 v[128:129], v[138:139], v[90:91]
	v_add_f64 v[52:53], v[52:53], -v[163:164]
	s_delay_alu instid0(VALU_DEP_2)
	;; [unrolled: 20-line block ×6, first 2 shown]
	v_fma_f64 v[197:198], v[140:141], v[136:137], v[128:129]
	ds_load_2addr_b64 v[128:131], v160 offset0:58 offset1:59
	ds_load_2addr_b64 v[138:141], v160 offset0:60 offset1:61
	s_waitcnt lgkmcnt(1)
	v_mul_f64 v[199:200], v[130:131], v[90:91]
	v_add_f64 v[14:15], v[14:15], -v[197:198]
	s_delay_alu instid0(VALU_DEP_2) | instskip(SKIP_1) | instid1(VALU_DEP_2)
	v_fma_f64 v[199:200], v[128:129], v[136:137], -v[199:200]
	v_mul_f64 v[128:129], v[128:129], v[90:91]
	v_add_f64 v[8:9], v[8:9], -v[199:200]
	s_delay_alu instid0(VALU_DEP_2) | instskip(SKIP_2) | instid1(VALU_DEP_2)
	v_fma_f64 v[201:202], v[130:131], v[136:137], v[128:129]
	s_waitcnt lgkmcnt(0)
	v_mul_f64 v[128:129], v[140:141], v[90:91]
	v_add_f64 v[10:11], v[10:11], -v[201:202]
	s_delay_alu instid0(VALU_DEP_2) | instskip(SKIP_1) | instid1(VALU_DEP_2)
	v_fma_f64 v[203:204], v[138:139], v[136:137], -v[128:129]
	v_mul_f64 v[128:129], v[138:139], v[90:91]
	v_add_f64 v[4:5], v[4:5], -v[203:204]
	s_delay_alu instid0(VALU_DEP_2) | instskip(SKIP_4) | instid1(VALU_DEP_2)
	v_fma_f64 v[138:139], v[140:141], v[136:137], v[128:129]
	ds_load_2addr_b64 v[128:131], v160 offset0:62 offset1:63
	s_waitcnt lgkmcnt(0)
	v_mul_f64 v[140:141], v[130:131], v[90:91]
	v_add_f64 v[6:7], v[6:7], -v[138:139]
	v_fma_f64 v[140:141], v[128:129], v[136:137], -v[140:141]
	v_mul_f64 v[128:129], v[128:129], v[90:91]
	s_delay_alu instid0(VALU_DEP_2) | instskip(NEXT) | instid1(VALU_DEP_2)
	v_add_f64 v[0:1], v[0:1], -v[140:141]
	v_fma_f64 v[128:129], v[130:131], v[136:137], v[128:129]
	s_delay_alu instid0(VALU_DEP_1)
	v_add_f64 v[2:3], v[2:3], -v[128:129]
.LBB62_272:
	s_or_b32 exec_lo, exec_lo, s2
	v_lshl_add_u32 v40, v162, 4, v160
	s_barrier
	buffer_gl0_inv
	v_mov_b32_e32 v136, 13
	ds_store_2addr_b64 v40, v[84:85], v[86:87] offset1:1
	s_waitcnt lgkmcnt(0)
	s_barrier
	buffer_gl0_inv
	ds_load_2addr_b64 v[128:131], v160 offset0:26 offset1:27
	s_cmp_lt_i32 s5, 15
	s_cbranch_scc1 .LBB62_275
; %bb.273:
	v_add3_u32 v137, v156, 0, 0xe0
	v_mov_b32_e32 v136, 13
	s_mov_b32 s6, 14
	s_set_inst_prefetch_distance 0x1
	.p2align	6
.LBB62_274:                             ; =>This Inner Loop Header: Depth=1
	ds_load_2addr_b64 v[138:141], v137 offset1:1
	s_waitcnt lgkmcnt(1)
	v_cmp_gt_f64_e32 vcc_lo, 0, v[128:129]
	v_xor_b32_e32 v40, 0x80000000, v129
	v_cmp_gt_f64_e64 s2, 0, v[130:131]
	v_xor_b32_e32 v42, 0x80000000, v131
	v_add_nc_u32_e32 v137, 16, v137
	s_waitcnt lgkmcnt(0)
	v_cmp_gt_f64_e64 s3, 0, v[138:139]
	v_mov_b32_e32 v44, v138
	v_dual_mov_b32 v46, v140 :: v_dual_cndmask_b32 v41, v129, v40
	v_xor_b32_e32 v40, 0x80000000, v139
	v_cndmask_b32_e64 v43, v131, v42, s2
	v_xor_b32_e32 v42, 0x80000000, v141
	s_delay_alu instid0(VALU_DEP_3) | instskip(SKIP_2) | instid1(VALU_DEP_2)
	v_cndmask_b32_e64 v45, v139, v40, s3
	v_cmp_gt_f64_e64 s3, 0, v[140:141]
	v_cndmask_b32_e32 v40, v128, v128, vcc_lo
	v_cndmask_b32_e64 v47, v141, v42, s3
	v_cndmask_b32_e64 v42, v130, v130, s2
	s_delay_alu instid0(VALU_DEP_2) | instskip(NEXT) | instid1(VALU_DEP_2)
	v_add_f64 v[44:45], v[44:45], v[46:47]
	v_add_f64 v[40:41], v[40:41], v[42:43]
	s_delay_alu instid0(VALU_DEP_1)
	v_cmp_lt_f64_e32 vcc_lo, v[40:41], v[44:45]
	v_cndmask_b32_e32 v131, v131, v141, vcc_lo
	v_dual_cndmask_b32 v129, v129, v139 :: v_dual_cndmask_b32 v128, v128, v138
	v_cndmask_b32_e32 v130, v130, v140, vcc_lo
	v_cndmask_b32_e64 v136, v136, s6, vcc_lo
	s_add_i32 s6, s6, 1
	s_delay_alu instid0(SALU_CYCLE_1)
	s_cmp_lg_u32 s5, s6
	s_cbranch_scc1 .LBB62_274
.LBB62_275:
	s_set_inst_prefetch_distance 0x2
	s_waitcnt lgkmcnt(0)
	v_cmp_eq_f64_e32 vcc_lo, 0, v[128:129]
	v_cmp_eq_f64_e64 s2, 0, v[130:131]
	s_delay_alu instid0(VALU_DEP_1) | instskip(NEXT) | instid1(SALU_CYCLE_1)
	s_and_b32 s2, vcc_lo, s2
	s_and_saveexec_b32 s3, s2
	s_delay_alu instid0(SALU_CYCLE_1)
	s_xor_b32 s2, exec_lo, s3
; %bb.276:
	v_cmp_ne_u32_e32 vcc_lo, 0, v255
	v_cndmask_b32_e32 v255, 14, v255, vcc_lo
; %bb.277:
	s_and_not1_saveexec_b32 s3, s2
	s_cbranch_execz .LBB62_283
; %bb.278:
	v_cmp_gt_f64_e32 vcc_lo, 0, v[128:129]
	v_cmp_gt_f64_e64 s2, 0, v[130:131]
	v_xor_b32_e32 v40, 0x80000000, v129
	v_xor_b32_e32 v42, 0x80000000, v131
	s_delay_alu instid0(VALU_DEP_2) | instskip(NEXT) | instid1(VALU_DEP_2)
	v_cndmask_b32_e32 v41, v129, v40, vcc_lo
	v_cndmask_b32_e64 v43, v131, v42, s2
	v_cndmask_b32_e32 v40, v128, v128, vcc_lo
	v_cndmask_b32_e64 v42, v130, v130, s2
	s_mov_b32 s2, exec_lo
	s_delay_alu instid0(VALU_DEP_1)
	v_cmpx_ngt_f64_e32 v[40:41], v[42:43]
	s_xor_b32 s2, exec_lo, s2
	s_cbranch_execz .LBB62_280
; %bb.279:
	v_div_scale_f64 v[40:41], null, v[130:131], v[130:131], v[128:129]
	v_div_scale_f64 v[46:47], vcc_lo, v[128:129], v[130:131], v[128:129]
	s_delay_alu instid0(VALU_DEP_2) | instskip(SKIP_2) | instid1(VALU_DEP_1)
	v_rcp_f64_e32 v[42:43], v[40:41]
	s_waitcnt_depctr 0xfff
	v_fma_f64 v[44:45], -v[40:41], v[42:43], 1.0
	v_fma_f64 v[42:43], v[42:43], v[44:45], v[42:43]
	s_delay_alu instid0(VALU_DEP_1) | instskip(NEXT) | instid1(VALU_DEP_1)
	v_fma_f64 v[44:45], -v[40:41], v[42:43], 1.0
	v_fma_f64 v[42:43], v[42:43], v[44:45], v[42:43]
	s_delay_alu instid0(VALU_DEP_1) | instskip(NEXT) | instid1(VALU_DEP_1)
	v_mul_f64 v[44:45], v[46:47], v[42:43]
	v_fma_f64 v[40:41], -v[40:41], v[44:45], v[46:47]
	s_delay_alu instid0(VALU_DEP_1) | instskip(NEXT) | instid1(VALU_DEP_1)
	v_div_fmas_f64 v[40:41], v[40:41], v[42:43], v[44:45]
	v_div_fixup_f64 v[40:41], v[40:41], v[130:131], v[128:129]
	s_delay_alu instid0(VALU_DEP_1) | instskip(NEXT) | instid1(VALU_DEP_1)
	v_fma_f64 v[42:43], v[128:129], v[40:41], v[130:131]
	v_div_scale_f64 v[44:45], null, v[42:43], v[42:43], 1.0
	s_delay_alu instid0(VALU_DEP_1) | instskip(SKIP_2) | instid1(VALU_DEP_1)
	v_rcp_f64_e32 v[46:47], v[44:45]
	s_waitcnt_depctr 0xfff
	v_fma_f64 v[128:129], -v[44:45], v[46:47], 1.0
	v_fma_f64 v[46:47], v[46:47], v[128:129], v[46:47]
	s_delay_alu instid0(VALU_DEP_1) | instskip(NEXT) | instid1(VALU_DEP_1)
	v_fma_f64 v[128:129], -v[44:45], v[46:47], 1.0
	v_fma_f64 v[46:47], v[46:47], v[128:129], v[46:47]
	v_div_scale_f64 v[128:129], vcc_lo, 1.0, v[42:43], 1.0
	s_delay_alu instid0(VALU_DEP_1) | instskip(NEXT) | instid1(VALU_DEP_1)
	v_mul_f64 v[130:131], v[128:129], v[46:47]
	v_fma_f64 v[44:45], -v[44:45], v[130:131], v[128:129]
	s_delay_alu instid0(VALU_DEP_1) | instskip(NEXT) | instid1(VALU_DEP_1)
	v_div_fmas_f64 v[44:45], v[44:45], v[46:47], v[130:131]
	v_div_fixup_f64 v[130:131], v[44:45], v[42:43], 1.0
	s_delay_alu instid0(VALU_DEP_1)
	v_mul_f64 v[128:129], v[40:41], v[130:131]
	v_xor_b32_e32 v131, 0x80000000, v131
.LBB62_280:
	s_and_not1_saveexec_b32 s2, s2
	s_cbranch_execz .LBB62_282
; %bb.281:
	s_delay_alu instid0(VALU_DEP_1) | instskip(SKIP_1) | instid1(VALU_DEP_2)
	v_div_scale_f64 v[40:41], null, v[128:129], v[128:129], v[130:131]
	v_div_scale_f64 v[46:47], vcc_lo, v[130:131], v[128:129], v[130:131]
	v_rcp_f64_e32 v[42:43], v[40:41]
	s_waitcnt_depctr 0xfff
	v_fma_f64 v[44:45], -v[40:41], v[42:43], 1.0
	s_delay_alu instid0(VALU_DEP_1) | instskip(NEXT) | instid1(VALU_DEP_1)
	v_fma_f64 v[42:43], v[42:43], v[44:45], v[42:43]
	v_fma_f64 v[44:45], -v[40:41], v[42:43], 1.0
	s_delay_alu instid0(VALU_DEP_1) | instskip(NEXT) | instid1(VALU_DEP_1)
	v_fma_f64 v[42:43], v[42:43], v[44:45], v[42:43]
	v_mul_f64 v[44:45], v[46:47], v[42:43]
	s_delay_alu instid0(VALU_DEP_1) | instskip(NEXT) | instid1(VALU_DEP_1)
	v_fma_f64 v[40:41], -v[40:41], v[44:45], v[46:47]
	v_div_fmas_f64 v[40:41], v[40:41], v[42:43], v[44:45]
	s_delay_alu instid0(VALU_DEP_1) | instskip(NEXT) | instid1(VALU_DEP_1)
	v_div_fixup_f64 v[40:41], v[40:41], v[128:129], v[130:131]
	v_fma_f64 v[42:43], v[130:131], v[40:41], v[128:129]
	s_delay_alu instid0(VALU_DEP_1) | instskip(NEXT) | instid1(VALU_DEP_1)
	v_div_scale_f64 v[44:45], null, v[42:43], v[42:43], 1.0
	v_rcp_f64_e32 v[46:47], v[44:45]
	s_waitcnt_depctr 0xfff
	v_fma_f64 v[128:129], -v[44:45], v[46:47], 1.0
	s_delay_alu instid0(VALU_DEP_1) | instskip(NEXT) | instid1(VALU_DEP_1)
	v_fma_f64 v[46:47], v[46:47], v[128:129], v[46:47]
	v_fma_f64 v[128:129], -v[44:45], v[46:47], 1.0
	s_delay_alu instid0(VALU_DEP_1) | instskip(SKIP_1) | instid1(VALU_DEP_1)
	v_fma_f64 v[46:47], v[46:47], v[128:129], v[46:47]
	v_div_scale_f64 v[128:129], vcc_lo, 1.0, v[42:43], 1.0
	v_mul_f64 v[130:131], v[128:129], v[46:47]
	s_delay_alu instid0(VALU_DEP_1) | instskip(NEXT) | instid1(VALU_DEP_1)
	v_fma_f64 v[44:45], -v[44:45], v[130:131], v[128:129]
	v_div_fmas_f64 v[44:45], v[44:45], v[46:47], v[130:131]
	s_delay_alu instid0(VALU_DEP_1) | instskip(NEXT) | instid1(VALU_DEP_1)
	v_div_fixup_f64 v[128:129], v[44:45], v[42:43], 1.0
	v_mul_f64 v[130:131], v[40:41], -v[128:129]
.LBB62_282:
	s_or_b32 exec_lo, exec_lo, s2
.LBB62_283:
	s_delay_alu instid0(SALU_CYCLE_1) | instskip(NEXT) | instid1(SALU_CYCLE_1)
	s_or_b32 exec_lo, exec_lo, s3
	s_mov_b32 s2, exec_lo
	v_cmpx_ne_u32_e64 v162, v136
	s_xor_b32 s2, exec_lo, s2
	s_cbranch_execz .LBB62_289
; %bb.284:
	s_mov_b32 s3, exec_lo
	v_cmpx_eq_u32_e32 13, v162
	s_cbranch_execz .LBB62_288
; %bb.285:
	v_cmp_ne_u32_e32 vcc_lo, 13, v136
	s_xor_b32 s6, s4, -1
	s_delay_alu instid0(SALU_CYCLE_1) | instskip(NEXT) | instid1(SALU_CYCLE_1)
	s_and_b32 s7, s6, vcc_lo
	s_and_saveexec_b32 s6, s7
	s_cbranch_execz .LBB62_287
; %bb.286:
	v_ashrrev_i32_e32 v137, 31, v136
	s_delay_alu instid0(VALU_DEP_1) | instskip(NEXT) | instid1(VALU_DEP_1)
	v_lshlrev_b64 v[40:41], 2, v[136:137]
	v_add_co_u32 v40, vcc_lo, v118, v40
	s_delay_alu instid0(VALU_DEP_2)
	v_add_co_ci_u32_e32 v41, vcc_lo, v119, v41, vcc_lo
	s_clause 0x1
	flat_load_b32 v42, v[40:41]
	flat_load_b32 v43, v[118:119] offset:52
	s_waitcnt vmcnt(1) lgkmcnt(1)
	flat_store_b32 v[118:119], v42 offset:52
	s_waitcnt vmcnt(0) lgkmcnt(1)
	flat_store_b32 v[40:41], v43
.LBB62_287:
	s_or_b32 exec_lo, exec_lo, s6
	v_mov_b32_e32 v162, v136
	v_mov_b32_e32 v40, v136
	scratch_store_b32 off, v40, off         ; 4-byte Folded Spill
.LBB62_288:
	s_or_b32 exec_lo, exec_lo, s3
.LBB62_289:
	s_and_not1_saveexec_b32 s2, s2
	s_cbranch_execz .LBB62_291
; %bb.290:
	v_mov_b32_e32 v162, 13
	ds_store_2addr_b64 v160, v[80:81], v[82:83] offset0:28 offset1:29
	ds_store_2addr_b64 v160, v[72:73], v[74:75] offset0:30 offset1:31
	;; [unrolled: 1-line block ×18, first 2 shown]
.LBB62_291:
	s_or_b32 exec_lo, exec_lo, s2
	s_delay_alu instid0(SALU_CYCLE_1)
	s_mov_b32 s2, exec_lo
	s_waitcnt lgkmcnt(0)
	s_waitcnt_vscnt null, 0x0
	s_barrier
	buffer_gl0_inv
	v_cmpx_lt_i32_e32 13, v162
	s_cbranch_execz .LBB62_293
; %bb.292:
	v_mul_f64 v[40:41], v[130:131], v[86:87]
	s_delay_alu instid0(VALU_DEP_1) | instskip(SKIP_1) | instid1(VALU_DEP_1)
	v_fma_f64 v[136:137], v[128:129], v[84:85], -v[40:41]
	v_mul_f64 v[40:41], v[128:129], v[86:87]
	v_fma_f64 v[86:87], v[130:131], v[84:85], v[40:41]
	ds_load_2addr_b64 v[128:131], v160 offset0:28 offset1:29
	ds_load_2addr_b64 v[138:141], v160 offset0:30 offset1:31
	s_waitcnt lgkmcnt(1)
	v_mul_f64 v[40:41], v[130:131], v[86:87]
	v_mul_f64 v[42:43], v[128:129], v[86:87]
	s_waitcnt lgkmcnt(0)
	v_mul_f64 v[44:45], v[140:141], v[86:87]
	v_mul_f64 v[46:47], v[138:139], v[86:87]
	s_delay_alu instid0(VALU_DEP_4) | instskip(NEXT) | instid1(VALU_DEP_4)
	v_fma_f64 v[40:41], v[128:129], v[136:137], -v[40:41]
	v_fma_f64 v[42:43], v[130:131], v[136:137], v[42:43]
	s_delay_alu instid0(VALU_DEP_4) | instskip(NEXT) | instid1(VALU_DEP_4)
	v_fma_f64 v[44:45], v[138:139], v[136:137], -v[44:45]
	v_fma_f64 v[46:47], v[140:141], v[136:137], v[46:47]
	ds_load_2addr_b64 v[128:131], v160 offset0:32 offset1:33
	ds_load_2addr_b64 v[138:141], v160 offset0:34 offset1:35
	s_waitcnt lgkmcnt(1)
	v_mul_f64 v[84:85], v[130:131], v[86:87]
	v_add_f64 v[80:81], v[80:81], -v[40:41]
	v_add_f64 v[82:83], v[82:83], -v[42:43]
	;; [unrolled: 1-line block ×4, first 2 shown]
	v_fma_f64 v[84:85], v[128:129], v[136:137], -v[84:85]
	v_mul_f64 v[128:129], v[128:129], v[86:87]
	s_delay_alu instid0(VALU_DEP_2) | instskip(NEXT) | instid1(VALU_DEP_2)
	v_add_f64 v[68:69], v[68:69], -v[84:85]
	v_fma_f64 v[132:133], v[130:131], v[136:137], v[128:129]
	s_waitcnt lgkmcnt(0)
	v_mul_f64 v[128:129], v[140:141], v[86:87]
	v_dual_mov_b32 v84, v136 :: v_dual_mov_b32 v85, v137
	s_delay_alu instid0(VALU_DEP_3) | instskip(NEXT) | instid1(VALU_DEP_3)
	v_add_f64 v[70:71], v[70:71], -v[132:133]
	v_fma_f64 v[134:135], v[138:139], v[136:137], -v[128:129]
	v_mul_f64 v[128:129], v[138:139], v[86:87]
	s_delay_alu instid0(VALU_DEP_2) | instskip(NEXT) | instid1(VALU_DEP_2)
	v_add_f64 v[64:65], v[64:65], -v[134:135]
	v_fma_f64 v[142:143], v[140:141], v[136:137], v[128:129]
	ds_load_2addr_b64 v[128:131], v160 offset0:36 offset1:37
	ds_load_2addr_b64 v[138:141], v160 offset0:38 offset1:39
	s_waitcnt lgkmcnt(1)
	v_mul_f64 v[144:145], v[130:131], v[86:87]
	v_add_f64 v[66:67], v[66:67], -v[142:143]
	s_delay_alu instid0(VALU_DEP_2) | instskip(SKIP_1) | instid1(VALU_DEP_2)
	v_fma_f64 v[144:145], v[128:129], v[136:137], -v[144:145]
	v_mul_f64 v[128:129], v[128:129], v[86:87]
	v_add_f64 v[60:61], v[60:61], -v[144:145]
	s_delay_alu instid0(VALU_DEP_2) | instskip(SKIP_2) | instid1(VALU_DEP_2)
	v_fma_f64 v[146:147], v[130:131], v[136:137], v[128:129]
	s_waitcnt lgkmcnt(0)
	v_mul_f64 v[128:129], v[140:141], v[86:87]
	v_add_f64 v[62:63], v[62:63], -v[146:147]
	s_delay_alu instid0(VALU_DEP_2) | instskip(SKIP_1) | instid1(VALU_DEP_2)
	v_fma_f64 v[148:149], v[138:139], v[136:137], -v[128:129]
	v_mul_f64 v[128:129], v[138:139], v[86:87]
	v_add_f64 v[56:57], v[56:57], -v[148:149]
	s_delay_alu instid0(VALU_DEP_2)
	v_fma_f64 v[150:151], v[140:141], v[136:137], v[128:129]
	ds_load_2addr_b64 v[128:131], v160 offset0:40 offset1:41
	ds_load_2addr_b64 v[138:141], v160 offset0:42 offset1:43
	s_waitcnt lgkmcnt(1)
	v_mul_f64 v[152:153], v[130:131], v[86:87]
	v_add_f64 v[58:59], v[58:59], -v[150:151]
	s_delay_alu instid0(VALU_DEP_2) | instskip(SKIP_1) | instid1(VALU_DEP_2)
	v_fma_f64 v[152:153], v[128:129], v[136:137], -v[152:153]
	v_mul_f64 v[128:129], v[128:129], v[86:87]
	v_add_f64 v[52:53], v[52:53], -v[152:153]
	s_delay_alu instid0(VALU_DEP_2) | instskip(SKIP_2) | instid1(VALU_DEP_2)
	v_fma_f64 v[154:155], v[130:131], v[136:137], v[128:129]
	s_waitcnt lgkmcnt(0)
	v_mul_f64 v[128:129], v[140:141], v[86:87]
	v_add_f64 v[54:55], v[54:55], -v[154:155]
	s_delay_alu instid0(VALU_DEP_2) | instskip(SKIP_1) | instid1(VALU_DEP_2)
	v_fma_f64 v[163:164], v[138:139], v[136:137], -v[128:129]
	v_mul_f64 v[128:129], v[138:139], v[86:87]
	v_add_f64 v[48:49], v[48:49], -v[163:164]
	s_delay_alu instid0(VALU_DEP_2)
	;; [unrolled: 20-line block ×6, first 2 shown]
	v_fma_f64 v[197:198], v[140:141], v[136:137], v[128:129]
	ds_load_2addr_b64 v[128:131], v160 offset0:60 offset1:61
	ds_load_2addr_b64 v[138:141], v160 offset0:62 offset1:63
	s_waitcnt lgkmcnt(1)
	v_mul_f64 v[199:200], v[130:131], v[86:87]
	v_add_f64 v[10:11], v[10:11], -v[197:198]
	s_delay_alu instid0(VALU_DEP_2) | instskip(SKIP_1) | instid1(VALU_DEP_2)
	v_fma_f64 v[199:200], v[128:129], v[136:137], -v[199:200]
	v_mul_f64 v[128:129], v[128:129], v[86:87]
	v_add_f64 v[4:5], v[4:5], -v[199:200]
	s_delay_alu instid0(VALU_DEP_2) | instskip(SKIP_2) | instid1(VALU_DEP_2)
	v_fma_f64 v[128:129], v[130:131], v[136:137], v[128:129]
	s_waitcnt lgkmcnt(0)
	v_mul_f64 v[130:131], v[140:141], v[86:87]
	v_add_f64 v[6:7], v[6:7], -v[128:129]
	s_delay_alu instid0(VALU_DEP_2) | instskip(SKIP_1) | instid1(VALU_DEP_2)
	v_fma_f64 v[130:131], v[138:139], v[136:137], -v[130:131]
	v_mul_f64 v[138:139], v[138:139], v[86:87]
	v_add_f64 v[0:1], v[0:1], -v[130:131]
	s_delay_alu instid0(VALU_DEP_2) | instskip(NEXT) | instid1(VALU_DEP_1)
	v_fma_f64 v[138:139], v[140:141], v[136:137], v[138:139]
	v_add_f64 v[2:3], v[2:3], -v[138:139]
.LBB62_293:
	s_or_b32 exec_lo, exec_lo, s2
	v_lshl_add_u32 v40, v162, 4, v160
	s_barrier
	buffer_gl0_inv
	v_mov_b32_e32 v136, 14
	ds_store_2addr_b64 v40, v[80:81], v[82:83] offset1:1
	s_waitcnt lgkmcnt(0)
	s_barrier
	buffer_gl0_inv
	ds_load_2addr_b64 v[128:131], v160 offset0:28 offset1:29
	s_cmp_lt_i32 s5, 16
	s_cbranch_scc1 .LBB62_296
; %bb.294:
	v_add3_u32 v137, v156, 0, 0xf0
	v_mov_b32_e32 v136, 14
	s_mov_b32 s6, 15
	s_set_inst_prefetch_distance 0x1
	.p2align	6
.LBB62_295:                             ; =>This Inner Loop Header: Depth=1
	ds_load_2addr_b64 v[138:141], v137 offset1:1
	s_waitcnt lgkmcnt(1)
	v_cmp_gt_f64_e32 vcc_lo, 0, v[128:129]
	v_xor_b32_e32 v40, 0x80000000, v129
	v_cmp_gt_f64_e64 s2, 0, v[130:131]
	v_xor_b32_e32 v42, 0x80000000, v131
	v_add_nc_u32_e32 v137, 16, v137
	s_waitcnt lgkmcnt(0)
	v_cmp_gt_f64_e64 s3, 0, v[138:139]
	v_mov_b32_e32 v44, v138
	v_dual_mov_b32 v46, v140 :: v_dual_cndmask_b32 v41, v129, v40
	v_xor_b32_e32 v40, 0x80000000, v139
	v_cndmask_b32_e64 v43, v131, v42, s2
	v_xor_b32_e32 v42, 0x80000000, v141
	s_delay_alu instid0(VALU_DEP_3) | instskip(SKIP_2) | instid1(VALU_DEP_2)
	v_cndmask_b32_e64 v45, v139, v40, s3
	v_cmp_gt_f64_e64 s3, 0, v[140:141]
	v_cndmask_b32_e32 v40, v128, v128, vcc_lo
	v_cndmask_b32_e64 v47, v141, v42, s3
	v_cndmask_b32_e64 v42, v130, v130, s2
	s_delay_alu instid0(VALU_DEP_2) | instskip(NEXT) | instid1(VALU_DEP_2)
	v_add_f64 v[44:45], v[44:45], v[46:47]
	v_add_f64 v[40:41], v[40:41], v[42:43]
	s_delay_alu instid0(VALU_DEP_1)
	v_cmp_lt_f64_e32 vcc_lo, v[40:41], v[44:45]
	v_cndmask_b32_e32 v131, v131, v141, vcc_lo
	v_dual_cndmask_b32 v129, v129, v139 :: v_dual_cndmask_b32 v128, v128, v138
	v_cndmask_b32_e32 v130, v130, v140, vcc_lo
	v_cndmask_b32_e64 v136, v136, s6, vcc_lo
	s_add_i32 s6, s6, 1
	s_delay_alu instid0(SALU_CYCLE_1)
	s_cmp_lg_u32 s5, s6
	s_cbranch_scc1 .LBB62_295
.LBB62_296:
	s_set_inst_prefetch_distance 0x2
	s_waitcnt lgkmcnt(0)
	v_cmp_eq_f64_e32 vcc_lo, 0, v[128:129]
	v_cmp_eq_f64_e64 s2, 0, v[130:131]
	s_delay_alu instid0(VALU_DEP_1) | instskip(NEXT) | instid1(SALU_CYCLE_1)
	s_and_b32 s2, vcc_lo, s2
	s_and_saveexec_b32 s3, s2
	s_delay_alu instid0(SALU_CYCLE_1)
	s_xor_b32 s2, exec_lo, s3
; %bb.297:
	v_cmp_ne_u32_e32 vcc_lo, 0, v255
	v_cndmask_b32_e32 v255, 15, v255, vcc_lo
; %bb.298:
	s_and_not1_saveexec_b32 s3, s2
	s_cbranch_execz .LBB62_304
; %bb.299:
	v_cmp_gt_f64_e32 vcc_lo, 0, v[128:129]
	v_cmp_gt_f64_e64 s2, 0, v[130:131]
	v_xor_b32_e32 v40, 0x80000000, v129
	v_xor_b32_e32 v42, 0x80000000, v131
	s_delay_alu instid0(VALU_DEP_2) | instskip(NEXT) | instid1(VALU_DEP_2)
	v_cndmask_b32_e32 v41, v129, v40, vcc_lo
	v_cndmask_b32_e64 v43, v131, v42, s2
	v_cndmask_b32_e32 v40, v128, v128, vcc_lo
	v_cndmask_b32_e64 v42, v130, v130, s2
	s_mov_b32 s2, exec_lo
	s_delay_alu instid0(VALU_DEP_1)
	v_cmpx_ngt_f64_e32 v[40:41], v[42:43]
	s_xor_b32 s2, exec_lo, s2
	s_cbranch_execz .LBB62_301
; %bb.300:
	v_div_scale_f64 v[40:41], null, v[130:131], v[130:131], v[128:129]
	v_div_scale_f64 v[46:47], vcc_lo, v[128:129], v[130:131], v[128:129]
	s_delay_alu instid0(VALU_DEP_2) | instskip(SKIP_2) | instid1(VALU_DEP_1)
	v_rcp_f64_e32 v[42:43], v[40:41]
	s_waitcnt_depctr 0xfff
	v_fma_f64 v[44:45], -v[40:41], v[42:43], 1.0
	v_fma_f64 v[42:43], v[42:43], v[44:45], v[42:43]
	s_delay_alu instid0(VALU_DEP_1) | instskip(NEXT) | instid1(VALU_DEP_1)
	v_fma_f64 v[44:45], -v[40:41], v[42:43], 1.0
	v_fma_f64 v[42:43], v[42:43], v[44:45], v[42:43]
	s_delay_alu instid0(VALU_DEP_1) | instskip(NEXT) | instid1(VALU_DEP_1)
	v_mul_f64 v[44:45], v[46:47], v[42:43]
	v_fma_f64 v[40:41], -v[40:41], v[44:45], v[46:47]
	s_delay_alu instid0(VALU_DEP_1) | instskip(NEXT) | instid1(VALU_DEP_1)
	v_div_fmas_f64 v[40:41], v[40:41], v[42:43], v[44:45]
	v_div_fixup_f64 v[40:41], v[40:41], v[130:131], v[128:129]
	s_delay_alu instid0(VALU_DEP_1) | instskip(NEXT) | instid1(VALU_DEP_1)
	v_fma_f64 v[42:43], v[128:129], v[40:41], v[130:131]
	v_div_scale_f64 v[44:45], null, v[42:43], v[42:43], 1.0
	s_delay_alu instid0(VALU_DEP_1) | instskip(SKIP_2) | instid1(VALU_DEP_1)
	v_rcp_f64_e32 v[46:47], v[44:45]
	s_waitcnt_depctr 0xfff
	v_fma_f64 v[128:129], -v[44:45], v[46:47], 1.0
	v_fma_f64 v[46:47], v[46:47], v[128:129], v[46:47]
	s_delay_alu instid0(VALU_DEP_1) | instskip(NEXT) | instid1(VALU_DEP_1)
	v_fma_f64 v[128:129], -v[44:45], v[46:47], 1.0
	v_fma_f64 v[46:47], v[46:47], v[128:129], v[46:47]
	v_div_scale_f64 v[128:129], vcc_lo, 1.0, v[42:43], 1.0
	s_delay_alu instid0(VALU_DEP_1) | instskip(NEXT) | instid1(VALU_DEP_1)
	v_mul_f64 v[130:131], v[128:129], v[46:47]
	v_fma_f64 v[44:45], -v[44:45], v[130:131], v[128:129]
	s_delay_alu instid0(VALU_DEP_1) | instskip(NEXT) | instid1(VALU_DEP_1)
	v_div_fmas_f64 v[44:45], v[44:45], v[46:47], v[130:131]
	v_div_fixup_f64 v[130:131], v[44:45], v[42:43], 1.0
	s_delay_alu instid0(VALU_DEP_1)
	v_mul_f64 v[128:129], v[40:41], v[130:131]
	v_xor_b32_e32 v131, 0x80000000, v131
.LBB62_301:
	s_and_not1_saveexec_b32 s2, s2
	s_cbranch_execz .LBB62_303
; %bb.302:
	s_delay_alu instid0(VALU_DEP_1) | instskip(SKIP_1) | instid1(VALU_DEP_2)
	v_div_scale_f64 v[40:41], null, v[128:129], v[128:129], v[130:131]
	v_div_scale_f64 v[46:47], vcc_lo, v[130:131], v[128:129], v[130:131]
	v_rcp_f64_e32 v[42:43], v[40:41]
	s_waitcnt_depctr 0xfff
	v_fma_f64 v[44:45], -v[40:41], v[42:43], 1.0
	s_delay_alu instid0(VALU_DEP_1) | instskip(NEXT) | instid1(VALU_DEP_1)
	v_fma_f64 v[42:43], v[42:43], v[44:45], v[42:43]
	v_fma_f64 v[44:45], -v[40:41], v[42:43], 1.0
	s_delay_alu instid0(VALU_DEP_1) | instskip(NEXT) | instid1(VALU_DEP_1)
	v_fma_f64 v[42:43], v[42:43], v[44:45], v[42:43]
	v_mul_f64 v[44:45], v[46:47], v[42:43]
	s_delay_alu instid0(VALU_DEP_1) | instskip(NEXT) | instid1(VALU_DEP_1)
	v_fma_f64 v[40:41], -v[40:41], v[44:45], v[46:47]
	v_div_fmas_f64 v[40:41], v[40:41], v[42:43], v[44:45]
	s_delay_alu instid0(VALU_DEP_1) | instskip(NEXT) | instid1(VALU_DEP_1)
	v_div_fixup_f64 v[40:41], v[40:41], v[128:129], v[130:131]
	v_fma_f64 v[42:43], v[130:131], v[40:41], v[128:129]
	s_delay_alu instid0(VALU_DEP_1) | instskip(NEXT) | instid1(VALU_DEP_1)
	v_div_scale_f64 v[44:45], null, v[42:43], v[42:43], 1.0
	v_rcp_f64_e32 v[46:47], v[44:45]
	s_waitcnt_depctr 0xfff
	v_fma_f64 v[128:129], -v[44:45], v[46:47], 1.0
	s_delay_alu instid0(VALU_DEP_1) | instskip(NEXT) | instid1(VALU_DEP_1)
	v_fma_f64 v[46:47], v[46:47], v[128:129], v[46:47]
	v_fma_f64 v[128:129], -v[44:45], v[46:47], 1.0
	s_delay_alu instid0(VALU_DEP_1) | instskip(SKIP_1) | instid1(VALU_DEP_1)
	v_fma_f64 v[46:47], v[46:47], v[128:129], v[46:47]
	v_div_scale_f64 v[128:129], vcc_lo, 1.0, v[42:43], 1.0
	v_mul_f64 v[130:131], v[128:129], v[46:47]
	s_delay_alu instid0(VALU_DEP_1) | instskip(NEXT) | instid1(VALU_DEP_1)
	v_fma_f64 v[44:45], -v[44:45], v[130:131], v[128:129]
	v_div_fmas_f64 v[44:45], v[44:45], v[46:47], v[130:131]
	s_delay_alu instid0(VALU_DEP_1) | instskip(NEXT) | instid1(VALU_DEP_1)
	v_div_fixup_f64 v[128:129], v[44:45], v[42:43], 1.0
	v_mul_f64 v[130:131], v[40:41], -v[128:129]
.LBB62_303:
	s_or_b32 exec_lo, exec_lo, s2
.LBB62_304:
	s_delay_alu instid0(SALU_CYCLE_1) | instskip(NEXT) | instid1(SALU_CYCLE_1)
	s_or_b32 exec_lo, exec_lo, s3
	s_mov_b32 s2, exec_lo
	v_cmpx_ne_u32_e64 v162, v136
	s_xor_b32 s2, exec_lo, s2
	s_cbranch_execz .LBB62_310
; %bb.305:
	s_mov_b32 s3, exec_lo
	v_cmpx_eq_u32_e32 14, v162
	s_cbranch_execz .LBB62_309
; %bb.306:
	v_cmp_ne_u32_e32 vcc_lo, 14, v136
	s_xor_b32 s6, s4, -1
	s_delay_alu instid0(SALU_CYCLE_1) | instskip(NEXT) | instid1(SALU_CYCLE_1)
	s_and_b32 s7, s6, vcc_lo
	s_and_saveexec_b32 s6, s7
	s_cbranch_execz .LBB62_308
; %bb.307:
	v_ashrrev_i32_e32 v137, 31, v136
	s_delay_alu instid0(VALU_DEP_1) | instskip(NEXT) | instid1(VALU_DEP_1)
	v_lshlrev_b64 v[40:41], 2, v[136:137]
	v_add_co_u32 v40, vcc_lo, v118, v40
	s_delay_alu instid0(VALU_DEP_2)
	v_add_co_ci_u32_e32 v41, vcc_lo, v119, v41, vcc_lo
	s_clause 0x1
	flat_load_b32 v42, v[40:41]
	flat_load_b32 v43, v[118:119] offset:56
	s_waitcnt vmcnt(1) lgkmcnt(1)
	flat_store_b32 v[118:119], v42 offset:56
	s_waitcnt vmcnt(0) lgkmcnt(1)
	flat_store_b32 v[40:41], v43
.LBB62_308:
	s_or_b32 exec_lo, exec_lo, s6
	v_mov_b32_e32 v162, v136
	v_mov_b32_e32 v40, v136
	scratch_store_b32 off, v40, off         ; 4-byte Folded Spill
.LBB62_309:
	s_or_b32 exec_lo, exec_lo, s3
.LBB62_310:
	s_and_not1_saveexec_b32 s2, s2
	s_cbranch_execz .LBB62_312
; %bb.311:
	v_mov_b32_e32 v162, 14
	ds_store_2addr_b64 v160, v[72:73], v[74:75] offset0:30 offset1:31
	ds_store_2addr_b64 v160, v[68:69], v[70:71] offset0:32 offset1:33
	;; [unrolled: 1-line block ×17, first 2 shown]
.LBB62_312:
	s_or_b32 exec_lo, exec_lo, s2
	s_delay_alu instid0(SALU_CYCLE_1)
	s_mov_b32 s2, exec_lo
	s_waitcnt lgkmcnt(0)
	s_waitcnt_vscnt null, 0x0
	s_barrier
	buffer_gl0_inv
	v_cmpx_lt_i32_e32 14, v162
	s_cbranch_execz .LBB62_314
; %bb.313:
	v_mul_f64 v[40:41], v[130:131], v[82:83]
	s_delay_alu instid0(VALU_DEP_1) | instskip(SKIP_1) | instid1(VALU_DEP_1)
	v_fma_f64 v[136:137], v[128:129], v[80:81], -v[40:41]
	v_mul_f64 v[40:41], v[128:129], v[82:83]
	v_fma_f64 v[82:83], v[130:131], v[80:81], v[40:41]
	ds_load_2addr_b64 v[128:131], v160 offset0:30 offset1:31
	ds_load_2addr_b64 v[138:141], v160 offset0:32 offset1:33
	s_waitcnt lgkmcnt(1)
	v_mul_f64 v[40:41], v[130:131], v[82:83]
	v_mul_f64 v[42:43], v[128:129], v[82:83]
	s_waitcnt lgkmcnt(0)
	v_mul_f64 v[44:45], v[140:141], v[82:83]
	v_mul_f64 v[46:47], v[138:139], v[82:83]
	s_delay_alu instid0(VALU_DEP_4) | instskip(NEXT) | instid1(VALU_DEP_4)
	v_fma_f64 v[40:41], v[128:129], v[136:137], -v[40:41]
	v_fma_f64 v[42:43], v[130:131], v[136:137], v[42:43]
	s_delay_alu instid0(VALU_DEP_4) | instskip(NEXT) | instid1(VALU_DEP_4)
	v_fma_f64 v[44:45], v[138:139], v[136:137], -v[44:45]
	v_fma_f64 v[46:47], v[140:141], v[136:137], v[46:47]
	ds_load_2addr_b64 v[128:131], v160 offset0:34 offset1:35
	ds_load_2addr_b64 v[138:141], v160 offset0:36 offset1:37
	s_waitcnt lgkmcnt(1)
	v_mul_f64 v[80:81], v[130:131], v[82:83]
	v_add_f64 v[72:73], v[72:73], -v[40:41]
	v_add_f64 v[74:75], v[74:75], -v[42:43]
	;; [unrolled: 1-line block ×4, first 2 shown]
	v_fma_f64 v[80:81], v[128:129], v[136:137], -v[80:81]
	v_mul_f64 v[128:129], v[128:129], v[82:83]
	s_delay_alu instid0(VALU_DEP_2) | instskip(NEXT) | instid1(VALU_DEP_2)
	v_add_f64 v[64:65], v[64:65], -v[80:81]
	v_fma_f64 v[132:133], v[130:131], v[136:137], v[128:129]
	s_waitcnt lgkmcnt(0)
	v_mul_f64 v[128:129], v[140:141], v[82:83]
	v_dual_mov_b32 v80, v136 :: v_dual_mov_b32 v81, v137
	s_delay_alu instid0(VALU_DEP_3) | instskip(NEXT) | instid1(VALU_DEP_3)
	v_add_f64 v[66:67], v[66:67], -v[132:133]
	v_fma_f64 v[134:135], v[138:139], v[136:137], -v[128:129]
	v_mul_f64 v[128:129], v[138:139], v[82:83]
	s_delay_alu instid0(VALU_DEP_2) | instskip(NEXT) | instid1(VALU_DEP_2)
	v_add_f64 v[60:61], v[60:61], -v[134:135]
	v_fma_f64 v[142:143], v[140:141], v[136:137], v[128:129]
	ds_load_2addr_b64 v[128:131], v160 offset0:38 offset1:39
	ds_load_2addr_b64 v[138:141], v160 offset0:40 offset1:41
	s_waitcnt lgkmcnt(1)
	v_mul_f64 v[144:145], v[130:131], v[82:83]
	v_add_f64 v[62:63], v[62:63], -v[142:143]
	s_delay_alu instid0(VALU_DEP_2) | instskip(SKIP_1) | instid1(VALU_DEP_2)
	v_fma_f64 v[144:145], v[128:129], v[136:137], -v[144:145]
	v_mul_f64 v[128:129], v[128:129], v[82:83]
	v_add_f64 v[56:57], v[56:57], -v[144:145]
	s_delay_alu instid0(VALU_DEP_2) | instskip(SKIP_2) | instid1(VALU_DEP_2)
	v_fma_f64 v[146:147], v[130:131], v[136:137], v[128:129]
	s_waitcnt lgkmcnt(0)
	v_mul_f64 v[128:129], v[140:141], v[82:83]
	v_add_f64 v[58:59], v[58:59], -v[146:147]
	s_delay_alu instid0(VALU_DEP_2) | instskip(SKIP_1) | instid1(VALU_DEP_2)
	v_fma_f64 v[148:149], v[138:139], v[136:137], -v[128:129]
	v_mul_f64 v[128:129], v[138:139], v[82:83]
	v_add_f64 v[52:53], v[52:53], -v[148:149]
	s_delay_alu instid0(VALU_DEP_2)
	v_fma_f64 v[150:151], v[140:141], v[136:137], v[128:129]
	ds_load_2addr_b64 v[128:131], v160 offset0:42 offset1:43
	ds_load_2addr_b64 v[138:141], v160 offset0:44 offset1:45
	s_waitcnt lgkmcnt(1)
	v_mul_f64 v[152:153], v[130:131], v[82:83]
	v_add_f64 v[54:55], v[54:55], -v[150:151]
	s_delay_alu instid0(VALU_DEP_2) | instskip(SKIP_1) | instid1(VALU_DEP_2)
	v_fma_f64 v[152:153], v[128:129], v[136:137], -v[152:153]
	v_mul_f64 v[128:129], v[128:129], v[82:83]
	v_add_f64 v[48:49], v[48:49], -v[152:153]
	s_delay_alu instid0(VALU_DEP_2) | instskip(SKIP_2) | instid1(VALU_DEP_2)
	v_fma_f64 v[154:155], v[130:131], v[136:137], v[128:129]
	s_waitcnt lgkmcnt(0)
	v_mul_f64 v[128:129], v[140:141], v[82:83]
	v_add_f64 v[50:51], v[50:51], -v[154:155]
	s_delay_alu instid0(VALU_DEP_2) | instskip(SKIP_1) | instid1(VALU_DEP_2)
	v_fma_f64 v[163:164], v[138:139], v[136:137], -v[128:129]
	v_mul_f64 v[128:129], v[138:139], v[82:83]
	v_add_f64 v[36:37], v[36:37], -v[163:164]
	s_delay_alu instid0(VALU_DEP_2)
	;; [unrolled: 20-line block ×5, first 2 shown]
	v_fma_f64 v[189:190], v[140:141], v[136:137], v[128:129]
	ds_load_2addr_b64 v[128:131], v160 offset0:58 offset1:59
	ds_load_2addr_b64 v[138:141], v160 offset0:60 offset1:61
	s_waitcnt lgkmcnt(1)
	v_mul_f64 v[191:192], v[130:131], v[82:83]
	v_add_f64 v[14:15], v[14:15], -v[189:190]
	s_delay_alu instid0(VALU_DEP_2) | instskip(SKIP_1) | instid1(VALU_DEP_2)
	v_fma_f64 v[191:192], v[128:129], v[136:137], -v[191:192]
	v_mul_f64 v[128:129], v[128:129], v[82:83]
	v_add_f64 v[8:9], v[8:9], -v[191:192]
	s_delay_alu instid0(VALU_DEP_2) | instskip(SKIP_2) | instid1(VALU_DEP_2)
	v_fma_f64 v[193:194], v[130:131], v[136:137], v[128:129]
	s_waitcnt lgkmcnt(0)
	v_mul_f64 v[128:129], v[140:141], v[82:83]
	v_add_f64 v[10:11], v[10:11], -v[193:194]
	s_delay_alu instid0(VALU_DEP_2) | instskip(SKIP_1) | instid1(VALU_DEP_2)
	v_fma_f64 v[195:196], v[138:139], v[136:137], -v[128:129]
	v_mul_f64 v[128:129], v[138:139], v[82:83]
	v_add_f64 v[4:5], v[4:5], -v[195:196]
	s_delay_alu instid0(VALU_DEP_2) | instskip(SKIP_4) | instid1(VALU_DEP_2)
	v_fma_f64 v[138:139], v[140:141], v[136:137], v[128:129]
	ds_load_2addr_b64 v[128:131], v160 offset0:62 offset1:63
	s_waitcnt lgkmcnt(0)
	v_mul_f64 v[140:141], v[130:131], v[82:83]
	v_add_f64 v[6:7], v[6:7], -v[138:139]
	v_fma_f64 v[140:141], v[128:129], v[136:137], -v[140:141]
	v_mul_f64 v[128:129], v[128:129], v[82:83]
	s_delay_alu instid0(VALU_DEP_2) | instskip(NEXT) | instid1(VALU_DEP_2)
	v_add_f64 v[0:1], v[0:1], -v[140:141]
	v_fma_f64 v[128:129], v[130:131], v[136:137], v[128:129]
	s_delay_alu instid0(VALU_DEP_1)
	v_add_f64 v[2:3], v[2:3], -v[128:129]
.LBB62_314:
	s_or_b32 exec_lo, exec_lo, s2
	v_lshl_add_u32 v40, v162, 4, v160
	s_barrier
	buffer_gl0_inv
	v_mov_b32_e32 v136, 15
	ds_store_2addr_b64 v40, v[72:73], v[74:75] offset1:1
	s_waitcnt lgkmcnt(0)
	s_barrier
	buffer_gl0_inv
	ds_load_2addr_b64 v[128:131], v160 offset0:30 offset1:31
	s_cmp_lt_i32 s5, 17
	s_cbranch_scc1 .LBB62_317
; %bb.315:
	v_add3_u32 v137, v156, 0, 0x100
	v_mov_b32_e32 v136, 15
	s_mov_b32 s6, 16
	s_set_inst_prefetch_distance 0x1
	.p2align	6
.LBB62_316:                             ; =>This Inner Loop Header: Depth=1
	ds_load_2addr_b64 v[138:141], v137 offset1:1
	s_waitcnt lgkmcnt(1)
	v_cmp_gt_f64_e32 vcc_lo, 0, v[128:129]
	v_xor_b32_e32 v40, 0x80000000, v129
	v_cmp_gt_f64_e64 s2, 0, v[130:131]
	v_xor_b32_e32 v42, 0x80000000, v131
	v_add_nc_u32_e32 v137, 16, v137
	s_waitcnt lgkmcnt(0)
	v_cmp_gt_f64_e64 s3, 0, v[138:139]
	v_mov_b32_e32 v44, v138
	v_dual_mov_b32 v46, v140 :: v_dual_cndmask_b32 v41, v129, v40
	v_xor_b32_e32 v40, 0x80000000, v139
	v_cndmask_b32_e64 v43, v131, v42, s2
	v_xor_b32_e32 v42, 0x80000000, v141
	s_delay_alu instid0(VALU_DEP_3) | instskip(SKIP_2) | instid1(VALU_DEP_2)
	v_cndmask_b32_e64 v45, v139, v40, s3
	v_cmp_gt_f64_e64 s3, 0, v[140:141]
	v_cndmask_b32_e32 v40, v128, v128, vcc_lo
	v_cndmask_b32_e64 v47, v141, v42, s3
	v_cndmask_b32_e64 v42, v130, v130, s2
	s_delay_alu instid0(VALU_DEP_2) | instskip(NEXT) | instid1(VALU_DEP_2)
	v_add_f64 v[44:45], v[44:45], v[46:47]
	v_add_f64 v[40:41], v[40:41], v[42:43]
	s_delay_alu instid0(VALU_DEP_1)
	v_cmp_lt_f64_e32 vcc_lo, v[40:41], v[44:45]
	v_cndmask_b32_e32 v131, v131, v141, vcc_lo
	v_dual_cndmask_b32 v129, v129, v139 :: v_dual_cndmask_b32 v128, v128, v138
	v_cndmask_b32_e32 v130, v130, v140, vcc_lo
	v_cndmask_b32_e64 v136, v136, s6, vcc_lo
	s_add_i32 s6, s6, 1
	s_delay_alu instid0(SALU_CYCLE_1)
	s_cmp_lg_u32 s5, s6
	s_cbranch_scc1 .LBB62_316
.LBB62_317:
	s_set_inst_prefetch_distance 0x2
	s_waitcnt lgkmcnt(0)
	v_cmp_eq_f64_e32 vcc_lo, 0, v[128:129]
	v_cmp_eq_f64_e64 s2, 0, v[130:131]
	s_delay_alu instid0(VALU_DEP_1) | instskip(NEXT) | instid1(SALU_CYCLE_1)
	s_and_b32 s2, vcc_lo, s2
	s_and_saveexec_b32 s3, s2
	s_delay_alu instid0(SALU_CYCLE_1)
	s_xor_b32 s2, exec_lo, s3
; %bb.318:
	v_cmp_ne_u32_e32 vcc_lo, 0, v255
	v_cndmask_b32_e32 v255, 16, v255, vcc_lo
; %bb.319:
	s_and_not1_saveexec_b32 s3, s2
	s_cbranch_execz .LBB62_325
; %bb.320:
	v_cmp_gt_f64_e32 vcc_lo, 0, v[128:129]
	v_cmp_gt_f64_e64 s2, 0, v[130:131]
	v_xor_b32_e32 v40, 0x80000000, v129
	v_xor_b32_e32 v42, 0x80000000, v131
	s_delay_alu instid0(VALU_DEP_2) | instskip(NEXT) | instid1(VALU_DEP_2)
	v_cndmask_b32_e32 v41, v129, v40, vcc_lo
	v_cndmask_b32_e64 v43, v131, v42, s2
	v_cndmask_b32_e32 v40, v128, v128, vcc_lo
	v_cndmask_b32_e64 v42, v130, v130, s2
	s_mov_b32 s2, exec_lo
	s_delay_alu instid0(VALU_DEP_1)
	v_cmpx_ngt_f64_e32 v[40:41], v[42:43]
	s_xor_b32 s2, exec_lo, s2
	s_cbranch_execz .LBB62_322
; %bb.321:
	v_div_scale_f64 v[40:41], null, v[130:131], v[130:131], v[128:129]
	v_div_scale_f64 v[46:47], vcc_lo, v[128:129], v[130:131], v[128:129]
	s_delay_alu instid0(VALU_DEP_2) | instskip(SKIP_2) | instid1(VALU_DEP_1)
	v_rcp_f64_e32 v[42:43], v[40:41]
	s_waitcnt_depctr 0xfff
	v_fma_f64 v[44:45], -v[40:41], v[42:43], 1.0
	v_fma_f64 v[42:43], v[42:43], v[44:45], v[42:43]
	s_delay_alu instid0(VALU_DEP_1) | instskip(NEXT) | instid1(VALU_DEP_1)
	v_fma_f64 v[44:45], -v[40:41], v[42:43], 1.0
	v_fma_f64 v[42:43], v[42:43], v[44:45], v[42:43]
	s_delay_alu instid0(VALU_DEP_1) | instskip(NEXT) | instid1(VALU_DEP_1)
	v_mul_f64 v[44:45], v[46:47], v[42:43]
	v_fma_f64 v[40:41], -v[40:41], v[44:45], v[46:47]
	s_delay_alu instid0(VALU_DEP_1) | instskip(NEXT) | instid1(VALU_DEP_1)
	v_div_fmas_f64 v[40:41], v[40:41], v[42:43], v[44:45]
	v_div_fixup_f64 v[40:41], v[40:41], v[130:131], v[128:129]
	s_delay_alu instid0(VALU_DEP_1) | instskip(NEXT) | instid1(VALU_DEP_1)
	v_fma_f64 v[42:43], v[128:129], v[40:41], v[130:131]
	v_div_scale_f64 v[44:45], null, v[42:43], v[42:43], 1.0
	s_delay_alu instid0(VALU_DEP_1) | instskip(SKIP_2) | instid1(VALU_DEP_1)
	v_rcp_f64_e32 v[46:47], v[44:45]
	s_waitcnt_depctr 0xfff
	v_fma_f64 v[128:129], -v[44:45], v[46:47], 1.0
	v_fma_f64 v[46:47], v[46:47], v[128:129], v[46:47]
	s_delay_alu instid0(VALU_DEP_1) | instskip(NEXT) | instid1(VALU_DEP_1)
	v_fma_f64 v[128:129], -v[44:45], v[46:47], 1.0
	v_fma_f64 v[46:47], v[46:47], v[128:129], v[46:47]
	v_div_scale_f64 v[128:129], vcc_lo, 1.0, v[42:43], 1.0
	s_delay_alu instid0(VALU_DEP_1) | instskip(NEXT) | instid1(VALU_DEP_1)
	v_mul_f64 v[130:131], v[128:129], v[46:47]
	v_fma_f64 v[44:45], -v[44:45], v[130:131], v[128:129]
	s_delay_alu instid0(VALU_DEP_1) | instskip(NEXT) | instid1(VALU_DEP_1)
	v_div_fmas_f64 v[44:45], v[44:45], v[46:47], v[130:131]
	v_div_fixup_f64 v[130:131], v[44:45], v[42:43], 1.0
	s_delay_alu instid0(VALU_DEP_1)
	v_mul_f64 v[128:129], v[40:41], v[130:131]
	v_xor_b32_e32 v131, 0x80000000, v131
.LBB62_322:
	s_and_not1_saveexec_b32 s2, s2
	s_cbranch_execz .LBB62_324
; %bb.323:
	s_delay_alu instid0(VALU_DEP_1) | instskip(SKIP_1) | instid1(VALU_DEP_2)
	v_div_scale_f64 v[40:41], null, v[128:129], v[128:129], v[130:131]
	v_div_scale_f64 v[46:47], vcc_lo, v[130:131], v[128:129], v[130:131]
	v_rcp_f64_e32 v[42:43], v[40:41]
	s_waitcnt_depctr 0xfff
	v_fma_f64 v[44:45], -v[40:41], v[42:43], 1.0
	s_delay_alu instid0(VALU_DEP_1) | instskip(NEXT) | instid1(VALU_DEP_1)
	v_fma_f64 v[42:43], v[42:43], v[44:45], v[42:43]
	v_fma_f64 v[44:45], -v[40:41], v[42:43], 1.0
	s_delay_alu instid0(VALU_DEP_1) | instskip(NEXT) | instid1(VALU_DEP_1)
	v_fma_f64 v[42:43], v[42:43], v[44:45], v[42:43]
	v_mul_f64 v[44:45], v[46:47], v[42:43]
	s_delay_alu instid0(VALU_DEP_1) | instskip(NEXT) | instid1(VALU_DEP_1)
	v_fma_f64 v[40:41], -v[40:41], v[44:45], v[46:47]
	v_div_fmas_f64 v[40:41], v[40:41], v[42:43], v[44:45]
	s_delay_alu instid0(VALU_DEP_1) | instskip(NEXT) | instid1(VALU_DEP_1)
	v_div_fixup_f64 v[40:41], v[40:41], v[128:129], v[130:131]
	v_fma_f64 v[42:43], v[130:131], v[40:41], v[128:129]
	s_delay_alu instid0(VALU_DEP_1) | instskip(NEXT) | instid1(VALU_DEP_1)
	v_div_scale_f64 v[44:45], null, v[42:43], v[42:43], 1.0
	v_rcp_f64_e32 v[46:47], v[44:45]
	s_waitcnt_depctr 0xfff
	v_fma_f64 v[128:129], -v[44:45], v[46:47], 1.0
	s_delay_alu instid0(VALU_DEP_1) | instskip(NEXT) | instid1(VALU_DEP_1)
	v_fma_f64 v[46:47], v[46:47], v[128:129], v[46:47]
	v_fma_f64 v[128:129], -v[44:45], v[46:47], 1.0
	s_delay_alu instid0(VALU_DEP_1) | instskip(SKIP_1) | instid1(VALU_DEP_1)
	v_fma_f64 v[46:47], v[46:47], v[128:129], v[46:47]
	v_div_scale_f64 v[128:129], vcc_lo, 1.0, v[42:43], 1.0
	v_mul_f64 v[130:131], v[128:129], v[46:47]
	s_delay_alu instid0(VALU_DEP_1) | instskip(NEXT) | instid1(VALU_DEP_1)
	v_fma_f64 v[44:45], -v[44:45], v[130:131], v[128:129]
	v_div_fmas_f64 v[44:45], v[44:45], v[46:47], v[130:131]
	s_delay_alu instid0(VALU_DEP_1) | instskip(NEXT) | instid1(VALU_DEP_1)
	v_div_fixup_f64 v[128:129], v[44:45], v[42:43], 1.0
	v_mul_f64 v[130:131], v[40:41], -v[128:129]
.LBB62_324:
	s_or_b32 exec_lo, exec_lo, s2
.LBB62_325:
	s_delay_alu instid0(SALU_CYCLE_1) | instskip(NEXT) | instid1(SALU_CYCLE_1)
	s_or_b32 exec_lo, exec_lo, s3
	s_mov_b32 s2, exec_lo
	v_cmpx_ne_u32_e64 v162, v136
	s_xor_b32 s2, exec_lo, s2
	s_cbranch_execz .LBB62_331
; %bb.326:
	s_mov_b32 s3, exec_lo
	v_cmpx_eq_u32_e32 15, v162
	s_cbranch_execz .LBB62_330
; %bb.327:
	v_cmp_ne_u32_e32 vcc_lo, 15, v136
	s_xor_b32 s6, s4, -1
	s_delay_alu instid0(SALU_CYCLE_1) | instskip(NEXT) | instid1(SALU_CYCLE_1)
	s_and_b32 s7, s6, vcc_lo
	s_and_saveexec_b32 s6, s7
	s_cbranch_execz .LBB62_329
; %bb.328:
	v_ashrrev_i32_e32 v137, 31, v136
	s_delay_alu instid0(VALU_DEP_1) | instskip(NEXT) | instid1(VALU_DEP_1)
	v_lshlrev_b64 v[40:41], 2, v[136:137]
	v_add_co_u32 v40, vcc_lo, v118, v40
	s_delay_alu instid0(VALU_DEP_2)
	v_add_co_ci_u32_e32 v41, vcc_lo, v119, v41, vcc_lo
	s_clause 0x1
	flat_load_b32 v42, v[40:41]
	flat_load_b32 v43, v[118:119] offset:60
	s_waitcnt vmcnt(1) lgkmcnt(1)
	flat_store_b32 v[118:119], v42 offset:60
	s_waitcnt vmcnt(0) lgkmcnt(1)
	flat_store_b32 v[40:41], v43
.LBB62_329:
	s_or_b32 exec_lo, exec_lo, s6
	v_mov_b32_e32 v162, v136
	v_mov_b32_e32 v40, v136
	scratch_store_b32 off, v40, off         ; 4-byte Folded Spill
.LBB62_330:
	s_or_b32 exec_lo, exec_lo, s3
.LBB62_331:
	s_and_not1_saveexec_b32 s2, s2
	s_cbranch_execz .LBB62_333
; %bb.332:
	v_mov_b32_e32 v162, 15
	ds_store_2addr_b64 v160, v[68:69], v[70:71] offset0:32 offset1:33
	ds_store_2addr_b64 v160, v[64:65], v[66:67] offset0:34 offset1:35
	;; [unrolled: 1-line block ×16, first 2 shown]
.LBB62_333:
	s_or_b32 exec_lo, exec_lo, s2
	s_delay_alu instid0(SALU_CYCLE_1)
	s_mov_b32 s2, exec_lo
	s_waitcnt lgkmcnt(0)
	s_waitcnt_vscnt null, 0x0
	s_barrier
	buffer_gl0_inv
	v_cmpx_lt_i32_e32 15, v162
	s_cbranch_execz .LBB62_335
; %bb.334:
	v_mul_f64 v[40:41], v[128:129], v[74:75]
	s_delay_alu instid0(VALU_DEP_1) | instskip(SKIP_1) | instid1(VALU_DEP_1)
	v_fma_f64 v[136:137], v[130:131], v[72:73], v[40:41]
	v_mul_f64 v[40:41], v[130:131], v[74:75]
	v_fma_f64 v[72:73], v[128:129], v[72:73], -v[40:41]
	ds_load_2addr_b64 v[128:131], v160 offset0:32 offset1:33
	ds_load_2addr_b64 v[138:141], v160 offset0:34 offset1:35
	s_waitcnt lgkmcnt(1)
	v_mul_f64 v[40:41], v[130:131], v[136:137]
	v_mul_f64 v[42:43], v[128:129], v[136:137]
	s_waitcnt lgkmcnt(0)
	v_mul_f64 v[44:45], v[140:141], v[136:137]
	v_mul_f64 v[46:47], v[138:139], v[136:137]
	s_delay_alu instid0(VALU_DEP_4) | instskip(NEXT) | instid1(VALU_DEP_4)
	v_fma_f64 v[40:41], v[128:129], v[72:73], -v[40:41]
	v_fma_f64 v[42:43], v[130:131], v[72:73], v[42:43]
	s_delay_alu instid0(VALU_DEP_4) | instskip(NEXT) | instid1(VALU_DEP_4)
	v_fma_f64 v[44:45], v[138:139], v[72:73], -v[44:45]
	v_fma_f64 v[46:47], v[140:141], v[72:73], v[46:47]
	ds_load_2addr_b64 v[128:131], v160 offset0:36 offset1:37
	ds_load_2addr_b64 v[138:141], v160 offset0:38 offset1:39
	s_waitcnt lgkmcnt(1)
	v_mul_f64 v[74:75], v[130:131], v[136:137]
	v_add_f64 v[68:69], v[68:69], -v[40:41]
	v_add_f64 v[70:71], v[70:71], -v[42:43]
	;; [unrolled: 1-line block ×4, first 2 shown]
	v_fma_f64 v[74:75], v[128:129], v[72:73], -v[74:75]
	v_mul_f64 v[128:129], v[128:129], v[136:137]
	s_delay_alu instid0(VALU_DEP_2) | instskip(NEXT) | instid1(VALU_DEP_2)
	v_add_f64 v[60:61], v[60:61], -v[74:75]
	v_fma_f64 v[132:133], v[130:131], v[72:73], v[128:129]
	s_waitcnt lgkmcnt(0)
	v_mul_f64 v[128:129], v[140:141], v[136:137]
	v_dual_mov_b32 v74, v136 :: v_dual_mov_b32 v75, v137
	s_delay_alu instid0(VALU_DEP_3) | instskip(NEXT) | instid1(VALU_DEP_3)
	v_add_f64 v[62:63], v[62:63], -v[132:133]
	v_fma_f64 v[134:135], v[138:139], v[72:73], -v[128:129]
	v_mul_f64 v[128:129], v[138:139], v[136:137]
	s_delay_alu instid0(VALU_DEP_2) | instskip(NEXT) | instid1(VALU_DEP_2)
	v_add_f64 v[56:57], v[56:57], -v[134:135]
	v_fma_f64 v[142:143], v[140:141], v[72:73], v[128:129]
	ds_load_2addr_b64 v[128:131], v160 offset0:40 offset1:41
	ds_load_2addr_b64 v[138:141], v160 offset0:42 offset1:43
	s_waitcnt lgkmcnt(1)
	v_mul_f64 v[144:145], v[130:131], v[136:137]
	v_add_f64 v[58:59], v[58:59], -v[142:143]
	s_delay_alu instid0(VALU_DEP_2) | instskip(SKIP_1) | instid1(VALU_DEP_2)
	v_fma_f64 v[144:145], v[128:129], v[72:73], -v[144:145]
	v_mul_f64 v[128:129], v[128:129], v[136:137]
	v_add_f64 v[52:53], v[52:53], -v[144:145]
	s_delay_alu instid0(VALU_DEP_2) | instskip(SKIP_2) | instid1(VALU_DEP_2)
	v_fma_f64 v[146:147], v[130:131], v[72:73], v[128:129]
	s_waitcnt lgkmcnt(0)
	v_mul_f64 v[128:129], v[140:141], v[136:137]
	v_add_f64 v[54:55], v[54:55], -v[146:147]
	s_delay_alu instid0(VALU_DEP_2) | instskip(SKIP_1) | instid1(VALU_DEP_2)
	v_fma_f64 v[148:149], v[138:139], v[72:73], -v[128:129]
	v_mul_f64 v[128:129], v[138:139], v[136:137]
	v_add_f64 v[48:49], v[48:49], -v[148:149]
	s_delay_alu instid0(VALU_DEP_2)
	v_fma_f64 v[150:151], v[140:141], v[72:73], v[128:129]
	ds_load_2addr_b64 v[128:131], v160 offset0:44 offset1:45
	ds_load_2addr_b64 v[138:141], v160 offset0:46 offset1:47
	s_waitcnt lgkmcnt(1)
	v_mul_f64 v[152:153], v[130:131], v[136:137]
	v_add_f64 v[50:51], v[50:51], -v[150:151]
	s_delay_alu instid0(VALU_DEP_2) | instskip(SKIP_1) | instid1(VALU_DEP_2)
	v_fma_f64 v[152:153], v[128:129], v[72:73], -v[152:153]
	v_mul_f64 v[128:129], v[128:129], v[136:137]
	v_add_f64 v[36:37], v[36:37], -v[152:153]
	s_delay_alu instid0(VALU_DEP_2) | instskip(SKIP_2) | instid1(VALU_DEP_2)
	v_fma_f64 v[154:155], v[130:131], v[72:73], v[128:129]
	s_waitcnt lgkmcnt(0)
	v_mul_f64 v[128:129], v[140:141], v[136:137]
	v_add_f64 v[38:39], v[38:39], -v[154:155]
	s_delay_alu instid0(VALU_DEP_2) | instskip(SKIP_1) | instid1(VALU_DEP_2)
	v_fma_f64 v[163:164], v[138:139], v[72:73], -v[128:129]
	v_mul_f64 v[128:129], v[138:139], v[136:137]
	v_add_f64 v[32:33], v[32:33], -v[163:164]
	s_delay_alu instid0(VALU_DEP_2)
	v_fma_f64 v[165:166], v[140:141], v[72:73], v[128:129]
	ds_load_2addr_b64 v[128:131], v160 offset0:48 offset1:49
	ds_load_2addr_b64 v[138:141], v160 offset0:50 offset1:51
	s_waitcnt lgkmcnt(1)
	v_mul_f64 v[167:168], v[130:131], v[136:137]
	v_add_f64 v[34:35], v[34:35], -v[165:166]
	s_delay_alu instid0(VALU_DEP_2) | instskip(SKIP_1) | instid1(VALU_DEP_2)
	v_fma_f64 v[167:168], v[128:129], v[72:73], -v[167:168]
	v_mul_f64 v[128:129], v[128:129], v[136:137]
	v_add_f64 v[28:29], v[28:29], -v[167:168]
	s_delay_alu instid0(VALU_DEP_2) | instskip(SKIP_2) | instid1(VALU_DEP_2)
	v_fma_f64 v[169:170], v[130:131], v[72:73], v[128:129]
	s_waitcnt lgkmcnt(0)
	v_mul_f64 v[128:129], v[140:141], v[136:137]
	v_add_f64 v[30:31], v[30:31], -v[169:170]
	s_delay_alu instid0(VALU_DEP_2) | instskip(SKIP_1) | instid1(VALU_DEP_2)
	v_fma_f64 v[171:172], v[138:139], v[72:73], -v[128:129]
	v_mul_f64 v[128:129], v[138:139], v[136:137]
	v_add_f64 v[24:25], v[24:25], -v[171:172]
	s_delay_alu instid0(VALU_DEP_2)
	v_fma_f64 v[173:174], v[140:141], v[72:73], v[128:129]
	ds_load_2addr_b64 v[128:131], v160 offset0:52 offset1:53
	ds_load_2addr_b64 v[138:141], v160 offset0:54 offset1:55
	s_waitcnt lgkmcnt(1)
	v_mul_f64 v[175:176], v[130:131], v[136:137]
	v_add_f64 v[26:27], v[26:27], -v[173:174]
	s_delay_alu instid0(VALU_DEP_2) | instskip(SKIP_1) | instid1(VALU_DEP_2)
	v_fma_f64 v[175:176], v[128:129], v[72:73], -v[175:176]
	v_mul_f64 v[128:129], v[128:129], v[136:137]
	v_add_f64 v[20:21], v[20:21], -v[175:176]
	s_delay_alu instid0(VALU_DEP_2) | instskip(SKIP_2) | instid1(VALU_DEP_2)
	v_fma_f64 v[177:178], v[130:131], v[72:73], v[128:129]
	s_waitcnt lgkmcnt(0)
	v_mul_f64 v[128:129], v[140:141], v[136:137]
	v_add_f64 v[22:23], v[22:23], -v[177:178]
	s_delay_alu instid0(VALU_DEP_2) | instskip(SKIP_1) | instid1(VALU_DEP_2)
	v_fma_f64 v[179:180], v[138:139], v[72:73], -v[128:129]
	v_mul_f64 v[128:129], v[138:139], v[136:137]
	v_add_f64 v[16:17], v[16:17], -v[179:180]
	s_delay_alu instid0(VALU_DEP_2)
	v_fma_f64 v[181:182], v[140:141], v[72:73], v[128:129]
	ds_load_2addr_b64 v[128:131], v160 offset0:56 offset1:57
	ds_load_2addr_b64 v[138:141], v160 offset0:58 offset1:59
	s_waitcnt lgkmcnt(1)
	v_mul_f64 v[183:184], v[130:131], v[136:137]
	v_add_f64 v[18:19], v[18:19], -v[181:182]
	s_delay_alu instid0(VALU_DEP_2) | instskip(SKIP_1) | instid1(VALU_DEP_2)
	v_fma_f64 v[183:184], v[128:129], v[72:73], -v[183:184]
	v_mul_f64 v[128:129], v[128:129], v[136:137]
	v_add_f64 v[12:13], v[12:13], -v[183:184]
	s_delay_alu instid0(VALU_DEP_2) | instskip(SKIP_2) | instid1(VALU_DEP_2)
	v_fma_f64 v[185:186], v[130:131], v[72:73], v[128:129]
	s_waitcnt lgkmcnt(0)
	v_mul_f64 v[128:129], v[140:141], v[136:137]
	v_add_f64 v[14:15], v[14:15], -v[185:186]
	s_delay_alu instid0(VALU_DEP_2) | instskip(SKIP_1) | instid1(VALU_DEP_2)
	v_fma_f64 v[187:188], v[138:139], v[72:73], -v[128:129]
	v_mul_f64 v[128:129], v[138:139], v[136:137]
	v_add_f64 v[8:9], v[8:9], -v[187:188]
	s_delay_alu instid0(VALU_DEP_2)
	v_fma_f64 v[189:190], v[140:141], v[72:73], v[128:129]
	ds_load_2addr_b64 v[128:131], v160 offset0:60 offset1:61
	ds_load_2addr_b64 v[138:141], v160 offset0:62 offset1:63
	s_waitcnt lgkmcnt(1)
	v_mul_f64 v[191:192], v[130:131], v[136:137]
	v_add_f64 v[10:11], v[10:11], -v[189:190]
	s_delay_alu instid0(VALU_DEP_2) | instskip(SKIP_1) | instid1(VALU_DEP_2)
	v_fma_f64 v[191:192], v[128:129], v[72:73], -v[191:192]
	v_mul_f64 v[128:129], v[128:129], v[136:137]
	v_add_f64 v[4:5], v[4:5], -v[191:192]
	s_delay_alu instid0(VALU_DEP_2) | instskip(SKIP_2) | instid1(VALU_DEP_2)
	v_fma_f64 v[128:129], v[130:131], v[72:73], v[128:129]
	s_waitcnt lgkmcnt(0)
	v_mul_f64 v[130:131], v[140:141], v[136:137]
	v_add_f64 v[6:7], v[6:7], -v[128:129]
	s_delay_alu instid0(VALU_DEP_2) | instskip(SKIP_1) | instid1(VALU_DEP_2)
	v_fma_f64 v[130:131], v[138:139], v[72:73], -v[130:131]
	v_mul_f64 v[138:139], v[138:139], v[136:137]
	v_add_f64 v[0:1], v[0:1], -v[130:131]
	s_delay_alu instid0(VALU_DEP_2) | instskip(NEXT) | instid1(VALU_DEP_1)
	v_fma_f64 v[138:139], v[140:141], v[72:73], v[138:139]
	v_add_f64 v[2:3], v[2:3], -v[138:139]
.LBB62_335:
	s_or_b32 exec_lo, exec_lo, s2
	v_lshl_add_u32 v40, v162, 4, v160
	s_barrier
	buffer_gl0_inv
	v_mov_b32_e32 v136, 16
	ds_store_2addr_b64 v40, v[68:69], v[70:71] offset1:1
	s_waitcnt lgkmcnt(0)
	s_barrier
	buffer_gl0_inv
	ds_load_2addr_b64 v[128:131], v160 offset0:32 offset1:33
	s_cmp_lt_i32 s5, 18
	s_cbranch_scc1 .LBB62_338
; %bb.336:
	v_add3_u32 v137, v156, 0, 0x110
	v_mov_b32_e32 v136, 16
	s_mov_b32 s6, 17
	s_set_inst_prefetch_distance 0x1
	.p2align	6
.LBB62_337:                             ; =>This Inner Loop Header: Depth=1
	ds_load_2addr_b64 v[138:141], v137 offset1:1
	s_waitcnt lgkmcnt(1)
	v_cmp_gt_f64_e32 vcc_lo, 0, v[128:129]
	v_xor_b32_e32 v40, 0x80000000, v129
	v_cmp_gt_f64_e64 s2, 0, v[130:131]
	v_xor_b32_e32 v42, 0x80000000, v131
	v_add_nc_u32_e32 v137, 16, v137
	s_waitcnt lgkmcnt(0)
	v_cmp_gt_f64_e64 s3, 0, v[138:139]
	v_mov_b32_e32 v44, v138
	v_dual_mov_b32 v46, v140 :: v_dual_cndmask_b32 v41, v129, v40
	v_xor_b32_e32 v40, 0x80000000, v139
	v_cndmask_b32_e64 v43, v131, v42, s2
	v_xor_b32_e32 v42, 0x80000000, v141
	s_delay_alu instid0(VALU_DEP_3) | instskip(SKIP_2) | instid1(VALU_DEP_2)
	v_cndmask_b32_e64 v45, v139, v40, s3
	v_cmp_gt_f64_e64 s3, 0, v[140:141]
	v_cndmask_b32_e32 v40, v128, v128, vcc_lo
	v_cndmask_b32_e64 v47, v141, v42, s3
	v_cndmask_b32_e64 v42, v130, v130, s2
	s_delay_alu instid0(VALU_DEP_2) | instskip(NEXT) | instid1(VALU_DEP_2)
	v_add_f64 v[44:45], v[44:45], v[46:47]
	v_add_f64 v[40:41], v[40:41], v[42:43]
	s_delay_alu instid0(VALU_DEP_1)
	v_cmp_lt_f64_e32 vcc_lo, v[40:41], v[44:45]
	v_cndmask_b32_e32 v131, v131, v141, vcc_lo
	v_dual_cndmask_b32 v129, v129, v139 :: v_dual_cndmask_b32 v128, v128, v138
	v_cndmask_b32_e32 v130, v130, v140, vcc_lo
	v_cndmask_b32_e64 v136, v136, s6, vcc_lo
	s_add_i32 s6, s6, 1
	s_delay_alu instid0(SALU_CYCLE_1)
	s_cmp_lg_u32 s5, s6
	s_cbranch_scc1 .LBB62_337
.LBB62_338:
	s_set_inst_prefetch_distance 0x2
	s_waitcnt lgkmcnt(0)
	v_cmp_eq_f64_e32 vcc_lo, 0, v[128:129]
	v_cmp_eq_f64_e64 s2, 0, v[130:131]
	s_delay_alu instid0(VALU_DEP_1) | instskip(NEXT) | instid1(SALU_CYCLE_1)
	s_and_b32 s2, vcc_lo, s2
	s_and_saveexec_b32 s3, s2
	s_delay_alu instid0(SALU_CYCLE_1)
	s_xor_b32 s2, exec_lo, s3
; %bb.339:
	v_cmp_ne_u32_e32 vcc_lo, 0, v255
	v_cndmask_b32_e32 v255, 17, v255, vcc_lo
; %bb.340:
	s_and_not1_saveexec_b32 s3, s2
	s_cbranch_execz .LBB62_346
; %bb.341:
	v_cmp_gt_f64_e32 vcc_lo, 0, v[128:129]
	v_cmp_gt_f64_e64 s2, 0, v[130:131]
	v_xor_b32_e32 v40, 0x80000000, v129
	v_xor_b32_e32 v42, 0x80000000, v131
	s_delay_alu instid0(VALU_DEP_2) | instskip(NEXT) | instid1(VALU_DEP_2)
	v_cndmask_b32_e32 v41, v129, v40, vcc_lo
	v_cndmask_b32_e64 v43, v131, v42, s2
	v_cndmask_b32_e32 v40, v128, v128, vcc_lo
	v_cndmask_b32_e64 v42, v130, v130, s2
	s_mov_b32 s2, exec_lo
	s_delay_alu instid0(VALU_DEP_1)
	v_cmpx_ngt_f64_e32 v[40:41], v[42:43]
	s_xor_b32 s2, exec_lo, s2
	s_cbranch_execz .LBB62_343
; %bb.342:
	v_div_scale_f64 v[40:41], null, v[130:131], v[130:131], v[128:129]
	v_div_scale_f64 v[46:47], vcc_lo, v[128:129], v[130:131], v[128:129]
	s_delay_alu instid0(VALU_DEP_2) | instskip(SKIP_2) | instid1(VALU_DEP_1)
	v_rcp_f64_e32 v[42:43], v[40:41]
	s_waitcnt_depctr 0xfff
	v_fma_f64 v[44:45], -v[40:41], v[42:43], 1.0
	v_fma_f64 v[42:43], v[42:43], v[44:45], v[42:43]
	s_delay_alu instid0(VALU_DEP_1) | instskip(NEXT) | instid1(VALU_DEP_1)
	v_fma_f64 v[44:45], -v[40:41], v[42:43], 1.0
	v_fma_f64 v[42:43], v[42:43], v[44:45], v[42:43]
	s_delay_alu instid0(VALU_DEP_1) | instskip(NEXT) | instid1(VALU_DEP_1)
	v_mul_f64 v[44:45], v[46:47], v[42:43]
	v_fma_f64 v[40:41], -v[40:41], v[44:45], v[46:47]
	s_delay_alu instid0(VALU_DEP_1) | instskip(NEXT) | instid1(VALU_DEP_1)
	v_div_fmas_f64 v[40:41], v[40:41], v[42:43], v[44:45]
	v_div_fixup_f64 v[40:41], v[40:41], v[130:131], v[128:129]
	s_delay_alu instid0(VALU_DEP_1) | instskip(NEXT) | instid1(VALU_DEP_1)
	v_fma_f64 v[42:43], v[128:129], v[40:41], v[130:131]
	v_div_scale_f64 v[44:45], null, v[42:43], v[42:43], 1.0
	s_delay_alu instid0(VALU_DEP_1) | instskip(SKIP_2) | instid1(VALU_DEP_1)
	v_rcp_f64_e32 v[46:47], v[44:45]
	s_waitcnt_depctr 0xfff
	v_fma_f64 v[128:129], -v[44:45], v[46:47], 1.0
	v_fma_f64 v[46:47], v[46:47], v[128:129], v[46:47]
	s_delay_alu instid0(VALU_DEP_1) | instskip(NEXT) | instid1(VALU_DEP_1)
	v_fma_f64 v[128:129], -v[44:45], v[46:47], 1.0
	v_fma_f64 v[46:47], v[46:47], v[128:129], v[46:47]
	v_div_scale_f64 v[128:129], vcc_lo, 1.0, v[42:43], 1.0
	s_delay_alu instid0(VALU_DEP_1) | instskip(NEXT) | instid1(VALU_DEP_1)
	v_mul_f64 v[130:131], v[128:129], v[46:47]
	v_fma_f64 v[44:45], -v[44:45], v[130:131], v[128:129]
	s_delay_alu instid0(VALU_DEP_1) | instskip(NEXT) | instid1(VALU_DEP_1)
	v_div_fmas_f64 v[44:45], v[44:45], v[46:47], v[130:131]
	v_div_fixup_f64 v[130:131], v[44:45], v[42:43], 1.0
	s_delay_alu instid0(VALU_DEP_1)
	v_mul_f64 v[128:129], v[40:41], v[130:131]
	v_xor_b32_e32 v131, 0x80000000, v131
.LBB62_343:
	s_and_not1_saveexec_b32 s2, s2
	s_cbranch_execz .LBB62_345
; %bb.344:
	s_delay_alu instid0(VALU_DEP_1) | instskip(SKIP_1) | instid1(VALU_DEP_2)
	v_div_scale_f64 v[40:41], null, v[128:129], v[128:129], v[130:131]
	v_div_scale_f64 v[46:47], vcc_lo, v[130:131], v[128:129], v[130:131]
	v_rcp_f64_e32 v[42:43], v[40:41]
	s_waitcnt_depctr 0xfff
	v_fma_f64 v[44:45], -v[40:41], v[42:43], 1.0
	s_delay_alu instid0(VALU_DEP_1) | instskip(NEXT) | instid1(VALU_DEP_1)
	v_fma_f64 v[42:43], v[42:43], v[44:45], v[42:43]
	v_fma_f64 v[44:45], -v[40:41], v[42:43], 1.0
	s_delay_alu instid0(VALU_DEP_1) | instskip(NEXT) | instid1(VALU_DEP_1)
	v_fma_f64 v[42:43], v[42:43], v[44:45], v[42:43]
	v_mul_f64 v[44:45], v[46:47], v[42:43]
	s_delay_alu instid0(VALU_DEP_1) | instskip(NEXT) | instid1(VALU_DEP_1)
	v_fma_f64 v[40:41], -v[40:41], v[44:45], v[46:47]
	v_div_fmas_f64 v[40:41], v[40:41], v[42:43], v[44:45]
	s_delay_alu instid0(VALU_DEP_1) | instskip(NEXT) | instid1(VALU_DEP_1)
	v_div_fixup_f64 v[40:41], v[40:41], v[128:129], v[130:131]
	v_fma_f64 v[42:43], v[130:131], v[40:41], v[128:129]
	s_delay_alu instid0(VALU_DEP_1) | instskip(NEXT) | instid1(VALU_DEP_1)
	v_div_scale_f64 v[44:45], null, v[42:43], v[42:43], 1.0
	v_rcp_f64_e32 v[46:47], v[44:45]
	s_waitcnt_depctr 0xfff
	v_fma_f64 v[128:129], -v[44:45], v[46:47], 1.0
	s_delay_alu instid0(VALU_DEP_1) | instskip(NEXT) | instid1(VALU_DEP_1)
	v_fma_f64 v[46:47], v[46:47], v[128:129], v[46:47]
	v_fma_f64 v[128:129], -v[44:45], v[46:47], 1.0
	s_delay_alu instid0(VALU_DEP_1) | instskip(SKIP_1) | instid1(VALU_DEP_1)
	v_fma_f64 v[46:47], v[46:47], v[128:129], v[46:47]
	v_div_scale_f64 v[128:129], vcc_lo, 1.0, v[42:43], 1.0
	v_mul_f64 v[130:131], v[128:129], v[46:47]
	s_delay_alu instid0(VALU_DEP_1) | instskip(NEXT) | instid1(VALU_DEP_1)
	v_fma_f64 v[44:45], -v[44:45], v[130:131], v[128:129]
	v_div_fmas_f64 v[44:45], v[44:45], v[46:47], v[130:131]
	s_delay_alu instid0(VALU_DEP_1) | instskip(NEXT) | instid1(VALU_DEP_1)
	v_div_fixup_f64 v[128:129], v[44:45], v[42:43], 1.0
	v_mul_f64 v[130:131], v[40:41], -v[128:129]
.LBB62_345:
	s_or_b32 exec_lo, exec_lo, s2
.LBB62_346:
	s_delay_alu instid0(SALU_CYCLE_1) | instskip(NEXT) | instid1(SALU_CYCLE_1)
	s_or_b32 exec_lo, exec_lo, s3
	s_mov_b32 s2, exec_lo
	v_cmpx_ne_u32_e64 v162, v136
	s_xor_b32 s2, exec_lo, s2
	s_cbranch_execz .LBB62_352
; %bb.347:
	s_mov_b32 s3, exec_lo
	v_cmpx_eq_u32_e32 16, v162
	s_cbranch_execz .LBB62_351
; %bb.348:
	v_cmp_ne_u32_e32 vcc_lo, 16, v136
	s_xor_b32 s6, s4, -1
	s_delay_alu instid0(SALU_CYCLE_1) | instskip(NEXT) | instid1(SALU_CYCLE_1)
	s_and_b32 s7, s6, vcc_lo
	s_and_saveexec_b32 s6, s7
	s_cbranch_execz .LBB62_350
; %bb.349:
	v_ashrrev_i32_e32 v137, 31, v136
	s_delay_alu instid0(VALU_DEP_1) | instskip(NEXT) | instid1(VALU_DEP_1)
	v_lshlrev_b64 v[40:41], 2, v[136:137]
	v_add_co_u32 v40, vcc_lo, v118, v40
	s_delay_alu instid0(VALU_DEP_2)
	v_add_co_ci_u32_e32 v41, vcc_lo, v119, v41, vcc_lo
	s_clause 0x1
	flat_load_b32 v42, v[40:41]
	flat_load_b32 v43, v[118:119] offset:64
	s_waitcnt vmcnt(1) lgkmcnt(1)
	flat_store_b32 v[118:119], v42 offset:64
	s_waitcnt vmcnt(0) lgkmcnt(1)
	flat_store_b32 v[40:41], v43
.LBB62_350:
	s_or_b32 exec_lo, exec_lo, s6
	v_mov_b32_e32 v162, v136
	v_mov_b32_e32 v40, v136
	scratch_store_b32 off, v40, off         ; 4-byte Folded Spill
.LBB62_351:
	s_or_b32 exec_lo, exec_lo, s3
.LBB62_352:
	s_and_not1_saveexec_b32 s2, s2
	s_cbranch_execz .LBB62_354
; %bb.353:
	v_mov_b32_e32 v162, 16
	ds_store_2addr_b64 v160, v[64:65], v[66:67] offset0:34 offset1:35
	ds_store_2addr_b64 v160, v[60:61], v[62:63] offset0:36 offset1:37
	ds_store_2addr_b64 v160, v[56:57], v[58:59] offset0:38 offset1:39
	ds_store_2addr_b64 v160, v[52:53], v[54:55] offset0:40 offset1:41
	ds_store_2addr_b64 v160, v[48:49], v[50:51] offset0:42 offset1:43
	ds_store_2addr_b64 v160, v[36:37], v[38:39] offset0:44 offset1:45
	ds_store_2addr_b64 v160, v[32:33], v[34:35] offset0:46 offset1:47
	ds_store_2addr_b64 v160, v[28:29], v[30:31] offset0:48 offset1:49
	ds_store_2addr_b64 v160, v[24:25], v[26:27] offset0:50 offset1:51
	ds_store_2addr_b64 v160, v[20:21], v[22:23] offset0:52 offset1:53
	ds_store_2addr_b64 v160, v[16:17], v[18:19] offset0:54 offset1:55
	ds_store_2addr_b64 v160, v[12:13], v[14:15] offset0:56 offset1:57
	ds_store_2addr_b64 v160, v[8:9], v[10:11] offset0:58 offset1:59
	ds_store_2addr_b64 v160, v[4:5], v[6:7] offset0:60 offset1:61
	ds_store_2addr_b64 v160, v[0:1], v[2:3] offset0:62 offset1:63
.LBB62_354:
	s_or_b32 exec_lo, exec_lo, s2
	s_delay_alu instid0(SALU_CYCLE_1)
	s_mov_b32 s2, exec_lo
	s_waitcnt lgkmcnt(0)
	s_waitcnt_vscnt null, 0x0
	s_barrier
	buffer_gl0_inv
	v_cmpx_lt_i32_e32 16, v162
	s_cbranch_execz .LBB62_356
; %bb.355:
	v_mul_f64 v[40:41], v[128:129], v[70:71]
	v_mul_f64 v[42:43], v[130:131], v[70:71]
	s_delay_alu instid0(VALU_DEP_2) | instskip(NEXT) | instid1(VALU_DEP_2)
	v_fma_f64 v[40:41], v[130:131], v[68:69], v[40:41]
	v_fma_f64 v[68:69], v[128:129], v[68:69], -v[42:43]
	ds_load_2addr_b64 v[128:131], v160 offset0:34 offset1:35
	ds_load_2addr_b64 v[136:139], v160 offset0:36 offset1:37
	s_waitcnt lgkmcnt(1)
	v_mul_f64 v[42:43], v[130:131], v[40:41]
	v_mul_f64 v[44:45], v[128:129], v[40:41]
	s_waitcnt lgkmcnt(0)
	v_mul_f64 v[46:47], v[138:139], v[40:41]
	v_mul_f64 v[70:71], v[136:137], v[40:41]
	s_delay_alu instid0(VALU_DEP_4) | instskip(NEXT) | instid1(VALU_DEP_4)
	v_fma_f64 v[42:43], v[128:129], v[68:69], -v[42:43]
	v_fma_f64 v[44:45], v[130:131], v[68:69], v[44:45]
	s_delay_alu instid0(VALU_DEP_4) | instskip(NEXT) | instid1(VALU_DEP_4)
	v_fma_f64 v[46:47], v[136:137], v[68:69], -v[46:47]
	v_fma_f64 v[70:71], v[138:139], v[68:69], v[70:71]
	ds_load_2addr_b64 v[128:131], v160 offset0:38 offset1:39
	ds_load_2addr_b64 v[136:139], v160 offset0:40 offset1:41
	s_waitcnt lgkmcnt(1)
	v_mul_f64 v[132:133], v[130:131], v[40:41]
	v_add_f64 v[64:65], v[64:65], -v[42:43]
	v_add_f64 v[66:67], v[66:67], -v[44:45]
	;; [unrolled: 1-line block ×4, first 2 shown]
	v_dual_mov_b32 v71, v41 :: v_dual_mov_b32 v70, v40
	v_fma_f64 v[132:133], v[128:129], v[68:69], -v[132:133]
	v_mul_f64 v[128:129], v[128:129], v[40:41]
	s_delay_alu instid0(VALU_DEP_2) | instskip(NEXT) | instid1(VALU_DEP_2)
	v_add_f64 v[56:57], v[56:57], -v[132:133]
	v_fma_f64 v[134:135], v[130:131], v[68:69], v[128:129]
	s_waitcnt lgkmcnt(0)
	v_mul_f64 v[128:129], v[138:139], v[40:41]
	s_delay_alu instid0(VALU_DEP_2) | instskip(NEXT) | instid1(VALU_DEP_2)
	v_add_f64 v[58:59], v[58:59], -v[134:135]
	v_fma_f64 v[140:141], v[136:137], v[68:69], -v[128:129]
	v_mul_f64 v[128:129], v[136:137], v[40:41]
	s_delay_alu instid0(VALU_DEP_2) | instskip(NEXT) | instid1(VALU_DEP_2)
	v_add_f64 v[52:53], v[52:53], -v[140:141]
	v_fma_f64 v[142:143], v[138:139], v[68:69], v[128:129]
	ds_load_2addr_b64 v[128:131], v160 offset0:42 offset1:43
	ds_load_2addr_b64 v[136:139], v160 offset0:44 offset1:45
	s_waitcnt lgkmcnt(1)
	v_mul_f64 v[144:145], v[130:131], v[40:41]
	v_add_f64 v[54:55], v[54:55], -v[142:143]
	s_delay_alu instid0(VALU_DEP_2) | instskip(SKIP_1) | instid1(VALU_DEP_2)
	v_fma_f64 v[144:145], v[128:129], v[68:69], -v[144:145]
	v_mul_f64 v[128:129], v[128:129], v[40:41]
	v_add_f64 v[48:49], v[48:49], -v[144:145]
	s_delay_alu instid0(VALU_DEP_2) | instskip(SKIP_2) | instid1(VALU_DEP_2)
	v_fma_f64 v[146:147], v[130:131], v[68:69], v[128:129]
	s_waitcnt lgkmcnt(0)
	v_mul_f64 v[128:129], v[138:139], v[40:41]
	v_add_f64 v[50:51], v[50:51], -v[146:147]
	s_delay_alu instid0(VALU_DEP_2) | instskip(SKIP_1) | instid1(VALU_DEP_2)
	v_fma_f64 v[148:149], v[136:137], v[68:69], -v[128:129]
	v_mul_f64 v[128:129], v[136:137], v[40:41]
	v_add_f64 v[36:37], v[36:37], -v[148:149]
	s_delay_alu instid0(VALU_DEP_2)
	v_fma_f64 v[150:151], v[138:139], v[68:69], v[128:129]
	ds_load_2addr_b64 v[128:131], v160 offset0:46 offset1:47
	ds_load_2addr_b64 v[136:139], v160 offset0:48 offset1:49
	s_waitcnt lgkmcnt(1)
	v_mul_f64 v[152:153], v[130:131], v[40:41]
	v_add_f64 v[38:39], v[38:39], -v[150:151]
	s_delay_alu instid0(VALU_DEP_2) | instskip(SKIP_1) | instid1(VALU_DEP_2)
	v_fma_f64 v[152:153], v[128:129], v[68:69], -v[152:153]
	v_mul_f64 v[128:129], v[128:129], v[40:41]
	v_add_f64 v[32:33], v[32:33], -v[152:153]
	s_delay_alu instid0(VALU_DEP_2) | instskip(SKIP_2) | instid1(VALU_DEP_2)
	v_fma_f64 v[154:155], v[130:131], v[68:69], v[128:129]
	s_waitcnt lgkmcnt(0)
	v_mul_f64 v[128:129], v[138:139], v[40:41]
	v_add_f64 v[34:35], v[34:35], -v[154:155]
	s_delay_alu instid0(VALU_DEP_2) | instskip(SKIP_1) | instid1(VALU_DEP_2)
	v_fma_f64 v[163:164], v[136:137], v[68:69], -v[128:129]
	v_mul_f64 v[128:129], v[136:137], v[40:41]
	v_add_f64 v[28:29], v[28:29], -v[163:164]
	s_delay_alu instid0(VALU_DEP_2)
	;; [unrolled: 20-line block ×4, first 2 shown]
	v_fma_f64 v[181:182], v[138:139], v[68:69], v[128:129]
	ds_load_2addr_b64 v[128:131], v160 offset0:58 offset1:59
	ds_load_2addr_b64 v[136:139], v160 offset0:60 offset1:61
	s_waitcnt lgkmcnt(1)
	v_mul_f64 v[183:184], v[130:131], v[40:41]
	v_add_f64 v[14:15], v[14:15], -v[181:182]
	s_delay_alu instid0(VALU_DEP_2) | instskip(SKIP_1) | instid1(VALU_DEP_2)
	v_fma_f64 v[183:184], v[128:129], v[68:69], -v[183:184]
	v_mul_f64 v[128:129], v[128:129], v[40:41]
	v_add_f64 v[8:9], v[8:9], -v[183:184]
	s_delay_alu instid0(VALU_DEP_2) | instskip(SKIP_2) | instid1(VALU_DEP_2)
	v_fma_f64 v[185:186], v[130:131], v[68:69], v[128:129]
	s_waitcnt lgkmcnt(0)
	v_mul_f64 v[128:129], v[138:139], v[40:41]
	v_add_f64 v[10:11], v[10:11], -v[185:186]
	s_delay_alu instid0(VALU_DEP_2) | instskip(SKIP_1) | instid1(VALU_DEP_2)
	v_fma_f64 v[187:188], v[136:137], v[68:69], -v[128:129]
	v_mul_f64 v[128:129], v[136:137], v[40:41]
	v_add_f64 v[4:5], v[4:5], -v[187:188]
	s_delay_alu instid0(VALU_DEP_2) | instskip(SKIP_4) | instid1(VALU_DEP_2)
	v_fma_f64 v[136:137], v[138:139], v[68:69], v[128:129]
	ds_load_2addr_b64 v[128:131], v160 offset0:62 offset1:63
	s_waitcnt lgkmcnt(0)
	v_mul_f64 v[138:139], v[130:131], v[40:41]
	v_add_f64 v[6:7], v[6:7], -v[136:137]
	v_fma_f64 v[138:139], v[128:129], v[68:69], -v[138:139]
	v_mul_f64 v[128:129], v[128:129], v[40:41]
	s_delay_alu instid0(VALU_DEP_2) | instskip(NEXT) | instid1(VALU_DEP_2)
	v_add_f64 v[0:1], v[0:1], -v[138:139]
	v_fma_f64 v[128:129], v[130:131], v[68:69], v[128:129]
	s_delay_alu instid0(VALU_DEP_1)
	v_add_f64 v[2:3], v[2:3], -v[128:129]
.LBB62_356:
	s_or_b32 exec_lo, exec_lo, s2
	v_lshl_add_u32 v40, v162, 4, v160
	s_barrier
	buffer_gl0_inv
	v_mov_b32_e32 v136, 17
	ds_store_2addr_b64 v40, v[64:65], v[66:67] offset1:1
	s_waitcnt lgkmcnt(0)
	s_barrier
	buffer_gl0_inv
	ds_load_2addr_b64 v[128:131], v160 offset0:34 offset1:35
	s_cmp_lt_i32 s5, 19
	s_cbranch_scc1 .LBB62_359
; %bb.357:
	v_add3_u32 v137, v156, 0, 0x120
	v_mov_b32_e32 v136, 17
	s_mov_b32 s6, 18
	s_set_inst_prefetch_distance 0x1
	.p2align	6
.LBB62_358:                             ; =>This Inner Loop Header: Depth=1
	ds_load_2addr_b64 v[138:141], v137 offset1:1
	s_waitcnt lgkmcnt(1)
	v_cmp_gt_f64_e32 vcc_lo, 0, v[128:129]
	v_xor_b32_e32 v40, 0x80000000, v129
	v_cmp_gt_f64_e64 s2, 0, v[130:131]
	v_xor_b32_e32 v42, 0x80000000, v131
	v_add_nc_u32_e32 v137, 16, v137
	s_waitcnt lgkmcnt(0)
	v_cmp_gt_f64_e64 s3, 0, v[138:139]
	v_mov_b32_e32 v44, v138
	v_dual_mov_b32 v46, v140 :: v_dual_cndmask_b32 v41, v129, v40
	v_xor_b32_e32 v40, 0x80000000, v139
	v_cndmask_b32_e64 v43, v131, v42, s2
	v_xor_b32_e32 v42, 0x80000000, v141
	s_delay_alu instid0(VALU_DEP_3) | instskip(SKIP_2) | instid1(VALU_DEP_2)
	v_cndmask_b32_e64 v45, v139, v40, s3
	v_cmp_gt_f64_e64 s3, 0, v[140:141]
	v_cndmask_b32_e32 v40, v128, v128, vcc_lo
	v_cndmask_b32_e64 v47, v141, v42, s3
	v_cndmask_b32_e64 v42, v130, v130, s2
	s_delay_alu instid0(VALU_DEP_2) | instskip(NEXT) | instid1(VALU_DEP_2)
	v_add_f64 v[44:45], v[44:45], v[46:47]
	v_add_f64 v[40:41], v[40:41], v[42:43]
	s_delay_alu instid0(VALU_DEP_1)
	v_cmp_lt_f64_e32 vcc_lo, v[40:41], v[44:45]
	v_cndmask_b32_e32 v131, v131, v141, vcc_lo
	v_dual_cndmask_b32 v129, v129, v139 :: v_dual_cndmask_b32 v128, v128, v138
	v_cndmask_b32_e32 v130, v130, v140, vcc_lo
	v_cndmask_b32_e64 v136, v136, s6, vcc_lo
	s_add_i32 s6, s6, 1
	s_delay_alu instid0(SALU_CYCLE_1)
	s_cmp_lg_u32 s5, s6
	s_cbranch_scc1 .LBB62_358
.LBB62_359:
	s_set_inst_prefetch_distance 0x2
	s_waitcnt lgkmcnt(0)
	v_cmp_eq_f64_e32 vcc_lo, 0, v[128:129]
	v_cmp_eq_f64_e64 s2, 0, v[130:131]
	s_delay_alu instid0(VALU_DEP_1) | instskip(NEXT) | instid1(SALU_CYCLE_1)
	s_and_b32 s2, vcc_lo, s2
	s_and_saveexec_b32 s3, s2
	s_delay_alu instid0(SALU_CYCLE_1)
	s_xor_b32 s2, exec_lo, s3
; %bb.360:
	v_cmp_ne_u32_e32 vcc_lo, 0, v255
	v_cndmask_b32_e32 v255, 18, v255, vcc_lo
; %bb.361:
	s_and_not1_saveexec_b32 s3, s2
	s_cbranch_execz .LBB62_367
; %bb.362:
	v_cmp_gt_f64_e32 vcc_lo, 0, v[128:129]
	v_cmp_gt_f64_e64 s2, 0, v[130:131]
	v_xor_b32_e32 v40, 0x80000000, v129
	v_xor_b32_e32 v42, 0x80000000, v131
	s_delay_alu instid0(VALU_DEP_2) | instskip(NEXT) | instid1(VALU_DEP_2)
	v_cndmask_b32_e32 v41, v129, v40, vcc_lo
	v_cndmask_b32_e64 v43, v131, v42, s2
	v_cndmask_b32_e32 v40, v128, v128, vcc_lo
	v_cndmask_b32_e64 v42, v130, v130, s2
	s_mov_b32 s2, exec_lo
	s_delay_alu instid0(VALU_DEP_1)
	v_cmpx_ngt_f64_e32 v[40:41], v[42:43]
	s_xor_b32 s2, exec_lo, s2
	s_cbranch_execz .LBB62_364
; %bb.363:
	v_div_scale_f64 v[40:41], null, v[130:131], v[130:131], v[128:129]
	v_div_scale_f64 v[46:47], vcc_lo, v[128:129], v[130:131], v[128:129]
	s_delay_alu instid0(VALU_DEP_2) | instskip(SKIP_2) | instid1(VALU_DEP_1)
	v_rcp_f64_e32 v[42:43], v[40:41]
	s_waitcnt_depctr 0xfff
	v_fma_f64 v[44:45], -v[40:41], v[42:43], 1.0
	v_fma_f64 v[42:43], v[42:43], v[44:45], v[42:43]
	s_delay_alu instid0(VALU_DEP_1) | instskip(NEXT) | instid1(VALU_DEP_1)
	v_fma_f64 v[44:45], -v[40:41], v[42:43], 1.0
	v_fma_f64 v[42:43], v[42:43], v[44:45], v[42:43]
	s_delay_alu instid0(VALU_DEP_1) | instskip(NEXT) | instid1(VALU_DEP_1)
	v_mul_f64 v[44:45], v[46:47], v[42:43]
	v_fma_f64 v[40:41], -v[40:41], v[44:45], v[46:47]
	s_delay_alu instid0(VALU_DEP_1) | instskip(NEXT) | instid1(VALU_DEP_1)
	v_div_fmas_f64 v[40:41], v[40:41], v[42:43], v[44:45]
	v_div_fixup_f64 v[40:41], v[40:41], v[130:131], v[128:129]
	s_delay_alu instid0(VALU_DEP_1) | instskip(NEXT) | instid1(VALU_DEP_1)
	v_fma_f64 v[42:43], v[128:129], v[40:41], v[130:131]
	v_div_scale_f64 v[44:45], null, v[42:43], v[42:43], 1.0
	s_delay_alu instid0(VALU_DEP_1) | instskip(SKIP_2) | instid1(VALU_DEP_1)
	v_rcp_f64_e32 v[46:47], v[44:45]
	s_waitcnt_depctr 0xfff
	v_fma_f64 v[128:129], -v[44:45], v[46:47], 1.0
	v_fma_f64 v[46:47], v[46:47], v[128:129], v[46:47]
	s_delay_alu instid0(VALU_DEP_1) | instskip(NEXT) | instid1(VALU_DEP_1)
	v_fma_f64 v[128:129], -v[44:45], v[46:47], 1.0
	v_fma_f64 v[46:47], v[46:47], v[128:129], v[46:47]
	v_div_scale_f64 v[128:129], vcc_lo, 1.0, v[42:43], 1.0
	s_delay_alu instid0(VALU_DEP_1) | instskip(NEXT) | instid1(VALU_DEP_1)
	v_mul_f64 v[130:131], v[128:129], v[46:47]
	v_fma_f64 v[44:45], -v[44:45], v[130:131], v[128:129]
	s_delay_alu instid0(VALU_DEP_1) | instskip(NEXT) | instid1(VALU_DEP_1)
	v_div_fmas_f64 v[44:45], v[44:45], v[46:47], v[130:131]
	v_div_fixup_f64 v[130:131], v[44:45], v[42:43], 1.0
	s_delay_alu instid0(VALU_DEP_1)
	v_mul_f64 v[128:129], v[40:41], v[130:131]
	v_xor_b32_e32 v131, 0x80000000, v131
.LBB62_364:
	s_and_not1_saveexec_b32 s2, s2
	s_cbranch_execz .LBB62_366
; %bb.365:
	s_delay_alu instid0(VALU_DEP_1) | instskip(SKIP_1) | instid1(VALU_DEP_2)
	v_div_scale_f64 v[40:41], null, v[128:129], v[128:129], v[130:131]
	v_div_scale_f64 v[46:47], vcc_lo, v[130:131], v[128:129], v[130:131]
	v_rcp_f64_e32 v[42:43], v[40:41]
	s_waitcnt_depctr 0xfff
	v_fma_f64 v[44:45], -v[40:41], v[42:43], 1.0
	s_delay_alu instid0(VALU_DEP_1) | instskip(NEXT) | instid1(VALU_DEP_1)
	v_fma_f64 v[42:43], v[42:43], v[44:45], v[42:43]
	v_fma_f64 v[44:45], -v[40:41], v[42:43], 1.0
	s_delay_alu instid0(VALU_DEP_1) | instskip(NEXT) | instid1(VALU_DEP_1)
	v_fma_f64 v[42:43], v[42:43], v[44:45], v[42:43]
	v_mul_f64 v[44:45], v[46:47], v[42:43]
	s_delay_alu instid0(VALU_DEP_1) | instskip(NEXT) | instid1(VALU_DEP_1)
	v_fma_f64 v[40:41], -v[40:41], v[44:45], v[46:47]
	v_div_fmas_f64 v[40:41], v[40:41], v[42:43], v[44:45]
	s_delay_alu instid0(VALU_DEP_1) | instskip(NEXT) | instid1(VALU_DEP_1)
	v_div_fixup_f64 v[40:41], v[40:41], v[128:129], v[130:131]
	v_fma_f64 v[42:43], v[130:131], v[40:41], v[128:129]
	s_delay_alu instid0(VALU_DEP_1) | instskip(NEXT) | instid1(VALU_DEP_1)
	v_div_scale_f64 v[44:45], null, v[42:43], v[42:43], 1.0
	v_rcp_f64_e32 v[46:47], v[44:45]
	s_waitcnt_depctr 0xfff
	v_fma_f64 v[128:129], -v[44:45], v[46:47], 1.0
	s_delay_alu instid0(VALU_DEP_1) | instskip(NEXT) | instid1(VALU_DEP_1)
	v_fma_f64 v[46:47], v[46:47], v[128:129], v[46:47]
	v_fma_f64 v[128:129], -v[44:45], v[46:47], 1.0
	s_delay_alu instid0(VALU_DEP_1) | instskip(SKIP_1) | instid1(VALU_DEP_1)
	v_fma_f64 v[46:47], v[46:47], v[128:129], v[46:47]
	v_div_scale_f64 v[128:129], vcc_lo, 1.0, v[42:43], 1.0
	v_mul_f64 v[130:131], v[128:129], v[46:47]
	s_delay_alu instid0(VALU_DEP_1) | instskip(NEXT) | instid1(VALU_DEP_1)
	v_fma_f64 v[44:45], -v[44:45], v[130:131], v[128:129]
	v_div_fmas_f64 v[44:45], v[44:45], v[46:47], v[130:131]
	s_delay_alu instid0(VALU_DEP_1) | instskip(NEXT) | instid1(VALU_DEP_1)
	v_div_fixup_f64 v[128:129], v[44:45], v[42:43], 1.0
	v_mul_f64 v[130:131], v[40:41], -v[128:129]
.LBB62_366:
	s_or_b32 exec_lo, exec_lo, s2
.LBB62_367:
	s_delay_alu instid0(SALU_CYCLE_1) | instskip(NEXT) | instid1(SALU_CYCLE_1)
	s_or_b32 exec_lo, exec_lo, s3
	s_mov_b32 s2, exec_lo
	v_cmpx_ne_u32_e64 v162, v136
	s_xor_b32 s2, exec_lo, s2
	s_cbranch_execz .LBB62_373
; %bb.368:
	s_mov_b32 s3, exec_lo
	v_cmpx_eq_u32_e32 17, v162
	s_cbranch_execz .LBB62_372
; %bb.369:
	v_cmp_ne_u32_e32 vcc_lo, 17, v136
	s_xor_b32 s6, s4, -1
	s_delay_alu instid0(SALU_CYCLE_1) | instskip(NEXT) | instid1(SALU_CYCLE_1)
	s_and_b32 s7, s6, vcc_lo
	s_and_saveexec_b32 s6, s7
	s_cbranch_execz .LBB62_371
; %bb.370:
	v_ashrrev_i32_e32 v137, 31, v136
	s_delay_alu instid0(VALU_DEP_1) | instskip(NEXT) | instid1(VALU_DEP_1)
	v_lshlrev_b64 v[40:41], 2, v[136:137]
	v_add_co_u32 v40, vcc_lo, v118, v40
	s_delay_alu instid0(VALU_DEP_2)
	v_add_co_ci_u32_e32 v41, vcc_lo, v119, v41, vcc_lo
	s_clause 0x1
	flat_load_b32 v42, v[40:41]
	flat_load_b32 v43, v[118:119] offset:68
	s_waitcnt vmcnt(1) lgkmcnt(1)
	flat_store_b32 v[118:119], v42 offset:68
	s_waitcnt vmcnt(0) lgkmcnt(1)
	flat_store_b32 v[40:41], v43
.LBB62_371:
	s_or_b32 exec_lo, exec_lo, s6
	v_mov_b32_e32 v162, v136
	v_mov_b32_e32 v40, v136
	scratch_store_b32 off, v40, off         ; 4-byte Folded Spill
.LBB62_372:
	s_or_b32 exec_lo, exec_lo, s3
.LBB62_373:
	s_and_not1_saveexec_b32 s2, s2
	s_cbranch_execz .LBB62_375
; %bb.374:
	v_mov_b32_e32 v162, 17
	ds_store_2addr_b64 v160, v[60:61], v[62:63] offset0:36 offset1:37
	ds_store_2addr_b64 v160, v[56:57], v[58:59] offset0:38 offset1:39
	;; [unrolled: 1-line block ×14, first 2 shown]
.LBB62_375:
	s_or_b32 exec_lo, exec_lo, s2
	s_delay_alu instid0(SALU_CYCLE_1)
	s_mov_b32 s2, exec_lo
	s_waitcnt lgkmcnt(0)
	s_waitcnt_vscnt null, 0x0
	s_barrier
	buffer_gl0_inv
	v_cmpx_lt_i32_e32 17, v162
	s_cbranch_execz .LBB62_377
; %bb.376:
	v_mul_f64 v[40:41], v[128:129], v[66:67]
	v_mul_f64 v[42:43], v[130:131], v[66:67]
	ds_load_2addr_b64 v[136:139], v160 offset0:36 offset1:37
	ds_load_2addr_b64 v[140:143], v160 offset0:38 offset1:39
	;; [unrolled: 1-line block ×14, first 2 shown]
	v_fma_f64 v[40:41], v[130:131], v[64:65], v[40:41]
	v_fma_f64 v[64:65], v[128:129], v[64:65], -v[42:43]
	s_waitcnt lgkmcnt(13)
	s_delay_alu instid0(VALU_DEP_2)
	v_mul_f64 v[42:43], v[138:139], v[40:41]
	v_mul_f64 v[44:45], v[136:137], v[40:41]
	s_waitcnt lgkmcnt(12)
	v_mul_f64 v[46:47], v[142:143], v[40:41]
	v_mul_f64 v[66:67], v[140:141], v[40:41]
	s_waitcnt lgkmcnt(11)
	;; [unrolled: 3-line block ×13, first 2 shown]
	v_mul_f64 v[235:236], v[197:198], v[40:41]
	v_mul_f64 v[237:238], v[195:196], v[40:41]
	v_fma_f64 v[42:43], v[136:137], v[64:65], -v[42:43]
	v_fma_f64 v[44:45], v[138:139], v[64:65], v[44:45]
	v_fma_f64 v[46:47], v[140:141], v[64:65], -v[46:47]
	v_fma_f64 v[66:67], v[142:143], v[64:65], v[66:67]
	;; [unrolled: 2-line block ×14, first 2 shown]
	v_add_f64 v[60:61], v[60:61], -v[42:43]
	v_add_f64 v[62:63], v[62:63], -v[44:45]
	;; [unrolled: 1-line block ×28, first 2 shown]
	v_dual_mov_b32 v67, v41 :: v_dual_mov_b32 v66, v40
.LBB62_377:
	s_or_b32 exec_lo, exec_lo, s2
	v_lshl_add_u32 v40, v162, 4, v160
	s_barrier
	buffer_gl0_inv
	v_mov_b32_e32 v136, 18
	ds_store_2addr_b64 v40, v[60:61], v[62:63] offset1:1
	s_waitcnt lgkmcnt(0)
	s_barrier
	buffer_gl0_inv
	ds_load_2addr_b64 v[128:131], v160 offset0:36 offset1:37
	s_cmp_lt_i32 s5, 20
	s_cbranch_scc1 .LBB62_380
; %bb.378:
	v_add3_u32 v137, v156, 0, 0x130
	v_mov_b32_e32 v136, 18
	s_mov_b32 s6, 19
	s_set_inst_prefetch_distance 0x1
	.p2align	6
.LBB62_379:                             ; =>This Inner Loop Header: Depth=1
	ds_load_2addr_b64 v[138:141], v137 offset1:1
	s_waitcnt lgkmcnt(1)
	v_cmp_gt_f64_e32 vcc_lo, 0, v[128:129]
	v_xor_b32_e32 v40, 0x80000000, v129
	v_cmp_gt_f64_e64 s2, 0, v[130:131]
	v_xor_b32_e32 v42, 0x80000000, v131
	v_add_nc_u32_e32 v137, 16, v137
	s_waitcnt lgkmcnt(0)
	v_cmp_gt_f64_e64 s3, 0, v[138:139]
	v_mov_b32_e32 v44, v138
	v_dual_mov_b32 v46, v140 :: v_dual_cndmask_b32 v41, v129, v40
	v_xor_b32_e32 v40, 0x80000000, v139
	v_cndmask_b32_e64 v43, v131, v42, s2
	v_xor_b32_e32 v42, 0x80000000, v141
	s_delay_alu instid0(VALU_DEP_3) | instskip(SKIP_2) | instid1(VALU_DEP_2)
	v_cndmask_b32_e64 v45, v139, v40, s3
	v_cmp_gt_f64_e64 s3, 0, v[140:141]
	v_cndmask_b32_e32 v40, v128, v128, vcc_lo
	v_cndmask_b32_e64 v47, v141, v42, s3
	v_cndmask_b32_e64 v42, v130, v130, s2
	s_delay_alu instid0(VALU_DEP_2) | instskip(NEXT) | instid1(VALU_DEP_2)
	v_add_f64 v[44:45], v[44:45], v[46:47]
	v_add_f64 v[40:41], v[40:41], v[42:43]
	s_delay_alu instid0(VALU_DEP_1)
	v_cmp_lt_f64_e32 vcc_lo, v[40:41], v[44:45]
	v_cndmask_b32_e32 v131, v131, v141, vcc_lo
	v_dual_cndmask_b32 v129, v129, v139 :: v_dual_cndmask_b32 v128, v128, v138
	v_cndmask_b32_e32 v130, v130, v140, vcc_lo
	v_cndmask_b32_e64 v136, v136, s6, vcc_lo
	s_add_i32 s6, s6, 1
	s_delay_alu instid0(SALU_CYCLE_1)
	s_cmp_lg_u32 s5, s6
	s_cbranch_scc1 .LBB62_379
.LBB62_380:
	s_set_inst_prefetch_distance 0x2
	s_waitcnt lgkmcnt(0)
	v_cmp_eq_f64_e32 vcc_lo, 0, v[128:129]
	v_cmp_eq_f64_e64 s2, 0, v[130:131]
	s_delay_alu instid0(VALU_DEP_1) | instskip(NEXT) | instid1(SALU_CYCLE_1)
	s_and_b32 s2, vcc_lo, s2
	s_and_saveexec_b32 s3, s2
	s_delay_alu instid0(SALU_CYCLE_1)
	s_xor_b32 s2, exec_lo, s3
; %bb.381:
	v_cmp_ne_u32_e32 vcc_lo, 0, v255
	v_cndmask_b32_e32 v255, 19, v255, vcc_lo
; %bb.382:
	s_and_not1_saveexec_b32 s3, s2
	s_cbranch_execz .LBB62_388
; %bb.383:
	v_cmp_gt_f64_e32 vcc_lo, 0, v[128:129]
	v_cmp_gt_f64_e64 s2, 0, v[130:131]
	v_xor_b32_e32 v40, 0x80000000, v129
	v_xor_b32_e32 v42, 0x80000000, v131
	s_delay_alu instid0(VALU_DEP_2) | instskip(NEXT) | instid1(VALU_DEP_2)
	v_cndmask_b32_e32 v41, v129, v40, vcc_lo
	v_cndmask_b32_e64 v43, v131, v42, s2
	v_cndmask_b32_e32 v40, v128, v128, vcc_lo
	v_cndmask_b32_e64 v42, v130, v130, s2
	s_mov_b32 s2, exec_lo
	s_delay_alu instid0(VALU_DEP_1)
	v_cmpx_ngt_f64_e32 v[40:41], v[42:43]
	s_xor_b32 s2, exec_lo, s2
	s_cbranch_execz .LBB62_385
; %bb.384:
	v_div_scale_f64 v[40:41], null, v[130:131], v[130:131], v[128:129]
	v_div_scale_f64 v[46:47], vcc_lo, v[128:129], v[130:131], v[128:129]
	s_delay_alu instid0(VALU_DEP_2) | instskip(SKIP_2) | instid1(VALU_DEP_1)
	v_rcp_f64_e32 v[42:43], v[40:41]
	s_waitcnt_depctr 0xfff
	v_fma_f64 v[44:45], -v[40:41], v[42:43], 1.0
	v_fma_f64 v[42:43], v[42:43], v[44:45], v[42:43]
	s_delay_alu instid0(VALU_DEP_1) | instskip(NEXT) | instid1(VALU_DEP_1)
	v_fma_f64 v[44:45], -v[40:41], v[42:43], 1.0
	v_fma_f64 v[42:43], v[42:43], v[44:45], v[42:43]
	s_delay_alu instid0(VALU_DEP_1) | instskip(NEXT) | instid1(VALU_DEP_1)
	v_mul_f64 v[44:45], v[46:47], v[42:43]
	v_fma_f64 v[40:41], -v[40:41], v[44:45], v[46:47]
	s_delay_alu instid0(VALU_DEP_1) | instskip(NEXT) | instid1(VALU_DEP_1)
	v_div_fmas_f64 v[40:41], v[40:41], v[42:43], v[44:45]
	v_div_fixup_f64 v[40:41], v[40:41], v[130:131], v[128:129]
	s_delay_alu instid0(VALU_DEP_1) | instskip(NEXT) | instid1(VALU_DEP_1)
	v_fma_f64 v[42:43], v[128:129], v[40:41], v[130:131]
	v_div_scale_f64 v[44:45], null, v[42:43], v[42:43], 1.0
	s_delay_alu instid0(VALU_DEP_1) | instskip(SKIP_2) | instid1(VALU_DEP_1)
	v_rcp_f64_e32 v[46:47], v[44:45]
	s_waitcnt_depctr 0xfff
	v_fma_f64 v[128:129], -v[44:45], v[46:47], 1.0
	v_fma_f64 v[46:47], v[46:47], v[128:129], v[46:47]
	s_delay_alu instid0(VALU_DEP_1) | instskip(NEXT) | instid1(VALU_DEP_1)
	v_fma_f64 v[128:129], -v[44:45], v[46:47], 1.0
	v_fma_f64 v[46:47], v[46:47], v[128:129], v[46:47]
	v_div_scale_f64 v[128:129], vcc_lo, 1.0, v[42:43], 1.0
	s_delay_alu instid0(VALU_DEP_1) | instskip(NEXT) | instid1(VALU_DEP_1)
	v_mul_f64 v[130:131], v[128:129], v[46:47]
	v_fma_f64 v[44:45], -v[44:45], v[130:131], v[128:129]
	s_delay_alu instid0(VALU_DEP_1) | instskip(NEXT) | instid1(VALU_DEP_1)
	v_div_fmas_f64 v[44:45], v[44:45], v[46:47], v[130:131]
	v_div_fixup_f64 v[130:131], v[44:45], v[42:43], 1.0
	s_delay_alu instid0(VALU_DEP_1)
	v_mul_f64 v[128:129], v[40:41], v[130:131]
	v_xor_b32_e32 v131, 0x80000000, v131
.LBB62_385:
	s_and_not1_saveexec_b32 s2, s2
	s_cbranch_execz .LBB62_387
; %bb.386:
	s_delay_alu instid0(VALU_DEP_1) | instskip(SKIP_1) | instid1(VALU_DEP_2)
	v_div_scale_f64 v[40:41], null, v[128:129], v[128:129], v[130:131]
	v_div_scale_f64 v[46:47], vcc_lo, v[130:131], v[128:129], v[130:131]
	v_rcp_f64_e32 v[42:43], v[40:41]
	s_waitcnt_depctr 0xfff
	v_fma_f64 v[44:45], -v[40:41], v[42:43], 1.0
	s_delay_alu instid0(VALU_DEP_1) | instskip(NEXT) | instid1(VALU_DEP_1)
	v_fma_f64 v[42:43], v[42:43], v[44:45], v[42:43]
	v_fma_f64 v[44:45], -v[40:41], v[42:43], 1.0
	s_delay_alu instid0(VALU_DEP_1) | instskip(NEXT) | instid1(VALU_DEP_1)
	v_fma_f64 v[42:43], v[42:43], v[44:45], v[42:43]
	v_mul_f64 v[44:45], v[46:47], v[42:43]
	s_delay_alu instid0(VALU_DEP_1) | instskip(NEXT) | instid1(VALU_DEP_1)
	v_fma_f64 v[40:41], -v[40:41], v[44:45], v[46:47]
	v_div_fmas_f64 v[40:41], v[40:41], v[42:43], v[44:45]
	s_delay_alu instid0(VALU_DEP_1) | instskip(NEXT) | instid1(VALU_DEP_1)
	v_div_fixup_f64 v[40:41], v[40:41], v[128:129], v[130:131]
	v_fma_f64 v[42:43], v[130:131], v[40:41], v[128:129]
	s_delay_alu instid0(VALU_DEP_1) | instskip(NEXT) | instid1(VALU_DEP_1)
	v_div_scale_f64 v[44:45], null, v[42:43], v[42:43], 1.0
	v_rcp_f64_e32 v[46:47], v[44:45]
	s_waitcnt_depctr 0xfff
	v_fma_f64 v[128:129], -v[44:45], v[46:47], 1.0
	s_delay_alu instid0(VALU_DEP_1) | instskip(NEXT) | instid1(VALU_DEP_1)
	v_fma_f64 v[46:47], v[46:47], v[128:129], v[46:47]
	v_fma_f64 v[128:129], -v[44:45], v[46:47], 1.0
	s_delay_alu instid0(VALU_DEP_1) | instskip(SKIP_1) | instid1(VALU_DEP_1)
	v_fma_f64 v[46:47], v[46:47], v[128:129], v[46:47]
	v_div_scale_f64 v[128:129], vcc_lo, 1.0, v[42:43], 1.0
	v_mul_f64 v[130:131], v[128:129], v[46:47]
	s_delay_alu instid0(VALU_DEP_1) | instskip(NEXT) | instid1(VALU_DEP_1)
	v_fma_f64 v[44:45], -v[44:45], v[130:131], v[128:129]
	v_div_fmas_f64 v[44:45], v[44:45], v[46:47], v[130:131]
	s_delay_alu instid0(VALU_DEP_1) | instskip(NEXT) | instid1(VALU_DEP_1)
	v_div_fixup_f64 v[128:129], v[44:45], v[42:43], 1.0
	v_mul_f64 v[130:131], v[40:41], -v[128:129]
.LBB62_387:
	s_or_b32 exec_lo, exec_lo, s2
.LBB62_388:
	s_delay_alu instid0(SALU_CYCLE_1) | instskip(NEXT) | instid1(SALU_CYCLE_1)
	s_or_b32 exec_lo, exec_lo, s3
	s_mov_b32 s2, exec_lo
	v_cmpx_ne_u32_e64 v162, v136
	s_xor_b32 s2, exec_lo, s2
	s_cbranch_execz .LBB62_394
; %bb.389:
	s_mov_b32 s3, exec_lo
	v_cmpx_eq_u32_e32 18, v162
	s_cbranch_execz .LBB62_393
; %bb.390:
	v_cmp_ne_u32_e32 vcc_lo, 18, v136
	s_xor_b32 s6, s4, -1
	s_delay_alu instid0(SALU_CYCLE_1) | instskip(NEXT) | instid1(SALU_CYCLE_1)
	s_and_b32 s7, s6, vcc_lo
	s_and_saveexec_b32 s6, s7
	s_cbranch_execz .LBB62_392
; %bb.391:
	v_ashrrev_i32_e32 v137, 31, v136
	s_delay_alu instid0(VALU_DEP_1) | instskip(NEXT) | instid1(VALU_DEP_1)
	v_lshlrev_b64 v[40:41], 2, v[136:137]
	v_add_co_u32 v40, vcc_lo, v118, v40
	s_delay_alu instid0(VALU_DEP_2)
	v_add_co_ci_u32_e32 v41, vcc_lo, v119, v41, vcc_lo
	s_clause 0x1
	flat_load_b32 v42, v[40:41]
	flat_load_b32 v43, v[118:119] offset:72
	s_waitcnt vmcnt(1) lgkmcnt(1)
	flat_store_b32 v[118:119], v42 offset:72
	s_waitcnt vmcnt(0) lgkmcnt(1)
	flat_store_b32 v[40:41], v43
.LBB62_392:
	s_or_b32 exec_lo, exec_lo, s6
	v_mov_b32_e32 v162, v136
	v_mov_b32_e32 v40, v136
	scratch_store_b32 off, v40, off         ; 4-byte Folded Spill
.LBB62_393:
	s_or_b32 exec_lo, exec_lo, s3
.LBB62_394:
	s_and_not1_saveexec_b32 s2, s2
	s_cbranch_execz .LBB62_396
; %bb.395:
	v_mov_b32_e32 v162, 18
	ds_store_2addr_b64 v160, v[56:57], v[58:59] offset0:38 offset1:39
	ds_store_2addr_b64 v160, v[52:53], v[54:55] offset0:40 offset1:41
	;; [unrolled: 1-line block ×13, first 2 shown]
.LBB62_396:
	s_or_b32 exec_lo, exec_lo, s2
	s_delay_alu instid0(SALU_CYCLE_1)
	s_mov_b32 s2, exec_lo
	s_waitcnt lgkmcnt(0)
	s_waitcnt_vscnt null, 0x0
	s_barrier
	buffer_gl0_inv
	v_cmpx_lt_i32_e32 18, v162
	s_cbranch_execz .LBB62_398
; %bb.397:
	v_mul_f64 v[40:41], v[128:129], v[62:63]
	v_mul_f64 v[42:43], v[130:131], v[62:63]
	ds_load_2addr_b64 v[136:139], v160 offset0:38 offset1:39
	ds_load_2addr_b64 v[140:143], v160 offset0:40 offset1:41
	;; [unrolled: 1-line block ×13, first 2 shown]
	v_fma_f64 v[40:41], v[130:131], v[60:61], v[40:41]
	v_fma_f64 v[60:61], v[128:129], v[60:61], -v[42:43]
	s_waitcnt lgkmcnt(12)
	s_delay_alu instid0(VALU_DEP_2)
	v_mul_f64 v[42:43], v[138:139], v[40:41]
	v_mul_f64 v[44:45], v[136:137], v[40:41]
	s_waitcnt lgkmcnt(11)
	v_mul_f64 v[46:47], v[142:143], v[40:41]
	v_mul_f64 v[62:63], v[140:141], v[40:41]
	s_waitcnt lgkmcnt(10)
	;; [unrolled: 3-line block ×12, first 2 shown]
	v_mul_f64 v[227:228], v[193:194], v[40:41]
	v_mul_f64 v[229:230], v[191:192], v[40:41]
	v_fma_f64 v[42:43], v[136:137], v[60:61], -v[42:43]
	v_fma_f64 v[44:45], v[138:139], v[60:61], v[44:45]
	v_fma_f64 v[46:47], v[140:141], v[60:61], -v[46:47]
	v_fma_f64 v[62:63], v[142:143], v[60:61], v[62:63]
	;; [unrolled: 2-line block ×13, first 2 shown]
	v_add_f64 v[56:57], v[56:57], -v[42:43]
	v_add_f64 v[58:59], v[58:59], -v[44:45]
	;; [unrolled: 1-line block ×26, first 2 shown]
	v_dual_mov_b32 v63, v41 :: v_dual_mov_b32 v62, v40
.LBB62_398:
	s_or_b32 exec_lo, exec_lo, s2
	v_lshl_add_u32 v40, v162, 4, v160
	s_barrier
	buffer_gl0_inv
	v_mov_b32_e32 v136, 19
	ds_store_2addr_b64 v40, v[56:57], v[58:59] offset1:1
	s_waitcnt lgkmcnt(0)
	s_barrier
	buffer_gl0_inv
	ds_load_2addr_b64 v[128:131], v160 offset0:38 offset1:39
	s_cmp_lt_i32 s5, 21
	s_cbranch_scc1 .LBB62_401
; %bb.399:
	v_add3_u32 v137, v156, 0, 0x140
	v_mov_b32_e32 v136, 19
	s_mov_b32 s6, 20
	s_set_inst_prefetch_distance 0x1
	.p2align	6
.LBB62_400:                             ; =>This Inner Loop Header: Depth=1
	ds_load_2addr_b64 v[138:141], v137 offset1:1
	s_waitcnt lgkmcnt(1)
	v_cmp_gt_f64_e32 vcc_lo, 0, v[128:129]
	v_xor_b32_e32 v40, 0x80000000, v129
	v_cmp_gt_f64_e64 s2, 0, v[130:131]
	v_xor_b32_e32 v42, 0x80000000, v131
	v_add_nc_u32_e32 v137, 16, v137
	s_waitcnt lgkmcnt(0)
	v_cmp_gt_f64_e64 s3, 0, v[138:139]
	v_mov_b32_e32 v44, v138
	v_dual_mov_b32 v46, v140 :: v_dual_cndmask_b32 v41, v129, v40
	v_xor_b32_e32 v40, 0x80000000, v139
	v_cndmask_b32_e64 v43, v131, v42, s2
	v_xor_b32_e32 v42, 0x80000000, v141
	s_delay_alu instid0(VALU_DEP_3) | instskip(SKIP_2) | instid1(VALU_DEP_2)
	v_cndmask_b32_e64 v45, v139, v40, s3
	v_cmp_gt_f64_e64 s3, 0, v[140:141]
	v_cndmask_b32_e32 v40, v128, v128, vcc_lo
	v_cndmask_b32_e64 v47, v141, v42, s3
	v_cndmask_b32_e64 v42, v130, v130, s2
	s_delay_alu instid0(VALU_DEP_2) | instskip(NEXT) | instid1(VALU_DEP_2)
	v_add_f64 v[44:45], v[44:45], v[46:47]
	v_add_f64 v[40:41], v[40:41], v[42:43]
	s_delay_alu instid0(VALU_DEP_1)
	v_cmp_lt_f64_e32 vcc_lo, v[40:41], v[44:45]
	v_cndmask_b32_e32 v131, v131, v141, vcc_lo
	v_dual_cndmask_b32 v129, v129, v139 :: v_dual_cndmask_b32 v128, v128, v138
	v_cndmask_b32_e32 v130, v130, v140, vcc_lo
	v_cndmask_b32_e64 v136, v136, s6, vcc_lo
	s_add_i32 s6, s6, 1
	s_delay_alu instid0(SALU_CYCLE_1)
	s_cmp_lg_u32 s5, s6
	s_cbranch_scc1 .LBB62_400
.LBB62_401:
	s_set_inst_prefetch_distance 0x2
	s_waitcnt lgkmcnt(0)
	v_cmp_eq_f64_e32 vcc_lo, 0, v[128:129]
	v_cmp_eq_f64_e64 s2, 0, v[130:131]
	s_delay_alu instid0(VALU_DEP_1) | instskip(NEXT) | instid1(SALU_CYCLE_1)
	s_and_b32 s2, vcc_lo, s2
	s_and_saveexec_b32 s3, s2
	s_delay_alu instid0(SALU_CYCLE_1)
	s_xor_b32 s2, exec_lo, s3
; %bb.402:
	v_cmp_ne_u32_e32 vcc_lo, 0, v255
	v_cndmask_b32_e32 v255, 20, v255, vcc_lo
; %bb.403:
	s_and_not1_saveexec_b32 s3, s2
	s_cbranch_execz .LBB62_409
; %bb.404:
	v_cmp_gt_f64_e32 vcc_lo, 0, v[128:129]
	v_cmp_gt_f64_e64 s2, 0, v[130:131]
	v_xor_b32_e32 v40, 0x80000000, v129
	v_xor_b32_e32 v42, 0x80000000, v131
	s_delay_alu instid0(VALU_DEP_2) | instskip(NEXT) | instid1(VALU_DEP_2)
	v_cndmask_b32_e32 v41, v129, v40, vcc_lo
	v_cndmask_b32_e64 v43, v131, v42, s2
	v_cndmask_b32_e32 v40, v128, v128, vcc_lo
	v_cndmask_b32_e64 v42, v130, v130, s2
	s_mov_b32 s2, exec_lo
	s_delay_alu instid0(VALU_DEP_1)
	v_cmpx_ngt_f64_e32 v[40:41], v[42:43]
	s_xor_b32 s2, exec_lo, s2
	s_cbranch_execz .LBB62_406
; %bb.405:
	v_div_scale_f64 v[40:41], null, v[130:131], v[130:131], v[128:129]
	v_div_scale_f64 v[46:47], vcc_lo, v[128:129], v[130:131], v[128:129]
	s_delay_alu instid0(VALU_DEP_2) | instskip(SKIP_2) | instid1(VALU_DEP_1)
	v_rcp_f64_e32 v[42:43], v[40:41]
	s_waitcnt_depctr 0xfff
	v_fma_f64 v[44:45], -v[40:41], v[42:43], 1.0
	v_fma_f64 v[42:43], v[42:43], v[44:45], v[42:43]
	s_delay_alu instid0(VALU_DEP_1) | instskip(NEXT) | instid1(VALU_DEP_1)
	v_fma_f64 v[44:45], -v[40:41], v[42:43], 1.0
	v_fma_f64 v[42:43], v[42:43], v[44:45], v[42:43]
	s_delay_alu instid0(VALU_DEP_1) | instskip(NEXT) | instid1(VALU_DEP_1)
	v_mul_f64 v[44:45], v[46:47], v[42:43]
	v_fma_f64 v[40:41], -v[40:41], v[44:45], v[46:47]
	s_delay_alu instid0(VALU_DEP_1) | instskip(NEXT) | instid1(VALU_DEP_1)
	v_div_fmas_f64 v[40:41], v[40:41], v[42:43], v[44:45]
	v_div_fixup_f64 v[40:41], v[40:41], v[130:131], v[128:129]
	s_delay_alu instid0(VALU_DEP_1) | instskip(NEXT) | instid1(VALU_DEP_1)
	v_fma_f64 v[42:43], v[128:129], v[40:41], v[130:131]
	v_div_scale_f64 v[44:45], null, v[42:43], v[42:43], 1.0
	s_delay_alu instid0(VALU_DEP_1) | instskip(SKIP_2) | instid1(VALU_DEP_1)
	v_rcp_f64_e32 v[46:47], v[44:45]
	s_waitcnt_depctr 0xfff
	v_fma_f64 v[128:129], -v[44:45], v[46:47], 1.0
	v_fma_f64 v[46:47], v[46:47], v[128:129], v[46:47]
	s_delay_alu instid0(VALU_DEP_1) | instskip(NEXT) | instid1(VALU_DEP_1)
	v_fma_f64 v[128:129], -v[44:45], v[46:47], 1.0
	v_fma_f64 v[46:47], v[46:47], v[128:129], v[46:47]
	v_div_scale_f64 v[128:129], vcc_lo, 1.0, v[42:43], 1.0
	s_delay_alu instid0(VALU_DEP_1) | instskip(NEXT) | instid1(VALU_DEP_1)
	v_mul_f64 v[130:131], v[128:129], v[46:47]
	v_fma_f64 v[44:45], -v[44:45], v[130:131], v[128:129]
	s_delay_alu instid0(VALU_DEP_1) | instskip(NEXT) | instid1(VALU_DEP_1)
	v_div_fmas_f64 v[44:45], v[44:45], v[46:47], v[130:131]
	v_div_fixup_f64 v[130:131], v[44:45], v[42:43], 1.0
	s_delay_alu instid0(VALU_DEP_1)
	v_mul_f64 v[128:129], v[40:41], v[130:131]
	v_xor_b32_e32 v131, 0x80000000, v131
.LBB62_406:
	s_and_not1_saveexec_b32 s2, s2
	s_cbranch_execz .LBB62_408
; %bb.407:
	s_delay_alu instid0(VALU_DEP_1) | instskip(SKIP_1) | instid1(VALU_DEP_2)
	v_div_scale_f64 v[40:41], null, v[128:129], v[128:129], v[130:131]
	v_div_scale_f64 v[46:47], vcc_lo, v[130:131], v[128:129], v[130:131]
	v_rcp_f64_e32 v[42:43], v[40:41]
	s_waitcnt_depctr 0xfff
	v_fma_f64 v[44:45], -v[40:41], v[42:43], 1.0
	s_delay_alu instid0(VALU_DEP_1) | instskip(NEXT) | instid1(VALU_DEP_1)
	v_fma_f64 v[42:43], v[42:43], v[44:45], v[42:43]
	v_fma_f64 v[44:45], -v[40:41], v[42:43], 1.0
	s_delay_alu instid0(VALU_DEP_1) | instskip(NEXT) | instid1(VALU_DEP_1)
	v_fma_f64 v[42:43], v[42:43], v[44:45], v[42:43]
	v_mul_f64 v[44:45], v[46:47], v[42:43]
	s_delay_alu instid0(VALU_DEP_1) | instskip(NEXT) | instid1(VALU_DEP_1)
	v_fma_f64 v[40:41], -v[40:41], v[44:45], v[46:47]
	v_div_fmas_f64 v[40:41], v[40:41], v[42:43], v[44:45]
	s_delay_alu instid0(VALU_DEP_1) | instskip(NEXT) | instid1(VALU_DEP_1)
	v_div_fixup_f64 v[40:41], v[40:41], v[128:129], v[130:131]
	v_fma_f64 v[42:43], v[130:131], v[40:41], v[128:129]
	s_delay_alu instid0(VALU_DEP_1) | instskip(NEXT) | instid1(VALU_DEP_1)
	v_div_scale_f64 v[44:45], null, v[42:43], v[42:43], 1.0
	v_rcp_f64_e32 v[46:47], v[44:45]
	s_waitcnt_depctr 0xfff
	v_fma_f64 v[128:129], -v[44:45], v[46:47], 1.0
	s_delay_alu instid0(VALU_DEP_1) | instskip(NEXT) | instid1(VALU_DEP_1)
	v_fma_f64 v[46:47], v[46:47], v[128:129], v[46:47]
	v_fma_f64 v[128:129], -v[44:45], v[46:47], 1.0
	s_delay_alu instid0(VALU_DEP_1) | instskip(SKIP_1) | instid1(VALU_DEP_1)
	v_fma_f64 v[46:47], v[46:47], v[128:129], v[46:47]
	v_div_scale_f64 v[128:129], vcc_lo, 1.0, v[42:43], 1.0
	v_mul_f64 v[130:131], v[128:129], v[46:47]
	s_delay_alu instid0(VALU_DEP_1) | instskip(NEXT) | instid1(VALU_DEP_1)
	v_fma_f64 v[44:45], -v[44:45], v[130:131], v[128:129]
	v_div_fmas_f64 v[44:45], v[44:45], v[46:47], v[130:131]
	s_delay_alu instid0(VALU_DEP_1) | instskip(NEXT) | instid1(VALU_DEP_1)
	v_div_fixup_f64 v[128:129], v[44:45], v[42:43], 1.0
	v_mul_f64 v[130:131], v[40:41], -v[128:129]
.LBB62_408:
	s_or_b32 exec_lo, exec_lo, s2
.LBB62_409:
	s_delay_alu instid0(SALU_CYCLE_1) | instskip(NEXT) | instid1(SALU_CYCLE_1)
	s_or_b32 exec_lo, exec_lo, s3
	s_mov_b32 s2, exec_lo
	v_cmpx_ne_u32_e64 v162, v136
	s_xor_b32 s2, exec_lo, s2
	s_cbranch_execz .LBB62_415
; %bb.410:
	s_mov_b32 s3, exec_lo
	v_cmpx_eq_u32_e32 19, v162
	s_cbranch_execz .LBB62_414
; %bb.411:
	v_cmp_ne_u32_e32 vcc_lo, 19, v136
	s_xor_b32 s6, s4, -1
	s_delay_alu instid0(SALU_CYCLE_1) | instskip(NEXT) | instid1(SALU_CYCLE_1)
	s_and_b32 s7, s6, vcc_lo
	s_and_saveexec_b32 s6, s7
	s_cbranch_execz .LBB62_413
; %bb.412:
	v_ashrrev_i32_e32 v137, 31, v136
	s_delay_alu instid0(VALU_DEP_1) | instskip(NEXT) | instid1(VALU_DEP_1)
	v_lshlrev_b64 v[40:41], 2, v[136:137]
	v_add_co_u32 v40, vcc_lo, v118, v40
	s_delay_alu instid0(VALU_DEP_2)
	v_add_co_ci_u32_e32 v41, vcc_lo, v119, v41, vcc_lo
	s_clause 0x1
	flat_load_b32 v42, v[40:41]
	flat_load_b32 v43, v[118:119] offset:76
	s_waitcnt vmcnt(1) lgkmcnt(1)
	flat_store_b32 v[118:119], v42 offset:76
	s_waitcnt vmcnt(0) lgkmcnt(1)
	flat_store_b32 v[40:41], v43
.LBB62_413:
	s_or_b32 exec_lo, exec_lo, s6
	v_mov_b32_e32 v162, v136
	v_mov_b32_e32 v40, v136
	scratch_store_b32 off, v40, off         ; 4-byte Folded Spill
.LBB62_414:
	s_or_b32 exec_lo, exec_lo, s3
.LBB62_415:
	s_and_not1_saveexec_b32 s2, s2
	s_cbranch_execz .LBB62_417
; %bb.416:
	v_mov_b32_e32 v162, 19
	ds_store_2addr_b64 v160, v[52:53], v[54:55] offset0:40 offset1:41
	ds_store_2addr_b64 v160, v[48:49], v[50:51] offset0:42 offset1:43
	;; [unrolled: 1-line block ×12, first 2 shown]
.LBB62_417:
	s_or_b32 exec_lo, exec_lo, s2
	s_delay_alu instid0(SALU_CYCLE_1)
	s_mov_b32 s2, exec_lo
	s_waitcnt lgkmcnt(0)
	s_waitcnt_vscnt null, 0x0
	s_barrier
	buffer_gl0_inv
	v_cmpx_lt_i32_e32 19, v162
	s_cbranch_execz .LBB62_419
; %bb.418:
	v_mul_f64 v[40:41], v[128:129], v[58:59]
	v_mul_f64 v[42:43], v[130:131], v[58:59]
	ds_load_2addr_b64 v[136:139], v160 offset0:40 offset1:41
	ds_load_2addr_b64 v[140:143], v160 offset0:42 offset1:43
	ds_load_2addr_b64 v[144:147], v160 offset0:44 offset1:45
	ds_load_2addr_b64 v[148:151], v160 offset0:46 offset1:47
	ds_load_2addr_b64 v[152:155], v160 offset0:48 offset1:49
	ds_load_2addr_b64 v[163:166], v160 offset0:50 offset1:51
	ds_load_2addr_b64 v[167:170], v160 offset0:52 offset1:53
	ds_load_2addr_b64 v[171:174], v160 offset0:54 offset1:55
	ds_load_2addr_b64 v[175:178], v160 offset0:56 offset1:57
	ds_load_2addr_b64 v[179:182], v160 offset0:58 offset1:59
	ds_load_2addr_b64 v[183:186], v160 offset0:60 offset1:61
	ds_load_2addr_b64 v[187:190], v160 offset0:62 offset1:63
	v_fma_f64 v[40:41], v[130:131], v[56:57], v[40:41]
	v_fma_f64 v[56:57], v[128:129], v[56:57], -v[42:43]
	s_waitcnt lgkmcnt(11)
	s_delay_alu instid0(VALU_DEP_2)
	v_mul_f64 v[42:43], v[138:139], v[40:41]
	v_mul_f64 v[44:45], v[136:137], v[40:41]
	s_waitcnt lgkmcnt(10)
	v_mul_f64 v[46:47], v[142:143], v[40:41]
	v_mul_f64 v[58:59], v[140:141], v[40:41]
	s_waitcnt lgkmcnt(9)
	;; [unrolled: 3-line block ×11, first 2 shown]
	v_mul_f64 v[219:220], v[189:190], v[40:41]
	v_mul_f64 v[221:222], v[187:188], v[40:41]
	v_fma_f64 v[42:43], v[136:137], v[56:57], -v[42:43]
	v_fma_f64 v[44:45], v[138:139], v[56:57], v[44:45]
	v_fma_f64 v[46:47], v[140:141], v[56:57], -v[46:47]
	v_fma_f64 v[58:59], v[142:143], v[56:57], v[58:59]
	;; [unrolled: 2-line block ×12, first 2 shown]
	v_add_f64 v[52:53], v[52:53], -v[42:43]
	v_add_f64 v[54:55], v[54:55], -v[44:45]
	;; [unrolled: 1-line block ×24, first 2 shown]
	v_dual_mov_b32 v59, v41 :: v_dual_mov_b32 v58, v40
.LBB62_419:
	s_or_b32 exec_lo, exec_lo, s2
	v_lshl_add_u32 v40, v162, 4, v160
	s_barrier
	buffer_gl0_inv
	v_mov_b32_e32 v136, 20
	ds_store_2addr_b64 v40, v[52:53], v[54:55] offset1:1
	s_waitcnt lgkmcnt(0)
	s_barrier
	buffer_gl0_inv
	ds_load_2addr_b64 v[128:131], v160 offset0:40 offset1:41
	s_cmp_lt_i32 s5, 22
	s_cbranch_scc1 .LBB62_422
; %bb.420:
	v_add3_u32 v137, v156, 0, 0x150
	v_mov_b32_e32 v136, 20
	s_mov_b32 s6, 21
	s_set_inst_prefetch_distance 0x1
	.p2align	6
.LBB62_421:                             ; =>This Inner Loop Header: Depth=1
	ds_load_2addr_b64 v[138:141], v137 offset1:1
	s_waitcnt lgkmcnt(1)
	v_cmp_gt_f64_e32 vcc_lo, 0, v[128:129]
	v_xor_b32_e32 v40, 0x80000000, v129
	v_cmp_gt_f64_e64 s2, 0, v[130:131]
	v_xor_b32_e32 v42, 0x80000000, v131
	v_add_nc_u32_e32 v137, 16, v137
	s_waitcnt lgkmcnt(0)
	v_cmp_gt_f64_e64 s3, 0, v[138:139]
	v_mov_b32_e32 v44, v138
	v_dual_mov_b32 v46, v140 :: v_dual_cndmask_b32 v41, v129, v40
	v_xor_b32_e32 v40, 0x80000000, v139
	v_cndmask_b32_e64 v43, v131, v42, s2
	v_xor_b32_e32 v42, 0x80000000, v141
	s_delay_alu instid0(VALU_DEP_3) | instskip(SKIP_2) | instid1(VALU_DEP_2)
	v_cndmask_b32_e64 v45, v139, v40, s3
	v_cmp_gt_f64_e64 s3, 0, v[140:141]
	v_cndmask_b32_e32 v40, v128, v128, vcc_lo
	v_cndmask_b32_e64 v47, v141, v42, s3
	v_cndmask_b32_e64 v42, v130, v130, s2
	s_delay_alu instid0(VALU_DEP_2) | instskip(NEXT) | instid1(VALU_DEP_2)
	v_add_f64 v[44:45], v[44:45], v[46:47]
	v_add_f64 v[40:41], v[40:41], v[42:43]
	s_delay_alu instid0(VALU_DEP_1)
	v_cmp_lt_f64_e32 vcc_lo, v[40:41], v[44:45]
	v_cndmask_b32_e32 v131, v131, v141, vcc_lo
	v_dual_cndmask_b32 v129, v129, v139 :: v_dual_cndmask_b32 v128, v128, v138
	v_cndmask_b32_e32 v130, v130, v140, vcc_lo
	v_cndmask_b32_e64 v136, v136, s6, vcc_lo
	s_add_i32 s6, s6, 1
	s_delay_alu instid0(SALU_CYCLE_1)
	s_cmp_lg_u32 s5, s6
	s_cbranch_scc1 .LBB62_421
.LBB62_422:
	s_set_inst_prefetch_distance 0x2
	s_waitcnt lgkmcnt(0)
	v_cmp_eq_f64_e32 vcc_lo, 0, v[128:129]
	v_cmp_eq_f64_e64 s2, 0, v[130:131]
	s_delay_alu instid0(VALU_DEP_1) | instskip(NEXT) | instid1(SALU_CYCLE_1)
	s_and_b32 s2, vcc_lo, s2
	s_and_saveexec_b32 s3, s2
	s_delay_alu instid0(SALU_CYCLE_1)
	s_xor_b32 s2, exec_lo, s3
; %bb.423:
	v_cmp_ne_u32_e32 vcc_lo, 0, v255
	v_cndmask_b32_e32 v255, 21, v255, vcc_lo
; %bb.424:
	s_and_not1_saveexec_b32 s3, s2
	s_cbranch_execz .LBB62_430
; %bb.425:
	v_cmp_gt_f64_e32 vcc_lo, 0, v[128:129]
	v_cmp_gt_f64_e64 s2, 0, v[130:131]
	v_xor_b32_e32 v40, 0x80000000, v129
	v_xor_b32_e32 v42, 0x80000000, v131
	s_delay_alu instid0(VALU_DEP_2) | instskip(NEXT) | instid1(VALU_DEP_2)
	v_cndmask_b32_e32 v41, v129, v40, vcc_lo
	v_cndmask_b32_e64 v43, v131, v42, s2
	v_cndmask_b32_e32 v40, v128, v128, vcc_lo
	v_cndmask_b32_e64 v42, v130, v130, s2
	s_mov_b32 s2, exec_lo
	s_delay_alu instid0(VALU_DEP_1)
	v_cmpx_ngt_f64_e32 v[40:41], v[42:43]
	s_xor_b32 s2, exec_lo, s2
	s_cbranch_execz .LBB62_427
; %bb.426:
	v_div_scale_f64 v[40:41], null, v[130:131], v[130:131], v[128:129]
	v_div_scale_f64 v[46:47], vcc_lo, v[128:129], v[130:131], v[128:129]
	s_delay_alu instid0(VALU_DEP_2) | instskip(SKIP_2) | instid1(VALU_DEP_1)
	v_rcp_f64_e32 v[42:43], v[40:41]
	s_waitcnt_depctr 0xfff
	v_fma_f64 v[44:45], -v[40:41], v[42:43], 1.0
	v_fma_f64 v[42:43], v[42:43], v[44:45], v[42:43]
	s_delay_alu instid0(VALU_DEP_1) | instskip(NEXT) | instid1(VALU_DEP_1)
	v_fma_f64 v[44:45], -v[40:41], v[42:43], 1.0
	v_fma_f64 v[42:43], v[42:43], v[44:45], v[42:43]
	s_delay_alu instid0(VALU_DEP_1) | instskip(NEXT) | instid1(VALU_DEP_1)
	v_mul_f64 v[44:45], v[46:47], v[42:43]
	v_fma_f64 v[40:41], -v[40:41], v[44:45], v[46:47]
	s_delay_alu instid0(VALU_DEP_1) | instskip(NEXT) | instid1(VALU_DEP_1)
	v_div_fmas_f64 v[40:41], v[40:41], v[42:43], v[44:45]
	v_div_fixup_f64 v[40:41], v[40:41], v[130:131], v[128:129]
	s_delay_alu instid0(VALU_DEP_1) | instskip(NEXT) | instid1(VALU_DEP_1)
	v_fma_f64 v[42:43], v[128:129], v[40:41], v[130:131]
	v_div_scale_f64 v[44:45], null, v[42:43], v[42:43], 1.0
	s_delay_alu instid0(VALU_DEP_1) | instskip(SKIP_2) | instid1(VALU_DEP_1)
	v_rcp_f64_e32 v[46:47], v[44:45]
	s_waitcnt_depctr 0xfff
	v_fma_f64 v[128:129], -v[44:45], v[46:47], 1.0
	v_fma_f64 v[46:47], v[46:47], v[128:129], v[46:47]
	s_delay_alu instid0(VALU_DEP_1) | instskip(NEXT) | instid1(VALU_DEP_1)
	v_fma_f64 v[128:129], -v[44:45], v[46:47], 1.0
	v_fma_f64 v[46:47], v[46:47], v[128:129], v[46:47]
	v_div_scale_f64 v[128:129], vcc_lo, 1.0, v[42:43], 1.0
	s_delay_alu instid0(VALU_DEP_1) | instskip(NEXT) | instid1(VALU_DEP_1)
	v_mul_f64 v[130:131], v[128:129], v[46:47]
	v_fma_f64 v[44:45], -v[44:45], v[130:131], v[128:129]
	s_delay_alu instid0(VALU_DEP_1) | instskip(NEXT) | instid1(VALU_DEP_1)
	v_div_fmas_f64 v[44:45], v[44:45], v[46:47], v[130:131]
	v_div_fixup_f64 v[130:131], v[44:45], v[42:43], 1.0
	s_delay_alu instid0(VALU_DEP_1)
	v_mul_f64 v[128:129], v[40:41], v[130:131]
	v_xor_b32_e32 v131, 0x80000000, v131
.LBB62_427:
	s_and_not1_saveexec_b32 s2, s2
	s_cbranch_execz .LBB62_429
; %bb.428:
	s_delay_alu instid0(VALU_DEP_1) | instskip(SKIP_1) | instid1(VALU_DEP_2)
	v_div_scale_f64 v[40:41], null, v[128:129], v[128:129], v[130:131]
	v_div_scale_f64 v[46:47], vcc_lo, v[130:131], v[128:129], v[130:131]
	v_rcp_f64_e32 v[42:43], v[40:41]
	s_waitcnt_depctr 0xfff
	v_fma_f64 v[44:45], -v[40:41], v[42:43], 1.0
	s_delay_alu instid0(VALU_DEP_1) | instskip(NEXT) | instid1(VALU_DEP_1)
	v_fma_f64 v[42:43], v[42:43], v[44:45], v[42:43]
	v_fma_f64 v[44:45], -v[40:41], v[42:43], 1.0
	s_delay_alu instid0(VALU_DEP_1) | instskip(NEXT) | instid1(VALU_DEP_1)
	v_fma_f64 v[42:43], v[42:43], v[44:45], v[42:43]
	v_mul_f64 v[44:45], v[46:47], v[42:43]
	s_delay_alu instid0(VALU_DEP_1) | instskip(NEXT) | instid1(VALU_DEP_1)
	v_fma_f64 v[40:41], -v[40:41], v[44:45], v[46:47]
	v_div_fmas_f64 v[40:41], v[40:41], v[42:43], v[44:45]
	s_delay_alu instid0(VALU_DEP_1) | instskip(NEXT) | instid1(VALU_DEP_1)
	v_div_fixup_f64 v[40:41], v[40:41], v[128:129], v[130:131]
	v_fma_f64 v[42:43], v[130:131], v[40:41], v[128:129]
	s_delay_alu instid0(VALU_DEP_1) | instskip(NEXT) | instid1(VALU_DEP_1)
	v_div_scale_f64 v[44:45], null, v[42:43], v[42:43], 1.0
	v_rcp_f64_e32 v[46:47], v[44:45]
	s_waitcnt_depctr 0xfff
	v_fma_f64 v[128:129], -v[44:45], v[46:47], 1.0
	s_delay_alu instid0(VALU_DEP_1) | instskip(NEXT) | instid1(VALU_DEP_1)
	v_fma_f64 v[46:47], v[46:47], v[128:129], v[46:47]
	v_fma_f64 v[128:129], -v[44:45], v[46:47], 1.0
	s_delay_alu instid0(VALU_DEP_1) | instskip(SKIP_1) | instid1(VALU_DEP_1)
	v_fma_f64 v[46:47], v[46:47], v[128:129], v[46:47]
	v_div_scale_f64 v[128:129], vcc_lo, 1.0, v[42:43], 1.0
	v_mul_f64 v[130:131], v[128:129], v[46:47]
	s_delay_alu instid0(VALU_DEP_1) | instskip(NEXT) | instid1(VALU_DEP_1)
	v_fma_f64 v[44:45], -v[44:45], v[130:131], v[128:129]
	v_div_fmas_f64 v[44:45], v[44:45], v[46:47], v[130:131]
	s_delay_alu instid0(VALU_DEP_1) | instskip(NEXT) | instid1(VALU_DEP_1)
	v_div_fixup_f64 v[128:129], v[44:45], v[42:43], 1.0
	v_mul_f64 v[130:131], v[40:41], -v[128:129]
.LBB62_429:
	s_or_b32 exec_lo, exec_lo, s2
.LBB62_430:
	s_delay_alu instid0(SALU_CYCLE_1) | instskip(NEXT) | instid1(SALU_CYCLE_1)
	s_or_b32 exec_lo, exec_lo, s3
	s_mov_b32 s2, exec_lo
	v_cmpx_ne_u32_e64 v162, v136
	s_xor_b32 s2, exec_lo, s2
	s_cbranch_execz .LBB62_436
; %bb.431:
	s_mov_b32 s3, exec_lo
	v_cmpx_eq_u32_e32 20, v162
	s_cbranch_execz .LBB62_435
; %bb.432:
	v_cmp_ne_u32_e32 vcc_lo, 20, v136
	s_xor_b32 s6, s4, -1
	s_delay_alu instid0(SALU_CYCLE_1) | instskip(NEXT) | instid1(SALU_CYCLE_1)
	s_and_b32 s7, s6, vcc_lo
	s_and_saveexec_b32 s6, s7
	s_cbranch_execz .LBB62_434
; %bb.433:
	v_ashrrev_i32_e32 v137, 31, v136
	s_delay_alu instid0(VALU_DEP_1) | instskip(NEXT) | instid1(VALU_DEP_1)
	v_lshlrev_b64 v[40:41], 2, v[136:137]
	v_add_co_u32 v40, vcc_lo, v118, v40
	s_delay_alu instid0(VALU_DEP_2)
	v_add_co_ci_u32_e32 v41, vcc_lo, v119, v41, vcc_lo
	s_clause 0x1
	flat_load_b32 v42, v[40:41]
	flat_load_b32 v43, v[118:119] offset:80
	s_waitcnt vmcnt(1) lgkmcnt(1)
	flat_store_b32 v[118:119], v42 offset:80
	s_waitcnt vmcnt(0) lgkmcnt(1)
	flat_store_b32 v[40:41], v43
.LBB62_434:
	s_or_b32 exec_lo, exec_lo, s6
	v_mov_b32_e32 v162, v136
	v_mov_b32_e32 v40, v136
	scratch_store_b32 off, v40, off         ; 4-byte Folded Spill
.LBB62_435:
	s_or_b32 exec_lo, exec_lo, s3
.LBB62_436:
	s_and_not1_saveexec_b32 s2, s2
	s_cbranch_execz .LBB62_438
; %bb.437:
	v_mov_b32_e32 v162, 20
	ds_store_2addr_b64 v160, v[48:49], v[50:51] offset0:42 offset1:43
	ds_store_2addr_b64 v160, v[36:37], v[38:39] offset0:44 offset1:45
	ds_store_2addr_b64 v160, v[32:33], v[34:35] offset0:46 offset1:47
	ds_store_2addr_b64 v160, v[28:29], v[30:31] offset0:48 offset1:49
	ds_store_2addr_b64 v160, v[24:25], v[26:27] offset0:50 offset1:51
	ds_store_2addr_b64 v160, v[20:21], v[22:23] offset0:52 offset1:53
	ds_store_2addr_b64 v160, v[16:17], v[18:19] offset0:54 offset1:55
	ds_store_2addr_b64 v160, v[12:13], v[14:15] offset0:56 offset1:57
	ds_store_2addr_b64 v160, v[8:9], v[10:11] offset0:58 offset1:59
	ds_store_2addr_b64 v160, v[4:5], v[6:7] offset0:60 offset1:61
	ds_store_2addr_b64 v160, v[0:1], v[2:3] offset0:62 offset1:63
.LBB62_438:
	s_or_b32 exec_lo, exec_lo, s2
	s_delay_alu instid0(SALU_CYCLE_1)
	s_mov_b32 s2, exec_lo
	s_waitcnt lgkmcnt(0)
	s_waitcnt_vscnt null, 0x0
	s_barrier
	buffer_gl0_inv
	v_cmpx_lt_i32_e32 20, v162
	s_cbranch_execz .LBB62_440
; %bb.439:
	v_mul_f64 v[40:41], v[128:129], v[54:55]
	v_mul_f64 v[42:43], v[130:131], v[54:55]
	ds_load_2addr_b64 v[136:139], v160 offset0:42 offset1:43
	ds_load_2addr_b64 v[140:143], v160 offset0:44 offset1:45
	;; [unrolled: 1-line block ×11, first 2 shown]
	v_fma_f64 v[40:41], v[130:131], v[52:53], v[40:41]
	v_fma_f64 v[52:53], v[128:129], v[52:53], -v[42:43]
	s_waitcnt lgkmcnt(10)
	s_delay_alu instid0(VALU_DEP_2)
	v_mul_f64 v[42:43], v[138:139], v[40:41]
	v_mul_f64 v[44:45], v[136:137], v[40:41]
	s_waitcnt lgkmcnt(9)
	v_mul_f64 v[46:47], v[142:143], v[40:41]
	v_mul_f64 v[54:55], v[140:141], v[40:41]
	s_waitcnt lgkmcnt(8)
	;; [unrolled: 3-line block ×10, first 2 shown]
	v_mul_f64 v[211:212], v[185:186], v[40:41]
	v_mul_f64 v[213:214], v[183:184], v[40:41]
	v_fma_f64 v[42:43], v[136:137], v[52:53], -v[42:43]
	v_fma_f64 v[44:45], v[138:139], v[52:53], v[44:45]
	v_fma_f64 v[46:47], v[140:141], v[52:53], -v[46:47]
	v_fma_f64 v[54:55], v[142:143], v[52:53], v[54:55]
	;; [unrolled: 2-line block ×11, first 2 shown]
	v_add_f64 v[48:49], v[48:49], -v[42:43]
	v_add_f64 v[50:51], v[50:51], -v[44:45]
	v_add_f64 v[36:37], v[36:37], -v[46:47]
	v_add_f64 v[38:39], v[38:39], -v[54:55]
	v_add_f64 v[32:33], v[32:33], -v[128:129]
	v_add_f64 v[34:35], v[34:35], -v[130:131]
	v_add_f64 v[28:29], v[28:29], -v[132:133]
	v_add_f64 v[30:31], v[30:31], -v[134:135]
	v_add_f64 v[24:25], v[24:25], -v[136:137]
	v_add_f64 v[26:27], v[26:27], -v[138:139]
	v_add_f64 v[20:21], v[20:21], -v[140:141]
	v_add_f64 v[22:23], v[22:23], -v[142:143]
	v_add_f64 v[16:17], v[16:17], -v[144:145]
	v_add_f64 v[18:19], v[18:19], -v[146:147]
	v_add_f64 v[12:13], v[12:13], -v[148:149]
	v_add_f64 v[14:15], v[14:15], -v[150:151]
	v_add_f64 v[8:9], v[8:9], -v[152:153]
	v_add_f64 v[10:11], v[10:11], -v[154:155]
	v_add_f64 v[4:5], v[4:5], -v[163:164]
	v_add_f64 v[6:7], v[6:7], -v[165:166]
	v_add_f64 v[0:1], v[0:1], -v[167:168]
	v_add_f64 v[2:3], v[2:3], -v[169:170]
	v_dual_mov_b32 v55, v41 :: v_dual_mov_b32 v54, v40
.LBB62_440:
	s_or_b32 exec_lo, exec_lo, s2
	v_lshl_add_u32 v40, v162, 4, v160
	s_barrier
	buffer_gl0_inv
	v_mov_b32_e32 v136, 21
	ds_store_2addr_b64 v40, v[48:49], v[50:51] offset1:1
	s_waitcnt lgkmcnt(0)
	s_barrier
	buffer_gl0_inv
	ds_load_2addr_b64 v[128:131], v160 offset0:42 offset1:43
	s_cmp_lt_i32 s5, 23
	s_cbranch_scc1 .LBB62_443
; %bb.441:
	v_add3_u32 v137, v156, 0, 0x160
	v_mov_b32_e32 v136, 21
	s_mov_b32 s6, 22
	s_set_inst_prefetch_distance 0x1
	.p2align	6
.LBB62_442:                             ; =>This Inner Loop Header: Depth=1
	ds_load_2addr_b64 v[138:141], v137 offset1:1
	s_waitcnt lgkmcnt(1)
	v_cmp_gt_f64_e32 vcc_lo, 0, v[128:129]
	v_xor_b32_e32 v40, 0x80000000, v129
	v_cmp_gt_f64_e64 s2, 0, v[130:131]
	v_xor_b32_e32 v42, 0x80000000, v131
	v_add_nc_u32_e32 v137, 16, v137
	s_waitcnt lgkmcnt(0)
	v_cmp_gt_f64_e64 s3, 0, v[138:139]
	v_mov_b32_e32 v44, v138
	v_dual_mov_b32 v46, v140 :: v_dual_cndmask_b32 v41, v129, v40
	v_xor_b32_e32 v40, 0x80000000, v139
	v_cndmask_b32_e64 v43, v131, v42, s2
	v_xor_b32_e32 v42, 0x80000000, v141
	s_delay_alu instid0(VALU_DEP_3) | instskip(SKIP_2) | instid1(VALU_DEP_2)
	v_cndmask_b32_e64 v45, v139, v40, s3
	v_cmp_gt_f64_e64 s3, 0, v[140:141]
	v_cndmask_b32_e32 v40, v128, v128, vcc_lo
	v_cndmask_b32_e64 v47, v141, v42, s3
	v_cndmask_b32_e64 v42, v130, v130, s2
	s_delay_alu instid0(VALU_DEP_2) | instskip(NEXT) | instid1(VALU_DEP_2)
	v_add_f64 v[44:45], v[44:45], v[46:47]
	v_add_f64 v[40:41], v[40:41], v[42:43]
	s_delay_alu instid0(VALU_DEP_1)
	v_cmp_lt_f64_e32 vcc_lo, v[40:41], v[44:45]
	v_cndmask_b32_e32 v131, v131, v141, vcc_lo
	v_dual_cndmask_b32 v129, v129, v139 :: v_dual_cndmask_b32 v128, v128, v138
	v_cndmask_b32_e32 v130, v130, v140, vcc_lo
	v_cndmask_b32_e64 v136, v136, s6, vcc_lo
	s_add_i32 s6, s6, 1
	s_delay_alu instid0(SALU_CYCLE_1)
	s_cmp_lg_u32 s5, s6
	s_cbranch_scc1 .LBB62_442
.LBB62_443:
	s_set_inst_prefetch_distance 0x2
	s_waitcnt lgkmcnt(0)
	v_cmp_eq_f64_e32 vcc_lo, 0, v[128:129]
	v_cmp_eq_f64_e64 s2, 0, v[130:131]
	s_delay_alu instid0(VALU_DEP_1) | instskip(NEXT) | instid1(SALU_CYCLE_1)
	s_and_b32 s2, vcc_lo, s2
	s_and_saveexec_b32 s3, s2
	s_delay_alu instid0(SALU_CYCLE_1)
	s_xor_b32 s2, exec_lo, s3
; %bb.444:
	v_cmp_ne_u32_e32 vcc_lo, 0, v255
	v_cndmask_b32_e32 v255, 22, v255, vcc_lo
; %bb.445:
	s_and_not1_saveexec_b32 s3, s2
	s_cbranch_execz .LBB62_451
; %bb.446:
	v_cmp_gt_f64_e32 vcc_lo, 0, v[128:129]
	v_cmp_gt_f64_e64 s2, 0, v[130:131]
	v_xor_b32_e32 v40, 0x80000000, v129
	v_xor_b32_e32 v42, 0x80000000, v131
	s_delay_alu instid0(VALU_DEP_2) | instskip(NEXT) | instid1(VALU_DEP_2)
	v_cndmask_b32_e32 v41, v129, v40, vcc_lo
	v_cndmask_b32_e64 v43, v131, v42, s2
	v_cndmask_b32_e32 v40, v128, v128, vcc_lo
	v_cndmask_b32_e64 v42, v130, v130, s2
	s_mov_b32 s2, exec_lo
	s_delay_alu instid0(VALU_DEP_1)
	v_cmpx_ngt_f64_e32 v[40:41], v[42:43]
	s_xor_b32 s2, exec_lo, s2
	s_cbranch_execz .LBB62_448
; %bb.447:
	v_div_scale_f64 v[40:41], null, v[130:131], v[130:131], v[128:129]
	v_div_scale_f64 v[46:47], vcc_lo, v[128:129], v[130:131], v[128:129]
	s_delay_alu instid0(VALU_DEP_2) | instskip(SKIP_2) | instid1(VALU_DEP_1)
	v_rcp_f64_e32 v[42:43], v[40:41]
	s_waitcnt_depctr 0xfff
	v_fma_f64 v[44:45], -v[40:41], v[42:43], 1.0
	v_fma_f64 v[42:43], v[42:43], v[44:45], v[42:43]
	s_delay_alu instid0(VALU_DEP_1) | instskip(NEXT) | instid1(VALU_DEP_1)
	v_fma_f64 v[44:45], -v[40:41], v[42:43], 1.0
	v_fma_f64 v[42:43], v[42:43], v[44:45], v[42:43]
	s_delay_alu instid0(VALU_DEP_1) | instskip(NEXT) | instid1(VALU_DEP_1)
	v_mul_f64 v[44:45], v[46:47], v[42:43]
	v_fma_f64 v[40:41], -v[40:41], v[44:45], v[46:47]
	s_delay_alu instid0(VALU_DEP_1) | instskip(NEXT) | instid1(VALU_DEP_1)
	v_div_fmas_f64 v[40:41], v[40:41], v[42:43], v[44:45]
	v_div_fixup_f64 v[40:41], v[40:41], v[130:131], v[128:129]
	s_delay_alu instid0(VALU_DEP_1) | instskip(NEXT) | instid1(VALU_DEP_1)
	v_fma_f64 v[42:43], v[128:129], v[40:41], v[130:131]
	v_div_scale_f64 v[44:45], null, v[42:43], v[42:43], 1.0
	s_delay_alu instid0(VALU_DEP_1) | instskip(SKIP_2) | instid1(VALU_DEP_1)
	v_rcp_f64_e32 v[46:47], v[44:45]
	s_waitcnt_depctr 0xfff
	v_fma_f64 v[128:129], -v[44:45], v[46:47], 1.0
	v_fma_f64 v[46:47], v[46:47], v[128:129], v[46:47]
	s_delay_alu instid0(VALU_DEP_1) | instskip(NEXT) | instid1(VALU_DEP_1)
	v_fma_f64 v[128:129], -v[44:45], v[46:47], 1.0
	v_fma_f64 v[46:47], v[46:47], v[128:129], v[46:47]
	v_div_scale_f64 v[128:129], vcc_lo, 1.0, v[42:43], 1.0
	s_delay_alu instid0(VALU_DEP_1) | instskip(NEXT) | instid1(VALU_DEP_1)
	v_mul_f64 v[130:131], v[128:129], v[46:47]
	v_fma_f64 v[44:45], -v[44:45], v[130:131], v[128:129]
	s_delay_alu instid0(VALU_DEP_1) | instskip(NEXT) | instid1(VALU_DEP_1)
	v_div_fmas_f64 v[44:45], v[44:45], v[46:47], v[130:131]
	v_div_fixup_f64 v[130:131], v[44:45], v[42:43], 1.0
	s_delay_alu instid0(VALU_DEP_1)
	v_mul_f64 v[128:129], v[40:41], v[130:131]
	v_xor_b32_e32 v131, 0x80000000, v131
.LBB62_448:
	s_and_not1_saveexec_b32 s2, s2
	s_cbranch_execz .LBB62_450
; %bb.449:
	s_delay_alu instid0(VALU_DEP_1) | instskip(SKIP_1) | instid1(VALU_DEP_2)
	v_div_scale_f64 v[40:41], null, v[128:129], v[128:129], v[130:131]
	v_div_scale_f64 v[46:47], vcc_lo, v[130:131], v[128:129], v[130:131]
	v_rcp_f64_e32 v[42:43], v[40:41]
	s_waitcnt_depctr 0xfff
	v_fma_f64 v[44:45], -v[40:41], v[42:43], 1.0
	s_delay_alu instid0(VALU_DEP_1) | instskip(NEXT) | instid1(VALU_DEP_1)
	v_fma_f64 v[42:43], v[42:43], v[44:45], v[42:43]
	v_fma_f64 v[44:45], -v[40:41], v[42:43], 1.0
	s_delay_alu instid0(VALU_DEP_1) | instskip(NEXT) | instid1(VALU_DEP_1)
	v_fma_f64 v[42:43], v[42:43], v[44:45], v[42:43]
	v_mul_f64 v[44:45], v[46:47], v[42:43]
	s_delay_alu instid0(VALU_DEP_1) | instskip(NEXT) | instid1(VALU_DEP_1)
	v_fma_f64 v[40:41], -v[40:41], v[44:45], v[46:47]
	v_div_fmas_f64 v[40:41], v[40:41], v[42:43], v[44:45]
	s_delay_alu instid0(VALU_DEP_1) | instskip(NEXT) | instid1(VALU_DEP_1)
	v_div_fixup_f64 v[40:41], v[40:41], v[128:129], v[130:131]
	v_fma_f64 v[42:43], v[130:131], v[40:41], v[128:129]
	s_delay_alu instid0(VALU_DEP_1) | instskip(NEXT) | instid1(VALU_DEP_1)
	v_div_scale_f64 v[44:45], null, v[42:43], v[42:43], 1.0
	v_rcp_f64_e32 v[46:47], v[44:45]
	s_waitcnt_depctr 0xfff
	v_fma_f64 v[128:129], -v[44:45], v[46:47], 1.0
	s_delay_alu instid0(VALU_DEP_1) | instskip(NEXT) | instid1(VALU_DEP_1)
	v_fma_f64 v[46:47], v[46:47], v[128:129], v[46:47]
	v_fma_f64 v[128:129], -v[44:45], v[46:47], 1.0
	s_delay_alu instid0(VALU_DEP_1) | instskip(SKIP_1) | instid1(VALU_DEP_1)
	v_fma_f64 v[46:47], v[46:47], v[128:129], v[46:47]
	v_div_scale_f64 v[128:129], vcc_lo, 1.0, v[42:43], 1.0
	v_mul_f64 v[130:131], v[128:129], v[46:47]
	s_delay_alu instid0(VALU_DEP_1) | instskip(NEXT) | instid1(VALU_DEP_1)
	v_fma_f64 v[44:45], -v[44:45], v[130:131], v[128:129]
	v_div_fmas_f64 v[44:45], v[44:45], v[46:47], v[130:131]
	s_delay_alu instid0(VALU_DEP_1) | instskip(NEXT) | instid1(VALU_DEP_1)
	v_div_fixup_f64 v[128:129], v[44:45], v[42:43], 1.0
	v_mul_f64 v[130:131], v[40:41], -v[128:129]
.LBB62_450:
	s_or_b32 exec_lo, exec_lo, s2
.LBB62_451:
	s_delay_alu instid0(SALU_CYCLE_1) | instskip(NEXT) | instid1(SALU_CYCLE_1)
	s_or_b32 exec_lo, exec_lo, s3
	s_mov_b32 s2, exec_lo
	v_cmpx_ne_u32_e64 v162, v136
	s_xor_b32 s2, exec_lo, s2
	s_cbranch_execz .LBB62_457
; %bb.452:
	s_mov_b32 s3, exec_lo
	v_cmpx_eq_u32_e32 21, v162
	s_cbranch_execz .LBB62_456
; %bb.453:
	v_cmp_ne_u32_e32 vcc_lo, 21, v136
	s_xor_b32 s6, s4, -1
	s_delay_alu instid0(SALU_CYCLE_1) | instskip(NEXT) | instid1(SALU_CYCLE_1)
	s_and_b32 s7, s6, vcc_lo
	s_and_saveexec_b32 s6, s7
	s_cbranch_execz .LBB62_455
; %bb.454:
	v_ashrrev_i32_e32 v137, 31, v136
	s_delay_alu instid0(VALU_DEP_1) | instskip(NEXT) | instid1(VALU_DEP_1)
	v_lshlrev_b64 v[40:41], 2, v[136:137]
	v_add_co_u32 v40, vcc_lo, v118, v40
	s_delay_alu instid0(VALU_DEP_2)
	v_add_co_ci_u32_e32 v41, vcc_lo, v119, v41, vcc_lo
	s_clause 0x1
	flat_load_b32 v42, v[40:41]
	flat_load_b32 v43, v[118:119] offset:84
	s_waitcnt vmcnt(1) lgkmcnt(1)
	flat_store_b32 v[118:119], v42 offset:84
	s_waitcnt vmcnt(0) lgkmcnt(1)
	flat_store_b32 v[40:41], v43
.LBB62_455:
	s_or_b32 exec_lo, exec_lo, s6
	v_mov_b32_e32 v162, v136
	v_mov_b32_e32 v40, v136
	scratch_store_b32 off, v40, off         ; 4-byte Folded Spill
.LBB62_456:
	s_or_b32 exec_lo, exec_lo, s3
.LBB62_457:
	s_and_not1_saveexec_b32 s2, s2
	s_cbranch_execz .LBB62_459
; %bb.458:
	v_mov_b32_e32 v162, 21
	ds_store_2addr_b64 v160, v[36:37], v[38:39] offset0:44 offset1:45
	ds_store_2addr_b64 v160, v[32:33], v[34:35] offset0:46 offset1:47
	;; [unrolled: 1-line block ×10, first 2 shown]
.LBB62_459:
	s_or_b32 exec_lo, exec_lo, s2
	s_delay_alu instid0(SALU_CYCLE_1)
	s_mov_b32 s2, exec_lo
	s_waitcnt lgkmcnt(0)
	s_waitcnt_vscnt null, 0x0
	s_barrier
	buffer_gl0_inv
	v_cmpx_lt_i32_e32 21, v162
	s_cbranch_execz .LBB62_461
; %bb.460:
	v_mul_f64 v[40:41], v[128:129], v[50:51]
	v_mul_f64 v[42:43], v[130:131], v[50:51]
	ds_load_2addr_b64 v[136:139], v160 offset0:44 offset1:45
	ds_load_2addr_b64 v[140:143], v160 offset0:46 offset1:47
	;; [unrolled: 1-line block ×10, first 2 shown]
	v_fma_f64 v[40:41], v[130:131], v[48:49], v[40:41]
	v_fma_f64 v[48:49], v[128:129], v[48:49], -v[42:43]
	s_waitcnt lgkmcnt(9)
	s_delay_alu instid0(VALU_DEP_2)
	v_mul_f64 v[42:43], v[138:139], v[40:41]
	v_mul_f64 v[44:45], v[136:137], v[40:41]
	s_waitcnt lgkmcnt(8)
	v_mul_f64 v[46:47], v[142:143], v[40:41]
	v_mul_f64 v[50:51], v[140:141], v[40:41]
	s_waitcnt lgkmcnt(7)
	;; [unrolled: 3-line block ×9, first 2 shown]
	v_mul_f64 v[203:204], v[181:182], v[40:41]
	v_mul_f64 v[205:206], v[179:180], v[40:41]
	v_fma_f64 v[42:43], v[136:137], v[48:49], -v[42:43]
	v_fma_f64 v[44:45], v[138:139], v[48:49], v[44:45]
	v_fma_f64 v[46:47], v[140:141], v[48:49], -v[46:47]
	v_fma_f64 v[50:51], v[142:143], v[48:49], v[50:51]
	;; [unrolled: 2-line block ×10, first 2 shown]
	v_add_f64 v[36:37], v[36:37], -v[42:43]
	v_add_f64 v[38:39], v[38:39], -v[44:45]
	;; [unrolled: 1-line block ×20, first 2 shown]
	v_dual_mov_b32 v51, v41 :: v_dual_mov_b32 v50, v40
.LBB62_461:
	s_or_b32 exec_lo, exec_lo, s2
	v_lshl_add_u32 v40, v162, 4, v160
	s_barrier
	buffer_gl0_inv
	v_mov_b32_e32 v136, 22
	ds_store_2addr_b64 v40, v[36:37], v[38:39] offset1:1
	s_waitcnt lgkmcnt(0)
	s_barrier
	buffer_gl0_inv
	ds_load_2addr_b64 v[128:131], v160 offset0:44 offset1:45
	s_cmp_lt_i32 s5, 24
	s_cbranch_scc1 .LBB62_464
; %bb.462:
	v_add3_u32 v137, v156, 0, 0x170
	v_mov_b32_e32 v136, 22
	s_mov_b32 s6, 23
	s_set_inst_prefetch_distance 0x1
	.p2align	6
.LBB62_463:                             ; =>This Inner Loop Header: Depth=1
	ds_load_2addr_b64 v[138:141], v137 offset1:1
	s_waitcnt lgkmcnt(1)
	v_cmp_gt_f64_e32 vcc_lo, 0, v[128:129]
	v_xor_b32_e32 v40, 0x80000000, v129
	v_cmp_gt_f64_e64 s2, 0, v[130:131]
	v_xor_b32_e32 v42, 0x80000000, v131
	v_add_nc_u32_e32 v137, 16, v137
	s_waitcnt lgkmcnt(0)
	v_cmp_gt_f64_e64 s3, 0, v[138:139]
	v_mov_b32_e32 v44, v138
	v_dual_mov_b32 v46, v140 :: v_dual_cndmask_b32 v41, v129, v40
	v_xor_b32_e32 v40, 0x80000000, v139
	v_cndmask_b32_e64 v43, v131, v42, s2
	v_xor_b32_e32 v42, 0x80000000, v141
	s_delay_alu instid0(VALU_DEP_3) | instskip(SKIP_2) | instid1(VALU_DEP_2)
	v_cndmask_b32_e64 v45, v139, v40, s3
	v_cmp_gt_f64_e64 s3, 0, v[140:141]
	v_cndmask_b32_e32 v40, v128, v128, vcc_lo
	v_cndmask_b32_e64 v47, v141, v42, s3
	v_cndmask_b32_e64 v42, v130, v130, s2
	s_delay_alu instid0(VALU_DEP_2) | instskip(NEXT) | instid1(VALU_DEP_2)
	v_add_f64 v[44:45], v[44:45], v[46:47]
	v_add_f64 v[40:41], v[40:41], v[42:43]
	s_delay_alu instid0(VALU_DEP_1)
	v_cmp_lt_f64_e32 vcc_lo, v[40:41], v[44:45]
	v_cndmask_b32_e32 v131, v131, v141, vcc_lo
	v_dual_cndmask_b32 v129, v129, v139 :: v_dual_cndmask_b32 v128, v128, v138
	v_cndmask_b32_e32 v130, v130, v140, vcc_lo
	v_cndmask_b32_e64 v136, v136, s6, vcc_lo
	s_add_i32 s6, s6, 1
	s_delay_alu instid0(SALU_CYCLE_1)
	s_cmp_lg_u32 s5, s6
	s_cbranch_scc1 .LBB62_463
.LBB62_464:
	s_set_inst_prefetch_distance 0x2
	s_waitcnt lgkmcnt(0)
	v_cmp_eq_f64_e32 vcc_lo, 0, v[128:129]
	v_cmp_eq_f64_e64 s2, 0, v[130:131]
	s_delay_alu instid0(VALU_DEP_1) | instskip(NEXT) | instid1(SALU_CYCLE_1)
	s_and_b32 s2, vcc_lo, s2
	s_and_saveexec_b32 s3, s2
	s_delay_alu instid0(SALU_CYCLE_1)
	s_xor_b32 s2, exec_lo, s3
; %bb.465:
	v_cmp_ne_u32_e32 vcc_lo, 0, v255
	v_cndmask_b32_e32 v255, 23, v255, vcc_lo
; %bb.466:
	s_and_not1_saveexec_b32 s3, s2
	s_cbranch_execz .LBB62_472
; %bb.467:
	v_cmp_gt_f64_e32 vcc_lo, 0, v[128:129]
	v_cmp_gt_f64_e64 s2, 0, v[130:131]
	v_xor_b32_e32 v40, 0x80000000, v129
	v_xor_b32_e32 v42, 0x80000000, v131
	s_delay_alu instid0(VALU_DEP_2) | instskip(NEXT) | instid1(VALU_DEP_2)
	v_cndmask_b32_e32 v41, v129, v40, vcc_lo
	v_cndmask_b32_e64 v43, v131, v42, s2
	v_cndmask_b32_e32 v40, v128, v128, vcc_lo
	v_cndmask_b32_e64 v42, v130, v130, s2
	s_mov_b32 s2, exec_lo
	s_delay_alu instid0(VALU_DEP_1)
	v_cmpx_ngt_f64_e32 v[40:41], v[42:43]
	s_xor_b32 s2, exec_lo, s2
	s_cbranch_execz .LBB62_469
; %bb.468:
	v_div_scale_f64 v[40:41], null, v[130:131], v[130:131], v[128:129]
	v_div_scale_f64 v[46:47], vcc_lo, v[128:129], v[130:131], v[128:129]
	s_delay_alu instid0(VALU_DEP_2) | instskip(SKIP_2) | instid1(VALU_DEP_1)
	v_rcp_f64_e32 v[42:43], v[40:41]
	s_waitcnt_depctr 0xfff
	v_fma_f64 v[44:45], -v[40:41], v[42:43], 1.0
	v_fma_f64 v[42:43], v[42:43], v[44:45], v[42:43]
	s_delay_alu instid0(VALU_DEP_1) | instskip(NEXT) | instid1(VALU_DEP_1)
	v_fma_f64 v[44:45], -v[40:41], v[42:43], 1.0
	v_fma_f64 v[42:43], v[42:43], v[44:45], v[42:43]
	s_delay_alu instid0(VALU_DEP_1) | instskip(NEXT) | instid1(VALU_DEP_1)
	v_mul_f64 v[44:45], v[46:47], v[42:43]
	v_fma_f64 v[40:41], -v[40:41], v[44:45], v[46:47]
	s_delay_alu instid0(VALU_DEP_1) | instskip(NEXT) | instid1(VALU_DEP_1)
	v_div_fmas_f64 v[40:41], v[40:41], v[42:43], v[44:45]
	v_div_fixup_f64 v[40:41], v[40:41], v[130:131], v[128:129]
	s_delay_alu instid0(VALU_DEP_1) | instskip(NEXT) | instid1(VALU_DEP_1)
	v_fma_f64 v[42:43], v[128:129], v[40:41], v[130:131]
	v_div_scale_f64 v[44:45], null, v[42:43], v[42:43], 1.0
	s_delay_alu instid0(VALU_DEP_1) | instskip(SKIP_2) | instid1(VALU_DEP_1)
	v_rcp_f64_e32 v[46:47], v[44:45]
	s_waitcnt_depctr 0xfff
	v_fma_f64 v[128:129], -v[44:45], v[46:47], 1.0
	v_fma_f64 v[46:47], v[46:47], v[128:129], v[46:47]
	s_delay_alu instid0(VALU_DEP_1) | instskip(NEXT) | instid1(VALU_DEP_1)
	v_fma_f64 v[128:129], -v[44:45], v[46:47], 1.0
	v_fma_f64 v[46:47], v[46:47], v[128:129], v[46:47]
	v_div_scale_f64 v[128:129], vcc_lo, 1.0, v[42:43], 1.0
	s_delay_alu instid0(VALU_DEP_1) | instskip(NEXT) | instid1(VALU_DEP_1)
	v_mul_f64 v[130:131], v[128:129], v[46:47]
	v_fma_f64 v[44:45], -v[44:45], v[130:131], v[128:129]
	s_delay_alu instid0(VALU_DEP_1) | instskip(NEXT) | instid1(VALU_DEP_1)
	v_div_fmas_f64 v[44:45], v[44:45], v[46:47], v[130:131]
	v_div_fixup_f64 v[130:131], v[44:45], v[42:43], 1.0
	s_delay_alu instid0(VALU_DEP_1)
	v_mul_f64 v[128:129], v[40:41], v[130:131]
	v_xor_b32_e32 v131, 0x80000000, v131
.LBB62_469:
	s_and_not1_saveexec_b32 s2, s2
	s_cbranch_execz .LBB62_471
; %bb.470:
	s_delay_alu instid0(VALU_DEP_1) | instskip(SKIP_1) | instid1(VALU_DEP_2)
	v_div_scale_f64 v[40:41], null, v[128:129], v[128:129], v[130:131]
	v_div_scale_f64 v[46:47], vcc_lo, v[130:131], v[128:129], v[130:131]
	v_rcp_f64_e32 v[42:43], v[40:41]
	s_waitcnt_depctr 0xfff
	v_fma_f64 v[44:45], -v[40:41], v[42:43], 1.0
	s_delay_alu instid0(VALU_DEP_1) | instskip(NEXT) | instid1(VALU_DEP_1)
	v_fma_f64 v[42:43], v[42:43], v[44:45], v[42:43]
	v_fma_f64 v[44:45], -v[40:41], v[42:43], 1.0
	s_delay_alu instid0(VALU_DEP_1) | instskip(NEXT) | instid1(VALU_DEP_1)
	v_fma_f64 v[42:43], v[42:43], v[44:45], v[42:43]
	v_mul_f64 v[44:45], v[46:47], v[42:43]
	s_delay_alu instid0(VALU_DEP_1) | instskip(NEXT) | instid1(VALU_DEP_1)
	v_fma_f64 v[40:41], -v[40:41], v[44:45], v[46:47]
	v_div_fmas_f64 v[40:41], v[40:41], v[42:43], v[44:45]
	s_delay_alu instid0(VALU_DEP_1) | instskip(NEXT) | instid1(VALU_DEP_1)
	v_div_fixup_f64 v[40:41], v[40:41], v[128:129], v[130:131]
	v_fma_f64 v[42:43], v[130:131], v[40:41], v[128:129]
	s_delay_alu instid0(VALU_DEP_1) | instskip(NEXT) | instid1(VALU_DEP_1)
	v_div_scale_f64 v[44:45], null, v[42:43], v[42:43], 1.0
	v_rcp_f64_e32 v[46:47], v[44:45]
	s_waitcnt_depctr 0xfff
	v_fma_f64 v[128:129], -v[44:45], v[46:47], 1.0
	s_delay_alu instid0(VALU_DEP_1) | instskip(NEXT) | instid1(VALU_DEP_1)
	v_fma_f64 v[46:47], v[46:47], v[128:129], v[46:47]
	v_fma_f64 v[128:129], -v[44:45], v[46:47], 1.0
	s_delay_alu instid0(VALU_DEP_1) | instskip(SKIP_1) | instid1(VALU_DEP_1)
	v_fma_f64 v[46:47], v[46:47], v[128:129], v[46:47]
	v_div_scale_f64 v[128:129], vcc_lo, 1.0, v[42:43], 1.0
	v_mul_f64 v[130:131], v[128:129], v[46:47]
	s_delay_alu instid0(VALU_DEP_1) | instskip(NEXT) | instid1(VALU_DEP_1)
	v_fma_f64 v[44:45], -v[44:45], v[130:131], v[128:129]
	v_div_fmas_f64 v[44:45], v[44:45], v[46:47], v[130:131]
	s_delay_alu instid0(VALU_DEP_1) | instskip(NEXT) | instid1(VALU_DEP_1)
	v_div_fixup_f64 v[128:129], v[44:45], v[42:43], 1.0
	v_mul_f64 v[130:131], v[40:41], -v[128:129]
.LBB62_471:
	s_or_b32 exec_lo, exec_lo, s2
.LBB62_472:
	s_delay_alu instid0(SALU_CYCLE_1) | instskip(NEXT) | instid1(SALU_CYCLE_1)
	s_or_b32 exec_lo, exec_lo, s3
	s_mov_b32 s2, exec_lo
	v_cmpx_ne_u32_e64 v162, v136
	s_xor_b32 s2, exec_lo, s2
	s_cbranch_execz .LBB62_478
; %bb.473:
	s_mov_b32 s3, exec_lo
	v_cmpx_eq_u32_e32 22, v162
	s_cbranch_execz .LBB62_477
; %bb.474:
	v_cmp_ne_u32_e32 vcc_lo, 22, v136
	s_xor_b32 s6, s4, -1
	s_delay_alu instid0(SALU_CYCLE_1) | instskip(NEXT) | instid1(SALU_CYCLE_1)
	s_and_b32 s7, s6, vcc_lo
	s_and_saveexec_b32 s6, s7
	s_cbranch_execz .LBB62_476
; %bb.475:
	v_ashrrev_i32_e32 v137, 31, v136
	s_delay_alu instid0(VALU_DEP_1) | instskip(NEXT) | instid1(VALU_DEP_1)
	v_lshlrev_b64 v[40:41], 2, v[136:137]
	v_add_co_u32 v40, vcc_lo, v118, v40
	s_delay_alu instid0(VALU_DEP_2)
	v_add_co_ci_u32_e32 v41, vcc_lo, v119, v41, vcc_lo
	s_clause 0x1
	flat_load_b32 v42, v[40:41]
	flat_load_b32 v43, v[118:119] offset:88
	s_waitcnt vmcnt(1) lgkmcnt(1)
	flat_store_b32 v[118:119], v42 offset:88
	s_waitcnt vmcnt(0) lgkmcnt(1)
	flat_store_b32 v[40:41], v43
.LBB62_476:
	s_or_b32 exec_lo, exec_lo, s6
	v_mov_b32_e32 v162, v136
	v_mov_b32_e32 v40, v136
	scratch_store_b32 off, v40, off         ; 4-byte Folded Spill
.LBB62_477:
	s_or_b32 exec_lo, exec_lo, s3
.LBB62_478:
	s_and_not1_saveexec_b32 s2, s2
	s_cbranch_execz .LBB62_480
; %bb.479:
	v_mov_b32_e32 v162, 22
	ds_store_2addr_b64 v160, v[32:33], v[34:35] offset0:46 offset1:47
	ds_store_2addr_b64 v160, v[28:29], v[30:31] offset0:48 offset1:49
	;; [unrolled: 1-line block ×9, first 2 shown]
.LBB62_480:
	s_or_b32 exec_lo, exec_lo, s2
	s_delay_alu instid0(SALU_CYCLE_1)
	s_mov_b32 s2, exec_lo
	s_waitcnt lgkmcnt(0)
	s_waitcnt_vscnt null, 0x0
	s_barrier
	buffer_gl0_inv
	v_cmpx_lt_i32_e32 22, v162
	s_cbranch_execz .LBB62_482
; %bb.481:
	v_mul_f64 v[40:41], v[128:129], v[38:39]
	v_mul_f64 v[38:39], v[130:131], v[38:39]
	ds_load_2addr_b64 v[136:139], v160 offset0:46 offset1:47
	ds_load_2addr_b64 v[140:143], v160 offset0:48 offset1:49
	;; [unrolled: 1-line block ×9, first 2 shown]
	v_fma_f64 v[40:41], v[130:131], v[36:37], v[40:41]
	v_fma_f64 v[36:37], v[128:129], v[36:37], -v[38:39]
	s_waitcnt lgkmcnt(8)
	s_delay_alu instid0(VALU_DEP_2)
	v_mul_f64 v[38:39], v[138:139], v[40:41]
	v_mul_f64 v[42:43], v[136:137], v[40:41]
	s_waitcnt lgkmcnt(7)
	v_mul_f64 v[44:45], v[142:143], v[40:41]
	v_mul_f64 v[46:47], v[140:141], v[40:41]
	s_waitcnt lgkmcnt(6)
	;; [unrolled: 3-line block ×8, first 2 shown]
	v_mul_f64 v[195:196], v[177:178], v[40:41]
	v_mul_f64 v[197:198], v[175:176], v[40:41]
	v_fma_f64 v[38:39], v[136:137], v[36:37], -v[38:39]
	v_fma_f64 v[42:43], v[138:139], v[36:37], v[42:43]
	v_fma_f64 v[44:45], v[140:141], v[36:37], -v[44:45]
	v_fma_f64 v[46:47], v[142:143], v[36:37], v[46:47]
	;; [unrolled: 2-line block ×9, first 2 shown]
	v_add_f64 v[32:33], v[32:33], -v[38:39]
	v_add_f64 v[34:35], v[34:35], -v[42:43]
	v_add_f64 v[28:29], v[28:29], -v[44:45]
	v_add_f64 v[30:31], v[30:31], -v[46:47]
	v_add_f64 v[24:25], v[24:25], -v[128:129]
	v_add_f64 v[26:27], v[26:27], -v[130:131]
	v_add_f64 v[20:21], v[20:21], -v[132:133]
	v_add_f64 v[22:23], v[22:23], -v[134:135]
	v_add_f64 v[16:17], v[16:17], -v[136:137]
	v_add_f64 v[18:19], v[18:19], -v[138:139]
	v_add_f64 v[12:13], v[12:13], -v[140:141]
	v_add_f64 v[14:15], v[14:15], -v[142:143]
	v_add_f64 v[8:9], v[8:9], -v[144:145]
	v_add_f64 v[10:11], v[10:11], -v[146:147]
	v_add_f64 v[4:5], v[4:5], -v[148:149]
	v_add_f64 v[6:7], v[6:7], -v[150:151]
	v_add_f64 v[0:1], v[0:1], -v[152:153]
	v_add_f64 v[2:3], v[2:3], -v[154:155]
	v_dual_mov_b32 v38, v40 :: v_dual_mov_b32 v39, v41
.LBB62_482:
	s_or_b32 exec_lo, exec_lo, s2
	v_lshl_add_u32 v40, v162, 4, v160
	s_barrier
	buffer_gl0_inv
	v_mov_b32_e32 v136, 23
	ds_store_2addr_b64 v40, v[32:33], v[34:35] offset1:1
	s_waitcnt lgkmcnt(0)
	s_barrier
	buffer_gl0_inv
	ds_load_2addr_b64 v[128:131], v160 offset0:46 offset1:47
	s_cmp_lt_i32 s5, 25
	s_cbranch_scc1 .LBB62_485
; %bb.483:
	v_add3_u32 v137, v156, 0, 0x180
	v_mov_b32_e32 v136, 23
	s_mov_b32 s6, 24
	s_set_inst_prefetch_distance 0x1
	.p2align	6
.LBB62_484:                             ; =>This Inner Loop Header: Depth=1
	ds_load_2addr_b64 v[138:141], v137 offset1:1
	s_waitcnt lgkmcnt(1)
	v_cmp_gt_f64_e32 vcc_lo, 0, v[128:129]
	v_xor_b32_e32 v40, 0x80000000, v129
	v_cmp_gt_f64_e64 s2, 0, v[130:131]
	v_xor_b32_e32 v42, 0x80000000, v131
	v_add_nc_u32_e32 v137, 16, v137
	s_waitcnt lgkmcnt(0)
	v_cmp_gt_f64_e64 s3, 0, v[138:139]
	v_mov_b32_e32 v44, v138
	v_dual_mov_b32 v46, v140 :: v_dual_cndmask_b32 v41, v129, v40
	v_xor_b32_e32 v40, 0x80000000, v139
	v_cndmask_b32_e64 v43, v131, v42, s2
	v_xor_b32_e32 v42, 0x80000000, v141
	s_delay_alu instid0(VALU_DEP_3) | instskip(SKIP_2) | instid1(VALU_DEP_2)
	v_cndmask_b32_e64 v45, v139, v40, s3
	v_cmp_gt_f64_e64 s3, 0, v[140:141]
	v_cndmask_b32_e32 v40, v128, v128, vcc_lo
	v_cndmask_b32_e64 v47, v141, v42, s3
	v_cndmask_b32_e64 v42, v130, v130, s2
	s_delay_alu instid0(VALU_DEP_2) | instskip(NEXT) | instid1(VALU_DEP_2)
	v_add_f64 v[44:45], v[44:45], v[46:47]
	v_add_f64 v[40:41], v[40:41], v[42:43]
	s_delay_alu instid0(VALU_DEP_1)
	v_cmp_lt_f64_e32 vcc_lo, v[40:41], v[44:45]
	v_cndmask_b32_e32 v131, v131, v141, vcc_lo
	v_dual_cndmask_b32 v129, v129, v139 :: v_dual_cndmask_b32 v128, v128, v138
	v_cndmask_b32_e32 v130, v130, v140, vcc_lo
	v_cndmask_b32_e64 v136, v136, s6, vcc_lo
	s_add_i32 s6, s6, 1
	s_delay_alu instid0(SALU_CYCLE_1)
	s_cmp_lg_u32 s5, s6
	s_cbranch_scc1 .LBB62_484
.LBB62_485:
	s_set_inst_prefetch_distance 0x2
	s_waitcnt lgkmcnt(0)
	v_cmp_eq_f64_e32 vcc_lo, 0, v[128:129]
	v_cmp_eq_f64_e64 s2, 0, v[130:131]
	s_delay_alu instid0(VALU_DEP_1) | instskip(NEXT) | instid1(SALU_CYCLE_1)
	s_and_b32 s2, vcc_lo, s2
	s_and_saveexec_b32 s3, s2
	s_delay_alu instid0(SALU_CYCLE_1)
	s_xor_b32 s2, exec_lo, s3
; %bb.486:
	v_cmp_ne_u32_e32 vcc_lo, 0, v255
	v_cndmask_b32_e32 v255, 24, v255, vcc_lo
; %bb.487:
	s_and_not1_saveexec_b32 s3, s2
	s_cbranch_execz .LBB62_493
; %bb.488:
	v_cmp_gt_f64_e32 vcc_lo, 0, v[128:129]
	v_cmp_gt_f64_e64 s2, 0, v[130:131]
	v_xor_b32_e32 v40, 0x80000000, v129
	v_xor_b32_e32 v42, 0x80000000, v131
	s_delay_alu instid0(VALU_DEP_2) | instskip(NEXT) | instid1(VALU_DEP_2)
	v_cndmask_b32_e32 v41, v129, v40, vcc_lo
	v_cndmask_b32_e64 v43, v131, v42, s2
	v_cndmask_b32_e32 v40, v128, v128, vcc_lo
	v_cndmask_b32_e64 v42, v130, v130, s2
	s_mov_b32 s2, exec_lo
	s_delay_alu instid0(VALU_DEP_1)
	v_cmpx_ngt_f64_e32 v[40:41], v[42:43]
	s_xor_b32 s2, exec_lo, s2
	s_cbranch_execz .LBB62_490
; %bb.489:
	v_div_scale_f64 v[40:41], null, v[130:131], v[130:131], v[128:129]
	v_div_scale_f64 v[46:47], vcc_lo, v[128:129], v[130:131], v[128:129]
	s_delay_alu instid0(VALU_DEP_2) | instskip(SKIP_2) | instid1(VALU_DEP_1)
	v_rcp_f64_e32 v[42:43], v[40:41]
	s_waitcnt_depctr 0xfff
	v_fma_f64 v[44:45], -v[40:41], v[42:43], 1.0
	v_fma_f64 v[42:43], v[42:43], v[44:45], v[42:43]
	s_delay_alu instid0(VALU_DEP_1) | instskip(NEXT) | instid1(VALU_DEP_1)
	v_fma_f64 v[44:45], -v[40:41], v[42:43], 1.0
	v_fma_f64 v[42:43], v[42:43], v[44:45], v[42:43]
	s_delay_alu instid0(VALU_DEP_1) | instskip(NEXT) | instid1(VALU_DEP_1)
	v_mul_f64 v[44:45], v[46:47], v[42:43]
	v_fma_f64 v[40:41], -v[40:41], v[44:45], v[46:47]
	s_delay_alu instid0(VALU_DEP_1) | instskip(NEXT) | instid1(VALU_DEP_1)
	v_div_fmas_f64 v[40:41], v[40:41], v[42:43], v[44:45]
	v_div_fixup_f64 v[40:41], v[40:41], v[130:131], v[128:129]
	s_delay_alu instid0(VALU_DEP_1) | instskip(NEXT) | instid1(VALU_DEP_1)
	v_fma_f64 v[42:43], v[128:129], v[40:41], v[130:131]
	v_div_scale_f64 v[44:45], null, v[42:43], v[42:43], 1.0
	s_delay_alu instid0(VALU_DEP_1) | instskip(SKIP_2) | instid1(VALU_DEP_1)
	v_rcp_f64_e32 v[46:47], v[44:45]
	s_waitcnt_depctr 0xfff
	v_fma_f64 v[128:129], -v[44:45], v[46:47], 1.0
	v_fma_f64 v[46:47], v[46:47], v[128:129], v[46:47]
	s_delay_alu instid0(VALU_DEP_1) | instskip(NEXT) | instid1(VALU_DEP_1)
	v_fma_f64 v[128:129], -v[44:45], v[46:47], 1.0
	v_fma_f64 v[46:47], v[46:47], v[128:129], v[46:47]
	v_div_scale_f64 v[128:129], vcc_lo, 1.0, v[42:43], 1.0
	s_delay_alu instid0(VALU_DEP_1) | instskip(NEXT) | instid1(VALU_DEP_1)
	v_mul_f64 v[130:131], v[128:129], v[46:47]
	v_fma_f64 v[44:45], -v[44:45], v[130:131], v[128:129]
	s_delay_alu instid0(VALU_DEP_1) | instskip(NEXT) | instid1(VALU_DEP_1)
	v_div_fmas_f64 v[44:45], v[44:45], v[46:47], v[130:131]
	v_div_fixup_f64 v[130:131], v[44:45], v[42:43], 1.0
	s_delay_alu instid0(VALU_DEP_1)
	v_mul_f64 v[128:129], v[40:41], v[130:131]
	v_xor_b32_e32 v131, 0x80000000, v131
.LBB62_490:
	s_and_not1_saveexec_b32 s2, s2
	s_cbranch_execz .LBB62_492
; %bb.491:
	s_delay_alu instid0(VALU_DEP_1) | instskip(SKIP_1) | instid1(VALU_DEP_2)
	v_div_scale_f64 v[40:41], null, v[128:129], v[128:129], v[130:131]
	v_div_scale_f64 v[46:47], vcc_lo, v[130:131], v[128:129], v[130:131]
	v_rcp_f64_e32 v[42:43], v[40:41]
	s_waitcnt_depctr 0xfff
	v_fma_f64 v[44:45], -v[40:41], v[42:43], 1.0
	s_delay_alu instid0(VALU_DEP_1) | instskip(NEXT) | instid1(VALU_DEP_1)
	v_fma_f64 v[42:43], v[42:43], v[44:45], v[42:43]
	v_fma_f64 v[44:45], -v[40:41], v[42:43], 1.0
	s_delay_alu instid0(VALU_DEP_1) | instskip(NEXT) | instid1(VALU_DEP_1)
	v_fma_f64 v[42:43], v[42:43], v[44:45], v[42:43]
	v_mul_f64 v[44:45], v[46:47], v[42:43]
	s_delay_alu instid0(VALU_DEP_1) | instskip(NEXT) | instid1(VALU_DEP_1)
	v_fma_f64 v[40:41], -v[40:41], v[44:45], v[46:47]
	v_div_fmas_f64 v[40:41], v[40:41], v[42:43], v[44:45]
	s_delay_alu instid0(VALU_DEP_1) | instskip(NEXT) | instid1(VALU_DEP_1)
	v_div_fixup_f64 v[40:41], v[40:41], v[128:129], v[130:131]
	v_fma_f64 v[42:43], v[130:131], v[40:41], v[128:129]
	s_delay_alu instid0(VALU_DEP_1) | instskip(NEXT) | instid1(VALU_DEP_1)
	v_div_scale_f64 v[44:45], null, v[42:43], v[42:43], 1.0
	v_rcp_f64_e32 v[46:47], v[44:45]
	s_waitcnt_depctr 0xfff
	v_fma_f64 v[128:129], -v[44:45], v[46:47], 1.0
	s_delay_alu instid0(VALU_DEP_1) | instskip(NEXT) | instid1(VALU_DEP_1)
	v_fma_f64 v[46:47], v[46:47], v[128:129], v[46:47]
	v_fma_f64 v[128:129], -v[44:45], v[46:47], 1.0
	s_delay_alu instid0(VALU_DEP_1) | instskip(SKIP_1) | instid1(VALU_DEP_1)
	v_fma_f64 v[46:47], v[46:47], v[128:129], v[46:47]
	v_div_scale_f64 v[128:129], vcc_lo, 1.0, v[42:43], 1.0
	v_mul_f64 v[130:131], v[128:129], v[46:47]
	s_delay_alu instid0(VALU_DEP_1) | instskip(NEXT) | instid1(VALU_DEP_1)
	v_fma_f64 v[44:45], -v[44:45], v[130:131], v[128:129]
	v_div_fmas_f64 v[44:45], v[44:45], v[46:47], v[130:131]
	s_delay_alu instid0(VALU_DEP_1) | instskip(NEXT) | instid1(VALU_DEP_1)
	v_div_fixup_f64 v[128:129], v[44:45], v[42:43], 1.0
	v_mul_f64 v[130:131], v[40:41], -v[128:129]
.LBB62_492:
	s_or_b32 exec_lo, exec_lo, s2
.LBB62_493:
	s_delay_alu instid0(SALU_CYCLE_1) | instskip(NEXT) | instid1(SALU_CYCLE_1)
	s_or_b32 exec_lo, exec_lo, s3
	s_mov_b32 s2, exec_lo
	v_cmpx_ne_u32_e64 v162, v136
	s_xor_b32 s2, exec_lo, s2
	s_cbranch_execz .LBB62_499
; %bb.494:
	s_mov_b32 s3, exec_lo
	v_cmpx_eq_u32_e32 23, v162
	s_cbranch_execz .LBB62_498
; %bb.495:
	v_cmp_ne_u32_e32 vcc_lo, 23, v136
	s_xor_b32 s6, s4, -1
	s_delay_alu instid0(SALU_CYCLE_1) | instskip(NEXT) | instid1(SALU_CYCLE_1)
	s_and_b32 s7, s6, vcc_lo
	s_and_saveexec_b32 s6, s7
	s_cbranch_execz .LBB62_497
; %bb.496:
	v_ashrrev_i32_e32 v137, 31, v136
	s_delay_alu instid0(VALU_DEP_1) | instskip(NEXT) | instid1(VALU_DEP_1)
	v_lshlrev_b64 v[40:41], 2, v[136:137]
	v_add_co_u32 v40, vcc_lo, v118, v40
	s_delay_alu instid0(VALU_DEP_2)
	v_add_co_ci_u32_e32 v41, vcc_lo, v119, v41, vcc_lo
	s_clause 0x1
	flat_load_b32 v42, v[40:41]
	flat_load_b32 v43, v[118:119] offset:92
	s_waitcnt vmcnt(1) lgkmcnt(1)
	flat_store_b32 v[118:119], v42 offset:92
	s_waitcnt vmcnt(0) lgkmcnt(1)
	flat_store_b32 v[40:41], v43
.LBB62_497:
	s_or_b32 exec_lo, exec_lo, s6
	v_mov_b32_e32 v162, v136
	v_mov_b32_e32 v40, v136
	scratch_store_b32 off, v40, off         ; 4-byte Folded Spill
.LBB62_498:
	s_or_b32 exec_lo, exec_lo, s3
.LBB62_499:
	s_and_not1_saveexec_b32 s2, s2
	s_cbranch_execz .LBB62_501
; %bb.500:
	v_mov_b32_e32 v162, 23
	ds_store_2addr_b64 v160, v[28:29], v[30:31] offset0:48 offset1:49
	ds_store_2addr_b64 v160, v[24:25], v[26:27] offset0:50 offset1:51
	;; [unrolled: 1-line block ×8, first 2 shown]
.LBB62_501:
	s_or_b32 exec_lo, exec_lo, s2
	s_delay_alu instid0(SALU_CYCLE_1)
	s_mov_b32 s2, exec_lo
	s_waitcnt lgkmcnt(0)
	s_waitcnt_vscnt null, 0x0
	s_barrier
	buffer_gl0_inv
	v_cmpx_lt_i32_e32 23, v162
	s_cbranch_execz .LBB62_503
; %bb.502:
	v_mul_f64 v[40:41], v[128:129], v[34:35]
	v_mul_f64 v[34:35], v[130:131], v[34:35]
	ds_load_2addr_b64 v[136:139], v160 offset0:48 offset1:49
	ds_load_2addr_b64 v[140:143], v160 offset0:50 offset1:51
	;; [unrolled: 1-line block ×8, first 2 shown]
	v_fma_f64 v[40:41], v[130:131], v[32:33], v[40:41]
	v_fma_f64 v[32:33], v[128:129], v[32:33], -v[34:35]
	s_waitcnt lgkmcnt(7)
	s_delay_alu instid0(VALU_DEP_2)
	v_mul_f64 v[34:35], v[138:139], v[40:41]
	v_mul_f64 v[42:43], v[136:137], v[40:41]
	s_waitcnt lgkmcnt(6)
	v_mul_f64 v[44:45], v[142:143], v[40:41]
	v_mul_f64 v[46:47], v[140:141], v[40:41]
	s_waitcnt lgkmcnt(5)
	;; [unrolled: 3-line block ×7, first 2 shown]
	v_mul_f64 v[187:188], v[173:174], v[40:41]
	v_mul_f64 v[189:190], v[171:172], v[40:41]
	v_fma_f64 v[34:35], v[136:137], v[32:33], -v[34:35]
	v_fma_f64 v[42:43], v[138:139], v[32:33], v[42:43]
	v_fma_f64 v[44:45], v[140:141], v[32:33], -v[44:45]
	v_fma_f64 v[46:47], v[142:143], v[32:33], v[46:47]
	;; [unrolled: 2-line block ×8, first 2 shown]
	v_add_f64 v[28:29], v[28:29], -v[34:35]
	v_add_f64 v[30:31], v[30:31], -v[42:43]
	;; [unrolled: 1-line block ×16, first 2 shown]
	v_dual_mov_b32 v34, v40 :: v_dual_mov_b32 v35, v41
.LBB62_503:
	s_or_b32 exec_lo, exec_lo, s2
	v_lshl_add_u32 v40, v162, 4, v160
	s_barrier
	buffer_gl0_inv
	v_mov_b32_e32 v136, 24
	ds_store_2addr_b64 v40, v[28:29], v[30:31] offset1:1
	s_waitcnt lgkmcnt(0)
	s_barrier
	buffer_gl0_inv
	ds_load_2addr_b64 v[128:131], v160 offset0:48 offset1:49
	s_cmp_lt_i32 s5, 26
	s_cbranch_scc1 .LBB62_506
; %bb.504:
	v_add3_u32 v137, v156, 0, 0x190
	v_mov_b32_e32 v136, 24
	s_mov_b32 s6, 25
	s_set_inst_prefetch_distance 0x1
	.p2align	6
.LBB62_505:                             ; =>This Inner Loop Header: Depth=1
	ds_load_2addr_b64 v[138:141], v137 offset1:1
	s_waitcnt lgkmcnt(1)
	v_cmp_gt_f64_e32 vcc_lo, 0, v[128:129]
	v_xor_b32_e32 v40, 0x80000000, v129
	v_cmp_gt_f64_e64 s2, 0, v[130:131]
	v_xor_b32_e32 v42, 0x80000000, v131
	v_add_nc_u32_e32 v137, 16, v137
	s_waitcnt lgkmcnt(0)
	v_cmp_gt_f64_e64 s3, 0, v[138:139]
	v_mov_b32_e32 v44, v138
	v_dual_mov_b32 v46, v140 :: v_dual_cndmask_b32 v41, v129, v40
	v_xor_b32_e32 v40, 0x80000000, v139
	v_cndmask_b32_e64 v43, v131, v42, s2
	v_xor_b32_e32 v42, 0x80000000, v141
	s_delay_alu instid0(VALU_DEP_3) | instskip(SKIP_2) | instid1(VALU_DEP_2)
	v_cndmask_b32_e64 v45, v139, v40, s3
	v_cmp_gt_f64_e64 s3, 0, v[140:141]
	v_cndmask_b32_e32 v40, v128, v128, vcc_lo
	v_cndmask_b32_e64 v47, v141, v42, s3
	v_cndmask_b32_e64 v42, v130, v130, s2
	s_delay_alu instid0(VALU_DEP_2) | instskip(NEXT) | instid1(VALU_DEP_2)
	v_add_f64 v[44:45], v[44:45], v[46:47]
	v_add_f64 v[40:41], v[40:41], v[42:43]
	s_delay_alu instid0(VALU_DEP_1)
	v_cmp_lt_f64_e32 vcc_lo, v[40:41], v[44:45]
	v_cndmask_b32_e32 v131, v131, v141, vcc_lo
	v_dual_cndmask_b32 v129, v129, v139 :: v_dual_cndmask_b32 v128, v128, v138
	v_cndmask_b32_e32 v130, v130, v140, vcc_lo
	v_cndmask_b32_e64 v136, v136, s6, vcc_lo
	s_add_i32 s6, s6, 1
	s_delay_alu instid0(SALU_CYCLE_1)
	s_cmp_lg_u32 s5, s6
	s_cbranch_scc1 .LBB62_505
.LBB62_506:
	s_set_inst_prefetch_distance 0x2
	s_waitcnt lgkmcnt(0)
	v_cmp_eq_f64_e32 vcc_lo, 0, v[128:129]
	v_cmp_eq_f64_e64 s2, 0, v[130:131]
	s_delay_alu instid0(VALU_DEP_1) | instskip(NEXT) | instid1(SALU_CYCLE_1)
	s_and_b32 s2, vcc_lo, s2
	s_and_saveexec_b32 s3, s2
	s_delay_alu instid0(SALU_CYCLE_1)
	s_xor_b32 s2, exec_lo, s3
; %bb.507:
	v_cmp_ne_u32_e32 vcc_lo, 0, v255
	v_cndmask_b32_e32 v255, 25, v255, vcc_lo
; %bb.508:
	s_and_not1_saveexec_b32 s3, s2
	s_cbranch_execz .LBB62_514
; %bb.509:
	v_cmp_gt_f64_e32 vcc_lo, 0, v[128:129]
	v_cmp_gt_f64_e64 s2, 0, v[130:131]
	v_xor_b32_e32 v40, 0x80000000, v129
	v_xor_b32_e32 v42, 0x80000000, v131
	s_delay_alu instid0(VALU_DEP_2) | instskip(NEXT) | instid1(VALU_DEP_2)
	v_cndmask_b32_e32 v41, v129, v40, vcc_lo
	v_cndmask_b32_e64 v43, v131, v42, s2
	v_cndmask_b32_e32 v40, v128, v128, vcc_lo
	v_cndmask_b32_e64 v42, v130, v130, s2
	s_mov_b32 s2, exec_lo
	s_delay_alu instid0(VALU_DEP_1)
	v_cmpx_ngt_f64_e32 v[40:41], v[42:43]
	s_xor_b32 s2, exec_lo, s2
	s_cbranch_execz .LBB62_511
; %bb.510:
	v_div_scale_f64 v[40:41], null, v[130:131], v[130:131], v[128:129]
	v_div_scale_f64 v[46:47], vcc_lo, v[128:129], v[130:131], v[128:129]
	s_delay_alu instid0(VALU_DEP_2) | instskip(SKIP_2) | instid1(VALU_DEP_1)
	v_rcp_f64_e32 v[42:43], v[40:41]
	s_waitcnt_depctr 0xfff
	v_fma_f64 v[44:45], -v[40:41], v[42:43], 1.0
	v_fma_f64 v[42:43], v[42:43], v[44:45], v[42:43]
	s_delay_alu instid0(VALU_DEP_1) | instskip(NEXT) | instid1(VALU_DEP_1)
	v_fma_f64 v[44:45], -v[40:41], v[42:43], 1.0
	v_fma_f64 v[42:43], v[42:43], v[44:45], v[42:43]
	s_delay_alu instid0(VALU_DEP_1) | instskip(NEXT) | instid1(VALU_DEP_1)
	v_mul_f64 v[44:45], v[46:47], v[42:43]
	v_fma_f64 v[40:41], -v[40:41], v[44:45], v[46:47]
	s_delay_alu instid0(VALU_DEP_1) | instskip(NEXT) | instid1(VALU_DEP_1)
	v_div_fmas_f64 v[40:41], v[40:41], v[42:43], v[44:45]
	v_div_fixup_f64 v[40:41], v[40:41], v[130:131], v[128:129]
	s_delay_alu instid0(VALU_DEP_1) | instskip(NEXT) | instid1(VALU_DEP_1)
	v_fma_f64 v[42:43], v[128:129], v[40:41], v[130:131]
	v_div_scale_f64 v[44:45], null, v[42:43], v[42:43], 1.0
	s_delay_alu instid0(VALU_DEP_1) | instskip(SKIP_2) | instid1(VALU_DEP_1)
	v_rcp_f64_e32 v[46:47], v[44:45]
	s_waitcnt_depctr 0xfff
	v_fma_f64 v[128:129], -v[44:45], v[46:47], 1.0
	v_fma_f64 v[46:47], v[46:47], v[128:129], v[46:47]
	s_delay_alu instid0(VALU_DEP_1) | instskip(NEXT) | instid1(VALU_DEP_1)
	v_fma_f64 v[128:129], -v[44:45], v[46:47], 1.0
	v_fma_f64 v[46:47], v[46:47], v[128:129], v[46:47]
	v_div_scale_f64 v[128:129], vcc_lo, 1.0, v[42:43], 1.0
	s_delay_alu instid0(VALU_DEP_1) | instskip(NEXT) | instid1(VALU_DEP_1)
	v_mul_f64 v[130:131], v[128:129], v[46:47]
	v_fma_f64 v[44:45], -v[44:45], v[130:131], v[128:129]
	s_delay_alu instid0(VALU_DEP_1) | instskip(NEXT) | instid1(VALU_DEP_1)
	v_div_fmas_f64 v[44:45], v[44:45], v[46:47], v[130:131]
	v_div_fixup_f64 v[130:131], v[44:45], v[42:43], 1.0
	s_delay_alu instid0(VALU_DEP_1)
	v_mul_f64 v[128:129], v[40:41], v[130:131]
	v_xor_b32_e32 v131, 0x80000000, v131
.LBB62_511:
	s_and_not1_saveexec_b32 s2, s2
	s_cbranch_execz .LBB62_513
; %bb.512:
	s_delay_alu instid0(VALU_DEP_1) | instskip(SKIP_1) | instid1(VALU_DEP_2)
	v_div_scale_f64 v[40:41], null, v[128:129], v[128:129], v[130:131]
	v_div_scale_f64 v[46:47], vcc_lo, v[130:131], v[128:129], v[130:131]
	v_rcp_f64_e32 v[42:43], v[40:41]
	s_waitcnt_depctr 0xfff
	v_fma_f64 v[44:45], -v[40:41], v[42:43], 1.0
	s_delay_alu instid0(VALU_DEP_1) | instskip(NEXT) | instid1(VALU_DEP_1)
	v_fma_f64 v[42:43], v[42:43], v[44:45], v[42:43]
	v_fma_f64 v[44:45], -v[40:41], v[42:43], 1.0
	s_delay_alu instid0(VALU_DEP_1) | instskip(NEXT) | instid1(VALU_DEP_1)
	v_fma_f64 v[42:43], v[42:43], v[44:45], v[42:43]
	v_mul_f64 v[44:45], v[46:47], v[42:43]
	s_delay_alu instid0(VALU_DEP_1) | instskip(NEXT) | instid1(VALU_DEP_1)
	v_fma_f64 v[40:41], -v[40:41], v[44:45], v[46:47]
	v_div_fmas_f64 v[40:41], v[40:41], v[42:43], v[44:45]
	s_delay_alu instid0(VALU_DEP_1) | instskip(NEXT) | instid1(VALU_DEP_1)
	v_div_fixup_f64 v[40:41], v[40:41], v[128:129], v[130:131]
	v_fma_f64 v[42:43], v[130:131], v[40:41], v[128:129]
	s_delay_alu instid0(VALU_DEP_1) | instskip(NEXT) | instid1(VALU_DEP_1)
	v_div_scale_f64 v[44:45], null, v[42:43], v[42:43], 1.0
	v_rcp_f64_e32 v[46:47], v[44:45]
	s_waitcnt_depctr 0xfff
	v_fma_f64 v[128:129], -v[44:45], v[46:47], 1.0
	s_delay_alu instid0(VALU_DEP_1) | instskip(NEXT) | instid1(VALU_DEP_1)
	v_fma_f64 v[46:47], v[46:47], v[128:129], v[46:47]
	v_fma_f64 v[128:129], -v[44:45], v[46:47], 1.0
	s_delay_alu instid0(VALU_DEP_1) | instskip(SKIP_1) | instid1(VALU_DEP_1)
	v_fma_f64 v[46:47], v[46:47], v[128:129], v[46:47]
	v_div_scale_f64 v[128:129], vcc_lo, 1.0, v[42:43], 1.0
	v_mul_f64 v[130:131], v[128:129], v[46:47]
	s_delay_alu instid0(VALU_DEP_1) | instskip(NEXT) | instid1(VALU_DEP_1)
	v_fma_f64 v[44:45], -v[44:45], v[130:131], v[128:129]
	v_div_fmas_f64 v[44:45], v[44:45], v[46:47], v[130:131]
	s_delay_alu instid0(VALU_DEP_1) | instskip(NEXT) | instid1(VALU_DEP_1)
	v_div_fixup_f64 v[128:129], v[44:45], v[42:43], 1.0
	v_mul_f64 v[130:131], v[40:41], -v[128:129]
.LBB62_513:
	s_or_b32 exec_lo, exec_lo, s2
.LBB62_514:
	s_delay_alu instid0(SALU_CYCLE_1) | instskip(NEXT) | instid1(SALU_CYCLE_1)
	s_or_b32 exec_lo, exec_lo, s3
	s_mov_b32 s2, exec_lo
	v_cmpx_ne_u32_e64 v162, v136
	s_xor_b32 s2, exec_lo, s2
	s_cbranch_execz .LBB62_520
; %bb.515:
	s_mov_b32 s3, exec_lo
	v_cmpx_eq_u32_e32 24, v162
	s_cbranch_execz .LBB62_519
; %bb.516:
	v_cmp_ne_u32_e32 vcc_lo, 24, v136
	s_xor_b32 s6, s4, -1
	s_delay_alu instid0(SALU_CYCLE_1) | instskip(NEXT) | instid1(SALU_CYCLE_1)
	s_and_b32 s7, s6, vcc_lo
	s_and_saveexec_b32 s6, s7
	s_cbranch_execz .LBB62_518
; %bb.517:
	v_ashrrev_i32_e32 v137, 31, v136
	s_delay_alu instid0(VALU_DEP_1) | instskip(NEXT) | instid1(VALU_DEP_1)
	v_lshlrev_b64 v[40:41], 2, v[136:137]
	v_add_co_u32 v40, vcc_lo, v118, v40
	s_delay_alu instid0(VALU_DEP_2)
	v_add_co_ci_u32_e32 v41, vcc_lo, v119, v41, vcc_lo
	s_clause 0x1
	flat_load_b32 v42, v[40:41]
	flat_load_b32 v43, v[118:119] offset:96
	s_waitcnt vmcnt(1) lgkmcnt(1)
	flat_store_b32 v[118:119], v42 offset:96
	s_waitcnt vmcnt(0) lgkmcnt(1)
	flat_store_b32 v[40:41], v43
.LBB62_518:
	s_or_b32 exec_lo, exec_lo, s6
	v_mov_b32_e32 v162, v136
	v_mov_b32_e32 v40, v136
	scratch_store_b32 off, v40, off         ; 4-byte Folded Spill
.LBB62_519:
	s_or_b32 exec_lo, exec_lo, s3
.LBB62_520:
	s_and_not1_saveexec_b32 s2, s2
	s_cbranch_execz .LBB62_522
; %bb.521:
	v_mov_b32_e32 v162, 24
	ds_store_2addr_b64 v160, v[24:25], v[26:27] offset0:50 offset1:51
	ds_store_2addr_b64 v160, v[20:21], v[22:23] offset0:52 offset1:53
	;; [unrolled: 1-line block ×7, first 2 shown]
.LBB62_522:
	s_or_b32 exec_lo, exec_lo, s2
	s_delay_alu instid0(SALU_CYCLE_1)
	s_mov_b32 s2, exec_lo
	s_waitcnt lgkmcnt(0)
	s_waitcnt_vscnt null, 0x0
	s_barrier
	buffer_gl0_inv
	v_cmpx_lt_i32_e32 24, v162
	s_cbranch_execz .LBB62_524
; %bb.523:
	v_mul_f64 v[40:41], v[128:129], v[30:31]
	v_mul_f64 v[30:31], v[130:131], v[30:31]
	ds_load_2addr_b64 v[136:139], v160 offset0:50 offset1:51
	ds_load_2addr_b64 v[140:143], v160 offset0:52 offset1:53
	;; [unrolled: 1-line block ×7, first 2 shown]
	v_fma_f64 v[40:41], v[130:131], v[28:29], v[40:41]
	v_fma_f64 v[28:29], v[128:129], v[28:29], -v[30:31]
	s_waitcnt lgkmcnt(6)
	s_delay_alu instid0(VALU_DEP_2)
	v_mul_f64 v[30:31], v[138:139], v[40:41]
	v_mul_f64 v[42:43], v[136:137], v[40:41]
	s_waitcnt lgkmcnt(5)
	v_mul_f64 v[44:45], v[142:143], v[40:41]
	v_mul_f64 v[46:47], v[140:141], v[40:41]
	s_waitcnt lgkmcnt(4)
	;; [unrolled: 3-line block ×6, first 2 shown]
	v_mul_f64 v[179:180], v[169:170], v[40:41]
	v_mul_f64 v[181:182], v[167:168], v[40:41]
	v_fma_f64 v[30:31], v[136:137], v[28:29], -v[30:31]
	v_fma_f64 v[42:43], v[138:139], v[28:29], v[42:43]
	v_fma_f64 v[44:45], v[140:141], v[28:29], -v[44:45]
	v_fma_f64 v[46:47], v[142:143], v[28:29], v[46:47]
	;; [unrolled: 2-line block ×7, first 2 shown]
	v_add_f64 v[24:25], v[24:25], -v[30:31]
	v_add_f64 v[26:27], v[26:27], -v[42:43]
	;; [unrolled: 1-line block ×14, first 2 shown]
	v_dual_mov_b32 v30, v40 :: v_dual_mov_b32 v31, v41
.LBB62_524:
	s_or_b32 exec_lo, exec_lo, s2
	v_lshl_add_u32 v40, v162, 4, v160
	s_barrier
	buffer_gl0_inv
	v_mov_b32_e32 v136, 25
	ds_store_2addr_b64 v40, v[24:25], v[26:27] offset1:1
	s_waitcnt lgkmcnt(0)
	s_barrier
	buffer_gl0_inv
	ds_load_2addr_b64 v[128:131], v160 offset0:50 offset1:51
	s_cmp_lt_i32 s5, 27
	s_cbranch_scc1 .LBB62_527
; %bb.525:
	v_add3_u32 v137, v156, 0, 0x1a0
	v_mov_b32_e32 v136, 25
	s_mov_b32 s6, 26
	s_set_inst_prefetch_distance 0x1
	.p2align	6
.LBB62_526:                             ; =>This Inner Loop Header: Depth=1
	ds_load_2addr_b64 v[138:141], v137 offset1:1
	s_waitcnt lgkmcnt(1)
	v_cmp_gt_f64_e32 vcc_lo, 0, v[128:129]
	v_xor_b32_e32 v40, 0x80000000, v129
	v_cmp_gt_f64_e64 s2, 0, v[130:131]
	v_xor_b32_e32 v42, 0x80000000, v131
	v_add_nc_u32_e32 v137, 16, v137
	s_waitcnt lgkmcnt(0)
	v_cmp_gt_f64_e64 s3, 0, v[138:139]
	v_mov_b32_e32 v44, v138
	v_dual_mov_b32 v46, v140 :: v_dual_cndmask_b32 v41, v129, v40
	v_xor_b32_e32 v40, 0x80000000, v139
	v_cndmask_b32_e64 v43, v131, v42, s2
	v_xor_b32_e32 v42, 0x80000000, v141
	s_delay_alu instid0(VALU_DEP_3) | instskip(SKIP_2) | instid1(VALU_DEP_2)
	v_cndmask_b32_e64 v45, v139, v40, s3
	v_cmp_gt_f64_e64 s3, 0, v[140:141]
	v_cndmask_b32_e32 v40, v128, v128, vcc_lo
	v_cndmask_b32_e64 v47, v141, v42, s3
	v_cndmask_b32_e64 v42, v130, v130, s2
	s_delay_alu instid0(VALU_DEP_2) | instskip(NEXT) | instid1(VALU_DEP_2)
	v_add_f64 v[44:45], v[44:45], v[46:47]
	v_add_f64 v[40:41], v[40:41], v[42:43]
	s_delay_alu instid0(VALU_DEP_1)
	v_cmp_lt_f64_e32 vcc_lo, v[40:41], v[44:45]
	v_cndmask_b32_e32 v131, v131, v141, vcc_lo
	v_dual_cndmask_b32 v129, v129, v139 :: v_dual_cndmask_b32 v128, v128, v138
	v_cndmask_b32_e32 v130, v130, v140, vcc_lo
	v_cndmask_b32_e64 v136, v136, s6, vcc_lo
	s_add_i32 s6, s6, 1
	s_delay_alu instid0(SALU_CYCLE_1)
	s_cmp_lg_u32 s5, s6
	s_cbranch_scc1 .LBB62_526
.LBB62_527:
	s_set_inst_prefetch_distance 0x2
	s_waitcnt lgkmcnt(0)
	v_cmp_eq_f64_e32 vcc_lo, 0, v[128:129]
	v_cmp_eq_f64_e64 s2, 0, v[130:131]
	s_delay_alu instid0(VALU_DEP_1) | instskip(NEXT) | instid1(SALU_CYCLE_1)
	s_and_b32 s2, vcc_lo, s2
	s_and_saveexec_b32 s3, s2
	s_delay_alu instid0(SALU_CYCLE_1)
	s_xor_b32 s2, exec_lo, s3
; %bb.528:
	v_cmp_ne_u32_e32 vcc_lo, 0, v255
	v_cndmask_b32_e32 v255, 26, v255, vcc_lo
; %bb.529:
	s_and_not1_saveexec_b32 s3, s2
	s_cbranch_execz .LBB62_535
; %bb.530:
	v_cmp_gt_f64_e32 vcc_lo, 0, v[128:129]
	v_cmp_gt_f64_e64 s2, 0, v[130:131]
	v_xor_b32_e32 v40, 0x80000000, v129
	v_xor_b32_e32 v42, 0x80000000, v131
	s_delay_alu instid0(VALU_DEP_2) | instskip(NEXT) | instid1(VALU_DEP_2)
	v_cndmask_b32_e32 v41, v129, v40, vcc_lo
	v_cndmask_b32_e64 v43, v131, v42, s2
	v_cndmask_b32_e32 v40, v128, v128, vcc_lo
	v_cndmask_b32_e64 v42, v130, v130, s2
	s_mov_b32 s2, exec_lo
	s_delay_alu instid0(VALU_DEP_1)
	v_cmpx_ngt_f64_e32 v[40:41], v[42:43]
	s_xor_b32 s2, exec_lo, s2
	s_cbranch_execz .LBB62_532
; %bb.531:
	v_div_scale_f64 v[40:41], null, v[130:131], v[130:131], v[128:129]
	v_div_scale_f64 v[46:47], vcc_lo, v[128:129], v[130:131], v[128:129]
	s_delay_alu instid0(VALU_DEP_2) | instskip(SKIP_2) | instid1(VALU_DEP_1)
	v_rcp_f64_e32 v[42:43], v[40:41]
	s_waitcnt_depctr 0xfff
	v_fma_f64 v[44:45], -v[40:41], v[42:43], 1.0
	v_fma_f64 v[42:43], v[42:43], v[44:45], v[42:43]
	s_delay_alu instid0(VALU_DEP_1) | instskip(NEXT) | instid1(VALU_DEP_1)
	v_fma_f64 v[44:45], -v[40:41], v[42:43], 1.0
	v_fma_f64 v[42:43], v[42:43], v[44:45], v[42:43]
	s_delay_alu instid0(VALU_DEP_1) | instskip(NEXT) | instid1(VALU_DEP_1)
	v_mul_f64 v[44:45], v[46:47], v[42:43]
	v_fma_f64 v[40:41], -v[40:41], v[44:45], v[46:47]
	s_delay_alu instid0(VALU_DEP_1) | instskip(NEXT) | instid1(VALU_DEP_1)
	v_div_fmas_f64 v[40:41], v[40:41], v[42:43], v[44:45]
	v_div_fixup_f64 v[40:41], v[40:41], v[130:131], v[128:129]
	s_delay_alu instid0(VALU_DEP_1) | instskip(NEXT) | instid1(VALU_DEP_1)
	v_fma_f64 v[42:43], v[128:129], v[40:41], v[130:131]
	v_div_scale_f64 v[44:45], null, v[42:43], v[42:43], 1.0
	s_delay_alu instid0(VALU_DEP_1) | instskip(SKIP_2) | instid1(VALU_DEP_1)
	v_rcp_f64_e32 v[46:47], v[44:45]
	s_waitcnt_depctr 0xfff
	v_fma_f64 v[128:129], -v[44:45], v[46:47], 1.0
	v_fma_f64 v[46:47], v[46:47], v[128:129], v[46:47]
	s_delay_alu instid0(VALU_DEP_1) | instskip(NEXT) | instid1(VALU_DEP_1)
	v_fma_f64 v[128:129], -v[44:45], v[46:47], 1.0
	v_fma_f64 v[46:47], v[46:47], v[128:129], v[46:47]
	v_div_scale_f64 v[128:129], vcc_lo, 1.0, v[42:43], 1.0
	s_delay_alu instid0(VALU_DEP_1) | instskip(NEXT) | instid1(VALU_DEP_1)
	v_mul_f64 v[130:131], v[128:129], v[46:47]
	v_fma_f64 v[44:45], -v[44:45], v[130:131], v[128:129]
	s_delay_alu instid0(VALU_DEP_1) | instskip(NEXT) | instid1(VALU_DEP_1)
	v_div_fmas_f64 v[44:45], v[44:45], v[46:47], v[130:131]
	v_div_fixup_f64 v[130:131], v[44:45], v[42:43], 1.0
	s_delay_alu instid0(VALU_DEP_1)
	v_mul_f64 v[128:129], v[40:41], v[130:131]
	v_xor_b32_e32 v131, 0x80000000, v131
.LBB62_532:
	s_and_not1_saveexec_b32 s2, s2
	s_cbranch_execz .LBB62_534
; %bb.533:
	s_delay_alu instid0(VALU_DEP_1) | instskip(SKIP_1) | instid1(VALU_DEP_2)
	v_div_scale_f64 v[40:41], null, v[128:129], v[128:129], v[130:131]
	v_div_scale_f64 v[46:47], vcc_lo, v[130:131], v[128:129], v[130:131]
	v_rcp_f64_e32 v[42:43], v[40:41]
	s_waitcnt_depctr 0xfff
	v_fma_f64 v[44:45], -v[40:41], v[42:43], 1.0
	s_delay_alu instid0(VALU_DEP_1) | instskip(NEXT) | instid1(VALU_DEP_1)
	v_fma_f64 v[42:43], v[42:43], v[44:45], v[42:43]
	v_fma_f64 v[44:45], -v[40:41], v[42:43], 1.0
	s_delay_alu instid0(VALU_DEP_1) | instskip(NEXT) | instid1(VALU_DEP_1)
	v_fma_f64 v[42:43], v[42:43], v[44:45], v[42:43]
	v_mul_f64 v[44:45], v[46:47], v[42:43]
	s_delay_alu instid0(VALU_DEP_1) | instskip(NEXT) | instid1(VALU_DEP_1)
	v_fma_f64 v[40:41], -v[40:41], v[44:45], v[46:47]
	v_div_fmas_f64 v[40:41], v[40:41], v[42:43], v[44:45]
	s_delay_alu instid0(VALU_DEP_1) | instskip(NEXT) | instid1(VALU_DEP_1)
	v_div_fixup_f64 v[40:41], v[40:41], v[128:129], v[130:131]
	v_fma_f64 v[42:43], v[130:131], v[40:41], v[128:129]
	s_delay_alu instid0(VALU_DEP_1) | instskip(NEXT) | instid1(VALU_DEP_1)
	v_div_scale_f64 v[44:45], null, v[42:43], v[42:43], 1.0
	v_rcp_f64_e32 v[46:47], v[44:45]
	s_waitcnt_depctr 0xfff
	v_fma_f64 v[128:129], -v[44:45], v[46:47], 1.0
	s_delay_alu instid0(VALU_DEP_1) | instskip(NEXT) | instid1(VALU_DEP_1)
	v_fma_f64 v[46:47], v[46:47], v[128:129], v[46:47]
	v_fma_f64 v[128:129], -v[44:45], v[46:47], 1.0
	s_delay_alu instid0(VALU_DEP_1) | instskip(SKIP_1) | instid1(VALU_DEP_1)
	v_fma_f64 v[46:47], v[46:47], v[128:129], v[46:47]
	v_div_scale_f64 v[128:129], vcc_lo, 1.0, v[42:43], 1.0
	v_mul_f64 v[130:131], v[128:129], v[46:47]
	s_delay_alu instid0(VALU_DEP_1) | instskip(NEXT) | instid1(VALU_DEP_1)
	v_fma_f64 v[44:45], -v[44:45], v[130:131], v[128:129]
	v_div_fmas_f64 v[44:45], v[44:45], v[46:47], v[130:131]
	s_delay_alu instid0(VALU_DEP_1) | instskip(NEXT) | instid1(VALU_DEP_1)
	v_div_fixup_f64 v[128:129], v[44:45], v[42:43], 1.0
	v_mul_f64 v[130:131], v[40:41], -v[128:129]
.LBB62_534:
	s_or_b32 exec_lo, exec_lo, s2
.LBB62_535:
	s_delay_alu instid0(SALU_CYCLE_1) | instskip(NEXT) | instid1(SALU_CYCLE_1)
	s_or_b32 exec_lo, exec_lo, s3
	s_mov_b32 s2, exec_lo
	v_cmpx_ne_u32_e64 v162, v136
	s_xor_b32 s2, exec_lo, s2
	s_cbranch_execz .LBB62_541
; %bb.536:
	s_mov_b32 s3, exec_lo
	v_cmpx_eq_u32_e32 25, v162
	s_cbranch_execz .LBB62_540
; %bb.537:
	v_cmp_ne_u32_e32 vcc_lo, 25, v136
	s_xor_b32 s6, s4, -1
	s_delay_alu instid0(SALU_CYCLE_1) | instskip(NEXT) | instid1(SALU_CYCLE_1)
	s_and_b32 s7, s6, vcc_lo
	s_and_saveexec_b32 s6, s7
	s_cbranch_execz .LBB62_539
; %bb.538:
	v_ashrrev_i32_e32 v137, 31, v136
	s_delay_alu instid0(VALU_DEP_1) | instskip(NEXT) | instid1(VALU_DEP_1)
	v_lshlrev_b64 v[40:41], 2, v[136:137]
	v_add_co_u32 v40, vcc_lo, v118, v40
	s_delay_alu instid0(VALU_DEP_2)
	v_add_co_ci_u32_e32 v41, vcc_lo, v119, v41, vcc_lo
	s_clause 0x1
	flat_load_b32 v42, v[40:41]
	flat_load_b32 v43, v[118:119] offset:100
	s_waitcnt vmcnt(1) lgkmcnt(1)
	flat_store_b32 v[118:119], v42 offset:100
	s_waitcnt vmcnt(0) lgkmcnt(1)
	flat_store_b32 v[40:41], v43
.LBB62_539:
	s_or_b32 exec_lo, exec_lo, s6
	v_mov_b32_e32 v162, v136
	v_mov_b32_e32 v40, v136
	scratch_store_b32 off, v40, off         ; 4-byte Folded Spill
.LBB62_540:
	s_or_b32 exec_lo, exec_lo, s3
.LBB62_541:
	s_and_not1_saveexec_b32 s2, s2
	s_cbranch_execz .LBB62_543
; %bb.542:
	v_mov_b32_e32 v162, 25
	ds_store_2addr_b64 v160, v[20:21], v[22:23] offset0:52 offset1:53
	ds_store_2addr_b64 v160, v[16:17], v[18:19] offset0:54 offset1:55
	;; [unrolled: 1-line block ×6, first 2 shown]
.LBB62_543:
	s_or_b32 exec_lo, exec_lo, s2
	s_delay_alu instid0(SALU_CYCLE_1)
	s_mov_b32 s2, exec_lo
	s_waitcnt lgkmcnt(0)
	s_waitcnt_vscnt null, 0x0
	s_barrier
	buffer_gl0_inv
	v_cmpx_lt_i32_e32 25, v162
	s_cbranch_execz .LBB62_545
; %bb.544:
	v_mul_f64 v[40:41], v[128:129], v[26:27]
	v_mul_f64 v[26:27], v[130:131], v[26:27]
	ds_load_2addr_b64 v[136:139], v160 offset0:52 offset1:53
	ds_load_2addr_b64 v[140:143], v160 offset0:54 offset1:55
	;; [unrolled: 1-line block ×6, first 2 shown]
	v_fma_f64 v[40:41], v[130:131], v[24:25], v[40:41]
	v_fma_f64 v[24:25], v[128:129], v[24:25], -v[26:27]
	s_waitcnt lgkmcnt(5)
	s_delay_alu instid0(VALU_DEP_2)
	v_mul_f64 v[26:27], v[138:139], v[40:41]
	v_mul_f64 v[42:43], v[136:137], v[40:41]
	s_waitcnt lgkmcnt(4)
	v_mul_f64 v[44:45], v[142:143], v[40:41]
	v_mul_f64 v[46:47], v[140:141], v[40:41]
	s_waitcnt lgkmcnt(3)
	;; [unrolled: 3-line block ×5, first 2 shown]
	v_mul_f64 v[171:172], v[165:166], v[40:41]
	v_mul_f64 v[173:174], v[163:164], v[40:41]
	v_fma_f64 v[26:27], v[136:137], v[24:25], -v[26:27]
	v_fma_f64 v[42:43], v[138:139], v[24:25], v[42:43]
	v_fma_f64 v[44:45], v[140:141], v[24:25], -v[44:45]
	v_fma_f64 v[46:47], v[142:143], v[24:25], v[46:47]
	;; [unrolled: 2-line block ×6, first 2 shown]
	v_add_f64 v[20:21], v[20:21], -v[26:27]
	v_add_f64 v[22:23], v[22:23], -v[42:43]
	;; [unrolled: 1-line block ×12, first 2 shown]
	v_dual_mov_b32 v26, v40 :: v_dual_mov_b32 v27, v41
.LBB62_545:
	s_or_b32 exec_lo, exec_lo, s2
	v_lshl_add_u32 v40, v162, 4, v160
	s_barrier
	buffer_gl0_inv
	v_mov_b32_e32 v136, 26
	ds_store_2addr_b64 v40, v[20:21], v[22:23] offset1:1
	s_waitcnt lgkmcnt(0)
	s_barrier
	buffer_gl0_inv
	ds_load_2addr_b64 v[128:131], v160 offset0:52 offset1:53
	s_cmp_lt_i32 s5, 28
	s_cbranch_scc1 .LBB62_548
; %bb.546:
	v_add3_u32 v137, v156, 0, 0x1b0
	v_mov_b32_e32 v136, 26
	s_mov_b32 s6, 27
	s_set_inst_prefetch_distance 0x1
	.p2align	6
.LBB62_547:                             ; =>This Inner Loop Header: Depth=1
	ds_load_2addr_b64 v[138:141], v137 offset1:1
	s_waitcnt lgkmcnt(1)
	v_cmp_gt_f64_e32 vcc_lo, 0, v[128:129]
	v_xor_b32_e32 v40, 0x80000000, v129
	v_cmp_gt_f64_e64 s2, 0, v[130:131]
	v_xor_b32_e32 v42, 0x80000000, v131
	v_add_nc_u32_e32 v137, 16, v137
	s_waitcnt lgkmcnt(0)
	v_cmp_gt_f64_e64 s3, 0, v[138:139]
	v_mov_b32_e32 v44, v138
	v_dual_mov_b32 v46, v140 :: v_dual_cndmask_b32 v41, v129, v40
	v_xor_b32_e32 v40, 0x80000000, v139
	v_cndmask_b32_e64 v43, v131, v42, s2
	v_xor_b32_e32 v42, 0x80000000, v141
	s_delay_alu instid0(VALU_DEP_3) | instskip(SKIP_2) | instid1(VALU_DEP_2)
	v_cndmask_b32_e64 v45, v139, v40, s3
	v_cmp_gt_f64_e64 s3, 0, v[140:141]
	v_cndmask_b32_e32 v40, v128, v128, vcc_lo
	v_cndmask_b32_e64 v47, v141, v42, s3
	v_cndmask_b32_e64 v42, v130, v130, s2
	s_delay_alu instid0(VALU_DEP_2) | instskip(NEXT) | instid1(VALU_DEP_2)
	v_add_f64 v[44:45], v[44:45], v[46:47]
	v_add_f64 v[40:41], v[40:41], v[42:43]
	s_delay_alu instid0(VALU_DEP_1)
	v_cmp_lt_f64_e32 vcc_lo, v[40:41], v[44:45]
	v_cndmask_b32_e32 v131, v131, v141, vcc_lo
	v_dual_cndmask_b32 v129, v129, v139 :: v_dual_cndmask_b32 v128, v128, v138
	v_cndmask_b32_e32 v130, v130, v140, vcc_lo
	v_cndmask_b32_e64 v136, v136, s6, vcc_lo
	s_add_i32 s6, s6, 1
	s_delay_alu instid0(SALU_CYCLE_1)
	s_cmp_lg_u32 s5, s6
	s_cbranch_scc1 .LBB62_547
.LBB62_548:
	s_set_inst_prefetch_distance 0x2
	s_waitcnt lgkmcnt(0)
	v_cmp_eq_f64_e32 vcc_lo, 0, v[128:129]
	v_cmp_eq_f64_e64 s2, 0, v[130:131]
	s_delay_alu instid0(VALU_DEP_1) | instskip(NEXT) | instid1(SALU_CYCLE_1)
	s_and_b32 s2, vcc_lo, s2
	s_and_saveexec_b32 s3, s2
	s_delay_alu instid0(SALU_CYCLE_1)
	s_xor_b32 s2, exec_lo, s3
; %bb.549:
	v_cmp_ne_u32_e32 vcc_lo, 0, v255
	v_cndmask_b32_e32 v255, 27, v255, vcc_lo
; %bb.550:
	s_and_not1_saveexec_b32 s3, s2
	s_cbranch_execz .LBB62_556
; %bb.551:
	v_cmp_gt_f64_e32 vcc_lo, 0, v[128:129]
	v_cmp_gt_f64_e64 s2, 0, v[130:131]
	v_xor_b32_e32 v40, 0x80000000, v129
	v_xor_b32_e32 v42, 0x80000000, v131
	s_delay_alu instid0(VALU_DEP_2) | instskip(NEXT) | instid1(VALU_DEP_2)
	v_cndmask_b32_e32 v41, v129, v40, vcc_lo
	v_cndmask_b32_e64 v43, v131, v42, s2
	v_cndmask_b32_e32 v40, v128, v128, vcc_lo
	v_cndmask_b32_e64 v42, v130, v130, s2
	s_mov_b32 s2, exec_lo
	s_delay_alu instid0(VALU_DEP_1)
	v_cmpx_ngt_f64_e32 v[40:41], v[42:43]
	s_xor_b32 s2, exec_lo, s2
	s_cbranch_execz .LBB62_553
; %bb.552:
	v_div_scale_f64 v[40:41], null, v[130:131], v[130:131], v[128:129]
	v_div_scale_f64 v[46:47], vcc_lo, v[128:129], v[130:131], v[128:129]
	s_delay_alu instid0(VALU_DEP_2) | instskip(SKIP_2) | instid1(VALU_DEP_1)
	v_rcp_f64_e32 v[42:43], v[40:41]
	s_waitcnt_depctr 0xfff
	v_fma_f64 v[44:45], -v[40:41], v[42:43], 1.0
	v_fma_f64 v[42:43], v[42:43], v[44:45], v[42:43]
	s_delay_alu instid0(VALU_DEP_1) | instskip(NEXT) | instid1(VALU_DEP_1)
	v_fma_f64 v[44:45], -v[40:41], v[42:43], 1.0
	v_fma_f64 v[42:43], v[42:43], v[44:45], v[42:43]
	s_delay_alu instid0(VALU_DEP_1) | instskip(NEXT) | instid1(VALU_DEP_1)
	v_mul_f64 v[44:45], v[46:47], v[42:43]
	v_fma_f64 v[40:41], -v[40:41], v[44:45], v[46:47]
	s_delay_alu instid0(VALU_DEP_1) | instskip(NEXT) | instid1(VALU_DEP_1)
	v_div_fmas_f64 v[40:41], v[40:41], v[42:43], v[44:45]
	v_div_fixup_f64 v[40:41], v[40:41], v[130:131], v[128:129]
	s_delay_alu instid0(VALU_DEP_1) | instskip(NEXT) | instid1(VALU_DEP_1)
	v_fma_f64 v[42:43], v[128:129], v[40:41], v[130:131]
	v_div_scale_f64 v[44:45], null, v[42:43], v[42:43], 1.0
	s_delay_alu instid0(VALU_DEP_1) | instskip(SKIP_2) | instid1(VALU_DEP_1)
	v_rcp_f64_e32 v[46:47], v[44:45]
	s_waitcnt_depctr 0xfff
	v_fma_f64 v[128:129], -v[44:45], v[46:47], 1.0
	v_fma_f64 v[46:47], v[46:47], v[128:129], v[46:47]
	s_delay_alu instid0(VALU_DEP_1) | instskip(NEXT) | instid1(VALU_DEP_1)
	v_fma_f64 v[128:129], -v[44:45], v[46:47], 1.0
	v_fma_f64 v[46:47], v[46:47], v[128:129], v[46:47]
	v_div_scale_f64 v[128:129], vcc_lo, 1.0, v[42:43], 1.0
	s_delay_alu instid0(VALU_DEP_1) | instskip(NEXT) | instid1(VALU_DEP_1)
	v_mul_f64 v[130:131], v[128:129], v[46:47]
	v_fma_f64 v[44:45], -v[44:45], v[130:131], v[128:129]
	s_delay_alu instid0(VALU_DEP_1) | instskip(NEXT) | instid1(VALU_DEP_1)
	v_div_fmas_f64 v[44:45], v[44:45], v[46:47], v[130:131]
	v_div_fixup_f64 v[130:131], v[44:45], v[42:43], 1.0
	s_delay_alu instid0(VALU_DEP_1)
	v_mul_f64 v[128:129], v[40:41], v[130:131]
	v_xor_b32_e32 v131, 0x80000000, v131
.LBB62_553:
	s_and_not1_saveexec_b32 s2, s2
	s_cbranch_execz .LBB62_555
; %bb.554:
	s_delay_alu instid0(VALU_DEP_1) | instskip(SKIP_1) | instid1(VALU_DEP_2)
	v_div_scale_f64 v[40:41], null, v[128:129], v[128:129], v[130:131]
	v_div_scale_f64 v[46:47], vcc_lo, v[130:131], v[128:129], v[130:131]
	v_rcp_f64_e32 v[42:43], v[40:41]
	s_waitcnt_depctr 0xfff
	v_fma_f64 v[44:45], -v[40:41], v[42:43], 1.0
	s_delay_alu instid0(VALU_DEP_1) | instskip(NEXT) | instid1(VALU_DEP_1)
	v_fma_f64 v[42:43], v[42:43], v[44:45], v[42:43]
	v_fma_f64 v[44:45], -v[40:41], v[42:43], 1.0
	s_delay_alu instid0(VALU_DEP_1) | instskip(NEXT) | instid1(VALU_DEP_1)
	v_fma_f64 v[42:43], v[42:43], v[44:45], v[42:43]
	v_mul_f64 v[44:45], v[46:47], v[42:43]
	s_delay_alu instid0(VALU_DEP_1) | instskip(NEXT) | instid1(VALU_DEP_1)
	v_fma_f64 v[40:41], -v[40:41], v[44:45], v[46:47]
	v_div_fmas_f64 v[40:41], v[40:41], v[42:43], v[44:45]
	s_delay_alu instid0(VALU_DEP_1) | instskip(NEXT) | instid1(VALU_DEP_1)
	v_div_fixup_f64 v[40:41], v[40:41], v[128:129], v[130:131]
	v_fma_f64 v[42:43], v[130:131], v[40:41], v[128:129]
	s_delay_alu instid0(VALU_DEP_1) | instskip(NEXT) | instid1(VALU_DEP_1)
	v_div_scale_f64 v[44:45], null, v[42:43], v[42:43], 1.0
	v_rcp_f64_e32 v[46:47], v[44:45]
	s_waitcnt_depctr 0xfff
	v_fma_f64 v[128:129], -v[44:45], v[46:47], 1.0
	s_delay_alu instid0(VALU_DEP_1) | instskip(NEXT) | instid1(VALU_DEP_1)
	v_fma_f64 v[46:47], v[46:47], v[128:129], v[46:47]
	v_fma_f64 v[128:129], -v[44:45], v[46:47], 1.0
	s_delay_alu instid0(VALU_DEP_1) | instskip(SKIP_1) | instid1(VALU_DEP_1)
	v_fma_f64 v[46:47], v[46:47], v[128:129], v[46:47]
	v_div_scale_f64 v[128:129], vcc_lo, 1.0, v[42:43], 1.0
	v_mul_f64 v[130:131], v[128:129], v[46:47]
	s_delay_alu instid0(VALU_DEP_1) | instskip(NEXT) | instid1(VALU_DEP_1)
	v_fma_f64 v[44:45], -v[44:45], v[130:131], v[128:129]
	v_div_fmas_f64 v[44:45], v[44:45], v[46:47], v[130:131]
	s_delay_alu instid0(VALU_DEP_1) | instskip(NEXT) | instid1(VALU_DEP_1)
	v_div_fixup_f64 v[128:129], v[44:45], v[42:43], 1.0
	v_mul_f64 v[130:131], v[40:41], -v[128:129]
.LBB62_555:
	s_or_b32 exec_lo, exec_lo, s2
.LBB62_556:
	s_delay_alu instid0(SALU_CYCLE_1) | instskip(NEXT) | instid1(SALU_CYCLE_1)
	s_or_b32 exec_lo, exec_lo, s3
	s_mov_b32 s2, exec_lo
	v_cmpx_ne_u32_e64 v162, v136
	s_xor_b32 s2, exec_lo, s2
	s_cbranch_execz .LBB62_562
; %bb.557:
	s_mov_b32 s3, exec_lo
	v_cmpx_eq_u32_e32 26, v162
	s_cbranch_execz .LBB62_561
; %bb.558:
	v_cmp_ne_u32_e32 vcc_lo, 26, v136
	s_xor_b32 s6, s4, -1
	s_delay_alu instid0(SALU_CYCLE_1) | instskip(NEXT) | instid1(SALU_CYCLE_1)
	s_and_b32 s7, s6, vcc_lo
	s_and_saveexec_b32 s6, s7
	s_cbranch_execz .LBB62_560
; %bb.559:
	v_ashrrev_i32_e32 v137, 31, v136
	s_delay_alu instid0(VALU_DEP_1) | instskip(NEXT) | instid1(VALU_DEP_1)
	v_lshlrev_b64 v[40:41], 2, v[136:137]
	v_add_co_u32 v40, vcc_lo, v118, v40
	s_delay_alu instid0(VALU_DEP_2)
	v_add_co_ci_u32_e32 v41, vcc_lo, v119, v41, vcc_lo
	s_clause 0x1
	flat_load_b32 v42, v[40:41]
	flat_load_b32 v43, v[118:119] offset:104
	s_waitcnt vmcnt(1) lgkmcnt(1)
	flat_store_b32 v[118:119], v42 offset:104
	s_waitcnt vmcnt(0) lgkmcnt(1)
	flat_store_b32 v[40:41], v43
.LBB62_560:
	s_or_b32 exec_lo, exec_lo, s6
	v_mov_b32_e32 v162, v136
	v_mov_b32_e32 v40, v136
	scratch_store_b32 off, v40, off         ; 4-byte Folded Spill
.LBB62_561:
	s_or_b32 exec_lo, exec_lo, s3
.LBB62_562:
	s_and_not1_saveexec_b32 s2, s2
	s_cbranch_execz .LBB62_564
; %bb.563:
	v_mov_b32_e32 v162, 26
	ds_store_2addr_b64 v160, v[16:17], v[18:19] offset0:54 offset1:55
	ds_store_2addr_b64 v160, v[12:13], v[14:15] offset0:56 offset1:57
	;; [unrolled: 1-line block ×5, first 2 shown]
.LBB62_564:
	s_or_b32 exec_lo, exec_lo, s2
	s_delay_alu instid0(SALU_CYCLE_1)
	s_mov_b32 s2, exec_lo
	s_waitcnt lgkmcnt(0)
	s_waitcnt_vscnt null, 0x0
	s_barrier
	buffer_gl0_inv
	v_cmpx_lt_i32_e32 26, v162
	s_cbranch_execz .LBB62_566
; %bb.565:
	v_mul_f64 v[40:41], v[128:129], v[22:23]
	v_mul_f64 v[22:23], v[130:131], v[22:23]
	ds_load_2addr_b64 v[136:139], v160 offset0:54 offset1:55
	ds_load_2addr_b64 v[140:143], v160 offset0:56 offset1:57
	;; [unrolled: 1-line block ×5, first 2 shown]
	v_fma_f64 v[40:41], v[130:131], v[20:21], v[40:41]
	v_fma_f64 v[20:21], v[128:129], v[20:21], -v[22:23]
	s_waitcnt lgkmcnt(4)
	s_delay_alu instid0(VALU_DEP_2)
	v_mul_f64 v[22:23], v[138:139], v[40:41]
	v_mul_f64 v[42:43], v[136:137], v[40:41]
	s_waitcnt lgkmcnt(3)
	v_mul_f64 v[44:45], v[142:143], v[40:41]
	v_mul_f64 v[46:47], v[140:141], v[40:41]
	s_waitcnt lgkmcnt(2)
	;; [unrolled: 3-line block ×4, first 2 shown]
	v_mul_f64 v[163:164], v[154:155], v[40:41]
	v_mul_f64 v[165:166], v[152:153], v[40:41]
	v_fma_f64 v[22:23], v[136:137], v[20:21], -v[22:23]
	v_fma_f64 v[42:43], v[138:139], v[20:21], v[42:43]
	v_fma_f64 v[44:45], v[140:141], v[20:21], -v[44:45]
	v_fma_f64 v[46:47], v[142:143], v[20:21], v[46:47]
	;; [unrolled: 2-line block ×5, first 2 shown]
	v_add_f64 v[16:17], v[16:17], -v[22:23]
	v_add_f64 v[18:19], v[18:19], -v[42:43]
	;; [unrolled: 1-line block ×10, first 2 shown]
	v_dual_mov_b32 v22, v40 :: v_dual_mov_b32 v23, v41
.LBB62_566:
	s_or_b32 exec_lo, exec_lo, s2
	v_lshl_add_u32 v40, v162, 4, v160
	s_barrier
	buffer_gl0_inv
	v_mov_b32_e32 v136, 27
	ds_store_2addr_b64 v40, v[16:17], v[18:19] offset1:1
	s_waitcnt lgkmcnt(0)
	s_barrier
	buffer_gl0_inv
	ds_load_2addr_b64 v[128:131], v160 offset0:54 offset1:55
	s_cmp_lt_i32 s5, 29
	s_cbranch_scc1 .LBB62_569
; %bb.567:
	v_add3_u32 v137, v156, 0, 0x1c0
	v_mov_b32_e32 v136, 27
	s_mov_b32 s6, 28
	s_set_inst_prefetch_distance 0x1
	.p2align	6
.LBB62_568:                             ; =>This Inner Loop Header: Depth=1
	ds_load_2addr_b64 v[138:141], v137 offset1:1
	s_waitcnt lgkmcnt(1)
	v_cmp_gt_f64_e32 vcc_lo, 0, v[128:129]
	v_xor_b32_e32 v40, 0x80000000, v129
	v_cmp_gt_f64_e64 s2, 0, v[130:131]
	v_xor_b32_e32 v42, 0x80000000, v131
	v_add_nc_u32_e32 v137, 16, v137
	s_waitcnt lgkmcnt(0)
	v_cmp_gt_f64_e64 s3, 0, v[138:139]
	v_mov_b32_e32 v44, v138
	v_dual_mov_b32 v46, v140 :: v_dual_cndmask_b32 v41, v129, v40
	v_xor_b32_e32 v40, 0x80000000, v139
	v_cndmask_b32_e64 v43, v131, v42, s2
	v_xor_b32_e32 v42, 0x80000000, v141
	s_delay_alu instid0(VALU_DEP_3) | instskip(SKIP_2) | instid1(VALU_DEP_2)
	v_cndmask_b32_e64 v45, v139, v40, s3
	v_cmp_gt_f64_e64 s3, 0, v[140:141]
	v_cndmask_b32_e32 v40, v128, v128, vcc_lo
	v_cndmask_b32_e64 v47, v141, v42, s3
	v_cndmask_b32_e64 v42, v130, v130, s2
	s_delay_alu instid0(VALU_DEP_2) | instskip(NEXT) | instid1(VALU_DEP_2)
	v_add_f64 v[44:45], v[44:45], v[46:47]
	v_add_f64 v[40:41], v[40:41], v[42:43]
	s_delay_alu instid0(VALU_DEP_1)
	v_cmp_lt_f64_e32 vcc_lo, v[40:41], v[44:45]
	v_cndmask_b32_e32 v131, v131, v141, vcc_lo
	v_dual_cndmask_b32 v129, v129, v139 :: v_dual_cndmask_b32 v128, v128, v138
	v_cndmask_b32_e32 v130, v130, v140, vcc_lo
	v_cndmask_b32_e64 v136, v136, s6, vcc_lo
	s_add_i32 s6, s6, 1
	s_delay_alu instid0(SALU_CYCLE_1)
	s_cmp_lg_u32 s5, s6
	s_cbranch_scc1 .LBB62_568
.LBB62_569:
	s_set_inst_prefetch_distance 0x2
	s_waitcnt lgkmcnt(0)
	v_cmp_eq_f64_e32 vcc_lo, 0, v[128:129]
	v_cmp_eq_f64_e64 s2, 0, v[130:131]
	s_delay_alu instid0(VALU_DEP_1) | instskip(NEXT) | instid1(SALU_CYCLE_1)
	s_and_b32 s2, vcc_lo, s2
	s_and_saveexec_b32 s3, s2
	s_delay_alu instid0(SALU_CYCLE_1)
	s_xor_b32 s2, exec_lo, s3
; %bb.570:
	v_cmp_ne_u32_e32 vcc_lo, 0, v255
	v_cndmask_b32_e32 v255, 28, v255, vcc_lo
; %bb.571:
	s_and_not1_saveexec_b32 s3, s2
	s_cbranch_execz .LBB62_577
; %bb.572:
	v_cmp_gt_f64_e32 vcc_lo, 0, v[128:129]
	v_cmp_gt_f64_e64 s2, 0, v[130:131]
	v_xor_b32_e32 v40, 0x80000000, v129
	v_xor_b32_e32 v42, 0x80000000, v131
	s_delay_alu instid0(VALU_DEP_2) | instskip(NEXT) | instid1(VALU_DEP_2)
	v_cndmask_b32_e32 v41, v129, v40, vcc_lo
	v_cndmask_b32_e64 v43, v131, v42, s2
	v_cndmask_b32_e32 v40, v128, v128, vcc_lo
	v_cndmask_b32_e64 v42, v130, v130, s2
	s_mov_b32 s2, exec_lo
	s_delay_alu instid0(VALU_DEP_1)
	v_cmpx_ngt_f64_e32 v[40:41], v[42:43]
	s_xor_b32 s2, exec_lo, s2
	s_cbranch_execz .LBB62_574
; %bb.573:
	v_div_scale_f64 v[40:41], null, v[130:131], v[130:131], v[128:129]
	v_div_scale_f64 v[46:47], vcc_lo, v[128:129], v[130:131], v[128:129]
	s_delay_alu instid0(VALU_DEP_2) | instskip(SKIP_2) | instid1(VALU_DEP_1)
	v_rcp_f64_e32 v[42:43], v[40:41]
	s_waitcnt_depctr 0xfff
	v_fma_f64 v[44:45], -v[40:41], v[42:43], 1.0
	v_fma_f64 v[42:43], v[42:43], v[44:45], v[42:43]
	s_delay_alu instid0(VALU_DEP_1) | instskip(NEXT) | instid1(VALU_DEP_1)
	v_fma_f64 v[44:45], -v[40:41], v[42:43], 1.0
	v_fma_f64 v[42:43], v[42:43], v[44:45], v[42:43]
	s_delay_alu instid0(VALU_DEP_1) | instskip(NEXT) | instid1(VALU_DEP_1)
	v_mul_f64 v[44:45], v[46:47], v[42:43]
	v_fma_f64 v[40:41], -v[40:41], v[44:45], v[46:47]
	s_delay_alu instid0(VALU_DEP_1) | instskip(NEXT) | instid1(VALU_DEP_1)
	v_div_fmas_f64 v[40:41], v[40:41], v[42:43], v[44:45]
	v_div_fixup_f64 v[40:41], v[40:41], v[130:131], v[128:129]
	s_delay_alu instid0(VALU_DEP_1) | instskip(NEXT) | instid1(VALU_DEP_1)
	v_fma_f64 v[42:43], v[128:129], v[40:41], v[130:131]
	v_div_scale_f64 v[44:45], null, v[42:43], v[42:43], 1.0
	s_delay_alu instid0(VALU_DEP_1) | instskip(SKIP_2) | instid1(VALU_DEP_1)
	v_rcp_f64_e32 v[46:47], v[44:45]
	s_waitcnt_depctr 0xfff
	v_fma_f64 v[128:129], -v[44:45], v[46:47], 1.0
	v_fma_f64 v[46:47], v[46:47], v[128:129], v[46:47]
	s_delay_alu instid0(VALU_DEP_1) | instskip(NEXT) | instid1(VALU_DEP_1)
	v_fma_f64 v[128:129], -v[44:45], v[46:47], 1.0
	v_fma_f64 v[46:47], v[46:47], v[128:129], v[46:47]
	v_div_scale_f64 v[128:129], vcc_lo, 1.0, v[42:43], 1.0
	s_delay_alu instid0(VALU_DEP_1) | instskip(NEXT) | instid1(VALU_DEP_1)
	v_mul_f64 v[130:131], v[128:129], v[46:47]
	v_fma_f64 v[44:45], -v[44:45], v[130:131], v[128:129]
	s_delay_alu instid0(VALU_DEP_1) | instskip(NEXT) | instid1(VALU_DEP_1)
	v_div_fmas_f64 v[44:45], v[44:45], v[46:47], v[130:131]
	v_div_fixup_f64 v[130:131], v[44:45], v[42:43], 1.0
	s_delay_alu instid0(VALU_DEP_1)
	v_mul_f64 v[128:129], v[40:41], v[130:131]
	v_xor_b32_e32 v131, 0x80000000, v131
.LBB62_574:
	s_and_not1_saveexec_b32 s2, s2
	s_cbranch_execz .LBB62_576
; %bb.575:
	s_delay_alu instid0(VALU_DEP_1) | instskip(SKIP_1) | instid1(VALU_DEP_2)
	v_div_scale_f64 v[40:41], null, v[128:129], v[128:129], v[130:131]
	v_div_scale_f64 v[46:47], vcc_lo, v[130:131], v[128:129], v[130:131]
	v_rcp_f64_e32 v[42:43], v[40:41]
	s_waitcnt_depctr 0xfff
	v_fma_f64 v[44:45], -v[40:41], v[42:43], 1.0
	s_delay_alu instid0(VALU_DEP_1) | instskip(NEXT) | instid1(VALU_DEP_1)
	v_fma_f64 v[42:43], v[42:43], v[44:45], v[42:43]
	v_fma_f64 v[44:45], -v[40:41], v[42:43], 1.0
	s_delay_alu instid0(VALU_DEP_1) | instskip(NEXT) | instid1(VALU_DEP_1)
	v_fma_f64 v[42:43], v[42:43], v[44:45], v[42:43]
	v_mul_f64 v[44:45], v[46:47], v[42:43]
	s_delay_alu instid0(VALU_DEP_1) | instskip(NEXT) | instid1(VALU_DEP_1)
	v_fma_f64 v[40:41], -v[40:41], v[44:45], v[46:47]
	v_div_fmas_f64 v[40:41], v[40:41], v[42:43], v[44:45]
	s_delay_alu instid0(VALU_DEP_1) | instskip(NEXT) | instid1(VALU_DEP_1)
	v_div_fixup_f64 v[40:41], v[40:41], v[128:129], v[130:131]
	v_fma_f64 v[42:43], v[130:131], v[40:41], v[128:129]
	s_delay_alu instid0(VALU_DEP_1) | instskip(NEXT) | instid1(VALU_DEP_1)
	v_div_scale_f64 v[44:45], null, v[42:43], v[42:43], 1.0
	v_rcp_f64_e32 v[46:47], v[44:45]
	s_waitcnt_depctr 0xfff
	v_fma_f64 v[128:129], -v[44:45], v[46:47], 1.0
	s_delay_alu instid0(VALU_DEP_1) | instskip(NEXT) | instid1(VALU_DEP_1)
	v_fma_f64 v[46:47], v[46:47], v[128:129], v[46:47]
	v_fma_f64 v[128:129], -v[44:45], v[46:47], 1.0
	s_delay_alu instid0(VALU_DEP_1) | instskip(SKIP_1) | instid1(VALU_DEP_1)
	v_fma_f64 v[46:47], v[46:47], v[128:129], v[46:47]
	v_div_scale_f64 v[128:129], vcc_lo, 1.0, v[42:43], 1.0
	v_mul_f64 v[130:131], v[128:129], v[46:47]
	s_delay_alu instid0(VALU_DEP_1) | instskip(NEXT) | instid1(VALU_DEP_1)
	v_fma_f64 v[44:45], -v[44:45], v[130:131], v[128:129]
	v_div_fmas_f64 v[44:45], v[44:45], v[46:47], v[130:131]
	s_delay_alu instid0(VALU_DEP_1) | instskip(NEXT) | instid1(VALU_DEP_1)
	v_div_fixup_f64 v[128:129], v[44:45], v[42:43], 1.0
	v_mul_f64 v[130:131], v[40:41], -v[128:129]
.LBB62_576:
	s_or_b32 exec_lo, exec_lo, s2
.LBB62_577:
	s_delay_alu instid0(SALU_CYCLE_1) | instskip(NEXT) | instid1(SALU_CYCLE_1)
	s_or_b32 exec_lo, exec_lo, s3
	s_mov_b32 s2, exec_lo
	v_cmpx_ne_u32_e64 v162, v136
	s_xor_b32 s2, exec_lo, s2
	s_cbranch_execz .LBB62_583
; %bb.578:
	s_mov_b32 s3, exec_lo
	v_cmpx_eq_u32_e32 27, v162
	s_cbranch_execz .LBB62_582
; %bb.579:
	v_cmp_ne_u32_e32 vcc_lo, 27, v136
	s_xor_b32 s6, s4, -1
	s_delay_alu instid0(SALU_CYCLE_1) | instskip(NEXT) | instid1(SALU_CYCLE_1)
	s_and_b32 s7, s6, vcc_lo
	s_and_saveexec_b32 s6, s7
	s_cbranch_execz .LBB62_581
; %bb.580:
	v_ashrrev_i32_e32 v137, 31, v136
	s_delay_alu instid0(VALU_DEP_1) | instskip(NEXT) | instid1(VALU_DEP_1)
	v_lshlrev_b64 v[40:41], 2, v[136:137]
	v_add_co_u32 v40, vcc_lo, v118, v40
	s_delay_alu instid0(VALU_DEP_2)
	v_add_co_ci_u32_e32 v41, vcc_lo, v119, v41, vcc_lo
	s_clause 0x1
	flat_load_b32 v42, v[40:41]
	flat_load_b32 v43, v[118:119] offset:108
	s_waitcnt vmcnt(1) lgkmcnt(1)
	flat_store_b32 v[118:119], v42 offset:108
	s_waitcnt vmcnt(0) lgkmcnt(1)
	flat_store_b32 v[40:41], v43
.LBB62_581:
	s_or_b32 exec_lo, exec_lo, s6
	v_mov_b32_e32 v162, v136
	v_mov_b32_e32 v40, v136
	scratch_store_b32 off, v40, off         ; 4-byte Folded Spill
.LBB62_582:
	s_or_b32 exec_lo, exec_lo, s3
.LBB62_583:
	s_and_not1_saveexec_b32 s2, s2
	s_cbranch_execz .LBB62_585
; %bb.584:
	v_mov_b32_e32 v162, 27
	ds_store_2addr_b64 v160, v[12:13], v[14:15] offset0:56 offset1:57
	ds_store_2addr_b64 v160, v[8:9], v[10:11] offset0:58 offset1:59
	;; [unrolled: 1-line block ×4, first 2 shown]
.LBB62_585:
	s_or_b32 exec_lo, exec_lo, s2
	s_delay_alu instid0(SALU_CYCLE_1)
	s_mov_b32 s2, exec_lo
	s_waitcnt lgkmcnt(0)
	s_waitcnt_vscnt null, 0x0
	s_barrier
	buffer_gl0_inv
	v_cmpx_lt_i32_e32 27, v162
	s_cbranch_execz .LBB62_587
; %bb.586:
	v_mul_f64 v[40:41], v[128:129], v[18:19]
	v_mul_f64 v[18:19], v[130:131], v[18:19]
	ds_load_2addr_b64 v[136:139], v160 offset0:56 offset1:57
	ds_load_2addr_b64 v[140:143], v160 offset0:58 offset1:59
	;; [unrolled: 1-line block ×4, first 2 shown]
	v_fma_f64 v[40:41], v[130:131], v[16:17], v[40:41]
	v_fma_f64 v[16:17], v[128:129], v[16:17], -v[18:19]
	s_waitcnt lgkmcnt(3)
	s_delay_alu instid0(VALU_DEP_2)
	v_mul_f64 v[18:19], v[138:139], v[40:41]
	v_mul_f64 v[42:43], v[136:137], v[40:41]
	s_waitcnt lgkmcnt(2)
	v_mul_f64 v[44:45], v[142:143], v[40:41]
	v_mul_f64 v[46:47], v[140:141], v[40:41]
	s_waitcnt lgkmcnt(1)
	;; [unrolled: 3-line block ×3, first 2 shown]
	v_mul_f64 v[132:133], v[150:151], v[40:41]
	v_mul_f64 v[134:135], v[148:149], v[40:41]
	v_fma_f64 v[18:19], v[136:137], v[16:17], -v[18:19]
	v_fma_f64 v[42:43], v[138:139], v[16:17], v[42:43]
	v_fma_f64 v[44:45], v[140:141], v[16:17], -v[44:45]
	v_fma_f64 v[46:47], v[142:143], v[16:17], v[46:47]
	;; [unrolled: 2-line block ×4, first 2 shown]
	v_add_f64 v[12:13], v[12:13], -v[18:19]
	v_add_f64 v[14:15], v[14:15], -v[42:43]
	;; [unrolled: 1-line block ×8, first 2 shown]
	v_dual_mov_b32 v18, v40 :: v_dual_mov_b32 v19, v41
.LBB62_587:
	s_or_b32 exec_lo, exec_lo, s2
	v_lshl_add_u32 v40, v162, 4, v160
	s_barrier
	buffer_gl0_inv
	v_mov_b32_e32 v136, 28
	ds_store_2addr_b64 v40, v[12:13], v[14:15] offset1:1
	s_waitcnt lgkmcnt(0)
	s_barrier
	buffer_gl0_inv
	ds_load_2addr_b64 v[128:131], v160 offset0:56 offset1:57
	s_cmp_lt_i32 s5, 30
	s_cbranch_scc1 .LBB62_590
; %bb.588:
	v_add3_u32 v137, v156, 0, 0x1d0
	v_mov_b32_e32 v136, 28
	s_mov_b32 s6, 29
	s_set_inst_prefetch_distance 0x1
	.p2align	6
.LBB62_589:                             ; =>This Inner Loop Header: Depth=1
	ds_load_2addr_b64 v[138:141], v137 offset1:1
	s_waitcnt lgkmcnt(1)
	v_cmp_gt_f64_e32 vcc_lo, 0, v[128:129]
	v_xor_b32_e32 v40, 0x80000000, v129
	v_cmp_gt_f64_e64 s2, 0, v[130:131]
	v_xor_b32_e32 v42, 0x80000000, v131
	v_add_nc_u32_e32 v137, 16, v137
	s_waitcnt lgkmcnt(0)
	v_cmp_gt_f64_e64 s3, 0, v[138:139]
	v_mov_b32_e32 v44, v138
	v_dual_mov_b32 v46, v140 :: v_dual_cndmask_b32 v41, v129, v40
	v_xor_b32_e32 v40, 0x80000000, v139
	v_cndmask_b32_e64 v43, v131, v42, s2
	v_xor_b32_e32 v42, 0x80000000, v141
	s_delay_alu instid0(VALU_DEP_3) | instskip(SKIP_2) | instid1(VALU_DEP_2)
	v_cndmask_b32_e64 v45, v139, v40, s3
	v_cmp_gt_f64_e64 s3, 0, v[140:141]
	v_cndmask_b32_e32 v40, v128, v128, vcc_lo
	v_cndmask_b32_e64 v47, v141, v42, s3
	v_cndmask_b32_e64 v42, v130, v130, s2
	s_delay_alu instid0(VALU_DEP_2) | instskip(NEXT) | instid1(VALU_DEP_2)
	v_add_f64 v[44:45], v[44:45], v[46:47]
	v_add_f64 v[40:41], v[40:41], v[42:43]
	s_delay_alu instid0(VALU_DEP_1)
	v_cmp_lt_f64_e32 vcc_lo, v[40:41], v[44:45]
	v_cndmask_b32_e32 v131, v131, v141, vcc_lo
	v_dual_cndmask_b32 v129, v129, v139 :: v_dual_cndmask_b32 v128, v128, v138
	v_cndmask_b32_e32 v130, v130, v140, vcc_lo
	v_cndmask_b32_e64 v136, v136, s6, vcc_lo
	s_add_i32 s6, s6, 1
	s_delay_alu instid0(SALU_CYCLE_1)
	s_cmp_lg_u32 s5, s6
	s_cbranch_scc1 .LBB62_589
.LBB62_590:
	s_set_inst_prefetch_distance 0x2
	s_waitcnt lgkmcnt(0)
	v_cmp_eq_f64_e32 vcc_lo, 0, v[128:129]
	v_cmp_eq_f64_e64 s2, 0, v[130:131]
	s_delay_alu instid0(VALU_DEP_1) | instskip(NEXT) | instid1(SALU_CYCLE_1)
	s_and_b32 s2, vcc_lo, s2
	s_and_saveexec_b32 s3, s2
	s_delay_alu instid0(SALU_CYCLE_1)
	s_xor_b32 s2, exec_lo, s3
; %bb.591:
	v_cmp_ne_u32_e32 vcc_lo, 0, v255
	v_cndmask_b32_e32 v255, 29, v255, vcc_lo
; %bb.592:
	s_and_not1_saveexec_b32 s3, s2
	s_cbranch_execz .LBB62_598
; %bb.593:
	v_cmp_gt_f64_e32 vcc_lo, 0, v[128:129]
	v_cmp_gt_f64_e64 s2, 0, v[130:131]
	v_xor_b32_e32 v40, 0x80000000, v129
	v_xor_b32_e32 v42, 0x80000000, v131
	s_delay_alu instid0(VALU_DEP_2) | instskip(NEXT) | instid1(VALU_DEP_2)
	v_cndmask_b32_e32 v41, v129, v40, vcc_lo
	v_cndmask_b32_e64 v43, v131, v42, s2
	v_cndmask_b32_e32 v40, v128, v128, vcc_lo
	v_cndmask_b32_e64 v42, v130, v130, s2
	s_mov_b32 s2, exec_lo
	s_delay_alu instid0(VALU_DEP_1)
	v_cmpx_ngt_f64_e32 v[40:41], v[42:43]
	s_xor_b32 s2, exec_lo, s2
	s_cbranch_execz .LBB62_595
; %bb.594:
	v_div_scale_f64 v[40:41], null, v[130:131], v[130:131], v[128:129]
	v_div_scale_f64 v[46:47], vcc_lo, v[128:129], v[130:131], v[128:129]
	s_delay_alu instid0(VALU_DEP_2) | instskip(SKIP_2) | instid1(VALU_DEP_1)
	v_rcp_f64_e32 v[42:43], v[40:41]
	s_waitcnt_depctr 0xfff
	v_fma_f64 v[44:45], -v[40:41], v[42:43], 1.0
	v_fma_f64 v[42:43], v[42:43], v[44:45], v[42:43]
	s_delay_alu instid0(VALU_DEP_1) | instskip(NEXT) | instid1(VALU_DEP_1)
	v_fma_f64 v[44:45], -v[40:41], v[42:43], 1.0
	v_fma_f64 v[42:43], v[42:43], v[44:45], v[42:43]
	s_delay_alu instid0(VALU_DEP_1) | instskip(NEXT) | instid1(VALU_DEP_1)
	v_mul_f64 v[44:45], v[46:47], v[42:43]
	v_fma_f64 v[40:41], -v[40:41], v[44:45], v[46:47]
	s_delay_alu instid0(VALU_DEP_1) | instskip(NEXT) | instid1(VALU_DEP_1)
	v_div_fmas_f64 v[40:41], v[40:41], v[42:43], v[44:45]
	v_div_fixup_f64 v[40:41], v[40:41], v[130:131], v[128:129]
	s_delay_alu instid0(VALU_DEP_1) | instskip(NEXT) | instid1(VALU_DEP_1)
	v_fma_f64 v[42:43], v[128:129], v[40:41], v[130:131]
	v_div_scale_f64 v[44:45], null, v[42:43], v[42:43], 1.0
	s_delay_alu instid0(VALU_DEP_1) | instskip(SKIP_2) | instid1(VALU_DEP_1)
	v_rcp_f64_e32 v[46:47], v[44:45]
	s_waitcnt_depctr 0xfff
	v_fma_f64 v[128:129], -v[44:45], v[46:47], 1.0
	v_fma_f64 v[46:47], v[46:47], v[128:129], v[46:47]
	s_delay_alu instid0(VALU_DEP_1) | instskip(NEXT) | instid1(VALU_DEP_1)
	v_fma_f64 v[128:129], -v[44:45], v[46:47], 1.0
	v_fma_f64 v[46:47], v[46:47], v[128:129], v[46:47]
	v_div_scale_f64 v[128:129], vcc_lo, 1.0, v[42:43], 1.0
	s_delay_alu instid0(VALU_DEP_1) | instskip(NEXT) | instid1(VALU_DEP_1)
	v_mul_f64 v[130:131], v[128:129], v[46:47]
	v_fma_f64 v[44:45], -v[44:45], v[130:131], v[128:129]
	s_delay_alu instid0(VALU_DEP_1) | instskip(NEXT) | instid1(VALU_DEP_1)
	v_div_fmas_f64 v[44:45], v[44:45], v[46:47], v[130:131]
	v_div_fixup_f64 v[130:131], v[44:45], v[42:43], 1.0
	s_delay_alu instid0(VALU_DEP_1)
	v_mul_f64 v[128:129], v[40:41], v[130:131]
	v_xor_b32_e32 v131, 0x80000000, v131
.LBB62_595:
	s_and_not1_saveexec_b32 s2, s2
	s_cbranch_execz .LBB62_597
; %bb.596:
	s_delay_alu instid0(VALU_DEP_1) | instskip(SKIP_1) | instid1(VALU_DEP_2)
	v_div_scale_f64 v[40:41], null, v[128:129], v[128:129], v[130:131]
	v_div_scale_f64 v[46:47], vcc_lo, v[130:131], v[128:129], v[130:131]
	v_rcp_f64_e32 v[42:43], v[40:41]
	s_waitcnt_depctr 0xfff
	v_fma_f64 v[44:45], -v[40:41], v[42:43], 1.0
	s_delay_alu instid0(VALU_DEP_1) | instskip(NEXT) | instid1(VALU_DEP_1)
	v_fma_f64 v[42:43], v[42:43], v[44:45], v[42:43]
	v_fma_f64 v[44:45], -v[40:41], v[42:43], 1.0
	s_delay_alu instid0(VALU_DEP_1) | instskip(NEXT) | instid1(VALU_DEP_1)
	v_fma_f64 v[42:43], v[42:43], v[44:45], v[42:43]
	v_mul_f64 v[44:45], v[46:47], v[42:43]
	s_delay_alu instid0(VALU_DEP_1) | instskip(NEXT) | instid1(VALU_DEP_1)
	v_fma_f64 v[40:41], -v[40:41], v[44:45], v[46:47]
	v_div_fmas_f64 v[40:41], v[40:41], v[42:43], v[44:45]
	s_delay_alu instid0(VALU_DEP_1) | instskip(NEXT) | instid1(VALU_DEP_1)
	v_div_fixup_f64 v[40:41], v[40:41], v[128:129], v[130:131]
	v_fma_f64 v[42:43], v[130:131], v[40:41], v[128:129]
	s_delay_alu instid0(VALU_DEP_1) | instskip(NEXT) | instid1(VALU_DEP_1)
	v_div_scale_f64 v[44:45], null, v[42:43], v[42:43], 1.0
	v_rcp_f64_e32 v[46:47], v[44:45]
	s_waitcnt_depctr 0xfff
	v_fma_f64 v[128:129], -v[44:45], v[46:47], 1.0
	s_delay_alu instid0(VALU_DEP_1) | instskip(NEXT) | instid1(VALU_DEP_1)
	v_fma_f64 v[46:47], v[46:47], v[128:129], v[46:47]
	v_fma_f64 v[128:129], -v[44:45], v[46:47], 1.0
	s_delay_alu instid0(VALU_DEP_1) | instskip(SKIP_1) | instid1(VALU_DEP_1)
	v_fma_f64 v[46:47], v[46:47], v[128:129], v[46:47]
	v_div_scale_f64 v[128:129], vcc_lo, 1.0, v[42:43], 1.0
	v_mul_f64 v[130:131], v[128:129], v[46:47]
	s_delay_alu instid0(VALU_DEP_1) | instskip(NEXT) | instid1(VALU_DEP_1)
	v_fma_f64 v[44:45], -v[44:45], v[130:131], v[128:129]
	v_div_fmas_f64 v[44:45], v[44:45], v[46:47], v[130:131]
	s_delay_alu instid0(VALU_DEP_1) | instskip(NEXT) | instid1(VALU_DEP_1)
	v_div_fixup_f64 v[128:129], v[44:45], v[42:43], 1.0
	v_mul_f64 v[130:131], v[40:41], -v[128:129]
.LBB62_597:
	s_or_b32 exec_lo, exec_lo, s2
.LBB62_598:
	s_delay_alu instid0(SALU_CYCLE_1) | instskip(NEXT) | instid1(SALU_CYCLE_1)
	s_or_b32 exec_lo, exec_lo, s3
	s_mov_b32 s2, exec_lo
	v_cmpx_ne_u32_e64 v162, v136
	s_xor_b32 s2, exec_lo, s2
	s_cbranch_execz .LBB62_604
; %bb.599:
	s_mov_b32 s3, exec_lo
	v_cmpx_eq_u32_e32 28, v162
	s_cbranch_execz .LBB62_603
; %bb.600:
	v_cmp_ne_u32_e32 vcc_lo, 28, v136
	s_xor_b32 s6, s4, -1
	s_delay_alu instid0(SALU_CYCLE_1) | instskip(NEXT) | instid1(SALU_CYCLE_1)
	s_and_b32 s7, s6, vcc_lo
	s_and_saveexec_b32 s6, s7
	s_cbranch_execz .LBB62_602
; %bb.601:
	v_ashrrev_i32_e32 v137, 31, v136
	s_delay_alu instid0(VALU_DEP_1) | instskip(NEXT) | instid1(VALU_DEP_1)
	v_lshlrev_b64 v[40:41], 2, v[136:137]
	v_add_co_u32 v40, vcc_lo, v118, v40
	s_delay_alu instid0(VALU_DEP_2)
	v_add_co_ci_u32_e32 v41, vcc_lo, v119, v41, vcc_lo
	s_clause 0x1
	flat_load_b32 v42, v[40:41]
	flat_load_b32 v43, v[118:119] offset:112
	s_waitcnt vmcnt(1) lgkmcnt(1)
	flat_store_b32 v[118:119], v42 offset:112
	s_waitcnt vmcnt(0) lgkmcnt(1)
	flat_store_b32 v[40:41], v43
.LBB62_602:
	s_or_b32 exec_lo, exec_lo, s6
	v_mov_b32_e32 v162, v136
	v_mov_b32_e32 v40, v136
	scratch_store_b32 off, v40, off         ; 4-byte Folded Spill
.LBB62_603:
	s_or_b32 exec_lo, exec_lo, s3
.LBB62_604:
	s_and_not1_saveexec_b32 s2, s2
	s_cbranch_execz .LBB62_606
; %bb.605:
	v_mov_b32_e32 v162, 28
	ds_store_2addr_b64 v160, v[8:9], v[10:11] offset0:58 offset1:59
	ds_store_2addr_b64 v160, v[4:5], v[6:7] offset0:60 offset1:61
	;; [unrolled: 1-line block ×3, first 2 shown]
.LBB62_606:
	s_or_b32 exec_lo, exec_lo, s2
	s_delay_alu instid0(SALU_CYCLE_1)
	s_mov_b32 s2, exec_lo
	s_waitcnt lgkmcnt(0)
	s_waitcnt_vscnt null, 0x0
	s_barrier
	buffer_gl0_inv
	v_cmpx_lt_i32_e32 28, v162
	s_cbranch_execz .LBB62_608
; %bb.607:
	v_mul_f64 v[40:41], v[128:129], v[14:15]
	v_mul_f64 v[14:15], v[130:131], v[14:15]
	ds_load_2addr_b64 v[136:139], v160 offset0:58 offset1:59
	ds_load_2addr_b64 v[140:143], v160 offset0:60 offset1:61
	;; [unrolled: 1-line block ×3, first 2 shown]
	v_fma_f64 v[40:41], v[130:131], v[12:13], v[40:41]
	v_fma_f64 v[12:13], v[128:129], v[12:13], -v[14:15]
	s_waitcnt lgkmcnt(2)
	s_delay_alu instid0(VALU_DEP_2)
	v_mul_f64 v[14:15], v[138:139], v[40:41]
	v_mul_f64 v[42:43], v[136:137], v[40:41]
	s_waitcnt lgkmcnt(1)
	v_mul_f64 v[44:45], v[142:143], v[40:41]
	v_mul_f64 v[46:47], v[140:141], v[40:41]
	s_waitcnt lgkmcnt(0)
	v_mul_f64 v[128:129], v[146:147], v[40:41]
	v_mul_f64 v[130:131], v[144:145], v[40:41]
	v_fma_f64 v[14:15], v[136:137], v[12:13], -v[14:15]
	v_fma_f64 v[42:43], v[138:139], v[12:13], v[42:43]
	v_fma_f64 v[44:45], v[140:141], v[12:13], -v[44:45]
	v_fma_f64 v[46:47], v[142:143], v[12:13], v[46:47]
	;; [unrolled: 2-line block ×3, first 2 shown]
	v_add_f64 v[8:9], v[8:9], -v[14:15]
	v_add_f64 v[10:11], v[10:11], -v[42:43]
	;; [unrolled: 1-line block ×6, first 2 shown]
	v_dual_mov_b32 v14, v40 :: v_dual_mov_b32 v15, v41
.LBB62_608:
	s_or_b32 exec_lo, exec_lo, s2
	v_lshl_add_u32 v40, v162, 4, v160
	s_barrier
	buffer_gl0_inv
	v_mov_b32_e32 v136, 29
	ds_store_2addr_b64 v40, v[8:9], v[10:11] offset1:1
	s_waitcnt lgkmcnt(0)
	s_barrier
	buffer_gl0_inv
	ds_load_2addr_b64 v[128:131], v160 offset0:58 offset1:59
	s_cmp_lt_i32 s5, 31
	s_cbranch_scc1 .LBB62_611
; %bb.609:
	v_add3_u32 v137, v156, 0, 0x1e0
	v_mov_b32_e32 v136, 29
	s_mov_b32 s6, 30
	s_set_inst_prefetch_distance 0x1
	.p2align	6
.LBB62_610:                             ; =>This Inner Loop Header: Depth=1
	ds_load_2addr_b64 v[138:141], v137 offset1:1
	s_waitcnt lgkmcnt(1)
	v_cmp_gt_f64_e32 vcc_lo, 0, v[128:129]
	v_xor_b32_e32 v40, 0x80000000, v129
	v_cmp_gt_f64_e64 s2, 0, v[130:131]
	v_xor_b32_e32 v42, 0x80000000, v131
	v_add_nc_u32_e32 v137, 16, v137
	s_waitcnt lgkmcnt(0)
	v_cmp_gt_f64_e64 s3, 0, v[138:139]
	v_mov_b32_e32 v44, v138
	v_dual_mov_b32 v46, v140 :: v_dual_cndmask_b32 v41, v129, v40
	v_xor_b32_e32 v40, 0x80000000, v139
	v_cndmask_b32_e64 v43, v131, v42, s2
	v_xor_b32_e32 v42, 0x80000000, v141
	s_delay_alu instid0(VALU_DEP_3) | instskip(SKIP_2) | instid1(VALU_DEP_2)
	v_cndmask_b32_e64 v45, v139, v40, s3
	v_cmp_gt_f64_e64 s3, 0, v[140:141]
	v_cndmask_b32_e32 v40, v128, v128, vcc_lo
	v_cndmask_b32_e64 v47, v141, v42, s3
	v_cndmask_b32_e64 v42, v130, v130, s2
	s_delay_alu instid0(VALU_DEP_2) | instskip(NEXT) | instid1(VALU_DEP_2)
	v_add_f64 v[44:45], v[44:45], v[46:47]
	v_add_f64 v[40:41], v[40:41], v[42:43]
	s_delay_alu instid0(VALU_DEP_1)
	v_cmp_lt_f64_e32 vcc_lo, v[40:41], v[44:45]
	v_cndmask_b32_e32 v131, v131, v141, vcc_lo
	v_dual_cndmask_b32 v129, v129, v139 :: v_dual_cndmask_b32 v128, v128, v138
	v_cndmask_b32_e32 v130, v130, v140, vcc_lo
	v_cndmask_b32_e64 v136, v136, s6, vcc_lo
	s_add_i32 s6, s6, 1
	s_delay_alu instid0(SALU_CYCLE_1)
	s_cmp_lg_u32 s5, s6
	s_cbranch_scc1 .LBB62_610
.LBB62_611:
	s_set_inst_prefetch_distance 0x2
	s_waitcnt lgkmcnt(0)
	v_cmp_eq_f64_e32 vcc_lo, 0, v[128:129]
	v_cmp_eq_f64_e64 s2, 0, v[130:131]
	s_delay_alu instid0(VALU_DEP_1) | instskip(NEXT) | instid1(SALU_CYCLE_1)
	s_and_b32 s2, vcc_lo, s2
	s_and_saveexec_b32 s3, s2
	s_delay_alu instid0(SALU_CYCLE_1)
	s_xor_b32 s2, exec_lo, s3
; %bb.612:
	v_cmp_ne_u32_e32 vcc_lo, 0, v255
	v_cndmask_b32_e32 v255, 30, v255, vcc_lo
; %bb.613:
	s_and_not1_saveexec_b32 s3, s2
	s_cbranch_execz .LBB62_619
; %bb.614:
	v_cmp_gt_f64_e32 vcc_lo, 0, v[128:129]
	v_cmp_gt_f64_e64 s2, 0, v[130:131]
	v_xor_b32_e32 v40, 0x80000000, v129
	v_xor_b32_e32 v42, 0x80000000, v131
	s_delay_alu instid0(VALU_DEP_2) | instskip(NEXT) | instid1(VALU_DEP_2)
	v_cndmask_b32_e32 v41, v129, v40, vcc_lo
	v_cndmask_b32_e64 v43, v131, v42, s2
	v_cndmask_b32_e32 v40, v128, v128, vcc_lo
	v_cndmask_b32_e64 v42, v130, v130, s2
	s_mov_b32 s2, exec_lo
	s_delay_alu instid0(VALU_DEP_1)
	v_cmpx_ngt_f64_e32 v[40:41], v[42:43]
	s_xor_b32 s2, exec_lo, s2
	s_cbranch_execz .LBB62_616
; %bb.615:
	v_div_scale_f64 v[40:41], null, v[130:131], v[130:131], v[128:129]
	v_div_scale_f64 v[46:47], vcc_lo, v[128:129], v[130:131], v[128:129]
	s_delay_alu instid0(VALU_DEP_2) | instskip(SKIP_2) | instid1(VALU_DEP_1)
	v_rcp_f64_e32 v[42:43], v[40:41]
	s_waitcnt_depctr 0xfff
	v_fma_f64 v[44:45], -v[40:41], v[42:43], 1.0
	v_fma_f64 v[42:43], v[42:43], v[44:45], v[42:43]
	s_delay_alu instid0(VALU_DEP_1) | instskip(NEXT) | instid1(VALU_DEP_1)
	v_fma_f64 v[44:45], -v[40:41], v[42:43], 1.0
	v_fma_f64 v[42:43], v[42:43], v[44:45], v[42:43]
	s_delay_alu instid0(VALU_DEP_1) | instskip(NEXT) | instid1(VALU_DEP_1)
	v_mul_f64 v[44:45], v[46:47], v[42:43]
	v_fma_f64 v[40:41], -v[40:41], v[44:45], v[46:47]
	s_delay_alu instid0(VALU_DEP_1) | instskip(NEXT) | instid1(VALU_DEP_1)
	v_div_fmas_f64 v[40:41], v[40:41], v[42:43], v[44:45]
	v_div_fixup_f64 v[40:41], v[40:41], v[130:131], v[128:129]
	s_delay_alu instid0(VALU_DEP_1) | instskip(NEXT) | instid1(VALU_DEP_1)
	v_fma_f64 v[42:43], v[128:129], v[40:41], v[130:131]
	v_div_scale_f64 v[44:45], null, v[42:43], v[42:43], 1.0
	s_delay_alu instid0(VALU_DEP_1) | instskip(SKIP_2) | instid1(VALU_DEP_1)
	v_rcp_f64_e32 v[46:47], v[44:45]
	s_waitcnt_depctr 0xfff
	v_fma_f64 v[128:129], -v[44:45], v[46:47], 1.0
	v_fma_f64 v[46:47], v[46:47], v[128:129], v[46:47]
	s_delay_alu instid0(VALU_DEP_1) | instskip(NEXT) | instid1(VALU_DEP_1)
	v_fma_f64 v[128:129], -v[44:45], v[46:47], 1.0
	v_fma_f64 v[46:47], v[46:47], v[128:129], v[46:47]
	v_div_scale_f64 v[128:129], vcc_lo, 1.0, v[42:43], 1.0
	s_delay_alu instid0(VALU_DEP_1) | instskip(NEXT) | instid1(VALU_DEP_1)
	v_mul_f64 v[130:131], v[128:129], v[46:47]
	v_fma_f64 v[44:45], -v[44:45], v[130:131], v[128:129]
	s_delay_alu instid0(VALU_DEP_1) | instskip(NEXT) | instid1(VALU_DEP_1)
	v_div_fmas_f64 v[44:45], v[44:45], v[46:47], v[130:131]
	v_div_fixup_f64 v[130:131], v[44:45], v[42:43], 1.0
	s_delay_alu instid0(VALU_DEP_1)
	v_mul_f64 v[128:129], v[40:41], v[130:131]
	v_xor_b32_e32 v131, 0x80000000, v131
.LBB62_616:
	s_and_not1_saveexec_b32 s2, s2
	s_cbranch_execz .LBB62_618
; %bb.617:
	s_delay_alu instid0(VALU_DEP_1) | instskip(SKIP_1) | instid1(VALU_DEP_2)
	v_div_scale_f64 v[40:41], null, v[128:129], v[128:129], v[130:131]
	v_div_scale_f64 v[46:47], vcc_lo, v[130:131], v[128:129], v[130:131]
	v_rcp_f64_e32 v[42:43], v[40:41]
	s_waitcnt_depctr 0xfff
	v_fma_f64 v[44:45], -v[40:41], v[42:43], 1.0
	s_delay_alu instid0(VALU_DEP_1) | instskip(NEXT) | instid1(VALU_DEP_1)
	v_fma_f64 v[42:43], v[42:43], v[44:45], v[42:43]
	v_fma_f64 v[44:45], -v[40:41], v[42:43], 1.0
	s_delay_alu instid0(VALU_DEP_1) | instskip(NEXT) | instid1(VALU_DEP_1)
	v_fma_f64 v[42:43], v[42:43], v[44:45], v[42:43]
	v_mul_f64 v[44:45], v[46:47], v[42:43]
	s_delay_alu instid0(VALU_DEP_1) | instskip(NEXT) | instid1(VALU_DEP_1)
	v_fma_f64 v[40:41], -v[40:41], v[44:45], v[46:47]
	v_div_fmas_f64 v[40:41], v[40:41], v[42:43], v[44:45]
	s_delay_alu instid0(VALU_DEP_1) | instskip(NEXT) | instid1(VALU_DEP_1)
	v_div_fixup_f64 v[40:41], v[40:41], v[128:129], v[130:131]
	v_fma_f64 v[42:43], v[130:131], v[40:41], v[128:129]
	s_delay_alu instid0(VALU_DEP_1) | instskip(NEXT) | instid1(VALU_DEP_1)
	v_div_scale_f64 v[44:45], null, v[42:43], v[42:43], 1.0
	v_rcp_f64_e32 v[46:47], v[44:45]
	s_waitcnt_depctr 0xfff
	v_fma_f64 v[128:129], -v[44:45], v[46:47], 1.0
	s_delay_alu instid0(VALU_DEP_1) | instskip(NEXT) | instid1(VALU_DEP_1)
	v_fma_f64 v[46:47], v[46:47], v[128:129], v[46:47]
	v_fma_f64 v[128:129], -v[44:45], v[46:47], 1.0
	s_delay_alu instid0(VALU_DEP_1) | instskip(SKIP_1) | instid1(VALU_DEP_1)
	v_fma_f64 v[46:47], v[46:47], v[128:129], v[46:47]
	v_div_scale_f64 v[128:129], vcc_lo, 1.0, v[42:43], 1.0
	v_mul_f64 v[130:131], v[128:129], v[46:47]
	s_delay_alu instid0(VALU_DEP_1) | instskip(NEXT) | instid1(VALU_DEP_1)
	v_fma_f64 v[44:45], -v[44:45], v[130:131], v[128:129]
	v_div_fmas_f64 v[44:45], v[44:45], v[46:47], v[130:131]
	s_delay_alu instid0(VALU_DEP_1) | instskip(NEXT) | instid1(VALU_DEP_1)
	v_div_fixup_f64 v[128:129], v[44:45], v[42:43], 1.0
	v_mul_f64 v[130:131], v[40:41], -v[128:129]
.LBB62_618:
	s_or_b32 exec_lo, exec_lo, s2
.LBB62_619:
	s_delay_alu instid0(SALU_CYCLE_1) | instskip(NEXT) | instid1(SALU_CYCLE_1)
	s_or_b32 exec_lo, exec_lo, s3
	s_mov_b32 s2, exec_lo
	v_cmpx_ne_u32_e64 v162, v136
	s_xor_b32 s2, exec_lo, s2
	s_cbranch_execz .LBB62_625
; %bb.620:
	s_mov_b32 s3, exec_lo
	v_cmpx_eq_u32_e32 29, v162
	s_cbranch_execz .LBB62_624
; %bb.621:
	v_cmp_ne_u32_e32 vcc_lo, 29, v136
	s_xor_b32 s6, s4, -1
	s_delay_alu instid0(SALU_CYCLE_1) | instskip(NEXT) | instid1(SALU_CYCLE_1)
	s_and_b32 s7, s6, vcc_lo
	s_and_saveexec_b32 s6, s7
	s_cbranch_execz .LBB62_623
; %bb.622:
	v_ashrrev_i32_e32 v137, 31, v136
	s_delay_alu instid0(VALU_DEP_1) | instskip(NEXT) | instid1(VALU_DEP_1)
	v_lshlrev_b64 v[40:41], 2, v[136:137]
	v_add_co_u32 v40, vcc_lo, v118, v40
	s_delay_alu instid0(VALU_DEP_2)
	v_add_co_ci_u32_e32 v41, vcc_lo, v119, v41, vcc_lo
	s_clause 0x1
	flat_load_b32 v42, v[40:41]
	flat_load_b32 v43, v[118:119] offset:116
	s_waitcnt vmcnt(1) lgkmcnt(1)
	flat_store_b32 v[118:119], v42 offset:116
	s_waitcnt vmcnt(0) lgkmcnt(1)
	flat_store_b32 v[40:41], v43
.LBB62_623:
	s_or_b32 exec_lo, exec_lo, s6
	v_mov_b32_e32 v162, v136
	v_mov_b32_e32 v40, v136
	scratch_store_b32 off, v40, off         ; 4-byte Folded Spill
.LBB62_624:
	s_or_b32 exec_lo, exec_lo, s3
.LBB62_625:
	s_and_not1_saveexec_b32 s2, s2
	s_cbranch_execz .LBB62_627
; %bb.626:
	v_mov_b32_e32 v162, 29
	ds_store_2addr_b64 v160, v[4:5], v[6:7] offset0:60 offset1:61
	ds_store_2addr_b64 v160, v[0:1], v[2:3] offset0:62 offset1:63
.LBB62_627:
	s_or_b32 exec_lo, exec_lo, s2
	s_delay_alu instid0(SALU_CYCLE_1)
	s_mov_b32 s2, exec_lo
	s_waitcnt lgkmcnt(0)
	s_waitcnt_vscnt null, 0x0
	s_barrier
	buffer_gl0_inv
	v_cmpx_lt_i32_e32 29, v162
	s_cbranch_execz .LBB62_629
; %bb.628:
	v_mul_f64 v[40:41], v[128:129], v[10:11]
	v_mul_f64 v[10:11], v[130:131], v[10:11]
	ds_load_2addr_b64 v[136:139], v160 offset0:60 offset1:61
	ds_load_2addr_b64 v[140:143], v160 offset0:62 offset1:63
	v_fma_f64 v[40:41], v[130:131], v[8:9], v[40:41]
	v_fma_f64 v[8:9], v[128:129], v[8:9], -v[10:11]
	s_waitcnt lgkmcnt(1)
	s_delay_alu instid0(VALU_DEP_2) | instskip(SKIP_4) | instid1(VALU_DEP_4)
	v_mul_f64 v[10:11], v[138:139], v[40:41]
	v_mul_f64 v[42:43], v[136:137], v[40:41]
	s_waitcnt lgkmcnt(0)
	v_mul_f64 v[44:45], v[142:143], v[40:41]
	v_mul_f64 v[46:47], v[140:141], v[40:41]
	v_fma_f64 v[10:11], v[136:137], v[8:9], -v[10:11]
	s_delay_alu instid0(VALU_DEP_4) | instskip(NEXT) | instid1(VALU_DEP_4)
	v_fma_f64 v[42:43], v[138:139], v[8:9], v[42:43]
	v_fma_f64 v[44:45], v[140:141], v[8:9], -v[44:45]
	s_delay_alu instid0(VALU_DEP_4) | instskip(NEXT) | instid1(VALU_DEP_4)
	v_fma_f64 v[46:47], v[142:143], v[8:9], v[46:47]
	v_add_f64 v[4:5], v[4:5], -v[10:11]
	s_delay_alu instid0(VALU_DEP_4) | instskip(NEXT) | instid1(VALU_DEP_4)
	v_add_f64 v[6:7], v[6:7], -v[42:43]
	v_add_f64 v[0:1], v[0:1], -v[44:45]
	s_delay_alu instid0(VALU_DEP_4)
	v_add_f64 v[2:3], v[2:3], -v[46:47]
	v_dual_mov_b32 v10, v40 :: v_dual_mov_b32 v11, v41
.LBB62_629:
	s_or_b32 exec_lo, exec_lo, s2
	v_lshl_add_u32 v40, v162, 4, v160
	s_barrier
	buffer_gl0_inv
	v_mov_b32_e32 v136, 30
	ds_store_2addr_b64 v40, v[4:5], v[6:7] offset1:1
	s_waitcnt lgkmcnt(0)
	s_barrier
	buffer_gl0_inv
	ds_load_2addr_b64 v[128:131], v160 offset0:60 offset1:61
	s_cmp_lt_i32 s5, 32
	s_cbranch_scc1 .LBB62_632
; %bb.630:
	v_add3_u32 v137, v156, 0, 0x1f0
	v_mov_b32_e32 v136, 30
	s_mov_b32 s6, 31
	s_set_inst_prefetch_distance 0x1
	.p2align	6
.LBB62_631:                             ; =>This Inner Loop Header: Depth=1
	ds_load_2addr_b64 v[138:141], v137 offset1:1
	s_waitcnt lgkmcnt(1)
	v_cmp_gt_f64_e32 vcc_lo, 0, v[128:129]
	v_xor_b32_e32 v40, 0x80000000, v129
	v_cmp_gt_f64_e64 s2, 0, v[130:131]
	v_xor_b32_e32 v42, 0x80000000, v131
	v_add_nc_u32_e32 v137, 16, v137
	s_waitcnt lgkmcnt(0)
	v_cmp_gt_f64_e64 s3, 0, v[138:139]
	v_mov_b32_e32 v44, v138
	v_dual_mov_b32 v46, v140 :: v_dual_cndmask_b32 v41, v129, v40
	v_xor_b32_e32 v40, 0x80000000, v139
	v_cndmask_b32_e64 v43, v131, v42, s2
	v_xor_b32_e32 v42, 0x80000000, v141
	s_delay_alu instid0(VALU_DEP_3) | instskip(SKIP_2) | instid1(VALU_DEP_2)
	v_cndmask_b32_e64 v45, v139, v40, s3
	v_cmp_gt_f64_e64 s3, 0, v[140:141]
	v_cndmask_b32_e32 v40, v128, v128, vcc_lo
	v_cndmask_b32_e64 v47, v141, v42, s3
	v_cndmask_b32_e64 v42, v130, v130, s2
	s_delay_alu instid0(VALU_DEP_2) | instskip(NEXT) | instid1(VALU_DEP_2)
	v_add_f64 v[44:45], v[44:45], v[46:47]
	v_add_f64 v[40:41], v[40:41], v[42:43]
	s_delay_alu instid0(VALU_DEP_1)
	v_cmp_lt_f64_e32 vcc_lo, v[40:41], v[44:45]
	v_cndmask_b32_e32 v131, v131, v141, vcc_lo
	v_dual_cndmask_b32 v129, v129, v139 :: v_dual_cndmask_b32 v128, v128, v138
	v_cndmask_b32_e32 v130, v130, v140, vcc_lo
	v_cndmask_b32_e64 v136, v136, s6, vcc_lo
	s_add_i32 s6, s6, 1
	s_delay_alu instid0(SALU_CYCLE_1)
	s_cmp_lg_u32 s5, s6
	s_cbranch_scc1 .LBB62_631
.LBB62_632:
	s_set_inst_prefetch_distance 0x2
	s_waitcnt lgkmcnt(0)
	v_cmp_eq_f64_e32 vcc_lo, 0, v[128:129]
	v_cmp_eq_f64_e64 s2, 0, v[130:131]
	s_delay_alu instid0(VALU_DEP_1) | instskip(NEXT) | instid1(SALU_CYCLE_1)
	s_and_b32 s2, vcc_lo, s2
	s_and_saveexec_b32 s3, s2
	s_delay_alu instid0(SALU_CYCLE_1)
	s_xor_b32 s2, exec_lo, s3
; %bb.633:
	v_cmp_ne_u32_e32 vcc_lo, 0, v255
	v_cndmask_b32_e32 v255, 31, v255, vcc_lo
; %bb.634:
	s_and_not1_saveexec_b32 s3, s2
	s_cbranch_execz .LBB62_640
; %bb.635:
	v_cmp_gt_f64_e32 vcc_lo, 0, v[128:129]
	v_cmp_gt_f64_e64 s2, 0, v[130:131]
	v_xor_b32_e32 v40, 0x80000000, v129
	v_xor_b32_e32 v42, 0x80000000, v131
	s_delay_alu instid0(VALU_DEP_2) | instskip(NEXT) | instid1(VALU_DEP_2)
	v_cndmask_b32_e32 v41, v129, v40, vcc_lo
	v_cndmask_b32_e64 v43, v131, v42, s2
	v_cndmask_b32_e32 v40, v128, v128, vcc_lo
	v_cndmask_b32_e64 v42, v130, v130, s2
	s_mov_b32 s2, exec_lo
	s_delay_alu instid0(VALU_DEP_1)
	v_cmpx_ngt_f64_e32 v[40:41], v[42:43]
	s_xor_b32 s2, exec_lo, s2
	s_cbranch_execz .LBB62_637
; %bb.636:
	v_div_scale_f64 v[40:41], null, v[130:131], v[130:131], v[128:129]
	v_div_scale_f64 v[46:47], vcc_lo, v[128:129], v[130:131], v[128:129]
	s_delay_alu instid0(VALU_DEP_2) | instskip(SKIP_2) | instid1(VALU_DEP_1)
	v_rcp_f64_e32 v[42:43], v[40:41]
	s_waitcnt_depctr 0xfff
	v_fma_f64 v[44:45], -v[40:41], v[42:43], 1.0
	v_fma_f64 v[42:43], v[42:43], v[44:45], v[42:43]
	s_delay_alu instid0(VALU_DEP_1) | instskip(NEXT) | instid1(VALU_DEP_1)
	v_fma_f64 v[44:45], -v[40:41], v[42:43], 1.0
	v_fma_f64 v[42:43], v[42:43], v[44:45], v[42:43]
	s_delay_alu instid0(VALU_DEP_1) | instskip(NEXT) | instid1(VALU_DEP_1)
	v_mul_f64 v[44:45], v[46:47], v[42:43]
	v_fma_f64 v[40:41], -v[40:41], v[44:45], v[46:47]
	s_delay_alu instid0(VALU_DEP_1) | instskip(NEXT) | instid1(VALU_DEP_1)
	v_div_fmas_f64 v[40:41], v[40:41], v[42:43], v[44:45]
	v_div_fixup_f64 v[40:41], v[40:41], v[130:131], v[128:129]
	s_delay_alu instid0(VALU_DEP_1) | instskip(NEXT) | instid1(VALU_DEP_1)
	v_fma_f64 v[42:43], v[128:129], v[40:41], v[130:131]
	v_div_scale_f64 v[44:45], null, v[42:43], v[42:43], 1.0
	s_delay_alu instid0(VALU_DEP_1) | instskip(SKIP_2) | instid1(VALU_DEP_1)
	v_rcp_f64_e32 v[46:47], v[44:45]
	s_waitcnt_depctr 0xfff
	v_fma_f64 v[128:129], -v[44:45], v[46:47], 1.0
	v_fma_f64 v[46:47], v[46:47], v[128:129], v[46:47]
	s_delay_alu instid0(VALU_DEP_1) | instskip(NEXT) | instid1(VALU_DEP_1)
	v_fma_f64 v[128:129], -v[44:45], v[46:47], 1.0
	v_fma_f64 v[46:47], v[46:47], v[128:129], v[46:47]
	v_div_scale_f64 v[128:129], vcc_lo, 1.0, v[42:43], 1.0
	s_delay_alu instid0(VALU_DEP_1) | instskip(NEXT) | instid1(VALU_DEP_1)
	v_mul_f64 v[130:131], v[128:129], v[46:47]
	v_fma_f64 v[44:45], -v[44:45], v[130:131], v[128:129]
	s_delay_alu instid0(VALU_DEP_1) | instskip(NEXT) | instid1(VALU_DEP_1)
	v_div_fmas_f64 v[44:45], v[44:45], v[46:47], v[130:131]
	v_div_fixup_f64 v[130:131], v[44:45], v[42:43], 1.0
	s_delay_alu instid0(VALU_DEP_1)
	v_mul_f64 v[128:129], v[40:41], v[130:131]
	v_xor_b32_e32 v131, 0x80000000, v131
.LBB62_637:
	s_and_not1_saveexec_b32 s2, s2
	s_cbranch_execz .LBB62_639
; %bb.638:
	s_delay_alu instid0(VALU_DEP_1) | instskip(SKIP_1) | instid1(VALU_DEP_2)
	v_div_scale_f64 v[40:41], null, v[128:129], v[128:129], v[130:131]
	v_div_scale_f64 v[46:47], vcc_lo, v[130:131], v[128:129], v[130:131]
	v_rcp_f64_e32 v[42:43], v[40:41]
	s_waitcnt_depctr 0xfff
	v_fma_f64 v[44:45], -v[40:41], v[42:43], 1.0
	s_delay_alu instid0(VALU_DEP_1) | instskip(NEXT) | instid1(VALU_DEP_1)
	v_fma_f64 v[42:43], v[42:43], v[44:45], v[42:43]
	v_fma_f64 v[44:45], -v[40:41], v[42:43], 1.0
	s_delay_alu instid0(VALU_DEP_1) | instskip(NEXT) | instid1(VALU_DEP_1)
	v_fma_f64 v[42:43], v[42:43], v[44:45], v[42:43]
	v_mul_f64 v[44:45], v[46:47], v[42:43]
	s_delay_alu instid0(VALU_DEP_1) | instskip(NEXT) | instid1(VALU_DEP_1)
	v_fma_f64 v[40:41], -v[40:41], v[44:45], v[46:47]
	v_div_fmas_f64 v[40:41], v[40:41], v[42:43], v[44:45]
	s_delay_alu instid0(VALU_DEP_1) | instskip(NEXT) | instid1(VALU_DEP_1)
	v_div_fixup_f64 v[40:41], v[40:41], v[128:129], v[130:131]
	v_fma_f64 v[42:43], v[130:131], v[40:41], v[128:129]
	s_delay_alu instid0(VALU_DEP_1) | instskip(NEXT) | instid1(VALU_DEP_1)
	v_div_scale_f64 v[44:45], null, v[42:43], v[42:43], 1.0
	v_rcp_f64_e32 v[46:47], v[44:45]
	s_waitcnt_depctr 0xfff
	v_fma_f64 v[128:129], -v[44:45], v[46:47], 1.0
	s_delay_alu instid0(VALU_DEP_1) | instskip(NEXT) | instid1(VALU_DEP_1)
	v_fma_f64 v[46:47], v[46:47], v[128:129], v[46:47]
	v_fma_f64 v[128:129], -v[44:45], v[46:47], 1.0
	s_delay_alu instid0(VALU_DEP_1) | instskip(SKIP_1) | instid1(VALU_DEP_1)
	v_fma_f64 v[46:47], v[46:47], v[128:129], v[46:47]
	v_div_scale_f64 v[128:129], vcc_lo, 1.0, v[42:43], 1.0
	v_mul_f64 v[130:131], v[128:129], v[46:47]
	s_delay_alu instid0(VALU_DEP_1) | instskip(NEXT) | instid1(VALU_DEP_1)
	v_fma_f64 v[44:45], -v[44:45], v[130:131], v[128:129]
	v_div_fmas_f64 v[44:45], v[44:45], v[46:47], v[130:131]
	s_delay_alu instid0(VALU_DEP_1) | instskip(NEXT) | instid1(VALU_DEP_1)
	v_div_fixup_f64 v[128:129], v[44:45], v[42:43], 1.0
	v_mul_f64 v[130:131], v[40:41], -v[128:129]
.LBB62_639:
	s_or_b32 exec_lo, exec_lo, s2
.LBB62_640:
	s_delay_alu instid0(SALU_CYCLE_1) | instskip(NEXT) | instid1(SALU_CYCLE_1)
	s_or_b32 exec_lo, exec_lo, s3
	s_mov_b32 s2, exec_lo
	v_cmpx_ne_u32_e64 v162, v136
	s_xor_b32 s2, exec_lo, s2
	s_cbranch_execz .LBB62_646
; %bb.641:
	s_mov_b32 s3, exec_lo
	v_cmpx_eq_u32_e32 30, v162
	s_cbranch_execz .LBB62_645
; %bb.642:
	v_cmp_ne_u32_e32 vcc_lo, 30, v136
	s_xor_b32 s6, s4, -1
	s_delay_alu instid0(SALU_CYCLE_1) | instskip(NEXT) | instid1(SALU_CYCLE_1)
	s_and_b32 s7, s6, vcc_lo
	s_and_saveexec_b32 s6, s7
	s_cbranch_execz .LBB62_644
; %bb.643:
	v_ashrrev_i32_e32 v137, 31, v136
	s_delay_alu instid0(VALU_DEP_1) | instskip(NEXT) | instid1(VALU_DEP_1)
	v_lshlrev_b64 v[40:41], 2, v[136:137]
	v_add_co_u32 v40, vcc_lo, v118, v40
	s_delay_alu instid0(VALU_DEP_2)
	v_add_co_ci_u32_e32 v41, vcc_lo, v119, v41, vcc_lo
	s_clause 0x1
	flat_load_b32 v42, v[40:41]
	flat_load_b32 v43, v[118:119] offset:120
	s_waitcnt vmcnt(1) lgkmcnt(1)
	flat_store_b32 v[118:119], v42 offset:120
	s_waitcnt vmcnt(0) lgkmcnt(1)
	flat_store_b32 v[40:41], v43
.LBB62_644:
	s_or_b32 exec_lo, exec_lo, s6
	v_mov_b32_e32 v162, v136
	v_mov_b32_e32 v40, v136
	scratch_store_b32 off, v40, off         ; 4-byte Folded Spill
.LBB62_645:
	s_or_b32 exec_lo, exec_lo, s3
.LBB62_646:
	s_and_not1_saveexec_b32 s2, s2
	s_cbranch_execz .LBB62_648
; %bb.647:
	v_mov_b32_e32 v162, 30
	ds_store_2addr_b64 v160, v[0:1], v[2:3] offset0:62 offset1:63
.LBB62_648:
	s_or_b32 exec_lo, exec_lo, s2
	s_delay_alu instid0(SALU_CYCLE_1)
	s_mov_b32 s2, exec_lo
	s_waitcnt lgkmcnt(0)
	s_waitcnt_vscnt null, 0x0
	s_barrier
	buffer_gl0_inv
	v_cmpx_lt_i32_e32 30, v162
	s_cbranch_execz .LBB62_650
; %bb.649:
	v_mul_f64 v[40:41], v[128:129], v[6:7]
	v_mul_f64 v[6:7], v[130:131], v[6:7]
	ds_load_2addr_b64 v[136:139], v160 offset0:62 offset1:63
	v_fma_f64 v[40:41], v[130:131], v[4:5], v[40:41]
	v_fma_f64 v[4:5], v[128:129], v[4:5], -v[6:7]
	s_waitcnt lgkmcnt(0)
	s_delay_alu instid0(VALU_DEP_2) | instskip(SKIP_1) | instid1(VALU_DEP_2)
	v_mul_f64 v[6:7], v[138:139], v[40:41]
	v_mul_f64 v[42:43], v[136:137], v[40:41]
	v_fma_f64 v[6:7], v[136:137], v[4:5], -v[6:7]
	s_delay_alu instid0(VALU_DEP_2) | instskip(NEXT) | instid1(VALU_DEP_2)
	v_fma_f64 v[42:43], v[138:139], v[4:5], v[42:43]
	v_add_f64 v[0:1], v[0:1], -v[6:7]
	s_delay_alu instid0(VALU_DEP_2)
	v_add_f64 v[2:3], v[2:3], -v[42:43]
	v_dual_mov_b32 v6, v40 :: v_dual_mov_b32 v7, v41
.LBB62_650:
	s_or_b32 exec_lo, exec_lo, s2
	v_lshl_add_u32 v40, v162, 4, v160
	s_barrier
	buffer_gl0_inv
	v_mov_b32_e32 v136, 31
	ds_store_2addr_b64 v40, v[0:1], v[2:3] offset1:1
	s_waitcnt lgkmcnt(0)
	s_barrier
	buffer_gl0_inv
	ds_load_2addr_b64 v[128:131], v160 offset0:62 offset1:63
	s_cmp_lt_i32 s5, 33
	s_cbranch_scc1 .LBB62_653
; %bb.651:
	v_add3_u32 v137, v156, 0, 0x200
	v_mov_b32_e32 v136, 31
	s_mov_b32 s6, 32
	s_set_inst_prefetch_distance 0x1
	.p2align	6
.LBB62_652:                             ; =>This Inner Loop Header: Depth=1
	ds_load_2addr_b64 v[138:141], v137 offset1:1
	s_waitcnt lgkmcnt(1)
	v_cmp_gt_f64_e32 vcc_lo, 0, v[128:129]
	v_xor_b32_e32 v40, 0x80000000, v129
	v_cmp_gt_f64_e64 s2, 0, v[130:131]
	v_xor_b32_e32 v42, 0x80000000, v131
	v_add_nc_u32_e32 v137, 16, v137
	s_waitcnt lgkmcnt(0)
	v_cmp_gt_f64_e64 s3, 0, v[138:139]
	v_mov_b32_e32 v44, v138
	v_dual_mov_b32 v46, v140 :: v_dual_cndmask_b32 v41, v129, v40
	v_xor_b32_e32 v40, 0x80000000, v139
	v_cndmask_b32_e64 v43, v131, v42, s2
	v_xor_b32_e32 v42, 0x80000000, v141
	s_delay_alu instid0(VALU_DEP_3) | instskip(SKIP_2) | instid1(VALU_DEP_2)
	v_cndmask_b32_e64 v45, v139, v40, s3
	v_cmp_gt_f64_e64 s3, 0, v[140:141]
	v_cndmask_b32_e32 v40, v128, v128, vcc_lo
	v_cndmask_b32_e64 v47, v141, v42, s3
	v_cndmask_b32_e64 v42, v130, v130, s2
	s_delay_alu instid0(VALU_DEP_2) | instskip(NEXT) | instid1(VALU_DEP_2)
	v_add_f64 v[44:45], v[44:45], v[46:47]
	v_add_f64 v[40:41], v[40:41], v[42:43]
	s_delay_alu instid0(VALU_DEP_1)
	v_cmp_lt_f64_e32 vcc_lo, v[40:41], v[44:45]
	v_cndmask_b32_e32 v131, v131, v141, vcc_lo
	v_dual_cndmask_b32 v129, v129, v139 :: v_dual_cndmask_b32 v128, v128, v138
	v_cndmask_b32_e32 v130, v130, v140, vcc_lo
	v_cndmask_b32_e64 v136, v136, s6, vcc_lo
	s_add_i32 s6, s6, 1
	s_delay_alu instid0(SALU_CYCLE_1)
	s_cmp_lg_u32 s5, s6
	s_cbranch_scc1 .LBB62_652
.LBB62_653:
	s_set_inst_prefetch_distance 0x2
	s_waitcnt lgkmcnt(0)
	v_cmp_eq_f64_e32 vcc_lo, 0, v[128:129]
	v_cmp_eq_f64_e64 s2, 0, v[130:131]
	s_delay_alu instid0(VALU_DEP_1) | instskip(NEXT) | instid1(SALU_CYCLE_1)
	s_and_b32 s2, vcc_lo, s2
	s_and_saveexec_b32 s3, s2
	s_delay_alu instid0(SALU_CYCLE_1)
	s_xor_b32 s2, exec_lo, s3
; %bb.654:
	v_cmp_ne_u32_e32 vcc_lo, 0, v255
	v_cndmask_b32_e32 v255, 32, v255, vcc_lo
; %bb.655:
	s_and_not1_saveexec_b32 s3, s2
	s_cbranch_execz .LBB62_661
; %bb.656:
	v_cmp_gt_f64_e32 vcc_lo, 0, v[128:129]
	v_cmp_gt_f64_e64 s2, 0, v[130:131]
	v_xor_b32_e32 v40, 0x80000000, v129
	v_xor_b32_e32 v42, 0x80000000, v131
	s_delay_alu instid0(VALU_DEP_2) | instskip(NEXT) | instid1(VALU_DEP_2)
	v_cndmask_b32_e32 v41, v129, v40, vcc_lo
	v_cndmask_b32_e64 v43, v131, v42, s2
	v_cndmask_b32_e32 v40, v128, v128, vcc_lo
	v_cndmask_b32_e64 v42, v130, v130, s2
	s_mov_b32 s2, exec_lo
	s_delay_alu instid0(VALU_DEP_1)
	v_cmpx_ngt_f64_e32 v[40:41], v[42:43]
	s_xor_b32 s2, exec_lo, s2
	s_cbranch_execz .LBB62_658
; %bb.657:
	v_div_scale_f64 v[40:41], null, v[130:131], v[130:131], v[128:129]
	v_div_scale_f64 v[46:47], vcc_lo, v[128:129], v[130:131], v[128:129]
	s_delay_alu instid0(VALU_DEP_2) | instskip(SKIP_2) | instid1(VALU_DEP_1)
	v_rcp_f64_e32 v[42:43], v[40:41]
	s_waitcnt_depctr 0xfff
	v_fma_f64 v[44:45], -v[40:41], v[42:43], 1.0
	v_fma_f64 v[42:43], v[42:43], v[44:45], v[42:43]
	s_delay_alu instid0(VALU_DEP_1) | instskip(NEXT) | instid1(VALU_DEP_1)
	v_fma_f64 v[44:45], -v[40:41], v[42:43], 1.0
	v_fma_f64 v[42:43], v[42:43], v[44:45], v[42:43]
	s_delay_alu instid0(VALU_DEP_1) | instskip(NEXT) | instid1(VALU_DEP_1)
	v_mul_f64 v[44:45], v[46:47], v[42:43]
	v_fma_f64 v[40:41], -v[40:41], v[44:45], v[46:47]
	s_delay_alu instid0(VALU_DEP_1) | instskip(NEXT) | instid1(VALU_DEP_1)
	v_div_fmas_f64 v[40:41], v[40:41], v[42:43], v[44:45]
	v_div_fixup_f64 v[40:41], v[40:41], v[130:131], v[128:129]
	s_delay_alu instid0(VALU_DEP_1) | instskip(NEXT) | instid1(VALU_DEP_1)
	v_fma_f64 v[42:43], v[128:129], v[40:41], v[130:131]
	v_div_scale_f64 v[44:45], null, v[42:43], v[42:43], 1.0
	s_delay_alu instid0(VALU_DEP_1) | instskip(SKIP_2) | instid1(VALU_DEP_1)
	v_rcp_f64_e32 v[46:47], v[44:45]
	s_waitcnt_depctr 0xfff
	v_fma_f64 v[128:129], -v[44:45], v[46:47], 1.0
	v_fma_f64 v[46:47], v[46:47], v[128:129], v[46:47]
	s_delay_alu instid0(VALU_DEP_1) | instskip(NEXT) | instid1(VALU_DEP_1)
	v_fma_f64 v[128:129], -v[44:45], v[46:47], 1.0
	v_fma_f64 v[46:47], v[46:47], v[128:129], v[46:47]
	v_div_scale_f64 v[128:129], vcc_lo, 1.0, v[42:43], 1.0
	s_delay_alu instid0(VALU_DEP_1) | instskip(NEXT) | instid1(VALU_DEP_1)
	v_mul_f64 v[130:131], v[128:129], v[46:47]
	v_fma_f64 v[44:45], -v[44:45], v[130:131], v[128:129]
	s_delay_alu instid0(VALU_DEP_1) | instskip(NEXT) | instid1(VALU_DEP_1)
	v_div_fmas_f64 v[44:45], v[44:45], v[46:47], v[130:131]
	v_div_fixup_f64 v[130:131], v[44:45], v[42:43], 1.0
	s_delay_alu instid0(VALU_DEP_1)
	v_mul_f64 v[128:129], v[40:41], v[130:131]
	v_xor_b32_e32 v131, 0x80000000, v131
.LBB62_658:
	s_and_not1_saveexec_b32 s2, s2
	s_cbranch_execz .LBB62_660
; %bb.659:
	s_delay_alu instid0(VALU_DEP_1) | instskip(SKIP_1) | instid1(VALU_DEP_2)
	v_div_scale_f64 v[40:41], null, v[128:129], v[128:129], v[130:131]
	v_div_scale_f64 v[46:47], vcc_lo, v[130:131], v[128:129], v[130:131]
	v_rcp_f64_e32 v[42:43], v[40:41]
	s_waitcnt_depctr 0xfff
	v_fma_f64 v[44:45], -v[40:41], v[42:43], 1.0
	s_delay_alu instid0(VALU_DEP_1) | instskip(NEXT) | instid1(VALU_DEP_1)
	v_fma_f64 v[42:43], v[42:43], v[44:45], v[42:43]
	v_fma_f64 v[44:45], -v[40:41], v[42:43], 1.0
	s_delay_alu instid0(VALU_DEP_1) | instskip(NEXT) | instid1(VALU_DEP_1)
	v_fma_f64 v[42:43], v[42:43], v[44:45], v[42:43]
	v_mul_f64 v[44:45], v[46:47], v[42:43]
	s_delay_alu instid0(VALU_DEP_1) | instskip(NEXT) | instid1(VALU_DEP_1)
	v_fma_f64 v[40:41], -v[40:41], v[44:45], v[46:47]
	v_div_fmas_f64 v[40:41], v[40:41], v[42:43], v[44:45]
	s_delay_alu instid0(VALU_DEP_1) | instskip(NEXT) | instid1(VALU_DEP_1)
	v_div_fixup_f64 v[40:41], v[40:41], v[128:129], v[130:131]
	v_fma_f64 v[42:43], v[130:131], v[40:41], v[128:129]
	s_delay_alu instid0(VALU_DEP_1) | instskip(NEXT) | instid1(VALU_DEP_1)
	v_div_scale_f64 v[44:45], null, v[42:43], v[42:43], 1.0
	v_rcp_f64_e32 v[46:47], v[44:45]
	s_waitcnt_depctr 0xfff
	v_fma_f64 v[128:129], -v[44:45], v[46:47], 1.0
	s_delay_alu instid0(VALU_DEP_1) | instskip(NEXT) | instid1(VALU_DEP_1)
	v_fma_f64 v[46:47], v[46:47], v[128:129], v[46:47]
	v_fma_f64 v[128:129], -v[44:45], v[46:47], 1.0
	s_delay_alu instid0(VALU_DEP_1) | instskip(SKIP_1) | instid1(VALU_DEP_1)
	v_fma_f64 v[46:47], v[46:47], v[128:129], v[46:47]
	v_div_scale_f64 v[128:129], vcc_lo, 1.0, v[42:43], 1.0
	v_mul_f64 v[130:131], v[128:129], v[46:47]
	s_delay_alu instid0(VALU_DEP_1) | instskip(NEXT) | instid1(VALU_DEP_1)
	v_fma_f64 v[44:45], -v[44:45], v[130:131], v[128:129]
	v_div_fmas_f64 v[44:45], v[44:45], v[46:47], v[130:131]
	s_delay_alu instid0(VALU_DEP_1) | instskip(NEXT) | instid1(VALU_DEP_1)
	v_div_fixup_f64 v[128:129], v[44:45], v[42:43], 1.0
	v_mul_f64 v[130:131], v[40:41], -v[128:129]
.LBB62_660:
	s_or_b32 exec_lo, exec_lo, s2
.LBB62_661:
	s_delay_alu instid0(SALU_CYCLE_1)
	s_or_b32 exec_lo, exec_lo, s3
	v_mov_b32_e32 v137, 31
	s_mov_b32 s2, exec_lo
	v_cmpx_ne_u32_e64 v162, v136
	s_cbranch_execz .LBB62_667
; %bb.662:
	s_mov_b32 s3, exec_lo
	v_cmpx_eq_u32_e32 31, v162
	s_cbranch_execz .LBB62_666
; %bb.663:
	v_cmp_ne_u32_e32 vcc_lo, 31, v136
	s_xor_b32 s4, s4, -1
	s_delay_alu instid0(SALU_CYCLE_1) | instskip(NEXT) | instid1(SALU_CYCLE_1)
	s_and_b32 s5, s4, vcc_lo
	s_and_saveexec_b32 s4, s5
	s_cbranch_execz .LBB62_665
; %bb.664:
	v_ashrrev_i32_e32 v137, 31, v136
	s_delay_alu instid0(VALU_DEP_1) | instskip(NEXT) | instid1(VALU_DEP_1)
	v_lshlrev_b64 v[40:41], 2, v[136:137]
	v_add_co_u32 v40, vcc_lo, v118, v40
	s_delay_alu instid0(VALU_DEP_2)
	v_add_co_ci_u32_e32 v41, vcc_lo, v119, v41, vcc_lo
	s_clause 0x1
	flat_load_b32 v42, v[40:41]
	flat_load_b32 v43, v[118:119] offset:124
	s_waitcnt vmcnt(1) lgkmcnt(1)
	flat_store_b32 v[118:119], v42 offset:124
	s_waitcnt vmcnt(0) lgkmcnt(1)
	flat_store_b32 v[40:41], v43
.LBB62_665:
	s_or_b32 exec_lo, exec_lo, s4
	v_mov_b32_e32 v162, v136
	v_mov_b32_e32 v40, v136
	scratch_store_b32 off, v40, off         ; 4-byte Folded Spill
.LBB62_666:
	s_or_b32 exec_lo, exec_lo, s3
	v_mov_b32_e32 v137, v162
.LBB62_667:
	s_or_b32 exec_lo, exec_lo, s2
	s_delay_alu instid0(SALU_CYCLE_1)
	s_mov_b32 s2, exec_lo
	s_waitcnt lgkmcnt(0)
	s_waitcnt_vscnt null, 0x0
	s_barrier
	buffer_gl0_inv
	v_cmpx_lt_i32_e32 31, v137
; %bb.668:
	v_mul_f64 v[40:41], v[130:131], v[2:3]
	v_mul_f64 v[2:3], v[128:129], v[2:3]
	s_delay_alu instid0(VALU_DEP_2) | instskip(NEXT) | instid1(VALU_DEP_2)
	v_fma_f64 v[40:41], v[128:129], v[0:1], -v[40:41]
	v_fma_f64 v[2:3], v[130:131], v[0:1], v[2:3]
	s_delay_alu instid0(VALU_DEP_2)
	v_dual_mov_b32 v0, v40 :: v_dual_mov_b32 v1, v41
; %bb.669:
	s_or_b32 exec_lo, exec_lo, s2
	s_load_b256 s[0:7], s[0:1], 0x28
	v_ashrrev_i32_e32 v138, 31, v137
	s_mov_b32 s9, exec_lo
	s_waitcnt lgkmcnt(0)
	s_barrier
	buffer_gl0_inv
	v_cmpx_gt_i32_e32 32, v137
	s_cbranch_execz .LBB62_671
; %bb.670:
	v_mul_lo_u32 v42, v252, s4
	v_mul_lo_u32 v43, v251, s5
	v_mad_u64_u32 v[40:41], null, v251, s4, 0
	s_lshl_b64 s[2:3], s[2:3], 2
	s_delay_alu instid0(SALU_CYCLE_1) | instskip(SKIP_1) | instid1(VALU_DEP_1)
	s_add_u32 s0, s2, s0
	s_addc_u32 s1, s3, s1
	v_add3_u32 v41, v41, v43, v42
	v_lshlrev_b64 v[42:43], 2, v[137:138]
	s_delay_alu instid0(VALU_DEP_2) | instskip(NEXT) | instid1(VALU_DEP_1)
	v_lshlrev_b64 v[40:41], 2, v[40:41]
	v_add_co_u32 v40, vcc_lo, s0, v40
	s_delay_alu instid0(VALU_DEP_2) | instskip(NEXT) | instid1(VALU_DEP_2)
	v_add_co_ci_u32_e32 v41, vcc_lo, s1, v41, vcc_lo
	v_add_co_u32 v40, vcc_lo, v40, v42
	scratch_load_b32 v42, off, off          ; 4-byte Folded Reload
	v_add_co_ci_u32_e32 v41, vcc_lo, v41, v43, vcc_lo
	s_waitcnt vmcnt(0)
	v_add3_u32 v42, v42, s13, 1
	global_store_b32 v[40:41], v42, off
.LBB62_671:
	s_or_b32 exec_lo, exec_lo, s9
	s_delay_alu instid0(SALU_CYCLE_1)
	s_mov_b32 s1, exec_lo
	v_cmpx_eq_u32_e32 0, v137
	s_cbranch_execz .LBB62_674
; %bb.672:
	v_lshlrev_b64 v[40:41], 2, v[251:252]
	v_cmp_lt_i32_e64 s0, 0, v255
	s_delay_alu instid0(VALU_DEP_2) | instskip(NEXT) | instid1(VALU_DEP_3)
	v_add_co_u32 v128, vcc_lo, s6, v40
	v_add_co_ci_u32_e32 v129, vcc_lo, s7, v41, vcc_lo
	global_load_b32 v40, v[128:129], off
	s_waitcnt vmcnt(0)
	v_cmp_eq_u32_e32 vcc_lo, 0, v40
	s_and_b32 s0, vcc_lo, s0
	s_delay_alu instid0(SALU_CYCLE_1)
	s_and_b32 exec_lo, exec_lo, s0
	s_cbranch_execz .LBB62_674
; %bb.673:
	v_add_nc_u32_e32 v40, s13, v255
	global_store_b32 v[128:129], v40, off
.LBB62_674:
	s_or_b32 exec_lo, exec_lo, s1
	v_lshlrev_b64 v[42:43], 4, v[137:138]
	v_add3_u32 v40, s8, s8, v137
	s_delay_alu instid0(VALU_DEP_1) | instskip(NEXT) | instid1(VALU_DEP_3)
	v_ashrrev_i32_e32 v41, 31, v40
	v_add_co_u32 v42, vcc_lo, v161, v42
	s_delay_alu instid0(VALU_DEP_4) | instskip(SKIP_1) | instid1(VALU_DEP_3)
	v_add_co_ci_u32_e32 v43, vcc_lo, v157, v43, vcc_lo
	v_add_nc_u32_e32 v44, s8, v40
	v_add_co_u32 v46, vcc_lo, v42, s10
	s_delay_alu instid0(VALU_DEP_3)
	v_add_co_ci_u32_e32 v47, vcc_lo, s11, v43, vcc_lo
	v_lshlrev_b64 v[40:41], 4, v[40:41]
	s_clause 0x1
	global_store_b128 v[42:43], v[120:123], off
	global_store_b128 v[46:47], v[241:244], off
	scratch_load_b128 v[116:119], off, off offset:20 ; 16-byte Folded Reload
	v_add_nc_u32_e32 v128, s8, v44
	v_ashrrev_i32_e32 v45, 31, v44
	v_add_co_u32 v40, vcc_lo, v161, v40
	v_add_co_ci_u32_e32 v41, vcc_lo, v157, v41, vcc_lo
	s_delay_alu instid0(VALU_DEP_4) | instskip(NEXT) | instid1(VALU_DEP_4)
	v_ashrrev_i32_e32 v129, 31, v128
	v_lshlrev_b64 v[42:43], 4, v[44:45]
	v_add_nc_u32_e32 v46, s8, v128
	s_delay_alu instid0(VALU_DEP_3) | instskip(NEXT) | instid1(VALU_DEP_3)
	v_lshlrev_b64 v[44:45], 4, v[128:129]
	v_add_co_u32 v42, vcc_lo, v161, v42
	s_delay_alu instid0(VALU_DEP_4) | instskip(NEXT) | instid1(VALU_DEP_3)
	v_add_co_ci_u32_e32 v43, vcc_lo, v157, v43, vcc_lo
	v_add_co_u32 v44, vcc_lo, v161, v44
	v_add_nc_u32_e32 v128, s8, v46
	v_add_co_ci_u32_e32 v45, vcc_lo, v157, v45, vcc_lo
	v_ashrrev_i32_e32 v47, 31, v46
	s_delay_alu instid0(VALU_DEP_3)
	v_ashrrev_i32_e32 v129, 31, v128
	s_waitcnt vmcnt(0)
	global_store_b128 v[40:41], v[116:119], off
	scratch_load_b128 v[116:119], off, off offset:4 ; 16-byte Folded Reload
	global_store_b128 v[42:43], v[124:127], off
	v_lshlrev_b64 v[40:41], 4, v[46:47]
	v_lshlrev_b64 v[42:43], 4, v[128:129]
	s_delay_alu instid0(VALU_DEP_2) | instskip(NEXT) | instid1(VALU_DEP_3)
	v_add_co_u32 v40, vcc_lo, v161, v40
	v_add_co_ci_u32_e32 v41, vcc_lo, v157, v41, vcc_lo
	s_delay_alu instid0(VALU_DEP_3) | instskip(NEXT) | instid1(VALU_DEP_4)
	v_add_co_u32 v42, vcc_lo, v161, v42
	v_add_co_ci_u32_e32 v43, vcc_lo, v157, v43, vcc_lo
	s_waitcnt vmcnt(0)
	global_store_b128 v[44:45], v[116:119], off
	v_add_nc_u32_e32 v44, s8, v128
	s_clause 0x1
	global_store_b128 v[40:41], v[100:103], off
	global_store_b128 v[42:43], v[104:107], off
	v_add_nc_u32_e32 v46, s8, v44
	v_ashrrev_i32_e32 v45, 31, v44
	s_delay_alu instid0(VALU_DEP_2) | instskip(SKIP_1) | instid1(VALU_DEP_3)
	v_add_nc_u32_e32 v116, s8, v46
	v_ashrrev_i32_e32 v47, 31, v46
	v_lshlrev_b64 v[44:45], 4, v[44:45]
	s_delay_alu instid0(VALU_DEP_3) | instskip(NEXT) | instid1(VALU_DEP_3)
	v_ashrrev_i32_e32 v117, 31, v116
	v_lshlrev_b64 v[40:41], 4, v[46:47]
	v_add_nc_u32_e32 v46, s8, v116
	s_delay_alu instid0(VALU_DEP_4)
	v_add_co_u32 v42, vcc_lo, v161, v44
	v_add_co_ci_u32_e32 v43, vcc_lo, v157, v45, vcc_lo
	v_lshlrev_b64 v[44:45], 4, v[116:117]
	v_add_co_u32 v40, vcc_lo, v161, v40
	v_add_co_ci_u32_e32 v41, vcc_lo, v157, v41, vcc_lo
	v_add_nc_u32_e32 v100, s8, v46
	s_delay_alu instid0(VALU_DEP_4) | instskip(SKIP_2) | instid1(VALU_DEP_4)
	v_add_co_u32 v44, vcc_lo, v161, v44
	v_add_co_ci_u32_e32 v45, vcc_lo, v157, v45, vcc_lo
	v_ashrrev_i32_e32 v47, 31, v46
	v_ashrrev_i32_e32 v101, 31, v100
	s_clause 0x2
	global_store_b128 v[42:43], v[76:79], off
	global_store_b128 v[40:41], v[96:99], off
	;; [unrolled: 1-line block ×3, first 2 shown]
	v_add_nc_u32_e32 v44, s8, v100
	v_lshlrev_b64 v[42:43], 4, v[46:47]
	v_lshlrev_b64 v[40:41], 4, v[100:101]
	s_delay_alu instid0(VALU_DEP_3) | instskip(SKIP_1) | instid1(VALU_DEP_4)
	v_add_nc_u32_e32 v46, s8, v44
	v_ashrrev_i32_e32 v45, 31, v44
	v_add_co_u32 v42, vcc_lo, v161, v42
	v_add_co_ci_u32_e32 v43, vcc_lo, v157, v43, vcc_lo
	s_delay_alu instid0(VALU_DEP_4)
	v_add_nc_u32_e32 v76, s8, v46
	v_add_co_u32 v40, vcc_lo, v161, v40
	v_ashrrev_i32_e32 v47, 31, v46
	v_lshlrev_b64 v[44:45], 4, v[44:45]
	v_add_co_ci_u32_e32 v41, vcc_lo, v157, v41, vcc_lo
	v_ashrrev_i32_e32 v77, 31, v76
	s_clause 0x1
	global_store_b128 v[42:43], v[112:115], off
	global_store_b128 v[40:41], v[108:111], off
	v_lshlrev_b64 v[40:41], 4, v[46:47]
	v_add_co_u32 v42, vcc_lo, v161, v44
	v_add_co_ci_u32_e32 v43, vcc_lo, v157, v45, vcc_lo
	v_lshlrev_b64 v[44:45], 4, v[76:77]
	v_add_nc_u32_e32 v46, s8, v76
	v_add_co_u32 v40, vcc_lo, v161, v40
	v_add_co_ci_u32_e32 v41, vcc_lo, v157, v41, vcc_lo
	s_delay_alu instid0(VALU_DEP_4) | instskip(NEXT) | instid1(VALU_DEP_4)
	v_add_co_u32 v44, vcc_lo, v161, v44
	v_add_nc_u32_e32 v76, s8, v46
	v_add_co_ci_u32_e32 v45, vcc_lo, v157, v45, vcc_lo
	v_ashrrev_i32_e32 v47, 31, v46
	global_store_b128 v[42:43], v[88:91], off
	v_ashrrev_i32_e32 v77, 31, v76
	s_clause 0x1
	global_store_b128 v[40:41], v[84:87], off
	global_store_b128 v[44:45], v[80:83], off
	v_add_nc_u32_e32 v44, s8, v76
	v_lshlrev_b64 v[42:43], 4, v[46:47]
	v_lshlrev_b64 v[40:41], 4, v[76:77]
	s_delay_alu instid0(VALU_DEP_3) | instskip(SKIP_1) | instid1(VALU_DEP_4)
	v_add_nc_u32_e32 v46, s8, v44
	v_ashrrev_i32_e32 v45, 31, v44
	v_add_co_u32 v42, vcc_lo, v161, v42
	v_add_co_ci_u32_e32 v43, vcc_lo, v157, v43, vcc_lo
	s_delay_alu instid0(VALU_DEP_4)
	v_add_nc_u32_e32 v76, s8, v46
	v_add_co_u32 v40, vcc_lo, v161, v40
	v_ashrrev_i32_e32 v47, 31, v46
	v_lshlrev_b64 v[44:45], 4, v[44:45]
	v_add_co_ci_u32_e32 v41, vcc_lo, v157, v41, vcc_lo
	v_ashrrev_i32_e32 v77, 31, v76
	s_clause 0x1
	global_store_b128 v[42:43], v[72:75], off
	global_store_b128 v[40:41], v[68:71], off
	v_lshlrev_b64 v[40:41], 4, v[46:47]
	v_add_co_u32 v42, vcc_lo, v161, v44
	v_add_co_ci_u32_e32 v43, vcc_lo, v157, v45, vcc_lo
	v_lshlrev_b64 v[44:45], 4, v[76:77]
	v_add_nc_u32_e32 v46, s8, v76
	v_add_co_u32 v40, vcc_lo, v161, v40
	v_add_co_ci_u32_e32 v41, vcc_lo, v157, v41, vcc_lo
	s_delay_alu instid0(VALU_DEP_4) | instskip(NEXT) | instid1(VALU_DEP_4)
	v_add_co_u32 v44, vcc_lo, v161, v44
	v_add_nc_u32_e32 v68, s8, v46
	v_add_co_ci_u32_e32 v45, vcc_lo, v157, v45, vcc_lo
	v_ashrrev_i32_e32 v47, 31, v46
	global_store_b128 v[42:43], v[64:67], off
	v_ashrrev_i32_e32 v69, 31, v68
	s_clause 0x1
	global_store_b128 v[40:41], v[60:63], off
	global_store_b128 v[44:45], v[56:59], off
	v_add_nc_u32_e32 v44, s8, v68
	v_lshlrev_b64 v[42:43], 4, v[46:47]
	v_lshlrev_b64 v[40:41], 4, v[68:69]
	s_delay_alu instid0(VALU_DEP_3) | instskip(SKIP_1) | instid1(VALU_DEP_4)
	v_add_nc_u32_e32 v46, s8, v44
	v_ashrrev_i32_e32 v45, 31, v44
	v_add_co_u32 v42, vcc_lo, v161, v42
	v_add_co_ci_u32_e32 v43, vcc_lo, v157, v43, vcc_lo
	s_delay_alu instid0(VALU_DEP_4)
	v_add_nc_u32_e32 v56, s8, v46
	v_add_co_u32 v40, vcc_lo, v161, v40
	v_ashrrev_i32_e32 v47, 31, v46
	v_lshlrev_b64 v[44:45], 4, v[44:45]
	v_add_co_ci_u32_e32 v41, vcc_lo, v157, v41, vcc_lo
	v_ashrrev_i32_e32 v57, 31, v56
	s_clause 0x1
	global_store_b128 v[42:43], v[52:55], off
	global_store_b128 v[40:41], v[48:51], off
	v_lshlrev_b64 v[40:41], 4, v[46:47]
	v_add_co_u32 v42, vcc_lo, v161, v44
	v_add_nc_u32_e32 v46, s8, v56
	v_add_co_ci_u32_e32 v43, vcc_lo, v157, v45, vcc_lo
	v_lshlrev_b64 v[44:45], 4, v[56:57]
	v_add_co_u32 v40, vcc_lo, v161, v40
	s_delay_alu instid0(VALU_DEP_4)
	v_add_nc_u32_e32 v48, s8, v46
	v_add_co_ci_u32_e32 v41, vcc_lo, v157, v41, vcc_lo
	v_ashrrev_i32_e32 v47, 31, v46
	v_add_co_u32 v44, vcc_lo, v161, v44
	v_add_co_ci_u32_e32 v45, vcc_lo, v157, v45, vcc_lo
	v_ashrrev_i32_e32 v49, 31, v48
	global_store_b128 v[42:43], v[36:39], off
	v_lshlrev_b64 v[36:37], 4, v[46:47]
	s_clause 0x1
	global_store_b128 v[40:41], v[32:35], off
	global_store_b128 v[44:45], v[28:31], off
	v_add_nc_u32_e32 v30, s8, v48
	v_lshlrev_b64 v[28:29], 4, v[48:49]
	v_add_co_u32 v32, vcc_lo, v161, v36
	s_delay_alu instid0(VALU_DEP_3) | instskip(SKIP_1) | instid1(VALU_DEP_4)
	v_add_nc_u32_e32 v34, s8, v30
	v_add_co_ci_u32_e32 v33, vcc_lo, v157, v37, vcc_lo
	v_add_co_u32 v28, vcc_lo, v161, v28
	v_add_co_ci_u32_e32 v29, vcc_lo, v157, v29, vcc_lo
	s_delay_alu instid0(VALU_DEP_4)
	v_add_nc_u32_e32 v36, s8, v34
	v_ashrrev_i32_e32 v31, 31, v30
	s_clause 0x1
	global_store_b128 v[32:33], v[24:27], off
	global_store_b128 v[28:29], v[20:23], off
	v_ashrrev_i32_e32 v35, 31, v34
	v_add_nc_u32_e32 v22, s8, v36
	v_lshlrev_b64 v[24:25], 4, v[30:31]
	v_ashrrev_i32_e32 v37, 31, v36
	s_delay_alu instid0(VALU_DEP_4) | instskip(NEXT) | instid1(VALU_DEP_4)
	v_lshlrev_b64 v[20:21], 4, v[34:35]
	v_add_nc_u32_e32 v28, s8, v22
	v_ashrrev_i32_e32 v23, 31, v22
	v_add_co_u32 v24, vcc_lo, v161, v24
	v_lshlrev_b64 v[26:27], 4, v[36:37]
	s_delay_alu instid0(VALU_DEP_4)
	v_ashrrev_i32_e32 v29, 31, v28
	v_add_co_ci_u32_e32 v25, vcc_lo, v157, v25, vcc_lo
	v_add_co_u32 v20, vcc_lo, v161, v20
	v_lshlrev_b64 v[22:23], 4, v[22:23]
	v_add_co_ci_u32_e32 v21, vcc_lo, v157, v21, vcc_lo
	v_add_co_u32 v26, vcc_lo, v161, v26
	v_lshlrev_b64 v[28:29], 4, v[28:29]
	v_add_co_ci_u32_e32 v27, vcc_lo, v157, v27, vcc_lo
	v_add_co_u32 v22, vcc_lo, v161, v22
	v_add_co_ci_u32_e32 v23, vcc_lo, v157, v23, vcc_lo
	s_delay_alu instid0(VALU_DEP_4)
	v_add_co_u32 v28, vcc_lo, v161, v28
	v_add_co_ci_u32_e32 v29, vcc_lo, v157, v29, vcc_lo
	s_clause 0x4
	global_store_b128 v[24:25], v[16:19], off
	global_store_b128 v[20:21], v[12:15], off
	;; [unrolled: 1-line block ×5, first 2 shown]
.LBB62_675:
	s_nop 0
	s_sendmsg sendmsg(MSG_DEALLOC_VGPRS)
	s_endpgm
	.section	.rodata,"a",@progbits
	.p2align	6, 0x0
	.amdhsa_kernel _ZN9rocsolver6v33100L18getf2_small_kernelILi32E19rocblas_complex_numIdEiiPKPS3_EEvT1_T3_lS7_lPS7_llPT2_S7_S7_S9_l
		.amdhsa_group_segment_fixed_size 0
		.amdhsa_private_segment_fixed_size 64
		.amdhsa_kernarg_size 352
		.amdhsa_user_sgpr_count 14
		.amdhsa_user_sgpr_dispatch_ptr 0
		.amdhsa_user_sgpr_queue_ptr 0
		.amdhsa_user_sgpr_kernarg_segment_ptr 1
		.amdhsa_user_sgpr_dispatch_id 0
		.amdhsa_user_sgpr_private_segment_size 0
		.amdhsa_wavefront_size32 1
		.amdhsa_uses_dynamic_stack 0
		.amdhsa_enable_private_segment 1
		.amdhsa_system_sgpr_workgroup_id_x 1
		.amdhsa_system_sgpr_workgroup_id_y 1
		.amdhsa_system_sgpr_workgroup_id_z 0
		.amdhsa_system_sgpr_workgroup_info 0
		.amdhsa_system_vgpr_workitem_id 1
		.amdhsa_next_free_vgpr 256
		.amdhsa_next_free_sgpr 16
		.amdhsa_reserve_vcc 1
		.amdhsa_float_round_mode_32 0
		.amdhsa_float_round_mode_16_64 0
		.amdhsa_float_denorm_mode_32 3
		.amdhsa_float_denorm_mode_16_64 3
		.amdhsa_dx10_clamp 1
		.amdhsa_ieee_mode 1
		.amdhsa_fp16_overflow 0
		.amdhsa_workgroup_processor_mode 1
		.amdhsa_memory_ordered 1
		.amdhsa_forward_progress 0
		.amdhsa_shared_vgpr_count 0
		.amdhsa_exception_fp_ieee_invalid_op 0
		.amdhsa_exception_fp_denorm_src 0
		.amdhsa_exception_fp_ieee_div_zero 0
		.amdhsa_exception_fp_ieee_overflow 0
		.amdhsa_exception_fp_ieee_underflow 0
		.amdhsa_exception_fp_ieee_inexact 0
		.amdhsa_exception_int_div_zero 0
	.end_amdhsa_kernel
	.section	.text._ZN9rocsolver6v33100L18getf2_small_kernelILi32E19rocblas_complex_numIdEiiPKPS3_EEvT1_T3_lS7_lPS7_llPT2_S7_S7_S9_l,"axG",@progbits,_ZN9rocsolver6v33100L18getf2_small_kernelILi32E19rocblas_complex_numIdEiiPKPS3_EEvT1_T3_lS7_lPS7_llPT2_S7_S7_S9_l,comdat
.Lfunc_end62:
	.size	_ZN9rocsolver6v33100L18getf2_small_kernelILi32E19rocblas_complex_numIdEiiPKPS3_EEvT1_T3_lS7_lPS7_llPT2_S7_S7_S9_l, .Lfunc_end62-_ZN9rocsolver6v33100L18getf2_small_kernelILi32E19rocblas_complex_numIdEiiPKPS3_EEvT1_T3_lS7_lPS7_llPT2_S7_S7_S9_l
                                        ; -- End function
	.section	.AMDGPU.csdata,"",@progbits
; Kernel info:
; codeLenInByte = 79024
; NumSgprs: 18
; NumVgprs: 256
; ScratchSize: 64
; MemoryBound: 0
; FloatMode: 240
; IeeeMode: 1
; LDSByteSize: 0 bytes/workgroup (compile time only)
; SGPRBlocks: 2
; VGPRBlocks: 31
; NumSGPRsForWavesPerEU: 18
; NumVGPRsForWavesPerEU: 256
; Occupancy: 5
; WaveLimiterHint : 1
; COMPUTE_PGM_RSRC2:SCRATCH_EN: 1
; COMPUTE_PGM_RSRC2:USER_SGPR: 14
; COMPUTE_PGM_RSRC2:TRAP_HANDLER: 0
; COMPUTE_PGM_RSRC2:TGID_X_EN: 1
; COMPUTE_PGM_RSRC2:TGID_Y_EN: 1
; COMPUTE_PGM_RSRC2:TGID_Z_EN: 0
; COMPUTE_PGM_RSRC2:TIDIG_COMP_CNT: 1
	.section	.text._ZN9rocsolver6v33100L23getf2_npvt_small_kernelILi32E19rocblas_complex_numIdEiiPKPS3_EEvT1_T3_lS7_lPT2_S7_S7_,"axG",@progbits,_ZN9rocsolver6v33100L23getf2_npvt_small_kernelILi32E19rocblas_complex_numIdEiiPKPS3_EEvT1_T3_lS7_lPT2_S7_S7_,comdat
	.globl	_ZN9rocsolver6v33100L23getf2_npvt_small_kernelILi32E19rocblas_complex_numIdEiiPKPS3_EEvT1_T3_lS7_lPT2_S7_S7_ ; -- Begin function _ZN9rocsolver6v33100L23getf2_npvt_small_kernelILi32E19rocblas_complex_numIdEiiPKPS3_EEvT1_T3_lS7_lPT2_S7_S7_
	.p2align	8
	.type	_ZN9rocsolver6v33100L23getf2_npvt_small_kernelILi32E19rocblas_complex_numIdEiiPKPS3_EEvT1_T3_lS7_lPT2_S7_S7_,@function
_ZN9rocsolver6v33100L23getf2_npvt_small_kernelILi32E19rocblas_complex_numIdEiiPKPS3_EEvT1_T3_lS7_lPT2_S7_S7_: ; @_ZN9rocsolver6v33100L23getf2_npvt_small_kernelILi32E19rocblas_complex_numIdEiiPKPS3_EEvT1_T3_lS7_lPT2_S7_S7_
; %bb.0:
	s_clause 0x1
	s_load_b32 s2, s[0:1], 0x44
	s_load_b64 s[10:11], s[0:1], 0x30
	v_bfe_u32 v128, v0, 10, 10
	s_waitcnt lgkmcnt(0)
	s_lshr_b32 s8, s2, 16
	s_mov_b32 s2, exec_lo
	s_delay_alu instid0(VALU_DEP_1) | instskip(NEXT) | instid1(VALU_DEP_1)
	v_mad_u64_u32 v[1:2], null, s15, s8, v[128:129]
	v_cmpx_gt_i32_e64 s10, v1
	s_cbranch_execz .LBB63_293
; %bb.1:
	s_clause 0x1
	s_load_b128 s[4:7], s[0:1], 0x8
	s_load_b32 s2, s[0:1], 0x18
	v_ashrrev_i32_e32 v2, 31, v1
	v_and_b32_e32 v252, 0x3ff, v0
	scratch_store_b64 off, v[1:2], off offset:304 ; 8-byte Folded Spill
	v_lshlrev_b64 v[1:2], 3, v[1:2]
	v_lshlrev_b32_e32 v63, 4, v252
	s_waitcnt lgkmcnt(0)
	s_delay_alu instid0(VALU_DEP_2) | instskip(NEXT) | instid1(VALU_DEP_3)
	v_add_co_u32 v1, vcc_lo, s4, v1
	v_add_co_ci_u32_e32 v2, vcc_lo, s5, v2, vcc_lo
	v_add3_u32 v3, s2, s2, v252
	s_lshl_b64 s[6:7], s[6:7], 4
	s_ashr_i32 s3, s2, 31
	global_load_b64 v[1:2], v[1:2], off
	s_lshl_b64 s[4:5], s[2:3], 4
	v_add_nc_u32_e32 v5, s2, v3
	v_ashrrev_i32_e32 v4, 31, v3
	v_cmp_ne_u32_e64 s3, 0, v252
	s_delay_alu instid0(VALU_DEP_3) | instskip(SKIP_1) | instid1(VALU_DEP_4)
	v_add_nc_u32_e32 v7, s2, v5
	v_ashrrev_i32_e32 v6, 31, v5
	v_lshlrev_b64 v[3:4], 4, v[3:4]
	s_delay_alu instid0(VALU_DEP_3) | instskip(SKIP_1) | instid1(VALU_DEP_4)
	v_add_nc_u32_e32 v9, s2, v7
	v_ashrrev_i32_e32 v8, 31, v7
	v_lshlrev_b64 v[5:6], 4, v[5:6]
	;; [unrolled: 4-line block ×28, first 2 shown]
	s_lshl_b32 s2, s8, 9
	s_delay_alu instid0(VALU_DEP_3) | instskip(NEXT) | instid1(VALU_DEP_3)
	v_ashrrev_i32_e32 v62, 31, v61
	v_lshlrev_b64 v[59:60], 4, v[59:60]
	s_waitcnt vmcnt(0)
	v_add_co_u32 v64, vcc_lo, v1, s6
	v_add_co_ci_u32_e32 v2, vcc_lo, s7, v2, vcc_lo
	v_lshlrev_b64 v[0:1], 4, v[61:62]
	s_delay_alu instid0(VALU_DEP_3) | instskip(NEXT) | instid1(VALU_DEP_3)
	v_add_co_u32 v120, vcc_lo, v64, v63
	v_add_co_ci_u32_e32 v121, vcc_lo, 0, v2, vcc_lo
	v_add_co_u32 v89, vcc_lo, v64, v3
	v_add_co_ci_u32_e32 v90, vcc_lo, v2, v4, vcc_lo
	v_add_co_u32 v87, vcc_lo, v64, v5
	v_add_co_ci_u32_e32 v88, vcc_lo, v2, v6, vcc_lo
	v_add_co_u32 v85, vcc_lo, v64, v7
	v_add_co_ci_u32_e32 v86, vcc_lo, v2, v8, vcc_lo
	v_add_co_u32 v83, vcc_lo, v64, v9
	v_add_co_ci_u32_e32 v84, vcc_lo, v2, v10, vcc_lo
	v_add_co_u32 v81, vcc_lo, v64, v11
	v_add_co_ci_u32_e32 v82, vcc_lo, v2, v12, vcc_lo
	v_add_co_u32 v79, vcc_lo, v64, v13
	v_add_co_ci_u32_e32 v80, vcc_lo, v2, v14, vcc_lo
	v_add_co_u32 v77, vcc_lo, v64, v15
	v_add_co_ci_u32_e32 v78, vcc_lo, v2, v16, vcc_lo
	v_add_co_u32 v75, vcc_lo, v64, v17
	v_add_co_ci_u32_e32 v76, vcc_lo, v2, v18, vcc_lo
	v_add_co_u32 v73, vcc_lo, v64, v19
	v_add_co_ci_u32_e32 v74, vcc_lo, v2, v20, vcc_lo
	v_add_co_u32 v71, vcc_lo, v64, v21
	v_add_co_ci_u32_e32 v72, vcc_lo, v2, v22, vcc_lo
	v_add_co_u32 v69, vcc_lo, v64, v23
	v_add_co_ci_u32_e32 v70, vcc_lo, v2, v24, vcc_lo
	v_add_co_u32 v67, vcc_lo, v64, v25
	v_add_co_ci_u32_e32 v68, vcc_lo, v2, v26, vcc_lo
	v_add_co_u32 v65, vcc_lo, v64, v27
	v_add_co_ci_u32_e32 v66, vcc_lo, v2, v28, vcc_lo
	v_add_co_u32 v61, vcc_lo, v64, v29
	v_add_co_ci_u32_e32 v62, vcc_lo, v2, v30, vcc_lo
	v_add_co_u32 v31, vcc_lo, v64, v31
	v_add_co_ci_u32_e32 v32, vcc_lo, v2, v32, vcc_lo
	v_add_co_u32 v29, vcc_lo, v64, v33
	v_add_co_ci_u32_e32 v30, vcc_lo, v2, v34, vcc_lo
	v_add_co_u32 v27, vcc_lo, v64, v35
	v_add_co_ci_u32_e32 v28, vcc_lo, v2, v36, vcc_lo
	v_add_co_u32 v25, vcc_lo, v64, v37
	v_add_co_ci_u32_e32 v26, vcc_lo, v2, v38, vcc_lo
	v_add_co_u32 v23, vcc_lo, v64, v39
	v_add_co_ci_u32_e32 v24, vcc_lo, v2, v40, vcc_lo
	v_add_co_u32 v21, vcc_lo, v64, v41
	v_add_co_ci_u32_e32 v22, vcc_lo, v2, v42, vcc_lo
	v_add_co_u32 v19, vcc_lo, v64, v43
	v_add_co_ci_u32_e32 v20, vcc_lo, v2, v44, vcc_lo
	v_add_co_u32 v17, vcc_lo, v64, v45
	v_add_co_ci_u32_e32 v18, vcc_lo, v2, v46, vcc_lo
	v_add_co_u32 v15, vcc_lo, v64, v47
	v_add_co_ci_u32_e32 v16, vcc_lo, v2, v48, vcc_lo
	v_add_co_u32 v13, vcc_lo, v64, v49
	v_add_co_ci_u32_e32 v14, vcc_lo, v2, v50, vcc_lo
	v_add_co_u32 v11, vcc_lo, v64, v51
	v_add_co_ci_u32_e32 v12, vcc_lo, v2, v52, vcc_lo
	v_add_co_u32 v9, vcc_lo, v64, v53
	v_add_co_ci_u32_e32 v10, vcc_lo, v2, v54, vcc_lo
	v_add_co_u32 v7, vcc_lo, v64, v55
	v_add_co_ci_u32_e32 v8, vcc_lo, v2, v56, vcc_lo
	v_add_co_u32 v5, vcc_lo, v64, v57
	v_add_co_ci_u32_e32 v6, vcc_lo, v2, v58, vcc_lo
	v_add_co_u32 v3, vcc_lo, v64, v59
	v_add_co_ci_u32_e32 v4, vcc_lo, v2, v60, vcc_lo
	v_add_co_u32 v0, vcc_lo, v64, v0
	s_clause 0x3
	scratch_store_b64 off, v[89:90], off offset:248
	scratch_store_b64 off, v[87:88], off offset:240
	scratch_store_b64 off, v[85:86], off offset:232
	scratch_store_b64 off, v[83:84], off offset:224
	s_clause 0x3
	global_load_b128 v[116:119], v[89:90], off
	global_load_b128 v[112:115], v[87:88], off
	global_load_b128 v[108:111], v[85:86], off
	global_load_b128 v[104:107], v[83:84], off
	s_clause 0x3
	scratch_store_b64 off, v[81:82], off offset:216
	scratch_store_b64 off, v[79:80], off offset:208
	scratch_store_b64 off, v[77:78], off offset:200
	scratch_store_b64 off, v[75:76], off offset:192
	s_clause 0x3
	global_load_b128 v[100:103], v[81:82], off
	global_load_b128 v[96:99], v[79:80], off
	global_load_b128 v[92:95], v[77:78], off
	global_load_b128 v[88:91], v[75:76], off
	;; [unrolled: 10-line block ×4, first 2 shown]
	global_load_b128 v[52:55], v[27:28], off
	s_clause 0x3
	scratch_store_b64 off, v[27:28], off offset:120
	scratch_store_b64 off, v[25:26], off offset:112
	scratch_store_b64 off, v[23:24], off offset:104
	scratch_store_b64 off, v[21:22], off offset:96
	s_clause 0x3
	global_load_b128 v[48:51], v[25:26], off
	global_load_b128 v[44:47], v[23:24], off
	global_load_b128 v[40:43], v[21:22], off
	global_load_b128 v[36:39], v[19:20], off
	s_clause 0x3
	scratch_store_b64 off, v[19:20], off offset:88
	scratch_store_b64 off, v[17:18], off offset:80
	scratch_store_b64 off, v[15:16], off offset:72
	scratch_store_b64 off, v[13:14], off offset:64
	s_clause 0x3
	global_load_b128 v[32:35], v[17:18], off
	global_load_b128 v[28:31], v[15:16], off
	global_load_b128 v[24:27], v[13:14], off
	;; [unrolled: 10-line block ×3, first 2 shown]
	global_load_b128 v[124:127], v[120:121], off
	v_add_co_ci_u32_e32 v1, vcc_lo, v2, v1, vcc_lo
	v_add_co_u32 v122, vcc_lo, v120, s4
	v_add_co_ci_u32_e32 v123, vcc_lo, s5, v121, vcc_lo
	scratch_store_b64 off, v[120:121], off offset:256 ; 8-byte Folded Spill
	s_waitcnt vmcnt(0)
	s_clause 0x1
	scratch_store_b128 off, v[124:127], off
	scratch_store_b64 off, v[122:123], off offset:264
	global_load_b128 v[120:123], v[122:123], off
	s_clause 0x1
	scratch_store_b64 off, v[3:4], off offset:24
	scratch_store_b64 off, v[0:1], off offset:16
	s_clause 0x1
	global_load_b128 v[4:7], v[3:4], off
	global_load_b128 v[0:3], v[0:1], off
	v_lshlrev_b32_e32 v124, 4, v128
	v_lshl_add_u32 v125, v128, 9, 0
	s_delay_alu instid0(VALU_DEP_2) | instskip(SKIP_1) | instid1(VALU_DEP_1)
	v_add3_u32 v124, 0, s2, v124
	v_cmp_eq_u32_e64 s2, 0, v252
	s_and_saveexec_b32 s5, s2
	s_cbranch_execz .LBB63_8
; %bb.2:
	scratch_load_b128 v[126:129], off, off  ; 16-byte Folded Reload
	s_waitcnt vmcnt(0)
	ds_store_2addr_b64 v124, v[126:127], v[128:129] offset1:1
	ds_store_2addr_b64 v125, v[120:121], v[122:123] offset0:2 offset1:3
	ds_store_2addr_b64 v125, v[116:117], v[118:119] offset0:4 offset1:5
	;; [unrolled: 1-line block ×31, first 2 shown]
	ds_load_2addr_b64 v[128:131], v124 offset1:1
	s_waitcnt lgkmcnt(0)
	v_cmp_neq_f64_e32 vcc_lo, 0, v[128:129]
	v_cmp_neq_f64_e64 s4, 0, v[130:131]
	s_delay_alu instid0(VALU_DEP_1) | instskip(NEXT) | instid1(SALU_CYCLE_1)
	s_or_b32 s4, vcc_lo, s4
	s_and_b32 exec_lo, exec_lo, s4
	s_cbranch_execz .LBB63_8
; %bb.3:
	v_cmp_gt_f64_e32 vcc_lo, 0, v[128:129]
	v_cmp_gt_f64_e64 s4, 0, v[130:131]
	v_xor_b32_e32 v126, 0x80000000, v129
	v_xor_b32_e32 v132, 0x80000000, v131
                                        ; implicit-def: $vgpr136_vgpr137
	s_delay_alu instid0(VALU_DEP_2) | instskip(NEXT) | instid1(VALU_DEP_2)
	v_dual_cndmask_b32 v127, v129, v126 :: v_dual_cndmask_b32 v126, v128, v128
	v_cndmask_b32_e64 v133, v131, v132, s4
	v_cndmask_b32_e64 v132, v130, v130, s4
	s_mov_b32 s4, exec_lo
	s_delay_alu instid0(VALU_DEP_1)
	v_cmpx_ngt_f64_e32 v[126:127], v[132:133]
	s_xor_b32 s4, exec_lo, s4
                                        ; implicit-def: $vgpr132_vgpr133_vgpr134_vgpr135
	s_cbranch_execz .LBB63_5
; %bb.4:
	v_div_scale_f64 v[126:127], null, v[130:131], v[130:131], v[128:129]
	v_div_scale_f64 v[136:137], vcc_lo, v[128:129], v[130:131], v[128:129]
	s_delay_alu instid0(VALU_DEP_2) | instskip(SKIP_2) | instid1(VALU_DEP_1)
	v_rcp_f64_e32 v[132:133], v[126:127]
	s_waitcnt_depctr 0xfff
	v_fma_f64 v[134:135], -v[126:127], v[132:133], 1.0
	v_fma_f64 v[132:133], v[132:133], v[134:135], v[132:133]
	s_delay_alu instid0(VALU_DEP_1) | instskip(NEXT) | instid1(VALU_DEP_1)
	v_fma_f64 v[134:135], -v[126:127], v[132:133], 1.0
	v_fma_f64 v[132:133], v[132:133], v[134:135], v[132:133]
	s_delay_alu instid0(VALU_DEP_1) | instskip(NEXT) | instid1(VALU_DEP_1)
	v_mul_f64 v[134:135], v[136:137], v[132:133]
	v_fma_f64 v[126:127], -v[126:127], v[134:135], v[136:137]
	s_delay_alu instid0(VALU_DEP_1) | instskip(NEXT) | instid1(VALU_DEP_1)
	v_div_fmas_f64 v[126:127], v[126:127], v[132:133], v[134:135]
	v_div_fixup_f64 v[126:127], v[126:127], v[130:131], v[128:129]
	s_delay_alu instid0(VALU_DEP_1) | instskip(NEXT) | instid1(VALU_DEP_1)
	v_fma_f64 v[128:129], v[128:129], v[126:127], v[130:131]
	v_div_scale_f64 v[130:131], null, v[128:129], v[128:129], 1.0
	s_delay_alu instid0(VALU_DEP_1) | instskip(SKIP_2) | instid1(VALU_DEP_1)
	v_rcp_f64_e32 v[132:133], v[130:131]
	s_waitcnt_depctr 0xfff
	v_fma_f64 v[134:135], -v[130:131], v[132:133], 1.0
	v_fma_f64 v[132:133], v[132:133], v[134:135], v[132:133]
	s_delay_alu instid0(VALU_DEP_1) | instskip(NEXT) | instid1(VALU_DEP_1)
	v_fma_f64 v[134:135], -v[130:131], v[132:133], 1.0
	v_fma_f64 v[132:133], v[132:133], v[134:135], v[132:133]
	v_div_scale_f64 v[134:135], vcc_lo, 1.0, v[128:129], 1.0
	s_delay_alu instid0(VALU_DEP_1) | instskip(NEXT) | instid1(VALU_DEP_1)
	v_mul_f64 v[136:137], v[134:135], v[132:133]
	v_fma_f64 v[130:131], -v[130:131], v[136:137], v[134:135]
	s_delay_alu instid0(VALU_DEP_1) | instskip(NEXT) | instid1(VALU_DEP_1)
	v_div_fmas_f64 v[130:131], v[130:131], v[132:133], v[136:137]
	v_div_fixup_f64 v[134:135], v[130:131], v[128:129], 1.0
                                        ; implicit-def: $vgpr128_vgpr129
	s_delay_alu instid0(VALU_DEP_1)
	v_mul_f64 v[136:137], v[126:127], v[134:135]
	v_xor_b32_e32 v135, 0x80000000, v135
.LBB63_5:
	s_and_not1_saveexec_b32 s4, s4
	s_cbranch_execz .LBB63_7
; %bb.6:
	v_div_scale_f64 v[126:127], null, v[128:129], v[128:129], v[130:131]
	v_div_scale_f64 v[136:137], vcc_lo, v[130:131], v[128:129], v[130:131]
	s_delay_alu instid0(VALU_DEP_2) | instskip(SKIP_2) | instid1(VALU_DEP_1)
	v_rcp_f64_e32 v[132:133], v[126:127]
	s_waitcnt_depctr 0xfff
	v_fma_f64 v[134:135], -v[126:127], v[132:133], 1.0
	v_fma_f64 v[132:133], v[132:133], v[134:135], v[132:133]
	s_delay_alu instid0(VALU_DEP_1) | instskip(NEXT) | instid1(VALU_DEP_1)
	v_fma_f64 v[134:135], -v[126:127], v[132:133], 1.0
	v_fma_f64 v[132:133], v[132:133], v[134:135], v[132:133]
	s_delay_alu instid0(VALU_DEP_1) | instskip(NEXT) | instid1(VALU_DEP_1)
	v_mul_f64 v[134:135], v[136:137], v[132:133]
	v_fma_f64 v[126:127], -v[126:127], v[134:135], v[136:137]
	s_delay_alu instid0(VALU_DEP_1) | instskip(NEXT) | instid1(VALU_DEP_1)
	v_div_fmas_f64 v[126:127], v[126:127], v[132:133], v[134:135]
	v_div_fixup_f64 v[126:127], v[126:127], v[128:129], v[130:131]
	s_delay_alu instid0(VALU_DEP_1) | instskip(NEXT) | instid1(VALU_DEP_1)
	v_fma_f64 v[128:129], v[130:131], v[126:127], v[128:129]
	v_div_scale_f64 v[130:131], null, v[128:129], v[128:129], 1.0
	s_delay_alu instid0(VALU_DEP_1) | instskip(SKIP_2) | instid1(VALU_DEP_1)
	v_rcp_f64_e32 v[132:133], v[130:131]
	s_waitcnt_depctr 0xfff
	v_fma_f64 v[134:135], -v[130:131], v[132:133], 1.0
	v_fma_f64 v[132:133], v[132:133], v[134:135], v[132:133]
	s_delay_alu instid0(VALU_DEP_1) | instskip(NEXT) | instid1(VALU_DEP_1)
	v_fma_f64 v[134:135], -v[130:131], v[132:133], 1.0
	v_fma_f64 v[132:133], v[132:133], v[134:135], v[132:133]
	v_div_scale_f64 v[134:135], vcc_lo, 1.0, v[128:129], 1.0
	s_delay_alu instid0(VALU_DEP_1) | instskip(NEXT) | instid1(VALU_DEP_1)
	v_mul_f64 v[136:137], v[134:135], v[132:133]
	v_fma_f64 v[130:131], -v[130:131], v[136:137], v[134:135]
	s_delay_alu instid0(VALU_DEP_1) | instskip(NEXT) | instid1(VALU_DEP_1)
	v_div_fmas_f64 v[130:131], v[130:131], v[132:133], v[136:137]
	v_div_fixup_f64 v[136:137], v[130:131], v[128:129], 1.0
	s_delay_alu instid0(VALU_DEP_1)
	v_mul_f64 v[134:135], v[126:127], -v[136:137]
.LBB63_7:
	s_or_b32 exec_lo, exec_lo, s4
	ds_store_2addr_b64 v124, v[136:137], v[134:135] offset1:1
.LBB63_8:
	s_or_b32 exec_lo, exec_lo, s5
	s_waitcnt vmcnt(0) lgkmcnt(0)
	s_waitcnt_vscnt null, 0x0
	s_barrier
	buffer_gl0_inv
	ds_load_2addr_b64 v[126:129], v124 offset1:1
	s_waitcnt lgkmcnt(0)
	scratch_store_b128 off, v[126:129], off offset:272 ; 16-byte Folded Spill
	s_and_saveexec_b32 s4, s3
	s_cbranch_execz .LBB63_10
; %bb.9:
	s_clause 0x1
	scratch_load_b128 v[134:137], off, off
	scratch_load_b128 v[128:131], off, off offset:272
	s_waitcnt vmcnt(0)
	v_mul_f64 v[126:127], v[130:131], v[136:137]
	s_delay_alu instid0(VALU_DEP_1) | instskip(SKIP_1) | instid1(VALU_DEP_1)
	v_fma_f64 v[132:133], v[128:129], v[134:135], -v[126:127]
	v_mul_f64 v[126:127], v[128:129], v[136:137]
	v_fma_f64 v[136:137], v[130:131], v[134:135], v[126:127]
	ds_load_2addr_b64 v[126:129], v125 offset0:2 offset1:3
	v_dual_mov_b32 v135, v133 :: v_dual_mov_b32 v134, v132
	s_waitcnt lgkmcnt(0)
	v_mul_f64 v[130:131], v[128:129], v[136:137]
	scratch_store_b128 off, v[134:137], off ; 16-byte Folded Spill
	v_fma_f64 v[130:131], v[126:127], v[132:133], -v[130:131]
	v_mul_f64 v[126:127], v[126:127], v[136:137]
	s_delay_alu instid0(VALU_DEP_2) | instskip(NEXT) | instid1(VALU_DEP_2)
	v_add_f64 v[120:121], v[120:121], -v[130:131]
	v_fma_f64 v[126:127], v[128:129], v[132:133], v[126:127]
	s_delay_alu instid0(VALU_DEP_1) | instskip(SKIP_3) | instid1(VALU_DEP_1)
	v_add_f64 v[122:123], v[122:123], -v[126:127]
	ds_load_2addr_b64 v[126:129], v125 offset0:4 offset1:5
	s_waitcnt lgkmcnt(0)
	v_mul_f64 v[130:131], v[128:129], v[136:137]
	v_fma_f64 v[130:131], v[126:127], v[132:133], -v[130:131]
	v_mul_f64 v[126:127], v[126:127], v[136:137]
	s_delay_alu instid0(VALU_DEP_2) | instskip(NEXT) | instid1(VALU_DEP_2)
	v_add_f64 v[116:117], v[116:117], -v[130:131]
	v_fma_f64 v[126:127], v[128:129], v[132:133], v[126:127]
	s_delay_alu instid0(VALU_DEP_1) | instskip(SKIP_3) | instid1(VALU_DEP_1)
	v_add_f64 v[118:119], v[118:119], -v[126:127]
	ds_load_2addr_b64 v[126:129], v125 offset0:6 offset1:7
	s_waitcnt lgkmcnt(0)
	v_mul_f64 v[130:131], v[128:129], v[136:137]
	;; [unrolled: 10-line block ×30, first 2 shown]
	v_fma_f64 v[130:131], v[126:127], v[132:133], -v[130:131]
	v_mul_f64 v[126:127], v[126:127], v[136:137]
	s_delay_alu instid0(VALU_DEP_2) | instskip(NEXT) | instid1(VALU_DEP_2)
	v_add_f64 v[0:1], v[0:1], -v[130:131]
	v_fma_f64 v[126:127], v[128:129], v[132:133], v[126:127]
	s_delay_alu instid0(VALU_DEP_1)
	v_add_f64 v[2:3], v[2:3], -v[126:127]
.LBB63_10:
	s_or_b32 exec_lo, exec_lo, s4
	s_delay_alu instid0(SALU_CYCLE_1)
	s_mov_b32 s4, exec_lo
	s_waitcnt_vscnt null, 0x0
	s_barrier
	buffer_gl0_inv
	v_cmpx_eq_u32_e32 1, v252
	s_cbranch_execz .LBB63_17
; %bb.11:
	ds_store_2addr_b64 v124, v[120:121], v[122:123] offset1:1
	ds_store_2addr_b64 v125, v[116:117], v[118:119] offset0:4 offset1:5
	ds_store_2addr_b64 v125, v[112:113], v[114:115] offset0:6 offset1:7
	;; [unrolled: 1-line block ×30, first 2 shown]
	ds_load_2addr_b64 v[132:135], v124 offset1:1
	s_waitcnt lgkmcnt(0)
	v_cmp_neq_f64_e32 vcc_lo, 0, v[132:133]
	v_cmp_neq_f64_e64 s3, 0, v[134:135]
	s_delay_alu instid0(VALU_DEP_1) | instskip(NEXT) | instid1(SALU_CYCLE_1)
	s_or_b32 s3, vcc_lo, s3
	s_and_b32 exec_lo, exec_lo, s3
	s_cbranch_execz .LBB63_17
; %bb.12:
	v_cmp_gt_f64_e32 vcc_lo, 0, v[132:133]
	v_cmp_gt_f64_e64 s3, 0, v[134:135]
	v_xor_b32_e32 v126, 0x80000000, v133
	v_xor_b32_e32 v128, 0x80000000, v135
	s_delay_alu instid0(VALU_DEP_2) | instskip(NEXT) | instid1(VALU_DEP_2)
	v_dual_cndmask_b32 v127, v133, v126 :: v_dual_cndmask_b32 v126, v132, v132
	v_cndmask_b32_e64 v129, v135, v128, s3
	v_cndmask_b32_e64 v128, v134, v134, s3
	s_delay_alu instid0(VALU_DEP_1) | instskip(SKIP_1) | instid1(SALU_CYCLE_1)
	v_cmp_ngt_f64_e32 vcc_lo, v[126:127], v[128:129]
                                        ; implicit-def: $vgpr128_vgpr129
	s_and_saveexec_b32 s3, vcc_lo
	s_xor_b32 s3, exec_lo, s3
                                        ; implicit-def: $vgpr136_vgpr137_vgpr138_vgpr139
	s_cbranch_execz .LBB63_14
; %bb.13:
	v_div_scale_f64 v[126:127], null, v[134:135], v[134:135], v[132:133]
	v_div_scale_f64 v[136:137], vcc_lo, v[132:133], v[134:135], v[132:133]
	s_delay_alu instid0(VALU_DEP_2) | instskip(SKIP_2) | instid1(VALU_DEP_1)
	v_rcp_f64_e32 v[128:129], v[126:127]
	s_waitcnt_depctr 0xfff
	v_fma_f64 v[130:131], -v[126:127], v[128:129], 1.0
	v_fma_f64 v[128:129], v[128:129], v[130:131], v[128:129]
	s_delay_alu instid0(VALU_DEP_1) | instskip(NEXT) | instid1(VALU_DEP_1)
	v_fma_f64 v[130:131], -v[126:127], v[128:129], 1.0
	v_fma_f64 v[128:129], v[128:129], v[130:131], v[128:129]
	s_delay_alu instid0(VALU_DEP_1) | instskip(NEXT) | instid1(VALU_DEP_1)
	v_mul_f64 v[130:131], v[136:137], v[128:129]
	v_fma_f64 v[126:127], -v[126:127], v[130:131], v[136:137]
	s_delay_alu instid0(VALU_DEP_1) | instskip(NEXT) | instid1(VALU_DEP_1)
	v_div_fmas_f64 v[126:127], v[126:127], v[128:129], v[130:131]
	v_div_fixup_f64 v[126:127], v[126:127], v[134:135], v[132:133]
	s_delay_alu instid0(VALU_DEP_1) | instskip(NEXT) | instid1(VALU_DEP_1)
	v_fma_f64 v[128:129], v[132:133], v[126:127], v[134:135]
	v_div_scale_f64 v[130:131], null, v[128:129], v[128:129], 1.0
	s_delay_alu instid0(VALU_DEP_1) | instskip(SKIP_2) | instid1(VALU_DEP_1)
	v_rcp_f64_e32 v[132:133], v[130:131]
	s_waitcnt_depctr 0xfff
	v_fma_f64 v[134:135], -v[130:131], v[132:133], 1.0
	v_fma_f64 v[132:133], v[132:133], v[134:135], v[132:133]
	s_delay_alu instid0(VALU_DEP_1) | instskip(NEXT) | instid1(VALU_DEP_1)
	v_fma_f64 v[134:135], -v[130:131], v[132:133], 1.0
	v_fma_f64 v[132:133], v[132:133], v[134:135], v[132:133]
	v_div_scale_f64 v[134:135], vcc_lo, 1.0, v[128:129], 1.0
	s_delay_alu instid0(VALU_DEP_1) | instskip(NEXT) | instid1(VALU_DEP_1)
	v_mul_f64 v[136:137], v[134:135], v[132:133]
	v_fma_f64 v[130:131], -v[130:131], v[136:137], v[134:135]
	s_delay_alu instid0(VALU_DEP_1) | instskip(NEXT) | instid1(VALU_DEP_1)
	v_div_fmas_f64 v[130:131], v[130:131], v[132:133], v[136:137]
                                        ; implicit-def: $vgpr132_vgpr133
	v_div_fixup_f64 v[138:139], v[130:131], v[128:129], 1.0
	s_delay_alu instid0(VALU_DEP_1)
	v_mul_f64 v[128:129], v[126:127], v[138:139]
	v_xor_b32_e32 v139, 0x80000000, v139
.LBB63_14:
	s_and_not1_saveexec_b32 s3, s3
	s_cbranch_execz .LBB63_16
; %bb.15:
	v_div_scale_f64 v[126:127], null, v[132:133], v[132:133], v[134:135]
	v_div_scale_f64 v[136:137], vcc_lo, v[134:135], v[132:133], v[134:135]
	s_delay_alu instid0(VALU_DEP_2) | instskip(SKIP_2) | instid1(VALU_DEP_1)
	v_rcp_f64_e32 v[128:129], v[126:127]
	s_waitcnt_depctr 0xfff
	v_fma_f64 v[130:131], -v[126:127], v[128:129], 1.0
	v_fma_f64 v[128:129], v[128:129], v[130:131], v[128:129]
	s_delay_alu instid0(VALU_DEP_1) | instskip(NEXT) | instid1(VALU_DEP_1)
	v_fma_f64 v[130:131], -v[126:127], v[128:129], 1.0
	v_fma_f64 v[128:129], v[128:129], v[130:131], v[128:129]
	s_delay_alu instid0(VALU_DEP_1) | instskip(NEXT) | instid1(VALU_DEP_1)
	v_mul_f64 v[130:131], v[136:137], v[128:129]
	v_fma_f64 v[126:127], -v[126:127], v[130:131], v[136:137]
	s_delay_alu instid0(VALU_DEP_1) | instskip(NEXT) | instid1(VALU_DEP_1)
	v_div_fmas_f64 v[126:127], v[126:127], v[128:129], v[130:131]
	v_div_fixup_f64 v[126:127], v[126:127], v[132:133], v[134:135]
	s_delay_alu instid0(VALU_DEP_1) | instskip(NEXT) | instid1(VALU_DEP_1)
	v_fma_f64 v[128:129], v[134:135], v[126:127], v[132:133]
	v_div_scale_f64 v[130:131], null, v[128:129], v[128:129], 1.0
	s_delay_alu instid0(VALU_DEP_1) | instskip(SKIP_2) | instid1(VALU_DEP_1)
	v_rcp_f64_e32 v[132:133], v[130:131]
	s_waitcnt_depctr 0xfff
	v_fma_f64 v[134:135], -v[130:131], v[132:133], 1.0
	v_fma_f64 v[132:133], v[132:133], v[134:135], v[132:133]
	s_delay_alu instid0(VALU_DEP_1) | instskip(NEXT) | instid1(VALU_DEP_1)
	v_fma_f64 v[134:135], -v[130:131], v[132:133], 1.0
	v_fma_f64 v[132:133], v[132:133], v[134:135], v[132:133]
	v_div_scale_f64 v[134:135], vcc_lo, 1.0, v[128:129], 1.0
	s_delay_alu instid0(VALU_DEP_1) | instskip(NEXT) | instid1(VALU_DEP_1)
	v_mul_f64 v[136:137], v[134:135], v[132:133]
	v_fma_f64 v[130:131], -v[130:131], v[136:137], v[134:135]
	s_delay_alu instid0(VALU_DEP_1) | instskip(NEXT) | instid1(VALU_DEP_1)
	v_div_fmas_f64 v[130:131], v[130:131], v[132:133], v[136:137]
	v_div_fixup_f64 v[128:129], v[130:131], v[128:129], 1.0
	s_delay_alu instid0(VALU_DEP_1)
	v_mul_f64 v[138:139], v[126:127], -v[128:129]
.LBB63_16:
	s_or_b32 exec_lo, exec_lo, s3
	ds_store_2addr_b64 v124, v[128:129], v[138:139] offset1:1
.LBB63_17:
	s_or_b32 exec_lo, exec_lo, s4
	s_waitcnt lgkmcnt(0)
	s_barrier
	buffer_gl0_inv
	ds_load_2addr_b64 v[126:129], v124 offset1:1
	s_mov_b32 s3, exec_lo
	s_waitcnt lgkmcnt(0)
	scratch_store_b128 off, v[126:129], off offset:288 ; 16-byte Folded Spill
	v_cmpx_lt_u32_e32 1, v252
	s_cbranch_execz .LBB63_19
; %bb.18:
	scratch_load_b128 v[128:131], off, off offset:288 ; 16-byte Folded Reload
	s_waitcnt vmcnt(0)
	v_mul_f64 v[126:127], v[130:131], v[122:123]
	v_mul_f64 v[122:123], v[128:129], v[122:123]
	s_delay_alu instid0(VALU_DEP_2) | instskip(NEXT) | instid1(VALU_DEP_2)
	v_fma_f64 v[136:137], v[128:129], v[120:121], -v[126:127]
	v_fma_f64 v[122:123], v[130:131], v[120:121], v[122:123]
	ds_load_2addr_b64 v[126:129], v125 offset0:4 offset1:5
	s_waitcnt lgkmcnt(0)
	v_mul_f64 v[120:121], v[128:129], v[122:123]
	s_delay_alu instid0(VALU_DEP_1) | instskip(SKIP_1) | instid1(VALU_DEP_2)
	v_fma_f64 v[120:121], v[126:127], v[136:137], -v[120:121]
	v_mul_f64 v[126:127], v[126:127], v[122:123]
	v_add_f64 v[116:117], v[116:117], -v[120:121]
	s_delay_alu instid0(VALU_DEP_2) | instskip(NEXT) | instid1(VALU_DEP_1)
	v_fma_f64 v[126:127], v[128:129], v[136:137], v[126:127]
	v_add_f64 v[118:119], v[118:119], -v[126:127]
	ds_load_2addr_b64 v[126:129], v125 offset0:6 offset1:7
	s_waitcnt lgkmcnt(0)
	v_mul_f64 v[120:121], v[128:129], v[122:123]
	s_delay_alu instid0(VALU_DEP_1) | instskip(SKIP_1) | instid1(VALU_DEP_2)
	v_fma_f64 v[120:121], v[126:127], v[136:137], -v[120:121]
	v_mul_f64 v[126:127], v[126:127], v[122:123]
	v_add_f64 v[112:113], v[112:113], -v[120:121]
	s_delay_alu instid0(VALU_DEP_2) | instskip(NEXT) | instid1(VALU_DEP_1)
	v_fma_f64 v[126:127], v[128:129], v[136:137], v[126:127]
	v_add_f64 v[114:115], v[114:115], -v[126:127]
	;; [unrolled: 10-line block ×29, first 2 shown]
	ds_load_2addr_b64 v[126:129], v125 offset0:62 offset1:63
	s_waitcnt lgkmcnt(0)
	v_mul_f64 v[120:121], v[128:129], v[122:123]
	s_delay_alu instid0(VALU_DEP_1) | instskip(SKIP_1) | instid1(VALU_DEP_2)
	v_fma_f64 v[120:121], v[126:127], v[136:137], -v[120:121]
	v_mul_f64 v[126:127], v[126:127], v[122:123]
	v_add_f64 v[0:1], v[0:1], -v[120:121]
	s_delay_alu instid0(VALU_DEP_2) | instskip(SKIP_1) | instid1(VALU_DEP_2)
	v_fma_f64 v[126:127], v[128:129], v[136:137], v[126:127]
	v_dual_mov_b32 v120, v136 :: v_dual_mov_b32 v121, v137
	v_add_f64 v[2:3], v[2:3], -v[126:127]
.LBB63_19:
	s_or_b32 exec_lo, exec_lo, s3
	s_delay_alu instid0(SALU_CYCLE_1)
	s_mov_b32 s4, exec_lo
	s_waitcnt_vscnt null, 0x0
	s_barrier
	buffer_gl0_inv
	v_cmpx_eq_u32_e32 2, v252
	s_cbranch_execz .LBB63_26
; %bb.20:
	ds_store_2addr_b64 v124, v[116:117], v[118:119] offset1:1
	ds_store_2addr_b64 v125, v[112:113], v[114:115] offset0:6 offset1:7
	ds_store_2addr_b64 v125, v[108:109], v[110:111] offset0:8 offset1:9
	;; [unrolled: 1-line block ×29, first 2 shown]
	ds_load_2addr_b64 v[136:139], v124 offset1:1
	s_waitcnt lgkmcnt(0)
	v_cmp_neq_f64_e32 vcc_lo, 0, v[136:137]
	v_cmp_neq_f64_e64 s3, 0, v[138:139]
	s_delay_alu instid0(VALU_DEP_1) | instskip(NEXT) | instid1(SALU_CYCLE_1)
	s_or_b32 s3, vcc_lo, s3
	s_and_b32 exec_lo, exec_lo, s3
	s_cbranch_execz .LBB63_26
; %bb.21:
	v_cmp_gt_f64_e32 vcc_lo, 0, v[136:137]
	v_cmp_gt_f64_e64 s3, 0, v[138:139]
	v_xor_b32_e32 v126, 0x80000000, v137
	v_xor_b32_e32 v128, 0x80000000, v139
	s_delay_alu instid0(VALU_DEP_2) | instskip(NEXT) | instid1(VALU_DEP_2)
	v_dual_cndmask_b32 v127, v137, v126 :: v_dual_cndmask_b32 v126, v136, v136
	v_cndmask_b32_e64 v129, v139, v128, s3
	v_cndmask_b32_e64 v128, v138, v138, s3
	s_delay_alu instid0(VALU_DEP_1) | instskip(SKIP_1) | instid1(SALU_CYCLE_1)
	v_cmp_ngt_f64_e32 vcc_lo, v[126:127], v[128:129]
                                        ; implicit-def: $vgpr128_vgpr129
	s_and_saveexec_b32 s3, vcc_lo
	s_xor_b32 s3, exec_lo, s3
                                        ; implicit-def: $vgpr140_vgpr141_vgpr142_vgpr143
	s_cbranch_execz .LBB63_23
; %bb.22:
	v_div_scale_f64 v[126:127], null, v[138:139], v[138:139], v[136:137]
	v_div_scale_f64 v[140:141], vcc_lo, v[136:137], v[138:139], v[136:137]
	s_delay_alu instid0(VALU_DEP_2) | instskip(SKIP_2) | instid1(VALU_DEP_1)
	v_rcp_f64_e32 v[128:129], v[126:127]
	s_waitcnt_depctr 0xfff
	v_fma_f64 v[130:131], -v[126:127], v[128:129], 1.0
	v_fma_f64 v[128:129], v[128:129], v[130:131], v[128:129]
	s_delay_alu instid0(VALU_DEP_1) | instskip(NEXT) | instid1(VALU_DEP_1)
	v_fma_f64 v[130:131], -v[126:127], v[128:129], 1.0
	v_fma_f64 v[128:129], v[128:129], v[130:131], v[128:129]
	s_delay_alu instid0(VALU_DEP_1) | instskip(NEXT) | instid1(VALU_DEP_1)
	v_mul_f64 v[130:131], v[140:141], v[128:129]
	v_fma_f64 v[126:127], -v[126:127], v[130:131], v[140:141]
	s_delay_alu instid0(VALU_DEP_1) | instskip(NEXT) | instid1(VALU_DEP_1)
	v_div_fmas_f64 v[126:127], v[126:127], v[128:129], v[130:131]
	v_div_fixup_f64 v[126:127], v[126:127], v[138:139], v[136:137]
	s_delay_alu instid0(VALU_DEP_1) | instskip(NEXT) | instid1(VALU_DEP_1)
	v_fma_f64 v[128:129], v[136:137], v[126:127], v[138:139]
	v_div_scale_f64 v[130:131], null, v[128:129], v[128:129], 1.0
	s_delay_alu instid0(VALU_DEP_1) | instskip(SKIP_2) | instid1(VALU_DEP_1)
	v_rcp_f64_e32 v[136:137], v[130:131]
	s_waitcnt_depctr 0xfff
	v_fma_f64 v[138:139], -v[130:131], v[136:137], 1.0
	v_fma_f64 v[136:137], v[136:137], v[138:139], v[136:137]
	s_delay_alu instid0(VALU_DEP_1) | instskip(NEXT) | instid1(VALU_DEP_1)
	v_fma_f64 v[138:139], -v[130:131], v[136:137], 1.0
	v_fma_f64 v[136:137], v[136:137], v[138:139], v[136:137]
	v_div_scale_f64 v[138:139], vcc_lo, 1.0, v[128:129], 1.0
	s_delay_alu instid0(VALU_DEP_1) | instskip(NEXT) | instid1(VALU_DEP_1)
	v_mul_f64 v[140:141], v[138:139], v[136:137]
	v_fma_f64 v[130:131], -v[130:131], v[140:141], v[138:139]
	s_delay_alu instid0(VALU_DEP_1) | instskip(NEXT) | instid1(VALU_DEP_1)
	v_div_fmas_f64 v[130:131], v[130:131], v[136:137], v[140:141]
                                        ; implicit-def: $vgpr136_vgpr137
	v_div_fixup_f64 v[142:143], v[130:131], v[128:129], 1.0
	s_delay_alu instid0(VALU_DEP_1)
	v_mul_f64 v[128:129], v[126:127], v[142:143]
	v_xor_b32_e32 v143, 0x80000000, v143
.LBB63_23:
	s_and_not1_saveexec_b32 s3, s3
	s_cbranch_execz .LBB63_25
; %bb.24:
	v_div_scale_f64 v[126:127], null, v[136:137], v[136:137], v[138:139]
	v_div_scale_f64 v[140:141], vcc_lo, v[138:139], v[136:137], v[138:139]
	s_delay_alu instid0(VALU_DEP_2) | instskip(SKIP_2) | instid1(VALU_DEP_1)
	v_rcp_f64_e32 v[128:129], v[126:127]
	s_waitcnt_depctr 0xfff
	v_fma_f64 v[130:131], -v[126:127], v[128:129], 1.0
	v_fma_f64 v[128:129], v[128:129], v[130:131], v[128:129]
	s_delay_alu instid0(VALU_DEP_1) | instskip(NEXT) | instid1(VALU_DEP_1)
	v_fma_f64 v[130:131], -v[126:127], v[128:129], 1.0
	v_fma_f64 v[128:129], v[128:129], v[130:131], v[128:129]
	s_delay_alu instid0(VALU_DEP_1) | instskip(NEXT) | instid1(VALU_DEP_1)
	v_mul_f64 v[130:131], v[140:141], v[128:129]
	v_fma_f64 v[126:127], -v[126:127], v[130:131], v[140:141]
	s_delay_alu instid0(VALU_DEP_1) | instskip(NEXT) | instid1(VALU_DEP_1)
	v_div_fmas_f64 v[126:127], v[126:127], v[128:129], v[130:131]
	v_div_fixup_f64 v[126:127], v[126:127], v[136:137], v[138:139]
	s_delay_alu instid0(VALU_DEP_1) | instskip(NEXT) | instid1(VALU_DEP_1)
	v_fma_f64 v[128:129], v[138:139], v[126:127], v[136:137]
	v_div_scale_f64 v[130:131], null, v[128:129], v[128:129], 1.0
	s_delay_alu instid0(VALU_DEP_1) | instskip(SKIP_2) | instid1(VALU_DEP_1)
	v_rcp_f64_e32 v[136:137], v[130:131]
	s_waitcnt_depctr 0xfff
	v_fma_f64 v[138:139], -v[130:131], v[136:137], 1.0
	v_fma_f64 v[136:137], v[136:137], v[138:139], v[136:137]
	s_delay_alu instid0(VALU_DEP_1) | instskip(NEXT) | instid1(VALU_DEP_1)
	v_fma_f64 v[138:139], -v[130:131], v[136:137], 1.0
	v_fma_f64 v[136:137], v[136:137], v[138:139], v[136:137]
	v_div_scale_f64 v[138:139], vcc_lo, 1.0, v[128:129], 1.0
	s_delay_alu instid0(VALU_DEP_1) | instskip(NEXT) | instid1(VALU_DEP_1)
	v_mul_f64 v[140:141], v[138:139], v[136:137]
	v_fma_f64 v[130:131], -v[130:131], v[140:141], v[138:139]
	s_delay_alu instid0(VALU_DEP_1) | instskip(NEXT) | instid1(VALU_DEP_1)
	v_div_fmas_f64 v[130:131], v[130:131], v[136:137], v[140:141]
	v_div_fixup_f64 v[128:129], v[130:131], v[128:129], 1.0
	s_delay_alu instid0(VALU_DEP_1)
	v_mul_f64 v[142:143], v[126:127], -v[128:129]
.LBB63_25:
	s_or_b32 exec_lo, exec_lo, s3
	ds_store_2addr_b64 v124, v[128:129], v[142:143] offset1:1
.LBB63_26:
	s_or_b32 exec_lo, exec_lo, s4
	s_waitcnt lgkmcnt(0)
	s_barrier
	buffer_gl0_inv
	ds_load_2addr_b64 v[136:139], v124 offset1:1
	s_mov_b32 s3, exec_lo
	v_cmpx_lt_u32_e32 2, v252
	s_cbranch_execz .LBB63_28
; %bb.27:
	s_waitcnt lgkmcnt(0)
	v_mul_f64 v[126:127], v[138:139], v[118:119]
	v_mul_f64 v[118:119], v[136:137], v[118:119]
	s_delay_alu instid0(VALU_DEP_2) | instskip(NEXT) | instid1(VALU_DEP_2)
	v_fma_f64 v[140:141], v[136:137], v[116:117], -v[126:127]
	v_fma_f64 v[118:119], v[138:139], v[116:117], v[118:119]
	ds_load_2addr_b64 v[126:129], v125 offset0:6 offset1:7
	s_waitcnt lgkmcnt(0)
	v_mul_f64 v[116:117], v[128:129], v[118:119]
	s_delay_alu instid0(VALU_DEP_1) | instskip(SKIP_1) | instid1(VALU_DEP_2)
	v_fma_f64 v[116:117], v[126:127], v[140:141], -v[116:117]
	v_mul_f64 v[126:127], v[126:127], v[118:119]
	v_add_f64 v[112:113], v[112:113], -v[116:117]
	s_delay_alu instid0(VALU_DEP_2) | instskip(NEXT) | instid1(VALU_DEP_1)
	v_fma_f64 v[126:127], v[128:129], v[140:141], v[126:127]
	v_add_f64 v[114:115], v[114:115], -v[126:127]
	ds_load_2addr_b64 v[126:129], v125 offset0:8 offset1:9
	s_waitcnt lgkmcnt(0)
	v_mul_f64 v[116:117], v[128:129], v[118:119]
	s_delay_alu instid0(VALU_DEP_1) | instskip(SKIP_1) | instid1(VALU_DEP_2)
	v_fma_f64 v[116:117], v[126:127], v[140:141], -v[116:117]
	v_mul_f64 v[126:127], v[126:127], v[118:119]
	v_add_f64 v[108:109], v[108:109], -v[116:117]
	s_delay_alu instid0(VALU_DEP_2) | instskip(NEXT) | instid1(VALU_DEP_1)
	v_fma_f64 v[126:127], v[128:129], v[140:141], v[126:127]
	v_add_f64 v[110:111], v[110:111], -v[126:127]
	;; [unrolled: 10-line block ×28, first 2 shown]
	ds_load_2addr_b64 v[126:129], v125 offset0:62 offset1:63
	s_waitcnt lgkmcnt(0)
	v_mul_f64 v[116:117], v[128:129], v[118:119]
	s_delay_alu instid0(VALU_DEP_1) | instskip(SKIP_1) | instid1(VALU_DEP_2)
	v_fma_f64 v[116:117], v[126:127], v[140:141], -v[116:117]
	v_mul_f64 v[126:127], v[126:127], v[118:119]
	v_add_f64 v[0:1], v[0:1], -v[116:117]
	s_delay_alu instid0(VALU_DEP_2) | instskip(SKIP_1) | instid1(VALU_DEP_2)
	v_fma_f64 v[126:127], v[128:129], v[140:141], v[126:127]
	v_dual_mov_b32 v116, v140 :: v_dual_mov_b32 v117, v141
	v_add_f64 v[2:3], v[2:3], -v[126:127]
.LBB63_28:
	s_or_b32 exec_lo, exec_lo, s3
	s_delay_alu instid0(SALU_CYCLE_1)
	s_mov_b32 s4, exec_lo
	s_waitcnt lgkmcnt(0)
	s_barrier
	buffer_gl0_inv
	v_cmpx_eq_u32_e32 3, v252
	s_cbranch_execz .LBB63_35
; %bb.29:
	ds_store_2addr_b64 v124, v[112:113], v[114:115] offset1:1
	ds_store_2addr_b64 v125, v[108:109], v[110:111] offset0:8 offset1:9
	ds_store_2addr_b64 v125, v[104:105], v[106:107] offset0:10 offset1:11
	;; [unrolled: 1-line block ×28, first 2 shown]
	ds_load_2addr_b64 v[140:143], v124 offset1:1
	s_waitcnt lgkmcnt(0)
	v_cmp_neq_f64_e32 vcc_lo, 0, v[140:141]
	v_cmp_neq_f64_e64 s3, 0, v[142:143]
	s_delay_alu instid0(VALU_DEP_1) | instskip(NEXT) | instid1(SALU_CYCLE_1)
	s_or_b32 s3, vcc_lo, s3
	s_and_b32 exec_lo, exec_lo, s3
	s_cbranch_execz .LBB63_35
; %bb.30:
	v_cmp_gt_f64_e32 vcc_lo, 0, v[140:141]
	v_cmp_gt_f64_e64 s3, 0, v[142:143]
	v_xor_b32_e32 v126, 0x80000000, v141
	v_xor_b32_e32 v128, 0x80000000, v143
	s_delay_alu instid0(VALU_DEP_2) | instskip(NEXT) | instid1(VALU_DEP_2)
	v_dual_cndmask_b32 v127, v141, v126 :: v_dual_cndmask_b32 v126, v140, v140
	v_cndmask_b32_e64 v129, v143, v128, s3
	v_cndmask_b32_e64 v128, v142, v142, s3
	s_delay_alu instid0(VALU_DEP_1) | instskip(SKIP_1) | instid1(SALU_CYCLE_1)
	v_cmp_ngt_f64_e32 vcc_lo, v[126:127], v[128:129]
                                        ; implicit-def: $vgpr128_vgpr129
	s_and_saveexec_b32 s3, vcc_lo
	s_xor_b32 s3, exec_lo, s3
                                        ; implicit-def: $vgpr144_vgpr145_vgpr146_vgpr147
	s_cbranch_execz .LBB63_32
; %bb.31:
	v_div_scale_f64 v[126:127], null, v[142:143], v[142:143], v[140:141]
	v_div_scale_f64 v[144:145], vcc_lo, v[140:141], v[142:143], v[140:141]
	s_delay_alu instid0(VALU_DEP_2) | instskip(SKIP_2) | instid1(VALU_DEP_1)
	v_rcp_f64_e32 v[128:129], v[126:127]
	s_waitcnt_depctr 0xfff
	v_fma_f64 v[130:131], -v[126:127], v[128:129], 1.0
	v_fma_f64 v[128:129], v[128:129], v[130:131], v[128:129]
	s_delay_alu instid0(VALU_DEP_1) | instskip(NEXT) | instid1(VALU_DEP_1)
	v_fma_f64 v[130:131], -v[126:127], v[128:129], 1.0
	v_fma_f64 v[128:129], v[128:129], v[130:131], v[128:129]
	s_delay_alu instid0(VALU_DEP_1) | instskip(NEXT) | instid1(VALU_DEP_1)
	v_mul_f64 v[130:131], v[144:145], v[128:129]
	v_fma_f64 v[126:127], -v[126:127], v[130:131], v[144:145]
	s_delay_alu instid0(VALU_DEP_1) | instskip(NEXT) | instid1(VALU_DEP_1)
	v_div_fmas_f64 v[126:127], v[126:127], v[128:129], v[130:131]
	v_div_fixup_f64 v[126:127], v[126:127], v[142:143], v[140:141]
	s_delay_alu instid0(VALU_DEP_1) | instskip(NEXT) | instid1(VALU_DEP_1)
	v_fma_f64 v[128:129], v[140:141], v[126:127], v[142:143]
	v_div_scale_f64 v[130:131], null, v[128:129], v[128:129], 1.0
	s_delay_alu instid0(VALU_DEP_1) | instskip(SKIP_2) | instid1(VALU_DEP_1)
	v_rcp_f64_e32 v[140:141], v[130:131]
	s_waitcnt_depctr 0xfff
	v_fma_f64 v[142:143], -v[130:131], v[140:141], 1.0
	v_fma_f64 v[140:141], v[140:141], v[142:143], v[140:141]
	s_delay_alu instid0(VALU_DEP_1) | instskip(NEXT) | instid1(VALU_DEP_1)
	v_fma_f64 v[142:143], -v[130:131], v[140:141], 1.0
	v_fma_f64 v[140:141], v[140:141], v[142:143], v[140:141]
	v_div_scale_f64 v[142:143], vcc_lo, 1.0, v[128:129], 1.0
	s_delay_alu instid0(VALU_DEP_1) | instskip(NEXT) | instid1(VALU_DEP_1)
	v_mul_f64 v[144:145], v[142:143], v[140:141]
	v_fma_f64 v[130:131], -v[130:131], v[144:145], v[142:143]
	s_delay_alu instid0(VALU_DEP_1) | instskip(NEXT) | instid1(VALU_DEP_1)
	v_div_fmas_f64 v[130:131], v[130:131], v[140:141], v[144:145]
                                        ; implicit-def: $vgpr140_vgpr141
	v_div_fixup_f64 v[146:147], v[130:131], v[128:129], 1.0
	s_delay_alu instid0(VALU_DEP_1)
	v_mul_f64 v[128:129], v[126:127], v[146:147]
	v_xor_b32_e32 v147, 0x80000000, v147
.LBB63_32:
	s_and_not1_saveexec_b32 s3, s3
	s_cbranch_execz .LBB63_34
; %bb.33:
	v_div_scale_f64 v[126:127], null, v[140:141], v[140:141], v[142:143]
	v_div_scale_f64 v[144:145], vcc_lo, v[142:143], v[140:141], v[142:143]
	s_delay_alu instid0(VALU_DEP_2) | instskip(SKIP_2) | instid1(VALU_DEP_1)
	v_rcp_f64_e32 v[128:129], v[126:127]
	s_waitcnt_depctr 0xfff
	v_fma_f64 v[130:131], -v[126:127], v[128:129], 1.0
	v_fma_f64 v[128:129], v[128:129], v[130:131], v[128:129]
	s_delay_alu instid0(VALU_DEP_1) | instskip(NEXT) | instid1(VALU_DEP_1)
	v_fma_f64 v[130:131], -v[126:127], v[128:129], 1.0
	v_fma_f64 v[128:129], v[128:129], v[130:131], v[128:129]
	s_delay_alu instid0(VALU_DEP_1) | instskip(NEXT) | instid1(VALU_DEP_1)
	v_mul_f64 v[130:131], v[144:145], v[128:129]
	v_fma_f64 v[126:127], -v[126:127], v[130:131], v[144:145]
	s_delay_alu instid0(VALU_DEP_1) | instskip(NEXT) | instid1(VALU_DEP_1)
	v_div_fmas_f64 v[126:127], v[126:127], v[128:129], v[130:131]
	v_div_fixup_f64 v[126:127], v[126:127], v[140:141], v[142:143]
	s_delay_alu instid0(VALU_DEP_1) | instskip(NEXT) | instid1(VALU_DEP_1)
	v_fma_f64 v[128:129], v[142:143], v[126:127], v[140:141]
	v_div_scale_f64 v[130:131], null, v[128:129], v[128:129], 1.0
	s_delay_alu instid0(VALU_DEP_1) | instskip(SKIP_2) | instid1(VALU_DEP_1)
	v_rcp_f64_e32 v[140:141], v[130:131]
	s_waitcnt_depctr 0xfff
	v_fma_f64 v[142:143], -v[130:131], v[140:141], 1.0
	v_fma_f64 v[140:141], v[140:141], v[142:143], v[140:141]
	s_delay_alu instid0(VALU_DEP_1) | instskip(NEXT) | instid1(VALU_DEP_1)
	v_fma_f64 v[142:143], -v[130:131], v[140:141], 1.0
	v_fma_f64 v[140:141], v[140:141], v[142:143], v[140:141]
	v_div_scale_f64 v[142:143], vcc_lo, 1.0, v[128:129], 1.0
	s_delay_alu instid0(VALU_DEP_1) | instskip(NEXT) | instid1(VALU_DEP_1)
	v_mul_f64 v[144:145], v[142:143], v[140:141]
	v_fma_f64 v[130:131], -v[130:131], v[144:145], v[142:143]
	s_delay_alu instid0(VALU_DEP_1) | instskip(NEXT) | instid1(VALU_DEP_1)
	v_div_fmas_f64 v[130:131], v[130:131], v[140:141], v[144:145]
	v_div_fixup_f64 v[128:129], v[130:131], v[128:129], 1.0
	s_delay_alu instid0(VALU_DEP_1)
	v_mul_f64 v[146:147], v[126:127], -v[128:129]
.LBB63_34:
	s_or_b32 exec_lo, exec_lo, s3
	ds_store_2addr_b64 v124, v[128:129], v[146:147] offset1:1
.LBB63_35:
	s_or_b32 exec_lo, exec_lo, s4
	s_waitcnt lgkmcnt(0)
	s_barrier
	buffer_gl0_inv
	ds_load_2addr_b64 v[140:143], v124 offset1:1
	s_mov_b32 s3, exec_lo
	v_cmpx_lt_u32_e32 3, v252
	s_cbranch_execz .LBB63_37
; %bb.36:
	s_waitcnt lgkmcnt(0)
	v_mul_f64 v[126:127], v[142:143], v[114:115]
	v_mul_f64 v[114:115], v[140:141], v[114:115]
	s_delay_alu instid0(VALU_DEP_2) | instskip(NEXT) | instid1(VALU_DEP_2)
	v_fma_f64 v[144:145], v[140:141], v[112:113], -v[126:127]
	v_fma_f64 v[114:115], v[142:143], v[112:113], v[114:115]
	ds_load_2addr_b64 v[126:129], v125 offset0:8 offset1:9
	s_waitcnt lgkmcnt(0)
	v_mul_f64 v[112:113], v[128:129], v[114:115]
	s_delay_alu instid0(VALU_DEP_1) | instskip(SKIP_1) | instid1(VALU_DEP_2)
	v_fma_f64 v[112:113], v[126:127], v[144:145], -v[112:113]
	v_mul_f64 v[126:127], v[126:127], v[114:115]
	v_add_f64 v[108:109], v[108:109], -v[112:113]
	s_delay_alu instid0(VALU_DEP_2) | instskip(NEXT) | instid1(VALU_DEP_1)
	v_fma_f64 v[126:127], v[128:129], v[144:145], v[126:127]
	v_add_f64 v[110:111], v[110:111], -v[126:127]
	ds_load_2addr_b64 v[126:129], v125 offset0:10 offset1:11
	s_waitcnt lgkmcnt(0)
	v_mul_f64 v[112:113], v[128:129], v[114:115]
	s_delay_alu instid0(VALU_DEP_1) | instskip(SKIP_1) | instid1(VALU_DEP_2)
	v_fma_f64 v[112:113], v[126:127], v[144:145], -v[112:113]
	v_mul_f64 v[126:127], v[126:127], v[114:115]
	v_add_f64 v[104:105], v[104:105], -v[112:113]
	s_delay_alu instid0(VALU_DEP_2) | instskip(NEXT) | instid1(VALU_DEP_1)
	v_fma_f64 v[126:127], v[128:129], v[144:145], v[126:127]
	v_add_f64 v[106:107], v[106:107], -v[126:127]
	;; [unrolled: 10-line block ×27, first 2 shown]
	ds_load_2addr_b64 v[126:129], v125 offset0:62 offset1:63
	s_waitcnt lgkmcnt(0)
	v_mul_f64 v[112:113], v[128:129], v[114:115]
	s_delay_alu instid0(VALU_DEP_1) | instskip(SKIP_1) | instid1(VALU_DEP_2)
	v_fma_f64 v[112:113], v[126:127], v[144:145], -v[112:113]
	v_mul_f64 v[126:127], v[126:127], v[114:115]
	v_add_f64 v[0:1], v[0:1], -v[112:113]
	s_delay_alu instid0(VALU_DEP_2) | instskip(SKIP_1) | instid1(VALU_DEP_2)
	v_fma_f64 v[126:127], v[128:129], v[144:145], v[126:127]
	v_dual_mov_b32 v112, v144 :: v_dual_mov_b32 v113, v145
	v_add_f64 v[2:3], v[2:3], -v[126:127]
.LBB63_37:
	s_or_b32 exec_lo, exec_lo, s3
	s_delay_alu instid0(SALU_CYCLE_1)
	s_mov_b32 s4, exec_lo
	s_waitcnt lgkmcnt(0)
	s_barrier
	buffer_gl0_inv
	v_cmpx_eq_u32_e32 4, v252
	s_cbranch_execz .LBB63_44
; %bb.38:
	ds_store_2addr_b64 v124, v[108:109], v[110:111] offset1:1
	ds_store_2addr_b64 v125, v[104:105], v[106:107] offset0:10 offset1:11
	ds_store_2addr_b64 v125, v[100:101], v[102:103] offset0:12 offset1:13
	;; [unrolled: 1-line block ×27, first 2 shown]
	ds_load_2addr_b64 v[144:147], v124 offset1:1
	s_waitcnt lgkmcnt(0)
	v_cmp_neq_f64_e32 vcc_lo, 0, v[144:145]
	v_cmp_neq_f64_e64 s3, 0, v[146:147]
	s_delay_alu instid0(VALU_DEP_1) | instskip(NEXT) | instid1(SALU_CYCLE_1)
	s_or_b32 s3, vcc_lo, s3
	s_and_b32 exec_lo, exec_lo, s3
	s_cbranch_execz .LBB63_44
; %bb.39:
	v_cmp_gt_f64_e32 vcc_lo, 0, v[144:145]
	v_cmp_gt_f64_e64 s3, 0, v[146:147]
	v_xor_b32_e32 v126, 0x80000000, v145
	v_xor_b32_e32 v128, 0x80000000, v147
	s_delay_alu instid0(VALU_DEP_2) | instskip(NEXT) | instid1(VALU_DEP_2)
	v_dual_cndmask_b32 v127, v145, v126 :: v_dual_cndmask_b32 v126, v144, v144
	v_cndmask_b32_e64 v129, v147, v128, s3
	v_cndmask_b32_e64 v128, v146, v146, s3
	s_delay_alu instid0(VALU_DEP_1) | instskip(SKIP_1) | instid1(SALU_CYCLE_1)
	v_cmp_ngt_f64_e32 vcc_lo, v[126:127], v[128:129]
                                        ; implicit-def: $vgpr128_vgpr129
	s_and_saveexec_b32 s3, vcc_lo
	s_xor_b32 s3, exec_lo, s3
                                        ; implicit-def: $vgpr148_vgpr149_vgpr150_vgpr151
	s_cbranch_execz .LBB63_41
; %bb.40:
	v_div_scale_f64 v[126:127], null, v[146:147], v[146:147], v[144:145]
	v_div_scale_f64 v[148:149], vcc_lo, v[144:145], v[146:147], v[144:145]
	s_delay_alu instid0(VALU_DEP_2) | instskip(SKIP_2) | instid1(VALU_DEP_1)
	v_rcp_f64_e32 v[128:129], v[126:127]
	s_waitcnt_depctr 0xfff
	v_fma_f64 v[130:131], -v[126:127], v[128:129], 1.0
	v_fma_f64 v[128:129], v[128:129], v[130:131], v[128:129]
	s_delay_alu instid0(VALU_DEP_1) | instskip(NEXT) | instid1(VALU_DEP_1)
	v_fma_f64 v[130:131], -v[126:127], v[128:129], 1.0
	v_fma_f64 v[128:129], v[128:129], v[130:131], v[128:129]
	s_delay_alu instid0(VALU_DEP_1) | instskip(NEXT) | instid1(VALU_DEP_1)
	v_mul_f64 v[130:131], v[148:149], v[128:129]
	v_fma_f64 v[126:127], -v[126:127], v[130:131], v[148:149]
	s_delay_alu instid0(VALU_DEP_1) | instskip(NEXT) | instid1(VALU_DEP_1)
	v_div_fmas_f64 v[126:127], v[126:127], v[128:129], v[130:131]
	v_div_fixup_f64 v[126:127], v[126:127], v[146:147], v[144:145]
	s_delay_alu instid0(VALU_DEP_1) | instskip(NEXT) | instid1(VALU_DEP_1)
	v_fma_f64 v[128:129], v[144:145], v[126:127], v[146:147]
	v_div_scale_f64 v[130:131], null, v[128:129], v[128:129], 1.0
	s_delay_alu instid0(VALU_DEP_1) | instskip(SKIP_2) | instid1(VALU_DEP_1)
	v_rcp_f64_e32 v[144:145], v[130:131]
	s_waitcnt_depctr 0xfff
	v_fma_f64 v[146:147], -v[130:131], v[144:145], 1.0
	v_fma_f64 v[144:145], v[144:145], v[146:147], v[144:145]
	s_delay_alu instid0(VALU_DEP_1) | instskip(NEXT) | instid1(VALU_DEP_1)
	v_fma_f64 v[146:147], -v[130:131], v[144:145], 1.0
	v_fma_f64 v[144:145], v[144:145], v[146:147], v[144:145]
	v_div_scale_f64 v[146:147], vcc_lo, 1.0, v[128:129], 1.0
	s_delay_alu instid0(VALU_DEP_1) | instskip(NEXT) | instid1(VALU_DEP_1)
	v_mul_f64 v[148:149], v[146:147], v[144:145]
	v_fma_f64 v[130:131], -v[130:131], v[148:149], v[146:147]
	s_delay_alu instid0(VALU_DEP_1) | instskip(NEXT) | instid1(VALU_DEP_1)
	v_div_fmas_f64 v[130:131], v[130:131], v[144:145], v[148:149]
                                        ; implicit-def: $vgpr144_vgpr145
	v_div_fixup_f64 v[150:151], v[130:131], v[128:129], 1.0
	s_delay_alu instid0(VALU_DEP_1)
	v_mul_f64 v[128:129], v[126:127], v[150:151]
	v_xor_b32_e32 v151, 0x80000000, v151
.LBB63_41:
	s_and_not1_saveexec_b32 s3, s3
	s_cbranch_execz .LBB63_43
; %bb.42:
	v_div_scale_f64 v[126:127], null, v[144:145], v[144:145], v[146:147]
	v_div_scale_f64 v[148:149], vcc_lo, v[146:147], v[144:145], v[146:147]
	s_delay_alu instid0(VALU_DEP_2) | instskip(SKIP_2) | instid1(VALU_DEP_1)
	v_rcp_f64_e32 v[128:129], v[126:127]
	s_waitcnt_depctr 0xfff
	v_fma_f64 v[130:131], -v[126:127], v[128:129], 1.0
	v_fma_f64 v[128:129], v[128:129], v[130:131], v[128:129]
	s_delay_alu instid0(VALU_DEP_1) | instskip(NEXT) | instid1(VALU_DEP_1)
	v_fma_f64 v[130:131], -v[126:127], v[128:129], 1.0
	v_fma_f64 v[128:129], v[128:129], v[130:131], v[128:129]
	s_delay_alu instid0(VALU_DEP_1) | instskip(NEXT) | instid1(VALU_DEP_1)
	v_mul_f64 v[130:131], v[148:149], v[128:129]
	v_fma_f64 v[126:127], -v[126:127], v[130:131], v[148:149]
	s_delay_alu instid0(VALU_DEP_1) | instskip(NEXT) | instid1(VALU_DEP_1)
	v_div_fmas_f64 v[126:127], v[126:127], v[128:129], v[130:131]
	v_div_fixup_f64 v[126:127], v[126:127], v[144:145], v[146:147]
	s_delay_alu instid0(VALU_DEP_1) | instskip(NEXT) | instid1(VALU_DEP_1)
	v_fma_f64 v[128:129], v[146:147], v[126:127], v[144:145]
	v_div_scale_f64 v[130:131], null, v[128:129], v[128:129], 1.0
	s_delay_alu instid0(VALU_DEP_1) | instskip(SKIP_2) | instid1(VALU_DEP_1)
	v_rcp_f64_e32 v[144:145], v[130:131]
	s_waitcnt_depctr 0xfff
	v_fma_f64 v[146:147], -v[130:131], v[144:145], 1.0
	v_fma_f64 v[144:145], v[144:145], v[146:147], v[144:145]
	s_delay_alu instid0(VALU_DEP_1) | instskip(NEXT) | instid1(VALU_DEP_1)
	v_fma_f64 v[146:147], -v[130:131], v[144:145], 1.0
	v_fma_f64 v[144:145], v[144:145], v[146:147], v[144:145]
	v_div_scale_f64 v[146:147], vcc_lo, 1.0, v[128:129], 1.0
	s_delay_alu instid0(VALU_DEP_1) | instskip(NEXT) | instid1(VALU_DEP_1)
	v_mul_f64 v[148:149], v[146:147], v[144:145]
	v_fma_f64 v[130:131], -v[130:131], v[148:149], v[146:147]
	s_delay_alu instid0(VALU_DEP_1) | instskip(NEXT) | instid1(VALU_DEP_1)
	v_div_fmas_f64 v[130:131], v[130:131], v[144:145], v[148:149]
	v_div_fixup_f64 v[128:129], v[130:131], v[128:129], 1.0
	s_delay_alu instid0(VALU_DEP_1)
	v_mul_f64 v[150:151], v[126:127], -v[128:129]
.LBB63_43:
	s_or_b32 exec_lo, exec_lo, s3
	ds_store_2addr_b64 v124, v[128:129], v[150:151] offset1:1
.LBB63_44:
	s_or_b32 exec_lo, exec_lo, s4
	s_waitcnt lgkmcnt(0)
	s_barrier
	buffer_gl0_inv
	ds_load_2addr_b64 v[144:147], v124 offset1:1
	s_mov_b32 s3, exec_lo
	v_cmpx_lt_u32_e32 4, v252
	s_cbranch_execz .LBB63_46
; %bb.45:
	s_waitcnt lgkmcnt(0)
	v_mul_f64 v[126:127], v[146:147], v[110:111]
	v_mul_f64 v[110:111], v[144:145], v[110:111]
	s_delay_alu instid0(VALU_DEP_2) | instskip(NEXT) | instid1(VALU_DEP_2)
	v_fma_f64 v[148:149], v[144:145], v[108:109], -v[126:127]
	v_fma_f64 v[110:111], v[146:147], v[108:109], v[110:111]
	ds_load_2addr_b64 v[126:129], v125 offset0:10 offset1:11
	s_waitcnt lgkmcnt(0)
	v_mul_f64 v[108:109], v[128:129], v[110:111]
	s_delay_alu instid0(VALU_DEP_1) | instskip(SKIP_1) | instid1(VALU_DEP_2)
	v_fma_f64 v[108:109], v[126:127], v[148:149], -v[108:109]
	v_mul_f64 v[126:127], v[126:127], v[110:111]
	v_add_f64 v[104:105], v[104:105], -v[108:109]
	s_delay_alu instid0(VALU_DEP_2) | instskip(NEXT) | instid1(VALU_DEP_1)
	v_fma_f64 v[126:127], v[128:129], v[148:149], v[126:127]
	v_add_f64 v[106:107], v[106:107], -v[126:127]
	ds_load_2addr_b64 v[126:129], v125 offset0:12 offset1:13
	s_waitcnt lgkmcnt(0)
	v_mul_f64 v[108:109], v[128:129], v[110:111]
	s_delay_alu instid0(VALU_DEP_1) | instskip(SKIP_1) | instid1(VALU_DEP_2)
	v_fma_f64 v[108:109], v[126:127], v[148:149], -v[108:109]
	v_mul_f64 v[126:127], v[126:127], v[110:111]
	v_add_f64 v[100:101], v[100:101], -v[108:109]
	s_delay_alu instid0(VALU_DEP_2) | instskip(NEXT) | instid1(VALU_DEP_1)
	v_fma_f64 v[126:127], v[128:129], v[148:149], v[126:127]
	v_add_f64 v[102:103], v[102:103], -v[126:127]
	;; [unrolled: 10-line block ×26, first 2 shown]
	ds_load_2addr_b64 v[126:129], v125 offset0:62 offset1:63
	s_waitcnt lgkmcnt(0)
	v_mul_f64 v[108:109], v[128:129], v[110:111]
	s_delay_alu instid0(VALU_DEP_1) | instskip(SKIP_1) | instid1(VALU_DEP_2)
	v_fma_f64 v[108:109], v[126:127], v[148:149], -v[108:109]
	v_mul_f64 v[126:127], v[126:127], v[110:111]
	v_add_f64 v[0:1], v[0:1], -v[108:109]
	s_delay_alu instid0(VALU_DEP_2) | instskip(SKIP_1) | instid1(VALU_DEP_2)
	v_fma_f64 v[126:127], v[128:129], v[148:149], v[126:127]
	v_dual_mov_b32 v108, v148 :: v_dual_mov_b32 v109, v149
	v_add_f64 v[2:3], v[2:3], -v[126:127]
.LBB63_46:
	s_or_b32 exec_lo, exec_lo, s3
	s_delay_alu instid0(SALU_CYCLE_1)
	s_mov_b32 s4, exec_lo
	s_waitcnt lgkmcnt(0)
	s_barrier
	buffer_gl0_inv
	v_cmpx_eq_u32_e32 5, v252
	s_cbranch_execz .LBB63_53
; %bb.47:
	ds_store_2addr_b64 v124, v[104:105], v[106:107] offset1:1
	ds_store_2addr_b64 v125, v[100:101], v[102:103] offset0:12 offset1:13
	ds_store_2addr_b64 v125, v[96:97], v[98:99] offset0:14 offset1:15
	;; [unrolled: 1-line block ×26, first 2 shown]
	ds_load_2addr_b64 v[148:151], v124 offset1:1
	s_waitcnt lgkmcnt(0)
	v_cmp_neq_f64_e32 vcc_lo, 0, v[148:149]
	v_cmp_neq_f64_e64 s3, 0, v[150:151]
	s_delay_alu instid0(VALU_DEP_1) | instskip(NEXT) | instid1(SALU_CYCLE_1)
	s_or_b32 s3, vcc_lo, s3
	s_and_b32 exec_lo, exec_lo, s3
	s_cbranch_execz .LBB63_53
; %bb.48:
	v_cmp_gt_f64_e32 vcc_lo, 0, v[148:149]
	v_cmp_gt_f64_e64 s3, 0, v[150:151]
	v_xor_b32_e32 v126, 0x80000000, v149
	v_xor_b32_e32 v128, 0x80000000, v151
	s_delay_alu instid0(VALU_DEP_2) | instskip(NEXT) | instid1(VALU_DEP_2)
	v_dual_cndmask_b32 v127, v149, v126 :: v_dual_cndmask_b32 v126, v148, v148
	v_cndmask_b32_e64 v129, v151, v128, s3
	v_cndmask_b32_e64 v128, v150, v150, s3
	s_delay_alu instid0(VALU_DEP_1) | instskip(SKIP_1) | instid1(SALU_CYCLE_1)
	v_cmp_ngt_f64_e32 vcc_lo, v[126:127], v[128:129]
                                        ; implicit-def: $vgpr128_vgpr129
	s_and_saveexec_b32 s3, vcc_lo
	s_xor_b32 s3, exec_lo, s3
                                        ; implicit-def: $vgpr152_vgpr153_vgpr154_vgpr155
	s_cbranch_execz .LBB63_50
; %bb.49:
	v_div_scale_f64 v[126:127], null, v[150:151], v[150:151], v[148:149]
	v_div_scale_f64 v[152:153], vcc_lo, v[148:149], v[150:151], v[148:149]
	s_delay_alu instid0(VALU_DEP_2) | instskip(SKIP_2) | instid1(VALU_DEP_1)
	v_rcp_f64_e32 v[128:129], v[126:127]
	s_waitcnt_depctr 0xfff
	v_fma_f64 v[130:131], -v[126:127], v[128:129], 1.0
	v_fma_f64 v[128:129], v[128:129], v[130:131], v[128:129]
	s_delay_alu instid0(VALU_DEP_1) | instskip(NEXT) | instid1(VALU_DEP_1)
	v_fma_f64 v[130:131], -v[126:127], v[128:129], 1.0
	v_fma_f64 v[128:129], v[128:129], v[130:131], v[128:129]
	s_delay_alu instid0(VALU_DEP_1) | instskip(NEXT) | instid1(VALU_DEP_1)
	v_mul_f64 v[130:131], v[152:153], v[128:129]
	v_fma_f64 v[126:127], -v[126:127], v[130:131], v[152:153]
	s_delay_alu instid0(VALU_DEP_1) | instskip(NEXT) | instid1(VALU_DEP_1)
	v_div_fmas_f64 v[126:127], v[126:127], v[128:129], v[130:131]
	v_div_fixup_f64 v[126:127], v[126:127], v[150:151], v[148:149]
	s_delay_alu instid0(VALU_DEP_1) | instskip(NEXT) | instid1(VALU_DEP_1)
	v_fma_f64 v[128:129], v[148:149], v[126:127], v[150:151]
	v_div_scale_f64 v[130:131], null, v[128:129], v[128:129], 1.0
	s_delay_alu instid0(VALU_DEP_1) | instskip(SKIP_2) | instid1(VALU_DEP_1)
	v_rcp_f64_e32 v[148:149], v[130:131]
	s_waitcnt_depctr 0xfff
	v_fma_f64 v[150:151], -v[130:131], v[148:149], 1.0
	v_fma_f64 v[148:149], v[148:149], v[150:151], v[148:149]
	s_delay_alu instid0(VALU_DEP_1) | instskip(NEXT) | instid1(VALU_DEP_1)
	v_fma_f64 v[150:151], -v[130:131], v[148:149], 1.0
	v_fma_f64 v[148:149], v[148:149], v[150:151], v[148:149]
	v_div_scale_f64 v[150:151], vcc_lo, 1.0, v[128:129], 1.0
	s_delay_alu instid0(VALU_DEP_1) | instskip(NEXT) | instid1(VALU_DEP_1)
	v_mul_f64 v[152:153], v[150:151], v[148:149]
	v_fma_f64 v[130:131], -v[130:131], v[152:153], v[150:151]
	s_delay_alu instid0(VALU_DEP_1) | instskip(NEXT) | instid1(VALU_DEP_1)
	v_div_fmas_f64 v[130:131], v[130:131], v[148:149], v[152:153]
                                        ; implicit-def: $vgpr148_vgpr149
	v_div_fixup_f64 v[154:155], v[130:131], v[128:129], 1.0
	s_delay_alu instid0(VALU_DEP_1)
	v_mul_f64 v[128:129], v[126:127], v[154:155]
	v_xor_b32_e32 v155, 0x80000000, v155
.LBB63_50:
	s_and_not1_saveexec_b32 s3, s3
	s_cbranch_execz .LBB63_52
; %bb.51:
	v_div_scale_f64 v[126:127], null, v[148:149], v[148:149], v[150:151]
	v_div_scale_f64 v[152:153], vcc_lo, v[150:151], v[148:149], v[150:151]
	s_delay_alu instid0(VALU_DEP_2) | instskip(SKIP_2) | instid1(VALU_DEP_1)
	v_rcp_f64_e32 v[128:129], v[126:127]
	s_waitcnt_depctr 0xfff
	v_fma_f64 v[130:131], -v[126:127], v[128:129], 1.0
	v_fma_f64 v[128:129], v[128:129], v[130:131], v[128:129]
	s_delay_alu instid0(VALU_DEP_1) | instskip(NEXT) | instid1(VALU_DEP_1)
	v_fma_f64 v[130:131], -v[126:127], v[128:129], 1.0
	v_fma_f64 v[128:129], v[128:129], v[130:131], v[128:129]
	s_delay_alu instid0(VALU_DEP_1) | instskip(NEXT) | instid1(VALU_DEP_1)
	v_mul_f64 v[130:131], v[152:153], v[128:129]
	v_fma_f64 v[126:127], -v[126:127], v[130:131], v[152:153]
	s_delay_alu instid0(VALU_DEP_1) | instskip(NEXT) | instid1(VALU_DEP_1)
	v_div_fmas_f64 v[126:127], v[126:127], v[128:129], v[130:131]
	v_div_fixup_f64 v[126:127], v[126:127], v[148:149], v[150:151]
	s_delay_alu instid0(VALU_DEP_1) | instskip(NEXT) | instid1(VALU_DEP_1)
	v_fma_f64 v[128:129], v[150:151], v[126:127], v[148:149]
	v_div_scale_f64 v[130:131], null, v[128:129], v[128:129], 1.0
	s_delay_alu instid0(VALU_DEP_1) | instskip(SKIP_2) | instid1(VALU_DEP_1)
	v_rcp_f64_e32 v[148:149], v[130:131]
	s_waitcnt_depctr 0xfff
	v_fma_f64 v[150:151], -v[130:131], v[148:149], 1.0
	v_fma_f64 v[148:149], v[148:149], v[150:151], v[148:149]
	s_delay_alu instid0(VALU_DEP_1) | instskip(NEXT) | instid1(VALU_DEP_1)
	v_fma_f64 v[150:151], -v[130:131], v[148:149], 1.0
	v_fma_f64 v[148:149], v[148:149], v[150:151], v[148:149]
	v_div_scale_f64 v[150:151], vcc_lo, 1.0, v[128:129], 1.0
	s_delay_alu instid0(VALU_DEP_1) | instskip(NEXT) | instid1(VALU_DEP_1)
	v_mul_f64 v[152:153], v[150:151], v[148:149]
	v_fma_f64 v[130:131], -v[130:131], v[152:153], v[150:151]
	s_delay_alu instid0(VALU_DEP_1) | instskip(NEXT) | instid1(VALU_DEP_1)
	v_div_fmas_f64 v[130:131], v[130:131], v[148:149], v[152:153]
	v_div_fixup_f64 v[128:129], v[130:131], v[128:129], 1.0
	s_delay_alu instid0(VALU_DEP_1)
	v_mul_f64 v[154:155], v[126:127], -v[128:129]
.LBB63_52:
	s_or_b32 exec_lo, exec_lo, s3
	ds_store_2addr_b64 v124, v[128:129], v[154:155] offset1:1
.LBB63_53:
	s_or_b32 exec_lo, exec_lo, s4
	s_waitcnt lgkmcnt(0)
	s_barrier
	buffer_gl0_inv
	ds_load_2addr_b64 v[148:151], v124 offset1:1
	s_mov_b32 s3, exec_lo
	v_cmpx_lt_u32_e32 5, v252
	s_cbranch_execz .LBB63_55
; %bb.54:
	s_waitcnt lgkmcnt(0)
	v_mul_f64 v[126:127], v[150:151], v[106:107]
	v_mul_f64 v[106:107], v[148:149], v[106:107]
	s_delay_alu instid0(VALU_DEP_2) | instskip(NEXT) | instid1(VALU_DEP_2)
	v_fma_f64 v[152:153], v[148:149], v[104:105], -v[126:127]
	v_fma_f64 v[106:107], v[150:151], v[104:105], v[106:107]
	ds_load_2addr_b64 v[126:129], v125 offset0:12 offset1:13
	s_waitcnt lgkmcnt(0)
	v_mul_f64 v[104:105], v[128:129], v[106:107]
	s_delay_alu instid0(VALU_DEP_1) | instskip(SKIP_1) | instid1(VALU_DEP_2)
	v_fma_f64 v[104:105], v[126:127], v[152:153], -v[104:105]
	v_mul_f64 v[126:127], v[126:127], v[106:107]
	v_add_f64 v[100:101], v[100:101], -v[104:105]
	s_delay_alu instid0(VALU_DEP_2) | instskip(NEXT) | instid1(VALU_DEP_1)
	v_fma_f64 v[126:127], v[128:129], v[152:153], v[126:127]
	v_add_f64 v[102:103], v[102:103], -v[126:127]
	ds_load_2addr_b64 v[126:129], v125 offset0:14 offset1:15
	s_waitcnt lgkmcnt(0)
	v_mul_f64 v[104:105], v[128:129], v[106:107]
	s_delay_alu instid0(VALU_DEP_1) | instskip(SKIP_1) | instid1(VALU_DEP_2)
	v_fma_f64 v[104:105], v[126:127], v[152:153], -v[104:105]
	v_mul_f64 v[126:127], v[126:127], v[106:107]
	v_add_f64 v[96:97], v[96:97], -v[104:105]
	s_delay_alu instid0(VALU_DEP_2) | instskip(NEXT) | instid1(VALU_DEP_1)
	v_fma_f64 v[126:127], v[128:129], v[152:153], v[126:127]
	v_add_f64 v[98:99], v[98:99], -v[126:127]
	;; [unrolled: 10-line block ×25, first 2 shown]
	ds_load_2addr_b64 v[126:129], v125 offset0:62 offset1:63
	s_waitcnt lgkmcnt(0)
	v_mul_f64 v[104:105], v[128:129], v[106:107]
	s_delay_alu instid0(VALU_DEP_1) | instskip(SKIP_1) | instid1(VALU_DEP_2)
	v_fma_f64 v[104:105], v[126:127], v[152:153], -v[104:105]
	v_mul_f64 v[126:127], v[126:127], v[106:107]
	v_add_f64 v[0:1], v[0:1], -v[104:105]
	s_delay_alu instid0(VALU_DEP_2) | instskip(SKIP_1) | instid1(VALU_DEP_2)
	v_fma_f64 v[126:127], v[128:129], v[152:153], v[126:127]
	v_dual_mov_b32 v104, v152 :: v_dual_mov_b32 v105, v153
	v_add_f64 v[2:3], v[2:3], -v[126:127]
.LBB63_55:
	s_or_b32 exec_lo, exec_lo, s3
	s_delay_alu instid0(SALU_CYCLE_1)
	s_mov_b32 s4, exec_lo
	s_waitcnt lgkmcnt(0)
	s_barrier
	buffer_gl0_inv
	v_cmpx_eq_u32_e32 6, v252
	s_cbranch_execz .LBB63_62
; %bb.56:
	ds_store_2addr_b64 v124, v[100:101], v[102:103] offset1:1
	ds_store_2addr_b64 v125, v[96:97], v[98:99] offset0:14 offset1:15
	ds_store_2addr_b64 v125, v[92:93], v[94:95] offset0:16 offset1:17
	;; [unrolled: 1-line block ×25, first 2 shown]
	ds_load_2addr_b64 v[152:155], v124 offset1:1
	s_waitcnt lgkmcnt(0)
	v_cmp_neq_f64_e32 vcc_lo, 0, v[152:153]
	v_cmp_neq_f64_e64 s3, 0, v[154:155]
	s_delay_alu instid0(VALU_DEP_1) | instskip(NEXT) | instid1(SALU_CYCLE_1)
	s_or_b32 s3, vcc_lo, s3
	s_and_b32 exec_lo, exec_lo, s3
	s_cbranch_execz .LBB63_62
; %bb.57:
	v_cmp_gt_f64_e32 vcc_lo, 0, v[152:153]
	v_cmp_gt_f64_e64 s3, 0, v[154:155]
	v_xor_b32_e32 v126, 0x80000000, v153
	v_xor_b32_e32 v128, 0x80000000, v155
	s_delay_alu instid0(VALU_DEP_2) | instskip(NEXT) | instid1(VALU_DEP_2)
	v_dual_cndmask_b32 v127, v153, v126 :: v_dual_cndmask_b32 v126, v152, v152
	v_cndmask_b32_e64 v129, v155, v128, s3
	v_cndmask_b32_e64 v128, v154, v154, s3
	s_delay_alu instid0(VALU_DEP_1) | instskip(SKIP_1) | instid1(SALU_CYCLE_1)
	v_cmp_ngt_f64_e32 vcc_lo, v[126:127], v[128:129]
                                        ; implicit-def: $vgpr128_vgpr129
	s_and_saveexec_b32 s3, vcc_lo
	s_xor_b32 s3, exec_lo, s3
                                        ; implicit-def: $vgpr156_vgpr157_vgpr158_vgpr159
	s_cbranch_execz .LBB63_59
; %bb.58:
	v_div_scale_f64 v[126:127], null, v[154:155], v[154:155], v[152:153]
	v_div_scale_f64 v[156:157], vcc_lo, v[152:153], v[154:155], v[152:153]
	s_delay_alu instid0(VALU_DEP_2) | instskip(SKIP_2) | instid1(VALU_DEP_1)
	v_rcp_f64_e32 v[128:129], v[126:127]
	s_waitcnt_depctr 0xfff
	v_fma_f64 v[130:131], -v[126:127], v[128:129], 1.0
	v_fma_f64 v[128:129], v[128:129], v[130:131], v[128:129]
	s_delay_alu instid0(VALU_DEP_1) | instskip(NEXT) | instid1(VALU_DEP_1)
	v_fma_f64 v[130:131], -v[126:127], v[128:129], 1.0
	v_fma_f64 v[128:129], v[128:129], v[130:131], v[128:129]
	s_delay_alu instid0(VALU_DEP_1) | instskip(NEXT) | instid1(VALU_DEP_1)
	v_mul_f64 v[130:131], v[156:157], v[128:129]
	v_fma_f64 v[126:127], -v[126:127], v[130:131], v[156:157]
	s_delay_alu instid0(VALU_DEP_1) | instskip(NEXT) | instid1(VALU_DEP_1)
	v_div_fmas_f64 v[126:127], v[126:127], v[128:129], v[130:131]
	v_div_fixup_f64 v[126:127], v[126:127], v[154:155], v[152:153]
	s_delay_alu instid0(VALU_DEP_1) | instskip(NEXT) | instid1(VALU_DEP_1)
	v_fma_f64 v[128:129], v[152:153], v[126:127], v[154:155]
	v_div_scale_f64 v[130:131], null, v[128:129], v[128:129], 1.0
	s_delay_alu instid0(VALU_DEP_1) | instskip(SKIP_2) | instid1(VALU_DEP_1)
	v_rcp_f64_e32 v[152:153], v[130:131]
	s_waitcnt_depctr 0xfff
	v_fma_f64 v[154:155], -v[130:131], v[152:153], 1.0
	v_fma_f64 v[152:153], v[152:153], v[154:155], v[152:153]
	s_delay_alu instid0(VALU_DEP_1) | instskip(NEXT) | instid1(VALU_DEP_1)
	v_fma_f64 v[154:155], -v[130:131], v[152:153], 1.0
	v_fma_f64 v[152:153], v[152:153], v[154:155], v[152:153]
	v_div_scale_f64 v[154:155], vcc_lo, 1.0, v[128:129], 1.0
	s_delay_alu instid0(VALU_DEP_1) | instskip(NEXT) | instid1(VALU_DEP_1)
	v_mul_f64 v[156:157], v[154:155], v[152:153]
	v_fma_f64 v[130:131], -v[130:131], v[156:157], v[154:155]
	s_delay_alu instid0(VALU_DEP_1) | instskip(NEXT) | instid1(VALU_DEP_1)
	v_div_fmas_f64 v[130:131], v[130:131], v[152:153], v[156:157]
                                        ; implicit-def: $vgpr152_vgpr153
	v_div_fixup_f64 v[158:159], v[130:131], v[128:129], 1.0
	s_delay_alu instid0(VALU_DEP_1)
	v_mul_f64 v[128:129], v[126:127], v[158:159]
	v_xor_b32_e32 v159, 0x80000000, v159
.LBB63_59:
	s_and_not1_saveexec_b32 s3, s3
	s_cbranch_execz .LBB63_61
; %bb.60:
	v_div_scale_f64 v[126:127], null, v[152:153], v[152:153], v[154:155]
	v_div_scale_f64 v[156:157], vcc_lo, v[154:155], v[152:153], v[154:155]
	s_delay_alu instid0(VALU_DEP_2) | instskip(SKIP_2) | instid1(VALU_DEP_1)
	v_rcp_f64_e32 v[128:129], v[126:127]
	s_waitcnt_depctr 0xfff
	v_fma_f64 v[130:131], -v[126:127], v[128:129], 1.0
	v_fma_f64 v[128:129], v[128:129], v[130:131], v[128:129]
	s_delay_alu instid0(VALU_DEP_1) | instskip(NEXT) | instid1(VALU_DEP_1)
	v_fma_f64 v[130:131], -v[126:127], v[128:129], 1.0
	v_fma_f64 v[128:129], v[128:129], v[130:131], v[128:129]
	s_delay_alu instid0(VALU_DEP_1) | instskip(NEXT) | instid1(VALU_DEP_1)
	v_mul_f64 v[130:131], v[156:157], v[128:129]
	v_fma_f64 v[126:127], -v[126:127], v[130:131], v[156:157]
	s_delay_alu instid0(VALU_DEP_1) | instskip(NEXT) | instid1(VALU_DEP_1)
	v_div_fmas_f64 v[126:127], v[126:127], v[128:129], v[130:131]
	v_div_fixup_f64 v[126:127], v[126:127], v[152:153], v[154:155]
	s_delay_alu instid0(VALU_DEP_1) | instskip(NEXT) | instid1(VALU_DEP_1)
	v_fma_f64 v[128:129], v[154:155], v[126:127], v[152:153]
	v_div_scale_f64 v[130:131], null, v[128:129], v[128:129], 1.0
	s_delay_alu instid0(VALU_DEP_1) | instskip(SKIP_2) | instid1(VALU_DEP_1)
	v_rcp_f64_e32 v[152:153], v[130:131]
	s_waitcnt_depctr 0xfff
	v_fma_f64 v[154:155], -v[130:131], v[152:153], 1.0
	v_fma_f64 v[152:153], v[152:153], v[154:155], v[152:153]
	s_delay_alu instid0(VALU_DEP_1) | instskip(NEXT) | instid1(VALU_DEP_1)
	v_fma_f64 v[154:155], -v[130:131], v[152:153], 1.0
	v_fma_f64 v[152:153], v[152:153], v[154:155], v[152:153]
	v_div_scale_f64 v[154:155], vcc_lo, 1.0, v[128:129], 1.0
	s_delay_alu instid0(VALU_DEP_1) | instskip(NEXT) | instid1(VALU_DEP_1)
	v_mul_f64 v[156:157], v[154:155], v[152:153]
	v_fma_f64 v[130:131], -v[130:131], v[156:157], v[154:155]
	s_delay_alu instid0(VALU_DEP_1) | instskip(NEXT) | instid1(VALU_DEP_1)
	v_div_fmas_f64 v[130:131], v[130:131], v[152:153], v[156:157]
	v_div_fixup_f64 v[128:129], v[130:131], v[128:129], 1.0
	s_delay_alu instid0(VALU_DEP_1)
	v_mul_f64 v[158:159], v[126:127], -v[128:129]
.LBB63_61:
	s_or_b32 exec_lo, exec_lo, s3
	ds_store_2addr_b64 v124, v[128:129], v[158:159] offset1:1
.LBB63_62:
	s_or_b32 exec_lo, exec_lo, s4
	s_waitcnt lgkmcnt(0)
	s_barrier
	buffer_gl0_inv
	ds_load_2addr_b64 v[152:155], v124 offset1:1
	s_mov_b32 s3, exec_lo
	v_cmpx_lt_u32_e32 6, v252
	s_cbranch_execz .LBB63_64
; %bb.63:
	s_waitcnt lgkmcnt(0)
	v_mul_f64 v[126:127], v[154:155], v[102:103]
	v_mul_f64 v[102:103], v[152:153], v[102:103]
	s_delay_alu instid0(VALU_DEP_2) | instskip(NEXT) | instid1(VALU_DEP_2)
	v_fma_f64 v[156:157], v[152:153], v[100:101], -v[126:127]
	v_fma_f64 v[102:103], v[154:155], v[100:101], v[102:103]
	ds_load_2addr_b64 v[126:129], v125 offset0:14 offset1:15
	s_waitcnt lgkmcnt(0)
	v_mul_f64 v[100:101], v[128:129], v[102:103]
	s_delay_alu instid0(VALU_DEP_1) | instskip(SKIP_1) | instid1(VALU_DEP_2)
	v_fma_f64 v[100:101], v[126:127], v[156:157], -v[100:101]
	v_mul_f64 v[126:127], v[126:127], v[102:103]
	v_add_f64 v[96:97], v[96:97], -v[100:101]
	s_delay_alu instid0(VALU_DEP_2) | instskip(NEXT) | instid1(VALU_DEP_1)
	v_fma_f64 v[126:127], v[128:129], v[156:157], v[126:127]
	v_add_f64 v[98:99], v[98:99], -v[126:127]
	ds_load_2addr_b64 v[126:129], v125 offset0:16 offset1:17
	s_waitcnt lgkmcnt(0)
	v_mul_f64 v[100:101], v[128:129], v[102:103]
	s_delay_alu instid0(VALU_DEP_1) | instskip(SKIP_1) | instid1(VALU_DEP_2)
	v_fma_f64 v[100:101], v[126:127], v[156:157], -v[100:101]
	v_mul_f64 v[126:127], v[126:127], v[102:103]
	v_add_f64 v[92:93], v[92:93], -v[100:101]
	s_delay_alu instid0(VALU_DEP_2) | instskip(NEXT) | instid1(VALU_DEP_1)
	v_fma_f64 v[126:127], v[128:129], v[156:157], v[126:127]
	v_add_f64 v[94:95], v[94:95], -v[126:127]
	;; [unrolled: 10-line block ×24, first 2 shown]
	ds_load_2addr_b64 v[126:129], v125 offset0:62 offset1:63
	s_waitcnt lgkmcnt(0)
	v_mul_f64 v[100:101], v[128:129], v[102:103]
	s_delay_alu instid0(VALU_DEP_1) | instskip(SKIP_1) | instid1(VALU_DEP_2)
	v_fma_f64 v[100:101], v[126:127], v[156:157], -v[100:101]
	v_mul_f64 v[126:127], v[126:127], v[102:103]
	v_add_f64 v[0:1], v[0:1], -v[100:101]
	s_delay_alu instid0(VALU_DEP_2) | instskip(SKIP_1) | instid1(VALU_DEP_2)
	v_fma_f64 v[126:127], v[128:129], v[156:157], v[126:127]
	v_dual_mov_b32 v100, v156 :: v_dual_mov_b32 v101, v157
	v_add_f64 v[2:3], v[2:3], -v[126:127]
.LBB63_64:
	s_or_b32 exec_lo, exec_lo, s3
	s_delay_alu instid0(SALU_CYCLE_1)
	s_mov_b32 s4, exec_lo
	s_waitcnt lgkmcnt(0)
	s_barrier
	buffer_gl0_inv
	v_cmpx_eq_u32_e32 7, v252
	s_cbranch_execz .LBB63_71
; %bb.65:
	ds_store_2addr_b64 v124, v[96:97], v[98:99] offset1:1
	ds_store_2addr_b64 v125, v[92:93], v[94:95] offset0:16 offset1:17
	ds_store_2addr_b64 v125, v[88:89], v[90:91] offset0:18 offset1:19
	;; [unrolled: 1-line block ×24, first 2 shown]
	ds_load_2addr_b64 v[156:159], v124 offset1:1
	s_waitcnt lgkmcnt(0)
	v_cmp_neq_f64_e32 vcc_lo, 0, v[156:157]
	v_cmp_neq_f64_e64 s3, 0, v[158:159]
	s_delay_alu instid0(VALU_DEP_1) | instskip(NEXT) | instid1(SALU_CYCLE_1)
	s_or_b32 s3, vcc_lo, s3
	s_and_b32 exec_lo, exec_lo, s3
	s_cbranch_execz .LBB63_71
; %bb.66:
	v_cmp_gt_f64_e32 vcc_lo, 0, v[156:157]
	v_cmp_gt_f64_e64 s3, 0, v[158:159]
	v_xor_b32_e32 v126, 0x80000000, v157
	v_xor_b32_e32 v128, 0x80000000, v159
	s_delay_alu instid0(VALU_DEP_2) | instskip(NEXT) | instid1(VALU_DEP_2)
	v_dual_cndmask_b32 v127, v157, v126 :: v_dual_cndmask_b32 v126, v156, v156
	v_cndmask_b32_e64 v129, v159, v128, s3
	v_cndmask_b32_e64 v128, v158, v158, s3
	s_delay_alu instid0(VALU_DEP_1) | instskip(SKIP_1) | instid1(SALU_CYCLE_1)
	v_cmp_ngt_f64_e32 vcc_lo, v[126:127], v[128:129]
                                        ; implicit-def: $vgpr128_vgpr129
	s_and_saveexec_b32 s3, vcc_lo
	s_xor_b32 s3, exec_lo, s3
                                        ; implicit-def: $vgpr160_vgpr161_vgpr162_vgpr163
	s_cbranch_execz .LBB63_68
; %bb.67:
	v_div_scale_f64 v[126:127], null, v[158:159], v[158:159], v[156:157]
	v_div_scale_f64 v[160:161], vcc_lo, v[156:157], v[158:159], v[156:157]
	s_delay_alu instid0(VALU_DEP_2) | instskip(SKIP_2) | instid1(VALU_DEP_1)
	v_rcp_f64_e32 v[128:129], v[126:127]
	s_waitcnt_depctr 0xfff
	v_fma_f64 v[130:131], -v[126:127], v[128:129], 1.0
	v_fma_f64 v[128:129], v[128:129], v[130:131], v[128:129]
	s_delay_alu instid0(VALU_DEP_1) | instskip(NEXT) | instid1(VALU_DEP_1)
	v_fma_f64 v[130:131], -v[126:127], v[128:129], 1.0
	v_fma_f64 v[128:129], v[128:129], v[130:131], v[128:129]
	s_delay_alu instid0(VALU_DEP_1) | instskip(NEXT) | instid1(VALU_DEP_1)
	v_mul_f64 v[130:131], v[160:161], v[128:129]
	v_fma_f64 v[126:127], -v[126:127], v[130:131], v[160:161]
	s_delay_alu instid0(VALU_DEP_1) | instskip(NEXT) | instid1(VALU_DEP_1)
	v_div_fmas_f64 v[126:127], v[126:127], v[128:129], v[130:131]
	v_div_fixup_f64 v[126:127], v[126:127], v[158:159], v[156:157]
	s_delay_alu instid0(VALU_DEP_1) | instskip(NEXT) | instid1(VALU_DEP_1)
	v_fma_f64 v[128:129], v[156:157], v[126:127], v[158:159]
	v_div_scale_f64 v[130:131], null, v[128:129], v[128:129], 1.0
	s_delay_alu instid0(VALU_DEP_1) | instskip(SKIP_2) | instid1(VALU_DEP_1)
	v_rcp_f64_e32 v[156:157], v[130:131]
	s_waitcnt_depctr 0xfff
	v_fma_f64 v[158:159], -v[130:131], v[156:157], 1.0
	v_fma_f64 v[156:157], v[156:157], v[158:159], v[156:157]
	s_delay_alu instid0(VALU_DEP_1) | instskip(NEXT) | instid1(VALU_DEP_1)
	v_fma_f64 v[158:159], -v[130:131], v[156:157], 1.0
	v_fma_f64 v[156:157], v[156:157], v[158:159], v[156:157]
	v_div_scale_f64 v[158:159], vcc_lo, 1.0, v[128:129], 1.0
	s_delay_alu instid0(VALU_DEP_1) | instskip(NEXT) | instid1(VALU_DEP_1)
	v_mul_f64 v[160:161], v[158:159], v[156:157]
	v_fma_f64 v[130:131], -v[130:131], v[160:161], v[158:159]
	s_delay_alu instid0(VALU_DEP_1) | instskip(NEXT) | instid1(VALU_DEP_1)
	v_div_fmas_f64 v[130:131], v[130:131], v[156:157], v[160:161]
                                        ; implicit-def: $vgpr156_vgpr157
	v_div_fixup_f64 v[162:163], v[130:131], v[128:129], 1.0
	s_delay_alu instid0(VALU_DEP_1)
	v_mul_f64 v[128:129], v[126:127], v[162:163]
	v_xor_b32_e32 v163, 0x80000000, v163
.LBB63_68:
	s_and_not1_saveexec_b32 s3, s3
	s_cbranch_execz .LBB63_70
; %bb.69:
	v_div_scale_f64 v[126:127], null, v[156:157], v[156:157], v[158:159]
	v_div_scale_f64 v[160:161], vcc_lo, v[158:159], v[156:157], v[158:159]
	s_delay_alu instid0(VALU_DEP_2) | instskip(SKIP_2) | instid1(VALU_DEP_1)
	v_rcp_f64_e32 v[128:129], v[126:127]
	s_waitcnt_depctr 0xfff
	v_fma_f64 v[130:131], -v[126:127], v[128:129], 1.0
	v_fma_f64 v[128:129], v[128:129], v[130:131], v[128:129]
	s_delay_alu instid0(VALU_DEP_1) | instskip(NEXT) | instid1(VALU_DEP_1)
	v_fma_f64 v[130:131], -v[126:127], v[128:129], 1.0
	v_fma_f64 v[128:129], v[128:129], v[130:131], v[128:129]
	s_delay_alu instid0(VALU_DEP_1) | instskip(NEXT) | instid1(VALU_DEP_1)
	v_mul_f64 v[130:131], v[160:161], v[128:129]
	v_fma_f64 v[126:127], -v[126:127], v[130:131], v[160:161]
	s_delay_alu instid0(VALU_DEP_1) | instskip(NEXT) | instid1(VALU_DEP_1)
	v_div_fmas_f64 v[126:127], v[126:127], v[128:129], v[130:131]
	v_div_fixup_f64 v[126:127], v[126:127], v[156:157], v[158:159]
	s_delay_alu instid0(VALU_DEP_1) | instskip(NEXT) | instid1(VALU_DEP_1)
	v_fma_f64 v[128:129], v[158:159], v[126:127], v[156:157]
	v_div_scale_f64 v[130:131], null, v[128:129], v[128:129], 1.0
	s_delay_alu instid0(VALU_DEP_1) | instskip(SKIP_2) | instid1(VALU_DEP_1)
	v_rcp_f64_e32 v[156:157], v[130:131]
	s_waitcnt_depctr 0xfff
	v_fma_f64 v[158:159], -v[130:131], v[156:157], 1.0
	v_fma_f64 v[156:157], v[156:157], v[158:159], v[156:157]
	s_delay_alu instid0(VALU_DEP_1) | instskip(NEXT) | instid1(VALU_DEP_1)
	v_fma_f64 v[158:159], -v[130:131], v[156:157], 1.0
	v_fma_f64 v[156:157], v[156:157], v[158:159], v[156:157]
	v_div_scale_f64 v[158:159], vcc_lo, 1.0, v[128:129], 1.0
	s_delay_alu instid0(VALU_DEP_1) | instskip(NEXT) | instid1(VALU_DEP_1)
	v_mul_f64 v[160:161], v[158:159], v[156:157]
	v_fma_f64 v[130:131], -v[130:131], v[160:161], v[158:159]
	s_delay_alu instid0(VALU_DEP_1) | instskip(NEXT) | instid1(VALU_DEP_1)
	v_div_fmas_f64 v[130:131], v[130:131], v[156:157], v[160:161]
	v_div_fixup_f64 v[128:129], v[130:131], v[128:129], 1.0
	s_delay_alu instid0(VALU_DEP_1)
	v_mul_f64 v[162:163], v[126:127], -v[128:129]
.LBB63_70:
	s_or_b32 exec_lo, exec_lo, s3
	ds_store_2addr_b64 v124, v[128:129], v[162:163] offset1:1
.LBB63_71:
	s_or_b32 exec_lo, exec_lo, s4
	s_waitcnt lgkmcnt(0)
	s_barrier
	buffer_gl0_inv
	ds_load_2addr_b64 v[156:159], v124 offset1:1
	s_mov_b32 s3, exec_lo
	v_cmpx_lt_u32_e32 7, v252
	s_cbranch_execz .LBB63_73
; %bb.72:
	s_waitcnt lgkmcnt(0)
	v_mul_f64 v[126:127], v[158:159], v[98:99]
	v_mul_f64 v[98:99], v[156:157], v[98:99]
	s_delay_alu instid0(VALU_DEP_2) | instskip(NEXT) | instid1(VALU_DEP_2)
	v_fma_f64 v[160:161], v[156:157], v[96:97], -v[126:127]
	v_fma_f64 v[98:99], v[158:159], v[96:97], v[98:99]
	ds_load_2addr_b64 v[126:129], v125 offset0:16 offset1:17
	s_waitcnt lgkmcnt(0)
	v_mul_f64 v[96:97], v[128:129], v[98:99]
	s_delay_alu instid0(VALU_DEP_1) | instskip(SKIP_1) | instid1(VALU_DEP_2)
	v_fma_f64 v[96:97], v[126:127], v[160:161], -v[96:97]
	v_mul_f64 v[126:127], v[126:127], v[98:99]
	v_add_f64 v[92:93], v[92:93], -v[96:97]
	s_delay_alu instid0(VALU_DEP_2) | instskip(NEXT) | instid1(VALU_DEP_1)
	v_fma_f64 v[126:127], v[128:129], v[160:161], v[126:127]
	v_add_f64 v[94:95], v[94:95], -v[126:127]
	ds_load_2addr_b64 v[126:129], v125 offset0:18 offset1:19
	s_waitcnt lgkmcnt(0)
	v_mul_f64 v[96:97], v[128:129], v[98:99]
	s_delay_alu instid0(VALU_DEP_1) | instskip(SKIP_1) | instid1(VALU_DEP_2)
	v_fma_f64 v[96:97], v[126:127], v[160:161], -v[96:97]
	v_mul_f64 v[126:127], v[126:127], v[98:99]
	v_add_f64 v[88:89], v[88:89], -v[96:97]
	s_delay_alu instid0(VALU_DEP_2) | instskip(NEXT) | instid1(VALU_DEP_1)
	v_fma_f64 v[126:127], v[128:129], v[160:161], v[126:127]
	v_add_f64 v[90:91], v[90:91], -v[126:127]
	;; [unrolled: 10-line block ×23, first 2 shown]
	ds_load_2addr_b64 v[126:129], v125 offset0:62 offset1:63
	s_waitcnt lgkmcnt(0)
	v_mul_f64 v[96:97], v[128:129], v[98:99]
	s_delay_alu instid0(VALU_DEP_1) | instskip(SKIP_1) | instid1(VALU_DEP_2)
	v_fma_f64 v[96:97], v[126:127], v[160:161], -v[96:97]
	v_mul_f64 v[126:127], v[126:127], v[98:99]
	v_add_f64 v[0:1], v[0:1], -v[96:97]
	s_delay_alu instid0(VALU_DEP_2) | instskip(SKIP_1) | instid1(VALU_DEP_2)
	v_fma_f64 v[126:127], v[128:129], v[160:161], v[126:127]
	v_dual_mov_b32 v96, v160 :: v_dual_mov_b32 v97, v161
	v_add_f64 v[2:3], v[2:3], -v[126:127]
.LBB63_73:
	s_or_b32 exec_lo, exec_lo, s3
	s_delay_alu instid0(SALU_CYCLE_1)
	s_mov_b32 s4, exec_lo
	s_waitcnt lgkmcnt(0)
	s_barrier
	buffer_gl0_inv
	v_cmpx_eq_u32_e32 8, v252
	s_cbranch_execz .LBB63_80
; %bb.74:
	ds_store_2addr_b64 v124, v[92:93], v[94:95] offset1:1
	ds_store_2addr_b64 v125, v[88:89], v[90:91] offset0:18 offset1:19
	ds_store_2addr_b64 v125, v[84:85], v[86:87] offset0:20 offset1:21
	;; [unrolled: 1-line block ×23, first 2 shown]
	ds_load_2addr_b64 v[160:163], v124 offset1:1
	s_waitcnt lgkmcnt(0)
	v_cmp_neq_f64_e32 vcc_lo, 0, v[160:161]
	v_cmp_neq_f64_e64 s3, 0, v[162:163]
	s_delay_alu instid0(VALU_DEP_1) | instskip(NEXT) | instid1(SALU_CYCLE_1)
	s_or_b32 s3, vcc_lo, s3
	s_and_b32 exec_lo, exec_lo, s3
	s_cbranch_execz .LBB63_80
; %bb.75:
	v_cmp_gt_f64_e32 vcc_lo, 0, v[160:161]
	v_cmp_gt_f64_e64 s3, 0, v[162:163]
	v_xor_b32_e32 v126, 0x80000000, v161
	v_xor_b32_e32 v128, 0x80000000, v163
	s_delay_alu instid0(VALU_DEP_2) | instskip(NEXT) | instid1(VALU_DEP_2)
	v_dual_cndmask_b32 v127, v161, v126 :: v_dual_cndmask_b32 v126, v160, v160
	v_cndmask_b32_e64 v129, v163, v128, s3
	v_cndmask_b32_e64 v128, v162, v162, s3
	s_delay_alu instid0(VALU_DEP_1) | instskip(SKIP_1) | instid1(SALU_CYCLE_1)
	v_cmp_ngt_f64_e32 vcc_lo, v[126:127], v[128:129]
                                        ; implicit-def: $vgpr128_vgpr129
	s_and_saveexec_b32 s3, vcc_lo
	s_xor_b32 s3, exec_lo, s3
                                        ; implicit-def: $vgpr164_vgpr165_vgpr166_vgpr167
	s_cbranch_execz .LBB63_77
; %bb.76:
	v_div_scale_f64 v[126:127], null, v[162:163], v[162:163], v[160:161]
	v_div_scale_f64 v[164:165], vcc_lo, v[160:161], v[162:163], v[160:161]
	s_delay_alu instid0(VALU_DEP_2) | instskip(SKIP_2) | instid1(VALU_DEP_1)
	v_rcp_f64_e32 v[128:129], v[126:127]
	s_waitcnt_depctr 0xfff
	v_fma_f64 v[130:131], -v[126:127], v[128:129], 1.0
	v_fma_f64 v[128:129], v[128:129], v[130:131], v[128:129]
	s_delay_alu instid0(VALU_DEP_1) | instskip(NEXT) | instid1(VALU_DEP_1)
	v_fma_f64 v[130:131], -v[126:127], v[128:129], 1.0
	v_fma_f64 v[128:129], v[128:129], v[130:131], v[128:129]
	s_delay_alu instid0(VALU_DEP_1) | instskip(NEXT) | instid1(VALU_DEP_1)
	v_mul_f64 v[130:131], v[164:165], v[128:129]
	v_fma_f64 v[126:127], -v[126:127], v[130:131], v[164:165]
	s_delay_alu instid0(VALU_DEP_1) | instskip(NEXT) | instid1(VALU_DEP_1)
	v_div_fmas_f64 v[126:127], v[126:127], v[128:129], v[130:131]
	v_div_fixup_f64 v[126:127], v[126:127], v[162:163], v[160:161]
	s_delay_alu instid0(VALU_DEP_1) | instskip(NEXT) | instid1(VALU_DEP_1)
	v_fma_f64 v[128:129], v[160:161], v[126:127], v[162:163]
	v_div_scale_f64 v[130:131], null, v[128:129], v[128:129], 1.0
	s_delay_alu instid0(VALU_DEP_1) | instskip(SKIP_2) | instid1(VALU_DEP_1)
	v_rcp_f64_e32 v[160:161], v[130:131]
	s_waitcnt_depctr 0xfff
	v_fma_f64 v[162:163], -v[130:131], v[160:161], 1.0
	v_fma_f64 v[160:161], v[160:161], v[162:163], v[160:161]
	s_delay_alu instid0(VALU_DEP_1) | instskip(NEXT) | instid1(VALU_DEP_1)
	v_fma_f64 v[162:163], -v[130:131], v[160:161], 1.0
	v_fma_f64 v[160:161], v[160:161], v[162:163], v[160:161]
	v_div_scale_f64 v[162:163], vcc_lo, 1.0, v[128:129], 1.0
	s_delay_alu instid0(VALU_DEP_1) | instskip(NEXT) | instid1(VALU_DEP_1)
	v_mul_f64 v[164:165], v[162:163], v[160:161]
	v_fma_f64 v[130:131], -v[130:131], v[164:165], v[162:163]
	s_delay_alu instid0(VALU_DEP_1) | instskip(NEXT) | instid1(VALU_DEP_1)
	v_div_fmas_f64 v[130:131], v[130:131], v[160:161], v[164:165]
                                        ; implicit-def: $vgpr160_vgpr161
	v_div_fixup_f64 v[166:167], v[130:131], v[128:129], 1.0
	s_delay_alu instid0(VALU_DEP_1)
	v_mul_f64 v[128:129], v[126:127], v[166:167]
	v_xor_b32_e32 v167, 0x80000000, v167
.LBB63_77:
	s_and_not1_saveexec_b32 s3, s3
	s_cbranch_execz .LBB63_79
; %bb.78:
	v_div_scale_f64 v[126:127], null, v[160:161], v[160:161], v[162:163]
	v_div_scale_f64 v[164:165], vcc_lo, v[162:163], v[160:161], v[162:163]
	s_delay_alu instid0(VALU_DEP_2) | instskip(SKIP_2) | instid1(VALU_DEP_1)
	v_rcp_f64_e32 v[128:129], v[126:127]
	s_waitcnt_depctr 0xfff
	v_fma_f64 v[130:131], -v[126:127], v[128:129], 1.0
	v_fma_f64 v[128:129], v[128:129], v[130:131], v[128:129]
	s_delay_alu instid0(VALU_DEP_1) | instskip(NEXT) | instid1(VALU_DEP_1)
	v_fma_f64 v[130:131], -v[126:127], v[128:129], 1.0
	v_fma_f64 v[128:129], v[128:129], v[130:131], v[128:129]
	s_delay_alu instid0(VALU_DEP_1) | instskip(NEXT) | instid1(VALU_DEP_1)
	v_mul_f64 v[130:131], v[164:165], v[128:129]
	v_fma_f64 v[126:127], -v[126:127], v[130:131], v[164:165]
	s_delay_alu instid0(VALU_DEP_1) | instskip(NEXT) | instid1(VALU_DEP_1)
	v_div_fmas_f64 v[126:127], v[126:127], v[128:129], v[130:131]
	v_div_fixup_f64 v[126:127], v[126:127], v[160:161], v[162:163]
	s_delay_alu instid0(VALU_DEP_1) | instskip(NEXT) | instid1(VALU_DEP_1)
	v_fma_f64 v[128:129], v[162:163], v[126:127], v[160:161]
	v_div_scale_f64 v[130:131], null, v[128:129], v[128:129], 1.0
	s_delay_alu instid0(VALU_DEP_1) | instskip(SKIP_2) | instid1(VALU_DEP_1)
	v_rcp_f64_e32 v[160:161], v[130:131]
	s_waitcnt_depctr 0xfff
	v_fma_f64 v[162:163], -v[130:131], v[160:161], 1.0
	v_fma_f64 v[160:161], v[160:161], v[162:163], v[160:161]
	s_delay_alu instid0(VALU_DEP_1) | instskip(NEXT) | instid1(VALU_DEP_1)
	v_fma_f64 v[162:163], -v[130:131], v[160:161], 1.0
	v_fma_f64 v[160:161], v[160:161], v[162:163], v[160:161]
	v_div_scale_f64 v[162:163], vcc_lo, 1.0, v[128:129], 1.0
	s_delay_alu instid0(VALU_DEP_1) | instskip(NEXT) | instid1(VALU_DEP_1)
	v_mul_f64 v[164:165], v[162:163], v[160:161]
	v_fma_f64 v[130:131], -v[130:131], v[164:165], v[162:163]
	s_delay_alu instid0(VALU_DEP_1) | instskip(NEXT) | instid1(VALU_DEP_1)
	v_div_fmas_f64 v[130:131], v[130:131], v[160:161], v[164:165]
	v_div_fixup_f64 v[128:129], v[130:131], v[128:129], 1.0
	s_delay_alu instid0(VALU_DEP_1)
	v_mul_f64 v[166:167], v[126:127], -v[128:129]
.LBB63_79:
	s_or_b32 exec_lo, exec_lo, s3
	ds_store_2addr_b64 v124, v[128:129], v[166:167] offset1:1
.LBB63_80:
	s_or_b32 exec_lo, exec_lo, s4
	s_waitcnt lgkmcnt(0)
	s_barrier
	buffer_gl0_inv
	ds_load_2addr_b64 v[160:163], v124 offset1:1
	s_mov_b32 s3, exec_lo
	v_cmpx_lt_u32_e32 8, v252
	s_cbranch_execz .LBB63_82
; %bb.81:
	s_waitcnt lgkmcnt(0)
	v_mul_f64 v[126:127], v[162:163], v[94:95]
	v_mul_f64 v[94:95], v[160:161], v[94:95]
	s_delay_alu instid0(VALU_DEP_2) | instskip(NEXT) | instid1(VALU_DEP_2)
	v_fma_f64 v[164:165], v[160:161], v[92:93], -v[126:127]
	v_fma_f64 v[94:95], v[162:163], v[92:93], v[94:95]
	ds_load_2addr_b64 v[126:129], v125 offset0:18 offset1:19
	s_waitcnt lgkmcnt(0)
	v_mul_f64 v[92:93], v[128:129], v[94:95]
	s_delay_alu instid0(VALU_DEP_1) | instskip(SKIP_1) | instid1(VALU_DEP_2)
	v_fma_f64 v[92:93], v[126:127], v[164:165], -v[92:93]
	v_mul_f64 v[126:127], v[126:127], v[94:95]
	v_add_f64 v[88:89], v[88:89], -v[92:93]
	s_delay_alu instid0(VALU_DEP_2) | instskip(NEXT) | instid1(VALU_DEP_1)
	v_fma_f64 v[126:127], v[128:129], v[164:165], v[126:127]
	v_add_f64 v[90:91], v[90:91], -v[126:127]
	ds_load_2addr_b64 v[126:129], v125 offset0:20 offset1:21
	s_waitcnt lgkmcnt(0)
	v_mul_f64 v[92:93], v[128:129], v[94:95]
	s_delay_alu instid0(VALU_DEP_1) | instskip(SKIP_1) | instid1(VALU_DEP_2)
	v_fma_f64 v[92:93], v[126:127], v[164:165], -v[92:93]
	v_mul_f64 v[126:127], v[126:127], v[94:95]
	v_add_f64 v[84:85], v[84:85], -v[92:93]
	s_delay_alu instid0(VALU_DEP_2) | instskip(NEXT) | instid1(VALU_DEP_1)
	v_fma_f64 v[126:127], v[128:129], v[164:165], v[126:127]
	v_add_f64 v[86:87], v[86:87], -v[126:127]
	;; [unrolled: 10-line block ×22, first 2 shown]
	ds_load_2addr_b64 v[126:129], v125 offset0:62 offset1:63
	s_waitcnt lgkmcnt(0)
	v_mul_f64 v[92:93], v[128:129], v[94:95]
	s_delay_alu instid0(VALU_DEP_1) | instskip(SKIP_1) | instid1(VALU_DEP_2)
	v_fma_f64 v[92:93], v[126:127], v[164:165], -v[92:93]
	v_mul_f64 v[126:127], v[126:127], v[94:95]
	v_add_f64 v[0:1], v[0:1], -v[92:93]
	s_delay_alu instid0(VALU_DEP_2) | instskip(SKIP_1) | instid1(VALU_DEP_2)
	v_fma_f64 v[126:127], v[128:129], v[164:165], v[126:127]
	v_dual_mov_b32 v92, v164 :: v_dual_mov_b32 v93, v165
	v_add_f64 v[2:3], v[2:3], -v[126:127]
.LBB63_82:
	s_or_b32 exec_lo, exec_lo, s3
	s_delay_alu instid0(SALU_CYCLE_1)
	s_mov_b32 s4, exec_lo
	s_waitcnt lgkmcnt(0)
	s_barrier
	buffer_gl0_inv
	v_cmpx_eq_u32_e32 9, v252
	s_cbranch_execz .LBB63_89
; %bb.83:
	ds_store_2addr_b64 v124, v[88:89], v[90:91] offset1:1
	ds_store_2addr_b64 v125, v[84:85], v[86:87] offset0:20 offset1:21
	ds_store_2addr_b64 v125, v[80:81], v[82:83] offset0:22 offset1:23
	;; [unrolled: 1-line block ×22, first 2 shown]
	ds_load_2addr_b64 v[164:167], v124 offset1:1
	s_waitcnt lgkmcnt(0)
	v_cmp_neq_f64_e32 vcc_lo, 0, v[164:165]
	v_cmp_neq_f64_e64 s3, 0, v[166:167]
	s_delay_alu instid0(VALU_DEP_1) | instskip(NEXT) | instid1(SALU_CYCLE_1)
	s_or_b32 s3, vcc_lo, s3
	s_and_b32 exec_lo, exec_lo, s3
	s_cbranch_execz .LBB63_89
; %bb.84:
	v_cmp_gt_f64_e32 vcc_lo, 0, v[164:165]
	v_cmp_gt_f64_e64 s3, 0, v[166:167]
	v_xor_b32_e32 v126, 0x80000000, v165
	v_xor_b32_e32 v128, 0x80000000, v167
	s_delay_alu instid0(VALU_DEP_2) | instskip(NEXT) | instid1(VALU_DEP_2)
	v_dual_cndmask_b32 v127, v165, v126 :: v_dual_cndmask_b32 v126, v164, v164
	v_cndmask_b32_e64 v129, v167, v128, s3
	v_cndmask_b32_e64 v128, v166, v166, s3
	s_delay_alu instid0(VALU_DEP_1) | instskip(SKIP_1) | instid1(SALU_CYCLE_1)
	v_cmp_ngt_f64_e32 vcc_lo, v[126:127], v[128:129]
                                        ; implicit-def: $vgpr128_vgpr129
	s_and_saveexec_b32 s3, vcc_lo
	s_xor_b32 s3, exec_lo, s3
                                        ; implicit-def: $vgpr168_vgpr169_vgpr170_vgpr171
	s_cbranch_execz .LBB63_86
; %bb.85:
	v_div_scale_f64 v[126:127], null, v[166:167], v[166:167], v[164:165]
	v_div_scale_f64 v[168:169], vcc_lo, v[164:165], v[166:167], v[164:165]
	s_delay_alu instid0(VALU_DEP_2) | instskip(SKIP_2) | instid1(VALU_DEP_1)
	v_rcp_f64_e32 v[128:129], v[126:127]
	s_waitcnt_depctr 0xfff
	v_fma_f64 v[130:131], -v[126:127], v[128:129], 1.0
	v_fma_f64 v[128:129], v[128:129], v[130:131], v[128:129]
	s_delay_alu instid0(VALU_DEP_1) | instskip(NEXT) | instid1(VALU_DEP_1)
	v_fma_f64 v[130:131], -v[126:127], v[128:129], 1.0
	v_fma_f64 v[128:129], v[128:129], v[130:131], v[128:129]
	s_delay_alu instid0(VALU_DEP_1) | instskip(NEXT) | instid1(VALU_DEP_1)
	v_mul_f64 v[130:131], v[168:169], v[128:129]
	v_fma_f64 v[126:127], -v[126:127], v[130:131], v[168:169]
	s_delay_alu instid0(VALU_DEP_1) | instskip(NEXT) | instid1(VALU_DEP_1)
	v_div_fmas_f64 v[126:127], v[126:127], v[128:129], v[130:131]
	v_div_fixup_f64 v[126:127], v[126:127], v[166:167], v[164:165]
	s_delay_alu instid0(VALU_DEP_1) | instskip(NEXT) | instid1(VALU_DEP_1)
	v_fma_f64 v[128:129], v[164:165], v[126:127], v[166:167]
	v_div_scale_f64 v[130:131], null, v[128:129], v[128:129], 1.0
	s_delay_alu instid0(VALU_DEP_1) | instskip(SKIP_2) | instid1(VALU_DEP_1)
	v_rcp_f64_e32 v[164:165], v[130:131]
	s_waitcnt_depctr 0xfff
	v_fma_f64 v[166:167], -v[130:131], v[164:165], 1.0
	v_fma_f64 v[164:165], v[164:165], v[166:167], v[164:165]
	s_delay_alu instid0(VALU_DEP_1) | instskip(NEXT) | instid1(VALU_DEP_1)
	v_fma_f64 v[166:167], -v[130:131], v[164:165], 1.0
	v_fma_f64 v[164:165], v[164:165], v[166:167], v[164:165]
	v_div_scale_f64 v[166:167], vcc_lo, 1.0, v[128:129], 1.0
	s_delay_alu instid0(VALU_DEP_1) | instskip(NEXT) | instid1(VALU_DEP_1)
	v_mul_f64 v[168:169], v[166:167], v[164:165]
	v_fma_f64 v[130:131], -v[130:131], v[168:169], v[166:167]
	s_delay_alu instid0(VALU_DEP_1) | instskip(NEXT) | instid1(VALU_DEP_1)
	v_div_fmas_f64 v[130:131], v[130:131], v[164:165], v[168:169]
                                        ; implicit-def: $vgpr164_vgpr165
	v_div_fixup_f64 v[170:171], v[130:131], v[128:129], 1.0
	s_delay_alu instid0(VALU_DEP_1)
	v_mul_f64 v[128:129], v[126:127], v[170:171]
	v_xor_b32_e32 v171, 0x80000000, v171
.LBB63_86:
	s_and_not1_saveexec_b32 s3, s3
	s_cbranch_execz .LBB63_88
; %bb.87:
	v_div_scale_f64 v[126:127], null, v[164:165], v[164:165], v[166:167]
	v_div_scale_f64 v[168:169], vcc_lo, v[166:167], v[164:165], v[166:167]
	s_delay_alu instid0(VALU_DEP_2) | instskip(SKIP_2) | instid1(VALU_DEP_1)
	v_rcp_f64_e32 v[128:129], v[126:127]
	s_waitcnt_depctr 0xfff
	v_fma_f64 v[130:131], -v[126:127], v[128:129], 1.0
	v_fma_f64 v[128:129], v[128:129], v[130:131], v[128:129]
	s_delay_alu instid0(VALU_DEP_1) | instskip(NEXT) | instid1(VALU_DEP_1)
	v_fma_f64 v[130:131], -v[126:127], v[128:129], 1.0
	v_fma_f64 v[128:129], v[128:129], v[130:131], v[128:129]
	s_delay_alu instid0(VALU_DEP_1) | instskip(NEXT) | instid1(VALU_DEP_1)
	v_mul_f64 v[130:131], v[168:169], v[128:129]
	v_fma_f64 v[126:127], -v[126:127], v[130:131], v[168:169]
	s_delay_alu instid0(VALU_DEP_1) | instskip(NEXT) | instid1(VALU_DEP_1)
	v_div_fmas_f64 v[126:127], v[126:127], v[128:129], v[130:131]
	v_div_fixup_f64 v[126:127], v[126:127], v[164:165], v[166:167]
	s_delay_alu instid0(VALU_DEP_1) | instskip(NEXT) | instid1(VALU_DEP_1)
	v_fma_f64 v[128:129], v[166:167], v[126:127], v[164:165]
	v_div_scale_f64 v[130:131], null, v[128:129], v[128:129], 1.0
	s_delay_alu instid0(VALU_DEP_1) | instskip(SKIP_2) | instid1(VALU_DEP_1)
	v_rcp_f64_e32 v[164:165], v[130:131]
	s_waitcnt_depctr 0xfff
	v_fma_f64 v[166:167], -v[130:131], v[164:165], 1.0
	v_fma_f64 v[164:165], v[164:165], v[166:167], v[164:165]
	s_delay_alu instid0(VALU_DEP_1) | instskip(NEXT) | instid1(VALU_DEP_1)
	v_fma_f64 v[166:167], -v[130:131], v[164:165], 1.0
	v_fma_f64 v[164:165], v[164:165], v[166:167], v[164:165]
	v_div_scale_f64 v[166:167], vcc_lo, 1.0, v[128:129], 1.0
	s_delay_alu instid0(VALU_DEP_1) | instskip(NEXT) | instid1(VALU_DEP_1)
	v_mul_f64 v[168:169], v[166:167], v[164:165]
	v_fma_f64 v[130:131], -v[130:131], v[168:169], v[166:167]
	s_delay_alu instid0(VALU_DEP_1) | instskip(NEXT) | instid1(VALU_DEP_1)
	v_div_fmas_f64 v[130:131], v[130:131], v[164:165], v[168:169]
	v_div_fixup_f64 v[128:129], v[130:131], v[128:129], 1.0
	s_delay_alu instid0(VALU_DEP_1)
	v_mul_f64 v[170:171], v[126:127], -v[128:129]
.LBB63_88:
	s_or_b32 exec_lo, exec_lo, s3
	ds_store_2addr_b64 v124, v[128:129], v[170:171] offset1:1
.LBB63_89:
	s_or_b32 exec_lo, exec_lo, s4
	s_waitcnt lgkmcnt(0)
	s_barrier
	buffer_gl0_inv
	ds_load_2addr_b64 v[164:167], v124 offset1:1
	s_mov_b32 s3, exec_lo
	v_cmpx_lt_u32_e32 9, v252
	s_cbranch_execz .LBB63_91
; %bb.90:
	s_waitcnt lgkmcnt(0)
	v_mul_f64 v[126:127], v[166:167], v[90:91]
	v_mul_f64 v[90:91], v[164:165], v[90:91]
	s_delay_alu instid0(VALU_DEP_2) | instskip(NEXT) | instid1(VALU_DEP_2)
	v_fma_f64 v[168:169], v[164:165], v[88:89], -v[126:127]
	v_fma_f64 v[90:91], v[166:167], v[88:89], v[90:91]
	ds_load_2addr_b64 v[126:129], v125 offset0:20 offset1:21
	s_waitcnt lgkmcnt(0)
	v_mul_f64 v[88:89], v[128:129], v[90:91]
	s_delay_alu instid0(VALU_DEP_1) | instskip(SKIP_1) | instid1(VALU_DEP_2)
	v_fma_f64 v[88:89], v[126:127], v[168:169], -v[88:89]
	v_mul_f64 v[126:127], v[126:127], v[90:91]
	v_add_f64 v[84:85], v[84:85], -v[88:89]
	s_delay_alu instid0(VALU_DEP_2) | instskip(NEXT) | instid1(VALU_DEP_1)
	v_fma_f64 v[126:127], v[128:129], v[168:169], v[126:127]
	v_add_f64 v[86:87], v[86:87], -v[126:127]
	ds_load_2addr_b64 v[126:129], v125 offset0:22 offset1:23
	s_waitcnt lgkmcnt(0)
	v_mul_f64 v[88:89], v[128:129], v[90:91]
	s_delay_alu instid0(VALU_DEP_1) | instskip(SKIP_1) | instid1(VALU_DEP_2)
	v_fma_f64 v[88:89], v[126:127], v[168:169], -v[88:89]
	v_mul_f64 v[126:127], v[126:127], v[90:91]
	v_add_f64 v[80:81], v[80:81], -v[88:89]
	s_delay_alu instid0(VALU_DEP_2) | instskip(NEXT) | instid1(VALU_DEP_1)
	v_fma_f64 v[126:127], v[128:129], v[168:169], v[126:127]
	v_add_f64 v[82:83], v[82:83], -v[126:127]
	;; [unrolled: 10-line block ×21, first 2 shown]
	ds_load_2addr_b64 v[126:129], v125 offset0:62 offset1:63
	s_waitcnt lgkmcnt(0)
	v_mul_f64 v[88:89], v[128:129], v[90:91]
	s_delay_alu instid0(VALU_DEP_1) | instskip(SKIP_1) | instid1(VALU_DEP_2)
	v_fma_f64 v[88:89], v[126:127], v[168:169], -v[88:89]
	v_mul_f64 v[126:127], v[126:127], v[90:91]
	v_add_f64 v[0:1], v[0:1], -v[88:89]
	s_delay_alu instid0(VALU_DEP_2) | instskip(SKIP_1) | instid1(VALU_DEP_2)
	v_fma_f64 v[126:127], v[128:129], v[168:169], v[126:127]
	v_dual_mov_b32 v88, v168 :: v_dual_mov_b32 v89, v169
	v_add_f64 v[2:3], v[2:3], -v[126:127]
.LBB63_91:
	s_or_b32 exec_lo, exec_lo, s3
	s_delay_alu instid0(SALU_CYCLE_1)
	s_mov_b32 s4, exec_lo
	s_waitcnt lgkmcnt(0)
	s_barrier
	buffer_gl0_inv
	v_cmpx_eq_u32_e32 10, v252
	s_cbranch_execz .LBB63_98
; %bb.92:
	ds_store_2addr_b64 v124, v[84:85], v[86:87] offset1:1
	ds_store_2addr_b64 v125, v[80:81], v[82:83] offset0:22 offset1:23
	ds_store_2addr_b64 v125, v[76:77], v[78:79] offset0:24 offset1:25
	;; [unrolled: 1-line block ×21, first 2 shown]
	ds_load_2addr_b64 v[168:171], v124 offset1:1
	s_waitcnt lgkmcnt(0)
	v_cmp_neq_f64_e32 vcc_lo, 0, v[168:169]
	v_cmp_neq_f64_e64 s3, 0, v[170:171]
	s_delay_alu instid0(VALU_DEP_1) | instskip(NEXT) | instid1(SALU_CYCLE_1)
	s_or_b32 s3, vcc_lo, s3
	s_and_b32 exec_lo, exec_lo, s3
	s_cbranch_execz .LBB63_98
; %bb.93:
	v_cmp_gt_f64_e32 vcc_lo, 0, v[168:169]
	v_cmp_gt_f64_e64 s3, 0, v[170:171]
	v_xor_b32_e32 v126, 0x80000000, v169
	v_xor_b32_e32 v128, 0x80000000, v171
	s_delay_alu instid0(VALU_DEP_2) | instskip(NEXT) | instid1(VALU_DEP_2)
	v_dual_cndmask_b32 v127, v169, v126 :: v_dual_cndmask_b32 v126, v168, v168
	v_cndmask_b32_e64 v129, v171, v128, s3
	v_cndmask_b32_e64 v128, v170, v170, s3
	s_delay_alu instid0(VALU_DEP_1) | instskip(SKIP_1) | instid1(SALU_CYCLE_1)
	v_cmp_ngt_f64_e32 vcc_lo, v[126:127], v[128:129]
                                        ; implicit-def: $vgpr128_vgpr129
	s_and_saveexec_b32 s3, vcc_lo
	s_xor_b32 s3, exec_lo, s3
                                        ; implicit-def: $vgpr172_vgpr173_vgpr174_vgpr175
	s_cbranch_execz .LBB63_95
; %bb.94:
	v_div_scale_f64 v[126:127], null, v[170:171], v[170:171], v[168:169]
	v_div_scale_f64 v[172:173], vcc_lo, v[168:169], v[170:171], v[168:169]
	s_delay_alu instid0(VALU_DEP_2) | instskip(SKIP_2) | instid1(VALU_DEP_1)
	v_rcp_f64_e32 v[128:129], v[126:127]
	s_waitcnt_depctr 0xfff
	v_fma_f64 v[130:131], -v[126:127], v[128:129], 1.0
	v_fma_f64 v[128:129], v[128:129], v[130:131], v[128:129]
	s_delay_alu instid0(VALU_DEP_1) | instskip(NEXT) | instid1(VALU_DEP_1)
	v_fma_f64 v[130:131], -v[126:127], v[128:129], 1.0
	v_fma_f64 v[128:129], v[128:129], v[130:131], v[128:129]
	s_delay_alu instid0(VALU_DEP_1) | instskip(NEXT) | instid1(VALU_DEP_1)
	v_mul_f64 v[130:131], v[172:173], v[128:129]
	v_fma_f64 v[126:127], -v[126:127], v[130:131], v[172:173]
	s_delay_alu instid0(VALU_DEP_1) | instskip(NEXT) | instid1(VALU_DEP_1)
	v_div_fmas_f64 v[126:127], v[126:127], v[128:129], v[130:131]
	v_div_fixup_f64 v[126:127], v[126:127], v[170:171], v[168:169]
	s_delay_alu instid0(VALU_DEP_1) | instskip(NEXT) | instid1(VALU_DEP_1)
	v_fma_f64 v[128:129], v[168:169], v[126:127], v[170:171]
	v_div_scale_f64 v[130:131], null, v[128:129], v[128:129], 1.0
	s_delay_alu instid0(VALU_DEP_1) | instskip(SKIP_2) | instid1(VALU_DEP_1)
	v_rcp_f64_e32 v[168:169], v[130:131]
	s_waitcnt_depctr 0xfff
	v_fma_f64 v[170:171], -v[130:131], v[168:169], 1.0
	v_fma_f64 v[168:169], v[168:169], v[170:171], v[168:169]
	s_delay_alu instid0(VALU_DEP_1) | instskip(NEXT) | instid1(VALU_DEP_1)
	v_fma_f64 v[170:171], -v[130:131], v[168:169], 1.0
	v_fma_f64 v[168:169], v[168:169], v[170:171], v[168:169]
	v_div_scale_f64 v[170:171], vcc_lo, 1.0, v[128:129], 1.0
	s_delay_alu instid0(VALU_DEP_1) | instskip(NEXT) | instid1(VALU_DEP_1)
	v_mul_f64 v[172:173], v[170:171], v[168:169]
	v_fma_f64 v[130:131], -v[130:131], v[172:173], v[170:171]
	s_delay_alu instid0(VALU_DEP_1) | instskip(NEXT) | instid1(VALU_DEP_1)
	v_div_fmas_f64 v[130:131], v[130:131], v[168:169], v[172:173]
                                        ; implicit-def: $vgpr168_vgpr169
	v_div_fixup_f64 v[174:175], v[130:131], v[128:129], 1.0
	s_delay_alu instid0(VALU_DEP_1)
	v_mul_f64 v[128:129], v[126:127], v[174:175]
	v_xor_b32_e32 v175, 0x80000000, v175
.LBB63_95:
	s_and_not1_saveexec_b32 s3, s3
	s_cbranch_execz .LBB63_97
; %bb.96:
	v_div_scale_f64 v[126:127], null, v[168:169], v[168:169], v[170:171]
	v_div_scale_f64 v[172:173], vcc_lo, v[170:171], v[168:169], v[170:171]
	s_delay_alu instid0(VALU_DEP_2) | instskip(SKIP_2) | instid1(VALU_DEP_1)
	v_rcp_f64_e32 v[128:129], v[126:127]
	s_waitcnt_depctr 0xfff
	v_fma_f64 v[130:131], -v[126:127], v[128:129], 1.0
	v_fma_f64 v[128:129], v[128:129], v[130:131], v[128:129]
	s_delay_alu instid0(VALU_DEP_1) | instskip(NEXT) | instid1(VALU_DEP_1)
	v_fma_f64 v[130:131], -v[126:127], v[128:129], 1.0
	v_fma_f64 v[128:129], v[128:129], v[130:131], v[128:129]
	s_delay_alu instid0(VALU_DEP_1) | instskip(NEXT) | instid1(VALU_DEP_1)
	v_mul_f64 v[130:131], v[172:173], v[128:129]
	v_fma_f64 v[126:127], -v[126:127], v[130:131], v[172:173]
	s_delay_alu instid0(VALU_DEP_1) | instskip(NEXT) | instid1(VALU_DEP_1)
	v_div_fmas_f64 v[126:127], v[126:127], v[128:129], v[130:131]
	v_div_fixup_f64 v[126:127], v[126:127], v[168:169], v[170:171]
	s_delay_alu instid0(VALU_DEP_1) | instskip(NEXT) | instid1(VALU_DEP_1)
	v_fma_f64 v[128:129], v[170:171], v[126:127], v[168:169]
	v_div_scale_f64 v[130:131], null, v[128:129], v[128:129], 1.0
	s_delay_alu instid0(VALU_DEP_1) | instskip(SKIP_2) | instid1(VALU_DEP_1)
	v_rcp_f64_e32 v[168:169], v[130:131]
	s_waitcnt_depctr 0xfff
	v_fma_f64 v[170:171], -v[130:131], v[168:169], 1.0
	v_fma_f64 v[168:169], v[168:169], v[170:171], v[168:169]
	s_delay_alu instid0(VALU_DEP_1) | instskip(NEXT) | instid1(VALU_DEP_1)
	v_fma_f64 v[170:171], -v[130:131], v[168:169], 1.0
	v_fma_f64 v[168:169], v[168:169], v[170:171], v[168:169]
	v_div_scale_f64 v[170:171], vcc_lo, 1.0, v[128:129], 1.0
	s_delay_alu instid0(VALU_DEP_1) | instskip(NEXT) | instid1(VALU_DEP_1)
	v_mul_f64 v[172:173], v[170:171], v[168:169]
	v_fma_f64 v[130:131], -v[130:131], v[172:173], v[170:171]
	s_delay_alu instid0(VALU_DEP_1) | instskip(NEXT) | instid1(VALU_DEP_1)
	v_div_fmas_f64 v[130:131], v[130:131], v[168:169], v[172:173]
	v_div_fixup_f64 v[128:129], v[130:131], v[128:129], 1.0
	s_delay_alu instid0(VALU_DEP_1)
	v_mul_f64 v[174:175], v[126:127], -v[128:129]
.LBB63_97:
	s_or_b32 exec_lo, exec_lo, s3
	ds_store_2addr_b64 v124, v[128:129], v[174:175] offset1:1
.LBB63_98:
	s_or_b32 exec_lo, exec_lo, s4
	s_waitcnt lgkmcnt(0)
	s_barrier
	buffer_gl0_inv
	ds_load_2addr_b64 v[168:171], v124 offset1:1
	s_mov_b32 s3, exec_lo
	v_cmpx_lt_u32_e32 10, v252
	s_cbranch_execz .LBB63_100
; %bb.99:
	s_waitcnt lgkmcnt(0)
	v_mul_f64 v[126:127], v[170:171], v[86:87]
	v_mul_f64 v[86:87], v[168:169], v[86:87]
	s_delay_alu instid0(VALU_DEP_2) | instskip(NEXT) | instid1(VALU_DEP_2)
	v_fma_f64 v[172:173], v[168:169], v[84:85], -v[126:127]
	v_fma_f64 v[86:87], v[170:171], v[84:85], v[86:87]
	ds_load_2addr_b64 v[126:129], v125 offset0:22 offset1:23
	s_waitcnt lgkmcnt(0)
	v_mul_f64 v[84:85], v[128:129], v[86:87]
	s_delay_alu instid0(VALU_DEP_1) | instskip(SKIP_1) | instid1(VALU_DEP_2)
	v_fma_f64 v[84:85], v[126:127], v[172:173], -v[84:85]
	v_mul_f64 v[126:127], v[126:127], v[86:87]
	v_add_f64 v[80:81], v[80:81], -v[84:85]
	s_delay_alu instid0(VALU_DEP_2) | instskip(NEXT) | instid1(VALU_DEP_1)
	v_fma_f64 v[126:127], v[128:129], v[172:173], v[126:127]
	v_add_f64 v[82:83], v[82:83], -v[126:127]
	ds_load_2addr_b64 v[126:129], v125 offset0:24 offset1:25
	s_waitcnt lgkmcnt(0)
	v_mul_f64 v[84:85], v[128:129], v[86:87]
	s_delay_alu instid0(VALU_DEP_1) | instskip(SKIP_1) | instid1(VALU_DEP_2)
	v_fma_f64 v[84:85], v[126:127], v[172:173], -v[84:85]
	v_mul_f64 v[126:127], v[126:127], v[86:87]
	v_add_f64 v[76:77], v[76:77], -v[84:85]
	s_delay_alu instid0(VALU_DEP_2) | instskip(NEXT) | instid1(VALU_DEP_1)
	v_fma_f64 v[126:127], v[128:129], v[172:173], v[126:127]
	v_add_f64 v[78:79], v[78:79], -v[126:127]
	;; [unrolled: 10-line block ×20, first 2 shown]
	ds_load_2addr_b64 v[126:129], v125 offset0:62 offset1:63
	s_waitcnt lgkmcnt(0)
	v_mul_f64 v[84:85], v[128:129], v[86:87]
	s_delay_alu instid0(VALU_DEP_1) | instskip(SKIP_1) | instid1(VALU_DEP_2)
	v_fma_f64 v[84:85], v[126:127], v[172:173], -v[84:85]
	v_mul_f64 v[126:127], v[126:127], v[86:87]
	v_add_f64 v[0:1], v[0:1], -v[84:85]
	s_delay_alu instid0(VALU_DEP_2) | instskip(SKIP_1) | instid1(VALU_DEP_2)
	v_fma_f64 v[126:127], v[128:129], v[172:173], v[126:127]
	v_dual_mov_b32 v84, v172 :: v_dual_mov_b32 v85, v173
	v_add_f64 v[2:3], v[2:3], -v[126:127]
.LBB63_100:
	s_or_b32 exec_lo, exec_lo, s3
	s_delay_alu instid0(SALU_CYCLE_1)
	s_mov_b32 s4, exec_lo
	s_waitcnt lgkmcnt(0)
	s_barrier
	buffer_gl0_inv
	v_cmpx_eq_u32_e32 11, v252
	s_cbranch_execz .LBB63_107
; %bb.101:
	ds_store_2addr_b64 v124, v[80:81], v[82:83] offset1:1
	ds_store_2addr_b64 v125, v[76:77], v[78:79] offset0:24 offset1:25
	ds_store_2addr_b64 v125, v[72:73], v[74:75] offset0:26 offset1:27
	;; [unrolled: 1-line block ×20, first 2 shown]
	ds_load_2addr_b64 v[172:175], v124 offset1:1
	s_waitcnt lgkmcnt(0)
	v_cmp_neq_f64_e32 vcc_lo, 0, v[172:173]
	v_cmp_neq_f64_e64 s3, 0, v[174:175]
	s_delay_alu instid0(VALU_DEP_1) | instskip(NEXT) | instid1(SALU_CYCLE_1)
	s_or_b32 s3, vcc_lo, s3
	s_and_b32 exec_lo, exec_lo, s3
	s_cbranch_execz .LBB63_107
; %bb.102:
	v_cmp_gt_f64_e32 vcc_lo, 0, v[172:173]
	v_cmp_gt_f64_e64 s3, 0, v[174:175]
	v_xor_b32_e32 v126, 0x80000000, v173
	v_xor_b32_e32 v128, 0x80000000, v175
	s_delay_alu instid0(VALU_DEP_2) | instskip(NEXT) | instid1(VALU_DEP_2)
	v_dual_cndmask_b32 v127, v173, v126 :: v_dual_cndmask_b32 v126, v172, v172
	v_cndmask_b32_e64 v129, v175, v128, s3
	v_cndmask_b32_e64 v128, v174, v174, s3
	s_delay_alu instid0(VALU_DEP_1) | instskip(SKIP_1) | instid1(SALU_CYCLE_1)
	v_cmp_ngt_f64_e32 vcc_lo, v[126:127], v[128:129]
                                        ; implicit-def: $vgpr128_vgpr129
	s_and_saveexec_b32 s3, vcc_lo
	s_xor_b32 s3, exec_lo, s3
                                        ; implicit-def: $vgpr176_vgpr177_vgpr178_vgpr179
	s_cbranch_execz .LBB63_104
; %bb.103:
	v_div_scale_f64 v[126:127], null, v[174:175], v[174:175], v[172:173]
	v_div_scale_f64 v[176:177], vcc_lo, v[172:173], v[174:175], v[172:173]
	s_delay_alu instid0(VALU_DEP_2) | instskip(SKIP_2) | instid1(VALU_DEP_1)
	v_rcp_f64_e32 v[128:129], v[126:127]
	s_waitcnt_depctr 0xfff
	v_fma_f64 v[130:131], -v[126:127], v[128:129], 1.0
	v_fma_f64 v[128:129], v[128:129], v[130:131], v[128:129]
	s_delay_alu instid0(VALU_DEP_1) | instskip(NEXT) | instid1(VALU_DEP_1)
	v_fma_f64 v[130:131], -v[126:127], v[128:129], 1.0
	v_fma_f64 v[128:129], v[128:129], v[130:131], v[128:129]
	s_delay_alu instid0(VALU_DEP_1) | instskip(NEXT) | instid1(VALU_DEP_1)
	v_mul_f64 v[130:131], v[176:177], v[128:129]
	v_fma_f64 v[126:127], -v[126:127], v[130:131], v[176:177]
	s_delay_alu instid0(VALU_DEP_1) | instskip(NEXT) | instid1(VALU_DEP_1)
	v_div_fmas_f64 v[126:127], v[126:127], v[128:129], v[130:131]
	v_div_fixup_f64 v[126:127], v[126:127], v[174:175], v[172:173]
	s_delay_alu instid0(VALU_DEP_1) | instskip(NEXT) | instid1(VALU_DEP_1)
	v_fma_f64 v[128:129], v[172:173], v[126:127], v[174:175]
	v_div_scale_f64 v[130:131], null, v[128:129], v[128:129], 1.0
	s_delay_alu instid0(VALU_DEP_1) | instskip(SKIP_2) | instid1(VALU_DEP_1)
	v_rcp_f64_e32 v[172:173], v[130:131]
	s_waitcnt_depctr 0xfff
	v_fma_f64 v[174:175], -v[130:131], v[172:173], 1.0
	v_fma_f64 v[172:173], v[172:173], v[174:175], v[172:173]
	s_delay_alu instid0(VALU_DEP_1) | instskip(NEXT) | instid1(VALU_DEP_1)
	v_fma_f64 v[174:175], -v[130:131], v[172:173], 1.0
	v_fma_f64 v[172:173], v[172:173], v[174:175], v[172:173]
	v_div_scale_f64 v[174:175], vcc_lo, 1.0, v[128:129], 1.0
	s_delay_alu instid0(VALU_DEP_1) | instskip(NEXT) | instid1(VALU_DEP_1)
	v_mul_f64 v[176:177], v[174:175], v[172:173]
	v_fma_f64 v[130:131], -v[130:131], v[176:177], v[174:175]
	s_delay_alu instid0(VALU_DEP_1) | instskip(NEXT) | instid1(VALU_DEP_1)
	v_div_fmas_f64 v[130:131], v[130:131], v[172:173], v[176:177]
                                        ; implicit-def: $vgpr172_vgpr173
	v_div_fixup_f64 v[178:179], v[130:131], v[128:129], 1.0
	s_delay_alu instid0(VALU_DEP_1)
	v_mul_f64 v[128:129], v[126:127], v[178:179]
	v_xor_b32_e32 v179, 0x80000000, v179
.LBB63_104:
	s_and_not1_saveexec_b32 s3, s3
	s_cbranch_execz .LBB63_106
; %bb.105:
	v_div_scale_f64 v[126:127], null, v[172:173], v[172:173], v[174:175]
	v_div_scale_f64 v[176:177], vcc_lo, v[174:175], v[172:173], v[174:175]
	s_delay_alu instid0(VALU_DEP_2) | instskip(SKIP_2) | instid1(VALU_DEP_1)
	v_rcp_f64_e32 v[128:129], v[126:127]
	s_waitcnt_depctr 0xfff
	v_fma_f64 v[130:131], -v[126:127], v[128:129], 1.0
	v_fma_f64 v[128:129], v[128:129], v[130:131], v[128:129]
	s_delay_alu instid0(VALU_DEP_1) | instskip(NEXT) | instid1(VALU_DEP_1)
	v_fma_f64 v[130:131], -v[126:127], v[128:129], 1.0
	v_fma_f64 v[128:129], v[128:129], v[130:131], v[128:129]
	s_delay_alu instid0(VALU_DEP_1) | instskip(NEXT) | instid1(VALU_DEP_1)
	v_mul_f64 v[130:131], v[176:177], v[128:129]
	v_fma_f64 v[126:127], -v[126:127], v[130:131], v[176:177]
	s_delay_alu instid0(VALU_DEP_1) | instskip(NEXT) | instid1(VALU_DEP_1)
	v_div_fmas_f64 v[126:127], v[126:127], v[128:129], v[130:131]
	v_div_fixup_f64 v[126:127], v[126:127], v[172:173], v[174:175]
	s_delay_alu instid0(VALU_DEP_1) | instskip(NEXT) | instid1(VALU_DEP_1)
	v_fma_f64 v[128:129], v[174:175], v[126:127], v[172:173]
	v_div_scale_f64 v[130:131], null, v[128:129], v[128:129], 1.0
	s_delay_alu instid0(VALU_DEP_1) | instskip(SKIP_2) | instid1(VALU_DEP_1)
	v_rcp_f64_e32 v[172:173], v[130:131]
	s_waitcnt_depctr 0xfff
	v_fma_f64 v[174:175], -v[130:131], v[172:173], 1.0
	v_fma_f64 v[172:173], v[172:173], v[174:175], v[172:173]
	s_delay_alu instid0(VALU_DEP_1) | instskip(NEXT) | instid1(VALU_DEP_1)
	v_fma_f64 v[174:175], -v[130:131], v[172:173], 1.0
	v_fma_f64 v[172:173], v[172:173], v[174:175], v[172:173]
	v_div_scale_f64 v[174:175], vcc_lo, 1.0, v[128:129], 1.0
	s_delay_alu instid0(VALU_DEP_1) | instskip(NEXT) | instid1(VALU_DEP_1)
	v_mul_f64 v[176:177], v[174:175], v[172:173]
	v_fma_f64 v[130:131], -v[130:131], v[176:177], v[174:175]
	s_delay_alu instid0(VALU_DEP_1) | instskip(NEXT) | instid1(VALU_DEP_1)
	v_div_fmas_f64 v[130:131], v[130:131], v[172:173], v[176:177]
	v_div_fixup_f64 v[128:129], v[130:131], v[128:129], 1.0
	s_delay_alu instid0(VALU_DEP_1)
	v_mul_f64 v[178:179], v[126:127], -v[128:129]
.LBB63_106:
	s_or_b32 exec_lo, exec_lo, s3
	ds_store_2addr_b64 v124, v[128:129], v[178:179] offset1:1
.LBB63_107:
	s_or_b32 exec_lo, exec_lo, s4
	s_waitcnt lgkmcnt(0)
	s_barrier
	buffer_gl0_inv
	ds_load_2addr_b64 v[172:175], v124 offset1:1
	s_mov_b32 s3, exec_lo
	v_cmpx_lt_u32_e32 11, v252
	s_cbranch_execz .LBB63_109
; %bb.108:
	s_waitcnt lgkmcnt(0)
	v_mul_f64 v[126:127], v[174:175], v[82:83]
	v_mul_f64 v[82:83], v[172:173], v[82:83]
	s_delay_alu instid0(VALU_DEP_2) | instskip(NEXT) | instid1(VALU_DEP_2)
	v_fma_f64 v[176:177], v[172:173], v[80:81], -v[126:127]
	v_fma_f64 v[82:83], v[174:175], v[80:81], v[82:83]
	ds_load_2addr_b64 v[126:129], v125 offset0:24 offset1:25
	s_waitcnt lgkmcnt(0)
	v_mul_f64 v[80:81], v[128:129], v[82:83]
	s_delay_alu instid0(VALU_DEP_1) | instskip(SKIP_1) | instid1(VALU_DEP_2)
	v_fma_f64 v[80:81], v[126:127], v[176:177], -v[80:81]
	v_mul_f64 v[126:127], v[126:127], v[82:83]
	v_add_f64 v[76:77], v[76:77], -v[80:81]
	s_delay_alu instid0(VALU_DEP_2) | instskip(NEXT) | instid1(VALU_DEP_1)
	v_fma_f64 v[126:127], v[128:129], v[176:177], v[126:127]
	v_add_f64 v[78:79], v[78:79], -v[126:127]
	ds_load_2addr_b64 v[126:129], v125 offset0:26 offset1:27
	s_waitcnt lgkmcnt(0)
	v_mul_f64 v[80:81], v[128:129], v[82:83]
	s_delay_alu instid0(VALU_DEP_1) | instskip(SKIP_1) | instid1(VALU_DEP_2)
	v_fma_f64 v[80:81], v[126:127], v[176:177], -v[80:81]
	v_mul_f64 v[126:127], v[126:127], v[82:83]
	v_add_f64 v[72:73], v[72:73], -v[80:81]
	s_delay_alu instid0(VALU_DEP_2) | instskip(NEXT) | instid1(VALU_DEP_1)
	v_fma_f64 v[126:127], v[128:129], v[176:177], v[126:127]
	v_add_f64 v[74:75], v[74:75], -v[126:127]
	;; [unrolled: 10-line block ×19, first 2 shown]
	ds_load_2addr_b64 v[126:129], v125 offset0:62 offset1:63
	s_waitcnt lgkmcnt(0)
	v_mul_f64 v[80:81], v[128:129], v[82:83]
	s_delay_alu instid0(VALU_DEP_1) | instskip(SKIP_1) | instid1(VALU_DEP_2)
	v_fma_f64 v[80:81], v[126:127], v[176:177], -v[80:81]
	v_mul_f64 v[126:127], v[126:127], v[82:83]
	v_add_f64 v[0:1], v[0:1], -v[80:81]
	s_delay_alu instid0(VALU_DEP_2) | instskip(SKIP_1) | instid1(VALU_DEP_2)
	v_fma_f64 v[126:127], v[128:129], v[176:177], v[126:127]
	v_dual_mov_b32 v80, v176 :: v_dual_mov_b32 v81, v177
	v_add_f64 v[2:3], v[2:3], -v[126:127]
.LBB63_109:
	s_or_b32 exec_lo, exec_lo, s3
	s_delay_alu instid0(SALU_CYCLE_1)
	s_mov_b32 s4, exec_lo
	s_waitcnt lgkmcnt(0)
	s_barrier
	buffer_gl0_inv
	v_cmpx_eq_u32_e32 12, v252
	s_cbranch_execz .LBB63_116
; %bb.110:
	ds_store_2addr_b64 v124, v[76:77], v[78:79] offset1:1
	ds_store_2addr_b64 v125, v[72:73], v[74:75] offset0:26 offset1:27
	ds_store_2addr_b64 v125, v[68:69], v[70:71] offset0:28 offset1:29
	;; [unrolled: 1-line block ×19, first 2 shown]
	ds_load_2addr_b64 v[176:179], v124 offset1:1
	s_waitcnt lgkmcnt(0)
	v_cmp_neq_f64_e32 vcc_lo, 0, v[176:177]
	v_cmp_neq_f64_e64 s3, 0, v[178:179]
	s_delay_alu instid0(VALU_DEP_1) | instskip(NEXT) | instid1(SALU_CYCLE_1)
	s_or_b32 s3, vcc_lo, s3
	s_and_b32 exec_lo, exec_lo, s3
	s_cbranch_execz .LBB63_116
; %bb.111:
	v_cmp_gt_f64_e32 vcc_lo, 0, v[176:177]
	v_cmp_gt_f64_e64 s3, 0, v[178:179]
	v_xor_b32_e32 v126, 0x80000000, v177
	v_xor_b32_e32 v128, 0x80000000, v179
	s_delay_alu instid0(VALU_DEP_2) | instskip(NEXT) | instid1(VALU_DEP_2)
	v_dual_cndmask_b32 v127, v177, v126 :: v_dual_cndmask_b32 v126, v176, v176
	v_cndmask_b32_e64 v129, v179, v128, s3
	v_cndmask_b32_e64 v128, v178, v178, s3
	s_delay_alu instid0(VALU_DEP_1) | instskip(SKIP_1) | instid1(SALU_CYCLE_1)
	v_cmp_ngt_f64_e32 vcc_lo, v[126:127], v[128:129]
                                        ; implicit-def: $vgpr128_vgpr129
	s_and_saveexec_b32 s3, vcc_lo
	s_xor_b32 s3, exec_lo, s3
                                        ; implicit-def: $vgpr180_vgpr181_vgpr182_vgpr183
	s_cbranch_execz .LBB63_113
; %bb.112:
	v_div_scale_f64 v[126:127], null, v[178:179], v[178:179], v[176:177]
	v_div_scale_f64 v[180:181], vcc_lo, v[176:177], v[178:179], v[176:177]
	s_delay_alu instid0(VALU_DEP_2) | instskip(SKIP_2) | instid1(VALU_DEP_1)
	v_rcp_f64_e32 v[128:129], v[126:127]
	s_waitcnt_depctr 0xfff
	v_fma_f64 v[130:131], -v[126:127], v[128:129], 1.0
	v_fma_f64 v[128:129], v[128:129], v[130:131], v[128:129]
	s_delay_alu instid0(VALU_DEP_1) | instskip(NEXT) | instid1(VALU_DEP_1)
	v_fma_f64 v[130:131], -v[126:127], v[128:129], 1.0
	v_fma_f64 v[128:129], v[128:129], v[130:131], v[128:129]
	s_delay_alu instid0(VALU_DEP_1) | instskip(NEXT) | instid1(VALU_DEP_1)
	v_mul_f64 v[130:131], v[180:181], v[128:129]
	v_fma_f64 v[126:127], -v[126:127], v[130:131], v[180:181]
	s_delay_alu instid0(VALU_DEP_1) | instskip(NEXT) | instid1(VALU_DEP_1)
	v_div_fmas_f64 v[126:127], v[126:127], v[128:129], v[130:131]
	v_div_fixup_f64 v[126:127], v[126:127], v[178:179], v[176:177]
	s_delay_alu instid0(VALU_DEP_1) | instskip(NEXT) | instid1(VALU_DEP_1)
	v_fma_f64 v[128:129], v[176:177], v[126:127], v[178:179]
	v_div_scale_f64 v[130:131], null, v[128:129], v[128:129], 1.0
	s_delay_alu instid0(VALU_DEP_1) | instskip(SKIP_2) | instid1(VALU_DEP_1)
	v_rcp_f64_e32 v[176:177], v[130:131]
	s_waitcnt_depctr 0xfff
	v_fma_f64 v[178:179], -v[130:131], v[176:177], 1.0
	v_fma_f64 v[176:177], v[176:177], v[178:179], v[176:177]
	s_delay_alu instid0(VALU_DEP_1) | instskip(NEXT) | instid1(VALU_DEP_1)
	v_fma_f64 v[178:179], -v[130:131], v[176:177], 1.0
	v_fma_f64 v[176:177], v[176:177], v[178:179], v[176:177]
	v_div_scale_f64 v[178:179], vcc_lo, 1.0, v[128:129], 1.0
	s_delay_alu instid0(VALU_DEP_1) | instskip(NEXT) | instid1(VALU_DEP_1)
	v_mul_f64 v[180:181], v[178:179], v[176:177]
	v_fma_f64 v[130:131], -v[130:131], v[180:181], v[178:179]
	s_delay_alu instid0(VALU_DEP_1) | instskip(NEXT) | instid1(VALU_DEP_1)
	v_div_fmas_f64 v[130:131], v[130:131], v[176:177], v[180:181]
                                        ; implicit-def: $vgpr176_vgpr177
	v_div_fixup_f64 v[182:183], v[130:131], v[128:129], 1.0
	s_delay_alu instid0(VALU_DEP_1)
	v_mul_f64 v[128:129], v[126:127], v[182:183]
	v_xor_b32_e32 v183, 0x80000000, v183
.LBB63_113:
	s_and_not1_saveexec_b32 s3, s3
	s_cbranch_execz .LBB63_115
; %bb.114:
	v_div_scale_f64 v[126:127], null, v[176:177], v[176:177], v[178:179]
	v_div_scale_f64 v[180:181], vcc_lo, v[178:179], v[176:177], v[178:179]
	s_delay_alu instid0(VALU_DEP_2) | instskip(SKIP_2) | instid1(VALU_DEP_1)
	v_rcp_f64_e32 v[128:129], v[126:127]
	s_waitcnt_depctr 0xfff
	v_fma_f64 v[130:131], -v[126:127], v[128:129], 1.0
	v_fma_f64 v[128:129], v[128:129], v[130:131], v[128:129]
	s_delay_alu instid0(VALU_DEP_1) | instskip(NEXT) | instid1(VALU_DEP_1)
	v_fma_f64 v[130:131], -v[126:127], v[128:129], 1.0
	v_fma_f64 v[128:129], v[128:129], v[130:131], v[128:129]
	s_delay_alu instid0(VALU_DEP_1) | instskip(NEXT) | instid1(VALU_DEP_1)
	v_mul_f64 v[130:131], v[180:181], v[128:129]
	v_fma_f64 v[126:127], -v[126:127], v[130:131], v[180:181]
	s_delay_alu instid0(VALU_DEP_1) | instskip(NEXT) | instid1(VALU_DEP_1)
	v_div_fmas_f64 v[126:127], v[126:127], v[128:129], v[130:131]
	v_div_fixup_f64 v[126:127], v[126:127], v[176:177], v[178:179]
	s_delay_alu instid0(VALU_DEP_1) | instskip(NEXT) | instid1(VALU_DEP_1)
	v_fma_f64 v[128:129], v[178:179], v[126:127], v[176:177]
	v_div_scale_f64 v[130:131], null, v[128:129], v[128:129], 1.0
	s_delay_alu instid0(VALU_DEP_1) | instskip(SKIP_2) | instid1(VALU_DEP_1)
	v_rcp_f64_e32 v[176:177], v[130:131]
	s_waitcnt_depctr 0xfff
	v_fma_f64 v[178:179], -v[130:131], v[176:177], 1.0
	v_fma_f64 v[176:177], v[176:177], v[178:179], v[176:177]
	s_delay_alu instid0(VALU_DEP_1) | instskip(NEXT) | instid1(VALU_DEP_1)
	v_fma_f64 v[178:179], -v[130:131], v[176:177], 1.0
	v_fma_f64 v[176:177], v[176:177], v[178:179], v[176:177]
	v_div_scale_f64 v[178:179], vcc_lo, 1.0, v[128:129], 1.0
	s_delay_alu instid0(VALU_DEP_1) | instskip(NEXT) | instid1(VALU_DEP_1)
	v_mul_f64 v[180:181], v[178:179], v[176:177]
	v_fma_f64 v[130:131], -v[130:131], v[180:181], v[178:179]
	s_delay_alu instid0(VALU_DEP_1) | instskip(NEXT) | instid1(VALU_DEP_1)
	v_div_fmas_f64 v[130:131], v[130:131], v[176:177], v[180:181]
	v_div_fixup_f64 v[128:129], v[130:131], v[128:129], 1.0
	s_delay_alu instid0(VALU_DEP_1)
	v_mul_f64 v[182:183], v[126:127], -v[128:129]
.LBB63_115:
	s_or_b32 exec_lo, exec_lo, s3
	ds_store_2addr_b64 v124, v[128:129], v[182:183] offset1:1
.LBB63_116:
	s_or_b32 exec_lo, exec_lo, s4
	s_waitcnt lgkmcnt(0)
	s_barrier
	buffer_gl0_inv
	ds_load_2addr_b64 v[176:179], v124 offset1:1
	s_mov_b32 s3, exec_lo
	v_cmpx_lt_u32_e32 12, v252
	s_cbranch_execz .LBB63_118
; %bb.117:
	s_waitcnt lgkmcnt(0)
	v_mul_f64 v[126:127], v[178:179], v[78:79]
	v_mul_f64 v[78:79], v[176:177], v[78:79]
	s_delay_alu instid0(VALU_DEP_2) | instskip(NEXT) | instid1(VALU_DEP_2)
	v_fma_f64 v[180:181], v[176:177], v[76:77], -v[126:127]
	v_fma_f64 v[78:79], v[178:179], v[76:77], v[78:79]
	ds_load_2addr_b64 v[126:129], v125 offset0:26 offset1:27
	s_waitcnt lgkmcnt(0)
	v_mul_f64 v[76:77], v[128:129], v[78:79]
	s_delay_alu instid0(VALU_DEP_1) | instskip(SKIP_1) | instid1(VALU_DEP_2)
	v_fma_f64 v[76:77], v[126:127], v[180:181], -v[76:77]
	v_mul_f64 v[126:127], v[126:127], v[78:79]
	v_add_f64 v[72:73], v[72:73], -v[76:77]
	s_delay_alu instid0(VALU_DEP_2) | instskip(NEXT) | instid1(VALU_DEP_1)
	v_fma_f64 v[126:127], v[128:129], v[180:181], v[126:127]
	v_add_f64 v[74:75], v[74:75], -v[126:127]
	ds_load_2addr_b64 v[126:129], v125 offset0:28 offset1:29
	s_waitcnt lgkmcnt(0)
	v_mul_f64 v[76:77], v[128:129], v[78:79]
	s_delay_alu instid0(VALU_DEP_1) | instskip(SKIP_1) | instid1(VALU_DEP_2)
	v_fma_f64 v[76:77], v[126:127], v[180:181], -v[76:77]
	v_mul_f64 v[126:127], v[126:127], v[78:79]
	v_add_f64 v[68:69], v[68:69], -v[76:77]
	s_delay_alu instid0(VALU_DEP_2) | instskip(NEXT) | instid1(VALU_DEP_1)
	v_fma_f64 v[126:127], v[128:129], v[180:181], v[126:127]
	v_add_f64 v[70:71], v[70:71], -v[126:127]
	ds_load_2addr_b64 v[126:129], v125 offset0:30 offset1:31
	s_waitcnt lgkmcnt(0)
	v_mul_f64 v[76:77], v[128:129], v[78:79]
	s_delay_alu instid0(VALU_DEP_1) | instskip(SKIP_1) | instid1(VALU_DEP_2)
	v_fma_f64 v[76:77], v[126:127], v[180:181], -v[76:77]
	v_mul_f64 v[126:127], v[126:127], v[78:79]
	v_add_f64 v[64:65], v[64:65], -v[76:77]
	s_delay_alu instid0(VALU_DEP_2) | instskip(NEXT) | instid1(VALU_DEP_1)
	v_fma_f64 v[126:127], v[128:129], v[180:181], v[126:127]
	v_add_f64 v[66:67], v[66:67], -v[126:127]
	ds_load_2addr_b64 v[126:129], v125 offset0:32 offset1:33
	s_waitcnt lgkmcnt(0)
	v_mul_f64 v[76:77], v[128:129], v[78:79]
	s_delay_alu instid0(VALU_DEP_1) | instskip(SKIP_1) | instid1(VALU_DEP_2)
	v_fma_f64 v[76:77], v[126:127], v[180:181], -v[76:77]
	v_mul_f64 v[126:127], v[126:127], v[78:79]
	v_add_f64 v[60:61], v[60:61], -v[76:77]
	s_delay_alu instid0(VALU_DEP_2) | instskip(NEXT) | instid1(VALU_DEP_1)
	v_fma_f64 v[126:127], v[128:129], v[180:181], v[126:127]
	v_add_f64 v[62:63], v[62:63], -v[126:127]
	ds_load_2addr_b64 v[126:129], v125 offset0:34 offset1:35
	s_waitcnt lgkmcnt(0)
	v_mul_f64 v[76:77], v[128:129], v[78:79]
	s_delay_alu instid0(VALU_DEP_1) | instskip(SKIP_1) | instid1(VALU_DEP_2)
	v_fma_f64 v[76:77], v[126:127], v[180:181], -v[76:77]
	v_mul_f64 v[126:127], v[126:127], v[78:79]
	v_add_f64 v[56:57], v[56:57], -v[76:77]
	s_delay_alu instid0(VALU_DEP_2) | instskip(NEXT) | instid1(VALU_DEP_1)
	v_fma_f64 v[126:127], v[128:129], v[180:181], v[126:127]
	v_add_f64 v[58:59], v[58:59], -v[126:127]
	ds_load_2addr_b64 v[126:129], v125 offset0:36 offset1:37
	s_waitcnt lgkmcnt(0)
	v_mul_f64 v[76:77], v[128:129], v[78:79]
	s_delay_alu instid0(VALU_DEP_1) | instskip(SKIP_1) | instid1(VALU_DEP_2)
	v_fma_f64 v[76:77], v[126:127], v[180:181], -v[76:77]
	v_mul_f64 v[126:127], v[126:127], v[78:79]
	v_add_f64 v[52:53], v[52:53], -v[76:77]
	s_delay_alu instid0(VALU_DEP_2) | instskip(NEXT) | instid1(VALU_DEP_1)
	v_fma_f64 v[126:127], v[128:129], v[180:181], v[126:127]
	v_add_f64 v[54:55], v[54:55], -v[126:127]
	ds_load_2addr_b64 v[126:129], v125 offset0:38 offset1:39
	s_waitcnt lgkmcnt(0)
	v_mul_f64 v[76:77], v[128:129], v[78:79]
	s_delay_alu instid0(VALU_DEP_1) | instskip(SKIP_1) | instid1(VALU_DEP_2)
	v_fma_f64 v[76:77], v[126:127], v[180:181], -v[76:77]
	v_mul_f64 v[126:127], v[126:127], v[78:79]
	v_add_f64 v[48:49], v[48:49], -v[76:77]
	s_delay_alu instid0(VALU_DEP_2) | instskip(NEXT) | instid1(VALU_DEP_1)
	v_fma_f64 v[126:127], v[128:129], v[180:181], v[126:127]
	v_add_f64 v[50:51], v[50:51], -v[126:127]
	ds_load_2addr_b64 v[126:129], v125 offset0:40 offset1:41
	s_waitcnt lgkmcnt(0)
	v_mul_f64 v[76:77], v[128:129], v[78:79]
	s_delay_alu instid0(VALU_DEP_1) | instskip(SKIP_1) | instid1(VALU_DEP_2)
	v_fma_f64 v[76:77], v[126:127], v[180:181], -v[76:77]
	v_mul_f64 v[126:127], v[126:127], v[78:79]
	v_add_f64 v[44:45], v[44:45], -v[76:77]
	s_delay_alu instid0(VALU_DEP_2) | instskip(NEXT) | instid1(VALU_DEP_1)
	v_fma_f64 v[126:127], v[128:129], v[180:181], v[126:127]
	v_add_f64 v[46:47], v[46:47], -v[126:127]
	ds_load_2addr_b64 v[126:129], v125 offset0:42 offset1:43
	s_waitcnt lgkmcnt(0)
	v_mul_f64 v[76:77], v[128:129], v[78:79]
	s_delay_alu instid0(VALU_DEP_1) | instskip(SKIP_1) | instid1(VALU_DEP_2)
	v_fma_f64 v[76:77], v[126:127], v[180:181], -v[76:77]
	v_mul_f64 v[126:127], v[126:127], v[78:79]
	v_add_f64 v[40:41], v[40:41], -v[76:77]
	s_delay_alu instid0(VALU_DEP_2) | instskip(NEXT) | instid1(VALU_DEP_1)
	v_fma_f64 v[126:127], v[128:129], v[180:181], v[126:127]
	v_add_f64 v[42:43], v[42:43], -v[126:127]
	ds_load_2addr_b64 v[126:129], v125 offset0:44 offset1:45
	s_waitcnt lgkmcnt(0)
	v_mul_f64 v[76:77], v[128:129], v[78:79]
	s_delay_alu instid0(VALU_DEP_1) | instskip(SKIP_1) | instid1(VALU_DEP_2)
	v_fma_f64 v[76:77], v[126:127], v[180:181], -v[76:77]
	v_mul_f64 v[126:127], v[126:127], v[78:79]
	v_add_f64 v[36:37], v[36:37], -v[76:77]
	s_delay_alu instid0(VALU_DEP_2) | instskip(NEXT) | instid1(VALU_DEP_1)
	v_fma_f64 v[126:127], v[128:129], v[180:181], v[126:127]
	v_add_f64 v[38:39], v[38:39], -v[126:127]
	ds_load_2addr_b64 v[126:129], v125 offset0:46 offset1:47
	s_waitcnt lgkmcnt(0)
	v_mul_f64 v[76:77], v[128:129], v[78:79]
	s_delay_alu instid0(VALU_DEP_1) | instskip(SKIP_1) | instid1(VALU_DEP_2)
	v_fma_f64 v[76:77], v[126:127], v[180:181], -v[76:77]
	v_mul_f64 v[126:127], v[126:127], v[78:79]
	v_add_f64 v[32:33], v[32:33], -v[76:77]
	s_delay_alu instid0(VALU_DEP_2) | instskip(NEXT) | instid1(VALU_DEP_1)
	v_fma_f64 v[126:127], v[128:129], v[180:181], v[126:127]
	v_add_f64 v[34:35], v[34:35], -v[126:127]
	ds_load_2addr_b64 v[126:129], v125 offset0:48 offset1:49
	s_waitcnt lgkmcnt(0)
	v_mul_f64 v[76:77], v[128:129], v[78:79]
	s_delay_alu instid0(VALU_DEP_1) | instskip(SKIP_1) | instid1(VALU_DEP_2)
	v_fma_f64 v[76:77], v[126:127], v[180:181], -v[76:77]
	v_mul_f64 v[126:127], v[126:127], v[78:79]
	v_add_f64 v[28:29], v[28:29], -v[76:77]
	s_delay_alu instid0(VALU_DEP_2) | instskip(NEXT) | instid1(VALU_DEP_1)
	v_fma_f64 v[126:127], v[128:129], v[180:181], v[126:127]
	v_add_f64 v[30:31], v[30:31], -v[126:127]
	ds_load_2addr_b64 v[126:129], v125 offset0:50 offset1:51
	s_waitcnt lgkmcnt(0)
	v_mul_f64 v[76:77], v[128:129], v[78:79]
	s_delay_alu instid0(VALU_DEP_1) | instskip(SKIP_1) | instid1(VALU_DEP_2)
	v_fma_f64 v[76:77], v[126:127], v[180:181], -v[76:77]
	v_mul_f64 v[126:127], v[126:127], v[78:79]
	v_add_f64 v[24:25], v[24:25], -v[76:77]
	s_delay_alu instid0(VALU_DEP_2) | instskip(NEXT) | instid1(VALU_DEP_1)
	v_fma_f64 v[126:127], v[128:129], v[180:181], v[126:127]
	v_add_f64 v[26:27], v[26:27], -v[126:127]
	ds_load_2addr_b64 v[126:129], v125 offset0:52 offset1:53
	s_waitcnt lgkmcnt(0)
	v_mul_f64 v[76:77], v[128:129], v[78:79]
	s_delay_alu instid0(VALU_DEP_1) | instskip(SKIP_1) | instid1(VALU_DEP_2)
	v_fma_f64 v[76:77], v[126:127], v[180:181], -v[76:77]
	v_mul_f64 v[126:127], v[126:127], v[78:79]
	v_add_f64 v[20:21], v[20:21], -v[76:77]
	s_delay_alu instid0(VALU_DEP_2) | instskip(NEXT) | instid1(VALU_DEP_1)
	v_fma_f64 v[126:127], v[128:129], v[180:181], v[126:127]
	v_add_f64 v[22:23], v[22:23], -v[126:127]
	ds_load_2addr_b64 v[126:129], v125 offset0:54 offset1:55
	s_waitcnt lgkmcnt(0)
	v_mul_f64 v[76:77], v[128:129], v[78:79]
	s_delay_alu instid0(VALU_DEP_1) | instskip(SKIP_1) | instid1(VALU_DEP_2)
	v_fma_f64 v[76:77], v[126:127], v[180:181], -v[76:77]
	v_mul_f64 v[126:127], v[126:127], v[78:79]
	v_add_f64 v[16:17], v[16:17], -v[76:77]
	s_delay_alu instid0(VALU_DEP_2) | instskip(NEXT) | instid1(VALU_DEP_1)
	v_fma_f64 v[126:127], v[128:129], v[180:181], v[126:127]
	v_add_f64 v[18:19], v[18:19], -v[126:127]
	ds_load_2addr_b64 v[126:129], v125 offset0:56 offset1:57
	s_waitcnt lgkmcnt(0)
	v_mul_f64 v[76:77], v[128:129], v[78:79]
	s_delay_alu instid0(VALU_DEP_1) | instskip(SKIP_1) | instid1(VALU_DEP_2)
	v_fma_f64 v[76:77], v[126:127], v[180:181], -v[76:77]
	v_mul_f64 v[126:127], v[126:127], v[78:79]
	v_add_f64 v[12:13], v[12:13], -v[76:77]
	s_delay_alu instid0(VALU_DEP_2) | instskip(NEXT) | instid1(VALU_DEP_1)
	v_fma_f64 v[126:127], v[128:129], v[180:181], v[126:127]
	v_add_f64 v[14:15], v[14:15], -v[126:127]
	ds_load_2addr_b64 v[126:129], v125 offset0:58 offset1:59
	s_waitcnt lgkmcnt(0)
	v_mul_f64 v[76:77], v[128:129], v[78:79]
	s_delay_alu instid0(VALU_DEP_1) | instskip(SKIP_1) | instid1(VALU_DEP_2)
	v_fma_f64 v[76:77], v[126:127], v[180:181], -v[76:77]
	v_mul_f64 v[126:127], v[126:127], v[78:79]
	v_add_f64 v[8:9], v[8:9], -v[76:77]
	s_delay_alu instid0(VALU_DEP_2) | instskip(NEXT) | instid1(VALU_DEP_1)
	v_fma_f64 v[126:127], v[128:129], v[180:181], v[126:127]
	v_add_f64 v[10:11], v[10:11], -v[126:127]
	ds_load_2addr_b64 v[126:129], v125 offset0:60 offset1:61
	s_waitcnt lgkmcnt(0)
	v_mul_f64 v[76:77], v[128:129], v[78:79]
	s_delay_alu instid0(VALU_DEP_1) | instskip(SKIP_1) | instid1(VALU_DEP_2)
	v_fma_f64 v[76:77], v[126:127], v[180:181], -v[76:77]
	v_mul_f64 v[126:127], v[126:127], v[78:79]
	v_add_f64 v[4:5], v[4:5], -v[76:77]
	s_delay_alu instid0(VALU_DEP_2) | instskip(NEXT) | instid1(VALU_DEP_1)
	v_fma_f64 v[126:127], v[128:129], v[180:181], v[126:127]
	v_add_f64 v[6:7], v[6:7], -v[126:127]
	ds_load_2addr_b64 v[126:129], v125 offset0:62 offset1:63
	s_waitcnt lgkmcnt(0)
	v_mul_f64 v[76:77], v[128:129], v[78:79]
	s_delay_alu instid0(VALU_DEP_1) | instskip(SKIP_1) | instid1(VALU_DEP_2)
	v_fma_f64 v[76:77], v[126:127], v[180:181], -v[76:77]
	v_mul_f64 v[126:127], v[126:127], v[78:79]
	v_add_f64 v[0:1], v[0:1], -v[76:77]
	s_delay_alu instid0(VALU_DEP_2) | instskip(SKIP_1) | instid1(VALU_DEP_2)
	v_fma_f64 v[126:127], v[128:129], v[180:181], v[126:127]
	v_dual_mov_b32 v76, v180 :: v_dual_mov_b32 v77, v181
	v_add_f64 v[2:3], v[2:3], -v[126:127]
.LBB63_118:
	s_or_b32 exec_lo, exec_lo, s3
	s_delay_alu instid0(SALU_CYCLE_1)
	s_mov_b32 s4, exec_lo
	s_waitcnt lgkmcnt(0)
	s_barrier
	buffer_gl0_inv
	v_cmpx_eq_u32_e32 13, v252
	s_cbranch_execz .LBB63_125
; %bb.119:
	ds_store_2addr_b64 v124, v[72:73], v[74:75] offset1:1
	ds_store_2addr_b64 v125, v[68:69], v[70:71] offset0:28 offset1:29
	ds_store_2addr_b64 v125, v[64:65], v[66:67] offset0:30 offset1:31
	;; [unrolled: 1-line block ×18, first 2 shown]
	ds_load_2addr_b64 v[180:183], v124 offset1:1
	s_waitcnt lgkmcnt(0)
	v_cmp_neq_f64_e32 vcc_lo, 0, v[180:181]
	v_cmp_neq_f64_e64 s3, 0, v[182:183]
	s_delay_alu instid0(VALU_DEP_1) | instskip(NEXT) | instid1(SALU_CYCLE_1)
	s_or_b32 s3, vcc_lo, s3
	s_and_b32 exec_lo, exec_lo, s3
	s_cbranch_execz .LBB63_125
; %bb.120:
	v_cmp_gt_f64_e32 vcc_lo, 0, v[180:181]
	v_xor_b32_e32 v126, 0x80000000, v181
	v_xor_b32_e32 v128, 0x80000000, v183
	s_delay_alu instid0(VALU_DEP_2) | instskip(SKIP_1) | instid1(VALU_DEP_3)
	v_dual_cndmask_b32 v127, v181, v126 :: v_dual_cndmask_b32 v126, v180, v180
	v_cmp_gt_f64_e32 vcc_lo, 0, v[182:183]
	v_dual_cndmask_b32 v129, v183, v128 :: v_dual_cndmask_b32 v128, v182, v182
	s_delay_alu instid0(VALU_DEP_1) | instskip(SKIP_1) | instid1(SALU_CYCLE_1)
	v_cmp_ngt_f64_e32 vcc_lo, v[126:127], v[128:129]
                                        ; implicit-def: $vgpr128_vgpr129
	s_and_saveexec_b32 s3, vcc_lo
	s_xor_b32 s3, exec_lo, s3
                                        ; implicit-def: $vgpr184_vgpr185_vgpr186_vgpr187
	s_cbranch_execz .LBB63_122
; %bb.121:
	v_div_scale_f64 v[126:127], null, v[182:183], v[182:183], v[180:181]
	v_div_scale_f64 v[184:185], vcc_lo, v[180:181], v[182:183], v[180:181]
	s_delay_alu instid0(VALU_DEP_2) | instskip(SKIP_2) | instid1(VALU_DEP_1)
	v_rcp_f64_e32 v[128:129], v[126:127]
	s_waitcnt_depctr 0xfff
	v_fma_f64 v[130:131], -v[126:127], v[128:129], 1.0
	v_fma_f64 v[128:129], v[128:129], v[130:131], v[128:129]
	s_delay_alu instid0(VALU_DEP_1) | instskip(NEXT) | instid1(VALU_DEP_1)
	v_fma_f64 v[130:131], -v[126:127], v[128:129], 1.0
	v_fma_f64 v[128:129], v[128:129], v[130:131], v[128:129]
	s_delay_alu instid0(VALU_DEP_1) | instskip(NEXT) | instid1(VALU_DEP_1)
	v_mul_f64 v[130:131], v[184:185], v[128:129]
	v_fma_f64 v[126:127], -v[126:127], v[130:131], v[184:185]
	s_delay_alu instid0(VALU_DEP_1) | instskip(NEXT) | instid1(VALU_DEP_1)
	v_div_fmas_f64 v[126:127], v[126:127], v[128:129], v[130:131]
	v_div_fixup_f64 v[126:127], v[126:127], v[182:183], v[180:181]
	s_delay_alu instid0(VALU_DEP_1) | instskip(NEXT) | instid1(VALU_DEP_1)
	v_fma_f64 v[128:129], v[180:181], v[126:127], v[182:183]
	v_div_scale_f64 v[130:131], null, v[128:129], v[128:129], 1.0
	s_delay_alu instid0(VALU_DEP_1) | instskip(SKIP_2) | instid1(VALU_DEP_1)
	v_rcp_f64_e32 v[180:181], v[130:131]
	s_waitcnt_depctr 0xfff
	v_fma_f64 v[182:183], -v[130:131], v[180:181], 1.0
	v_fma_f64 v[180:181], v[180:181], v[182:183], v[180:181]
	s_delay_alu instid0(VALU_DEP_1) | instskip(NEXT) | instid1(VALU_DEP_1)
	v_fma_f64 v[182:183], -v[130:131], v[180:181], 1.0
	v_fma_f64 v[180:181], v[180:181], v[182:183], v[180:181]
	v_div_scale_f64 v[182:183], vcc_lo, 1.0, v[128:129], 1.0
	s_delay_alu instid0(VALU_DEP_1) | instskip(NEXT) | instid1(VALU_DEP_1)
	v_mul_f64 v[184:185], v[182:183], v[180:181]
	v_fma_f64 v[130:131], -v[130:131], v[184:185], v[182:183]
	s_delay_alu instid0(VALU_DEP_1) | instskip(NEXT) | instid1(VALU_DEP_1)
	v_div_fmas_f64 v[130:131], v[130:131], v[180:181], v[184:185]
                                        ; implicit-def: $vgpr180_vgpr181
	v_div_fixup_f64 v[186:187], v[130:131], v[128:129], 1.0
	s_delay_alu instid0(VALU_DEP_1)
	v_mul_f64 v[128:129], v[126:127], v[186:187]
	v_xor_b32_e32 v187, 0x80000000, v187
.LBB63_122:
	s_and_not1_saveexec_b32 s3, s3
	s_cbranch_execz .LBB63_124
; %bb.123:
	v_div_scale_f64 v[126:127], null, v[180:181], v[180:181], v[182:183]
	v_div_scale_f64 v[184:185], vcc_lo, v[182:183], v[180:181], v[182:183]
	s_delay_alu instid0(VALU_DEP_2) | instskip(SKIP_2) | instid1(VALU_DEP_1)
	v_rcp_f64_e32 v[128:129], v[126:127]
	s_waitcnt_depctr 0xfff
	v_fma_f64 v[130:131], -v[126:127], v[128:129], 1.0
	v_fma_f64 v[128:129], v[128:129], v[130:131], v[128:129]
	s_delay_alu instid0(VALU_DEP_1) | instskip(NEXT) | instid1(VALU_DEP_1)
	v_fma_f64 v[130:131], -v[126:127], v[128:129], 1.0
	v_fma_f64 v[128:129], v[128:129], v[130:131], v[128:129]
	s_delay_alu instid0(VALU_DEP_1) | instskip(NEXT) | instid1(VALU_DEP_1)
	v_mul_f64 v[130:131], v[184:185], v[128:129]
	v_fma_f64 v[126:127], -v[126:127], v[130:131], v[184:185]
	s_delay_alu instid0(VALU_DEP_1) | instskip(NEXT) | instid1(VALU_DEP_1)
	v_div_fmas_f64 v[126:127], v[126:127], v[128:129], v[130:131]
	v_div_fixup_f64 v[126:127], v[126:127], v[180:181], v[182:183]
	s_delay_alu instid0(VALU_DEP_1) | instskip(NEXT) | instid1(VALU_DEP_1)
	v_fma_f64 v[128:129], v[182:183], v[126:127], v[180:181]
	v_div_scale_f64 v[130:131], null, v[128:129], v[128:129], 1.0
	s_delay_alu instid0(VALU_DEP_1) | instskip(SKIP_2) | instid1(VALU_DEP_1)
	v_rcp_f64_e32 v[180:181], v[130:131]
	s_waitcnt_depctr 0xfff
	v_fma_f64 v[182:183], -v[130:131], v[180:181], 1.0
	v_fma_f64 v[180:181], v[180:181], v[182:183], v[180:181]
	s_delay_alu instid0(VALU_DEP_1) | instskip(NEXT) | instid1(VALU_DEP_1)
	v_fma_f64 v[182:183], -v[130:131], v[180:181], 1.0
	v_fma_f64 v[180:181], v[180:181], v[182:183], v[180:181]
	v_div_scale_f64 v[182:183], vcc_lo, 1.0, v[128:129], 1.0
	s_delay_alu instid0(VALU_DEP_1) | instskip(NEXT) | instid1(VALU_DEP_1)
	v_mul_f64 v[184:185], v[182:183], v[180:181]
	v_fma_f64 v[130:131], -v[130:131], v[184:185], v[182:183]
	s_delay_alu instid0(VALU_DEP_1) | instskip(NEXT) | instid1(VALU_DEP_1)
	v_div_fmas_f64 v[130:131], v[130:131], v[180:181], v[184:185]
	v_div_fixup_f64 v[128:129], v[130:131], v[128:129], 1.0
	s_delay_alu instid0(VALU_DEP_1)
	v_mul_f64 v[186:187], v[126:127], -v[128:129]
.LBB63_124:
	s_or_b32 exec_lo, exec_lo, s3
	ds_store_2addr_b64 v124, v[128:129], v[186:187] offset1:1
.LBB63_125:
	s_or_b32 exec_lo, exec_lo, s4
	s_waitcnt lgkmcnt(0)
	s_barrier
	buffer_gl0_inv
	ds_load_2addr_b64 v[180:183], v124 offset1:1
	s_mov_b32 s3, exec_lo
	v_cmpx_lt_u32_e32 13, v252
	s_cbranch_execz .LBB63_127
; %bb.126:
	s_waitcnt lgkmcnt(0)
	v_mul_f64 v[126:127], v[182:183], v[74:75]
	v_mul_f64 v[74:75], v[180:181], v[74:75]
	s_delay_alu instid0(VALU_DEP_2) | instskip(NEXT) | instid1(VALU_DEP_2)
	v_fma_f64 v[184:185], v[180:181], v[72:73], -v[126:127]
	v_fma_f64 v[74:75], v[182:183], v[72:73], v[74:75]
	ds_load_2addr_b64 v[126:129], v125 offset0:28 offset1:29
	s_waitcnt lgkmcnt(0)
	v_mul_f64 v[72:73], v[128:129], v[74:75]
	s_delay_alu instid0(VALU_DEP_1) | instskip(SKIP_1) | instid1(VALU_DEP_2)
	v_fma_f64 v[72:73], v[126:127], v[184:185], -v[72:73]
	v_mul_f64 v[126:127], v[126:127], v[74:75]
	v_add_f64 v[68:69], v[68:69], -v[72:73]
	s_delay_alu instid0(VALU_DEP_2) | instskip(NEXT) | instid1(VALU_DEP_1)
	v_fma_f64 v[126:127], v[128:129], v[184:185], v[126:127]
	v_add_f64 v[70:71], v[70:71], -v[126:127]
	ds_load_2addr_b64 v[126:129], v125 offset0:30 offset1:31
	s_waitcnt lgkmcnt(0)
	v_mul_f64 v[72:73], v[128:129], v[74:75]
	s_delay_alu instid0(VALU_DEP_1) | instskip(SKIP_1) | instid1(VALU_DEP_2)
	v_fma_f64 v[72:73], v[126:127], v[184:185], -v[72:73]
	v_mul_f64 v[126:127], v[126:127], v[74:75]
	v_add_f64 v[64:65], v[64:65], -v[72:73]
	s_delay_alu instid0(VALU_DEP_2) | instskip(NEXT) | instid1(VALU_DEP_1)
	v_fma_f64 v[126:127], v[128:129], v[184:185], v[126:127]
	v_add_f64 v[66:67], v[66:67], -v[126:127]
	;; [unrolled: 10-line block ×17, first 2 shown]
	ds_load_2addr_b64 v[126:129], v125 offset0:62 offset1:63
	s_waitcnt lgkmcnt(0)
	v_mul_f64 v[72:73], v[128:129], v[74:75]
	s_delay_alu instid0(VALU_DEP_1) | instskip(SKIP_1) | instid1(VALU_DEP_2)
	v_fma_f64 v[72:73], v[126:127], v[184:185], -v[72:73]
	v_mul_f64 v[126:127], v[126:127], v[74:75]
	v_add_f64 v[0:1], v[0:1], -v[72:73]
	s_delay_alu instid0(VALU_DEP_2) | instskip(SKIP_1) | instid1(VALU_DEP_2)
	v_fma_f64 v[126:127], v[128:129], v[184:185], v[126:127]
	v_dual_mov_b32 v72, v184 :: v_dual_mov_b32 v73, v185
	v_add_f64 v[2:3], v[2:3], -v[126:127]
.LBB63_127:
	s_or_b32 exec_lo, exec_lo, s3
	s_delay_alu instid0(SALU_CYCLE_1)
	s_mov_b32 s4, exec_lo
	s_waitcnt lgkmcnt(0)
	s_barrier
	buffer_gl0_inv
	v_cmpx_eq_u32_e32 14, v252
	s_cbranch_execz .LBB63_134
; %bb.128:
	ds_store_2addr_b64 v124, v[68:69], v[70:71] offset1:1
	ds_store_2addr_b64 v125, v[64:65], v[66:67] offset0:30 offset1:31
	ds_store_2addr_b64 v125, v[60:61], v[62:63] offset0:32 offset1:33
	;; [unrolled: 1-line block ×17, first 2 shown]
	ds_load_2addr_b64 v[184:187], v124 offset1:1
	s_waitcnt lgkmcnt(0)
	v_cmp_neq_f64_e32 vcc_lo, 0, v[184:185]
	v_cmp_neq_f64_e64 s3, 0, v[186:187]
	s_delay_alu instid0(VALU_DEP_1) | instskip(NEXT) | instid1(SALU_CYCLE_1)
	s_or_b32 s3, vcc_lo, s3
	s_and_b32 exec_lo, exec_lo, s3
	s_cbranch_execz .LBB63_134
; %bb.129:
	v_cmp_gt_f64_e32 vcc_lo, 0, v[184:185]
	v_xor_b32_e32 v126, 0x80000000, v185
	v_xor_b32_e32 v128, 0x80000000, v187
	s_delay_alu instid0(VALU_DEP_2) | instskip(SKIP_1) | instid1(VALU_DEP_3)
	v_dual_cndmask_b32 v127, v185, v126 :: v_dual_cndmask_b32 v126, v184, v184
	v_cmp_gt_f64_e32 vcc_lo, 0, v[186:187]
	v_dual_cndmask_b32 v129, v187, v128 :: v_dual_cndmask_b32 v128, v186, v186
	s_delay_alu instid0(VALU_DEP_1) | instskip(SKIP_1) | instid1(SALU_CYCLE_1)
	v_cmp_ngt_f64_e32 vcc_lo, v[126:127], v[128:129]
                                        ; implicit-def: $vgpr128_vgpr129
	s_and_saveexec_b32 s3, vcc_lo
	s_xor_b32 s3, exec_lo, s3
                                        ; implicit-def: $vgpr188_vgpr189_vgpr190_vgpr191
	s_cbranch_execz .LBB63_131
; %bb.130:
	v_div_scale_f64 v[126:127], null, v[186:187], v[186:187], v[184:185]
	v_div_scale_f64 v[188:189], vcc_lo, v[184:185], v[186:187], v[184:185]
	s_delay_alu instid0(VALU_DEP_2) | instskip(SKIP_2) | instid1(VALU_DEP_1)
	v_rcp_f64_e32 v[128:129], v[126:127]
	s_waitcnt_depctr 0xfff
	v_fma_f64 v[130:131], -v[126:127], v[128:129], 1.0
	v_fma_f64 v[128:129], v[128:129], v[130:131], v[128:129]
	s_delay_alu instid0(VALU_DEP_1) | instskip(NEXT) | instid1(VALU_DEP_1)
	v_fma_f64 v[130:131], -v[126:127], v[128:129], 1.0
	v_fma_f64 v[128:129], v[128:129], v[130:131], v[128:129]
	s_delay_alu instid0(VALU_DEP_1) | instskip(NEXT) | instid1(VALU_DEP_1)
	v_mul_f64 v[130:131], v[188:189], v[128:129]
	v_fma_f64 v[126:127], -v[126:127], v[130:131], v[188:189]
	s_delay_alu instid0(VALU_DEP_1) | instskip(NEXT) | instid1(VALU_DEP_1)
	v_div_fmas_f64 v[126:127], v[126:127], v[128:129], v[130:131]
	v_div_fixup_f64 v[126:127], v[126:127], v[186:187], v[184:185]
	s_delay_alu instid0(VALU_DEP_1) | instskip(NEXT) | instid1(VALU_DEP_1)
	v_fma_f64 v[128:129], v[184:185], v[126:127], v[186:187]
	v_div_scale_f64 v[130:131], null, v[128:129], v[128:129], 1.0
	s_delay_alu instid0(VALU_DEP_1) | instskip(SKIP_2) | instid1(VALU_DEP_1)
	v_rcp_f64_e32 v[184:185], v[130:131]
	s_waitcnt_depctr 0xfff
	v_fma_f64 v[186:187], -v[130:131], v[184:185], 1.0
	v_fma_f64 v[184:185], v[184:185], v[186:187], v[184:185]
	s_delay_alu instid0(VALU_DEP_1) | instskip(NEXT) | instid1(VALU_DEP_1)
	v_fma_f64 v[186:187], -v[130:131], v[184:185], 1.0
	v_fma_f64 v[184:185], v[184:185], v[186:187], v[184:185]
	v_div_scale_f64 v[186:187], vcc_lo, 1.0, v[128:129], 1.0
	s_delay_alu instid0(VALU_DEP_1) | instskip(NEXT) | instid1(VALU_DEP_1)
	v_mul_f64 v[188:189], v[186:187], v[184:185]
	v_fma_f64 v[130:131], -v[130:131], v[188:189], v[186:187]
	s_delay_alu instid0(VALU_DEP_1) | instskip(NEXT) | instid1(VALU_DEP_1)
	v_div_fmas_f64 v[130:131], v[130:131], v[184:185], v[188:189]
                                        ; implicit-def: $vgpr184_vgpr185
	v_div_fixup_f64 v[190:191], v[130:131], v[128:129], 1.0
	s_delay_alu instid0(VALU_DEP_1)
	v_mul_f64 v[128:129], v[126:127], v[190:191]
	v_xor_b32_e32 v191, 0x80000000, v191
.LBB63_131:
	s_and_not1_saveexec_b32 s3, s3
	s_cbranch_execz .LBB63_133
; %bb.132:
	v_div_scale_f64 v[126:127], null, v[184:185], v[184:185], v[186:187]
	v_div_scale_f64 v[188:189], vcc_lo, v[186:187], v[184:185], v[186:187]
	s_delay_alu instid0(VALU_DEP_2) | instskip(SKIP_2) | instid1(VALU_DEP_1)
	v_rcp_f64_e32 v[128:129], v[126:127]
	s_waitcnt_depctr 0xfff
	v_fma_f64 v[130:131], -v[126:127], v[128:129], 1.0
	v_fma_f64 v[128:129], v[128:129], v[130:131], v[128:129]
	s_delay_alu instid0(VALU_DEP_1) | instskip(NEXT) | instid1(VALU_DEP_1)
	v_fma_f64 v[130:131], -v[126:127], v[128:129], 1.0
	v_fma_f64 v[128:129], v[128:129], v[130:131], v[128:129]
	s_delay_alu instid0(VALU_DEP_1) | instskip(NEXT) | instid1(VALU_DEP_1)
	v_mul_f64 v[130:131], v[188:189], v[128:129]
	v_fma_f64 v[126:127], -v[126:127], v[130:131], v[188:189]
	s_delay_alu instid0(VALU_DEP_1) | instskip(NEXT) | instid1(VALU_DEP_1)
	v_div_fmas_f64 v[126:127], v[126:127], v[128:129], v[130:131]
	v_div_fixup_f64 v[126:127], v[126:127], v[184:185], v[186:187]
	s_delay_alu instid0(VALU_DEP_1) | instskip(NEXT) | instid1(VALU_DEP_1)
	v_fma_f64 v[128:129], v[186:187], v[126:127], v[184:185]
	v_div_scale_f64 v[130:131], null, v[128:129], v[128:129], 1.0
	s_delay_alu instid0(VALU_DEP_1) | instskip(SKIP_2) | instid1(VALU_DEP_1)
	v_rcp_f64_e32 v[184:185], v[130:131]
	s_waitcnt_depctr 0xfff
	v_fma_f64 v[186:187], -v[130:131], v[184:185], 1.0
	v_fma_f64 v[184:185], v[184:185], v[186:187], v[184:185]
	s_delay_alu instid0(VALU_DEP_1) | instskip(NEXT) | instid1(VALU_DEP_1)
	v_fma_f64 v[186:187], -v[130:131], v[184:185], 1.0
	v_fma_f64 v[184:185], v[184:185], v[186:187], v[184:185]
	v_div_scale_f64 v[186:187], vcc_lo, 1.0, v[128:129], 1.0
	s_delay_alu instid0(VALU_DEP_1) | instskip(NEXT) | instid1(VALU_DEP_1)
	v_mul_f64 v[188:189], v[186:187], v[184:185]
	v_fma_f64 v[130:131], -v[130:131], v[188:189], v[186:187]
	s_delay_alu instid0(VALU_DEP_1) | instskip(NEXT) | instid1(VALU_DEP_1)
	v_div_fmas_f64 v[130:131], v[130:131], v[184:185], v[188:189]
	v_div_fixup_f64 v[128:129], v[130:131], v[128:129], 1.0
	s_delay_alu instid0(VALU_DEP_1)
	v_mul_f64 v[190:191], v[126:127], -v[128:129]
.LBB63_133:
	s_or_b32 exec_lo, exec_lo, s3
	ds_store_2addr_b64 v124, v[128:129], v[190:191] offset1:1
.LBB63_134:
	s_or_b32 exec_lo, exec_lo, s4
	s_waitcnt lgkmcnt(0)
	s_barrier
	buffer_gl0_inv
	ds_load_2addr_b64 v[184:187], v124 offset1:1
	s_mov_b32 s3, exec_lo
	v_cmpx_lt_u32_e32 14, v252
	s_cbranch_execz .LBB63_136
; %bb.135:
	s_waitcnt lgkmcnt(0)
	v_mul_f64 v[126:127], v[186:187], v[70:71]
	v_mul_f64 v[70:71], v[184:185], v[70:71]
	s_delay_alu instid0(VALU_DEP_2) | instskip(NEXT) | instid1(VALU_DEP_2)
	v_fma_f64 v[188:189], v[184:185], v[68:69], -v[126:127]
	v_fma_f64 v[70:71], v[186:187], v[68:69], v[70:71]
	ds_load_2addr_b64 v[126:129], v125 offset0:30 offset1:31
	s_waitcnt lgkmcnt(0)
	v_mul_f64 v[68:69], v[128:129], v[70:71]
	s_delay_alu instid0(VALU_DEP_1) | instskip(SKIP_1) | instid1(VALU_DEP_2)
	v_fma_f64 v[68:69], v[126:127], v[188:189], -v[68:69]
	v_mul_f64 v[126:127], v[126:127], v[70:71]
	v_add_f64 v[64:65], v[64:65], -v[68:69]
	s_delay_alu instid0(VALU_DEP_2) | instskip(NEXT) | instid1(VALU_DEP_1)
	v_fma_f64 v[126:127], v[128:129], v[188:189], v[126:127]
	v_add_f64 v[66:67], v[66:67], -v[126:127]
	ds_load_2addr_b64 v[126:129], v125 offset0:32 offset1:33
	s_waitcnt lgkmcnt(0)
	v_mul_f64 v[68:69], v[128:129], v[70:71]
	s_delay_alu instid0(VALU_DEP_1) | instskip(SKIP_1) | instid1(VALU_DEP_2)
	v_fma_f64 v[68:69], v[126:127], v[188:189], -v[68:69]
	v_mul_f64 v[126:127], v[126:127], v[70:71]
	v_add_f64 v[60:61], v[60:61], -v[68:69]
	s_delay_alu instid0(VALU_DEP_2) | instskip(NEXT) | instid1(VALU_DEP_1)
	v_fma_f64 v[126:127], v[128:129], v[188:189], v[126:127]
	v_add_f64 v[62:63], v[62:63], -v[126:127]
	;; [unrolled: 10-line block ×16, first 2 shown]
	ds_load_2addr_b64 v[126:129], v125 offset0:62 offset1:63
	s_waitcnt lgkmcnt(0)
	v_mul_f64 v[68:69], v[128:129], v[70:71]
	s_delay_alu instid0(VALU_DEP_1) | instskip(SKIP_1) | instid1(VALU_DEP_2)
	v_fma_f64 v[68:69], v[126:127], v[188:189], -v[68:69]
	v_mul_f64 v[126:127], v[126:127], v[70:71]
	v_add_f64 v[0:1], v[0:1], -v[68:69]
	s_delay_alu instid0(VALU_DEP_2) | instskip(SKIP_1) | instid1(VALU_DEP_2)
	v_fma_f64 v[126:127], v[128:129], v[188:189], v[126:127]
	v_dual_mov_b32 v68, v188 :: v_dual_mov_b32 v69, v189
	v_add_f64 v[2:3], v[2:3], -v[126:127]
.LBB63_136:
	s_or_b32 exec_lo, exec_lo, s3
	s_delay_alu instid0(SALU_CYCLE_1)
	s_mov_b32 s4, exec_lo
	s_waitcnt lgkmcnt(0)
	s_barrier
	buffer_gl0_inv
	v_cmpx_eq_u32_e32 15, v252
	s_cbranch_execz .LBB63_143
; %bb.137:
	ds_store_2addr_b64 v124, v[64:65], v[66:67] offset1:1
	ds_store_2addr_b64 v125, v[60:61], v[62:63] offset0:32 offset1:33
	ds_store_2addr_b64 v125, v[56:57], v[58:59] offset0:34 offset1:35
	;; [unrolled: 1-line block ×16, first 2 shown]
	ds_load_2addr_b64 v[188:191], v124 offset1:1
	s_waitcnt lgkmcnt(0)
	v_cmp_neq_f64_e32 vcc_lo, 0, v[188:189]
	v_cmp_neq_f64_e64 s3, 0, v[190:191]
	s_delay_alu instid0(VALU_DEP_1) | instskip(NEXT) | instid1(SALU_CYCLE_1)
	s_or_b32 s3, vcc_lo, s3
	s_and_b32 exec_lo, exec_lo, s3
	s_cbranch_execz .LBB63_143
; %bb.138:
	v_cmp_gt_f64_e32 vcc_lo, 0, v[188:189]
	v_xor_b32_e32 v126, 0x80000000, v189
	v_xor_b32_e32 v128, 0x80000000, v191
	s_delay_alu instid0(VALU_DEP_2) | instskip(SKIP_1) | instid1(VALU_DEP_3)
	v_dual_cndmask_b32 v127, v189, v126 :: v_dual_cndmask_b32 v126, v188, v188
	v_cmp_gt_f64_e32 vcc_lo, 0, v[190:191]
	v_dual_cndmask_b32 v129, v191, v128 :: v_dual_cndmask_b32 v128, v190, v190
	s_delay_alu instid0(VALU_DEP_1) | instskip(SKIP_1) | instid1(SALU_CYCLE_1)
	v_cmp_ngt_f64_e32 vcc_lo, v[126:127], v[128:129]
                                        ; implicit-def: $vgpr128_vgpr129
	s_and_saveexec_b32 s3, vcc_lo
	s_xor_b32 s3, exec_lo, s3
                                        ; implicit-def: $vgpr192_vgpr193_vgpr194_vgpr195
	s_cbranch_execz .LBB63_140
; %bb.139:
	v_div_scale_f64 v[126:127], null, v[190:191], v[190:191], v[188:189]
	v_div_scale_f64 v[192:193], vcc_lo, v[188:189], v[190:191], v[188:189]
	s_delay_alu instid0(VALU_DEP_2) | instskip(SKIP_2) | instid1(VALU_DEP_1)
	v_rcp_f64_e32 v[128:129], v[126:127]
	s_waitcnt_depctr 0xfff
	v_fma_f64 v[130:131], -v[126:127], v[128:129], 1.0
	v_fma_f64 v[128:129], v[128:129], v[130:131], v[128:129]
	s_delay_alu instid0(VALU_DEP_1) | instskip(NEXT) | instid1(VALU_DEP_1)
	v_fma_f64 v[130:131], -v[126:127], v[128:129], 1.0
	v_fma_f64 v[128:129], v[128:129], v[130:131], v[128:129]
	s_delay_alu instid0(VALU_DEP_1) | instskip(NEXT) | instid1(VALU_DEP_1)
	v_mul_f64 v[130:131], v[192:193], v[128:129]
	v_fma_f64 v[126:127], -v[126:127], v[130:131], v[192:193]
	s_delay_alu instid0(VALU_DEP_1) | instskip(NEXT) | instid1(VALU_DEP_1)
	v_div_fmas_f64 v[126:127], v[126:127], v[128:129], v[130:131]
	v_div_fixup_f64 v[126:127], v[126:127], v[190:191], v[188:189]
	s_delay_alu instid0(VALU_DEP_1) | instskip(NEXT) | instid1(VALU_DEP_1)
	v_fma_f64 v[128:129], v[188:189], v[126:127], v[190:191]
	v_div_scale_f64 v[130:131], null, v[128:129], v[128:129], 1.0
	s_delay_alu instid0(VALU_DEP_1) | instskip(SKIP_2) | instid1(VALU_DEP_1)
	v_rcp_f64_e32 v[188:189], v[130:131]
	s_waitcnt_depctr 0xfff
	v_fma_f64 v[190:191], -v[130:131], v[188:189], 1.0
	v_fma_f64 v[188:189], v[188:189], v[190:191], v[188:189]
	s_delay_alu instid0(VALU_DEP_1) | instskip(NEXT) | instid1(VALU_DEP_1)
	v_fma_f64 v[190:191], -v[130:131], v[188:189], 1.0
	v_fma_f64 v[188:189], v[188:189], v[190:191], v[188:189]
	v_div_scale_f64 v[190:191], vcc_lo, 1.0, v[128:129], 1.0
	s_delay_alu instid0(VALU_DEP_1) | instskip(NEXT) | instid1(VALU_DEP_1)
	v_mul_f64 v[192:193], v[190:191], v[188:189]
	v_fma_f64 v[130:131], -v[130:131], v[192:193], v[190:191]
	s_delay_alu instid0(VALU_DEP_1) | instskip(NEXT) | instid1(VALU_DEP_1)
	v_div_fmas_f64 v[130:131], v[130:131], v[188:189], v[192:193]
                                        ; implicit-def: $vgpr188_vgpr189
	v_div_fixup_f64 v[194:195], v[130:131], v[128:129], 1.0
	s_delay_alu instid0(VALU_DEP_1)
	v_mul_f64 v[128:129], v[126:127], v[194:195]
	v_xor_b32_e32 v195, 0x80000000, v195
.LBB63_140:
	s_and_not1_saveexec_b32 s3, s3
	s_cbranch_execz .LBB63_142
; %bb.141:
	v_div_scale_f64 v[126:127], null, v[188:189], v[188:189], v[190:191]
	v_div_scale_f64 v[192:193], vcc_lo, v[190:191], v[188:189], v[190:191]
	s_delay_alu instid0(VALU_DEP_2) | instskip(SKIP_2) | instid1(VALU_DEP_1)
	v_rcp_f64_e32 v[128:129], v[126:127]
	s_waitcnt_depctr 0xfff
	v_fma_f64 v[130:131], -v[126:127], v[128:129], 1.0
	v_fma_f64 v[128:129], v[128:129], v[130:131], v[128:129]
	s_delay_alu instid0(VALU_DEP_1) | instskip(NEXT) | instid1(VALU_DEP_1)
	v_fma_f64 v[130:131], -v[126:127], v[128:129], 1.0
	v_fma_f64 v[128:129], v[128:129], v[130:131], v[128:129]
	s_delay_alu instid0(VALU_DEP_1) | instskip(NEXT) | instid1(VALU_DEP_1)
	v_mul_f64 v[130:131], v[192:193], v[128:129]
	v_fma_f64 v[126:127], -v[126:127], v[130:131], v[192:193]
	s_delay_alu instid0(VALU_DEP_1) | instskip(NEXT) | instid1(VALU_DEP_1)
	v_div_fmas_f64 v[126:127], v[126:127], v[128:129], v[130:131]
	v_div_fixup_f64 v[126:127], v[126:127], v[188:189], v[190:191]
	s_delay_alu instid0(VALU_DEP_1) | instskip(NEXT) | instid1(VALU_DEP_1)
	v_fma_f64 v[128:129], v[190:191], v[126:127], v[188:189]
	v_div_scale_f64 v[130:131], null, v[128:129], v[128:129], 1.0
	s_delay_alu instid0(VALU_DEP_1) | instskip(SKIP_2) | instid1(VALU_DEP_1)
	v_rcp_f64_e32 v[188:189], v[130:131]
	s_waitcnt_depctr 0xfff
	v_fma_f64 v[190:191], -v[130:131], v[188:189], 1.0
	v_fma_f64 v[188:189], v[188:189], v[190:191], v[188:189]
	s_delay_alu instid0(VALU_DEP_1) | instskip(NEXT) | instid1(VALU_DEP_1)
	v_fma_f64 v[190:191], -v[130:131], v[188:189], 1.0
	v_fma_f64 v[188:189], v[188:189], v[190:191], v[188:189]
	v_div_scale_f64 v[190:191], vcc_lo, 1.0, v[128:129], 1.0
	s_delay_alu instid0(VALU_DEP_1) | instskip(NEXT) | instid1(VALU_DEP_1)
	v_mul_f64 v[192:193], v[190:191], v[188:189]
	v_fma_f64 v[130:131], -v[130:131], v[192:193], v[190:191]
	s_delay_alu instid0(VALU_DEP_1) | instskip(NEXT) | instid1(VALU_DEP_1)
	v_div_fmas_f64 v[130:131], v[130:131], v[188:189], v[192:193]
	v_div_fixup_f64 v[128:129], v[130:131], v[128:129], 1.0
	s_delay_alu instid0(VALU_DEP_1)
	v_mul_f64 v[194:195], v[126:127], -v[128:129]
.LBB63_142:
	s_or_b32 exec_lo, exec_lo, s3
	ds_store_2addr_b64 v124, v[128:129], v[194:195] offset1:1
.LBB63_143:
	s_or_b32 exec_lo, exec_lo, s4
	s_waitcnt lgkmcnt(0)
	s_barrier
	buffer_gl0_inv
	ds_load_2addr_b64 v[188:191], v124 offset1:1
	s_mov_b32 s3, exec_lo
	v_cmpx_lt_u32_e32 15, v252
	s_cbranch_execz .LBB63_145
; %bb.144:
	s_waitcnt lgkmcnt(0)
	v_mul_f64 v[126:127], v[188:189], v[66:67]
	v_mul_f64 v[66:67], v[190:191], v[66:67]
	s_delay_alu instid0(VALU_DEP_2) | instskip(SKIP_4) | instid1(VALU_DEP_1)
	v_fma_f64 v[192:193], v[190:191], v[64:65], v[126:127]
	ds_load_2addr_b64 v[126:129], v125 offset0:32 offset1:33
	v_fma_f64 v[64:65], v[188:189], v[64:65], -v[66:67]
	s_waitcnt lgkmcnt(0)
	v_mul_f64 v[66:67], v[128:129], v[192:193]
	v_fma_f64 v[66:67], v[126:127], v[64:65], -v[66:67]
	v_mul_f64 v[126:127], v[126:127], v[192:193]
	s_delay_alu instid0(VALU_DEP_2) | instskip(NEXT) | instid1(VALU_DEP_2)
	v_add_f64 v[60:61], v[60:61], -v[66:67]
	v_fma_f64 v[126:127], v[128:129], v[64:65], v[126:127]
	s_delay_alu instid0(VALU_DEP_1) | instskip(SKIP_3) | instid1(VALU_DEP_1)
	v_add_f64 v[62:63], v[62:63], -v[126:127]
	ds_load_2addr_b64 v[126:129], v125 offset0:34 offset1:35
	s_waitcnt lgkmcnt(0)
	v_mul_f64 v[66:67], v[128:129], v[192:193]
	v_fma_f64 v[66:67], v[126:127], v[64:65], -v[66:67]
	v_mul_f64 v[126:127], v[126:127], v[192:193]
	s_delay_alu instid0(VALU_DEP_2) | instskip(NEXT) | instid1(VALU_DEP_2)
	v_add_f64 v[56:57], v[56:57], -v[66:67]
	v_fma_f64 v[126:127], v[128:129], v[64:65], v[126:127]
	s_delay_alu instid0(VALU_DEP_1) | instskip(SKIP_3) | instid1(VALU_DEP_1)
	v_add_f64 v[58:59], v[58:59], -v[126:127]
	ds_load_2addr_b64 v[126:129], v125 offset0:36 offset1:37
	;; [unrolled: 10-line block ×15, first 2 shown]
	s_waitcnt lgkmcnt(0)
	v_mul_f64 v[66:67], v[128:129], v[192:193]
	v_fma_f64 v[66:67], v[126:127], v[64:65], -v[66:67]
	v_mul_f64 v[126:127], v[126:127], v[192:193]
	s_delay_alu instid0(VALU_DEP_2) | instskip(NEXT) | instid1(VALU_DEP_2)
	v_add_f64 v[0:1], v[0:1], -v[66:67]
	v_fma_f64 v[126:127], v[128:129], v[64:65], v[126:127]
	v_dual_mov_b32 v66, v192 :: v_dual_mov_b32 v67, v193
	s_delay_alu instid0(VALU_DEP_2)
	v_add_f64 v[2:3], v[2:3], -v[126:127]
.LBB63_145:
	s_or_b32 exec_lo, exec_lo, s3
	s_delay_alu instid0(SALU_CYCLE_1)
	s_mov_b32 s4, exec_lo
	s_waitcnt lgkmcnt(0)
	s_barrier
	buffer_gl0_inv
	v_cmpx_eq_u32_e32 16, v252
	s_cbranch_execz .LBB63_152
; %bb.146:
	ds_store_2addr_b64 v124, v[60:61], v[62:63] offset1:1
	ds_store_2addr_b64 v125, v[56:57], v[58:59] offset0:34 offset1:35
	ds_store_2addr_b64 v125, v[52:53], v[54:55] offset0:36 offset1:37
	;; [unrolled: 1-line block ×15, first 2 shown]
	ds_load_2addr_b64 v[192:195], v124 offset1:1
	s_waitcnt lgkmcnt(0)
	v_cmp_neq_f64_e32 vcc_lo, 0, v[192:193]
	v_cmp_neq_f64_e64 s3, 0, v[194:195]
	s_delay_alu instid0(VALU_DEP_1) | instskip(NEXT) | instid1(SALU_CYCLE_1)
	s_or_b32 s3, vcc_lo, s3
	s_and_b32 exec_lo, exec_lo, s3
	s_cbranch_execz .LBB63_152
; %bb.147:
	v_cmp_gt_f64_e32 vcc_lo, 0, v[192:193]
	v_xor_b32_e32 v126, 0x80000000, v193
	v_xor_b32_e32 v128, 0x80000000, v195
	s_delay_alu instid0(VALU_DEP_2) | instskip(SKIP_1) | instid1(VALU_DEP_3)
	v_dual_cndmask_b32 v127, v193, v126 :: v_dual_cndmask_b32 v126, v192, v192
	v_cmp_gt_f64_e32 vcc_lo, 0, v[194:195]
	v_dual_cndmask_b32 v129, v195, v128 :: v_dual_cndmask_b32 v128, v194, v194
	s_delay_alu instid0(VALU_DEP_1) | instskip(SKIP_1) | instid1(SALU_CYCLE_1)
	v_cmp_ngt_f64_e32 vcc_lo, v[126:127], v[128:129]
                                        ; implicit-def: $vgpr128_vgpr129
	s_and_saveexec_b32 s3, vcc_lo
	s_xor_b32 s3, exec_lo, s3
                                        ; implicit-def: $vgpr196_vgpr197_vgpr198_vgpr199
	s_cbranch_execz .LBB63_149
; %bb.148:
	v_div_scale_f64 v[126:127], null, v[194:195], v[194:195], v[192:193]
	v_div_scale_f64 v[196:197], vcc_lo, v[192:193], v[194:195], v[192:193]
	s_delay_alu instid0(VALU_DEP_2) | instskip(SKIP_2) | instid1(VALU_DEP_1)
	v_rcp_f64_e32 v[128:129], v[126:127]
	s_waitcnt_depctr 0xfff
	v_fma_f64 v[130:131], -v[126:127], v[128:129], 1.0
	v_fma_f64 v[128:129], v[128:129], v[130:131], v[128:129]
	s_delay_alu instid0(VALU_DEP_1) | instskip(NEXT) | instid1(VALU_DEP_1)
	v_fma_f64 v[130:131], -v[126:127], v[128:129], 1.0
	v_fma_f64 v[128:129], v[128:129], v[130:131], v[128:129]
	s_delay_alu instid0(VALU_DEP_1) | instskip(NEXT) | instid1(VALU_DEP_1)
	v_mul_f64 v[130:131], v[196:197], v[128:129]
	v_fma_f64 v[126:127], -v[126:127], v[130:131], v[196:197]
	s_delay_alu instid0(VALU_DEP_1) | instskip(NEXT) | instid1(VALU_DEP_1)
	v_div_fmas_f64 v[126:127], v[126:127], v[128:129], v[130:131]
	v_div_fixup_f64 v[126:127], v[126:127], v[194:195], v[192:193]
	s_delay_alu instid0(VALU_DEP_1) | instskip(NEXT) | instid1(VALU_DEP_1)
	v_fma_f64 v[128:129], v[192:193], v[126:127], v[194:195]
	v_div_scale_f64 v[130:131], null, v[128:129], v[128:129], 1.0
	s_delay_alu instid0(VALU_DEP_1) | instskip(SKIP_2) | instid1(VALU_DEP_1)
	v_rcp_f64_e32 v[192:193], v[130:131]
	s_waitcnt_depctr 0xfff
	v_fma_f64 v[194:195], -v[130:131], v[192:193], 1.0
	v_fma_f64 v[192:193], v[192:193], v[194:195], v[192:193]
	s_delay_alu instid0(VALU_DEP_1) | instskip(NEXT) | instid1(VALU_DEP_1)
	v_fma_f64 v[194:195], -v[130:131], v[192:193], 1.0
	v_fma_f64 v[192:193], v[192:193], v[194:195], v[192:193]
	v_div_scale_f64 v[194:195], vcc_lo, 1.0, v[128:129], 1.0
	s_delay_alu instid0(VALU_DEP_1) | instskip(NEXT) | instid1(VALU_DEP_1)
	v_mul_f64 v[196:197], v[194:195], v[192:193]
	v_fma_f64 v[130:131], -v[130:131], v[196:197], v[194:195]
	s_delay_alu instid0(VALU_DEP_1) | instskip(NEXT) | instid1(VALU_DEP_1)
	v_div_fmas_f64 v[130:131], v[130:131], v[192:193], v[196:197]
                                        ; implicit-def: $vgpr192_vgpr193
	v_div_fixup_f64 v[198:199], v[130:131], v[128:129], 1.0
	s_delay_alu instid0(VALU_DEP_1)
	v_mul_f64 v[128:129], v[126:127], v[198:199]
	v_xor_b32_e32 v199, 0x80000000, v199
.LBB63_149:
	s_and_not1_saveexec_b32 s3, s3
	s_cbranch_execz .LBB63_151
; %bb.150:
	v_div_scale_f64 v[126:127], null, v[192:193], v[192:193], v[194:195]
	v_div_scale_f64 v[196:197], vcc_lo, v[194:195], v[192:193], v[194:195]
	s_delay_alu instid0(VALU_DEP_2) | instskip(SKIP_2) | instid1(VALU_DEP_1)
	v_rcp_f64_e32 v[128:129], v[126:127]
	s_waitcnt_depctr 0xfff
	v_fma_f64 v[130:131], -v[126:127], v[128:129], 1.0
	v_fma_f64 v[128:129], v[128:129], v[130:131], v[128:129]
	s_delay_alu instid0(VALU_DEP_1) | instskip(NEXT) | instid1(VALU_DEP_1)
	v_fma_f64 v[130:131], -v[126:127], v[128:129], 1.0
	v_fma_f64 v[128:129], v[128:129], v[130:131], v[128:129]
	s_delay_alu instid0(VALU_DEP_1) | instskip(NEXT) | instid1(VALU_DEP_1)
	v_mul_f64 v[130:131], v[196:197], v[128:129]
	v_fma_f64 v[126:127], -v[126:127], v[130:131], v[196:197]
	s_delay_alu instid0(VALU_DEP_1) | instskip(NEXT) | instid1(VALU_DEP_1)
	v_div_fmas_f64 v[126:127], v[126:127], v[128:129], v[130:131]
	v_div_fixup_f64 v[126:127], v[126:127], v[192:193], v[194:195]
	s_delay_alu instid0(VALU_DEP_1) | instskip(NEXT) | instid1(VALU_DEP_1)
	v_fma_f64 v[128:129], v[194:195], v[126:127], v[192:193]
	v_div_scale_f64 v[130:131], null, v[128:129], v[128:129], 1.0
	s_delay_alu instid0(VALU_DEP_1) | instskip(SKIP_2) | instid1(VALU_DEP_1)
	v_rcp_f64_e32 v[192:193], v[130:131]
	s_waitcnt_depctr 0xfff
	v_fma_f64 v[194:195], -v[130:131], v[192:193], 1.0
	v_fma_f64 v[192:193], v[192:193], v[194:195], v[192:193]
	s_delay_alu instid0(VALU_DEP_1) | instskip(NEXT) | instid1(VALU_DEP_1)
	v_fma_f64 v[194:195], -v[130:131], v[192:193], 1.0
	v_fma_f64 v[192:193], v[192:193], v[194:195], v[192:193]
	v_div_scale_f64 v[194:195], vcc_lo, 1.0, v[128:129], 1.0
	s_delay_alu instid0(VALU_DEP_1) | instskip(NEXT) | instid1(VALU_DEP_1)
	v_mul_f64 v[196:197], v[194:195], v[192:193]
	v_fma_f64 v[130:131], -v[130:131], v[196:197], v[194:195]
	s_delay_alu instid0(VALU_DEP_1) | instskip(NEXT) | instid1(VALU_DEP_1)
	v_div_fmas_f64 v[130:131], v[130:131], v[192:193], v[196:197]
	v_div_fixup_f64 v[128:129], v[130:131], v[128:129], 1.0
	s_delay_alu instid0(VALU_DEP_1)
	v_mul_f64 v[198:199], v[126:127], -v[128:129]
.LBB63_151:
	s_or_b32 exec_lo, exec_lo, s3
	ds_store_2addr_b64 v124, v[128:129], v[198:199] offset1:1
.LBB63_152:
	s_or_b32 exec_lo, exec_lo, s4
	s_waitcnt lgkmcnt(0)
	s_barrier
	buffer_gl0_inv
	ds_load_2addr_b64 v[192:195], v124 offset1:1
	s_mov_b32 s3, exec_lo
	v_cmpx_lt_u32_e32 16, v252
	s_cbranch_execz .LBB63_154
; %bb.153:
	s_waitcnt lgkmcnt(0)
	v_mul_f64 v[126:127], v[192:193], v[62:63]
	v_mul_f64 v[62:63], v[194:195], v[62:63]
	s_delay_alu instid0(VALU_DEP_2) | instskip(SKIP_4) | instid1(VALU_DEP_1)
	v_fma_f64 v[196:197], v[194:195], v[60:61], v[126:127]
	ds_load_2addr_b64 v[126:129], v125 offset0:34 offset1:35
	v_fma_f64 v[60:61], v[192:193], v[60:61], -v[62:63]
	s_waitcnt lgkmcnt(0)
	v_mul_f64 v[62:63], v[128:129], v[196:197]
	v_fma_f64 v[62:63], v[126:127], v[60:61], -v[62:63]
	v_mul_f64 v[126:127], v[126:127], v[196:197]
	s_delay_alu instid0(VALU_DEP_2) | instskip(NEXT) | instid1(VALU_DEP_2)
	v_add_f64 v[56:57], v[56:57], -v[62:63]
	v_fma_f64 v[126:127], v[128:129], v[60:61], v[126:127]
	s_delay_alu instid0(VALU_DEP_1) | instskip(SKIP_3) | instid1(VALU_DEP_1)
	v_add_f64 v[58:59], v[58:59], -v[126:127]
	ds_load_2addr_b64 v[126:129], v125 offset0:36 offset1:37
	s_waitcnt lgkmcnt(0)
	v_mul_f64 v[62:63], v[128:129], v[196:197]
	v_fma_f64 v[62:63], v[126:127], v[60:61], -v[62:63]
	v_mul_f64 v[126:127], v[126:127], v[196:197]
	s_delay_alu instid0(VALU_DEP_2) | instskip(NEXT) | instid1(VALU_DEP_2)
	v_add_f64 v[52:53], v[52:53], -v[62:63]
	v_fma_f64 v[126:127], v[128:129], v[60:61], v[126:127]
	s_delay_alu instid0(VALU_DEP_1) | instskip(SKIP_3) | instid1(VALU_DEP_1)
	v_add_f64 v[54:55], v[54:55], -v[126:127]
	ds_load_2addr_b64 v[126:129], v125 offset0:38 offset1:39
	;; [unrolled: 10-line block ×14, first 2 shown]
	s_waitcnt lgkmcnt(0)
	v_mul_f64 v[62:63], v[128:129], v[196:197]
	v_fma_f64 v[62:63], v[126:127], v[60:61], -v[62:63]
	v_mul_f64 v[126:127], v[126:127], v[196:197]
	s_delay_alu instid0(VALU_DEP_2) | instskip(NEXT) | instid1(VALU_DEP_2)
	v_add_f64 v[0:1], v[0:1], -v[62:63]
	v_fma_f64 v[126:127], v[128:129], v[60:61], v[126:127]
	v_dual_mov_b32 v62, v196 :: v_dual_mov_b32 v63, v197
	s_delay_alu instid0(VALU_DEP_2)
	v_add_f64 v[2:3], v[2:3], -v[126:127]
.LBB63_154:
	s_or_b32 exec_lo, exec_lo, s3
	s_delay_alu instid0(SALU_CYCLE_1)
	s_mov_b32 s4, exec_lo
	s_waitcnt lgkmcnt(0)
	s_barrier
	buffer_gl0_inv
	v_cmpx_eq_u32_e32 17, v252
	s_cbranch_execz .LBB63_161
; %bb.155:
	ds_store_2addr_b64 v124, v[56:57], v[58:59] offset1:1
	ds_store_2addr_b64 v125, v[52:53], v[54:55] offset0:36 offset1:37
	ds_store_2addr_b64 v125, v[48:49], v[50:51] offset0:38 offset1:39
	ds_store_2addr_b64 v125, v[44:45], v[46:47] offset0:40 offset1:41
	ds_store_2addr_b64 v125, v[40:41], v[42:43] offset0:42 offset1:43
	ds_store_2addr_b64 v125, v[36:37], v[38:39] offset0:44 offset1:45
	ds_store_2addr_b64 v125, v[32:33], v[34:35] offset0:46 offset1:47
	ds_store_2addr_b64 v125, v[28:29], v[30:31] offset0:48 offset1:49
	ds_store_2addr_b64 v125, v[24:25], v[26:27] offset0:50 offset1:51
	ds_store_2addr_b64 v125, v[20:21], v[22:23] offset0:52 offset1:53
	ds_store_2addr_b64 v125, v[16:17], v[18:19] offset0:54 offset1:55
	ds_store_2addr_b64 v125, v[12:13], v[14:15] offset0:56 offset1:57
	ds_store_2addr_b64 v125, v[8:9], v[10:11] offset0:58 offset1:59
	ds_store_2addr_b64 v125, v[4:5], v[6:7] offset0:60 offset1:61
	ds_store_2addr_b64 v125, v[0:1], v[2:3] offset0:62 offset1:63
	ds_load_2addr_b64 v[196:199], v124 offset1:1
	s_waitcnt lgkmcnt(0)
	v_cmp_neq_f64_e32 vcc_lo, 0, v[196:197]
	v_cmp_neq_f64_e64 s3, 0, v[198:199]
	s_delay_alu instid0(VALU_DEP_1) | instskip(NEXT) | instid1(SALU_CYCLE_1)
	s_or_b32 s3, vcc_lo, s3
	s_and_b32 exec_lo, exec_lo, s3
	s_cbranch_execz .LBB63_161
; %bb.156:
	v_cmp_gt_f64_e32 vcc_lo, 0, v[196:197]
	v_xor_b32_e32 v126, 0x80000000, v197
	v_xor_b32_e32 v128, 0x80000000, v199
	s_delay_alu instid0(VALU_DEP_2) | instskip(SKIP_1) | instid1(VALU_DEP_3)
	v_dual_cndmask_b32 v127, v197, v126 :: v_dual_cndmask_b32 v126, v196, v196
	v_cmp_gt_f64_e32 vcc_lo, 0, v[198:199]
	v_dual_cndmask_b32 v129, v199, v128 :: v_dual_cndmask_b32 v128, v198, v198
	s_delay_alu instid0(VALU_DEP_1) | instskip(SKIP_1) | instid1(SALU_CYCLE_1)
	v_cmp_ngt_f64_e32 vcc_lo, v[126:127], v[128:129]
                                        ; implicit-def: $vgpr128_vgpr129
	s_and_saveexec_b32 s3, vcc_lo
	s_xor_b32 s3, exec_lo, s3
                                        ; implicit-def: $vgpr200_vgpr201_vgpr202_vgpr203
	s_cbranch_execz .LBB63_158
; %bb.157:
	v_div_scale_f64 v[126:127], null, v[198:199], v[198:199], v[196:197]
	v_div_scale_f64 v[200:201], vcc_lo, v[196:197], v[198:199], v[196:197]
	s_delay_alu instid0(VALU_DEP_2) | instskip(SKIP_2) | instid1(VALU_DEP_1)
	v_rcp_f64_e32 v[128:129], v[126:127]
	s_waitcnt_depctr 0xfff
	v_fma_f64 v[130:131], -v[126:127], v[128:129], 1.0
	v_fma_f64 v[128:129], v[128:129], v[130:131], v[128:129]
	s_delay_alu instid0(VALU_DEP_1) | instskip(NEXT) | instid1(VALU_DEP_1)
	v_fma_f64 v[130:131], -v[126:127], v[128:129], 1.0
	v_fma_f64 v[128:129], v[128:129], v[130:131], v[128:129]
	s_delay_alu instid0(VALU_DEP_1) | instskip(NEXT) | instid1(VALU_DEP_1)
	v_mul_f64 v[130:131], v[200:201], v[128:129]
	v_fma_f64 v[126:127], -v[126:127], v[130:131], v[200:201]
	s_delay_alu instid0(VALU_DEP_1) | instskip(NEXT) | instid1(VALU_DEP_1)
	v_div_fmas_f64 v[126:127], v[126:127], v[128:129], v[130:131]
	v_div_fixup_f64 v[126:127], v[126:127], v[198:199], v[196:197]
	s_delay_alu instid0(VALU_DEP_1) | instskip(NEXT) | instid1(VALU_DEP_1)
	v_fma_f64 v[128:129], v[196:197], v[126:127], v[198:199]
	v_div_scale_f64 v[130:131], null, v[128:129], v[128:129], 1.0
	s_delay_alu instid0(VALU_DEP_1) | instskip(SKIP_2) | instid1(VALU_DEP_1)
	v_rcp_f64_e32 v[196:197], v[130:131]
	s_waitcnt_depctr 0xfff
	v_fma_f64 v[198:199], -v[130:131], v[196:197], 1.0
	v_fma_f64 v[196:197], v[196:197], v[198:199], v[196:197]
	s_delay_alu instid0(VALU_DEP_1) | instskip(NEXT) | instid1(VALU_DEP_1)
	v_fma_f64 v[198:199], -v[130:131], v[196:197], 1.0
	v_fma_f64 v[196:197], v[196:197], v[198:199], v[196:197]
	v_div_scale_f64 v[198:199], vcc_lo, 1.0, v[128:129], 1.0
	s_delay_alu instid0(VALU_DEP_1) | instskip(NEXT) | instid1(VALU_DEP_1)
	v_mul_f64 v[200:201], v[198:199], v[196:197]
	v_fma_f64 v[130:131], -v[130:131], v[200:201], v[198:199]
	s_delay_alu instid0(VALU_DEP_1) | instskip(NEXT) | instid1(VALU_DEP_1)
	v_div_fmas_f64 v[130:131], v[130:131], v[196:197], v[200:201]
                                        ; implicit-def: $vgpr196_vgpr197
	v_div_fixup_f64 v[202:203], v[130:131], v[128:129], 1.0
	s_delay_alu instid0(VALU_DEP_1)
	v_mul_f64 v[128:129], v[126:127], v[202:203]
	v_xor_b32_e32 v203, 0x80000000, v203
.LBB63_158:
	s_and_not1_saveexec_b32 s3, s3
	s_cbranch_execz .LBB63_160
; %bb.159:
	v_div_scale_f64 v[126:127], null, v[196:197], v[196:197], v[198:199]
	v_div_scale_f64 v[200:201], vcc_lo, v[198:199], v[196:197], v[198:199]
	s_delay_alu instid0(VALU_DEP_2) | instskip(SKIP_2) | instid1(VALU_DEP_1)
	v_rcp_f64_e32 v[128:129], v[126:127]
	s_waitcnt_depctr 0xfff
	v_fma_f64 v[130:131], -v[126:127], v[128:129], 1.0
	v_fma_f64 v[128:129], v[128:129], v[130:131], v[128:129]
	s_delay_alu instid0(VALU_DEP_1) | instskip(NEXT) | instid1(VALU_DEP_1)
	v_fma_f64 v[130:131], -v[126:127], v[128:129], 1.0
	v_fma_f64 v[128:129], v[128:129], v[130:131], v[128:129]
	s_delay_alu instid0(VALU_DEP_1) | instskip(NEXT) | instid1(VALU_DEP_1)
	v_mul_f64 v[130:131], v[200:201], v[128:129]
	v_fma_f64 v[126:127], -v[126:127], v[130:131], v[200:201]
	s_delay_alu instid0(VALU_DEP_1) | instskip(NEXT) | instid1(VALU_DEP_1)
	v_div_fmas_f64 v[126:127], v[126:127], v[128:129], v[130:131]
	v_div_fixup_f64 v[126:127], v[126:127], v[196:197], v[198:199]
	s_delay_alu instid0(VALU_DEP_1) | instskip(NEXT) | instid1(VALU_DEP_1)
	v_fma_f64 v[128:129], v[198:199], v[126:127], v[196:197]
	v_div_scale_f64 v[130:131], null, v[128:129], v[128:129], 1.0
	s_delay_alu instid0(VALU_DEP_1) | instskip(SKIP_2) | instid1(VALU_DEP_1)
	v_rcp_f64_e32 v[196:197], v[130:131]
	s_waitcnt_depctr 0xfff
	v_fma_f64 v[198:199], -v[130:131], v[196:197], 1.0
	v_fma_f64 v[196:197], v[196:197], v[198:199], v[196:197]
	s_delay_alu instid0(VALU_DEP_1) | instskip(NEXT) | instid1(VALU_DEP_1)
	v_fma_f64 v[198:199], -v[130:131], v[196:197], 1.0
	v_fma_f64 v[196:197], v[196:197], v[198:199], v[196:197]
	v_div_scale_f64 v[198:199], vcc_lo, 1.0, v[128:129], 1.0
	s_delay_alu instid0(VALU_DEP_1) | instskip(NEXT) | instid1(VALU_DEP_1)
	v_mul_f64 v[200:201], v[198:199], v[196:197]
	v_fma_f64 v[130:131], -v[130:131], v[200:201], v[198:199]
	s_delay_alu instid0(VALU_DEP_1) | instskip(NEXT) | instid1(VALU_DEP_1)
	v_div_fmas_f64 v[130:131], v[130:131], v[196:197], v[200:201]
	v_div_fixup_f64 v[128:129], v[130:131], v[128:129], 1.0
	s_delay_alu instid0(VALU_DEP_1)
	v_mul_f64 v[202:203], v[126:127], -v[128:129]
.LBB63_160:
	s_or_b32 exec_lo, exec_lo, s3
	ds_store_2addr_b64 v124, v[128:129], v[202:203] offset1:1
.LBB63_161:
	s_or_b32 exec_lo, exec_lo, s4
	s_waitcnt lgkmcnt(0)
	s_barrier
	buffer_gl0_inv
	ds_load_2addr_b64 v[196:199], v124 offset1:1
	s_mov_b32 s3, exec_lo
	v_cmpx_lt_u32_e32 17, v252
	s_cbranch_execz .LBB63_163
; %bb.162:
	s_waitcnt lgkmcnt(0)
	v_mul_f64 v[126:127], v[196:197], v[58:59]
	v_mul_f64 v[58:59], v[198:199], v[58:59]
	s_delay_alu instid0(VALU_DEP_2) | instskip(SKIP_4) | instid1(VALU_DEP_1)
	v_fma_f64 v[200:201], v[198:199], v[56:57], v[126:127]
	ds_load_2addr_b64 v[126:129], v125 offset0:36 offset1:37
	v_fma_f64 v[56:57], v[196:197], v[56:57], -v[58:59]
	s_waitcnt lgkmcnt(0)
	v_mul_f64 v[58:59], v[128:129], v[200:201]
	v_fma_f64 v[58:59], v[126:127], v[56:57], -v[58:59]
	v_mul_f64 v[126:127], v[126:127], v[200:201]
	s_delay_alu instid0(VALU_DEP_2) | instskip(NEXT) | instid1(VALU_DEP_2)
	v_add_f64 v[52:53], v[52:53], -v[58:59]
	v_fma_f64 v[126:127], v[128:129], v[56:57], v[126:127]
	s_delay_alu instid0(VALU_DEP_1) | instskip(SKIP_3) | instid1(VALU_DEP_1)
	v_add_f64 v[54:55], v[54:55], -v[126:127]
	ds_load_2addr_b64 v[126:129], v125 offset0:38 offset1:39
	s_waitcnt lgkmcnt(0)
	v_mul_f64 v[58:59], v[128:129], v[200:201]
	v_fma_f64 v[58:59], v[126:127], v[56:57], -v[58:59]
	v_mul_f64 v[126:127], v[126:127], v[200:201]
	s_delay_alu instid0(VALU_DEP_2) | instskip(NEXT) | instid1(VALU_DEP_2)
	v_add_f64 v[48:49], v[48:49], -v[58:59]
	v_fma_f64 v[126:127], v[128:129], v[56:57], v[126:127]
	s_delay_alu instid0(VALU_DEP_1) | instskip(SKIP_3) | instid1(VALU_DEP_1)
	v_add_f64 v[50:51], v[50:51], -v[126:127]
	ds_load_2addr_b64 v[126:129], v125 offset0:40 offset1:41
	;; [unrolled: 10-line block ×13, first 2 shown]
	s_waitcnt lgkmcnt(0)
	v_mul_f64 v[58:59], v[128:129], v[200:201]
	v_fma_f64 v[58:59], v[126:127], v[56:57], -v[58:59]
	v_mul_f64 v[126:127], v[126:127], v[200:201]
	s_delay_alu instid0(VALU_DEP_2) | instskip(NEXT) | instid1(VALU_DEP_2)
	v_add_f64 v[0:1], v[0:1], -v[58:59]
	v_fma_f64 v[126:127], v[128:129], v[56:57], v[126:127]
	v_dual_mov_b32 v58, v200 :: v_dual_mov_b32 v59, v201
	s_delay_alu instid0(VALU_DEP_2)
	v_add_f64 v[2:3], v[2:3], -v[126:127]
.LBB63_163:
	s_or_b32 exec_lo, exec_lo, s3
	s_delay_alu instid0(SALU_CYCLE_1)
	s_mov_b32 s4, exec_lo
	s_waitcnt lgkmcnt(0)
	s_barrier
	buffer_gl0_inv
	v_cmpx_eq_u32_e32 18, v252
	s_cbranch_execz .LBB63_170
; %bb.164:
	ds_store_2addr_b64 v124, v[52:53], v[54:55] offset1:1
	ds_store_2addr_b64 v125, v[48:49], v[50:51] offset0:38 offset1:39
	ds_store_2addr_b64 v125, v[44:45], v[46:47] offset0:40 offset1:41
	;; [unrolled: 1-line block ×13, first 2 shown]
	ds_load_2addr_b64 v[200:203], v124 offset1:1
	s_waitcnt lgkmcnt(0)
	v_cmp_neq_f64_e32 vcc_lo, 0, v[200:201]
	v_cmp_neq_f64_e64 s3, 0, v[202:203]
	s_delay_alu instid0(VALU_DEP_1) | instskip(NEXT) | instid1(SALU_CYCLE_1)
	s_or_b32 s3, vcc_lo, s3
	s_and_b32 exec_lo, exec_lo, s3
	s_cbranch_execz .LBB63_170
; %bb.165:
	v_cmp_gt_f64_e32 vcc_lo, 0, v[200:201]
	v_xor_b32_e32 v126, 0x80000000, v201
	v_xor_b32_e32 v128, 0x80000000, v203
	s_delay_alu instid0(VALU_DEP_2) | instskip(SKIP_1) | instid1(VALU_DEP_3)
	v_dual_cndmask_b32 v127, v201, v126 :: v_dual_cndmask_b32 v126, v200, v200
	v_cmp_gt_f64_e32 vcc_lo, 0, v[202:203]
	v_dual_cndmask_b32 v129, v203, v128 :: v_dual_cndmask_b32 v128, v202, v202
	s_delay_alu instid0(VALU_DEP_1) | instskip(SKIP_1) | instid1(SALU_CYCLE_1)
	v_cmp_ngt_f64_e32 vcc_lo, v[126:127], v[128:129]
                                        ; implicit-def: $vgpr128_vgpr129
	s_and_saveexec_b32 s3, vcc_lo
	s_xor_b32 s3, exec_lo, s3
                                        ; implicit-def: $vgpr204_vgpr205_vgpr206_vgpr207
	s_cbranch_execz .LBB63_167
; %bb.166:
	v_div_scale_f64 v[126:127], null, v[202:203], v[202:203], v[200:201]
	v_div_scale_f64 v[204:205], vcc_lo, v[200:201], v[202:203], v[200:201]
	s_delay_alu instid0(VALU_DEP_2) | instskip(SKIP_2) | instid1(VALU_DEP_1)
	v_rcp_f64_e32 v[128:129], v[126:127]
	s_waitcnt_depctr 0xfff
	v_fma_f64 v[130:131], -v[126:127], v[128:129], 1.0
	v_fma_f64 v[128:129], v[128:129], v[130:131], v[128:129]
	s_delay_alu instid0(VALU_DEP_1) | instskip(NEXT) | instid1(VALU_DEP_1)
	v_fma_f64 v[130:131], -v[126:127], v[128:129], 1.0
	v_fma_f64 v[128:129], v[128:129], v[130:131], v[128:129]
	s_delay_alu instid0(VALU_DEP_1) | instskip(NEXT) | instid1(VALU_DEP_1)
	v_mul_f64 v[130:131], v[204:205], v[128:129]
	v_fma_f64 v[126:127], -v[126:127], v[130:131], v[204:205]
	s_delay_alu instid0(VALU_DEP_1) | instskip(NEXT) | instid1(VALU_DEP_1)
	v_div_fmas_f64 v[126:127], v[126:127], v[128:129], v[130:131]
	v_div_fixup_f64 v[126:127], v[126:127], v[202:203], v[200:201]
	s_delay_alu instid0(VALU_DEP_1) | instskip(NEXT) | instid1(VALU_DEP_1)
	v_fma_f64 v[128:129], v[200:201], v[126:127], v[202:203]
	v_div_scale_f64 v[130:131], null, v[128:129], v[128:129], 1.0
	s_delay_alu instid0(VALU_DEP_1) | instskip(SKIP_2) | instid1(VALU_DEP_1)
	v_rcp_f64_e32 v[200:201], v[130:131]
	s_waitcnt_depctr 0xfff
	v_fma_f64 v[202:203], -v[130:131], v[200:201], 1.0
	v_fma_f64 v[200:201], v[200:201], v[202:203], v[200:201]
	s_delay_alu instid0(VALU_DEP_1) | instskip(NEXT) | instid1(VALU_DEP_1)
	v_fma_f64 v[202:203], -v[130:131], v[200:201], 1.0
	v_fma_f64 v[200:201], v[200:201], v[202:203], v[200:201]
	v_div_scale_f64 v[202:203], vcc_lo, 1.0, v[128:129], 1.0
	s_delay_alu instid0(VALU_DEP_1) | instskip(NEXT) | instid1(VALU_DEP_1)
	v_mul_f64 v[204:205], v[202:203], v[200:201]
	v_fma_f64 v[130:131], -v[130:131], v[204:205], v[202:203]
	s_delay_alu instid0(VALU_DEP_1) | instskip(NEXT) | instid1(VALU_DEP_1)
	v_div_fmas_f64 v[130:131], v[130:131], v[200:201], v[204:205]
                                        ; implicit-def: $vgpr200_vgpr201
	v_div_fixup_f64 v[206:207], v[130:131], v[128:129], 1.0
	s_delay_alu instid0(VALU_DEP_1)
	v_mul_f64 v[128:129], v[126:127], v[206:207]
	v_xor_b32_e32 v207, 0x80000000, v207
.LBB63_167:
	s_and_not1_saveexec_b32 s3, s3
	s_cbranch_execz .LBB63_169
; %bb.168:
	v_div_scale_f64 v[126:127], null, v[200:201], v[200:201], v[202:203]
	v_div_scale_f64 v[204:205], vcc_lo, v[202:203], v[200:201], v[202:203]
	s_delay_alu instid0(VALU_DEP_2) | instskip(SKIP_2) | instid1(VALU_DEP_1)
	v_rcp_f64_e32 v[128:129], v[126:127]
	s_waitcnt_depctr 0xfff
	v_fma_f64 v[130:131], -v[126:127], v[128:129], 1.0
	v_fma_f64 v[128:129], v[128:129], v[130:131], v[128:129]
	s_delay_alu instid0(VALU_DEP_1) | instskip(NEXT) | instid1(VALU_DEP_1)
	v_fma_f64 v[130:131], -v[126:127], v[128:129], 1.0
	v_fma_f64 v[128:129], v[128:129], v[130:131], v[128:129]
	s_delay_alu instid0(VALU_DEP_1) | instskip(NEXT) | instid1(VALU_DEP_1)
	v_mul_f64 v[130:131], v[204:205], v[128:129]
	v_fma_f64 v[126:127], -v[126:127], v[130:131], v[204:205]
	s_delay_alu instid0(VALU_DEP_1) | instskip(NEXT) | instid1(VALU_DEP_1)
	v_div_fmas_f64 v[126:127], v[126:127], v[128:129], v[130:131]
	v_div_fixup_f64 v[126:127], v[126:127], v[200:201], v[202:203]
	s_delay_alu instid0(VALU_DEP_1) | instskip(NEXT) | instid1(VALU_DEP_1)
	v_fma_f64 v[128:129], v[202:203], v[126:127], v[200:201]
	v_div_scale_f64 v[130:131], null, v[128:129], v[128:129], 1.0
	s_delay_alu instid0(VALU_DEP_1) | instskip(SKIP_2) | instid1(VALU_DEP_1)
	v_rcp_f64_e32 v[200:201], v[130:131]
	s_waitcnt_depctr 0xfff
	v_fma_f64 v[202:203], -v[130:131], v[200:201], 1.0
	v_fma_f64 v[200:201], v[200:201], v[202:203], v[200:201]
	s_delay_alu instid0(VALU_DEP_1) | instskip(NEXT) | instid1(VALU_DEP_1)
	v_fma_f64 v[202:203], -v[130:131], v[200:201], 1.0
	v_fma_f64 v[200:201], v[200:201], v[202:203], v[200:201]
	v_div_scale_f64 v[202:203], vcc_lo, 1.0, v[128:129], 1.0
	s_delay_alu instid0(VALU_DEP_1) | instskip(NEXT) | instid1(VALU_DEP_1)
	v_mul_f64 v[204:205], v[202:203], v[200:201]
	v_fma_f64 v[130:131], -v[130:131], v[204:205], v[202:203]
	s_delay_alu instid0(VALU_DEP_1) | instskip(NEXT) | instid1(VALU_DEP_1)
	v_div_fmas_f64 v[130:131], v[130:131], v[200:201], v[204:205]
	v_div_fixup_f64 v[128:129], v[130:131], v[128:129], 1.0
	s_delay_alu instid0(VALU_DEP_1)
	v_mul_f64 v[206:207], v[126:127], -v[128:129]
.LBB63_169:
	s_or_b32 exec_lo, exec_lo, s3
	ds_store_2addr_b64 v124, v[128:129], v[206:207] offset1:1
.LBB63_170:
	s_or_b32 exec_lo, exec_lo, s4
	s_waitcnt lgkmcnt(0)
	s_barrier
	buffer_gl0_inv
	ds_load_2addr_b64 v[200:203], v124 offset1:1
	s_mov_b32 s3, exec_lo
	v_cmpx_lt_u32_e32 18, v252
	s_cbranch_execz .LBB63_172
; %bb.171:
	s_waitcnt lgkmcnt(0)
	v_mul_f64 v[126:127], v[200:201], v[54:55]
	v_mul_f64 v[54:55], v[202:203], v[54:55]
	s_delay_alu instid0(VALU_DEP_2) | instskip(SKIP_4) | instid1(VALU_DEP_1)
	v_fma_f64 v[204:205], v[202:203], v[52:53], v[126:127]
	ds_load_2addr_b64 v[126:129], v125 offset0:38 offset1:39
	v_fma_f64 v[52:53], v[200:201], v[52:53], -v[54:55]
	s_waitcnt lgkmcnt(0)
	v_mul_f64 v[54:55], v[128:129], v[204:205]
	v_fma_f64 v[54:55], v[126:127], v[52:53], -v[54:55]
	v_mul_f64 v[126:127], v[126:127], v[204:205]
	s_delay_alu instid0(VALU_DEP_2) | instskip(NEXT) | instid1(VALU_DEP_2)
	v_add_f64 v[48:49], v[48:49], -v[54:55]
	v_fma_f64 v[126:127], v[128:129], v[52:53], v[126:127]
	s_delay_alu instid0(VALU_DEP_1) | instskip(SKIP_3) | instid1(VALU_DEP_1)
	v_add_f64 v[50:51], v[50:51], -v[126:127]
	ds_load_2addr_b64 v[126:129], v125 offset0:40 offset1:41
	s_waitcnt lgkmcnt(0)
	v_mul_f64 v[54:55], v[128:129], v[204:205]
	v_fma_f64 v[54:55], v[126:127], v[52:53], -v[54:55]
	v_mul_f64 v[126:127], v[126:127], v[204:205]
	s_delay_alu instid0(VALU_DEP_2) | instskip(NEXT) | instid1(VALU_DEP_2)
	v_add_f64 v[44:45], v[44:45], -v[54:55]
	v_fma_f64 v[126:127], v[128:129], v[52:53], v[126:127]
	s_delay_alu instid0(VALU_DEP_1) | instskip(SKIP_3) | instid1(VALU_DEP_1)
	v_add_f64 v[46:47], v[46:47], -v[126:127]
	ds_load_2addr_b64 v[126:129], v125 offset0:42 offset1:43
	;; [unrolled: 10-line block ×12, first 2 shown]
	s_waitcnt lgkmcnt(0)
	v_mul_f64 v[54:55], v[128:129], v[204:205]
	v_fma_f64 v[54:55], v[126:127], v[52:53], -v[54:55]
	v_mul_f64 v[126:127], v[126:127], v[204:205]
	s_delay_alu instid0(VALU_DEP_2) | instskip(NEXT) | instid1(VALU_DEP_2)
	v_add_f64 v[0:1], v[0:1], -v[54:55]
	v_fma_f64 v[126:127], v[128:129], v[52:53], v[126:127]
	v_dual_mov_b32 v54, v204 :: v_dual_mov_b32 v55, v205
	s_delay_alu instid0(VALU_DEP_2)
	v_add_f64 v[2:3], v[2:3], -v[126:127]
.LBB63_172:
	s_or_b32 exec_lo, exec_lo, s3
	s_delay_alu instid0(SALU_CYCLE_1)
	s_mov_b32 s4, exec_lo
	s_waitcnt lgkmcnt(0)
	s_barrier
	buffer_gl0_inv
	v_cmpx_eq_u32_e32 19, v252
	s_cbranch_execz .LBB63_179
; %bb.173:
	ds_store_2addr_b64 v124, v[48:49], v[50:51] offset1:1
	ds_store_2addr_b64 v125, v[44:45], v[46:47] offset0:40 offset1:41
	ds_store_2addr_b64 v125, v[40:41], v[42:43] offset0:42 offset1:43
	ds_store_2addr_b64 v125, v[36:37], v[38:39] offset0:44 offset1:45
	ds_store_2addr_b64 v125, v[32:33], v[34:35] offset0:46 offset1:47
	ds_store_2addr_b64 v125, v[28:29], v[30:31] offset0:48 offset1:49
	ds_store_2addr_b64 v125, v[24:25], v[26:27] offset0:50 offset1:51
	ds_store_2addr_b64 v125, v[20:21], v[22:23] offset0:52 offset1:53
	ds_store_2addr_b64 v125, v[16:17], v[18:19] offset0:54 offset1:55
	ds_store_2addr_b64 v125, v[12:13], v[14:15] offset0:56 offset1:57
	ds_store_2addr_b64 v125, v[8:9], v[10:11] offset0:58 offset1:59
	ds_store_2addr_b64 v125, v[4:5], v[6:7] offset0:60 offset1:61
	ds_store_2addr_b64 v125, v[0:1], v[2:3] offset0:62 offset1:63
	ds_load_2addr_b64 v[204:207], v124 offset1:1
	s_waitcnt lgkmcnt(0)
	v_cmp_neq_f64_e32 vcc_lo, 0, v[204:205]
	v_cmp_neq_f64_e64 s3, 0, v[206:207]
	s_delay_alu instid0(VALU_DEP_1) | instskip(NEXT) | instid1(SALU_CYCLE_1)
	s_or_b32 s3, vcc_lo, s3
	s_and_b32 exec_lo, exec_lo, s3
	s_cbranch_execz .LBB63_179
; %bb.174:
	v_cmp_gt_f64_e32 vcc_lo, 0, v[204:205]
	v_xor_b32_e32 v126, 0x80000000, v205
	v_xor_b32_e32 v128, 0x80000000, v207
	s_delay_alu instid0(VALU_DEP_2) | instskip(SKIP_1) | instid1(VALU_DEP_3)
	v_dual_cndmask_b32 v127, v205, v126 :: v_dual_cndmask_b32 v126, v204, v204
	v_cmp_gt_f64_e32 vcc_lo, 0, v[206:207]
	v_dual_cndmask_b32 v129, v207, v128 :: v_dual_cndmask_b32 v128, v206, v206
	s_delay_alu instid0(VALU_DEP_1) | instskip(SKIP_1) | instid1(SALU_CYCLE_1)
	v_cmp_ngt_f64_e32 vcc_lo, v[126:127], v[128:129]
                                        ; implicit-def: $vgpr128_vgpr129
	s_and_saveexec_b32 s3, vcc_lo
	s_xor_b32 s3, exec_lo, s3
                                        ; implicit-def: $vgpr208_vgpr209_vgpr210_vgpr211
	s_cbranch_execz .LBB63_176
; %bb.175:
	v_div_scale_f64 v[126:127], null, v[206:207], v[206:207], v[204:205]
	v_div_scale_f64 v[208:209], vcc_lo, v[204:205], v[206:207], v[204:205]
	s_delay_alu instid0(VALU_DEP_2) | instskip(SKIP_2) | instid1(VALU_DEP_1)
	v_rcp_f64_e32 v[128:129], v[126:127]
	s_waitcnt_depctr 0xfff
	v_fma_f64 v[130:131], -v[126:127], v[128:129], 1.0
	v_fma_f64 v[128:129], v[128:129], v[130:131], v[128:129]
	s_delay_alu instid0(VALU_DEP_1) | instskip(NEXT) | instid1(VALU_DEP_1)
	v_fma_f64 v[130:131], -v[126:127], v[128:129], 1.0
	v_fma_f64 v[128:129], v[128:129], v[130:131], v[128:129]
	s_delay_alu instid0(VALU_DEP_1) | instskip(NEXT) | instid1(VALU_DEP_1)
	v_mul_f64 v[130:131], v[208:209], v[128:129]
	v_fma_f64 v[126:127], -v[126:127], v[130:131], v[208:209]
	s_delay_alu instid0(VALU_DEP_1) | instskip(NEXT) | instid1(VALU_DEP_1)
	v_div_fmas_f64 v[126:127], v[126:127], v[128:129], v[130:131]
	v_div_fixup_f64 v[126:127], v[126:127], v[206:207], v[204:205]
	s_delay_alu instid0(VALU_DEP_1) | instskip(NEXT) | instid1(VALU_DEP_1)
	v_fma_f64 v[128:129], v[204:205], v[126:127], v[206:207]
	v_div_scale_f64 v[130:131], null, v[128:129], v[128:129], 1.0
	s_delay_alu instid0(VALU_DEP_1) | instskip(SKIP_2) | instid1(VALU_DEP_1)
	v_rcp_f64_e32 v[204:205], v[130:131]
	s_waitcnt_depctr 0xfff
	v_fma_f64 v[206:207], -v[130:131], v[204:205], 1.0
	v_fma_f64 v[204:205], v[204:205], v[206:207], v[204:205]
	s_delay_alu instid0(VALU_DEP_1) | instskip(NEXT) | instid1(VALU_DEP_1)
	v_fma_f64 v[206:207], -v[130:131], v[204:205], 1.0
	v_fma_f64 v[204:205], v[204:205], v[206:207], v[204:205]
	v_div_scale_f64 v[206:207], vcc_lo, 1.0, v[128:129], 1.0
	s_delay_alu instid0(VALU_DEP_1) | instskip(NEXT) | instid1(VALU_DEP_1)
	v_mul_f64 v[208:209], v[206:207], v[204:205]
	v_fma_f64 v[130:131], -v[130:131], v[208:209], v[206:207]
	s_delay_alu instid0(VALU_DEP_1) | instskip(NEXT) | instid1(VALU_DEP_1)
	v_div_fmas_f64 v[130:131], v[130:131], v[204:205], v[208:209]
                                        ; implicit-def: $vgpr204_vgpr205
	v_div_fixup_f64 v[210:211], v[130:131], v[128:129], 1.0
	s_delay_alu instid0(VALU_DEP_1)
	v_mul_f64 v[128:129], v[126:127], v[210:211]
	v_xor_b32_e32 v211, 0x80000000, v211
.LBB63_176:
	s_and_not1_saveexec_b32 s3, s3
	s_cbranch_execz .LBB63_178
; %bb.177:
	v_div_scale_f64 v[126:127], null, v[204:205], v[204:205], v[206:207]
	v_div_scale_f64 v[208:209], vcc_lo, v[206:207], v[204:205], v[206:207]
	s_delay_alu instid0(VALU_DEP_2) | instskip(SKIP_2) | instid1(VALU_DEP_1)
	v_rcp_f64_e32 v[128:129], v[126:127]
	s_waitcnt_depctr 0xfff
	v_fma_f64 v[130:131], -v[126:127], v[128:129], 1.0
	v_fma_f64 v[128:129], v[128:129], v[130:131], v[128:129]
	s_delay_alu instid0(VALU_DEP_1) | instskip(NEXT) | instid1(VALU_DEP_1)
	v_fma_f64 v[130:131], -v[126:127], v[128:129], 1.0
	v_fma_f64 v[128:129], v[128:129], v[130:131], v[128:129]
	s_delay_alu instid0(VALU_DEP_1) | instskip(NEXT) | instid1(VALU_DEP_1)
	v_mul_f64 v[130:131], v[208:209], v[128:129]
	v_fma_f64 v[126:127], -v[126:127], v[130:131], v[208:209]
	s_delay_alu instid0(VALU_DEP_1) | instskip(NEXT) | instid1(VALU_DEP_1)
	v_div_fmas_f64 v[126:127], v[126:127], v[128:129], v[130:131]
	v_div_fixup_f64 v[126:127], v[126:127], v[204:205], v[206:207]
	s_delay_alu instid0(VALU_DEP_1) | instskip(NEXT) | instid1(VALU_DEP_1)
	v_fma_f64 v[128:129], v[206:207], v[126:127], v[204:205]
	v_div_scale_f64 v[130:131], null, v[128:129], v[128:129], 1.0
	s_delay_alu instid0(VALU_DEP_1) | instskip(SKIP_2) | instid1(VALU_DEP_1)
	v_rcp_f64_e32 v[204:205], v[130:131]
	s_waitcnt_depctr 0xfff
	v_fma_f64 v[206:207], -v[130:131], v[204:205], 1.0
	v_fma_f64 v[204:205], v[204:205], v[206:207], v[204:205]
	s_delay_alu instid0(VALU_DEP_1) | instskip(NEXT) | instid1(VALU_DEP_1)
	v_fma_f64 v[206:207], -v[130:131], v[204:205], 1.0
	v_fma_f64 v[204:205], v[204:205], v[206:207], v[204:205]
	v_div_scale_f64 v[206:207], vcc_lo, 1.0, v[128:129], 1.0
	s_delay_alu instid0(VALU_DEP_1) | instskip(NEXT) | instid1(VALU_DEP_1)
	v_mul_f64 v[208:209], v[206:207], v[204:205]
	v_fma_f64 v[130:131], -v[130:131], v[208:209], v[206:207]
	s_delay_alu instid0(VALU_DEP_1) | instskip(NEXT) | instid1(VALU_DEP_1)
	v_div_fmas_f64 v[130:131], v[130:131], v[204:205], v[208:209]
	v_div_fixup_f64 v[128:129], v[130:131], v[128:129], 1.0
	s_delay_alu instid0(VALU_DEP_1)
	v_mul_f64 v[210:211], v[126:127], -v[128:129]
.LBB63_178:
	s_or_b32 exec_lo, exec_lo, s3
	ds_store_2addr_b64 v124, v[128:129], v[210:211] offset1:1
.LBB63_179:
	s_or_b32 exec_lo, exec_lo, s4
	s_waitcnt lgkmcnt(0)
	s_barrier
	buffer_gl0_inv
	ds_load_2addr_b64 v[204:207], v124 offset1:1
	s_mov_b32 s3, exec_lo
	v_cmpx_lt_u32_e32 19, v252
	s_cbranch_execz .LBB63_181
; %bb.180:
	s_waitcnt lgkmcnt(0)
	v_mul_f64 v[126:127], v[204:205], v[50:51]
	v_mul_f64 v[50:51], v[206:207], v[50:51]
	s_delay_alu instid0(VALU_DEP_2) | instskip(SKIP_4) | instid1(VALU_DEP_1)
	v_fma_f64 v[130:131], v[206:207], v[48:49], v[126:127]
	ds_load_2addr_b64 v[126:129], v125 offset0:40 offset1:41
	v_fma_f64 v[48:49], v[204:205], v[48:49], -v[50:51]
	s_waitcnt lgkmcnt(0)
	v_mul_f64 v[50:51], v[128:129], v[130:131]
	v_fma_f64 v[50:51], v[126:127], v[48:49], -v[50:51]
	v_mul_f64 v[126:127], v[126:127], v[130:131]
	s_delay_alu instid0(VALU_DEP_2) | instskip(NEXT) | instid1(VALU_DEP_2)
	v_add_f64 v[44:45], v[44:45], -v[50:51]
	v_fma_f64 v[126:127], v[128:129], v[48:49], v[126:127]
	s_delay_alu instid0(VALU_DEP_1) | instskip(SKIP_3) | instid1(VALU_DEP_1)
	v_add_f64 v[46:47], v[46:47], -v[126:127]
	ds_load_2addr_b64 v[126:129], v125 offset0:42 offset1:43
	s_waitcnt lgkmcnt(0)
	v_mul_f64 v[50:51], v[128:129], v[130:131]
	v_fma_f64 v[50:51], v[126:127], v[48:49], -v[50:51]
	v_mul_f64 v[126:127], v[126:127], v[130:131]
	s_delay_alu instid0(VALU_DEP_2) | instskip(NEXT) | instid1(VALU_DEP_2)
	v_add_f64 v[40:41], v[40:41], -v[50:51]
	v_fma_f64 v[126:127], v[128:129], v[48:49], v[126:127]
	s_delay_alu instid0(VALU_DEP_1) | instskip(SKIP_3) | instid1(VALU_DEP_1)
	v_add_f64 v[42:43], v[42:43], -v[126:127]
	ds_load_2addr_b64 v[126:129], v125 offset0:44 offset1:45
	;; [unrolled: 10-line block ×11, first 2 shown]
	s_waitcnt lgkmcnt(0)
	v_mul_f64 v[50:51], v[128:129], v[130:131]
	v_fma_f64 v[50:51], v[126:127], v[48:49], -v[50:51]
	v_mul_f64 v[126:127], v[126:127], v[130:131]
	s_delay_alu instid0(VALU_DEP_2) | instskip(NEXT) | instid1(VALU_DEP_2)
	v_add_f64 v[0:1], v[0:1], -v[50:51]
	v_fma_f64 v[126:127], v[128:129], v[48:49], v[126:127]
	v_dual_mov_b32 v50, v130 :: v_dual_mov_b32 v51, v131
	s_delay_alu instid0(VALU_DEP_2)
	v_add_f64 v[2:3], v[2:3], -v[126:127]
.LBB63_181:
	s_or_b32 exec_lo, exec_lo, s3
	s_delay_alu instid0(SALU_CYCLE_1)
	s_mov_b32 s4, exec_lo
	s_waitcnt lgkmcnt(0)
	s_barrier
	buffer_gl0_inv
	v_cmpx_eq_u32_e32 20, v252
	s_cbranch_execz .LBB63_188
; %bb.182:
	ds_store_2addr_b64 v124, v[44:45], v[46:47] offset1:1
	ds_store_2addr_b64 v125, v[40:41], v[42:43] offset0:42 offset1:43
	ds_store_2addr_b64 v125, v[36:37], v[38:39] offset0:44 offset1:45
	;; [unrolled: 1-line block ×11, first 2 shown]
	ds_load_2addr_b64 v[208:211], v124 offset1:1
	s_waitcnt lgkmcnt(0)
	v_cmp_neq_f64_e32 vcc_lo, 0, v[208:209]
	v_cmp_neq_f64_e64 s3, 0, v[210:211]
	s_delay_alu instid0(VALU_DEP_1) | instskip(NEXT) | instid1(SALU_CYCLE_1)
	s_or_b32 s3, vcc_lo, s3
	s_and_b32 exec_lo, exec_lo, s3
	s_cbranch_execz .LBB63_188
; %bb.183:
	v_cmp_gt_f64_e32 vcc_lo, 0, v[208:209]
	v_xor_b32_e32 v126, 0x80000000, v209
	v_xor_b32_e32 v128, 0x80000000, v211
	s_delay_alu instid0(VALU_DEP_2) | instskip(SKIP_1) | instid1(VALU_DEP_3)
	v_dual_cndmask_b32 v127, v209, v126 :: v_dual_cndmask_b32 v126, v208, v208
	v_cmp_gt_f64_e32 vcc_lo, 0, v[210:211]
	v_dual_cndmask_b32 v129, v211, v128 :: v_dual_cndmask_b32 v128, v210, v210
	s_delay_alu instid0(VALU_DEP_1) | instskip(SKIP_1) | instid1(SALU_CYCLE_1)
	v_cmp_ngt_f64_e32 vcc_lo, v[126:127], v[128:129]
                                        ; implicit-def: $vgpr128_vgpr129
	s_and_saveexec_b32 s3, vcc_lo
	s_xor_b32 s3, exec_lo, s3
                                        ; implicit-def: $vgpr212_vgpr213_vgpr214_vgpr215
	s_cbranch_execz .LBB63_185
; %bb.184:
	v_div_scale_f64 v[126:127], null, v[210:211], v[210:211], v[208:209]
	v_div_scale_f64 v[212:213], vcc_lo, v[208:209], v[210:211], v[208:209]
	s_delay_alu instid0(VALU_DEP_2) | instskip(SKIP_2) | instid1(VALU_DEP_1)
	v_rcp_f64_e32 v[128:129], v[126:127]
	s_waitcnt_depctr 0xfff
	v_fma_f64 v[130:131], -v[126:127], v[128:129], 1.0
	v_fma_f64 v[128:129], v[128:129], v[130:131], v[128:129]
	s_delay_alu instid0(VALU_DEP_1) | instskip(NEXT) | instid1(VALU_DEP_1)
	v_fma_f64 v[130:131], -v[126:127], v[128:129], 1.0
	v_fma_f64 v[128:129], v[128:129], v[130:131], v[128:129]
	s_delay_alu instid0(VALU_DEP_1) | instskip(NEXT) | instid1(VALU_DEP_1)
	v_mul_f64 v[130:131], v[212:213], v[128:129]
	v_fma_f64 v[126:127], -v[126:127], v[130:131], v[212:213]
	s_delay_alu instid0(VALU_DEP_1) | instskip(NEXT) | instid1(VALU_DEP_1)
	v_div_fmas_f64 v[126:127], v[126:127], v[128:129], v[130:131]
	v_div_fixup_f64 v[126:127], v[126:127], v[210:211], v[208:209]
	s_delay_alu instid0(VALU_DEP_1) | instskip(NEXT) | instid1(VALU_DEP_1)
	v_fma_f64 v[128:129], v[208:209], v[126:127], v[210:211]
	v_div_scale_f64 v[130:131], null, v[128:129], v[128:129], 1.0
	s_delay_alu instid0(VALU_DEP_1) | instskip(SKIP_2) | instid1(VALU_DEP_1)
	v_rcp_f64_e32 v[208:209], v[130:131]
	s_waitcnt_depctr 0xfff
	v_fma_f64 v[210:211], -v[130:131], v[208:209], 1.0
	v_fma_f64 v[208:209], v[208:209], v[210:211], v[208:209]
	s_delay_alu instid0(VALU_DEP_1) | instskip(NEXT) | instid1(VALU_DEP_1)
	v_fma_f64 v[210:211], -v[130:131], v[208:209], 1.0
	v_fma_f64 v[208:209], v[208:209], v[210:211], v[208:209]
	v_div_scale_f64 v[210:211], vcc_lo, 1.0, v[128:129], 1.0
	s_delay_alu instid0(VALU_DEP_1) | instskip(NEXT) | instid1(VALU_DEP_1)
	v_mul_f64 v[212:213], v[210:211], v[208:209]
	v_fma_f64 v[130:131], -v[130:131], v[212:213], v[210:211]
	s_delay_alu instid0(VALU_DEP_1) | instskip(NEXT) | instid1(VALU_DEP_1)
	v_div_fmas_f64 v[130:131], v[130:131], v[208:209], v[212:213]
                                        ; implicit-def: $vgpr208_vgpr209
	v_div_fixup_f64 v[214:215], v[130:131], v[128:129], 1.0
	s_delay_alu instid0(VALU_DEP_1)
	v_mul_f64 v[128:129], v[126:127], v[214:215]
	v_xor_b32_e32 v215, 0x80000000, v215
.LBB63_185:
	s_and_not1_saveexec_b32 s3, s3
	s_cbranch_execz .LBB63_187
; %bb.186:
	v_div_scale_f64 v[126:127], null, v[208:209], v[208:209], v[210:211]
	v_div_scale_f64 v[212:213], vcc_lo, v[210:211], v[208:209], v[210:211]
	s_delay_alu instid0(VALU_DEP_2) | instskip(SKIP_2) | instid1(VALU_DEP_1)
	v_rcp_f64_e32 v[128:129], v[126:127]
	s_waitcnt_depctr 0xfff
	v_fma_f64 v[130:131], -v[126:127], v[128:129], 1.0
	v_fma_f64 v[128:129], v[128:129], v[130:131], v[128:129]
	s_delay_alu instid0(VALU_DEP_1) | instskip(NEXT) | instid1(VALU_DEP_1)
	v_fma_f64 v[130:131], -v[126:127], v[128:129], 1.0
	v_fma_f64 v[128:129], v[128:129], v[130:131], v[128:129]
	s_delay_alu instid0(VALU_DEP_1) | instskip(NEXT) | instid1(VALU_DEP_1)
	v_mul_f64 v[130:131], v[212:213], v[128:129]
	v_fma_f64 v[126:127], -v[126:127], v[130:131], v[212:213]
	s_delay_alu instid0(VALU_DEP_1) | instskip(NEXT) | instid1(VALU_DEP_1)
	v_div_fmas_f64 v[126:127], v[126:127], v[128:129], v[130:131]
	v_div_fixup_f64 v[126:127], v[126:127], v[208:209], v[210:211]
	s_delay_alu instid0(VALU_DEP_1) | instskip(NEXT) | instid1(VALU_DEP_1)
	v_fma_f64 v[128:129], v[210:211], v[126:127], v[208:209]
	v_div_scale_f64 v[130:131], null, v[128:129], v[128:129], 1.0
	s_delay_alu instid0(VALU_DEP_1) | instskip(SKIP_2) | instid1(VALU_DEP_1)
	v_rcp_f64_e32 v[208:209], v[130:131]
	s_waitcnt_depctr 0xfff
	v_fma_f64 v[210:211], -v[130:131], v[208:209], 1.0
	v_fma_f64 v[208:209], v[208:209], v[210:211], v[208:209]
	s_delay_alu instid0(VALU_DEP_1) | instskip(NEXT) | instid1(VALU_DEP_1)
	v_fma_f64 v[210:211], -v[130:131], v[208:209], 1.0
	v_fma_f64 v[208:209], v[208:209], v[210:211], v[208:209]
	v_div_scale_f64 v[210:211], vcc_lo, 1.0, v[128:129], 1.0
	s_delay_alu instid0(VALU_DEP_1) | instskip(NEXT) | instid1(VALU_DEP_1)
	v_mul_f64 v[212:213], v[210:211], v[208:209]
	v_fma_f64 v[130:131], -v[130:131], v[212:213], v[210:211]
	s_delay_alu instid0(VALU_DEP_1) | instskip(NEXT) | instid1(VALU_DEP_1)
	v_div_fmas_f64 v[130:131], v[130:131], v[208:209], v[212:213]
	v_div_fixup_f64 v[128:129], v[130:131], v[128:129], 1.0
	s_delay_alu instid0(VALU_DEP_1)
	v_mul_f64 v[214:215], v[126:127], -v[128:129]
.LBB63_187:
	s_or_b32 exec_lo, exec_lo, s3
	ds_store_2addr_b64 v124, v[128:129], v[214:215] offset1:1
.LBB63_188:
	s_or_b32 exec_lo, exec_lo, s4
	s_waitcnt lgkmcnt(0)
	s_barrier
	buffer_gl0_inv
	ds_load_2addr_b64 v[208:211], v124 offset1:1
	s_mov_b32 s3, exec_lo
	v_cmpx_lt_u32_e32 20, v252
	s_cbranch_execz .LBB63_190
; %bb.189:
	s_waitcnt lgkmcnt(0)
	v_mul_f64 v[126:127], v[208:209], v[46:47]
	v_mul_f64 v[46:47], v[210:211], v[46:47]
	s_delay_alu instid0(VALU_DEP_2) | instskip(SKIP_4) | instid1(VALU_DEP_1)
	v_fma_f64 v[130:131], v[210:211], v[44:45], v[126:127]
	ds_load_2addr_b64 v[126:129], v125 offset0:42 offset1:43
	v_fma_f64 v[44:45], v[208:209], v[44:45], -v[46:47]
	s_waitcnt lgkmcnt(0)
	v_mul_f64 v[46:47], v[128:129], v[130:131]
	v_fma_f64 v[46:47], v[126:127], v[44:45], -v[46:47]
	v_mul_f64 v[126:127], v[126:127], v[130:131]
	s_delay_alu instid0(VALU_DEP_2) | instskip(NEXT) | instid1(VALU_DEP_2)
	v_add_f64 v[40:41], v[40:41], -v[46:47]
	v_fma_f64 v[126:127], v[128:129], v[44:45], v[126:127]
	s_delay_alu instid0(VALU_DEP_1) | instskip(SKIP_3) | instid1(VALU_DEP_1)
	v_add_f64 v[42:43], v[42:43], -v[126:127]
	ds_load_2addr_b64 v[126:129], v125 offset0:44 offset1:45
	s_waitcnt lgkmcnt(0)
	v_mul_f64 v[46:47], v[128:129], v[130:131]
	v_fma_f64 v[46:47], v[126:127], v[44:45], -v[46:47]
	v_mul_f64 v[126:127], v[126:127], v[130:131]
	s_delay_alu instid0(VALU_DEP_2) | instskip(NEXT) | instid1(VALU_DEP_2)
	v_add_f64 v[36:37], v[36:37], -v[46:47]
	v_fma_f64 v[126:127], v[128:129], v[44:45], v[126:127]
	s_delay_alu instid0(VALU_DEP_1) | instskip(SKIP_3) | instid1(VALU_DEP_1)
	v_add_f64 v[38:39], v[38:39], -v[126:127]
	ds_load_2addr_b64 v[126:129], v125 offset0:46 offset1:47
	;; [unrolled: 10-line block ×10, first 2 shown]
	s_waitcnt lgkmcnt(0)
	v_mul_f64 v[46:47], v[128:129], v[130:131]
	v_fma_f64 v[46:47], v[126:127], v[44:45], -v[46:47]
	v_mul_f64 v[126:127], v[126:127], v[130:131]
	s_delay_alu instid0(VALU_DEP_2) | instskip(NEXT) | instid1(VALU_DEP_2)
	v_add_f64 v[0:1], v[0:1], -v[46:47]
	v_fma_f64 v[126:127], v[128:129], v[44:45], v[126:127]
	v_dual_mov_b32 v46, v130 :: v_dual_mov_b32 v47, v131
	s_delay_alu instid0(VALU_DEP_2)
	v_add_f64 v[2:3], v[2:3], -v[126:127]
.LBB63_190:
	s_or_b32 exec_lo, exec_lo, s3
	s_delay_alu instid0(SALU_CYCLE_1)
	s_mov_b32 s4, exec_lo
	s_waitcnt lgkmcnt(0)
	s_barrier
	buffer_gl0_inv
	v_cmpx_eq_u32_e32 21, v252
	s_cbranch_execz .LBB63_197
; %bb.191:
	ds_store_2addr_b64 v124, v[40:41], v[42:43] offset1:1
	ds_store_2addr_b64 v125, v[36:37], v[38:39] offset0:44 offset1:45
	ds_store_2addr_b64 v125, v[32:33], v[34:35] offset0:46 offset1:47
	;; [unrolled: 1-line block ×10, first 2 shown]
	ds_load_2addr_b64 v[212:215], v124 offset1:1
	s_waitcnt lgkmcnt(0)
	v_cmp_neq_f64_e32 vcc_lo, 0, v[212:213]
	v_cmp_neq_f64_e64 s3, 0, v[214:215]
	s_delay_alu instid0(VALU_DEP_1) | instskip(NEXT) | instid1(SALU_CYCLE_1)
	s_or_b32 s3, vcc_lo, s3
	s_and_b32 exec_lo, exec_lo, s3
	s_cbranch_execz .LBB63_197
; %bb.192:
	v_cmp_gt_f64_e32 vcc_lo, 0, v[212:213]
	v_xor_b32_e32 v126, 0x80000000, v213
	v_xor_b32_e32 v128, 0x80000000, v215
	s_delay_alu instid0(VALU_DEP_2) | instskip(SKIP_1) | instid1(VALU_DEP_3)
	v_dual_cndmask_b32 v127, v213, v126 :: v_dual_cndmask_b32 v126, v212, v212
	v_cmp_gt_f64_e32 vcc_lo, 0, v[214:215]
	v_dual_cndmask_b32 v129, v215, v128 :: v_dual_cndmask_b32 v128, v214, v214
	s_delay_alu instid0(VALU_DEP_1) | instskip(SKIP_1) | instid1(SALU_CYCLE_1)
	v_cmp_ngt_f64_e32 vcc_lo, v[126:127], v[128:129]
                                        ; implicit-def: $vgpr128_vgpr129
	s_and_saveexec_b32 s3, vcc_lo
	s_xor_b32 s3, exec_lo, s3
                                        ; implicit-def: $vgpr216_vgpr217_vgpr218_vgpr219
	s_cbranch_execz .LBB63_194
; %bb.193:
	v_div_scale_f64 v[126:127], null, v[214:215], v[214:215], v[212:213]
	v_div_scale_f64 v[216:217], vcc_lo, v[212:213], v[214:215], v[212:213]
	s_delay_alu instid0(VALU_DEP_2) | instskip(SKIP_2) | instid1(VALU_DEP_1)
	v_rcp_f64_e32 v[128:129], v[126:127]
	s_waitcnt_depctr 0xfff
	v_fma_f64 v[130:131], -v[126:127], v[128:129], 1.0
	v_fma_f64 v[128:129], v[128:129], v[130:131], v[128:129]
	s_delay_alu instid0(VALU_DEP_1) | instskip(NEXT) | instid1(VALU_DEP_1)
	v_fma_f64 v[130:131], -v[126:127], v[128:129], 1.0
	v_fma_f64 v[128:129], v[128:129], v[130:131], v[128:129]
	s_delay_alu instid0(VALU_DEP_1) | instskip(NEXT) | instid1(VALU_DEP_1)
	v_mul_f64 v[130:131], v[216:217], v[128:129]
	v_fma_f64 v[126:127], -v[126:127], v[130:131], v[216:217]
	s_delay_alu instid0(VALU_DEP_1) | instskip(NEXT) | instid1(VALU_DEP_1)
	v_div_fmas_f64 v[126:127], v[126:127], v[128:129], v[130:131]
	v_div_fixup_f64 v[126:127], v[126:127], v[214:215], v[212:213]
	s_delay_alu instid0(VALU_DEP_1) | instskip(NEXT) | instid1(VALU_DEP_1)
	v_fma_f64 v[128:129], v[212:213], v[126:127], v[214:215]
	v_div_scale_f64 v[130:131], null, v[128:129], v[128:129], 1.0
	s_delay_alu instid0(VALU_DEP_1) | instskip(SKIP_2) | instid1(VALU_DEP_1)
	v_rcp_f64_e32 v[212:213], v[130:131]
	s_waitcnt_depctr 0xfff
	v_fma_f64 v[214:215], -v[130:131], v[212:213], 1.0
	v_fma_f64 v[212:213], v[212:213], v[214:215], v[212:213]
	s_delay_alu instid0(VALU_DEP_1) | instskip(NEXT) | instid1(VALU_DEP_1)
	v_fma_f64 v[214:215], -v[130:131], v[212:213], 1.0
	v_fma_f64 v[212:213], v[212:213], v[214:215], v[212:213]
	v_div_scale_f64 v[214:215], vcc_lo, 1.0, v[128:129], 1.0
	s_delay_alu instid0(VALU_DEP_1) | instskip(NEXT) | instid1(VALU_DEP_1)
	v_mul_f64 v[216:217], v[214:215], v[212:213]
	v_fma_f64 v[130:131], -v[130:131], v[216:217], v[214:215]
	s_delay_alu instid0(VALU_DEP_1) | instskip(NEXT) | instid1(VALU_DEP_1)
	v_div_fmas_f64 v[130:131], v[130:131], v[212:213], v[216:217]
                                        ; implicit-def: $vgpr212_vgpr213
	v_div_fixup_f64 v[218:219], v[130:131], v[128:129], 1.0
	s_delay_alu instid0(VALU_DEP_1)
	v_mul_f64 v[128:129], v[126:127], v[218:219]
	v_xor_b32_e32 v219, 0x80000000, v219
.LBB63_194:
	s_and_not1_saveexec_b32 s3, s3
	s_cbranch_execz .LBB63_196
; %bb.195:
	v_div_scale_f64 v[126:127], null, v[212:213], v[212:213], v[214:215]
	v_div_scale_f64 v[216:217], vcc_lo, v[214:215], v[212:213], v[214:215]
	s_delay_alu instid0(VALU_DEP_2) | instskip(SKIP_2) | instid1(VALU_DEP_1)
	v_rcp_f64_e32 v[128:129], v[126:127]
	s_waitcnt_depctr 0xfff
	v_fma_f64 v[130:131], -v[126:127], v[128:129], 1.0
	v_fma_f64 v[128:129], v[128:129], v[130:131], v[128:129]
	s_delay_alu instid0(VALU_DEP_1) | instskip(NEXT) | instid1(VALU_DEP_1)
	v_fma_f64 v[130:131], -v[126:127], v[128:129], 1.0
	v_fma_f64 v[128:129], v[128:129], v[130:131], v[128:129]
	s_delay_alu instid0(VALU_DEP_1) | instskip(NEXT) | instid1(VALU_DEP_1)
	v_mul_f64 v[130:131], v[216:217], v[128:129]
	v_fma_f64 v[126:127], -v[126:127], v[130:131], v[216:217]
	s_delay_alu instid0(VALU_DEP_1) | instskip(NEXT) | instid1(VALU_DEP_1)
	v_div_fmas_f64 v[126:127], v[126:127], v[128:129], v[130:131]
	v_div_fixup_f64 v[126:127], v[126:127], v[212:213], v[214:215]
	s_delay_alu instid0(VALU_DEP_1) | instskip(NEXT) | instid1(VALU_DEP_1)
	v_fma_f64 v[128:129], v[214:215], v[126:127], v[212:213]
	v_div_scale_f64 v[130:131], null, v[128:129], v[128:129], 1.0
	s_delay_alu instid0(VALU_DEP_1) | instskip(SKIP_2) | instid1(VALU_DEP_1)
	v_rcp_f64_e32 v[212:213], v[130:131]
	s_waitcnt_depctr 0xfff
	v_fma_f64 v[214:215], -v[130:131], v[212:213], 1.0
	v_fma_f64 v[212:213], v[212:213], v[214:215], v[212:213]
	s_delay_alu instid0(VALU_DEP_1) | instskip(NEXT) | instid1(VALU_DEP_1)
	v_fma_f64 v[214:215], -v[130:131], v[212:213], 1.0
	v_fma_f64 v[212:213], v[212:213], v[214:215], v[212:213]
	v_div_scale_f64 v[214:215], vcc_lo, 1.0, v[128:129], 1.0
	s_delay_alu instid0(VALU_DEP_1) | instskip(NEXT) | instid1(VALU_DEP_1)
	v_mul_f64 v[216:217], v[214:215], v[212:213]
	v_fma_f64 v[130:131], -v[130:131], v[216:217], v[214:215]
	s_delay_alu instid0(VALU_DEP_1) | instskip(NEXT) | instid1(VALU_DEP_1)
	v_div_fmas_f64 v[130:131], v[130:131], v[212:213], v[216:217]
	v_div_fixup_f64 v[128:129], v[130:131], v[128:129], 1.0
	s_delay_alu instid0(VALU_DEP_1)
	v_mul_f64 v[218:219], v[126:127], -v[128:129]
.LBB63_196:
	s_or_b32 exec_lo, exec_lo, s3
	ds_store_2addr_b64 v124, v[128:129], v[218:219] offset1:1
.LBB63_197:
	s_or_b32 exec_lo, exec_lo, s4
	s_waitcnt lgkmcnt(0)
	s_barrier
	buffer_gl0_inv
	ds_load_2addr_b64 v[212:215], v124 offset1:1
	s_mov_b32 s3, exec_lo
	v_cmpx_lt_u32_e32 21, v252
	s_cbranch_execz .LBB63_199
; %bb.198:
	s_waitcnt lgkmcnt(0)
	v_mul_f64 v[126:127], v[212:213], v[42:43]
	v_mul_f64 v[42:43], v[214:215], v[42:43]
	s_delay_alu instid0(VALU_DEP_2) | instskip(SKIP_4) | instid1(VALU_DEP_1)
	v_fma_f64 v[130:131], v[214:215], v[40:41], v[126:127]
	ds_load_2addr_b64 v[126:129], v125 offset0:44 offset1:45
	v_fma_f64 v[40:41], v[212:213], v[40:41], -v[42:43]
	s_waitcnt lgkmcnt(0)
	v_mul_f64 v[42:43], v[128:129], v[130:131]
	v_fma_f64 v[42:43], v[126:127], v[40:41], -v[42:43]
	v_mul_f64 v[126:127], v[126:127], v[130:131]
	s_delay_alu instid0(VALU_DEP_2) | instskip(NEXT) | instid1(VALU_DEP_2)
	v_add_f64 v[36:37], v[36:37], -v[42:43]
	v_fma_f64 v[126:127], v[128:129], v[40:41], v[126:127]
	s_delay_alu instid0(VALU_DEP_1) | instskip(SKIP_3) | instid1(VALU_DEP_1)
	v_add_f64 v[38:39], v[38:39], -v[126:127]
	ds_load_2addr_b64 v[126:129], v125 offset0:46 offset1:47
	s_waitcnt lgkmcnt(0)
	v_mul_f64 v[42:43], v[128:129], v[130:131]
	v_fma_f64 v[42:43], v[126:127], v[40:41], -v[42:43]
	v_mul_f64 v[126:127], v[126:127], v[130:131]
	s_delay_alu instid0(VALU_DEP_2) | instskip(NEXT) | instid1(VALU_DEP_2)
	v_add_f64 v[32:33], v[32:33], -v[42:43]
	v_fma_f64 v[126:127], v[128:129], v[40:41], v[126:127]
	s_delay_alu instid0(VALU_DEP_1) | instskip(SKIP_3) | instid1(VALU_DEP_1)
	v_add_f64 v[34:35], v[34:35], -v[126:127]
	ds_load_2addr_b64 v[126:129], v125 offset0:48 offset1:49
	;; [unrolled: 10-line block ×9, first 2 shown]
	s_waitcnt lgkmcnt(0)
	v_mul_f64 v[42:43], v[128:129], v[130:131]
	v_fma_f64 v[42:43], v[126:127], v[40:41], -v[42:43]
	v_mul_f64 v[126:127], v[126:127], v[130:131]
	s_delay_alu instid0(VALU_DEP_2) | instskip(NEXT) | instid1(VALU_DEP_2)
	v_add_f64 v[0:1], v[0:1], -v[42:43]
	v_fma_f64 v[126:127], v[128:129], v[40:41], v[126:127]
	v_dual_mov_b32 v42, v130 :: v_dual_mov_b32 v43, v131
	s_delay_alu instid0(VALU_DEP_2)
	v_add_f64 v[2:3], v[2:3], -v[126:127]
.LBB63_199:
	s_or_b32 exec_lo, exec_lo, s3
	s_delay_alu instid0(SALU_CYCLE_1)
	s_mov_b32 s4, exec_lo
	s_waitcnt lgkmcnt(0)
	s_barrier
	buffer_gl0_inv
	v_cmpx_eq_u32_e32 22, v252
	s_cbranch_execz .LBB63_206
; %bb.200:
	ds_store_2addr_b64 v124, v[36:37], v[38:39] offset1:1
	ds_store_2addr_b64 v125, v[32:33], v[34:35] offset0:46 offset1:47
	ds_store_2addr_b64 v125, v[28:29], v[30:31] offset0:48 offset1:49
	;; [unrolled: 1-line block ×9, first 2 shown]
	ds_load_2addr_b64 v[216:219], v124 offset1:1
	s_waitcnt lgkmcnt(0)
	v_cmp_neq_f64_e32 vcc_lo, 0, v[216:217]
	v_cmp_neq_f64_e64 s3, 0, v[218:219]
	s_delay_alu instid0(VALU_DEP_1) | instskip(NEXT) | instid1(SALU_CYCLE_1)
	s_or_b32 s3, vcc_lo, s3
	s_and_b32 exec_lo, exec_lo, s3
	s_cbranch_execz .LBB63_206
; %bb.201:
	v_cmp_gt_f64_e32 vcc_lo, 0, v[216:217]
	v_xor_b32_e32 v126, 0x80000000, v217
	v_xor_b32_e32 v128, 0x80000000, v219
	s_delay_alu instid0(VALU_DEP_2) | instskip(SKIP_1) | instid1(VALU_DEP_3)
	v_dual_cndmask_b32 v127, v217, v126 :: v_dual_cndmask_b32 v126, v216, v216
	v_cmp_gt_f64_e32 vcc_lo, 0, v[218:219]
	v_dual_cndmask_b32 v129, v219, v128 :: v_dual_cndmask_b32 v128, v218, v218
	s_delay_alu instid0(VALU_DEP_1) | instskip(SKIP_1) | instid1(SALU_CYCLE_1)
	v_cmp_ngt_f64_e32 vcc_lo, v[126:127], v[128:129]
                                        ; implicit-def: $vgpr128_vgpr129
	s_and_saveexec_b32 s3, vcc_lo
	s_xor_b32 s3, exec_lo, s3
                                        ; implicit-def: $vgpr220_vgpr221_vgpr222_vgpr223
	s_cbranch_execz .LBB63_203
; %bb.202:
	v_div_scale_f64 v[126:127], null, v[218:219], v[218:219], v[216:217]
	v_div_scale_f64 v[220:221], vcc_lo, v[216:217], v[218:219], v[216:217]
	s_delay_alu instid0(VALU_DEP_2) | instskip(SKIP_2) | instid1(VALU_DEP_1)
	v_rcp_f64_e32 v[128:129], v[126:127]
	s_waitcnt_depctr 0xfff
	v_fma_f64 v[130:131], -v[126:127], v[128:129], 1.0
	v_fma_f64 v[128:129], v[128:129], v[130:131], v[128:129]
	s_delay_alu instid0(VALU_DEP_1) | instskip(NEXT) | instid1(VALU_DEP_1)
	v_fma_f64 v[130:131], -v[126:127], v[128:129], 1.0
	v_fma_f64 v[128:129], v[128:129], v[130:131], v[128:129]
	s_delay_alu instid0(VALU_DEP_1) | instskip(NEXT) | instid1(VALU_DEP_1)
	v_mul_f64 v[130:131], v[220:221], v[128:129]
	v_fma_f64 v[126:127], -v[126:127], v[130:131], v[220:221]
	s_delay_alu instid0(VALU_DEP_1) | instskip(NEXT) | instid1(VALU_DEP_1)
	v_div_fmas_f64 v[126:127], v[126:127], v[128:129], v[130:131]
	v_div_fixup_f64 v[126:127], v[126:127], v[218:219], v[216:217]
	s_delay_alu instid0(VALU_DEP_1) | instskip(NEXT) | instid1(VALU_DEP_1)
	v_fma_f64 v[128:129], v[216:217], v[126:127], v[218:219]
	v_div_scale_f64 v[130:131], null, v[128:129], v[128:129], 1.0
	s_delay_alu instid0(VALU_DEP_1) | instskip(SKIP_2) | instid1(VALU_DEP_1)
	v_rcp_f64_e32 v[216:217], v[130:131]
	s_waitcnt_depctr 0xfff
	v_fma_f64 v[218:219], -v[130:131], v[216:217], 1.0
	v_fma_f64 v[216:217], v[216:217], v[218:219], v[216:217]
	s_delay_alu instid0(VALU_DEP_1) | instskip(NEXT) | instid1(VALU_DEP_1)
	v_fma_f64 v[218:219], -v[130:131], v[216:217], 1.0
	v_fma_f64 v[216:217], v[216:217], v[218:219], v[216:217]
	v_div_scale_f64 v[218:219], vcc_lo, 1.0, v[128:129], 1.0
	s_delay_alu instid0(VALU_DEP_1) | instskip(NEXT) | instid1(VALU_DEP_1)
	v_mul_f64 v[220:221], v[218:219], v[216:217]
	v_fma_f64 v[130:131], -v[130:131], v[220:221], v[218:219]
	s_delay_alu instid0(VALU_DEP_1) | instskip(NEXT) | instid1(VALU_DEP_1)
	v_div_fmas_f64 v[130:131], v[130:131], v[216:217], v[220:221]
                                        ; implicit-def: $vgpr216_vgpr217
	v_div_fixup_f64 v[222:223], v[130:131], v[128:129], 1.0
	s_delay_alu instid0(VALU_DEP_1)
	v_mul_f64 v[128:129], v[126:127], v[222:223]
	v_xor_b32_e32 v223, 0x80000000, v223
.LBB63_203:
	s_and_not1_saveexec_b32 s3, s3
	s_cbranch_execz .LBB63_205
; %bb.204:
	v_div_scale_f64 v[126:127], null, v[216:217], v[216:217], v[218:219]
	v_div_scale_f64 v[220:221], vcc_lo, v[218:219], v[216:217], v[218:219]
	s_delay_alu instid0(VALU_DEP_2) | instskip(SKIP_2) | instid1(VALU_DEP_1)
	v_rcp_f64_e32 v[128:129], v[126:127]
	s_waitcnt_depctr 0xfff
	v_fma_f64 v[130:131], -v[126:127], v[128:129], 1.0
	v_fma_f64 v[128:129], v[128:129], v[130:131], v[128:129]
	s_delay_alu instid0(VALU_DEP_1) | instskip(NEXT) | instid1(VALU_DEP_1)
	v_fma_f64 v[130:131], -v[126:127], v[128:129], 1.0
	v_fma_f64 v[128:129], v[128:129], v[130:131], v[128:129]
	s_delay_alu instid0(VALU_DEP_1) | instskip(NEXT) | instid1(VALU_DEP_1)
	v_mul_f64 v[130:131], v[220:221], v[128:129]
	v_fma_f64 v[126:127], -v[126:127], v[130:131], v[220:221]
	s_delay_alu instid0(VALU_DEP_1) | instskip(NEXT) | instid1(VALU_DEP_1)
	v_div_fmas_f64 v[126:127], v[126:127], v[128:129], v[130:131]
	v_div_fixup_f64 v[126:127], v[126:127], v[216:217], v[218:219]
	s_delay_alu instid0(VALU_DEP_1) | instskip(NEXT) | instid1(VALU_DEP_1)
	v_fma_f64 v[128:129], v[218:219], v[126:127], v[216:217]
	v_div_scale_f64 v[130:131], null, v[128:129], v[128:129], 1.0
	s_delay_alu instid0(VALU_DEP_1) | instskip(SKIP_2) | instid1(VALU_DEP_1)
	v_rcp_f64_e32 v[216:217], v[130:131]
	s_waitcnt_depctr 0xfff
	v_fma_f64 v[218:219], -v[130:131], v[216:217], 1.0
	v_fma_f64 v[216:217], v[216:217], v[218:219], v[216:217]
	s_delay_alu instid0(VALU_DEP_1) | instskip(NEXT) | instid1(VALU_DEP_1)
	v_fma_f64 v[218:219], -v[130:131], v[216:217], 1.0
	v_fma_f64 v[216:217], v[216:217], v[218:219], v[216:217]
	v_div_scale_f64 v[218:219], vcc_lo, 1.0, v[128:129], 1.0
	s_delay_alu instid0(VALU_DEP_1) | instskip(NEXT) | instid1(VALU_DEP_1)
	v_mul_f64 v[220:221], v[218:219], v[216:217]
	v_fma_f64 v[130:131], -v[130:131], v[220:221], v[218:219]
	s_delay_alu instid0(VALU_DEP_1) | instskip(NEXT) | instid1(VALU_DEP_1)
	v_div_fmas_f64 v[130:131], v[130:131], v[216:217], v[220:221]
	v_div_fixup_f64 v[128:129], v[130:131], v[128:129], 1.0
	s_delay_alu instid0(VALU_DEP_1)
	v_mul_f64 v[222:223], v[126:127], -v[128:129]
.LBB63_205:
	s_or_b32 exec_lo, exec_lo, s3
	ds_store_2addr_b64 v124, v[128:129], v[222:223] offset1:1
.LBB63_206:
	s_or_b32 exec_lo, exec_lo, s4
	s_waitcnt lgkmcnt(0)
	s_barrier
	buffer_gl0_inv
	ds_load_2addr_b64 v[216:219], v124 offset1:1
	s_mov_b32 s3, exec_lo
	v_cmpx_lt_u32_e32 22, v252
	s_cbranch_execz .LBB63_208
; %bb.207:
	s_waitcnt lgkmcnt(0)
	v_mul_f64 v[126:127], v[216:217], v[38:39]
	v_mul_f64 v[38:39], v[218:219], v[38:39]
	s_delay_alu instid0(VALU_DEP_2) | instskip(SKIP_4) | instid1(VALU_DEP_1)
	v_fma_f64 v[130:131], v[218:219], v[36:37], v[126:127]
	ds_load_2addr_b64 v[126:129], v125 offset0:46 offset1:47
	v_fma_f64 v[36:37], v[216:217], v[36:37], -v[38:39]
	s_waitcnt lgkmcnt(0)
	v_mul_f64 v[38:39], v[128:129], v[130:131]
	v_fma_f64 v[38:39], v[126:127], v[36:37], -v[38:39]
	v_mul_f64 v[126:127], v[126:127], v[130:131]
	s_delay_alu instid0(VALU_DEP_2) | instskip(NEXT) | instid1(VALU_DEP_2)
	v_add_f64 v[32:33], v[32:33], -v[38:39]
	v_fma_f64 v[126:127], v[128:129], v[36:37], v[126:127]
	s_delay_alu instid0(VALU_DEP_1) | instskip(SKIP_3) | instid1(VALU_DEP_1)
	v_add_f64 v[34:35], v[34:35], -v[126:127]
	ds_load_2addr_b64 v[126:129], v125 offset0:48 offset1:49
	s_waitcnt lgkmcnt(0)
	v_mul_f64 v[38:39], v[128:129], v[130:131]
	v_fma_f64 v[38:39], v[126:127], v[36:37], -v[38:39]
	v_mul_f64 v[126:127], v[126:127], v[130:131]
	s_delay_alu instid0(VALU_DEP_2) | instskip(NEXT) | instid1(VALU_DEP_2)
	v_add_f64 v[28:29], v[28:29], -v[38:39]
	v_fma_f64 v[126:127], v[128:129], v[36:37], v[126:127]
	s_delay_alu instid0(VALU_DEP_1) | instskip(SKIP_3) | instid1(VALU_DEP_1)
	v_add_f64 v[30:31], v[30:31], -v[126:127]
	ds_load_2addr_b64 v[126:129], v125 offset0:50 offset1:51
	;; [unrolled: 10-line block ×8, first 2 shown]
	s_waitcnt lgkmcnt(0)
	v_mul_f64 v[38:39], v[128:129], v[130:131]
	v_fma_f64 v[38:39], v[126:127], v[36:37], -v[38:39]
	v_mul_f64 v[126:127], v[126:127], v[130:131]
	s_delay_alu instid0(VALU_DEP_2) | instskip(NEXT) | instid1(VALU_DEP_2)
	v_add_f64 v[0:1], v[0:1], -v[38:39]
	v_fma_f64 v[126:127], v[128:129], v[36:37], v[126:127]
	v_dual_mov_b32 v38, v130 :: v_dual_mov_b32 v39, v131
	s_delay_alu instid0(VALU_DEP_2)
	v_add_f64 v[2:3], v[2:3], -v[126:127]
.LBB63_208:
	s_or_b32 exec_lo, exec_lo, s3
	s_delay_alu instid0(SALU_CYCLE_1)
	s_mov_b32 s4, exec_lo
	s_waitcnt lgkmcnt(0)
	s_barrier
	buffer_gl0_inv
	v_cmpx_eq_u32_e32 23, v252
	s_cbranch_execz .LBB63_215
; %bb.209:
	ds_store_2addr_b64 v124, v[32:33], v[34:35] offset1:1
	ds_store_2addr_b64 v125, v[28:29], v[30:31] offset0:48 offset1:49
	ds_store_2addr_b64 v125, v[24:25], v[26:27] offset0:50 offset1:51
	;; [unrolled: 1-line block ×8, first 2 shown]
	ds_load_2addr_b64 v[220:223], v124 offset1:1
	s_waitcnt lgkmcnt(0)
	v_cmp_neq_f64_e32 vcc_lo, 0, v[220:221]
	v_cmp_neq_f64_e64 s3, 0, v[222:223]
	s_delay_alu instid0(VALU_DEP_1) | instskip(NEXT) | instid1(SALU_CYCLE_1)
	s_or_b32 s3, vcc_lo, s3
	s_and_b32 exec_lo, exec_lo, s3
	s_cbranch_execz .LBB63_215
; %bb.210:
	v_cmp_gt_f64_e32 vcc_lo, 0, v[220:221]
	v_xor_b32_e32 v126, 0x80000000, v221
	v_xor_b32_e32 v128, 0x80000000, v223
	s_delay_alu instid0(VALU_DEP_2) | instskip(SKIP_1) | instid1(VALU_DEP_3)
	v_dual_cndmask_b32 v127, v221, v126 :: v_dual_cndmask_b32 v126, v220, v220
	v_cmp_gt_f64_e32 vcc_lo, 0, v[222:223]
	v_dual_cndmask_b32 v129, v223, v128 :: v_dual_cndmask_b32 v128, v222, v222
	s_delay_alu instid0(VALU_DEP_1) | instskip(SKIP_1) | instid1(SALU_CYCLE_1)
	v_cmp_ngt_f64_e32 vcc_lo, v[126:127], v[128:129]
                                        ; implicit-def: $vgpr128_vgpr129
	s_and_saveexec_b32 s3, vcc_lo
	s_xor_b32 s3, exec_lo, s3
                                        ; implicit-def: $vgpr224_vgpr225_vgpr226_vgpr227
	s_cbranch_execz .LBB63_212
; %bb.211:
	v_div_scale_f64 v[126:127], null, v[222:223], v[222:223], v[220:221]
	v_div_scale_f64 v[224:225], vcc_lo, v[220:221], v[222:223], v[220:221]
	s_delay_alu instid0(VALU_DEP_2) | instskip(SKIP_2) | instid1(VALU_DEP_1)
	v_rcp_f64_e32 v[128:129], v[126:127]
	s_waitcnt_depctr 0xfff
	v_fma_f64 v[130:131], -v[126:127], v[128:129], 1.0
	v_fma_f64 v[128:129], v[128:129], v[130:131], v[128:129]
	s_delay_alu instid0(VALU_DEP_1) | instskip(NEXT) | instid1(VALU_DEP_1)
	v_fma_f64 v[130:131], -v[126:127], v[128:129], 1.0
	v_fma_f64 v[128:129], v[128:129], v[130:131], v[128:129]
	s_delay_alu instid0(VALU_DEP_1) | instskip(NEXT) | instid1(VALU_DEP_1)
	v_mul_f64 v[130:131], v[224:225], v[128:129]
	v_fma_f64 v[126:127], -v[126:127], v[130:131], v[224:225]
	s_delay_alu instid0(VALU_DEP_1) | instskip(NEXT) | instid1(VALU_DEP_1)
	v_div_fmas_f64 v[126:127], v[126:127], v[128:129], v[130:131]
	v_div_fixup_f64 v[126:127], v[126:127], v[222:223], v[220:221]
	s_delay_alu instid0(VALU_DEP_1) | instskip(NEXT) | instid1(VALU_DEP_1)
	v_fma_f64 v[128:129], v[220:221], v[126:127], v[222:223]
	v_div_scale_f64 v[130:131], null, v[128:129], v[128:129], 1.0
	s_delay_alu instid0(VALU_DEP_1) | instskip(SKIP_2) | instid1(VALU_DEP_1)
	v_rcp_f64_e32 v[220:221], v[130:131]
	s_waitcnt_depctr 0xfff
	v_fma_f64 v[222:223], -v[130:131], v[220:221], 1.0
	v_fma_f64 v[220:221], v[220:221], v[222:223], v[220:221]
	s_delay_alu instid0(VALU_DEP_1) | instskip(NEXT) | instid1(VALU_DEP_1)
	v_fma_f64 v[222:223], -v[130:131], v[220:221], 1.0
	v_fma_f64 v[220:221], v[220:221], v[222:223], v[220:221]
	v_div_scale_f64 v[222:223], vcc_lo, 1.0, v[128:129], 1.0
	s_delay_alu instid0(VALU_DEP_1) | instskip(NEXT) | instid1(VALU_DEP_1)
	v_mul_f64 v[224:225], v[222:223], v[220:221]
	v_fma_f64 v[130:131], -v[130:131], v[224:225], v[222:223]
	s_delay_alu instid0(VALU_DEP_1) | instskip(NEXT) | instid1(VALU_DEP_1)
	v_div_fmas_f64 v[130:131], v[130:131], v[220:221], v[224:225]
                                        ; implicit-def: $vgpr220_vgpr221
	v_div_fixup_f64 v[226:227], v[130:131], v[128:129], 1.0
	s_delay_alu instid0(VALU_DEP_1)
	v_mul_f64 v[128:129], v[126:127], v[226:227]
	v_xor_b32_e32 v227, 0x80000000, v227
.LBB63_212:
	s_and_not1_saveexec_b32 s3, s3
	s_cbranch_execz .LBB63_214
; %bb.213:
	v_div_scale_f64 v[126:127], null, v[220:221], v[220:221], v[222:223]
	v_div_scale_f64 v[224:225], vcc_lo, v[222:223], v[220:221], v[222:223]
	s_delay_alu instid0(VALU_DEP_2) | instskip(SKIP_2) | instid1(VALU_DEP_1)
	v_rcp_f64_e32 v[128:129], v[126:127]
	s_waitcnt_depctr 0xfff
	v_fma_f64 v[130:131], -v[126:127], v[128:129], 1.0
	v_fma_f64 v[128:129], v[128:129], v[130:131], v[128:129]
	s_delay_alu instid0(VALU_DEP_1) | instskip(NEXT) | instid1(VALU_DEP_1)
	v_fma_f64 v[130:131], -v[126:127], v[128:129], 1.0
	v_fma_f64 v[128:129], v[128:129], v[130:131], v[128:129]
	s_delay_alu instid0(VALU_DEP_1) | instskip(NEXT) | instid1(VALU_DEP_1)
	v_mul_f64 v[130:131], v[224:225], v[128:129]
	v_fma_f64 v[126:127], -v[126:127], v[130:131], v[224:225]
	s_delay_alu instid0(VALU_DEP_1) | instskip(NEXT) | instid1(VALU_DEP_1)
	v_div_fmas_f64 v[126:127], v[126:127], v[128:129], v[130:131]
	v_div_fixup_f64 v[126:127], v[126:127], v[220:221], v[222:223]
	s_delay_alu instid0(VALU_DEP_1) | instskip(NEXT) | instid1(VALU_DEP_1)
	v_fma_f64 v[128:129], v[222:223], v[126:127], v[220:221]
	v_div_scale_f64 v[130:131], null, v[128:129], v[128:129], 1.0
	s_delay_alu instid0(VALU_DEP_1) | instskip(SKIP_2) | instid1(VALU_DEP_1)
	v_rcp_f64_e32 v[220:221], v[130:131]
	s_waitcnt_depctr 0xfff
	v_fma_f64 v[222:223], -v[130:131], v[220:221], 1.0
	v_fma_f64 v[220:221], v[220:221], v[222:223], v[220:221]
	s_delay_alu instid0(VALU_DEP_1) | instskip(NEXT) | instid1(VALU_DEP_1)
	v_fma_f64 v[222:223], -v[130:131], v[220:221], 1.0
	v_fma_f64 v[220:221], v[220:221], v[222:223], v[220:221]
	v_div_scale_f64 v[222:223], vcc_lo, 1.0, v[128:129], 1.0
	s_delay_alu instid0(VALU_DEP_1) | instskip(NEXT) | instid1(VALU_DEP_1)
	v_mul_f64 v[224:225], v[222:223], v[220:221]
	v_fma_f64 v[130:131], -v[130:131], v[224:225], v[222:223]
	s_delay_alu instid0(VALU_DEP_1) | instskip(NEXT) | instid1(VALU_DEP_1)
	v_div_fmas_f64 v[130:131], v[130:131], v[220:221], v[224:225]
	v_div_fixup_f64 v[128:129], v[130:131], v[128:129], 1.0
	s_delay_alu instid0(VALU_DEP_1)
	v_mul_f64 v[226:227], v[126:127], -v[128:129]
.LBB63_214:
	s_or_b32 exec_lo, exec_lo, s3
	ds_store_2addr_b64 v124, v[128:129], v[226:227] offset1:1
.LBB63_215:
	s_or_b32 exec_lo, exec_lo, s4
	s_waitcnt lgkmcnt(0)
	s_barrier
	buffer_gl0_inv
	ds_load_2addr_b64 v[220:223], v124 offset1:1
	s_mov_b32 s3, exec_lo
	v_cmpx_lt_u32_e32 23, v252
	s_cbranch_execz .LBB63_217
; %bb.216:
	s_waitcnt lgkmcnt(0)
	v_mul_f64 v[126:127], v[220:221], v[34:35]
	v_mul_f64 v[34:35], v[222:223], v[34:35]
	s_delay_alu instid0(VALU_DEP_2) | instskip(SKIP_4) | instid1(VALU_DEP_1)
	v_fma_f64 v[130:131], v[222:223], v[32:33], v[126:127]
	ds_load_2addr_b64 v[126:129], v125 offset0:48 offset1:49
	v_fma_f64 v[32:33], v[220:221], v[32:33], -v[34:35]
	s_waitcnt lgkmcnt(0)
	v_mul_f64 v[34:35], v[128:129], v[130:131]
	v_fma_f64 v[34:35], v[126:127], v[32:33], -v[34:35]
	v_mul_f64 v[126:127], v[126:127], v[130:131]
	s_delay_alu instid0(VALU_DEP_2) | instskip(NEXT) | instid1(VALU_DEP_2)
	v_add_f64 v[28:29], v[28:29], -v[34:35]
	v_fma_f64 v[126:127], v[128:129], v[32:33], v[126:127]
	s_delay_alu instid0(VALU_DEP_1) | instskip(SKIP_3) | instid1(VALU_DEP_1)
	v_add_f64 v[30:31], v[30:31], -v[126:127]
	ds_load_2addr_b64 v[126:129], v125 offset0:50 offset1:51
	s_waitcnt lgkmcnt(0)
	v_mul_f64 v[34:35], v[128:129], v[130:131]
	v_fma_f64 v[34:35], v[126:127], v[32:33], -v[34:35]
	v_mul_f64 v[126:127], v[126:127], v[130:131]
	s_delay_alu instid0(VALU_DEP_2) | instskip(NEXT) | instid1(VALU_DEP_2)
	v_add_f64 v[24:25], v[24:25], -v[34:35]
	v_fma_f64 v[126:127], v[128:129], v[32:33], v[126:127]
	s_delay_alu instid0(VALU_DEP_1) | instskip(SKIP_3) | instid1(VALU_DEP_1)
	v_add_f64 v[26:27], v[26:27], -v[126:127]
	ds_load_2addr_b64 v[126:129], v125 offset0:52 offset1:53
	;; [unrolled: 10-line block ×7, first 2 shown]
	s_waitcnt lgkmcnt(0)
	v_mul_f64 v[34:35], v[128:129], v[130:131]
	v_fma_f64 v[34:35], v[126:127], v[32:33], -v[34:35]
	v_mul_f64 v[126:127], v[126:127], v[130:131]
	s_delay_alu instid0(VALU_DEP_2) | instskip(NEXT) | instid1(VALU_DEP_2)
	v_add_f64 v[0:1], v[0:1], -v[34:35]
	v_fma_f64 v[126:127], v[128:129], v[32:33], v[126:127]
	v_dual_mov_b32 v34, v130 :: v_dual_mov_b32 v35, v131
	s_delay_alu instid0(VALU_DEP_2)
	v_add_f64 v[2:3], v[2:3], -v[126:127]
.LBB63_217:
	s_or_b32 exec_lo, exec_lo, s3
	s_delay_alu instid0(SALU_CYCLE_1)
	s_mov_b32 s4, exec_lo
	s_waitcnt lgkmcnt(0)
	s_barrier
	buffer_gl0_inv
	v_cmpx_eq_u32_e32 24, v252
	s_cbranch_execz .LBB63_224
; %bb.218:
	ds_store_2addr_b64 v124, v[28:29], v[30:31] offset1:1
	ds_store_2addr_b64 v125, v[24:25], v[26:27] offset0:50 offset1:51
	ds_store_2addr_b64 v125, v[20:21], v[22:23] offset0:52 offset1:53
	;; [unrolled: 1-line block ×7, first 2 shown]
	ds_load_2addr_b64 v[224:227], v124 offset1:1
	s_waitcnt lgkmcnt(0)
	v_cmp_neq_f64_e32 vcc_lo, 0, v[224:225]
	v_cmp_neq_f64_e64 s3, 0, v[226:227]
	s_delay_alu instid0(VALU_DEP_1) | instskip(NEXT) | instid1(SALU_CYCLE_1)
	s_or_b32 s3, vcc_lo, s3
	s_and_b32 exec_lo, exec_lo, s3
	s_cbranch_execz .LBB63_224
; %bb.219:
	v_cmp_gt_f64_e32 vcc_lo, 0, v[224:225]
	v_xor_b32_e32 v126, 0x80000000, v225
	v_xor_b32_e32 v128, 0x80000000, v227
	s_delay_alu instid0(VALU_DEP_2) | instskip(SKIP_1) | instid1(VALU_DEP_3)
	v_dual_cndmask_b32 v127, v225, v126 :: v_dual_cndmask_b32 v126, v224, v224
	v_cmp_gt_f64_e32 vcc_lo, 0, v[226:227]
	v_dual_cndmask_b32 v129, v227, v128 :: v_dual_cndmask_b32 v128, v226, v226
	s_delay_alu instid0(VALU_DEP_1) | instskip(SKIP_1) | instid1(SALU_CYCLE_1)
	v_cmp_ngt_f64_e32 vcc_lo, v[126:127], v[128:129]
                                        ; implicit-def: $vgpr128_vgpr129
	s_and_saveexec_b32 s3, vcc_lo
	s_xor_b32 s3, exec_lo, s3
                                        ; implicit-def: $vgpr228_vgpr229_vgpr230_vgpr231
	s_cbranch_execz .LBB63_221
; %bb.220:
	v_div_scale_f64 v[126:127], null, v[226:227], v[226:227], v[224:225]
	v_div_scale_f64 v[228:229], vcc_lo, v[224:225], v[226:227], v[224:225]
	s_delay_alu instid0(VALU_DEP_2) | instskip(SKIP_2) | instid1(VALU_DEP_1)
	v_rcp_f64_e32 v[128:129], v[126:127]
	s_waitcnt_depctr 0xfff
	v_fma_f64 v[130:131], -v[126:127], v[128:129], 1.0
	v_fma_f64 v[128:129], v[128:129], v[130:131], v[128:129]
	s_delay_alu instid0(VALU_DEP_1) | instskip(NEXT) | instid1(VALU_DEP_1)
	v_fma_f64 v[130:131], -v[126:127], v[128:129], 1.0
	v_fma_f64 v[128:129], v[128:129], v[130:131], v[128:129]
	s_delay_alu instid0(VALU_DEP_1) | instskip(NEXT) | instid1(VALU_DEP_1)
	v_mul_f64 v[130:131], v[228:229], v[128:129]
	v_fma_f64 v[126:127], -v[126:127], v[130:131], v[228:229]
	s_delay_alu instid0(VALU_DEP_1) | instskip(NEXT) | instid1(VALU_DEP_1)
	v_div_fmas_f64 v[126:127], v[126:127], v[128:129], v[130:131]
	v_div_fixup_f64 v[126:127], v[126:127], v[226:227], v[224:225]
	s_delay_alu instid0(VALU_DEP_1) | instskip(NEXT) | instid1(VALU_DEP_1)
	v_fma_f64 v[128:129], v[224:225], v[126:127], v[226:227]
	v_div_scale_f64 v[130:131], null, v[128:129], v[128:129], 1.0
	s_delay_alu instid0(VALU_DEP_1) | instskip(SKIP_2) | instid1(VALU_DEP_1)
	v_rcp_f64_e32 v[224:225], v[130:131]
	s_waitcnt_depctr 0xfff
	v_fma_f64 v[226:227], -v[130:131], v[224:225], 1.0
	v_fma_f64 v[224:225], v[224:225], v[226:227], v[224:225]
	s_delay_alu instid0(VALU_DEP_1) | instskip(NEXT) | instid1(VALU_DEP_1)
	v_fma_f64 v[226:227], -v[130:131], v[224:225], 1.0
	v_fma_f64 v[224:225], v[224:225], v[226:227], v[224:225]
	v_div_scale_f64 v[226:227], vcc_lo, 1.0, v[128:129], 1.0
	s_delay_alu instid0(VALU_DEP_1) | instskip(NEXT) | instid1(VALU_DEP_1)
	v_mul_f64 v[228:229], v[226:227], v[224:225]
	v_fma_f64 v[130:131], -v[130:131], v[228:229], v[226:227]
	s_delay_alu instid0(VALU_DEP_1) | instskip(NEXT) | instid1(VALU_DEP_1)
	v_div_fmas_f64 v[130:131], v[130:131], v[224:225], v[228:229]
                                        ; implicit-def: $vgpr224_vgpr225
	v_div_fixup_f64 v[230:231], v[130:131], v[128:129], 1.0
	s_delay_alu instid0(VALU_DEP_1)
	v_mul_f64 v[128:129], v[126:127], v[230:231]
	v_xor_b32_e32 v231, 0x80000000, v231
.LBB63_221:
	s_and_not1_saveexec_b32 s3, s3
	s_cbranch_execz .LBB63_223
; %bb.222:
	v_div_scale_f64 v[126:127], null, v[224:225], v[224:225], v[226:227]
	v_div_scale_f64 v[228:229], vcc_lo, v[226:227], v[224:225], v[226:227]
	s_delay_alu instid0(VALU_DEP_2) | instskip(SKIP_2) | instid1(VALU_DEP_1)
	v_rcp_f64_e32 v[128:129], v[126:127]
	s_waitcnt_depctr 0xfff
	v_fma_f64 v[130:131], -v[126:127], v[128:129], 1.0
	v_fma_f64 v[128:129], v[128:129], v[130:131], v[128:129]
	s_delay_alu instid0(VALU_DEP_1) | instskip(NEXT) | instid1(VALU_DEP_1)
	v_fma_f64 v[130:131], -v[126:127], v[128:129], 1.0
	v_fma_f64 v[128:129], v[128:129], v[130:131], v[128:129]
	s_delay_alu instid0(VALU_DEP_1) | instskip(NEXT) | instid1(VALU_DEP_1)
	v_mul_f64 v[130:131], v[228:229], v[128:129]
	v_fma_f64 v[126:127], -v[126:127], v[130:131], v[228:229]
	s_delay_alu instid0(VALU_DEP_1) | instskip(NEXT) | instid1(VALU_DEP_1)
	v_div_fmas_f64 v[126:127], v[126:127], v[128:129], v[130:131]
	v_div_fixup_f64 v[126:127], v[126:127], v[224:225], v[226:227]
	s_delay_alu instid0(VALU_DEP_1) | instskip(NEXT) | instid1(VALU_DEP_1)
	v_fma_f64 v[128:129], v[226:227], v[126:127], v[224:225]
	v_div_scale_f64 v[130:131], null, v[128:129], v[128:129], 1.0
	s_delay_alu instid0(VALU_DEP_1) | instskip(SKIP_2) | instid1(VALU_DEP_1)
	v_rcp_f64_e32 v[224:225], v[130:131]
	s_waitcnt_depctr 0xfff
	v_fma_f64 v[226:227], -v[130:131], v[224:225], 1.0
	v_fma_f64 v[224:225], v[224:225], v[226:227], v[224:225]
	s_delay_alu instid0(VALU_DEP_1) | instskip(NEXT) | instid1(VALU_DEP_1)
	v_fma_f64 v[226:227], -v[130:131], v[224:225], 1.0
	v_fma_f64 v[224:225], v[224:225], v[226:227], v[224:225]
	v_div_scale_f64 v[226:227], vcc_lo, 1.0, v[128:129], 1.0
	s_delay_alu instid0(VALU_DEP_1) | instskip(NEXT) | instid1(VALU_DEP_1)
	v_mul_f64 v[228:229], v[226:227], v[224:225]
	v_fma_f64 v[130:131], -v[130:131], v[228:229], v[226:227]
	s_delay_alu instid0(VALU_DEP_1) | instskip(NEXT) | instid1(VALU_DEP_1)
	v_div_fmas_f64 v[130:131], v[130:131], v[224:225], v[228:229]
	v_div_fixup_f64 v[128:129], v[130:131], v[128:129], 1.0
	s_delay_alu instid0(VALU_DEP_1)
	v_mul_f64 v[230:231], v[126:127], -v[128:129]
.LBB63_223:
	s_or_b32 exec_lo, exec_lo, s3
	ds_store_2addr_b64 v124, v[128:129], v[230:231] offset1:1
.LBB63_224:
	s_or_b32 exec_lo, exec_lo, s4
	s_waitcnt lgkmcnt(0)
	s_barrier
	buffer_gl0_inv
	ds_load_2addr_b64 v[224:227], v124 offset1:1
	s_mov_b32 s3, exec_lo
	v_cmpx_lt_u32_e32 24, v252
	s_cbranch_execz .LBB63_226
; %bb.225:
	s_waitcnt lgkmcnt(0)
	v_mul_f64 v[126:127], v[224:225], v[30:31]
	v_mul_f64 v[30:31], v[226:227], v[30:31]
	s_delay_alu instid0(VALU_DEP_2) | instskip(SKIP_4) | instid1(VALU_DEP_1)
	v_fma_f64 v[130:131], v[226:227], v[28:29], v[126:127]
	ds_load_2addr_b64 v[126:129], v125 offset0:50 offset1:51
	v_fma_f64 v[28:29], v[224:225], v[28:29], -v[30:31]
	s_waitcnt lgkmcnt(0)
	v_mul_f64 v[30:31], v[128:129], v[130:131]
	v_fma_f64 v[30:31], v[126:127], v[28:29], -v[30:31]
	v_mul_f64 v[126:127], v[126:127], v[130:131]
	s_delay_alu instid0(VALU_DEP_2) | instskip(NEXT) | instid1(VALU_DEP_2)
	v_add_f64 v[24:25], v[24:25], -v[30:31]
	v_fma_f64 v[126:127], v[128:129], v[28:29], v[126:127]
	s_delay_alu instid0(VALU_DEP_1) | instskip(SKIP_3) | instid1(VALU_DEP_1)
	v_add_f64 v[26:27], v[26:27], -v[126:127]
	ds_load_2addr_b64 v[126:129], v125 offset0:52 offset1:53
	s_waitcnt lgkmcnt(0)
	v_mul_f64 v[30:31], v[128:129], v[130:131]
	v_fma_f64 v[30:31], v[126:127], v[28:29], -v[30:31]
	v_mul_f64 v[126:127], v[126:127], v[130:131]
	s_delay_alu instid0(VALU_DEP_2) | instskip(NEXT) | instid1(VALU_DEP_2)
	v_add_f64 v[20:21], v[20:21], -v[30:31]
	v_fma_f64 v[126:127], v[128:129], v[28:29], v[126:127]
	s_delay_alu instid0(VALU_DEP_1) | instskip(SKIP_3) | instid1(VALU_DEP_1)
	v_add_f64 v[22:23], v[22:23], -v[126:127]
	ds_load_2addr_b64 v[126:129], v125 offset0:54 offset1:55
	;; [unrolled: 10-line block ×6, first 2 shown]
	s_waitcnt lgkmcnt(0)
	v_mul_f64 v[30:31], v[128:129], v[130:131]
	v_fma_f64 v[30:31], v[126:127], v[28:29], -v[30:31]
	v_mul_f64 v[126:127], v[126:127], v[130:131]
	s_delay_alu instid0(VALU_DEP_2) | instskip(NEXT) | instid1(VALU_DEP_2)
	v_add_f64 v[0:1], v[0:1], -v[30:31]
	v_fma_f64 v[126:127], v[128:129], v[28:29], v[126:127]
	v_dual_mov_b32 v30, v130 :: v_dual_mov_b32 v31, v131
	s_delay_alu instid0(VALU_DEP_2)
	v_add_f64 v[2:3], v[2:3], -v[126:127]
.LBB63_226:
	s_or_b32 exec_lo, exec_lo, s3
	s_delay_alu instid0(SALU_CYCLE_1)
	s_mov_b32 s4, exec_lo
	s_waitcnt lgkmcnt(0)
	s_barrier
	buffer_gl0_inv
	v_cmpx_eq_u32_e32 25, v252
	s_cbranch_execz .LBB63_233
; %bb.227:
	ds_store_2addr_b64 v124, v[24:25], v[26:27] offset1:1
	ds_store_2addr_b64 v125, v[20:21], v[22:23] offset0:52 offset1:53
	ds_store_2addr_b64 v125, v[16:17], v[18:19] offset0:54 offset1:55
	;; [unrolled: 1-line block ×6, first 2 shown]
	ds_load_2addr_b64 v[228:231], v124 offset1:1
	s_waitcnt lgkmcnt(0)
	v_cmp_neq_f64_e32 vcc_lo, 0, v[228:229]
	v_cmp_neq_f64_e64 s3, 0, v[230:231]
	s_delay_alu instid0(VALU_DEP_1) | instskip(NEXT) | instid1(SALU_CYCLE_1)
	s_or_b32 s3, vcc_lo, s3
	s_and_b32 exec_lo, exec_lo, s3
	s_cbranch_execz .LBB63_233
; %bb.228:
	v_cmp_gt_f64_e32 vcc_lo, 0, v[228:229]
	v_xor_b32_e32 v126, 0x80000000, v229
	v_xor_b32_e32 v128, 0x80000000, v231
	s_delay_alu instid0(VALU_DEP_2) | instskip(SKIP_1) | instid1(VALU_DEP_3)
	v_dual_cndmask_b32 v127, v229, v126 :: v_dual_cndmask_b32 v126, v228, v228
	v_cmp_gt_f64_e32 vcc_lo, 0, v[230:231]
	v_dual_cndmask_b32 v129, v231, v128 :: v_dual_cndmask_b32 v128, v230, v230
	s_delay_alu instid0(VALU_DEP_1) | instskip(SKIP_1) | instid1(SALU_CYCLE_1)
	v_cmp_ngt_f64_e32 vcc_lo, v[126:127], v[128:129]
                                        ; implicit-def: $vgpr128_vgpr129
	s_and_saveexec_b32 s3, vcc_lo
	s_xor_b32 s3, exec_lo, s3
                                        ; implicit-def: $vgpr232_vgpr233_vgpr234_vgpr235
	s_cbranch_execz .LBB63_230
; %bb.229:
	v_div_scale_f64 v[126:127], null, v[230:231], v[230:231], v[228:229]
	v_div_scale_f64 v[232:233], vcc_lo, v[228:229], v[230:231], v[228:229]
	s_delay_alu instid0(VALU_DEP_2) | instskip(SKIP_2) | instid1(VALU_DEP_1)
	v_rcp_f64_e32 v[128:129], v[126:127]
	s_waitcnt_depctr 0xfff
	v_fma_f64 v[130:131], -v[126:127], v[128:129], 1.0
	v_fma_f64 v[128:129], v[128:129], v[130:131], v[128:129]
	s_delay_alu instid0(VALU_DEP_1) | instskip(NEXT) | instid1(VALU_DEP_1)
	v_fma_f64 v[130:131], -v[126:127], v[128:129], 1.0
	v_fma_f64 v[128:129], v[128:129], v[130:131], v[128:129]
	s_delay_alu instid0(VALU_DEP_1) | instskip(NEXT) | instid1(VALU_DEP_1)
	v_mul_f64 v[130:131], v[232:233], v[128:129]
	v_fma_f64 v[126:127], -v[126:127], v[130:131], v[232:233]
	s_delay_alu instid0(VALU_DEP_1) | instskip(NEXT) | instid1(VALU_DEP_1)
	v_div_fmas_f64 v[126:127], v[126:127], v[128:129], v[130:131]
	v_div_fixup_f64 v[126:127], v[126:127], v[230:231], v[228:229]
	s_delay_alu instid0(VALU_DEP_1) | instskip(NEXT) | instid1(VALU_DEP_1)
	v_fma_f64 v[128:129], v[228:229], v[126:127], v[230:231]
	v_div_scale_f64 v[130:131], null, v[128:129], v[128:129], 1.0
	s_delay_alu instid0(VALU_DEP_1) | instskip(SKIP_2) | instid1(VALU_DEP_1)
	v_rcp_f64_e32 v[228:229], v[130:131]
	s_waitcnt_depctr 0xfff
	v_fma_f64 v[230:231], -v[130:131], v[228:229], 1.0
	v_fma_f64 v[228:229], v[228:229], v[230:231], v[228:229]
	s_delay_alu instid0(VALU_DEP_1) | instskip(NEXT) | instid1(VALU_DEP_1)
	v_fma_f64 v[230:231], -v[130:131], v[228:229], 1.0
	v_fma_f64 v[228:229], v[228:229], v[230:231], v[228:229]
	v_div_scale_f64 v[230:231], vcc_lo, 1.0, v[128:129], 1.0
	s_delay_alu instid0(VALU_DEP_1) | instskip(NEXT) | instid1(VALU_DEP_1)
	v_mul_f64 v[232:233], v[230:231], v[228:229]
	v_fma_f64 v[130:131], -v[130:131], v[232:233], v[230:231]
	s_delay_alu instid0(VALU_DEP_1) | instskip(NEXT) | instid1(VALU_DEP_1)
	v_div_fmas_f64 v[130:131], v[130:131], v[228:229], v[232:233]
                                        ; implicit-def: $vgpr228_vgpr229
	v_div_fixup_f64 v[234:235], v[130:131], v[128:129], 1.0
	s_delay_alu instid0(VALU_DEP_1)
	v_mul_f64 v[128:129], v[126:127], v[234:235]
	v_xor_b32_e32 v235, 0x80000000, v235
.LBB63_230:
	s_and_not1_saveexec_b32 s3, s3
	s_cbranch_execz .LBB63_232
; %bb.231:
	v_div_scale_f64 v[126:127], null, v[228:229], v[228:229], v[230:231]
	v_div_scale_f64 v[232:233], vcc_lo, v[230:231], v[228:229], v[230:231]
	s_delay_alu instid0(VALU_DEP_2) | instskip(SKIP_2) | instid1(VALU_DEP_1)
	v_rcp_f64_e32 v[128:129], v[126:127]
	s_waitcnt_depctr 0xfff
	v_fma_f64 v[130:131], -v[126:127], v[128:129], 1.0
	v_fma_f64 v[128:129], v[128:129], v[130:131], v[128:129]
	s_delay_alu instid0(VALU_DEP_1) | instskip(NEXT) | instid1(VALU_DEP_1)
	v_fma_f64 v[130:131], -v[126:127], v[128:129], 1.0
	v_fma_f64 v[128:129], v[128:129], v[130:131], v[128:129]
	s_delay_alu instid0(VALU_DEP_1) | instskip(NEXT) | instid1(VALU_DEP_1)
	v_mul_f64 v[130:131], v[232:233], v[128:129]
	v_fma_f64 v[126:127], -v[126:127], v[130:131], v[232:233]
	s_delay_alu instid0(VALU_DEP_1) | instskip(NEXT) | instid1(VALU_DEP_1)
	v_div_fmas_f64 v[126:127], v[126:127], v[128:129], v[130:131]
	v_div_fixup_f64 v[126:127], v[126:127], v[228:229], v[230:231]
	s_delay_alu instid0(VALU_DEP_1) | instskip(NEXT) | instid1(VALU_DEP_1)
	v_fma_f64 v[128:129], v[230:231], v[126:127], v[228:229]
	v_div_scale_f64 v[130:131], null, v[128:129], v[128:129], 1.0
	s_delay_alu instid0(VALU_DEP_1) | instskip(SKIP_2) | instid1(VALU_DEP_1)
	v_rcp_f64_e32 v[228:229], v[130:131]
	s_waitcnt_depctr 0xfff
	v_fma_f64 v[230:231], -v[130:131], v[228:229], 1.0
	v_fma_f64 v[228:229], v[228:229], v[230:231], v[228:229]
	s_delay_alu instid0(VALU_DEP_1) | instskip(NEXT) | instid1(VALU_DEP_1)
	v_fma_f64 v[230:231], -v[130:131], v[228:229], 1.0
	v_fma_f64 v[228:229], v[228:229], v[230:231], v[228:229]
	v_div_scale_f64 v[230:231], vcc_lo, 1.0, v[128:129], 1.0
	s_delay_alu instid0(VALU_DEP_1) | instskip(NEXT) | instid1(VALU_DEP_1)
	v_mul_f64 v[232:233], v[230:231], v[228:229]
	v_fma_f64 v[130:131], -v[130:131], v[232:233], v[230:231]
	s_delay_alu instid0(VALU_DEP_1) | instskip(NEXT) | instid1(VALU_DEP_1)
	v_div_fmas_f64 v[130:131], v[130:131], v[228:229], v[232:233]
	v_div_fixup_f64 v[128:129], v[130:131], v[128:129], 1.0
	s_delay_alu instid0(VALU_DEP_1)
	v_mul_f64 v[234:235], v[126:127], -v[128:129]
.LBB63_232:
	s_or_b32 exec_lo, exec_lo, s3
	ds_store_2addr_b64 v124, v[128:129], v[234:235] offset1:1
.LBB63_233:
	s_or_b32 exec_lo, exec_lo, s4
	s_waitcnt lgkmcnt(0)
	s_barrier
	buffer_gl0_inv
	ds_load_2addr_b64 v[228:231], v124 offset1:1
	s_mov_b32 s3, exec_lo
	v_cmpx_lt_u32_e32 25, v252
	s_cbranch_execz .LBB63_235
; %bb.234:
	s_waitcnt lgkmcnt(0)
	v_mul_f64 v[126:127], v[228:229], v[26:27]
	v_mul_f64 v[26:27], v[230:231], v[26:27]
	s_delay_alu instid0(VALU_DEP_2) | instskip(SKIP_4) | instid1(VALU_DEP_1)
	v_fma_f64 v[130:131], v[230:231], v[24:25], v[126:127]
	ds_load_2addr_b64 v[126:129], v125 offset0:52 offset1:53
	v_fma_f64 v[24:25], v[228:229], v[24:25], -v[26:27]
	s_waitcnt lgkmcnt(0)
	v_mul_f64 v[26:27], v[128:129], v[130:131]
	v_fma_f64 v[26:27], v[126:127], v[24:25], -v[26:27]
	v_mul_f64 v[126:127], v[126:127], v[130:131]
	s_delay_alu instid0(VALU_DEP_2) | instskip(NEXT) | instid1(VALU_DEP_2)
	v_add_f64 v[20:21], v[20:21], -v[26:27]
	v_fma_f64 v[126:127], v[128:129], v[24:25], v[126:127]
	s_delay_alu instid0(VALU_DEP_1) | instskip(SKIP_3) | instid1(VALU_DEP_1)
	v_add_f64 v[22:23], v[22:23], -v[126:127]
	ds_load_2addr_b64 v[126:129], v125 offset0:54 offset1:55
	s_waitcnt lgkmcnt(0)
	v_mul_f64 v[26:27], v[128:129], v[130:131]
	v_fma_f64 v[26:27], v[126:127], v[24:25], -v[26:27]
	v_mul_f64 v[126:127], v[126:127], v[130:131]
	s_delay_alu instid0(VALU_DEP_2) | instskip(NEXT) | instid1(VALU_DEP_2)
	v_add_f64 v[16:17], v[16:17], -v[26:27]
	v_fma_f64 v[126:127], v[128:129], v[24:25], v[126:127]
	s_delay_alu instid0(VALU_DEP_1) | instskip(SKIP_3) | instid1(VALU_DEP_1)
	v_add_f64 v[18:19], v[18:19], -v[126:127]
	ds_load_2addr_b64 v[126:129], v125 offset0:56 offset1:57
	;; [unrolled: 10-line block ×5, first 2 shown]
	s_waitcnt lgkmcnt(0)
	v_mul_f64 v[26:27], v[128:129], v[130:131]
	v_fma_f64 v[26:27], v[126:127], v[24:25], -v[26:27]
	v_mul_f64 v[126:127], v[126:127], v[130:131]
	s_delay_alu instid0(VALU_DEP_2) | instskip(NEXT) | instid1(VALU_DEP_2)
	v_add_f64 v[0:1], v[0:1], -v[26:27]
	v_fma_f64 v[126:127], v[128:129], v[24:25], v[126:127]
	v_dual_mov_b32 v26, v130 :: v_dual_mov_b32 v27, v131
	s_delay_alu instid0(VALU_DEP_2)
	v_add_f64 v[2:3], v[2:3], -v[126:127]
.LBB63_235:
	s_or_b32 exec_lo, exec_lo, s3
	s_delay_alu instid0(SALU_CYCLE_1)
	s_mov_b32 s4, exec_lo
	s_waitcnt lgkmcnt(0)
	s_barrier
	buffer_gl0_inv
	v_cmpx_eq_u32_e32 26, v252
	s_cbranch_execz .LBB63_242
; %bb.236:
	ds_store_2addr_b64 v124, v[20:21], v[22:23] offset1:1
	ds_store_2addr_b64 v125, v[16:17], v[18:19] offset0:54 offset1:55
	ds_store_2addr_b64 v125, v[12:13], v[14:15] offset0:56 offset1:57
	;; [unrolled: 1-line block ×5, first 2 shown]
	ds_load_2addr_b64 v[232:235], v124 offset1:1
	s_waitcnt lgkmcnt(0)
	v_cmp_neq_f64_e32 vcc_lo, 0, v[232:233]
	v_cmp_neq_f64_e64 s3, 0, v[234:235]
	s_delay_alu instid0(VALU_DEP_1) | instskip(NEXT) | instid1(SALU_CYCLE_1)
	s_or_b32 s3, vcc_lo, s3
	s_and_b32 exec_lo, exec_lo, s3
	s_cbranch_execz .LBB63_242
; %bb.237:
	v_cmp_gt_f64_e32 vcc_lo, 0, v[232:233]
	v_xor_b32_e32 v126, 0x80000000, v233
	v_xor_b32_e32 v128, 0x80000000, v235
	s_delay_alu instid0(VALU_DEP_2) | instskip(SKIP_1) | instid1(VALU_DEP_3)
	v_dual_cndmask_b32 v127, v233, v126 :: v_dual_cndmask_b32 v126, v232, v232
	v_cmp_gt_f64_e32 vcc_lo, 0, v[234:235]
	v_dual_cndmask_b32 v129, v235, v128 :: v_dual_cndmask_b32 v128, v234, v234
	s_delay_alu instid0(VALU_DEP_1) | instskip(SKIP_1) | instid1(SALU_CYCLE_1)
	v_cmp_ngt_f64_e32 vcc_lo, v[126:127], v[128:129]
                                        ; implicit-def: $vgpr128_vgpr129
	s_and_saveexec_b32 s3, vcc_lo
	s_xor_b32 s3, exec_lo, s3
                                        ; implicit-def: $vgpr236_vgpr237_vgpr238_vgpr239
	s_cbranch_execz .LBB63_239
; %bb.238:
	v_div_scale_f64 v[126:127], null, v[234:235], v[234:235], v[232:233]
	v_div_scale_f64 v[236:237], vcc_lo, v[232:233], v[234:235], v[232:233]
	s_delay_alu instid0(VALU_DEP_2) | instskip(SKIP_2) | instid1(VALU_DEP_1)
	v_rcp_f64_e32 v[128:129], v[126:127]
	s_waitcnt_depctr 0xfff
	v_fma_f64 v[130:131], -v[126:127], v[128:129], 1.0
	v_fma_f64 v[128:129], v[128:129], v[130:131], v[128:129]
	s_delay_alu instid0(VALU_DEP_1) | instskip(NEXT) | instid1(VALU_DEP_1)
	v_fma_f64 v[130:131], -v[126:127], v[128:129], 1.0
	v_fma_f64 v[128:129], v[128:129], v[130:131], v[128:129]
	s_delay_alu instid0(VALU_DEP_1) | instskip(NEXT) | instid1(VALU_DEP_1)
	v_mul_f64 v[130:131], v[236:237], v[128:129]
	v_fma_f64 v[126:127], -v[126:127], v[130:131], v[236:237]
	s_delay_alu instid0(VALU_DEP_1) | instskip(NEXT) | instid1(VALU_DEP_1)
	v_div_fmas_f64 v[126:127], v[126:127], v[128:129], v[130:131]
	v_div_fixup_f64 v[126:127], v[126:127], v[234:235], v[232:233]
	s_delay_alu instid0(VALU_DEP_1) | instskip(NEXT) | instid1(VALU_DEP_1)
	v_fma_f64 v[128:129], v[232:233], v[126:127], v[234:235]
	v_div_scale_f64 v[130:131], null, v[128:129], v[128:129], 1.0
	s_delay_alu instid0(VALU_DEP_1) | instskip(SKIP_2) | instid1(VALU_DEP_1)
	v_rcp_f64_e32 v[232:233], v[130:131]
	s_waitcnt_depctr 0xfff
	v_fma_f64 v[234:235], -v[130:131], v[232:233], 1.0
	v_fma_f64 v[232:233], v[232:233], v[234:235], v[232:233]
	s_delay_alu instid0(VALU_DEP_1) | instskip(NEXT) | instid1(VALU_DEP_1)
	v_fma_f64 v[234:235], -v[130:131], v[232:233], 1.0
	v_fma_f64 v[232:233], v[232:233], v[234:235], v[232:233]
	v_div_scale_f64 v[234:235], vcc_lo, 1.0, v[128:129], 1.0
	s_delay_alu instid0(VALU_DEP_1) | instskip(NEXT) | instid1(VALU_DEP_1)
	v_mul_f64 v[236:237], v[234:235], v[232:233]
	v_fma_f64 v[130:131], -v[130:131], v[236:237], v[234:235]
	s_delay_alu instid0(VALU_DEP_1) | instskip(NEXT) | instid1(VALU_DEP_1)
	v_div_fmas_f64 v[130:131], v[130:131], v[232:233], v[236:237]
                                        ; implicit-def: $vgpr232_vgpr233
	v_div_fixup_f64 v[238:239], v[130:131], v[128:129], 1.0
	s_delay_alu instid0(VALU_DEP_1)
	v_mul_f64 v[128:129], v[126:127], v[238:239]
	v_xor_b32_e32 v239, 0x80000000, v239
.LBB63_239:
	s_and_not1_saveexec_b32 s3, s3
	s_cbranch_execz .LBB63_241
; %bb.240:
	v_div_scale_f64 v[126:127], null, v[232:233], v[232:233], v[234:235]
	v_div_scale_f64 v[236:237], vcc_lo, v[234:235], v[232:233], v[234:235]
	s_delay_alu instid0(VALU_DEP_2) | instskip(SKIP_2) | instid1(VALU_DEP_1)
	v_rcp_f64_e32 v[128:129], v[126:127]
	s_waitcnt_depctr 0xfff
	v_fma_f64 v[130:131], -v[126:127], v[128:129], 1.0
	v_fma_f64 v[128:129], v[128:129], v[130:131], v[128:129]
	s_delay_alu instid0(VALU_DEP_1) | instskip(NEXT) | instid1(VALU_DEP_1)
	v_fma_f64 v[130:131], -v[126:127], v[128:129], 1.0
	v_fma_f64 v[128:129], v[128:129], v[130:131], v[128:129]
	s_delay_alu instid0(VALU_DEP_1) | instskip(NEXT) | instid1(VALU_DEP_1)
	v_mul_f64 v[130:131], v[236:237], v[128:129]
	v_fma_f64 v[126:127], -v[126:127], v[130:131], v[236:237]
	s_delay_alu instid0(VALU_DEP_1) | instskip(NEXT) | instid1(VALU_DEP_1)
	v_div_fmas_f64 v[126:127], v[126:127], v[128:129], v[130:131]
	v_div_fixup_f64 v[126:127], v[126:127], v[232:233], v[234:235]
	s_delay_alu instid0(VALU_DEP_1) | instskip(NEXT) | instid1(VALU_DEP_1)
	v_fma_f64 v[128:129], v[234:235], v[126:127], v[232:233]
	v_div_scale_f64 v[130:131], null, v[128:129], v[128:129], 1.0
	s_delay_alu instid0(VALU_DEP_1) | instskip(SKIP_2) | instid1(VALU_DEP_1)
	v_rcp_f64_e32 v[232:233], v[130:131]
	s_waitcnt_depctr 0xfff
	v_fma_f64 v[234:235], -v[130:131], v[232:233], 1.0
	v_fma_f64 v[232:233], v[232:233], v[234:235], v[232:233]
	s_delay_alu instid0(VALU_DEP_1) | instskip(NEXT) | instid1(VALU_DEP_1)
	v_fma_f64 v[234:235], -v[130:131], v[232:233], 1.0
	v_fma_f64 v[232:233], v[232:233], v[234:235], v[232:233]
	v_div_scale_f64 v[234:235], vcc_lo, 1.0, v[128:129], 1.0
	s_delay_alu instid0(VALU_DEP_1) | instskip(NEXT) | instid1(VALU_DEP_1)
	v_mul_f64 v[236:237], v[234:235], v[232:233]
	v_fma_f64 v[130:131], -v[130:131], v[236:237], v[234:235]
	s_delay_alu instid0(VALU_DEP_1) | instskip(NEXT) | instid1(VALU_DEP_1)
	v_div_fmas_f64 v[130:131], v[130:131], v[232:233], v[236:237]
	v_div_fixup_f64 v[128:129], v[130:131], v[128:129], 1.0
	s_delay_alu instid0(VALU_DEP_1)
	v_mul_f64 v[238:239], v[126:127], -v[128:129]
.LBB63_241:
	s_or_b32 exec_lo, exec_lo, s3
	ds_store_2addr_b64 v124, v[128:129], v[238:239] offset1:1
.LBB63_242:
	s_or_b32 exec_lo, exec_lo, s4
	s_waitcnt lgkmcnt(0)
	s_barrier
	buffer_gl0_inv
	ds_load_2addr_b64 v[232:235], v124 offset1:1
	s_mov_b32 s3, exec_lo
	v_cmpx_lt_u32_e32 26, v252
	s_cbranch_execz .LBB63_244
; %bb.243:
	s_waitcnt lgkmcnt(0)
	v_mul_f64 v[126:127], v[232:233], v[22:23]
	v_mul_f64 v[22:23], v[234:235], v[22:23]
	s_delay_alu instid0(VALU_DEP_2) | instskip(SKIP_4) | instid1(VALU_DEP_1)
	v_fma_f64 v[130:131], v[234:235], v[20:21], v[126:127]
	ds_load_2addr_b64 v[126:129], v125 offset0:54 offset1:55
	v_fma_f64 v[20:21], v[232:233], v[20:21], -v[22:23]
	s_waitcnt lgkmcnt(0)
	v_mul_f64 v[22:23], v[128:129], v[130:131]
	v_fma_f64 v[22:23], v[126:127], v[20:21], -v[22:23]
	v_mul_f64 v[126:127], v[126:127], v[130:131]
	s_delay_alu instid0(VALU_DEP_2) | instskip(NEXT) | instid1(VALU_DEP_2)
	v_add_f64 v[16:17], v[16:17], -v[22:23]
	v_fma_f64 v[126:127], v[128:129], v[20:21], v[126:127]
	s_delay_alu instid0(VALU_DEP_1) | instskip(SKIP_3) | instid1(VALU_DEP_1)
	v_add_f64 v[18:19], v[18:19], -v[126:127]
	ds_load_2addr_b64 v[126:129], v125 offset0:56 offset1:57
	s_waitcnt lgkmcnt(0)
	v_mul_f64 v[22:23], v[128:129], v[130:131]
	v_fma_f64 v[22:23], v[126:127], v[20:21], -v[22:23]
	v_mul_f64 v[126:127], v[126:127], v[130:131]
	s_delay_alu instid0(VALU_DEP_2) | instskip(NEXT) | instid1(VALU_DEP_2)
	v_add_f64 v[12:13], v[12:13], -v[22:23]
	v_fma_f64 v[126:127], v[128:129], v[20:21], v[126:127]
	s_delay_alu instid0(VALU_DEP_1) | instskip(SKIP_3) | instid1(VALU_DEP_1)
	v_add_f64 v[14:15], v[14:15], -v[126:127]
	ds_load_2addr_b64 v[126:129], v125 offset0:58 offset1:59
	;; [unrolled: 10-line block ×4, first 2 shown]
	s_waitcnt lgkmcnt(0)
	v_mul_f64 v[22:23], v[128:129], v[130:131]
	v_fma_f64 v[22:23], v[126:127], v[20:21], -v[22:23]
	v_mul_f64 v[126:127], v[126:127], v[130:131]
	s_delay_alu instid0(VALU_DEP_2) | instskip(NEXT) | instid1(VALU_DEP_2)
	v_add_f64 v[0:1], v[0:1], -v[22:23]
	v_fma_f64 v[126:127], v[128:129], v[20:21], v[126:127]
	v_dual_mov_b32 v22, v130 :: v_dual_mov_b32 v23, v131
	s_delay_alu instid0(VALU_DEP_2)
	v_add_f64 v[2:3], v[2:3], -v[126:127]
.LBB63_244:
	s_or_b32 exec_lo, exec_lo, s3
	s_delay_alu instid0(SALU_CYCLE_1)
	s_mov_b32 s4, exec_lo
	s_waitcnt lgkmcnt(0)
	s_barrier
	buffer_gl0_inv
	v_cmpx_eq_u32_e32 27, v252
	s_cbranch_execz .LBB63_251
; %bb.245:
	ds_store_2addr_b64 v124, v[16:17], v[18:19] offset1:1
	ds_store_2addr_b64 v125, v[12:13], v[14:15] offset0:56 offset1:57
	ds_store_2addr_b64 v125, v[8:9], v[10:11] offset0:58 offset1:59
	;; [unrolled: 1-line block ×4, first 2 shown]
	ds_load_2addr_b64 v[236:239], v124 offset1:1
	s_waitcnt lgkmcnt(0)
	v_cmp_neq_f64_e32 vcc_lo, 0, v[236:237]
	v_cmp_neq_f64_e64 s3, 0, v[238:239]
	s_delay_alu instid0(VALU_DEP_1) | instskip(NEXT) | instid1(SALU_CYCLE_1)
	s_or_b32 s3, vcc_lo, s3
	s_and_b32 exec_lo, exec_lo, s3
	s_cbranch_execz .LBB63_251
; %bb.246:
	v_cmp_gt_f64_e32 vcc_lo, 0, v[236:237]
	v_xor_b32_e32 v126, 0x80000000, v237
	v_xor_b32_e32 v128, 0x80000000, v239
	s_delay_alu instid0(VALU_DEP_2) | instskip(SKIP_1) | instid1(VALU_DEP_3)
	v_dual_cndmask_b32 v127, v237, v126 :: v_dual_cndmask_b32 v126, v236, v236
	v_cmp_gt_f64_e32 vcc_lo, 0, v[238:239]
	v_dual_cndmask_b32 v129, v239, v128 :: v_dual_cndmask_b32 v128, v238, v238
	s_delay_alu instid0(VALU_DEP_1) | instskip(SKIP_1) | instid1(SALU_CYCLE_1)
	v_cmp_ngt_f64_e32 vcc_lo, v[126:127], v[128:129]
                                        ; implicit-def: $vgpr128_vgpr129
	s_and_saveexec_b32 s3, vcc_lo
	s_xor_b32 s3, exec_lo, s3
                                        ; implicit-def: $vgpr240_vgpr241_vgpr242_vgpr243
	s_cbranch_execz .LBB63_248
; %bb.247:
	v_div_scale_f64 v[126:127], null, v[238:239], v[238:239], v[236:237]
	v_div_scale_f64 v[240:241], vcc_lo, v[236:237], v[238:239], v[236:237]
	s_delay_alu instid0(VALU_DEP_2) | instskip(SKIP_2) | instid1(VALU_DEP_1)
	v_rcp_f64_e32 v[128:129], v[126:127]
	s_waitcnt_depctr 0xfff
	v_fma_f64 v[130:131], -v[126:127], v[128:129], 1.0
	v_fma_f64 v[128:129], v[128:129], v[130:131], v[128:129]
	s_delay_alu instid0(VALU_DEP_1) | instskip(NEXT) | instid1(VALU_DEP_1)
	v_fma_f64 v[130:131], -v[126:127], v[128:129], 1.0
	v_fma_f64 v[128:129], v[128:129], v[130:131], v[128:129]
	s_delay_alu instid0(VALU_DEP_1) | instskip(NEXT) | instid1(VALU_DEP_1)
	v_mul_f64 v[130:131], v[240:241], v[128:129]
	v_fma_f64 v[126:127], -v[126:127], v[130:131], v[240:241]
	s_delay_alu instid0(VALU_DEP_1) | instskip(NEXT) | instid1(VALU_DEP_1)
	v_div_fmas_f64 v[126:127], v[126:127], v[128:129], v[130:131]
	v_div_fixup_f64 v[126:127], v[126:127], v[238:239], v[236:237]
	s_delay_alu instid0(VALU_DEP_1) | instskip(NEXT) | instid1(VALU_DEP_1)
	v_fma_f64 v[128:129], v[236:237], v[126:127], v[238:239]
	v_div_scale_f64 v[130:131], null, v[128:129], v[128:129], 1.0
	s_delay_alu instid0(VALU_DEP_1) | instskip(SKIP_2) | instid1(VALU_DEP_1)
	v_rcp_f64_e32 v[236:237], v[130:131]
	s_waitcnt_depctr 0xfff
	v_fma_f64 v[238:239], -v[130:131], v[236:237], 1.0
	v_fma_f64 v[236:237], v[236:237], v[238:239], v[236:237]
	s_delay_alu instid0(VALU_DEP_1) | instskip(NEXT) | instid1(VALU_DEP_1)
	v_fma_f64 v[238:239], -v[130:131], v[236:237], 1.0
	v_fma_f64 v[236:237], v[236:237], v[238:239], v[236:237]
	v_div_scale_f64 v[238:239], vcc_lo, 1.0, v[128:129], 1.0
	s_delay_alu instid0(VALU_DEP_1) | instskip(NEXT) | instid1(VALU_DEP_1)
	v_mul_f64 v[240:241], v[238:239], v[236:237]
	v_fma_f64 v[130:131], -v[130:131], v[240:241], v[238:239]
	s_delay_alu instid0(VALU_DEP_1) | instskip(NEXT) | instid1(VALU_DEP_1)
	v_div_fmas_f64 v[130:131], v[130:131], v[236:237], v[240:241]
                                        ; implicit-def: $vgpr236_vgpr237
	v_div_fixup_f64 v[242:243], v[130:131], v[128:129], 1.0
	s_delay_alu instid0(VALU_DEP_1)
	v_mul_f64 v[128:129], v[126:127], v[242:243]
	v_xor_b32_e32 v243, 0x80000000, v243
.LBB63_248:
	s_and_not1_saveexec_b32 s3, s3
	s_cbranch_execz .LBB63_250
; %bb.249:
	v_div_scale_f64 v[126:127], null, v[236:237], v[236:237], v[238:239]
	v_div_scale_f64 v[240:241], vcc_lo, v[238:239], v[236:237], v[238:239]
	s_delay_alu instid0(VALU_DEP_2) | instskip(SKIP_2) | instid1(VALU_DEP_1)
	v_rcp_f64_e32 v[128:129], v[126:127]
	s_waitcnt_depctr 0xfff
	v_fma_f64 v[130:131], -v[126:127], v[128:129], 1.0
	v_fma_f64 v[128:129], v[128:129], v[130:131], v[128:129]
	s_delay_alu instid0(VALU_DEP_1) | instskip(NEXT) | instid1(VALU_DEP_1)
	v_fma_f64 v[130:131], -v[126:127], v[128:129], 1.0
	v_fma_f64 v[128:129], v[128:129], v[130:131], v[128:129]
	s_delay_alu instid0(VALU_DEP_1) | instskip(NEXT) | instid1(VALU_DEP_1)
	v_mul_f64 v[130:131], v[240:241], v[128:129]
	v_fma_f64 v[126:127], -v[126:127], v[130:131], v[240:241]
	s_delay_alu instid0(VALU_DEP_1) | instskip(NEXT) | instid1(VALU_DEP_1)
	v_div_fmas_f64 v[126:127], v[126:127], v[128:129], v[130:131]
	v_div_fixup_f64 v[126:127], v[126:127], v[236:237], v[238:239]
	s_delay_alu instid0(VALU_DEP_1) | instskip(NEXT) | instid1(VALU_DEP_1)
	v_fma_f64 v[128:129], v[238:239], v[126:127], v[236:237]
	v_div_scale_f64 v[130:131], null, v[128:129], v[128:129], 1.0
	s_delay_alu instid0(VALU_DEP_1) | instskip(SKIP_2) | instid1(VALU_DEP_1)
	v_rcp_f64_e32 v[236:237], v[130:131]
	s_waitcnt_depctr 0xfff
	v_fma_f64 v[238:239], -v[130:131], v[236:237], 1.0
	v_fma_f64 v[236:237], v[236:237], v[238:239], v[236:237]
	s_delay_alu instid0(VALU_DEP_1) | instskip(NEXT) | instid1(VALU_DEP_1)
	v_fma_f64 v[238:239], -v[130:131], v[236:237], 1.0
	v_fma_f64 v[236:237], v[236:237], v[238:239], v[236:237]
	v_div_scale_f64 v[238:239], vcc_lo, 1.0, v[128:129], 1.0
	s_delay_alu instid0(VALU_DEP_1) | instskip(NEXT) | instid1(VALU_DEP_1)
	v_mul_f64 v[240:241], v[238:239], v[236:237]
	v_fma_f64 v[130:131], -v[130:131], v[240:241], v[238:239]
	s_delay_alu instid0(VALU_DEP_1) | instskip(NEXT) | instid1(VALU_DEP_1)
	v_div_fmas_f64 v[130:131], v[130:131], v[236:237], v[240:241]
	v_div_fixup_f64 v[128:129], v[130:131], v[128:129], 1.0
	s_delay_alu instid0(VALU_DEP_1)
	v_mul_f64 v[242:243], v[126:127], -v[128:129]
.LBB63_250:
	s_or_b32 exec_lo, exec_lo, s3
	ds_store_2addr_b64 v124, v[128:129], v[242:243] offset1:1
.LBB63_251:
	s_or_b32 exec_lo, exec_lo, s4
	s_waitcnt lgkmcnt(0)
	s_barrier
	buffer_gl0_inv
	ds_load_2addr_b64 v[236:239], v124 offset1:1
	s_mov_b32 s3, exec_lo
	v_cmpx_lt_u32_e32 27, v252
	s_cbranch_execz .LBB63_253
; %bb.252:
	s_waitcnt lgkmcnt(0)
	v_mul_f64 v[126:127], v[236:237], v[18:19]
	v_mul_f64 v[18:19], v[238:239], v[18:19]
	s_delay_alu instid0(VALU_DEP_2) | instskip(SKIP_4) | instid1(VALU_DEP_1)
	v_fma_f64 v[130:131], v[238:239], v[16:17], v[126:127]
	ds_load_2addr_b64 v[126:129], v125 offset0:56 offset1:57
	v_fma_f64 v[16:17], v[236:237], v[16:17], -v[18:19]
	s_waitcnt lgkmcnt(0)
	v_mul_f64 v[18:19], v[128:129], v[130:131]
	v_fma_f64 v[18:19], v[126:127], v[16:17], -v[18:19]
	v_mul_f64 v[126:127], v[126:127], v[130:131]
	s_delay_alu instid0(VALU_DEP_2) | instskip(NEXT) | instid1(VALU_DEP_2)
	v_add_f64 v[12:13], v[12:13], -v[18:19]
	v_fma_f64 v[126:127], v[128:129], v[16:17], v[126:127]
	s_delay_alu instid0(VALU_DEP_1) | instskip(SKIP_3) | instid1(VALU_DEP_1)
	v_add_f64 v[14:15], v[14:15], -v[126:127]
	ds_load_2addr_b64 v[126:129], v125 offset0:58 offset1:59
	s_waitcnt lgkmcnt(0)
	v_mul_f64 v[18:19], v[128:129], v[130:131]
	v_fma_f64 v[18:19], v[126:127], v[16:17], -v[18:19]
	v_mul_f64 v[126:127], v[126:127], v[130:131]
	s_delay_alu instid0(VALU_DEP_2) | instskip(NEXT) | instid1(VALU_DEP_2)
	v_add_f64 v[8:9], v[8:9], -v[18:19]
	v_fma_f64 v[126:127], v[128:129], v[16:17], v[126:127]
	s_delay_alu instid0(VALU_DEP_1) | instskip(SKIP_3) | instid1(VALU_DEP_1)
	v_add_f64 v[10:11], v[10:11], -v[126:127]
	ds_load_2addr_b64 v[126:129], v125 offset0:60 offset1:61
	;; [unrolled: 10-line block ×3, first 2 shown]
	s_waitcnt lgkmcnt(0)
	v_mul_f64 v[18:19], v[128:129], v[130:131]
	v_fma_f64 v[18:19], v[126:127], v[16:17], -v[18:19]
	v_mul_f64 v[126:127], v[126:127], v[130:131]
	s_delay_alu instid0(VALU_DEP_2) | instskip(NEXT) | instid1(VALU_DEP_2)
	v_add_f64 v[0:1], v[0:1], -v[18:19]
	v_fma_f64 v[126:127], v[128:129], v[16:17], v[126:127]
	v_dual_mov_b32 v18, v130 :: v_dual_mov_b32 v19, v131
	s_delay_alu instid0(VALU_DEP_2)
	v_add_f64 v[2:3], v[2:3], -v[126:127]
.LBB63_253:
	s_or_b32 exec_lo, exec_lo, s3
	s_delay_alu instid0(SALU_CYCLE_1)
	s_mov_b32 s4, exec_lo
	s_waitcnt lgkmcnt(0)
	s_barrier
	buffer_gl0_inv
	v_cmpx_eq_u32_e32 28, v252
	s_cbranch_execz .LBB63_260
; %bb.254:
	ds_store_2addr_b64 v124, v[12:13], v[14:15] offset1:1
	ds_store_2addr_b64 v125, v[8:9], v[10:11] offset0:58 offset1:59
	ds_store_2addr_b64 v125, v[4:5], v[6:7] offset0:60 offset1:61
	;; [unrolled: 1-line block ×3, first 2 shown]
	ds_load_2addr_b64 v[240:243], v124 offset1:1
	s_waitcnt lgkmcnt(0)
	v_cmp_neq_f64_e32 vcc_lo, 0, v[240:241]
	v_cmp_neq_f64_e64 s3, 0, v[242:243]
	s_delay_alu instid0(VALU_DEP_1) | instskip(NEXT) | instid1(SALU_CYCLE_1)
	s_or_b32 s3, vcc_lo, s3
	s_and_b32 exec_lo, exec_lo, s3
	s_cbranch_execz .LBB63_260
; %bb.255:
	v_cmp_gt_f64_e32 vcc_lo, 0, v[240:241]
	v_xor_b32_e32 v126, 0x80000000, v241
	v_xor_b32_e32 v128, 0x80000000, v243
	s_delay_alu instid0(VALU_DEP_2) | instskip(SKIP_1) | instid1(VALU_DEP_3)
	v_dual_cndmask_b32 v127, v241, v126 :: v_dual_cndmask_b32 v126, v240, v240
	v_cmp_gt_f64_e32 vcc_lo, 0, v[242:243]
	v_dual_cndmask_b32 v129, v243, v128 :: v_dual_cndmask_b32 v128, v242, v242
	s_delay_alu instid0(VALU_DEP_1) | instskip(SKIP_1) | instid1(SALU_CYCLE_1)
	v_cmp_ngt_f64_e32 vcc_lo, v[126:127], v[128:129]
                                        ; implicit-def: $vgpr128_vgpr129
	s_and_saveexec_b32 s3, vcc_lo
	s_xor_b32 s3, exec_lo, s3
                                        ; implicit-def: $vgpr244_vgpr245_vgpr246_vgpr247
	s_cbranch_execz .LBB63_257
; %bb.256:
	v_div_scale_f64 v[126:127], null, v[242:243], v[242:243], v[240:241]
	v_div_scale_f64 v[244:245], vcc_lo, v[240:241], v[242:243], v[240:241]
	s_delay_alu instid0(VALU_DEP_2) | instskip(SKIP_2) | instid1(VALU_DEP_1)
	v_rcp_f64_e32 v[128:129], v[126:127]
	s_waitcnt_depctr 0xfff
	v_fma_f64 v[130:131], -v[126:127], v[128:129], 1.0
	v_fma_f64 v[128:129], v[128:129], v[130:131], v[128:129]
	s_delay_alu instid0(VALU_DEP_1) | instskip(NEXT) | instid1(VALU_DEP_1)
	v_fma_f64 v[130:131], -v[126:127], v[128:129], 1.0
	v_fma_f64 v[128:129], v[128:129], v[130:131], v[128:129]
	s_delay_alu instid0(VALU_DEP_1) | instskip(NEXT) | instid1(VALU_DEP_1)
	v_mul_f64 v[130:131], v[244:245], v[128:129]
	v_fma_f64 v[126:127], -v[126:127], v[130:131], v[244:245]
	s_delay_alu instid0(VALU_DEP_1) | instskip(NEXT) | instid1(VALU_DEP_1)
	v_div_fmas_f64 v[126:127], v[126:127], v[128:129], v[130:131]
	v_div_fixup_f64 v[126:127], v[126:127], v[242:243], v[240:241]
	s_delay_alu instid0(VALU_DEP_1) | instskip(NEXT) | instid1(VALU_DEP_1)
	v_fma_f64 v[128:129], v[240:241], v[126:127], v[242:243]
	v_div_scale_f64 v[130:131], null, v[128:129], v[128:129], 1.0
	s_delay_alu instid0(VALU_DEP_1) | instskip(SKIP_2) | instid1(VALU_DEP_1)
	v_rcp_f64_e32 v[240:241], v[130:131]
	s_waitcnt_depctr 0xfff
	v_fma_f64 v[242:243], -v[130:131], v[240:241], 1.0
	v_fma_f64 v[240:241], v[240:241], v[242:243], v[240:241]
	s_delay_alu instid0(VALU_DEP_1) | instskip(NEXT) | instid1(VALU_DEP_1)
	v_fma_f64 v[242:243], -v[130:131], v[240:241], 1.0
	v_fma_f64 v[240:241], v[240:241], v[242:243], v[240:241]
	v_div_scale_f64 v[242:243], vcc_lo, 1.0, v[128:129], 1.0
	s_delay_alu instid0(VALU_DEP_1) | instskip(NEXT) | instid1(VALU_DEP_1)
	v_mul_f64 v[244:245], v[242:243], v[240:241]
	v_fma_f64 v[130:131], -v[130:131], v[244:245], v[242:243]
	s_delay_alu instid0(VALU_DEP_1) | instskip(NEXT) | instid1(VALU_DEP_1)
	v_div_fmas_f64 v[130:131], v[130:131], v[240:241], v[244:245]
                                        ; implicit-def: $vgpr240_vgpr241
	v_div_fixup_f64 v[246:247], v[130:131], v[128:129], 1.0
	s_delay_alu instid0(VALU_DEP_1)
	v_mul_f64 v[128:129], v[126:127], v[246:247]
	v_xor_b32_e32 v247, 0x80000000, v247
.LBB63_257:
	s_and_not1_saveexec_b32 s3, s3
	s_cbranch_execz .LBB63_259
; %bb.258:
	v_div_scale_f64 v[126:127], null, v[240:241], v[240:241], v[242:243]
	v_div_scale_f64 v[244:245], vcc_lo, v[242:243], v[240:241], v[242:243]
	s_delay_alu instid0(VALU_DEP_2) | instskip(SKIP_2) | instid1(VALU_DEP_1)
	v_rcp_f64_e32 v[128:129], v[126:127]
	s_waitcnt_depctr 0xfff
	v_fma_f64 v[130:131], -v[126:127], v[128:129], 1.0
	v_fma_f64 v[128:129], v[128:129], v[130:131], v[128:129]
	s_delay_alu instid0(VALU_DEP_1) | instskip(NEXT) | instid1(VALU_DEP_1)
	v_fma_f64 v[130:131], -v[126:127], v[128:129], 1.0
	v_fma_f64 v[128:129], v[128:129], v[130:131], v[128:129]
	s_delay_alu instid0(VALU_DEP_1) | instskip(NEXT) | instid1(VALU_DEP_1)
	v_mul_f64 v[130:131], v[244:245], v[128:129]
	v_fma_f64 v[126:127], -v[126:127], v[130:131], v[244:245]
	s_delay_alu instid0(VALU_DEP_1) | instskip(NEXT) | instid1(VALU_DEP_1)
	v_div_fmas_f64 v[126:127], v[126:127], v[128:129], v[130:131]
	v_div_fixup_f64 v[126:127], v[126:127], v[240:241], v[242:243]
	s_delay_alu instid0(VALU_DEP_1) | instskip(NEXT) | instid1(VALU_DEP_1)
	v_fma_f64 v[128:129], v[242:243], v[126:127], v[240:241]
	v_div_scale_f64 v[130:131], null, v[128:129], v[128:129], 1.0
	s_delay_alu instid0(VALU_DEP_1) | instskip(SKIP_2) | instid1(VALU_DEP_1)
	v_rcp_f64_e32 v[240:241], v[130:131]
	s_waitcnt_depctr 0xfff
	v_fma_f64 v[242:243], -v[130:131], v[240:241], 1.0
	v_fma_f64 v[240:241], v[240:241], v[242:243], v[240:241]
	s_delay_alu instid0(VALU_DEP_1) | instskip(NEXT) | instid1(VALU_DEP_1)
	v_fma_f64 v[242:243], -v[130:131], v[240:241], 1.0
	v_fma_f64 v[240:241], v[240:241], v[242:243], v[240:241]
	v_div_scale_f64 v[242:243], vcc_lo, 1.0, v[128:129], 1.0
	s_delay_alu instid0(VALU_DEP_1) | instskip(NEXT) | instid1(VALU_DEP_1)
	v_mul_f64 v[244:245], v[242:243], v[240:241]
	v_fma_f64 v[130:131], -v[130:131], v[244:245], v[242:243]
	s_delay_alu instid0(VALU_DEP_1) | instskip(NEXT) | instid1(VALU_DEP_1)
	v_div_fmas_f64 v[130:131], v[130:131], v[240:241], v[244:245]
	v_div_fixup_f64 v[128:129], v[130:131], v[128:129], 1.0
	s_delay_alu instid0(VALU_DEP_1)
	v_mul_f64 v[246:247], v[126:127], -v[128:129]
.LBB63_259:
	s_or_b32 exec_lo, exec_lo, s3
	ds_store_2addr_b64 v124, v[128:129], v[246:247] offset1:1
.LBB63_260:
	s_or_b32 exec_lo, exec_lo, s4
	s_waitcnt lgkmcnt(0)
	s_barrier
	buffer_gl0_inv
	ds_load_2addr_b64 v[240:243], v124 offset1:1
	s_mov_b32 s3, exec_lo
	v_cmpx_lt_u32_e32 28, v252
	s_cbranch_execz .LBB63_262
; %bb.261:
	s_waitcnt lgkmcnt(0)
	v_mul_f64 v[126:127], v[240:241], v[14:15]
	v_mul_f64 v[14:15], v[242:243], v[14:15]
	s_delay_alu instid0(VALU_DEP_2) | instskip(SKIP_4) | instid1(VALU_DEP_1)
	v_fma_f64 v[130:131], v[242:243], v[12:13], v[126:127]
	ds_load_2addr_b64 v[126:129], v125 offset0:58 offset1:59
	v_fma_f64 v[12:13], v[240:241], v[12:13], -v[14:15]
	s_waitcnt lgkmcnt(0)
	v_mul_f64 v[14:15], v[128:129], v[130:131]
	v_fma_f64 v[14:15], v[126:127], v[12:13], -v[14:15]
	v_mul_f64 v[126:127], v[126:127], v[130:131]
	s_delay_alu instid0(VALU_DEP_2) | instskip(NEXT) | instid1(VALU_DEP_2)
	v_add_f64 v[8:9], v[8:9], -v[14:15]
	v_fma_f64 v[126:127], v[128:129], v[12:13], v[126:127]
	s_delay_alu instid0(VALU_DEP_1) | instskip(SKIP_3) | instid1(VALU_DEP_1)
	v_add_f64 v[10:11], v[10:11], -v[126:127]
	ds_load_2addr_b64 v[126:129], v125 offset0:60 offset1:61
	s_waitcnt lgkmcnt(0)
	v_mul_f64 v[14:15], v[128:129], v[130:131]
	v_fma_f64 v[14:15], v[126:127], v[12:13], -v[14:15]
	v_mul_f64 v[126:127], v[126:127], v[130:131]
	s_delay_alu instid0(VALU_DEP_2) | instskip(NEXT) | instid1(VALU_DEP_2)
	v_add_f64 v[4:5], v[4:5], -v[14:15]
	v_fma_f64 v[126:127], v[128:129], v[12:13], v[126:127]
	s_delay_alu instid0(VALU_DEP_1) | instskip(SKIP_3) | instid1(VALU_DEP_1)
	v_add_f64 v[6:7], v[6:7], -v[126:127]
	ds_load_2addr_b64 v[126:129], v125 offset0:62 offset1:63
	s_waitcnt lgkmcnt(0)
	v_mul_f64 v[14:15], v[128:129], v[130:131]
	v_fma_f64 v[14:15], v[126:127], v[12:13], -v[14:15]
	v_mul_f64 v[126:127], v[126:127], v[130:131]
	s_delay_alu instid0(VALU_DEP_2) | instskip(NEXT) | instid1(VALU_DEP_2)
	v_add_f64 v[0:1], v[0:1], -v[14:15]
	v_fma_f64 v[126:127], v[128:129], v[12:13], v[126:127]
	v_dual_mov_b32 v14, v130 :: v_dual_mov_b32 v15, v131
	s_delay_alu instid0(VALU_DEP_2)
	v_add_f64 v[2:3], v[2:3], -v[126:127]
.LBB63_262:
	s_or_b32 exec_lo, exec_lo, s3
	s_delay_alu instid0(SALU_CYCLE_1)
	s_mov_b32 s4, exec_lo
	s_waitcnt lgkmcnt(0)
	s_barrier
	buffer_gl0_inv
	v_cmpx_eq_u32_e32 29, v252
	s_cbranch_execz .LBB63_269
; %bb.263:
	ds_store_2addr_b64 v124, v[8:9], v[10:11] offset1:1
	ds_store_2addr_b64 v125, v[4:5], v[6:7] offset0:60 offset1:61
	ds_store_2addr_b64 v125, v[0:1], v[2:3] offset0:62 offset1:63
	ds_load_2addr_b64 v[244:247], v124 offset1:1
	s_waitcnt lgkmcnt(0)
	v_cmp_neq_f64_e32 vcc_lo, 0, v[244:245]
	v_cmp_neq_f64_e64 s3, 0, v[246:247]
	s_delay_alu instid0(VALU_DEP_1) | instskip(NEXT) | instid1(SALU_CYCLE_1)
	s_or_b32 s3, vcc_lo, s3
	s_and_b32 exec_lo, exec_lo, s3
	s_cbranch_execz .LBB63_269
; %bb.264:
	v_cmp_gt_f64_e32 vcc_lo, 0, v[244:245]
	v_xor_b32_e32 v126, 0x80000000, v245
	v_xor_b32_e32 v128, 0x80000000, v247
	s_delay_alu instid0(VALU_DEP_2) | instskip(SKIP_1) | instid1(VALU_DEP_3)
	v_dual_cndmask_b32 v127, v245, v126 :: v_dual_cndmask_b32 v126, v244, v244
	v_cmp_gt_f64_e32 vcc_lo, 0, v[246:247]
	v_dual_cndmask_b32 v129, v247, v128 :: v_dual_cndmask_b32 v128, v246, v246
	s_delay_alu instid0(VALU_DEP_1) | instskip(SKIP_1) | instid1(SALU_CYCLE_1)
	v_cmp_ngt_f64_e32 vcc_lo, v[126:127], v[128:129]
                                        ; implicit-def: $vgpr128_vgpr129
	s_and_saveexec_b32 s3, vcc_lo
	s_xor_b32 s3, exec_lo, s3
                                        ; implicit-def: $vgpr248_vgpr249_vgpr250_vgpr251
	s_cbranch_execz .LBB63_266
; %bb.265:
	v_div_scale_f64 v[126:127], null, v[246:247], v[246:247], v[244:245]
	v_div_scale_f64 v[248:249], vcc_lo, v[244:245], v[246:247], v[244:245]
	s_delay_alu instid0(VALU_DEP_2) | instskip(SKIP_2) | instid1(VALU_DEP_1)
	v_rcp_f64_e32 v[128:129], v[126:127]
	s_waitcnt_depctr 0xfff
	v_fma_f64 v[130:131], -v[126:127], v[128:129], 1.0
	v_fma_f64 v[128:129], v[128:129], v[130:131], v[128:129]
	s_delay_alu instid0(VALU_DEP_1) | instskip(NEXT) | instid1(VALU_DEP_1)
	v_fma_f64 v[130:131], -v[126:127], v[128:129], 1.0
	v_fma_f64 v[128:129], v[128:129], v[130:131], v[128:129]
	s_delay_alu instid0(VALU_DEP_1) | instskip(NEXT) | instid1(VALU_DEP_1)
	v_mul_f64 v[130:131], v[248:249], v[128:129]
	v_fma_f64 v[126:127], -v[126:127], v[130:131], v[248:249]
	s_delay_alu instid0(VALU_DEP_1) | instskip(NEXT) | instid1(VALU_DEP_1)
	v_div_fmas_f64 v[126:127], v[126:127], v[128:129], v[130:131]
	v_div_fixup_f64 v[126:127], v[126:127], v[246:247], v[244:245]
	s_delay_alu instid0(VALU_DEP_1) | instskip(NEXT) | instid1(VALU_DEP_1)
	v_fma_f64 v[128:129], v[244:245], v[126:127], v[246:247]
	v_div_scale_f64 v[130:131], null, v[128:129], v[128:129], 1.0
	s_delay_alu instid0(VALU_DEP_1) | instskip(SKIP_2) | instid1(VALU_DEP_1)
	v_rcp_f64_e32 v[244:245], v[130:131]
	s_waitcnt_depctr 0xfff
	v_fma_f64 v[246:247], -v[130:131], v[244:245], 1.0
	v_fma_f64 v[244:245], v[244:245], v[246:247], v[244:245]
	s_delay_alu instid0(VALU_DEP_1) | instskip(NEXT) | instid1(VALU_DEP_1)
	v_fma_f64 v[246:247], -v[130:131], v[244:245], 1.0
	v_fma_f64 v[244:245], v[244:245], v[246:247], v[244:245]
	v_div_scale_f64 v[246:247], vcc_lo, 1.0, v[128:129], 1.0
	s_delay_alu instid0(VALU_DEP_1) | instskip(NEXT) | instid1(VALU_DEP_1)
	v_mul_f64 v[248:249], v[246:247], v[244:245]
	v_fma_f64 v[130:131], -v[130:131], v[248:249], v[246:247]
	s_delay_alu instid0(VALU_DEP_1) | instskip(NEXT) | instid1(VALU_DEP_1)
	v_div_fmas_f64 v[130:131], v[130:131], v[244:245], v[248:249]
                                        ; implicit-def: $vgpr244_vgpr245
	v_div_fixup_f64 v[250:251], v[130:131], v[128:129], 1.0
	s_delay_alu instid0(VALU_DEP_1)
	v_mul_f64 v[128:129], v[126:127], v[250:251]
	v_xor_b32_e32 v251, 0x80000000, v251
.LBB63_266:
	s_and_not1_saveexec_b32 s3, s3
	s_cbranch_execz .LBB63_268
; %bb.267:
	v_div_scale_f64 v[126:127], null, v[244:245], v[244:245], v[246:247]
	v_div_scale_f64 v[248:249], vcc_lo, v[246:247], v[244:245], v[246:247]
	s_delay_alu instid0(VALU_DEP_2) | instskip(SKIP_2) | instid1(VALU_DEP_1)
	v_rcp_f64_e32 v[128:129], v[126:127]
	s_waitcnt_depctr 0xfff
	v_fma_f64 v[130:131], -v[126:127], v[128:129], 1.0
	v_fma_f64 v[128:129], v[128:129], v[130:131], v[128:129]
	s_delay_alu instid0(VALU_DEP_1) | instskip(NEXT) | instid1(VALU_DEP_1)
	v_fma_f64 v[130:131], -v[126:127], v[128:129], 1.0
	v_fma_f64 v[128:129], v[128:129], v[130:131], v[128:129]
	s_delay_alu instid0(VALU_DEP_1) | instskip(NEXT) | instid1(VALU_DEP_1)
	v_mul_f64 v[130:131], v[248:249], v[128:129]
	v_fma_f64 v[126:127], -v[126:127], v[130:131], v[248:249]
	s_delay_alu instid0(VALU_DEP_1) | instskip(NEXT) | instid1(VALU_DEP_1)
	v_div_fmas_f64 v[126:127], v[126:127], v[128:129], v[130:131]
	v_div_fixup_f64 v[126:127], v[126:127], v[244:245], v[246:247]
	s_delay_alu instid0(VALU_DEP_1) | instskip(NEXT) | instid1(VALU_DEP_1)
	v_fma_f64 v[128:129], v[246:247], v[126:127], v[244:245]
	v_div_scale_f64 v[130:131], null, v[128:129], v[128:129], 1.0
	s_delay_alu instid0(VALU_DEP_1) | instskip(SKIP_2) | instid1(VALU_DEP_1)
	v_rcp_f64_e32 v[244:245], v[130:131]
	s_waitcnt_depctr 0xfff
	v_fma_f64 v[246:247], -v[130:131], v[244:245], 1.0
	v_fma_f64 v[244:245], v[244:245], v[246:247], v[244:245]
	s_delay_alu instid0(VALU_DEP_1) | instskip(NEXT) | instid1(VALU_DEP_1)
	v_fma_f64 v[246:247], -v[130:131], v[244:245], 1.0
	v_fma_f64 v[244:245], v[244:245], v[246:247], v[244:245]
	v_div_scale_f64 v[246:247], vcc_lo, 1.0, v[128:129], 1.0
	s_delay_alu instid0(VALU_DEP_1) | instskip(NEXT) | instid1(VALU_DEP_1)
	v_mul_f64 v[248:249], v[246:247], v[244:245]
	v_fma_f64 v[130:131], -v[130:131], v[248:249], v[246:247]
	s_delay_alu instid0(VALU_DEP_1) | instskip(NEXT) | instid1(VALU_DEP_1)
	v_div_fmas_f64 v[130:131], v[130:131], v[244:245], v[248:249]
	v_div_fixup_f64 v[128:129], v[130:131], v[128:129], 1.0
	s_delay_alu instid0(VALU_DEP_1)
	v_mul_f64 v[250:251], v[126:127], -v[128:129]
.LBB63_268:
	s_or_b32 exec_lo, exec_lo, s3
	ds_store_2addr_b64 v124, v[128:129], v[250:251] offset1:1
.LBB63_269:
	s_or_b32 exec_lo, exec_lo, s4
	s_waitcnt lgkmcnt(0)
	s_barrier
	buffer_gl0_inv
	ds_load_2addr_b64 v[244:247], v124 offset1:1
	s_mov_b32 s3, exec_lo
	v_cmpx_lt_u32_e32 29, v252
	s_cbranch_execz .LBB63_271
; %bb.270:
	s_waitcnt lgkmcnt(0)
	v_mul_f64 v[126:127], v[244:245], v[10:11]
	v_mul_f64 v[10:11], v[246:247], v[10:11]
	s_delay_alu instid0(VALU_DEP_2) | instskip(SKIP_4) | instid1(VALU_DEP_1)
	v_fma_f64 v[130:131], v[246:247], v[8:9], v[126:127]
	ds_load_2addr_b64 v[126:129], v125 offset0:60 offset1:61
	v_fma_f64 v[8:9], v[244:245], v[8:9], -v[10:11]
	s_waitcnt lgkmcnt(0)
	v_mul_f64 v[10:11], v[128:129], v[130:131]
	v_fma_f64 v[10:11], v[126:127], v[8:9], -v[10:11]
	v_mul_f64 v[126:127], v[126:127], v[130:131]
	s_delay_alu instid0(VALU_DEP_2) | instskip(NEXT) | instid1(VALU_DEP_2)
	v_add_f64 v[4:5], v[4:5], -v[10:11]
	v_fma_f64 v[126:127], v[128:129], v[8:9], v[126:127]
	s_delay_alu instid0(VALU_DEP_1) | instskip(SKIP_3) | instid1(VALU_DEP_1)
	v_add_f64 v[6:7], v[6:7], -v[126:127]
	ds_load_2addr_b64 v[126:129], v125 offset0:62 offset1:63
	s_waitcnt lgkmcnt(0)
	v_mul_f64 v[10:11], v[128:129], v[130:131]
	v_fma_f64 v[10:11], v[126:127], v[8:9], -v[10:11]
	v_mul_f64 v[126:127], v[126:127], v[130:131]
	s_delay_alu instid0(VALU_DEP_2) | instskip(NEXT) | instid1(VALU_DEP_2)
	v_add_f64 v[0:1], v[0:1], -v[10:11]
	v_fma_f64 v[126:127], v[128:129], v[8:9], v[126:127]
	v_dual_mov_b32 v10, v130 :: v_dual_mov_b32 v11, v131
	s_delay_alu instid0(VALU_DEP_2)
	v_add_f64 v[2:3], v[2:3], -v[126:127]
.LBB63_271:
	s_or_b32 exec_lo, exec_lo, s3
	s_delay_alu instid0(SALU_CYCLE_1)
	s_mov_b32 s4, exec_lo
	s_waitcnt lgkmcnt(0)
	s_barrier
	buffer_gl0_inv
	v_cmpx_eq_u32_e32 30, v252
	s_cbranch_execz .LBB63_278
; %bb.272:
	ds_store_2addr_b64 v124, v[4:5], v[6:7] offset1:1
	ds_store_2addr_b64 v125, v[0:1], v[2:3] offset0:62 offset1:63
	ds_load_2addr_b64 v[248:251], v124 offset1:1
	s_waitcnt lgkmcnt(0)
	v_cmp_neq_f64_e32 vcc_lo, 0, v[248:249]
	v_cmp_neq_f64_e64 s3, 0, v[250:251]
	s_delay_alu instid0(VALU_DEP_1) | instskip(NEXT) | instid1(SALU_CYCLE_1)
	s_or_b32 s3, vcc_lo, s3
	s_and_b32 exec_lo, exec_lo, s3
	s_cbranch_execz .LBB63_278
; %bb.273:
	v_cmp_gt_f64_e32 vcc_lo, 0, v[248:249]
	v_xor_b32_e32 v126, 0x80000000, v249
	v_mov_b32_e32 v132, v252
	v_xor_b32_e32 v128, 0x80000000, v251
	s_delay_alu instid0(VALU_DEP_3) | instskip(SKIP_1) | instid1(VALU_DEP_3)
	v_dual_cndmask_b32 v127, v249, v126 :: v_dual_cndmask_b32 v126, v248, v248
	v_cmp_gt_f64_e32 vcc_lo, 0, v[250:251]
	v_dual_cndmask_b32 v129, v251, v128 :: v_dual_cndmask_b32 v128, v250, v250
	s_delay_alu instid0(VALU_DEP_1) | instskip(SKIP_1) | instid1(SALU_CYCLE_1)
	v_cmp_ngt_f64_e32 vcc_lo, v[126:127], v[128:129]
                                        ; implicit-def: $vgpr128_vgpr129
	s_and_saveexec_b32 s3, vcc_lo
	s_xor_b32 s3, exec_lo, s3
                                        ; implicit-def: $vgpr252_vgpr253_vgpr254_vgpr255
	s_cbranch_execz .LBB63_275
; %bb.274:
	v_div_scale_f64 v[126:127], null, v[250:251], v[250:251], v[248:249]
	v_div_scale_f64 v[252:253], vcc_lo, v[248:249], v[250:251], v[248:249]
	s_delay_alu instid0(VALU_DEP_2) | instskip(SKIP_2) | instid1(VALU_DEP_1)
	v_rcp_f64_e32 v[128:129], v[126:127]
	s_waitcnt_depctr 0xfff
	v_fma_f64 v[130:131], -v[126:127], v[128:129], 1.0
	v_fma_f64 v[128:129], v[128:129], v[130:131], v[128:129]
	s_delay_alu instid0(VALU_DEP_1) | instskip(NEXT) | instid1(VALU_DEP_1)
	v_fma_f64 v[130:131], -v[126:127], v[128:129], 1.0
	v_fma_f64 v[128:129], v[128:129], v[130:131], v[128:129]
	s_delay_alu instid0(VALU_DEP_1) | instskip(NEXT) | instid1(VALU_DEP_1)
	v_mul_f64 v[130:131], v[252:253], v[128:129]
	v_fma_f64 v[126:127], -v[126:127], v[130:131], v[252:253]
	s_delay_alu instid0(VALU_DEP_1) | instskip(NEXT) | instid1(VALU_DEP_1)
	v_div_fmas_f64 v[126:127], v[126:127], v[128:129], v[130:131]
	v_div_fixup_f64 v[126:127], v[126:127], v[250:251], v[248:249]
	s_delay_alu instid0(VALU_DEP_1) | instskip(NEXT) | instid1(VALU_DEP_1)
	v_fma_f64 v[128:129], v[248:249], v[126:127], v[250:251]
	v_div_scale_f64 v[130:131], null, v[128:129], v[128:129], 1.0
	s_delay_alu instid0(VALU_DEP_1) | instskip(SKIP_2) | instid1(VALU_DEP_1)
	v_rcp_f64_e32 v[248:249], v[130:131]
	s_waitcnt_depctr 0xfff
	v_fma_f64 v[250:251], -v[130:131], v[248:249], 1.0
	v_fma_f64 v[248:249], v[248:249], v[250:251], v[248:249]
	s_delay_alu instid0(VALU_DEP_1) | instskip(NEXT) | instid1(VALU_DEP_1)
	v_fma_f64 v[250:251], -v[130:131], v[248:249], 1.0
	v_fma_f64 v[248:249], v[248:249], v[250:251], v[248:249]
	v_div_scale_f64 v[250:251], vcc_lo, 1.0, v[128:129], 1.0
	s_delay_alu instid0(VALU_DEP_1) | instskip(NEXT) | instid1(VALU_DEP_1)
	v_mul_f64 v[252:253], v[250:251], v[248:249]
	v_fma_f64 v[130:131], -v[130:131], v[252:253], v[250:251]
	s_delay_alu instid0(VALU_DEP_1) | instskip(NEXT) | instid1(VALU_DEP_1)
	v_div_fmas_f64 v[130:131], v[130:131], v[248:249], v[252:253]
                                        ; implicit-def: $vgpr248_vgpr249
	v_div_fixup_f64 v[254:255], v[130:131], v[128:129], 1.0
	s_delay_alu instid0(VALU_DEP_1)
	v_mul_f64 v[128:129], v[126:127], v[254:255]
	v_xor_b32_e32 v255, 0x80000000, v255
.LBB63_275:
	s_and_not1_saveexec_b32 s3, s3
	s_cbranch_execz .LBB63_277
; %bb.276:
	v_div_scale_f64 v[126:127], null, v[248:249], v[248:249], v[250:251]
	v_div_scale_f64 v[252:253], vcc_lo, v[250:251], v[248:249], v[250:251]
	s_delay_alu instid0(VALU_DEP_2) | instskip(SKIP_2) | instid1(VALU_DEP_1)
	v_rcp_f64_e32 v[128:129], v[126:127]
	s_waitcnt_depctr 0xfff
	v_fma_f64 v[130:131], -v[126:127], v[128:129], 1.0
	v_fma_f64 v[128:129], v[128:129], v[130:131], v[128:129]
	s_delay_alu instid0(VALU_DEP_1) | instskip(NEXT) | instid1(VALU_DEP_1)
	v_fma_f64 v[130:131], -v[126:127], v[128:129], 1.0
	v_fma_f64 v[128:129], v[128:129], v[130:131], v[128:129]
	s_delay_alu instid0(VALU_DEP_1) | instskip(NEXT) | instid1(VALU_DEP_1)
	v_mul_f64 v[130:131], v[252:253], v[128:129]
	v_fma_f64 v[126:127], -v[126:127], v[130:131], v[252:253]
	s_delay_alu instid0(VALU_DEP_1) | instskip(NEXT) | instid1(VALU_DEP_1)
	v_div_fmas_f64 v[126:127], v[126:127], v[128:129], v[130:131]
	v_div_fixup_f64 v[126:127], v[126:127], v[248:249], v[250:251]
	s_delay_alu instid0(VALU_DEP_1) | instskip(NEXT) | instid1(VALU_DEP_1)
	v_fma_f64 v[128:129], v[250:251], v[126:127], v[248:249]
	v_div_scale_f64 v[130:131], null, v[128:129], v[128:129], 1.0
	s_delay_alu instid0(VALU_DEP_1) | instskip(SKIP_2) | instid1(VALU_DEP_1)
	v_rcp_f64_e32 v[248:249], v[130:131]
	s_waitcnt_depctr 0xfff
	v_fma_f64 v[250:251], -v[130:131], v[248:249], 1.0
	v_fma_f64 v[248:249], v[248:249], v[250:251], v[248:249]
	s_delay_alu instid0(VALU_DEP_1) | instskip(NEXT) | instid1(VALU_DEP_1)
	v_fma_f64 v[250:251], -v[130:131], v[248:249], 1.0
	v_fma_f64 v[248:249], v[248:249], v[250:251], v[248:249]
	v_div_scale_f64 v[250:251], vcc_lo, 1.0, v[128:129], 1.0
	s_delay_alu instid0(VALU_DEP_1) | instskip(NEXT) | instid1(VALU_DEP_1)
	v_mul_f64 v[252:253], v[250:251], v[248:249]
	v_fma_f64 v[130:131], -v[130:131], v[252:253], v[250:251]
	s_delay_alu instid0(VALU_DEP_1) | instskip(NEXT) | instid1(VALU_DEP_1)
	v_div_fmas_f64 v[130:131], v[130:131], v[248:249], v[252:253]
	v_div_fixup_f64 v[128:129], v[130:131], v[128:129], 1.0
	s_delay_alu instid0(VALU_DEP_1)
	v_mul_f64 v[254:255], v[126:127], -v[128:129]
.LBB63_277:
	s_or_b32 exec_lo, exec_lo, s3
	v_mov_b32_e32 v252, v132
	ds_store_2addr_b64 v124, v[128:129], v[254:255] offset1:1
.LBB63_278:
	s_or_b32 exec_lo, exec_lo, s4
	s_waitcnt lgkmcnt(0)
	s_barrier
	buffer_gl0_inv
	ds_load_2addr_b64 v[248:251], v124 offset1:1
	s_mov_b32 s3, exec_lo
	v_cmpx_lt_u32_e32 30, v252
	s_cbranch_execz .LBB63_280
; %bb.279:
	s_waitcnt lgkmcnt(0)
	v_mul_f64 v[126:127], v[248:249], v[6:7]
	v_mul_f64 v[6:7], v[250:251], v[6:7]
	s_delay_alu instid0(VALU_DEP_2) | instskip(SKIP_4) | instid1(VALU_DEP_1)
	v_fma_f64 v[129:130], v[250:251], v[4:5], v[126:127]
	ds_load_2addr_b64 v[125:128], v125 offset0:62 offset1:63
	v_fma_f64 v[4:5], v[248:249], v[4:5], -v[6:7]
	s_waitcnt lgkmcnt(0)
	v_mul_f64 v[6:7], v[127:128], v[129:130]
	v_fma_f64 v[6:7], v[125:126], v[4:5], -v[6:7]
	v_mul_f64 v[125:126], v[125:126], v[129:130]
	s_delay_alu instid0(VALU_DEP_2) | instskip(NEXT) | instid1(VALU_DEP_2)
	v_add_f64 v[0:1], v[0:1], -v[6:7]
	v_fma_f64 v[125:126], v[127:128], v[4:5], v[125:126]
	v_dual_mov_b32 v6, v129 :: v_dual_mov_b32 v7, v130
	s_delay_alu instid0(VALU_DEP_2)
	v_add_f64 v[2:3], v[2:3], -v[125:126]
.LBB63_280:
	s_or_b32 exec_lo, exec_lo, s3
	v_mov_b32_e32 v135, v252
	s_mov_b32 s4, exec_lo
	s_waitcnt lgkmcnt(0)
	s_barrier
	buffer_gl0_inv
	v_cmpx_eq_u32_e32 31, v252
	s_cbranch_execz .LBB63_287
; %bb.281:
	v_cmp_neq_f64_e32 vcc_lo, 0, v[0:1]
	v_cmp_neq_f64_e64 s3, 0, v[2:3]
	ds_store_2addr_b64 v124, v[0:1], v[2:3] offset1:1
	s_or_b32 s3, vcc_lo, s3
	s_delay_alu instid0(SALU_CYCLE_1)
	s_and_b32 exec_lo, exec_lo, s3
	s_cbranch_execz .LBB63_287
; %bb.282:
	v_cmp_gt_f64_e32 vcc_lo, 0, v[0:1]
	v_xor_b32_e32 v125, 0x80000000, v1
	v_xor_b32_e32 v127, 0x80000000, v3
	s_delay_alu instid0(VALU_DEP_2) | instskip(SKIP_1) | instid1(VALU_DEP_3)
	v_dual_cndmask_b32 v126, v1, v125 :: v_dual_cndmask_b32 v125, v0, v0
	v_cmp_gt_f64_e32 vcc_lo, 0, v[2:3]
	v_dual_cndmask_b32 v128, v3, v127 :: v_dual_cndmask_b32 v127, v2, v2
	s_delay_alu instid0(VALU_DEP_1) | instskip(SKIP_1) | instid1(SALU_CYCLE_1)
	v_cmp_ngt_f64_e32 vcc_lo, v[125:126], v[127:128]
                                        ; implicit-def: $vgpr128_vgpr129
	s_and_saveexec_b32 s3, vcc_lo
	s_xor_b32 s3, exec_lo, s3
                                        ; implicit-def: $vgpr252_vgpr253_vgpr254_vgpr255
	s_cbranch_execz .LBB63_284
; %bb.283:
	v_div_scale_f64 v[125:126], null, v[2:3], v[2:3], v[0:1]
	v_div_scale_f64 v[252:253], vcc_lo, v[0:1], v[2:3], v[0:1]
	s_delay_alu instid0(VALU_DEP_2) | instskip(SKIP_2) | instid1(VALU_DEP_1)
	v_rcp_f64_e32 v[127:128], v[125:126]
	s_waitcnt_depctr 0xfff
	v_fma_f64 v[129:130], -v[125:126], v[127:128], 1.0
	v_fma_f64 v[127:128], v[127:128], v[129:130], v[127:128]
	s_delay_alu instid0(VALU_DEP_1) | instskip(NEXT) | instid1(VALU_DEP_1)
	v_fma_f64 v[129:130], -v[125:126], v[127:128], 1.0
	v_fma_f64 v[127:128], v[127:128], v[129:130], v[127:128]
	s_delay_alu instid0(VALU_DEP_1) | instskip(NEXT) | instid1(VALU_DEP_1)
	v_mul_f64 v[129:130], v[252:253], v[127:128]
	v_fma_f64 v[125:126], -v[125:126], v[129:130], v[252:253]
	s_delay_alu instid0(VALU_DEP_1) | instskip(NEXT) | instid1(VALU_DEP_1)
	v_div_fmas_f64 v[125:126], v[125:126], v[127:128], v[129:130]
	v_div_fixup_f64 v[125:126], v[125:126], v[2:3], v[0:1]
	s_delay_alu instid0(VALU_DEP_1) | instskip(NEXT) | instid1(VALU_DEP_1)
	v_fma_f64 v[127:128], v[0:1], v[125:126], v[2:3]
	v_div_scale_f64 v[129:130], null, v[127:128], v[127:128], 1.0
	s_delay_alu instid0(VALU_DEP_1) | instskip(SKIP_2) | instid1(VALU_DEP_1)
	v_rcp_f64_e32 v[252:253], v[129:130]
	s_waitcnt_depctr 0xfff
	v_fma_f64 v[254:255], -v[129:130], v[252:253], 1.0
	v_fma_f64 v[252:253], v[252:253], v[254:255], v[252:253]
	s_delay_alu instid0(VALU_DEP_1) | instskip(NEXT) | instid1(VALU_DEP_1)
	v_fma_f64 v[254:255], -v[129:130], v[252:253], 1.0
	v_fma_f64 v[252:253], v[252:253], v[254:255], v[252:253]
	v_div_scale_f64 v[254:255], vcc_lo, 1.0, v[127:128], 1.0
	s_delay_alu instid0(VALU_DEP_1) | instskip(NEXT) | instid1(VALU_DEP_1)
	v_mul_f64 v[131:132], v[254:255], v[252:253]
	v_fma_f64 v[129:130], -v[129:130], v[131:132], v[254:255]
	s_delay_alu instid0(VALU_DEP_1) | instskip(NEXT) | instid1(VALU_DEP_1)
	v_div_fmas_f64 v[129:130], v[129:130], v[252:253], v[131:132]
	v_div_fixup_f64 v[254:255], v[129:130], v[127:128], 1.0
	s_delay_alu instid0(VALU_DEP_1)
	v_mul_f64 v[128:129], v[125:126], v[254:255]
	v_xor_b32_e32 v255, 0x80000000, v255
.LBB63_284:
	s_and_not1_saveexec_b32 s3, s3
	s_cbranch_execz .LBB63_286
; %bb.285:
	v_div_scale_f64 v[125:126], null, v[0:1], v[0:1], v[2:3]
	v_div_scale_f64 v[131:132], vcc_lo, v[2:3], v[0:1], v[2:3]
	s_delay_alu instid0(VALU_DEP_2) | instskip(SKIP_2) | instid1(VALU_DEP_1)
	v_rcp_f64_e32 v[127:128], v[125:126]
	s_waitcnt_depctr 0xfff
	v_fma_f64 v[129:130], -v[125:126], v[127:128], 1.0
	v_fma_f64 v[127:128], v[127:128], v[129:130], v[127:128]
	s_delay_alu instid0(VALU_DEP_1) | instskip(NEXT) | instid1(VALU_DEP_1)
	v_fma_f64 v[129:130], -v[125:126], v[127:128], 1.0
	v_fma_f64 v[127:128], v[127:128], v[129:130], v[127:128]
	s_delay_alu instid0(VALU_DEP_1) | instskip(NEXT) | instid1(VALU_DEP_1)
	v_mul_f64 v[129:130], v[131:132], v[127:128]
	v_fma_f64 v[125:126], -v[125:126], v[129:130], v[131:132]
	s_delay_alu instid0(VALU_DEP_1) | instskip(NEXT) | instid1(VALU_DEP_1)
	v_div_fmas_f64 v[125:126], v[125:126], v[127:128], v[129:130]
	v_div_fixup_f64 v[125:126], v[125:126], v[0:1], v[2:3]
	s_delay_alu instid0(VALU_DEP_1) | instskip(NEXT) | instid1(VALU_DEP_1)
	v_fma_f64 v[127:128], v[2:3], v[125:126], v[0:1]
	v_div_scale_f64 v[129:130], null, v[127:128], v[127:128], 1.0
	s_delay_alu instid0(VALU_DEP_1) | instskip(SKIP_2) | instid1(VALU_DEP_1)
	v_rcp_f64_e32 v[131:132], v[129:130]
	s_waitcnt_depctr 0xfff
	v_fma_f64 v[133:134], -v[129:130], v[131:132], 1.0
	v_fma_f64 v[131:132], v[131:132], v[133:134], v[131:132]
	s_delay_alu instid0(VALU_DEP_1) | instskip(NEXT) | instid1(VALU_DEP_1)
	v_fma_f64 v[133:134], -v[129:130], v[131:132], 1.0
	v_fma_f64 v[131:132], v[131:132], v[133:134], v[131:132]
	v_div_scale_f64 v[133:134], vcc_lo, 1.0, v[127:128], 1.0
	s_delay_alu instid0(VALU_DEP_1) | instskip(NEXT) | instid1(VALU_DEP_1)
	v_mul_f64 v[252:253], v[133:134], v[131:132]
	v_fma_f64 v[129:130], -v[129:130], v[252:253], v[133:134]
	s_delay_alu instid0(VALU_DEP_1) | instskip(NEXT) | instid1(VALU_DEP_1)
	v_div_fmas_f64 v[129:130], v[129:130], v[131:132], v[252:253]
	v_div_fixup_f64 v[128:129], v[129:130], v[127:128], 1.0
	s_delay_alu instid0(VALU_DEP_1)
	v_mul_f64 v[254:255], v[125:126], -v[128:129]
.LBB63_286:
	s_or_b32 exec_lo, exec_lo, s3
	ds_store_2addr_b64 v124, v[128:129], v[254:255] offset1:1
.LBB63_287:
	s_or_b32 exec_lo, exec_lo, s4
	s_waitcnt lgkmcnt(0)
	s_barrier
	buffer_gl0_inv
	ds_load_2addr_b64 v[252:255], v124 offset1:1
	s_mov_b32 s3, exec_lo
	v_cmpx_lt_u32_e32 31, v135
	s_cbranch_execz .LBB63_289
; %bb.288:
	s_waitcnt lgkmcnt(0)
	v_mul_f64 v[124:125], v[254:255], v[2:3]
	v_mul_f64 v[2:3], v[252:253], v[2:3]
	s_delay_alu instid0(VALU_DEP_2) | instskip(NEXT) | instid1(VALU_DEP_2)
	v_fma_f64 v[124:125], v[252:253], v[0:1], -v[124:125]
	v_fma_f64 v[2:3], v[254:255], v[0:1], v[2:3]
	s_delay_alu instid0(VALU_DEP_2)
	v_dual_mov_b32 v0, v124 :: v_dual_mov_b32 v1, v125
.LBB63_289:
	s_or_b32 exec_lo, exec_lo, s3
	s_waitcnt lgkmcnt(0)
	s_barrier
	buffer_gl0_inv
	s_and_saveexec_b32 s10, s2
	s_cbranch_execz .LBB63_292
; %bb.290:
	scratch_load_b128 v[124:127], off, off offset:272 ; 16-byte Folded Reload
	s_load_b64 s[12:13], s[0:1], 0x28
	v_cmp_eq_f64_e64 s6, 0, v[136:137]
	v_cmp_eq_f64_e64 s7, 0, v[138:139]
	;; [unrolled: 1-line block ×4, first 2 shown]
	v_cmp_eq_f64_e32 vcc_lo, 0, v[144:145]
	v_cmp_eq_f64_e64 s0, 0, v[146:147]
	s_delay_alu instid0(VALU_DEP_1)
	s_and_b32 s0, vcc_lo, s0
	v_cmp_eq_f64_e32 vcc_lo, 0, v[160:161]
	s_waitcnt vmcnt(0)
	v_cmp_eq_f64_e64 s2, 0, v[124:125]
	v_cmp_eq_f64_e64 s3, 0, v[126:127]
	scratch_load_b128 v[124:127], off, off offset:288 ; 16-byte Folded Reload
	s_and_b32 s1, s2, s3
	s_waitcnt vmcnt(0)
	v_cmp_neq_f64_e64 s4, 0, v[124:125]
	v_cmp_neq_f64_e64 s5, 0, v[126:127]
	v_cndmask_b32_e64 v124, 0, 1, s1
	s_delay_alu instid0(VALU_DEP_2)
	s_or_b32 s2, s4, s5
	s_and_b32 s5, s6, s7
	s_or_b32 s1, s2, s1
	v_cmp_eq_f64_e64 s2, 0, v[150:151]
	v_cndmask_b32_e64 v126, 2, v124, s1
	scratch_load_b64 v[124:125], off, off offset:304 ; 8-byte Folded Reload
	v_cmp_eq_f64_e64 s1, 0, v[148:149]
	s_and_b32 s6, s8, s9
	v_cmp_eq_u32_e64 s3, 0, v126
	s_delay_alu instid0(VALU_DEP_1) | instskip(NEXT) | instid1(VALU_DEP_2)
	s_and_b32 s3, s5, s3
	s_and_b32 s1, s1, s2
	v_cmp_eq_f64_e64 s2, 0, v[166:167]
	s_waitcnt vmcnt(0)
	v_lshlrev_b64 v[124:125], 2, v[124:125]
	s_waitcnt lgkmcnt(0)
	s_delay_alu instid0(VALU_DEP_1) | instskip(NEXT) | instid1(VALU_DEP_1)
	v_add_co_u32 v128, s4, s12, v124
	v_add_co_ci_u32_e64 v129, s4, s13, v125, s4
	v_cndmask_b32_e64 v125, v126, 3, s3
	v_cmp_eq_f64_e64 s3, 0, v[152:153]
	v_cmp_eq_f64_e64 s4, 0, v[154:155]
	global_load_b32 v124, v[128:129], off
	v_cmp_eq_u32_e64 s5, 0, v125
	s_delay_alu instid0(VALU_DEP_1) | instskip(SKIP_3) | instid1(VALU_DEP_2)
	s_and_b32 s5, s6, s5
	v_cmp_eq_f64_e64 s6, 0, v[158:159]
	v_cndmask_b32_e64 v125, v125, 4, s5
	v_cmp_eq_f64_e64 s5, 0, v[156:157]
	v_cmp_eq_u32_e64 s7, 0, v125
	s_delay_alu instid0(VALU_DEP_1) | instskip(NEXT) | instid1(SALU_CYCLE_1)
	s_and_b32 s0, s0, s7
	v_cndmask_b32_e64 v125, v125, 5, s0
	v_cmp_eq_f64_e64 s0, 0, v[162:163]
	s_delay_alu instid0(VALU_DEP_2) | instskip(NEXT) | instid1(VALU_DEP_1)
	v_cmp_eq_u32_e64 s7, 0, v125
	s_and_b32 s1, s1, s7
	s_delay_alu instid0(SALU_CYCLE_1) | instskip(SKIP_2) | instid1(VALU_DEP_2)
	v_cndmask_b32_e64 v125, v125, 6, s1
	v_cmp_eq_f64_e64 s1, 0, v[164:165]
	s_and_b32 s3, s3, s4
	v_cmp_eq_u32_e64 s7, 0, v125
	v_cmp_eq_f64_e64 s4, 0, v[170:171]
	s_delay_alu instid0(VALU_DEP_2) | instskip(NEXT) | instid1(SALU_CYCLE_1)
	s_and_b32 s3, s3, s7
	v_cndmask_b32_e64 v125, v125, 7, s3
	v_cmp_eq_f64_e64 s3, 0, v[168:169]
	s_and_b32 s5, s5, s6
	v_cmp_eq_f64_e64 s6, 0, v[174:175]
	s_delay_alu instid0(VALU_DEP_3) | instskip(NEXT) | instid1(VALU_DEP_1)
	v_cmp_eq_u32_e64 s7, 0, v125
	s_and_b32 s5, s5, s7
	s_delay_alu instid0(SALU_CYCLE_1) | instskip(SKIP_3) | instid1(VALU_DEP_3)
	v_cndmask_b32_e64 v125, v125, 8, s5
	v_cmp_eq_f64_e64 s5, 0, v[172:173]
	s_and_b32 s0, vcc_lo, s0
	v_cmp_eq_f64_e32 vcc_lo, 0, v[176:177]
	v_cmp_eq_u32_e64 s7, 0, v125
	s_delay_alu instid0(VALU_DEP_1) | instskip(NEXT) | instid1(SALU_CYCLE_1)
	s_and_b32 s0, s0, s7
	v_cndmask_b32_e64 v125, v125, 9, s0
	v_cmp_eq_f64_e64 s0, 0, v[178:179]
	s_and_b32 s1, s1, s2
	v_cmp_eq_f64_e64 s2, 0, v[182:183]
	s_delay_alu instid0(VALU_DEP_3) | instskip(NEXT) | instid1(VALU_DEP_1)
	v_cmp_eq_u32_e64 s7, 0, v125
	s_and_b32 s1, s1, s7
	s_delay_alu instid0(SALU_CYCLE_1) | instskip(SKIP_3) | instid1(VALU_DEP_3)
	v_cndmask_b32_e64 v125, v125, 10, s1
	v_cmp_eq_f64_e64 s1, 0, v[180:181]
	s_and_b32 s3, s3, s4
	v_cmp_eq_f64_e64 s4, 0, v[186:187]
	v_cmp_eq_u32_e64 s7, 0, v125
	s_delay_alu instid0(VALU_DEP_1) | instskip(NEXT) | instid1(SALU_CYCLE_1)
	s_and_b32 s3, s3, s7
	v_cndmask_b32_e64 v125, v125, 11, s3
	v_cmp_eq_f64_e64 s3, 0, v[184:185]
	s_and_b32 s5, s5, s6
	v_cmp_eq_f64_e64 s6, 0, v[190:191]
	s_delay_alu instid0(VALU_DEP_3) | instskip(NEXT) | instid1(VALU_DEP_1)
	v_cmp_eq_u32_e64 s7, 0, v125
	s_and_b32 s5, s5, s7
	s_delay_alu instid0(SALU_CYCLE_1) | instskip(SKIP_3) | instid1(VALU_DEP_3)
	v_cndmask_b32_e64 v125, v125, 12, s5
	v_cmp_eq_f64_e64 s5, 0, v[188:189]
	s_and_b32 s0, vcc_lo, s0
	v_cmp_eq_f64_e32 vcc_lo, 0, v[192:193]
	v_cmp_eq_u32_e64 s7, 0, v125
	s_delay_alu instid0(VALU_DEP_1) | instskip(NEXT) | instid1(SALU_CYCLE_1)
	s_and_b32 s0, s0, s7
	v_cndmask_b32_e64 v125, v125, 13, s0
	v_cmp_eq_f64_e64 s0, 0, v[194:195]
	s_and_b32 s1, s1, s2
	v_cmp_eq_f64_e64 s2, 0, v[198:199]
	s_delay_alu instid0(VALU_DEP_3) | instskip(NEXT) | instid1(VALU_DEP_1)
	v_cmp_eq_u32_e64 s7, 0, v125
	s_and_b32 s1, s1, s7
	s_delay_alu instid0(SALU_CYCLE_1) | instskip(SKIP_3) | instid1(VALU_DEP_3)
	v_cndmask_b32_e64 v125, v125, 14, s1
	v_cmp_eq_f64_e64 s1, 0, v[196:197]
	s_and_b32 s3, s3, s4
	v_cmp_eq_f64_e64 s4, 0, v[202:203]
	v_cmp_eq_u32_e64 s7, 0, v125
	s_delay_alu instid0(VALU_DEP_1) | instskip(NEXT) | instid1(SALU_CYCLE_1)
	;; [unrolled: 30-line block ×5, first 2 shown]
	s_and_b32 s3, s3, s7
	v_cndmask_b32_e64 v125, v125, 27, s3
	v_cmp_eq_f64_e64 s3, 0, v[248:249]
	s_and_b32 s5, s5, s6
	v_cmp_eq_f64_e64 s6, 0, v[254:255]
	s_delay_alu instid0(VALU_DEP_3) | instskip(NEXT) | instid1(VALU_DEP_1)
	v_cmp_eq_u32_e64 s7, 0, v125
	s_and_b32 s5, s5, s7
	s_delay_alu instid0(SALU_CYCLE_1) | instskip(SKIP_2) | instid1(VALU_DEP_2)
	v_cndmask_b32_e64 v125, v125, 28, s5
	v_cmp_eq_f64_e64 s5, 0, v[252:253]
	s_and_b32 s0, vcc_lo, s0
	v_cmp_eq_u32_e64 s7, 0, v125
	s_delay_alu instid0(VALU_DEP_1) | instskip(NEXT) | instid1(SALU_CYCLE_1)
	s_and_b32 s0, s0, s7
	v_cndmask_b32_e64 v125, v125, 29, s0
	s_and_b32 s0, s1, s2
	s_delay_alu instid0(VALU_DEP_1) | instskip(SKIP_1) | instid1(SALU_CYCLE_1)
	v_cmp_eq_u32_e32 vcc_lo, 0, v125
	s_and_b32 s0, s0, vcc_lo
	v_cndmask_b32_e64 v125, v125, 30, s0
	s_and_b32 s0, s3, s4
	s_delay_alu instid0(VALU_DEP_1) | instskip(SKIP_1) | instid1(SALU_CYCLE_1)
	v_cmp_eq_u32_e32 vcc_lo, 0, v125
	s_and_b32 s0, s0, vcc_lo
	v_cndmask_b32_e64 v125, v125, 31, s0
	s_and_b32 s0, s5, s6
	s_delay_alu instid0(VALU_DEP_1) | instskip(SKIP_4) | instid1(VALU_DEP_1)
	v_cmp_eq_u32_e32 vcc_lo, 0, v125
	s_and_b32 s0, s0, vcc_lo
	s_waitcnt vmcnt(0)
	v_cmp_eq_u32_e32 vcc_lo, 0, v124
	v_cndmask_b32_e64 v125, v125, 32, s0
	v_cmp_ne_u32_e64 s0, 0, v125
	s_delay_alu instid0(VALU_DEP_1) | instskip(NEXT) | instid1(SALU_CYCLE_1)
	s_and_b32 s0, vcc_lo, s0
	s_and_b32 exec_lo, exec_lo, s0
	s_cbranch_execz .LBB63_292
; %bb.291:
	v_add_nc_u32_e32 v124, s11, v125
	global_store_b32 v[128:129], v124, off
.LBB63_292:
	s_or_b32 exec_lo, exec_lo, s10
	s_clause 0x1
	scratch_load_b64 v[124:125], off, off offset:256
	scratch_load_b128 v[126:129], off, off
	s_waitcnt vmcnt(0)
	global_store_b128 v[124:125], v[126:129], off
	scratch_load_b64 v[124:125], off, off offset:264 ; 8-byte Folded Reload
	s_waitcnt vmcnt(0)
	global_store_b128 v[124:125], v[120:123], off
	scratch_load_b64 v[120:121], off, off offset:248 ; 8-byte Folded Reload
	;; [unrolled: 3-line block ×31, first 2 shown]
	s_waitcnt vmcnt(0)
	global_store_b128 v[4:5], v[0:3], off
.LBB63_293:
	s_nop 0
	s_sendmsg sendmsg(MSG_DEALLOC_VGPRS)
	s_endpgm
	.section	.rodata,"a",@progbits
	.p2align	6, 0x0
	.amdhsa_kernel _ZN9rocsolver6v33100L23getf2_npvt_small_kernelILi32E19rocblas_complex_numIdEiiPKPS3_EEvT1_T3_lS7_lPT2_S7_S7_
		.amdhsa_group_segment_fixed_size 0
		.amdhsa_private_segment_fixed_size 316
		.amdhsa_kernarg_size 312
		.amdhsa_user_sgpr_count 14
		.amdhsa_user_sgpr_dispatch_ptr 0
		.amdhsa_user_sgpr_queue_ptr 0
		.amdhsa_user_sgpr_kernarg_segment_ptr 1
		.amdhsa_user_sgpr_dispatch_id 0
		.amdhsa_user_sgpr_private_segment_size 0
		.amdhsa_wavefront_size32 1
		.amdhsa_uses_dynamic_stack 0
		.amdhsa_enable_private_segment 1
		.amdhsa_system_sgpr_workgroup_id_x 1
		.amdhsa_system_sgpr_workgroup_id_y 1
		.amdhsa_system_sgpr_workgroup_id_z 0
		.amdhsa_system_sgpr_workgroup_info 0
		.amdhsa_system_vgpr_workitem_id 1
		.amdhsa_next_free_vgpr 256
		.amdhsa_next_free_sgpr 16
		.amdhsa_reserve_vcc 1
		.amdhsa_float_round_mode_32 0
		.amdhsa_float_round_mode_16_64 0
		.amdhsa_float_denorm_mode_32 3
		.amdhsa_float_denorm_mode_16_64 3
		.amdhsa_dx10_clamp 1
		.amdhsa_ieee_mode 1
		.amdhsa_fp16_overflow 0
		.amdhsa_workgroup_processor_mode 1
		.amdhsa_memory_ordered 1
		.amdhsa_forward_progress 0
		.amdhsa_shared_vgpr_count 0
		.amdhsa_exception_fp_ieee_invalid_op 0
		.amdhsa_exception_fp_denorm_src 0
		.amdhsa_exception_fp_ieee_div_zero 0
		.amdhsa_exception_fp_ieee_overflow 0
		.amdhsa_exception_fp_ieee_underflow 0
		.amdhsa_exception_fp_ieee_inexact 0
		.amdhsa_exception_int_div_zero 0
	.end_amdhsa_kernel
	.section	.text._ZN9rocsolver6v33100L23getf2_npvt_small_kernelILi32E19rocblas_complex_numIdEiiPKPS3_EEvT1_T3_lS7_lPT2_S7_S7_,"axG",@progbits,_ZN9rocsolver6v33100L23getf2_npvt_small_kernelILi32E19rocblas_complex_numIdEiiPKPS3_EEvT1_T3_lS7_lPT2_S7_S7_,comdat
.Lfunc_end63:
	.size	_ZN9rocsolver6v33100L23getf2_npvt_small_kernelILi32E19rocblas_complex_numIdEiiPKPS3_EEvT1_T3_lS7_lPT2_S7_S7_, .Lfunc_end63-_ZN9rocsolver6v33100L23getf2_npvt_small_kernelILi32E19rocblas_complex_numIdEiiPKPS3_EEvT1_T3_lS7_lPT2_S7_S7_
                                        ; -- End function
	.section	.AMDGPU.csdata,"",@progbits
; Kernel info:
; codeLenInByte = 65208
; NumSgprs: 18
; NumVgprs: 256
; ScratchSize: 316
; MemoryBound: 1
; FloatMode: 240
; IeeeMode: 1
; LDSByteSize: 0 bytes/workgroup (compile time only)
; SGPRBlocks: 2
; VGPRBlocks: 31
; NumSGPRsForWavesPerEU: 18
; NumVGPRsForWavesPerEU: 256
; Occupancy: 5
; WaveLimiterHint : 1
; COMPUTE_PGM_RSRC2:SCRATCH_EN: 1
; COMPUTE_PGM_RSRC2:USER_SGPR: 14
; COMPUTE_PGM_RSRC2:TRAP_HANDLER: 0
; COMPUTE_PGM_RSRC2:TGID_X_EN: 1
; COMPUTE_PGM_RSRC2:TGID_Y_EN: 1
; COMPUTE_PGM_RSRC2:TGID_Z_EN: 0
; COMPUTE_PGM_RSRC2:TIDIG_COMP_CNT: 1
	.section	.text._ZN9rocsolver6v33100L18getf2_small_kernelILi33E19rocblas_complex_numIdEiiPKPS3_EEvT1_T3_lS7_lPS7_llPT2_S7_S7_S9_l,"axG",@progbits,_ZN9rocsolver6v33100L18getf2_small_kernelILi33E19rocblas_complex_numIdEiiPKPS3_EEvT1_T3_lS7_lPS7_llPT2_S7_S7_S9_l,comdat
	.globl	_ZN9rocsolver6v33100L18getf2_small_kernelILi33E19rocblas_complex_numIdEiiPKPS3_EEvT1_T3_lS7_lPS7_llPT2_S7_S7_S9_l ; -- Begin function _ZN9rocsolver6v33100L18getf2_small_kernelILi33E19rocblas_complex_numIdEiiPKPS3_EEvT1_T3_lS7_lPS7_llPT2_S7_S7_S9_l
	.p2align	8
	.type	_ZN9rocsolver6v33100L18getf2_small_kernelILi33E19rocblas_complex_numIdEiiPKPS3_EEvT1_T3_lS7_lPS7_llPT2_S7_S7_S9_l,@function
_ZN9rocsolver6v33100L18getf2_small_kernelILi33E19rocblas_complex_numIdEiiPKPS3_EEvT1_T3_lS7_lPS7_llPT2_S7_S7_S9_l: ; @_ZN9rocsolver6v33100L18getf2_small_kernelILi33E19rocblas_complex_numIdEiiPKPS3_EEvT1_T3_lS7_lPS7_llPT2_S7_S7_S9_l
; %bb.0:
	s_clause 0x1
	s_load_b32 s2, s[0:1], 0x6c
	s_load_b64 s[12:13], s[0:1], 0x48
	v_bfe_u32 v132, v0, 10, 10
	s_waitcnt lgkmcnt(0)
	s_lshr_b32 s2, s2, 16
	s_delay_alu instid0(VALU_DEP_1) | instid1(SALU_CYCLE_1)
	v_mad_u64_u32 v[2:3], null, s15, s2, v[132:133]
	s_mov_b32 s2, exec_lo
	s_delay_alu instid0(VALU_DEP_1)
	v_mov_b32_e32 v1, v2
	v_cmpx_gt_i32_e64 s12, v2
	s_cbranch_execz .LBB64_696
; %bb.1:
	s_clause 0x1
	s_load_b128 s[4:7], s[0:1], 0x8
	s_load_b128 s[8:11], s[0:1], 0x50
	v_ashrrev_i32_e32 v2, 31, v1
	v_mov_b32_e32 v3, 0
	v_mov_b32_e32 v4, 0
	scratch_store_b64 off, v[1:2], off offset:72 ; 8-byte Folded Spill
	v_lshlrev_b64 v[1:2], 3, v[1:2]
	scratch_store_b64 off, v[3:4], off offset:48 ; 8-byte Folded Spill
	s_waitcnt lgkmcnt(0)
	v_add_co_u32 v1, vcc_lo, s4, v1
	v_add_co_ci_u32_e32 v2, vcc_lo, s5, v2, vcc_lo
	s_cmp_eq_u64 s[8:9], 0
	s_cselect_b32 s4, -1, 0
	global_load_b64 v[1:2], v[1:2], off
	s_and_b32 vcc_lo, exec_lo, s4
	s_cbranch_vccnz .LBB64_3
; %bb.2:
	scratch_load_b64 v[7:8], off, off offset:72 ; 8-byte Folded Reload
	s_waitcnt vmcnt(0)
	v_mul_lo_u32 v5, v8, s10
	v_mul_lo_u32 v6, v7, s11
	v_mad_u64_u32 v[3:4], null, v7, s10, 0
	s_delay_alu instid0(VALU_DEP_1) | instskip(NEXT) | instid1(VALU_DEP_1)
	v_add3_u32 v4, v4, v6, v5
	v_lshlrev_b64 v[3:4], 2, v[3:4]
	s_delay_alu instid0(VALU_DEP_1) | instskip(NEXT) | instid1(VALU_DEP_2)
	v_add_co_u32 v3, vcc_lo, s8, v3
	v_add_co_ci_u32_e32 v4, vcc_lo, s9, v4, vcc_lo
	scratch_store_b64 off, v[3:4], off offset:48 ; 8-byte Folded Spill
.LBB64_3:
	s_clause 0x1
	s_load_b32 s8, s[0:1], 0x18
	s_load_b32 s5, s[0:1], 0x0
	v_and_b32_e32 v173, 0x3ff, v0
	s_lshl_b64 s[2:3], s[6:7], 4
	s_waitcnt vmcnt(0)
	v_add_co_u32 v168, vcc_lo, v1, s2
	s_delay_alu instid0(VALU_DEP_2) | instskip(SKIP_1) | instid1(VALU_DEP_2)
	v_lshlrev_b32_e32 v133, 4, v173
	v_add_co_ci_u32_e32 v169, vcc_lo, s3, v2, vcc_lo
	v_add_co_u32 v2, vcc_lo, v168, v133
	s_delay_alu instid0(VALU_DEP_2)
	v_add_co_ci_u32_e32 v3, vcc_lo, 0, v169, vcc_lo
	s_waitcnt lgkmcnt(0)
	v_add3_u32 v0, s8, s8, v173
	s_ashr_i32 s9, s8, 31
	s_max_i32 s2, s5, 33
	s_lshl_b64 s[10:11], s[8:9], 4
	v_mul_lo_u32 v40, s2, v132
	v_add_nc_u32_e32 v4, s8, v0
	v_ashrrev_i32_e32 v1, 31, v0
	v_add_co_u32 v6, vcc_lo, v2, s10
	v_add_co_ci_u32_e32 v7, vcc_lo, s11, v3, vcc_lo
	s_delay_alu instid0(VALU_DEP_4)
	v_ashrrev_i32_e32 v5, 31, v4
	v_add_nc_u32_e32 v8, s8, v4
	v_lshlrev_b64 v[0:1], 4, v[0:1]
	s_clause 0x1
	global_load_b128 v[52:55], v[2:3], off
	global_load_b128 v[112:115], v[6:7], off
	v_lshl_add_u32 v172, v40, 4, 0
	v_lshlrev_b64 v[2:3], 4, v[4:5]
	v_ashrrev_i32_e32 v9, 31, v8
	v_add_nc_u32_e32 v4, s8, v8
	v_add_co_u32 v0, vcc_lo, v168, v0
	v_add_co_ci_u32_e32 v1, vcc_lo, v169, v1, vcc_lo
	s_delay_alu instid0(VALU_DEP_4) | instskip(NEXT) | instid1(VALU_DEP_4)
	v_lshlrev_b64 v[6:7], 4, v[8:9]
	v_add_nc_u32_e32 v8, s8, v4
	v_ashrrev_i32_e32 v5, 31, v4
	v_add_co_u32 v2, vcc_lo, v168, v2
	v_add_co_ci_u32_e32 v3, vcc_lo, v169, v3, vcc_lo
	s_delay_alu instid0(VALU_DEP_4) | instskip(NEXT) | instid1(VALU_DEP_4)
	v_add_nc_u32_e32 v10, s8, v8
	v_lshlrev_b64 v[4:5], 4, v[4:5]
	v_ashrrev_i32_e32 v9, 31, v8
	s_clause 0x1
	global_load_b128 v[92:95], v[0:1], off
	global_load_b128 v[124:127], v[2:3], off
	v_add_co_u32 v0, vcc_lo, v168, v6
	v_ashrrev_i32_e32 v11, 31, v10
	v_add_nc_u32_e32 v6, s8, v10
	v_add_co_ci_u32_e32 v1, vcc_lo, v169, v7, vcc_lo
	v_lshlrev_b64 v[2:3], 4, v[8:9]
	v_add_co_u32 v4, vcc_lo, v168, v4
	v_add_co_ci_u32_e32 v5, vcc_lo, v169, v5, vcc_lo
	v_lshlrev_b64 v[8:9], 4, v[10:11]
	v_add_nc_u32_e32 v10, s8, v6
	v_ashrrev_i32_e32 v7, 31, v6
	s_clause 0x1
	global_load_b128 v[116:119], v[0:1], off
	global_load_b128 v[247:250], v[4:5], off
	v_add_co_u32 v0, vcc_lo, v168, v2
	v_add_co_ci_u32_e32 v1, vcc_lo, v169, v3, vcc_lo
	v_ashrrev_i32_e32 v11, 31, v10
	v_lshlrev_b64 v[2:3], 4, v[6:7]
	v_add_co_u32 v6, vcc_lo, v168, v8
	v_add_co_ci_u32_e32 v7, vcc_lo, v169, v9, vcc_lo
	s_delay_alu instid0(VALU_DEP_4) | instskip(SKIP_4) | instid1(VALU_DEP_3)
	v_lshlrev_b64 v[8:9], 4, v[10:11]
	global_load_b128 v[11:14], v[0:1], off
	v_add_nc_u32_e32 v4, s8, v10
	v_add_co_u32 v0, vcc_lo, v168, v2
	v_add_co_ci_u32_e32 v1, vcc_lo, v169, v3, vcc_lo
	v_add_nc_u32_e32 v10, s8, v4
	v_ashrrev_i32_e32 v5, 31, v4
	v_add_nc_u32_e32 v41, v172, v133
	v_lshlrev_b32_e32 v170, 4, v40
	s_cmp_lt_i32 s5, 2
	s_delay_alu instid0(VALU_DEP_3) | instskip(SKIP_1) | instid1(VALU_DEP_1)
	v_lshlrev_b64 v[2:3], 4, v[4:5]
	v_add_nc_u32_e32 v4, s8, v10
	v_ashrrev_i32_e32 v5, 31, v4
	s_waitcnt vmcnt(0)
	scratch_store_b128 off, v[11:14], off offset:32 ; 16-byte Folded Spill
	global_load_b128 v[11:14], v[6:7], off
	v_add_co_u32 v6, vcc_lo, v168, v8
	v_add_co_ci_u32_e32 v7, vcc_lo, v169, v9, vcc_lo
	v_add_co_u32 v2, vcc_lo, v168, v2
	v_add_co_ci_u32_e32 v3, vcc_lo, v169, v3, vcc_lo
	s_waitcnt vmcnt(0)
	scratch_store_b128 off, v[11:14], off offset:16 ; 16-byte Folded Spill
	v_ashrrev_i32_e32 v11, 31, v10
	s_delay_alu instid0(VALU_DEP_1) | instskip(SKIP_2) | instid1(VALU_DEP_3)
	v_lshlrev_b64 v[8:9], 4, v[10:11]
	v_add_nc_u32_e32 v10, s8, v4
	v_lshlrev_b64 v[4:5], 4, v[4:5]
	v_add_co_u32 v8, vcc_lo, v168, v8
	s_delay_alu instid0(VALU_DEP_4)
	v_add_co_ci_u32_e32 v9, vcc_lo, v169, v9, vcc_lo
	s_clause 0x3
	global_load_b128 v[251:254], v[0:1], off
	global_load_b128 v[120:123], v[6:7], off
	;; [unrolled: 1-line block ×4, first 2 shown]
	v_add_nc_u32_e32 v12, s8, v10
	v_ashrrev_i32_e32 v11, 31, v10
	v_add_co_u32 v4, vcc_lo, v168, v4
	v_add_co_ci_u32_e32 v5, vcc_lo, v169, v5, vcc_lo
	s_delay_alu instid0(VALU_DEP_4) | instskip(SKIP_2) | instid1(VALU_DEP_3)
	v_add_nc_u32_e32 v14, s8, v12
	v_ashrrev_i32_e32 v13, 31, v12
	v_lshlrev_b64 v[10:11], 4, v[10:11]
	v_add_nc_u32_e32 v16, s8, v14
	v_ashrrev_i32_e32 v15, 31, v14
	s_delay_alu instid0(VALU_DEP_4) | instskip(NEXT) | instid1(VALU_DEP_4)
	v_lshlrev_b64 v[12:13], 4, v[12:13]
	v_add_co_u32 v10, vcc_lo, v168, v10
	s_delay_alu instid0(VALU_DEP_4) | instskip(SKIP_3) | instid1(VALU_DEP_4)
	v_add_nc_u32_e32 v18, s8, v16
	v_ashrrev_i32_e32 v17, 31, v16
	v_lshlrev_b64 v[14:15], 4, v[14:15]
	v_add_co_ci_u32_e32 v11, vcc_lo, v169, v11, vcc_lo
	v_add_nc_u32_e32 v20, s8, v18
	v_ashrrev_i32_e32 v19, 31, v18
	v_add_co_u32 v12, vcc_lo, v168, v12
	v_lshlrev_b64 v[16:17], 4, v[16:17]
	s_delay_alu instid0(VALU_DEP_4) | instskip(SKIP_3) | instid1(VALU_DEP_4)
	v_add_nc_u32_e32 v22, s8, v20
	v_ashrrev_i32_e32 v21, 31, v20
	v_add_co_ci_u32_e32 v13, vcc_lo, v169, v13, vcc_lo
	v_add_co_u32 v14, vcc_lo, v168, v14
	v_add_nc_u32_e32 v24, s8, v22
	v_lshlrev_b64 v[18:19], 4, v[18:19]
	v_ashrrev_i32_e32 v23, 31, v22
	v_add_co_ci_u32_e32 v15, vcc_lo, v169, v15, vcc_lo
	s_delay_alu instid0(VALU_DEP_4) | instskip(SKIP_3) | instid1(VALU_DEP_4)
	v_add_nc_u32_e32 v26, s8, v24
	v_add_co_u32 v16, vcc_lo, v168, v16
	v_lshlrev_b64 v[20:21], 4, v[20:21]
	v_ashrrev_i32_e32 v25, 31, v24
	v_add_nc_u32_e32 v28, s8, v26
	v_add_co_ci_u32_e32 v17, vcc_lo, v169, v17, vcc_lo
	v_add_co_u32 v18, vcc_lo, v168, v18
	s_delay_alu instid0(VALU_DEP_3) | instskip(SKIP_3) | instid1(VALU_DEP_4)
	v_add_nc_u32_e32 v30, s8, v28
	v_lshlrev_b64 v[22:23], 4, v[22:23]
	v_ashrrev_i32_e32 v27, 31, v26
	v_add_co_ci_u32_e32 v19, vcc_lo, v169, v19, vcc_lo
	v_add_nc_u32_e32 v32, s8, v30
	v_add_co_u32 v20, vcc_lo, v168, v20
	v_lshlrev_b64 v[24:25], 4, v[24:25]
	v_ashrrev_i32_e32 v29, 31, v28
	v_add_co_ci_u32_e32 v21, vcc_lo, v169, v21, vcc_lo
	v_add_co_u32 v22, vcc_lo, v168, v22
	v_lshlrev_b64 v[26:27], 4, v[26:27]
	v_add_nc_u32_e32 v34, s8, v32
	v_ashrrev_i32_e32 v31, 31, v30
	v_add_co_ci_u32_e32 v23, vcc_lo, v169, v23, vcc_lo
	v_add_co_u32 v24, vcc_lo, v168, v24
	v_lshlrev_b64 v[28:29], 4, v[28:29]
	v_ashrrev_i32_e32 v33, 31, v32
	v_add_co_ci_u32_e32 v25, vcc_lo, v169, v25, vcc_lo
	v_add_nc_u32_e32 v36, s8, v34
	v_add_co_u32 v26, vcc_lo, v168, v26
	v_lshlrev_b64 v[30:31], 4, v[30:31]
	v_ashrrev_i32_e32 v35, 31, v34
	v_add_co_ci_u32_e32 v27, vcc_lo, v169, v27, vcc_lo
	v_add_co_u32 v28, vcc_lo, v168, v28
	v_lshlrev_b64 v[32:33], 4, v[32:33]
	v_add_nc_u32_e32 v38, s8, v36
	v_add_co_ci_u32_e32 v29, vcc_lo, v169, v29, vcc_lo
	v_add_co_u32 v30, vcc_lo, v168, v30
	v_lshlrev_b64 v[34:35], 4, v[34:35]
	v_ashrrev_i32_e32 v37, 31, v36
	v_add_co_ci_u32_e32 v31, vcc_lo, v169, v31, vcc_lo
	v_add_co_u32 v32, vcc_lo, v168, v32
	v_ashrrev_i32_e32 v39, 31, v38
	v_add_nc_u32_e32 v44, s8, v38
	v_add_co_ci_u32_e32 v33, vcc_lo, v169, v33, vcc_lo
	v_lshlrev_b64 v[36:37], 4, v[36:37]
	v_add_co_u32 v134, vcc_lo, v168, v34
	v_add_co_ci_u32_e32 v135, vcc_lo, v169, v35, vcc_lo
	v_lshlrev_b64 v[34:35], 4, v[38:39]
	v_ashrrev_i32_e32 v45, 31, v44
	v_add_nc_u32_e32 v38, s8, v44
	v_add_co_u32 v140, vcc_lo, v168, v36
	v_add_co_ci_u32_e32 v141, vcc_lo, v169, v37, vcc_lo
	s_delay_alu instid0(VALU_DEP_4) | instskip(NEXT) | instid1(VALU_DEP_4)
	v_lshlrev_b64 v[36:37], 4, v[44:45]
	v_ashrrev_i32_e32 v39, 31, v38
	v_add_nc_u32_e32 v44, s8, v38
	v_add_co_u32 v142, vcc_lo, v168, v34
	v_add_co_ci_u32_e32 v143, vcc_lo, v169, v35, vcc_lo
	s_delay_alu instid0(VALU_DEP_4) | instskip(NEXT) | instid1(VALU_DEP_4)
	;; [unrolled: 6-line block ×3, first 2 shown]
	v_lshlrev_b64 v[36:37], 4, v[44:45]
	v_add_nc_u32_e32 v44, s8, v38
	v_ashrrev_i32_e32 v39, 31, v38
	v_add_co_u32 v146, vcc_lo, v168, v34
	v_add_co_ci_u32_e32 v147, vcc_lo, v169, v35, vcc_lo
	s_delay_alu instid0(VALU_DEP_4) | instskip(NEXT) | instid1(VALU_DEP_4)
	v_ashrrev_i32_e32 v45, 31, v44
	v_lshlrev_b64 v[34:35], 4, v[38:39]
	v_add_co_u32 v148, vcc_lo, v168, v36
	v_add_co_ci_u32_e32 v149, vcc_lo, v169, v37, vcc_lo
	s_delay_alu instid0(VALU_DEP_4) | instskip(NEXT) | instid1(VALU_DEP_4)
	v_lshlrev_b64 v[36:37], 4, v[44:45]
	v_add_co_u32 v150, vcc_lo, v168, v34
	v_add_co_ci_u32_e32 v151, vcc_lo, v169, v35, vcc_lo
	s_delay_alu instid0(VALU_DEP_3) | instskip(NEXT) | instid1(VALU_DEP_4)
	v_add_co_u32 v152, vcc_lo, v168, v36
	v_add_co_ci_u32_e32 v153, vcc_lo, v169, v37, vcc_lo
	s_waitcnt vmcnt(0)
	scratch_store_b128 off, v[0:3], off     ; 16-byte Folded Spill
	s_clause 0x14
	global_load_b128 v[96:99], v[4:5], off
	global_load_b128 v[84:87], v[10:11], off
	;; [unrolled: 1-line block ×21, first 2 shown]
	v_mov_b32_e32 v140, 0
	scratch_store_b128 off, v[52:55], off offset:56 ; 16-byte Folded Spill
	ds_store_2addr_b64 v41, v[52:53], v[54:55] offset1:1
	s_waitcnt vmcnt(0) lgkmcnt(0)
	s_waitcnt_vscnt null, 0x0
	s_barrier
	buffer_gl0_inv
	ds_load_2addr_b64 v[132:135], v172 offset1:1
	s_cbranch_scc1 .LBB64_6
; %bb.4:
	v_add3_u32 v141, v170, 0, 16
	v_mov_b32_e32 v140, 0
	s_mov_b32 s6, 1
	s_set_inst_prefetch_distance 0x1
	.p2align	6
.LBB64_5:                               ; =>This Inner Loop Header: Depth=1
	ds_load_2addr_b64 v[142:145], v141 offset1:1
	s_waitcnt lgkmcnt(1)
	v_cmp_gt_f64_e32 vcc_lo, 0, v[132:133]
	v_xor_b32_e32 v40, 0x80000000, v133
	v_cmp_gt_f64_e64 s2, 0, v[134:135]
	v_xor_b32_e32 v41, 0x80000000, v135
	v_add_nc_u32_e32 v141, 16, v141
	s_waitcnt lgkmcnt(0)
	v_cmp_gt_f64_e64 s3, 0, v[142:143]
	v_mov_b32_e32 v150, v142
	v_dual_mov_b32 v152, v144 :: v_dual_cndmask_b32 v147, v133, v40
	v_xor_b32_e32 v40, 0x80000000, v143
	v_cndmask_b32_e64 v149, v135, v41, s2
	v_xor_b32_e32 v41, 0x80000000, v145
	v_cndmask_b32_e32 v146, v132, v132, vcc_lo
	v_cndmask_b32_e64 v148, v134, v134, s2
	s_delay_alu instid0(VALU_DEP_1) | instskip(SKIP_2) | instid1(VALU_DEP_1)
	v_add_f64 v[146:147], v[146:147], v[148:149]
	v_cndmask_b32_e64 v151, v143, v40, s3
	v_cmp_gt_f64_e64 s3, 0, v[144:145]
	v_cndmask_b32_e64 v153, v145, v41, s3
	s_delay_alu instid0(VALU_DEP_1) | instskip(NEXT) | instid1(VALU_DEP_1)
	v_add_f64 v[150:151], v[150:151], v[152:153]
	v_cmp_lt_f64_e32 vcc_lo, v[146:147], v[150:151]
	v_cndmask_b32_e32 v135, v135, v145, vcc_lo
	v_dual_cndmask_b32 v133, v133, v143 :: v_dual_cndmask_b32 v132, v132, v142
	v_cndmask_b32_e32 v134, v134, v144, vcc_lo
	v_cndmask_b32_e64 v140, v140, s6, vcc_lo
	s_add_i32 s6, s6, 1
	s_delay_alu instid0(SALU_CYCLE_1)
	s_cmp_eq_u32 s5, s6
	s_cbranch_scc0 .LBB64_5
.LBB64_6:
	s_set_inst_prefetch_distance 0x2
	s_waitcnt lgkmcnt(0)
	v_cmp_neq_f64_e32 vcc_lo, 0, v[132:133]
	v_cmp_neq_f64_e64 s2, 0, v[134:135]
	v_dual_mov_b32 v4, v179 :: v_dual_mov_b32 v5, v180
	v_dual_mov_b32 v6, v181 :: v_dual_mov_b32 v7, v182
	;; [unrolled: 1-line block ×3, first 2 shown]
	s_delay_alu instid0(VALU_DEP_4) | instskip(NEXT) | instid1(SALU_CYCLE_1)
	s_or_b32 s2, vcc_lo, s2
	s_and_saveexec_b32 s3, s2
	s_cbranch_execz .LBB64_12
; %bb.7:
	v_cmp_gt_f64_e32 vcc_lo, 0, v[132:133]
	v_cmp_gt_f64_e64 s2, 0, v[134:135]
	v_xor_b32_e32 v40, 0x80000000, v133
	v_xor_b32_e32 v41, 0x80000000, v135
                                        ; implicit-def: $sgpr6
                                        ; implicit-def: $sgpr7
	s_delay_alu instid0(VALU_DEP_2) | instskip(NEXT) | instid1(VALU_DEP_2)
	v_cndmask_b32_e32 v142, v133, v40, vcc_lo
	v_cndmask_b32_e64 v144, v135, v41, s2
	v_cndmask_b32_e32 v141, v132, v132, vcc_lo
	v_cndmask_b32_e64 v143, v134, v134, s2
	s_mov_b32 s2, exec_lo
	s_delay_alu instid0(VALU_DEP_1)
	v_cmpx_ngt_f64_e32 v[141:142], v[143:144]
	s_xor_b32 s2, exec_lo, s2
	s_cbranch_execz .LBB64_9
; %bb.8:
	v_div_scale_f64 v[141:142], null, v[134:135], v[134:135], v[132:133]
	v_div_scale_f64 v[147:148], vcc_lo, v[132:133], v[134:135], v[132:133]
	s_mov_b32 s7, 2
	s_mov_b32 s6, 0
	s_delay_alu instid0(VALU_DEP_2) | instskip(SKIP_2) | instid1(VALU_DEP_1)
	v_rcp_f64_e32 v[143:144], v[141:142]
	s_waitcnt_depctr 0xfff
	v_fma_f64 v[145:146], -v[141:142], v[143:144], 1.0
	v_fma_f64 v[143:144], v[143:144], v[145:146], v[143:144]
	s_delay_alu instid0(VALU_DEP_1) | instskip(NEXT) | instid1(VALU_DEP_1)
	v_fma_f64 v[145:146], -v[141:142], v[143:144], 1.0
	v_fma_f64 v[143:144], v[143:144], v[145:146], v[143:144]
	s_delay_alu instid0(VALU_DEP_1) | instskip(NEXT) | instid1(VALU_DEP_1)
	v_mul_f64 v[145:146], v[147:148], v[143:144]
	v_fma_f64 v[141:142], -v[141:142], v[145:146], v[147:148]
	s_delay_alu instid0(VALU_DEP_1) | instskip(NEXT) | instid1(VALU_DEP_1)
	v_div_fmas_f64 v[141:142], v[141:142], v[143:144], v[145:146]
	v_div_fixup_f64 v[141:142], v[141:142], v[134:135], v[132:133]
	s_delay_alu instid0(VALU_DEP_1) | instskip(NEXT) | instid1(VALU_DEP_1)
	v_fma_f64 v[132:133], v[132:133], v[141:142], v[134:135]
	v_div_scale_f64 v[134:135], null, v[132:133], v[132:133], 1.0
	s_delay_alu instid0(VALU_DEP_1) | instskip(SKIP_2) | instid1(VALU_DEP_1)
	v_rcp_f64_e32 v[143:144], v[134:135]
	s_waitcnt_depctr 0xfff
	v_fma_f64 v[145:146], -v[134:135], v[143:144], 1.0
	v_fma_f64 v[143:144], v[143:144], v[145:146], v[143:144]
	s_delay_alu instid0(VALU_DEP_1) | instskip(NEXT) | instid1(VALU_DEP_1)
	v_fma_f64 v[145:146], -v[134:135], v[143:144], 1.0
	v_fma_f64 v[143:144], v[143:144], v[145:146], v[143:144]
	v_div_scale_f64 v[145:146], vcc_lo, 1.0, v[132:133], 1.0
	s_delay_alu instid0(VALU_DEP_1) | instskip(NEXT) | instid1(VALU_DEP_1)
	v_mul_f64 v[147:148], v[145:146], v[143:144]
	v_fma_f64 v[134:135], -v[134:135], v[147:148], v[145:146]
	s_delay_alu instid0(VALU_DEP_1) | instskip(NEXT) | instid1(VALU_DEP_1)
	v_div_fmas_f64 v[134:135], v[134:135], v[143:144], v[147:148]
	v_div_fixup_f64 v[134:135], v[134:135], v[132:133], 1.0
	s_delay_alu instid0(VALU_DEP_1)
	v_mul_f64 v[132:133], v[141:142], v[134:135]
	v_xor_b32_e32 v135, 0x80000000, v135
.LBB64_9:
	s_or_saveexec_b32 s2, s2
	v_dual_mov_b32 v160, s6 :: v_dual_mov_b32 v255, s7
	s_xor_b32 exec_lo, exec_lo, s2
	s_cbranch_execz .LBB64_11
; %bb.10:
	s_delay_alu instid0(VALU_DEP_3) | instskip(SKIP_2) | instid1(VALU_DEP_3)
	v_div_scale_f64 v[141:142], null, v[132:133], v[132:133], v[134:135]
	v_div_scale_f64 v[147:148], vcc_lo, v[134:135], v[132:133], v[134:135]
	v_dual_mov_b32 v160, 0 :: v_dual_mov_b32 v255, 2
	v_rcp_f64_e32 v[143:144], v[141:142]
	s_waitcnt_depctr 0xfff
	v_fma_f64 v[145:146], -v[141:142], v[143:144], 1.0
	s_delay_alu instid0(VALU_DEP_1) | instskip(NEXT) | instid1(VALU_DEP_1)
	v_fma_f64 v[143:144], v[143:144], v[145:146], v[143:144]
	v_fma_f64 v[145:146], -v[141:142], v[143:144], 1.0
	s_delay_alu instid0(VALU_DEP_1) | instskip(NEXT) | instid1(VALU_DEP_1)
	v_fma_f64 v[143:144], v[143:144], v[145:146], v[143:144]
	v_mul_f64 v[145:146], v[147:148], v[143:144]
	s_delay_alu instid0(VALU_DEP_1) | instskip(NEXT) | instid1(VALU_DEP_1)
	v_fma_f64 v[141:142], -v[141:142], v[145:146], v[147:148]
	v_div_fmas_f64 v[141:142], v[141:142], v[143:144], v[145:146]
	s_delay_alu instid0(VALU_DEP_1) | instskip(NEXT) | instid1(VALU_DEP_1)
	v_div_fixup_f64 v[141:142], v[141:142], v[132:133], v[134:135]
	v_fma_f64 v[132:133], v[134:135], v[141:142], v[132:133]
	s_delay_alu instid0(VALU_DEP_1) | instskip(NEXT) | instid1(VALU_DEP_1)
	v_div_scale_f64 v[134:135], null, v[132:133], v[132:133], 1.0
	v_rcp_f64_e32 v[143:144], v[134:135]
	s_waitcnt_depctr 0xfff
	v_fma_f64 v[145:146], -v[134:135], v[143:144], 1.0
	s_delay_alu instid0(VALU_DEP_1) | instskip(NEXT) | instid1(VALU_DEP_1)
	v_fma_f64 v[143:144], v[143:144], v[145:146], v[143:144]
	v_fma_f64 v[145:146], -v[134:135], v[143:144], 1.0
	s_delay_alu instid0(VALU_DEP_1) | instskip(SKIP_1) | instid1(VALU_DEP_1)
	v_fma_f64 v[143:144], v[143:144], v[145:146], v[143:144]
	v_div_scale_f64 v[145:146], vcc_lo, 1.0, v[132:133], 1.0
	v_mul_f64 v[147:148], v[145:146], v[143:144]
	s_delay_alu instid0(VALU_DEP_1) | instskip(NEXT) | instid1(VALU_DEP_1)
	v_fma_f64 v[134:135], -v[134:135], v[147:148], v[145:146]
	v_div_fmas_f64 v[134:135], v[134:135], v[143:144], v[147:148]
	s_delay_alu instid0(VALU_DEP_1) | instskip(NEXT) | instid1(VALU_DEP_1)
	v_div_fixup_f64 v[132:133], v[134:135], v[132:133], 1.0
	v_mul_f64 v[134:135], v[141:142], -v[132:133]
.LBB64_11:
	s_or_b32 exec_lo, exec_lo, s2
.LBB64_12:
	s_delay_alu instid0(SALU_CYCLE_1) | instskip(NEXT) | instid1(SALU_CYCLE_1)
	s_or_b32 exec_lo, exec_lo, s3
	s_mov_b32 s2, exec_lo
	v_cmpx_ne_u32_e64 v173, v140
	s_xor_b32 s2, exec_lo, s2
	s_cbranch_execz .LBB64_18
; %bb.13:
	s_mov_b32 s3, exec_lo
	v_cmpx_eq_u32_e32 0, v173
	s_cbranch_execz .LBB64_17
; %bb.14:
	v_cmp_ne_u32_e32 vcc_lo, 0, v140
	s_xor_b32 s6, s4, -1
	s_delay_alu instid0(SALU_CYCLE_1) | instskip(NEXT) | instid1(SALU_CYCLE_1)
	s_and_b32 s7, s6, vcc_lo
	s_and_saveexec_b32 s6, s7
	s_cbranch_execz .LBB64_16
; %bb.15:
	scratch_load_b64 v[0:1], off, off offset:48 ; 8-byte Folded Reload
	v_ashrrev_i32_e32 v141, 31, v140
	s_delay_alu instid0(VALU_DEP_1) | instskip(SKIP_1) | instid1(VALU_DEP_1)
	v_lshlrev_b64 v[141:142], 2, v[140:141]
	s_waitcnt vmcnt(0)
	v_add_co_u32 v141, vcc_lo, v0, v141
	s_delay_alu instid0(VALU_DEP_2)
	v_add_co_ci_u32_e32 v142, vcc_lo, v1, v142, vcc_lo
	s_clause 0x1
	flat_load_b32 v40, v[141:142]
	flat_load_b32 v41, v[0:1]
	s_waitcnt vmcnt(1) lgkmcnt(1)
	flat_store_b32 v[0:1], v40
	s_waitcnt vmcnt(0) lgkmcnt(1)
	flat_store_b32 v[141:142], v41
.LBB64_16:
	s_or_b32 exec_lo, exec_lo, s6
	v_mov_b32_e32 v173, v140
.LBB64_17:
	s_or_b32 exec_lo, exec_lo, s3
.LBB64_18:
	s_or_saveexec_b32 s2, s2
	s_delay_alu instid0(VALU_DEP_1)
	v_mov_b32_e32 v174, v173
	s_xor_b32 exec_lo, exec_lo, s2
	s_cbranch_execz .LBB64_20
; %bb.19:
	ds_store_2addr_b64 v172, v[112:113], v[114:115] offset0:2 offset1:3
	ds_store_2addr_b64 v172, v[92:93], v[94:95] offset0:4 offset1:5
	;; [unrolled: 1-line block ×5, first 2 shown]
	scratch_load_b128 v[0:3], off, off offset:32 ; 16-byte Folded Reload
	v_mov_b32_e32 v174, 0
	s_waitcnt vmcnt(0)
	ds_store_2addr_b64 v172, v[0:1], v[2:3] offset0:12 offset1:13
	scratch_load_b128 v[0:3], off, off offset:16 ; 16-byte Folded Reload
	s_waitcnt vmcnt(0)
	ds_store_2addr_b64 v172, v[0:1], v[2:3] offset0:14 offset1:15
	ds_store_2addr_b64 v172, v[251:252], v[253:254] offset0:16 offset1:17
	;; [unrolled: 1-line block ×4, first 2 shown]
	scratch_load_b128 v[0:3], off, off      ; 16-byte Folded Reload
	s_waitcnt vmcnt(0)
	ds_store_2addr_b64 v172, v[0:1], v[2:3] offset0:22 offset1:23
	ds_store_2addr_b64 v172, v[96:97], v[98:99] offset0:24 offset1:25
	;; [unrolled: 1-line block ×22, first 2 shown]
.LBB64_20:
	s_or_b32 exec_lo, exec_lo, s2
	s_delay_alu instid0(SALU_CYCLE_1)
	s_mov_b32 s2, exec_lo
	s_waitcnt lgkmcnt(0)
	s_waitcnt_vscnt null, 0x0
	s_barrier
	buffer_gl0_inv
	v_cmpx_lt_i32_e32 0, v174
	s_cbranch_execz .LBB64_22
; %bb.21:
	scratch_load_b128 v[108:111], off, off offset:56 ; 16-byte Folded Reload
	v_dual_mov_b32 v4, v8 :: v_dual_mov_b32 v5, v9
	v_dual_mov_b32 v6, v10 :: v_dual_mov_b32 v7, v11
	;; [unrolled: 1-line block ×44, first 2 shown]
	s_waitcnt vmcnt(0)
	v_mul_f64 v[54:55], v[132:133], v[110:111]
	v_mul_f64 v[140:141], v[134:135], v[110:111]
	s_delay_alu instid0(VALU_DEP_2) | instskip(NEXT) | instid1(VALU_DEP_2)
	v_fma_f64 v[110:111], v[134:135], v[108:109], v[54:55]
	v_fma_f64 v[140:141], v[132:133], v[108:109], -v[140:141]
	ds_load_2addr_b64 v[132:135], v172 offset0:2 offset1:3
	ds_load_2addr_b64 v[142:145], v172 offset0:4 offset1:5
	s_waitcnt lgkmcnt(1)
	v_mul_f64 v[52:53], v[134:135], v[110:111]
	s_delay_alu instid0(VALU_DEP_1)
	v_fma_f64 v[0:1], v[132:133], v[140:141], -v[52:53]
	v_mul_f64 v[132:133], v[132:133], v[110:111]
	scratch_store_b64 off, v[0:1], off offset:56 ; 8-byte Folded Spill
	v_fma_f64 v[0:1], v[134:135], v[140:141], v[132:133]
	s_waitcnt lgkmcnt(0)
	v_mul_f64 v[134:135], v[144:145], v[110:111]
	scratch_store_b64 off, v[0:1], off offset:80 ; 8-byte Folded Spill
	v_fma_f64 v[0:1], v[142:143], v[140:141], -v[134:135]
	v_mul_f64 v[142:143], v[142:143], v[110:111]
	scratch_store_b64 off, v[0:1], off offset:88 ; 8-byte Folded Spill
	v_fma_f64 v[0:1], v[144:145], v[140:141], v[142:143]
	scratch_store_b64 off, v[0:1], off offset:96 ; 8-byte Folded Spill
	ds_load_2addr_b64 v[146:149], v172 offset0:6 offset1:7
	ds_load_2addr_b64 v[150:153], v172 offset0:8 offset1:9
	s_waitcnt lgkmcnt(1)
	v_mul_f64 v[144:145], v[148:149], v[110:111]
	s_delay_alu instid0(VALU_DEP_1)
	v_fma_f64 v[0:1], v[146:147], v[140:141], -v[144:145]
	v_mul_f64 v[146:147], v[146:147], v[110:111]
	scratch_store_b64 off, v[0:1], off offset:104 ; 8-byte Folded Spill
	v_fma_f64 v[0:1], v[148:149], v[140:141], v[146:147]
	s_waitcnt lgkmcnt(0)
	v_mul_f64 v[148:149], v[152:153], v[110:111]
	scratch_store_b64 off, v[0:1], off offset:112 ; 8-byte Folded Spill
	v_fma_f64 v[0:1], v[150:151], v[140:141], -v[148:149]
	v_mul_f64 v[150:151], v[150:151], v[110:111]
	scratch_store_b64 off, v[0:1], off offset:120 ; 8-byte Folded Spill
	ds_load_2addr_b64 v[154:157], v172 offset0:10 offset1:11
	ds_load_2addr_b64 v[161:164], v172 offset0:12 offset1:13
	v_fma_f64 v[150:151], v[152:153], v[140:141], v[150:151]
	s_waitcnt lgkmcnt(1)
	v_mul_f64 v[152:153], v[156:157], v[110:111]
	s_waitcnt lgkmcnt(0)
	v_mul_f64 v[158:159], v[161:162], v[110:111]
	s_delay_alu instid0(VALU_DEP_3) | instskip(NEXT) | instid1(VALU_DEP_3)
	v_add_f64 v[122:123], v[122:123], -v[150:151]
	v_fma_f64 v[152:153], v[154:155], v[140:141], -v[152:153]
	v_mul_f64 v[154:155], v[154:155], v[110:111]
	s_delay_alu instid0(VALU_DEP_4) | instskip(NEXT) | instid1(VALU_DEP_3)
	v_fma_f64 v[158:159], v[163:164], v[140:141], v[158:159]
	v_add_f64 v[116:117], v[116:117], -v[152:153]
	s_delay_alu instid0(VALU_DEP_3) | instskip(SKIP_1) | instid1(VALU_DEP_2)
	v_fma_f64 v[154:155], v[156:157], v[140:141], v[154:155]
	v_mul_f64 v[156:157], v[163:164], v[110:111]
	v_add_f64 v[118:119], v[118:119], -v[154:155]
	s_delay_alu instid0(VALU_DEP_2)
	v_fma_f64 v[156:157], v[161:162], v[140:141], -v[156:157]
	ds_load_2addr_b64 v[161:164], v172 offset0:14 offset1:15
	ds_load_2addr_b64 v[175:178], v172 offset0:16 offset1:17
	v_mov_b32_e32 v167, v170
	s_waitcnt lgkmcnt(1)
	v_mul_f64 v[165:166], v[163:164], v[110:111]
	s_delay_alu instid0(VALU_DEP_1) | instskip(SKIP_1) | instid1(VALU_DEP_1)
	v_fma_f64 v[165:166], v[161:162], v[140:141], -v[165:166]
	v_mul_f64 v[161:162], v[161:162], v[110:111]
	v_fma_f64 v[146:147], v[163:164], v[140:141], v[161:162]
	s_waitcnt lgkmcnt(0)
	v_mul_f64 v[161:162], v[177:178], v[110:111]
	s_delay_alu instid0(VALU_DEP_1) | instskip(SKIP_1) | instid1(VALU_DEP_2)
	v_fma_f64 v[148:149], v[175:176], v[140:141], -v[161:162]
	v_mul_f64 v[161:162], v[175:176], v[110:111]
	v_add_f64 v[251:252], v[251:252], -v[148:149]
	s_delay_alu instid0(VALU_DEP_2)
	v_fma_f64 v[183:184], v[177:178], v[140:141], v[161:162]
	ds_load_2addr_b64 v[161:164], v172 offset0:18 offset1:19
	ds_load_2addr_b64 v[175:178], v172 offset0:20 offset1:21
	s_waitcnt lgkmcnt(1)
	v_mul_f64 v[185:186], v[163:164], v[110:111]
	v_add_f64 v[253:254], v[253:254], -v[183:184]
	s_delay_alu instid0(VALU_DEP_2) | instskip(SKIP_1) | instid1(VALU_DEP_2)
	v_fma_f64 v[185:186], v[161:162], v[140:141], -v[185:186]
	v_mul_f64 v[161:162], v[161:162], v[110:111]
	v_add_f64 v[100:101], v[100:101], -v[185:186]
	s_delay_alu instid0(VALU_DEP_2) | instskip(SKIP_2) | instid1(VALU_DEP_2)
	v_fma_f64 v[187:188], v[163:164], v[140:141], v[161:162]
	s_waitcnt lgkmcnt(0)
	v_mul_f64 v[161:162], v[177:178], v[110:111]
	v_add_f64 v[102:103], v[102:103], -v[187:188]
	s_delay_alu instid0(VALU_DEP_2) | instskip(SKIP_1) | instid1(VALU_DEP_2)
	v_fma_f64 v[189:190], v[175:176], v[140:141], -v[161:162]
	v_mul_f64 v[161:162], v[175:176], v[110:111]
	v_add_f64 v[179:180], v[179:180], -v[189:190]
	s_delay_alu instid0(VALU_DEP_2)
	v_fma_f64 v[191:192], v[177:178], v[140:141], v[161:162]
	ds_load_2addr_b64 v[161:164], v172 offset0:22 offset1:23
	ds_load_2addr_b64 v[175:178], v172 offset0:24 offset1:25
	s_waitcnt lgkmcnt(1)
	v_mul_f64 v[193:194], v[163:164], v[110:111]
	v_add_f64 v[181:182], v[181:182], -v[191:192]
	s_delay_alu instid0(VALU_DEP_2) | instskip(SKIP_1) | instid1(VALU_DEP_1)
	v_fma_f64 v[193:194], v[161:162], v[140:141], -v[193:194]
	v_mul_f64 v[161:162], v[161:162], v[110:111]
	v_fma_f64 v[195:196], v[163:164], v[140:141], v[161:162]
	s_waitcnt lgkmcnt(0)
	v_mul_f64 v[161:162], v[177:178], v[110:111]
	s_delay_alu instid0(VALU_DEP_1) | instskip(SKIP_1) | instid1(VALU_DEP_2)
	v_fma_f64 v[197:198], v[175:176], v[140:141], -v[161:162]
	v_mul_f64 v[161:162], v[175:176], v[110:111]
	v_add_f64 v[84:85], v[84:85], -v[197:198]
	s_delay_alu instid0(VALU_DEP_2)
	v_fma_f64 v[199:200], v[177:178], v[140:141], v[161:162]
	ds_load_2addr_b64 v[161:164], v172 offset0:26 offset1:27
	ds_load_2addr_b64 v[175:178], v172 offset0:28 offset1:29
	s_waitcnt lgkmcnt(1)
	v_mul_f64 v[201:202], v[163:164], v[110:111]
	v_add_f64 v[86:87], v[86:87], -v[199:200]
	s_delay_alu instid0(VALU_DEP_2) | instskip(SKIP_1) | instid1(VALU_DEP_2)
	v_fma_f64 v[201:202], v[161:162], v[140:141], -v[201:202]
	v_mul_f64 v[161:162], v[161:162], v[110:111]
	v_add_f64 v[80:81], v[80:81], -v[201:202]
	s_delay_alu instid0(VALU_DEP_2) | instskip(SKIP_2) | instid1(VALU_DEP_2)
	v_fma_f64 v[203:204], v[163:164], v[140:141], v[161:162]
	s_waitcnt lgkmcnt(0)
	v_mul_f64 v[161:162], v[177:178], v[110:111]
	v_add_f64 v[82:83], v[82:83], -v[203:204]
	s_delay_alu instid0(VALU_DEP_2) | instskip(SKIP_1) | instid1(VALU_DEP_2)
	v_fma_f64 v[205:206], v[175:176], v[140:141], -v[161:162]
	v_mul_f64 v[161:162], v[175:176], v[110:111]
	v_add_f64 v[76:77], v[76:77], -v[205:206]
	s_delay_alu instid0(VALU_DEP_2)
	v_fma_f64 v[207:208], v[177:178], v[140:141], v[161:162]
	ds_load_2addr_b64 v[161:164], v172 offset0:30 offset1:31
	ds_load_2addr_b64 v[175:178], v172 offset0:32 offset1:33
	s_waitcnt lgkmcnt(1)
	v_mul_f64 v[209:210], v[163:164], v[110:111]
	v_add_f64 v[78:79], v[78:79], -v[207:208]
	s_delay_alu instid0(VALU_DEP_2) | instskip(SKIP_1) | instid1(VALU_DEP_2)
	v_fma_f64 v[209:210], v[161:162], v[140:141], -v[209:210]
	v_mul_f64 v[161:162], v[161:162], v[110:111]
	v_add_f64 v[72:73], v[72:73], -v[209:210]
	s_delay_alu instid0(VALU_DEP_2) | instskip(SKIP_2) | instid1(VALU_DEP_2)
	v_fma_f64 v[211:212], v[163:164], v[140:141], v[161:162]
	s_waitcnt lgkmcnt(0)
	v_mul_f64 v[161:162], v[177:178], v[110:111]
	v_add_f64 v[74:75], v[74:75], -v[211:212]
	s_delay_alu instid0(VALU_DEP_2) | instskip(SKIP_1) | instid1(VALU_DEP_2)
	;; [unrolled: 20-line block ×5, first 2 shown]
	v_fma_f64 v[142:143], v[175:176], v[140:141], -v[161:162]
	v_mul_f64 v[161:162], v[175:176], v[110:111]
	v_add_f64 v[36:37], v[36:37], -v[142:143]
	s_delay_alu instid0(VALU_DEP_2)
	v_fma_f64 v[144:145], v[177:178], v[140:141], v[161:162]
	ds_load_2addr_b64 v[161:164], v172 offset0:46 offset1:47
	ds_load_2addr_b64 v[175:178], v172 offset0:48 offset1:49
	scratch_load_b128 v[96:99], off, off    ; 16-byte Folded Reload
	s_waitcnt lgkmcnt(1)
	v_mul_f64 v[241:242], v[163:164], v[110:111]
	v_add_f64 v[38:39], v[38:39], -v[144:145]
	s_delay_alu instid0(VALU_DEP_2) | instskip(SKIP_1) | instid1(VALU_DEP_2)
	v_fma_f64 v[241:242], v[161:162], v[140:141], -v[241:242]
	v_mul_f64 v[161:162], v[161:162], v[110:111]
	v_add_f64 v[32:33], v[32:33], -v[241:242]
	s_delay_alu instid0(VALU_DEP_2) | instskip(SKIP_2) | instid1(VALU_DEP_2)
	v_fma_f64 v[132:133], v[163:164], v[140:141], v[161:162]
	s_waitcnt lgkmcnt(0)
	v_mul_f64 v[161:162], v[177:178], v[110:111]
	v_add_f64 v[34:35], v[34:35], -v[132:133]
	s_delay_alu instid0(VALU_DEP_2) | instskip(SKIP_1) | instid1(VALU_DEP_2)
	v_fma_f64 v[134:135], v[175:176], v[140:141], -v[161:162]
	v_mul_f64 v[161:162], v[175:176], v[110:111]
	v_add_f64 v[28:29], v[28:29], -v[134:135]
	s_delay_alu instid0(VALU_DEP_2)
	v_fma_f64 v[247:248], v[177:178], v[140:141], v[161:162]
	ds_load_2addr_b64 v[161:164], v172 offset0:50 offset1:51
	ds_load_2addr_b64 v[175:178], v172 offset0:52 offset1:53
	s_clause 0x1
	scratch_load_b128 v[0:3], off, off offset:32
	scratch_load_b128 v[88:91], off, off offset:16
	s_waitcnt lgkmcnt(1)
	v_mul_f64 v[249:250], v[163:164], v[110:111]
	v_add_f64 v[30:31], v[30:31], -v[247:248]
	s_delay_alu instid0(VALU_DEP_2) | instskip(SKIP_1) | instid1(VALU_DEP_2)
	v_fma_f64 v[249:250], v[161:162], v[140:141], -v[249:250]
	v_mul_f64 v[161:162], v[161:162], v[110:111]
	v_add_f64 v[24:25], v[24:25], -v[249:250]
	v_mov_b32_e32 v250, v119
	s_delay_alu instid0(VALU_DEP_3) | instskip(SKIP_3) | instid1(VALU_DEP_2)
	v_fma_f64 v[108:109], v[163:164], v[140:141], v[161:162]
	s_waitcnt lgkmcnt(0)
	v_mul_f64 v[161:162], v[177:178], v[110:111]
	v_dual_mov_b32 v249, v118 :: v_dual_mov_b32 v248, v117
	v_fma_f64 v[170:171], v[175:176], v[140:141], -v[161:162]
	v_mul_f64 v[161:162], v[175:176], v[110:111]
	s_waitcnt vmcnt(2)
	v_add_f64 v[96:97], v[96:97], -v[193:194]
	v_add_f64 v[98:99], v[98:99], -v[195:196]
	s_delay_alu instid0(VALU_DEP_3)
	v_fma_f64 v[136:137], v[177:178], v[140:141], v[161:162]
	ds_load_2addr_b64 v[161:164], v172 offset0:54 offset1:55
	ds_load_2addr_b64 v[175:178], v172 offset0:56 offset1:57
	s_waitcnt lgkmcnt(1)
	v_mul_f64 v[138:139], v[163:164], v[110:111]
	s_waitcnt lgkmcnt(0)
	v_mul_f64 v[42:43], v[175:176], v[110:111]
	s_delay_alu instid0(VALU_DEP_2) | instskip(SKIP_1) | instid1(VALU_DEP_3)
	v_fma_f64 v[138:139], v[161:162], v[140:141], -v[138:139]
	v_mul_f64 v[161:162], v[161:162], v[110:111]
	v_fma_f64 v[42:43], v[177:178], v[140:141], v[42:43]
	s_delay_alu instid0(VALU_DEP_2) | instskip(SKIP_1) | instid1(VALU_DEP_1)
	v_fma_f64 v[54:55], v[163:164], v[140:141], v[161:162]
	v_mul_f64 v[161:162], v[177:178], v[110:111]
	v_fma_f64 v[40:41], v[175:176], v[140:141], -v[161:162]
	ds_load_2addr_b64 v[161:164], v172 offset0:58 offset1:59
	ds_load_2addr_b64 v[175:178], v172 offset0:60 offset1:61
	s_waitcnt vmcnt(1)
	v_add_f64 v[0:1], v[0:1], -v[156:157]
	s_waitcnt vmcnt(0)
	v_add_f64 v[88:89], v[88:89], -v[165:166]
	v_add_f64 v[90:91], v[90:91], -v[146:147]
	v_add_f64 v[2:3], v[2:3], -v[158:159]
	s_waitcnt lgkmcnt(1)
	v_mul_f64 v[52:53], v[163:164], v[110:111]
	s_waitcnt lgkmcnt(0)
	v_mul_f64 v[130:131], v[177:178], v[110:111]
	s_delay_alu instid0(VALU_DEP_2) | instskip(SKIP_1) | instid1(VALU_DEP_3)
	v_fma_f64 v[52:53], v[161:162], v[140:141], -v[52:53]
	v_mul_f64 v[161:162], v[161:162], v[110:111]
	v_fma_f64 v[130:131], v[175:176], v[140:141], -v[130:131]
	s_delay_alu instid0(VALU_DEP_2) | instskip(SKIP_1) | instid1(VALU_DEP_1)
	v_fma_f64 v[128:129], v[163:164], v[140:141], v[161:162]
	v_mul_f64 v[161:162], v[175:176], v[110:111]
	v_fma_f64 v[104:105], v[177:178], v[140:141], v[161:162]
	ds_load_2addr_b64 v[161:164], v172 offset0:62 offset1:63
	ds_load_2addr_b64 v[175:178], v172 offset0:64 offset1:65
	s_clause 0x1
	scratch_store_b128 off, v[88:91], off offset:16
	scratch_store_b128 off, v[96:99], off
	v_dual_mov_b32 v99, v87 :: v_dual_mov_b32 v96, v84
	v_dual_mov_b32 v97, v85 :: v_dual_mov_b32 v98, v86
	;; [unrolled: 1-line block ×8, first 2 shown]
	s_waitcnt lgkmcnt(1)
	v_mul_f64 v[106:107], v[163:164], v[110:111]
	v_dual_mov_b32 v75, v71 :: v_dual_mov_b32 v72, v68
	v_dual_mov_b32 v74, v70 :: v_dual_mov_b32 v73, v69
	;; [unrolled: 1-line block ×19, first 2 shown]
	v_fma_f64 v[106:107], v[161:162], v[140:141], -v[106:107]
	v_mul_f64 v[161:162], v[161:162], v[110:111]
	v_dual_mov_b32 v30, v26 :: v_dual_mov_b32 v29, v25
	v_dual_mov_b32 v27, v23 :: v_dual_mov_b32 v24, v20
	;; [unrolled: 1-line block ×11, first 2 shown]
	v_mov_b32_e32 v4, v179
	v_add_f64 v[30:31], v[30:31], -v[108:109]
	v_dual_mov_b32 v108, v140 :: v_dual_mov_b32 v109, v141
	v_add_f64 v[24:25], v[24:25], -v[170:171]
	v_add_f64 v[26:27], v[26:27], -v[136:137]
	v_dual_mov_b32 v5, v180 :: v_dual_mov_b32 v6, v181
	v_dual_mov_b32 v7, v182 :: v_dual_mov_b32 v170, v167
	v_add_f64 v[20:21], v[20:21], -v[138:139]
	v_add_f64 v[22:23], v[22:23], -v[54:55]
	;; [unrolled: 1-line block ×5, first 2 shown]
	v_fma_f64 v[161:162], v[163:164], v[140:141], v[161:162]
	s_waitcnt lgkmcnt(0)
	v_mul_f64 v[163:164], v[177:178], v[110:111]
	v_add_f64 v[12:13], v[12:13], -v[52:53]
	v_add_f64 v[14:15], v[14:15], -v[128:129]
	;; [unrolled: 1-line block ×5, first 2 shown]
	v_fma_f64 v[163:164], v[175:176], v[140:141], -v[163:164]
	v_mul_f64 v[175:176], v[175:176], v[110:111]
	s_delay_alu instid0(VALU_DEP_2) | instskip(NEXT) | instid1(VALU_DEP_2)
	v_add_f64 v[237:238], v[237:238], -v[163:164]
	v_fma_f64 v[175:176], v[177:178], v[140:141], v[175:176]
	scratch_load_b64 v[177:178], off, off offset:56 ; 8-byte Folded Reload
	s_clause 0x1
	scratch_store_b128 off, v[0:3], off offset:32
	scratch_store_b128 off, v[108:111], off offset:56
	v_add_f64 v[239:240], v[239:240], -v[175:176]
	s_waitcnt vmcnt(0)
	v_add_f64 v[112:113], v[112:113], -v[177:178]
	scratch_load_b64 v[177:178], off, off offset:80 ; 8-byte Folded Reload
	s_waitcnt vmcnt(0)
	v_add_f64 v[114:115], v[114:115], -v[177:178]
	scratch_load_b64 v[177:178], off, off offset:88 ; 8-byte Folded Reload
	;; [unrolled: 3-line block ×6, first 2 shown]
	s_waitcnt vmcnt(0)
	v_add_f64 v[120:121], v[120:121], -v[177:178]
	v_mov_b32_e32 v247, v116
	s_delay_alu instid0(VALU_DEP_2)
	v_dual_mov_b32 v116, v120 :: v_dual_mov_b32 v117, v121
	v_dual_mov_b32 v118, v122 :: v_dual_mov_b32 v119, v123
	;; [unrolled: 1-line block ×4, first 2 shown]
.LBB64_22:
	s_or_b32 exec_lo, exec_lo, s2
	v_lshl_add_u32 v40, v174, 4, v172
	s_waitcnt_vscnt null, 0x0
	s_barrier
	buffer_gl0_inv
	v_mov_b32_e32 v140, 1
	ds_store_2addr_b64 v40, v[112:113], v[114:115] offset1:1
	s_waitcnt lgkmcnt(0)
	s_barrier
	buffer_gl0_inv
	ds_load_2addr_b64 v[132:135], v172 offset0:2 offset1:3
	s_cmp_lt_i32 s5, 3
	s_cbranch_scc1 .LBB64_25
; %bb.23:
	v_add3_u32 v141, v170, 0, 32
	v_mov_b32_e32 v140, 1
	s_mov_b32 s6, 2
	s_set_inst_prefetch_distance 0x1
	.p2align	6
.LBB64_24:                              ; =>This Inner Loop Header: Depth=1
	ds_load_2addr_b64 v[142:145], v141 offset1:1
	s_waitcnt lgkmcnt(1)
	v_cmp_gt_f64_e32 vcc_lo, 0, v[132:133]
	v_xor_b32_e32 v40, 0x80000000, v133
	v_cmp_gt_f64_e64 s2, 0, v[134:135]
	v_xor_b32_e32 v42, 0x80000000, v135
	v_add_nc_u32_e32 v141, 16, v141
	s_waitcnt lgkmcnt(0)
	v_cmp_gt_f64_e64 s3, 0, v[142:143]
	v_mov_b32_e32 v52, v142
	v_dual_mov_b32 v54, v144 :: v_dual_cndmask_b32 v41, v133, v40
	v_xor_b32_e32 v40, 0x80000000, v143
	v_cndmask_b32_e64 v43, v135, v42, s2
	v_xor_b32_e32 v42, 0x80000000, v145
	s_delay_alu instid0(VALU_DEP_3) | instskip(SKIP_2) | instid1(VALU_DEP_2)
	v_cndmask_b32_e64 v53, v143, v40, s3
	v_cmp_gt_f64_e64 s3, 0, v[144:145]
	v_cndmask_b32_e32 v40, v132, v132, vcc_lo
	v_cndmask_b32_e64 v55, v145, v42, s3
	v_cndmask_b32_e64 v42, v134, v134, s2
	s_delay_alu instid0(VALU_DEP_2) | instskip(NEXT) | instid1(VALU_DEP_2)
	v_add_f64 v[52:53], v[52:53], v[54:55]
	v_add_f64 v[40:41], v[40:41], v[42:43]
	s_delay_alu instid0(VALU_DEP_1)
	v_cmp_lt_f64_e32 vcc_lo, v[40:41], v[52:53]
	v_cndmask_b32_e32 v135, v135, v145, vcc_lo
	v_dual_cndmask_b32 v133, v133, v143 :: v_dual_cndmask_b32 v132, v132, v142
	v_cndmask_b32_e32 v134, v134, v144, vcc_lo
	v_cndmask_b32_e64 v140, v140, s6, vcc_lo
	s_add_i32 s6, s6, 1
	s_delay_alu instid0(SALU_CYCLE_1)
	s_cmp_lg_u32 s5, s6
	s_cbranch_scc1 .LBB64_24
.LBB64_25:
	s_set_inst_prefetch_distance 0x2
	s_waitcnt lgkmcnt(0)
	v_cmp_neq_f64_e32 vcc_lo, 0, v[132:133]
	v_cmp_neq_f64_e64 s2, 0, v[134:135]
	s_delay_alu instid0(VALU_DEP_1) | instskip(NEXT) | instid1(SALU_CYCLE_1)
	s_or_b32 s2, vcc_lo, s2
	s_and_saveexec_b32 s3, s2
	s_cbranch_execz .LBB64_31
; %bb.26:
	v_cmp_gt_f64_e32 vcc_lo, 0, v[132:133]
	v_cmp_gt_f64_e64 s2, 0, v[134:135]
	v_xor_b32_e32 v40, 0x80000000, v133
	v_xor_b32_e32 v42, 0x80000000, v135
	s_delay_alu instid0(VALU_DEP_2) | instskip(NEXT) | instid1(VALU_DEP_2)
	v_cndmask_b32_e32 v41, v133, v40, vcc_lo
	v_cndmask_b32_e64 v43, v135, v42, s2
	v_cndmask_b32_e32 v40, v132, v132, vcc_lo
	v_cndmask_b32_e64 v42, v134, v134, s2
	s_mov_b32 s2, exec_lo
	s_delay_alu instid0(VALU_DEP_1)
	v_cmpx_ngt_f64_e32 v[40:41], v[42:43]
	s_xor_b32 s2, exec_lo, s2
	s_cbranch_execz .LBB64_28
; %bb.27:
	v_div_scale_f64 v[40:41], null, v[134:135], v[134:135], v[132:133]
	v_div_scale_f64 v[54:55], vcc_lo, v[132:133], v[134:135], v[132:133]
	s_delay_alu instid0(VALU_DEP_2) | instskip(SKIP_2) | instid1(VALU_DEP_1)
	v_rcp_f64_e32 v[42:43], v[40:41]
	s_waitcnt_depctr 0xfff
	v_fma_f64 v[52:53], -v[40:41], v[42:43], 1.0
	v_fma_f64 v[42:43], v[42:43], v[52:53], v[42:43]
	s_delay_alu instid0(VALU_DEP_1) | instskip(NEXT) | instid1(VALU_DEP_1)
	v_fma_f64 v[52:53], -v[40:41], v[42:43], 1.0
	v_fma_f64 v[42:43], v[42:43], v[52:53], v[42:43]
	s_delay_alu instid0(VALU_DEP_1) | instskip(NEXT) | instid1(VALU_DEP_1)
	v_mul_f64 v[52:53], v[54:55], v[42:43]
	v_fma_f64 v[40:41], -v[40:41], v[52:53], v[54:55]
	s_delay_alu instid0(VALU_DEP_1) | instskip(NEXT) | instid1(VALU_DEP_1)
	v_div_fmas_f64 v[40:41], v[40:41], v[42:43], v[52:53]
	v_div_fixup_f64 v[40:41], v[40:41], v[134:135], v[132:133]
	s_delay_alu instid0(VALU_DEP_1) | instskip(NEXT) | instid1(VALU_DEP_1)
	v_fma_f64 v[42:43], v[132:133], v[40:41], v[134:135]
	v_div_scale_f64 v[52:53], null, v[42:43], v[42:43], 1.0
	s_delay_alu instid0(VALU_DEP_1) | instskip(SKIP_2) | instid1(VALU_DEP_1)
	v_rcp_f64_e32 v[54:55], v[52:53]
	s_waitcnt_depctr 0xfff
	v_fma_f64 v[104:105], -v[52:53], v[54:55], 1.0
	v_fma_f64 v[54:55], v[54:55], v[104:105], v[54:55]
	s_delay_alu instid0(VALU_DEP_1) | instskip(NEXT) | instid1(VALU_DEP_1)
	v_fma_f64 v[104:105], -v[52:53], v[54:55], 1.0
	v_fma_f64 v[54:55], v[54:55], v[104:105], v[54:55]
	v_div_scale_f64 v[104:105], vcc_lo, 1.0, v[42:43], 1.0
	s_delay_alu instid0(VALU_DEP_1) | instskip(NEXT) | instid1(VALU_DEP_1)
	v_mul_f64 v[106:107], v[104:105], v[54:55]
	v_fma_f64 v[52:53], -v[52:53], v[106:107], v[104:105]
	s_delay_alu instid0(VALU_DEP_1) | instskip(NEXT) | instid1(VALU_DEP_1)
	v_div_fmas_f64 v[52:53], v[52:53], v[54:55], v[106:107]
	v_div_fixup_f64 v[134:135], v[52:53], v[42:43], 1.0
	s_delay_alu instid0(VALU_DEP_1)
	v_mul_f64 v[132:133], v[40:41], v[134:135]
	v_xor_b32_e32 v135, 0x80000000, v135
.LBB64_28:
	s_and_not1_saveexec_b32 s2, s2
	s_cbranch_execz .LBB64_30
; %bb.29:
	s_delay_alu instid0(VALU_DEP_1) | instskip(SKIP_1) | instid1(VALU_DEP_2)
	v_div_scale_f64 v[40:41], null, v[132:133], v[132:133], v[134:135]
	v_div_scale_f64 v[54:55], vcc_lo, v[134:135], v[132:133], v[134:135]
	v_rcp_f64_e32 v[42:43], v[40:41]
	s_waitcnt_depctr 0xfff
	v_fma_f64 v[52:53], -v[40:41], v[42:43], 1.0
	s_delay_alu instid0(VALU_DEP_1) | instskip(NEXT) | instid1(VALU_DEP_1)
	v_fma_f64 v[42:43], v[42:43], v[52:53], v[42:43]
	v_fma_f64 v[52:53], -v[40:41], v[42:43], 1.0
	s_delay_alu instid0(VALU_DEP_1) | instskip(NEXT) | instid1(VALU_DEP_1)
	v_fma_f64 v[42:43], v[42:43], v[52:53], v[42:43]
	v_mul_f64 v[52:53], v[54:55], v[42:43]
	s_delay_alu instid0(VALU_DEP_1) | instskip(NEXT) | instid1(VALU_DEP_1)
	v_fma_f64 v[40:41], -v[40:41], v[52:53], v[54:55]
	v_div_fmas_f64 v[40:41], v[40:41], v[42:43], v[52:53]
	s_delay_alu instid0(VALU_DEP_1) | instskip(NEXT) | instid1(VALU_DEP_1)
	v_div_fixup_f64 v[40:41], v[40:41], v[132:133], v[134:135]
	v_fma_f64 v[42:43], v[134:135], v[40:41], v[132:133]
	s_delay_alu instid0(VALU_DEP_1) | instskip(NEXT) | instid1(VALU_DEP_1)
	v_div_scale_f64 v[52:53], null, v[42:43], v[42:43], 1.0
	v_rcp_f64_e32 v[54:55], v[52:53]
	s_waitcnt_depctr 0xfff
	v_fma_f64 v[104:105], -v[52:53], v[54:55], 1.0
	s_delay_alu instid0(VALU_DEP_1) | instskip(NEXT) | instid1(VALU_DEP_1)
	v_fma_f64 v[54:55], v[54:55], v[104:105], v[54:55]
	v_fma_f64 v[104:105], -v[52:53], v[54:55], 1.0
	s_delay_alu instid0(VALU_DEP_1) | instskip(SKIP_1) | instid1(VALU_DEP_1)
	v_fma_f64 v[54:55], v[54:55], v[104:105], v[54:55]
	v_div_scale_f64 v[104:105], vcc_lo, 1.0, v[42:43], 1.0
	v_mul_f64 v[106:107], v[104:105], v[54:55]
	s_delay_alu instid0(VALU_DEP_1) | instskip(NEXT) | instid1(VALU_DEP_1)
	v_fma_f64 v[52:53], -v[52:53], v[106:107], v[104:105]
	v_div_fmas_f64 v[52:53], v[52:53], v[54:55], v[106:107]
	s_delay_alu instid0(VALU_DEP_1) | instskip(NEXT) | instid1(VALU_DEP_1)
	v_div_fixup_f64 v[132:133], v[52:53], v[42:43], 1.0
	v_mul_f64 v[134:135], v[40:41], -v[132:133]
.LBB64_30:
	s_or_b32 exec_lo, exec_lo, s2
	v_mov_b32_e32 v255, v160
.LBB64_31:
	s_or_b32 exec_lo, exec_lo, s3
	s_delay_alu instid0(SALU_CYCLE_1)
	s_mov_b32 s2, exec_lo
	v_cmpx_ne_u32_e64 v174, v140
	s_xor_b32 s2, exec_lo, s2
	s_cbranch_execz .LBB64_37
; %bb.32:
	s_mov_b32 s3, exec_lo
	v_cmpx_eq_u32_e32 1, v174
	s_cbranch_execz .LBB64_36
; %bb.33:
	v_cmp_ne_u32_e32 vcc_lo, 1, v140
	s_xor_b32 s6, s4, -1
	s_delay_alu instid0(SALU_CYCLE_1) | instskip(NEXT) | instid1(SALU_CYCLE_1)
	s_and_b32 s7, s6, vcc_lo
	s_and_saveexec_b32 s6, s7
	s_cbranch_execz .LBB64_35
; %bb.34:
	scratch_load_b64 v[0:1], off, off offset:48 ; 8-byte Folded Reload
	v_ashrrev_i32_e32 v141, 31, v140
	s_delay_alu instid0(VALU_DEP_1) | instskip(SKIP_1) | instid1(VALU_DEP_1)
	v_lshlrev_b64 v[40:41], 2, v[140:141]
	s_waitcnt vmcnt(0)
	v_add_co_u32 v40, vcc_lo, v0, v40
	s_delay_alu instid0(VALU_DEP_2)
	v_add_co_ci_u32_e32 v41, vcc_lo, v1, v41, vcc_lo
	s_clause 0x1
	flat_load_b32 v42, v[40:41]
	flat_load_b32 v43, v[0:1] offset:4
	s_waitcnt vmcnt(1) lgkmcnt(1)
	flat_store_b32 v[0:1], v42 offset:4
	s_waitcnt vmcnt(0) lgkmcnt(1)
	flat_store_b32 v[40:41], v43
.LBB64_35:
	s_or_b32 exec_lo, exec_lo, s6
	v_mov_b32_e32 v174, v140
	v_mov_b32_e32 v173, v140
.LBB64_36:
	s_or_b32 exec_lo, exec_lo, s3
.LBB64_37:
	s_and_not1_saveexec_b32 s2, s2
	s_cbranch_execz .LBB64_39
; %bb.38:
	ds_store_2addr_b64 v172, v[92:93], v[94:95] offset0:4 offset1:5
	ds_store_2addr_b64 v172, v[124:125], v[126:127] offset0:6 offset1:7
	;; [unrolled: 1-line block ×4, first 2 shown]
	scratch_load_b128 v[0:3], off, off offset:32 ; 16-byte Folded Reload
	v_mov_b32_e32 v174, 1
	s_waitcnt vmcnt(0)
	ds_store_2addr_b64 v172, v[0:1], v[2:3] offset0:12 offset1:13
	scratch_load_b128 v[0:3], off, off offset:16 ; 16-byte Folded Reload
	s_waitcnt vmcnt(0)
	ds_store_2addr_b64 v172, v[0:1], v[2:3] offset0:14 offset1:15
	ds_store_2addr_b64 v172, v[251:252], v[253:254] offset0:16 offset1:17
	;; [unrolled: 1-line block ×4, first 2 shown]
	scratch_load_b128 v[0:3], off, off      ; 16-byte Folded Reload
	s_waitcnt vmcnt(0)
	ds_store_2addr_b64 v172, v[0:1], v[2:3] offset0:22 offset1:23
	ds_store_2addr_b64 v172, v[96:97], v[98:99] offset0:24 offset1:25
	;; [unrolled: 1-line block ×22, first 2 shown]
.LBB64_39:
	s_or_b32 exec_lo, exec_lo, s2
	s_delay_alu instid0(SALU_CYCLE_1)
	s_mov_b32 s2, exec_lo
	s_waitcnt lgkmcnt(0)
	s_waitcnt_vscnt null, 0x0
	s_barrier
	buffer_gl0_inv
	v_cmpx_lt_i32_e32 1, v174
	s_cbranch_execz .LBB64_41
; %bb.40:
	v_mul_f64 v[40:41], v[134:135], v[114:115]
	v_dual_mov_b32 v88, v92 :: v_dual_mov_b32 v89, v93
	v_dual_mov_b32 v90, v94 :: v_dual_mov_b32 v91, v95
	;; [unrolled: 1-line block ×19, first 2 shown]
	v_fma_f64 v[140:141], v[132:133], v[112:113], -v[40:41]
	v_mul_f64 v[40:41], v[132:133], v[114:115]
	v_dual_mov_b32 v34, v38 :: v_dual_mov_b32 v35, v39
	v_dual_mov_b32 v36, v44 :: v_dual_mov_b32 v37, v45
	;; [unrolled: 1-line block ×19, first 2 shown]
	v_fma_f64 v[114:115], v[134:135], v[112:113], v[40:41]
	ds_load_2addr_b64 v[132:135], v172 offset0:4 offset1:5
	ds_load_2addr_b64 v[142:145], v172 offset0:6 offset1:7
	v_dual_mov_b32 v80, v84 :: v_dual_mov_b32 v81, v85
	v_dual_mov_b32 v82, v86 :: v_dual_mov_b32 v83, v87
	;; [unrolled: 1-line block ×10, first 2 shown]
	s_waitcnt lgkmcnt(1)
	v_mul_f64 v[40:41], v[134:135], v[114:115]
	v_mul_f64 v[42:43], v[132:133], v[114:115]
	s_waitcnt lgkmcnt(0)
	v_mul_f64 v[52:53], v[144:145], v[114:115]
	v_mul_f64 v[54:55], v[142:143], v[114:115]
	s_delay_alu instid0(VALU_DEP_4) | instskip(NEXT) | instid1(VALU_DEP_4)
	v_fma_f64 v[112:113], v[132:133], v[140:141], -v[40:41]
	v_fma_f64 v[108:109], v[134:135], v[140:141], v[42:43]
	s_delay_alu instid0(VALU_DEP_4) | instskip(NEXT) | instid1(VALU_DEP_4)
	v_fma_f64 v[92:93], v[142:143], v[140:141], -v[52:53]
	v_fma_f64 v[94:95], v[144:145], v[140:141], v[54:55]
	ds_load_2addr_b64 v[132:135], v172 offset0:8 offset1:9
	ds_load_2addr_b64 v[142:145], v172 offset0:10 offset1:11
	v_dual_mov_b32 v52, v237 :: v_dual_mov_b32 v53, v238
	v_dual_mov_b32 v54, v239 :: v_dual_mov_b32 v55, v240
	;; [unrolled: 1-line block ×4, first 2 shown]
	s_waitcnt lgkmcnt(1)
	v_mul_f64 v[104:105], v[134:135], v[114:115]
	v_mul_f64 v[106:107], v[132:133], v[114:115]
	s_waitcnt lgkmcnt(0)
	v_mul_f64 v[128:129], v[144:145], v[114:115]
	v_mul_f64 v[130:131], v[142:143], v[114:115]
	v_add_f64 v[88:89], v[88:89], -v[112:113]
	v_add_f64 v[90:91], v[90:91], -v[108:109]
	;; [unrolled: 1-line block ×4, first 2 shown]
	v_dual_mov_b32 v112, v140 :: v_dual_mov_b32 v113, v141
	v_fma_f64 v[104:105], v[132:133], v[140:141], -v[104:105]
	v_fma_f64 v[106:107], v[134:135], v[140:141], v[106:107]
	v_fma_f64 v[128:129], v[142:143], v[140:141], -v[128:129]
	v_fma_f64 v[130:131], v[144:145], v[140:141], v[130:131]
	ds_load_2addr_b64 v[132:135], v172 offset0:12 offset1:13
	ds_load_2addr_b64 v[142:145], v172 offset0:14 offset1:15
	s_waitcnt lgkmcnt(1)
	v_mul_f64 v[136:137], v[134:135], v[114:115]
	v_add_f64 v[120:121], v[120:121], -v[104:105]
	v_add_f64 v[122:123], v[122:123], -v[106:107]
	;; [unrolled: 1-line block ×4, first 2 shown]
	v_fma_f64 v[136:137], v[132:133], v[140:141], -v[136:137]
	v_mul_f64 v[132:133], v[132:133], v[114:115]
	s_delay_alu instid0(VALU_DEP_1) | instskip(SKIP_2) | instid1(VALU_DEP_1)
	v_fma_f64 v[138:139], v[134:135], v[140:141], v[132:133]
	s_waitcnt lgkmcnt(0)
	v_mul_f64 v[132:133], v[144:145], v[114:115]
	v_fma_f64 v[146:147], v[142:143], v[140:141], -v[132:133]
	v_mul_f64 v[132:133], v[142:143], v[114:115]
	s_delay_alu instid0(VALU_DEP_1) | instskip(SKIP_4) | instid1(VALU_DEP_1)
	v_fma_f64 v[148:149], v[144:145], v[140:141], v[132:133]
	ds_load_2addr_b64 v[132:135], v172 offset0:16 offset1:17
	ds_load_2addr_b64 v[142:145], v172 offset0:18 offset1:19
	s_waitcnt lgkmcnt(1)
	v_mul_f64 v[150:151], v[134:135], v[114:115]
	v_fma_f64 v[150:151], v[132:133], v[140:141], -v[150:151]
	v_mul_f64 v[132:133], v[132:133], v[114:115]
	s_delay_alu instid0(VALU_DEP_2) | instskip(NEXT) | instid1(VALU_DEP_2)
	v_add_f64 v[251:252], v[251:252], -v[150:151]
	v_fma_f64 v[152:153], v[134:135], v[140:141], v[132:133]
	s_waitcnt lgkmcnt(0)
	v_mul_f64 v[132:133], v[144:145], v[114:115]
	s_delay_alu instid0(VALU_DEP_2) | instskip(NEXT) | instid1(VALU_DEP_2)
	v_add_f64 v[253:254], v[253:254], -v[152:153]
	v_fma_f64 v[154:155], v[142:143], v[140:141], -v[132:133]
	v_mul_f64 v[132:133], v[142:143], v[114:115]
	s_delay_alu instid0(VALU_DEP_2) | instskip(NEXT) | instid1(VALU_DEP_2)
	v_add_f64 v[100:101], v[100:101], -v[154:155]
	v_fma_f64 v[156:157], v[144:145], v[140:141], v[132:133]
	ds_load_2addr_b64 v[132:135], v172 offset0:20 offset1:21
	ds_load_2addr_b64 v[142:145], v172 offset0:22 offset1:23
	s_waitcnt lgkmcnt(1)
	v_mul_f64 v[158:159], v[134:135], v[114:115]
	v_add_f64 v[102:103], v[102:103], -v[156:157]
	s_delay_alu instid0(VALU_DEP_2) | instskip(SKIP_1) | instid1(VALU_DEP_2)
	v_fma_f64 v[158:159], v[132:133], v[140:141], -v[158:159]
	v_mul_f64 v[132:133], v[132:133], v[114:115]
	v_add_f64 v[0:1], v[0:1], -v[158:159]
	s_delay_alu instid0(VALU_DEP_2) | instskip(SKIP_2) | instid1(VALU_DEP_2)
	v_fma_f64 v[160:161], v[134:135], v[140:141], v[132:133]
	s_waitcnt lgkmcnt(0)
	v_mul_f64 v[132:133], v[144:145], v[114:115]
	v_add_f64 v[2:3], v[2:3], -v[160:161]
	s_delay_alu instid0(VALU_DEP_2) | instskip(SKIP_1) | instid1(VALU_DEP_1)
	v_fma_f64 v[162:163], v[142:143], v[140:141], -v[132:133]
	v_mul_f64 v[132:133], v[142:143], v[114:115]
	v_fma_f64 v[164:165], v[144:145], v[140:141], v[132:133]
	ds_load_2addr_b64 v[132:135], v172 offset0:24 offset1:25
	ds_load_2addr_b64 v[142:145], v172 offset0:26 offset1:27
	s_waitcnt lgkmcnt(1)
	v_mul_f64 v[166:167], v[134:135], v[114:115]
	s_delay_alu instid0(VALU_DEP_1) | instskip(SKIP_1) | instid1(VALU_DEP_2)
	v_fma_f64 v[166:167], v[132:133], v[140:141], -v[166:167]
	v_mul_f64 v[132:133], v[132:133], v[114:115]
	v_add_f64 v[84:85], v[84:85], -v[166:167]
	s_delay_alu instid0(VALU_DEP_2) | instskip(SKIP_2) | instid1(VALU_DEP_2)
	v_fma_f64 v[175:176], v[134:135], v[140:141], v[132:133]
	s_waitcnt lgkmcnt(0)
	v_mul_f64 v[132:133], v[144:145], v[114:115]
	v_add_f64 v[86:87], v[86:87], -v[175:176]
	s_delay_alu instid0(VALU_DEP_2) | instskip(SKIP_1) | instid1(VALU_DEP_2)
	v_fma_f64 v[177:178], v[142:143], v[140:141], -v[132:133]
	v_mul_f64 v[132:133], v[142:143], v[114:115]
	v_add_f64 v[80:81], v[80:81], -v[177:178]
	s_delay_alu instid0(VALU_DEP_2)
	v_fma_f64 v[179:180], v[144:145], v[140:141], v[132:133]
	ds_load_2addr_b64 v[132:135], v172 offset0:28 offset1:29
	ds_load_2addr_b64 v[142:145], v172 offset0:30 offset1:31
	s_waitcnt lgkmcnt(1)
	v_mul_f64 v[181:182], v[134:135], v[114:115]
	v_add_f64 v[82:83], v[82:83], -v[179:180]
	s_delay_alu instid0(VALU_DEP_2) | instskip(SKIP_1) | instid1(VALU_DEP_2)
	v_fma_f64 v[181:182], v[132:133], v[140:141], -v[181:182]
	v_mul_f64 v[132:133], v[132:133], v[114:115]
	v_add_f64 v[76:77], v[76:77], -v[181:182]
	s_delay_alu instid0(VALU_DEP_2) | instskip(SKIP_2) | instid1(VALU_DEP_2)
	v_fma_f64 v[183:184], v[134:135], v[140:141], v[132:133]
	s_waitcnt lgkmcnt(0)
	v_mul_f64 v[132:133], v[144:145], v[114:115]
	v_add_f64 v[78:79], v[78:79], -v[183:184]
	s_delay_alu instid0(VALU_DEP_2) | instskip(SKIP_1) | instid1(VALU_DEP_2)
	v_fma_f64 v[185:186], v[142:143], v[140:141], -v[132:133]
	v_mul_f64 v[132:133], v[142:143], v[114:115]
	v_add_f64 v[72:73], v[72:73], -v[185:186]
	s_delay_alu instid0(VALU_DEP_2)
	v_fma_f64 v[187:188], v[144:145], v[140:141], v[132:133]
	ds_load_2addr_b64 v[132:135], v172 offset0:32 offset1:33
	ds_load_2addr_b64 v[142:145], v172 offset0:34 offset1:35
	s_waitcnt lgkmcnt(1)
	v_mul_f64 v[189:190], v[134:135], v[114:115]
	v_add_f64 v[74:75], v[74:75], -v[187:188]
	s_delay_alu instid0(VALU_DEP_2) | instskip(SKIP_1) | instid1(VALU_DEP_2)
	;; [unrolled: 20-line block ×8, first 2 shown]
	v_fma_f64 v[237:238], v[132:133], v[140:141], -v[237:238]
	v_mul_f64 v[132:133], v[132:133], v[114:115]
	v_add_f64 v[12:13], v[12:13], -v[237:238]
	s_delay_alu instid0(VALU_DEP_2) | instskip(SKIP_2) | instid1(VALU_DEP_2)
	v_fma_f64 v[239:240], v[134:135], v[140:141], v[132:133]
	s_waitcnt lgkmcnt(0)
	v_mul_f64 v[132:133], v[144:145], v[114:115]
	v_add_f64 v[14:15], v[14:15], -v[239:240]
	s_delay_alu instid0(VALU_DEP_2) | instskip(SKIP_3) | instid1(VALU_DEP_4)
	v_fma_f64 v[241:242], v[142:143], v[140:141], -v[132:133]
	v_mul_f64 v[132:133], v[142:143], v[114:115]
	v_dual_mov_b32 v240, v55 :: v_dual_mov_b32 v239, v54
	v_dual_mov_b32 v238, v53 :: v_dual_mov_b32 v237, v52
	v_add_f64 v[8:9], v[8:9], -v[241:242]
	s_delay_alu instid0(VALU_DEP_4)
	v_fma_f64 v[243:244], v[144:145], v[140:141], v[132:133]
	ds_load_2addr_b64 v[132:135], v172 offset0:60 offset1:61
	ds_load_2addr_b64 v[142:145], v172 offset0:62 offset1:63
	s_clause 0x1
	scratch_load_b128 v[92:95], off, off offset:32
	scratch_load_b128 v[96:99], off, off
	s_waitcnt lgkmcnt(1)
	v_mul_f64 v[245:246], v[134:135], v[114:115]
	v_add_f64 v[10:11], v[10:11], -v[243:244]
	s_delay_alu instid0(VALU_DEP_2) | instskip(SKIP_1) | instid1(VALU_DEP_2)
	v_fma_f64 v[245:246], v[132:133], v[140:141], -v[245:246]
	v_mul_f64 v[132:133], v[132:133], v[114:115]
	v_add_f64 v[4:5], v[4:5], -v[245:246]
	s_delay_alu instid0(VALU_DEP_2) | instskip(SKIP_4) | instid1(VALU_DEP_4)
	v_fma_f64 v[247:248], v[134:135], v[140:141], v[132:133]
	s_waitcnt lgkmcnt(0)
	v_mul_f64 v[132:133], v[144:145], v[114:115]
	v_dual_mov_b32 v246, v43 :: v_dual_mov_b32 v245, v42
	v_dual_mov_b32 v244, v41 :: v_dual_mov_b32 v243, v40
	v_add_f64 v[6:7], v[6:7], -v[247:248]
	s_delay_alu instid0(VALU_DEP_4) | instskip(SKIP_1) | instid1(VALU_DEP_2)
	v_fma_f64 v[249:250], v[142:143], v[140:141], -v[132:133]
	v_mul_f64 v[132:133], v[142:143], v[114:115]
	v_add_f64 v[243:244], v[243:244], -v[249:250]
	s_delay_alu instid0(VALU_DEP_2)
	v_fma_f64 v[142:143], v[144:145], v[140:141], v[132:133]
	ds_load_2addr_b64 v[132:135], v172 offset0:64 offset1:65
	v_dual_mov_b32 v250, v119 :: v_dual_mov_b32 v249, v118
	v_dual_mov_b32 v248, v117 :: v_dual_mov_b32 v247, v116
	;; [unrolled: 1-line block ×6, first 2 shown]
	s_waitcnt lgkmcnt(0)
	v_mul_f64 v[144:145], v[134:135], v[114:115]
	v_add_f64 v[245:246], v[245:246], -v[142:143]
	s_delay_alu instid0(VALU_DEP_2) | instskip(SKIP_1) | instid1(VALU_DEP_2)
	v_fma_f64 v[144:145], v[132:133], v[140:141], -v[144:145]
	v_mul_f64 v[132:133], v[132:133], v[114:115]
	v_add_f64 v[237:238], v[237:238], -v[144:145]
	s_delay_alu instid0(VALU_DEP_2) | instskip(NEXT) | instid1(VALU_DEP_1)
	v_fma_f64 v[132:133], v[134:135], v[140:141], v[132:133]
	v_add_f64 v[239:240], v[239:240], -v[132:133]
	s_waitcnt vmcnt(1)
	v_add_f64 v[92:93], v[92:93], -v[136:137]
	v_add_f64 v[94:95], v[94:95], -v[138:139]
	scratch_store_b128 off, v[92:95], off offset:32 ; 16-byte Folded Spill
	v_dual_mov_b32 v95, v91 :: v_dual_mov_b32 v94, v90
	v_dual_mov_b32 v93, v89 :: v_dual_mov_b32 v92, v88
	scratch_load_b128 v[88:91], off, off offset:16 ; 16-byte Folded Reload
	s_waitcnt vmcnt(1)
	v_add_f64 v[96:97], v[96:97], -v[162:163]
	v_add_f64 v[98:99], v[98:99], -v[164:165]
	scratch_store_b128 off, v[96:99], off   ; 16-byte Folded Spill
	v_dual_mov_b32 v99, v87 :: v_dual_mov_b32 v98, v86
	v_dual_mov_b32 v97, v85 :: v_dual_mov_b32 v96, v84
	;; [unrolled: 1-line block ×40, first 2 shown]
	s_waitcnt vmcnt(0)
	v_add_f64 v[88:89], v[88:89], -v[146:147]
	v_add_f64 v[90:91], v[90:91], -v[148:149]
	scratch_store_b128 off, v[88:91], off offset:16 ; 16-byte Folded Spill
.LBB64_41:
	s_or_b32 exec_lo, exec_lo, s2
	v_lshl_add_u32 v40, v174, 4, v172
	s_waitcnt_vscnt null, 0x0
	s_barrier
	buffer_gl0_inv
	v_mov_b32_e32 v140, 2
	ds_store_2addr_b64 v40, v[92:93], v[94:95] offset1:1
	s_waitcnt lgkmcnt(0)
	s_barrier
	buffer_gl0_inv
	ds_load_2addr_b64 v[132:135], v172 offset0:4 offset1:5
	s_cmp_lt_i32 s5, 4
	s_cbranch_scc1 .LBB64_44
; %bb.42:
	v_add3_u32 v141, v170, 0, 48
	v_mov_b32_e32 v140, 2
	s_mov_b32 s6, 3
	s_set_inst_prefetch_distance 0x1
	.p2align	6
.LBB64_43:                              ; =>This Inner Loop Header: Depth=1
	ds_load_2addr_b64 v[142:145], v141 offset1:1
	s_waitcnt lgkmcnt(1)
	v_cmp_gt_f64_e32 vcc_lo, 0, v[132:133]
	v_xor_b32_e32 v40, 0x80000000, v133
	v_cmp_gt_f64_e64 s2, 0, v[134:135]
	v_xor_b32_e32 v42, 0x80000000, v135
	v_add_nc_u32_e32 v141, 16, v141
	s_waitcnt lgkmcnt(0)
	v_cmp_gt_f64_e64 s3, 0, v[142:143]
	v_mov_b32_e32 v52, v142
	v_dual_mov_b32 v54, v144 :: v_dual_cndmask_b32 v41, v133, v40
	v_xor_b32_e32 v40, 0x80000000, v143
	v_cndmask_b32_e64 v43, v135, v42, s2
	v_xor_b32_e32 v42, 0x80000000, v145
	s_delay_alu instid0(VALU_DEP_3) | instskip(SKIP_2) | instid1(VALU_DEP_2)
	v_cndmask_b32_e64 v53, v143, v40, s3
	v_cmp_gt_f64_e64 s3, 0, v[144:145]
	v_cndmask_b32_e32 v40, v132, v132, vcc_lo
	v_cndmask_b32_e64 v55, v145, v42, s3
	v_cndmask_b32_e64 v42, v134, v134, s2
	s_delay_alu instid0(VALU_DEP_2) | instskip(NEXT) | instid1(VALU_DEP_2)
	v_add_f64 v[52:53], v[52:53], v[54:55]
	v_add_f64 v[40:41], v[40:41], v[42:43]
	s_delay_alu instid0(VALU_DEP_1)
	v_cmp_lt_f64_e32 vcc_lo, v[40:41], v[52:53]
	v_cndmask_b32_e32 v135, v135, v145, vcc_lo
	v_dual_cndmask_b32 v133, v133, v143 :: v_dual_cndmask_b32 v132, v132, v142
	v_cndmask_b32_e32 v134, v134, v144, vcc_lo
	v_cndmask_b32_e64 v140, v140, s6, vcc_lo
	s_add_i32 s6, s6, 1
	s_delay_alu instid0(SALU_CYCLE_1)
	s_cmp_lg_u32 s5, s6
	s_cbranch_scc1 .LBB64_43
.LBB64_44:
	s_set_inst_prefetch_distance 0x2
	s_waitcnt lgkmcnt(0)
	v_cmp_eq_f64_e32 vcc_lo, 0, v[132:133]
	v_cmp_eq_f64_e64 s2, 0, v[134:135]
	s_delay_alu instid0(VALU_DEP_1) | instskip(NEXT) | instid1(SALU_CYCLE_1)
	s_and_b32 s2, vcc_lo, s2
	s_and_saveexec_b32 s3, s2
	s_delay_alu instid0(SALU_CYCLE_1)
	s_xor_b32 s2, exec_lo, s3
; %bb.45:
	v_cmp_ne_u32_e32 vcc_lo, 0, v255
	v_cndmask_b32_e32 v255, 3, v255, vcc_lo
; %bb.46:
	s_and_not1_saveexec_b32 s3, s2
	s_cbranch_execz .LBB64_52
; %bb.47:
	v_cmp_gt_f64_e32 vcc_lo, 0, v[132:133]
	v_cmp_gt_f64_e64 s2, 0, v[134:135]
	v_xor_b32_e32 v40, 0x80000000, v133
	v_xor_b32_e32 v42, 0x80000000, v135
	s_delay_alu instid0(VALU_DEP_2) | instskip(NEXT) | instid1(VALU_DEP_2)
	v_cndmask_b32_e32 v41, v133, v40, vcc_lo
	v_cndmask_b32_e64 v43, v135, v42, s2
	v_cndmask_b32_e32 v40, v132, v132, vcc_lo
	v_cndmask_b32_e64 v42, v134, v134, s2
	s_mov_b32 s2, exec_lo
	s_delay_alu instid0(VALU_DEP_1)
	v_cmpx_ngt_f64_e32 v[40:41], v[42:43]
	s_xor_b32 s2, exec_lo, s2
	s_cbranch_execz .LBB64_49
; %bb.48:
	v_div_scale_f64 v[40:41], null, v[134:135], v[134:135], v[132:133]
	v_div_scale_f64 v[54:55], vcc_lo, v[132:133], v[134:135], v[132:133]
	s_delay_alu instid0(VALU_DEP_2) | instskip(SKIP_2) | instid1(VALU_DEP_1)
	v_rcp_f64_e32 v[42:43], v[40:41]
	s_waitcnt_depctr 0xfff
	v_fma_f64 v[52:53], -v[40:41], v[42:43], 1.0
	v_fma_f64 v[42:43], v[42:43], v[52:53], v[42:43]
	s_delay_alu instid0(VALU_DEP_1) | instskip(NEXT) | instid1(VALU_DEP_1)
	v_fma_f64 v[52:53], -v[40:41], v[42:43], 1.0
	v_fma_f64 v[42:43], v[42:43], v[52:53], v[42:43]
	s_delay_alu instid0(VALU_DEP_1) | instskip(NEXT) | instid1(VALU_DEP_1)
	v_mul_f64 v[52:53], v[54:55], v[42:43]
	v_fma_f64 v[40:41], -v[40:41], v[52:53], v[54:55]
	s_delay_alu instid0(VALU_DEP_1) | instskip(NEXT) | instid1(VALU_DEP_1)
	v_div_fmas_f64 v[40:41], v[40:41], v[42:43], v[52:53]
	v_div_fixup_f64 v[40:41], v[40:41], v[134:135], v[132:133]
	s_delay_alu instid0(VALU_DEP_1) | instskip(NEXT) | instid1(VALU_DEP_1)
	v_fma_f64 v[42:43], v[132:133], v[40:41], v[134:135]
	v_div_scale_f64 v[52:53], null, v[42:43], v[42:43], 1.0
	s_delay_alu instid0(VALU_DEP_1) | instskip(SKIP_2) | instid1(VALU_DEP_1)
	v_rcp_f64_e32 v[54:55], v[52:53]
	s_waitcnt_depctr 0xfff
	v_fma_f64 v[104:105], -v[52:53], v[54:55], 1.0
	v_fma_f64 v[54:55], v[54:55], v[104:105], v[54:55]
	s_delay_alu instid0(VALU_DEP_1) | instskip(NEXT) | instid1(VALU_DEP_1)
	v_fma_f64 v[104:105], -v[52:53], v[54:55], 1.0
	v_fma_f64 v[54:55], v[54:55], v[104:105], v[54:55]
	v_div_scale_f64 v[104:105], vcc_lo, 1.0, v[42:43], 1.0
	s_delay_alu instid0(VALU_DEP_1) | instskip(NEXT) | instid1(VALU_DEP_1)
	v_mul_f64 v[106:107], v[104:105], v[54:55]
	v_fma_f64 v[52:53], -v[52:53], v[106:107], v[104:105]
	s_delay_alu instid0(VALU_DEP_1) | instskip(NEXT) | instid1(VALU_DEP_1)
	v_div_fmas_f64 v[52:53], v[52:53], v[54:55], v[106:107]
	v_div_fixup_f64 v[134:135], v[52:53], v[42:43], 1.0
	s_delay_alu instid0(VALU_DEP_1)
	v_mul_f64 v[132:133], v[40:41], v[134:135]
	v_xor_b32_e32 v135, 0x80000000, v135
.LBB64_49:
	s_and_not1_saveexec_b32 s2, s2
	s_cbranch_execz .LBB64_51
; %bb.50:
	s_delay_alu instid0(VALU_DEP_1) | instskip(SKIP_1) | instid1(VALU_DEP_2)
	v_div_scale_f64 v[40:41], null, v[132:133], v[132:133], v[134:135]
	v_div_scale_f64 v[54:55], vcc_lo, v[134:135], v[132:133], v[134:135]
	v_rcp_f64_e32 v[42:43], v[40:41]
	s_waitcnt_depctr 0xfff
	v_fma_f64 v[52:53], -v[40:41], v[42:43], 1.0
	s_delay_alu instid0(VALU_DEP_1) | instskip(NEXT) | instid1(VALU_DEP_1)
	v_fma_f64 v[42:43], v[42:43], v[52:53], v[42:43]
	v_fma_f64 v[52:53], -v[40:41], v[42:43], 1.0
	s_delay_alu instid0(VALU_DEP_1) | instskip(NEXT) | instid1(VALU_DEP_1)
	v_fma_f64 v[42:43], v[42:43], v[52:53], v[42:43]
	v_mul_f64 v[52:53], v[54:55], v[42:43]
	s_delay_alu instid0(VALU_DEP_1) | instskip(NEXT) | instid1(VALU_DEP_1)
	v_fma_f64 v[40:41], -v[40:41], v[52:53], v[54:55]
	v_div_fmas_f64 v[40:41], v[40:41], v[42:43], v[52:53]
	s_delay_alu instid0(VALU_DEP_1) | instskip(NEXT) | instid1(VALU_DEP_1)
	v_div_fixup_f64 v[40:41], v[40:41], v[132:133], v[134:135]
	v_fma_f64 v[42:43], v[134:135], v[40:41], v[132:133]
	s_delay_alu instid0(VALU_DEP_1) | instskip(NEXT) | instid1(VALU_DEP_1)
	v_div_scale_f64 v[52:53], null, v[42:43], v[42:43], 1.0
	v_rcp_f64_e32 v[54:55], v[52:53]
	s_waitcnt_depctr 0xfff
	v_fma_f64 v[104:105], -v[52:53], v[54:55], 1.0
	s_delay_alu instid0(VALU_DEP_1) | instskip(NEXT) | instid1(VALU_DEP_1)
	v_fma_f64 v[54:55], v[54:55], v[104:105], v[54:55]
	v_fma_f64 v[104:105], -v[52:53], v[54:55], 1.0
	s_delay_alu instid0(VALU_DEP_1) | instskip(SKIP_1) | instid1(VALU_DEP_1)
	v_fma_f64 v[54:55], v[54:55], v[104:105], v[54:55]
	v_div_scale_f64 v[104:105], vcc_lo, 1.0, v[42:43], 1.0
	v_mul_f64 v[106:107], v[104:105], v[54:55]
	s_delay_alu instid0(VALU_DEP_1) | instskip(NEXT) | instid1(VALU_DEP_1)
	v_fma_f64 v[52:53], -v[52:53], v[106:107], v[104:105]
	v_div_fmas_f64 v[52:53], v[52:53], v[54:55], v[106:107]
	s_delay_alu instid0(VALU_DEP_1) | instskip(NEXT) | instid1(VALU_DEP_1)
	v_div_fixup_f64 v[132:133], v[52:53], v[42:43], 1.0
	v_mul_f64 v[134:135], v[40:41], -v[132:133]
.LBB64_51:
	s_or_b32 exec_lo, exec_lo, s2
.LBB64_52:
	s_delay_alu instid0(SALU_CYCLE_1) | instskip(NEXT) | instid1(SALU_CYCLE_1)
	s_or_b32 exec_lo, exec_lo, s3
	s_mov_b32 s2, exec_lo
	v_cmpx_ne_u32_e64 v174, v140
	s_xor_b32 s2, exec_lo, s2
	s_cbranch_execz .LBB64_58
; %bb.53:
	s_mov_b32 s3, exec_lo
	v_cmpx_eq_u32_e32 2, v174
	s_cbranch_execz .LBB64_57
; %bb.54:
	v_cmp_ne_u32_e32 vcc_lo, 2, v140
	s_xor_b32 s6, s4, -1
	s_delay_alu instid0(SALU_CYCLE_1) | instskip(NEXT) | instid1(SALU_CYCLE_1)
	s_and_b32 s7, s6, vcc_lo
	s_and_saveexec_b32 s6, s7
	s_cbranch_execz .LBB64_56
; %bb.55:
	scratch_load_b64 v[0:1], off, off offset:48 ; 8-byte Folded Reload
	v_ashrrev_i32_e32 v141, 31, v140
	s_delay_alu instid0(VALU_DEP_1) | instskip(SKIP_1) | instid1(VALU_DEP_1)
	v_lshlrev_b64 v[40:41], 2, v[140:141]
	s_waitcnt vmcnt(0)
	v_add_co_u32 v40, vcc_lo, v0, v40
	s_delay_alu instid0(VALU_DEP_2)
	v_add_co_ci_u32_e32 v41, vcc_lo, v1, v41, vcc_lo
	s_clause 0x1
	flat_load_b32 v42, v[40:41]
	flat_load_b32 v43, v[0:1] offset:8
	s_waitcnt vmcnt(1) lgkmcnt(1)
	flat_store_b32 v[0:1], v42 offset:8
	s_waitcnt vmcnt(0) lgkmcnt(1)
	flat_store_b32 v[40:41], v43
.LBB64_56:
	s_or_b32 exec_lo, exec_lo, s6
	v_mov_b32_e32 v174, v140
	v_mov_b32_e32 v173, v140
.LBB64_57:
	s_or_b32 exec_lo, exec_lo, s3
.LBB64_58:
	s_and_not1_saveexec_b32 s2, s2
	s_cbranch_execz .LBB64_60
; %bb.59:
	ds_store_2addr_b64 v172, v[124:125], v[126:127] offset0:6 offset1:7
	ds_store_2addr_b64 v172, v[116:117], v[118:119] offset0:8 offset1:9
	;; [unrolled: 1-line block ×3, first 2 shown]
	scratch_load_b128 v[0:3], off, off offset:32 ; 16-byte Folded Reload
	v_mov_b32_e32 v174, 2
	s_waitcnt vmcnt(0)
	ds_store_2addr_b64 v172, v[0:1], v[2:3] offset0:12 offset1:13
	scratch_load_b128 v[0:3], off, off offset:16 ; 16-byte Folded Reload
	s_waitcnt vmcnt(0)
	ds_store_2addr_b64 v172, v[0:1], v[2:3] offset0:14 offset1:15
	ds_store_2addr_b64 v172, v[251:252], v[253:254] offset0:16 offset1:17
	;; [unrolled: 1-line block ×4, first 2 shown]
	scratch_load_b128 v[0:3], off, off      ; 16-byte Folded Reload
	s_waitcnt vmcnt(0)
	ds_store_2addr_b64 v172, v[0:1], v[2:3] offset0:22 offset1:23
	ds_store_2addr_b64 v172, v[96:97], v[98:99] offset0:24 offset1:25
	;; [unrolled: 1-line block ×22, first 2 shown]
.LBB64_60:
	s_or_b32 exec_lo, exec_lo, s2
	s_delay_alu instid0(SALU_CYCLE_1)
	s_mov_b32 s2, exec_lo
	s_waitcnt lgkmcnt(0)
	s_waitcnt_vscnt null, 0x0
	s_barrier
	buffer_gl0_inv
	v_cmpx_lt_i32_e32 2, v174
	s_cbranch_execz .LBB64_62
; %bb.61:
	v_mul_f64 v[40:41], v[134:135], v[94:95]
	v_dual_mov_b32 v100, v237 :: v_dual_mov_b32 v101, v238
	v_dual_mov_b32 v102, v239 :: v_dual_mov_b32 v103, v240
	;; [unrolled: 1-line block ×6, first 2 shown]
	v_fma_f64 v[140:141], v[132:133], v[92:93], -v[40:41]
	v_mul_f64 v[40:41], v[132:133], v[94:95]
	s_delay_alu instid0(VALU_DEP_1)
	v_fma_f64 v[94:95], v[134:135], v[92:93], v[40:41]
	ds_load_2addr_b64 v[132:135], v172 offset0:6 offset1:7
	ds_load_2addr_b64 v[142:145], v172 offset0:8 offset1:9
	v_dual_mov_b32 v92, v140 :: v_dual_mov_b32 v93, v141
	s_waitcnt lgkmcnt(1)
	v_mul_f64 v[40:41], v[134:135], v[94:95]
	v_mul_f64 v[42:43], v[132:133], v[94:95]
	s_waitcnt lgkmcnt(0)
	v_mul_f64 v[52:53], v[144:145], v[94:95]
	v_mul_f64 v[54:55], v[142:143], v[94:95]
	s_delay_alu instid0(VALU_DEP_4) | instskip(NEXT) | instid1(VALU_DEP_4)
	v_fma_f64 v[40:41], v[132:133], v[140:141], -v[40:41]
	v_fma_f64 v[42:43], v[134:135], v[140:141], v[42:43]
	s_delay_alu instid0(VALU_DEP_4) | instskip(NEXT) | instid1(VALU_DEP_4)
	v_fma_f64 v[52:53], v[142:143], v[140:141], -v[52:53]
	v_fma_f64 v[54:55], v[144:145], v[140:141], v[54:55]
	ds_load_2addr_b64 v[132:135], v172 offset0:10 offset1:11
	ds_load_2addr_b64 v[142:145], v172 offset0:12 offset1:13
	s_waitcnt lgkmcnt(1)
	v_mul_f64 v[104:105], v[134:135], v[94:95]
	v_mul_f64 v[106:107], v[132:133], v[94:95]
	s_waitcnt lgkmcnt(0)
	v_mul_f64 v[128:129], v[144:145], v[94:95]
	v_mul_f64 v[130:131], v[142:143], v[94:95]
	v_add_f64 v[124:125], v[124:125], -v[40:41]
	v_add_f64 v[126:127], v[126:127], -v[42:43]
	;; [unrolled: 1-line block ×4, first 2 shown]
	v_fma_f64 v[104:105], v[132:133], v[140:141], -v[104:105]
	v_fma_f64 v[106:107], v[134:135], v[140:141], v[106:107]
	v_fma_f64 v[128:129], v[142:143], v[140:141], -v[128:129]
	v_fma_f64 v[130:131], v[144:145], v[140:141], v[130:131]
	ds_load_2addr_b64 v[132:135], v172 offset0:14 offset1:15
	ds_load_2addr_b64 v[142:145], v172 offset0:16 offset1:17
	s_waitcnt lgkmcnt(1)
	v_mul_f64 v[136:137], v[134:135], v[94:95]
	v_add_f64 v[247:248], v[247:248], -v[104:105]
	v_add_f64 v[249:250], v[249:250], -v[106:107]
	s_delay_alu instid0(VALU_DEP_3) | instskip(SKIP_1) | instid1(VALU_DEP_1)
	v_fma_f64 v[136:137], v[132:133], v[140:141], -v[136:137]
	v_mul_f64 v[132:133], v[132:133], v[94:95]
	v_fma_f64 v[138:139], v[134:135], v[140:141], v[132:133]
	s_waitcnt lgkmcnt(0)
	v_mul_f64 v[132:133], v[144:145], v[94:95]
	s_delay_alu instid0(VALU_DEP_1) | instskip(SKIP_1) | instid1(VALU_DEP_2)
	v_fma_f64 v[146:147], v[142:143], v[140:141], -v[132:133]
	v_mul_f64 v[132:133], v[142:143], v[94:95]
	v_add_f64 v[251:252], v[251:252], -v[146:147]
	s_delay_alu instid0(VALU_DEP_2)
	v_fma_f64 v[148:149], v[144:145], v[140:141], v[132:133]
	ds_load_2addr_b64 v[132:135], v172 offset0:18 offset1:19
	ds_load_2addr_b64 v[142:145], v172 offset0:20 offset1:21
	s_waitcnt lgkmcnt(1)
	v_mul_f64 v[150:151], v[134:135], v[94:95]
	v_add_f64 v[253:254], v[253:254], -v[148:149]
	s_delay_alu instid0(VALU_DEP_2) | instskip(SKIP_1) | instid1(VALU_DEP_2)
	v_fma_f64 v[150:151], v[132:133], v[140:141], -v[150:151]
	v_mul_f64 v[132:133], v[132:133], v[94:95]
	v_add_f64 v[120:121], v[120:121], -v[150:151]
	s_delay_alu instid0(VALU_DEP_2) | instskip(SKIP_2) | instid1(VALU_DEP_2)
	v_fma_f64 v[152:153], v[134:135], v[140:141], v[132:133]
	s_waitcnt lgkmcnt(0)
	v_mul_f64 v[132:133], v[144:145], v[94:95]
	v_add_f64 v[122:123], v[122:123], -v[152:153]
	s_delay_alu instid0(VALU_DEP_2) | instskip(SKIP_1) | instid1(VALU_DEP_2)
	v_fma_f64 v[154:155], v[142:143], v[140:141], -v[132:133]
	v_mul_f64 v[132:133], v[142:143], v[94:95]
	v_add_f64 v[0:1], v[0:1], -v[154:155]
	s_delay_alu instid0(VALU_DEP_2)
	v_fma_f64 v[156:157], v[144:145], v[140:141], v[132:133]
	ds_load_2addr_b64 v[132:135], v172 offset0:22 offset1:23
	ds_load_2addr_b64 v[142:145], v172 offset0:24 offset1:25
	s_waitcnt lgkmcnt(1)
	v_mul_f64 v[158:159], v[134:135], v[94:95]
	v_add_f64 v[2:3], v[2:3], -v[156:157]
	s_delay_alu instid0(VALU_DEP_2) | instskip(SKIP_1) | instid1(VALU_DEP_1)
	v_fma_f64 v[158:159], v[132:133], v[140:141], -v[158:159]
	v_mul_f64 v[132:133], v[132:133], v[94:95]
	v_fma_f64 v[160:161], v[134:135], v[140:141], v[132:133]
	s_waitcnt lgkmcnt(0)
	v_mul_f64 v[132:133], v[144:145], v[94:95]
	s_delay_alu instid0(VALU_DEP_1) | instskip(SKIP_1) | instid1(VALU_DEP_2)
	v_fma_f64 v[162:163], v[142:143], v[140:141], -v[132:133]
	v_mul_f64 v[132:133], v[142:143], v[94:95]
	v_add_f64 v[96:97], v[96:97], -v[162:163]
	s_delay_alu instid0(VALU_DEP_2)
	v_fma_f64 v[164:165], v[144:145], v[140:141], v[132:133]
	ds_load_2addr_b64 v[132:135], v172 offset0:26 offset1:27
	ds_load_2addr_b64 v[142:145], v172 offset0:28 offset1:29
	s_waitcnt lgkmcnt(1)
	v_mul_f64 v[166:167], v[134:135], v[94:95]
	v_add_f64 v[98:99], v[98:99], -v[164:165]
	s_delay_alu instid0(VALU_DEP_2) | instskip(SKIP_1) | instid1(VALU_DEP_2)
	v_fma_f64 v[166:167], v[132:133], v[140:141], -v[166:167]
	v_mul_f64 v[132:133], v[132:133], v[94:95]
	v_add_f64 v[84:85], v[84:85], -v[166:167]
	s_delay_alu instid0(VALU_DEP_2) | instskip(SKIP_2) | instid1(VALU_DEP_2)
	v_fma_f64 v[175:176], v[134:135], v[140:141], v[132:133]
	s_waitcnt lgkmcnt(0)
	v_mul_f64 v[132:133], v[144:145], v[94:95]
	v_add_f64 v[86:87], v[86:87], -v[175:176]
	s_delay_alu instid0(VALU_DEP_2) | instskip(SKIP_1) | instid1(VALU_DEP_2)
	v_fma_f64 v[177:178], v[142:143], v[140:141], -v[132:133]
	v_mul_f64 v[132:133], v[142:143], v[94:95]
	v_add_f64 v[80:81], v[80:81], -v[177:178]
	s_delay_alu instid0(VALU_DEP_2)
	v_fma_f64 v[179:180], v[144:145], v[140:141], v[132:133]
	ds_load_2addr_b64 v[132:135], v172 offset0:30 offset1:31
	ds_load_2addr_b64 v[142:145], v172 offset0:32 offset1:33
	s_waitcnt lgkmcnt(1)
	v_mul_f64 v[181:182], v[134:135], v[94:95]
	v_add_f64 v[82:83], v[82:83], -v[179:180]
	s_delay_alu instid0(VALU_DEP_2) | instskip(SKIP_1) | instid1(VALU_DEP_2)
	v_fma_f64 v[181:182], v[132:133], v[140:141], -v[181:182]
	v_mul_f64 v[132:133], v[132:133], v[94:95]
	v_add_f64 v[76:77], v[76:77], -v[181:182]
	s_delay_alu instid0(VALU_DEP_2) | instskip(SKIP_2) | instid1(VALU_DEP_2)
	v_fma_f64 v[183:184], v[134:135], v[140:141], v[132:133]
	s_waitcnt lgkmcnt(0)
	v_mul_f64 v[132:133], v[144:145], v[94:95]
	v_add_f64 v[78:79], v[78:79], -v[183:184]
	s_delay_alu instid0(VALU_DEP_2) | instskip(SKIP_1) | instid1(VALU_DEP_2)
	;; [unrolled: 20-line block ×8, first 2 shown]
	v_fma_f64 v[233:234], v[142:143], v[140:141], -v[132:133]
	v_mul_f64 v[132:133], v[142:143], v[94:95]
	v_add_f64 v[16:17], v[16:17], -v[233:234]
	s_delay_alu instid0(VALU_DEP_2)
	v_fma_f64 v[235:236], v[144:145], v[140:141], v[132:133]
	ds_load_2addr_b64 v[132:135], v172 offset0:58 offset1:59
	ds_load_2addr_b64 v[142:145], v172 offset0:60 offset1:61
	s_waitcnt lgkmcnt(1)
	v_mul_f64 v[237:238], v[134:135], v[94:95]
	v_add_f64 v[18:19], v[18:19], -v[235:236]
	s_delay_alu instid0(VALU_DEP_2) | instskip(SKIP_1) | instid1(VALU_DEP_2)
	v_fma_f64 v[237:238], v[132:133], v[140:141], -v[237:238]
	v_mul_f64 v[132:133], v[132:133], v[94:95]
	v_add_f64 v[12:13], v[12:13], -v[237:238]
	s_delay_alu instid0(VALU_DEP_2) | instskip(SKIP_2) | instid1(VALU_DEP_2)
	v_fma_f64 v[239:240], v[134:135], v[140:141], v[132:133]
	s_waitcnt lgkmcnt(0)
	v_mul_f64 v[132:133], v[144:145], v[94:95]
	v_add_f64 v[14:15], v[14:15], -v[239:240]
	s_delay_alu instid0(VALU_DEP_2) | instskip(SKIP_3) | instid1(VALU_DEP_4)
	v_fma_f64 v[241:242], v[142:143], v[140:141], -v[132:133]
	v_mul_f64 v[132:133], v[142:143], v[94:95]
	v_dual_mov_b32 v240, v103 :: v_dual_mov_b32 v239, v102
	v_dual_mov_b32 v238, v101 :: v_dual_mov_b32 v237, v100
	v_add_f64 v[8:9], v[8:9], -v[241:242]
	s_delay_alu instid0(VALU_DEP_4)
	v_fma_f64 v[243:244], v[144:145], v[140:141], v[132:133]
	ds_load_2addr_b64 v[132:135], v172 offset0:62 offset1:63
	ds_load_2addr_b64 v[142:145], v172 offset0:64 offset1:65
	scratch_load_b128 v[40:43], off, off offset:32 ; 16-byte Folded Reload
	s_waitcnt lgkmcnt(1)
	v_mul_f64 v[245:246], v[134:135], v[94:95]
	v_add_f64 v[10:11], v[10:11], -v[243:244]
	s_delay_alu instid0(VALU_DEP_2) | instskip(SKIP_1) | instid1(VALU_DEP_2)
	v_fma_f64 v[245:246], v[132:133], v[140:141], -v[245:246]
	v_mul_f64 v[132:133], v[132:133], v[94:95]
	v_add_f64 v[4:5], v[4:5], -v[245:246]
	s_delay_alu instid0(VALU_DEP_2) | instskip(SKIP_3) | instid1(VALU_DEP_4)
	v_fma_f64 v[132:133], v[134:135], v[140:141], v[132:133]
	s_waitcnt lgkmcnt(0)
	v_mul_f64 v[134:135], v[144:145], v[94:95]
	v_dual_mov_b32 v246, v7 :: v_dual_mov_b32 v245, v6
	v_dual_mov_b32 v244, v5 :: v_dual_mov_b32 v243, v4
	s_delay_alu instid0(VALU_DEP_3) | instskip(SKIP_1) | instid1(VALU_DEP_4)
	v_fma_f64 v[134:135], v[142:143], v[140:141], -v[134:135]
	v_mul_f64 v[142:143], v[142:143], v[94:95]
	v_add_f64 v[245:246], v[245:246], -v[132:133]
	v_dual_mov_b32 v7, v3 :: v_dual_mov_b32 v6, v2
	v_dual_mov_b32 v5, v1 :: v_dual_mov_b32 v4, v0
	v_add_f64 v[237:238], v[237:238], -v[134:135]
	v_fma_f64 v[142:143], v[144:145], v[140:141], v[142:143]
	s_delay_alu instid0(VALU_DEP_1)
	v_add_f64 v[239:240], v[239:240], -v[142:143]
	s_waitcnt vmcnt(0)
	v_add_f64 v[40:41], v[40:41], -v[128:129]
	v_add_f64 v[42:43], v[42:43], -v[130:131]
	scratch_store_b128 off, v[40:43], off offset:32 ; 16-byte Folded Spill
	scratch_load_b128 v[40:43], off, off offset:16 ; 16-byte Folded Reload
	s_waitcnt vmcnt(0)
	v_add_f64 v[40:41], v[40:41], -v[136:137]
	v_add_f64 v[42:43], v[42:43], -v[138:139]
	scratch_store_b128 off, v[40:43], off offset:16 ; 16-byte Folded Spill
	scratch_load_b128 v[40:43], off, off    ; 16-byte Folded Reload
	s_waitcnt vmcnt(0)
	v_add_f64 v[40:41], v[40:41], -v[158:159]
	v_add_f64 v[42:43], v[42:43], -v[160:161]
	scratch_store_b128 off, v[40:43], off   ; 16-byte Folded Spill
.LBB64_62:
	s_or_b32 exec_lo, exec_lo, s2
	v_lshl_add_u32 v40, v174, 4, v172
	s_waitcnt_vscnt null, 0x0
	s_barrier
	buffer_gl0_inv
	v_mov_b32_e32 v140, 3
	ds_store_2addr_b64 v40, v[124:125], v[126:127] offset1:1
	s_waitcnt lgkmcnt(0)
	s_barrier
	buffer_gl0_inv
	ds_load_2addr_b64 v[132:135], v172 offset0:6 offset1:7
	s_cmp_lt_i32 s5, 5
	s_mov_b32 s6, 4
	s_cbranch_scc1 .LBB64_65
; %bb.63:
	v_add3_u32 v141, v170, 0, 64
	v_mov_b32_e32 v140, 3
	s_set_inst_prefetch_distance 0x1
	.p2align	6
.LBB64_64:                              ; =>This Inner Loop Header: Depth=1
	ds_load_2addr_b64 v[142:145], v141 offset1:1
	s_waitcnt lgkmcnt(1)
	v_cmp_gt_f64_e32 vcc_lo, 0, v[132:133]
	v_xor_b32_e32 v40, 0x80000000, v133
	v_cmp_gt_f64_e64 s2, 0, v[134:135]
	v_xor_b32_e32 v42, 0x80000000, v135
	v_add_nc_u32_e32 v141, 16, v141
	s_waitcnt lgkmcnt(0)
	v_cmp_gt_f64_e64 s3, 0, v[142:143]
	v_mov_b32_e32 v52, v142
	v_dual_mov_b32 v54, v144 :: v_dual_cndmask_b32 v41, v133, v40
	v_xor_b32_e32 v40, 0x80000000, v143
	v_cndmask_b32_e64 v43, v135, v42, s2
	v_xor_b32_e32 v42, 0x80000000, v145
	s_delay_alu instid0(VALU_DEP_3) | instskip(SKIP_2) | instid1(VALU_DEP_2)
	v_cndmask_b32_e64 v53, v143, v40, s3
	v_cmp_gt_f64_e64 s3, 0, v[144:145]
	v_cndmask_b32_e32 v40, v132, v132, vcc_lo
	v_cndmask_b32_e64 v55, v145, v42, s3
	v_cndmask_b32_e64 v42, v134, v134, s2
	s_delay_alu instid0(VALU_DEP_2) | instskip(NEXT) | instid1(VALU_DEP_2)
	v_add_f64 v[52:53], v[52:53], v[54:55]
	v_add_f64 v[40:41], v[40:41], v[42:43]
	s_delay_alu instid0(VALU_DEP_1)
	v_cmp_lt_f64_e32 vcc_lo, v[40:41], v[52:53]
	v_cndmask_b32_e32 v135, v135, v145, vcc_lo
	v_dual_cndmask_b32 v133, v133, v143 :: v_dual_cndmask_b32 v132, v132, v142
	v_cndmask_b32_e32 v134, v134, v144, vcc_lo
	v_cndmask_b32_e64 v140, v140, s6, vcc_lo
	s_add_i32 s6, s6, 1
	s_delay_alu instid0(SALU_CYCLE_1)
	s_cmp_lg_u32 s5, s6
	s_cbranch_scc1 .LBB64_64
.LBB64_65:
	s_set_inst_prefetch_distance 0x2
	s_waitcnt lgkmcnt(0)
	v_cmp_eq_f64_e32 vcc_lo, 0, v[132:133]
	v_cmp_eq_f64_e64 s2, 0, v[134:135]
	s_delay_alu instid0(VALU_DEP_1) | instskip(NEXT) | instid1(SALU_CYCLE_1)
	s_and_b32 s2, vcc_lo, s2
	s_and_saveexec_b32 s3, s2
	s_delay_alu instid0(SALU_CYCLE_1)
	s_xor_b32 s2, exec_lo, s3
; %bb.66:
	v_cmp_ne_u32_e32 vcc_lo, 0, v255
	v_cndmask_b32_e32 v255, 4, v255, vcc_lo
; %bb.67:
	s_and_not1_saveexec_b32 s3, s2
	s_cbranch_execz .LBB64_73
; %bb.68:
	v_cmp_gt_f64_e32 vcc_lo, 0, v[132:133]
	v_cmp_gt_f64_e64 s2, 0, v[134:135]
	v_xor_b32_e32 v40, 0x80000000, v133
	v_xor_b32_e32 v42, 0x80000000, v135
	s_delay_alu instid0(VALU_DEP_2) | instskip(NEXT) | instid1(VALU_DEP_2)
	v_cndmask_b32_e32 v41, v133, v40, vcc_lo
	v_cndmask_b32_e64 v43, v135, v42, s2
	v_cndmask_b32_e32 v40, v132, v132, vcc_lo
	v_cndmask_b32_e64 v42, v134, v134, s2
	s_mov_b32 s2, exec_lo
	s_delay_alu instid0(VALU_DEP_1)
	v_cmpx_ngt_f64_e32 v[40:41], v[42:43]
	s_xor_b32 s2, exec_lo, s2
	s_cbranch_execz .LBB64_70
; %bb.69:
	v_div_scale_f64 v[40:41], null, v[134:135], v[134:135], v[132:133]
	v_div_scale_f64 v[54:55], vcc_lo, v[132:133], v[134:135], v[132:133]
	s_delay_alu instid0(VALU_DEP_2) | instskip(SKIP_2) | instid1(VALU_DEP_1)
	v_rcp_f64_e32 v[42:43], v[40:41]
	s_waitcnt_depctr 0xfff
	v_fma_f64 v[52:53], -v[40:41], v[42:43], 1.0
	v_fma_f64 v[42:43], v[42:43], v[52:53], v[42:43]
	s_delay_alu instid0(VALU_DEP_1) | instskip(NEXT) | instid1(VALU_DEP_1)
	v_fma_f64 v[52:53], -v[40:41], v[42:43], 1.0
	v_fma_f64 v[42:43], v[42:43], v[52:53], v[42:43]
	s_delay_alu instid0(VALU_DEP_1) | instskip(NEXT) | instid1(VALU_DEP_1)
	v_mul_f64 v[52:53], v[54:55], v[42:43]
	v_fma_f64 v[40:41], -v[40:41], v[52:53], v[54:55]
	s_delay_alu instid0(VALU_DEP_1) | instskip(NEXT) | instid1(VALU_DEP_1)
	v_div_fmas_f64 v[40:41], v[40:41], v[42:43], v[52:53]
	v_div_fixup_f64 v[40:41], v[40:41], v[134:135], v[132:133]
	s_delay_alu instid0(VALU_DEP_1) | instskip(NEXT) | instid1(VALU_DEP_1)
	v_fma_f64 v[42:43], v[132:133], v[40:41], v[134:135]
	v_div_scale_f64 v[52:53], null, v[42:43], v[42:43], 1.0
	s_delay_alu instid0(VALU_DEP_1) | instskip(SKIP_2) | instid1(VALU_DEP_1)
	v_rcp_f64_e32 v[54:55], v[52:53]
	s_waitcnt_depctr 0xfff
	v_fma_f64 v[104:105], -v[52:53], v[54:55], 1.0
	v_fma_f64 v[54:55], v[54:55], v[104:105], v[54:55]
	s_delay_alu instid0(VALU_DEP_1) | instskip(NEXT) | instid1(VALU_DEP_1)
	v_fma_f64 v[104:105], -v[52:53], v[54:55], 1.0
	v_fma_f64 v[54:55], v[54:55], v[104:105], v[54:55]
	v_div_scale_f64 v[104:105], vcc_lo, 1.0, v[42:43], 1.0
	s_delay_alu instid0(VALU_DEP_1) | instskip(NEXT) | instid1(VALU_DEP_1)
	v_mul_f64 v[106:107], v[104:105], v[54:55]
	v_fma_f64 v[52:53], -v[52:53], v[106:107], v[104:105]
	s_delay_alu instid0(VALU_DEP_1) | instskip(NEXT) | instid1(VALU_DEP_1)
	v_div_fmas_f64 v[52:53], v[52:53], v[54:55], v[106:107]
	v_div_fixup_f64 v[134:135], v[52:53], v[42:43], 1.0
	s_delay_alu instid0(VALU_DEP_1)
	v_mul_f64 v[132:133], v[40:41], v[134:135]
	v_xor_b32_e32 v135, 0x80000000, v135
.LBB64_70:
	s_and_not1_saveexec_b32 s2, s2
	s_cbranch_execz .LBB64_72
; %bb.71:
	s_delay_alu instid0(VALU_DEP_1) | instskip(SKIP_1) | instid1(VALU_DEP_2)
	v_div_scale_f64 v[40:41], null, v[132:133], v[132:133], v[134:135]
	v_div_scale_f64 v[54:55], vcc_lo, v[134:135], v[132:133], v[134:135]
	v_rcp_f64_e32 v[42:43], v[40:41]
	s_waitcnt_depctr 0xfff
	v_fma_f64 v[52:53], -v[40:41], v[42:43], 1.0
	s_delay_alu instid0(VALU_DEP_1) | instskip(NEXT) | instid1(VALU_DEP_1)
	v_fma_f64 v[42:43], v[42:43], v[52:53], v[42:43]
	v_fma_f64 v[52:53], -v[40:41], v[42:43], 1.0
	s_delay_alu instid0(VALU_DEP_1) | instskip(NEXT) | instid1(VALU_DEP_1)
	v_fma_f64 v[42:43], v[42:43], v[52:53], v[42:43]
	v_mul_f64 v[52:53], v[54:55], v[42:43]
	s_delay_alu instid0(VALU_DEP_1) | instskip(NEXT) | instid1(VALU_DEP_1)
	v_fma_f64 v[40:41], -v[40:41], v[52:53], v[54:55]
	v_div_fmas_f64 v[40:41], v[40:41], v[42:43], v[52:53]
	s_delay_alu instid0(VALU_DEP_1) | instskip(NEXT) | instid1(VALU_DEP_1)
	v_div_fixup_f64 v[40:41], v[40:41], v[132:133], v[134:135]
	v_fma_f64 v[42:43], v[134:135], v[40:41], v[132:133]
	s_delay_alu instid0(VALU_DEP_1) | instskip(NEXT) | instid1(VALU_DEP_1)
	v_div_scale_f64 v[52:53], null, v[42:43], v[42:43], 1.0
	v_rcp_f64_e32 v[54:55], v[52:53]
	s_waitcnt_depctr 0xfff
	v_fma_f64 v[104:105], -v[52:53], v[54:55], 1.0
	s_delay_alu instid0(VALU_DEP_1) | instskip(NEXT) | instid1(VALU_DEP_1)
	v_fma_f64 v[54:55], v[54:55], v[104:105], v[54:55]
	v_fma_f64 v[104:105], -v[52:53], v[54:55], 1.0
	s_delay_alu instid0(VALU_DEP_1) | instskip(SKIP_1) | instid1(VALU_DEP_1)
	v_fma_f64 v[54:55], v[54:55], v[104:105], v[54:55]
	v_div_scale_f64 v[104:105], vcc_lo, 1.0, v[42:43], 1.0
	v_mul_f64 v[106:107], v[104:105], v[54:55]
	s_delay_alu instid0(VALU_DEP_1) | instskip(NEXT) | instid1(VALU_DEP_1)
	v_fma_f64 v[52:53], -v[52:53], v[106:107], v[104:105]
	v_div_fmas_f64 v[52:53], v[52:53], v[54:55], v[106:107]
	s_delay_alu instid0(VALU_DEP_1) | instskip(NEXT) | instid1(VALU_DEP_1)
	v_div_fixup_f64 v[132:133], v[52:53], v[42:43], 1.0
	v_mul_f64 v[134:135], v[40:41], -v[132:133]
.LBB64_72:
	s_or_b32 exec_lo, exec_lo, s2
.LBB64_73:
	s_delay_alu instid0(SALU_CYCLE_1) | instskip(NEXT) | instid1(SALU_CYCLE_1)
	s_or_b32 exec_lo, exec_lo, s3
	s_mov_b32 s2, exec_lo
	v_cmpx_ne_u32_e64 v174, v140
	s_xor_b32 s2, exec_lo, s2
	s_cbranch_execz .LBB64_79
; %bb.74:
	s_mov_b32 s3, exec_lo
	v_cmpx_eq_u32_e32 3, v174
	s_cbranch_execz .LBB64_78
; %bb.75:
	v_cmp_ne_u32_e32 vcc_lo, 3, v140
	s_xor_b32 s6, s4, -1
	s_delay_alu instid0(SALU_CYCLE_1) | instskip(NEXT) | instid1(SALU_CYCLE_1)
	s_and_b32 s7, s6, vcc_lo
	s_and_saveexec_b32 s6, s7
	s_cbranch_execz .LBB64_77
; %bb.76:
	scratch_load_b64 v[0:1], off, off offset:48 ; 8-byte Folded Reload
	v_ashrrev_i32_e32 v141, 31, v140
	s_delay_alu instid0(VALU_DEP_1) | instskip(SKIP_1) | instid1(VALU_DEP_1)
	v_lshlrev_b64 v[40:41], 2, v[140:141]
	s_waitcnt vmcnt(0)
	v_add_co_u32 v40, vcc_lo, v0, v40
	s_delay_alu instid0(VALU_DEP_2)
	v_add_co_ci_u32_e32 v41, vcc_lo, v1, v41, vcc_lo
	s_clause 0x1
	flat_load_b32 v42, v[40:41]
	flat_load_b32 v43, v[0:1] offset:12
	s_waitcnt vmcnt(1) lgkmcnt(1)
	flat_store_b32 v[0:1], v42 offset:12
	s_waitcnt vmcnt(0) lgkmcnt(1)
	flat_store_b32 v[40:41], v43
.LBB64_77:
	s_or_b32 exec_lo, exec_lo, s6
	v_mov_b32_e32 v174, v140
	v_mov_b32_e32 v173, v140
.LBB64_78:
	s_or_b32 exec_lo, exec_lo, s3
.LBB64_79:
	s_and_not1_saveexec_b32 s2, s2
	s_cbranch_execz .LBB64_81
; %bb.80:
	ds_store_2addr_b64 v172, v[116:117], v[118:119] offset0:8 offset1:9
	ds_store_2addr_b64 v172, v[247:248], v[249:250] offset0:10 offset1:11
	scratch_load_b128 v[0:3], off, off offset:32 ; 16-byte Folded Reload
	v_mov_b32_e32 v174, 3
	s_waitcnt vmcnt(0)
	ds_store_2addr_b64 v172, v[0:1], v[2:3] offset0:12 offset1:13
	scratch_load_b128 v[0:3], off, off offset:16 ; 16-byte Folded Reload
	s_waitcnt vmcnt(0)
	ds_store_2addr_b64 v172, v[0:1], v[2:3] offset0:14 offset1:15
	ds_store_2addr_b64 v172, v[251:252], v[253:254] offset0:16 offset1:17
	;; [unrolled: 1-line block ×4, first 2 shown]
	scratch_load_b128 v[0:3], off, off      ; 16-byte Folded Reload
	s_waitcnt vmcnt(0)
	ds_store_2addr_b64 v172, v[0:1], v[2:3] offset0:22 offset1:23
	ds_store_2addr_b64 v172, v[96:97], v[98:99] offset0:24 offset1:25
	ds_store_2addr_b64 v172, v[84:85], v[86:87] offset0:26 offset1:27
	ds_store_2addr_b64 v172, v[80:81], v[82:83] offset0:28 offset1:29
	ds_store_2addr_b64 v172, v[76:77], v[78:79] offset0:30 offset1:31
	ds_store_2addr_b64 v172, v[72:73], v[74:75] offset0:32 offset1:33
	ds_store_2addr_b64 v172, v[68:69], v[70:71] offset0:34 offset1:35
	ds_store_2addr_b64 v172, v[64:65], v[66:67] offset0:36 offset1:37
	ds_store_2addr_b64 v172, v[60:61], v[62:63] offset0:38 offset1:39
	ds_store_2addr_b64 v172, v[56:57], v[58:59] offset0:40 offset1:41
	ds_store_2addr_b64 v172, v[48:49], v[50:51] offset0:42 offset1:43
	ds_store_2addr_b64 v172, v[44:45], v[46:47] offset0:44 offset1:45
	ds_store_2addr_b64 v172, v[36:37], v[38:39] offset0:46 offset1:47
	ds_store_2addr_b64 v172, v[32:33], v[34:35] offset0:48 offset1:49
	ds_store_2addr_b64 v172, v[28:29], v[30:31] offset0:50 offset1:51
	ds_store_2addr_b64 v172, v[24:25], v[26:27] offset0:52 offset1:53
	ds_store_2addr_b64 v172, v[20:21], v[22:23] offset0:54 offset1:55
	ds_store_2addr_b64 v172, v[16:17], v[18:19] offset0:56 offset1:57
	ds_store_2addr_b64 v172, v[12:13], v[14:15] offset0:58 offset1:59
	ds_store_2addr_b64 v172, v[8:9], v[10:11] offset0:60 offset1:61
	ds_store_2addr_b64 v172, v[243:244], v[245:246] offset0:62 offset1:63
	ds_store_2addr_b64 v172, v[237:238], v[239:240] offset0:64 offset1:65
.LBB64_81:
	s_or_b32 exec_lo, exec_lo, s2
	s_delay_alu instid0(SALU_CYCLE_1)
	s_mov_b32 s2, exec_lo
	s_waitcnt lgkmcnt(0)
	s_waitcnt_vscnt null, 0x0
	s_barrier
	buffer_gl0_inv
	v_cmpx_lt_i32_e32 3, v174
	s_cbranch_execz .LBB64_83
; %bb.82:
	v_mul_f64 v[40:41], v[134:135], v[126:127]
	v_dual_mov_b32 v0, v237 :: v_dual_mov_b32 v1, v238
	v_dual_mov_b32 v2, v239 :: v_dual_mov_b32 v3, v240
	s_delay_alu instid0(VALU_DEP_3) | instskip(SKIP_1) | instid1(VALU_DEP_1)
	v_fma_f64 v[140:141], v[132:133], v[124:125], -v[40:41]
	v_mul_f64 v[40:41], v[132:133], v[126:127]
	v_fma_f64 v[126:127], v[134:135], v[124:125], v[40:41]
	ds_load_2addr_b64 v[132:135], v172 offset0:8 offset1:9
	ds_load_2addr_b64 v[142:145], v172 offset0:10 offset1:11
	v_dual_mov_b32 v124, v140 :: v_dual_mov_b32 v125, v141
	s_waitcnt lgkmcnt(1)
	v_mul_f64 v[40:41], v[134:135], v[126:127]
	v_mul_f64 v[42:43], v[132:133], v[126:127]
	s_waitcnt lgkmcnt(0)
	v_mul_f64 v[52:53], v[144:145], v[126:127]
	v_mul_f64 v[54:55], v[142:143], v[126:127]
	s_delay_alu instid0(VALU_DEP_4) | instskip(NEXT) | instid1(VALU_DEP_4)
	v_fma_f64 v[40:41], v[132:133], v[140:141], -v[40:41]
	v_fma_f64 v[42:43], v[134:135], v[140:141], v[42:43]
	s_delay_alu instid0(VALU_DEP_4) | instskip(NEXT) | instid1(VALU_DEP_4)
	v_fma_f64 v[52:53], v[142:143], v[140:141], -v[52:53]
	v_fma_f64 v[54:55], v[144:145], v[140:141], v[54:55]
	ds_load_2addr_b64 v[132:135], v172 offset0:12 offset1:13
	ds_load_2addr_b64 v[142:145], v172 offset0:14 offset1:15
	s_waitcnt lgkmcnt(1)
	v_mul_f64 v[104:105], v[134:135], v[126:127]
	v_mul_f64 v[106:107], v[132:133], v[126:127]
	s_waitcnt lgkmcnt(0)
	v_mul_f64 v[128:129], v[144:145], v[126:127]
	v_mul_f64 v[130:131], v[142:143], v[126:127]
	v_add_f64 v[116:117], v[116:117], -v[40:41]
	v_add_f64 v[118:119], v[118:119], -v[42:43]
	;; [unrolled: 1-line block ×4, first 2 shown]
	v_fma_f64 v[104:105], v[132:133], v[140:141], -v[104:105]
	v_fma_f64 v[106:107], v[134:135], v[140:141], v[106:107]
	v_fma_f64 v[128:129], v[142:143], v[140:141], -v[128:129]
	v_fma_f64 v[130:131], v[144:145], v[140:141], v[130:131]
	ds_load_2addr_b64 v[132:135], v172 offset0:16 offset1:17
	ds_load_2addr_b64 v[142:145], v172 offset0:18 offset1:19
	s_waitcnt lgkmcnt(1)
	v_mul_f64 v[136:137], v[134:135], v[126:127]
	s_delay_alu instid0(VALU_DEP_1) | instskip(SKIP_1) | instid1(VALU_DEP_2)
	v_fma_f64 v[136:137], v[132:133], v[140:141], -v[136:137]
	v_mul_f64 v[132:133], v[132:133], v[126:127]
	v_add_f64 v[251:252], v[251:252], -v[136:137]
	s_delay_alu instid0(VALU_DEP_2) | instskip(SKIP_2) | instid1(VALU_DEP_2)
	v_fma_f64 v[138:139], v[134:135], v[140:141], v[132:133]
	s_waitcnt lgkmcnt(0)
	v_mul_f64 v[132:133], v[144:145], v[126:127]
	v_add_f64 v[253:254], v[253:254], -v[138:139]
	s_delay_alu instid0(VALU_DEP_2) | instskip(SKIP_1) | instid1(VALU_DEP_2)
	v_fma_f64 v[146:147], v[142:143], v[140:141], -v[132:133]
	v_mul_f64 v[132:133], v[142:143], v[126:127]
	v_add_f64 v[120:121], v[120:121], -v[146:147]
	s_delay_alu instid0(VALU_DEP_2)
	v_fma_f64 v[148:149], v[144:145], v[140:141], v[132:133]
	ds_load_2addr_b64 v[132:135], v172 offset0:20 offset1:21
	ds_load_2addr_b64 v[142:145], v172 offset0:22 offset1:23
	s_waitcnt lgkmcnt(1)
	v_mul_f64 v[150:151], v[134:135], v[126:127]
	v_add_f64 v[122:123], v[122:123], -v[148:149]
	s_delay_alu instid0(VALU_DEP_2) | instskip(SKIP_1) | instid1(VALU_DEP_2)
	v_fma_f64 v[150:151], v[132:133], v[140:141], -v[150:151]
	v_mul_f64 v[132:133], v[132:133], v[126:127]
	v_add_f64 v[4:5], v[4:5], -v[150:151]
	s_delay_alu instid0(VALU_DEP_2) | instskip(SKIP_2) | instid1(VALU_DEP_2)
	v_fma_f64 v[152:153], v[134:135], v[140:141], v[132:133]
	s_waitcnt lgkmcnt(0)
	v_mul_f64 v[132:133], v[144:145], v[126:127]
	v_add_f64 v[6:7], v[6:7], -v[152:153]
	s_delay_alu instid0(VALU_DEP_2) | instskip(SKIP_1) | instid1(VALU_DEP_1)
	v_fma_f64 v[154:155], v[142:143], v[140:141], -v[132:133]
	v_mul_f64 v[132:133], v[142:143], v[126:127]
	v_fma_f64 v[156:157], v[144:145], v[140:141], v[132:133]
	ds_load_2addr_b64 v[132:135], v172 offset0:24 offset1:25
	ds_load_2addr_b64 v[142:145], v172 offset0:26 offset1:27
	s_waitcnt lgkmcnt(1)
	v_mul_f64 v[158:159], v[134:135], v[126:127]
	s_delay_alu instid0(VALU_DEP_1) | instskip(SKIP_1) | instid1(VALU_DEP_2)
	v_fma_f64 v[158:159], v[132:133], v[140:141], -v[158:159]
	v_mul_f64 v[132:133], v[132:133], v[126:127]
	v_add_f64 v[96:97], v[96:97], -v[158:159]
	s_delay_alu instid0(VALU_DEP_2) | instskip(SKIP_2) | instid1(VALU_DEP_2)
	v_fma_f64 v[160:161], v[134:135], v[140:141], v[132:133]
	s_waitcnt lgkmcnt(0)
	v_mul_f64 v[132:133], v[144:145], v[126:127]
	v_add_f64 v[98:99], v[98:99], -v[160:161]
	s_delay_alu instid0(VALU_DEP_2) | instskip(SKIP_1) | instid1(VALU_DEP_2)
	v_fma_f64 v[162:163], v[142:143], v[140:141], -v[132:133]
	v_mul_f64 v[132:133], v[142:143], v[126:127]
	v_add_f64 v[84:85], v[84:85], -v[162:163]
	s_delay_alu instid0(VALU_DEP_2)
	v_fma_f64 v[164:165], v[144:145], v[140:141], v[132:133]
	ds_load_2addr_b64 v[132:135], v172 offset0:28 offset1:29
	ds_load_2addr_b64 v[142:145], v172 offset0:30 offset1:31
	s_waitcnt lgkmcnt(1)
	v_mul_f64 v[166:167], v[134:135], v[126:127]
	v_add_f64 v[86:87], v[86:87], -v[164:165]
	s_delay_alu instid0(VALU_DEP_2) | instskip(SKIP_1) | instid1(VALU_DEP_2)
	v_fma_f64 v[166:167], v[132:133], v[140:141], -v[166:167]
	v_mul_f64 v[132:133], v[132:133], v[126:127]
	v_add_f64 v[80:81], v[80:81], -v[166:167]
	s_delay_alu instid0(VALU_DEP_2) | instskip(SKIP_2) | instid1(VALU_DEP_2)
	v_fma_f64 v[175:176], v[134:135], v[140:141], v[132:133]
	s_waitcnt lgkmcnt(0)
	v_mul_f64 v[132:133], v[144:145], v[126:127]
	v_add_f64 v[82:83], v[82:83], -v[175:176]
	s_delay_alu instid0(VALU_DEP_2) | instskip(SKIP_1) | instid1(VALU_DEP_2)
	v_fma_f64 v[177:178], v[142:143], v[140:141], -v[132:133]
	v_mul_f64 v[132:133], v[142:143], v[126:127]
	v_add_f64 v[76:77], v[76:77], -v[177:178]
	s_delay_alu instid0(VALU_DEP_2)
	v_fma_f64 v[179:180], v[144:145], v[140:141], v[132:133]
	ds_load_2addr_b64 v[132:135], v172 offset0:32 offset1:33
	ds_load_2addr_b64 v[142:145], v172 offset0:34 offset1:35
	s_waitcnt lgkmcnt(1)
	v_mul_f64 v[181:182], v[134:135], v[126:127]
	v_add_f64 v[78:79], v[78:79], -v[179:180]
	s_delay_alu instid0(VALU_DEP_2) | instskip(SKIP_1) | instid1(VALU_DEP_2)
	;; [unrolled: 20-line block ×8, first 2 shown]
	v_fma_f64 v[229:230], v[132:133], v[140:141], -v[229:230]
	v_mul_f64 v[132:133], v[132:133], v[126:127]
	v_add_f64 v[16:17], v[16:17], -v[229:230]
	s_delay_alu instid0(VALU_DEP_2) | instskip(SKIP_2) | instid1(VALU_DEP_2)
	v_fma_f64 v[231:232], v[134:135], v[140:141], v[132:133]
	s_waitcnt lgkmcnt(0)
	v_mul_f64 v[132:133], v[144:145], v[126:127]
	v_add_f64 v[18:19], v[18:19], -v[231:232]
	s_delay_alu instid0(VALU_DEP_2) | instskip(SKIP_1) | instid1(VALU_DEP_2)
	v_fma_f64 v[233:234], v[142:143], v[140:141], -v[132:133]
	v_mul_f64 v[132:133], v[142:143], v[126:127]
	v_add_f64 v[12:13], v[12:13], -v[233:234]
	s_delay_alu instid0(VALU_DEP_2)
	v_fma_f64 v[235:236], v[144:145], v[140:141], v[132:133]
	ds_load_2addr_b64 v[132:135], v172 offset0:60 offset1:61
	ds_load_2addr_b64 v[142:145], v172 offset0:62 offset1:63
	scratch_load_b128 v[40:43], off, off offset:32 ; 16-byte Folded Reload
	s_waitcnt lgkmcnt(1)
	v_mul_f64 v[237:238], v[134:135], v[126:127]
	v_add_f64 v[14:15], v[14:15], -v[235:236]
	s_delay_alu instid0(VALU_DEP_2) | instskip(SKIP_1) | instid1(VALU_DEP_2)
	v_fma_f64 v[237:238], v[132:133], v[140:141], -v[237:238]
	v_mul_f64 v[132:133], v[132:133], v[126:127]
	v_add_f64 v[8:9], v[8:9], -v[237:238]
	s_delay_alu instid0(VALU_DEP_2) | instskip(SKIP_2) | instid1(VALU_DEP_2)
	v_fma_f64 v[239:240], v[134:135], v[140:141], v[132:133]
	s_waitcnt lgkmcnt(0)
	v_mul_f64 v[132:133], v[144:145], v[126:127]
	v_add_f64 v[10:11], v[10:11], -v[239:240]
	s_delay_alu instid0(VALU_DEP_2) | instskip(SKIP_3) | instid1(VALU_DEP_4)
	v_fma_f64 v[241:242], v[142:143], v[140:141], -v[132:133]
	v_mul_f64 v[132:133], v[142:143], v[126:127]
	v_dual_mov_b32 v240, v3 :: v_dual_mov_b32 v239, v2
	v_dual_mov_b32 v238, v1 :: v_dual_mov_b32 v237, v0
	v_add_f64 v[243:244], v[243:244], -v[241:242]
	s_delay_alu instid0(VALU_DEP_4) | instskip(SKIP_4) | instid1(VALU_DEP_2)
	v_fma_f64 v[142:143], v[144:145], v[140:141], v[132:133]
	ds_load_2addr_b64 v[132:135], v172 offset0:64 offset1:65
	s_waitcnt lgkmcnt(0)
	v_mul_f64 v[144:145], v[134:135], v[126:127]
	v_add_f64 v[245:246], v[245:246], -v[142:143]
	v_fma_f64 v[144:145], v[132:133], v[140:141], -v[144:145]
	v_mul_f64 v[132:133], v[132:133], v[126:127]
	s_delay_alu instid0(VALU_DEP_2) | instskip(NEXT) | instid1(VALU_DEP_2)
	v_add_f64 v[237:238], v[237:238], -v[144:145]
	v_fma_f64 v[132:133], v[134:135], v[140:141], v[132:133]
	s_delay_alu instid0(VALU_DEP_1)
	v_add_f64 v[239:240], v[239:240], -v[132:133]
	s_waitcnt vmcnt(0)
	v_add_f64 v[40:41], v[40:41], -v[104:105]
	v_add_f64 v[42:43], v[42:43], -v[106:107]
	scratch_store_b128 off, v[40:43], off offset:32 ; 16-byte Folded Spill
	scratch_load_b128 v[40:43], off, off offset:16 ; 16-byte Folded Reload
	s_waitcnt vmcnt(0)
	v_add_f64 v[40:41], v[40:41], -v[128:129]
	v_add_f64 v[42:43], v[42:43], -v[130:131]
	scratch_store_b128 off, v[40:43], off offset:16 ; 16-byte Folded Spill
	scratch_load_b128 v[40:43], off, off    ; 16-byte Folded Reload
	s_waitcnt vmcnt(0)
	v_add_f64 v[40:41], v[40:41], -v[154:155]
	v_add_f64 v[42:43], v[42:43], -v[156:157]
	scratch_store_b128 off, v[40:43], off   ; 16-byte Folded Spill
.LBB64_83:
	s_or_b32 exec_lo, exec_lo, s2
	v_lshl_add_u32 v40, v174, 4, v172
	s_waitcnt_vscnt null, 0x0
	s_barrier
	buffer_gl0_inv
	v_mov_b32_e32 v140, 4
	ds_store_2addr_b64 v40, v[116:117], v[118:119] offset1:1
	s_waitcnt lgkmcnt(0)
	s_barrier
	buffer_gl0_inv
	ds_load_2addr_b64 v[132:135], v172 offset0:8 offset1:9
	s_cmp_lt_i32 s5, 6
	s_cbranch_scc1 .LBB64_86
; %bb.84:
	v_add3_u32 v141, v170, 0, 0x50
	v_mov_b32_e32 v140, 4
	s_mov_b32 s6, 5
	s_set_inst_prefetch_distance 0x1
	.p2align	6
.LBB64_85:                              ; =>This Inner Loop Header: Depth=1
	ds_load_2addr_b64 v[142:145], v141 offset1:1
	s_waitcnt lgkmcnt(1)
	v_cmp_gt_f64_e32 vcc_lo, 0, v[132:133]
	v_xor_b32_e32 v40, 0x80000000, v133
	v_cmp_gt_f64_e64 s2, 0, v[134:135]
	v_xor_b32_e32 v42, 0x80000000, v135
	v_add_nc_u32_e32 v141, 16, v141
	s_waitcnt lgkmcnt(0)
	v_cmp_gt_f64_e64 s3, 0, v[142:143]
	v_mov_b32_e32 v52, v142
	v_dual_mov_b32 v54, v144 :: v_dual_cndmask_b32 v41, v133, v40
	v_xor_b32_e32 v40, 0x80000000, v143
	v_cndmask_b32_e64 v43, v135, v42, s2
	v_xor_b32_e32 v42, 0x80000000, v145
	s_delay_alu instid0(VALU_DEP_3) | instskip(SKIP_2) | instid1(VALU_DEP_2)
	v_cndmask_b32_e64 v53, v143, v40, s3
	v_cmp_gt_f64_e64 s3, 0, v[144:145]
	v_cndmask_b32_e32 v40, v132, v132, vcc_lo
	v_cndmask_b32_e64 v55, v145, v42, s3
	v_cndmask_b32_e64 v42, v134, v134, s2
	s_delay_alu instid0(VALU_DEP_2) | instskip(NEXT) | instid1(VALU_DEP_2)
	v_add_f64 v[52:53], v[52:53], v[54:55]
	v_add_f64 v[40:41], v[40:41], v[42:43]
	s_delay_alu instid0(VALU_DEP_1)
	v_cmp_lt_f64_e32 vcc_lo, v[40:41], v[52:53]
	v_cndmask_b32_e32 v135, v135, v145, vcc_lo
	v_dual_cndmask_b32 v133, v133, v143 :: v_dual_cndmask_b32 v132, v132, v142
	v_cndmask_b32_e32 v134, v134, v144, vcc_lo
	v_cndmask_b32_e64 v140, v140, s6, vcc_lo
	s_add_i32 s6, s6, 1
	s_delay_alu instid0(SALU_CYCLE_1)
	s_cmp_lg_u32 s5, s6
	s_cbranch_scc1 .LBB64_85
.LBB64_86:
	s_set_inst_prefetch_distance 0x2
	s_waitcnt lgkmcnt(0)
	v_cmp_eq_f64_e32 vcc_lo, 0, v[132:133]
	v_cmp_eq_f64_e64 s2, 0, v[134:135]
	s_delay_alu instid0(VALU_DEP_1) | instskip(NEXT) | instid1(SALU_CYCLE_1)
	s_and_b32 s2, vcc_lo, s2
	s_and_saveexec_b32 s3, s2
	s_delay_alu instid0(SALU_CYCLE_1)
	s_xor_b32 s2, exec_lo, s3
; %bb.87:
	v_cmp_ne_u32_e32 vcc_lo, 0, v255
	v_cndmask_b32_e32 v255, 5, v255, vcc_lo
; %bb.88:
	s_and_not1_saveexec_b32 s3, s2
	s_cbranch_execz .LBB64_94
; %bb.89:
	v_cmp_gt_f64_e32 vcc_lo, 0, v[132:133]
	v_cmp_gt_f64_e64 s2, 0, v[134:135]
	v_xor_b32_e32 v40, 0x80000000, v133
	v_xor_b32_e32 v42, 0x80000000, v135
	s_delay_alu instid0(VALU_DEP_2) | instskip(NEXT) | instid1(VALU_DEP_2)
	v_cndmask_b32_e32 v41, v133, v40, vcc_lo
	v_cndmask_b32_e64 v43, v135, v42, s2
	v_cndmask_b32_e32 v40, v132, v132, vcc_lo
	v_cndmask_b32_e64 v42, v134, v134, s2
	s_mov_b32 s2, exec_lo
	s_delay_alu instid0(VALU_DEP_1)
	v_cmpx_ngt_f64_e32 v[40:41], v[42:43]
	s_xor_b32 s2, exec_lo, s2
	s_cbranch_execz .LBB64_91
; %bb.90:
	v_div_scale_f64 v[40:41], null, v[134:135], v[134:135], v[132:133]
	v_div_scale_f64 v[54:55], vcc_lo, v[132:133], v[134:135], v[132:133]
	s_delay_alu instid0(VALU_DEP_2) | instskip(SKIP_2) | instid1(VALU_DEP_1)
	v_rcp_f64_e32 v[42:43], v[40:41]
	s_waitcnt_depctr 0xfff
	v_fma_f64 v[52:53], -v[40:41], v[42:43], 1.0
	v_fma_f64 v[42:43], v[42:43], v[52:53], v[42:43]
	s_delay_alu instid0(VALU_DEP_1) | instskip(NEXT) | instid1(VALU_DEP_1)
	v_fma_f64 v[52:53], -v[40:41], v[42:43], 1.0
	v_fma_f64 v[42:43], v[42:43], v[52:53], v[42:43]
	s_delay_alu instid0(VALU_DEP_1) | instskip(NEXT) | instid1(VALU_DEP_1)
	v_mul_f64 v[52:53], v[54:55], v[42:43]
	v_fma_f64 v[40:41], -v[40:41], v[52:53], v[54:55]
	s_delay_alu instid0(VALU_DEP_1) | instskip(NEXT) | instid1(VALU_DEP_1)
	v_div_fmas_f64 v[40:41], v[40:41], v[42:43], v[52:53]
	v_div_fixup_f64 v[40:41], v[40:41], v[134:135], v[132:133]
	s_delay_alu instid0(VALU_DEP_1) | instskip(NEXT) | instid1(VALU_DEP_1)
	v_fma_f64 v[42:43], v[132:133], v[40:41], v[134:135]
	v_div_scale_f64 v[52:53], null, v[42:43], v[42:43], 1.0
	s_delay_alu instid0(VALU_DEP_1) | instskip(SKIP_2) | instid1(VALU_DEP_1)
	v_rcp_f64_e32 v[54:55], v[52:53]
	s_waitcnt_depctr 0xfff
	v_fma_f64 v[104:105], -v[52:53], v[54:55], 1.0
	v_fma_f64 v[54:55], v[54:55], v[104:105], v[54:55]
	s_delay_alu instid0(VALU_DEP_1) | instskip(NEXT) | instid1(VALU_DEP_1)
	v_fma_f64 v[104:105], -v[52:53], v[54:55], 1.0
	v_fma_f64 v[54:55], v[54:55], v[104:105], v[54:55]
	v_div_scale_f64 v[104:105], vcc_lo, 1.0, v[42:43], 1.0
	s_delay_alu instid0(VALU_DEP_1) | instskip(NEXT) | instid1(VALU_DEP_1)
	v_mul_f64 v[106:107], v[104:105], v[54:55]
	v_fma_f64 v[52:53], -v[52:53], v[106:107], v[104:105]
	s_delay_alu instid0(VALU_DEP_1) | instskip(NEXT) | instid1(VALU_DEP_1)
	v_div_fmas_f64 v[52:53], v[52:53], v[54:55], v[106:107]
	v_div_fixup_f64 v[134:135], v[52:53], v[42:43], 1.0
	s_delay_alu instid0(VALU_DEP_1)
	v_mul_f64 v[132:133], v[40:41], v[134:135]
	v_xor_b32_e32 v135, 0x80000000, v135
.LBB64_91:
	s_and_not1_saveexec_b32 s2, s2
	s_cbranch_execz .LBB64_93
; %bb.92:
	s_delay_alu instid0(VALU_DEP_1) | instskip(SKIP_1) | instid1(VALU_DEP_2)
	v_div_scale_f64 v[40:41], null, v[132:133], v[132:133], v[134:135]
	v_div_scale_f64 v[54:55], vcc_lo, v[134:135], v[132:133], v[134:135]
	v_rcp_f64_e32 v[42:43], v[40:41]
	s_waitcnt_depctr 0xfff
	v_fma_f64 v[52:53], -v[40:41], v[42:43], 1.0
	s_delay_alu instid0(VALU_DEP_1) | instskip(NEXT) | instid1(VALU_DEP_1)
	v_fma_f64 v[42:43], v[42:43], v[52:53], v[42:43]
	v_fma_f64 v[52:53], -v[40:41], v[42:43], 1.0
	s_delay_alu instid0(VALU_DEP_1) | instskip(NEXT) | instid1(VALU_DEP_1)
	v_fma_f64 v[42:43], v[42:43], v[52:53], v[42:43]
	v_mul_f64 v[52:53], v[54:55], v[42:43]
	s_delay_alu instid0(VALU_DEP_1) | instskip(NEXT) | instid1(VALU_DEP_1)
	v_fma_f64 v[40:41], -v[40:41], v[52:53], v[54:55]
	v_div_fmas_f64 v[40:41], v[40:41], v[42:43], v[52:53]
	s_delay_alu instid0(VALU_DEP_1) | instskip(NEXT) | instid1(VALU_DEP_1)
	v_div_fixup_f64 v[40:41], v[40:41], v[132:133], v[134:135]
	v_fma_f64 v[42:43], v[134:135], v[40:41], v[132:133]
	s_delay_alu instid0(VALU_DEP_1) | instskip(NEXT) | instid1(VALU_DEP_1)
	v_div_scale_f64 v[52:53], null, v[42:43], v[42:43], 1.0
	v_rcp_f64_e32 v[54:55], v[52:53]
	s_waitcnt_depctr 0xfff
	v_fma_f64 v[104:105], -v[52:53], v[54:55], 1.0
	s_delay_alu instid0(VALU_DEP_1) | instskip(NEXT) | instid1(VALU_DEP_1)
	v_fma_f64 v[54:55], v[54:55], v[104:105], v[54:55]
	v_fma_f64 v[104:105], -v[52:53], v[54:55], 1.0
	s_delay_alu instid0(VALU_DEP_1) | instskip(SKIP_1) | instid1(VALU_DEP_1)
	v_fma_f64 v[54:55], v[54:55], v[104:105], v[54:55]
	v_div_scale_f64 v[104:105], vcc_lo, 1.0, v[42:43], 1.0
	v_mul_f64 v[106:107], v[104:105], v[54:55]
	s_delay_alu instid0(VALU_DEP_1) | instskip(NEXT) | instid1(VALU_DEP_1)
	v_fma_f64 v[52:53], -v[52:53], v[106:107], v[104:105]
	v_div_fmas_f64 v[52:53], v[52:53], v[54:55], v[106:107]
	s_delay_alu instid0(VALU_DEP_1) | instskip(NEXT) | instid1(VALU_DEP_1)
	v_div_fixup_f64 v[132:133], v[52:53], v[42:43], 1.0
	v_mul_f64 v[134:135], v[40:41], -v[132:133]
.LBB64_93:
	s_or_b32 exec_lo, exec_lo, s2
.LBB64_94:
	s_delay_alu instid0(SALU_CYCLE_1) | instskip(NEXT) | instid1(SALU_CYCLE_1)
	s_or_b32 exec_lo, exec_lo, s3
	s_mov_b32 s2, exec_lo
	v_cmpx_ne_u32_e64 v174, v140
	s_xor_b32 s2, exec_lo, s2
	s_cbranch_execz .LBB64_100
; %bb.95:
	s_mov_b32 s3, exec_lo
	v_cmpx_eq_u32_e32 4, v174
	s_cbranch_execz .LBB64_99
; %bb.96:
	v_cmp_ne_u32_e32 vcc_lo, 4, v140
	s_xor_b32 s6, s4, -1
	s_delay_alu instid0(SALU_CYCLE_1) | instskip(NEXT) | instid1(SALU_CYCLE_1)
	s_and_b32 s7, s6, vcc_lo
	s_and_saveexec_b32 s6, s7
	s_cbranch_execz .LBB64_98
; %bb.97:
	scratch_load_b64 v[0:1], off, off offset:48 ; 8-byte Folded Reload
	v_ashrrev_i32_e32 v141, 31, v140
	s_delay_alu instid0(VALU_DEP_1) | instskip(SKIP_1) | instid1(VALU_DEP_1)
	v_lshlrev_b64 v[40:41], 2, v[140:141]
	s_waitcnt vmcnt(0)
	v_add_co_u32 v40, vcc_lo, v0, v40
	s_delay_alu instid0(VALU_DEP_2)
	v_add_co_ci_u32_e32 v41, vcc_lo, v1, v41, vcc_lo
	s_clause 0x1
	flat_load_b32 v42, v[40:41]
	flat_load_b32 v43, v[0:1] offset:16
	s_waitcnt vmcnt(1) lgkmcnt(1)
	flat_store_b32 v[0:1], v42 offset:16
	s_waitcnt vmcnt(0) lgkmcnt(1)
	flat_store_b32 v[40:41], v43
.LBB64_98:
	s_or_b32 exec_lo, exec_lo, s6
	v_mov_b32_e32 v174, v140
	v_mov_b32_e32 v173, v140
.LBB64_99:
	s_or_b32 exec_lo, exec_lo, s3
.LBB64_100:
	s_and_not1_saveexec_b32 s2, s2
	s_cbranch_execz .LBB64_102
; %bb.101:
	scratch_load_b128 v[0:3], off, off offset:32 ; 16-byte Folded Reload
	ds_store_2addr_b64 v172, v[247:248], v[249:250] offset0:10 offset1:11
	v_mov_b32_e32 v174, 4
	s_waitcnt vmcnt(0)
	ds_store_2addr_b64 v172, v[0:1], v[2:3] offset0:12 offset1:13
	scratch_load_b128 v[0:3], off, off offset:16 ; 16-byte Folded Reload
	s_waitcnt vmcnt(0)
	ds_store_2addr_b64 v172, v[0:1], v[2:3] offset0:14 offset1:15
	ds_store_2addr_b64 v172, v[251:252], v[253:254] offset0:16 offset1:17
	;; [unrolled: 1-line block ×4, first 2 shown]
	scratch_load_b128 v[0:3], off, off      ; 16-byte Folded Reload
	s_waitcnt vmcnt(0)
	ds_store_2addr_b64 v172, v[0:1], v[2:3] offset0:22 offset1:23
	ds_store_2addr_b64 v172, v[96:97], v[98:99] offset0:24 offset1:25
	;; [unrolled: 1-line block ×22, first 2 shown]
.LBB64_102:
	s_or_b32 exec_lo, exec_lo, s2
	s_delay_alu instid0(SALU_CYCLE_1)
	s_mov_b32 s2, exec_lo
	s_waitcnt lgkmcnt(0)
	s_waitcnt_vscnt null, 0x0
	s_barrier
	buffer_gl0_inv
	v_cmpx_lt_i32_e32 4, v174
	s_cbranch_execz .LBB64_104
; %bb.103:
	v_mul_f64 v[40:41], v[134:135], v[118:119]
	v_dual_mov_b32 v0, v237 :: v_dual_mov_b32 v1, v238
	v_dual_mov_b32 v2, v239 :: v_dual_mov_b32 v3, v240
	;; [unrolled: 1-line block ×4, first 2 shown]
	v_fma_f64 v[140:141], v[132:133], v[116:117], -v[40:41]
	v_mul_f64 v[40:41], v[132:133], v[118:119]
	s_delay_alu instid0(VALU_DEP_1)
	v_fma_f64 v[118:119], v[134:135], v[116:117], v[40:41]
	ds_load_2addr_b64 v[132:135], v172 offset0:10 offset1:11
	ds_load_2addr_b64 v[142:145], v172 offset0:12 offset1:13
	v_dual_mov_b32 v116, v140 :: v_dual_mov_b32 v117, v141
	s_waitcnt lgkmcnt(1)
	v_mul_f64 v[40:41], v[134:135], v[118:119]
	v_mul_f64 v[42:43], v[132:133], v[118:119]
	s_waitcnt lgkmcnt(0)
	v_mul_f64 v[52:53], v[144:145], v[118:119]
	v_mul_f64 v[54:55], v[142:143], v[118:119]
	s_delay_alu instid0(VALU_DEP_4) | instskip(NEXT) | instid1(VALU_DEP_4)
	v_fma_f64 v[40:41], v[132:133], v[140:141], -v[40:41]
	v_fma_f64 v[42:43], v[134:135], v[140:141], v[42:43]
	s_delay_alu instid0(VALU_DEP_4) | instskip(NEXT) | instid1(VALU_DEP_4)
	v_fma_f64 v[52:53], v[142:143], v[140:141], -v[52:53]
	v_fma_f64 v[54:55], v[144:145], v[140:141], v[54:55]
	ds_load_2addr_b64 v[132:135], v172 offset0:14 offset1:15
	ds_load_2addr_b64 v[142:145], v172 offset0:16 offset1:17
	s_waitcnt lgkmcnt(1)
	v_mul_f64 v[104:105], v[134:135], v[118:119]
	v_mul_f64 v[106:107], v[132:133], v[118:119]
	s_waitcnt lgkmcnt(0)
	v_mul_f64 v[112:113], v[144:145], v[118:119]
	v_mul_f64 v[128:129], v[142:143], v[118:119]
	v_add_f64 v[247:248], v[247:248], -v[40:41]
	v_add_f64 v[249:250], v[249:250], -v[42:43]
	v_fma_f64 v[104:105], v[132:133], v[140:141], -v[104:105]
	v_fma_f64 v[106:107], v[134:135], v[140:141], v[106:107]
	v_fma_f64 v[112:113], v[142:143], v[140:141], -v[112:113]
	v_fma_f64 v[128:129], v[144:145], v[140:141], v[128:129]
	ds_load_2addr_b64 v[132:135], v172 offset0:18 offset1:19
	ds_load_2addr_b64 v[142:145], v172 offset0:20 offset1:21
	s_waitcnt lgkmcnt(1)
	v_mul_f64 v[130:131], v[134:135], v[118:119]
	v_add_f64 v[251:252], v[251:252], -v[112:113]
	v_dual_mov_b32 v112, v237 :: v_dual_mov_b32 v113, v238
	v_dual_mov_b32 v114, v239 :: v_dual_mov_b32 v115, v240
	;; [unrolled: 1-line block ×4, first 2 shown]
	v_add_f64 v[253:254], v[253:254], -v[128:129]
	v_fma_f64 v[130:131], v[132:133], v[140:141], -v[130:131]
	v_mul_f64 v[132:133], v[132:133], v[118:119]
	s_delay_alu instid0(VALU_DEP_2) | instskip(NEXT) | instid1(VALU_DEP_2)
	v_add_f64 v[120:121], v[120:121], -v[130:131]
	v_fma_f64 v[136:137], v[134:135], v[140:141], v[132:133]
	s_waitcnt lgkmcnt(0)
	v_mul_f64 v[132:133], v[144:145], v[118:119]
	s_delay_alu instid0(VALU_DEP_2) | instskip(NEXT) | instid1(VALU_DEP_2)
	v_add_f64 v[122:123], v[122:123], -v[136:137]
	v_fma_f64 v[138:139], v[142:143], v[140:141], -v[132:133]
	v_mul_f64 v[132:133], v[142:143], v[118:119]
	s_delay_alu instid0(VALU_DEP_2) | instskip(NEXT) | instid1(VALU_DEP_2)
	v_add_f64 v[4:5], v[4:5], -v[138:139]
	v_fma_f64 v[146:147], v[144:145], v[140:141], v[132:133]
	ds_load_2addr_b64 v[132:135], v172 offset0:22 offset1:23
	ds_load_2addr_b64 v[142:145], v172 offset0:24 offset1:25
	s_waitcnt lgkmcnt(1)
	v_mul_f64 v[148:149], v[134:135], v[118:119]
	v_add_f64 v[6:7], v[6:7], -v[146:147]
	s_delay_alu instid0(VALU_DEP_2) | instskip(SKIP_1) | instid1(VALU_DEP_1)
	v_fma_f64 v[148:149], v[132:133], v[140:141], -v[148:149]
	v_mul_f64 v[132:133], v[132:133], v[118:119]
	v_fma_f64 v[150:151], v[134:135], v[140:141], v[132:133]
	s_waitcnt lgkmcnt(0)
	v_mul_f64 v[132:133], v[144:145], v[118:119]
	s_delay_alu instid0(VALU_DEP_1) | instskip(SKIP_1) | instid1(VALU_DEP_2)
	v_fma_f64 v[152:153], v[142:143], v[140:141], -v[132:133]
	v_mul_f64 v[132:133], v[142:143], v[118:119]
	v_add_f64 v[96:97], v[96:97], -v[152:153]
	s_delay_alu instid0(VALU_DEP_2)
	v_fma_f64 v[154:155], v[144:145], v[140:141], v[132:133]
	ds_load_2addr_b64 v[132:135], v172 offset0:26 offset1:27
	ds_load_2addr_b64 v[142:145], v172 offset0:28 offset1:29
	s_waitcnt lgkmcnt(1)
	v_mul_f64 v[156:157], v[134:135], v[118:119]
	v_add_f64 v[98:99], v[98:99], -v[154:155]
	s_delay_alu instid0(VALU_DEP_2) | instskip(SKIP_1) | instid1(VALU_DEP_2)
	v_fma_f64 v[156:157], v[132:133], v[140:141], -v[156:157]
	v_mul_f64 v[132:133], v[132:133], v[118:119]
	v_add_f64 v[84:85], v[84:85], -v[156:157]
	s_delay_alu instid0(VALU_DEP_2) | instskip(SKIP_2) | instid1(VALU_DEP_2)
	v_fma_f64 v[158:159], v[134:135], v[140:141], v[132:133]
	s_waitcnt lgkmcnt(0)
	v_mul_f64 v[132:133], v[144:145], v[118:119]
	v_add_f64 v[86:87], v[86:87], -v[158:159]
	s_delay_alu instid0(VALU_DEP_2) | instskip(SKIP_1) | instid1(VALU_DEP_2)
	v_fma_f64 v[160:161], v[142:143], v[140:141], -v[132:133]
	v_mul_f64 v[132:133], v[142:143], v[118:119]
	v_add_f64 v[80:81], v[80:81], -v[160:161]
	s_delay_alu instid0(VALU_DEP_2)
	v_fma_f64 v[162:163], v[144:145], v[140:141], v[132:133]
	ds_load_2addr_b64 v[132:135], v172 offset0:30 offset1:31
	ds_load_2addr_b64 v[142:145], v172 offset0:32 offset1:33
	s_waitcnt lgkmcnt(1)
	v_mul_f64 v[164:165], v[134:135], v[118:119]
	v_add_f64 v[82:83], v[82:83], -v[162:163]
	s_delay_alu instid0(VALU_DEP_2) | instskip(SKIP_1) | instid1(VALU_DEP_2)
	v_fma_f64 v[164:165], v[132:133], v[140:141], -v[164:165]
	v_mul_f64 v[132:133], v[132:133], v[118:119]
	v_add_f64 v[76:77], v[76:77], -v[164:165]
	s_delay_alu instid0(VALU_DEP_2) | instskip(SKIP_2) | instid1(VALU_DEP_2)
	v_fma_f64 v[166:167], v[134:135], v[140:141], v[132:133]
	s_waitcnt lgkmcnt(0)
	v_mul_f64 v[132:133], v[144:145], v[118:119]
	v_add_f64 v[78:79], v[78:79], -v[166:167]
	s_delay_alu instid0(VALU_DEP_2) | instskip(SKIP_1) | instid1(VALU_DEP_2)
	;; [unrolled: 20-line block ×9, first 2 shown]
	v_fma_f64 v[231:232], v[142:143], v[140:141], -v[132:133]
	v_mul_f64 v[132:133], v[142:143], v[118:119]
	v_add_f64 v[8:9], v[8:9], -v[231:232]
	s_delay_alu instid0(VALU_DEP_2)
	v_fma_f64 v[233:234], v[144:145], v[140:141], v[132:133]
	ds_load_2addr_b64 v[132:135], v172 offset0:62 offset1:63
	ds_load_2addr_b64 v[142:145], v172 offset0:64 offset1:65
	s_clause 0x1
	scratch_load_b128 v[40:43], off, off offset:32
	scratch_load_b128 v[0:3], off, off
	s_waitcnt lgkmcnt(1)
	v_mul_f64 v[235:236], v[134:135], v[118:119]
	v_add_f64 v[10:11], v[10:11], -v[233:234]
	s_delay_alu instid0(VALU_DEP_2) | instskip(SKIP_1) | instid1(VALU_DEP_2)
	v_fma_f64 v[235:236], v[132:133], v[140:141], -v[235:236]
	v_mul_f64 v[132:133], v[132:133], v[118:119]
	v_add_f64 v[243:244], v[243:244], -v[235:236]
	s_delay_alu instid0(VALU_DEP_2) | instskip(SKIP_2) | instid1(VALU_DEP_2)
	v_fma_f64 v[132:133], v[134:135], v[140:141], v[132:133]
	s_waitcnt lgkmcnt(0)
	v_mul_f64 v[134:135], v[144:145], v[118:119]
	v_add_f64 v[245:246], v[245:246], -v[132:133]
	s_delay_alu instid0(VALU_DEP_2) | instskip(SKIP_1) | instid1(VALU_DEP_2)
	v_fma_f64 v[134:135], v[142:143], v[140:141], -v[134:135]
	v_mul_f64 v[142:143], v[142:143], v[118:119]
	v_add_f64 v[237:238], v[237:238], -v[134:135]
	s_delay_alu instid0(VALU_DEP_2) | instskip(NEXT) | instid1(VALU_DEP_1)
	v_fma_f64 v[142:143], v[144:145], v[140:141], v[142:143]
	v_add_f64 v[239:240], v[239:240], -v[142:143]
	s_waitcnt vmcnt(1)
	v_add_f64 v[40:41], v[40:41], -v[52:53]
	v_add_f64 v[42:43], v[42:43], -v[54:55]
	s_waitcnt vmcnt(0)
	v_add_f64 v[0:1], v[0:1], -v[148:149]
	v_add_f64 v[2:3], v[2:3], -v[150:151]
	scratch_store_b128 off, v[40:43], off offset:32 ; 16-byte Folded Spill
	scratch_load_b128 v[40:43], off, off offset:16 ; 16-byte Folded Reload
	scratch_store_b128 off, v[0:3], off     ; 16-byte Folded Spill
	s_waitcnt vmcnt(0)
	v_add_f64 v[40:41], v[40:41], -v[104:105]
	v_add_f64 v[42:43], v[42:43], -v[106:107]
	scratch_store_b128 off, v[40:43], off offset:16 ; 16-byte Folded Spill
.LBB64_104:
	s_or_b32 exec_lo, exec_lo, s2
	v_lshl_add_u32 v40, v174, 4, v172
	s_waitcnt_vscnt null, 0x0
	s_barrier
	buffer_gl0_inv
	v_mov_b32_e32 v140, 5
	ds_store_2addr_b64 v40, v[247:248], v[249:250] offset1:1
	s_waitcnt lgkmcnt(0)
	s_barrier
	buffer_gl0_inv
	ds_load_2addr_b64 v[132:135], v172 offset0:10 offset1:11
	s_cmp_lt_i32 s5, 7
	s_cbranch_scc1 .LBB64_107
; %bb.105:
	v_add3_u32 v141, v170, 0, 0x60
	v_mov_b32_e32 v140, 5
	s_mov_b32 s6, 6
	s_set_inst_prefetch_distance 0x1
	.p2align	6
.LBB64_106:                             ; =>This Inner Loop Header: Depth=1
	ds_load_2addr_b64 v[142:145], v141 offset1:1
	s_waitcnt lgkmcnt(1)
	v_cmp_gt_f64_e32 vcc_lo, 0, v[132:133]
	v_xor_b32_e32 v40, 0x80000000, v133
	v_cmp_gt_f64_e64 s2, 0, v[134:135]
	v_xor_b32_e32 v42, 0x80000000, v135
	v_add_nc_u32_e32 v141, 16, v141
	s_waitcnt lgkmcnt(0)
	v_cmp_gt_f64_e64 s3, 0, v[142:143]
	v_mov_b32_e32 v52, v142
	v_dual_mov_b32 v54, v144 :: v_dual_cndmask_b32 v41, v133, v40
	v_xor_b32_e32 v40, 0x80000000, v143
	v_cndmask_b32_e64 v43, v135, v42, s2
	v_xor_b32_e32 v42, 0x80000000, v145
	s_delay_alu instid0(VALU_DEP_3) | instskip(SKIP_2) | instid1(VALU_DEP_2)
	v_cndmask_b32_e64 v53, v143, v40, s3
	v_cmp_gt_f64_e64 s3, 0, v[144:145]
	v_cndmask_b32_e32 v40, v132, v132, vcc_lo
	v_cndmask_b32_e64 v55, v145, v42, s3
	v_cndmask_b32_e64 v42, v134, v134, s2
	s_delay_alu instid0(VALU_DEP_2) | instskip(NEXT) | instid1(VALU_DEP_2)
	v_add_f64 v[52:53], v[52:53], v[54:55]
	v_add_f64 v[40:41], v[40:41], v[42:43]
	s_delay_alu instid0(VALU_DEP_1)
	v_cmp_lt_f64_e32 vcc_lo, v[40:41], v[52:53]
	v_cndmask_b32_e32 v135, v135, v145, vcc_lo
	v_dual_cndmask_b32 v133, v133, v143 :: v_dual_cndmask_b32 v132, v132, v142
	v_cndmask_b32_e32 v134, v134, v144, vcc_lo
	v_cndmask_b32_e64 v140, v140, s6, vcc_lo
	s_add_i32 s6, s6, 1
	s_delay_alu instid0(SALU_CYCLE_1)
	s_cmp_lg_u32 s5, s6
	s_cbranch_scc1 .LBB64_106
.LBB64_107:
	s_set_inst_prefetch_distance 0x2
	s_waitcnt lgkmcnt(0)
	v_cmp_eq_f64_e32 vcc_lo, 0, v[132:133]
	v_cmp_eq_f64_e64 s2, 0, v[134:135]
	s_delay_alu instid0(VALU_DEP_1) | instskip(NEXT) | instid1(SALU_CYCLE_1)
	s_and_b32 s2, vcc_lo, s2
	s_and_saveexec_b32 s3, s2
	s_delay_alu instid0(SALU_CYCLE_1)
	s_xor_b32 s2, exec_lo, s3
; %bb.108:
	v_cmp_ne_u32_e32 vcc_lo, 0, v255
	v_cndmask_b32_e32 v255, 6, v255, vcc_lo
; %bb.109:
	s_and_not1_saveexec_b32 s3, s2
	s_cbranch_execz .LBB64_115
; %bb.110:
	v_cmp_gt_f64_e32 vcc_lo, 0, v[132:133]
	v_cmp_gt_f64_e64 s2, 0, v[134:135]
	v_xor_b32_e32 v40, 0x80000000, v133
	v_xor_b32_e32 v42, 0x80000000, v135
	s_delay_alu instid0(VALU_DEP_2) | instskip(NEXT) | instid1(VALU_DEP_2)
	v_cndmask_b32_e32 v41, v133, v40, vcc_lo
	v_cndmask_b32_e64 v43, v135, v42, s2
	v_cndmask_b32_e32 v40, v132, v132, vcc_lo
	v_cndmask_b32_e64 v42, v134, v134, s2
	s_mov_b32 s2, exec_lo
	s_delay_alu instid0(VALU_DEP_1)
	v_cmpx_ngt_f64_e32 v[40:41], v[42:43]
	s_xor_b32 s2, exec_lo, s2
	s_cbranch_execz .LBB64_112
; %bb.111:
	v_div_scale_f64 v[40:41], null, v[134:135], v[134:135], v[132:133]
	v_div_scale_f64 v[54:55], vcc_lo, v[132:133], v[134:135], v[132:133]
	s_delay_alu instid0(VALU_DEP_2) | instskip(SKIP_2) | instid1(VALU_DEP_1)
	v_rcp_f64_e32 v[42:43], v[40:41]
	s_waitcnt_depctr 0xfff
	v_fma_f64 v[52:53], -v[40:41], v[42:43], 1.0
	v_fma_f64 v[42:43], v[42:43], v[52:53], v[42:43]
	s_delay_alu instid0(VALU_DEP_1) | instskip(NEXT) | instid1(VALU_DEP_1)
	v_fma_f64 v[52:53], -v[40:41], v[42:43], 1.0
	v_fma_f64 v[42:43], v[42:43], v[52:53], v[42:43]
	s_delay_alu instid0(VALU_DEP_1) | instskip(NEXT) | instid1(VALU_DEP_1)
	v_mul_f64 v[52:53], v[54:55], v[42:43]
	v_fma_f64 v[40:41], -v[40:41], v[52:53], v[54:55]
	s_delay_alu instid0(VALU_DEP_1) | instskip(NEXT) | instid1(VALU_DEP_1)
	v_div_fmas_f64 v[40:41], v[40:41], v[42:43], v[52:53]
	v_div_fixup_f64 v[40:41], v[40:41], v[134:135], v[132:133]
	s_delay_alu instid0(VALU_DEP_1) | instskip(NEXT) | instid1(VALU_DEP_1)
	v_fma_f64 v[42:43], v[132:133], v[40:41], v[134:135]
	v_div_scale_f64 v[52:53], null, v[42:43], v[42:43], 1.0
	s_delay_alu instid0(VALU_DEP_1) | instskip(SKIP_2) | instid1(VALU_DEP_1)
	v_rcp_f64_e32 v[54:55], v[52:53]
	s_waitcnt_depctr 0xfff
	v_fma_f64 v[104:105], -v[52:53], v[54:55], 1.0
	v_fma_f64 v[54:55], v[54:55], v[104:105], v[54:55]
	s_delay_alu instid0(VALU_DEP_1) | instskip(NEXT) | instid1(VALU_DEP_1)
	v_fma_f64 v[104:105], -v[52:53], v[54:55], 1.0
	v_fma_f64 v[54:55], v[54:55], v[104:105], v[54:55]
	v_div_scale_f64 v[104:105], vcc_lo, 1.0, v[42:43], 1.0
	s_delay_alu instid0(VALU_DEP_1) | instskip(NEXT) | instid1(VALU_DEP_1)
	v_mul_f64 v[106:107], v[104:105], v[54:55]
	v_fma_f64 v[52:53], -v[52:53], v[106:107], v[104:105]
	s_delay_alu instid0(VALU_DEP_1) | instskip(NEXT) | instid1(VALU_DEP_1)
	v_div_fmas_f64 v[52:53], v[52:53], v[54:55], v[106:107]
	v_div_fixup_f64 v[134:135], v[52:53], v[42:43], 1.0
	s_delay_alu instid0(VALU_DEP_1)
	v_mul_f64 v[132:133], v[40:41], v[134:135]
	v_xor_b32_e32 v135, 0x80000000, v135
.LBB64_112:
	s_and_not1_saveexec_b32 s2, s2
	s_cbranch_execz .LBB64_114
; %bb.113:
	s_delay_alu instid0(VALU_DEP_1) | instskip(SKIP_1) | instid1(VALU_DEP_2)
	v_div_scale_f64 v[40:41], null, v[132:133], v[132:133], v[134:135]
	v_div_scale_f64 v[54:55], vcc_lo, v[134:135], v[132:133], v[134:135]
	v_rcp_f64_e32 v[42:43], v[40:41]
	s_waitcnt_depctr 0xfff
	v_fma_f64 v[52:53], -v[40:41], v[42:43], 1.0
	s_delay_alu instid0(VALU_DEP_1) | instskip(NEXT) | instid1(VALU_DEP_1)
	v_fma_f64 v[42:43], v[42:43], v[52:53], v[42:43]
	v_fma_f64 v[52:53], -v[40:41], v[42:43], 1.0
	s_delay_alu instid0(VALU_DEP_1) | instskip(NEXT) | instid1(VALU_DEP_1)
	v_fma_f64 v[42:43], v[42:43], v[52:53], v[42:43]
	v_mul_f64 v[52:53], v[54:55], v[42:43]
	s_delay_alu instid0(VALU_DEP_1) | instskip(NEXT) | instid1(VALU_DEP_1)
	v_fma_f64 v[40:41], -v[40:41], v[52:53], v[54:55]
	v_div_fmas_f64 v[40:41], v[40:41], v[42:43], v[52:53]
	s_delay_alu instid0(VALU_DEP_1) | instskip(NEXT) | instid1(VALU_DEP_1)
	v_div_fixup_f64 v[40:41], v[40:41], v[132:133], v[134:135]
	v_fma_f64 v[42:43], v[134:135], v[40:41], v[132:133]
	s_delay_alu instid0(VALU_DEP_1) | instskip(NEXT) | instid1(VALU_DEP_1)
	v_div_scale_f64 v[52:53], null, v[42:43], v[42:43], 1.0
	v_rcp_f64_e32 v[54:55], v[52:53]
	s_waitcnt_depctr 0xfff
	v_fma_f64 v[104:105], -v[52:53], v[54:55], 1.0
	s_delay_alu instid0(VALU_DEP_1) | instskip(NEXT) | instid1(VALU_DEP_1)
	v_fma_f64 v[54:55], v[54:55], v[104:105], v[54:55]
	v_fma_f64 v[104:105], -v[52:53], v[54:55], 1.0
	s_delay_alu instid0(VALU_DEP_1) | instskip(SKIP_1) | instid1(VALU_DEP_1)
	v_fma_f64 v[54:55], v[54:55], v[104:105], v[54:55]
	v_div_scale_f64 v[104:105], vcc_lo, 1.0, v[42:43], 1.0
	v_mul_f64 v[106:107], v[104:105], v[54:55]
	s_delay_alu instid0(VALU_DEP_1) | instskip(NEXT) | instid1(VALU_DEP_1)
	v_fma_f64 v[52:53], -v[52:53], v[106:107], v[104:105]
	v_div_fmas_f64 v[52:53], v[52:53], v[54:55], v[106:107]
	s_delay_alu instid0(VALU_DEP_1) | instskip(NEXT) | instid1(VALU_DEP_1)
	v_div_fixup_f64 v[132:133], v[52:53], v[42:43], 1.0
	v_mul_f64 v[134:135], v[40:41], -v[132:133]
.LBB64_114:
	s_or_b32 exec_lo, exec_lo, s2
.LBB64_115:
	s_delay_alu instid0(SALU_CYCLE_1) | instskip(NEXT) | instid1(SALU_CYCLE_1)
	s_or_b32 exec_lo, exec_lo, s3
	s_mov_b32 s2, exec_lo
	v_cmpx_ne_u32_e64 v174, v140
	s_xor_b32 s2, exec_lo, s2
	s_cbranch_execz .LBB64_121
; %bb.116:
	s_mov_b32 s3, exec_lo
	v_cmpx_eq_u32_e32 5, v174
	s_cbranch_execz .LBB64_120
; %bb.117:
	v_cmp_ne_u32_e32 vcc_lo, 5, v140
	s_xor_b32 s6, s4, -1
	s_delay_alu instid0(SALU_CYCLE_1) | instskip(NEXT) | instid1(SALU_CYCLE_1)
	s_and_b32 s7, s6, vcc_lo
	s_and_saveexec_b32 s6, s7
	s_cbranch_execz .LBB64_119
; %bb.118:
	scratch_load_b64 v[0:1], off, off offset:48 ; 8-byte Folded Reload
	v_ashrrev_i32_e32 v141, 31, v140
	s_delay_alu instid0(VALU_DEP_1) | instskip(SKIP_1) | instid1(VALU_DEP_1)
	v_lshlrev_b64 v[40:41], 2, v[140:141]
	s_waitcnt vmcnt(0)
	v_add_co_u32 v40, vcc_lo, v0, v40
	s_delay_alu instid0(VALU_DEP_2)
	v_add_co_ci_u32_e32 v41, vcc_lo, v1, v41, vcc_lo
	s_clause 0x1
	flat_load_b32 v42, v[40:41]
	flat_load_b32 v43, v[0:1] offset:20
	s_waitcnt vmcnt(1) lgkmcnt(1)
	flat_store_b32 v[0:1], v42 offset:20
	s_waitcnt vmcnt(0) lgkmcnt(1)
	flat_store_b32 v[40:41], v43
.LBB64_119:
	s_or_b32 exec_lo, exec_lo, s6
	v_mov_b32_e32 v174, v140
	v_mov_b32_e32 v173, v140
.LBB64_120:
	s_or_b32 exec_lo, exec_lo, s3
.LBB64_121:
	s_and_not1_saveexec_b32 s2, s2
	s_cbranch_execz .LBB64_123
; %bb.122:
	scratch_load_b128 v[0:3], off, off offset:32 ; 16-byte Folded Reload
	v_mov_b32_e32 v174, 5
	s_waitcnt vmcnt(0)
	ds_store_2addr_b64 v172, v[0:1], v[2:3] offset0:12 offset1:13
	scratch_load_b128 v[0:3], off, off offset:16 ; 16-byte Folded Reload
	s_waitcnt vmcnt(0)
	ds_store_2addr_b64 v172, v[0:1], v[2:3] offset0:14 offset1:15
	ds_store_2addr_b64 v172, v[251:252], v[253:254] offset0:16 offset1:17
	;; [unrolled: 1-line block ×4, first 2 shown]
	scratch_load_b128 v[0:3], off, off      ; 16-byte Folded Reload
	s_waitcnt vmcnt(0)
	ds_store_2addr_b64 v172, v[0:1], v[2:3] offset0:22 offset1:23
	ds_store_2addr_b64 v172, v[96:97], v[98:99] offset0:24 offset1:25
	;; [unrolled: 1-line block ×22, first 2 shown]
.LBB64_123:
	s_or_b32 exec_lo, exec_lo, s2
	s_delay_alu instid0(SALU_CYCLE_1)
	s_mov_b32 s2, exec_lo
	s_waitcnt lgkmcnt(0)
	s_waitcnt_vscnt null, 0x0
	s_barrier
	buffer_gl0_inv
	v_cmpx_lt_i32_e32 5, v174
	s_cbranch_execz .LBB64_125
; %bb.124:
	v_mul_f64 v[40:41], v[134:135], v[249:250]
	s_delay_alu instid0(VALU_DEP_1) | instskip(SKIP_1) | instid1(VALU_DEP_1)
	v_fma_f64 v[140:141], v[132:133], v[247:248], -v[40:41]
	v_mul_f64 v[40:41], v[132:133], v[249:250]
	v_fma_f64 v[249:250], v[134:135], v[247:248], v[40:41]
	ds_load_2addr_b64 v[132:135], v172 offset0:12 offset1:13
	ds_load_2addr_b64 v[142:145], v172 offset0:14 offset1:15
	v_dual_mov_b32 v248, v141 :: v_dual_mov_b32 v247, v140
	s_waitcnt lgkmcnt(1)
	v_mul_f64 v[40:41], v[134:135], v[249:250]
	v_mul_f64 v[42:43], v[132:133], v[249:250]
	s_waitcnt lgkmcnt(0)
	v_mul_f64 v[52:53], v[144:145], v[249:250]
	v_mul_f64 v[54:55], v[142:143], v[249:250]
	s_delay_alu instid0(VALU_DEP_4) | instskip(NEXT) | instid1(VALU_DEP_4)
	v_fma_f64 v[40:41], v[132:133], v[140:141], -v[40:41]
	v_fma_f64 v[42:43], v[134:135], v[140:141], v[42:43]
	s_delay_alu instid0(VALU_DEP_4) | instskip(NEXT) | instid1(VALU_DEP_4)
	v_fma_f64 v[52:53], v[142:143], v[140:141], -v[52:53]
	v_fma_f64 v[54:55], v[144:145], v[140:141], v[54:55]
	ds_load_2addr_b64 v[132:135], v172 offset0:16 offset1:17
	ds_load_2addr_b64 v[142:145], v172 offset0:18 offset1:19
	s_waitcnt lgkmcnt(1)
	v_mul_f64 v[104:105], v[134:135], v[249:250]
	v_mul_f64 v[106:107], v[132:133], v[249:250]
	s_waitcnt lgkmcnt(0)
	v_mul_f64 v[108:109], v[144:145], v[249:250]
	v_mul_f64 v[128:129], v[142:143], v[249:250]
	s_delay_alu instid0(VALU_DEP_4) | instskip(NEXT) | instid1(VALU_DEP_4)
	v_fma_f64 v[104:105], v[132:133], v[140:141], -v[104:105]
	v_fma_f64 v[106:107], v[134:135], v[140:141], v[106:107]
	s_delay_alu instid0(VALU_DEP_4) | instskip(NEXT) | instid1(VALU_DEP_4)
	v_fma_f64 v[108:109], v[142:143], v[140:141], -v[108:109]
	v_fma_f64 v[128:129], v[144:145], v[140:141], v[128:129]
	ds_load_2addr_b64 v[132:135], v172 offset0:20 offset1:21
	ds_load_2addr_b64 v[142:145], v172 offset0:22 offset1:23
	s_waitcnt lgkmcnt(1)
	v_mul_f64 v[130:131], v[134:135], v[249:250]
	v_add_f64 v[251:252], v[251:252], -v[104:105]
	v_add_f64 v[253:254], v[253:254], -v[106:107]
	;; [unrolled: 1-line block ×4, first 2 shown]
	v_fma_f64 v[130:131], v[132:133], v[140:141], -v[130:131]
	v_mul_f64 v[132:133], v[132:133], v[249:250]
	s_delay_alu instid0(VALU_DEP_2) | instskip(NEXT) | instid1(VALU_DEP_2)
	v_add_f64 v[4:5], v[4:5], -v[130:131]
	v_fma_f64 v[136:137], v[134:135], v[140:141], v[132:133]
	s_waitcnt lgkmcnt(0)
	v_mul_f64 v[132:133], v[144:145], v[249:250]
	s_delay_alu instid0(VALU_DEP_2) | instskip(NEXT) | instid1(VALU_DEP_2)
	v_add_f64 v[6:7], v[6:7], -v[136:137]
	v_fma_f64 v[138:139], v[142:143], v[140:141], -v[132:133]
	v_mul_f64 v[132:133], v[142:143], v[249:250]
	s_delay_alu instid0(VALU_DEP_1) | instskip(SKIP_4) | instid1(VALU_DEP_1)
	v_fma_f64 v[146:147], v[144:145], v[140:141], v[132:133]
	ds_load_2addr_b64 v[132:135], v172 offset0:24 offset1:25
	ds_load_2addr_b64 v[142:145], v172 offset0:26 offset1:27
	s_waitcnt lgkmcnt(1)
	v_mul_f64 v[148:149], v[134:135], v[249:250]
	v_fma_f64 v[148:149], v[132:133], v[140:141], -v[148:149]
	v_mul_f64 v[132:133], v[132:133], v[249:250]
	s_delay_alu instid0(VALU_DEP_2) | instskip(NEXT) | instid1(VALU_DEP_2)
	v_add_f64 v[96:97], v[96:97], -v[148:149]
	v_fma_f64 v[150:151], v[134:135], v[140:141], v[132:133]
	s_waitcnt lgkmcnt(0)
	v_mul_f64 v[132:133], v[144:145], v[249:250]
	s_delay_alu instid0(VALU_DEP_2) | instskip(NEXT) | instid1(VALU_DEP_2)
	v_add_f64 v[98:99], v[98:99], -v[150:151]
	v_fma_f64 v[152:153], v[142:143], v[140:141], -v[132:133]
	v_mul_f64 v[132:133], v[142:143], v[249:250]
	s_delay_alu instid0(VALU_DEP_2) | instskip(NEXT) | instid1(VALU_DEP_2)
	v_add_f64 v[84:85], v[84:85], -v[152:153]
	v_fma_f64 v[154:155], v[144:145], v[140:141], v[132:133]
	ds_load_2addr_b64 v[132:135], v172 offset0:28 offset1:29
	ds_load_2addr_b64 v[142:145], v172 offset0:30 offset1:31
	s_waitcnt lgkmcnt(1)
	v_mul_f64 v[156:157], v[134:135], v[249:250]
	v_add_f64 v[86:87], v[86:87], -v[154:155]
	s_delay_alu instid0(VALU_DEP_2) | instskip(SKIP_1) | instid1(VALU_DEP_2)
	v_fma_f64 v[156:157], v[132:133], v[140:141], -v[156:157]
	v_mul_f64 v[132:133], v[132:133], v[249:250]
	v_add_f64 v[80:81], v[80:81], -v[156:157]
	s_delay_alu instid0(VALU_DEP_2) | instskip(SKIP_2) | instid1(VALU_DEP_2)
	v_fma_f64 v[158:159], v[134:135], v[140:141], v[132:133]
	s_waitcnt lgkmcnt(0)
	v_mul_f64 v[132:133], v[144:145], v[249:250]
	v_add_f64 v[82:83], v[82:83], -v[158:159]
	s_delay_alu instid0(VALU_DEP_2) | instskip(SKIP_1) | instid1(VALU_DEP_2)
	v_fma_f64 v[160:161], v[142:143], v[140:141], -v[132:133]
	v_mul_f64 v[132:133], v[142:143], v[249:250]
	v_add_f64 v[76:77], v[76:77], -v[160:161]
	s_delay_alu instid0(VALU_DEP_2)
	v_fma_f64 v[162:163], v[144:145], v[140:141], v[132:133]
	ds_load_2addr_b64 v[132:135], v172 offset0:32 offset1:33
	ds_load_2addr_b64 v[142:145], v172 offset0:34 offset1:35
	s_waitcnt lgkmcnt(1)
	v_mul_f64 v[164:165], v[134:135], v[249:250]
	v_add_f64 v[78:79], v[78:79], -v[162:163]
	s_delay_alu instid0(VALU_DEP_2) | instskip(SKIP_1) | instid1(VALU_DEP_2)
	v_fma_f64 v[164:165], v[132:133], v[140:141], -v[164:165]
	v_mul_f64 v[132:133], v[132:133], v[249:250]
	v_add_f64 v[72:73], v[72:73], -v[164:165]
	s_delay_alu instid0(VALU_DEP_2) | instskip(SKIP_2) | instid1(VALU_DEP_2)
	v_fma_f64 v[166:167], v[134:135], v[140:141], v[132:133]
	s_waitcnt lgkmcnt(0)
	v_mul_f64 v[132:133], v[144:145], v[249:250]
	v_add_f64 v[74:75], v[74:75], -v[166:167]
	s_delay_alu instid0(VALU_DEP_2) | instskip(SKIP_1) | instid1(VALU_DEP_2)
	v_fma_f64 v[175:176], v[142:143], v[140:141], -v[132:133]
	v_mul_f64 v[132:133], v[142:143], v[249:250]
	v_add_f64 v[68:69], v[68:69], -v[175:176]
	s_delay_alu instid0(VALU_DEP_2)
	;; [unrolled: 20-line block ×8, first 2 shown]
	v_fma_f64 v[225:226], v[144:145], v[140:141], v[132:133]
	ds_load_2addr_b64 v[132:135], v172 offset0:60 offset1:61
	ds_load_2addr_b64 v[142:145], v172 offset0:62 offset1:63
	scratch_load_b128 v[0:3], off, off offset:32 ; 16-byte Folded Reload
	s_waitcnt lgkmcnt(1)
	v_mul_f64 v[227:228], v[134:135], v[249:250]
	v_add_f64 v[14:15], v[14:15], -v[225:226]
	s_delay_alu instid0(VALU_DEP_2) | instskip(SKIP_1) | instid1(VALU_DEP_2)
	v_fma_f64 v[227:228], v[132:133], v[140:141], -v[227:228]
	v_mul_f64 v[132:133], v[132:133], v[249:250]
	v_add_f64 v[8:9], v[8:9], -v[227:228]
	s_delay_alu instid0(VALU_DEP_2) | instskip(SKIP_2) | instid1(VALU_DEP_2)
	v_fma_f64 v[229:230], v[134:135], v[140:141], v[132:133]
	s_waitcnt lgkmcnt(0)
	v_mul_f64 v[132:133], v[144:145], v[249:250]
	v_add_f64 v[10:11], v[10:11], -v[229:230]
	s_delay_alu instid0(VALU_DEP_2) | instskip(SKIP_1) | instid1(VALU_DEP_2)
	v_fma_f64 v[231:232], v[142:143], v[140:141], -v[132:133]
	v_mul_f64 v[132:133], v[142:143], v[249:250]
	v_add_f64 v[243:244], v[243:244], -v[231:232]
	s_delay_alu instid0(VALU_DEP_2) | instskip(SKIP_4) | instid1(VALU_DEP_2)
	v_fma_f64 v[142:143], v[144:145], v[140:141], v[132:133]
	ds_load_2addr_b64 v[132:135], v172 offset0:64 offset1:65
	s_waitcnt lgkmcnt(0)
	v_mul_f64 v[144:145], v[134:135], v[249:250]
	v_add_f64 v[245:246], v[245:246], -v[142:143]
	v_fma_f64 v[144:145], v[132:133], v[140:141], -v[144:145]
	v_mul_f64 v[132:133], v[132:133], v[249:250]
	s_delay_alu instid0(VALU_DEP_2) | instskip(NEXT) | instid1(VALU_DEP_2)
	v_add_f64 v[237:238], v[237:238], -v[144:145]
	v_fma_f64 v[132:133], v[134:135], v[140:141], v[132:133]
	s_delay_alu instid0(VALU_DEP_1)
	v_add_f64 v[239:240], v[239:240], -v[132:133]
	s_waitcnt vmcnt(0)
	v_add_f64 v[0:1], v[0:1], -v[40:41]
	v_add_f64 v[2:3], v[2:3], -v[42:43]
	scratch_store_b128 off, v[0:3], off offset:32 ; 16-byte Folded Spill
	scratch_load_b128 v[0:3], off, off offset:16 ; 16-byte Folded Reload
	s_waitcnt vmcnt(0)
	v_add_f64 v[0:1], v[0:1], -v[52:53]
	v_add_f64 v[2:3], v[2:3], -v[54:55]
	scratch_store_b128 off, v[0:3], off offset:16 ; 16-byte Folded Spill
	scratch_load_b128 v[0:3], off, off      ; 16-byte Folded Reload
	s_waitcnt vmcnt(0)
	v_add_f64 v[0:1], v[0:1], -v[138:139]
	v_add_f64 v[2:3], v[2:3], -v[146:147]
	scratch_store_b128 off, v[0:3], off     ; 16-byte Folded Spill
.LBB64_125:
	s_or_b32 exec_lo, exec_lo, s2
	s_waitcnt_vscnt null, 0x0
	s_barrier
	buffer_gl0_inv
	scratch_load_b128 v[0:3], off, off offset:32 ; 16-byte Folded Reload
	v_lshl_add_u32 v40, v174, 4, v172
	v_mov_b32_e32 v140, 6
	s_cmp_lt_i32 s5, 8
	s_waitcnt vmcnt(0)
	ds_store_2addr_b64 v40, v[0:1], v[2:3] offset1:1
	s_waitcnt lgkmcnt(0)
	s_barrier
	buffer_gl0_inv
	ds_load_2addr_b64 v[132:135], v172 offset0:12 offset1:13
	s_cbranch_scc1 .LBB64_128
; %bb.126:
	v_add3_u32 v141, v170, 0, 0x70
	v_mov_b32_e32 v140, 6
	s_mov_b32 s6, 7
	s_set_inst_prefetch_distance 0x1
	.p2align	6
.LBB64_127:                             ; =>This Inner Loop Header: Depth=1
	ds_load_2addr_b64 v[142:145], v141 offset1:1
	s_waitcnt lgkmcnt(1)
	v_cmp_gt_f64_e32 vcc_lo, 0, v[132:133]
	v_xor_b32_e32 v40, 0x80000000, v133
	v_cmp_gt_f64_e64 s2, 0, v[134:135]
	v_xor_b32_e32 v42, 0x80000000, v135
	v_add_nc_u32_e32 v141, 16, v141
	s_waitcnt lgkmcnt(0)
	v_cmp_gt_f64_e64 s3, 0, v[142:143]
	v_mov_b32_e32 v52, v142
	v_dual_mov_b32 v54, v144 :: v_dual_cndmask_b32 v41, v133, v40
	v_xor_b32_e32 v40, 0x80000000, v143
	v_cndmask_b32_e64 v43, v135, v42, s2
	v_xor_b32_e32 v42, 0x80000000, v145
	s_delay_alu instid0(VALU_DEP_3) | instskip(SKIP_2) | instid1(VALU_DEP_2)
	v_cndmask_b32_e64 v53, v143, v40, s3
	v_cmp_gt_f64_e64 s3, 0, v[144:145]
	v_cndmask_b32_e32 v40, v132, v132, vcc_lo
	v_cndmask_b32_e64 v55, v145, v42, s3
	v_cndmask_b32_e64 v42, v134, v134, s2
	s_delay_alu instid0(VALU_DEP_2) | instskip(NEXT) | instid1(VALU_DEP_2)
	v_add_f64 v[52:53], v[52:53], v[54:55]
	v_add_f64 v[40:41], v[40:41], v[42:43]
	s_delay_alu instid0(VALU_DEP_1)
	v_cmp_lt_f64_e32 vcc_lo, v[40:41], v[52:53]
	v_cndmask_b32_e32 v135, v135, v145, vcc_lo
	v_dual_cndmask_b32 v133, v133, v143 :: v_dual_cndmask_b32 v132, v132, v142
	v_cndmask_b32_e32 v134, v134, v144, vcc_lo
	v_cndmask_b32_e64 v140, v140, s6, vcc_lo
	s_add_i32 s6, s6, 1
	s_delay_alu instid0(SALU_CYCLE_1)
	s_cmp_lg_u32 s5, s6
	s_cbranch_scc1 .LBB64_127
.LBB64_128:
	s_set_inst_prefetch_distance 0x2
	s_waitcnt lgkmcnt(0)
	v_cmp_eq_f64_e32 vcc_lo, 0, v[132:133]
	v_cmp_eq_f64_e64 s2, 0, v[134:135]
	s_delay_alu instid0(VALU_DEP_1) | instskip(NEXT) | instid1(SALU_CYCLE_1)
	s_and_b32 s2, vcc_lo, s2
	s_and_saveexec_b32 s3, s2
	s_delay_alu instid0(SALU_CYCLE_1)
	s_xor_b32 s2, exec_lo, s3
; %bb.129:
	v_cmp_ne_u32_e32 vcc_lo, 0, v255
	v_cndmask_b32_e32 v255, 7, v255, vcc_lo
; %bb.130:
	s_and_not1_saveexec_b32 s3, s2
	s_cbranch_execz .LBB64_136
; %bb.131:
	v_cmp_gt_f64_e32 vcc_lo, 0, v[132:133]
	v_cmp_gt_f64_e64 s2, 0, v[134:135]
	v_xor_b32_e32 v40, 0x80000000, v133
	v_xor_b32_e32 v42, 0x80000000, v135
	s_delay_alu instid0(VALU_DEP_2) | instskip(NEXT) | instid1(VALU_DEP_2)
	v_cndmask_b32_e32 v41, v133, v40, vcc_lo
	v_cndmask_b32_e64 v43, v135, v42, s2
	v_cndmask_b32_e32 v40, v132, v132, vcc_lo
	v_cndmask_b32_e64 v42, v134, v134, s2
	s_mov_b32 s2, exec_lo
	s_delay_alu instid0(VALU_DEP_1)
	v_cmpx_ngt_f64_e32 v[40:41], v[42:43]
	s_xor_b32 s2, exec_lo, s2
	s_cbranch_execz .LBB64_133
; %bb.132:
	v_div_scale_f64 v[40:41], null, v[134:135], v[134:135], v[132:133]
	v_div_scale_f64 v[54:55], vcc_lo, v[132:133], v[134:135], v[132:133]
	s_delay_alu instid0(VALU_DEP_2) | instskip(SKIP_2) | instid1(VALU_DEP_1)
	v_rcp_f64_e32 v[42:43], v[40:41]
	s_waitcnt_depctr 0xfff
	v_fma_f64 v[52:53], -v[40:41], v[42:43], 1.0
	v_fma_f64 v[42:43], v[42:43], v[52:53], v[42:43]
	s_delay_alu instid0(VALU_DEP_1) | instskip(NEXT) | instid1(VALU_DEP_1)
	v_fma_f64 v[52:53], -v[40:41], v[42:43], 1.0
	v_fma_f64 v[42:43], v[42:43], v[52:53], v[42:43]
	s_delay_alu instid0(VALU_DEP_1) | instskip(NEXT) | instid1(VALU_DEP_1)
	v_mul_f64 v[52:53], v[54:55], v[42:43]
	v_fma_f64 v[40:41], -v[40:41], v[52:53], v[54:55]
	s_delay_alu instid0(VALU_DEP_1) | instskip(NEXT) | instid1(VALU_DEP_1)
	v_div_fmas_f64 v[40:41], v[40:41], v[42:43], v[52:53]
	v_div_fixup_f64 v[40:41], v[40:41], v[134:135], v[132:133]
	s_delay_alu instid0(VALU_DEP_1) | instskip(NEXT) | instid1(VALU_DEP_1)
	v_fma_f64 v[42:43], v[132:133], v[40:41], v[134:135]
	v_div_scale_f64 v[52:53], null, v[42:43], v[42:43], 1.0
	s_delay_alu instid0(VALU_DEP_1) | instskip(SKIP_2) | instid1(VALU_DEP_1)
	v_rcp_f64_e32 v[54:55], v[52:53]
	s_waitcnt_depctr 0xfff
	v_fma_f64 v[104:105], -v[52:53], v[54:55], 1.0
	v_fma_f64 v[54:55], v[54:55], v[104:105], v[54:55]
	s_delay_alu instid0(VALU_DEP_1) | instskip(NEXT) | instid1(VALU_DEP_1)
	v_fma_f64 v[104:105], -v[52:53], v[54:55], 1.0
	v_fma_f64 v[54:55], v[54:55], v[104:105], v[54:55]
	v_div_scale_f64 v[104:105], vcc_lo, 1.0, v[42:43], 1.0
	s_delay_alu instid0(VALU_DEP_1) | instskip(NEXT) | instid1(VALU_DEP_1)
	v_mul_f64 v[106:107], v[104:105], v[54:55]
	v_fma_f64 v[52:53], -v[52:53], v[106:107], v[104:105]
	s_delay_alu instid0(VALU_DEP_1) | instskip(NEXT) | instid1(VALU_DEP_1)
	v_div_fmas_f64 v[52:53], v[52:53], v[54:55], v[106:107]
	v_div_fixup_f64 v[134:135], v[52:53], v[42:43], 1.0
	s_delay_alu instid0(VALU_DEP_1)
	v_mul_f64 v[132:133], v[40:41], v[134:135]
	v_xor_b32_e32 v135, 0x80000000, v135
.LBB64_133:
	s_and_not1_saveexec_b32 s2, s2
	s_cbranch_execz .LBB64_135
; %bb.134:
	s_delay_alu instid0(VALU_DEP_1) | instskip(SKIP_1) | instid1(VALU_DEP_2)
	v_div_scale_f64 v[40:41], null, v[132:133], v[132:133], v[134:135]
	v_div_scale_f64 v[54:55], vcc_lo, v[134:135], v[132:133], v[134:135]
	v_rcp_f64_e32 v[42:43], v[40:41]
	s_waitcnt_depctr 0xfff
	v_fma_f64 v[52:53], -v[40:41], v[42:43], 1.0
	s_delay_alu instid0(VALU_DEP_1) | instskip(NEXT) | instid1(VALU_DEP_1)
	v_fma_f64 v[42:43], v[42:43], v[52:53], v[42:43]
	v_fma_f64 v[52:53], -v[40:41], v[42:43], 1.0
	s_delay_alu instid0(VALU_DEP_1) | instskip(NEXT) | instid1(VALU_DEP_1)
	v_fma_f64 v[42:43], v[42:43], v[52:53], v[42:43]
	v_mul_f64 v[52:53], v[54:55], v[42:43]
	s_delay_alu instid0(VALU_DEP_1) | instskip(NEXT) | instid1(VALU_DEP_1)
	v_fma_f64 v[40:41], -v[40:41], v[52:53], v[54:55]
	v_div_fmas_f64 v[40:41], v[40:41], v[42:43], v[52:53]
	s_delay_alu instid0(VALU_DEP_1) | instskip(NEXT) | instid1(VALU_DEP_1)
	v_div_fixup_f64 v[40:41], v[40:41], v[132:133], v[134:135]
	v_fma_f64 v[42:43], v[134:135], v[40:41], v[132:133]
	s_delay_alu instid0(VALU_DEP_1) | instskip(NEXT) | instid1(VALU_DEP_1)
	v_div_scale_f64 v[52:53], null, v[42:43], v[42:43], 1.0
	v_rcp_f64_e32 v[54:55], v[52:53]
	s_waitcnt_depctr 0xfff
	v_fma_f64 v[104:105], -v[52:53], v[54:55], 1.0
	s_delay_alu instid0(VALU_DEP_1) | instskip(NEXT) | instid1(VALU_DEP_1)
	v_fma_f64 v[54:55], v[54:55], v[104:105], v[54:55]
	v_fma_f64 v[104:105], -v[52:53], v[54:55], 1.0
	s_delay_alu instid0(VALU_DEP_1) | instskip(SKIP_1) | instid1(VALU_DEP_1)
	v_fma_f64 v[54:55], v[54:55], v[104:105], v[54:55]
	v_div_scale_f64 v[104:105], vcc_lo, 1.0, v[42:43], 1.0
	v_mul_f64 v[106:107], v[104:105], v[54:55]
	s_delay_alu instid0(VALU_DEP_1) | instskip(NEXT) | instid1(VALU_DEP_1)
	v_fma_f64 v[52:53], -v[52:53], v[106:107], v[104:105]
	v_div_fmas_f64 v[52:53], v[52:53], v[54:55], v[106:107]
	s_delay_alu instid0(VALU_DEP_1) | instskip(NEXT) | instid1(VALU_DEP_1)
	v_div_fixup_f64 v[132:133], v[52:53], v[42:43], 1.0
	v_mul_f64 v[134:135], v[40:41], -v[132:133]
.LBB64_135:
	s_or_b32 exec_lo, exec_lo, s2
.LBB64_136:
	s_delay_alu instid0(SALU_CYCLE_1) | instskip(NEXT) | instid1(SALU_CYCLE_1)
	s_or_b32 exec_lo, exec_lo, s3
	s_mov_b32 s2, exec_lo
	v_cmpx_ne_u32_e64 v174, v140
	s_xor_b32 s2, exec_lo, s2
	s_cbranch_execz .LBB64_142
; %bb.137:
	s_mov_b32 s3, exec_lo
	v_cmpx_eq_u32_e32 6, v174
	s_cbranch_execz .LBB64_141
; %bb.138:
	v_cmp_ne_u32_e32 vcc_lo, 6, v140
	s_xor_b32 s6, s4, -1
	s_delay_alu instid0(SALU_CYCLE_1) | instskip(NEXT) | instid1(SALU_CYCLE_1)
	s_and_b32 s7, s6, vcc_lo
	s_and_saveexec_b32 s6, s7
	s_cbranch_execz .LBB64_140
; %bb.139:
	scratch_load_b64 v[0:1], off, off offset:48 ; 8-byte Folded Reload
	v_ashrrev_i32_e32 v141, 31, v140
	s_delay_alu instid0(VALU_DEP_1) | instskip(SKIP_1) | instid1(VALU_DEP_1)
	v_lshlrev_b64 v[40:41], 2, v[140:141]
	s_waitcnt vmcnt(0)
	v_add_co_u32 v40, vcc_lo, v0, v40
	s_delay_alu instid0(VALU_DEP_2)
	v_add_co_ci_u32_e32 v41, vcc_lo, v1, v41, vcc_lo
	s_clause 0x1
	flat_load_b32 v42, v[40:41]
	flat_load_b32 v43, v[0:1] offset:24
	s_waitcnt vmcnt(1) lgkmcnt(1)
	flat_store_b32 v[0:1], v42 offset:24
	s_waitcnt vmcnt(0) lgkmcnt(1)
	flat_store_b32 v[40:41], v43
.LBB64_140:
	s_or_b32 exec_lo, exec_lo, s6
	v_mov_b32_e32 v174, v140
	v_mov_b32_e32 v173, v140
.LBB64_141:
	s_or_b32 exec_lo, exec_lo, s3
.LBB64_142:
	s_and_not1_saveexec_b32 s2, s2
	s_cbranch_execz .LBB64_144
; %bb.143:
	scratch_load_b128 v[0:3], off, off offset:16 ; 16-byte Folded Reload
	v_mov_b32_e32 v174, 6
	s_waitcnt vmcnt(0)
	ds_store_2addr_b64 v172, v[0:1], v[2:3] offset0:14 offset1:15
	ds_store_2addr_b64 v172, v[251:252], v[253:254] offset0:16 offset1:17
	;; [unrolled: 1-line block ×4, first 2 shown]
	scratch_load_b128 v[0:3], off, off      ; 16-byte Folded Reload
	s_waitcnt vmcnt(0)
	ds_store_2addr_b64 v172, v[0:1], v[2:3] offset0:22 offset1:23
	ds_store_2addr_b64 v172, v[96:97], v[98:99] offset0:24 offset1:25
	ds_store_2addr_b64 v172, v[84:85], v[86:87] offset0:26 offset1:27
	ds_store_2addr_b64 v172, v[80:81], v[82:83] offset0:28 offset1:29
	ds_store_2addr_b64 v172, v[76:77], v[78:79] offset0:30 offset1:31
	ds_store_2addr_b64 v172, v[72:73], v[74:75] offset0:32 offset1:33
	ds_store_2addr_b64 v172, v[68:69], v[70:71] offset0:34 offset1:35
	ds_store_2addr_b64 v172, v[64:65], v[66:67] offset0:36 offset1:37
	ds_store_2addr_b64 v172, v[60:61], v[62:63] offset0:38 offset1:39
	ds_store_2addr_b64 v172, v[56:57], v[58:59] offset0:40 offset1:41
	ds_store_2addr_b64 v172, v[48:49], v[50:51] offset0:42 offset1:43
	ds_store_2addr_b64 v172, v[44:45], v[46:47] offset0:44 offset1:45
	ds_store_2addr_b64 v172, v[36:37], v[38:39] offset0:46 offset1:47
	ds_store_2addr_b64 v172, v[32:33], v[34:35] offset0:48 offset1:49
	ds_store_2addr_b64 v172, v[28:29], v[30:31] offset0:50 offset1:51
	ds_store_2addr_b64 v172, v[24:25], v[26:27] offset0:52 offset1:53
	ds_store_2addr_b64 v172, v[20:21], v[22:23] offset0:54 offset1:55
	ds_store_2addr_b64 v172, v[16:17], v[18:19] offset0:56 offset1:57
	ds_store_2addr_b64 v172, v[12:13], v[14:15] offset0:58 offset1:59
	ds_store_2addr_b64 v172, v[8:9], v[10:11] offset0:60 offset1:61
	ds_store_2addr_b64 v172, v[243:244], v[245:246] offset0:62 offset1:63
	ds_store_2addr_b64 v172, v[237:238], v[239:240] offset0:64 offset1:65
.LBB64_144:
	s_or_b32 exec_lo, exec_lo, s2
	s_delay_alu instid0(SALU_CYCLE_1)
	s_mov_b32 s2, exec_lo
	s_waitcnt lgkmcnt(0)
	s_waitcnt_vscnt null, 0x0
	s_barrier
	buffer_gl0_inv
	v_cmpx_lt_i32_e32 6, v174
	s_cbranch_execz .LBB64_146
; %bb.145:
	v_dual_mov_b32 v103, v95 :: v_dual_mov_b32 v102, v94
	v_dual_mov_b32 v101, v93 :: v_dual_mov_b32 v100, v92
	scratch_load_b128 v[92:95], off, off offset:32 ; 16-byte Folded Reload
	s_waitcnt vmcnt(0)
	v_mul_f64 v[40:41], v[134:135], v[94:95]
	s_delay_alu instid0(VALU_DEP_1) | instskip(SKIP_1) | instid1(VALU_DEP_1)
	v_fma_f64 v[140:141], v[132:133], v[92:93], -v[40:41]
	v_mul_f64 v[40:41], v[132:133], v[94:95]
	v_fma_f64 v[94:95], v[134:135], v[92:93], v[40:41]
	ds_load_2addr_b64 v[132:135], v172 offset0:14 offset1:15
	ds_load_2addr_b64 v[142:145], v172 offset0:16 offset1:17
	s_waitcnt lgkmcnt(1)
	v_mul_f64 v[40:41], v[134:135], v[94:95]
	v_mul_f64 v[42:43], v[132:133], v[94:95]
	s_waitcnt lgkmcnt(0)
	v_mul_f64 v[52:53], v[144:145], v[94:95]
	v_mul_f64 v[54:55], v[142:143], v[94:95]
	s_delay_alu instid0(VALU_DEP_4) | instskip(NEXT) | instid1(VALU_DEP_4)
	v_fma_f64 v[40:41], v[132:133], v[140:141], -v[40:41]
	v_fma_f64 v[42:43], v[134:135], v[140:141], v[42:43]
	s_delay_alu instid0(VALU_DEP_4) | instskip(NEXT) | instid1(VALU_DEP_4)
	v_fma_f64 v[52:53], v[142:143], v[140:141], -v[52:53]
	v_fma_f64 v[54:55], v[144:145], v[140:141], v[54:55]
	ds_load_2addr_b64 v[132:135], v172 offset0:18 offset1:19
	ds_load_2addr_b64 v[142:145], v172 offset0:20 offset1:21
	s_waitcnt lgkmcnt(1)
	v_mul_f64 v[92:93], v[134:135], v[94:95]
	v_mul_f64 v[104:105], v[132:133], v[94:95]
	s_waitcnt lgkmcnt(0)
	v_mul_f64 v[106:107], v[144:145], v[94:95]
	v_mul_f64 v[128:129], v[142:143], v[94:95]
	v_add_f64 v[251:252], v[251:252], -v[52:53]
	v_add_f64 v[253:254], v[253:254], -v[54:55]
	v_fma_f64 v[92:93], v[132:133], v[140:141], -v[92:93]
	v_fma_f64 v[104:105], v[134:135], v[140:141], v[104:105]
	v_fma_f64 v[106:107], v[142:143], v[140:141], -v[106:107]
	v_fma_f64 v[128:129], v[144:145], v[140:141], v[128:129]
	ds_load_2addr_b64 v[132:135], v172 offset0:22 offset1:23
	ds_load_2addr_b64 v[142:145], v172 offset0:24 offset1:25
	s_waitcnt lgkmcnt(1)
	v_mul_f64 v[130:131], v[134:135], v[94:95]
	v_add_f64 v[120:121], v[120:121], -v[92:93]
	v_add_f64 v[122:123], v[122:123], -v[104:105]
	;; [unrolled: 1-line block ×4, first 2 shown]
	v_dual_mov_b32 v92, v140 :: v_dual_mov_b32 v93, v141
	v_fma_f64 v[130:131], v[132:133], v[140:141], -v[130:131]
	v_mul_f64 v[132:133], v[132:133], v[94:95]
	s_delay_alu instid0(VALU_DEP_1) | instskip(SKIP_2) | instid1(VALU_DEP_1)
	v_fma_f64 v[136:137], v[134:135], v[140:141], v[132:133]
	s_waitcnt lgkmcnt(0)
	v_mul_f64 v[132:133], v[144:145], v[94:95]
	v_fma_f64 v[138:139], v[142:143], v[140:141], -v[132:133]
	v_mul_f64 v[132:133], v[142:143], v[94:95]
	s_delay_alu instid0(VALU_DEP_2) | instskip(NEXT) | instid1(VALU_DEP_2)
	v_add_f64 v[96:97], v[96:97], -v[138:139]
	v_fma_f64 v[146:147], v[144:145], v[140:141], v[132:133]
	ds_load_2addr_b64 v[132:135], v172 offset0:26 offset1:27
	ds_load_2addr_b64 v[142:145], v172 offset0:28 offset1:29
	s_waitcnt lgkmcnt(1)
	v_mul_f64 v[148:149], v[134:135], v[94:95]
	v_add_f64 v[98:99], v[98:99], -v[146:147]
	s_delay_alu instid0(VALU_DEP_2) | instskip(SKIP_1) | instid1(VALU_DEP_2)
	v_fma_f64 v[148:149], v[132:133], v[140:141], -v[148:149]
	v_mul_f64 v[132:133], v[132:133], v[94:95]
	v_add_f64 v[84:85], v[84:85], -v[148:149]
	s_delay_alu instid0(VALU_DEP_2) | instskip(SKIP_2) | instid1(VALU_DEP_2)
	v_fma_f64 v[150:151], v[134:135], v[140:141], v[132:133]
	s_waitcnt lgkmcnt(0)
	v_mul_f64 v[132:133], v[144:145], v[94:95]
	v_add_f64 v[86:87], v[86:87], -v[150:151]
	s_delay_alu instid0(VALU_DEP_2) | instskip(SKIP_1) | instid1(VALU_DEP_2)
	v_fma_f64 v[152:153], v[142:143], v[140:141], -v[132:133]
	v_mul_f64 v[132:133], v[142:143], v[94:95]
	v_add_f64 v[80:81], v[80:81], -v[152:153]
	s_delay_alu instid0(VALU_DEP_2)
	v_fma_f64 v[154:155], v[144:145], v[140:141], v[132:133]
	ds_load_2addr_b64 v[132:135], v172 offset0:30 offset1:31
	ds_load_2addr_b64 v[142:145], v172 offset0:32 offset1:33
	s_waitcnt lgkmcnt(1)
	v_mul_f64 v[156:157], v[134:135], v[94:95]
	v_add_f64 v[82:83], v[82:83], -v[154:155]
	s_delay_alu instid0(VALU_DEP_2) | instskip(SKIP_1) | instid1(VALU_DEP_2)
	v_fma_f64 v[156:157], v[132:133], v[140:141], -v[156:157]
	v_mul_f64 v[132:133], v[132:133], v[94:95]
	v_add_f64 v[76:77], v[76:77], -v[156:157]
	s_delay_alu instid0(VALU_DEP_2) | instskip(SKIP_2) | instid1(VALU_DEP_2)
	v_fma_f64 v[158:159], v[134:135], v[140:141], v[132:133]
	s_waitcnt lgkmcnt(0)
	v_mul_f64 v[132:133], v[144:145], v[94:95]
	v_add_f64 v[78:79], v[78:79], -v[158:159]
	s_delay_alu instid0(VALU_DEP_2) | instskip(SKIP_1) | instid1(VALU_DEP_2)
	v_fma_f64 v[160:161], v[142:143], v[140:141], -v[132:133]
	v_mul_f64 v[132:133], v[142:143], v[94:95]
	v_add_f64 v[72:73], v[72:73], -v[160:161]
	s_delay_alu instid0(VALU_DEP_2)
	;; [unrolled: 20-line block ×9, first 2 shown]
	v_fma_f64 v[225:226], v[144:145], v[140:141], v[132:133]
	ds_load_2addr_b64 v[132:135], v172 offset0:62 offset1:63
	ds_load_2addr_b64 v[142:145], v172 offset0:64 offset1:65
	scratch_load_b128 v[0:3], off, off offset:16 ; 16-byte Folded Reload
	scratch_store_b128 off, v[92:95], off offset:32 ; 16-byte Folded Spill
	s_waitcnt lgkmcnt(1)
	v_mul_f64 v[227:228], v[134:135], v[94:95]
	v_add_f64 v[10:11], v[10:11], -v[225:226]
	s_delay_alu instid0(VALU_DEP_2) | instskip(SKIP_1) | instid1(VALU_DEP_2)
	v_fma_f64 v[227:228], v[132:133], v[140:141], -v[227:228]
	v_mul_f64 v[132:133], v[132:133], v[94:95]
	v_add_f64 v[243:244], v[243:244], -v[227:228]
	s_delay_alu instid0(VALU_DEP_2) | instskip(SKIP_2) | instid1(VALU_DEP_2)
	v_fma_f64 v[132:133], v[134:135], v[140:141], v[132:133]
	s_waitcnt lgkmcnt(0)
	v_mul_f64 v[134:135], v[144:145], v[94:95]
	v_add_f64 v[245:246], v[245:246], -v[132:133]
	s_delay_alu instid0(VALU_DEP_2) | instskip(SKIP_3) | instid1(VALU_DEP_4)
	v_fma_f64 v[134:135], v[142:143], v[140:141], -v[134:135]
	v_mul_f64 v[142:143], v[142:143], v[94:95]
	v_dual_mov_b32 v92, v100 :: v_dual_mov_b32 v93, v101
	v_dual_mov_b32 v94, v102 :: v_dual_mov_b32 v95, v103
	v_add_f64 v[237:238], v[237:238], -v[134:135]
	s_delay_alu instid0(VALU_DEP_4) | instskip(NEXT) | instid1(VALU_DEP_1)
	v_fma_f64 v[142:143], v[144:145], v[140:141], v[142:143]
	v_add_f64 v[239:240], v[239:240], -v[142:143]
	s_waitcnt vmcnt(0)
	v_add_f64 v[0:1], v[0:1], -v[40:41]
	v_add_f64 v[2:3], v[2:3], -v[42:43]
	scratch_store_b128 off, v[0:3], off offset:16 ; 16-byte Folded Spill
	scratch_load_b128 v[0:3], off, off      ; 16-byte Folded Reload
	s_waitcnt vmcnt(0)
	v_add_f64 v[0:1], v[0:1], -v[130:131]
	v_add_f64 v[2:3], v[2:3], -v[136:137]
	scratch_store_b128 off, v[0:3], off     ; 16-byte Folded Spill
.LBB64_146:
	s_or_b32 exec_lo, exec_lo, s2
	s_waitcnt_vscnt null, 0x0
	s_barrier
	buffer_gl0_inv
	scratch_load_b128 v[0:3], off, off offset:16 ; 16-byte Folded Reload
	v_lshl_add_u32 v40, v174, 4, v172
	v_mov_b32_e32 v140, 7
	s_cmp_lt_i32 s5, 9
	s_waitcnt vmcnt(0)
	ds_store_2addr_b64 v40, v[0:1], v[2:3] offset1:1
	s_waitcnt lgkmcnt(0)
	s_barrier
	buffer_gl0_inv
	ds_load_2addr_b64 v[132:135], v172 offset0:14 offset1:15
	s_cbranch_scc1 .LBB64_149
; %bb.147:
	v_add3_u32 v141, v170, 0, 0x80
	v_mov_b32_e32 v140, 7
	s_mov_b32 s6, 8
	s_set_inst_prefetch_distance 0x1
	.p2align	6
.LBB64_148:                             ; =>This Inner Loop Header: Depth=1
	ds_load_2addr_b64 v[142:145], v141 offset1:1
	s_waitcnt lgkmcnt(1)
	v_cmp_gt_f64_e32 vcc_lo, 0, v[132:133]
	v_xor_b32_e32 v40, 0x80000000, v133
	v_cmp_gt_f64_e64 s2, 0, v[134:135]
	v_xor_b32_e32 v42, 0x80000000, v135
	v_add_nc_u32_e32 v141, 16, v141
	s_waitcnt lgkmcnt(0)
	v_cmp_gt_f64_e64 s3, 0, v[142:143]
	v_mov_b32_e32 v52, v142
	v_dual_mov_b32 v54, v144 :: v_dual_cndmask_b32 v41, v133, v40
	v_xor_b32_e32 v40, 0x80000000, v143
	v_cndmask_b32_e64 v43, v135, v42, s2
	v_xor_b32_e32 v42, 0x80000000, v145
	s_delay_alu instid0(VALU_DEP_3) | instskip(SKIP_2) | instid1(VALU_DEP_2)
	v_cndmask_b32_e64 v53, v143, v40, s3
	v_cmp_gt_f64_e64 s3, 0, v[144:145]
	v_cndmask_b32_e32 v40, v132, v132, vcc_lo
	v_cndmask_b32_e64 v55, v145, v42, s3
	v_cndmask_b32_e64 v42, v134, v134, s2
	s_delay_alu instid0(VALU_DEP_2) | instskip(NEXT) | instid1(VALU_DEP_2)
	v_add_f64 v[52:53], v[52:53], v[54:55]
	v_add_f64 v[40:41], v[40:41], v[42:43]
	s_delay_alu instid0(VALU_DEP_1)
	v_cmp_lt_f64_e32 vcc_lo, v[40:41], v[52:53]
	v_cndmask_b32_e32 v135, v135, v145, vcc_lo
	v_dual_cndmask_b32 v133, v133, v143 :: v_dual_cndmask_b32 v132, v132, v142
	v_cndmask_b32_e32 v134, v134, v144, vcc_lo
	v_cndmask_b32_e64 v140, v140, s6, vcc_lo
	s_add_i32 s6, s6, 1
	s_delay_alu instid0(SALU_CYCLE_1)
	s_cmp_lg_u32 s5, s6
	s_cbranch_scc1 .LBB64_148
.LBB64_149:
	s_set_inst_prefetch_distance 0x2
	s_waitcnt lgkmcnt(0)
	v_cmp_eq_f64_e32 vcc_lo, 0, v[132:133]
	v_cmp_eq_f64_e64 s2, 0, v[134:135]
	s_delay_alu instid0(VALU_DEP_1) | instskip(NEXT) | instid1(SALU_CYCLE_1)
	s_and_b32 s2, vcc_lo, s2
	s_and_saveexec_b32 s3, s2
	s_delay_alu instid0(SALU_CYCLE_1)
	s_xor_b32 s2, exec_lo, s3
; %bb.150:
	v_cmp_ne_u32_e32 vcc_lo, 0, v255
	v_cndmask_b32_e32 v255, 8, v255, vcc_lo
; %bb.151:
	s_and_not1_saveexec_b32 s3, s2
	s_cbranch_execz .LBB64_157
; %bb.152:
	v_cmp_gt_f64_e32 vcc_lo, 0, v[132:133]
	v_cmp_gt_f64_e64 s2, 0, v[134:135]
	v_xor_b32_e32 v40, 0x80000000, v133
	v_xor_b32_e32 v42, 0x80000000, v135
	s_delay_alu instid0(VALU_DEP_2) | instskip(NEXT) | instid1(VALU_DEP_2)
	v_cndmask_b32_e32 v41, v133, v40, vcc_lo
	v_cndmask_b32_e64 v43, v135, v42, s2
	v_cndmask_b32_e32 v40, v132, v132, vcc_lo
	v_cndmask_b32_e64 v42, v134, v134, s2
	s_mov_b32 s2, exec_lo
	s_delay_alu instid0(VALU_DEP_1)
	v_cmpx_ngt_f64_e32 v[40:41], v[42:43]
	s_xor_b32 s2, exec_lo, s2
	s_cbranch_execz .LBB64_154
; %bb.153:
	v_div_scale_f64 v[40:41], null, v[134:135], v[134:135], v[132:133]
	v_div_scale_f64 v[54:55], vcc_lo, v[132:133], v[134:135], v[132:133]
	s_delay_alu instid0(VALU_DEP_2) | instskip(SKIP_2) | instid1(VALU_DEP_1)
	v_rcp_f64_e32 v[42:43], v[40:41]
	s_waitcnt_depctr 0xfff
	v_fma_f64 v[52:53], -v[40:41], v[42:43], 1.0
	v_fma_f64 v[42:43], v[42:43], v[52:53], v[42:43]
	s_delay_alu instid0(VALU_DEP_1) | instskip(NEXT) | instid1(VALU_DEP_1)
	v_fma_f64 v[52:53], -v[40:41], v[42:43], 1.0
	v_fma_f64 v[42:43], v[42:43], v[52:53], v[42:43]
	s_delay_alu instid0(VALU_DEP_1) | instskip(NEXT) | instid1(VALU_DEP_1)
	v_mul_f64 v[52:53], v[54:55], v[42:43]
	v_fma_f64 v[40:41], -v[40:41], v[52:53], v[54:55]
	s_delay_alu instid0(VALU_DEP_1) | instskip(NEXT) | instid1(VALU_DEP_1)
	v_div_fmas_f64 v[40:41], v[40:41], v[42:43], v[52:53]
	v_div_fixup_f64 v[40:41], v[40:41], v[134:135], v[132:133]
	s_delay_alu instid0(VALU_DEP_1) | instskip(NEXT) | instid1(VALU_DEP_1)
	v_fma_f64 v[42:43], v[132:133], v[40:41], v[134:135]
	v_div_scale_f64 v[52:53], null, v[42:43], v[42:43], 1.0
	s_delay_alu instid0(VALU_DEP_1) | instskip(SKIP_2) | instid1(VALU_DEP_1)
	v_rcp_f64_e32 v[54:55], v[52:53]
	s_waitcnt_depctr 0xfff
	v_fma_f64 v[104:105], -v[52:53], v[54:55], 1.0
	v_fma_f64 v[54:55], v[54:55], v[104:105], v[54:55]
	s_delay_alu instid0(VALU_DEP_1) | instskip(NEXT) | instid1(VALU_DEP_1)
	v_fma_f64 v[104:105], -v[52:53], v[54:55], 1.0
	v_fma_f64 v[54:55], v[54:55], v[104:105], v[54:55]
	v_div_scale_f64 v[104:105], vcc_lo, 1.0, v[42:43], 1.0
	s_delay_alu instid0(VALU_DEP_1) | instskip(NEXT) | instid1(VALU_DEP_1)
	v_mul_f64 v[106:107], v[104:105], v[54:55]
	v_fma_f64 v[52:53], -v[52:53], v[106:107], v[104:105]
	s_delay_alu instid0(VALU_DEP_1) | instskip(NEXT) | instid1(VALU_DEP_1)
	v_div_fmas_f64 v[52:53], v[52:53], v[54:55], v[106:107]
	v_div_fixup_f64 v[134:135], v[52:53], v[42:43], 1.0
	s_delay_alu instid0(VALU_DEP_1)
	v_mul_f64 v[132:133], v[40:41], v[134:135]
	v_xor_b32_e32 v135, 0x80000000, v135
.LBB64_154:
	s_and_not1_saveexec_b32 s2, s2
	s_cbranch_execz .LBB64_156
; %bb.155:
	s_delay_alu instid0(VALU_DEP_1) | instskip(SKIP_1) | instid1(VALU_DEP_2)
	v_div_scale_f64 v[40:41], null, v[132:133], v[132:133], v[134:135]
	v_div_scale_f64 v[54:55], vcc_lo, v[134:135], v[132:133], v[134:135]
	v_rcp_f64_e32 v[42:43], v[40:41]
	s_waitcnt_depctr 0xfff
	v_fma_f64 v[52:53], -v[40:41], v[42:43], 1.0
	s_delay_alu instid0(VALU_DEP_1) | instskip(NEXT) | instid1(VALU_DEP_1)
	v_fma_f64 v[42:43], v[42:43], v[52:53], v[42:43]
	v_fma_f64 v[52:53], -v[40:41], v[42:43], 1.0
	s_delay_alu instid0(VALU_DEP_1) | instskip(NEXT) | instid1(VALU_DEP_1)
	v_fma_f64 v[42:43], v[42:43], v[52:53], v[42:43]
	v_mul_f64 v[52:53], v[54:55], v[42:43]
	s_delay_alu instid0(VALU_DEP_1) | instskip(NEXT) | instid1(VALU_DEP_1)
	v_fma_f64 v[40:41], -v[40:41], v[52:53], v[54:55]
	v_div_fmas_f64 v[40:41], v[40:41], v[42:43], v[52:53]
	s_delay_alu instid0(VALU_DEP_1) | instskip(NEXT) | instid1(VALU_DEP_1)
	v_div_fixup_f64 v[40:41], v[40:41], v[132:133], v[134:135]
	v_fma_f64 v[42:43], v[134:135], v[40:41], v[132:133]
	s_delay_alu instid0(VALU_DEP_1) | instskip(NEXT) | instid1(VALU_DEP_1)
	v_div_scale_f64 v[52:53], null, v[42:43], v[42:43], 1.0
	v_rcp_f64_e32 v[54:55], v[52:53]
	s_waitcnt_depctr 0xfff
	v_fma_f64 v[104:105], -v[52:53], v[54:55], 1.0
	s_delay_alu instid0(VALU_DEP_1) | instskip(NEXT) | instid1(VALU_DEP_1)
	v_fma_f64 v[54:55], v[54:55], v[104:105], v[54:55]
	v_fma_f64 v[104:105], -v[52:53], v[54:55], 1.0
	s_delay_alu instid0(VALU_DEP_1) | instskip(SKIP_1) | instid1(VALU_DEP_1)
	v_fma_f64 v[54:55], v[54:55], v[104:105], v[54:55]
	v_div_scale_f64 v[104:105], vcc_lo, 1.0, v[42:43], 1.0
	v_mul_f64 v[106:107], v[104:105], v[54:55]
	s_delay_alu instid0(VALU_DEP_1) | instskip(NEXT) | instid1(VALU_DEP_1)
	v_fma_f64 v[52:53], -v[52:53], v[106:107], v[104:105]
	v_div_fmas_f64 v[52:53], v[52:53], v[54:55], v[106:107]
	s_delay_alu instid0(VALU_DEP_1) | instskip(NEXT) | instid1(VALU_DEP_1)
	v_div_fixup_f64 v[132:133], v[52:53], v[42:43], 1.0
	v_mul_f64 v[134:135], v[40:41], -v[132:133]
.LBB64_156:
	s_or_b32 exec_lo, exec_lo, s2
.LBB64_157:
	s_delay_alu instid0(SALU_CYCLE_1) | instskip(NEXT) | instid1(SALU_CYCLE_1)
	s_or_b32 exec_lo, exec_lo, s3
	s_mov_b32 s2, exec_lo
	v_cmpx_ne_u32_e64 v174, v140
	s_xor_b32 s2, exec_lo, s2
	s_cbranch_execz .LBB64_163
; %bb.158:
	s_mov_b32 s3, exec_lo
	v_cmpx_eq_u32_e32 7, v174
	s_cbranch_execz .LBB64_162
; %bb.159:
	v_cmp_ne_u32_e32 vcc_lo, 7, v140
	s_xor_b32 s6, s4, -1
	s_delay_alu instid0(SALU_CYCLE_1) | instskip(NEXT) | instid1(SALU_CYCLE_1)
	s_and_b32 s7, s6, vcc_lo
	s_and_saveexec_b32 s6, s7
	s_cbranch_execz .LBB64_161
; %bb.160:
	scratch_load_b64 v[0:1], off, off offset:48 ; 8-byte Folded Reload
	v_ashrrev_i32_e32 v141, 31, v140
	s_delay_alu instid0(VALU_DEP_1) | instskip(SKIP_1) | instid1(VALU_DEP_1)
	v_lshlrev_b64 v[40:41], 2, v[140:141]
	s_waitcnt vmcnt(0)
	v_add_co_u32 v40, vcc_lo, v0, v40
	s_delay_alu instid0(VALU_DEP_2)
	v_add_co_ci_u32_e32 v41, vcc_lo, v1, v41, vcc_lo
	s_clause 0x1
	flat_load_b32 v42, v[40:41]
	flat_load_b32 v43, v[0:1] offset:28
	s_waitcnt vmcnt(1) lgkmcnt(1)
	flat_store_b32 v[0:1], v42 offset:28
	s_waitcnt vmcnt(0) lgkmcnt(1)
	flat_store_b32 v[40:41], v43
.LBB64_161:
	s_or_b32 exec_lo, exec_lo, s6
	v_mov_b32_e32 v174, v140
	v_mov_b32_e32 v173, v140
.LBB64_162:
	s_or_b32 exec_lo, exec_lo, s3
.LBB64_163:
	s_and_not1_saveexec_b32 s2, s2
	s_cbranch_execz .LBB64_165
; %bb.164:
	ds_store_2addr_b64 v172, v[251:252], v[253:254] offset0:16 offset1:17
	ds_store_2addr_b64 v172, v[120:121], v[122:123] offset0:18 offset1:19
	;; [unrolled: 1-line block ×3, first 2 shown]
	scratch_load_b128 v[0:3], off, off      ; 16-byte Folded Reload
	v_mov_b32_e32 v174, 7
	s_waitcnt vmcnt(0)
	ds_store_2addr_b64 v172, v[0:1], v[2:3] offset0:22 offset1:23
	ds_store_2addr_b64 v172, v[96:97], v[98:99] offset0:24 offset1:25
	;; [unrolled: 1-line block ×22, first 2 shown]
.LBB64_165:
	s_or_b32 exec_lo, exec_lo, s2
	s_delay_alu instid0(SALU_CYCLE_1)
	s_mov_b32 s2, exec_lo
	s_waitcnt lgkmcnt(0)
	s_waitcnt_vscnt null, 0x0
	s_barrier
	buffer_gl0_inv
	v_cmpx_lt_i32_e32 7, v174
	s_cbranch_execz .LBB64_167
; %bb.166:
	scratch_load_b128 v[88:91], off, off offset:16 ; 16-byte Folded Reload
	s_waitcnt vmcnt(0)
	v_mul_f64 v[40:41], v[134:135], v[90:91]
	s_delay_alu instid0(VALU_DEP_1) | instskip(SKIP_1) | instid1(VALU_DEP_1)
	v_fma_f64 v[140:141], v[132:133], v[88:89], -v[40:41]
	v_mul_f64 v[40:41], v[132:133], v[90:91]
	v_fma_f64 v[90:91], v[134:135], v[88:89], v[40:41]
	ds_load_2addr_b64 v[132:135], v172 offset0:16 offset1:17
	ds_load_2addr_b64 v[142:145], v172 offset0:18 offset1:19
	;; [unrolled: 1-line block ×8, first 2 shown]
	s_waitcnt lgkmcnt(7)
	v_mul_f64 v[40:41], v[134:135], v[90:91]
	s_delay_alu instid0(VALU_DEP_1) | instskip(SKIP_1) | instid1(VALU_DEP_2)
	v_fma_f64 v[88:89], v[132:133], v[140:141], -v[40:41]
	v_mul_f64 v[40:41], v[132:133], v[90:91]
	v_add_f64 v[251:252], v[251:252], -v[88:89]
	s_delay_alu instid0(VALU_DEP_2) | instskip(SKIP_3) | instid1(VALU_DEP_3)
	v_fma_f64 v[132:133], v[134:135], v[140:141], v[40:41]
	s_waitcnt lgkmcnt(6)
	v_mul_f64 v[40:41], v[144:145], v[90:91]
	v_dual_mov_b32 v88, v140 :: v_dual_mov_b32 v89, v141
	v_add_f64 v[253:254], v[253:254], -v[132:133]
	s_delay_alu instid0(VALU_DEP_3) | instskip(SKIP_1) | instid1(VALU_DEP_2)
	v_fma_f64 v[134:135], v[142:143], v[140:141], -v[40:41]
	v_mul_f64 v[40:41], v[142:143], v[90:91]
	v_add_f64 v[120:121], v[120:121], -v[134:135]
	s_delay_alu instid0(VALU_DEP_2) | instskip(SKIP_2) | instid1(VALU_DEP_2)
	v_fma_f64 v[142:143], v[144:145], v[140:141], v[40:41]
	s_waitcnt lgkmcnt(5)
	v_mul_f64 v[40:41], v[148:149], v[90:91]
	v_add_f64 v[122:123], v[122:123], -v[142:143]
	s_delay_alu instid0(VALU_DEP_2) | instskip(SKIP_1) | instid1(VALU_DEP_2)
	v_fma_f64 v[144:145], v[146:147], v[140:141], -v[40:41]
	v_mul_f64 v[40:41], v[146:147], v[90:91]
	v_add_f64 v[4:5], v[4:5], -v[144:145]
	s_delay_alu instid0(VALU_DEP_2) | instskip(SKIP_2) | instid1(VALU_DEP_2)
	v_fma_f64 v[146:147], v[148:149], v[140:141], v[40:41]
	s_waitcnt lgkmcnt(4)
	v_mul_f64 v[40:41], v[152:153], v[90:91]
	v_add_f64 v[6:7], v[6:7], -v[146:147]
	s_delay_alu instid0(VALU_DEP_2) | instskip(SKIP_1) | instid1(VALU_DEP_1)
	v_fma_f64 v[148:149], v[150:151], v[140:141], -v[40:41]
	v_mul_f64 v[40:41], v[150:151], v[90:91]
	v_fma_f64 v[150:151], v[152:153], v[140:141], v[40:41]
	s_waitcnt lgkmcnt(3)
	v_mul_f64 v[40:41], v[156:157], v[90:91]
	s_delay_alu instid0(VALU_DEP_1) | instskip(SKIP_1) | instid1(VALU_DEP_2)
	v_fma_f64 v[152:153], v[154:155], v[140:141], -v[40:41]
	v_mul_f64 v[40:41], v[154:155], v[90:91]
	v_add_f64 v[96:97], v[96:97], -v[152:153]
	s_delay_alu instid0(VALU_DEP_2) | instskip(SKIP_2) | instid1(VALU_DEP_2)
	v_fma_f64 v[154:155], v[156:157], v[140:141], v[40:41]
	s_waitcnt lgkmcnt(2)
	v_mul_f64 v[40:41], v[160:161], v[90:91]
	v_add_f64 v[98:99], v[98:99], -v[154:155]
	s_delay_alu instid0(VALU_DEP_2) | instskip(SKIP_1) | instid1(VALU_DEP_2)
	v_fma_f64 v[156:157], v[158:159], v[140:141], -v[40:41]
	v_mul_f64 v[40:41], v[158:159], v[90:91]
	v_add_f64 v[84:85], v[84:85], -v[156:157]
	s_delay_alu instid0(VALU_DEP_2) | instskip(SKIP_2) | instid1(VALU_DEP_2)
	v_fma_f64 v[158:159], v[160:161], v[140:141], v[40:41]
	s_waitcnt lgkmcnt(1)
	v_mul_f64 v[40:41], v[164:165], v[90:91]
	v_add_f64 v[86:87], v[86:87], -v[158:159]
	s_delay_alu instid0(VALU_DEP_2) | instskip(SKIP_1) | instid1(VALU_DEP_2)
	;; [unrolled: 9-line block ×3, first 2 shown]
	v_fma_f64 v[164:165], v[175:176], v[140:141], -v[40:41]
	v_mul_f64 v[40:41], v[175:176], v[90:91]
	v_add_f64 v[76:77], v[76:77], -v[164:165]
	s_delay_alu instid0(VALU_DEP_2)
	v_fma_f64 v[166:167], v[177:178], v[140:141], v[40:41]
	ds_load_2addr_b64 v[175:178], v172 offset0:32 offset1:33
	ds_load_2addr_b64 v[179:182], v172 offset0:34 offset1:35
	s_waitcnt lgkmcnt(1)
	v_mul_f64 v[40:41], v[177:178], v[90:91]
	v_mul_f64 v[42:43], v[175:176], v[90:91]
	s_waitcnt lgkmcnt(0)
	v_mul_f64 v[52:53], v[181:182], v[90:91]
	v_mul_f64 v[54:55], v[179:180], v[90:91]
	v_add_f64 v[78:79], v[78:79], -v[166:167]
	v_fma_f64 v[40:41], v[175:176], v[140:141], -v[40:41]
	v_fma_f64 v[42:43], v[177:178], v[140:141], v[42:43]
	v_fma_f64 v[52:53], v[179:180], v[140:141], -v[52:53]
	v_fma_f64 v[54:55], v[181:182], v[140:141], v[54:55]
	ds_load_2addr_b64 v[175:178], v172 offset0:36 offset1:37
	ds_load_2addr_b64 v[179:182], v172 offset0:38 offset1:39
	s_waitcnt lgkmcnt(1)
	v_mul_f64 v[104:105], v[177:178], v[90:91]
	v_mul_f64 v[106:107], v[175:176], v[90:91]
	s_waitcnt lgkmcnt(0)
	v_mul_f64 v[128:129], v[181:182], v[90:91]
	v_mul_f64 v[130:131], v[179:180], v[90:91]
	v_add_f64 v[72:73], v[72:73], -v[40:41]
	v_add_f64 v[74:75], v[74:75], -v[42:43]
	;; [unrolled: 1-line block ×4, first 2 shown]
	v_fma_f64 v[104:105], v[175:176], v[140:141], -v[104:105]
	v_fma_f64 v[106:107], v[177:178], v[140:141], v[106:107]
	v_fma_f64 v[128:129], v[179:180], v[140:141], -v[128:129]
	v_fma_f64 v[130:131], v[181:182], v[140:141], v[130:131]
	ds_load_2addr_b64 v[175:178], v172 offset0:40 offset1:41
	ds_load_2addr_b64 v[179:182], v172 offset0:42 offset1:43
	s_waitcnt lgkmcnt(1)
	v_mul_f64 v[136:137], v[177:178], v[90:91]
	v_mul_f64 v[138:139], v[175:176], v[90:91]
	v_add_f64 v[64:65], v[64:65], -v[104:105]
	v_add_f64 v[66:67], v[66:67], -v[106:107]
	;; [unrolled: 1-line block ×4, first 2 shown]
	v_fma_f64 v[136:137], v[175:176], v[140:141], -v[136:137]
	s_waitcnt lgkmcnt(0)
	v_mul_f64 v[175:176], v[181:182], v[90:91]
	v_fma_f64 v[138:139], v[177:178], v[140:141], v[138:139]
	s_delay_alu instid0(VALU_DEP_3) | instskip(NEXT) | instid1(VALU_DEP_3)
	v_add_f64 v[56:57], v[56:57], -v[136:137]
	v_fma_f64 v[183:184], v[179:180], v[140:141], -v[175:176]
	v_mul_f64 v[175:176], v[179:180], v[90:91]
	s_delay_alu instid0(VALU_DEP_4) | instskip(NEXT) | instid1(VALU_DEP_3)
	v_add_f64 v[58:59], v[58:59], -v[138:139]
	v_add_f64 v[48:49], v[48:49], -v[183:184]
	s_delay_alu instid0(VALU_DEP_3)
	v_fma_f64 v[185:186], v[181:182], v[140:141], v[175:176]
	ds_load_2addr_b64 v[175:178], v172 offset0:44 offset1:45
	ds_load_2addr_b64 v[179:182], v172 offset0:46 offset1:47
	s_waitcnt lgkmcnt(1)
	v_mul_f64 v[187:188], v[177:178], v[90:91]
	v_add_f64 v[50:51], v[50:51], -v[185:186]
	s_delay_alu instid0(VALU_DEP_2) | instskip(SKIP_1) | instid1(VALU_DEP_2)
	v_fma_f64 v[187:188], v[175:176], v[140:141], -v[187:188]
	v_mul_f64 v[175:176], v[175:176], v[90:91]
	v_add_f64 v[44:45], v[44:45], -v[187:188]
	s_delay_alu instid0(VALU_DEP_2) | instskip(SKIP_2) | instid1(VALU_DEP_2)
	v_fma_f64 v[189:190], v[177:178], v[140:141], v[175:176]
	s_waitcnt lgkmcnt(0)
	v_mul_f64 v[175:176], v[181:182], v[90:91]
	v_add_f64 v[46:47], v[46:47], -v[189:190]
	s_delay_alu instid0(VALU_DEP_2) | instskip(SKIP_1) | instid1(VALU_DEP_2)
	v_fma_f64 v[191:192], v[179:180], v[140:141], -v[175:176]
	v_mul_f64 v[175:176], v[179:180], v[90:91]
	v_add_f64 v[36:37], v[36:37], -v[191:192]
	s_delay_alu instid0(VALU_DEP_2)
	v_fma_f64 v[193:194], v[181:182], v[140:141], v[175:176]
	ds_load_2addr_b64 v[175:178], v172 offset0:48 offset1:49
	ds_load_2addr_b64 v[179:182], v172 offset0:50 offset1:51
	s_waitcnt lgkmcnt(1)
	v_mul_f64 v[195:196], v[177:178], v[90:91]
	v_add_f64 v[38:39], v[38:39], -v[193:194]
	s_delay_alu instid0(VALU_DEP_2) | instskip(SKIP_1) | instid1(VALU_DEP_2)
	v_fma_f64 v[195:196], v[175:176], v[140:141], -v[195:196]
	v_mul_f64 v[175:176], v[175:176], v[90:91]
	v_add_f64 v[32:33], v[32:33], -v[195:196]
	s_delay_alu instid0(VALU_DEP_2) | instskip(SKIP_2) | instid1(VALU_DEP_2)
	v_fma_f64 v[197:198], v[177:178], v[140:141], v[175:176]
	s_waitcnt lgkmcnt(0)
	v_mul_f64 v[175:176], v[181:182], v[90:91]
	v_add_f64 v[34:35], v[34:35], -v[197:198]
	s_delay_alu instid0(VALU_DEP_2) | instskip(SKIP_1) | instid1(VALU_DEP_2)
	v_fma_f64 v[199:200], v[179:180], v[140:141], -v[175:176]
	v_mul_f64 v[175:176], v[179:180], v[90:91]
	v_add_f64 v[28:29], v[28:29], -v[199:200]
	s_delay_alu instid0(VALU_DEP_2)
	;; [unrolled: 20-line block ×4, first 2 shown]
	v_fma_f64 v[217:218], v[181:182], v[140:141], v[175:176]
	ds_load_2addr_b64 v[175:178], v172 offset0:60 offset1:61
	ds_load_2addr_b64 v[179:182], v172 offset0:62 offset1:63
	scratch_load_b128 v[0:3], off, off      ; 16-byte Folded Reload
	scratch_store_b128 off, v[88:91], off offset:16 ; 16-byte Folded Spill
	s_waitcnt lgkmcnt(1)
	v_mul_f64 v[219:220], v[177:178], v[90:91]
	v_add_f64 v[14:15], v[14:15], -v[217:218]
	s_delay_alu instid0(VALU_DEP_2) | instskip(SKIP_1) | instid1(VALU_DEP_2)
	v_fma_f64 v[219:220], v[175:176], v[140:141], -v[219:220]
	v_mul_f64 v[175:176], v[175:176], v[90:91]
	v_add_f64 v[8:9], v[8:9], -v[219:220]
	s_delay_alu instid0(VALU_DEP_2) | instskip(SKIP_2) | instid1(VALU_DEP_2)
	v_fma_f64 v[221:222], v[177:178], v[140:141], v[175:176]
	s_waitcnt lgkmcnt(0)
	v_mul_f64 v[175:176], v[181:182], v[90:91]
	v_add_f64 v[10:11], v[10:11], -v[221:222]
	s_delay_alu instid0(VALU_DEP_2) | instskip(SKIP_1) | instid1(VALU_DEP_2)
	v_fma_f64 v[223:224], v[179:180], v[140:141], -v[175:176]
	v_mul_f64 v[175:176], v[179:180], v[90:91]
	v_add_f64 v[243:244], v[243:244], -v[223:224]
	s_delay_alu instid0(VALU_DEP_2) | instskip(SKIP_4) | instid1(VALU_DEP_2)
	v_fma_f64 v[179:180], v[181:182], v[140:141], v[175:176]
	ds_load_2addr_b64 v[175:178], v172 offset0:64 offset1:65
	s_waitcnt lgkmcnt(0)
	v_mul_f64 v[181:182], v[177:178], v[90:91]
	v_add_f64 v[245:246], v[245:246], -v[179:180]
	v_fma_f64 v[181:182], v[175:176], v[140:141], -v[181:182]
	v_mul_f64 v[175:176], v[175:176], v[90:91]
	s_delay_alu instid0(VALU_DEP_2) | instskip(NEXT) | instid1(VALU_DEP_2)
	v_add_f64 v[237:238], v[237:238], -v[181:182]
	v_fma_f64 v[175:176], v[177:178], v[140:141], v[175:176]
	s_delay_alu instid0(VALU_DEP_1)
	v_add_f64 v[239:240], v[239:240], -v[175:176]
	s_waitcnt vmcnt(0)
	v_add_f64 v[0:1], v[0:1], -v[148:149]
	v_add_f64 v[2:3], v[2:3], -v[150:151]
	scratch_store_b128 off, v[0:3], off     ; 16-byte Folded Spill
.LBB64_167:
	s_or_b32 exec_lo, exec_lo, s2
	v_lshl_add_u32 v40, v174, 4, v172
	s_waitcnt_vscnt null, 0x0
	s_barrier
	buffer_gl0_inv
	v_mov_b32_e32 v140, 8
	ds_store_2addr_b64 v40, v[251:252], v[253:254] offset1:1
	s_waitcnt lgkmcnt(0)
	s_barrier
	buffer_gl0_inv
	ds_load_2addr_b64 v[132:135], v172 offset0:16 offset1:17
	s_cmp_lt_i32 s5, 10
	s_cbranch_scc1 .LBB64_170
; %bb.168:
	v_add3_u32 v141, v170, 0, 0x90
	v_mov_b32_e32 v140, 8
	s_mov_b32 s6, 9
	s_set_inst_prefetch_distance 0x1
	.p2align	6
.LBB64_169:                             ; =>This Inner Loop Header: Depth=1
	ds_load_2addr_b64 v[142:145], v141 offset1:1
	s_waitcnt lgkmcnt(1)
	v_cmp_gt_f64_e32 vcc_lo, 0, v[132:133]
	v_xor_b32_e32 v40, 0x80000000, v133
	v_cmp_gt_f64_e64 s2, 0, v[134:135]
	v_xor_b32_e32 v42, 0x80000000, v135
	v_add_nc_u32_e32 v141, 16, v141
	s_waitcnt lgkmcnt(0)
	v_cmp_gt_f64_e64 s3, 0, v[142:143]
	v_mov_b32_e32 v52, v142
	v_dual_mov_b32 v54, v144 :: v_dual_cndmask_b32 v41, v133, v40
	v_xor_b32_e32 v40, 0x80000000, v143
	v_cndmask_b32_e64 v43, v135, v42, s2
	v_xor_b32_e32 v42, 0x80000000, v145
	s_delay_alu instid0(VALU_DEP_3) | instskip(SKIP_2) | instid1(VALU_DEP_2)
	v_cndmask_b32_e64 v53, v143, v40, s3
	v_cmp_gt_f64_e64 s3, 0, v[144:145]
	v_cndmask_b32_e32 v40, v132, v132, vcc_lo
	v_cndmask_b32_e64 v55, v145, v42, s3
	v_cndmask_b32_e64 v42, v134, v134, s2
	s_delay_alu instid0(VALU_DEP_2) | instskip(NEXT) | instid1(VALU_DEP_2)
	v_add_f64 v[52:53], v[52:53], v[54:55]
	v_add_f64 v[40:41], v[40:41], v[42:43]
	s_delay_alu instid0(VALU_DEP_1)
	v_cmp_lt_f64_e32 vcc_lo, v[40:41], v[52:53]
	v_cndmask_b32_e32 v135, v135, v145, vcc_lo
	v_dual_cndmask_b32 v133, v133, v143 :: v_dual_cndmask_b32 v132, v132, v142
	v_cndmask_b32_e32 v134, v134, v144, vcc_lo
	v_cndmask_b32_e64 v140, v140, s6, vcc_lo
	s_add_i32 s6, s6, 1
	s_delay_alu instid0(SALU_CYCLE_1)
	s_cmp_lg_u32 s5, s6
	s_cbranch_scc1 .LBB64_169
.LBB64_170:
	s_set_inst_prefetch_distance 0x2
	s_waitcnt lgkmcnt(0)
	v_cmp_eq_f64_e32 vcc_lo, 0, v[132:133]
	v_cmp_eq_f64_e64 s2, 0, v[134:135]
	s_delay_alu instid0(VALU_DEP_1) | instskip(NEXT) | instid1(SALU_CYCLE_1)
	s_and_b32 s2, vcc_lo, s2
	s_and_saveexec_b32 s3, s2
	s_delay_alu instid0(SALU_CYCLE_1)
	s_xor_b32 s2, exec_lo, s3
; %bb.171:
	v_cmp_ne_u32_e32 vcc_lo, 0, v255
	v_cndmask_b32_e32 v255, 9, v255, vcc_lo
; %bb.172:
	s_and_not1_saveexec_b32 s3, s2
	s_cbranch_execz .LBB64_178
; %bb.173:
	v_cmp_gt_f64_e32 vcc_lo, 0, v[132:133]
	v_cmp_gt_f64_e64 s2, 0, v[134:135]
	v_xor_b32_e32 v40, 0x80000000, v133
	v_xor_b32_e32 v42, 0x80000000, v135
	s_delay_alu instid0(VALU_DEP_2) | instskip(NEXT) | instid1(VALU_DEP_2)
	v_cndmask_b32_e32 v41, v133, v40, vcc_lo
	v_cndmask_b32_e64 v43, v135, v42, s2
	v_cndmask_b32_e32 v40, v132, v132, vcc_lo
	v_cndmask_b32_e64 v42, v134, v134, s2
	s_mov_b32 s2, exec_lo
	s_delay_alu instid0(VALU_DEP_1)
	v_cmpx_ngt_f64_e32 v[40:41], v[42:43]
	s_xor_b32 s2, exec_lo, s2
	s_cbranch_execz .LBB64_175
; %bb.174:
	v_div_scale_f64 v[40:41], null, v[134:135], v[134:135], v[132:133]
	v_div_scale_f64 v[54:55], vcc_lo, v[132:133], v[134:135], v[132:133]
	s_delay_alu instid0(VALU_DEP_2) | instskip(SKIP_2) | instid1(VALU_DEP_1)
	v_rcp_f64_e32 v[42:43], v[40:41]
	s_waitcnt_depctr 0xfff
	v_fma_f64 v[52:53], -v[40:41], v[42:43], 1.0
	v_fma_f64 v[42:43], v[42:43], v[52:53], v[42:43]
	s_delay_alu instid0(VALU_DEP_1) | instskip(NEXT) | instid1(VALU_DEP_1)
	v_fma_f64 v[52:53], -v[40:41], v[42:43], 1.0
	v_fma_f64 v[42:43], v[42:43], v[52:53], v[42:43]
	s_delay_alu instid0(VALU_DEP_1) | instskip(NEXT) | instid1(VALU_DEP_1)
	v_mul_f64 v[52:53], v[54:55], v[42:43]
	v_fma_f64 v[40:41], -v[40:41], v[52:53], v[54:55]
	s_delay_alu instid0(VALU_DEP_1) | instskip(NEXT) | instid1(VALU_DEP_1)
	v_div_fmas_f64 v[40:41], v[40:41], v[42:43], v[52:53]
	v_div_fixup_f64 v[40:41], v[40:41], v[134:135], v[132:133]
	s_delay_alu instid0(VALU_DEP_1) | instskip(NEXT) | instid1(VALU_DEP_1)
	v_fma_f64 v[42:43], v[132:133], v[40:41], v[134:135]
	v_div_scale_f64 v[52:53], null, v[42:43], v[42:43], 1.0
	s_delay_alu instid0(VALU_DEP_1) | instskip(SKIP_2) | instid1(VALU_DEP_1)
	v_rcp_f64_e32 v[54:55], v[52:53]
	s_waitcnt_depctr 0xfff
	v_fma_f64 v[104:105], -v[52:53], v[54:55], 1.0
	v_fma_f64 v[54:55], v[54:55], v[104:105], v[54:55]
	s_delay_alu instid0(VALU_DEP_1) | instskip(NEXT) | instid1(VALU_DEP_1)
	v_fma_f64 v[104:105], -v[52:53], v[54:55], 1.0
	v_fma_f64 v[54:55], v[54:55], v[104:105], v[54:55]
	v_div_scale_f64 v[104:105], vcc_lo, 1.0, v[42:43], 1.0
	s_delay_alu instid0(VALU_DEP_1) | instskip(NEXT) | instid1(VALU_DEP_1)
	v_mul_f64 v[106:107], v[104:105], v[54:55]
	v_fma_f64 v[52:53], -v[52:53], v[106:107], v[104:105]
	s_delay_alu instid0(VALU_DEP_1) | instskip(NEXT) | instid1(VALU_DEP_1)
	v_div_fmas_f64 v[52:53], v[52:53], v[54:55], v[106:107]
	v_div_fixup_f64 v[134:135], v[52:53], v[42:43], 1.0
	s_delay_alu instid0(VALU_DEP_1)
	v_mul_f64 v[132:133], v[40:41], v[134:135]
	v_xor_b32_e32 v135, 0x80000000, v135
.LBB64_175:
	s_and_not1_saveexec_b32 s2, s2
	s_cbranch_execz .LBB64_177
; %bb.176:
	s_delay_alu instid0(VALU_DEP_1) | instskip(SKIP_1) | instid1(VALU_DEP_2)
	v_div_scale_f64 v[40:41], null, v[132:133], v[132:133], v[134:135]
	v_div_scale_f64 v[54:55], vcc_lo, v[134:135], v[132:133], v[134:135]
	v_rcp_f64_e32 v[42:43], v[40:41]
	s_waitcnt_depctr 0xfff
	v_fma_f64 v[52:53], -v[40:41], v[42:43], 1.0
	s_delay_alu instid0(VALU_DEP_1) | instskip(NEXT) | instid1(VALU_DEP_1)
	v_fma_f64 v[42:43], v[42:43], v[52:53], v[42:43]
	v_fma_f64 v[52:53], -v[40:41], v[42:43], 1.0
	s_delay_alu instid0(VALU_DEP_1) | instskip(NEXT) | instid1(VALU_DEP_1)
	v_fma_f64 v[42:43], v[42:43], v[52:53], v[42:43]
	v_mul_f64 v[52:53], v[54:55], v[42:43]
	s_delay_alu instid0(VALU_DEP_1) | instskip(NEXT) | instid1(VALU_DEP_1)
	v_fma_f64 v[40:41], -v[40:41], v[52:53], v[54:55]
	v_div_fmas_f64 v[40:41], v[40:41], v[42:43], v[52:53]
	s_delay_alu instid0(VALU_DEP_1) | instskip(NEXT) | instid1(VALU_DEP_1)
	v_div_fixup_f64 v[40:41], v[40:41], v[132:133], v[134:135]
	v_fma_f64 v[42:43], v[134:135], v[40:41], v[132:133]
	s_delay_alu instid0(VALU_DEP_1) | instskip(NEXT) | instid1(VALU_DEP_1)
	v_div_scale_f64 v[52:53], null, v[42:43], v[42:43], 1.0
	v_rcp_f64_e32 v[54:55], v[52:53]
	s_waitcnt_depctr 0xfff
	v_fma_f64 v[104:105], -v[52:53], v[54:55], 1.0
	s_delay_alu instid0(VALU_DEP_1) | instskip(NEXT) | instid1(VALU_DEP_1)
	v_fma_f64 v[54:55], v[54:55], v[104:105], v[54:55]
	v_fma_f64 v[104:105], -v[52:53], v[54:55], 1.0
	s_delay_alu instid0(VALU_DEP_1) | instskip(SKIP_1) | instid1(VALU_DEP_1)
	v_fma_f64 v[54:55], v[54:55], v[104:105], v[54:55]
	v_div_scale_f64 v[104:105], vcc_lo, 1.0, v[42:43], 1.0
	v_mul_f64 v[106:107], v[104:105], v[54:55]
	s_delay_alu instid0(VALU_DEP_1) | instskip(NEXT) | instid1(VALU_DEP_1)
	v_fma_f64 v[52:53], -v[52:53], v[106:107], v[104:105]
	v_div_fmas_f64 v[52:53], v[52:53], v[54:55], v[106:107]
	s_delay_alu instid0(VALU_DEP_1) | instskip(NEXT) | instid1(VALU_DEP_1)
	v_div_fixup_f64 v[132:133], v[52:53], v[42:43], 1.0
	v_mul_f64 v[134:135], v[40:41], -v[132:133]
.LBB64_177:
	s_or_b32 exec_lo, exec_lo, s2
.LBB64_178:
	s_delay_alu instid0(SALU_CYCLE_1) | instskip(NEXT) | instid1(SALU_CYCLE_1)
	s_or_b32 exec_lo, exec_lo, s3
	s_mov_b32 s2, exec_lo
	v_cmpx_ne_u32_e64 v174, v140
	s_xor_b32 s2, exec_lo, s2
	s_cbranch_execz .LBB64_184
; %bb.179:
	s_mov_b32 s3, exec_lo
	v_cmpx_eq_u32_e32 8, v174
	s_cbranch_execz .LBB64_183
; %bb.180:
	v_cmp_ne_u32_e32 vcc_lo, 8, v140
	s_xor_b32 s6, s4, -1
	s_delay_alu instid0(SALU_CYCLE_1) | instskip(NEXT) | instid1(SALU_CYCLE_1)
	s_and_b32 s7, s6, vcc_lo
	s_and_saveexec_b32 s6, s7
	s_cbranch_execz .LBB64_182
; %bb.181:
	scratch_load_b64 v[0:1], off, off offset:48 ; 8-byte Folded Reload
	v_ashrrev_i32_e32 v141, 31, v140
	s_delay_alu instid0(VALU_DEP_1) | instskip(SKIP_1) | instid1(VALU_DEP_1)
	v_lshlrev_b64 v[40:41], 2, v[140:141]
	s_waitcnt vmcnt(0)
	v_add_co_u32 v40, vcc_lo, v0, v40
	s_delay_alu instid0(VALU_DEP_2)
	v_add_co_ci_u32_e32 v41, vcc_lo, v1, v41, vcc_lo
	s_clause 0x1
	flat_load_b32 v42, v[40:41]
	flat_load_b32 v43, v[0:1] offset:32
	s_waitcnt vmcnt(1) lgkmcnt(1)
	flat_store_b32 v[0:1], v42 offset:32
	s_waitcnt vmcnt(0) lgkmcnt(1)
	flat_store_b32 v[40:41], v43
.LBB64_182:
	s_or_b32 exec_lo, exec_lo, s6
	v_mov_b32_e32 v174, v140
	v_mov_b32_e32 v173, v140
.LBB64_183:
	s_or_b32 exec_lo, exec_lo, s3
.LBB64_184:
	s_and_not1_saveexec_b32 s2, s2
	s_cbranch_execz .LBB64_186
; %bb.185:
	ds_store_2addr_b64 v172, v[120:121], v[122:123] offset0:18 offset1:19
	ds_store_2addr_b64 v172, v[4:5], v[6:7] offset0:20 offset1:21
	scratch_load_b128 v[0:3], off, off      ; 16-byte Folded Reload
	v_mov_b32_e32 v174, 8
	s_waitcnt vmcnt(0)
	ds_store_2addr_b64 v172, v[0:1], v[2:3] offset0:22 offset1:23
	ds_store_2addr_b64 v172, v[96:97], v[98:99] offset0:24 offset1:25
	;; [unrolled: 1-line block ×22, first 2 shown]
.LBB64_186:
	s_or_b32 exec_lo, exec_lo, s2
	s_delay_alu instid0(SALU_CYCLE_1)
	s_mov_b32 s2, exec_lo
	s_waitcnt lgkmcnt(0)
	s_waitcnt_vscnt null, 0x0
	s_barrier
	buffer_gl0_inv
	v_cmpx_lt_i32_e32 8, v174
	s_cbranch_execz .LBB64_188
; %bb.187:
	v_mul_f64 v[40:41], v[134:135], v[253:254]
	v_dual_mov_b32 v224, v127 :: v_dual_mov_b32 v223, v126
	v_dual_mov_b32 v222, v125 :: v_dual_mov_b32 v221, v124
	s_delay_alu instid0(VALU_DEP_3) | instskip(SKIP_1) | instid1(VALU_DEP_1)
	v_fma_f64 v[140:141], v[132:133], v[251:252], -v[40:41]
	v_mul_f64 v[40:41], v[132:133], v[253:254]
	v_fma_f64 v[253:254], v[134:135], v[251:252], v[40:41]
	ds_load_2addr_b64 v[132:135], v172 offset0:18 offset1:19
	ds_load_2addr_b64 v[142:145], v172 offset0:20 offset1:21
	;; [unrolled: 1-line block ×6, first 2 shown]
	v_dual_mov_b32 v252, v141 :: v_dual_mov_b32 v251, v140
	s_waitcnt lgkmcnt(5)
	v_mul_f64 v[40:41], v[134:135], v[253:254]
	s_delay_alu instid0(VALU_DEP_1) | instskip(SKIP_1) | instid1(VALU_DEP_2)
	v_fma_f64 v[124:125], v[132:133], v[140:141], -v[40:41]
	v_mul_f64 v[40:41], v[132:133], v[253:254]
	v_add_f64 v[120:121], v[120:121], -v[124:125]
	s_delay_alu instid0(VALU_DEP_2) | instskip(SKIP_4) | instid1(VALU_DEP_4)
	v_fma_f64 v[132:133], v[134:135], v[140:141], v[40:41]
	s_waitcnt lgkmcnt(4)
	v_mul_f64 v[40:41], v[144:145], v[253:254]
	v_dual_mov_b32 v124, v221 :: v_dual_mov_b32 v125, v222
	v_dual_mov_b32 v126, v223 :: v_dual_mov_b32 v127, v224
	v_add_f64 v[122:123], v[122:123], -v[132:133]
	s_delay_alu instid0(VALU_DEP_4) | instskip(SKIP_1) | instid1(VALU_DEP_2)
	v_fma_f64 v[134:135], v[142:143], v[140:141], -v[40:41]
	v_mul_f64 v[40:41], v[142:143], v[253:254]
	v_add_f64 v[4:5], v[4:5], -v[134:135]
	s_delay_alu instid0(VALU_DEP_2) | instskip(SKIP_2) | instid1(VALU_DEP_2)
	v_fma_f64 v[142:143], v[144:145], v[140:141], v[40:41]
	s_waitcnt lgkmcnt(3)
	v_mul_f64 v[40:41], v[148:149], v[253:254]
	v_add_f64 v[6:7], v[6:7], -v[142:143]
	s_delay_alu instid0(VALU_DEP_2) | instskip(SKIP_1) | instid1(VALU_DEP_1)
	v_fma_f64 v[144:145], v[146:147], v[140:141], -v[40:41]
	v_mul_f64 v[40:41], v[146:147], v[253:254]
	v_fma_f64 v[146:147], v[148:149], v[140:141], v[40:41]
	s_waitcnt lgkmcnt(2)
	v_mul_f64 v[40:41], v[152:153], v[253:254]
	s_delay_alu instid0(VALU_DEP_1) | instskip(SKIP_1) | instid1(VALU_DEP_2)
	v_fma_f64 v[148:149], v[150:151], v[140:141], -v[40:41]
	v_mul_f64 v[40:41], v[150:151], v[253:254]
	v_add_f64 v[96:97], v[96:97], -v[148:149]
	s_delay_alu instid0(VALU_DEP_2) | instskip(SKIP_2) | instid1(VALU_DEP_2)
	v_fma_f64 v[150:151], v[152:153], v[140:141], v[40:41]
	s_waitcnt lgkmcnt(1)
	v_mul_f64 v[40:41], v[156:157], v[253:254]
	v_add_f64 v[98:99], v[98:99], -v[150:151]
	s_delay_alu instid0(VALU_DEP_2) | instskip(SKIP_1) | instid1(VALU_DEP_2)
	v_fma_f64 v[152:153], v[154:155], v[140:141], -v[40:41]
	v_mul_f64 v[40:41], v[154:155], v[253:254]
	v_add_f64 v[84:85], v[84:85], -v[152:153]
	s_delay_alu instid0(VALU_DEP_2) | instskip(SKIP_2) | instid1(VALU_DEP_2)
	v_fma_f64 v[154:155], v[156:157], v[140:141], v[40:41]
	s_waitcnt lgkmcnt(0)
	v_mul_f64 v[40:41], v[160:161], v[253:254]
	v_add_f64 v[86:87], v[86:87], -v[154:155]
	s_delay_alu instid0(VALU_DEP_2) | instskip(SKIP_1) | instid1(VALU_DEP_2)
	v_fma_f64 v[156:157], v[158:159], v[140:141], -v[40:41]
	v_mul_f64 v[40:41], v[158:159], v[253:254]
	v_add_f64 v[80:81], v[80:81], -v[156:157]
	s_delay_alu instid0(VALU_DEP_2)
	v_fma_f64 v[158:159], v[160:161], v[140:141], v[40:41]
	ds_load_2addr_b64 v[160:163], v172 offset0:30 offset1:31
	ds_load_2addr_b64 v[164:167], v172 offset0:32 offset1:33
	s_waitcnt lgkmcnt(1)
	v_mul_f64 v[40:41], v[162:163], v[253:254]
	v_mul_f64 v[42:43], v[160:161], v[253:254]
	s_waitcnt lgkmcnt(0)
	v_mul_f64 v[52:53], v[166:167], v[253:254]
	v_mul_f64 v[54:55], v[164:165], v[253:254]
	v_add_f64 v[82:83], v[82:83], -v[158:159]
	v_fma_f64 v[40:41], v[160:161], v[140:141], -v[40:41]
	v_fma_f64 v[42:43], v[162:163], v[140:141], v[42:43]
	v_fma_f64 v[52:53], v[164:165], v[140:141], -v[52:53]
	v_fma_f64 v[54:55], v[166:167], v[140:141], v[54:55]
	ds_load_2addr_b64 v[160:163], v172 offset0:34 offset1:35
	ds_load_2addr_b64 v[164:167], v172 offset0:36 offset1:37
	s_waitcnt lgkmcnt(1)
	v_mul_f64 v[104:105], v[162:163], v[253:254]
	v_mul_f64 v[106:107], v[160:161], v[253:254]
	s_waitcnt lgkmcnt(0)
	v_mul_f64 v[128:129], v[166:167], v[253:254]
	v_mul_f64 v[130:131], v[164:165], v[253:254]
	v_add_f64 v[76:77], v[76:77], -v[40:41]
	v_add_f64 v[78:79], v[78:79], -v[42:43]
	;; [unrolled: 1-line block ×4, first 2 shown]
	v_fma_f64 v[104:105], v[160:161], v[140:141], -v[104:105]
	v_fma_f64 v[106:107], v[162:163], v[140:141], v[106:107]
	v_fma_f64 v[128:129], v[164:165], v[140:141], -v[128:129]
	v_fma_f64 v[130:131], v[166:167], v[140:141], v[130:131]
	ds_load_2addr_b64 v[160:163], v172 offset0:38 offset1:39
	ds_load_2addr_b64 v[164:167], v172 offset0:40 offset1:41
	s_waitcnt lgkmcnt(1)
	v_mul_f64 v[136:137], v[162:163], v[253:254]
	v_mul_f64 v[138:139], v[160:161], v[253:254]
	v_add_f64 v[68:69], v[68:69], -v[104:105]
	v_add_f64 v[70:71], v[70:71], -v[106:107]
	;; [unrolled: 1-line block ×4, first 2 shown]
	v_fma_f64 v[136:137], v[160:161], v[140:141], -v[136:137]
	s_waitcnt lgkmcnt(0)
	v_mul_f64 v[160:161], v[166:167], v[253:254]
	v_fma_f64 v[138:139], v[162:163], v[140:141], v[138:139]
	s_delay_alu instid0(VALU_DEP_3) | instskip(NEXT) | instid1(VALU_DEP_3)
	v_add_f64 v[60:61], v[60:61], -v[136:137]
	v_fma_f64 v[175:176], v[164:165], v[140:141], -v[160:161]
	v_mul_f64 v[160:161], v[164:165], v[253:254]
	s_delay_alu instid0(VALU_DEP_4) | instskip(NEXT) | instid1(VALU_DEP_3)
	v_add_f64 v[62:63], v[62:63], -v[138:139]
	v_add_f64 v[56:57], v[56:57], -v[175:176]
	s_delay_alu instid0(VALU_DEP_3)
	v_fma_f64 v[177:178], v[166:167], v[140:141], v[160:161]
	ds_load_2addr_b64 v[160:163], v172 offset0:42 offset1:43
	ds_load_2addr_b64 v[164:167], v172 offset0:44 offset1:45
	s_waitcnt lgkmcnt(1)
	v_mul_f64 v[179:180], v[162:163], v[253:254]
	v_add_f64 v[58:59], v[58:59], -v[177:178]
	s_delay_alu instid0(VALU_DEP_2) | instskip(SKIP_1) | instid1(VALU_DEP_2)
	v_fma_f64 v[179:180], v[160:161], v[140:141], -v[179:180]
	v_mul_f64 v[160:161], v[160:161], v[253:254]
	v_add_f64 v[48:49], v[48:49], -v[179:180]
	s_delay_alu instid0(VALU_DEP_2) | instskip(SKIP_2) | instid1(VALU_DEP_2)
	v_fma_f64 v[181:182], v[162:163], v[140:141], v[160:161]
	s_waitcnt lgkmcnt(0)
	v_mul_f64 v[160:161], v[166:167], v[253:254]
	v_add_f64 v[50:51], v[50:51], -v[181:182]
	s_delay_alu instid0(VALU_DEP_2) | instskip(SKIP_1) | instid1(VALU_DEP_2)
	v_fma_f64 v[183:184], v[164:165], v[140:141], -v[160:161]
	v_mul_f64 v[160:161], v[164:165], v[253:254]
	v_add_f64 v[44:45], v[44:45], -v[183:184]
	s_delay_alu instid0(VALU_DEP_2)
	v_fma_f64 v[185:186], v[166:167], v[140:141], v[160:161]
	ds_load_2addr_b64 v[160:163], v172 offset0:46 offset1:47
	ds_load_2addr_b64 v[164:167], v172 offset0:48 offset1:49
	s_waitcnt lgkmcnt(1)
	v_mul_f64 v[187:188], v[162:163], v[253:254]
	v_add_f64 v[46:47], v[46:47], -v[185:186]
	s_delay_alu instid0(VALU_DEP_2) | instskip(SKIP_1) | instid1(VALU_DEP_2)
	v_fma_f64 v[187:188], v[160:161], v[140:141], -v[187:188]
	v_mul_f64 v[160:161], v[160:161], v[253:254]
	v_add_f64 v[36:37], v[36:37], -v[187:188]
	s_delay_alu instid0(VALU_DEP_2) | instskip(SKIP_2) | instid1(VALU_DEP_2)
	v_fma_f64 v[189:190], v[162:163], v[140:141], v[160:161]
	s_waitcnt lgkmcnt(0)
	v_mul_f64 v[160:161], v[166:167], v[253:254]
	v_add_f64 v[38:39], v[38:39], -v[189:190]
	s_delay_alu instid0(VALU_DEP_2) | instskip(SKIP_1) | instid1(VALU_DEP_2)
	v_fma_f64 v[191:192], v[164:165], v[140:141], -v[160:161]
	v_mul_f64 v[160:161], v[164:165], v[253:254]
	v_add_f64 v[32:33], v[32:33], -v[191:192]
	s_delay_alu instid0(VALU_DEP_2)
	;; [unrolled: 20-line block ×5, first 2 shown]
	v_fma_f64 v[217:218], v[166:167], v[140:141], v[160:161]
	ds_load_2addr_b64 v[160:163], v172 offset0:62 offset1:63
	ds_load_2addr_b64 v[164:167], v172 offset0:64 offset1:65
	scratch_load_b128 v[0:3], off, off      ; 16-byte Folded Reload
	s_waitcnt lgkmcnt(1)
	v_mul_f64 v[219:220], v[162:163], v[253:254]
	v_add_f64 v[10:11], v[10:11], -v[217:218]
	s_delay_alu instid0(VALU_DEP_2) | instskip(SKIP_1) | instid1(VALU_DEP_2)
	v_fma_f64 v[219:220], v[160:161], v[140:141], -v[219:220]
	v_mul_f64 v[160:161], v[160:161], v[253:254]
	v_add_f64 v[243:244], v[243:244], -v[219:220]
	s_delay_alu instid0(VALU_DEP_2) | instskip(SKIP_2) | instid1(VALU_DEP_2)
	v_fma_f64 v[160:161], v[162:163], v[140:141], v[160:161]
	s_waitcnt lgkmcnt(0)
	v_mul_f64 v[162:163], v[166:167], v[253:254]
	v_add_f64 v[245:246], v[245:246], -v[160:161]
	s_delay_alu instid0(VALU_DEP_2) | instskip(SKIP_1) | instid1(VALU_DEP_2)
	v_fma_f64 v[162:163], v[164:165], v[140:141], -v[162:163]
	v_mul_f64 v[164:165], v[164:165], v[253:254]
	v_add_f64 v[237:238], v[237:238], -v[162:163]
	s_delay_alu instid0(VALU_DEP_2) | instskip(NEXT) | instid1(VALU_DEP_1)
	v_fma_f64 v[164:165], v[166:167], v[140:141], v[164:165]
	v_add_f64 v[239:240], v[239:240], -v[164:165]
	s_waitcnt vmcnt(0)
	v_add_f64 v[0:1], v[0:1], -v[144:145]
	v_add_f64 v[2:3], v[2:3], -v[146:147]
	scratch_store_b128 off, v[0:3], off     ; 16-byte Folded Spill
.LBB64_188:
	s_or_b32 exec_lo, exec_lo, s2
	v_lshl_add_u32 v40, v174, 4, v172
	s_waitcnt_vscnt null, 0x0
	s_barrier
	buffer_gl0_inv
	v_mov_b32_e32 v140, 9
	ds_store_2addr_b64 v40, v[120:121], v[122:123] offset1:1
	s_waitcnt lgkmcnt(0)
	s_barrier
	buffer_gl0_inv
	ds_load_2addr_b64 v[132:135], v172 offset0:18 offset1:19
	s_cmp_lt_i32 s5, 11
	s_cbranch_scc1 .LBB64_191
; %bb.189:
	v_add3_u32 v141, v170, 0, 0xa0
	v_mov_b32_e32 v140, 9
	s_mov_b32 s6, 10
	s_set_inst_prefetch_distance 0x1
	.p2align	6
.LBB64_190:                             ; =>This Inner Loop Header: Depth=1
	ds_load_2addr_b64 v[142:145], v141 offset1:1
	s_waitcnt lgkmcnt(1)
	v_cmp_gt_f64_e32 vcc_lo, 0, v[132:133]
	v_xor_b32_e32 v40, 0x80000000, v133
	v_cmp_gt_f64_e64 s2, 0, v[134:135]
	v_xor_b32_e32 v42, 0x80000000, v135
	v_add_nc_u32_e32 v141, 16, v141
	s_waitcnt lgkmcnt(0)
	v_cmp_gt_f64_e64 s3, 0, v[142:143]
	v_mov_b32_e32 v52, v142
	v_dual_mov_b32 v54, v144 :: v_dual_cndmask_b32 v41, v133, v40
	v_xor_b32_e32 v40, 0x80000000, v143
	v_cndmask_b32_e64 v43, v135, v42, s2
	v_xor_b32_e32 v42, 0x80000000, v145
	s_delay_alu instid0(VALU_DEP_3) | instskip(SKIP_2) | instid1(VALU_DEP_2)
	v_cndmask_b32_e64 v53, v143, v40, s3
	v_cmp_gt_f64_e64 s3, 0, v[144:145]
	v_cndmask_b32_e32 v40, v132, v132, vcc_lo
	v_cndmask_b32_e64 v55, v145, v42, s3
	v_cndmask_b32_e64 v42, v134, v134, s2
	s_delay_alu instid0(VALU_DEP_2) | instskip(NEXT) | instid1(VALU_DEP_2)
	v_add_f64 v[52:53], v[52:53], v[54:55]
	v_add_f64 v[40:41], v[40:41], v[42:43]
	s_delay_alu instid0(VALU_DEP_1)
	v_cmp_lt_f64_e32 vcc_lo, v[40:41], v[52:53]
	v_cndmask_b32_e32 v135, v135, v145, vcc_lo
	v_dual_cndmask_b32 v133, v133, v143 :: v_dual_cndmask_b32 v132, v132, v142
	v_cndmask_b32_e32 v134, v134, v144, vcc_lo
	v_cndmask_b32_e64 v140, v140, s6, vcc_lo
	s_add_i32 s6, s6, 1
	s_delay_alu instid0(SALU_CYCLE_1)
	s_cmp_lg_u32 s5, s6
	s_cbranch_scc1 .LBB64_190
.LBB64_191:
	s_set_inst_prefetch_distance 0x2
	s_waitcnt lgkmcnt(0)
	v_cmp_eq_f64_e32 vcc_lo, 0, v[132:133]
	v_cmp_eq_f64_e64 s2, 0, v[134:135]
	s_delay_alu instid0(VALU_DEP_1) | instskip(NEXT) | instid1(SALU_CYCLE_1)
	s_and_b32 s2, vcc_lo, s2
	s_and_saveexec_b32 s3, s2
	s_delay_alu instid0(SALU_CYCLE_1)
	s_xor_b32 s2, exec_lo, s3
; %bb.192:
	v_cmp_ne_u32_e32 vcc_lo, 0, v255
	v_cndmask_b32_e32 v255, 10, v255, vcc_lo
; %bb.193:
	s_and_not1_saveexec_b32 s3, s2
	s_cbranch_execz .LBB64_199
; %bb.194:
	v_cmp_gt_f64_e32 vcc_lo, 0, v[132:133]
	v_cmp_gt_f64_e64 s2, 0, v[134:135]
	v_xor_b32_e32 v40, 0x80000000, v133
	v_xor_b32_e32 v42, 0x80000000, v135
	s_delay_alu instid0(VALU_DEP_2) | instskip(NEXT) | instid1(VALU_DEP_2)
	v_cndmask_b32_e32 v41, v133, v40, vcc_lo
	v_cndmask_b32_e64 v43, v135, v42, s2
	v_cndmask_b32_e32 v40, v132, v132, vcc_lo
	v_cndmask_b32_e64 v42, v134, v134, s2
	s_mov_b32 s2, exec_lo
	s_delay_alu instid0(VALU_DEP_1)
	v_cmpx_ngt_f64_e32 v[40:41], v[42:43]
	s_xor_b32 s2, exec_lo, s2
	s_cbranch_execz .LBB64_196
; %bb.195:
	v_div_scale_f64 v[40:41], null, v[134:135], v[134:135], v[132:133]
	v_div_scale_f64 v[54:55], vcc_lo, v[132:133], v[134:135], v[132:133]
	s_delay_alu instid0(VALU_DEP_2) | instskip(SKIP_2) | instid1(VALU_DEP_1)
	v_rcp_f64_e32 v[42:43], v[40:41]
	s_waitcnt_depctr 0xfff
	v_fma_f64 v[52:53], -v[40:41], v[42:43], 1.0
	v_fma_f64 v[42:43], v[42:43], v[52:53], v[42:43]
	s_delay_alu instid0(VALU_DEP_1) | instskip(NEXT) | instid1(VALU_DEP_1)
	v_fma_f64 v[52:53], -v[40:41], v[42:43], 1.0
	v_fma_f64 v[42:43], v[42:43], v[52:53], v[42:43]
	s_delay_alu instid0(VALU_DEP_1) | instskip(NEXT) | instid1(VALU_DEP_1)
	v_mul_f64 v[52:53], v[54:55], v[42:43]
	v_fma_f64 v[40:41], -v[40:41], v[52:53], v[54:55]
	s_delay_alu instid0(VALU_DEP_1) | instskip(NEXT) | instid1(VALU_DEP_1)
	v_div_fmas_f64 v[40:41], v[40:41], v[42:43], v[52:53]
	v_div_fixup_f64 v[40:41], v[40:41], v[134:135], v[132:133]
	s_delay_alu instid0(VALU_DEP_1) | instskip(NEXT) | instid1(VALU_DEP_1)
	v_fma_f64 v[42:43], v[132:133], v[40:41], v[134:135]
	v_div_scale_f64 v[52:53], null, v[42:43], v[42:43], 1.0
	s_delay_alu instid0(VALU_DEP_1) | instskip(SKIP_2) | instid1(VALU_DEP_1)
	v_rcp_f64_e32 v[54:55], v[52:53]
	s_waitcnt_depctr 0xfff
	v_fma_f64 v[104:105], -v[52:53], v[54:55], 1.0
	v_fma_f64 v[54:55], v[54:55], v[104:105], v[54:55]
	s_delay_alu instid0(VALU_DEP_1) | instskip(NEXT) | instid1(VALU_DEP_1)
	v_fma_f64 v[104:105], -v[52:53], v[54:55], 1.0
	v_fma_f64 v[54:55], v[54:55], v[104:105], v[54:55]
	v_div_scale_f64 v[104:105], vcc_lo, 1.0, v[42:43], 1.0
	s_delay_alu instid0(VALU_DEP_1) | instskip(NEXT) | instid1(VALU_DEP_1)
	v_mul_f64 v[106:107], v[104:105], v[54:55]
	v_fma_f64 v[52:53], -v[52:53], v[106:107], v[104:105]
	s_delay_alu instid0(VALU_DEP_1) | instskip(NEXT) | instid1(VALU_DEP_1)
	v_div_fmas_f64 v[52:53], v[52:53], v[54:55], v[106:107]
	v_div_fixup_f64 v[134:135], v[52:53], v[42:43], 1.0
	s_delay_alu instid0(VALU_DEP_1)
	v_mul_f64 v[132:133], v[40:41], v[134:135]
	v_xor_b32_e32 v135, 0x80000000, v135
.LBB64_196:
	s_and_not1_saveexec_b32 s2, s2
	s_cbranch_execz .LBB64_198
; %bb.197:
	s_delay_alu instid0(VALU_DEP_1) | instskip(SKIP_1) | instid1(VALU_DEP_2)
	v_div_scale_f64 v[40:41], null, v[132:133], v[132:133], v[134:135]
	v_div_scale_f64 v[54:55], vcc_lo, v[134:135], v[132:133], v[134:135]
	v_rcp_f64_e32 v[42:43], v[40:41]
	s_waitcnt_depctr 0xfff
	v_fma_f64 v[52:53], -v[40:41], v[42:43], 1.0
	s_delay_alu instid0(VALU_DEP_1) | instskip(NEXT) | instid1(VALU_DEP_1)
	v_fma_f64 v[42:43], v[42:43], v[52:53], v[42:43]
	v_fma_f64 v[52:53], -v[40:41], v[42:43], 1.0
	s_delay_alu instid0(VALU_DEP_1) | instskip(NEXT) | instid1(VALU_DEP_1)
	v_fma_f64 v[42:43], v[42:43], v[52:53], v[42:43]
	v_mul_f64 v[52:53], v[54:55], v[42:43]
	s_delay_alu instid0(VALU_DEP_1) | instskip(NEXT) | instid1(VALU_DEP_1)
	v_fma_f64 v[40:41], -v[40:41], v[52:53], v[54:55]
	v_div_fmas_f64 v[40:41], v[40:41], v[42:43], v[52:53]
	s_delay_alu instid0(VALU_DEP_1) | instskip(NEXT) | instid1(VALU_DEP_1)
	v_div_fixup_f64 v[40:41], v[40:41], v[132:133], v[134:135]
	v_fma_f64 v[42:43], v[134:135], v[40:41], v[132:133]
	s_delay_alu instid0(VALU_DEP_1) | instskip(NEXT) | instid1(VALU_DEP_1)
	v_div_scale_f64 v[52:53], null, v[42:43], v[42:43], 1.0
	v_rcp_f64_e32 v[54:55], v[52:53]
	s_waitcnt_depctr 0xfff
	v_fma_f64 v[104:105], -v[52:53], v[54:55], 1.0
	s_delay_alu instid0(VALU_DEP_1) | instskip(NEXT) | instid1(VALU_DEP_1)
	v_fma_f64 v[54:55], v[54:55], v[104:105], v[54:55]
	v_fma_f64 v[104:105], -v[52:53], v[54:55], 1.0
	s_delay_alu instid0(VALU_DEP_1) | instskip(SKIP_1) | instid1(VALU_DEP_1)
	v_fma_f64 v[54:55], v[54:55], v[104:105], v[54:55]
	v_div_scale_f64 v[104:105], vcc_lo, 1.0, v[42:43], 1.0
	v_mul_f64 v[106:107], v[104:105], v[54:55]
	s_delay_alu instid0(VALU_DEP_1) | instskip(NEXT) | instid1(VALU_DEP_1)
	v_fma_f64 v[52:53], -v[52:53], v[106:107], v[104:105]
	v_div_fmas_f64 v[52:53], v[52:53], v[54:55], v[106:107]
	s_delay_alu instid0(VALU_DEP_1) | instskip(NEXT) | instid1(VALU_DEP_1)
	v_div_fixup_f64 v[132:133], v[52:53], v[42:43], 1.0
	v_mul_f64 v[134:135], v[40:41], -v[132:133]
.LBB64_198:
	s_or_b32 exec_lo, exec_lo, s2
.LBB64_199:
	s_delay_alu instid0(SALU_CYCLE_1) | instskip(NEXT) | instid1(SALU_CYCLE_1)
	s_or_b32 exec_lo, exec_lo, s3
	s_mov_b32 s2, exec_lo
	v_cmpx_ne_u32_e64 v174, v140
	s_xor_b32 s2, exec_lo, s2
	s_cbranch_execz .LBB64_205
; %bb.200:
	s_mov_b32 s3, exec_lo
	v_cmpx_eq_u32_e32 9, v174
	s_cbranch_execz .LBB64_204
; %bb.201:
	v_cmp_ne_u32_e32 vcc_lo, 9, v140
	s_xor_b32 s6, s4, -1
	s_delay_alu instid0(SALU_CYCLE_1) | instskip(NEXT) | instid1(SALU_CYCLE_1)
	s_and_b32 s7, s6, vcc_lo
	s_and_saveexec_b32 s6, s7
	s_cbranch_execz .LBB64_203
; %bb.202:
	scratch_load_b64 v[0:1], off, off offset:48 ; 8-byte Folded Reload
	v_ashrrev_i32_e32 v141, 31, v140
	s_delay_alu instid0(VALU_DEP_1) | instskip(SKIP_1) | instid1(VALU_DEP_1)
	v_lshlrev_b64 v[40:41], 2, v[140:141]
	s_waitcnt vmcnt(0)
	v_add_co_u32 v40, vcc_lo, v0, v40
	s_delay_alu instid0(VALU_DEP_2)
	v_add_co_ci_u32_e32 v41, vcc_lo, v1, v41, vcc_lo
	s_clause 0x1
	flat_load_b32 v42, v[40:41]
	flat_load_b32 v43, v[0:1] offset:36
	s_waitcnt vmcnt(1) lgkmcnt(1)
	flat_store_b32 v[0:1], v42 offset:36
	s_waitcnt vmcnt(0) lgkmcnt(1)
	flat_store_b32 v[40:41], v43
.LBB64_203:
	s_or_b32 exec_lo, exec_lo, s6
	v_mov_b32_e32 v174, v140
	v_mov_b32_e32 v173, v140
.LBB64_204:
	s_or_b32 exec_lo, exec_lo, s3
.LBB64_205:
	s_and_not1_saveexec_b32 s2, s2
	s_cbranch_execz .LBB64_207
; %bb.206:
	scratch_load_b128 v[0:3], off, off      ; 16-byte Folded Reload
	v_mov_b32_e32 v174, 9
	ds_store_2addr_b64 v172, v[4:5], v[6:7] offset0:20 offset1:21
	s_waitcnt vmcnt(0)
	ds_store_2addr_b64 v172, v[0:1], v[2:3] offset0:22 offset1:23
	ds_store_2addr_b64 v172, v[96:97], v[98:99] offset0:24 offset1:25
	;; [unrolled: 1-line block ×22, first 2 shown]
.LBB64_207:
	s_or_b32 exec_lo, exec_lo, s2
	s_delay_alu instid0(SALU_CYCLE_1)
	s_mov_b32 s2, exec_lo
	s_waitcnt lgkmcnt(0)
	s_waitcnt_vscnt null, 0x0
	s_barrier
	buffer_gl0_inv
	v_cmpx_lt_i32_e32 9, v174
	s_cbranch_execz .LBB64_209
; %bb.208:
	v_mul_f64 v[40:41], v[134:135], v[122:123]
	v_dual_mov_b32 v220, v119 :: v_dual_mov_b32 v219, v118
	v_dual_mov_b32 v218, v117 :: v_dual_mov_b32 v217, v116
	s_delay_alu instid0(VALU_DEP_3) | instskip(SKIP_1) | instid1(VALU_DEP_1)
	v_fma_f64 v[140:141], v[132:133], v[120:121], -v[40:41]
	v_mul_f64 v[40:41], v[132:133], v[122:123]
	v_fma_f64 v[122:123], v[134:135], v[120:121], v[40:41]
	ds_load_2addr_b64 v[132:135], v172 offset0:20 offset1:21
	ds_load_2addr_b64 v[142:145], v172 offset0:22 offset1:23
	;; [unrolled: 1-line block ×4, first 2 shown]
	v_dual_mov_b32 v120, v140 :: v_dual_mov_b32 v121, v141
	s_waitcnt lgkmcnt(3)
	v_mul_f64 v[40:41], v[134:135], v[122:123]
	s_delay_alu instid0(VALU_DEP_1) | instskip(SKIP_1) | instid1(VALU_DEP_2)
	v_fma_f64 v[116:117], v[132:133], v[140:141], -v[40:41]
	v_mul_f64 v[40:41], v[132:133], v[122:123]
	v_add_f64 v[4:5], v[4:5], -v[116:117]
	s_delay_alu instid0(VALU_DEP_2) | instskip(SKIP_4) | instid1(VALU_DEP_4)
	v_fma_f64 v[132:133], v[134:135], v[140:141], v[40:41]
	s_waitcnt lgkmcnt(2)
	v_mul_f64 v[40:41], v[144:145], v[122:123]
	v_dual_mov_b32 v116, v217 :: v_dual_mov_b32 v117, v218
	v_dual_mov_b32 v118, v219 :: v_dual_mov_b32 v119, v220
	v_add_f64 v[6:7], v[6:7], -v[132:133]
	s_delay_alu instid0(VALU_DEP_4) | instskip(SKIP_1) | instid1(VALU_DEP_1)
	v_fma_f64 v[134:135], v[142:143], v[140:141], -v[40:41]
	v_mul_f64 v[40:41], v[142:143], v[122:123]
	v_fma_f64 v[142:143], v[144:145], v[140:141], v[40:41]
	s_waitcnt lgkmcnt(1)
	v_mul_f64 v[40:41], v[148:149], v[122:123]
	s_delay_alu instid0(VALU_DEP_1) | instskip(SKIP_1) | instid1(VALU_DEP_2)
	v_fma_f64 v[144:145], v[146:147], v[140:141], -v[40:41]
	v_mul_f64 v[40:41], v[146:147], v[122:123]
	v_add_f64 v[96:97], v[96:97], -v[144:145]
	s_delay_alu instid0(VALU_DEP_2) | instskip(SKIP_2) | instid1(VALU_DEP_2)
	v_fma_f64 v[146:147], v[148:149], v[140:141], v[40:41]
	s_waitcnt lgkmcnt(0)
	v_mul_f64 v[40:41], v[152:153], v[122:123]
	v_add_f64 v[98:99], v[98:99], -v[146:147]
	s_delay_alu instid0(VALU_DEP_2) | instskip(SKIP_1) | instid1(VALU_DEP_2)
	v_fma_f64 v[148:149], v[150:151], v[140:141], -v[40:41]
	v_mul_f64 v[40:41], v[150:151], v[122:123]
	v_add_f64 v[84:85], v[84:85], -v[148:149]
	s_delay_alu instid0(VALU_DEP_2)
	v_fma_f64 v[150:151], v[152:153], v[140:141], v[40:41]
	ds_load_2addr_b64 v[152:155], v172 offset0:28 offset1:29
	ds_load_2addr_b64 v[156:159], v172 offset0:30 offset1:31
	s_waitcnt lgkmcnt(1)
	v_mul_f64 v[40:41], v[154:155], v[122:123]
	v_mul_f64 v[42:43], v[152:153], v[122:123]
	s_waitcnt lgkmcnt(0)
	v_mul_f64 v[52:53], v[158:159], v[122:123]
	v_mul_f64 v[54:55], v[156:157], v[122:123]
	v_add_f64 v[86:87], v[86:87], -v[150:151]
	v_fma_f64 v[40:41], v[152:153], v[140:141], -v[40:41]
	v_fma_f64 v[42:43], v[154:155], v[140:141], v[42:43]
	v_fma_f64 v[52:53], v[156:157], v[140:141], -v[52:53]
	v_fma_f64 v[54:55], v[158:159], v[140:141], v[54:55]
	ds_load_2addr_b64 v[152:155], v172 offset0:32 offset1:33
	ds_load_2addr_b64 v[156:159], v172 offset0:34 offset1:35
	s_waitcnt lgkmcnt(1)
	v_mul_f64 v[104:105], v[154:155], v[122:123]
	v_mul_f64 v[106:107], v[152:153], v[122:123]
	s_waitcnt lgkmcnt(0)
	v_mul_f64 v[128:129], v[158:159], v[122:123]
	v_mul_f64 v[130:131], v[156:157], v[122:123]
	v_add_f64 v[80:81], v[80:81], -v[40:41]
	v_add_f64 v[82:83], v[82:83], -v[42:43]
	;; [unrolled: 1-line block ×4, first 2 shown]
	v_fma_f64 v[104:105], v[152:153], v[140:141], -v[104:105]
	v_fma_f64 v[106:107], v[154:155], v[140:141], v[106:107]
	v_fma_f64 v[128:129], v[156:157], v[140:141], -v[128:129]
	v_fma_f64 v[130:131], v[158:159], v[140:141], v[130:131]
	ds_load_2addr_b64 v[152:155], v172 offset0:36 offset1:37
	ds_load_2addr_b64 v[156:159], v172 offset0:38 offset1:39
	s_waitcnt lgkmcnt(1)
	v_mul_f64 v[136:137], v[154:155], v[122:123]
	v_mul_f64 v[138:139], v[152:153], v[122:123]
	v_add_f64 v[72:73], v[72:73], -v[104:105]
	v_add_f64 v[74:75], v[74:75], -v[106:107]
	;; [unrolled: 1-line block ×4, first 2 shown]
	v_fma_f64 v[136:137], v[152:153], v[140:141], -v[136:137]
	s_waitcnt lgkmcnt(0)
	v_mul_f64 v[152:153], v[158:159], v[122:123]
	v_fma_f64 v[138:139], v[154:155], v[140:141], v[138:139]
	s_delay_alu instid0(VALU_DEP_3) | instskip(NEXT) | instid1(VALU_DEP_3)
	v_add_f64 v[64:65], v[64:65], -v[136:137]
	v_fma_f64 v[160:161], v[156:157], v[140:141], -v[152:153]
	v_mul_f64 v[152:153], v[156:157], v[122:123]
	s_delay_alu instid0(VALU_DEP_4) | instskip(NEXT) | instid1(VALU_DEP_3)
	v_add_f64 v[66:67], v[66:67], -v[138:139]
	v_add_f64 v[60:61], v[60:61], -v[160:161]
	s_delay_alu instid0(VALU_DEP_3)
	v_fma_f64 v[162:163], v[158:159], v[140:141], v[152:153]
	ds_load_2addr_b64 v[152:155], v172 offset0:40 offset1:41
	ds_load_2addr_b64 v[156:159], v172 offset0:42 offset1:43
	s_waitcnt lgkmcnt(1)
	v_mul_f64 v[164:165], v[154:155], v[122:123]
	v_add_f64 v[62:63], v[62:63], -v[162:163]
	s_delay_alu instid0(VALU_DEP_2) | instskip(SKIP_1) | instid1(VALU_DEP_2)
	v_fma_f64 v[164:165], v[152:153], v[140:141], -v[164:165]
	v_mul_f64 v[152:153], v[152:153], v[122:123]
	v_add_f64 v[56:57], v[56:57], -v[164:165]
	s_delay_alu instid0(VALU_DEP_2) | instskip(SKIP_2) | instid1(VALU_DEP_2)
	v_fma_f64 v[166:167], v[154:155], v[140:141], v[152:153]
	s_waitcnt lgkmcnt(0)
	v_mul_f64 v[152:153], v[158:159], v[122:123]
	v_add_f64 v[58:59], v[58:59], -v[166:167]
	s_delay_alu instid0(VALU_DEP_2) | instskip(SKIP_1) | instid1(VALU_DEP_2)
	v_fma_f64 v[175:176], v[156:157], v[140:141], -v[152:153]
	v_mul_f64 v[152:153], v[156:157], v[122:123]
	v_add_f64 v[48:49], v[48:49], -v[175:176]
	s_delay_alu instid0(VALU_DEP_2)
	v_fma_f64 v[177:178], v[158:159], v[140:141], v[152:153]
	ds_load_2addr_b64 v[152:155], v172 offset0:44 offset1:45
	ds_load_2addr_b64 v[156:159], v172 offset0:46 offset1:47
	s_waitcnt lgkmcnt(1)
	v_mul_f64 v[179:180], v[154:155], v[122:123]
	v_add_f64 v[50:51], v[50:51], -v[177:178]
	s_delay_alu instid0(VALU_DEP_2) | instskip(SKIP_1) | instid1(VALU_DEP_2)
	v_fma_f64 v[179:180], v[152:153], v[140:141], -v[179:180]
	v_mul_f64 v[152:153], v[152:153], v[122:123]
	v_add_f64 v[44:45], v[44:45], -v[179:180]
	s_delay_alu instid0(VALU_DEP_2) | instskip(SKIP_2) | instid1(VALU_DEP_2)
	v_fma_f64 v[181:182], v[154:155], v[140:141], v[152:153]
	s_waitcnt lgkmcnt(0)
	v_mul_f64 v[152:153], v[158:159], v[122:123]
	v_add_f64 v[46:47], v[46:47], -v[181:182]
	s_delay_alu instid0(VALU_DEP_2) | instskip(SKIP_1) | instid1(VALU_DEP_2)
	v_fma_f64 v[183:184], v[156:157], v[140:141], -v[152:153]
	v_mul_f64 v[152:153], v[156:157], v[122:123]
	v_add_f64 v[36:37], v[36:37], -v[183:184]
	s_delay_alu instid0(VALU_DEP_2)
	;; [unrolled: 20-line block ×5, first 2 shown]
	v_fma_f64 v[209:210], v[158:159], v[140:141], v[152:153]
	ds_load_2addr_b64 v[152:155], v172 offset0:60 offset1:61
	ds_load_2addr_b64 v[156:159], v172 offset0:62 offset1:63
	scratch_load_b128 v[0:3], off, off      ; 16-byte Folded Reload
	s_waitcnt lgkmcnt(1)
	v_mul_f64 v[211:212], v[154:155], v[122:123]
	v_add_f64 v[14:15], v[14:15], -v[209:210]
	s_delay_alu instid0(VALU_DEP_2) | instskip(SKIP_1) | instid1(VALU_DEP_2)
	v_fma_f64 v[211:212], v[152:153], v[140:141], -v[211:212]
	v_mul_f64 v[152:153], v[152:153], v[122:123]
	v_add_f64 v[8:9], v[8:9], -v[211:212]
	s_delay_alu instid0(VALU_DEP_2) | instskip(SKIP_2) | instid1(VALU_DEP_2)
	v_fma_f64 v[213:214], v[154:155], v[140:141], v[152:153]
	s_waitcnt lgkmcnt(0)
	v_mul_f64 v[152:153], v[158:159], v[122:123]
	v_add_f64 v[10:11], v[10:11], -v[213:214]
	s_delay_alu instid0(VALU_DEP_2) | instskip(SKIP_1) | instid1(VALU_DEP_2)
	v_fma_f64 v[215:216], v[156:157], v[140:141], -v[152:153]
	v_mul_f64 v[152:153], v[156:157], v[122:123]
	v_add_f64 v[243:244], v[243:244], -v[215:216]
	s_delay_alu instid0(VALU_DEP_2) | instskip(SKIP_4) | instid1(VALU_DEP_2)
	v_fma_f64 v[156:157], v[158:159], v[140:141], v[152:153]
	ds_load_2addr_b64 v[152:155], v172 offset0:64 offset1:65
	s_waitcnt lgkmcnt(0)
	v_mul_f64 v[158:159], v[154:155], v[122:123]
	v_add_f64 v[245:246], v[245:246], -v[156:157]
	v_fma_f64 v[158:159], v[152:153], v[140:141], -v[158:159]
	v_mul_f64 v[152:153], v[152:153], v[122:123]
	s_delay_alu instid0(VALU_DEP_2) | instskip(NEXT) | instid1(VALU_DEP_2)
	v_add_f64 v[237:238], v[237:238], -v[158:159]
	v_fma_f64 v[152:153], v[154:155], v[140:141], v[152:153]
	s_delay_alu instid0(VALU_DEP_1)
	v_add_f64 v[239:240], v[239:240], -v[152:153]
	s_waitcnt vmcnt(0)
	v_add_f64 v[0:1], v[0:1], -v[134:135]
	v_add_f64 v[2:3], v[2:3], -v[142:143]
	scratch_store_b128 off, v[0:3], off     ; 16-byte Folded Spill
.LBB64_209:
	s_or_b32 exec_lo, exec_lo, s2
	v_lshl_add_u32 v40, v174, 4, v172
	s_waitcnt_vscnt null, 0x0
	s_barrier
	buffer_gl0_inv
	v_mov_b32_e32 v140, 10
	ds_store_2addr_b64 v40, v[4:5], v[6:7] offset1:1
	s_waitcnt lgkmcnt(0)
	s_barrier
	buffer_gl0_inv
	ds_load_2addr_b64 v[132:135], v172 offset0:20 offset1:21
	s_cmp_lt_i32 s5, 12
	s_cbranch_scc1 .LBB64_212
; %bb.210:
	v_add3_u32 v141, v170, 0, 0xb0
	v_mov_b32_e32 v140, 10
	s_mov_b32 s6, 11
	s_set_inst_prefetch_distance 0x1
	.p2align	6
.LBB64_211:                             ; =>This Inner Loop Header: Depth=1
	ds_load_2addr_b64 v[142:145], v141 offset1:1
	s_waitcnt lgkmcnt(1)
	v_cmp_gt_f64_e32 vcc_lo, 0, v[132:133]
	v_xor_b32_e32 v40, 0x80000000, v133
	v_cmp_gt_f64_e64 s2, 0, v[134:135]
	v_xor_b32_e32 v42, 0x80000000, v135
	v_add_nc_u32_e32 v141, 16, v141
	s_waitcnt lgkmcnt(0)
	v_cmp_gt_f64_e64 s3, 0, v[142:143]
	v_mov_b32_e32 v52, v142
	v_dual_mov_b32 v54, v144 :: v_dual_cndmask_b32 v41, v133, v40
	v_xor_b32_e32 v40, 0x80000000, v143
	v_cndmask_b32_e64 v43, v135, v42, s2
	v_xor_b32_e32 v42, 0x80000000, v145
	s_delay_alu instid0(VALU_DEP_3) | instskip(SKIP_2) | instid1(VALU_DEP_2)
	v_cndmask_b32_e64 v53, v143, v40, s3
	v_cmp_gt_f64_e64 s3, 0, v[144:145]
	v_cndmask_b32_e32 v40, v132, v132, vcc_lo
	v_cndmask_b32_e64 v55, v145, v42, s3
	v_cndmask_b32_e64 v42, v134, v134, s2
	s_delay_alu instid0(VALU_DEP_2) | instskip(NEXT) | instid1(VALU_DEP_2)
	v_add_f64 v[52:53], v[52:53], v[54:55]
	v_add_f64 v[40:41], v[40:41], v[42:43]
	s_delay_alu instid0(VALU_DEP_1)
	v_cmp_lt_f64_e32 vcc_lo, v[40:41], v[52:53]
	v_cndmask_b32_e32 v135, v135, v145, vcc_lo
	v_dual_cndmask_b32 v133, v133, v143 :: v_dual_cndmask_b32 v132, v132, v142
	v_cndmask_b32_e32 v134, v134, v144, vcc_lo
	v_cndmask_b32_e64 v140, v140, s6, vcc_lo
	s_add_i32 s6, s6, 1
	s_delay_alu instid0(SALU_CYCLE_1)
	s_cmp_lg_u32 s5, s6
	s_cbranch_scc1 .LBB64_211
.LBB64_212:
	s_set_inst_prefetch_distance 0x2
	s_waitcnt lgkmcnt(0)
	v_cmp_eq_f64_e32 vcc_lo, 0, v[132:133]
	v_cmp_eq_f64_e64 s2, 0, v[134:135]
	s_delay_alu instid0(VALU_DEP_1) | instskip(NEXT) | instid1(SALU_CYCLE_1)
	s_and_b32 s2, vcc_lo, s2
	s_and_saveexec_b32 s3, s2
	s_delay_alu instid0(SALU_CYCLE_1)
	s_xor_b32 s2, exec_lo, s3
; %bb.213:
	v_cmp_ne_u32_e32 vcc_lo, 0, v255
	v_cndmask_b32_e32 v255, 11, v255, vcc_lo
; %bb.214:
	s_and_not1_saveexec_b32 s3, s2
	s_cbranch_execz .LBB64_220
; %bb.215:
	v_cmp_gt_f64_e32 vcc_lo, 0, v[132:133]
	v_cmp_gt_f64_e64 s2, 0, v[134:135]
	v_xor_b32_e32 v40, 0x80000000, v133
	v_xor_b32_e32 v42, 0x80000000, v135
	s_delay_alu instid0(VALU_DEP_2) | instskip(NEXT) | instid1(VALU_DEP_2)
	v_cndmask_b32_e32 v41, v133, v40, vcc_lo
	v_cndmask_b32_e64 v43, v135, v42, s2
	v_cndmask_b32_e32 v40, v132, v132, vcc_lo
	v_cndmask_b32_e64 v42, v134, v134, s2
	s_mov_b32 s2, exec_lo
	s_delay_alu instid0(VALU_DEP_1)
	v_cmpx_ngt_f64_e32 v[40:41], v[42:43]
	s_xor_b32 s2, exec_lo, s2
	s_cbranch_execz .LBB64_217
; %bb.216:
	v_div_scale_f64 v[40:41], null, v[134:135], v[134:135], v[132:133]
	v_div_scale_f64 v[54:55], vcc_lo, v[132:133], v[134:135], v[132:133]
	s_delay_alu instid0(VALU_DEP_2) | instskip(SKIP_2) | instid1(VALU_DEP_1)
	v_rcp_f64_e32 v[42:43], v[40:41]
	s_waitcnt_depctr 0xfff
	v_fma_f64 v[52:53], -v[40:41], v[42:43], 1.0
	v_fma_f64 v[42:43], v[42:43], v[52:53], v[42:43]
	s_delay_alu instid0(VALU_DEP_1) | instskip(NEXT) | instid1(VALU_DEP_1)
	v_fma_f64 v[52:53], -v[40:41], v[42:43], 1.0
	v_fma_f64 v[42:43], v[42:43], v[52:53], v[42:43]
	s_delay_alu instid0(VALU_DEP_1) | instskip(NEXT) | instid1(VALU_DEP_1)
	v_mul_f64 v[52:53], v[54:55], v[42:43]
	v_fma_f64 v[40:41], -v[40:41], v[52:53], v[54:55]
	s_delay_alu instid0(VALU_DEP_1) | instskip(NEXT) | instid1(VALU_DEP_1)
	v_div_fmas_f64 v[40:41], v[40:41], v[42:43], v[52:53]
	v_div_fixup_f64 v[40:41], v[40:41], v[134:135], v[132:133]
	s_delay_alu instid0(VALU_DEP_1) | instskip(NEXT) | instid1(VALU_DEP_1)
	v_fma_f64 v[42:43], v[132:133], v[40:41], v[134:135]
	v_div_scale_f64 v[52:53], null, v[42:43], v[42:43], 1.0
	s_delay_alu instid0(VALU_DEP_1) | instskip(SKIP_2) | instid1(VALU_DEP_1)
	v_rcp_f64_e32 v[54:55], v[52:53]
	s_waitcnt_depctr 0xfff
	v_fma_f64 v[104:105], -v[52:53], v[54:55], 1.0
	v_fma_f64 v[54:55], v[54:55], v[104:105], v[54:55]
	s_delay_alu instid0(VALU_DEP_1) | instskip(NEXT) | instid1(VALU_DEP_1)
	v_fma_f64 v[104:105], -v[52:53], v[54:55], 1.0
	v_fma_f64 v[54:55], v[54:55], v[104:105], v[54:55]
	v_div_scale_f64 v[104:105], vcc_lo, 1.0, v[42:43], 1.0
	s_delay_alu instid0(VALU_DEP_1) | instskip(NEXT) | instid1(VALU_DEP_1)
	v_mul_f64 v[106:107], v[104:105], v[54:55]
	v_fma_f64 v[52:53], -v[52:53], v[106:107], v[104:105]
	s_delay_alu instid0(VALU_DEP_1) | instskip(NEXT) | instid1(VALU_DEP_1)
	v_div_fmas_f64 v[52:53], v[52:53], v[54:55], v[106:107]
	v_div_fixup_f64 v[134:135], v[52:53], v[42:43], 1.0
	s_delay_alu instid0(VALU_DEP_1)
	v_mul_f64 v[132:133], v[40:41], v[134:135]
	v_xor_b32_e32 v135, 0x80000000, v135
.LBB64_217:
	s_and_not1_saveexec_b32 s2, s2
	s_cbranch_execz .LBB64_219
; %bb.218:
	s_delay_alu instid0(VALU_DEP_1) | instskip(SKIP_1) | instid1(VALU_DEP_2)
	v_div_scale_f64 v[40:41], null, v[132:133], v[132:133], v[134:135]
	v_div_scale_f64 v[54:55], vcc_lo, v[134:135], v[132:133], v[134:135]
	v_rcp_f64_e32 v[42:43], v[40:41]
	s_waitcnt_depctr 0xfff
	v_fma_f64 v[52:53], -v[40:41], v[42:43], 1.0
	s_delay_alu instid0(VALU_DEP_1) | instskip(NEXT) | instid1(VALU_DEP_1)
	v_fma_f64 v[42:43], v[42:43], v[52:53], v[42:43]
	v_fma_f64 v[52:53], -v[40:41], v[42:43], 1.0
	s_delay_alu instid0(VALU_DEP_1) | instskip(NEXT) | instid1(VALU_DEP_1)
	v_fma_f64 v[42:43], v[42:43], v[52:53], v[42:43]
	v_mul_f64 v[52:53], v[54:55], v[42:43]
	s_delay_alu instid0(VALU_DEP_1) | instskip(NEXT) | instid1(VALU_DEP_1)
	v_fma_f64 v[40:41], -v[40:41], v[52:53], v[54:55]
	v_div_fmas_f64 v[40:41], v[40:41], v[42:43], v[52:53]
	s_delay_alu instid0(VALU_DEP_1) | instskip(NEXT) | instid1(VALU_DEP_1)
	v_div_fixup_f64 v[40:41], v[40:41], v[132:133], v[134:135]
	v_fma_f64 v[42:43], v[134:135], v[40:41], v[132:133]
	s_delay_alu instid0(VALU_DEP_1) | instskip(NEXT) | instid1(VALU_DEP_1)
	v_div_scale_f64 v[52:53], null, v[42:43], v[42:43], 1.0
	v_rcp_f64_e32 v[54:55], v[52:53]
	s_waitcnt_depctr 0xfff
	v_fma_f64 v[104:105], -v[52:53], v[54:55], 1.0
	s_delay_alu instid0(VALU_DEP_1) | instskip(NEXT) | instid1(VALU_DEP_1)
	v_fma_f64 v[54:55], v[54:55], v[104:105], v[54:55]
	v_fma_f64 v[104:105], -v[52:53], v[54:55], 1.0
	s_delay_alu instid0(VALU_DEP_1) | instskip(SKIP_1) | instid1(VALU_DEP_1)
	v_fma_f64 v[54:55], v[54:55], v[104:105], v[54:55]
	v_div_scale_f64 v[104:105], vcc_lo, 1.0, v[42:43], 1.0
	v_mul_f64 v[106:107], v[104:105], v[54:55]
	s_delay_alu instid0(VALU_DEP_1) | instskip(NEXT) | instid1(VALU_DEP_1)
	v_fma_f64 v[52:53], -v[52:53], v[106:107], v[104:105]
	v_div_fmas_f64 v[52:53], v[52:53], v[54:55], v[106:107]
	s_delay_alu instid0(VALU_DEP_1) | instskip(NEXT) | instid1(VALU_DEP_1)
	v_div_fixup_f64 v[132:133], v[52:53], v[42:43], 1.0
	v_mul_f64 v[134:135], v[40:41], -v[132:133]
.LBB64_219:
	s_or_b32 exec_lo, exec_lo, s2
.LBB64_220:
	s_delay_alu instid0(SALU_CYCLE_1) | instskip(NEXT) | instid1(SALU_CYCLE_1)
	s_or_b32 exec_lo, exec_lo, s3
	s_mov_b32 s2, exec_lo
	v_cmpx_ne_u32_e64 v174, v140
	s_xor_b32 s2, exec_lo, s2
	s_cbranch_execz .LBB64_226
; %bb.221:
	s_mov_b32 s3, exec_lo
	v_cmpx_eq_u32_e32 10, v174
	s_cbranch_execz .LBB64_225
; %bb.222:
	v_cmp_ne_u32_e32 vcc_lo, 10, v140
	s_xor_b32 s6, s4, -1
	s_delay_alu instid0(SALU_CYCLE_1) | instskip(NEXT) | instid1(SALU_CYCLE_1)
	s_and_b32 s7, s6, vcc_lo
	s_and_saveexec_b32 s6, s7
	s_cbranch_execz .LBB64_224
; %bb.223:
	scratch_load_b64 v[0:1], off, off offset:48 ; 8-byte Folded Reload
	v_ashrrev_i32_e32 v141, 31, v140
	s_delay_alu instid0(VALU_DEP_1) | instskip(SKIP_1) | instid1(VALU_DEP_1)
	v_lshlrev_b64 v[40:41], 2, v[140:141]
	s_waitcnt vmcnt(0)
	v_add_co_u32 v40, vcc_lo, v0, v40
	s_delay_alu instid0(VALU_DEP_2)
	v_add_co_ci_u32_e32 v41, vcc_lo, v1, v41, vcc_lo
	s_clause 0x1
	flat_load_b32 v42, v[40:41]
	flat_load_b32 v43, v[0:1] offset:40
	s_waitcnt vmcnt(1) lgkmcnt(1)
	flat_store_b32 v[0:1], v42 offset:40
	s_waitcnt vmcnt(0) lgkmcnt(1)
	flat_store_b32 v[40:41], v43
.LBB64_224:
	s_or_b32 exec_lo, exec_lo, s6
	v_mov_b32_e32 v174, v140
	v_mov_b32_e32 v173, v140
.LBB64_225:
	s_or_b32 exec_lo, exec_lo, s3
.LBB64_226:
	s_and_not1_saveexec_b32 s2, s2
	s_cbranch_execz .LBB64_228
; %bb.227:
	scratch_load_b128 v[0:3], off, off      ; 16-byte Folded Reload
	v_mov_b32_e32 v174, 10
	s_waitcnt vmcnt(0)
	ds_store_2addr_b64 v172, v[0:1], v[2:3] offset0:22 offset1:23
	ds_store_2addr_b64 v172, v[96:97], v[98:99] offset0:24 offset1:25
	;; [unrolled: 1-line block ×22, first 2 shown]
.LBB64_228:
	s_or_b32 exec_lo, exec_lo, s2
	s_delay_alu instid0(SALU_CYCLE_1)
	s_mov_b32 s2, exec_lo
	s_waitcnt lgkmcnt(0)
	s_waitcnt_vscnt null, 0x0
	s_barrier
	buffer_gl0_inv
	v_cmpx_lt_i32_e32 10, v174
	s_cbranch_execz .LBB64_230
; %bb.229:
	v_mul_f64 v[40:41], v[134:135], v[6:7]
	v_dual_mov_b32 v216, v123 :: v_dual_mov_b32 v215, v122
	v_dual_mov_b32 v214, v121 :: v_dual_mov_b32 v213, v120
	s_delay_alu instid0(VALU_DEP_3) | instskip(SKIP_1) | instid1(VALU_DEP_1)
	v_fma_f64 v[140:141], v[132:133], v[4:5], -v[40:41]
	v_mul_f64 v[40:41], v[132:133], v[6:7]
	v_fma_f64 v[6:7], v[134:135], v[4:5], v[40:41]
	ds_load_2addr_b64 v[132:135], v172 offset0:22 offset1:23
	ds_load_2addr_b64 v[142:145], v172 offset0:24 offset1:25
	ds_load_2addr_b64 v[146:149], v172 offset0:26 offset1:27
	ds_load_2addr_b64 v[150:153], v172 offset0:28 offset1:29
	v_dual_mov_b32 v4, v140 :: v_dual_mov_b32 v5, v141
	s_waitcnt lgkmcnt(3)
	v_mul_f64 v[40:41], v[134:135], v[6:7]
	s_delay_alu instid0(VALU_DEP_1) | instskip(SKIP_1) | instid1(VALU_DEP_1)
	v_fma_f64 v[120:121], v[132:133], v[140:141], -v[40:41]
	v_mul_f64 v[40:41], v[132:133], v[6:7]
	v_fma_f64 v[132:133], v[134:135], v[140:141], v[40:41]
	s_waitcnt lgkmcnt(2)
	v_mul_f64 v[40:41], v[144:145], v[6:7]
	s_delay_alu instid0(VALU_DEP_1) | instskip(SKIP_1) | instid1(VALU_DEP_2)
	v_fma_f64 v[134:135], v[142:143], v[140:141], -v[40:41]
	v_mul_f64 v[40:41], v[142:143], v[6:7]
	v_add_f64 v[96:97], v[96:97], -v[134:135]
	s_delay_alu instid0(VALU_DEP_2) | instskip(SKIP_2) | instid1(VALU_DEP_2)
	v_fma_f64 v[142:143], v[144:145], v[140:141], v[40:41]
	s_waitcnt lgkmcnt(1)
	v_mul_f64 v[40:41], v[148:149], v[6:7]
	v_add_f64 v[98:99], v[98:99], -v[142:143]
	s_delay_alu instid0(VALU_DEP_2) | instskip(SKIP_1) | instid1(VALU_DEP_2)
	v_fma_f64 v[144:145], v[146:147], v[140:141], -v[40:41]
	v_mul_f64 v[40:41], v[146:147], v[6:7]
	v_add_f64 v[84:85], v[84:85], -v[144:145]
	s_delay_alu instid0(VALU_DEP_2) | instskip(SKIP_2) | instid1(VALU_DEP_2)
	v_fma_f64 v[146:147], v[148:149], v[140:141], v[40:41]
	s_waitcnt lgkmcnt(0)
	v_mul_f64 v[40:41], v[152:153], v[6:7]
	v_add_f64 v[86:87], v[86:87], -v[146:147]
	s_delay_alu instid0(VALU_DEP_2) | instskip(SKIP_1) | instid1(VALU_DEP_2)
	v_fma_f64 v[148:149], v[150:151], v[140:141], -v[40:41]
	v_mul_f64 v[40:41], v[150:151], v[6:7]
	v_add_f64 v[80:81], v[80:81], -v[148:149]
	s_delay_alu instid0(VALU_DEP_2)
	v_fma_f64 v[150:151], v[152:153], v[140:141], v[40:41]
	ds_load_2addr_b64 v[152:155], v172 offset0:30 offset1:31
	ds_load_2addr_b64 v[156:159], v172 offset0:32 offset1:33
	s_waitcnt lgkmcnt(1)
	v_mul_f64 v[40:41], v[154:155], v[6:7]
	v_mul_f64 v[42:43], v[152:153], v[6:7]
	s_waitcnt lgkmcnt(0)
	v_mul_f64 v[52:53], v[158:159], v[6:7]
	v_mul_f64 v[54:55], v[156:157], v[6:7]
	v_add_f64 v[82:83], v[82:83], -v[150:151]
	v_fma_f64 v[40:41], v[152:153], v[140:141], -v[40:41]
	v_fma_f64 v[42:43], v[154:155], v[140:141], v[42:43]
	v_fma_f64 v[52:53], v[156:157], v[140:141], -v[52:53]
	v_fma_f64 v[54:55], v[158:159], v[140:141], v[54:55]
	ds_load_2addr_b64 v[152:155], v172 offset0:34 offset1:35
	ds_load_2addr_b64 v[156:159], v172 offset0:36 offset1:37
	s_waitcnt lgkmcnt(1)
	v_mul_f64 v[104:105], v[154:155], v[6:7]
	v_mul_f64 v[106:107], v[152:153], v[6:7]
	s_waitcnt lgkmcnt(0)
	v_mul_f64 v[128:129], v[158:159], v[6:7]
	v_mul_f64 v[130:131], v[156:157], v[6:7]
	v_add_f64 v[76:77], v[76:77], -v[40:41]
	v_add_f64 v[78:79], v[78:79], -v[42:43]
	;; [unrolled: 1-line block ×4, first 2 shown]
	v_fma_f64 v[104:105], v[152:153], v[140:141], -v[104:105]
	v_fma_f64 v[106:107], v[154:155], v[140:141], v[106:107]
	v_fma_f64 v[128:129], v[156:157], v[140:141], -v[128:129]
	v_fma_f64 v[130:131], v[158:159], v[140:141], v[130:131]
	ds_load_2addr_b64 v[152:155], v172 offset0:38 offset1:39
	ds_load_2addr_b64 v[156:159], v172 offset0:40 offset1:41
	s_waitcnt lgkmcnt(1)
	v_mul_f64 v[136:137], v[154:155], v[6:7]
	v_mul_f64 v[138:139], v[152:153], v[6:7]
	v_add_f64 v[68:69], v[68:69], -v[104:105]
	v_add_f64 v[70:71], v[70:71], -v[106:107]
	;; [unrolled: 1-line block ×4, first 2 shown]
	v_fma_f64 v[136:137], v[152:153], v[140:141], -v[136:137]
	s_waitcnt lgkmcnt(0)
	v_mul_f64 v[152:153], v[158:159], v[6:7]
	v_fma_f64 v[138:139], v[154:155], v[140:141], v[138:139]
	s_delay_alu instid0(VALU_DEP_3) | instskip(NEXT) | instid1(VALU_DEP_3)
	v_add_f64 v[60:61], v[60:61], -v[136:137]
	v_fma_f64 v[160:161], v[156:157], v[140:141], -v[152:153]
	v_mul_f64 v[152:153], v[156:157], v[6:7]
	s_delay_alu instid0(VALU_DEP_4) | instskip(NEXT) | instid1(VALU_DEP_3)
	v_add_f64 v[62:63], v[62:63], -v[138:139]
	v_add_f64 v[56:57], v[56:57], -v[160:161]
	s_delay_alu instid0(VALU_DEP_3)
	v_fma_f64 v[162:163], v[158:159], v[140:141], v[152:153]
	ds_load_2addr_b64 v[152:155], v172 offset0:42 offset1:43
	ds_load_2addr_b64 v[156:159], v172 offset0:44 offset1:45
	s_waitcnt lgkmcnt(1)
	v_mul_f64 v[164:165], v[154:155], v[6:7]
	v_add_f64 v[58:59], v[58:59], -v[162:163]
	s_delay_alu instid0(VALU_DEP_2) | instskip(SKIP_1) | instid1(VALU_DEP_2)
	v_fma_f64 v[164:165], v[152:153], v[140:141], -v[164:165]
	v_mul_f64 v[152:153], v[152:153], v[6:7]
	v_add_f64 v[48:49], v[48:49], -v[164:165]
	s_delay_alu instid0(VALU_DEP_2) | instskip(SKIP_2) | instid1(VALU_DEP_2)
	v_fma_f64 v[166:167], v[154:155], v[140:141], v[152:153]
	s_waitcnt lgkmcnt(0)
	v_mul_f64 v[152:153], v[158:159], v[6:7]
	v_add_f64 v[50:51], v[50:51], -v[166:167]
	s_delay_alu instid0(VALU_DEP_2) | instskip(SKIP_1) | instid1(VALU_DEP_2)
	v_fma_f64 v[175:176], v[156:157], v[140:141], -v[152:153]
	v_mul_f64 v[152:153], v[156:157], v[6:7]
	v_add_f64 v[44:45], v[44:45], -v[175:176]
	s_delay_alu instid0(VALU_DEP_2)
	v_fma_f64 v[177:178], v[158:159], v[140:141], v[152:153]
	ds_load_2addr_b64 v[152:155], v172 offset0:46 offset1:47
	ds_load_2addr_b64 v[156:159], v172 offset0:48 offset1:49
	s_waitcnt lgkmcnt(1)
	v_mul_f64 v[179:180], v[154:155], v[6:7]
	v_add_f64 v[46:47], v[46:47], -v[177:178]
	s_delay_alu instid0(VALU_DEP_2) | instskip(SKIP_1) | instid1(VALU_DEP_2)
	v_fma_f64 v[179:180], v[152:153], v[140:141], -v[179:180]
	v_mul_f64 v[152:153], v[152:153], v[6:7]
	v_add_f64 v[36:37], v[36:37], -v[179:180]
	s_delay_alu instid0(VALU_DEP_2) | instskip(SKIP_2) | instid1(VALU_DEP_2)
	v_fma_f64 v[181:182], v[154:155], v[140:141], v[152:153]
	s_waitcnt lgkmcnt(0)
	v_mul_f64 v[152:153], v[158:159], v[6:7]
	v_add_f64 v[38:39], v[38:39], -v[181:182]
	s_delay_alu instid0(VALU_DEP_2) | instskip(SKIP_1) | instid1(VALU_DEP_2)
	v_fma_f64 v[183:184], v[156:157], v[140:141], -v[152:153]
	v_mul_f64 v[152:153], v[156:157], v[6:7]
	v_add_f64 v[32:33], v[32:33], -v[183:184]
	s_delay_alu instid0(VALU_DEP_2)
	;; [unrolled: 20-line block ×5, first 2 shown]
	v_fma_f64 v[209:210], v[158:159], v[140:141], v[152:153]
	ds_load_2addr_b64 v[152:155], v172 offset0:62 offset1:63
	ds_load_2addr_b64 v[156:159], v172 offset0:64 offset1:65
	scratch_load_b128 v[0:3], off, off      ; 16-byte Folded Reload
	s_waitcnt lgkmcnt(1)
	v_mul_f64 v[211:212], v[154:155], v[6:7]
	v_add_f64 v[10:11], v[10:11], -v[209:210]
	s_delay_alu instid0(VALU_DEP_2) | instskip(SKIP_1) | instid1(VALU_DEP_2)
	v_fma_f64 v[211:212], v[152:153], v[140:141], -v[211:212]
	v_mul_f64 v[152:153], v[152:153], v[6:7]
	v_add_f64 v[243:244], v[243:244], -v[211:212]
	s_delay_alu instid0(VALU_DEP_2) | instskip(SKIP_2) | instid1(VALU_DEP_2)
	v_fma_f64 v[152:153], v[154:155], v[140:141], v[152:153]
	s_waitcnt lgkmcnt(0)
	v_mul_f64 v[154:155], v[158:159], v[6:7]
	v_add_f64 v[245:246], v[245:246], -v[152:153]
	s_delay_alu instid0(VALU_DEP_2) | instskip(SKIP_1) | instid1(VALU_DEP_2)
	v_fma_f64 v[154:155], v[156:157], v[140:141], -v[154:155]
	v_mul_f64 v[156:157], v[156:157], v[6:7]
	v_add_f64 v[237:238], v[237:238], -v[154:155]
	s_delay_alu instid0(VALU_DEP_2) | instskip(NEXT) | instid1(VALU_DEP_1)
	v_fma_f64 v[156:157], v[158:159], v[140:141], v[156:157]
	v_add_f64 v[239:240], v[239:240], -v[156:157]
	s_waitcnt vmcnt(0)
	v_add_f64 v[0:1], v[0:1], -v[120:121]
	v_add_f64 v[2:3], v[2:3], -v[132:133]
	v_dual_mov_b32 v120, v213 :: v_dual_mov_b32 v121, v214
	v_dual_mov_b32 v122, v215 :: v_dual_mov_b32 v123, v216
	scratch_store_b128 off, v[0:3], off     ; 16-byte Folded Spill
.LBB64_230:
	s_or_b32 exec_lo, exec_lo, s2
	s_waitcnt_vscnt null, 0x0
	s_barrier
	buffer_gl0_inv
	scratch_load_b128 v[0:3], off, off      ; 16-byte Folded Reload
	v_lshl_add_u32 v40, v174, 4, v172
	v_mov_b32_e32 v140, 11
	s_cmp_lt_i32 s5, 13
	s_waitcnt vmcnt(0)
	ds_store_2addr_b64 v40, v[0:1], v[2:3] offset1:1
	s_waitcnt lgkmcnt(0)
	s_barrier
	buffer_gl0_inv
	ds_load_2addr_b64 v[132:135], v172 offset0:22 offset1:23
	s_cbranch_scc1 .LBB64_233
; %bb.231:
	v_add3_u32 v141, v170, 0, 0xc0
	v_mov_b32_e32 v140, 11
	s_mov_b32 s6, 12
	s_set_inst_prefetch_distance 0x1
	.p2align	6
.LBB64_232:                             ; =>This Inner Loop Header: Depth=1
	ds_load_2addr_b64 v[142:145], v141 offset1:1
	s_waitcnt lgkmcnt(1)
	v_cmp_gt_f64_e32 vcc_lo, 0, v[132:133]
	v_xor_b32_e32 v40, 0x80000000, v133
	v_cmp_gt_f64_e64 s2, 0, v[134:135]
	v_xor_b32_e32 v42, 0x80000000, v135
	v_add_nc_u32_e32 v141, 16, v141
	s_waitcnt lgkmcnt(0)
	v_cmp_gt_f64_e64 s3, 0, v[142:143]
	v_mov_b32_e32 v52, v142
	v_dual_mov_b32 v54, v144 :: v_dual_cndmask_b32 v41, v133, v40
	v_xor_b32_e32 v40, 0x80000000, v143
	v_cndmask_b32_e64 v43, v135, v42, s2
	v_xor_b32_e32 v42, 0x80000000, v145
	s_delay_alu instid0(VALU_DEP_3) | instskip(SKIP_2) | instid1(VALU_DEP_2)
	v_cndmask_b32_e64 v53, v143, v40, s3
	v_cmp_gt_f64_e64 s3, 0, v[144:145]
	v_cndmask_b32_e32 v40, v132, v132, vcc_lo
	v_cndmask_b32_e64 v55, v145, v42, s3
	v_cndmask_b32_e64 v42, v134, v134, s2
	s_delay_alu instid0(VALU_DEP_2) | instskip(NEXT) | instid1(VALU_DEP_2)
	v_add_f64 v[52:53], v[52:53], v[54:55]
	v_add_f64 v[40:41], v[40:41], v[42:43]
	s_delay_alu instid0(VALU_DEP_1)
	v_cmp_lt_f64_e32 vcc_lo, v[40:41], v[52:53]
	v_cndmask_b32_e32 v135, v135, v145, vcc_lo
	v_dual_cndmask_b32 v133, v133, v143 :: v_dual_cndmask_b32 v132, v132, v142
	v_cndmask_b32_e32 v134, v134, v144, vcc_lo
	v_cndmask_b32_e64 v140, v140, s6, vcc_lo
	s_add_i32 s6, s6, 1
	s_delay_alu instid0(SALU_CYCLE_1)
	s_cmp_lg_u32 s5, s6
	s_cbranch_scc1 .LBB64_232
.LBB64_233:
	s_set_inst_prefetch_distance 0x2
	s_waitcnt lgkmcnt(0)
	v_cmp_eq_f64_e32 vcc_lo, 0, v[132:133]
	v_cmp_eq_f64_e64 s2, 0, v[134:135]
	s_delay_alu instid0(VALU_DEP_1) | instskip(NEXT) | instid1(SALU_CYCLE_1)
	s_and_b32 s2, vcc_lo, s2
	s_and_saveexec_b32 s3, s2
	s_delay_alu instid0(SALU_CYCLE_1)
	s_xor_b32 s2, exec_lo, s3
; %bb.234:
	v_cmp_ne_u32_e32 vcc_lo, 0, v255
	v_cndmask_b32_e32 v255, 12, v255, vcc_lo
; %bb.235:
	s_and_not1_saveexec_b32 s3, s2
	s_cbranch_execz .LBB64_241
; %bb.236:
	v_cmp_gt_f64_e32 vcc_lo, 0, v[132:133]
	v_cmp_gt_f64_e64 s2, 0, v[134:135]
	v_xor_b32_e32 v40, 0x80000000, v133
	v_xor_b32_e32 v42, 0x80000000, v135
	s_delay_alu instid0(VALU_DEP_2) | instskip(NEXT) | instid1(VALU_DEP_2)
	v_cndmask_b32_e32 v41, v133, v40, vcc_lo
	v_cndmask_b32_e64 v43, v135, v42, s2
	v_cndmask_b32_e32 v40, v132, v132, vcc_lo
	v_cndmask_b32_e64 v42, v134, v134, s2
	s_mov_b32 s2, exec_lo
	s_delay_alu instid0(VALU_DEP_1)
	v_cmpx_ngt_f64_e32 v[40:41], v[42:43]
	s_xor_b32 s2, exec_lo, s2
	s_cbranch_execz .LBB64_238
; %bb.237:
	v_div_scale_f64 v[40:41], null, v[134:135], v[134:135], v[132:133]
	v_div_scale_f64 v[54:55], vcc_lo, v[132:133], v[134:135], v[132:133]
	s_delay_alu instid0(VALU_DEP_2) | instskip(SKIP_2) | instid1(VALU_DEP_1)
	v_rcp_f64_e32 v[42:43], v[40:41]
	s_waitcnt_depctr 0xfff
	v_fma_f64 v[52:53], -v[40:41], v[42:43], 1.0
	v_fma_f64 v[42:43], v[42:43], v[52:53], v[42:43]
	s_delay_alu instid0(VALU_DEP_1) | instskip(NEXT) | instid1(VALU_DEP_1)
	v_fma_f64 v[52:53], -v[40:41], v[42:43], 1.0
	v_fma_f64 v[42:43], v[42:43], v[52:53], v[42:43]
	s_delay_alu instid0(VALU_DEP_1) | instskip(NEXT) | instid1(VALU_DEP_1)
	v_mul_f64 v[52:53], v[54:55], v[42:43]
	v_fma_f64 v[40:41], -v[40:41], v[52:53], v[54:55]
	s_delay_alu instid0(VALU_DEP_1) | instskip(NEXT) | instid1(VALU_DEP_1)
	v_div_fmas_f64 v[40:41], v[40:41], v[42:43], v[52:53]
	v_div_fixup_f64 v[40:41], v[40:41], v[134:135], v[132:133]
	s_delay_alu instid0(VALU_DEP_1) | instskip(NEXT) | instid1(VALU_DEP_1)
	v_fma_f64 v[42:43], v[132:133], v[40:41], v[134:135]
	v_div_scale_f64 v[52:53], null, v[42:43], v[42:43], 1.0
	s_delay_alu instid0(VALU_DEP_1) | instskip(SKIP_2) | instid1(VALU_DEP_1)
	v_rcp_f64_e32 v[54:55], v[52:53]
	s_waitcnt_depctr 0xfff
	v_fma_f64 v[104:105], -v[52:53], v[54:55], 1.0
	v_fma_f64 v[54:55], v[54:55], v[104:105], v[54:55]
	s_delay_alu instid0(VALU_DEP_1) | instskip(NEXT) | instid1(VALU_DEP_1)
	v_fma_f64 v[104:105], -v[52:53], v[54:55], 1.0
	v_fma_f64 v[54:55], v[54:55], v[104:105], v[54:55]
	v_div_scale_f64 v[104:105], vcc_lo, 1.0, v[42:43], 1.0
	s_delay_alu instid0(VALU_DEP_1) | instskip(NEXT) | instid1(VALU_DEP_1)
	v_mul_f64 v[106:107], v[104:105], v[54:55]
	v_fma_f64 v[52:53], -v[52:53], v[106:107], v[104:105]
	s_delay_alu instid0(VALU_DEP_1) | instskip(NEXT) | instid1(VALU_DEP_1)
	v_div_fmas_f64 v[52:53], v[52:53], v[54:55], v[106:107]
	v_div_fixup_f64 v[134:135], v[52:53], v[42:43], 1.0
	s_delay_alu instid0(VALU_DEP_1)
	v_mul_f64 v[132:133], v[40:41], v[134:135]
	v_xor_b32_e32 v135, 0x80000000, v135
.LBB64_238:
	s_and_not1_saveexec_b32 s2, s2
	s_cbranch_execz .LBB64_240
; %bb.239:
	s_delay_alu instid0(VALU_DEP_1) | instskip(SKIP_1) | instid1(VALU_DEP_2)
	v_div_scale_f64 v[40:41], null, v[132:133], v[132:133], v[134:135]
	v_div_scale_f64 v[54:55], vcc_lo, v[134:135], v[132:133], v[134:135]
	v_rcp_f64_e32 v[42:43], v[40:41]
	s_waitcnt_depctr 0xfff
	v_fma_f64 v[52:53], -v[40:41], v[42:43], 1.0
	s_delay_alu instid0(VALU_DEP_1) | instskip(NEXT) | instid1(VALU_DEP_1)
	v_fma_f64 v[42:43], v[42:43], v[52:53], v[42:43]
	v_fma_f64 v[52:53], -v[40:41], v[42:43], 1.0
	s_delay_alu instid0(VALU_DEP_1) | instskip(NEXT) | instid1(VALU_DEP_1)
	v_fma_f64 v[42:43], v[42:43], v[52:53], v[42:43]
	v_mul_f64 v[52:53], v[54:55], v[42:43]
	s_delay_alu instid0(VALU_DEP_1) | instskip(NEXT) | instid1(VALU_DEP_1)
	v_fma_f64 v[40:41], -v[40:41], v[52:53], v[54:55]
	v_div_fmas_f64 v[40:41], v[40:41], v[42:43], v[52:53]
	s_delay_alu instid0(VALU_DEP_1) | instskip(NEXT) | instid1(VALU_DEP_1)
	v_div_fixup_f64 v[40:41], v[40:41], v[132:133], v[134:135]
	v_fma_f64 v[42:43], v[134:135], v[40:41], v[132:133]
	s_delay_alu instid0(VALU_DEP_1) | instskip(NEXT) | instid1(VALU_DEP_1)
	v_div_scale_f64 v[52:53], null, v[42:43], v[42:43], 1.0
	v_rcp_f64_e32 v[54:55], v[52:53]
	s_waitcnt_depctr 0xfff
	v_fma_f64 v[104:105], -v[52:53], v[54:55], 1.0
	s_delay_alu instid0(VALU_DEP_1) | instskip(NEXT) | instid1(VALU_DEP_1)
	v_fma_f64 v[54:55], v[54:55], v[104:105], v[54:55]
	v_fma_f64 v[104:105], -v[52:53], v[54:55], 1.0
	s_delay_alu instid0(VALU_DEP_1) | instskip(SKIP_1) | instid1(VALU_DEP_1)
	v_fma_f64 v[54:55], v[54:55], v[104:105], v[54:55]
	v_div_scale_f64 v[104:105], vcc_lo, 1.0, v[42:43], 1.0
	v_mul_f64 v[106:107], v[104:105], v[54:55]
	s_delay_alu instid0(VALU_DEP_1) | instskip(NEXT) | instid1(VALU_DEP_1)
	v_fma_f64 v[52:53], -v[52:53], v[106:107], v[104:105]
	v_div_fmas_f64 v[52:53], v[52:53], v[54:55], v[106:107]
	s_delay_alu instid0(VALU_DEP_1) | instskip(NEXT) | instid1(VALU_DEP_1)
	v_div_fixup_f64 v[132:133], v[52:53], v[42:43], 1.0
	v_mul_f64 v[134:135], v[40:41], -v[132:133]
.LBB64_240:
	s_or_b32 exec_lo, exec_lo, s2
.LBB64_241:
	s_delay_alu instid0(SALU_CYCLE_1) | instskip(NEXT) | instid1(SALU_CYCLE_1)
	s_or_b32 exec_lo, exec_lo, s3
	s_mov_b32 s2, exec_lo
	v_cmpx_ne_u32_e64 v174, v140
	s_xor_b32 s2, exec_lo, s2
	s_cbranch_execz .LBB64_247
; %bb.242:
	s_mov_b32 s3, exec_lo
	v_cmpx_eq_u32_e32 11, v174
	s_cbranch_execz .LBB64_246
; %bb.243:
	v_cmp_ne_u32_e32 vcc_lo, 11, v140
	s_xor_b32 s6, s4, -1
	s_delay_alu instid0(SALU_CYCLE_1) | instskip(NEXT) | instid1(SALU_CYCLE_1)
	s_and_b32 s7, s6, vcc_lo
	s_and_saveexec_b32 s6, s7
	s_cbranch_execz .LBB64_245
; %bb.244:
	scratch_load_b64 v[0:1], off, off offset:48 ; 8-byte Folded Reload
	v_ashrrev_i32_e32 v141, 31, v140
	s_delay_alu instid0(VALU_DEP_1) | instskip(SKIP_1) | instid1(VALU_DEP_1)
	v_lshlrev_b64 v[40:41], 2, v[140:141]
	s_waitcnt vmcnt(0)
	v_add_co_u32 v40, vcc_lo, v0, v40
	s_delay_alu instid0(VALU_DEP_2)
	v_add_co_ci_u32_e32 v41, vcc_lo, v1, v41, vcc_lo
	s_clause 0x1
	flat_load_b32 v42, v[40:41]
	flat_load_b32 v43, v[0:1] offset:44
	s_waitcnt vmcnt(1) lgkmcnt(1)
	flat_store_b32 v[0:1], v42 offset:44
	s_waitcnt vmcnt(0) lgkmcnt(1)
	flat_store_b32 v[40:41], v43
.LBB64_245:
	s_or_b32 exec_lo, exec_lo, s6
	v_mov_b32_e32 v174, v140
	v_mov_b32_e32 v173, v140
.LBB64_246:
	s_or_b32 exec_lo, exec_lo, s3
.LBB64_247:
	s_and_not1_saveexec_b32 s2, s2
	s_cbranch_execz .LBB64_249
; %bb.248:
	v_mov_b32_e32 v174, 11
	ds_store_2addr_b64 v172, v[96:97], v[98:99] offset0:24 offset1:25
	ds_store_2addr_b64 v172, v[84:85], v[86:87] offset0:26 offset1:27
	;; [unrolled: 1-line block ×21, first 2 shown]
.LBB64_249:
	s_or_b32 exec_lo, exec_lo, s2
	s_delay_alu instid0(SALU_CYCLE_1)
	s_mov_b32 s2, exec_lo
	s_waitcnt lgkmcnt(0)
	s_waitcnt_vscnt null, 0x0
	s_barrier
	buffer_gl0_inv
	v_cmpx_lt_i32_e32 11, v174
	s_cbranch_execz .LBB64_251
; %bb.250:
	scratch_load_b128 v[100:103], off, off  ; 16-byte Folded Reload
	s_waitcnt vmcnt(0)
	v_mul_f64 v[40:41], v[134:135], v[102:103]
	s_delay_alu instid0(VALU_DEP_1) | instskip(SKIP_1) | instid1(VALU_DEP_1)
	v_fma_f64 v[140:141], v[132:133], v[100:101], -v[40:41]
	v_mul_f64 v[40:41], v[132:133], v[102:103]
	v_fma_f64 v[102:103], v[134:135], v[100:101], v[40:41]
	ds_load_2addr_b64 v[132:135], v172 offset0:24 offset1:25
	ds_load_2addr_b64 v[142:145], v172 offset0:26 offset1:27
	s_waitcnt lgkmcnt(1)
	v_mul_f64 v[40:41], v[134:135], v[102:103]
	s_delay_alu instid0(VALU_DEP_1) | instskip(SKIP_1) | instid1(VALU_DEP_2)
	v_fma_f64 v[100:101], v[132:133], v[140:141], -v[40:41]
	v_mul_f64 v[40:41], v[132:133], v[102:103]
	v_add_f64 v[96:97], v[96:97], -v[100:101]
	s_delay_alu instid0(VALU_DEP_2) | instskip(SKIP_3) | instid1(VALU_DEP_3)
	v_fma_f64 v[132:133], v[134:135], v[140:141], v[40:41]
	s_waitcnt lgkmcnt(0)
	v_mul_f64 v[40:41], v[144:145], v[102:103]
	v_dual_mov_b32 v100, v140 :: v_dual_mov_b32 v101, v141
	v_add_f64 v[98:99], v[98:99], -v[132:133]
	s_delay_alu instid0(VALU_DEP_3) | instskip(SKIP_1) | instid1(VALU_DEP_2)
	v_fma_f64 v[134:135], v[142:143], v[140:141], -v[40:41]
	v_mul_f64 v[40:41], v[142:143], v[102:103]
	v_add_f64 v[84:85], v[84:85], -v[134:135]
	s_delay_alu instid0(VALU_DEP_2)
	v_fma_f64 v[142:143], v[144:145], v[140:141], v[40:41]
	ds_load_2addr_b64 v[144:147], v172 offset0:28 offset1:29
	ds_load_2addr_b64 v[148:151], v172 offset0:30 offset1:31
	s_waitcnt lgkmcnt(1)
	v_mul_f64 v[40:41], v[146:147], v[102:103]
	v_mul_f64 v[42:43], v[144:145], v[102:103]
	s_waitcnt lgkmcnt(0)
	v_mul_f64 v[52:53], v[150:151], v[102:103]
	v_mul_f64 v[54:55], v[148:149], v[102:103]
	v_add_f64 v[86:87], v[86:87], -v[142:143]
	v_fma_f64 v[40:41], v[144:145], v[140:141], -v[40:41]
	v_fma_f64 v[42:43], v[146:147], v[140:141], v[42:43]
	v_fma_f64 v[52:53], v[148:149], v[140:141], -v[52:53]
	v_fma_f64 v[54:55], v[150:151], v[140:141], v[54:55]
	ds_load_2addr_b64 v[144:147], v172 offset0:32 offset1:33
	ds_load_2addr_b64 v[148:151], v172 offset0:34 offset1:35
	s_waitcnt lgkmcnt(1)
	v_mul_f64 v[104:105], v[146:147], v[102:103]
	v_mul_f64 v[106:107], v[144:145], v[102:103]
	s_waitcnt lgkmcnt(0)
	v_mul_f64 v[128:129], v[150:151], v[102:103]
	v_mul_f64 v[130:131], v[148:149], v[102:103]
	v_add_f64 v[80:81], v[80:81], -v[40:41]
	v_add_f64 v[82:83], v[82:83], -v[42:43]
	;; [unrolled: 1-line block ×4, first 2 shown]
	v_fma_f64 v[104:105], v[144:145], v[140:141], -v[104:105]
	v_fma_f64 v[106:107], v[146:147], v[140:141], v[106:107]
	v_fma_f64 v[128:129], v[148:149], v[140:141], -v[128:129]
	v_fma_f64 v[130:131], v[150:151], v[140:141], v[130:131]
	ds_load_2addr_b64 v[144:147], v172 offset0:36 offset1:37
	ds_load_2addr_b64 v[148:151], v172 offset0:38 offset1:39
	s_waitcnt lgkmcnt(1)
	v_mul_f64 v[136:137], v[146:147], v[102:103]
	v_mul_f64 v[138:139], v[144:145], v[102:103]
	v_add_f64 v[72:73], v[72:73], -v[104:105]
	v_add_f64 v[74:75], v[74:75], -v[106:107]
	;; [unrolled: 1-line block ×4, first 2 shown]
	v_fma_f64 v[136:137], v[144:145], v[140:141], -v[136:137]
	s_waitcnt lgkmcnt(0)
	v_mul_f64 v[144:145], v[150:151], v[102:103]
	v_fma_f64 v[138:139], v[146:147], v[140:141], v[138:139]
	s_delay_alu instid0(VALU_DEP_3) | instskip(NEXT) | instid1(VALU_DEP_3)
	v_add_f64 v[64:65], v[64:65], -v[136:137]
	v_fma_f64 v[152:153], v[148:149], v[140:141], -v[144:145]
	v_mul_f64 v[144:145], v[148:149], v[102:103]
	s_delay_alu instid0(VALU_DEP_4) | instskip(NEXT) | instid1(VALU_DEP_3)
	v_add_f64 v[66:67], v[66:67], -v[138:139]
	v_add_f64 v[60:61], v[60:61], -v[152:153]
	s_delay_alu instid0(VALU_DEP_3)
	v_fma_f64 v[154:155], v[150:151], v[140:141], v[144:145]
	ds_load_2addr_b64 v[144:147], v172 offset0:40 offset1:41
	ds_load_2addr_b64 v[148:151], v172 offset0:42 offset1:43
	s_waitcnt lgkmcnt(1)
	v_mul_f64 v[156:157], v[146:147], v[102:103]
	v_add_f64 v[62:63], v[62:63], -v[154:155]
	s_delay_alu instid0(VALU_DEP_2) | instskip(SKIP_1) | instid1(VALU_DEP_2)
	v_fma_f64 v[156:157], v[144:145], v[140:141], -v[156:157]
	v_mul_f64 v[144:145], v[144:145], v[102:103]
	v_add_f64 v[56:57], v[56:57], -v[156:157]
	s_delay_alu instid0(VALU_DEP_2) | instskip(SKIP_2) | instid1(VALU_DEP_2)
	v_fma_f64 v[158:159], v[146:147], v[140:141], v[144:145]
	s_waitcnt lgkmcnt(0)
	v_mul_f64 v[144:145], v[150:151], v[102:103]
	v_add_f64 v[58:59], v[58:59], -v[158:159]
	s_delay_alu instid0(VALU_DEP_2) | instskip(SKIP_1) | instid1(VALU_DEP_2)
	v_fma_f64 v[160:161], v[148:149], v[140:141], -v[144:145]
	v_mul_f64 v[144:145], v[148:149], v[102:103]
	v_add_f64 v[48:49], v[48:49], -v[160:161]
	s_delay_alu instid0(VALU_DEP_2)
	v_fma_f64 v[162:163], v[150:151], v[140:141], v[144:145]
	ds_load_2addr_b64 v[144:147], v172 offset0:44 offset1:45
	ds_load_2addr_b64 v[148:151], v172 offset0:46 offset1:47
	s_waitcnt lgkmcnt(1)
	v_mul_f64 v[164:165], v[146:147], v[102:103]
	v_add_f64 v[50:51], v[50:51], -v[162:163]
	s_delay_alu instid0(VALU_DEP_2) | instskip(SKIP_1) | instid1(VALU_DEP_2)
	v_fma_f64 v[164:165], v[144:145], v[140:141], -v[164:165]
	v_mul_f64 v[144:145], v[144:145], v[102:103]
	v_add_f64 v[44:45], v[44:45], -v[164:165]
	s_delay_alu instid0(VALU_DEP_2) | instskip(SKIP_2) | instid1(VALU_DEP_2)
	v_fma_f64 v[166:167], v[146:147], v[140:141], v[144:145]
	s_waitcnt lgkmcnt(0)
	v_mul_f64 v[144:145], v[150:151], v[102:103]
	v_add_f64 v[46:47], v[46:47], -v[166:167]
	s_delay_alu instid0(VALU_DEP_2) | instskip(SKIP_1) | instid1(VALU_DEP_2)
	v_fma_f64 v[175:176], v[148:149], v[140:141], -v[144:145]
	v_mul_f64 v[144:145], v[148:149], v[102:103]
	v_add_f64 v[36:37], v[36:37], -v[175:176]
	s_delay_alu instid0(VALU_DEP_2)
	;; [unrolled: 20-line block ×5, first 2 shown]
	v_fma_f64 v[201:202], v[150:151], v[140:141], v[144:145]
	ds_load_2addr_b64 v[144:147], v172 offset0:60 offset1:61
	ds_load_2addr_b64 v[148:151], v172 offset0:62 offset1:63
	scratch_store_b128 off, v[100:103], off ; 16-byte Folded Spill
	s_waitcnt lgkmcnt(1)
	v_mul_f64 v[203:204], v[146:147], v[102:103]
	v_add_f64 v[14:15], v[14:15], -v[201:202]
	s_delay_alu instid0(VALU_DEP_2) | instskip(SKIP_1) | instid1(VALU_DEP_2)
	v_fma_f64 v[203:204], v[144:145], v[140:141], -v[203:204]
	v_mul_f64 v[144:145], v[144:145], v[102:103]
	v_add_f64 v[8:9], v[8:9], -v[203:204]
	s_delay_alu instid0(VALU_DEP_2) | instskip(SKIP_2) | instid1(VALU_DEP_2)
	v_fma_f64 v[205:206], v[146:147], v[140:141], v[144:145]
	s_waitcnt lgkmcnt(0)
	v_mul_f64 v[144:145], v[150:151], v[102:103]
	v_add_f64 v[10:11], v[10:11], -v[205:206]
	s_delay_alu instid0(VALU_DEP_2) | instskip(SKIP_1) | instid1(VALU_DEP_2)
	v_fma_f64 v[207:208], v[148:149], v[140:141], -v[144:145]
	v_mul_f64 v[144:145], v[148:149], v[102:103]
	v_add_f64 v[243:244], v[243:244], -v[207:208]
	s_delay_alu instid0(VALU_DEP_2) | instskip(SKIP_4) | instid1(VALU_DEP_2)
	v_fma_f64 v[148:149], v[150:151], v[140:141], v[144:145]
	ds_load_2addr_b64 v[144:147], v172 offset0:64 offset1:65
	s_waitcnt lgkmcnt(0)
	v_mul_f64 v[150:151], v[146:147], v[102:103]
	v_add_f64 v[245:246], v[245:246], -v[148:149]
	v_fma_f64 v[150:151], v[144:145], v[140:141], -v[150:151]
	v_mul_f64 v[144:145], v[144:145], v[102:103]
	s_delay_alu instid0(VALU_DEP_2) | instskip(NEXT) | instid1(VALU_DEP_2)
	v_add_f64 v[237:238], v[237:238], -v[150:151]
	v_fma_f64 v[144:145], v[146:147], v[140:141], v[144:145]
	s_delay_alu instid0(VALU_DEP_1)
	v_add_f64 v[239:240], v[239:240], -v[144:145]
.LBB64_251:
	s_or_b32 exec_lo, exec_lo, s2
	v_lshl_add_u32 v40, v174, 4, v172
	s_waitcnt_vscnt null, 0x0
	s_barrier
	buffer_gl0_inv
	v_mov_b32_e32 v140, 12
	ds_store_2addr_b64 v40, v[96:97], v[98:99] offset1:1
	s_waitcnt lgkmcnt(0)
	s_barrier
	buffer_gl0_inv
	ds_load_2addr_b64 v[132:135], v172 offset0:24 offset1:25
	s_cmp_lt_i32 s5, 14
	s_cbranch_scc1 .LBB64_254
; %bb.252:
	v_add3_u32 v141, v170, 0, 0xd0
	v_mov_b32_e32 v140, 12
	s_mov_b32 s6, 13
	s_set_inst_prefetch_distance 0x1
	.p2align	6
.LBB64_253:                             ; =>This Inner Loop Header: Depth=1
	ds_load_2addr_b64 v[142:145], v141 offset1:1
	s_waitcnt lgkmcnt(1)
	v_cmp_gt_f64_e32 vcc_lo, 0, v[132:133]
	v_xor_b32_e32 v40, 0x80000000, v133
	v_cmp_gt_f64_e64 s2, 0, v[134:135]
	v_xor_b32_e32 v42, 0x80000000, v135
	v_add_nc_u32_e32 v141, 16, v141
	s_waitcnt lgkmcnt(0)
	v_cmp_gt_f64_e64 s3, 0, v[142:143]
	v_mov_b32_e32 v52, v142
	v_dual_mov_b32 v54, v144 :: v_dual_cndmask_b32 v41, v133, v40
	v_xor_b32_e32 v40, 0x80000000, v143
	v_cndmask_b32_e64 v43, v135, v42, s2
	v_xor_b32_e32 v42, 0x80000000, v145
	s_delay_alu instid0(VALU_DEP_3) | instskip(SKIP_2) | instid1(VALU_DEP_2)
	v_cndmask_b32_e64 v53, v143, v40, s3
	v_cmp_gt_f64_e64 s3, 0, v[144:145]
	v_cndmask_b32_e32 v40, v132, v132, vcc_lo
	v_cndmask_b32_e64 v55, v145, v42, s3
	v_cndmask_b32_e64 v42, v134, v134, s2
	s_delay_alu instid0(VALU_DEP_2) | instskip(NEXT) | instid1(VALU_DEP_2)
	v_add_f64 v[52:53], v[52:53], v[54:55]
	v_add_f64 v[40:41], v[40:41], v[42:43]
	s_delay_alu instid0(VALU_DEP_1)
	v_cmp_lt_f64_e32 vcc_lo, v[40:41], v[52:53]
	v_cndmask_b32_e32 v135, v135, v145, vcc_lo
	v_dual_cndmask_b32 v133, v133, v143 :: v_dual_cndmask_b32 v132, v132, v142
	v_cndmask_b32_e32 v134, v134, v144, vcc_lo
	v_cndmask_b32_e64 v140, v140, s6, vcc_lo
	s_add_i32 s6, s6, 1
	s_delay_alu instid0(SALU_CYCLE_1)
	s_cmp_lg_u32 s5, s6
	s_cbranch_scc1 .LBB64_253
.LBB64_254:
	s_set_inst_prefetch_distance 0x2
	s_waitcnt lgkmcnt(0)
	v_cmp_eq_f64_e32 vcc_lo, 0, v[132:133]
	v_cmp_eq_f64_e64 s2, 0, v[134:135]
	s_delay_alu instid0(VALU_DEP_1) | instskip(NEXT) | instid1(SALU_CYCLE_1)
	s_and_b32 s2, vcc_lo, s2
	s_and_saveexec_b32 s3, s2
	s_delay_alu instid0(SALU_CYCLE_1)
	s_xor_b32 s2, exec_lo, s3
; %bb.255:
	v_cmp_ne_u32_e32 vcc_lo, 0, v255
	v_cndmask_b32_e32 v255, 13, v255, vcc_lo
; %bb.256:
	s_and_not1_saveexec_b32 s3, s2
	s_cbranch_execz .LBB64_262
; %bb.257:
	v_cmp_gt_f64_e32 vcc_lo, 0, v[132:133]
	v_cmp_gt_f64_e64 s2, 0, v[134:135]
	v_xor_b32_e32 v40, 0x80000000, v133
	v_xor_b32_e32 v42, 0x80000000, v135
	s_delay_alu instid0(VALU_DEP_2) | instskip(NEXT) | instid1(VALU_DEP_2)
	v_cndmask_b32_e32 v41, v133, v40, vcc_lo
	v_cndmask_b32_e64 v43, v135, v42, s2
	v_cndmask_b32_e32 v40, v132, v132, vcc_lo
	v_cndmask_b32_e64 v42, v134, v134, s2
	s_mov_b32 s2, exec_lo
	s_delay_alu instid0(VALU_DEP_1)
	v_cmpx_ngt_f64_e32 v[40:41], v[42:43]
	s_xor_b32 s2, exec_lo, s2
	s_cbranch_execz .LBB64_259
; %bb.258:
	v_div_scale_f64 v[40:41], null, v[134:135], v[134:135], v[132:133]
	v_div_scale_f64 v[54:55], vcc_lo, v[132:133], v[134:135], v[132:133]
	s_delay_alu instid0(VALU_DEP_2) | instskip(SKIP_2) | instid1(VALU_DEP_1)
	v_rcp_f64_e32 v[42:43], v[40:41]
	s_waitcnt_depctr 0xfff
	v_fma_f64 v[52:53], -v[40:41], v[42:43], 1.0
	v_fma_f64 v[42:43], v[42:43], v[52:53], v[42:43]
	s_delay_alu instid0(VALU_DEP_1) | instskip(NEXT) | instid1(VALU_DEP_1)
	v_fma_f64 v[52:53], -v[40:41], v[42:43], 1.0
	v_fma_f64 v[42:43], v[42:43], v[52:53], v[42:43]
	s_delay_alu instid0(VALU_DEP_1) | instskip(NEXT) | instid1(VALU_DEP_1)
	v_mul_f64 v[52:53], v[54:55], v[42:43]
	v_fma_f64 v[40:41], -v[40:41], v[52:53], v[54:55]
	s_delay_alu instid0(VALU_DEP_1) | instskip(NEXT) | instid1(VALU_DEP_1)
	v_div_fmas_f64 v[40:41], v[40:41], v[42:43], v[52:53]
	v_div_fixup_f64 v[40:41], v[40:41], v[134:135], v[132:133]
	s_delay_alu instid0(VALU_DEP_1) | instskip(NEXT) | instid1(VALU_DEP_1)
	v_fma_f64 v[42:43], v[132:133], v[40:41], v[134:135]
	v_div_scale_f64 v[52:53], null, v[42:43], v[42:43], 1.0
	s_delay_alu instid0(VALU_DEP_1) | instskip(SKIP_2) | instid1(VALU_DEP_1)
	v_rcp_f64_e32 v[54:55], v[52:53]
	s_waitcnt_depctr 0xfff
	v_fma_f64 v[104:105], -v[52:53], v[54:55], 1.0
	v_fma_f64 v[54:55], v[54:55], v[104:105], v[54:55]
	s_delay_alu instid0(VALU_DEP_1) | instskip(NEXT) | instid1(VALU_DEP_1)
	v_fma_f64 v[104:105], -v[52:53], v[54:55], 1.0
	v_fma_f64 v[54:55], v[54:55], v[104:105], v[54:55]
	v_div_scale_f64 v[104:105], vcc_lo, 1.0, v[42:43], 1.0
	s_delay_alu instid0(VALU_DEP_1) | instskip(NEXT) | instid1(VALU_DEP_1)
	v_mul_f64 v[106:107], v[104:105], v[54:55]
	v_fma_f64 v[52:53], -v[52:53], v[106:107], v[104:105]
	s_delay_alu instid0(VALU_DEP_1) | instskip(NEXT) | instid1(VALU_DEP_1)
	v_div_fmas_f64 v[52:53], v[52:53], v[54:55], v[106:107]
	v_div_fixup_f64 v[134:135], v[52:53], v[42:43], 1.0
	s_delay_alu instid0(VALU_DEP_1)
	v_mul_f64 v[132:133], v[40:41], v[134:135]
	v_xor_b32_e32 v135, 0x80000000, v135
.LBB64_259:
	s_and_not1_saveexec_b32 s2, s2
	s_cbranch_execz .LBB64_261
; %bb.260:
	s_delay_alu instid0(VALU_DEP_1) | instskip(SKIP_1) | instid1(VALU_DEP_2)
	v_div_scale_f64 v[40:41], null, v[132:133], v[132:133], v[134:135]
	v_div_scale_f64 v[54:55], vcc_lo, v[134:135], v[132:133], v[134:135]
	v_rcp_f64_e32 v[42:43], v[40:41]
	s_waitcnt_depctr 0xfff
	v_fma_f64 v[52:53], -v[40:41], v[42:43], 1.0
	s_delay_alu instid0(VALU_DEP_1) | instskip(NEXT) | instid1(VALU_DEP_1)
	v_fma_f64 v[42:43], v[42:43], v[52:53], v[42:43]
	v_fma_f64 v[52:53], -v[40:41], v[42:43], 1.0
	s_delay_alu instid0(VALU_DEP_1) | instskip(NEXT) | instid1(VALU_DEP_1)
	v_fma_f64 v[42:43], v[42:43], v[52:53], v[42:43]
	v_mul_f64 v[52:53], v[54:55], v[42:43]
	s_delay_alu instid0(VALU_DEP_1) | instskip(NEXT) | instid1(VALU_DEP_1)
	v_fma_f64 v[40:41], -v[40:41], v[52:53], v[54:55]
	v_div_fmas_f64 v[40:41], v[40:41], v[42:43], v[52:53]
	s_delay_alu instid0(VALU_DEP_1) | instskip(NEXT) | instid1(VALU_DEP_1)
	v_div_fixup_f64 v[40:41], v[40:41], v[132:133], v[134:135]
	v_fma_f64 v[42:43], v[134:135], v[40:41], v[132:133]
	s_delay_alu instid0(VALU_DEP_1) | instskip(NEXT) | instid1(VALU_DEP_1)
	v_div_scale_f64 v[52:53], null, v[42:43], v[42:43], 1.0
	v_rcp_f64_e32 v[54:55], v[52:53]
	s_waitcnt_depctr 0xfff
	v_fma_f64 v[104:105], -v[52:53], v[54:55], 1.0
	s_delay_alu instid0(VALU_DEP_1) | instskip(NEXT) | instid1(VALU_DEP_1)
	v_fma_f64 v[54:55], v[54:55], v[104:105], v[54:55]
	v_fma_f64 v[104:105], -v[52:53], v[54:55], 1.0
	s_delay_alu instid0(VALU_DEP_1) | instskip(SKIP_1) | instid1(VALU_DEP_1)
	v_fma_f64 v[54:55], v[54:55], v[104:105], v[54:55]
	v_div_scale_f64 v[104:105], vcc_lo, 1.0, v[42:43], 1.0
	v_mul_f64 v[106:107], v[104:105], v[54:55]
	s_delay_alu instid0(VALU_DEP_1) | instskip(NEXT) | instid1(VALU_DEP_1)
	v_fma_f64 v[52:53], -v[52:53], v[106:107], v[104:105]
	v_div_fmas_f64 v[52:53], v[52:53], v[54:55], v[106:107]
	s_delay_alu instid0(VALU_DEP_1) | instskip(NEXT) | instid1(VALU_DEP_1)
	v_div_fixup_f64 v[132:133], v[52:53], v[42:43], 1.0
	v_mul_f64 v[134:135], v[40:41], -v[132:133]
.LBB64_261:
	s_or_b32 exec_lo, exec_lo, s2
.LBB64_262:
	s_delay_alu instid0(SALU_CYCLE_1) | instskip(NEXT) | instid1(SALU_CYCLE_1)
	s_or_b32 exec_lo, exec_lo, s3
	s_mov_b32 s2, exec_lo
	v_cmpx_ne_u32_e64 v174, v140
	s_xor_b32 s2, exec_lo, s2
	s_cbranch_execz .LBB64_268
; %bb.263:
	s_mov_b32 s3, exec_lo
	v_cmpx_eq_u32_e32 12, v174
	s_cbranch_execz .LBB64_267
; %bb.264:
	v_cmp_ne_u32_e32 vcc_lo, 12, v140
	s_xor_b32 s6, s4, -1
	s_delay_alu instid0(SALU_CYCLE_1) | instskip(NEXT) | instid1(SALU_CYCLE_1)
	s_and_b32 s7, s6, vcc_lo
	s_and_saveexec_b32 s6, s7
	s_cbranch_execz .LBB64_266
; %bb.265:
	scratch_load_b64 v[0:1], off, off offset:48 ; 8-byte Folded Reload
	v_ashrrev_i32_e32 v141, 31, v140
	s_delay_alu instid0(VALU_DEP_1) | instskip(SKIP_1) | instid1(VALU_DEP_1)
	v_lshlrev_b64 v[40:41], 2, v[140:141]
	s_waitcnt vmcnt(0)
	v_add_co_u32 v40, vcc_lo, v0, v40
	s_delay_alu instid0(VALU_DEP_2)
	v_add_co_ci_u32_e32 v41, vcc_lo, v1, v41, vcc_lo
	s_clause 0x1
	flat_load_b32 v42, v[40:41]
	flat_load_b32 v43, v[0:1] offset:48
	s_waitcnt vmcnt(1) lgkmcnt(1)
	flat_store_b32 v[0:1], v42 offset:48
	s_waitcnt vmcnt(0) lgkmcnt(1)
	flat_store_b32 v[40:41], v43
.LBB64_266:
	s_or_b32 exec_lo, exec_lo, s6
	v_mov_b32_e32 v174, v140
	v_mov_b32_e32 v173, v140
.LBB64_267:
	s_or_b32 exec_lo, exec_lo, s3
.LBB64_268:
	s_and_not1_saveexec_b32 s2, s2
	s_cbranch_execz .LBB64_270
; %bb.269:
	v_mov_b32_e32 v174, 12
	ds_store_2addr_b64 v172, v[84:85], v[86:87] offset0:26 offset1:27
	ds_store_2addr_b64 v172, v[80:81], v[82:83] offset0:28 offset1:29
	;; [unrolled: 1-line block ×20, first 2 shown]
.LBB64_270:
	s_or_b32 exec_lo, exec_lo, s2
	s_delay_alu instid0(SALU_CYCLE_1)
	s_mov_b32 s2, exec_lo
	s_waitcnt lgkmcnt(0)
	s_waitcnt_vscnt null, 0x0
	s_barrier
	buffer_gl0_inv
	v_cmpx_lt_i32_e32 12, v174
	s_cbranch_execz .LBB64_272
; %bb.271:
	v_mul_f64 v[40:41], v[134:135], v[98:99]
	s_delay_alu instid0(VALU_DEP_1) | instskip(SKIP_1) | instid1(VALU_DEP_1)
	v_fma_f64 v[140:141], v[132:133], v[96:97], -v[40:41]
	v_mul_f64 v[40:41], v[132:133], v[98:99]
	v_fma_f64 v[98:99], v[134:135], v[96:97], v[40:41]
	ds_load_2addr_b64 v[132:135], v172 offset0:26 offset1:27
	ds_load_2addr_b64 v[142:145], v172 offset0:28 offset1:29
	s_waitcnt lgkmcnt(1)
	v_mul_f64 v[40:41], v[134:135], v[98:99]
	v_mul_f64 v[42:43], v[132:133], v[98:99]
	s_waitcnt lgkmcnt(0)
	v_mul_f64 v[52:53], v[144:145], v[98:99]
	v_mul_f64 v[54:55], v[142:143], v[98:99]
	s_delay_alu instid0(VALU_DEP_4) | instskip(NEXT) | instid1(VALU_DEP_4)
	v_fma_f64 v[40:41], v[132:133], v[140:141], -v[40:41]
	v_fma_f64 v[42:43], v[134:135], v[140:141], v[42:43]
	s_delay_alu instid0(VALU_DEP_4) | instskip(NEXT) | instid1(VALU_DEP_4)
	v_fma_f64 v[52:53], v[142:143], v[140:141], -v[52:53]
	v_fma_f64 v[54:55], v[144:145], v[140:141], v[54:55]
	ds_load_2addr_b64 v[132:135], v172 offset0:30 offset1:31
	ds_load_2addr_b64 v[142:145], v172 offset0:32 offset1:33
	s_waitcnt lgkmcnt(1)
	v_mul_f64 v[96:97], v[134:135], v[98:99]
	v_mul_f64 v[104:105], v[132:133], v[98:99]
	s_waitcnt lgkmcnt(0)
	v_mul_f64 v[106:107], v[144:145], v[98:99]
	v_mul_f64 v[128:129], v[142:143], v[98:99]
	v_add_f64 v[84:85], v[84:85], -v[40:41]
	v_add_f64 v[86:87], v[86:87], -v[42:43]
	;; [unrolled: 1-line block ×4, first 2 shown]
	v_fma_f64 v[96:97], v[132:133], v[140:141], -v[96:97]
	v_fma_f64 v[104:105], v[134:135], v[140:141], v[104:105]
	v_fma_f64 v[106:107], v[142:143], v[140:141], -v[106:107]
	v_fma_f64 v[128:129], v[144:145], v[140:141], v[128:129]
	ds_load_2addr_b64 v[132:135], v172 offset0:34 offset1:35
	ds_load_2addr_b64 v[142:145], v172 offset0:36 offset1:37
	s_waitcnt lgkmcnt(1)
	v_mul_f64 v[130:131], v[134:135], v[98:99]
	v_add_f64 v[76:77], v[76:77], -v[96:97]
	v_add_f64 v[78:79], v[78:79], -v[104:105]
	;; [unrolled: 1-line block ×4, first 2 shown]
	v_dual_mov_b32 v96, v140 :: v_dual_mov_b32 v97, v141
	v_fma_f64 v[130:131], v[132:133], v[140:141], -v[130:131]
	v_mul_f64 v[132:133], v[132:133], v[98:99]
	s_delay_alu instid0(VALU_DEP_2) | instskip(NEXT) | instid1(VALU_DEP_2)
	v_add_f64 v[68:69], v[68:69], -v[130:131]
	v_fma_f64 v[136:137], v[134:135], v[140:141], v[132:133]
	s_waitcnt lgkmcnt(0)
	v_mul_f64 v[132:133], v[144:145], v[98:99]
	s_delay_alu instid0(VALU_DEP_2) | instskip(NEXT) | instid1(VALU_DEP_2)
	v_add_f64 v[70:71], v[70:71], -v[136:137]
	v_fma_f64 v[138:139], v[142:143], v[140:141], -v[132:133]
	v_mul_f64 v[132:133], v[142:143], v[98:99]
	s_delay_alu instid0(VALU_DEP_2) | instskip(NEXT) | instid1(VALU_DEP_2)
	v_add_f64 v[64:65], v[64:65], -v[138:139]
	v_fma_f64 v[146:147], v[144:145], v[140:141], v[132:133]
	ds_load_2addr_b64 v[132:135], v172 offset0:38 offset1:39
	ds_load_2addr_b64 v[142:145], v172 offset0:40 offset1:41
	s_waitcnt lgkmcnt(1)
	v_mul_f64 v[148:149], v[134:135], v[98:99]
	v_add_f64 v[66:67], v[66:67], -v[146:147]
	s_delay_alu instid0(VALU_DEP_2) | instskip(SKIP_1) | instid1(VALU_DEP_2)
	v_fma_f64 v[148:149], v[132:133], v[140:141], -v[148:149]
	v_mul_f64 v[132:133], v[132:133], v[98:99]
	v_add_f64 v[60:61], v[60:61], -v[148:149]
	s_delay_alu instid0(VALU_DEP_2) | instskip(SKIP_2) | instid1(VALU_DEP_2)
	v_fma_f64 v[150:151], v[134:135], v[140:141], v[132:133]
	s_waitcnt lgkmcnt(0)
	v_mul_f64 v[132:133], v[144:145], v[98:99]
	v_add_f64 v[62:63], v[62:63], -v[150:151]
	s_delay_alu instid0(VALU_DEP_2) | instskip(SKIP_1) | instid1(VALU_DEP_2)
	v_fma_f64 v[152:153], v[142:143], v[140:141], -v[132:133]
	v_mul_f64 v[132:133], v[142:143], v[98:99]
	v_add_f64 v[56:57], v[56:57], -v[152:153]
	s_delay_alu instid0(VALU_DEP_2)
	v_fma_f64 v[154:155], v[144:145], v[140:141], v[132:133]
	ds_load_2addr_b64 v[132:135], v172 offset0:42 offset1:43
	ds_load_2addr_b64 v[142:145], v172 offset0:44 offset1:45
	s_waitcnt lgkmcnt(1)
	v_mul_f64 v[156:157], v[134:135], v[98:99]
	v_add_f64 v[58:59], v[58:59], -v[154:155]
	s_delay_alu instid0(VALU_DEP_2) | instskip(SKIP_1) | instid1(VALU_DEP_2)
	v_fma_f64 v[156:157], v[132:133], v[140:141], -v[156:157]
	v_mul_f64 v[132:133], v[132:133], v[98:99]
	v_add_f64 v[48:49], v[48:49], -v[156:157]
	s_delay_alu instid0(VALU_DEP_2) | instskip(SKIP_2) | instid1(VALU_DEP_2)
	v_fma_f64 v[158:159], v[134:135], v[140:141], v[132:133]
	s_waitcnt lgkmcnt(0)
	v_mul_f64 v[132:133], v[144:145], v[98:99]
	v_add_f64 v[50:51], v[50:51], -v[158:159]
	s_delay_alu instid0(VALU_DEP_2) | instskip(SKIP_1) | instid1(VALU_DEP_2)
	v_fma_f64 v[160:161], v[142:143], v[140:141], -v[132:133]
	v_mul_f64 v[132:133], v[142:143], v[98:99]
	v_add_f64 v[44:45], v[44:45], -v[160:161]
	s_delay_alu instid0(VALU_DEP_2)
	;; [unrolled: 20-line block ×6, first 2 shown]
	v_fma_f64 v[201:202], v[144:145], v[140:141], v[132:133]
	ds_load_2addr_b64 v[132:135], v172 offset0:62 offset1:63
	ds_load_2addr_b64 v[142:145], v172 offset0:64 offset1:65
	s_waitcnt lgkmcnt(1)
	v_mul_f64 v[203:204], v[134:135], v[98:99]
	v_add_f64 v[10:11], v[10:11], -v[201:202]
	s_delay_alu instid0(VALU_DEP_2) | instskip(SKIP_1) | instid1(VALU_DEP_2)
	v_fma_f64 v[203:204], v[132:133], v[140:141], -v[203:204]
	v_mul_f64 v[132:133], v[132:133], v[98:99]
	v_add_f64 v[243:244], v[243:244], -v[203:204]
	s_delay_alu instid0(VALU_DEP_2) | instskip(SKIP_2) | instid1(VALU_DEP_2)
	v_fma_f64 v[132:133], v[134:135], v[140:141], v[132:133]
	s_waitcnt lgkmcnt(0)
	v_mul_f64 v[134:135], v[144:145], v[98:99]
	v_add_f64 v[245:246], v[245:246], -v[132:133]
	s_delay_alu instid0(VALU_DEP_2) | instskip(SKIP_1) | instid1(VALU_DEP_2)
	v_fma_f64 v[134:135], v[142:143], v[140:141], -v[134:135]
	v_mul_f64 v[142:143], v[142:143], v[98:99]
	v_add_f64 v[237:238], v[237:238], -v[134:135]
	s_delay_alu instid0(VALU_DEP_2) | instskip(NEXT) | instid1(VALU_DEP_1)
	v_fma_f64 v[142:143], v[144:145], v[140:141], v[142:143]
	v_add_f64 v[239:240], v[239:240], -v[142:143]
.LBB64_272:
	s_or_b32 exec_lo, exec_lo, s2
	v_lshl_add_u32 v40, v174, 4, v172
	s_barrier
	buffer_gl0_inv
	v_mov_b32_e32 v140, 13
	ds_store_2addr_b64 v40, v[84:85], v[86:87] offset1:1
	s_waitcnt lgkmcnt(0)
	s_barrier
	buffer_gl0_inv
	ds_load_2addr_b64 v[132:135], v172 offset0:26 offset1:27
	s_cmp_lt_i32 s5, 15
	s_cbranch_scc1 .LBB64_275
; %bb.273:
	v_add3_u32 v141, v170, 0, 0xe0
	v_mov_b32_e32 v140, 13
	s_mov_b32 s6, 14
	s_set_inst_prefetch_distance 0x1
	.p2align	6
.LBB64_274:                             ; =>This Inner Loop Header: Depth=1
	ds_load_2addr_b64 v[142:145], v141 offset1:1
	s_waitcnt lgkmcnt(1)
	v_cmp_gt_f64_e32 vcc_lo, 0, v[132:133]
	v_xor_b32_e32 v40, 0x80000000, v133
	v_cmp_gt_f64_e64 s2, 0, v[134:135]
	v_xor_b32_e32 v42, 0x80000000, v135
	v_add_nc_u32_e32 v141, 16, v141
	s_waitcnt lgkmcnt(0)
	v_cmp_gt_f64_e64 s3, 0, v[142:143]
	v_mov_b32_e32 v52, v142
	v_dual_mov_b32 v54, v144 :: v_dual_cndmask_b32 v41, v133, v40
	v_xor_b32_e32 v40, 0x80000000, v143
	v_cndmask_b32_e64 v43, v135, v42, s2
	v_xor_b32_e32 v42, 0x80000000, v145
	s_delay_alu instid0(VALU_DEP_3) | instskip(SKIP_2) | instid1(VALU_DEP_2)
	v_cndmask_b32_e64 v53, v143, v40, s3
	v_cmp_gt_f64_e64 s3, 0, v[144:145]
	v_cndmask_b32_e32 v40, v132, v132, vcc_lo
	v_cndmask_b32_e64 v55, v145, v42, s3
	v_cndmask_b32_e64 v42, v134, v134, s2
	s_delay_alu instid0(VALU_DEP_2) | instskip(NEXT) | instid1(VALU_DEP_2)
	v_add_f64 v[52:53], v[52:53], v[54:55]
	v_add_f64 v[40:41], v[40:41], v[42:43]
	s_delay_alu instid0(VALU_DEP_1)
	v_cmp_lt_f64_e32 vcc_lo, v[40:41], v[52:53]
	v_cndmask_b32_e32 v135, v135, v145, vcc_lo
	v_dual_cndmask_b32 v133, v133, v143 :: v_dual_cndmask_b32 v132, v132, v142
	v_cndmask_b32_e32 v134, v134, v144, vcc_lo
	v_cndmask_b32_e64 v140, v140, s6, vcc_lo
	s_add_i32 s6, s6, 1
	s_delay_alu instid0(SALU_CYCLE_1)
	s_cmp_lg_u32 s5, s6
	s_cbranch_scc1 .LBB64_274
.LBB64_275:
	s_set_inst_prefetch_distance 0x2
	s_waitcnt lgkmcnt(0)
	v_cmp_eq_f64_e32 vcc_lo, 0, v[132:133]
	v_cmp_eq_f64_e64 s2, 0, v[134:135]
	s_delay_alu instid0(VALU_DEP_1) | instskip(NEXT) | instid1(SALU_CYCLE_1)
	s_and_b32 s2, vcc_lo, s2
	s_and_saveexec_b32 s3, s2
	s_delay_alu instid0(SALU_CYCLE_1)
	s_xor_b32 s2, exec_lo, s3
; %bb.276:
	v_cmp_ne_u32_e32 vcc_lo, 0, v255
	v_cndmask_b32_e32 v255, 14, v255, vcc_lo
; %bb.277:
	s_and_not1_saveexec_b32 s3, s2
	s_cbranch_execz .LBB64_283
; %bb.278:
	v_cmp_gt_f64_e32 vcc_lo, 0, v[132:133]
	v_cmp_gt_f64_e64 s2, 0, v[134:135]
	v_xor_b32_e32 v40, 0x80000000, v133
	v_xor_b32_e32 v42, 0x80000000, v135
	s_delay_alu instid0(VALU_DEP_2) | instskip(NEXT) | instid1(VALU_DEP_2)
	v_cndmask_b32_e32 v41, v133, v40, vcc_lo
	v_cndmask_b32_e64 v43, v135, v42, s2
	v_cndmask_b32_e32 v40, v132, v132, vcc_lo
	v_cndmask_b32_e64 v42, v134, v134, s2
	s_mov_b32 s2, exec_lo
	s_delay_alu instid0(VALU_DEP_1)
	v_cmpx_ngt_f64_e32 v[40:41], v[42:43]
	s_xor_b32 s2, exec_lo, s2
	s_cbranch_execz .LBB64_280
; %bb.279:
	v_div_scale_f64 v[40:41], null, v[134:135], v[134:135], v[132:133]
	v_div_scale_f64 v[54:55], vcc_lo, v[132:133], v[134:135], v[132:133]
	s_delay_alu instid0(VALU_DEP_2) | instskip(SKIP_2) | instid1(VALU_DEP_1)
	v_rcp_f64_e32 v[42:43], v[40:41]
	s_waitcnt_depctr 0xfff
	v_fma_f64 v[52:53], -v[40:41], v[42:43], 1.0
	v_fma_f64 v[42:43], v[42:43], v[52:53], v[42:43]
	s_delay_alu instid0(VALU_DEP_1) | instskip(NEXT) | instid1(VALU_DEP_1)
	v_fma_f64 v[52:53], -v[40:41], v[42:43], 1.0
	v_fma_f64 v[42:43], v[42:43], v[52:53], v[42:43]
	s_delay_alu instid0(VALU_DEP_1) | instskip(NEXT) | instid1(VALU_DEP_1)
	v_mul_f64 v[52:53], v[54:55], v[42:43]
	v_fma_f64 v[40:41], -v[40:41], v[52:53], v[54:55]
	s_delay_alu instid0(VALU_DEP_1) | instskip(NEXT) | instid1(VALU_DEP_1)
	v_div_fmas_f64 v[40:41], v[40:41], v[42:43], v[52:53]
	v_div_fixup_f64 v[40:41], v[40:41], v[134:135], v[132:133]
	s_delay_alu instid0(VALU_DEP_1) | instskip(NEXT) | instid1(VALU_DEP_1)
	v_fma_f64 v[42:43], v[132:133], v[40:41], v[134:135]
	v_div_scale_f64 v[52:53], null, v[42:43], v[42:43], 1.0
	s_delay_alu instid0(VALU_DEP_1) | instskip(SKIP_2) | instid1(VALU_DEP_1)
	v_rcp_f64_e32 v[54:55], v[52:53]
	s_waitcnt_depctr 0xfff
	v_fma_f64 v[104:105], -v[52:53], v[54:55], 1.0
	v_fma_f64 v[54:55], v[54:55], v[104:105], v[54:55]
	s_delay_alu instid0(VALU_DEP_1) | instskip(NEXT) | instid1(VALU_DEP_1)
	v_fma_f64 v[104:105], -v[52:53], v[54:55], 1.0
	v_fma_f64 v[54:55], v[54:55], v[104:105], v[54:55]
	v_div_scale_f64 v[104:105], vcc_lo, 1.0, v[42:43], 1.0
	s_delay_alu instid0(VALU_DEP_1) | instskip(NEXT) | instid1(VALU_DEP_1)
	v_mul_f64 v[106:107], v[104:105], v[54:55]
	v_fma_f64 v[52:53], -v[52:53], v[106:107], v[104:105]
	s_delay_alu instid0(VALU_DEP_1) | instskip(NEXT) | instid1(VALU_DEP_1)
	v_div_fmas_f64 v[52:53], v[52:53], v[54:55], v[106:107]
	v_div_fixup_f64 v[134:135], v[52:53], v[42:43], 1.0
	s_delay_alu instid0(VALU_DEP_1)
	v_mul_f64 v[132:133], v[40:41], v[134:135]
	v_xor_b32_e32 v135, 0x80000000, v135
.LBB64_280:
	s_and_not1_saveexec_b32 s2, s2
	s_cbranch_execz .LBB64_282
; %bb.281:
	s_delay_alu instid0(VALU_DEP_1) | instskip(SKIP_1) | instid1(VALU_DEP_2)
	v_div_scale_f64 v[40:41], null, v[132:133], v[132:133], v[134:135]
	v_div_scale_f64 v[54:55], vcc_lo, v[134:135], v[132:133], v[134:135]
	v_rcp_f64_e32 v[42:43], v[40:41]
	s_waitcnt_depctr 0xfff
	v_fma_f64 v[52:53], -v[40:41], v[42:43], 1.0
	s_delay_alu instid0(VALU_DEP_1) | instskip(NEXT) | instid1(VALU_DEP_1)
	v_fma_f64 v[42:43], v[42:43], v[52:53], v[42:43]
	v_fma_f64 v[52:53], -v[40:41], v[42:43], 1.0
	s_delay_alu instid0(VALU_DEP_1) | instskip(NEXT) | instid1(VALU_DEP_1)
	v_fma_f64 v[42:43], v[42:43], v[52:53], v[42:43]
	v_mul_f64 v[52:53], v[54:55], v[42:43]
	s_delay_alu instid0(VALU_DEP_1) | instskip(NEXT) | instid1(VALU_DEP_1)
	v_fma_f64 v[40:41], -v[40:41], v[52:53], v[54:55]
	v_div_fmas_f64 v[40:41], v[40:41], v[42:43], v[52:53]
	s_delay_alu instid0(VALU_DEP_1) | instskip(NEXT) | instid1(VALU_DEP_1)
	v_div_fixup_f64 v[40:41], v[40:41], v[132:133], v[134:135]
	v_fma_f64 v[42:43], v[134:135], v[40:41], v[132:133]
	s_delay_alu instid0(VALU_DEP_1) | instskip(NEXT) | instid1(VALU_DEP_1)
	v_div_scale_f64 v[52:53], null, v[42:43], v[42:43], 1.0
	v_rcp_f64_e32 v[54:55], v[52:53]
	s_waitcnt_depctr 0xfff
	v_fma_f64 v[104:105], -v[52:53], v[54:55], 1.0
	s_delay_alu instid0(VALU_DEP_1) | instskip(NEXT) | instid1(VALU_DEP_1)
	v_fma_f64 v[54:55], v[54:55], v[104:105], v[54:55]
	v_fma_f64 v[104:105], -v[52:53], v[54:55], 1.0
	s_delay_alu instid0(VALU_DEP_1) | instskip(SKIP_1) | instid1(VALU_DEP_1)
	v_fma_f64 v[54:55], v[54:55], v[104:105], v[54:55]
	v_div_scale_f64 v[104:105], vcc_lo, 1.0, v[42:43], 1.0
	v_mul_f64 v[106:107], v[104:105], v[54:55]
	s_delay_alu instid0(VALU_DEP_1) | instskip(NEXT) | instid1(VALU_DEP_1)
	v_fma_f64 v[52:53], -v[52:53], v[106:107], v[104:105]
	v_div_fmas_f64 v[52:53], v[52:53], v[54:55], v[106:107]
	s_delay_alu instid0(VALU_DEP_1) | instskip(NEXT) | instid1(VALU_DEP_1)
	v_div_fixup_f64 v[132:133], v[52:53], v[42:43], 1.0
	v_mul_f64 v[134:135], v[40:41], -v[132:133]
.LBB64_282:
	s_or_b32 exec_lo, exec_lo, s2
.LBB64_283:
	s_delay_alu instid0(SALU_CYCLE_1) | instskip(NEXT) | instid1(SALU_CYCLE_1)
	s_or_b32 exec_lo, exec_lo, s3
	s_mov_b32 s2, exec_lo
	v_cmpx_ne_u32_e64 v174, v140
	s_xor_b32 s2, exec_lo, s2
	s_cbranch_execz .LBB64_289
; %bb.284:
	s_mov_b32 s3, exec_lo
	v_cmpx_eq_u32_e32 13, v174
	s_cbranch_execz .LBB64_288
; %bb.285:
	v_cmp_ne_u32_e32 vcc_lo, 13, v140
	s_xor_b32 s6, s4, -1
	s_delay_alu instid0(SALU_CYCLE_1) | instskip(NEXT) | instid1(SALU_CYCLE_1)
	s_and_b32 s7, s6, vcc_lo
	s_and_saveexec_b32 s6, s7
	s_cbranch_execz .LBB64_287
; %bb.286:
	scratch_load_b64 v[0:1], off, off offset:48 ; 8-byte Folded Reload
	v_ashrrev_i32_e32 v141, 31, v140
	s_delay_alu instid0(VALU_DEP_1) | instskip(SKIP_1) | instid1(VALU_DEP_1)
	v_lshlrev_b64 v[40:41], 2, v[140:141]
	s_waitcnt vmcnt(0)
	v_add_co_u32 v40, vcc_lo, v0, v40
	s_delay_alu instid0(VALU_DEP_2)
	v_add_co_ci_u32_e32 v41, vcc_lo, v1, v41, vcc_lo
	s_clause 0x1
	flat_load_b32 v42, v[40:41]
	flat_load_b32 v43, v[0:1] offset:52
	s_waitcnt vmcnt(1) lgkmcnt(1)
	flat_store_b32 v[0:1], v42 offset:52
	s_waitcnt vmcnt(0) lgkmcnt(1)
	flat_store_b32 v[40:41], v43
.LBB64_287:
	s_or_b32 exec_lo, exec_lo, s6
	v_mov_b32_e32 v174, v140
	v_mov_b32_e32 v173, v140
.LBB64_288:
	s_or_b32 exec_lo, exec_lo, s3
.LBB64_289:
	s_and_not1_saveexec_b32 s2, s2
	s_cbranch_execz .LBB64_291
; %bb.290:
	v_mov_b32_e32 v174, 13
	ds_store_2addr_b64 v172, v[80:81], v[82:83] offset0:28 offset1:29
	ds_store_2addr_b64 v172, v[76:77], v[78:79] offset0:30 offset1:31
	;; [unrolled: 1-line block ×19, first 2 shown]
.LBB64_291:
	s_or_b32 exec_lo, exec_lo, s2
	s_delay_alu instid0(SALU_CYCLE_1)
	s_mov_b32 s2, exec_lo
	s_waitcnt lgkmcnt(0)
	s_waitcnt_vscnt null, 0x0
	s_barrier
	buffer_gl0_inv
	v_cmpx_lt_i32_e32 13, v174
	s_cbranch_execz .LBB64_293
; %bb.292:
	v_mul_f64 v[40:41], v[134:135], v[86:87]
	s_delay_alu instid0(VALU_DEP_1) | instskip(SKIP_1) | instid1(VALU_DEP_1)
	v_fma_f64 v[140:141], v[132:133], v[84:85], -v[40:41]
	v_mul_f64 v[40:41], v[132:133], v[86:87]
	v_fma_f64 v[86:87], v[134:135], v[84:85], v[40:41]
	ds_load_2addr_b64 v[132:135], v172 offset0:28 offset1:29
	ds_load_2addr_b64 v[142:145], v172 offset0:30 offset1:31
	s_waitcnt lgkmcnt(1)
	v_mul_f64 v[40:41], v[134:135], v[86:87]
	v_mul_f64 v[42:43], v[132:133], v[86:87]
	s_waitcnt lgkmcnt(0)
	v_mul_f64 v[52:53], v[144:145], v[86:87]
	v_mul_f64 v[54:55], v[142:143], v[86:87]
	s_delay_alu instid0(VALU_DEP_4) | instskip(NEXT) | instid1(VALU_DEP_4)
	v_fma_f64 v[40:41], v[132:133], v[140:141], -v[40:41]
	v_fma_f64 v[42:43], v[134:135], v[140:141], v[42:43]
	s_delay_alu instid0(VALU_DEP_4) | instskip(NEXT) | instid1(VALU_DEP_4)
	v_fma_f64 v[52:53], v[142:143], v[140:141], -v[52:53]
	v_fma_f64 v[54:55], v[144:145], v[140:141], v[54:55]
	ds_load_2addr_b64 v[132:135], v172 offset0:32 offset1:33
	ds_load_2addr_b64 v[142:145], v172 offset0:34 offset1:35
	s_waitcnt lgkmcnt(1)
	v_mul_f64 v[84:85], v[134:135], v[86:87]
	v_mul_f64 v[104:105], v[132:133], v[86:87]
	s_waitcnt lgkmcnt(0)
	v_mul_f64 v[106:107], v[144:145], v[86:87]
	v_mul_f64 v[128:129], v[142:143], v[86:87]
	v_add_f64 v[80:81], v[80:81], -v[40:41]
	v_add_f64 v[82:83], v[82:83], -v[42:43]
	;; [unrolled: 1-line block ×4, first 2 shown]
	v_fma_f64 v[84:85], v[132:133], v[140:141], -v[84:85]
	v_fma_f64 v[104:105], v[134:135], v[140:141], v[104:105]
	v_fma_f64 v[106:107], v[142:143], v[140:141], -v[106:107]
	v_fma_f64 v[128:129], v[144:145], v[140:141], v[128:129]
	ds_load_2addr_b64 v[132:135], v172 offset0:36 offset1:37
	ds_load_2addr_b64 v[142:145], v172 offset0:38 offset1:39
	s_waitcnt lgkmcnt(1)
	v_mul_f64 v[130:131], v[134:135], v[86:87]
	v_add_f64 v[72:73], v[72:73], -v[84:85]
	v_add_f64 v[74:75], v[74:75], -v[104:105]
	;; [unrolled: 1-line block ×4, first 2 shown]
	v_dual_mov_b32 v84, v140 :: v_dual_mov_b32 v85, v141
	v_fma_f64 v[130:131], v[132:133], v[140:141], -v[130:131]
	v_mul_f64 v[132:133], v[132:133], v[86:87]
	s_delay_alu instid0(VALU_DEP_2) | instskip(NEXT) | instid1(VALU_DEP_2)
	v_add_f64 v[64:65], v[64:65], -v[130:131]
	v_fma_f64 v[136:137], v[134:135], v[140:141], v[132:133]
	s_waitcnt lgkmcnt(0)
	v_mul_f64 v[132:133], v[144:145], v[86:87]
	s_delay_alu instid0(VALU_DEP_2) | instskip(NEXT) | instid1(VALU_DEP_2)
	v_add_f64 v[66:67], v[66:67], -v[136:137]
	v_fma_f64 v[138:139], v[142:143], v[140:141], -v[132:133]
	v_mul_f64 v[132:133], v[142:143], v[86:87]
	s_delay_alu instid0(VALU_DEP_2) | instskip(NEXT) | instid1(VALU_DEP_2)
	v_add_f64 v[60:61], v[60:61], -v[138:139]
	v_fma_f64 v[146:147], v[144:145], v[140:141], v[132:133]
	ds_load_2addr_b64 v[132:135], v172 offset0:40 offset1:41
	ds_load_2addr_b64 v[142:145], v172 offset0:42 offset1:43
	s_waitcnt lgkmcnt(1)
	v_mul_f64 v[148:149], v[134:135], v[86:87]
	v_add_f64 v[62:63], v[62:63], -v[146:147]
	s_delay_alu instid0(VALU_DEP_2) | instskip(SKIP_1) | instid1(VALU_DEP_2)
	v_fma_f64 v[148:149], v[132:133], v[140:141], -v[148:149]
	v_mul_f64 v[132:133], v[132:133], v[86:87]
	v_add_f64 v[56:57], v[56:57], -v[148:149]
	s_delay_alu instid0(VALU_DEP_2) | instskip(SKIP_2) | instid1(VALU_DEP_2)
	v_fma_f64 v[150:151], v[134:135], v[140:141], v[132:133]
	s_waitcnt lgkmcnt(0)
	v_mul_f64 v[132:133], v[144:145], v[86:87]
	v_add_f64 v[58:59], v[58:59], -v[150:151]
	s_delay_alu instid0(VALU_DEP_2) | instskip(SKIP_1) | instid1(VALU_DEP_2)
	v_fma_f64 v[152:153], v[142:143], v[140:141], -v[132:133]
	v_mul_f64 v[132:133], v[142:143], v[86:87]
	v_add_f64 v[48:49], v[48:49], -v[152:153]
	s_delay_alu instid0(VALU_DEP_2)
	v_fma_f64 v[154:155], v[144:145], v[140:141], v[132:133]
	ds_load_2addr_b64 v[132:135], v172 offset0:44 offset1:45
	ds_load_2addr_b64 v[142:145], v172 offset0:46 offset1:47
	s_waitcnt lgkmcnt(1)
	v_mul_f64 v[156:157], v[134:135], v[86:87]
	v_add_f64 v[50:51], v[50:51], -v[154:155]
	s_delay_alu instid0(VALU_DEP_2) | instskip(SKIP_1) | instid1(VALU_DEP_2)
	v_fma_f64 v[156:157], v[132:133], v[140:141], -v[156:157]
	v_mul_f64 v[132:133], v[132:133], v[86:87]
	v_add_f64 v[44:45], v[44:45], -v[156:157]
	s_delay_alu instid0(VALU_DEP_2) | instskip(SKIP_2) | instid1(VALU_DEP_2)
	v_fma_f64 v[158:159], v[134:135], v[140:141], v[132:133]
	s_waitcnt lgkmcnt(0)
	v_mul_f64 v[132:133], v[144:145], v[86:87]
	v_add_f64 v[46:47], v[46:47], -v[158:159]
	s_delay_alu instid0(VALU_DEP_2) | instskip(SKIP_1) | instid1(VALU_DEP_2)
	v_fma_f64 v[160:161], v[142:143], v[140:141], -v[132:133]
	v_mul_f64 v[132:133], v[142:143], v[86:87]
	v_add_f64 v[36:37], v[36:37], -v[160:161]
	s_delay_alu instid0(VALU_DEP_2)
	;; [unrolled: 20-line block ×5, first 2 shown]
	v_fma_f64 v[193:194], v[144:145], v[140:141], v[132:133]
	ds_load_2addr_b64 v[132:135], v172 offset0:60 offset1:61
	ds_load_2addr_b64 v[142:145], v172 offset0:62 offset1:63
	s_waitcnt lgkmcnt(1)
	v_mul_f64 v[195:196], v[134:135], v[86:87]
	v_add_f64 v[14:15], v[14:15], -v[193:194]
	s_delay_alu instid0(VALU_DEP_2) | instskip(SKIP_1) | instid1(VALU_DEP_2)
	v_fma_f64 v[195:196], v[132:133], v[140:141], -v[195:196]
	v_mul_f64 v[132:133], v[132:133], v[86:87]
	v_add_f64 v[8:9], v[8:9], -v[195:196]
	s_delay_alu instid0(VALU_DEP_2) | instskip(SKIP_2) | instid1(VALU_DEP_2)
	v_fma_f64 v[197:198], v[134:135], v[140:141], v[132:133]
	s_waitcnt lgkmcnt(0)
	v_mul_f64 v[132:133], v[144:145], v[86:87]
	v_add_f64 v[10:11], v[10:11], -v[197:198]
	s_delay_alu instid0(VALU_DEP_2) | instskip(SKIP_1) | instid1(VALU_DEP_2)
	v_fma_f64 v[199:200], v[142:143], v[140:141], -v[132:133]
	v_mul_f64 v[132:133], v[142:143], v[86:87]
	v_add_f64 v[243:244], v[243:244], -v[199:200]
	s_delay_alu instid0(VALU_DEP_2) | instskip(SKIP_4) | instid1(VALU_DEP_2)
	v_fma_f64 v[142:143], v[144:145], v[140:141], v[132:133]
	ds_load_2addr_b64 v[132:135], v172 offset0:64 offset1:65
	s_waitcnt lgkmcnt(0)
	v_mul_f64 v[144:145], v[134:135], v[86:87]
	v_add_f64 v[245:246], v[245:246], -v[142:143]
	v_fma_f64 v[144:145], v[132:133], v[140:141], -v[144:145]
	v_mul_f64 v[132:133], v[132:133], v[86:87]
	s_delay_alu instid0(VALU_DEP_2) | instskip(NEXT) | instid1(VALU_DEP_2)
	v_add_f64 v[237:238], v[237:238], -v[144:145]
	v_fma_f64 v[132:133], v[134:135], v[140:141], v[132:133]
	s_delay_alu instid0(VALU_DEP_1)
	v_add_f64 v[239:240], v[239:240], -v[132:133]
.LBB64_293:
	s_or_b32 exec_lo, exec_lo, s2
	v_lshl_add_u32 v40, v174, 4, v172
	s_barrier
	buffer_gl0_inv
	v_mov_b32_e32 v140, 14
	ds_store_2addr_b64 v40, v[80:81], v[82:83] offset1:1
	s_waitcnt lgkmcnt(0)
	s_barrier
	buffer_gl0_inv
	ds_load_2addr_b64 v[132:135], v172 offset0:28 offset1:29
	s_cmp_lt_i32 s5, 16
	s_cbranch_scc1 .LBB64_296
; %bb.294:
	v_add3_u32 v141, v170, 0, 0xf0
	v_mov_b32_e32 v140, 14
	s_mov_b32 s6, 15
	s_set_inst_prefetch_distance 0x1
	.p2align	6
.LBB64_295:                             ; =>This Inner Loop Header: Depth=1
	ds_load_2addr_b64 v[142:145], v141 offset1:1
	s_waitcnt lgkmcnt(1)
	v_cmp_gt_f64_e32 vcc_lo, 0, v[132:133]
	v_xor_b32_e32 v40, 0x80000000, v133
	v_cmp_gt_f64_e64 s2, 0, v[134:135]
	v_xor_b32_e32 v42, 0x80000000, v135
	v_add_nc_u32_e32 v141, 16, v141
	s_waitcnt lgkmcnt(0)
	v_cmp_gt_f64_e64 s3, 0, v[142:143]
	v_mov_b32_e32 v52, v142
	v_dual_mov_b32 v54, v144 :: v_dual_cndmask_b32 v41, v133, v40
	v_xor_b32_e32 v40, 0x80000000, v143
	v_cndmask_b32_e64 v43, v135, v42, s2
	v_xor_b32_e32 v42, 0x80000000, v145
	s_delay_alu instid0(VALU_DEP_3) | instskip(SKIP_2) | instid1(VALU_DEP_2)
	v_cndmask_b32_e64 v53, v143, v40, s3
	v_cmp_gt_f64_e64 s3, 0, v[144:145]
	v_cndmask_b32_e32 v40, v132, v132, vcc_lo
	v_cndmask_b32_e64 v55, v145, v42, s3
	v_cndmask_b32_e64 v42, v134, v134, s2
	s_delay_alu instid0(VALU_DEP_2) | instskip(NEXT) | instid1(VALU_DEP_2)
	v_add_f64 v[52:53], v[52:53], v[54:55]
	v_add_f64 v[40:41], v[40:41], v[42:43]
	s_delay_alu instid0(VALU_DEP_1)
	v_cmp_lt_f64_e32 vcc_lo, v[40:41], v[52:53]
	v_cndmask_b32_e32 v135, v135, v145, vcc_lo
	v_dual_cndmask_b32 v133, v133, v143 :: v_dual_cndmask_b32 v132, v132, v142
	v_cndmask_b32_e32 v134, v134, v144, vcc_lo
	v_cndmask_b32_e64 v140, v140, s6, vcc_lo
	s_add_i32 s6, s6, 1
	s_delay_alu instid0(SALU_CYCLE_1)
	s_cmp_lg_u32 s5, s6
	s_cbranch_scc1 .LBB64_295
.LBB64_296:
	s_set_inst_prefetch_distance 0x2
	s_waitcnt lgkmcnt(0)
	v_cmp_eq_f64_e32 vcc_lo, 0, v[132:133]
	v_cmp_eq_f64_e64 s2, 0, v[134:135]
	s_delay_alu instid0(VALU_DEP_1) | instskip(NEXT) | instid1(SALU_CYCLE_1)
	s_and_b32 s2, vcc_lo, s2
	s_and_saveexec_b32 s3, s2
	s_delay_alu instid0(SALU_CYCLE_1)
	s_xor_b32 s2, exec_lo, s3
; %bb.297:
	v_cmp_ne_u32_e32 vcc_lo, 0, v255
	v_cndmask_b32_e32 v255, 15, v255, vcc_lo
; %bb.298:
	s_and_not1_saveexec_b32 s3, s2
	s_cbranch_execz .LBB64_304
; %bb.299:
	v_cmp_gt_f64_e32 vcc_lo, 0, v[132:133]
	v_cmp_gt_f64_e64 s2, 0, v[134:135]
	v_xor_b32_e32 v40, 0x80000000, v133
	v_xor_b32_e32 v42, 0x80000000, v135
	s_delay_alu instid0(VALU_DEP_2) | instskip(NEXT) | instid1(VALU_DEP_2)
	v_cndmask_b32_e32 v41, v133, v40, vcc_lo
	v_cndmask_b32_e64 v43, v135, v42, s2
	v_cndmask_b32_e32 v40, v132, v132, vcc_lo
	v_cndmask_b32_e64 v42, v134, v134, s2
	s_mov_b32 s2, exec_lo
	s_delay_alu instid0(VALU_DEP_1)
	v_cmpx_ngt_f64_e32 v[40:41], v[42:43]
	s_xor_b32 s2, exec_lo, s2
	s_cbranch_execz .LBB64_301
; %bb.300:
	v_div_scale_f64 v[40:41], null, v[134:135], v[134:135], v[132:133]
	v_div_scale_f64 v[54:55], vcc_lo, v[132:133], v[134:135], v[132:133]
	s_delay_alu instid0(VALU_DEP_2) | instskip(SKIP_2) | instid1(VALU_DEP_1)
	v_rcp_f64_e32 v[42:43], v[40:41]
	s_waitcnt_depctr 0xfff
	v_fma_f64 v[52:53], -v[40:41], v[42:43], 1.0
	v_fma_f64 v[42:43], v[42:43], v[52:53], v[42:43]
	s_delay_alu instid0(VALU_DEP_1) | instskip(NEXT) | instid1(VALU_DEP_1)
	v_fma_f64 v[52:53], -v[40:41], v[42:43], 1.0
	v_fma_f64 v[42:43], v[42:43], v[52:53], v[42:43]
	s_delay_alu instid0(VALU_DEP_1) | instskip(NEXT) | instid1(VALU_DEP_1)
	v_mul_f64 v[52:53], v[54:55], v[42:43]
	v_fma_f64 v[40:41], -v[40:41], v[52:53], v[54:55]
	s_delay_alu instid0(VALU_DEP_1) | instskip(NEXT) | instid1(VALU_DEP_1)
	v_div_fmas_f64 v[40:41], v[40:41], v[42:43], v[52:53]
	v_div_fixup_f64 v[40:41], v[40:41], v[134:135], v[132:133]
	s_delay_alu instid0(VALU_DEP_1) | instskip(NEXT) | instid1(VALU_DEP_1)
	v_fma_f64 v[42:43], v[132:133], v[40:41], v[134:135]
	v_div_scale_f64 v[52:53], null, v[42:43], v[42:43], 1.0
	s_delay_alu instid0(VALU_DEP_1) | instskip(SKIP_2) | instid1(VALU_DEP_1)
	v_rcp_f64_e32 v[54:55], v[52:53]
	s_waitcnt_depctr 0xfff
	v_fma_f64 v[104:105], -v[52:53], v[54:55], 1.0
	v_fma_f64 v[54:55], v[54:55], v[104:105], v[54:55]
	s_delay_alu instid0(VALU_DEP_1) | instskip(NEXT) | instid1(VALU_DEP_1)
	v_fma_f64 v[104:105], -v[52:53], v[54:55], 1.0
	v_fma_f64 v[54:55], v[54:55], v[104:105], v[54:55]
	v_div_scale_f64 v[104:105], vcc_lo, 1.0, v[42:43], 1.0
	s_delay_alu instid0(VALU_DEP_1) | instskip(NEXT) | instid1(VALU_DEP_1)
	v_mul_f64 v[106:107], v[104:105], v[54:55]
	v_fma_f64 v[52:53], -v[52:53], v[106:107], v[104:105]
	s_delay_alu instid0(VALU_DEP_1) | instskip(NEXT) | instid1(VALU_DEP_1)
	v_div_fmas_f64 v[52:53], v[52:53], v[54:55], v[106:107]
	v_div_fixup_f64 v[134:135], v[52:53], v[42:43], 1.0
	s_delay_alu instid0(VALU_DEP_1)
	v_mul_f64 v[132:133], v[40:41], v[134:135]
	v_xor_b32_e32 v135, 0x80000000, v135
.LBB64_301:
	s_and_not1_saveexec_b32 s2, s2
	s_cbranch_execz .LBB64_303
; %bb.302:
	s_delay_alu instid0(VALU_DEP_1) | instskip(SKIP_1) | instid1(VALU_DEP_2)
	v_div_scale_f64 v[40:41], null, v[132:133], v[132:133], v[134:135]
	v_div_scale_f64 v[54:55], vcc_lo, v[134:135], v[132:133], v[134:135]
	v_rcp_f64_e32 v[42:43], v[40:41]
	s_waitcnt_depctr 0xfff
	v_fma_f64 v[52:53], -v[40:41], v[42:43], 1.0
	s_delay_alu instid0(VALU_DEP_1) | instskip(NEXT) | instid1(VALU_DEP_1)
	v_fma_f64 v[42:43], v[42:43], v[52:53], v[42:43]
	v_fma_f64 v[52:53], -v[40:41], v[42:43], 1.0
	s_delay_alu instid0(VALU_DEP_1) | instskip(NEXT) | instid1(VALU_DEP_1)
	v_fma_f64 v[42:43], v[42:43], v[52:53], v[42:43]
	v_mul_f64 v[52:53], v[54:55], v[42:43]
	s_delay_alu instid0(VALU_DEP_1) | instskip(NEXT) | instid1(VALU_DEP_1)
	v_fma_f64 v[40:41], -v[40:41], v[52:53], v[54:55]
	v_div_fmas_f64 v[40:41], v[40:41], v[42:43], v[52:53]
	s_delay_alu instid0(VALU_DEP_1) | instskip(NEXT) | instid1(VALU_DEP_1)
	v_div_fixup_f64 v[40:41], v[40:41], v[132:133], v[134:135]
	v_fma_f64 v[42:43], v[134:135], v[40:41], v[132:133]
	s_delay_alu instid0(VALU_DEP_1) | instskip(NEXT) | instid1(VALU_DEP_1)
	v_div_scale_f64 v[52:53], null, v[42:43], v[42:43], 1.0
	v_rcp_f64_e32 v[54:55], v[52:53]
	s_waitcnt_depctr 0xfff
	v_fma_f64 v[104:105], -v[52:53], v[54:55], 1.0
	s_delay_alu instid0(VALU_DEP_1) | instskip(NEXT) | instid1(VALU_DEP_1)
	v_fma_f64 v[54:55], v[54:55], v[104:105], v[54:55]
	v_fma_f64 v[104:105], -v[52:53], v[54:55], 1.0
	s_delay_alu instid0(VALU_DEP_1) | instskip(SKIP_1) | instid1(VALU_DEP_1)
	v_fma_f64 v[54:55], v[54:55], v[104:105], v[54:55]
	v_div_scale_f64 v[104:105], vcc_lo, 1.0, v[42:43], 1.0
	v_mul_f64 v[106:107], v[104:105], v[54:55]
	s_delay_alu instid0(VALU_DEP_1) | instskip(NEXT) | instid1(VALU_DEP_1)
	v_fma_f64 v[52:53], -v[52:53], v[106:107], v[104:105]
	v_div_fmas_f64 v[52:53], v[52:53], v[54:55], v[106:107]
	s_delay_alu instid0(VALU_DEP_1) | instskip(NEXT) | instid1(VALU_DEP_1)
	v_div_fixup_f64 v[132:133], v[52:53], v[42:43], 1.0
	v_mul_f64 v[134:135], v[40:41], -v[132:133]
.LBB64_303:
	s_or_b32 exec_lo, exec_lo, s2
.LBB64_304:
	s_delay_alu instid0(SALU_CYCLE_1) | instskip(NEXT) | instid1(SALU_CYCLE_1)
	s_or_b32 exec_lo, exec_lo, s3
	s_mov_b32 s2, exec_lo
	v_cmpx_ne_u32_e64 v174, v140
	s_xor_b32 s2, exec_lo, s2
	s_cbranch_execz .LBB64_310
; %bb.305:
	s_mov_b32 s3, exec_lo
	v_cmpx_eq_u32_e32 14, v174
	s_cbranch_execz .LBB64_309
; %bb.306:
	v_cmp_ne_u32_e32 vcc_lo, 14, v140
	s_xor_b32 s6, s4, -1
	s_delay_alu instid0(SALU_CYCLE_1) | instskip(NEXT) | instid1(SALU_CYCLE_1)
	s_and_b32 s7, s6, vcc_lo
	s_and_saveexec_b32 s6, s7
	s_cbranch_execz .LBB64_308
; %bb.307:
	scratch_load_b64 v[0:1], off, off offset:48 ; 8-byte Folded Reload
	v_ashrrev_i32_e32 v141, 31, v140
	s_delay_alu instid0(VALU_DEP_1) | instskip(SKIP_1) | instid1(VALU_DEP_1)
	v_lshlrev_b64 v[40:41], 2, v[140:141]
	s_waitcnt vmcnt(0)
	v_add_co_u32 v40, vcc_lo, v0, v40
	s_delay_alu instid0(VALU_DEP_2)
	v_add_co_ci_u32_e32 v41, vcc_lo, v1, v41, vcc_lo
	s_clause 0x1
	flat_load_b32 v42, v[40:41]
	flat_load_b32 v43, v[0:1] offset:56
	s_waitcnt vmcnt(1) lgkmcnt(1)
	flat_store_b32 v[0:1], v42 offset:56
	s_waitcnt vmcnt(0) lgkmcnt(1)
	flat_store_b32 v[40:41], v43
.LBB64_308:
	s_or_b32 exec_lo, exec_lo, s6
	v_mov_b32_e32 v174, v140
	v_mov_b32_e32 v173, v140
.LBB64_309:
	s_or_b32 exec_lo, exec_lo, s3
.LBB64_310:
	s_and_not1_saveexec_b32 s2, s2
	s_cbranch_execz .LBB64_312
; %bb.311:
	v_mov_b32_e32 v174, 14
	ds_store_2addr_b64 v172, v[76:77], v[78:79] offset0:30 offset1:31
	ds_store_2addr_b64 v172, v[72:73], v[74:75] offset0:32 offset1:33
	;; [unrolled: 1-line block ×18, first 2 shown]
.LBB64_312:
	s_or_b32 exec_lo, exec_lo, s2
	s_delay_alu instid0(SALU_CYCLE_1)
	s_mov_b32 s2, exec_lo
	s_waitcnt lgkmcnt(0)
	s_waitcnt_vscnt null, 0x0
	s_barrier
	buffer_gl0_inv
	v_cmpx_lt_i32_e32 14, v174
	s_cbranch_execz .LBB64_314
; %bb.313:
	v_mul_f64 v[40:41], v[134:135], v[82:83]
	s_delay_alu instid0(VALU_DEP_1) | instskip(SKIP_1) | instid1(VALU_DEP_1)
	v_fma_f64 v[140:141], v[132:133], v[80:81], -v[40:41]
	v_mul_f64 v[40:41], v[132:133], v[82:83]
	v_fma_f64 v[82:83], v[134:135], v[80:81], v[40:41]
	ds_load_2addr_b64 v[132:135], v172 offset0:30 offset1:31
	ds_load_2addr_b64 v[142:145], v172 offset0:32 offset1:33
	s_waitcnt lgkmcnt(1)
	v_mul_f64 v[40:41], v[134:135], v[82:83]
	v_mul_f64 v[42:43], v[132:133], v[82:83]
	s_waitcnt lgkmcnt(0)
	v_mul_f64 v[52:53], v[144:145], v[82:83]
	v_mul_f64 v[54:55], v[142:143], v[82:83]
	s_delay_alu instid0(VALU_DEP_4) | instskip(NEXT) | instid1(VALU_DEP_4)
	v_fma_f64 v[40:41], v[132:133], v[140:141], -v[40:41]
	v_fma_f64 v[42:43], v[134:135], v[140:141], v[42:43]
	s_delay_alu instid0(VALU_DEP_4) | instskip(NEXT) | instid1(VALU_DEP_4)
	v_fma_f64 v[52:53], v[142:143], v[140:141], -v[52:53]
	v_fma_f64 v[54:55], v[144:145], v[140:141], v[54:55]
	ds_load_2addr_b64 v[132:135], v172 offset0:34 offset1:35
	ds_load_2addr_b64 v[142:145], v172 offset0:36 offset1:37
	s_waitcnt lgkmcnt(1)
	v_mul_f64 v[80:81], v[134:135], v[82:83]
	v_mul_f64 v[104:105], v[132:133], v[82:83]
	s_waitcnt lgkmcnt(0)
	v_mul_f64 v[106:107], v[144:145], v[82:83]
	v_mul_f64 v[128:129], v[142:143], v[82:83]
	v_add_f64 v[76:77], v[76:77], -v[40:41]
	v_add_f64 v[78:79], v[78:79], -v[42:43]
	;; [unrolled: 1-line block ×4, first 2 shown]
	v_fma_f64 v[80:81], v[132:133], v[140:141], -v[80:81]
	v_fma_f64 v[104:105], v[134:135], v[140:141], v[104:105]
	v_fma_f64 v[106:107], v[142:143], v[140:141], -v[106:107]
	v_fma_f64 v[128:129], v[144:145], v[140:141], v[128:129]
	ds_load_2addr_b64 v[132:135], v172 offset0:38 offset1:39
	ds_load_2addr_b64 v[142:145], v172 offset0:40 offset1:41
	s_waitcnt lgkmcnt(1)
	v_mul_f64 v[130:131], v[134:135], v[82:83]
	v_add_f64 v[68:69], v[68:69], -v[80:81]
	v_add_f64 v[70:71], v[70:71], -v[104:105]
	;; [unrolled: 1-line block ×4, first 2 shown]
	v_dual_mov_b32 v80, v140 :: v_dual_mov_b32 v81, v141
	v_fma_f64 v[130:131], v[132:133], v[140:141], -v[130:131]
	v_mul_f64 v[132:133], v[132:133], v[82:83]
	s_delay_alu instid0(VALU_DEP_2) | instskip(NEXT) | instid1(VALU_DEP_2)
	v_add_f64 v[60:61], v[60:61], -v[130:131]
	v_fma_f64 v[136:137], v[134:135], v[140:141], v[132:133]
	s_waitcnt lgkmcnt(0)
	v_mul_f64 v[132:133], v[144:145], v[82:83]
	s_delay_alu instid0(VALU_DEP_2) | instskip(NEXT) | instid1(VALU_DEP_2)
	v_add_f64 v[62:63], v[62:63], -v[136:137]
	v_fma_f64 v[138:139], v[142:143], v[140:141], -v[132:133]
	v_mul_f64 v[132:133], v[142:143], v[82:83]
	s_delay_alu instid0(VALU_DEP_2) | instskip(NEXT) | instid1(VALU_DEP_2)
	v_add_f64 v[56:57], v[56:57], -v[138:139]
	v_fma_f64 v[146:147], v[144:145], v[140:141], v[132:133]
	ds_load_2addr_b64 v[132:135], v172 offset0:42 offset1:43
	ds_load_2addr_b64 v[142:145], v172 offset0:44 offset1:45
	s_waitcnt lgkmcnt(1)
	v_mul_f64 v[148:149], v[134:135], v[82:83]
	v_add_f64 v[58:59], v[58:59], -v[146:147]
	s_delay_alu instid0(VALU_DEP_2) | instskip(SKIP_1) | instid1(VALU_DEP_2)
	v_fma_f64 v[148:149], v[132:133], v[140:141], -v[148:149]
	v_mul_f64 v[132:133], v[132:133], v[82:83]
	v_add_f64 v[48:49], v[48:49], -v[148:149]
	s_delay_alu instid0(VALU_DEP_2) | instskip(SKIP_2) | instid1(VALU_DEP_2)
	v_fma_f64 v[150:151], v[134:135], v[140:141], v[132:133]
	s_waitcnt lgkmcnt(0)
	v_mul_f64 v[132:133], v[144:145], v[82:83]
	v_add_f64 v[50:51], v[50:51], -v[150:151]
	s_delay_alu instid0(VALU_DEP_2) | instskip(SKIP_1) | instid1(VALU_DEP_2)
	v_fma_f64 v[152:153], v[142:143], v[140:141], -v[132:133]
	v_mul_f64 v[132:133], v[142:143], v[82:83]
	v_add_f64 v[44:45], v[44:45], -v[152:153]
	s_delay_alu instid0(VALU_DEP_2)
	v_fma_f64 v[154:155], v[144:145], v[140:141], v[132:133]
	ds_load_2addr_b64 v[132:135], v172 offset0:46 offset1:47
	ds_load_2addr_b64 v[142:145], v172 offset0:48 offset1:49
	s_waitcnt lgkmcnt(1)
	v_mul_f64 v[156:157], v[134:135], v[82:83]
	v_add_f64 v[46:47], v[46:47], -v[154:155]
	s_delay_alu instid0(VALU_DEP_2) | instskip(SKIP_1) | instid1(VALU_DEP_2)
	v_fma_f64 v[156:157], v[132:133], v[140:141], -v[156:157]
	v_mul_f64 v[132:133], v[132:133], v[82:83]
	v_add_f64 v[36:37], v[36:37], -v[156:157]
	s_delay_alu instid0(VALU_DEP_2) | instskip(SKIP_2) | instid1(VALU_DEP_2)
	v_fma_f64 v[158:159], v[134:135], v[140:141], v[132:133]
	s_waitcnt lgkmcnt(0)
	v_mul_f64 v[132:133], v[144:145], v[82:83]
	v_add_f64 v[38:39], v[38:39], -v[158:159]
	s_delay_alu instid0(VALU_DEP_2) | instskip(SKIP_1) | instid1(VALU_DEP_2)
	v_fma_f64 v[160:161], v[142:143], v[140:141], -v[132:133]
	v_mul_f64 v[132:133], v[142:143], v[82:83]
	v_add_f64 v[32:33], v[32:33], -v[160:161]
	s_delay_alu instid0(VALU_DEP_2)
	;; [unrolled: 20-line block ×5, first 2 shown]
	v_fma_f64 v[193:194], v[144:145], v[140:141], v[132:133]
	ds_load_2addr_b64 v[132:135], v172 offset0:62 offset1:63
	ds_load_2addr_b64 v[142:145], v172 offset0:64 offset1:65
	s_waitcnt lgkmcnt(1)
	v_mul_f64 v[195:196], v[134:135], v[82:83]
	v_add_f64 v[10:11], v[10:11], -v[193:194]
	s_delay_alu instid0(VALU_DEP_2) | instskip(SKIP_1) | instid1(VALU_DEP_2)
	v_fma_f64 v[195:196], v[132:133], v[140:141], -v[195:196]
	v_mul_f64 v[132:133], v[132:133], v[82:83]
	v_add_f64 v[243:244], v[243:244], -v[195:196]
	s_delay_alu instid0(VALU_DEP_2) | instskip(SKIP_2) | instid1(VALU_DEP_2)
	v_fma_f64 v[132:133], v[134:135], v[140:141], v[132:133]
	s_waitcnt lgkmcnt(0)
	v_mul_f64 v[134:135], v[144:145], v[82:83]
	v_add_f64 v[245:246], v[245:246], -v[132:133]
	s_delay_alu instid0(VALU_DEP_2) | instskip(SKIP_1) | instid1(VALU_DEP_2)
	v_fma_f64 v[134:135], v[142:143], v[140:141], -v[134:135]
	v_mul_f64 v[142:143], v[142:143], v[82:83]
	v_add_f64 v[237:238], v[237:238], -v[134:135]
	s_delay_alu instid0(VALU_DEP_2) | instskip(NEXT) | instid1(VALU_DEP_1)
	v_fma_f64 v[142:143], v[144:145], v[140:141], v[142:143]
	v_add_f64 v[239:240], v[239:240], -v[142:143]
.LBB64_314:
	s_or_b32 exec_lo, exec_lo, s2
	v_lshl_add_u32 v40, v174, 4, v172
	s_barrier
	buffer_gl0_inv
	v_mov_b32_e32 v140, 15
	ds_store_2addr_b64 v40, v[76:77], v[78:79] offset1:1
	s_waitcnt lgkmcnt(0)
	s_barrier
	buffer_gl0_inv
	ds_load_2addr_b64 v[132:135], v172 offset0:30 offset1:31
	s_cmp_lt_i32 s5, 17
	s_cbranch_scc1 .LBB64_317
; %bb.315:
	v_add3_u32 v141, v170, 0, 0x100
	v_mov_b32_e32 v140, 15
	s_mov_b32 s6, 16
	s_set_inst_prefetch_distance 0x1
	.p2align	6
.LBB64_316:                             ; =>This Inner Loop Header: Depth=1
	ds_load_2addr_b64 v[142:145], v141 offset1:1
	s_waitcnt lgkmcnt(1)
	v_cmp_gt_f64_e32 vcc_lo, 0, v[132:133]
	v_xor_b32_e32 v40, 0x80000000, v133
	v_cmp_gt_f64_e64 s2, 0, v[134:135]
	v_xor_b32_e32 v42, 0x80000000, v135
	v_add_nc_u32_e32 v141, 16, v141
	s_waitcnt lgkmcnt(0)
	v_cmp_gt_f64_e64 s3, 0, v[142:143]
	v_mov_b32_e32 v52, v142
	v_dual_mov_b32 v54, v144 :: v_dual_cndmask_b32 v41, v133, v40
	v_xor_b32_e32 v40, 0x80000000, v143
	v_cndmask_b32_e64 v43, v135, v42, s2
	v_xor_b32_e32 v42, 0x80000000, v145
	s_delay_alu instid0(VALU_DEP_3) | instskip(SKIP_2) | instid1(VALU_DEP_2)
	v_cndmask_b32_e64 v53, v143, v40, s3
	v_cmp_gt_f64_e64 s3, 0, v[144:145]
	v_cndmask_b32_e32 v40, v132, v132, vcc_lo
	v_cndmask_b32_e64 v55, v145, v42, s3
	v_cndmask_b32_e64 v42, v134, v134, s2
	s_delay_alu instid0(VALU_DEP_2) | instskip(NEXT) | instid1(VALU_DEP_2)
	v_add_f64 v[52:53], v[52:53], v[54:55]
	v_add_f64 v[40:41], v[40:41], v[42:43]
	s_delay_alu instid0(VALU_DEP_1)
	v_cmp_lt_f64_e32 vcc_lo, v[40:41], v[52:53]
	v_cndmask_b32_e32 v135, v135, v145, vcc_lo
	v_dual_cndmask_b32 v133, v133, v143 :: v_dual_cndmask_b32 v132, v132, v142
	v_cndmask_b32_e32 v134, v134, v144, vcc_lo
	v_cndmask_b32_e64 v140, v140, s6, vcc_lo
	s_add_i32 s6, s6, 1
	s_delay_alu instid0(SALU_CYCLE_1)
	s_cmp_lg_u32 s5, s6
	s_cbranch_scc1 .LBB64_316
.LBB64_317:
	s_set_inst_prefetch_distance 0x2
	s_waitcnt lgkmcnt(0)
	v_cmp_eq_f64_e32 vcc_lo, 0, v[132:133]
	v_cmp_eq_f64_e64 s2, 0, v[134:135]
	s_delay_alu instid0(VALU_DEP_1) | instskip(NEXT) | instid1(SALU_CYCLE_1)
	s_and_b32 s2, vcc_lo, s2
	s_and_saveexec_b32 s3, s2
	s_delay_alu instid0(SALU_CYCLE_1)
	s_xor_b32 s2, exec_lo, s3
; %bb.318:
	v_cmp_ne_u32_e32 vcc_lo, 0, v255
	v_cndmask_b32_e32 v255, 16, v255, vcc_lo
; %bb.319:
	s_and_not1_saveexec_b32 s3, s2
	s_cbranch_execz .LBB64_325
; %bb.320:
	v_cmp_gt_f64_e32 vcc_lo, 0, v[132:133]
	v_cmp_gt_f64_e64 s2, 0, v[134:135]
	v_xor_b32_e32 v40, 0x80000000, v133
	v_xor_b32_e32 v42, 0x80000000, v135
	s_delay_alu instid0(VALU_DEP_2) | instskip(NEXT) | instid1(VALU_DEP_2)
	v_cndmask_b32_e32 v41, v133, v40, vcc_lo
	v_cndmask_b32_e64 v43, v135, v42, s2
	v_cndmask_b32_e32 v40, v132, v132, vcc_lo
	v_cndmask_b32_e64 v42, v134, v134, s2
	s_mov_b32 s2, exec_lo
	s_delay_alu instid0(VALU_DEP_1)
	v_cmpx_ngt_f64_e32 v[40:41], v[42:43]
	s_xor_b32 s2, exec_lo, s2
	s_cbranch_execz .LBB64_322
; %bb.321:
	v_div_scale_f64 v[40:41], null, v[134:135], v[134:135], v[132:133]
	v_div_scale_f64 v[54:55], vcc_lo, v[132:133], v[134:135], v[132:133]
	s_delay_alu instid0(VALU_DEP_2) | instskip(SKIP_2) | instid1(VALU_DEP_1)
	v_rcp_f64_e32 v[42:43], v[40:41]
	s_waitcnt_depctr 0xfff
	v_fma_f64 v[52:53], -v[40:41], v[42:43], 1.0
	v_fma_f64 v[42:43], v[42:43], v[52:53], v[42:43]
	s_delay_alu instid0(VALU_DEP_1) | instskip(NEXT) | instid1(VALU_DEP_1)
	v_fma_f64 v[52:53], -v[40:41], v[42:43], 1.0
	v_fma_f64 v[42:43], v[42:43], v[52:53], v[42:43]
	s_delay_alu instid0(VALU_DEP_1) | instskip(NEXT) | instid1(VALU_DEP_1)
	v_mul_f64 v[52:53], v[54:55], v[42:43]
	v_fma_f64 v[40:41], -v[40:41], v[52:53], v[54:55]
	s_delay_alu instid0(VALU_DEP_1) | instskip(NEXT) | instid1(VALU_DEP_1)
	v_div_fmas_f64 v[40:41], v[40:41], v[42:43], v[52:53]
	v_div_fixup_f64 v[40:41], v[40:41], v[134:135], v[132:133]
	s_delay_alu instid0(VALU_DEP_1) | instskip(NEXT) | instid1(VALU_DEP_1)
	v_fma_f64 v[42:43], v[132:133], v[40:41], v[134:135]
	v_div_scale_f64 v[52:53], null, v[42:43], v[42:43], 1.0
	s_delay_alu instid0(VALU_DEP_1) | instskip(SKIP_2) | instid1(VALU_DEP_1)
	v_rcp_f64_e32 v[54:55], v[52:53]
	s_waitcnt_depctr 0xfff
	v_fma_f64 v[104:105], -v[52:53], v[54:55], 1.0
	v_fma_f64 v[54:55], v[54:55], v[104:105], v[54:55]
	s_delay_alu instid0(VALU_DEP_1) | instskip(NEXT) | instid1(VALU_DEP_1)
	v_fma_f64 v[104:105], -v[52:53], v[54:55], 1.0
	v_fma_f64 v[54:55], v[54:55], v[104:105], v[54:55]
	v_div_scale_f64 v[104:105], vcc_lo, 1.0, v[42:43], 1.0
	s_delay_alu instid0(VALU_DEP_1) | instskip(NEXT) | instid1(VALU_DEP_1)
	v_mul_f64 v[106:107], v[104:105], v[54:55]
	v_fma_f64 v[52:53], -v[52:53], v[106:107], v[104:105]
	s_delay_alu instid0(VALU_DEP_1) | instskip(NEXT) | instid1(VALU_DEP_1)
	v_div_fmas_f64 v[52:53], v[52:53], v[54:55], v[106:107]
	v_div_fixup_f64 v[134:135], v[52:53], v[42:43], 1.0
	s_delay_alu instid0(VALU_DEP_1)
	v_mul_f64 v[132:133], v[40:41], v[134:135]
	v_xor_b32_e32 v135, 0x80000000, v135
.LBB64_322:
	s_and_not1_saveexec_b32 s2, s2
	s_cbranch_execz .LBB64_324
; %bb.323:
	s_delay_alu instid0(VALU_DEP_1) | instskip(SKIP_1) | instid1(VALU_DEP_2)
	v_div_scale_f64 v[40:41], null, v[132:133], v[132:133], v[134:135]
	v_div_scale_f64 v[54:55], vcc_lo, v[134:135], v[132:133], v[134:135]
	v_rcp_f64_e32 v[42:43], v[40:41]
	s_waitcnt_depctr 0xfff
	v_fma_f64 v[52:53], -v[40:41], v[42:43], 1.0
	s_delay_alu instid0(VALU_DEP_1) | instskip(NEXT) | instid1(VALU_DEP_1)
	v_fma_f64 v[42:43], v[42:43], v[52:53], v[42:43]
	v_fma_f64 v[52:53], -v[40:41], v[42:43], 1.0
	s_delay_alu instid0(VALU_DEP_1) | instskip(NEXT) | instid1(VALU_DEP_1)
	v_fma_f64 v[42:43], v[42:43], v[52:53], v[42:43]
	v_mul_f64 v[52:53], v[54:55], v[42:43]
	s_delay_alu instid0(VALU_DEP_1) | instskip(NEXT) | instid1(VALU_DEP_1)
	v_fma_f64 v[40:41], -v[40:41], v[52:53], v[54:55]
	v_div_fmas_f64 v[40:41], v[40:41], v[42:43], v[52:53]
	s_delay_alu instid0(VALU_DEP_1) | instskip(NEXT) | instid1(VALU_DEP_1)
	v_div_fixup_f64 v[40:41], v[40:41], v[132:133], v[134:135]
	v_fma_f64 v[42:43], v[134:135], v[40:41], v[132:133]
	s_delay_alu instid0(VALU_DEP_1) | instskip(NEXT) | instid1(VALU_DEP_1)
	v_div_scale_f64 v[52:53], null, v[42:43], v[42:43], 1.0
	v_rcp_f64_e32 v[54:55], v[52:53]
	s_waitcnt_depctr 0xfff
	v_fma_f64 v[104:105], -v[52:53], v[54:55], 1.0
	s_delay_alu instid0(VALU_DEP_1) | instskip(NEXT) | instid1(VALU_DEP_1)
	v_fma_f64 v[54:55], v[54:55], v[104:105], v[54:55]
	v_fma_f64 v[104:105], -v[52:53], v[54:55], 1.0
	s_delay_alu instid0(VALU_DEP_1) | instskip(SKIP_1) | instid1(VALU_DEP_1)
	v_fma_f64 v[54:55], v[54:55], v[104:105], v[54:55]
	v_div_scale_f64 v[104:105], vcc_lo, 1.0, v[42:43], 1.0
	v_mul_f64 v[106:107], v[104:105], v[54:55]
	s_delay_alu instid0(VALU_DEP_1) | instskip(NEXT) | instid1(VALU_DEP_1)
	v_fma_f64 v[52:53], -v[52:53], v[106:107], v[104:105]
	v_div_fmas_f64 v[52:53], v[52:53], v[54:55], v[106:107]
	s_delay_alu instid0(VALU_DEP_1) | instskip(NEXT) | instid1(VALU_DEP_1)
	v_div_fixup_f64 v[132:133], v[52:53], v[42:43], 1.0
	v_mul_f64 v[134:135], v[40:41], -v[132:133]
.LBB64_324:
	s_or_b32 exec_lo, exec_lo, s2
.LBB64_325:
	s_delay_alu instid0(SALU_CYCLE_1) | instskip(NEXT) | instid1(SALU_CYCLE_1)
	s_or_b32 exec_lo, exec_lo, s3
	s_mov_b32 s2, exec_lo
	v_cmpx_ne_u32_e64 v174, v140
	s_xor_b32 s2, exec_lo, s2
	s_cbranch_execz .LBB64_331
; %bb.326:
	s_mov_b32 s3, exec_lo
	v_cmpx_eq_u32_e32 15, v174
	s_cbranch_execz .LBB64_330
; %bb.327:
	v_cmp_ne_u32_e32 vcc_lo, 15, v140
	s_xor_b32 s6, s4, -1
	s_delay_alu instid0(SALU_CYCLE_1) | instskip(NEXT) | instid1(SALU_CYCLE_1)
	s_and_b32 s7, s6, vcc_lo
	s_and_saveexec_b32 s6, s7
	s_cbranch_execz .LBB64_329
; %bb.328:
	scratch_load_b64 v[0:1], off, off offset:48 ; 8-byte Folded Reload
	v_ashrrev_i32_e32 v141, 31, v140
	s_delay_alu instid0(VALU_DEP_1) | instskip(SKIP_1) | instid1(VALU_DEP_1)
	v_lshlrev_b64 v[40:41], 2, v[140:141]
	s_waitcnt vmcnt(0)
	v_add_co_u32 v40, vcc_lo, v0, v40
	s_delay_alu instid0(VALU_DEP_2)
	v_add_co_ci_u32_e32 v41, vcc_lo, v1, v41, vcc_lo
	s_clause 0x1
	flat_load_b32 v42, v[40:41]
	flat_load_b32 v43, v[0:1] offset:60
	s_waitcnt vmcnt(1) lgkmcnt(1)
	flat_store_b32 v[0:1], v42 offset:60
	s_waitcnt vmcnt(0) lgkmcnt(1)
	flat_store_b32 v[40:41], v43
.LBB64_329:
	s_or_b32 exec_lo, exec_lo, s6
	v_mov_b32_e32 v174, v140
	v_mov_b32_e32 v173, v140
.LBB64_330:
	s_or_b32 exec_lo, exec_lo, s3
.LBB64_331:
	s_and_not1_saveexec_b32 s2, s2
	s_cbranch_execz .LBB64_333
; %bb.332:
	v_mov_b32_e32 v174, 15
	ds_store_2addr_b64 v172, v[72:73], v[74:75] offset0:32 offset1:33
	ds_store_2addr_b64 v172, v[68:69], v[70:71] offset0:34 offset1:35
	;; [unrolled: 1-line block ×17, first 2 shown]
.LBB64_333:
	s_or_b32 exec_lo, exec_lo, s2
	s_delay_alu instid0(SALU_CYCLE_1)
	s_mov_b32 s2, exec_lo
	s_waitcnt lgkmcnt(0)
	s_waitcnt_vscnt null, 0x0
	s_barrier
	buffer_gl0_inv
	v_cmpx_lt_i32_e32 15, v174
	s_cbranch_execz .LBB64_335
; %bb.334:
	v_mul_f64 v[40:41], v[134:135], v[78:79]
	s_delay_alu instid0(VALU_DEP_1) | instskip(SKIP_1) | instid1(VALU_DEP_1)
	v_fma_f64 v[140:141], v[132:133], v[76:77], -v[40:41]
	v_mul_f64 v[40:41], v[132:133], v[78:79]
	v_fma_f64 v[78:79], v[134:135], v[76:77], v[40:41]
	ds_load_2addr_b64 v[132:135], v172 offset0:32 offset1:33
	ds_load_2addr_b64 v[142:145], v172 offset0:34 offset1:35
	s_waitcnt lgkmcnt(1)
	v_mul_f64 v[40:41], v[134:135], v[78:79]
	v_mul_f64 v[42:43], v[132:133], v[78:79]
	s_waitcnt lgkmcnt(0)
	v_mul_f64 v[52:53], v[144:145], v[78:79]
	v_mul_f64 v[54:55], v[142:143], v[78:79]
	s_delay_alu instid0(VALU_DEP_4) | instskip(NEXT) | instid1(VALU_DEP_4)
	v_fma_f64 v[40:41], v[132:133], v[140:141], -v[40:41]
	v_fma_f64 v[42:43], v[134:135], v[140:141], v[42:43]
	s_delay_alu instid0(VALU_DEP_4) | instskip(NEXT) | instid1(VALU_DEP_4)
	v_fma_f64 v[52:53], v[142:143], v[140:141], -v[52:53]
	v_fma_f64 v[54:55], v[144:145], v[140:141], v[54:55]
	ds_load_2addr_b64 v[132:135], v172 offset0:36 offset1:37
	ds_load_2addr_b64 v[142:145], v172 offset0:38 offset1:39
	s_waitcnt lgkmcnt(1)
	v_mul_f64 v[76:77], v[134:135], v[78:79]
	v_mul_f64 v[104:105], v[132:133], v[78:79]
	s_waitcnt lgkmcnt(0)
	v_mul_f64 v[106:107], v[144:145], v[78:79]
	v_mul_f64 v[128:129], v[142:143], v[78:79]
	v_add_f64 v[72:73], v[72:73], -v[40:41]
	v_add_f64 v[74:75], v[74:75], -v[42:43]
	;; [unrolled: 1-line block ×4, first 2 shown]
	v_fma_f64 v[76:77], v[132:133], v[140:141], -v[76:77]
	v_fma_f64 v[104:105], v[134:135], v[140:141], v[104:105]
	v_fma_f64 v[106:107], v[142:143], v[140:141], -v[106:107]
	v_fma_f64 v[128:129], v[144:145], v[140:141], v[128:129]
	ds_load_2addr_b64 v[132:135], v172 offset0:40 offset1:41
	ds_load_2addr_b64 v[142:145], v172 offset0:42 offset1:43
	s_waitcnt lgkmcnt(1)
	v_mul_f64 v[130:131], v[134:135], v[78:79]
	v_add_f64 v[64:65], v[64:65], -v[76:77]
	v_add_f64 v[66:67], v[66:67], -v[104:105]
	v_add_f64 v[60:61], v[60:61], -v[106:107]
	v_add_f64 v[62:63], v[62:63], -v[128:129]
	v_dual_mov_b32 v76, v140 :: v_dual_mov_b32 v77, v141
	v_fma_f64 v[130:131], v[132:133], v[140:141], -v[130:131]
	v_mul_f64 v[132:133], v[132:133], v[78:79]
	s_delay_alu instid0(VALU_DEP_2) | instskip(NEXT) | instid1(VALU_DEP_2)
	v_add_f64 v[56:57], v[56:57], -v[130:131]
	v_fma_f64 v[136:137], v[134:135], v[140:141], v[132:133]
	s_waitcnt lgkmcnt(0)
	v_mul_f64 v[132:133], v[144:145], v[78:79]
	s_delay_alu instid0(VALU_DEP_2) | instskip(NEXT) | instid1(VALU_DEP_2)
	v_add_f64 v[58:59], v[58:59], -v[136:137]
	v_fma_f64 v[138:139], v[142:143], v[140:141], -v[132:133]
	v_mul_f64 v[132:133], v[142:143], v[78:79]
	s_delay_alu instid0(VALU_DEP_2) | instskip(NEXT) | instid1(VALU_DEP_2)
	v_add_f64 v[48:49], v[48:49], -v[138:139]
	v_fma_f64 v[146:147], v[144:145], v[140:141], v[132:133]
	ds_load_2addr_b64 v[132:135], v172 offset0:44 offset1:45
	ds_load_2addr_b64 v[142:145], v172 offset0:46 offset1:47
	s_waitcnt lgkmcnt(1)
	v_mul_f64 v[148:149], v[134:135], v[78:79]
	v_add_f64 v[50:51], v[50:51], -v[146:147]
	s_delay_alu instid0(VALU_DEP_2) | instskip(SKIP_1) | instid1(VALU_DEP_2)
	v_fma_f64 v[148:149], v[132:133], v[140:141], -v[148:149]
	v_mul_f64 v[132:133], v[132:133], v[78:79]
	v_add_f64 v[44:45], v[44:45], -v[148:149]
	s_delay_alu instid0(VALU_DEP_2) | instskip(SKIP_2) | instid1(VALU_DEP_2)
	v_fma_f64 v[150:151], v[134:135], v[140:141], v[132:133]
	s_waitcnt lgkmcnt(0)
	v_mul_f64 v[132:133], v[144:145], v[78:79]
	v_add_f64 v[46:47], v[46:47], -v[150:151]
	s_delay_alu instid0(VALU_DEP_2) | instskip(SKIP_1) | instid1(VALU_DEP_2)
	v_fma_f64 v[152:153], v[142:143], v[140:141], -v[132:133]
	v_mul_f64 v[132:133], v[142:143], v[78:79]
	v_add_f64 v[36:37], v[36:37], -v[152:153]
	s_delay_alu instid0(VALU_DEP_2)
	v_fma_f64 v[154:155], v[144:145], v[140:141], v[132:133]
	ds_load_2addr_b64 v[132:135], v172 offset0:48 offset1:49
	ds_load_2addr_b64 v[142:145], v172 offset0:50 offset1:51
	s_waitcnt lgkmcnt(1)
	v_mul_f64 v[156:157], v[134:135], v[78:79]
	v_add_f64 v[38:39], v[38:39], -v[154:155]
	s_delay_alu instid0(VALU_DEP_2) | instskip(SKIP_1) | instid1(VALU_DEP_2)
	v_fma_f64 v[156:157], v[132:133], v[140:141], -v[156:157]
	v_mul_f64 v[132:133], v[132:133], v[78:79]
	v_add_f64 v[32:33], v[32:33], -v[156:157]
	s_delay_alu instid0(VALU_DEP_2) | instskip(SKIP_2) | instid1(VALU_DEP_2)
	v_fma_f64 v[158:159], v[134:135], v[140:141], v[132:133]
	s_waitcnt lgkmcnt(0)
	v_mul_f64 v[132:133], v[144:145], v[78:79]
	v_add_f64 v[34:35], v[34:35], -v[158:159]
	s_delay_alu instid0(VALU_DEP_2) | instskip(SKIP_1) | instid1(VALU_DEP_2)
	v_fma_f64 v[160:161], v[142:143], v[140:141], -v[132:133]
	v_mul_f64 v[132:133], v[142:143], v[78:79]
	v_add_f64 v[28:29], v[28:29], -v[160:161]
	s_delay_alu instid0(VALU_DEP_2)
	;; [unrolled: 20-line block ×4, first 2 shown]
	v_fma_f64 v[185:186], v[144:145], v[140:141], v[132:133]
	ds_load_2addr_b64 v[132:135], v172 offset0:60 offset1:61
	ds_load_2addr_b64 v[142:145], v172 offset0:62 offset1:63
	s_waitcnt lgkmcnt(1)
	v_mul_f64 v[187:188], v[134:135], v[78:79]
	v_add_f64 v[14:15], v[14:15], -v[185:186]
	s_delay_alu instid0(VALU_DEP_2) | instskip(SKIP_1) | instid1(VALU_DEP_2)
	v_fma_f64 v[187:188], v[132:133], v[140:141], -v[187:188]
	v_mul_f64 v[132:133], v[132:133], v[78:79]
	v_add_f64 v[8:9], v[8:9], -v[187:188]
	s_delay_alu instid0(VALU_DEP_2) | instskip(SKIP_2) | instid1(VALU_DEP_2)
	v_fma_f64 v[189:190], v[134:135], v[140:141], v[132:133]
	s_waitcnt lgkmcnt(0)
	v_mul_f64 v[132:133], v[144:145], v[78:79]
	v_add_f64 v[10:11], v[10:11], -v[189:190]
	s_delay_alu instid0(VALU_DEP_2) | instskip(SKIP_1) | instid1(VALU_DEP_2)
	v_fma_f64 v[191:192], v[142:143], v[140:141], -v[132:133]
	v_mul_f64 v[132:133], v[142:143], v[78:79]
	v_add_f64 v[243:244], v[243:244], -v[191:192]
	s_delay_alu instid0(VALU_DEP_2) | instskip(SKIP_4) | instid1(VALU_DEP_2)
	v_fma_f64 v[142:143], v[144:145], v[140:141], v[132:133]
	ds_load_2addr_b64 v[132:135], v172 offset0:64 offset1:65
	s_waitcnt lgkmcnt(0)
	v_mul_f64 v[144:145], v[134:135], v[78:79]
	v_add_f64 v[245:246], v[245:246], -v[142:143]
	v_fma_f64 v[144:145], v[132:133], v[140:141], -v[144:145]
	v_mul_f64 v[132:133], v[132:133], v[78:79]
	s_delay_alu instid0(VALU_DEP_2) | instskip(NEXT) | instid1(VALU_DEP_2)
	v_add_f64 v[237:238], v[237:238], -v[144:145]
	v_fma_f64 v[132:133], v[134:135], v[140:141], v[132:133]
	s_delay_alu instid0(VALU_DEP_1)
	v_add_f64 v[239:240], v[239:240], -v[132:133]
.LBB64_335:
	s_or_b32 exec_lo, exec_lo, s2
	v_lshl_add_u32 v40, v174, 4, v172
	s_barrier
	buffer_gl0_inv
	v_mov_b32_e32 v140, 16
	ds_store_2addr_b64 v40, v[72:73], v[74:75] offset1:1
	s_waitcnt lgkmcnt(0)
	s_barrier
	buffer_gl0_inv
	ds_load_2addr_b64 v[132:135], v172 offset0:32 offset1:33
	s_cmp_lt_i32 s5, 18
	s_cbranch_scc1 .LBB64_338
; %bb.336:
	v_add3_u32 v141, v170, 0, 0x110
	v_mov_b32_e32 v140, 16
	s_mov_b32 s6, 17
	s_set_inst_prefetch_distance 0x1
	.p2align	6
.LBB64_337:                             ; =>This Inner Loop Header: Depth=1
	ds_load_2addr_b64 v[142:145], v141 offset1:1
	s_waitcnt lgkmcnt(1)
	v_cmp_gt_f64_e32 vcc_lo, 0, v[132:133]
	v_xor_b32_e32 v40, 0x80000000, v133
	v_cmp_gt_f64_e64 s2, 0, v[134:135]
	v_xor_b32_e32 v42, 0x80000000, v135
	v_add_nc_u32_e32 v141, 16, v141
	s_waitcnt lgkmcnt(0)
	v_cmp_gt_f64_e64 s3, 0, v[142:143]
	v_mov_b32_e32 v52, v142
	v_dual_mov_b32 v54, v144 :: v_dual_cndmask_b32 v41, v133, v40
	v_xor_b32_e32 v40, 0x80000000, v143
	v_cndmask_b32_e64 v43, v135, v42, s2
	v_xor_b32_e32 v42, 0x80000000, v145
	s_delay_alu instid0(VALU_DEP_3) | instskip(SKIP_2) | instid1(VALU_DEP_2)
	v_cndmask_b32_e64 v53, v143, v40, s3
	v_cmp_gt_f64_e64 s3, 0, v[144:145]
	v_cndmask_b32_e32 v40, v132, v132, vcc_lo
	v_cndmask_b32_e64 v55, v145, v42, s3
	v_cndmask_b32_e64 v42, v134, v134, s2
	s_delay_alu instid0(VALU_DEP_2) | instskip(NEXT) | instid1(VALU_DEP_2)
	v_add_f64 v[52:53], v[52:53], v[54:55]
	v_add_f64 v[40:41], v[40:41], v[42:43]
	s_delay_alu instid0(VALU_DEP_1)
	v_cmp_lt_f64_e32 vcc_lo, v[40:41], v[52:53]
	v_cndmask_b32_e32 v135, v135, v145, vcc_lo
	v_dual_cndmask_b32 v133, v133, v143 :: v_dual_cndmask_b32 v132, v132, v142
	v_cndmask_b32_e32 v134, v134, v144, vcc_lo
	v_cndmask_b32_e64 v140, v140, s6, vcc_lo
	s_add_i32 s6, s6, 1
	s_delay_alu instid0(SALU_CYCLE_1)
	s_cmp_lg_u32 s5, s6
	s_cbranch_scc1 .LBB64_337
.LBB64_338:
	s_set_inst_prefetch_distance 0x2
	s_waitcnt lgkmcnt(0)
	v_cmp_eq_f64_e32 vcc_lo, 0, v[132:133]
	v_cmp_eq_f64_e64 s2, 0, v[134:135]
	s_delay_alu instid0(VALU_DEP_1) | instskip(NEXT) | instid1(SALU_CYCLE_1)
	s_and_b32 s2, vcc_lo, s2
	s_and_saveexec_b32 s3, s2
	s_delay_alu instid0(SALU_CYCLE_1)
	s_xor_b32 s2, exec_lo, s3
; %bb.339:
	v_cmp_ne_u32_e32 vcc_lo, 0, v255
	v_cndmask_b32_e32 v255, 17, v255, vcc_lo
; %bb.340:
	s_and_not1_saveexec_b32 s3, s2
	s_cbranch_execz .LBB64_346
; %bb.341:
	v_cmp_gt_f64_e32 vcc_lo, 0, v[132:133]
	v_cmp_gt_f64_e64 s2, 0, v[134:135]
	v_xor_b32_e32 v40, 0x80000000, v133
	v_xor_b32_e32 v42, 0x80000000, v135
	s_delay_alu instid0(VALU_DEP_2) | instskip(NEXT) | instid1(VALU_DEP_2)
	v_cndmask_b32_e32 v41, v133, v40, vcc_lo
	v_cndmask_b32_e64 v43, v135, v42, s2
	v_cndmask_b32_e32 v40, v132, v132, vcc_lo
	v_cndmask_b32_e64 v42, v134, v134, s2
	s_mov_b32 s2, exec_lo
	s_delay_alu instid0(VALU_DEP_1)
	v_cmpx_ngt_f64_e32 v[40:41], v[42:43]
	s_xor_b32 s2, exec_lo, s2
	s_cbranch_execz .LBB64_343
; %bb.342:
	v_div_scale_f64 v[40:41], null, v[134:135], v[134:135], v[132:133]
	v_div_scale_f64 v[54:55], vcc_lo, v[132:133], v[134:135], v[132:133]
	s_delay_alu instid0(VALU_DEP_2) | instskip(SKIP_2) | instid1(VALU_DEP_1)
	v_rcp_f64_e32 v[42:43], v[40:41]
	s_waitcnt_depctr 0xfff
	v_fma_f64 v[52:53], -v[40:41], v[42:43], 1.0
	v_fma_f64 v[42:43], v[42:43], v[52:53], v[42:43]
	s_delay_alu instid0(VALU_DEP_1) | instskip(NEXT) | instid1(VALU_DEP_1)
	v_fma_f64 v[52:53], -v[40:41], v[42:43], 1.0
	v_fma_f64 v[42:43], v[42:43], v[52:53], v[42:43]
	s_delay_alu instid0(VALU_DEP_1) | instskip(NEXT) | instid1(VALU_DEP_1)
	v_mul_f64 v[52:53], v[54:55], v[42:43]
	v_fma_f64 v[40:41], -v[40:41], v[52:53], v[54:55]
	s_delay_alu instid0(VALU_DEP_1) | instskip(NEXT) | instid1(VALU_DEP_1)
	v_div_fmas_f64 v[40:41], v[40:41], v[42:43], v[52:53]
	v_div_fixup_f64 v[40:41], v[40:41], v[134:135], v[132:133]
	s_delay_alu instid0(VALU_DEP_1) | instskip(NEXT) | instid1(VALU_DEP_1)
	v_fma_f64 v[42:43], v[132:133], v[40:41], v[134:135]
	v_div_scale_f64 v[52:53], null, v[42:43], v[42:43], 1.0
	s_delay_alu instid0(VALU_DEP_1) | instskip(SKIP_2) | instid1(VALU_DEP_1)
	v_rcp_f64_e32 v[54:55], v[52:53]
	s_waitcnt_depctr 0xfff
	v_fma_f64 v[104:105], -v[52:53], v[54:55], 1.0
	v_fma_f64 v[54:55], v[54:55], v[104:105], v[54:55]
	s_delay_alu instid0(VALU_DEP_1) | instskip(NEXT) | instid1(VALU_DEP_1)
	v_fma_f64 v[104:105], -v[52:53], v[54:55], 1.0
	v_fma_f64 v[54:55], v[54:55], v[104:105], v[54:55]
	v_div_scale_f64 v[104:105], vcc_lo, 1.0, v[42:43], 1.0
	s_delay_alu instid0(VALU_DEP_1) | instskip(NEXT) | instid1(VALU_DEP_1)
	v_mul_f64 v[106:107], v[104:105], v[54:55]
	v_fma_f64 v[52:53], -v[52:53], v[106:107], v[104:105]
	s_delay_alu instid0(VALU_DEP_1) | instskip(NEXT) | instid1(VALU_DEP_1)
	v_div_fmas_f64 v[52:53], v[52:53], v[54:55], v[106:107]
	v_div_fixup_f64 v[134:135], v[52:53], v[42:43], 1.0
	s_delay_alu instid0(VALU_DEP_1)
	v_mul_f64 v[132:133], v[40:41], v[134:135]
	v_xor_b32_e32 v135, 0x80000000, v135
.LBB64_343:
	s_and_not1_saveexec_b32 s2, s2
	s_cbranch_execz .LBB64_345
; %bb.344:
	s_delay_alu instid0(VALU_DEP_1) | instskip(SKIP_1) | instid1(VALU_DEP_2)
	v_div_scale_f64 v[40:41], null, v[132:133], v[132:133], v[134:135]
	v_div_scale_f64 v[54:55], vcc_lo, v[134:135], v[132:133], v[134:135]
	v_rcp_f64_e32 v[42:43], v[40:41]
	s_waitcnt_depctr 0xfff
	v_fma_f64 v[52:53], -v[40:41], v[42:43], 1.0
	s_delay_alu instid0(VALU_DEP_1) | instskip(NEXT) | instid1(VALU_DEP_1)
	v_fma_f64 v[42:43], v[42:43], v[52:53], v[42:43]
	v_fma_f64 v[52:53], -v[40:41], v[42:43], 1.0
	s_delay_alu instid0(VALU_DEP_1) | instskip(NEXT) | instid1(VALU_DEP_1)
	v_fma_f64 v[42:43], v[42:43], v[52:53], v[42:43]
	v_mul_f64 v[52:53], v[54:55], v[42:43]
	s_delay_alu instid0(VALU_DEP_1) | instskip(NEXT) | instid1(VALU_DEP_1)
	v_fma_f64 v[40:41], -v[40:41], v[52:53], v[54:55]
	v_div_fmas_f64 v[40:41], v[40:41], v[42:43], v[52:53]
	s_delay_alu instid0(VALU_DEP_1) | instskip(NEXT) | instid1(VALU_DEP_1)
	v_div_fixup_f64 v[40:41], v[40:41], v[132:133], v[134:135]
	v_fma_f64 v[42:43], v[134:135], v[40:41], v[132:133]
	s_delay_alu instid0(VALU_DEP_1) | instskip(NEXT) | instid1(VALU_DEP_1)
	v_div_scale_f64 v[52:53], null, v[42:43], v[42:43], 1.0
	v_rcp_f64_e32 v[54:55], v[52:53]
	s_waitcnt_depctr 0xfff
	v_fma_f64 v[104:105], -v[52:53], v[54:55], 1.0
	s_delay_alu instid0(VALU_DEP_1) | instskip(NEXT) | instid1(VALU_DEP_1)
	v_fma_f64 v[54:55], v[54:55], v[104:105], v[54:55]
	v_fma_f64 v[104:105], -v[52:53], v[54:55], 1.0
	s_delay_alu instid0(VALU_DEP_1) | instskip(SKIP_1) | instid1(VALU_DEP_1)
	v_fma_f64 v[54:55], v[54:55], v[104:105], v[54:55]
	v_div_scale_f64 v[104:105], vcc_lo, 1.0, v[42:43], 1.0
	v_mul_f64 v[106:107], v[104:105], v[54:55]
	s_delay_alu instid0(VALU_DEP_1) | instskip(NEXT) | instid1(VALU_DEP_1)
	v_fma_f64 v[52:53], -v[52:53], v[106:107], v[104:105]
	v_div_fmas_f64 v[52:53], v[52:53], v[54:55], v[106:107]
	s_delay_alu instid0(VALU_DEP_1) | instskip(NEXT) | instid1(VALU_DEP_1)
	v_div_fixup_f64 v[132:133], v[52:53], v[42:43], 1.0
	v_mul_f64 v[134:135], v[40:41], -v[132:133]
.LBB64_345:
	s_or_b32 exec_lo, exec_lo, s2
.LBB64_346:
	s_delay_alu instid0(SALU_CYCLE_1) | instskip(NEXT) | instid1(SALU_CYCLE_1)
	s_or_b32 exec_lo, exec_lo, s3
	s_mov_b32 s2, exec_lo
	v_cmpx_ne_u32_e64 v174, v140
	s_xor_b32 s2, exec_lo, s2
	s_cbranch_execz .LBB64_352
; %bb.347:
	s_mov_b32 s3, exec_lo
	v_cmpx_eq_u32_e32 16, v174
	s_cbranch_execz .LBB64_351
; %bb.348:
	v_cmp_ne_u32_e32 vcc_lo, 16, v140
	s_xor_b32 s6, s4, -1
	s_delay_alu instid0(SALU_CYCLE_1) | instskip(NEXT) | instid1(SALU_CYCLE_1)
	s_and_b32 s7, s6, vcc_lo
	s_and_saveexec_b32 s6, s7
	s_cbranch_execz .LBB64_350
; %bb.349:
	scratch_load_b64 v[0:1], off, off offset:48 ; 8-byte Folded Reload
	v_ashrrev_i32_e32 v141, 31, v140
	s_delay_alu instid0(VALU_DEP_1) | instskip(SKIP_1) | instid1(VALU_DEP_1)
	v_lshlrev_b64 v[40:41], 2, v[140:141]
	s_waitcnt vmcnt(0)
	v_add_co_u32 v40, vcc_lo, v0, v40
	s_delay_alu instid0(VALU_DEP_2)
	v_add_co_ci_u32_e32 v41, vcc_lo, v1, v41, vcc_lo
	s_clause 0x1
	flat_load_b32 v42, v[40:41]
	flat_load_b32 v43, v[0:1] offset:64
	s_waitcnt vmcnt(1) lgkmcnt(1)
	flat_store_b32 v[0:1], v42 offset:64
	s_waitcnt vmcnt(0) lgkmcnt(1)
	flat_store_b32 v[40:41], v43
.LBB64_350:
	s_or_b32 exec_lo, exec_lo, s6
	v_mov_b32_e32 v174, v140
	v_mov_b32_e32 v173, v140
.LBB64_351:
	s_or_b32 exec_lo, exec_lo, s3
.LBB64_352:
	s_and_not1_saveexec_b32 s2, s2
	s_cbranch_execz .LBB64_354
; %bb.353:
	v_mov_b32_e32 v174, 16
	ds_store_2addr_b64 v172, v[68:69], v[70:71] offset0:34 offset1:35
	ds_store_2addr_b64 v172, v[64:65], v[66:67] offset0:36 offset1:37
	;; [unrolled: 1-line block ×16, first 2 shown]
.LBB64_354:
	s_or_b32 exec_lo, exec_lo, s2
	s_delay_alu instid0(SALU_CYCLE_1)
	s_mov_b32 s2, exec_lo
	s_waitcnt lgkmcnt(0)
	s_waitcnt_vscnt null, 0x0
	s_barrier
	buffer_gl0_inv
	v_cmpx_lt_i32_e32 16, v174
	s_cbranch_execz .LBB64_356
; %bb.355:
	v_mul_f64 v[40:41], v[132:133], v[74:75]
	s_delay_alu instid0(VALU_DEP_1) | instskip(SKIP_1) | instid1(VALU_DEP_1)
	v_fma_f64 v[140:141], v[134:135], v[72:73], v[40:41]
	v_mul_f64 v[40:41], v[134:135], v[74:75]
	v_fma_f64 v[72:73], v[132:133], v[72:73], -v[40:41]
	ds_load_2addr_b64 v[132:135], v172 offset0:34 offset1:35
	ds_load_2addr_b64 v[142:145], v172 offset0:36 offset1:37
	s_waitcnt lgkmcnt(1)
	v_mul_f64 v[40:41], v[134:135], v[140:141]
	v_mul_f64 v[42:43], v[132:133], v[140:141]
	s_waitcnt lgkmcnt(0)
	v_mul_f64 v[52:53], v[144:145], v[140:141]
	v_mul_f64 v[54:55], v[142:143], v[140:141]
	s_delay_alu instid0(VALU_DEP_4) | instskip(NEXT) | instid1(VALU_DEP_4)
	v_fma_f64 v[40:41], v[132:133], v[72:73], -v[40:41]
	v_fma_f64 v[42:43], v[134:135], v[72:73], v[42:43]
	s_delay_alu instid0(VALU_DEP_4) | instskip(NEXT) | instid1(VALU_DEP_4)
	v_fma_f64 v[52:53], v[142:143], v[72:73], -v[52:53]
	v_fma_f64 v[54:55], v[144:145], v[72:73], v[54:55]
	ds_load_2addr_b64 v[132:135], v172 offset0:38 offset1:39
	ds_load_2addr_b64 v[142:145], v172 offset0:40 offset1:41
	s_waitcnt lgkmcnt(1)
	v_mul_f64 v[74:75], v[134:135], v[140:141]
	v_mul_f64 v[104:105], v[132:133], v[140:141]
	s_waitcnt lgkmcnt(0)
	v_mul_f64 v[106:107], v[144:145], v[140:141]
	v_mul_f64 v[128:129], v[142:143], v[140:141]
	v_add_f64 v[68:69], v[68:69], -v[40:41]
	v_add_f64 v[70:71], v[70:71], -v[42:43]
	v_add_f64 v[64:65], v[64:65], -v[52:53]
	v_add_f64 v[66:67], v[66:67], -v[54:55]
	v_fma_f64 v[74:75], v[132:133], v[72:73], -v[74:75]
	v_fma_f64 v[104:105], v[134:135], v[72:73], v[104:105]
	v_fma_f64 v[106:107], v[142:143], v[72:73], -v[106:107]
	v_fma_f64 v[128:129], v[144:145], v[72:73], v[128:129]
	ds_load_2addr_b64 v[132:135], v172 offset0:42 offset1:43
	ds_load_2addr_b64 v[142:145], v172 offset0:44 offset1:45
	s_waitcnt lgkmcnt(1)
	v_mul_f64 v[130:131], v[134:135], v[140:141]
	v_add_f64 v[60:61], v[60:61], -v[74:75]
	v_add_f64 v[62:63], v[62:63], -v[104:105]
	v_add_f64 v[56:57], v[56:57], -v[106:107]
	v_add_f64 v[58:59], v[58:59], -v[128:129]
	v_dual_mov_b32 v74, v140 :: v_dual_mov_b32 v75, v141
	v_fma_f64 v[130:131], v[132:133], v[72:73], -v[130:131]
	v_mul_f64 v[132:133], v[132:133], v[140:141]
	s_delay_alu instid0(VALU_DEP_2) | instskip(NEXT) | instid1(VALU_DEP_2)
	v_add_f64 v[48:49], v[48:49], -v[130:131]
	v_fma_f64 v[136:137], v[134:135], v[72:73], v[132:133]
	s_waitcnt lgkmcnt(0)
	v_mul_f64 v[132:133], v[144:145], v[140:141]
	s_delay_alu instid0(VALU_DEP_2) | instskip(NEXT) | instid1(VALU_DEP_2)
	v_add_f64 v[50:51], v[50:51], -v[136:137]
	v_fma_f64 v[138:139], v[142:143], v[72:73], -v[132:133]
	v_mul_f64 v[132:133], v[142:143], v[140:141]
	s_delay_alu instid0(VALU_DEP_2) | instskip(NEXT) | instid1(VALU_DEP_2)
	v_add_f64 v[44:45], v[44:45], -v[138:139]
	v_fma_f64 v[146:147], v[144:145], v[72:73], v[132:133]
	ds_load_2addr_b64 v[132:135], v172 offset0:46 offset1:47
	ds_load_2addr_b64 v[142:145], v172 offset0:48 offset1:49
	s_waitcnt lgkmcnt(1)
	v_mul_f64 v[148:149], v[134:135], v[140:141]
	v_add_f64 v[46:47], v[46:47], -v[146:147]
	s_delay_alu instid0(VALU_DEP_2) | instskip(SKIP_1) | instid1(VALU_DEP_2)
	v_fma_f64 v[148:149], v[132:133], v[72:73], -v[148:149]
	v_mul_f64 v[132:133], v[132:133], v[140:141]
	v_add_f64 v[36:37], v[36:37], -v[148:149]
	s_delay_alu instid0(VALU_DEP_2) | instskip(SKIP_2) | instid1(VALU_DEP_2)
	v_fma_f64 v[150:151], v[134:135], v[72:73], v[132:133]
	s_waitcnt lgkmcnt(0)
	v_mul_f64 v[132:133], v[144:145], v[140:141]
	v_add_f64 v[38:39], v[38:39], -v[150:151]
	s_delay_alu instid0(VALU_DEP_2) | instskip(SKIP_1) | instid1(VALU_DEP_2)
	v_fma_f64 v[152:153], v[142:143], v[72:73], -v[132:133]
	v_mul_f64 v[132:133], v[142:143], v[140:141]
	v_add_f64 v[32:33], v[32:33], -v[152:153]
	s_delay_alu instid0(VALU_DEP_2)
	v_fma_f64 v[154:155], v[144:145], v[72:73], v[132:133]
	ds_load_2addr_b64 v[132:135], v172 offset0:50 offset1:51
	ds_load_2addr_b64 v[142:145], v172 offset0:52 offset1:53
	s_waitcnt lgkmcnt(1)
	v_mul_f64 v[156:157], v[134:135], v[140:141]
	v_add_f64 v[34:35], v[34:35], -v[154:155]
	s_delay_alu instid0(VALU_DEP_2) | instskip(SKIP_1) | instid1(VALU_DEP_2)
	v_fma_f64 v[156:157], v[132:133], v[72:73], -v[156:157]
	v_mul_f64 v[132:133], v[132:133], v[140:141]
	v_add_f64 v[28:29], v[28:29], -v[156:157]
	s_delay_alu instid0(VALU_DEP_2) | instskip(SKIP_2) | instid1(VALU_DEP_2)
	v_fma_f64 v[158:159], v[134:135], v[72:73], v[132:133]
	s_waitcnt lgkmcnt(0)
	v_mul_f64 v[132:133], v[144:145], v[140:141]
	v_add_f64 v[30:31], v[30:31], -v[158:159]
	s_delay_alu instid0(VALU_DEP_2) | instskip(SKIP_1) | instid1(VALU_DEP_2)
	v_fma_f64 v[160:161], v[142:143], v[72:73], -v[132:133]
	v_mul_f64 v[132:133], v[142:143], v[140:141]
	v_add_f64 v[24:25], v[24:25], -v[160:161]
	s_delay_alu instid0(VALU_DEP_2)
	;; [unrolled: 20-line block ×4, first 2 shown]
	v_fma_f64 v[185:186], v[144:145], v[72:73], v[132:133]
	ds_load_2addr_b64 v[132:135], v172 offset0:62 offset1:63
	ds_load_2addr_b64 v[142:145], v172 offset0:64 offset1:65
	s_waitcnt lgkmcnt(1)
	v_mul_f64 v[187:188], v[134:135], v[140:141]
	v_add_f64 v[10:11], v[10:11], -v[185:186]
	s_delay_alu instid0(VALU_DEP_2) | instskip(SKIP_1) | instid1(VALU_DEP_2)
	v_fma_f64 v[187:188], v[132:133], v[72:73], -v[187:188]
	v_mul_f64 v[132:133], v[132:133], v[140:141]
	v_add_f64 v[243:244], v[243:244], -v[187:188]
	s_delay_alu instid0(VALU_DEP_2) | instskip(SKIP_2) | instid1(VALU_DEP_2)
	v_fma_f64 v[132:133], v[134:135], v[72:73], v[132:133]
	s_waitcnt lgkmcnt(0)
	v_mul_f64 v[134:135], v[144:145], v[140:141]
	v_add_f64 v[245:246], v[245:246], -v[132:133]
	s_delay_alu instid0(VALU_DEP_2) | instskip(SKIP_1) | instid1(VALU_DEP_2)
	v_fma_f64 v[134:135], v[142:143], v[72:73], -v[134:135]
	v_mul_f64 v[142:143], v[142:143], v[140:141]
	v_add_f64 v[237:238], v[237:238], -v[134:135]
	s_delay_alu instid0(VALU_DEP_2) | instskip(NEXT) | instid1(VALU_DEP_1)
	v_fma_f64 v[142:143], v[144:145], v[72:73], v[142:143]
	v_add_f64 v[239:240], v[239:240], -v[142:143]
.LBB64_356:
	s_or_b32 exec_lo, exec_lo, s2
	v_lshl_add_u32 v40, v174, 4, v172
	s_barrier
	buffer_gl0_inv
	v_mov_b32_e32 v140, 17
	ds_store_2addr_b64 v40, v[68:69], v[70:71] offset1:1
	s_waitcnt lgkmcnt(0)
	s_barrier
	buffer_gl0_inv
	ds_load_2addr_b64 v[132:135], v172 offset0:34 offset1:35
	s_cmp_lt_i32 s5, 19
	s_cbranch_scc1 .LBB64_359
; %bb.357:
	v_add3_u32 v141, v170, 0, 0x120
	v_mov_b32_e32 v140, 17
	s_mov_b32 s6, 18
	s_set_inst_prefetch_distance 0x1
	.p2align	6
.LBB64_358:                             ; =>This Inner Loop Header: Depth=1
	ds_load_2addr_b64 v[142:145], v141 offset1:1
	s_waitcnt lgkmcnt(1)
	v_cmp_gt_f64_e32 vcc_lo, 0, v[132:133]
	v_xor_b32_e32 v40, 0x80000000, v133
	v_cmp_gt_f64_e64 s2, 0, v[134:135]
	v_xor_b32_e32 v42, 0x80000000, v135
	v_add_nc_u32_e32 v141, 16, v141
	s_waitcnt lgkmcnt(0)
	v_cmp_gt_f64_e64 s3, 0, v[142:143]
	v_mov_b32_e32 v52, v142
	v_dual_mov_b32 v54, v144 :: v_dual_cndmask_b32 v41, v133, v40
	v_xor_b32_e32 v40, 0x80000000, v143
	v_cndmask_b32_e64 v43, v135, v42, s2
	v_xor_b32_e32 v42, 0x80000000, v145
	s_delay_alu instid0(VALU_DEP_3) | instskip(SKIP_2) | instid1(VALU_DEP_2)
	v_cndmask_b32_e64 v53, v143, v40, s3
	v_cmp_gt_f64_e64 s3, 0, v[144:145]
	v_cndmask_b32_e32 v40, v132, v132, vcc_lo
	v_cndmask_b32_e64 v55, v145, v42, s3
	v_cndmask_b32_e64 v42, v134, v134, s2
	s_delay_alu instid0(VALU_DEP_2) | instskip(NEXT) | instid1(VALU_DEP_2)
	v_add_f64 v[52:53], v[52:53], v[54:55]
	v_add_f64 v[40:41], v[40:41], v[42:43]
	s_delay_alu instid0(VALU_DEP_1)
	v_cmp_lt_f64_e32 vcc_lo, v[40:41], v[52:53]
	v_cndmask_b32_e32 v135, v135, v145, vcc_lo
	v_dual_cndmask_b32 v133, v133, v143 :: v_dual_cndmask_b32 v132, v132, v142
	v_cndmask_b32_e32 v134, v134, v144, vcc_lo
	v_cndmask_b32_e64 v140, v140, s6, vcc_lo
	s_add_i32 s6, s6, 1
	s_delay_alu instid0(SALU_CYCLE_1)
	s_cmp_lg_u32 s5, s6
	s_cbranch_scc1 .LBB64_358
.LBB64_359:
	s_set_inst_prefetch_distance 0x2
	s_waitcnt lgkmcnt(0)
	v_cmp_eq_f64_e32 vcc_lo, 0, v[132:133]
	v_cmp_eq_f64_e64 s2, 0, v[134:135]
	s_delay_alu instid0(VALU_DEP_1) | instskip(NEXT) | instid1(SALU_CYCLE_1)
	s_and_b32 s2, vcc_lo, s2
	s_and_saveexec_b32 s3, s2
	s_delay_alu instid0(SALU_CYCLE_1)
	s_xor_b32 s2, exec_lo, s3
; %bb.360:
	v_cmp_ne_u32_e32 vcc_lo, 0, v255
	v_cndmask_b32_e32 v255, 18, v255, vcc_lo
; %bb.361:
	s_and_not1_saveexec_b32 s3, s2
	s_cbranch_execz .LBB64_367
; %bb.362:
	v_cmp_gt_f64_e32 vcc_lo, 0, v[132:133]
	v_cmp_gt_f64_e64 s2, 0, v[134:135]
	v_xor_b32_e32 v40, 0x80000000, v133
	v_xor_b32_e32 v42, 0x80000000, v135
	s_delay_alu instid0(VALU_DEP_2) | instskip(NEXT) | instid1(VALU_DEP_2)
	v_cndmask_b32_e32 v41, v133, v40, vcc_lo
	v_cndmask_b32_e64 v43, v135, v42, s2
	v_cndmask_b32_e32 v40, v132, v132, vcc_lo
	v_cndmask_b32_e64 v42, v134, v134, s2
	s_mov_b32 s2, exec_lo
	s_delay_alu instid0(VALU_DEP_1)
	v_cmpx_ngt_f64_e32 v[40:41], v[42:43]
	s_xor_b32 s2, exec_lo, s2
	s_cbranch_execz .LBB64_364
; %bb.363:
	v_div_scale_f64 v[40:41], null, v[134:135], v[134:135], v[132:133]
	v_div_scale_f64 v[54:55], vcc_lo, v[132:133], v[134:135], v[132:133]
	s_delay_alu instid0(VALU_DEP_2) | instskip(SKIP_2) | instid1(VALU_DEP_1)
	v_rcp_f64_e32 v[42:43], v[40:41]
	s_waitcnt_depctr 0xfff
	v_fma_f64 v[52:53], -v[40:41], v[42:43], 1.0
	v_fma_f64 v[42:43], v[42:43], v[52:53], v[42:43]
	s_delay_alu instid0(VALU_DEP_1) | instskip(NEXT) | instid1(VALU_DEP_1)
	v_fma_f64 v[52:53], -v[40:41], v[42:43], 1.0
	v_fma_f64 v[42:43], v[42:43], v[52:53], v[42:43]
	s_delay_alu instid0(VALU_DEP_1) | instskip(NEXT) | instid1(VALU_DEP_1)
	v_mul_f64 v[52:53], v[54:55], v[42:43]
	v_fma_f64 v[40:41], -v[40:41], v[52:53], v[54:55]
	s_delay_alu instid0(VALU_DEP_1) | instskip(NEXT) | instid1(VALU_DEP_1)
	v_div_fmas_f64 v[40:41], v[40:41], v[42:43], v[52:53]
	v_div_fixup_f64 v[40:41], v[40:41], v[134:135], v[132:133]
	s_delay_alu instid0(VALU_DEP_1) | instskip(NEXT) | instid1(VALU_DEP_1)
	v_fma_f64 v[42:43], v[132:133], v[40:41], v[134:135]
	v_div_scale_f64 v[52:53], null, v[42:43], v[42:43], 1.0
	s_delay_alu instid0(VALU_DEP_1) | instskip(SKIP_2) | instid1(VALU_DEP_1)
	v_rcp_f64_e32 v[54:55], v[52:53]
	s_waitcnt_depctr 0xfff
	v_fma_f64 v[104:105], -v[52:53], v[54:55], 1.0
	v_fma_f64 v[54:55], v[54:55], v[104:105], v[54:55]
	s_delay_alu instid0(VALU_DEP_1) | instskip(NEXT) | instid1(VALU_DEP_1)
	v_fma_f64 v[104:105], -v[52:53], v[54:55], 1.0
	v_fma_f64 v[54:55], v[54:55], v[104:105], v[54:55]
	v_div_scale_f64 v[104:105], vcc_lo, 1.0, v[42:43], 1.0
	s_delay_alu instid0(VALU_DEP_1) | instskip(NEXT) | instid1(VALU_DEP_1)
	v_mul_f64 v[106:107], v[104:105], v[54:55]
	v_fma_f64 v[52:53], -v[52:53], v[106:107], v[104:105]
	s_delay_alu instid0(VALU_DEP_1) | instskip(NEXT) | instid1(VALU_DEP_1)
	v_div_fmas_f64 v[52:53], v[52:53], v[54:55], v[106:107]
	v_div_fixup_f64 v[134:135], v[52:53], v[42:43], 1.0
	s_delay_alu instid0(VALU_DEP_1)
	v_mul_f64 v[132:133], v[40:41], v[134:135]
	v_xor_b32_e32 v135, 0x80000000, v135
.LBB64_364:
	s_and_not1_saveexec_b32 s2, s2
	s_cbranch_execz .LBB64_366
; %bb.365:
	s_delay_alu instid0(VALU_DEP_1) | instskip(SKIP_1) | instid1(VALU_DEP_2)
	v_div_scale_f64 v[40:41], null, v[132:133], v[132:133], v[134:135]
	v_div_scale_f64 v[54:55], vcc_lo, v[134:135], v[132:133], v[134:135]
	v_rcp_f64_e32 v[42:43], v[40:41]
	s_waitcnt_depctr 0xfff
	v_fma_f64 v[52:53], -v[40:41], v[42:43], 1.0
	s_delay_alu instid0(VALU_DEP_1) | instskip(NEXT) | instid1(VALU_DEP_1)
	v_fma_f64 v[42:43], v[42:43], v[52:53], v[42:43]
	v_fma_f64 v[52:53], -v[40:41], v[42:43], 1.0
	s_delay_alu instid0(VALU_DEP_1) | instskip(NEXT) | instid1(VALU_DEP_1)
	v_fma_f64 v[42:43], v[42:43], v[52:53], v[42:43]
	v_mul_f64 v[52:53], v[54:55], v[42:43]
	s_delay_alu instid0(VALU_DEP_1) | instskip(NEXT) | instid1(VALU_DEP_1)
	v_fma_f64 v[40:41], -v[40:41], v[52:53], v[54:55]
	v_div_fmas_f64 v[40:41], v[40:41], v[42:43], v[52:53]
	s_delay_alu instid0(VALU_DEP_1) | instskip(NEXT) | instid1(VALU_DEP_1)
	v_div_fixup_f64 v[40:41], v[40:41], v[132:133], v[134:135]
	v_fma_f64 v[42:43], v[134:135], v[40:41], v[132:133]
	s_delay_alu instid0(VALU_DEP_1) | instskip(NEXT) | instid1(VALU_DEP_1)
	v_div_scale_f64 v[52:53], null, v[42:43], v[42:43], 1.0
	v_rcp_f64_e32 v[54:55], v[52:53]
	s_waitcnt_depctr 0xfff
	v_fma_f64 v[104:105], -v[52:53], v[54:55], 1.0
	s_delay_alu instid0(VALU_DEP_1) | instskip(NEXT) | instid1(VALU_DEP_1)
	v_fma_f64 v[54:55], v[54:55], v[104:105], v[54:55]
	v_fma_f64 v[104:105], -v[52:53], v[54:55], 1.0
	s_delay_alu instid0(VALU_DEP_1) | instskip(SKIP_1) | instid1(VALU_DEP_1)
	v_fma_f64 v[54:55], v[54:55], v[104:105], v[54:55]
	v_div_scale_f64 v[104:105], vcc_lo, 1.0, v[42:43], 1.0
	v_mul_f64 v[106:107], v[104:105], v[54:55]
	s_delay_alu instid0(VALU_DEP_1) | instskip(NEXT) | instid1(VALU_DEP_1)
	v_fma_f64 v[52:53], -v[52:53], v[106:107], v[104:105]
	v_div_fmas_f64 v[52:53], v[52:53], v[54:55], v[106:107]
	s_delay_alu instid0(VALU_DEP_1) | instskip(NEXT) | instid1(VALU_DEP_1)
	v_div_fixup_f64 v[132:133], v[52:53], v[42:43], 1.0
	v_mul_f64 v[134:135], v[40:41], -v[132:133]
.LBB64_366:
	s_or_b32 exec_lo, exec_lo, s2
.LBB64_367:
	s_delay_alu instid0(SALU_CYCLE_1) | instskip(NEXT) | instid1(SALU_CYCLE_1)
	s_or_b32 exec_lo, exec_lo, s3
	s_mov_b32 s2, exec_lo
	v_cmpx_ne_u32_e64 v174, v140
	s_xor_b32 s2, exec_lo, s2
	s_cbranch_execz .LBB64_373
; %bb.368:
	s_mov_b32 s3, exec_lo
	v_cmpx_eq_u32_e32 17, v174
	s_cbranch_execz .LBB64_372
; %bb.369:
	v_cmp_ne_u32_e32 vcc_lo, 17, v140
	s_xor_b32 s6, s4, -1
	s_delay_alu instid0(SALU_CYCLE_1) | instskip(NEXT) | instid1(SALU_CYCLE_1)
	s_and_b32 s7, s6, vcc_lo
	s_and_saveexec_b32 s6, s7
	s_cbranch_execz .LBB64_371
; %bb.370:
	scratch_load_b64 v[0:1], off, off offset:48 ; 8-byte Folded Reload
	v_ashrrev_i32_e32 v141, 31, v140
	s_delay_alu instid0(VALU_DEP_1) | instskip(SKIP_1) | instid1(VALU_DEP_1)
	v_lshlrev_b64 v[40:41], 2, v[140:141]
	s_waitcnt vmcnt(0)
	v_add_co_u32 v40, vcc_lo, v0, v40
	s_delay_alu instid0(VALU_DEP_2)
	v_add_co_ci_u32_e32 v41, vcc_lo, v1, v41, vcc_lo
	s_clause 0x1
	flat_load_b32 v42, v[40:41]
	flat_load_b32 v43, v[0:1] offset:68
	s_waitcnt vmcnt(1) lgkmcnt(1)
	flat_store_b32 v[0:1], v42 offset:68
	s_waitcnt vmcnt(0) lgkmcnt(1)
	flat_store_b32 v[40:41], v43
.LBB64_371:
	s_or_b32 exec_lo, exec_lo, s6
	v_mov_b32_e32 v174, v140
	v_mov_b32_e32 v173, v140
.LBB64_372:
	s_or_b32 exec_lo, exec_lo, s3
.LBB64_373:
	s_and_not1_saveexec_b32 s2, s2
	s_cbranch_execz .LBB64_375
; %bb.374:
	v_mov_b32_e32 v174, 17
	ds_store_2addr_b64 v172, v[64:65], v[66:67] offset0:36 offset1:37
	ds_store_2addr_b64 v172, v[60:61], v[62:63] offset0:38 offset1:39
	;; [unrolled: 1-line block ×15, first 2 shown]
.LBB64_375:
	s_or_b32 exec_lo, exec_lo, s2
	s_delay_alu instid0(SALU_CYCLE_1)
	s_mov_b32 s2, exec_lo
	s_waitcnt lgkmcnt(0)
	s_waitcnt_vscnt null, 0x0
	s_barrier
	buffer_gl0_inv
	v_cmpx_lt_i32_e32 17, v174
	s_cbranch_execz .LBB64_377
; %bb.376:
	v_mul_f64 v[40:41], v[132:133], v[70:71]
	v_mul_f64 v[42:43], v[134:135], v[70:71]
	s_delay_alu instid0(VALU_DEP_2) | instskip(NEXT) | instid1(VALU_DEP_2)
	v_fma_f64 v[40:41], v[134:135], v[68:69], v[40:41]
	v_fma_f64 v[68:69], v[132:133], v[68:69], -v[42:43]
	ds_load_2addr_b64 v[132:135], v172 offset0:36 offset1:37
	ds_load_2addr_b64 v[140:143], v172 offset0:38 offset1:39
	s_waitcnt lgkmcnt(1)
	v_mul_f64 v[42:43], v[134:135], v[40:41]
	v_mul_f64 v[52:53], v[132:133], v[40:41]
	s_waitcnt lgkmcnt(0)
	v_mul_f64 v[54:55], v[142:143], v[40:41]
	v_mul_f64 v[70:71], v[140:141], v[40:41]
	s_delay_alu instid0(VALU_DEP_4) | instskip(NEXT) | instid1(VALU_DEP_4)
	v_fma_f64 v[42:43], v[132:133], v[68:69], -v[42:43]
	v_fma_f64 v[52:53], v[134:135], v[68:69], v[52:53]
	s_delay_alu instid0(VALU_DEP_4) | instskip(NEXT) | instid1(VALU_DEP_4)
	v_fma_f64 v[54:55], v[140:141], v[68:69], -v[54:55]
	v_fma_f64 v[70:71], v[142:143], v[68:69], v[70:71]
	ds_load_2addr_b64 v[132:135], v172 offset0:40 offset1:41
	ds_load_2addr_b64 v[140:143], v172 offset0:42 offset1:43
	s_waitcnt lgkmcnt(1)
	v_mul_f64 v[104:105], v[134:135], v[40:41]
	v_mul_f64 v[106:107], v[132:133], v[40:41]
	s_waitcnt lgkmcnt(0)
	v_mul_f64 v[128:129], v[142:143], v[40:41]
	v_mul_f64 v[130:131], v[140:141], v[40:41]
	v_add_f64 v[64:65], v[64:65], -v[42:43]
	v_add_f64 v[66:67], v[66:67], -v[52:53]
	v_add_f64 v[60:61], v[60:61], -v[54:55]
	v_add_f64 v[62:63], v[62:63], -v[70:71]
	v_dual_mov_b32 v71, v41 :: v_dual_mov_b32 v70, v40
	v_fma_f64 v[104:105], v[132:133], v[68:69], -v[104:105]
	v_fma_f64 v[106:107], v[134:135], v[68:69], v[106:107]
	v_fma_f64 v[128:129], v[140:141], v[68:69], -v[128:129]
	v_fma_f64 v[130:131], v[142:143], v[68:69], v[130:131]
	ds_load_2addr_b64 v[132:135], v172 offset0:44 offset1:45
	ds_load_2addr_b64 v[140:143], v172 offset0:46 offset1:47
	s_waitcnt lgkmcnt(1)
	v_mul_f64 v[136:137], v[134:135], v[40:41]
	v_add_f64 v[56:57], v[56:57], -v[104:105]
	v_add_f64 v[58:59], v[58:59], -v[106:107]
	;; [unrolled: 1-line block ×4, first 2 shown]
	v_fma_f64 v[136:137], v[132:133], v[68:69], -v[136:137]
	v_mul_f64 v[132:133], v[132:133], v[40:41]
	s_delay_alu instid0(VALU_DEP_2) | instskip(NEXT) | instid1(VALU_DEP_2)
	v_add_f64 v[44:45], v[44:45], -v[136:137]
	v_fma_f64 v[138:139], v[134:135], v[68:69], v[132:133]
	s_waitcnt lgkmcnt(0)
	v_mul_f64 v[132:133], v[142:143], v[40:41]
	s_delay_alu instid0(VALU_DEP_2) | instskip(NEXT) | instid1(VALU_DEP_2)
	v_add_f64 v[46:47], v[46:47], -v[138:139]
	v_fma_f64 v[144:145], v[140:141], v[68:69], -v[132:133]
	v_mul_f64 v[132:133], v[140:141], v[40:41]
	s_delay_alu instid0(VALU_DEP_2) | instskip(NEXT) | instid1(VALU_DEP_2)
	v_add_f64 v[36:37], v[36:37], -v[144:145]
	v_fma_f64 v[146:147], v[142:143], v[68:69], v[132:133]
	ds_load_2addr_b64 v[132:135], v172 offset0:48 offset1:49
	ds_load_2addr_b64 v[140:143], v172 offset0:50 offset1:51
	s_waitcnt lgkmcnt(1)
	v_mul_f64 v[148:149], v[134:135], v[40:41]
	v_add_f64 v[38:39], v[38:39], -v[146:147]
	s_delay_alu instid0(VALU_DEP_2) | instskip(SKIP_1) | instid1(VALU_DEP_2)
	v_fma_f64 v[148:149], v[132:133], v[68:69], -v[148:149]
	v_mul_f64 v[132:133], v[132:133], v[40:41]
	v_add_f64 v[32:33], v[32:33], -v[148:149]
	s_delay_alu instid0(VALU_DEP_2) | instskip(SKIP_2) | instid1(VALU_DEP_2)
	v_fma_f64 v[150:151], v[134:135], v[68:69], v[132:133]
	s_waitcnt lgkmcnt(0)
	v_mul_f64 v[132:133], v[142:143], v[40:41]
	v_add_f64 v[34:35], v[34:35], -v[150:151]
	s_delay_alu instid0(VALU_DEP_2) | instskip(SKIP_1) | instid1(VALU_DEP_2)
	v_fma_f64 v[152:153], v[140:141], v[68:69], -v[132:133]
	v_mul_f64 v[132:133], v[140:141], v[40:41]
	v_add_f64 v[28:29], v[28:29], -v[152:153]
	s_delay_alu instid0(VALU_DEP_2)
	v_fma_f64 v[154:155], v[142:143], v[68:69], v[132:133]
	ds_load_2addr_b64 v[132:135], v172 offset0:52 offset1:53
	ds_load_2addr_b64 v[140:143], v172 offset0:54 offset1:55
	s_waitcnt lgkmcnt(1)
	v_mul_f64 v[156:157], v[134:135], v[40:41]
	v_add_f64 v[30:31], v[30:31], -v[154:155]
	s_delay_alu instid0(VALU_DEP_2) | instskip(SKIP_1) | instid1(VALU_DEP_2)
	v_fma_f64 v[156:157], v[132:133], v[68:69], -v[156:157]
	v_mul_f64 v[132:133], v[132:133], v[40:41]
	v_add_f64 v[24:25], v[24:25], -v[156:157]
	s_delay_alu instid0(VALU_DEP_2) | instskip(SKIP_2) | instid1(VALU_DEP_2)
	v_fma_f64 v[158:159], v[134:135], v[68:69], v[132:133]
	s_waitcnt lgkmcnt(0)
	v_mul_f64 v[132:133], v[142:143], v[40:41]
	v_add_f64 v[26:27], v[26:27], -v[158:159]
	s_delay_alu instid0(VALU_DEP_2) | instskip(SKIP_1) | instid1(VALU_DEP_2)
	v_fma_f64 v[160:161], v[140:141], v[68:69], -v[132:133]
	v_mul_f64 v[132:133], v[140:141], v[40:41]
	v_add_f64 v[20:21], v[20:21], -v[160:161]
	s_delay_alu instid0(VALU_DEP_2)
	;; [unrolled: 20-line block ×3, first 2 shown]
	v_fma_f64 v[177:178], v[142:143], v[68:69], v[132:133]
	ds_load_2addr_b64 v[132:135], v172 offset0:60 offset1:61
	ds_load_2addr_b64 v[140:143], v172 offset0:62 offset1:63
	s_waitcnt lgkmcnt(1)
	v_mul_f64 v[179:180], v[134:135], v[40:41]
	v_add_f64 v[14:15], v[14:15], -v[177:178]
	s_delay_alu instid0(VALU_DEP_2) | instskip(SKIP_1) | instid1(VALU_DEP_2)
	v_fma_f64 v[179:180], v[132:133], v[68:69], -v[179:180]
	v_mul_f64 v[132:133], v[132:133], v[40:41]
	v_add_f64 v[8:9], v[8:9], -v[179:180]
	s_delay_alu instid0(VALU_DEP_2) | instskip(SKIP_2) | instid1(VALU_DEP_2)
	v_fma_f64 v[181:182], v[134:135], v[68:69], v[132:133]
	s_waitcnt lgkmcnt(0)
	v_mul_f64 v[132:133], v[142:143], v[40:41]
	v_add_f64 v[10:11], v[10:11], -v[181:182]
	s_delay_alu instid0(VALU_DEP_2) | instskip(SKIP_1) | instid1(VALU_DEP_2)
	v_fma_f64 v[183:184], v[140:141], v[68:69], -v[132:133]
	v_mul_f64 v[132:133], v[140:141], v[40:41]
	v_add_f64 v[243:244], v[243:244], -v[183:184]
	s_delay_alu instid0(VALU_DEP_2) | instskip(SKIP_4) | instid1(VALU_DEP_2)
	v_fma_f64 v[140:141], v[142:143], v[68:69], v[132:133]
	ds_load_2addr_b64 v[132:135], v172 offset0:64 offset1:65
	s_waitcnt lgkmcnt(0)
	v_mul_f64 v[142:143], v[134:135], v[40:41]
	v_add_f64 v[245:246], v[245:246], -v[140:141]
	v_fma_f64 v[142:143], v[132:133], v[68:69], -v[142:143]
	v_mul_f64 v[132:133], v[132:133], v[40:41]
	s_delay_alu instid0(VALU_DEP_2) | instskip(NEXT) | instid1(VALU_DEP_2)
	v_add_f64 v[237:238], v[237:238], -v[142:143]
	v_fma_f64 v[132:133], v[134:135], v[68:69], v[132:133]
	s_delay_alu instid0(VALU_DEP_1)
	v_add_f64 v[239:240], v[239:240], -v[132:133]
.LBB64_377:
	s_or_b32 exec_lo, exec_lo, s2
	v_lshl_add_u32 v40, v174, 4, v172
	s_barrier
	buffer_gl0_inv
	v_mov_b32_e32 v140, 18
	ds_store_2addr_b64 v40, v[64:65], v[66:67] offset1:1
	s_waitcnt lgkmcnt(0)
	s_barrier
	buffer_gl0_inv
	ds_load_2addr_b64 v[132:135], v172 offset0:36 offset1:37
	s_cmp_lt_i32 s5, 20
	s_cbranch_scc1 .LBB64_380
; %bb.378:
	v_add3_u32 v141, v170, 0, 0x130
	v_mov_b32_e32 v140, 18
	s_mov_b32 s6, 19
	s_set_inst_prefetch_distance 0x1
	.p2align	6
.LBB64_379:                             ; =>This Inner Loop Header: Depth=1
	ds_load_2addr_b64 v[142:145], v141 offset1:1
	s_waitcnt lgkmcnt(1)
	v_cmp_gt_f64_e32 vcc_lo, 0, v[132:133]
	v_xor_b32_e32 v40, 0x80000000, v133
	v_cmp_gt_f64_e64 s2, 0, v[134:135]
	v_xor_b32_e32 v42, 0x80000000, v135
	v_add_nc_u32_e32 v141, 16, v141
	s_waitcnt lgkmcnt(0)
	v_cmp_gt_f64_e64 s3, 0, v[142:143]
	v_mov_b32_e32 v52, v142
	v_dual_mov_b32 v54, v144 :: v_dual_cndmask_b32 v41, v133, v40
	v_xor_b32_e32 v40, 0x80000000, v143
	v_cndmask_b32_e64 v43, v135, v42, s2
	v_xor_b32_e32 v42, 0x80000000, v145
	s_delay_alu instid0(VALU_DEP_3) | instskip(SKIP_2) | instid1(VALU_DEP_2)
	v_cndmask_b32_e64 v53, v143, v40, s3
	v_cmp_gt_f64_e64 s3, 0, v[144:145]
	v_cndmask_b32_e32 v40, v132, v132, vcc_lo
	v_cndmask_b32_e64 v55, v145, v42, s3
	v_cndmask_b32_e64 v42, v134, v134, s2
	s_delay_alu instid0(VALU_DEP_2) | instskip(NEXT) | instid1(VALU_DEP_2)
	v_add_f64 v[52:53], v[52:53], v[54:55]
	v_add_f64 v[40:41], v[40:41], v[42:43]
	s_delay_alu instid0(VALU_DEP_1)
	v_cmp_lt_f64_e32 vcc_lo, v[40:41], v[52:53]
	v_cndmask_b32_e32 v135, v135, v145, vcc_lo
	v_dual_cndmask_b32 v133, v133, v143 :: v_dual_cndmask_b32 v132, v132, v142
	v_cndmask_b32_e32 v134, v134, v144, vcc_lo
	v_cndmask_b32_e64 v140, v140, s6, vcc_lo
	s_add_i32 s6, s6, 1
	s_delay_alu instid0(SALU_CYCLE_1)
	s_cmp_lg_u32 s5, s6
	s_cbranch_scc1 .LBB64_379
.LBB64_380:
	s_set_inst_prefetch_distance 0x2
	s_waitcnt lgkmcnt(0)
	v_cmp_eq_f64_e32 vcc_lo, 0, v[132:133]
	v_cmp_eq_f64_e64 s2, 0, v[134:135]
	s_delay_alu instid0(VALU_DEP_1) | instskip(NEXT) | instid1(SALU_CYCLE_1)
	s_and_b32 s2, vcc_lo, s2
	s_and_saveexec_b32 s3, s2
	s_delay_alu instid0(SALU_CYCLE_1)
	s_xor_b32 s2, exec_lo, s3
; %bb.381:
	v_cmp_ne_u32_e32 vcc_lo, 0, v255
	v_cndmask_b32_e32 v255, 19, v255, vcc_lo
; %bb.382:
	s_and_not1_saveexec_b32 s3, s2
	s_cbranch_execz .LBB64_388
; %bb.383:
	v_cmp_gt_f64_e32 vcc_lo, 0, v[132:133]
	v_cmp_gt_f64_e64 s2, 0, v[134:135]
	v_xor_b32_e32 v40, 0x80000000, v133
	v_xor_b32_e32 v42, 0x80000000, v135
	s_delay_alu instid0(VALU_DEP_2) | instskip(NEXT) | instid1(VALU_DEP_2)
	v_cndmask_b32_e32 v41, v133, v40, vcc_lo
	v_cndmask_b32_e64 v43, v135, v42, s2
	v_cndmask_b32_e32 v40, v132, v132, vcc_lo
	v_cndmask_b32_e64 v42, v134, v134, s2
	s_mov_b32 s2, exec_lo
	s_delay_alu instid0(VALU_DEP_1)
	v_cmpx_ngt_f64_e32 v[40:41], v[42:43]
	s_xor_b32 s2, exec_lo, s2
	s_cbranch_execz .LBB64_385
; %bb.384:
	v_div_scale_f64 v[40:41], null, v[134:135], v[134:135], v[132:133]
	v_div_scale_f64 v[54:55], vcc_lo, v[132:133], v[134:135], v[132:133]
	s_delay_alu instid0(VALU_DEP_2) | instskip(SKIP_2) | instid1(VALU_DEP_1)
	v_rcp_f64_e32 v[42:43], v[40:41]
	s_waitcnt_depctr 0xfff
	v_fma_f64 v[52:53], -v[40:41], v[42:43], 1.0
	v_fma_f64 v[42:43], v[42:43], v[52:53], v[42:43]
	s_delay_alu instid0(VALU_DEP_1) | instskip(NEXT) | instid1(VALU_DEP_1)
	v_fma_f64 v[52:53], -v[40:41], v[42:43], 1.0
	v_fma_f64 v[42:43], v[42:43], v[52:53], v[42:43]
	s_delay_alu instid0(VALU_DEP_1) | instskip(NEXT) | instid1(VALU_DEP_1)
	v_mul_f64 v[52:53], v[54:55], v[42:43]
	v_fma_f64 v[40:41], -v[40:41], v[52:53], v[54:55]
	s_delay_alu instid0(VALU_DEP_1) | instskip(NEXT) | instid1(VALU_DEP_1)
	v_div_fmas_f64 v[40:41], v[40:41], v[42:43], v[52:53]
	v_div_fixup_f64 v[40:41], v[40:41], v[134:135], v[132:133]
	s_delay_alu instid0(VALU_DEP_1) | instskip(NEXT) | instid1(VALU_DEP_1)
	v_fma_f64 v[42:43], v[132:133], v[40:41], v[134:135]
	v_div_scale_f64 v[52:53], null, v[42:43], v[42:43], 1.0
	s_delay_alu instid0(VALU_DEP_1) | instskip(SKIP_2) | instid1(VALU_DEP_1)
	v_rcp_f64_e32 v[54:55], v[52:53]
	s_waitcnt_depctr 0xfff
	v_fma_f64 v[104:105], -v[52:53], v[54:55], 1.0
	v_fma_f64 v[54:55], v[54:55], v[104:105], v[54:55]
	s_delay_alu instid0(VALU_DEP_1) | instskip(NEXT) | instid1(VALU_DEP_1)
	v_fma_f64 v[104:105], -v[52:53], v[54:55], 1.0
	v_fma_f64 v[54:55], v[54:55], v[104:105], v[54:55]
	v_div_scale_f64 v[104:105], vcc_lo, 1.0, v[42:43], 1.0
	s_delay_alu instid0(VALU_DEP_1) | instskip(NEXT) | instid1(VALU_DEP_1)
	v_mul_f64 v[106:107], v[104:105], v[54:55]
	v_fma_f64 v[52:53], -v[52:53], v[106:107], v[104:105]
	s_delay_alu instid0(VALU_DEP_1) | instskip(NEXT) | instid1(VALU_DEP_1)
	v_div_fmas_f64 v[52:53], v[52:53], v[54:55], v[106:107]
	v_div_fixup_f64 v[134:135], v[52:53], v[42:43], 1.0
	s_delay_alu instid0(VALU_DEP_1)
	v_mul_f64 v[132:133], v[40:41], v[134:135]
	v_xor_b32_e32 v135, 0x80000000, v135
.LBB64_385:
	s_and_not1_saveexec_b32 s2, s2
	s_cbranch_execz .LBB64_387
; %bb.386:
	s_delay_alu instid0(VALU_DEP_1) | instskip(SKIP_1) | instid1(VALU_DEP_2)
	v_div_scale_f64 v[40:41], null, v[132:133], v[132:133], v[134:135]
	v_div_scale_f64 v[54:55], vcc_lo, v[134:135], v[132:133], v[134:135]
	v_rcp_f64_e32 v[42:43], v[40:41]
	s_waitcnt_depctr 0xfff
	v_fma_f64 v[52:53], -v[40:41], v[42:43], 1.0
	s_delay_alu instid0(VALU_DEP_1) | instskip(NEXT) | instid1(VALU_DEP_1)
	v_fma_f64 v[42:43], v[42:43], v[52:53], v[42:43]
	v_fma_f64 v[52:53], -v[40:41], v[42:43], 1.0
	s_delay_alu instid0(VALU_DEP_1) | instskip(NEXT) | instid1(VALU_DEP_1)
	v_fma_f64 v[42:43], v[42:43], v[52:53], v[42:43]
	v_mul_f64 v[52:53], v[54:55], v[42:43]
	s_delay_alu instid0(VALU_DEP_1) | instskip(NEXT) | instid1(VALU_DEP_1)
	v_fma_f64 v[40:41], -v[40:41], v[52:53], v[54:55]
	v_div_fmas_f64 v[40:41], v[40:41], v[42:43], v[52:53]
	s_delay_alu instid0(VALU_DEP_1) | instskip(NEXT) | instid1(VALU_DEP_1)
	v_div_fixup_f64 v[40:41], v[40:41], v[132:133], v[134:135]
	v_fma_f64 v[42:43], v[134:135], v[40:41], v[132:133]
	s_delay_alu instid0(VALU_DEP_1) | instskip(NEXT) | instid1(VALU_DEP_1)
	v_div_scale_f64 v[52:53], null, v[42:43], v[42:43], 1.0
	v_rcp_f64_e32 v[54:55], v[52:53]
	s_waitcnt_depctr 0xfff
	v_fma_f64 v[104:105], -v[52:53], v[54:55], 1.0
	s_delay_alu instid0(VALU_DEP_1) | instskip(NEXT) | instid1(VALU_DEP_1)
	v_fma_f64 v[54:55], v[54:55], v[104:105], v[54:55]
	v_fma_f64 v[104:105], -v[52:53], v[54:55], 1.0
	s_delay_alu instid0(VALU_DEP_1) | instskip(SKIP_1) | instid1(VALU_DEP_1)
	v_fma_f64 v[54:55], v[54:55], v[104:105], v[54:55]
	v_div_scale_f64 v[104:105], vcc_lo, 1.0, v[42:43], 1.0
	v_mul_f64 v[106:107], v[104:105], v[54:55]
	s_delay_alu instid0(VALU_DEP_1) | instskip(NEXT) | instid1(VALU_DEP_1)
	v_fma_f64 v[52:53], -v[52:53], v[106:107], v[104:105]
	v_div_fmas_f64 v[52:53], v[52:53], v[54:55], v[106:107]
	s_delay_alu instid0(VALU_DEP_1) | instskip(NEXT) | instid1(VALU_DEP_1)
	v_div_fixup_f64 v[132:133], v[52:53], v[42:43], 1.0
	v_mul_f64 v[134:135], v[40:41], -v[132:133]
.LBB64_387:
	s_or_b32 exec_lo, exec_lo, s2
.LBB64_388:
	s_delay_alu instid0(SALU_CYCLE_1) | instskip(NEXT) | instid1(SALU_CYCLE_1)
	s_or_b32 exec_lo, exec_lo, s3
	s_mov_b32 s2, exec_lo
	v_cmpx_ne_u32_e64 v174, v140
	s_xor_b32 s2, exec_lo, s2
	s_cbranch_execz .LBB64_394
; %bb.389:
	s_mov_b32 s3, exec_lo
	v_cmpx_eq_u32_e32 18, v174
	s_cbranch_execz .LBB64_393
; %bb.390:
	v_cmp_ne_u32_e32 vcc_lo, 18, v140
	s_xor_b32 s6, s4, -1
	s_delay_alu instid0(SALU_CYCLE_1) | instskip(NEXT) | instid1(SALU_CYCLE_1)
	s_and_b32 s7, s6, vcc_lo
	s_and_saveexec_b32 s6, s7
	s_cbranch_execz .LBB64_392
; %bb.391:
	scratch_load_b64 v[0:1], off, off offset:48 ; 8-byte Folded Reload
	v_ashrrev_i32_e32 v141, 31, v140
	s_delay_alu instid0(VALU_DEP_1) | instskip(SKIP_1) | instid1(VALU_DEP_1)
	v_lshlrev_b64 v[40:41], 2, v[140:141]
	s_waitcnt vmcnt(0)
	v_add_co_u32 v40, vcc_lo, v0, v40
	s_delay_alu instid0(VALU_DEP_2)
	v_add_co_ci_u32_e32 v41, vcc_lo, v1, v41, vcc_lo
	s_clause 0x1
	flat_load_b32 v42, v[40:41]
	flat_load_b32 v43, v[0:1] offset:72
	s_waitcnt vmcnt(1) lgkmcnt(1)
	flat_store_b32 v[0:1], v42 offset:72
	s_waitcnt vmcnt(0) lgkmcnt(1)
	flat_store_b32 v[40:41], v43
.LBB64_392:
	s_or_b32 exec_lo, exec_lo, s6
	v_mov_b32_e32 v174, v140
	v_mov_b32_e32 v173, v140
.LBB64_393:
	s_or_b32 exec_lo, exec_lo, s3
.LBB64_394:
	s_and_not1_saveexec_b32 s2, s2
	s_cbranch_execz .LBB64_396
; %bb.395:
	v_mov_b32_e32 v174, 18
	ds_store_2addr_b64 v172, v[60:61], v[62:63] offset0:38 offset1:39
	ds_store_2addr_b64 v172, v[56:57], v[58:59] offset0:40 offset1:41
	;; [unrolled: 1-line block ×14, first 2 shown]
.LBB64_396:
	s_or_b32 exec_lo, exec_lo, s2
	s_delay_alu instid0(SALU_CYCLE_1)
	s_mov_b32 s2, exec_lo
	s_waitcnt lgkmcnt(0)
	s_waitcnt_vscnt null, 0x0
	s_barrier
	buffer_gl0_inv
	v_cmpx_lt_i32_e32 18, v174
	s_cbranch_execz .LBB64_398
; %bb.397:
	v_mul_f64 v[40:41], v[132:133], v[66:67]
	v_mul_f64 v[42:43], v[134:135], v[66:67]
	s_delay_alu instid0(VALU_DEP_2) | instskip(NEXT) | instid1(VALU_DEP_2)
	v_fma_f64 v[40:41], v[134:135], v[64:65], v[40:41]
	v_fma_f64 v[64:65], v[132:133], v[64:65], -v[42:43]
	ds_load_2addr_b64 v[132:135], v172 offset0:38 offset1:39
	ds_load_2addr_b64 v[140:143], v172 offset0:40 offset1:41
	s_waitcnt lgkmcnt(1)
	v_mul_f64 v[42:43], v[134:135], v[40:41]
	v_mul_f64 v[52:53], v[132:133], v[40:41]
	s_waitcnt lgkmcnt(0)
	v_mul_f64 v[54:55], v[142:143], v[40:41]
	v_mul_f64 v[66:67], v[140:141], v[40:41]
	s_delay_alu instid0(VALU_DEP_4) | instskip(NEXT) | instid1(VALU_DEP_4)
	v_fma_f64 v[42:43], v[132:133], v[64:65], -v[42:43]
	v_fma_f64 v[52:53], v[134:135], v[64:65], v[52:53]
	s_delay_alu instid0(VALU_DEP_4) | instskip(NEXT) | instid1(VALU_DEP_4)
	v_fma_f64 v[54:55], v[140:141], v[64:65], -v[54:55]
	v_fma_f64 v[66:67], v[142:143], v[64:65], v[66:67]
	ds_load_2addr_b64 v[132:135], v172 offset0:42 offset1:43
	ds_load_2addr_b64 v[140:143], v172 offset0:44 offset1:45
	s_waitcnt lgkmcnt(1)
	v_mul_f64 v[104:105], v[134:135], v[40:41]
	v_mul_f64 v[106:107], v[132:133], v[40:41]
	s_waitcnt lgkmcnt(0)
	v_mul_f64 v[128:129], v[142:143], v[40:41]
	v_mul_f64 v[130:131], v[140:141], v[40:41]
	v_add_f64 v[60:61], v[60:61], -v[42:43]
	v_add_f64 v[62:63], v[62:63], -v[52:53]
	;; [unrolled: 1-line block ×4, first 2 shown]
	v_dual_mov_b32 v67, v41 :: v_dual_mov_b32 v66, v40
	v_fma_f64 v[104:105], v[132:133], v[64:65], -v[104:105]
	v_fma_f64 v[106:107], v[134:135], v[64:65], v[106:107]
	v_fma_f64 v[128:129], v[140:141], v[64:65], -v[128:129]
	v_fma_f64 v[130:131], v[142:143], v[64:65], v[130:131]
	ds_load_2addr_b64 v[132:135], v172 offset0:46 offset1:47
	ds_load_2addr_b64 v[140:143], v172 offset0:48 offset1:49
	s_waitcnt lgkmcnt(1)
	v_mul_f64 v[136:137], v[134:135], v[40:41]
	v_add_f64 v[48:49], v[48:49], -v[104:105]
	v_add_f64 v[50:51], v[50:51], -v[106:107]
	;; [unrolled: 1-line block ×4, first 2 shown]
	v_fma_f64 v[136:137], v[132:133], v[64:65], -v[136:137]
	v_mul_f64 v[132:133], v[132:133], v[40:41]
	s_delay_alu instid0(VALU_DEP_2) | instskip(NEXT) | instid1(VALU_DEP_2)
	v_add_f64 v[36:37], v[36:37], -v[136:137]
	v_fma_f64 v[138:139], v[134:135], v[64:65], v[132:133]
	s_waitcnt lgkmcnt(0)
	v_mul_f64 v[132:133], v[142:143], v[40:41]
	s_delay_alu instid0(VALU_DEP_2) | instskip(NEXT) | instid1(VALU_DEP_2)
	v_add_f64 v[38:39], v[38:39], -v[138:139]
	v_fma_f64 v[144:145], v[140:141], v[64:65], -v[132:133]
	v_mul_f64 v[132:133], v[140:141], v[40:41]
	s_delay_alu instid0(VALU_DEP_2) | instskip(NEXT) | instid1(VALU_DEP_2)
	v_add_f64 v[32:33], v[32:33], -v[144:145]
	v_fma_f64 v[146:147], v[142:143], v[64:65], v[132:133]
	ds_load_2addr_b64 v[132:135], v172 offset0:50 offset1:51
	ds_load_2addr_b64 v[140:143], v172 offset0:52 offset1:53
	s_waitcnt lgkmcnt(1)
	v_mul_f64 v[148:149], v[134:135], v[40:41]
	v_add_f64 v[34:35], v[34:35], -v[146:147]
	s_delay_alu instid0(VALU_DEP_2) | instskip(SKIP_1) | instid1(VALU_DEP_2)
	v_fma_f64 v[148:149], v[132:133], v[64:65], -v[148:149]
	v_mul_f64 v[132:133], v[132:133], v[40:41]
	v_add_f64 v[28:29], v[28:29], -v[148:149]
	s_delay_alu instid0(VALU_DEP_2) | instskip(SKIP_2) | instid1(VALU_DEP_2)
	v_fma_f64 v[150:151], v[134:135], v[64:65], v[132:133]
	s_waitcnt lgkmcnt(0)
	v_mul_f64 v[132:133], v[142:143], v[40:41]
	v_add_f64 v[30:31], v[30:31], -v[150:151]
	s_delay_alu instid0(VALU_DEP_2) | instskip(SKIP_1) | instid1(VALU_DEP_2)
	v_fma_f64 v[152:153], v[140:141], v[64:65], -v[132:133]
	v_mul_f64 v[132:133], v[140:141], v[40:41]
	v_add_f64 v[24:25], v[24:25], -v[152:153]
	s_delay_alu instid0(VALU_DEP_2)
	v_fma_f64 v[154:155], v[142:143], v[64:65], v[132:133]
	ds_load_2addr_b64 v[132:135], v172 offset0:54 offset1:55
	ds_load_2addr_b64 v[140:143], v172 offset0:56 offset1:57
	s_waitcnt lgkmcnt(1)
	v_mul_f64 v[156:157], v[134:135], v[40:41]
	v_add_f64 v[26:27], v[26:27], -v[154:155]
	s_delay_alu instid0(VALU_DEP_2) | instskip(SKIP_1) | instid1(VALU_DEP_2)
	v_fma_f64 v[156:157], v[132:133], v[64:65], -v[156:157]
	v_mul_f64 v[132:133], v[132:133], v[40:41]
	v_add_f64 v[20:21], v[20:21], -v[156:157]
	s_delay_alu instid0(VALU_DEP_2) | instskip(SKIP_2) | instid1(VALU_DEP_2)
	v_fma_f64 v[158:159], v[134:135], v[64:65], v[132:133]
	s_waitcnt lgkmcnt(0)
	v_mul_f64 v[132:133], v[142:143], v[40:41]
	v_add_f64 v[22:23], v[22:23], -v[158:159]
	s_delay_alu instid0(VALU_DEP_2) | instskip(SKIP_1) | instid1(VALU_DEP_2)
	v_fma_f64 v[160:161], v[140:141], v[64:65], -v[132:133]
	v_mul_f64 v[132:133], v[140:141], v[40:41]
	v_add_f64 v[16:17], v[16:17], -v[160:161]
	s_delay_alu instid0(VALU_DEP_2)
	;; [unrolled: 20-line block ×3, first 2 shown]
	v_fma_f64 v[177:178], v[142:143], v[64:65], v[132:133]
	ds_load_2addr_b64 v[132:135], v172 offset0:62 offset1:63
	ds_load_2addr_b64 v[140:143], v172 offset0:64 offset1:65
	s_waitcnt lgkmcnt(1)
	v_mul_f64 v[179:180], v[134:135], v[40:41]
	v_add_f64 v[10:11], v[10:11], -v[177:178]
	s_delay_alu instid0(VALU_DEP_2) | instskip(SKIP_1) | instid1(VALU_DEP_2)
	v_fma_f64 v[179:180], v[132:133], v[64:65], -v[179:180]
	v_mul_f64 v[132:133], v[132:133], v[40:41]
	v_add_f64 v[243:244], v[243:244], -v[179:180]
	s_delay_alu instid0(VALU_DEP_2) | instskip(SKIP_2) | instid1(VALU_DEP_2)
	v_fma_f64 v[132:133], v[134:135], v[64:65], v[132:133]
	s_waitcnt lgkmcnt(0)
	v_mul_f64 v[134:135], v[142:143], v[40:41]
	v_add_f64 v[245:246], v[245:246], -v[132:133]
	s_delay_alu instid0(VALU_DEP_2) | instskip(SKIP_1) | instid1(VALU_DEP_2)
	v_fma_f64 v[134:135], v[140:141], v[64:65], -v[134:135]
	v_mul_f64 v[140:141], v[140:141], v[40:41]
	v_add_f64 v[237:238], v[237:238], -v[134:135]
	s_delay_alu instid0(VALU_DEP_2) | instskip(NEXT) | instid1(VALU_DEP_1)
	v_fma_f64 v[140:141], v[142:143], v[64:65], v[140:141]
	v_add_f64 v[239:240], v[239:240], -v[140:141]
.LBB64_398:
	s_or_b32 exec_lo, exec_lo, s2
	v_lshl_add_u32 v40, v174, 4, v172
	s_barrier
	buffer_gl0_inv
	v_mov_b32_e32 v140, 19
	ds_store_2addr_b64 v40, v[60:61], v[62:63] offset1:1
	s_waitcnt lgkmcnt(0)
	s_barrier
	buffer_gl0_inv
	ds_load_2addr_b64 v[132:135], v172 offset0:38 offset1:39
	s_cmp_lt_i32 s5, 21
	s_cbranch_scc1 .LBB64_401
; %bb.399:
	v_add3_u32 v141, v170, 0, 0x140
	v_mov_b32_e32 v140, 19
	s_mov_b32 s6, 20
	s_set_inst_prefetch_distance 0x1
	.p2align	6
.LBB64_400:                             ; =>This Inner Loop Header: Depth=1
	ds_load_2addr_b64 v[142:145], v141 offset1:1
	s_waitcnt lgkmcnt(1)
	v_cmp_gt_f64_e32 vcc_lo, 0, v[132:133]
	v_xor_b32_e32 v40, 0x80000000, v133
	v_cmp_gt_f64_e64 s2, 0, v[134:135]
	v_xor_b32_e32 v42, 0x80000000, v135
	v_add_nc_u32_e32 v141, 16, v141
	s_waitcnt lgkmcnt(0)
	v_cmp_gt_f64_e64 s3, 0, v[142:143]
	v_mov_b32_e32 v52, v142
	v_dual_mov_b32 v54, v144 :: v_dual_cndmask_b32 v41, v133, v40
	v_xor_b32_e32 v40, 0x80000000, v143
	v_cndmask_b32_e64 v43, v135, v42, s2
	v_xor_b32_e32 v42, 0x80000000, v145
	s_delay_alu instid0(VALU_DEP_3) | instskip(SKIP_2) | instid1(VALU_DEP_2)
	v_cndmask_b32_e64 v53, v143, v40, s3
	v_cmp_gt_f64_e64 s3, 0, v[144:145]
	v_cndmask_b32_e32 v40, v132, v132, vcc_lo
	v_cndmask_b32_e64 v55, v145, v42, s3
	v_cndmask_b32_e64 v42, v134, v134, s2
	s_delay_alu instid0(VALU_DEP_2) | instskip(NEXT) | instid1(VALU_DEP_2)
	v_add_f64 v[52:53], v[52:53], v[54:55]
	v_add_f64 v[40:41], v[40:41], v[42:43]
	s_delay_alu instid0(VALU_DEP_1)
	v_cmp_lt_f64_e32 vcc_lo, v[40:41], v[52:53]
	v_cndmask_b32_e32 v135, v135, v145, vcc_lo
	v_dual_cndmask_b32 v133, v133, v143 :: v_dual_cndmask_b32 v132, v132, v142
	v_cndmask_b32_e32 v134, v134, v144, vcc_lo
	v_cndmask_b32_e64 v140, v140, s6, vcc_lo
	s_add_i32 s6, s6, 1
	s_delay_alu instid0(SALU_CYCLE_1)
	s_cmp_lg_u32 s5, s6
	s_cbranch_scc1 .LBB64_400
.LBB64_401:
	s_set_inst_prefetch_distance 0x2
	s_waitcnt lgkmcnt(0)
	v_cmp_eq_f64_e32 vcc_lo, 0, v[132:133]
	v_cmp_eq_f64_e64 s2, 0, v[134:135]
	s_delay_alu instid0(VALU_DEP_1) | instskip(NEXT) | instid1(SALU_CYCLE_1)
	s_and_b32 s2, vcc_lo, s2
	s_and_saveexec_b32 s3, s2
	s_delay_alu instid0(SALU_CYCLE_1)
	s_xor_b32 s2, exec_lo, s3
; %bb.402:
	v_cmp_ne_u32_e32 vcc_lo, 0, v255
	v_cndmask_b32_e32 v255, 20, v255, vcc_lo
; %bb.403:
	s_and_not1_saveexec_b32 s3, s2
	s_cbranch_execz .LBB64_409
; %bb.404:
	v_cmp_gt_f64_e32 vcc_lo, 0, v[132:133]
	v_cmp_gt_f64_e64 s2, 0, v[134:135]
	v_xor_b32_e32 v40, 0x80000000, v133
	v_xor_b32_e32 v42, 0x80000000, v135
	s_delay_alu instid0(VALU_DEP_2) | instskip(NEXT) | instid1(VALU_DEP_2)
	v_cndmask_b32_e32 v41, v133, v40, vcc_lo
	v_cndmask_b32_e64 v43, v135, v42, s2
	v_cndmask_b32_e32 v40, v132, v132, vcc_lo
	v_cndmask_b32_e64 v42, v134, v134, s2
	s_mov_b32 s2, exec_lo
	s_delay_alu instid0(VALU_DEP_1)
	v_cmpx_ngt_f64_e32 v[40:41], v[42:43]
	s_xor_b32 s2, exec_lo, s2
	s_cbranch_execz .LBB64_406
; %bb.405:
	v_div_scale_f64 v[40:41], null, v[134:135], v[134:135], v[132:133]
	v_div_scale_f64 v[54:55], vcc_lo, v[132:133], v[134:135], v[132:133]
	s_delay_alu instid0(VALU_DEP_2) | instskip(SKIP_2) | instid1(VALU_DEP_1)
	v_rcp_f64_e32 v[42:43], v[40:41]
	s_waitcnt_depctr 0xfff
	v_fma_f64 v[52:53], -v[40:41], v[42:43], 1.0
	v_fma_f64 v[42:43], v[42:43], v[52:53], v[42:43]
	s_delay_alu instid0(VALU_DEP_1) | instskip(NEXT) | instid1(VALU_DEP_1)
	v_fma_f64 v[52:53], -v[40:41], v[42:43], 1.0
	v_fma_f64 v[42:43], v[42:43], v[52:53], v[42:43]
	s_delay_alu instid0(VALU_DEP_1) | instskip(NEXT) | instid1(VALU_DEP_1)
	v_mul_f64 v[52:53], v[54:55], v[42:43]
	v_fma_f64 v[40:41], -v[40:41], v[52:53], v[54:55]
	s_delay_alu instid0(VALU_DEP_1) | instskip(NEXT) | instid1(VALU_DEP_1)
	v_div_fmas_f64 v[40:41], v[40:41], v[42:43], v[52:53]
	v_div_fixup_f64 v[40:41], v[40:41], v[134:135], v[132:133]
	s_delay_alu instid0(VALU_DEP_1) | instskip(NEXT) | instid1(VALU_DEP_1)
	v_fma_f64 v[42:43], v[132:133], v[40:41], v[134:135]
	v_div_scale_f64 v[52:53], null, v[42:43], v[42:43], 1.0
	s_delay_alu instid0(VALU_DEP_1) | instskip(SKIP_2) | instid1(VALU_DEP_1)
	v_rcp_f64_e32 v[54:55], v[52:53]
	s_waitcnt_depctr 0xfff
	v_fma_f64 v[104:105], -v[52:53], v[54:55], 1.0
	v_fma_f64 v[54:55], v[54:55], v[104:105], v[54:55]
	s_delay_alu instid0(VALU_DEP_1) | instskip(NEXT) | instid1(VALU_DEP_1)
	v_fma_f64 v[104:105], -v[52:53], v[54:55], 1.0
	v_fma_f64 v[54:55], v[54:55], v[104:105], v[54:55]
	v_div_scale_f64 v[104:105], vcc_lo, 1.0, v[42:43], 1.0
	s_delay_alu instid0(VALU_DEP_1) | instskip(NEXT) | instid1(VALU_DEP_1)
	v_mul_f64 v[106:107], v[104:105], v[54:55]
	v_fma_f64 v[52:53], -v[52:53], v[106:107], v[104:105]
	s_delay_alu instid0(VALU_DEP_1) | instskip(NEXT) | instid1(VALU_DEP_1)
	v_div_fmas_f64 v[52:53], v[52:53], v[54:55], v[106:107]
	v_div_fixup_f64 v[134:135], v[52:53], v[42:43], 1.0
	s_delay_alu instid0(VALU_DEP_1)
	v_mul_f64 v[132:133], v[40:41], v[134:135]
	v_xor_b32_e32 v135, 0x80000000, v135
.LBB64_406:
	s_and_not1_saveexec_b32 s2, s2
	s_cbranch_execz .LBB64_408
; %bb.407:
	s_delay_alu instid0(VALU_DEP_1) | instskip(SKIP_1) | instid1(VALU_DEP_2)
	v_div_scale_f64 v[40:41], null, v[132:133], v[132:133], v[134:135]
	v_div_scale_f64 v[54:55], vcc_lo, v[134:135], v[132:133], v[134:135]
	v_rcp_f64_e32 v[42:43], v[40:41]
	s_waitcnt_depctr 0xfff
	v_fma_f64 v[52:53], -v[40:41], v[42:43], 1.0
	s_delay_alu instid0(VALU_DEP_1) | instskip(NEXT) | instid1(VALU_DEP_1)
	v_fma_f64 v[42:43], v[42:43], v[52:53], v[42:43]
	v_fma_f64 v[52:53], -v[40:41], v[42:43], 1.0
	s_delay_alu instid0(VALU_DEP_1) | instskip(NEXT) | instid1(VALU_DEP_1)
	v_fma_f64 v[42:43], v[42:43], v[52:53], v[42:43]
	v_mul_f64 v[52:53], v[54:55], v[42:43]
	s_delay_alu instid0(VALU_DEP_1) | instskip(NEXT) | instid1(VALU_DEP_1)
	v_fma_f64 v[40:41], -v[40:41], v[52:53], v[54:55]
	v_div_fmas_f64 v[40:41], v[40:41], v[42:43], v[52:53]
	s_delay_alu instid0(VALU_DEP_1) | instskip(NEXT) | instid1(VALU_DEP_1)
	v_div_fixup_f64 v[40:41], v[40:41], v[132:133], v[134:135]
	v_fma_f64 v[42:43], v[134:135], v[40:41], v[132:133]
	s_delay_alu instid0(VALU_DEP_1) | instskip(NEXT) | instid1(VALU_DEP_1)
	v_div_scale_f64 v[52:53], null, v[42:43], v[42:43], 1.0
	v_rcp_f64_e32 v[54:55], v[52:53]
	s_waitcnt_depctr 0xfff
	v_fma_f64 v[104:105], -v[52:53], v[54:55], 1.0
	s_delay_alu instid0(VALU_DEP_1) | instskip(NEXT) | instid1(VALU_DEP_1)
	v_fma_f64 v[54:55], v[54:55], v[104:105], v[54:55]
	v_fma_f64 v[104:105], -v[52:53], v[54:55], 1.0
	s_delay_alu instid0(VALU_DEP_1) | instskip(SKIP_1) | instid1(VALU_DEP_1)
	v_fma_f64 v[54:55], v[54:55], v[104:105], v[54:55]
	v_div_scale_f64 v[104:105], vcc_lo, 1.0, v[42:43], 1.0
	v_mul_f64 v[106:107], v[104:105], v[54:55]
	s_delay_alu instid0(VALU_DEP_1) | instskip(NEXT) | instid1(VALU_DEP_1)
	v_fma_f64 v[52:53], -v[52:53], v[106:107], v[104:105]
	v_div_fmas_f64 v[52:53], v[52:53], v[54:55], v[106:107]
	s_delay_alu instid0(VALU_DEP_1) | instskip(NEXT) | instid1(VALU_DEP_1)
	v_div_fixup_f64 v[132:133], v[52:53], v[42:43], 1.0
	v_mul_f64 v[134:135], v[40:41], -v[132:133]
.LBB64_408:
	s_or_b32 exec_lo, exec_lo, s2
.LBB64_409:
	s_delay_alu instid0(SALU_CYCLE_1) | instskip(NEXT) | instid1(SALU_CYCLE_1)
	s_or_b32 exec_lo, exec_lo, s3
	s_mov_b32 s2, exec_lo
	v_cmpx_ne_u32_e64 v174, v140
	s_xor_b32 s2, exec_lo, s2
	s_cbranch_execz .LBB64_415
; %bb.410:
	s_mov_b32 s3, exec_lo
	v_cmpx_eq_u32_e32 19, v174
	s_cbranch_execz .LBB64_414
; %bb.411:
	v_cmp_ne_u32_e32 vcc_lo, 19, v140
	s_xor_b32 s6, s4, -1
	s_delay_alu instid0(SALU_CYCLE_1) | instskip(NEXT) | instid1(SALU_CYCLE_1)
	s_and_b32 s7, s6, vcc_lo
	s_and_saveexec_b32 s6, s7
	s_cbranch_execz .LBB64_413
; %bb.412:
	scratch_load_b64 v[0:1], off, off offset:48 ; 8-byte Folded Reload
	v_ashrrev_i32_e32 v141, 31, v140
	s_delay_alu instid0(VALU_DEP_1) | instskip(SKIP_1) | instid1(VALU_DEP_1)
	v_lshlrev_b64 v[40:41], 2, v[140:141]
	s_waitcnt vmcnt(0)
	v_add_co_u32 v40, vcc_lo, v0, v40
	s_delay_alu instid0(VALU_DEP_2)
	v_add_co_ci_u32_e32 v41, vcc_lo, v1, v41, vcc_lo
	s_clause 0x1
	flat_load_b32 v42, v[40:41]
	flat_load_b32 v43, v[0:1] offset:76
	s_waitcnt vmcnt(1) lgkmcnt(1)
	flat_store_b32 v[0:1], v42 offset:76
	s_waitcnt vmcnt(0) lgkmcnt(1)
	flat_store_b32 v[40:41], v43
.LBB64_413:
	s_or_b32 exec_lo, exec_lo, s6
	v_mov_b32_e32 v174, v140
	v_mov_b32_e32 v173, v140
.LBB64_414:
	s_or_b32 exec_lo, exec_lo, s3
.LBB64_415:
	s_and_not1_saveexec_b32 s2, s2
	s_cbranch_execz .LBB64_417
; %bb.416:
	v_mov_b32_e32 v174, 19
	ds_store_2addr_b64 v172, v[56:57], v[58:59] offset0:40 offset1:41
	ds_store_2addr_b64 v172, v[48:49], v[50:51] offset0:42 offset1:43
	;; [unrolled: 1-line block ×13, first 2 shown]
.LBB64_417:
	s_or_b32 exec_lo, exec_lo, s2
	s_delay_alu instid0(SALU_CYCLE_1)
	s_mov_b32 s2, exec_lo
	s_waitcnt lgkmcnt(0)
	s_waitcnt_vscnt null, 0x0
	s_barrier
	buffer_gl0_inv
	v_cmpx_lt_i32_e32 19, v174
	s_cbranch_execz .LBB64_419
; %bb.418:
	v_mul_f64 v[40:41], v[132:133], v[62:63]
	v_mul_f64 v[42:43], v[134:135], v[62:63]
	ds_load_2addr_b64 v[140:143], v172 offset0:40 offset1:41
	ds_load_2addr_b64 v[144:147], v172 offset0:42 offset1:43
	;; [unrolled: 1-line block ×13, first 2 shown]
	v_fma_f64 v[40:41], v[134:135], v[60:61], v[40:41]
	v_fma_f64 v[60:61], v[132:133], v[60:61], -v[42:43]
	s_waitcnt lgkmcnt(12)
	s_delay_alu instid0(VALU_DEP_2)
	v_mul_f64 v[42:43], v[142:143], v[40:41]
	v_mul_f64 v[52:53], v[140:141], v[40:41]
	s_waitcnt lgkmcnt(11)
	v_mul_f64 v[54:55], v[146:147], v[40:41]
	v_mul_f64 v[62:63], v[144:145], v[40:41]
	s_waitcnt lgkmcnt(10)
	;; [unrolled: 3-line block ×12, first 2 shown]
	v_mul_f64 v[223:224], v[197:198], v[40:41]
	v_mul_f64 v[225:226], v[195:196], v[40:41]
	v_fma_f64 v[42:43], v[140:141], v[60:61], -v[42:43]
	v_fma_f64 v[52:53], v[142:143], v[60:61], v[52:53]
	v_fma_f64 v[54:55], v[144:145], v[60:61], -v[54:55]
	v_fma_f64 v[62:63], v[146:147], v[60:61], v[62:63]
	;; [unrolled: 2-line block ×13, first 2 shown]
	v_add_f64 v[56:57], v[56:57], -v[42:43]
	v_add_f64 v[58:59], v[58:59], -v[52:53]
	;; [unrolled: 1-line block ×26, first 2 shown]
	v_dual_mov_b32 v63, v41 :: v_dual_mov_b32 v62, v40
.LBB64_419:
	s_or_b32 exec_lo, exec_lo, s2
	v_lshl_add_u32 v40, v174, 4, v172
	s_barrier
	buffer_gl0_inv
	v_mov_b32_e32 v140, 20
	ds_store_2addr_b64 v40, v[56:57], v[58:59] offset1:1
	s_waitcnt lgkmcnt(0)
	s_barrier
	buffer_gl0_inv
	ds_load_2addr_b64 v[132:135], v172 offset0:40 offset1:41
	s_cmp_lt_i32 s5, 22
	s_cbranch_scc1 .LBB64_422
; %bb.420:
	v_add3_u32 v141, v170, 0, 0x150
	v_mov_b32_e32 v140, 20
	s_mov_b32 s6, 21
	s_set_inst_prefetch_distance 0x1
	.p2align	6
.LBB64_421:                             ; =>This Inner Loop Header: Depth=1
	ds_load_2addr_b64 v[142:145], v141 offset1:1
	s_waitcnt lgkmcnt(1)
	v_cmp_gt_f64_e32 vcc_lo, 0, v[132:133]
	v_xor_b32_e32 v40, 0x80000000, v133
	v_cmp_gt_f64_e64 s2, 0, v[134:135]
	v_xor_b32_e32 v42, 0x80000000, v135
	v_add_nc_u32_e32 v141, 16, v141
	s_waitcnt lgkmcnt(0)
	v_cmp_gt_f64_e64 s3, 0, v[142:143]
	v_mov_b32_e32 v52, v142
	v_dual_mov_b32 v54, v144 :: v_dual_cndmask_b32 v41, v133, v40
	v_xor_b32_e32 v40, 0x80000000, v143
	v_cndmask_b32_e64 v43, v135, v42, s2
	v_xor_b32_e32 v42, 0x80000000, v145
	s_delay_alu instid0(VALU_DEP_3) | instskip(SKIP_2) | instid1(VALU_DEP_2)
	v_cndmask_b32_e64 v53, v143, v40, s3
	v_cmp_gt_f64_e64 s3, 0, v[144:145]
	v_cndmask_b32_e32 v40, v132, v132, vcc_lo
	v_cndmask_b32_e64 v55, v145, v42, s3
	v_cndmask_b32_e64 v42, v134, v134, s2
	s_delay_alu instid0(VALU_DEP_2) | instskip(NEXT) | instid1(VALU_DEP_2)
	v_add_f64 v[52:53], v[52:53], v[54:55]
	v_add_f64 v[40:41], v[40:41], v[42:43]
	s_delay_alu instid0(VALU_DEP_1)
	v_cmp_lt_f64_e32 vcc_lo, v[40:41], v[52:53]
	v_cndmask_b32_e32 v135, v135, v145, vcc_lo
	v_dual_cndmask_b32 v133, v133, v143 :: v_dual_cndmask_b32 v132, v132, v142
	v_cndmask_b32_e32 v134, v134, v144, vcc_lo
	v_cndmask_b32_e64 v140, v140, s6, vcc_lo
	s_add_i32 s6, s6, 1
	s_delay_alu instid0(SALU_CYCLE_1)
	s_cmp_lg_u32 s5, s6
	s_cbranch_scc1 .LBB64_421
.LBB64_422:
	s_set_inst_prefetch_distance 0x2
	s_waitcnt lgkmcnt(0)
	v_cmp_eq_f64_e32 vcc_lo, 0, v[132:133]
	v_cmp_eq_f64_e64 s2, 0, v[134:135]
	s_delay_alu instid0(VALU_DEP_1) | instskip(NEXT) | instid1(SALU_CYCLE_1)
	s_and_b32 s2, vcc_lo, s2
	s_and_saveexec_b32 s3, s2
	s_delay_alu instid0(SALU_CYCLE_1)
	s_xor_b32 s2, exec_lo, s3
; %bb.423:
	v_cmp_ne_u32_e32 vcc_lo, 0, v255
	v_cndmask_b32_e32 v255, 21, v255, vcc_lo
; %bb.424:
	s_and_not1_saveexec_b32 s3, s2
	s_cbranch_execz .LBB64_430
; %bb.425:
	v_cmp_gt_f64_e32 vcc_lo, 0, v[132:133]
	v_cmp_gt_f64_e64 s2, 0, v[134:135]
	v_xor_b32_e32 v40, 0x80000000, v133
	v_xor_b32_e32 v42, 0x80000000, v135
	s_delay_alu instid0(VALU_DEP_2) | instskip(NEXT) | instid1(VALU_DEP_2)
	v_cndmask_b32_e32 v41, v133, v40, vcc_lo
	v_cndmask_b32_e64 v43, v135, v42, s2
	v_cndmask_b32_e32 v40, v132, v132, vcc_lo
	v_cndmask_b32_e64 v42, v134, v134, s2
	s_mov_b32 s2, exec_lo
	s_delay_alu instid0(VALU_DEP_1)
	v_cmpx_ngt_f64_e32 v[40:41], v[42:43]
	s_xor_b32 s2, exec_lo, s2
	s_cbranch_execz .LBB64_427
; %bb.426:
	v_div_scale_f64 v[40:41], null, v[134:135], v[134:135], v[132:133]
	v_div_scale_f64 v[54:55], vcc_lo, v[132:133], v[134:135], v[132:133]
	s_delay_alu instid0(VALU_DEP_2) | instskip(SKIP_2) | instid1(VALU_DEP_1)
	v_rcp_f64_e32 v[42:43], v[40:41]
	s_waitcnt_depctr 0xfff
	v_fma_f64 v[52:53], -v[40:41], v[42:43], 1.0
	v_fma_f64 v[42:43], v[42:43], v[52:53], v[42:43]
	s_delay_alu instid0(VALU_DEP_1) | instskip(NEXT) | instid1(VALU_DEP_1)
	v_fma_f64 v[52:53], -v[40:41], v[42:43], 1.0
	v_fma_f64 v[42:43], v[42:43], v[52:53], v[42:43]
	s_delay_alu instid0(VALU_DEP_1) | instskip(NEXT) | instid1(VALU_DEP_1)
	v_mul_f64 v[52:53], v[54:55], v[42:43]
	v_fma_f64 v[40:41], -v[40:41], v[52:53], v[54:55]
	s_delay_alu instid0(VALU_DEP_1) | instskip(NEXT) | instid1(VALU_DEP_1)
	v_div_fmas_f64 v[40:41], v[40:41], v[42:43], v[52:53]
	v_div_fixup_f64 v[40:41], v[40:41], v[134:135], v[132:133]
	s_delay_alu instid0(VALU_DEP_1) | instskip(NEXT) | instid1(VALU_DEP_1)
	v_fma_f64 v[42:43], v[132:133], v[40:41], v[134:135]
	v_div_scale_f64 v[52:53], null, v[42:43], v[42:43], 1.0
	s_delay_alu instid0(VALU_DEP_1) | instskip(SKIP_2) | instid1(VALU_DEP_1)
	v_rcp_f64_e32 v[54:55], v[52:53]
	s_waitcnt_depctr 0xfff
	v_fma_f64 v[104:105], -v[52:53], v[54:55], 1.0
	v_fma_f64 v[54:55], v[54:55], v[104:105], v[54:55]
	s_delay_alu instid0(VALU_DEP_1) | instskip(NEXT) | instid1(VALU_DEP_1)
	v_fma_f64 v[104:105], -v[52:53], v[54:55], 1.0
	v_fma_f64 v[54:55], v[54:55], v[104:105], v[54:55]
	v_div_scale_f64 v[104:105], vcc_lo, 1.0, v[42:43], 1.0
	s_delay_alu instid0(VALU_DEP_1) | instskip(NEXT) | instid1(VALU_DEP_1)
	v_mul_f64 v[106:107], v[104:105], v[54:55]
	v_fma_f64 v[52:53], -v[52:53], v[106:107], v[104:105]
	s_delay_alu instid0(VALU_DEP_1) | instskip(NEXT) | instid1(VALU_DEP_1)
	v_div_fmas_f64 v[52:53], v[52:53], v[54:55], v[106:107]
	v_div_fixup_f64 v[134:135], v[52:53], v[42:43], 1.0
	s_delay_alu instid0(VALU_DEP_1)
	v_mul_f64 v[132:133], v[40:41], v[134:135]
	v_xor_b32_e32 v135, 0x80000000, v135
.LBB64_427:
	s_and_not1_saveexec_b32 s2, s2
	s_cbranch_execz .LBB64_429
; %bb.428:
	s_delay_alu instid0(VALU_DEP_1) | instskip(SKIP_1) | instid1(VALU_DEP_2)
	v_div_scale_f64 v[40:41], null, v[132:133], v[132:133], v[134:135]
	v_div_scale_f64 v[54:55], vcc_lo, v[134:135], v[132:133], v[134:135]
	v_rcp_f64_e32 v[42:43], v[40:41]
	s_waitcnt_depctr 0xfff
	v_fma_f64 v[52:53], -v[40:41], v[42:43], 1.0
	s_delay_alu instid0(VALU_DEP_1) | instskip(NEXT) | instid1(VALU_DEP_1)
	v_fma_f64 v[42:43], v[42:43], v[52:53], v[42:43]
	v_fma_f64 v[52:53], -v[40:41], v[42:43], 1.0
	s_delay_alu instid0(VALU_DEP_1) | instskip(NEXT) | instid1(VALU_DEP_1)
	v_fma_f64 v[42:43], v[42:43], v[52:53], v[42:43]
	v_mul_f64 v[52:53], v[54:55], v[42:43]
	s_delay_alu instid0(VALU_DEP_1) | instskip(NEXT) | instid1(VALU_DEP_1)
	v_fma_f64 v[40:41], -v[40:41], v[52:53], v[54:55]
	v_div_fmas_f64 v[40:41], v[40:41], v[42:43], v[52:53]
	s_delay_alu instid0(VALU_DEP_1) | instskip(NEXT) | instid1(VALU_DEP_1)
	v_div_fixup_f64 v[40:41], v[40:41], v[132:133], v[134:135]
	v_fma_f64 v[42:43], v[134:135], v[40:41], v[132:133]
	s_delay_alu instid0(VALU_DEP_1) | instskip(NEXT) | instid1(VALU_DEP_1)
	v_div_scale_f64 v[52:53], null, v[42:43], v[42:43], 1.0
	v_rcp_f64_e32 v[54:55], v[52:53]
	s_waitcnt_depctr 0xfff
	v_fma_f64 v[104:105], -v[52:53], v[54:55], 1.0
	s_delay_alu instid0(VALU_DEP_1) | instskip(NEXT) | instid1(VALU_DEP_1)
	v_fma_f64 v[54:55], v[54:55], v[104:105], v[54:55]
	v_fma_f64 v[104:105], -v[52:53], v[54:55], 1.0
	s_delay_alu instid0(VALU_DEP_1) | instskip(SKIP_1) | instid1(VALU_DEP_1)
	v_fma_f64 v[54:55], v[54:55], v[104:105], v[54:55]
	v_div_scale_f64 v[104:105], vcc_lo, 1.0, v[42:43], 1.0
	v_mul_f64 v[106:107], v[104:105], v[54:55]
	s_delay_alu instid0(VALU_DEP_1) | instskip(NEXT) | instid1(VALU_DEP_1)
	v_fma_f64 v[52:53], -v[52:53], v[106:107], v[104:105]
	v_div_fmas_f64 v[52:53], v[52:53], v[54:55], v[106:107]
	s_delay_alu instid0(VALU_DEP_1) | instskip(NEXT) | instid1(VALU_DEP_1)
	v_div_fixup_f64 v[132:133], v[52:53], v[42:43], 1.0
	v_mul_f64 v[134:135], v[40:41], -v[132:133]
.LBB64_429:
	s_or_b32 exec_lo, exec_lo, s2
.LBB64_430:
	s_delay_alu instid0(SALU_CYCLE_1) | instskip(NEXT) | instid1(SALU_CYCLE_1)
	s_or_b32 exec_lo, exec_lo, s3
	s_mov_b32 s2, exec_lo
	v_cmpx_ne_u32_e64 v174, v140
	s_xor_b32 s2, exec_lo, s2
	s_cbranch_execz .LBB64_436
; %bb.431:
	s_mov_b32 s3, exec_lo
	v_cmpx_eq_u32_e32 20, v174
	s_cbranch_execz .LBB64_435
; %bb.432:
	v_cmp_ne_u32_e32 vcc_lo, 20, v140
	s_xor_b32 s6, s4, -1
	s_delay_alu instid0(SALU_CYCLE_1) | instskip(NEXT) | instid1(SALU_CYCLE_1)
	s_and_b32 s7, s6, vcc_lo
	s_and_saveexec_b32 s6, s7
	s_cbranch_execz .LBB64_434
; %bb.433:
	scratch_load_b64 v[0:1], off, off offset:48 ; 8-byte Folded Reload
	v_ashrrev_i32_e32 v141, 31, v140
	s_delay_alu instid0(VALU_DEP_1) | instskip(SKIP_1) | instid1(VALU_DEP_1)
	v_lshlrev_b64 v[40:41], 2, v[140:141]
	s_waitcnt vmcnt(0)
	v_add_co_u32 v40, vcc_lo, v0, v40
	s_delay_alu instid0(VALU_DEP_2)
	v_add_co_ci_u32_e32 v41, vcc_lo, v1, v41, vcc_lo
	s_clause 0x1
	flat_load_b32 v42, v[40:41]
	flat_load_b32 v43, v[0:1] offset:80
	s_waitcnt vmcnt(1) lgkmcnt(1)
	flat_store_b32 v[0:1], v42 offset:80
	s_waitcnt vmcnt(0) lgkmcnt(1)
	flat_store_b32 v[40:41], v43
.LBB64_434:
	s_or_b32 exec_lo, exec_lo, s6
	v_mov_b32_e32 v174, v140
	v_mov_b32_e32 v173, v140
.LBB64_435:
	s_or_b32 exec_lo, exec_lo, s3
.LBB64_436:
	s_and_not1_saveexec_b32 s2, s2
	s_cbranch_execz .LBB64_438
; %bb.437:
	v_mov_b32_e32 v174, 20
	ds_store_2addr_b64 v172, v[48:49], v[50:51] offset0:42 offset1:43
	ds_store_2addr_b64 v172, v[44:45], v[46:47] offset0:44 offset1:45
	;; [unrolled: 1-line block ×12, first 2 shown]
.LBB64_438:
	s_or_b32 exec_lo, exec_lo, s2
	s_delay_alu instid0(SALU_CYCLE_1)
	s_mov_b32 s2, exec_lo
	s_waitcnt lgkmcnt(0)
	s_waitcnt_vscnt null, 0x0
	s_barrier
	buffer_gl0_inv
	v_cmpx_lt_i32_e32 20, v174
	s_cbranch_execz .LBB64_440
; %bb.439:
	v_mul_f64 v[40:41], v[132:133], v[58:59]
	v_mul_f64 v[42:43], v[134:135], v[58:59]
	ds_load_2addr_b64 v[140:143], v172 offset0:42 offset1:43
	ds_load_2addr_b64 v[144:147], v172 offset0:44 offset1:45
	;; [unrolled: 1-line block ×12, first 2 shown]
	v_fma_f64 v[40:41], v[134:135], v[56:57], v[40:41]
	v_fma_f64 v[56:57], v[132:133], v[56:57], -v[42:43]
	s_waitcnt lgkmcnt(11)
	s_delay_alu instid0(VALU_DEP_2)
	v_mul_f64 v[42:43], v[142:143], v[40:41]
	v_mul_f64 v[52:53], v[140:141], v[40:41]
	s_waitcnt lgkmcnt(10)
	v_mul_f64 v[54:55], v[146:147], v[40:41]
	v_mul_f64 v[58:59], v[144:145], v[40:41]
	s_waitcnt lgkmcnt(9)
	;; [unrolled: 3-line block ×11, first 2 shown]
	v_mul_f64 v[215:216], v[193:194], v[40:41]
	v_mul_f64 v[217:218], v[191:192], v[40:41]
	v_fma_f64 v[42:43], v[140:141], v[56:57], -v[42:43]
	v_fma_f64 v[52:53], v[142:143], v[56:57], v[52:53]
	v_fma_f64 v[54:55], v[144:145], v[56:57], -v[54:55]
	v_fma_f64 v[58:59], v[146:147], v[56:57], v[58:59]
	;; [unrolled: 2-line block ×12, first 2 shown]
	v_add_f64 v[48:49], v[48:49], -v[42:43]
	v_add_f64 v[50:51], v[50:51], -v[52:53]
	;; [unrolled: 1-line block ×24, first 2 shown]
	v_dual_mov_b32 v59, v41 :: v_dual_mov_b32 v58, v40
.LBB64_440:
	s_or_b32 exec_lo, exec_lo, s2
	v_lshl_add_u32 v40, v174, 4, v172
	s_barrier
	buffer_gl0_inv
	v_mov_b32_e32 v140, 21
	ds_store_2addr_b64 v40, v[48:49], v[50:51] offset1:1
	s_waitcnt lgkmcnt(0)
	s_barrier
	buffer_gl0_inv
	ds_load_2addr_b64 v[132:135], v172 offset0:42 offset1:43
	s_cmp_lt_i32 s5, 23
	s_cbranch_scc1 .LBB64_443
; %bb.441:
	v_add3_u32 v141, v170, 0, 0x160
	v_mov_b32_e32 v140, 21
	s_mov_b32 s6, 22
	s_set_inst_prefetch_distance 0x1
	.p2align	6
.LBB64_442:                             ; =>This Inner Loop Header: Depth=1
	ds_load_2addr_b64 v[142:145], v141 offset1:1
	s_waitcnt lgkmcnt(1)
	v_cmp_gt_f64_e32 vcc_lo, 0, v[132:133]
	v_xor_b32_e32 v40, 0x80000000, v133
	v_cmp_gt_f64_e64 s2, 0, v[134:135]
	v_xor_b32_e32 v42, 0x80000000, v135
	v_add_nc_u32_e32 v141, 16, v141
	s_waitcnt lgkmcnt(0)
	v_cmp_gt_f64_e64 s3, 0, v[142:143]
	v_mov_b32_e32 v52, v142
	v_dual_mov_b32 v54, v144 :: v_dual_cndmask_b32 v41, v133, v40
	v_xor_b32_e32 v40, 0x80000000, v143
	v_cndmask_b32_e64 v43, v135, v42, s2
	v_xor_b32_e32 v42, 0x80000000, v145
	s_delay_alu instid0(VALU_DEP_3) | instskip(SKIP_2) | instid1(VALU_DEP_2)
	v_cndmask_b32_e64 v53, v143, v40, s3
	v_cmp_gt_f64_e64 s3, 0, v[144:145]
	v_cndmask_b32_e32 v40, v132, v132, vcc_lo
	v_cndmask_b32_e64 v55, v145, v42, s3
	v_cndmask_b32_e64 v42, v134, v134, s2
	s_delay_alu instid0(VALU_DEP_2) | instskip(NEXT) | instid1(VALU_DEP_2)
	v_add_f64 v[52:53], v[52:53], v[54:55]
	v_add_f64 v[40:41], v[40:41], v[42:43]
	s_delay_alu instid0(VALU_DEP_1)
	v_cmp_lt_f64_e32 vcc_lo, v[40:41], v[52:53]
	v_cndmask_b32_e32 v135, v135, v145, vcc_lo
	v_dual_cndmask_b32 v133, v133, v143 :: v_dual_cndmask_b32 v132, v132, v142
	v_cndmask_b32_e32 v134, v134, v144, vcc_lo
	v_cndmask_b32_e64 v140, v140, s6, vcc_lo
	s_add_i32 s6, s6, 1
	s_delay_alu instid0(SALU_CYCLE_1)
	s_cmp_lg_u32 s5, s6
	s_cbranch_scc1 .LBB64_442
.LBB64_443:
	s_set_inst_prefetch_distance 0x2
	s_waitcnt lgkmcnt(0)
	v_cmp_eq_f64_e32 vcc_lo, 0, v[132:133]
	v_cmp_eq_f64_e64 s2, 0, v[134:135]
	s_delay_alu instid0(VALU_DEP_1) | instskip(NEXT) | instid1(SALU_CYCLE_1)
	s_and_b32 s2, vcc_lo, s2
	s_and_saveexec_b32 s3, s2
	s_delay_alu instid0(SALU_CYCLE_1)
	s_xor_b32 s2, exec_lo, s3
; %bb.444:
	v_cmp_ne_u32_e32 vcc_lo, 0, v255
	v_cndmask_b32_e32 v255, 22, v255, vcc_lo
; %bb.445:
	s_and_not1_saveexec_b32 s3, s2
	s_cbranch_execz .LBB64_451
; %bb.446:
	v_cmp_gt_f64_e32 vcc_lo, 0, v[132:133]
	v_cmp_gt_f64_e64 s2, 0, v[134:135]
	v_xor_b32_e32 v40, 0x80000000, v133
	v_xor_b32_e32 v42, 0x80000000, v135
	s_delay_alu instid0(VALU_DEP_2) | instskip(NEXT) | instid1(VALU_DEP_2)
	v_cndmask_b32_e32 v41, v133, v40, vcc_lo
	v_cndmask_b32_e64 v43, v135, v42, s2
	v_cndmask_b32_e32 v40, v132, v132, vcc_lo
	v_cndmask_b32_e64 v42, v134, v134, s2
	s_mov_b32 s2, exec_lo
	s_delay_alu instid0(VALU_DEP_1)
	v_cmpx_ngt_f64_e32 v[40:41], v[42:43]
	s_xor_b32 s2, exec_lo, s2
	s_cbranch_execz .LBB64_448
; %bb.447:
	v_div_scale_f64 v[40:41], null, v[134:135], v[134:135], v[132:133]
	v_div_scale_f64 v[54:55], vcc_lo, v[132:133], v[134:135], v[132:133]
	s_delay_alu instid0(VALU_DEP_2) | instskip(SKIP_2) | instid1(VALU_DEP_1)
	v_rcp_f64_e32 v[42:43], v[40:41]
	s_waitcnt_depctr 0xfff
	v_fma_f64 v[52:53], -v[40:41], v[42:43], 1.0
	v_fma_f64 v[42:43], v[42:43], v[52:53], v[42:43]
	s_delay_alu instid0(VALU_DEP_1) | instskip(NEXT) | instid1(VALU_DEP_1)
	v_fma_f64 v[52:53], -v[40:41], v[42:43], 1.0
	v_fma_f64 v[42:43], v[42:43], v[52:53], v[42:43]
	s_delay_alu instid0(VALU_DEP_1) | instskip(NEXT) | instid1(VALU_DEP_1)
	v_mul_f64 v[52:53], v[54:55], v[42:43]
	v_fma_f64 v[40:41], -v[40:41], v[52:53], v[54:55]
	s_delay_alu instid0(VALU_DEP_1) | instskip(NEXT) | instid1(VALU_DEP_1)
	v_div_fmas_f64 v[40:41], v[40:41], v[42:43], v[52:53]
	v_div_fixup_f64 v[40:41], v[40:41], v[134:135], v[132:133]
	s_delay_alu instid0(VALU_DEP_1) | instskip(NEXT) | instid1(VALU_DEP_1)
	v_fma_f64 v[42:43], v[132:133], v[40:41], v[134:135]
	v_div_scale_f64 v[52:53], null, v[42:43], v[42:43], 1.0
	s_delay_alu instid0(VALU_DEP_1) | instskip(SKIP_2) | instid1(VALU_DEP_1)
	v_rcp_f64_e32 v[54:55], v[52:53]
	s_waitcnt_depctr 0xfff
	v_fma_f64 v[104:105], -v[52:53], v[54:55], 1.0
	v_fma_f64 v[54:55], v[54:55], v[104:105], v[54:55]
	s_delay_alu instid0(VALU_DEP_1) | instskip(NEXT) | instid1(VALU_DEP_1)
	v_fma_f64 v[104:105], -v[52:53], v[54:55], 1.0
	v_fma_f64 v[54:55], v[54:55], v[104:105], v[54:55]
	v_div_scale_f64 v[104:105], vcc_lo, 1.0, v[42:43], 1.0
	s_delay_alu instid0(VALU_DEP_1) | instskip(NEXT) | instid1(VALU_DEP_1)
	v_mul_f64 v[106:107], v[104:105], v[54:55]
	v_fma_f64 v[52:53], -v[52:53], v[106:107], v[104:105]
	s_delay_alu instid0(VALU_DEP_1) | instskip(NEXT) | instid1(VALU_DEP_1)
	v_div_fmas_f64 v[52:53], v[52:53], v[54:55], v[106:107]
	v_div_fixup_f64 v[134:135], v[52:53], v[42:43], 1.0
	s_delay_alu instid0(VALU_DEP_1)
	v_mul_f64 v[132:133], v[40:41], v[134:135]
	v_xor_b32_e32 v135, 0x80000000, v135
.LBB64_448:
	s_and_not1_saveexec_b32 s2, s2
	s_cbranch_execz .LBB64_450
; %bb.449:
	s_delay_alu instid0(VALU_DEP_1) | instskip(SKIP_1) | instid1(VALU_DEP_2)
	v_div_scale_f64 v[40:41], null, v[132:133], v[132:133], v[134:135]
	v_div_scale_f64 v[54:55], vcc_lo, v[134:135], v[132:133], v[134:135]
	v_rcp_f64_e32 v[42:43], v[40:41]
	s_waitcnt_depctr 0xfff
	v_fma_f64 v[52:53], -v[40:41], v[42:43], 1.0
	s_delay_alu instid0(VALU_DEP_1) | instskip(NEXT) | instid1(VALU_DEP_1)
	v_fma_f64 v[42:43], v[42:43], v[52:53], v[42:43]
	v_fma_f64 v[52:53], -v[40:41], v[42:43], 1.0
	s_delay_alu instid0(VALU_DEP_1) | instskip(NEXT) | instid1(VALU_DEP_1)
	v_fma_f64 v[42:43], v[42:43], v[52:53], v[42:43]
	v_mul_f64 v[52:53], v[54:55], v[42:43]
	s_delay_alu instid0(VALU_DEP_1) | instskip(NEXT) | instid1(VALU_DEP_1)
	v_fma_f64 v[40:41], -v[40:41], v[52:53], v[54:55]
	v_div_fmas_f64 v[40:41], v[40:41], v[42:43], v[52:53]
	s_delay_alu instid0(VALU_DEP_1) | instskip(NEXT) | instid1(VALU_DEP_1)
	v_div_fixup_f64 v[40:41], v[40:41], v[132:133], v[134:135]
	v_fma_f64 v[42:43], v[134:135], v[40:41], v[132:133]
	s_delay_alu instid0(VALU_DEP_1) | instskip(NEXT) | instid1(VALU_DEP_1)
	v_div_scale_f64 v[52:53], null, v[42:43], v[42:43], 1.0
	v_rcp_f64_e32 v[54:55], v[52:53]
	s_waitcnt_depctr 0xfff
	v_fma_f64 v[104:105], -v[52:53], v[54:55], 1.0
	s_delay_alu instid0(VALU_DEP_1) | instskip(NEXT) | instid1(VALU_DEP_1)
	v_fma_f64 v[54:55], v[54:55], v[104:105], v[54:55]
	v_fma_f64 v[104:105], -v[52:53], v[54:55], 1.0
	s_delay_alu instid0(VALU_DEP_1) | instskip(SKIP_1) | instid1(VALU_DEP_1)
	v_fma_f64 v[54:55], v[54:55], v[104:105], v[54:55]
	v_div_scale_f64 v[104:105], vcc_lo, 1.0, v[42:43], 1.0
	v_mul_f64 v[106:107], v[104:105], v[54:55]
	s_delay_alu instid0(VALU_DEP_1) | instskip(NEXT) | instid1(VALU_DEP_1)
	v_fma_f64 v[52:53], -v[52:53], v[106:107], v[104:105]
	v_div_fmas_f64 v[52:53], v[52:53], v[54:55], v[106:107]
	s_delay_alu instid0(VALU_DEP_1) | instskip(NEXT) | instid1(VALU_DEP_1)
	v_div_fixup_f64 v[132:133], v[52:53], v[42:43], 1.0
	v_mul_f64 v[134:135], v[40:41], -v[132:133]
.LBB64_450:
	s_or_b32 exec_lo, exec_lo, s2
.LBB64_451:
	s_delay_alu instid0(SALU_CYCLE_1) | instskip(NEXT) | instid1(SALU_CYCLE_1)
	s_or_b32 exec_lo, exec_lo, s3
	s_mov_b32 s2, exec_lo
	v_cmpx_ne_u32_e64 v174, v140
	s_xor_b32 s2, exec_lo, s2
	s_cbranch_execz .LBB64_457
; %bb.452:
	s_mov_b32 s3, exec_lo
	v_cmpx_eq_u32_e32 21, v174
	s_cbranch_execz .LBB64_456
; %bb.453:
	v_cmp_ne_u32_e32 vcc_lo, 21, v140
	s_xor_b32 s6, s4, -1
	s_delay_alu instid0(SALU_CYCLE_1) | instskip(NEXT) | instid1(SALU_CYCLE_1)
	s_and_b32 s7, s6, vcc_lo
	s_and_saveexec_b32 s6, s7
	s_cbranch_execz .LBB64_455
; %bb.454:
	scratch_load_b64 v[0:1], off, off offset:48 ; 8-byte Folded Reload
	v_ashrrev_i32_e32 v141, 31, v140
	s_delay_alu instid0(VALU_DEP_1) | instskip(SKIP_1) | instid1(VALU_DEP_1)
	v_lshlrev_b64 v[40:41], 2, v[140:141]
	s_waitcnt vmcnt(0)
	v_add_co_u32 v40, vcc_lo, v0, v40
	s_delay_alu instid0(VALU_DEP_2)
	v_add_co_ci_u32_e32 v41, vcc_lo, v1, v41, vcc_lo
	s_clause 0x1
	flat_load_b32 v42, v[40:41]
	flat_load_b32 v43, v[0:1] offset:84
	s_waitcnt vmcnt(1) lgkmcnt(1)
	flat_store_b32 v[0:1], v42 offset:84
	s_waitcnt vmcnt(0) lgkmcnt(1)
	flat_store_b32 v[40:41], v43
.LBB64_455:
	s_or_b32 exec_lo, exec_lo, s6
	v_mov_b32_e32 v174, v140
	v_mov_b32_e32 v173, v140
.LBB64_456:
	s_or_b32 exec_lo, exec_lo, s3
.LBB64_457:
	s_and_not1_saveexec_b32 s2, s2
	s_cbranch_execz .LBB64_459
; %bb.458:
	v_mov_b32_e32 v174, 21
	ds_store_2addr_b64 v172, v[44:45], v[46:47] offset0:44 offset1:45
	ds_store_2addr_b64 v172, v[36:37], v[38:39] offset0:46 offset1:47
	;; [unrolled: 1-line block ×11, first 2 shown]
.LBB64_459:
	s_or_b32 exec_lo, exec_lo, s2
	s_delay_alu instid0(SALU_CYCLE_1)
	s_mov_b32 s2, exec_lo
	s_waitcnt lgkmcnt(0)
	s_waitcnt_vscnt null, 0x0
	s_barrier
	buffer_gl0_inv
	v_cmpx_lt_i32_e32 21, v174
	s_cbranch_execz .LBB64_461
; %bb.460:
	v_mul_f64 v[40:41], v[132:133], v[50:51]
	v_mul_f64 v[42:43], v[134:135], v[50:51]
	ds_load_2addr_b64 v[140:143], v172 offset0:44 offset1:45
	ds_load_2addr_b64 v[144:147], v172 offset0:46 offset1:47
	ds_load_2addr_b64 v[148:151], v172 offset0:48 offset1:49
	ds_load_2addr_b64 v[152:155], v172 offset0:50 offset1:51
	ds_load_2addr_b64 v[156:159], v172 offset0:52 offset1:53
	ds_load_2addr_b64 v[160:163], v172 offset0:54 offset1:55
	ds_load_2addr_b64 v[164:167], v172 offset0:56 offset1:57
	ds_load_2addr_b64 v[175:178], v172 offset0:58 offset1:59
	ds_load_2addr_b64 v[179:182], v172 offset0:60 offset1:61
	ds_load_2addr_b64 v[183:186], v172 offset0:62 offset1:63
	ds_load_2addr_b64 v[187:190], v172 offset0:64 offset1:65
	v_fma_f64 v[40:41], v[134:135], v[48:49], v[40:41]
	v_fma_f64 v[48:49], v[132:133], v[48:49], -v[42:43]
	s_waitcnt lgkmcnt(10)
	s_delay_alu instid0(VALU_DEP_2)
	v_mul_f64 v[42:43], v[142:143], v[40:41]
	v_mul_f64 v[50:51], v[140:141], v[40:41]
	s_waitcnt lgkmcnt(9)
	v_mul_f64 v[52:53], v[146:147], v[40:41]
	v_mul_f64 v[54:55], v[144:145], v[40:41]
	s_waitcnt lgkmcnt(8)
	;; [unrolled: 3-line block ×10, first 2 shown]
	v_mul_f64 v[207:208], v[189:190], v[40:41]
	v_mul_f64 v[209:210], v[187:188], v[40:41]
	v_fma_f64 v[42:43], v[140:141], v[48:49], -v[42:43]
	v_fma_f64 v[50:51], v[142:143], v[48:49], v[50:51]
	v_fma_f64 v[52:53], v[144:145], v[48:49], -v[52:53]
	v_fma_f64 v[54:55], v[146:147], v[48:49], v[54:55]
	;; [unrolled: 2-line block ×11, first 2 shown]
	v_add_f64 v[44:45], v[44:45], -v[42:43]
	v_add_f64 v[46:47], v[46:47], -v[50:51]
	;; [unrolled: 1-line block ×22, first 2 shown]
	v_dual_mov_b32 v51, v41 :: v_dual_mov_b32 v50, v40
.LBB64_461:
	s_or_b32 exec_lo, exec_lo, s2
	v_lshl_add_u32 v40, v174, 4, v172
	s_barrier
	buffer_gl0_inv
	v_mov_b32_e32 v140, 22
	ds_store_2addr_b64 v40, v[44:45], v[46:47] offset1:1
	s_waitcnt lgkmcnt(0)
	s_barrier
	buffer_gl0_inv
	ds_load_2addr_b64 v[132:135], v172 offset0:44 offset1:45
	s_cmp_lt_i32 s5, 24
	s_cbranch_scc1 .LBB64_464
; %bb.462:
	v_add3_u32 v141, v170, 0, 0x170
	v_mov_b32_e32 v140, 22
	s_mov_b32 s6, 23
	s_set_inst_prefetch_distance 0x1
	.p2align	6
.LBB64_463:                             ; =>This Inner Loop Header: Depth=1
	ds_load_2addr_b64 v[142:145], v141 offset1:1
	s_waitcnt lgkmcnt(1)
	v_cmp_gt_f64_e32 vcc_lo, 0, v[132:133]
	v_xor_b32_e32 v40, 0x80000000, v133
	v_cmp_gt_f64_e64 s2, 0, v[134:135]
	v_xor_b32_e32 v42, 0x80000000, v135
	v_add_nc_u32_e32 v141, 16, v141
	s_waitcnt lgkmcnt(0)
	v_cmp_gt_f64_e64 s3, 0, v[142:143]
	v_mov_b32_e32 v52, v142
	v_dual_mov_b32 v54, v144 :: v_dual_cndmask_b32 v41, v133, v40
	v_xor_b32_e32 v40, 0x80000000, v143
	v_cndmask_b32_e64 v43, v135, v42, s2
	v_xor_b32_e32 v42, 0x80000000, v145
	s_delay_alu instid0(VALU_DEP_3) | instskip(SKIP_2) | instid1(VALU_DEP_2)
	v_cndmask_b32_e64 v53, v143, v40, s3
	v_cmp_gt_f64_e64 s3, 0, v[144:145]
	v_cndmask_b32_e32 v40, v132, v132, vcc_lo
	v_cndmask_b32_e64 v55, v145, v42, s3
	v_cndmask_b32_e64 v42, v134, v134, s2
	s_delay_alu instid0(VALU_DEP_2) | instskip(NEXT) | instid1(VALU_DEP_2)
	v_add_f64 v[52:53], v[52:53], v[54:55]
	v_add_f64 v[40:41], v[40:41], v[42:43]
	s_delay_alu instid0(VALU_DEP_1)
	v_cmp_lt_f64_e32 vcc_lo, v[40:41], v[52:53]
	v_cndmask_b32_e32 v135, v135, v145, vcc_lo
	v_dual_cndmask_b32 v133, v133, v143 :: v_dual_cndmask_b32 v132, v132, v142
	v_cndmask_b32_e32 v134, v134, v144, vcc_lo
	v_cndmask_b32_e64 v140, v140, s6, vcc_lo
	s_add_i32 s6, s6, 1
	s_delay_alu instid0(SALU_CYCLE_1)
	s_cmp_lg_u32 s5, s6
	s_cbranch_scc1 .LBB64_463
.LBB64_464:
	s_set_inst_prefetch_distance 0x2
	s_waitcnt lgkmcnt(0)
	v_cmp_eq_f64_e32 vcc_lo, 0, v[132:133]
	v_cmp_eq_f64_e64 s2, 0, v[134:135]
	s_delay_alu instid0(VALU_DEP_1) | instskip(NEXT) | instid1(SALU_CYCLE_1)
	s_and_b32 s2, vcc_lo, s2
	s_and_saveexec_b32 s3, s2
	s_delay_alu instid0(SALU_CYCLE_1)
	s_xor_b32 s2, exec_lo, s3
; %bb.465:
	v_cmp_ne_u32_e32 vcc_lo, 0, v255
	v_cndmask_b32_e32 v255, 23, v255, vcc_lo
; %bb.466:
	s_and_not1_saveexec_b32 s3, s2
	s_cbranch_execz .LBB64_472
; %bb.467:
	v_cmp_gt_f64_e32 vcc_lo, 0, v[132:133]
	v_cmp_gt_f64_e64 s2, 0, v[134:135]
	v_xor_b32_e32 v40, 0x80000000, v133
	v_xor_b32_e32 v42, 0x80000000, v135
	s_delay_alu instid0(VALU_DEP_2) | instskip(NEXT) | instid1(VALU_DEP_2)
	v_cndmask_b32_e32 v41, v133, v40, vcc_lo
	v_cndmask_b32_e64 v43, v135, v42, s2
	v_cndmask_b32_e32 v40, v132, v132, vcc_lo
	v_cndmask_b32_e64 v42, v134, v134, s2
	s_mov_b32 s2, exec_lo
	s_delay_alu instid0(VALU_DEP_1)
	v_cmpx_ngt_f64_e32 v[40:41], v[42:43]
	s_xor_b32 s2, exec_lo, s2
	s_cbranch_execz .LBB64_469
; %bb.468:
	v_div_scale_f64 v[40:41], null, v[134:135], v[134:135], v[132:133]
	v_div_scale_f64 v[54:55], vcc_lo, v[132:133], v[134:135], v[132:133]
	s_delay_alu instid0(VALU_DEP_2) | instskip(SKIP_2) | instid1(VALU_DEP_1)
	v_rcp_f64_e32 v[42:43], v[40:41]
	s_waitcnt_depctr 0xfff
	v_fma_f64 v[52:53], -v[40:41], v[42:43], 1.0
	v_fma_f64 v[42:43], v[42:43], v[52:53], v[42:43]
	s_delay_alu instid0(VALU_DEP_1) | instskip(NEXT) | instid1(VALU_DEP_1)
	v_fma_f64 v[52:53], -v[40:41], v[42:43], 1.0
	v_fma_f64 v[42:43], v[42:43], v[52:53], v[42:43]
	s_delay_alu instid0(VALU_DEP_1) | instskip(NEXT) | instid1(VALU_DEP_1)
	v_mul_f64 v[52:53], v[54:55], v[42:43]
	v_fma_f64 v[40:41], -v[40:41], v[52:53], v[54:55]
	s_delay_alu instid0(VALU_DEP_1) | instskip(NEXT) | instid1(VALU_DEP_1)
	v_div_fmas_f64 v[40:41], v[40:41], v[42:43], v[52:53]
	v_div_fixup_f64 v[40:41], v[40:41], v[134:135], v[132:133]
	s_delay_alu instid0(VALU_DEP_1) | instskip(NEXT) | instid1(VALU_DEP_1)
	v_fma_f64 v[42:43], v[132:133], v[40:41], v[134:135]
	v_div_scale_f64 v[52:53], null, v[42:43], v[42:43], 1.0
	s_delay_alu instid0(VALU_DEP_1) | instskip(SKIP_2) | instid1(VALU_DEP_1)
	v_rcp_f64_e32 v[54:55], v[52:53]
	s_waitcnt_depctr 0xfff
	v_fma_f64 v[104:105], -v[52:53], v[54:55], 1.0
	v_fma_f64 v[54:55], v[54:55], v[104:105], v[54:55]
	s_delay_alu instid0(VALU_DEP_1) | instskip(NEXT) | instid1(VALU_DEP_1)
	v_fma_f64 v[104:105], -v[52:53], v[54:55], 1.0
	v_fma_f64 v[54:55], v[54:55], v[104:105], v[54:55]
	v_div_scale_f64 v[104:105], vcc_lo, 1.0, v[42:43], 1.0
	s_delay_alu instid0(VALU_DEP_1) | instskip(NEXT) | instid1(VALU_DEP_1)
	v_mul_f64 v[106:107], v[104:105], v[54:55]
	v_fma_f64 v[52:53], -v[52:53], v[106:107], v[104:105]
	s_delay_alu instid0(VALU_DEP_1) | instskip(NEXT) | instid1(VALU_DEP_1)
	v_div_fmas_f64 v[52:53], v[52:53], v[54:55], v[106:107]
	v_div_fixup_f64 v[134:135], v[52:53], v[42:43], 1.0
	s_delay_alu instid0(VALU_DEP_1)
	v_mul_f64 v[132:133], v[40:41], v[134:135]
	v_xor_b32_e32 v135, 0x80000000, v135
.LBB64_469:
	s_and_not1_saveexec_b32 s2, s2
	s_cbranch_execz .LBB64_471
; %bb.470:
	s_delay_alu instid0(VALU_DEP_1) | instskip(SKIP_1) | instid1(VALU_DEP_2)
	v_div_scale_f64 v[40:41], null, v[132:133], v[132:133], v[134:135]
	v_div_scale_f64 v[54:55], vcc_lo, v[134:135], v[132:133], v[134:135]
	v_rcp_f64_e32 v[42:43], v[40:41]
	s_waitcnt_depctr 0xfff
	v_fma_f64 v[52:53], -v[40:41], v[42:43], 1.0
	s_delay_alu instid0(VALU_DEP_1) | instskip(NEXT) | instid1(VALU_DEP_1)
	v_fma_f64 v[42:43], v[42:43], v[52:53], v[42:43]
	v_fma_f64 v[52:53], -v[40:41], v[42:43], 1.0
	s_delay_alu instid0(VALU_DEP_1) | instskip(NEXT) | instid1(VALU_DEP_1)
	v_fma_f64 v[42:43], v[42:43], v[52:53], v[42:43]
	v_mul_f64 v[52:53], v[54:55], v[42:43]
	s_delay_alu instid0(VALU_DEP_1) | instskip(NEXT) | instid1(VALU_DEP_1)
	v_fma_f64 v[40:41], -v[40:41], v[52:53], v[54:55]
	v_div_fmas_f64 v[40:41], v[40:41], v[42:43], v[52:53]
	s_delay_alu instid0(VALU_DEP_1) | instskip(NEXT) | instid1(VALU_DEP_1)
	v_div_fixup_f64 v[40:41], v[40:41], v[132:133], v[134:135]
	v_fma_f64 v[42:43], v[134:135], v[40:41], v[132:133]
	s_delay_alu instid0(VALU_DEP_1) | instskip(NEXT) | instid1(VALU_DEP_1)
	v_div_scale_f64 v[52:53], null, v[42:43], v[42:43], 1.0
	v_rcp_f64_e32 v[54:55], v[52:53]
	s_waitcnt_depctr 0xfff
	v_fma_f64 v[104:105], -v[52:53], v[54:55], 1.0
	s_delay_alu instid0(VALU_DEP_1) | instskip(NEXT) | instid1(VALU_DEP_1)
	v_fma_f64 v[54:55], v[54:55], v[104:105], v[54:55]
	v_fma_f64 v[104:105], -v[52:53], v[54:55], 1.0
	s_delay_alu instid0(VALU_DEP_1) | instskip(SKIP_1) | instid1(VALU_DEP_1)
	v_fma_f64 v[54:55], v[54:55], v[104:105], v[54:55]
	v_div_scale_f64 v[104:105], vcc_lo, 1.0, v[42:43], 1.0
	v_mul_f64 v[106:107], v[104:105], v[54:55]
	s_delay_alu instid0(VALU_DEP_1) | instskip(NEXT) | instid1(VALU_DEP_1)
	v_fma_f64 v[52:53], -v[52:53], v[106:107], v[104:105]
	v_div_fmas_f64 v[52:53], v[52:53], v[54:55], v[106:107]
	s_delay_alu instid0(VALU_DEP_1) | instskip(NEXT) | instid1(VALU_DEP_1)
	v_div_fixup_f64 v[132:133], v[52:53], v[42:43], 1.0
	v_mul_f64 v[134:135], v[40:41], -v[132:133]
.LBB64_471:
	s_or_b32 exec_lo, exec_lo, s2
.LBB64_472:
	s_delay_alu instid0(SALU_CYCLE_1) | instskip(NEXT) | instid1(SALU_CYCLE_1)
	s_or_b32 exec_lo, exec_lo, s3
	s_mov_b32 s2, exec_lo
	v_cmpx_ne_u32_e64 v174, v140
	s_xor_b32 s2, exec_lo, s2
	s_cbranch_execz .LBB64_478
; %bb.473:
	s_mov_b32 s3, exec_lo
	v_cmpx_eq_u32_e32 22, v174
	s_cbranch_execz .LBB64_477
; %bb.474:
	v_cmp_ne_u32_e32 vcc_lo, 22, v140
	s_xor_b32 s6, s4, -1
	s_delay_alu instid0(SALU_CYCLE_1) | instskip(NEXT) | instid1(SALU_CYCLE_1)
	s_and_b32 s7, s6, vcc_lo
	s_and_saveexec_b32 s6, s7
	s_cbranch_execz .LBB64_476
; %bb.475:
	scratch_load_b64 v[0:1], off, off offset:48 ; 8-byte Folded Reload
	v_ashrrev_i32_e32 v141, 31, v140
	s_delay_alu instid0(VALU_DEP_1) | instskip(SKIP_1) | instid1(VALU_DEP_1)
	v_lshlrev_b64 v[40:41], 2, v[140:141]
	s_waitcnt vmcnt(0)
	v_add_co_u32 v40, vcc_lo, v0, v40
	s_delay_alu instid0(VALU_DEP_2)
	v_add_co_ci_u32_e32 v41, vcc_lo, v1, v41, vcc_lo
	s_clause 0x1
	flat_load_b32 v42, v[40:41]
	flat_load_b32 v43, v[0:1] offset:88
	s_waitcnt vmcnt(1) lgkmcnt(1)
	flat_store_b32 v[0:1], v42 offset:88
	s_waitcnt vmcnt(0) lgkmcnt(1)
	flat_store_b32 v[40:41], v43
.LBB64_476:
	s_or_b32 exec_lo, exec_lo, s6
	v_mov_b32_e32 v174, v140
	v_mov_b32_e32 v173, v140
.LBB64_477:
	s_or_b32 exec_lo, exec_lo, s3
.LBB64_478:
	s_and_not1_saveexec_b32 s2, s2
	s_cbranch_execz .LBB64_480
; %bb.479:
	v_mov_b32_e32 v174, 22
	ds_store_2addr_b64 v172, v[36:37], v[38:39] offset0:46 offset1:47
	ds_store_2addr_b64 v172, v[32:33], v[34:35] offset0:48 offset1:49
	;; [unrolled: 1-line block ×10, first 2 shown]
.LBB64_480:
	s_or_b32 exec_lo, exec_lo, s2
	s_delay_alu instid0(SALU_CYCLE_1)
	s_mov_b32 s2, exec_lo
	s_waitcnt lgkmcnt(0)
	s_waitcnt_vscnt null, 0x0
	s_barrier
	buffer_gl0_inv
	v_cmpx_lt_i32_e32 22, v174
	s_cbranch_execz .LBB64_482
; %bb.481:
	v_mul_f64 v[40:41], v[132:133], v[46:47]
	v_mul_f64 v[42:43], v[134:135], v[46:47]
	ds_load_2addr_b64 v[140:143], v172 offset0:46 offset1:47
	ds_load_2addr_b64 v[144:147], v172 offset0:48 offset1:49
	;; [unrolled: 1-line block ×10, first 2 shown]
	v_fma_f64 v[40:41], v[134:135], v[44:45], v[40:41]
	v_fma_f64 v[44:45], v[132:133], v[44:45], -v[42:43]
	s_waitcnt lgkmcnt(9)
	s_delay_alu instid0(VALU_DEP_2)
	v_mul_f64 v[42:43], v[142:143], v[40:41]
	v_mul_f64 v[46:47], v[140:141], v[40:41]
	s_waitcnt lgkmcnt(8)
	v_mul_f64 v[52:53], v[146:147], v[40:41]
	v_mul_f64 v[54:55], v[144:145], v[40:41]
	s_waitcnt lgkmcnt(7)
	;; [unrolled: 3-line block ×9, first 2 shown]
	v_mul_f64 v[199:200], v[185:186], v[40:41]
	v_mul_f64 v[201:202], v[183:184], v[40:41]
	v_fma_f64 v[42:43], v[140:141], v[44:45], -v[42:43]
	v_fma_f64 v[46:47], v[142:143], v[44:45], v[46:47]
	v_fma_f64 v[52:53], v[144:145], v[44:45], -v[52:53]
	v_fma_f64 v[54:55], v[146:147], v[44:45], v[54:55]
	;; [unrolled: 2-line block ×10, first 2 shown]
	v_add_f64 v[36:37], v[36:37], -v[42:43]
	v_add_f64 v[38:39], v[38:39], -v[46:47]
	;; [unrolled: 1-line block ×20, first 2 shown]
	v_dual_mov_b32 v47, v41 :: v_dual_mov_b32 v46, v40
.LBB64_482:
	s_or_b32 exec_lo, exec_lo, s2
	v_lshl_add_u32 v40, v174, 4, v172
	s_barrier
	buffer_gl0_inv
	v_mov_b32_e32 v140, 23
	ds_store_2addr_b64 v40, v[36:37], v[38:39] offset1:1
	s_waitcnt lgkmcnt(0)
	s_barrier
	buffer_gl0_inv
	ds_load_2addr_b64 v[132:135], v172 offset0:46 offset1:47
	s_cmp_lt_i32 s5, 25
	s_cbranch_scc1 .LBB64_485
; %bb.483:
	v_add3_u32 v141, v170, 0, 0x180
	v_mov_b32_e32 v140, 23
	s_mov_b32 s6, 24
	s_set_inst_prefetch_distance 0x1
	.p2align	6
.LBB64_484:                             ; =>This Inner Loop Header: Depth=1
	ds_load_2addr_b64 v[142:145], v141 offset1:1
	s_waitcnt lgkmcnt(1)
	v_cmp_gt_f64_e32 vcc_lo, 0, v[132:133]
	v_xor_b32_e32 v40, 0x80000000, v133
	v_cmp_gt_f64_e64 s2, 0, v[134:135]
	v_xor_b32_e32 v42, 0x80000000, v135
	v_add_nc_u32_e32 v141, 16, v141
	s_waitcnt lgkmcnt(0)
	v_cmp_gt_f64_e64 s3, 0, v[142:143]
	v_mov_b32_e32 v52, v142
	v_dual_mov_b32 v54, v144 :: v_dual_cndmask_b32 v41, v133, v40
	v_xor_b32_e32 v40, 0x80000000, v143
	v_cndmask_b32_e64 v43, v135, v42, s2
	v_xor_b32_e32 v42, 0x80000000, v145
	s_delay_alu instid0(VALU_DEP_3) | instskip(SKIP_2) | instid1(VALU_DEP_2)
	v_cndmask_b32_e64 v53, v143, v40, s3
	v_cmp_gt_f64_e64 s3, 0, v[144:145]
	v_cndmask_b32_e32 v40, v132, v132, vcc_lo
	v_cndmask_b32_e64 v55, v145, v42, s3
	v_cndmask_b32_e64 v42, v134, v134, s2
	s_delay_alu instid0(VALU_DEP_2) | instskip(NEXT) | instid1(VALU_DEP_2)
	v_add_f64 v[52:53], v[52:53], v[54:55]
	v_add_f64 v[40:41], v[40:41], v[42:43]
	s_delay_alu instid0(VALU_DEP_1)
	v_cmp_lt_f64_e32 vcc_lo, v[40:41], v[52:53]
	v_cndmask_b32_e32 v135, v135, v145, vcc_lo
	v_dual_cndmask_b32 v133, v133, v143 :: v_dual_cndmask_b32 v132, v132, v142
	v_cndmask_b32_e32 v134, v134, v144, vcc_lo
	v_cndmask_b32_e64 v140, v140, s6, vcc_lo
	s_add_i32 s6, s6, 1
	s_delay_alu instid0(SALU_CYCLE_1)
	s_cmp_lg_u32 s5, s6
	s_cbranch_scc1 .LBB64_484
.LBB64_485:
	s_set_inst_prefetch_distance 0x2
	s_waitcnt lgkmcnt(0)
	v_cmp_eq_f64_e32 vcc_lo, 0, v[132:133]
	v_cmp_eq_f64_e64 s2, 0, v[134:135]
	s_delay_alu instid0(VALU_DEP_1) | instskip(NEXT) | instid1(SALU_CYCLE_1)
	s_and_b32 s2, vcc_lo, s2
	s_and_saveexec_b32 s3, s2
	s_delay_alu instid0(SALU_CYCLE_1)
	s_xor_b32 s2, exec_lo, s3
; %bb.486:
	v_cmp_ne_u32_e32 vcc_lo, 0, v255
	v_cndmask_b32_e32 v255, 24, v255, vcc_lo
; %bb.487:
	s_and_not1_saveexec_b32 s3, s2
	s_cbranch_execz .LBB64_493
; %bb.488:
	v_cmp_gt_f64_e32 vcc_lo, 0, v[132:133]
	v_cmp_gt_f64_e64 s2, 0, v[134:135]
	v_xor_b32_e32 v40, 0x80000000, v133
	v_xor_b32_e32 v42, 0x80000000, v135
	s_delay_alu instid0(VALU_DEP_2) | instskip(NEXT) | instid1(VALU_DEP_2)
	v_cndmask_b32_e32 v41, v133, v40, vcc_lo
	v_cndmask_b32_e64 v43, v135, v42, s2
	v_cndmask_b32_e32 v40, v132, v132, vcc_lo
	v_cndmask_b32_e64 v42, v134, v134, s2
	s_mov_b32 s2, exec_lo
	s_delay_alu instid0(VALU_DEP_1)
	v_cmpx_ngt_f64_e32 v[40:41], v[42:43]
	s_xor_b32 s2, exec_lo, s2
	s_cbranch_execz .LBB64_490
; %bb.489:
	v_div_scale_f64 v[40:41], null, v[134:135], v[134:135], v[132:133]
	v_div_scale_f64 v[54:55], vcc_lo, v[132:133], v[134:135], v[132:133]
	s_delay_alu instid0(VALU_DEP_2) | instskip(SKIP_2) | instid1(VALU_DEP_1)
	v_rcp_f64_e32 v[42:43], v[40:41]
	s_waitcnt_depctr 0xfff
	v_fma_f64 v[52:53], -v[40:41], v[42:43], 1.0
	v_fma_f64 v[42:43], v[42:43], v[52:53], v[42:43]
	s_delay_alu instid0(VALU_DEP_1) | instskip(NEXT) | instid1(VALU_DEP_1)
	v_fma_f64 v[52:53], -v[40:41], v[42:43], 1.0
	v_fma_f64 v[42:43], v[42:43], v[52:53], v[42:43]
	s_delay_alu instid0(VALU_DEP_1) | instskip(NEXT) | instid1(VALU_DEP_1)
	v_mul_f64 v[52:53], v[54:55], v[42:43]
	v_fma_f64 v[40:41], -v[40:41], v[52:53], v[54:55]
	s_delay_alu instid0(VALU_DEP_1) | instskip(NEXT) | instid1(VALU_DEP_1)
	v_div_fmas_f64 v[40:41], v[40:41], v[42:43], v[52:53]
	v_div_fixup_f64 v[40:41], v[40:41], v[134:135], v[132:133]
	s_delay_alu instid0(VALU_DEP_1) | instskip(NEXT) | instid1(VALU_DEP_1)
	v_fma_f64 v[42:43], v[132:133], v[40:41], v[134:135]
	v_div_scale_f64 v[52:53], null, v[42:43], v[42:43], 1.0
	s_delay_alu instid0(VALU_DEP_1) | instskip(SKIP_2) | instid1(VALU_DEP_1)
	v_rcp_f64_e32 v[54:55], v[52:53]
	s_waitcnt_depctr 0xfff
	v_fma_f64 v[104:105], -v[52:53], v[54:55], 1.0
	v_fma_f64 v[54:55], v[54:55], v[104:105], v[54:55]
	s_delay_alu instid0(VALU_DEP_1) | instskip(NEXT) | instid1(VALU_DEP_1)
	v_fma_f64 v[104:105], -v[52:53], v[54:55], 1.0
	v_fma_f64 v[54:55], v[54:55], v[104:105], v[54:55]
	v_div_scale_f64 v[104:105], vcc_lo, 1.0, v[42:43], 1.0
	s_delay_alu instid0(VALU_DEP_1) | instskip(NEXT) | instid1(VALU_DEP_1)
	v_mul_f64 v[106:107], v[104:105], v[54:55]
	v_fma_f64 v[52:53], -v[52:53], v[106:107], v[104:105]
	s_delay_alu instid0(VALU_DEP_1) | instskip(NEXT) | instid1(VALU_DEP_1)
	v_div_fmas_f64 v[52:53], v[52:53], v[54:55], v[106:107]
	v_div_fixup_f64 v[134:135], v[52:53], v[42:43], 1.0
	s_delay_alu instid0(VALU_DEP_1)
	v_mul_f64 v[132:133], v[40:41], v[134:135]
	v_xor_b32_e32 v135, 0x80000000, v135
.LBB64_490:
	s_and_not1_saveexec_b32 s2, s2
	s_cbranch_execz .LBB64_492
; %bb.491:
	s_delay_alu instid0(VALU_DEP_1) | instskip(SKIP_1) | instid1(VALU_DEP_2)
	v_div_scale_f64 v[40:41], null, v[132:133], v[132:133], v[134:135]
	v_div_scale_f64 v[54:55], vcc_lo, v[134:135], v[132:133], v[134:135]
	v_rcp_f64_e32 v[42:43], v[40:41]
	s_waitcnt_depctr 0xfff
	v_fma_f64 v[52:53], -v[40:41], v[42:43], 1.0
	s_delay_alu instid0(VALU_DEP_1) | instskip(NEXT) | instid1(VALU_DEP_1)
	v_fma_f64 v[42:43], v[42:43], v[52:53], v[42:43]
	v_fma_f64 v[52:53], -v[40:41], v[42:43], 1.0
	s_delay_alu instid0(VALU_DEP_1) | instskip(NEXT) | instid1(VALU_DEP_1)
	v_fma_f64 v[42:43], v[42:43], v[52:53], v[42:43]
	v_mul_f64 v[52:53], v[54:55], v[42:43]
	s_delay_alu instid0(VALU_DEP_1) | instskip(NEXT) | instid1(VALU_DEP_1)
	v_fma_f64 v[40:41], -v[40:41], v[52:53], v[54:55]
	v_div_fmas_f64 v[40:41], v[40:41], v[42:43], v[52:53]
	s_delay_alu instid0(VALU_DEP_1) | instskip(NEXT) | instid1(VALU_DEP_1)
	v_div_fixup_f64 v[40:41], v[40:41], v[132:133], v[134:135]
	v_fma_f64 v[42:43], v[134:135], v[40:41], v[132:133]
	s_delay_alu instid0(VALU_DEP_1) | instskip(NEXT) | instid1(VALU_DEP_1)
	v_div_scale_f64 v[52:53], null, v[42:43], v[42:43], 1.0
	v_rcp_f64_e32 v[54:55], v[52:53]
	s_waitcnt_depctr 0xfff
	v_fma_f64 v[104:105], -v[52:53], v[54:55], 1.0
	s_delay_alu instid0(VALU_DEP_1) | instskip(NEXT) | instid1(VALU_DEP_1)
	v_fma_f64 v[54:55], v[54:55], v[104:105], v[54:55]
	v_fma_f64 v[104:105], -v[52:53], v[54:55], 1.0
	s_delay_alu instid0(VALU_DEP_1) | instskip(SKIP_1) | instid1(VALU_DEP_1)
	v_fma_f64 v[54:55], v[54:55], v[104:105], v[54:55]
	v_div_scale_f64 v[104:105], vcc_lo, 1.0, v[42:43], 1.0
	v_mul_f64 v[106:107], v[104:105], v[54:55]
	s_delay_alu instid0(VALU_DEP_1) | instskip(NEXT) | instid1(VALU_DEP_1)
	v_fma_f64 v[52:53], -v[52:53], v[106:107], v[104:105]
	v_div_fmas_f64 v[52:53], v[52:53], v[54:55], v[106:107]
	s_delay_alu instid0(VALU_DEP_1) | instskip(NEXT) | instid1(VALU_DEP_1)
	v_div_fixup_f64 v[132:133], v[52:53], v[42:43], 1.0
	v_mul_f64 v[134:135], v[40:41], -v[132:133]
.LBB64_492:
	s_or_b32 exec_lo, exec_lo, s2
.LBB64_493:
	s_delay_alu instid0(SALU_CYCLE_1) | instskip(NEXT) | instid1(SALU_CYCLE_1)
	s_or_b32 exec_lo, exec_lo, s3
	s_mov_b32 s2, exec_lo
	v_cmpx_ne_u32_e64 v174, v140
	s_xor_b32 s2, exec_lo, s2
	s_cbranch_execz .LBB64_499
; %bb.494:
	s_mov_b32 s3, exec_lo
	v_cmpx_eq_u32_e32 23, v174
	s_cbranch_execz .LBB64_498
; %bb.495:
	v_cmp_ne_u32_e32 vcc_lo, 23, v140
	s_xor_b32 s6, s4, -1
	s_delay_alu instid0(SALU_CYCLE_1) | instskip(NEXT) | instid1(SALU_CYCLE_1)
	s_and_b32 s7, s6, vcc_lo
	s_and_saveexec_b32 s6, s7
	s_cbranch_execz .LBB64_497
; %bb.496:
	scratch_load_b64 v[0:1], off, off offset:48 ; 8-byte Folded Reload
	v_ashrrev_i32_e32 v141, 31, v140
	s_delay_alu instid0(VALU_DEP_1) | instskip(SKIP_1) | instid1(VALU_DEP_1)
	v_lshlrev_b64 v[40:41], 2, v[140:141]
	s_waitcnt vmcnt(0)
	v_add_co_u32 v40, vcc_lo, v0, v40
	s_delay_alu instid0(VALU_DEP_2)
	v_add_co_ci_u32_e32 v41, vcc_lo, v1, v41, vcc_lo
	s_clause 0x1
	flat_load_b32 v42, v[40:41]
	flat_load_b32 v43, v[0:1] offset:92
	s_waitcnt vmcnt(1) lgkmcnt(1)
	flat_store_b32 v[0:1], v42 offset:92
	s_waitcnt vmcnt(0) lgkmcnt(1)
	flat_store_b32 v[40:41], v43
.LBB64_497:
	s_or_b32 exec_lo, exec_lo, s6
	v_mov_b32_e32 v174, v140
	v_mov_b32_e32 v173, v140
.LBB64_498:
	s_or_b32 exec_lo, exec_lo, s3
.LBB64_499:
	s_and_not1_saveexec_b32 s2, s2
	s_cbranch_execz .LBB64_501
; %bb.500:
	v_mov_b32_e32 v174, 23
	ds_store_2addr_b64 v172, v[32:33], v[34:35] offset0:48 offset1:49
	ds_store_2addr_b64 v172, v[28:29], v[30:31] offset0:50 offset1:51
	;; [unrolled: 1-line block ×9, first 2 shown]
.LBB64_501:
	s_or_b32 exec_lo, exec_lo, s2
	s_delay_alu instid0(SALU_CYCLE_1)
	s_mov_b32 s2, exec_lo
	s_waitcnt lgkmcnt(0)
	s_waitcnt_vscnt null, 0x0
	s_barrier
	buffer_gl0_inv
	v_cmpx_lt_i32_e32 23, v174
	s_cbranch_execz .LBB64_503
; %bb.502:
	v_mul_f64 v[40:41], v[132:133], v[38:39]
	v_mul_f64 v[38:39], v[134:135], v[38:39]
	ds_load_2addr_b64 v[140:143], v172 offset0:48 offset1:49
	ds_load_2addr_b64 v[144:147], v172 offset0:50 offset1:51
	ds_load_2addr_b64 v[148:151], v172 offset0:52 offset1:53
	ds_load_2addr_b64 v[152:155], v172 offset0:54 offset1:55
	ds_load_2addr_b64 v[156:159], v172 offset0:56 offset1:57
	ds_load_2addr_b64 v[160:163], v172 offset0:58 offset1:59
	ds_load_2addr_b64 v[164:167], v172 offset0:60 offset1:61
	ds_load_2addr_b64 v[175:178], v172 offset0:62 offset1:63
	ds_load_2addr_b64 v[179:182], v172 offset0:64 offset1:65
	v_fma_f64 v[40:41], v[134:135], v[36:37], v[40:41]
	v_fma_f64 v[36:37], v[132:133], v[36:37], -v[38:39]
	s_waitcnt lgkmcnt(8)
	s_delay_alu instid0(VALU_DEP_2)
	v_mul_f64 v[38:39], v[142:143], v[40:41]
	v_mul_f64 v[42:43], v[140:141], v[40:41]
	s_waitcnt lgkmcnt(7)
	v_mul_f64 v[52:53], v[146:147], v[40:41]
	v_mul_f64 v[54:55], v[144:145], v[40:41]
	s_waitcnt lgkmcnt(6)
	;; [unrolled: 3-line block ×8, first 2 shown]
	v_mul_f64 v[191:192], v[181:182], v[40:41]
	v_mul_f64 v[193:194], v[179:180], v[40:41]
	v_fma_f64 v[38:39], v[140:141], v[36:37], -v[38:39]
	v_fma_f64 v[42:43], v[142:143], v[36:37], v[42:43]
	v_fma_f64 v[52:53], v[144:145], v[36:37], -v[52:53]
	v_fma_f64 v[54:55], v[146:147], v[36:37], v[54:55]
	;; [unrolled: 2-line block ×9, first 2 shown]
	v_add_f64 v[32:33], v[32:33], -v[38:39]
	v_add_f64 v[34:35], v[34:35], -v[42:43]
	v_add_f64 v[28:29], v[28:29], -v[52:53]
	v_add_f64 v[30:31], v[30:31], -v[54:55]
	v_add_f64 v[24:25], v[24:25], -v[104:105]
	v_add_f64 v[26:27], v[26:27], -v[106:107]
	v_add_f64 v[20:21], v[20:21], -v[128:129]
	v_add_f64 v[22:23], v[22:23], -v[130:131]
	v_add_f64 v[16:17], v[16:17], -v[132:133]
	v_add_f64 v[18:19], v[18:19], -v[134:135]
	v_add_f64 v[12:13], v[12:13], -v[136:137]
	v_add_f64 v[14:15], v[14:15], -v[138:139]
	v_add_f64 v[8:9], v[8:9], -v[140:141]
	v_add_f64 v[10:11], v[10:11], -v[142:143]
	v_add_f64 v[243:244], v[243:244], -v[144:145]
	v_add_f64 v[245:246], v[245:246], -v[146:147]
	v_add_f64 v[237:238], v[237:238], -v[148:149]
	v_add_f64 v[239:240], v[239:240], -v[150:151]
	v_dual_mov_b32 v38, v40 :: v_dual_mov_b32 v39, v41
.LBB64_503:
	s_or_b32 exec_lo, exec_lo, s2
	v_lshl_add_u32 v40, v174, 4, v172
	s_barrier
	buffer_gl0_inv
	v_mov_b32_e32 v140, 24
	ds_store_2addr_b64 v40, v[32:33], v[34:35] offset1:1
	s_waitcnt lgkmcnt(0)
	s_barrier
	buffer_gl0_inv
	ds_load_2addr_b64 v[132:135], v172 offset0:48 offset1:49
	s_cmp_lt_i32 s5, 26
	s_cbranch_scc1 .LBB64_506
; %bb.504:
	v_add3_u32 v141, v170, 0, 0x190
	v_mov_b32_e32 v140, 24
	s_mov_b32 s6, 25
	s_set_inst_prefetch_distance 0x1
	.p2align	6
.LBB64_505:                             ; =>This Inner Loop Header: Depth=1
	ds_load_2addr_b64 v[142:145], v141 offset1:1
	s_waitcnt lgkmcnt(1)
	v_cmp_gt_f64_e32 vcc_lo, 0, v[132:133]
	v_xor_b32_e32 v40, 0x80000000, v133
	v_cmp_gt_f64_e64 s2, 0, v[134:135]
	v_xor_b32_e32 v42, 0x80000000, v135
	v_add_nc_u32_e32 v141, 16, v141
	s_waitcnt lgkmcnt(0)
	v_cmp_gt_f64_e64 s3, 0, v[142:143]
	v_mov_b32_e32 v52, v142
	v_dual_mov_b32 v54, v144 :: v_dual_cndmask_b32 v41, v133, v40
	v_xor_b32_e32 v40, 0x80000000, v143
	v_cndmask_b32_e64 v43, v135, v42, s2
	v_xor_b32_e32 v42, 0x80000000, v145
	s_delay_alu instid0(VALU_DEP_3) | instskip(SKIP_2) | instid1(VALU_DEP_2)
	v_cndmask_b32_e64 v53, v143, v40, s3
	v_cmp_gt_f64_e64 s3, 0, v[144:145]
	v_cndmask_b32_e32 v40, v132, v132, vcc_lo
	v_cndmask_b32_e64 v55, v145, v42, s3
	v_cndmask_b32_e64 v42, v134, v134, s2
	s_delay_alu instid0(VALU_DEP_2) | instskip(NEXT) | instid1(VALU_DEP_2)
	v_add_f64 v[52:53], v[52:53], v[54:55]
	v_add_f64 v[40:41], v[40:41], v[42:43]
	s_delay_alu instid0(VALU_DEP_1)
	v_cmp_lt_f64_e32 vcc_lo, v[40:41], v[52:53]
	v_cndmask_b32_e32 v135, v135, v145, vcc_lo
	v_dual_cndmask_b32 v133, v133, v143 :: v_dual_cndmask_b32 v132, v132, v142
	v_cndmask_b32_e32 v134, v134, v144, vcc_lo
	v_cndmask_b32_e64 v140, v140, s6, vcc_lo
	s_add_i32 s6, s6, 1
	s_delay_alu instid0(SALU_CYCLE_1)
	s_cmp_lg_u32 s5, s6
	s_cbranch_scc1 .LBB64_505
.LBB64_506:
	s_set_inst_prefetch_distance 0x2
	s_waitcnt lgkmcnt(0)
	v_cmp_eq_f64_e32 vcc_lo, 0, v[132:133]
	v_cmp_eq_f64_e64 s2, 0, v[134:135]
	s_delay_alu instid0(VALU_DEP_1) | instskip(NEXT) | instid1(SALU_CYCLE_1)
	s_and_b32 s2, vcc_lo, s2
	s_and_saveexec_b32 s3, s2
	s_delay_alu instid0(SALU_CYCLE_1)
	s_xor_b32 s2, exec_lo, s3
; %bb.507:
	v_cmp_ne_u32_e32 vcc_lo, 0, v255
	v_cndmask_b32_e32 v255, 25, v255, vcc_lo
; %bb.508:
	s_and_not1_saveexec_b32 s3, s2
	s_cbranch_execz .LBB64_514
; %bb.509:
	v_cmp_gt_f64_e32 vcc_lo, 0, v[132:133]
	v_cmp_gt_f64_e64 s2, 0, v[134:135]
	v_xor_b32_e32 v40, 0x80000000, v133
	v_xor_b32_e32 v42, 0x80000000, v135
	s_delay_alu instid0(VALU_DEP_2) | instskip(NEXT) | instid1(VALU_DEP_2)
	v_cndmask_b32_e32 v41, v133, v40, vcc_lo
	v_cndmask_b32_e64 v43, v135, v42, s2
	v_cndmask_b32_e32 v40, v132, v132, vcc_lo
	v_cndmask_b32_e64 v42, v134, v134, s2
	s_mov_b32 s2, exec_lo
	s_delay_alu instid0(VALU_DEP_1)
	v_cmpx_ngt_f64_e32 v[40:41], v[42:43]
	s_xor_b32 s2, exec_lo, s2
	s_cbranch_execz .LBB64_511
; %bb.510:
	v_div_scale_f64 v[40:41], null, v[134:135], v[134:135], v[132:133]
	v_div_scale_f64 v[54:55], vcc_lo, v[132:133], v[134:135], v[132:133]
	s_delay_alu instid0(VALU_DEP_2) | instskip(SKIP_2) | instid1(VALU_DEP_1)
	v_rcp_f64_e32 v[42:43], v[40:41]
	s_waitcnt_depctr 0xfff
	v_fma_f64 v[52:53], -v[40:41], v[42:43], 1.0
	v_fma_f64 v[42:43], v[42:43], v[52:53], v[42:43]
	s_delay_alu instid0(VALU_DEP_1) | instskip(NEXT) | instid1(VALU_DEP_1)
	v_fma_f64 v[52:53], -v[40:41], v[42:43], 1.0
	v_fma_f64 v[42:43], v[42:43], v[52:53], v[42:43]
	s_delay_alu instid0(VALU_DEP_1) | instskip(NEXT) | instid1(VALU_DEP_1)
	v_mul_f64 v[52:53], v[54:55], v[42:43]
	v_fma_f64 v[40:41], -v[40:41], v[52:53], v[54:55]
	s_delay_alu instid0(VALU_DEP_1) | instskip(NEXT) | instid1(VALU_DEP_1)
	v_div_fmas_f64 v[40:41], v[40:41], v[42:43], v[52:53]
	v_div_fixup_f64 v[40:41], v[40:41], v[134:135], v[132:133]
	s_delay_alu instid0(VALU_DEP_1) | instskip(NEXT) | instid1(VALU_DEP_1)
	v_fma_f64 v[42:43], v[132:133], v[40:41], v[134:135]
	v_div_scale_f64 v[52:53], null, v[42:43], v[42:43], 1.0
	s_delay_alu instid0(VALU_DEP_1) | instskip(SKIP_2) | instid1(VALU_DEP_1)
	v_rcp_f64_e32 v[54:55], v[52:53]
	s_waitcnt_depctr 0xfff
	v_fma_f64 v[104:105], -v[52:53], v[54:55], 1.0
	v_fma_f64 v[54:55], v[54:55], v[104:105], v[54:55]
	s_delay_alu instid0(VALU_DEP_1) | instskip(NEXT) | instid1(VALU_DEP_1)
	v_fma_f64 v[104:105], -v[52:53], v[54:55], 1.0
	v_fma_f64 v[54:55], v[54:55], v[104:105], v[54:55]
	v_div_scale_f64 v[104:105], vcc_lo, 1.0, v[42:43], 1.0
	s_delay_alu instid0(VALU_DEP_1) | instskip(NEXT) | instid1(VALU_DEP_1)
	v_mul_f64 v[106:107], v[104:105], v[54:55]
	v_fma_f64 v[52:53], -v[52:53], v[106:107], v[104:105]
	s_delay_alu instid0(VALU_DEP_1) | instskip(NEXT) | instid1(VALU_DEP_1)
	v_div_fmas_f64 v[52:53], v[52:53], v[54:55], v[106:107]
	v_div_fixup_f64 v[134:135], v[52:53], v[42:43], 1.0
	s_delay_alu instid0(VALU_DEP_1)
	v_mul_f64 v[132:133], v[40:41], v[134:135]
	v_xor_b32_e32 v135, 0x80000000, v135
.LBB64_511:
	s_and_not1_saveexec_b32 s2, s2
	s_cbranch_execz .LBB64_513
; %bb.512:
	s_delay_alu instid0(VALU_DEP_1) | instskip(SKIP_1) | instid1(VALU_DEP_2)
	v_div_scale_f64 v[40:41], null, v[132:133], v[132:133], v[134:135]
	v_div_scale_f64 v[54:55], vcc_lo, v[134:135], v[132:133], v[134:135]
	v_rcp_f64_e32 v[42:43], v[40:41]
	s_waitcnt_depctr 0xfff
	v_fma_f64 v[52:53], -v[40:41], v[42:43], 1.0
	s_delay_alu instid0(VALU_DEP_1) | instskip(NEXT) | instid1(VALU_DEP_1)
	v_fma_f64 v[42:43], v[42:43], v[52:53], v[42:43]
	v_fma_f64 v[52:53], -v[40:41], v[42:43], 1.0
	s_delay_alu instid0(VALU_DEP_1) | instskip(NEXT) | instid1(VALU_DEP_1)
	v_fma_f64 v[42:43], v[42:43], v[52:53], v[42:43]
	v_mul_f64 v[52:53], v[54:55], v[42:43]
	s_delay_alu instid0(VALU_DEP_1) | instskip(NEXT) | instid1(VALU_DEP_1)
	v_fma_f64 v[40:41], -v[40:41], v[52:53], v[54:55]
	v_div_fmas_f64 v[40:41], v[40:41], v[42:43], v[52:53]
	s_delay_alu instid0(VALU_DEP_1) | instskip(NEXT) | instid1(VALU_DEP_1)
	v_div_fixup_f64 v[40:41], v[40:41], v[132:133], v[134:135]
	v_fma_f64 v[42:43], v[134:135], v[40:41], v[132:133]
	s_delay_alu instid0(VALU_DEP_1) | instskip(NEXT) | instid1(VALU_DEP_1)
	v_div_scale_f64 v[52:53], null, v[42:43], v[42:43], 1.0
	v_rcp_f64_e32 v[54:55], v[52:53]
	s_waitcnt_depctr 0xfff
	v_fma_f64 v[104:105], -v[52:53], v[54:55], 1.0
	s_delay_alu instid0(VALU_DEP_1) | instskip(NEXT) | instid1(VALU_DEP_1)
	v_fma_f64 v[54:55], v[54:55], v[104:105], v[54:55]
	v_fma_f64 v[104:105], -v[52:53], v[54:55], 1.0
	s_delay_alu instid0(VALU_DEP_1) | instskip(SKIP_1) | instid1(VALU_DEP_1)
	v_fma_f64 v[54:55], v[54:55], v[104:105], v[54:55]
	v_div_scale_f64 v[104:105], vcc_lo, 1.0, v[42:43], 1.0
	v_mul_f64 v[106:107], v[104:105], v[54:55]
	s_delay_alu instid0(VALU_DEP_1) | instskip(NEXT) | instid1(VALU_DEP_1)
	v_fma_f64 v[52:53], -v[52:53], v[106:107], v[104:105]
	v_div_fmas_f64 v[52:53], v[52:53], v[54:55], v[106:107]
	s_delay_alu instid0(VALU_DEP_1) | instskip(NEXT) | instid1(VALU_DEP_1)
	v_div_fixup_f64 v[132:133], v[52:53], v[42:43], 1.0
	v_mul_f64 v[134:135], v[40:41], -v[132:133]
.LBB64_513:
	s_or_b32 exec_lo, exec_lo, s2
.LBB64_514:
	s_delay_alu instid0(SALU_CYCLE_1) | instskip(NEXT) | instid1(SALU_CYCLE_1)
	s_or_b32 exec_lo, exec_lo, s3
	s_mov_b32 s2, exec_lo
	v_cmpx_ne_u32_e64 v174, v140
	s_xor_b32 s2, exec_lo, s2
	s_cbranch_execz .LBB64_520
; %bb.515:
	s_mov_b32 s3, exec_lo
	v_cmpx_eq_u32_e32 24, v174
	s_cbranch_execz .LBB64_519
; %bb.516:
	v_cmp_ne_u32_e32 vcc_lo, 24, v140
	s_xor_b32 s6, s4, -1
	s_delay_alu instid0(SALU_CYCLE_1) | instskip(NEXT) | instid1(SALU_CYCLE_1)
	s_and_b32 s7, s6, vcc_lo
	s_and_saveexec_b32 s6, s7
	s_cbranch_execz .LBB64_518
; %bb.517:
	scratch_load_b64 v[0:1], off, off offset:48 ; 8-byte Folded Reload
	v_ashrrev_i32_e32 v141, 31, v140
	s_delay_alu instid0(VALU_DEP_1) | instskip(SKIP_1) | instid1(VALU_DEP_1)
	v_lshlrev_b64 v[40:41], 2, v[140:141]
	s_waitcnt vmcnt(0)
	v_add_co_u32 v40, vcc_lo, v0, v40
	s_delay_alu instid0(VALU_DEP_2)
	v_add_co_ci_u32_e32 v41, vcc_lo, v1, v41, vcc_lo
	s_clause 0x1
	flat_load_b32 v42, v[40:41]
	flat_load_b32 v43, v[0:1] offset:96
	s_waitcnt vmcnt(1) lgkmcnt(1)
	flat_store_b32 v[0:1], v42 offset:96
	s_waitcnt vmcnt(0) lgkmcnt(1)
	flat_store_b32 v[40:41], v43
.LBB64_518:
	s_or_b32 exec_lo, exec_lo, s6
	v_mov_b32_e32 v174, v140
	v_mov_b32_e32 v173, v140
.LBB64_519:
	s_or_b32 exec_lo, exec_lo, s3
.LBB64_520:
	s_and_not1_saveexec_b32 s2, s2
	s_cbranch_execz .LBB64_522
; %bb.521:
	v_mov_b32_e32 v174, 24
	ds_store_2addr_b64 v172, v[28:29], v[30:31] offset0:50 offset1:51
	ds_store_2addr_b64 v172, v[24:25], v[26:27] offset0:52 offset1:53
	;; [unrolled: 1-line block ×8, first 2 shown]
.LBB64_522:
	s_or_b32 exec_lo, exec_lo, s2
	s_delay_alu instid0(SALU_CYCLE_1)
	s_mov_b32 s2, exec_lo
	s_waitcnt lgkmcnt(0)
	s_waitcnt_vscnt null, 0x0
	s_barrier
	buffer_gl0_inv
	v_cmpx_lt_i32_e32 24, v174
	s_cbranch_execz .LBB64_524
; %bb.523:
	v_mul_f64 v[40:41], v[132:133], v[34:35]
	v_mul_f64 v[34:35], v[134:135], v[34:35]
	ds_load_2addr_b64 v[140:143], v172 offset0:50 offset1:51
	ds_load_2addr_b64 v[144:147], v172 offset0:52 offset1:53
	;; [unrolled: 1-line block ×8, first 2 shown]
	v_fma_f64 v[40:41], v[134:135], v[32:33], v[40:41]
	v_fma_f64 v[32:33], v[132:133], v[32:33], -v[34:35]
	s_waitcnt lgkmcnt(7)
	s_delay_alu instid0(VALU_DEP_2)
	v_mul_f64 v[34:35], v[142:143], v[40:41]
	v_mul_f64 v[42:43], v[140:141], v[40:41]
	s_waitcnt lgkmcnt(6)
	v_mul_f64 v[52:53], v[146:147], v[40:41]
	v_mul_f64 v[54:55], v[144:145], v[40:41]
	s_waitcnt lgkmcnt(5)
	;; [unrolled: 3-line block ×7, first 2 shown]
	v_mul_f64 v[183:184], v[177:178], v[40:41]
	v_mul_f64 v[185:186], v[175:176], v[40:41]
	v_fma_f64 v[34:35], v[140:141], v[32:33], -v[34:35]
	v_fma_f64 v[42:43], v[142:143], v[32:33], v[42:43]
	v_fma_f64 v[52:53], v[144:145], v[32:33], -v[52:53]
	v_fma_f64 v[54:55], v[146:147], v[32:33], v[54:55]
	v_fma_f64 v[104:105], v[148:149], v[32:33], -v[104:105]
	v_fma_f64 v[106:107], v[150:151], v[32:33], v[106:107]
	v_fma_f64 v[128:129], v[152:153], v[32:33], -v[128:129]
	v_fma_f64 v[130:131], v[154:155], v[32:33], v[130:131]
	v_fma_f64 v[132:133], v[156:157], v[32:33], -v[132:133]
	v_fma_f64 v[134:135], v[158:159], v[32:33], v[134:135]
	v_fma_f64 v[136:137], v[160:161], v[32:33], -v[136:137]
	v_fma_f64 v[138:139], v[162:163], v[32:33], v[138:139]
	v_fma_f64 v[140:141], v[164:165], v[32:33], -v[179:180]
	v_fma_f64 v[142:143], v[166:167], v[32:33], v[181:182]
	v_fma_f64 v[144:145], v[175:176], v[32:33], -v[183:184]
	v_fma_f64 v[146:147], v[177:178], v[32:33], v[185:186]
	v_add_f64 v[28:29], v[28:29], -v[34:35]
	v_add_f64 v[30:31], v[30:31], -v[42:43]
	;; [unrolled: 1-line block ×16, first 2 shown]
	v_dual_mov_b32 v34, v40 :: v_dual_mov_b32 v35, v41
.LBB64_524:
	s_or_b32 exec_lo, exec_lo, s2
	v_lshl_add_u32 v40, v174, 4, v172
	s_barrier
	buffer_gl0_inv
	v_mov_b32_e32 v140, 25
	ds_store_2addr_b64 v40, v[28:29], v[30:31] offset1:1
	s_waitcnt lgkmcnt(0)
	s_barrier
	buffer_gl0_inv
	ds_load_2addr_b64 v[132:135], v172 offset0:50 offset1:51
	s_cmp_lt_i32 s5, 27
	s_cbranch_scc1 .LBB64_527
; %bb.525:
	v_add3_u32 v141, v170, 0, 0x1a0
	v_mov_b32_e32 v140, 25
	s_mov_b32 s6, 26
	s_set_inst_prefetch_distance 0x1
	.p2align	6
.LBB64_526:                             ; =>This Inner Loop Header: Depth=1
	ds_load_2addr_b64 v[142:145], v141 offset1:1
	s_waitcnt lgkmcnt(1)
	v_cmp_gt_f64_e32 vcc_lo, 0, v[132:133]
	v_xor_b32_e32 v40, 0x80000000, v133
	v_cmp_gt_f64_e64 s2, 0, v[134:135]
	v_xor_b32_e32 v42, 0x80000000, v135
	v_add_nc_u32_e32 v141, 16, v141
	s_waitcnt lgkmcnt(0)
	v_cmp_gt_f64_e64 s3, 0, v[142:143]
	v_mov_b32_e32 v52, v142
	v_dual_mov_b32 v54, v144 :: v_dual_cndmask_b32 v41, v133, v40
	v_xor_b32_e32 v40, 0x80000000, v143
	v_cndmask_b32_e64 v43, v135, v42, s2
	v_xor_b32_e32 v42, 0x80000000, v145
	s_delay_alu instid0(VALU_DEP_3) | instskip(SKIP_2) | instid1(VALU_DEP_2)
	v_cndmask_b32_e64 v53, v143, v40, s3
	v_cmp_gt_f64_e64 s3, 0, v[144:145]
	v_cndmask_b32_e32 v40, v132, v132, vcc_lo
	v_cndmask_b32_e64 v55, v145, v42, s3
	v_cndmask_b32_e64 v42, v134, v134, s2
	s_delay_alu instid0(VALU_DEP_2) | instskip(NEXT) | instid1(VALU_DEP_2)
	v_add_f64 v[52:53], v[52:53], v[54:55]
	v_add_f64 v[40:41], v[40:41], v[42:43]
	s_delay_alu instid0(VALU_DEP_1)
	v_cmp_lt_f64_e32 vcc_lo, v[40:41], v[52:53]
	v_cndmask_b32_e32 v135, v135, v145, vcc_lo
	v_dual_cndmask_b32 v133, v133, v143 :: v_dual_cndmask_b32 v132, v132, v142
	v_cndmask_b32_e32 v134, v134, v144, vcc_lo
	v_cndmask_b32_e64 v140, v140, s6, vcc_lo
	s_add_i32 s6, s6, 1
	s_delay_alu instid0(SALU_CYCLE_1)
	s_cmp_lg_u32 s5, s6
	s_cbranch_scc1 .LBB64_526
.LBB64_527:
	s_set_inst_prefetch_distance 0x2
	s_waitcnt lgkmcnt(0)
	v_cmp_eq_f64_e32 vcc_lo, 0, v[132:133]
	v_cmp_eq_f64_e64 s2, 0, v[134:135]
	s_delay_alu instid0(VALU_DEP_1) | instskip(NEXT) | instid1(SALU_CYCLE_1)
	s_and_b32 s2, vcc_lo, s2
	s_and_saveexec_b32 s3, s2
	s_delay_alu instid0(SALU_CYCLE_1)
	s_xor_b32 s2, exec_lo, s3
; %bb.528:
	v_cmp_ne_u32_e32 vcc_lo, 0, v255
	v_cndmask_b32_e32 v255, 26, v255, vcc_lo
; %bb.529:
	s_and_not1_saveexec_b32 s3, s2
	s_cbranch_execz .LBB64_535
; %bb.530:
	v_cmp_gt_f64_e32 vcc_lo, 0, v[132:133]
	v_cmp_gt_f64_e64 s2, 0, v[134:135]
	v_xor_b32_e32 v40, 0x80000000, v133
	v_xor_b32_e32 v42, 0x80000000, v135
	s_delay_alu instid0(VALU_DEP_2) | instskip(NEXT) | instid1(VALU_DEP_2)
	v_cndmask_b32_e32 v41, v133, v40, vcc_lo
	v_cndmask_b32_e64 v43, v135, v42, s2
	v_cndmask_b32_e32 v40, v132, v132, vcc_lo
	v_cndmask_b32_e64 v42, v134, v134, s2
	s_mov_b32 s2, exec_lo
	s_delay_alu instid0(VALU_DEP_1)
	v_cmpx_ngt_f64_e32 v[40:41], v[42:43]
	s_xor_b32 s2, exec_lo, s2
	s_cbranch_execz .LBB64_532
; %bb.531:
	v_div_scale_f64 v[40:41], null, v[134:135], v[134:135], v[132:133]
	v_div_scale_f64 v[54:55], vcc_lo, v[132:133], v[134:135], v[132:133]
	s_delay_alu instid0(VALU_DEP_2) | instskip(SKIP_2) | instid1(VALU_DEP_1)
	v_rcp_f64_e32 v[42:43], v[40:41]
	s_waitcnt_depctr 0xfff
	v_fma_f64 v[52:53], -v[40:41], v[42:43], 1.0
	v_fma_f64 v[42:43], v[42:43], v[52:53], v[42:43]
	s_delay_alu instid0(VALU_DEP_1) | instskip(NEXT) | instid1(VALU_DEP_1)
	v_fma_f64 v[52:53], -v[40:41], v[42:43], 1.0
	v_fma_f64 v[42:43], v[42:43], v[52:53], v[42:43]
	s_delay_alu instid0(VALU_DEP_1) | instskip(NEXT) | instid1(VALU_DEP_1)
	v_mul_f64 v[52:53], v[54:55], v[42:43]
	v_fma_f64 v[40:41], -v[40:41], v[52:53], v[54:55]
	s_delay_alu instid0(VALU_DEP_1) | instskip(NEXT) | instid1(VALU_DEP_1)
	v_div_fmas_f64 v[40:41], v[40:41], v[42:43], v[52:53]
	v_div_fixup_f64 v[40:41], v[40:41], v[134:135], v[132:133]
	s_delay_alu instid0(VALU_DEP_1) | instskip(NEXT) | instid1(VALU_DEP_1)
	v_fma_f64 v[42:43], v[132:133], v[40:41], v[134:135]
	v_div_scale_f64 v[52:53], null, v[42:43], v[42:43], 1.0
	s_delay_alu instid0(VALU_DEP_1) | instskip(SKIP_2) | instid1(VALU_DEP_1)
	v_rcp_f64_e32 v[54:55], v[52:53]
	s_waitcnt_depctr 0xfff
	v_fma_f64 v[104:105], -v[52:53], v[54:55], 1.0
	v_fma_f64 v[54:55], v[54:55], v[104:105], v[54:55]
	s_delay_alu instid0(VALU_DEP_1) | instskip(NEXT) | instid1(VALU_DEP_1)
	v_fma_f64 v[104:105], -v[52:53], v[54:55], 1.0
	v_fma_f64 v[54:55], v[54:55], v[104:105], v[54:55]
	v_div_scale_f64 v[104:105], vcc_lo, 1.0, v[42:43], 1.0
	s_delay_alu instid0(VALU_DEP_1) | instskip(NEXT) | instid1(VALU_DEP_1)
	v_mul_f64 v[106:107], v[104:105], v[54:55]
	v_fma_f64 v[52:53], -v[52:53], v[106:107], v[104:105]
	s_delay_alu instid0(VALU_DEP_1) | instskip(NEXT) | instid1(VALU_DEP_1)
	v_div_fmas_f64 v[52:53], v[52:53], v[54:55], v[106:107]
	v_div_fixup_f64 v[134:135], v[52:53], v[42:43], 1.0
	s_delay_alu instid0(VALU_DEP_1)
	v_mul_f64 v[132:133], v[40:41], v[134:135]
	v_xor_b32_e32 v135, 0x80000000, v135
.LBB64_532:
	s_and_not1_saveexec_b32 s2, s2
	s_cbranch_execz .LBB64_534
; %bb.533:
	s_delay_alu instid0(VALU_DEP_1) | instskip(SKIP_1) | instid1(VALU_DEP_2)
	v_div_scale_f64 v[40:41], null, v[132:133], v[132:133], v[134:135]
	v_div_scale_f64 v[54:55], vcc_lo, v[134:135], v[132:133], v[134:135]
	v_rcp_f64_e32 v[42:43], v[40:41]
	s_waitcnt_depctr 0xfff
	v_fma_f64 v[52:53], -v[40:41], v[42:43], 1.0
	s_delay_alu instid0(VALU_DEP_1) | instskip(NEXT) | instid1(VALU_DEP_1)
	v_fma_f64 v[42:43], v[42:43], v[52:53], v[42:43]
	v_fma_f64 v[52:53], -v[40:41], v[42:43], 1.0
	s_delay_alu instid0(VALU_DEP_1) | instskip(NEXT) | instid1(VALU_DEP_1)
	v_fma_f64 v[42:43], v[42:43], v[52:53], v[42:43]
	v_mul_f64 v[52:53], v[54:55], v[42:43]
	s_delay_alu instid0(VALU_DEP_1) | instskip(NEXT) | instid1(VALU_DEP_1)
	v_fma_f64 v[40:41], -v[40:41], v[52:53], v[54:55]
	v_div_fmas_f64 v[40:41], v[40:41], v[42:43], v[52:53]
	s_delay_alu instid0(VALU_DEP_1) | instskip(NEXT) | instid1(VALU_DEP_1)
	v_div_fixup_f64 v[40:41], v[40:41], v[132:133], v[134:135]
	v_fma_f64 v[42:43], v[134:135], v[40:41], v[132:133]
	s_delay_alu instid0(VALU_DEP_1) | instskip(NEXT) | instid1(VALU_DEP_1)
	v_div_scale_f64 v[52:53], null, v[42:43], v[42:43], 1.0
	v_rcp_f64_e32 v[54:55], v[52:53]
	s_waitcnt_depctr 0xfff
	v_fma_f64 v[104:105], -v[52:53], v[54:55], 1.0
	s_delay_alu instid0(VALU_DEP_1) | instskip(NEXT) | instid1(VALU_DEP_1)
	v_fma_f64 v[54:55], v[54:55], v[104:105], v[54:55]
	v_fma_f64 v[104:105], -v[52:53], v[54:55], 1.0
	s_delay_alu instid0(VALU_DEP_1) | instskip(SKIP_1) | instid1(VALU_DEP_1)
	v_fma_f64 v[54:55], v[54:55], v[104:105], v[54:55]
	v_div_scale_f64 v[104:105], vcc_lo, 1.0, v[42:43], 1.0
	v_mul_f64 v[106:107], v[104:105], v[54:55]
	s_delay_alu instid0(VALU_DEP_1) | instskip(NEXT) | instid1(VALU_DEP_1)
	v_fma_f64 v[52:53], -v[52:53], v[106:107], v[104:105]
	v_div_fmas_f64 v[52:53], v[52:53], v[54:55], v[106:107]
	s_delay_alu instid0(VALU_DEP_1) | instskip(NEXT) | instid1(VALU_DEP_1)
	v_div_fixup_f64 v[132:133], v[52:53], v[42:43], 1.0
	v_mul_f64 v[134:135], v[40:41], -v[132:133]
.LBB64_534:
	s_or_b32 exec_lo, exec_lo, s2
.LBB64_535:
	s_delay_alu instid0(SALU_CYCLE_1) | instskip(NEXT) | instid1(SALU_CYCLE_1)
	s_or_b32 exec_lo, exec_lo, s3
	s_mov_b32 s2, exec_lo
	v_cmpx_ne_u32_e64 v174, v140
	s_xor_b32 s2, exec_lo, s2
	s_cbranch_execz .LBB64_541
; %bb.536:
	s_mov_b32 s3, exec_lo
	v_cmpx_eq_u32_e32 25, v174
	s_cbranch_execz .LBB64_540
; %bb.537:
	v_cmp_ne_u32_e32 vcc_lo, 25, v140
	s_xor_b32 s6, s4, -1
	s_delay_alu instid0(SALU_CYCLE_1) | instskip(NEXT) | instid1(SALU_CYCLE_1)
	s_and_b32 s7, s6, vcc_lo
	s_and_saveexec_b32 s6, s7
	s_cbranch_execz .LBB64_539
; %bb.538:
	scratch_load_b64 v[0:1], off, off offset:48 ; 8-byte Folded Reload
	v_ashrrev_i32_e32 v141, 31, v140
	s_delay_alu instid0(VALU_DEP_1) | instskip(SKIP_1) | instid1(VALU_DEP_1)
	v_lshlrev_b64 v[40:41], 2, v[140:141]
	s_waitcnt vmcnt(0)
	v_add_co_u32 v40, vcc_lo, v0, v40
	s_delay_alu instid0(VALU_DEP_2)
	v_add_co_ci_u32_e32 v41, vcc_lo, v1, v41, vcc_lo
	s_clause 0x1
	flat_load_b32 v42, v[40:41]
	flat_load_b32 v43, v[0:1] offset:100
	s_waitcnt vmcnt(1) lgkmcnt(1)
	flat_store_b32 v[0:1], v42 offset:100
	s_waitcnt vmcnt(0) lgkmcnt(1)
	flat_store_b32 v[40:41], v43
.LBB64_539:
	s_or_b32 exec_lo, exec_lo, s6
	v_mov_b32_e32 v174, v140
	v_mov_b32_e32 v173, v140
.LBB64_540:
	s_or_b32 exec_lo, exec_lo, s3
.LBB64_541:
	s_and_not1_saveexec_b32 s2, s2
	s_cbranch_execz .LBB64_543
; %bb.542:
	v_mov_b32_e32 v174, 25
	ds_store_2addr_b64 v172, v[24:25], v[26:27] offset0:52 offset1:53
	ds_store_2addr_b64 v172, v[20:21], v[22:23] offset0:54 offset1:55
	;; [unrolled: 1-line block ×7, first 2 shown]
.LBB64_543:
	s_or_b32 exec_lo, exec_lo, s2
	s_delay_alu instid0(SALU_CYCLE_1)
	s_mov_b32 s2, exec_lo
	s_waitcnt lgkmcnt(0)
	s_waitcnt_vscnt null, 0x0
	s_barrier
	buffer_gl0_inv
	v_cmpx_lt_i32_e32 25, v174
	s_cbranch_execz .LBB64_545
; %bb.544:
	v_mul_f64 v[40:41], v[132:133], v[30:31]
	v_mul_f64 v[30:31], v[134:135], v[30:31]
	ds_load_2addr_b64 v[140:143], v172 offset0:52 offset1:53
	ds_load_2addr_b64 v[144:147], v172 offset0:54 offset1:55
	;; [unrolled: 1-line block ×7, first 2 shown]
	v_fma_f64 v[40:41], v[134:135], v[28:29], v[40:41]
	v_fma_f64 v[28:29], v[132:133], v[28:29], -v[30:31]
	s_waitcnt lgkmcnt(6)
	s_delay_alu instid0(VALU_DEP_2)
	v_mul_f64 v[30:31], v[142:143], v[40:41]
	v_mul_f64 v[42:43], v[140:141], v[40:41]
	s_waitcnt lgkmcnt(5)
	v_mul_f64 v[52:53], v[146:147], v[40:41]
	v_mul_f64 v[54:55], v[144:145], v[40:41]
	s_waitcnt lgkmcnt(4)
	;; [unrolled: 3-line block ×6, first 2 shown]
	v_mul_f64 v[175:176], v[166:167], v[40:41]
	v_mul_f64 v[177:178], v[164:165], v[40:41]
	v_fma_f64 v[30:31], v[140:141], v[28:29], -v[30:31]
	v_fma_f64 v[42:43], v[142:143], v[28:29], v[42:43]
	v_fma_f64 v[52:53], v[144:145], v[28:29], -v[52:53]
	v_fma_f64 v[54:55], v[146:147], v[28:29], v[54:55]
	;; [unrolled: 2-line block ×7, first 2 shown]
	v_add_f64 v[24:25], v[24:25], -v[30:31]
	v_add_f64 v[26:27], v[26:27], -v[42:43]
	;; [unrolled: 1-line block ×14, first 2 shown]
	v_dual_mov_b32 v30, v40 :: v_dual_mov_b32 v31, v41
.LBB64_545:
	s_or_b32 exec_lo, exec_lo, s2
	v_lshl_add_u32 v40, v174, 4, v172
	s_barrier
	buffer_gl0_inv
	v_mov_b32_e32 v140, 26
	ds_store_2addr_b64 v40, v[24:25], v[26:27] offset1:1
	s_waitcnt lgkmcnt(0)
	s_barrier
	buffer_gl0_inv
	ds_load_2addr_b64 v[132:135], v172 offset0:52 offset1:53
	s_cmp_lt_i32 s5, 28
	s_cbranch_scc1 .LBB64_548
; %bb.546:
	v_add3_u32 v141, v170, 0, 0x1b0
	v_mov_b32_e32 v140, 26
	s_mov_b32 s6, 27
	s_set_inst_prefetch_distance 0x1
	.p2align	6
.LBB64_547:                             ; =>This Inner Loop Header: Depth=1
	ds_load_2addr_b64 v[142:145], v141 offset1:1
	s_waitcnt lgkmcnt(1)
	v_cmp_gt_f64_e32 vcc_lo, 0, v[132:133]
	v_xor_b32_e32 v40, 0x80000000, v133
	v_cmp_gt_f64_e64 s2, 0, v[134:135]
	v_xor_b32_e32 v42, 0x80000000, v135
	v_add_nc_u32_e32 v141, 16, v141
	s_waitcnt lgkmcnt(0)
	v_cmp_gt_f64_e64 s3, 0, v[142:143]
	v_mov_b32_e32 v52, v142
	v_dual_mov_b32 v54, v144 :: v_dual_cndmask_b32 v41, v133, v40
	v_xor_b32_e32 v40, 0x80000000, v143
	v_cndmask_b32_e64 v43, v135, v42, s2
	v_xor_b32_e32 v42, 0x80000000, v145
	s_delay_alu instid0(VALU_DEP_3) | instskip(SKIP_2) | instid1(VALU_DEP_2)
	v_cndmask_b32_e64 v53, v143, v40, s3
	v_cmp_gt_f64_e64 s3, 0, v[144:145]
	v_cndmask_b32_e32 v40, v132, v132, vcc_lo
	v_cndmask_b32_e64 v55, v145, v42, s3
	v_cndmask_b32_e64 v42, v134, v134, s2
	s_delay_alu instid0(VALU_DEP_2) | instskip(NEXT) | instid1(VALU_DEP_2)
	v_add_f64 v[52:53], v[52:53], v[54:55]
	v_add_f64 v[40:41], v[40:41], v[42:43]
	s_delay_alu instid0(VALU_DEP_1)
	v_cmp_lt_f64_e32 vcc_lo, v[40:41], v[52:53]
	v_cndmask_b32_e32 v135, v135, v145, vcc_lo
	v_dual_cndmask_b32 v133, v133, v143 :: v_dual_cndmask_b32 v132, v132, v142
	v_cndmask_b32_e32 v134, v134, v144, vcc_lo
	v_cndmask_b32_e64 v140, v140, s6, vcc_lo
	s_add_i32 s6, s6, 1
	s_delay_alu instid0(SALU_CYCLE_1)
	s_cmp_lg_u32 s5, s6
	s_cbranch_scc1 .LBB64_547
.LBB64_548:
	s_set_inst_prefetch_distance 0x2
	s_waitcnt lgkmcnt(0)
	v_cmp_eq_f64_e32 vcc_lo, 0, v[132:133]
	v_cmp_eq_f64_e64 s2, 0, v[134:135]
	s_delay_alu instid0(VALU_DEP_1) | instskip(NEXT) | instid1(SALU_CYCLE_1)
	s_and_b32 s2, vcc_lo, s2
	s_and_saveexec_b32 s3, s2
	s_delay_alu instid0(SALU_CYCLE_1)
	s_xor_b32 s2, exec_lo, s3
; %bb.549:
	v_cmp_ne_u32_e32 vcc_lo, 0, v255
	v_cndmask_b32_e32 v255, 27, v255, vcc_lo
; %bb.550:
	s_and_not1_saveexec_b32 s3, s2
	s_cbranch_execz .LBB64_556
; %bb.551:
	v_cmp_gt_f64_e32 vcc_lo, 0, v[132:133]
	v_cmp_gt_f64_e64 s2, 0, v[134:135]
	v_xor_b32_e32 v40, 0x80000000, v133
	v_xor_b32_e32 v42, 0x80000000, v135
	s_delay_alu instid0(VALU_DEP_2) | instskip(NEXT) | instid1(VALU_DEP_2)
	v_cndmask_b32_e32 v41, v133, v40, vcc_lo
	v_cndmask_b32_e64 v43, v135, v42, s2
	v_cndmask_b32_e32 v40, v132, v132, vcc_lo
	v_cndmask_b32_e64 v42, v134, v134, s2
	s_mov_b32 s2, exec_lo
	s_delay_alu instid0(VALU_DEP_1)
	v_cmpx_ngt_f64_e32 v[40:41], v[42:43]
	s_xor_b32 s2, exec_lo, s2
	s_cbranch_execz .LBB64_553
; %bb.552:
	v_div_scale_f64 v[40:41], null, v[134:135], v[134:135], v[132:133]
	v_div_scale_f64 v[54:55], vcc_lo, v[132:133], v[134:135], v[132:133]
	s_delay_alu instid0(VALU_DEP_2) | instskip(SKIP_2) | instid1(VALU_DEP_1)
	v_rcp_f64_e32 v[42:43], v[40:41]
	s_waitcnt_depctr 0xfff
	v_fma_f64 v[52:53], -v[40:41], v[42:43], 1.0
	v_fma_f64 v[42:43], v[42:43], v[52:53], v[42:43]
	s_delay_alu instid0(VALU_DEP_1) | instskip(NEXT) | instid1(VALU_DEP_1)
	v_fma_f64 v[52:53], -v[40:41], v[42:43], 1.0
	v_fma_f64 v[42:43], v[42:43], v[52:53], v[42:43]
	s_delay_alu instid0(VALU_DEP_1) | instskip(NEXT) | instid1(VALU_DEP_1)
	v_mul_f64 v[52:53], v[54:55], v[42:43]
	v_fma_f64 v[40:41], -v[40:41], v[52:53], v[54:55]
	s_delay_alu instid0(VALU_DEP_1) | instskip(NEXT) | instid1(VALU_DEP_1)
	v_div_fmas_f64 v[40:41], v[40:41], v[42:43], v[52:53]
	v_div_fixup_f64 v[40:41], v[40:41], v[134:135], v[132:133]
	s_delay_alu instid0(VALU_DEP_1) | instskip(NEXT) | instid1(VALU_DEP_1)
	v_fma_f64 v[42:43], v[132:133], v[40:41], v[134:135]
	v_div_scale_f64 v[52:53], null, v[42:43], v[42:43], 1.0
	s_delay_alu instid0(VALU_DEP_1) | instskip(SKIP_2) | instid1(VALU_DEP_1)
	v_rcp_f64_e32 v[54:55], v[52:53]
	s_waitcnt_depctr 0xfff
	v_fma_f64 v[104:105], -v[52:53], v[54:55], 1.0
	v_fma_f64 v[54:55], v[54:55], v[104:105], v[54:55]
	s_delay_alu instid0(VALU_DEP_1) | instskip(NEXT) | instid1(VALU_DEP_1)
	v_fma_f64 v[104:105], -v[52:53], v[54:55], 1.0
	v_fma_f64 v[54:55], v[54:55], v[104:105], v[54:55]
	v_div_scale_f64 v[104:105], vcc_lo, 1.0, v[42:43], 1.0
	s_delay_alu instid0(VALU_DEP_1) | instskip(NEXT) | instid1(VALU_DEP_1)
	v_mul_f64 v[106:107], v[104:105], v[54:55]
	v_fma_f64 v[52:53], -v[52:53], v[106:107], v[104:105]
	s_delay_alu instid0(VALU_DEP_1) | instskip(NEXT) | instid1(VALU_DEP_1)
	v_div_fmas_f64 v[52:53], v[52:53], v[54:55], v[106:107]
	v_div_fixup_f64 v[134:135], v[52:53], v[42:43], 1.0
	s_delay_alu instid0(VALU_DEP_1)
	v_mul_f64 v[132:133], v[40:41], v[134:135]
	v_xor_b32_e32 v135, 0x80000000, v135
.LBB64_553:
	s_and_not1_saveexec_b32 s2, s2
	s_cbranch_execz .LBB64_555
; %bb.554:
	s_delay_alu instid0(VALU_DEP_1) | instskip(SKIP_1) | instid1(VALU_DEP_2)
	v_div_scale_f64 v[40:41], null, v[132:133], v[132:133], v[134:135]
	v_div_scale_f64 v[54:55], vcc_lo, v[134:135], v[132:133], v[134:135]
	v_rcp_f64_e32 v[42:43], v[40:41]
	s_waitcnt_depctr 0xfff
	v_fma_f64 v[52:53], -v[40:41], v[42:43], 1.0
	s_delay_alu instid0(VALU_DEP_1) | instskip(NEXT) | instid1(VALU_DEP_1)
	v_fma_f64 v[42:43], v[42:43], v[52:53], v[42:43]
	v_fma_f64 v[52:53], -v[40:41], v[42:43], 1.0
	s_delay_alu instid0(VALU_DEP_1) | instskip(NEXT) | instid1(VALU_DEP_1)
	v_fma_f64 v[42:43], v[42:43], v[52:53], v[42:43]
	v_mul_f64 v[52:53], v[54:55], v[42:43]
	s_delay_alu instid0(VALU_DEP_1) | instskip(NEXT) | instid1(VALU_DEP_1)
	v_fma_f64 v[40:41], -v[40:41], v[52:53], v[54:55]
	v_div_fmas_f64 v[40:41], v[40:41], v[42:43], v[52:53]
	s_delay_alu instid0(VALU_DEP_1) | instskip(NEXT) | instid1(VALU_DEP_1)
	v_div_fixup_f64 v[40:41], v[40:41], v[132:133], v[134:135]
	v_fma_f64 v[42:43], v[134:135], v[40:41], v[132:133]
	s_delay_alu instid0(VALU_DEP_1) | instskip(NEXT) | instid1(VALU_DEP_1)
	v_div_scale_f64 v[52:53], null, v[42:43], v[42:43], 1.0
	v_rcp_f64_e32 v[54:55], v[52:53]
	s_waitcnt_depctr 0xfff
	v_fma_f64 v[104:105], -v[52:53], v[54:55], 1.0
	s_delay_alu instid0(VALU_DEP_1) | instskip(NEXT) | instid1(VALU_DEP_1)
	v_fma_f64 v[54:55], v[54:55], v[104:105], v[54:55]
	v_fma_f64 v[104:105], -v[52:53], v[54:55], 1.0
	s_delay_alu instid0(VALU_DEP_1) | instskip(SKIP_1) | instid1(VALU_DEP_1)
	v_fma_f64 v[54:55], v[54:55], v[104:105], v[54:55]
	v_div_scale_f64 v[104:105], vcc_lo, 1.0, v[42:43], 1.0
	v_mul_f64 v[106:107], v[104:105], v[54:55]
	s_delay_alu instid0(VALU_DEP_1) | instskip(NEXT) | instid1(VALU_DEP_1)
	v_fma_f64 v[52:53], -v[52:53], v[106:107], v[104:105]
	v_div_fmas_f64 v[52:53], v[52:53], v[54:55], v[106:107]
	s_delay_alu instid0(VALU_DEP_1) | instskip(NEXT) | instid1(VALU_DEP_1)
	v_div_fixup_f64 v[132:133], v[52:53], v[42:43], 1.0
	v_mul_f64 v[134:135], v[40:41], -v[132:133]
.LBB64_555:
	s_or_b32 exec_lo, exec_lo, s2
.LBB64_556:
	s_delay_alu instid0(SALU_CYCLE_1) | instskip(NEXT) | instid1(SALU_CYCLE_1)
	s_or_b32 exec_lo, exec_lo, s3
	s_mov_b32 s2, exec_lo
	v_cmpx_ne_u32_e64 v174, v140
	s_xor_b32 s2, exec_lo, s2
	s_cbranch_execz .LBB64_562
; %bb.557:
	s_mov_b32 s3, exec_lo
	v_cmpx_eq_u32_e32 26, v174
	s_cbranch_execz .LBB64_561
; %bb.558:
	v_cmp_ne_u32_e32 vcc_lo, 26, v140
	s_xor_b32 s6, s4, -1
	s_delay_alu instid0(SALU_CYCLE_1) | instskip(NEXT) | instid1(SALU_CYCLE_1)
	s_and_b32 s7, s6, vcc_lo
	s_and_saveexec_b32 s6, s7
	s_cbranch_execz .LBB64_560
; %bb.559:
	scratch_load_b64 v[0:1], off, off offset:48 ; 8-byte Folded Reload
	v_ashrrev_i32_e32 v141, 31, v140
	s_delay_alu instid0(VALU_DEP_1) | instskip(SKIP_1) | instid1(VALU_DEP_1)
	v_lshlrev_b64 v[40:41], 2, v[140:141]
	s_waitcnt vmcnt(0)
	v_add_co_u32 v40, vcc_lo, v0, v40
	s_delay_alu instid0(VALU_DEP_2)
	v_add_co_ci_u32_e32 v41, vcc_lo, v1, v41, vcc_lo
	s_clause 0x1
	flat_load_b32 v42, v[40:41]
	flat_load_b32 v43, v[0:1] offset:104
	s_waitcnt vmcnt(1) lgkmcnt(1)
	flat_store_b32 v[0:1], v42 offset:104
	s_waitcnt vmcnt(0) lgkmcnt(1)
	flat_store_b32 v[40:41], v43
.LBB64_560:
	s_or_b32 exec_lo, exec_lo, s6
	v_mov_b32_e32 v174, v140
	v_mov_b32_e32 v173, v140
.LBB64_561:
	s_or_b32 exec_lo, exec_lo, s3
.LBB64_562:
	s_and_not1_saveexec_b32 s2, s2
	s_cbranch_execz .LBB64_564
; %bb.563:
	v_mov_b32_e32 v174, 26
	ds_store_2addr_b64 v172, v[20:21], v[22:23] offset0:54 offset1:55
	ds_store_2addr_b64 v172, v[16:17], v[18:19] offset0:56 offset1:57
	;; [unrolled: 1-line block ×6, first 2 shown]
.LBB64_564:
	s_or_b32 exec_lo, exec_lo, s2
	s_delay_alu instid0(SALU_CYCLE_1)
	s_mov_b32 s2, exec_lo
	s_waitcnt lgkmcnt(0)
	s_waitcnt_vscnt null, 0x0
	s_barrier
	buffer_gl0_inv
	v_cmpx_lt_i32_e32 26, v174
	s_cbranch_execz .LBB64_566
; %bb.565:
	v_mul_f64 v[40:41], v[132:133], v[26:27]
	v_mul_f64 v[26:27], v[134:135], v[26:27]
	ds_load_2addr_b64 v[140:143], v172 offset0:54 offset1:55
	ds_load_2addr_b64 v[144:147], v172 offset0:56 offset1:57
	;; [unrolled: 1-line block ×6, first 2 shown]
	v_fma_f64 v[40:41], v[134:135], v[24:25], v[40:41]
	v_fma_f64 v[24:25], v[132:133], v[24:25], -v[26:27]
	s_waitcnt lgkmcnt(5)
	s_delay_alu instid0(VALU_DEP_2)
	v_mul_f64 v[26:27], v[142:143], v[40:41]
	v_mul_f64 v[42:43], v[140:141], v[40:41]
	s_waitcnt lgkmcnt(4)
	v_mul_f64 v[52:53], v[146:147], v[40:41]
	v_mul_f64 v[54:55], v[144:145], v[40:41]
	s_waitcnt lgkmcnt(3)
	;; [unrolled: 3-line block ×5, first 2 shown]
	v_mul_f64 v[136:137], v[162:163], v[40:41]
	v_mul_f64 v[138:139], v[160:161], v[40:41]
	v_fma_f64 v[26:27], v[140:141], v[24:25], -v[26:27]
	v_fma_f64 v[42:43], v[142:143], v[24:25], v[42:43]
	v_fma_f64 v[52:53], v[144:145], v[24:25], -v[52:53]
	v_fma_f64 v[54:55], v[146:147], v[24:25], v[54:55]
	v_fma_f64 v[104:105], v[148:149], v[24:25], -v[104:105]
	v_fma_f64 v[106:107], v[150:151], v[24:25], v[106:107]
	v_fma_f64 v[128:129], v[152:153], v[24:25], -v[128:129]
	v_fma_f64 v[130:131], v[154:155], v[24:25], v[130:131]
	v_fma_f64 v[132:133], v[156:157], v[24:25], -v[132:133]
	v_fma_f64 v[134:135], v[158:159], v[24:25], v[134:135]
	v_fma_f64 v[136:137], v[160:161], v[24:25], -v[136:137]
	v_fma_f64 v[138:139], v[162:163], v[24:25], v[138:139]
	v_add_f64 v[20:21], v[20:21], -v[26:27]
	v_add_f64 v[22:23], v[22:23], -v[42:43]
	;; [unrolled: 1-line block ×12, first 2 shown]
	v_dual_mov_b32 v26, v40 :: v_dual_mov_b32 v27, v41
.LBB64_566:
	s_or_b32 exec_lo, exec_lo, s2
	v_lshl_add_u32 v40, v174, 4, v172
	s_barrier
	buffer_gl0_inv
	v_mov_b32_e32 v140, 27
	ds_store_2addr_b64 v40, v[20:21], v[22:23] offset1:1
	s_waitcnt lgkmcnt(0)
	s_barrier
	buffer_gl0_inv
	ds_load_2addr_b64 v[132:135], v172 offset0:54 offset1:55
	s_cmp_lt_i32 s5, 29
	s_cbranch_scc1 .LBB64_569
; %bb.567:
	v_add3_u32 v141, v170, 0, 0x1c0
	v_mov_b32_e32 v140, 27
	s_mov_b32 s6, 28
	s_set_inst_prefetch_distance 0x1
	.p2align	6
.LBB64_568:                             ; =>This Inner Loop Header: Depth=1
	ds_load_2addr_b64 v[142:145], v141 offset1:1
	s_waitcnt lgkmcnt(1)
	v_cmp_gt_f64_e32 vcc_lo, 0, v[132:133]
	v_xor_b32_e32 v40, 0x80000000, v133
	v_cmp_gt_f64_e64 s2, 0, v[134:135]
	v_xor_b32_e32 v42, 0x80000000, v135
	v_add_nc_u32_e32 v141, 16, v141
	s_waitcnt lgkmcnt(0)
	v_cmp_gt_f64_e64 s3, 0, v[142:143]
	v_mov_b32_e32 v52, v142
	v_dual_mov_b32 v54, v144 :: v_dual_cndmask_b32 v41, v133, v40
	v_xor_b32_e32 v40, 0x80000000, v143
	v_cndmask_b32_e64 v43, v135, v42, s2
	v_xor_b32_e32 v42, 0x80000000, v145
	s_delay_alu instid0(VALU_DEP_3) | instskip(SKIP_2) | instid1(VALU_DEP_2)
	v_cndmask_b32_e64 v53, v143, v40, s3
	v_cmp_gt_f64_e64 s3, 0, v[144:145]
	v_cndmask_b32_e32 v40, v132, v132, vcc_lo
	v_cndmask_b32_e64 v55, v145, v42, s3
	v_cndmask_b32_e64 v42, v134, v134, s2
	s_delay_alu instid0(VALU_DEP_2) | instskip(NEXT) | instid1(VALU_DEP_2)
	v_add_f64 v[52:53], v[52:53], v[54:55]
	v_add_f64 v[40:41], v[40:41], v[42:43]
	s_delay_alu instid0(VALU_DEP_1)
	v_cmp_lt_f64_e32 vcc_lo, v[40:41], v[52:53]
	v_cndmask_b32_e32 v135, v135, v145, vcc_lo
	v_dual_cndmask_b32 v133, v133, v143 :: v_dual_cndmask_b32 v132, v132, v142
	v_cndmask_b32_e32 v134, v134, v144, vcc_lo
	v_cndmask_b32_e64 v140, v140, s6, vcc_lo
	s_add_i32 s6, s6, 1
	s_delay_alu instid0(SALU_CYCLE_1)
	s_cmp_lg_u32 s5, s6
	s_cbranch_scc1 .LBB64_568
.LBB64_569:
	s_set_inst_prefetch_distance 0x2
	s_waitcnt lgkmcnt(0)
	v_cmp_eq_f64_e32 vcc_lo, 0, v[132:133]
	v_cmp_eq_f64_e64 s2, 0, v[134:135]
	s_delay_alu instid0(VALU_DEP_1) | instskip(NEXT) | instid1(SALU_CYCLE_1)
	s_and_b32 s2, vcc_lo, s2
	s_and_saveexec_b32 s3, s2
	s_delay_alu instid0(SALU_CYCLE_1)
	s_xor_b32 s2, exec_lo, s3
; %bb.570:
	v_cmp_ne_u32_e32 vcc_lo, 0, v255
	v_cndmask_b32_e32 v255, 28, v255, vcc_lo
; %bb.571:
	s_and_not1_saveexec_b32 s3, s2
	s_cbranch_execz .LBB64_577
; %bb.572:
	v_cmp_gt_f64_e32 vcc_lo, 0, v[132:133]
	v_cmp_gt_f64_e64 s2, 0, v[134:135]
	v_xor_b32_e32 v40, 0x80000000, v133
	v_xor_b32_e32 v42, 0x80000000, v135
	s_delay_alu instid0(VALU_DEP_2) | instskip(NEXT) | instid1(VALU_DEP_2)
	v_cndmask_b32_e32 v41, v133, v40, vcc_lo
	v_cndmask_b32_e64 v43, v135, v42, s2
	v_cndmask_b32_e32 v40, v132, v132, vcc_lo
	v_cndmask_b32_e64 v42, v134, v134, s2
	s_mov_b32 s2, exec_lo
	s_delay_alu instid0(VALU_DEP_1)
	v_cmpx_ngt_f64_e32 v[40:41], v[42:43]
	s_xor_b32 s2, exec_lo, s2
	s_cbranch_execz .LBB64_574
; %bb.573:
	v_div_scale_f64 v[40:41], null, v[134:135], v[134:135], v[132:133]
	v_div_scale_f64 v[54:55], vcc_lo, v[132:133], v[134:135], v[132:133]
	s_delay_alu instid0(VALU_DEP_2) | instskip(SKIP_2) | instid1(VALU_DEP_1)
	v_rcp_f64_e32 v[42:43], v[40:41]
	s_waitcnt_depctr 0xfff
	v_fma_f64 v[52:53], -v[40:41], v[42:43], 1.0
	v_fma_f64 v[42:43], v[42:43], v[52:53], v[42:43]
	s_delay_alu instid0(VALU_DEP_1) | instskip(NEXT) | instid1(VALU_DEP_1)
	v_fma_f64 v[52:53], -v[40:41], v[42:43], 1.0
	v_fma_f64 v[42:43], v[42:43], v[52:53], v[42:43]
	s_delay_alu instid0(VALU_DEP_1) | instskip(NEXT) | instid1(VALU_DEP_1)
	v_mul_f64 v[52:53], v[54:55], v[42:43]
	v_fma_f64 v[40:41], -v[40:41], v[52:53], v[54:55]
	s_delay_alu instid0(VALU_DEP_1) | instskip(NEXT) | instid1(VALU_DEP_1)
	v_div_fmas_f64 v[40:41], v[40:41], v[42:43], v[52:53]
	v_div_fixup_f64 v[40:41], v[40:41], v[134:135], v[132:133]
	s_delay_alu instid0(VALU_DEP_1) | instskip(NEXT) | instid1(VALU_DEP_1)
	v_fma_f64 v[42:43], v[132:133], v[40:41], v[134:135]
	v_div_scale_f64 v[52:53], null, v[42:43], v[42:43], 1.0
	s_delay_alu instid0(VALU_DEP_1) | instskip(SKIP_2) | instid1(VALU_DEP_1)
	v_rcp_f64_e32 v[54:55], v[52:53]
	s_waitcnt_depctr 0xfff
	v_fma_f64 v[104:105], -v[52:53], v[54:55], 1.0
	v_fma_f64 v[54:55], v[54:55], v[104:105], v[54:55]
	s_delay_alu instid0(VALU_DEP_1) | instskip(NEXT) | instid1(VALU_DEP_1)
	v_fma_f64 v[104:105], -v[52:53], v[54:55], 1.0
	v_fma_f64 v[54:55], v[54:55], v[104:105], v[54:55]
	v_div_scale_f64 v[104:105], vcc_lo, 1.0, v[42:43], 1.0
	s_delay_alu instid0(VALU_DEP_1) | instskip(NEXT) | instid1(VALU_DEP_1)
	v_mul_f64 v[106:107], v[104:105], v[54:55]
	v_fma_f64 v[52:53], -v[52:53], v[106:107], v[104:105]
	s_delay_alu instid0(VALU_DEP_1) | instskip(NEXT) | instid1(VALU_DEP_1)
	v_div_fmas_f64 v[52:53], v[52:53], v[54:55], v[106:107]
	v_div_fixup_f64 v[134:135], v[52:53], v[42:43], 1.0
	s_delay_alu instid0(VALU_DEP_1)
	v_mul_f64 v[132:133], v[40:41], v[134:135]
	v_xor_b32_e32 v135, 0x80000000, v135
.LBB64_574:
	s_and_not1_saveexec_b32 s2, s2
	s_cbranch_execz .LBB64_576
; %bb.575:
	s_delay_alu instid0(VALU_DEP_1) | instskip(SKIP_1) | instid1(VALU_DEP_2)
	v_div_scale_f64 v[40:41], null, v[132:133], v[132:133], v[134:135]
	v_div_scale_f64 v[54:55], vcc_lo, v[134:135], v[132:133], v[134:135]
	v_rcp_f64_e32 v[42:43], v[40:41]
	s_waitcnt_depctr 0xfff
	v_fma_f64 v[52:53], -v[40:41], v[42:43], 1.0
	s_delay_alu instid0(VALU_DEP_1) | instskip(NEXT) | instid1(VALU_DEP_1)
	v_fma_f64 v[42:43], v[42:43], v[52:53], v[42:43]
	v_fma_f64 v[52:53], -v[40:41], v[42:43], 1.0
	s_delay_alu instid0(VALU_DEP_1) | instskip(NEXT) | instid1(VALU_DEP_1)
	v_fma_f64 v[42:43], v[42:43], v[52:53], v[42:43]
	v_mul_f64 v[52:53], v[54:55], v[42:43]
	s_delay_alu instid0(VALU_DEP_1) | instskip(NEXT) | instid1(VALU_DEP_1)
	v_fma_f64 v[40:41], -v[40:41], v[52:53], v[54:55]
	v_div_fmas_f64 v[40:41], v[40:41], v[42:43], v[52:53]
	s_delay_alu instid0(VALU_DEP_1) | instskip(NEXT) | instid1(VALU_DEP_1)
	v_div_fixup_f64 v[40:41], v[40:41], v[132:133], v[134:135]
	v_fma_f64 v[42:43], v[134:135], v[40:41], v[132:133]
	s_delay_alu instid0(VALU_DEP_1) | instskip(NEXT) | instid1(VALU_DEP_1)
	v_div_scale_f64 v[52:53], null, v[42:43], v[42:43], 1.0
	v_rcp_f64_e32 v[54:55], v[52:53]
	s_waitcnt_depctr 0xfff
	v_fma_f64 v[104:105], -v[52:53], v[54:55], 1.0
	s_delay_alu instid0(VALU_DEP_1) | instskip(NEXT) | instid1(VALU_DEP_1)
	v_fma_f64 v[54:55], v[54:55], v[104:105], v[54:55]
	v_fma_f64 v[104:105], -v[52:53], v[54:55], 1.0
	s_delay_alu instid0(VALU_DEP_1) | instskip(SKIP_1) | instid1(VALU_DEP_1)
	v_fma_f64 v[54:55], v[54:55], v[104:105], v[54:55]
	v_div_scale_f64 v[104:105], vcc_lo, 1.0, v[42:43], 1.0
	v_mul_f64 v[106:107], v[104:105], v[54:55]
	s_delay_alu instid0(VALU_DEP_1) | instskip(NEXT) | instid1(VALU_DEP_1)
	v_fma_f64 v[52:53], -v[52:53], v[106:107], v[104:105]
	v_div_fmas_f64 v[52:53], v[52:53], v[54:55], v[106:107]
	s_delay_alu instid0(VALU_DEP_1) | instskip(NEXT) | instid1(VALU_DEP_1)
	v_div_fixup_f64 v[132:133], v[52:53], v[42:43], 1.0
	v_mul_f64 v[134:135], v[40:41], -v[132:133]
.LBB64_576:
	s_or_b32 exec_lo, exec_lo, s2
.LBB64_577:
	s_delay_alu instid0(SALU_CYCLE_1) | instskip(NEXT) | instid1(SALU_CYCLE_1)
	s_or_b32 exec_lo, exec_lo, s3
	s_mov_b32 s2, exec_lo
	v_cmpx_ne_u32_e64 v174, v140
	s_xor_b32 s2, exec_lo, s2
	s_cbranch_execz .LBB64_583
; %bb.578:
	s_mov_b32 s3, exec_lo
	v_cmpx_eq_u32_e32 27, v174
	s_cbranch_execz .LBB64_582
; %bb.579:
	v_cmp_ne_u32_e32 vcc_lo, 27, v140
	s_xor_b32 s6, s4, -1
	s_delay_alu instid0(SALU_CYCLE_1) | instskip(NEXT) | instid1(SALU_CYCLE_1)
	s_and_b32 s7, s6, vcc_lo
	s_and_saveexec_b32 s6, s7
	s_cbranch_execz .LBB64_581
; %bb.580:
	scratch_load_b64 v[0:1], off, off offset:48 ; 8-byte Folded Reload
	v_ashrrev_i32_e32 v141, 31, v140
	s_delay_alu instid0(VALU_DEP_1) | instskip(SKIP_1) | instid1(VALU_DEP_1)
	v_lshlrev_b64 v[40:41], 2, v[140:141]
	s_waitcnt vmcnt(0)
	v_add_co_u32 v40, vcc_lo, v0, v40
	s_delay_alu instid0(VALU_DEP_2)
	v_add_co_ci_u32_e32 v41, vcc_lo, v1, v41, vcc_lo
	s_clause 0x1
	flat_load_b32 v42, v[40:41]
	flat_load_b32 v43, v[0:1] offset:108
	s_waitcnt vmcnt(1) lgkmcnt(1)
	flat_store_b32 v[0:1], v42 offset:108
	s_waitcnt vmcnt(0) lgkmcnt(1)
	flat_store_b32 v[40:41], v43
.LBB64_581:
	s_or_b32 exec_lo, exec_lo, s6
	v_mov_b32_e32 v174, v140
	v_mov_b32_e32 v173, v140
.LBB64_582:
	s_or_b32 exec_lo, exec_lo, s3
.LBB64_583:
	s_and_not1_saveexec_b32 s2, s2
	s_cbranch_execz .LBB64_585
; %bb.584:
	v_mov_b32_e32 v174, 27
	ds_store_2addr_b64 v172, v[16:17], v[18:19] offset0:56 offset1:57
	ds_store_2addr_b64 v172, v[12:13], v[14:15] offset0:58 offset1:59
	;; [unrolled: 1-line block ×5, first 2 shown]
.LBB64_585:
	s_or_b32 exec_lo, exec_lo, s2
	s_delay_alu instid0(SALU_CYCLE_1)
	s_mov_b32 s2, exec_lo
	s_waitcnt lgkmcnt(0)
	s_waitcnt_vscnt null, 0x0
	s_barrier
	buffer_gl0_inv
	v_cmpx_lt_i32_e32 27, v174
	s_cbranch_execz .LBB64_587
; %bb.586:
	v_mul_f64 v[40:41], v[132:133], v[22:23]
	v_mul_f64 v[22:23], v[134:135], v[22:23]
	ds_load_2addr_b64 v[140:143], v172 offset0:56 offset1:57
	ds_load_2addr_b64 v[144:147], v172 offset0:58 offset1:59
	;; [unrolled: 1-line block ×5, first 2 shown]
	v_fma_f64 v[40:41], v[134:135], v[20:21], v[40:41]
	v_fma_f64 v[20:21], v[132:133], v[20:21], -v[22:23]
	s_waitcnt lgkmcnt(4)
	s_delay_alu instid0(VALU_DEP_2)
	v_mul_f64 v[22:23], v[142:143], v[40:41]
	v_mul_f64 v[42:43], v[140:141], v[40:41]
	s_waitcnt lgkmcnt(3)
	v_mul_f64 v[52:53], v[146:147], v[40:41]
	v_mul_f64 v[54:55], v[144:145], v[40:41]
	s_waitcnt lgkmcnt(2)
	;; [unrolled: 3-line block ×4, first 2 shown]
	v_mul_f64 v[132:133], v[158:159], v[40:41]
	v_mul_f64 v[134:135], v[156:157], v[40:41]
	v_fma_f64 v[22:23], v[140:141], v[20:21], -v[22:23]
	v_fma_f64 v[42:43], v[142:143], v[20:21], v[42:43]
	v_fma_f64 v[52:53], v[144:145], v[20:21], -v[52:53]
	v_fma_f64 v[54:55], v[146:147], v[20:21], v[54:55]
	;; [unrolled: 2-line block ×5, first 2 shown]
	v_add_f64 v[16:17], v[16:17], -v[22:23]
	v_add_f64 v[18:19], v[18:19], -v[42:43]
	v_add_f64 v[12:13], v[12:13], -v[52:53]
	v_add_f64 v[14:15], v[14:15], -v[54:55]
	v_add_f64 v[8:9], v[8:9], -v[104:105]
	v_add_f64 v[10:11], v[10:11], -v[106:107]
	v_add_f64 v[243:244], v[243:244], -v[128:129]
	v_add_f64 v[245:246], v[245:246], -v[130:131]
	v_add_f64 v[237:238], v[237:238], -v[132:133]
	v_add_f64 v[239:240], v[239:240], -v[134:135]
	v_dual_mov_b32 v22, v40 :: v_dual_mov_b32 v23, v41
.LBB64_587:
	s_or_b32 exec_lo, exec_lo, s2
	v_lshl_add_u32 v40, v174, 4, v172
	s_barrier
	buffer_gl0_inv
	v_mov_b32_e32 v140, 28
	ds_store_2addr_b64 v40, v[16:17], v[18:19] offset1:1
	s_waitcnt lgkmcnt(0)
	s_barrier
	buffer_gl0_inv
	ds_load_2addr_b64 v[132:135], v172 offset0:56 offset1:57
	s_cmp_lt_i32 s5, 30
	s_cbranch_scc1 .LBB64_590
; %bb.588:
	v_add3_u32 v141, v170, 0, 0x1d0
	v_mov_b32_e32 v140, 28
	s_mov_b32 s6, 29
	s_set_inst_prefetch_distance 0x1
	.p2align	6
.LBB64_589:                             ; =>This Inner Loop Header: Depth=1
	ds_load_2addr_b64 v[142:145], v141 offset1:1
	s_waitcnt lgkmcnt(1)
	v_cmp_gt_f64_e32 vcc_lo, 0, v[132:133]
	v_xor_b32_e32 v40, 0x80000000, v133
	v_cmp_gt_f64_e64 s2, 0, v[134:135]
	v_xor_b32_e32 v42, 0x80000000, v135
	v_add_nc_u32_e32 v141, 16, v141
	s_waitcnt lgkmcnt(0)
	v_cmp_gt_f64_e64 s3, 0, v[142:143]
	v_mov_b32_e32 v52, v142
	v_dual_mov_b32 v54, v144 :: v_dual_cndmask_b32 v41, v133, v40
	v_xor_b32_e32 v40, 0x80000000, v143
	v_cndmask_b32_e64 v43, v135, v42, s2
	v_xor_b32_e32 v42, 0x80000000, v145
	s_delay_alu instid0(VALU_DEP_3) | instskip(SKIP_2) | instid1(VALU_DEP_2)
	v_cndmask_b32_e64 v53, v143, v40, s3
	v_cmp_gt_f64_e64 s3, 0, v[144:145]
	v_cndmask_b32_e32 v40, v132, v132, vcc_lo
	v_cndmask_b32_e64 v55, v145, v42, s3
	v_cndmask_b32_e64 v42, v134, v134, s2
	s_delay_alu instid0(VALU_DEP_2) | instskip(NEXT) | instid1(VALU_DEP_2)
	v_add_f64 v[52:53], v[52:53], v[54:55]
	v_add_f64 v[40:41], v[40:41], v[42:43]
	s_delay_alu instid0(VALU_DEP_1)
	v_cmp_lt_f64_e32 vcc_lo, v[40:41], v[52:53]
	v_cndmask_b32_e32 v135, v135, v145, vcc_lo
	v_dual_cndmask_b32 v133, v133, v143 :: v_dual_cndmask_b32 v132, v132, v142
	v_cndmask_b32_e32 v134, v134, v144, vcc_lo
	v_cndmask_b32_e64 v140, v140, s6, vcc_lo
	s_add_i32 s6, s6, 1
	s_delay_alu instid0(SALU_CYCLE_1)
	s_cmp_lg_u32 s5, s6
	s_cbranch_scc1 .LBB64_589
.LBB64_590:
	s_set_inst_prefetch_distance 0x2
	s_waitcnt lgkmcnt(0)
	v_cmp_eq_f64_e32 vcc_lo, 0, v[132:133]
	v_cmp_eq_f64_e64 s2, 0, v[134:135]
	s_delay_alu instid0(VALU_DEP_1) | instskip(NEXT) | instid1(SALU_CYCLE_1)
	s_and_b32 s2, vcc_lo, s2
	s_and_saveexec_b32 s3, s2
	s_delay_alu instid0(SALU_CYCLE_1)
	s_xor_b32 s2, exec_lo, s3
; %bb.591:
	v_cmp_ne_u32_e32 vcc_lo, 0, v255
	v_cndmask_b32_e32 v255, 29, v255, vcc_lo
; %bb.592:
	s_and_not1_saveexec_b32 s3, s2
	s_cbranch_execz .LBB64_598
; %bb.593:
	v_cmp_gt_f64_e32 vcc_lo, 0, v[132:133]
	v_cmp_gt_f64_e64 s2, 0, v[134:135]
	v_xor_b32_e32 v40, 0x80000000, v133
	v_xor_b32_e32 v42, 0x80000000, v135
	s_delay_alu instid0(VALU_DEP_2) | instskip(NEXT) | instid1(VALU_DEP_2)
	v_cndmask_b32_e32 v41, v133, v40, vcc_lo
	v_cndmask_b32_e64 v43, v135, v42, s2
	v_cndmask_b32_e32 v40, v132, v132, vcc_lo
	v_cndmask_b32_e64 v42, v134, v134, s2
	s_mov_b32 s2, exec_lo
	s_delay_alu instid0(VALU_DEP_1)
	v_cmpx_ngt_f64_e32 v[40:41], v[42:43]
	s_xor_b32 s2, exec_lo, s2
	s_cbranch_execz .LBB64_595
; %bb.594:
	v_div_scale_f64 v[40:41], null, v[134:135], v[134:135], v[132:133]
	v_div_scale_f64 v[54:55], vcc_lo, v[132:133], v[134:135], v[132:133]
	s_delay_alu instid0(VALU_DEP_2) | instskip(SKIP_2) | instid1(VALU_DEP_1)
	v_rcp_f64_e32 v[42:43], v[40:41]
	s_waitcnt_depctr 0xfff
	v_fma_f64 v[52:53], -v[40:41], v[42:43], 1.0
	v_fma_f64 v[42:43], v[42:43], v[52:53], v[42:43]
	s_delay_alu instid0(VALU_DEP_1) | instskip(NEXT) | instid1(VALU_DEP_1)
	v_fma_f64 v[52:53], -v[40:41], v[42:43], 1.0
	v_fma_f64 v[42:43], v[42:43], v[52:53], v[42:43]
	s_delay_alu instid0(VALU_DEP_1) | instskip(NEXT) | instid1(VALU_DEP_1)
	v_mul_f64 v[52:53], v[54:55], v[42:43]
	v_fma_f64 v[40:41], -v[40:41], v[52:53], v[54:55]
	s_delay_alu instid0(VALU_DEP_1) | instskip(NEXT) | instid1(VALU_DEP_1)
	v_div_fmas_f64 v[40:41], v[40:41], v[42:43], v[52:53]
	v_div_fixup_f64 v[40:41], v[40:41], v[134:135], v[132:133]
	s_delay_alu instid0(VALU_DEP_1) | instskip(NEXT) | instid1(VALU_DEP_1)
	v_fma_f64 v[42:43], v[132:133], v[40:41], v[134:135]
	v_div_scale_f64 v[52:53], null, v[42:43], v[42:43], 1.0
	s_delay_alu instid0(VALU_DEP_1) | instskip(SKIP_2) | instid1(VALU_DEP_1)
	v_rcp_f64_e32 v[54:55], v[52:53]
	s_waitcnt_depctr 0xfff
	v_fma_f64 v[104:105], -v[52:53], v[54:55], 1.0
	v_fma_f64 v[54:55], v[54:55], v[104:105], v[54:55]
	s_delay_alu instid0(VALU_DEP_1) | instskip(NEXT) | instid1(VALU_DEP_1)
	v_fma_f64 v[104:105], -v[52:53], v[54:55], 1.0
	v_fma_f64 v[54:55], v[54:55], v[104:105], v[54:55]
	v_div_scale_f64 v[104:105], vcc_lo, 1.0, v[42:43], 1.0
	s_delay_alu instid0(VALU_DEP_1) | instskip(NEXT) | instid1(VALU_DEP_1)
	v_mul_f64 v[106:107], v[104:105], v[54:55]
	v_fma_f64 v[52:53], -v[52:53], v[106:107], v[104:105]
	s_delay_alu instid0(VALU_DEP_1) | instskip(NEXT) | instid1(VALU_DEP_1)
	v_div_fmas_f64 v[52:53], v[52:53], v[54:55], v[106:107]
	v_div_fixup_f64 v[134:135], v[52:53], v[42:43], 1.0
	s_delay_alu instid0(VALU_DEP_1)
	v_mul_f64 v[132:133], v[40:41], v[134:135]
	v_xor_b32_e32 v135, 0x80000000, v135
.LBB64_595:
	s_and_not1_saveexec_b32 s2, s2
	s_cbranch_execz .LBB64_597
; %bb.596:
	s_delay_alu instid0(VALU_DEP_1) | instskip(SKIP_1) | instid1(VALU_DEP_2)
	v_div_scale_f64 v[40:41], null, v[132:133], v[132:133], v[134:135]
	v_div_scale_f64 v[54:55], vcc_lo, v[134:135], v[132:133], v[134:135]
	v_rcp_f64_e32 v[42:43], v[40:41]
	s_waitcnt_depctr 0xfff
	v_fma_f64 v[52:53], -v[40:41], v[42:43], 1.0
	s_delay_alu instid0(VALU_DEP_1) | instskip(NEXT) | instid1(VALU_DEP_1)
	v_fma_f64 v[42:43], v[42:43], v[52:53], v[42:43]
	v_fma_f64 v[52:53], -v[40:41], v[42:43], 1.0
	s_delay_alu instid0(VALU_DEP_1) | instskip(NEXT) | instid1(VALU_DEP_1)
	v_fma_f64 v[42:43], v[42:43], v[52:53], v[42:43]
	v_mul_f64 v[52:53], v[54:55], v[42:43]
	s_delay_alu instid0(VALU_DEP_1) | instskip(NEXT) | instid1(VALU_DEP_1)
	v_fma_f64 v[40:41], -v[40:41], v[52:53], v[54:55]
	v_div_fmas_f64 v[40:41], v[40:41], v[42:43], v[52:53]
	s_delay_alu instid0(VALU_DEP_1) | instskip(NEXT) | instid1(VALU_DEP_1)
	v_div_fixup_f64 v[40:41], v[40:41], v[132:133], v[134:135]
	v_fma_f64 v[42:43], v[134:135], v[40:41], v[132:133]
	s_delay_alu instid0(VALU_DEP_1) | instskip(NEXT) | instid1(VALU_DEP_1)
	v_div_scale_f64 v[52:53], null, v[42:43], v[42:43], 1.0
	v_rcp_f64_e32 v[54:55], v[52:53]
	s_waitcnt_depctr 0xfff
	v_fma_f64 v[104:105], -v[52:53], v[54:55], 1.0
	s_delay_alu instid0(VALU_DEP_1) | instskip(NEXT) | instid1(VALU_DEP_1)
	v_fma_f64 v[54:55], v[54:55], v[104:105], v[54:55]
	v_fma_f64 v[104:105], -v[52:53], v[54:55], 1.0
	s_delay_alu instid0(VALU_DEP_1) | instskip(SKIP_1) | instid1(VALU_DEP_1)
	v_fma_f64 v[54:55], v[54:55], v[104:105], v[54:55]
	v_div_scale_f64 v[104:105], vcc_lo, 1.0, v[42:43], 1.0
	v_mul_f64 v[106:107], v[104:105], v[54:55]
	s_delay_alu instid0(VALU_DEP_1) | instskip(NEXT) | instid1(VALU_DEP_1)
	v_fma_f64 v[52:53], -v[52:53], v[106:107], v[104:105]
	v_div_fmas_f64 v[52:53], v[52:53], v[54:55], v[106:107]
	s_delay_alu instid0(VALU_DEP_1) | instskip(NEXT) | instid1(VALU_DEP_1)
	v_div_fixup_f64 v[132:133], v[52:53], v[42:43], 1.0
	v_mul_f64 v[134:135], v[40:41], -v[132:133]
.LBB64_597:
	s_or_b32 exec_lo, exec_lo, s2
.LBB64_598:
	s_delay_alu instid0(SALU_CYCLE_1) | instskip(NEXT) | instid1(SALU_CYCLE_1)
	s_or_b32 exec_lo, exec_lo, s3
	s_mov_b32 s2, exec_lo
	v_cmpx_ne_u32_e64 v174, v140
	s_xor_b32 s2, exec_lo, s2
	s_cbranch_execz .LBB64_604
; %bb.599:
	s_mov_b32 s3, exec_lo
	v_cmpx_eq_u32_e32 28, v174
	s_cbranch_execz .LBB64_603
; %bb.600:
	v_cmp_ne_u32_e32 vcc_lo, 28, v140
	s_xor_b32 s6, s4, -1
	s_delay_alu instid0(SALU_CYCLE_1) | instskip(NEXT) | instid1(SALU_CYCLE_1)
	s_and_b32 s7, s6, vcc_lo
	s_and_saveexec_b32 s6, s7
	s_cbranch_execz .LBB64_602
; %bb.601:
	scratch_load_b64 v[0:1], off, off offset:48 ; 8-byte Folded Reload
	v_ashrrev_i32_e32 v141, 31, v140
	s_delay_alu instid0(VALU_DEP_1) | instskip(SKIP_1) | instid1(VALU_DEP_1)
	v_lshlrev_b64 v[40:41], 2, v[140:141]
	s_waitcnt vmcnt(0)
	v_add_co_u32 v40, vcc_lo, v0, v40
	s_delay_alu instid0(VALU_DEP_2)
	v_add_co_ci_u32_e32 v41, vcc_lo, v1, v41, vcc_lo
	s_clause 0x1
	flat_load_b32 v42, v[40:41]
	flat_load_b32 v43, v[0:1] offset:112
	s_waitcnt vmcnt(1) lgkmcnt(1)
	flat_store_b32 v[0:1], v42 offset:112
	s_waitcnt vmcnt(0) lgkmcnt(1)
	flat_store_b32 v[40:41], v43
.LBB64_602:
	s_or_b32 exec_lo, exec_lo, s6
	v_mov_b32_e32 v174, v140
	v_mov_b32_e32 v173, v140
.LBB64_603:
	s_or_b32 exec_lo, exec_lo, s3
.LBB64_604:
	s_and_not1_saveexec_b32 s2, s2
	s_cbranch_execz .LBB64_606
; %bb.605:
	v_mov_b32_e32 v174, 28
	ds_store_2addr_b64 v172, v[12:13], v[14:15] offset0:58 offset1:59
	ds_store_2addr_b64 v172, v[8:9], v[10:11] offset0:60 offset1:61
	;; [unrolled: 1-line block ×4, first 2 shown]
.LBB64_606:
	s_or_b32 exec_lo, exec_lo, s2
	s_delay_alu instid0(SALU_CYCLE_1)
	s_mov_b32 s2, exec_lo
	s_waitcnt lgkmcnt(0)
	s_waitcnt_vscnt null, 0x0
	s_barrier
	buffer_gl0_inv
	v_cmpx_lt_i32_e32 28, v174
	s_cbranch_execz .LBB64_608
; %bb.607:
	v_mul_f64 v[40:41], v[132:133], v[18:19]
	v_mul_f64 v[18:19], v[134:135], v[18:19]
	ds_load_2addr_b64 v[140:143], v172 offset0:58 offset1:59
	ds_load_2addr_b64 v[144:147], v172 offset0:60 offset1:61
	;; [unrolled: 1-line block ×4, first 2 shown]
	v_fma_f64 v[40:41], v[134:135], v[16:17], v[40:41]
	v_fma_f64 v[16:17], v[132:133], v[16:17], -v[18:19]
	s_waitcnt lgkmcnt(3)
	s_delay_alu instid0(VALU_DEP_2)
	v_mul_f64 v[18:19], v[142:143], v[40:41]
	v_mul_f64 v[42:43], v[140:141], v[40:41]
	s_waitcnt lgkmcnt(2)
	v_mul_f64 v[52:53], v[146:147], v[40:41]
	v_mul_f64 v[54:55], v[144:145], v[40:41]
	s_waitcnt lgkmcnt(1)
	;; [unrolled: 3-line block ×3, first 2 shown]
	v_mul_f64 v[128:129], v[154:155], v[40:41]
	v_mul_f64 v[130:131], v[152:153], v[40:41]
	v_fma_f64 v[18:19], v[140:141], v[16:17], -v[18:19]
	v_fma_f64 v[42:43], v[142:143], v[16:17], v[42:43]
	v_fma_f64 v[52:53], v[144:145], v[16:17], -v[52:53]
	v_fma_f64 v[54:55], v[146:147], v[16:17], v[54:55]
	;; [unrolled: 2-line block ×4, first 2 shown]
	v_add_f64 v[12:13], v[12:13], -v[18:19]
	v_add_f64 v[14:15], v[14:15], -v[42:43]
	;; [unrolled: 1-line block ×8, first 2 shown]
	v_dual_mov_b32 v18, v40 :: v_dual_mov_b32 v19, v41
.LBB64_608:
	s_or_b32 exec_lo, exec_lo, s2
	v_lshl_add_u32 v40, v174, 4, v172
	s_barrier
	buffer_gl0_inv
	v_mov_b32_e32 v140, 29
	ds_store_2addr_b64 v40, v[12:13], v[14:15] offset1:1
	s_waitcnt lgkmcnt(0)
	s_barrier
	buffer_gl0_inv
	ds_load_2addr_b64 v[132:135], v172 offset0:58 offset1:59
	s_cmp_lt_i32 s5, 31
	s_cbranch_scc1 .LBB64_611
; %bb.609:
	v_add3_u32 v141, v170, 0, 0x1e0
	v_mov_b32_e32 v140, 29
	s_mov_b32 s6, 30
	s_set_inst_prefetch_distance 0x1
	.p2align	6
.LBB64_610:                             ; =>This Inner Loop Header: Depth=1
	ds_load_2addr_b64 v[142:145], v141 offset1:1
	s_waitcnt lgkmcnt(1)
	v_cmp_gt_f64_e32 vcc_lo, 0, v[132:133]
	v_xor_b32_e32 v40, 0x80000000, v133
	v_cmp_gt_f64_e64 s2, 0, v[134:135]
	v_xor_b32_e32 v42, 0x80000000, v135
	v_add_nc_u32_e32 v141, 16, v141
	s_waitcnt lgkmcnt(0)
	v_cmp_gt_f64_e64 s3, 0, v[142:143]
	v_mov_b32_e32 v52, v142
	v_dual_mov_b32 v54, v144 :: v_dual_cndmask_b32 v41, v133, v40
	v_xor_b32_e32 v40, 0x80000000, v143
	v_cndmask_b32_e64 v43, v135, v42, s2
	v_xor_b32_e32 v42, 0x80000000, v145
	s_delay_alu instid0(VALU_DEP_3) | instskip(SKIP_2) | instid1(VALU_DEP_2)
	v_cndmask_b32_e64 v53, v143, v40, s3
	v_cmp_gt_f64_e64 s3, 0, v[144:145]
	v_cndmask_b32_e32 v40, v132, v132, vcc_lo
	v_cndmask_b32_e64 v55, v145, v42, s3
	v_cndmask_b32_e64 v42, v134, v134, s2
	s_delay_alu instid0(VALU_DEP_2) | instskip(NEXT) | instid1(VALU_DEP_2)
	v_add_f64 v[52:53], v[52:53], v[54:55]
	v_add_f64 v[40:41], v[40:41], v[42:43]
	s_delay_alu instid0(VALU_DEP_1)
	v_cmp_lt_f64_e32 vcc_lo, v[40:41], v[52:53]
	v_cndmask_b32_e32 v135, v135, v145, vcc_lo
	v_dual_cndmask_b32 v133, v133, v143 :: v_dual_cndmask_b32 v132, v132, v142
	v_cndmask_b32_e32 v134, v134, v144, vcc_lo
	v_cndmask_b32_e64 v140, v140, s6, vcc_lo
	s_add_i32 s6, s6, 1
	s_delay_alu instid0(SALU_CYCLE_1)
	s_cmp_lg_u32 s5, s6
	s_cbranch_scc1 .LBB64_610
.LBB64_611:
	s_set_inst_prefetch_distance 0x2
	s_waitcnt lgkmcnt(0)
	v_cmp_eq_f64_e32 vcc_lo, 0, v[132:133]
	v_cmp_eq_f64_e64 s2, 0, v[134:135]
	s_delay_alu instid0(VALU_DEP_1) | instskip(NEXT) | instid1(SALU_CYCLE_1)
	s_and_b32 s2, vcc_lo, s2
	s_and_saveexec_b32 s3, s2
	s_delay_alu instid0(SALU_CYCLE_1)
	s_xor_b32 s2, exec_lo, s3
; %bb.612:
	v_cmp_ne_u32_e32 vcc_lo, 0, v255
	v_cndmask_b32_e32 v255, 30, v255, vcc_lo
; %bb.613:
	s_and_not1_saveexec_b32 s3, s2
	s_cbranch_execz .LBB64_619
; %bb.614:
	v_cmp_gt_f64_e32 vcc_lo, 0, v[132:133]
	v_cmp_gt_f64_e64 s2, 0, v[134:135]
	v_xor_b32_e32 v40, 0x80000000, v133
	v_xor_b32_e32 v42, 0x80000000, v135
	s_delay_alu instid0(VALU_DEP_2) | instskip(NEXT) | instid1(VALU_DEP_2)
	v_cndmask_b32_e32 v41, v133, v40, vcc_lo
	v_cndmask_b32_e64 v43, v135, v42, s2
	v_cndmask_b32_e32 v40, v132, v132, vcc_lo
	v_cndmask_b32_e64 v42, v134, v134, s2
	s_mov_b32 s2, exec_lo
	s_delay_alu instid0(VALU_DEP_1)
	v_cmpx_ngt_f64_e32 v[40:41], v[42:43]
	s_xor_b32 s2, exec_lo, s2
	s_cbranch_execz .LBB64_616
; %bb.615:
	v_div_scale_f64 v[40:41], null, v[134:135], v[134:135], v[132:133]
	v_div_scale_f64 v[54:55], vcc_lo, v[132:133], v[134:135], v[132:133]
	s_delay_alu instid0(VALU_DEP_2) | instskip(SKIP_2) | instid1(VALU_DEP_1)
	v_rcp_f64_e32 v[42:43], v[40:41]
	s_waitcnt_depctr 0xfff
	v_fma_f64 v[52:53], -v[40:41], v[42:43], 1.0
	v_fma_f64 v[42:43], v[42:43], v[52:53], v[42:43]
	s_delay_alu instid0(VALU_DEP_1) | instskip(NEXT) | instid1(VALU_DEP_1)
	v_fma_f64 v[52:53], -v[40:41], v[42:43], 1.0
	v_fma_f64 v[42:43], v[42:43], v[52:53], v[42:43]
	s_delay_alu instid0(VALU_DEP_1) | instskip(NEXT) | instid1(VALU_DEP_1)
	v_mul_f64 v[52:53], v[54:55], v[42:43]
	v_fma_f64 v[40:41], -v[40:41], v[52:53], v[54:55]
	s_delay_alu instid0(VALU_DEP_1) | instskip(NEXT) | instid1(VALU_DEP_1)
	v_div_fmas_f64 v[40:41], v[40:41], v[42:43], v[52:53]
	v_div_fixup_f64 v[40:41], v[40:41], v[134:135], v[132:133]
	s_delay_alu instid0(VALU_DEP_1) | instskip(NEXT) | instid1(VALU_DEP_1)
	v_fma_f64 v[42:43], v[132:133], v[40:41], v[134:135]
	v_div_scale_f64 v[52:53], null, v[42:43], v[42:43], 1.0
	s_delay_alu instid0(VALU_DEP_1) | instskip(SKIP_2) | instid1(VALU_DEP_1)
	v_rcp_f64_e32 v[54:55], v[52:53]
	s_waitcnt_depctr 0xfff
	v_fma_f64 v[104:105], -v[52:53], v[54:55], 1.0
	v_fma_f64 v[54:55], v[54:55], v[104:105], v[54:55]
	s_delay_alu instid0(VALU_DEP_1) | instskip(NEXT) | instid1(VALU_DEP_1)
	v_fma_f64 v[104:105], -v[52:53], v[54:55], 1.0
	v_fma_f64 v[54:55], v[54:55], v[104:105], v[54:55]
	v_div_scale_f64 v[104:105], vcc_lo, 1.0, v[42:43], 1.0
	s_delay_alu instid0(VALU_DEP_1) | instskip(NEXT) | instid1(VALU_DEP_1)
	v_mul_f64 v[106:107], v[104:105], v[54:55]
	v_fma_f64 v[52:53], -v[52:53], v[106:107], v[104:105]
	s_delay_alu instid0(VALU_DEP_1) | instskip(NEXT) | instid1(VALU_DEP_1)
	v_div_fmas_f64 v[52:53], v[52:53], v[54:55], v[106:107]
	v_div_fixup_f64 v[134:135], v[52:53], v[42:43], 1.0
	s_delay_alu instid0(VALU_DEP_1)
	v_mul_f64 v[132:133], v[40:41], v[134:135]
	v_xor_b32_e32 v135, 0x80000000, v135
.LBB64_616:
	s_and_not1_saveexec_b32 s2, s2
	s_cbranch_execz .LBB64_618
; %bb.617:
	s_delay_alu instid0(VALU_DEP_1) | instskip(SKIP_1) | instid1(VALU_DEP_2)
	v_div_scale_f64 v[40:41], null, v[132:133], v[132:133], v[134:135]
	v_div_scale_f64 v[54:55], vcc_lo, v[134:135], v[132:133], v[134:135]
	v_rcp_f64_e32 v[42:43], v[40:41]
	s_waitcnt_depctr 0xfff
	v_fma_f64 v[52:53], -v[40:41], v[42:43], 1.0
	s_delay_alu instid0(VALU_DEP_1) | instskip(NEXT) | instid1(VALU_DEP_1)
	v_fma_f64 v[42:43], v[42:43], v[52:53], v[42:43]
	v_fma_f64 v[52:53], -v[40:41], v[42:43], 1.0
	s_delay_alu instid0(VALU_DEP_1) | instskip(NEXT) | instid1(VALU_DEP_1)
	v_fma_f64 v[42:43], v[42:43], v[52:53], v[42:43]
	v_mul_f64 v[52:53], v[54:55], v[42:43]
	s_delay_alu instid0(VALU_DEP_1) | instskip(NEXT) | instid1(VALU_DEP_1)
	v_fma_f64 v[40:41], -v[40:41], v[52:53], v[54:55]
	v_div_fmas_f64 v[40:41], v[40:41], v[42:43], v[52:53]
	s_delay_alu instid0(VALU_DEP_1) | instskip(NEXT) | instid1(VALU_DEP_1)
	v_div_fixup_f64 v[40:41], v[40:41], v[132:133], v[134:135]
	v_fma_f64 v[42:43], v[134:135], v[40:41], v[132:133]
	s_delay_alu instid0(VALU_DEP_1) | instskip(NEXT) | instid1(VALU_DEP_1)
	v_div_scale_f64 v[52:53], null, v[42:43], v[42:43], 1.0
	v_rcp_f64_e32 v[54:55], v[52:53]
	s_waitcnt_depctr 0xfff
	v_fma_f64 v[104:105], -v[52:53], v[54:55], 1.0
	s_delay_alu instid0(VALU_DEP_1) | instskip(NEXT) | instid1(VALU_DEP_1)
	v_fma_f64 v[54:55], v[54:55], v[104:105], v[54:55]
	v_fma_f64 v[104:105], -v[52:53], v[54:55], 1.0
	s_delay_alu instid0(VALU_DEP_1) | instskip(SKIP_1) | instid1(VALU_DEP_1)
	v_fma_f64 v[54:55], v[54:55], v[104:105], v[54:55]
	v_div_scale_f64 v[104:105], vcc_lo, 1.0, v[42:43], 1.0
	v_mul_f64 v[106:107], v[104:105], v[54:55]
	s_delay_alu instid0(VALU_DEP_1) | instskip(NEXT) | instid1(VALU_DEP_1)
	v_fma_f64 v[52:53], -v[52:53], v[106:107], v[104:105]
	v_div_fmas_f64 v[52:53], v[52:53], v[54:55], v[106:107]
	s_delay_alu instid0(VALU_DEP_1) | instskip(NEXT) | instid1(VALU_DEP_1)
	v_div_fixup_f64 v[132:133], v[52:53], v[42:43], 1.0
	v_mul_f64 v[134:135], v[40:41], -v[132:133]
.LBB64_618:
	s_or_b32 exec_lo, exec_lo, s2
.LBB64_619:
	s_delay_alu instid0(SALU_CYCLE_1) | instskip(NEXT) | instid1(SALU_CYCLE_1)
	s_or_b32 exec_lo, exec_lo, s3
	s_mov_b32 s2, exec_lo
	v_cmpx_ne_u32_e64 v174, v140
	s_xor_b32 s2, exec_lo, s2
	s_cbranch_execz .LBB64_625
; %bb.620:
	s_mov_b32 s3, exec_lo
	v_cmpx_eq_u32_e32 29, v174
	s_cbranch_execz .LBB64_624
; %bb.621:
	v_cmp_ne_u32_e32 vcc_lo, 29, v140
	s_xor_b32 s6, s4, -1
	s_delay_alu instid0(SALU_CYCLE_1) | instskip(NEXT) | instid1(SALU_CYCLE_1)
	s_and_b32 s7, s6, vcc_lo
	s_and_saveexec_b32 s6, s7
	s_cbranch_execz .LBB64_623
; %bb.622:
	scratch_load_b64 v[0:1], off, off offset:48 ; 8-byte Folded Reload
	v_ashrrev_i32_e32 v141, 31, v140
	s_delay_alu instid0(VALU_DEP_1) | instskip(SKIP_1) | instid1(VALU_DEP_1)
	v_lshlrev_b64 v[40:41], 2, v[140:141]
	s_waitcnt vmcnt(0)
	v_add_co_u32 v40, vcc_lo, v0, v40
	s_delay_alu instid0(VALU_DEP_2)
	v_add_co_ci_u32_e32 v41, vcc_lo, v1, v41, vcc_lo
	s_clause 0x1
	flat_load_b32 v42, v[40:41]
	flat_load_b32 v43, v[0:1] offset:116
	s_waitcnt vmcnt(1) lgkmcnt(1)
	flat_store_b32 v[0:1], v42 offset:116
	s_waitcnt vmcnt(0) lgkmcnt(1)
	flat_store_b32 v[40:41], v43
.LBB64_623:
	s_or_b32 exec_lo, exec_lo, s6
	v_mov_b32_e32 v174, v140
	v_mov_b32_e32 v173, v140
.LBB64_624:
	s_or_b32 exec_lo, exec_lo, s3
.LBB64_625:
	s_and_not1_saveexec_b32 s2, s2
	s_cbranch_execz .LBB64_627
; %bb.626:
	v_mov_b32_e32 v174, 29
	ds_store_2addr_b64 v172, v[8:9], v[10:11] offset0:60 offset1:61
	ds_store_2addr_b64 v172, v[243:244], v[245:246] offset0:62 offset1:63
	;; [unrolled: 1-line block ×3, first 2 shown]
.LBB64_627:
	s_or_b32 exec_lo, exec_lo, s2
	s_delay_alu instid0(SALU_CYCLE_1)
	s_mov_b32 s2, exec_lo
	s_waitcnt lgkmcnt(0)
	s_waitcnt_vscnt null, 0x0
	s_barrier
	buffer_gl0_inv
	v_cmpx_lt_i32_e32 29, v174
	s_cbranch_execz .LBB64_629
; %bb.628:
	v_mul_f64 v[40:41], v[132:133], v[14:15]
	v_mul_f64 v[14:15], v[134:135], v[14:15]
	ds_load_2addr_b64 v[140:143], v172 offset0:60 offset1:61
	ds_load_2addr_b64 v[144:147], v172 offset0:62 offset1:63
	;; [unrolled: 1-line block ×3, first 2 shown]
	v_fma_f64 v[40:41], v[134:135], v[12:13], v[40:41]
	v_fma_f64 v[12:13], v[132:133], v[12:13], -v[14:15]
	s_waitcnt lgkmcnt(2)
	s_delay_alu instid0(VALU_DEP_2)
	v_mul_f64 v[14:15], v[142:143], v[40:41]
	v_mul_f64 v[42:43], v[140:141], v[40:41]
	s_waitcnt lgkmcnt(1)
	v_mul_f64 v[52:53], v[146:147], v[40:41]
	v_mul_f64 v[54:55], v[144:145], v[40:41]
	s_waitcnt lgkmcnt(0)
	v_mul_f64 v[104:105], v[150:151], v[40:41]
	v_mul_f64 v[106:107], v[148:149], v[40:41]
	v_fma_f64 v[14:15], v[140:141], v[12:13], -v[14:15]
	v_fma_f64 v[42:43], v[142:143], v[12:13], v[42:43]
	v_fma_f64 v[52:53], v[144:145], v[12:13], -v[52:53]
	v_fma_f64 v[54:55], v[146:147], v[12:13], v[54:55]
	;; [unrolled: 2-line block ×3, first 2 shown]
	v_add_f64 v[8:9], v[8:9], -v[14:15]
	v_add_f64 v[10:11], v[10:11], -v[42:43]
	;; [unrolled: 1-line block ×6, first 2 shown]
	v_dual_mov_b32 v14, v40 :: v_dual_mov_b32 v15, v41
.LBB64_629:
	s_or_b32 exec_lo, exec_lo, s2
	v_lshl_add_u32 v40, v174, 4, v172
	s_barrier
	buffer_gl0_inv
	v_mov_b32_e32 v140, 30
	ds_store_2addr_b64 v40, v[8:9], v[10:11] offset1:1
	s_waitcnt lgkmcnt(0)
	s_barrier
	buffer_gl0_inv
	ds_load_2addr_b64 v[132:135], v172 offset0:60 offset1:61
	s_cmp_lt_i32 s5, 32
	s_cbranch_scc1 .LBB64_632
; %bb.630:
	v_add3_u32 v141, v170, 0, 0x1f0
	v_mov_b32_e32 v140, 30
	s_mov_b32 s6, 31
	s_set_inst_prefetch_distance 0x1
	.p2align	6
.LBB64_631:                             ; =>This Inner Loop Header: Depth=1
	ds_load_2addr_b64 v[142:145], v141 offset1:1
	s_waitcnt lgkmcnt(1)
	v_cmp_gt_f64_e32 vcc_lo, 0, v[132:133]
	v_xor_b32_e32 v40, 0x80000000, v133
	v_cmp_gt_f64_e64 s2, 0, v[134:135]
	v_xor_b32_e32 v42, 0x80000000, v135
	v_add_nc_u32_e32 v141, 16, v141
	s_waitcnt lgkmcnt(0)
	v_cmp_gt_f64_e64 s3, 0, v[142:143]
	v_mov_b32_e32 v52, v142
	v_dual_mov_b32 v54, v144 :: v_dual_cndmask_b32 v41, v133, v40
	v_xor_b32_e32 v40, 0x80000000, v143
	v_cndmask_b32_e64 v43, v135, v42, s2
	v_xor_b32_e32 v42, 0x80000000, v145
	s_delay_alu instid0(VALU_DEP_3) | instskip(SKIP_2) | instid1(VALU_DEP_2)
	v_cndmask_b32_e64 v53, v143, v40, s3
	v_cmp_gt_f64_e64 s3, 0, v[144:145]
	v_cndmask_b32_e32 v40, v132, v132, vcc_lo
	v_cndmask_b32_e64 v55, v145, v42, s3
	v_cndmask_b32_e64 v42, v134, v134, s2
	s_delay_alu instid0(VALU_DEP_2) | instskip(NEXT) | instid1(VALU_DEP_2)
	v_add_f64 v[52:53], v[52:53], v[54:55]
	v_add_f64 v[40:41], v[40:41], v[42:43]
	s_delay_alu instid0(VALU_DEP_1)
	v_cmp_lt_f64_e32 vcc_lo, v[40:41], v[52:53]
	v_cndmask_b32_e32 v135, v135, v145, vcc_lo
	v_dual_cndmask_b32 v133, v133, v143 :: v_dual_cndmask_b32 v132, v132, v142
	v_cndmask_b32_e32 v134, v134, v144, vcc_lo
	v_cndmask_b32_e64 v140, v140, s6, vcc_lo
	s_add_i32 s6, s6, 1
	s_delay_alu instid0(SALU_CYCLE_1)
	s_cmp_lg_u32 s5, s6
	s_cbranch_scc1 .LBB64_631
.LBB64_632:
	s_set_inst_prefetch_distance 0x2
	s_waitcnt lgkmcnt(0)
	v_cmp_eq_f64_e32 vcc_lo, 0, v[132:133]
	v_cmp_eq_f64_e64 s2, 0, v[134:135]
	s_delay_alu instid0(VALU_DEP_1) | instskip(NEXT) | instid1(SALU_CYCLE_1)
	s_and_b32 s2, vcc_lo, s2
	s_and_saveexec_b32 s3, s2
	s_delay_alu instid0(SALU_CYCLE_1)
	s_xor_b32 s2, exec_lo, s3
; %bb.633:
	v_cmp_ne_u32_e32 vcc_lo, 0, v255
	v_cndmask_b32_e32 v255, 31, v255, vcc_lo
; %bb.634:
	s_and_not1_saveexec_b32 s3, s2
	s_cbranch_execz .LBB64_640
; %bb.635:
	v_cmp_gt_f64_e32 vcc_lo, 0, v[132:133]
	v_cmp_gt_f64_e64 s2, 0, v[134:135]
	v_xor_b32_e32 v40, 0x80000000, v133
	v_xor_b32_e32 v42, 0x80000000, v135
	s_delay_alu instid0(VALU_DEP_2) | instskip(NEXT) | instid1(VALU_DEP_2)
	v_cndmask_b32_e32 v41, v133, v40, vcc_lo
	v_cndmask_b32_e64 v43, v135, v42, s2
	v_cndmask_b32_e32 v40, v132, v132, vcc_lo
	v_cndmask_b32_e64 v42, v134, v134, s2
	s_mov_b32 s2, exec_lo
	s_delay_alu instid0(VALU_DEP_1)
	v_cmpx_ngt_f64_e32 v[40:41], v[42:43]
	s_xor_b32 s2, exec_lo, s2
	s_cbranch_execz .LBB64_637
; %bb.636:
	v_div_scale_f64 v[40:41], null, v[134:135], v[134:135], v[132:133]
	v_div_scale_f64 v[54:55], vcc_lo, v[132:133], v[134:135], v[132:133]
	s_delay_alu instid0(VALU_DEP_2) | instskip(SKIP_2) | instid1(VALU_DEP_1)
	v_rcp_f64_e32 v[42:43], v[40:41]
	s_waitcnt_depctr 0xfff
	v_fma_f64 v[52:53], -v[40:41], v[42:43], 1.0
	v_fma_f64 v[42:43], v[42:43], v[52:53], v[42:43]
	s_delay_alu instid0(VALU_DEP_1) | instskip(NEXT) | instid1(VALU_DEP_1)
	v_fma_f64 v[52:53], -v[40:41], v[42:43], 1.0
	v_fma_f64 v[42:43], v[42:43], v[52:53], v[42:43]
	s_delay_alu instid0(VALU_DEP_1) | instskip(NEXT) | instid1(VALU_DEP_1)
	v_mul_f64 v[52:53], v[54:55], v[42:43]
	v_fma_f64 v[40:41], -v[40:41], v[52:53], v[54:55]
	s_delay_alu instid0(VALU_DEP_1) | instskip(NEXT) | instid1(VALU_DEP_1)
	v_div_fmas_f64 v[40:41], v[40:41], v[42:43], v[52:53]
	v_div_fixup_f64 v[40:41], v[40:41], v[134:135], v[132:133]
	s_delay_alu instid0(VALU_DEP_1) | instskip(NEXT) | instid1(VALU_DEP_1)
	v_fma_f64 v[42:43], v[132:133], v[40:41], v[134:135]
	v_div_scale_f64 v[52:53], null, v[42:43], v[42:43], 1.0
	s_delay_alu instid0(VALU_DEP_1) | instskip(SKIP_2) | instid1(VALU_DEP_1)
	v_rcp_f64_e32 v[54:55], v[52:53]
	s_waitcnt_depctr 0xfff
	v_fma_f64 v[104:105], -v[52:53], v[54:55], 1.0
	v_fma_f64 v[54:55], v[54:55], v[104:105], v[54:55]
	s_delay_alu instid0(VALU_DEP_1) | instskip(NEXT) | instid1(VALU_DEP_1)
	v_fma_f64 v[104:105], -v[52:53], v[54:55], 1.0
	v_fma_f64 v[54:55], v[54:55], v[104:105], v[54:55]
	v_div_scale_f64 v[104:105], vcc_lo, 1.0, v[42:43], 1.0
	s_delay_alu instid0(VALU_DEP_1) | instskip(NEXT) | instid1(VALU_DEP_1)
	v_mul_f64 v[106:107], v[104:105], v[54:55]
	v_fma_f64 v[52:53], -v[52:53], v[106:107], v[104:105]
	s_delay_alu instid0(VALU_DEP_1) | instskip(NEXT) | instid1(VALU_DEP_1)
	v_div_fmas_f64 v[52:53], v[52:53], v[54:55], v[106:107]
	v_div_fixup_f64 v[134:135], v[52:53], v[42:43], 1.0
	s_delay_alu instid0(VALU_DEP_1)
	v_mul_f64 v[132:133], v[40:41], v[134:135]
	v_xor_b32_e32 v135, 0x80000000, v135
.LBB64_637:
	s_and_not1_saveexec_b32 s2, s2
	s_cbranch_execz .LBB64_639
; %bb.638:
	s_delay_alu instid0(VALU_DEP_1) | instskip(SKIP_1) | instid1(VALU_DEP_2)
	v_div_scale_f64 v[40:41], null, v[132:133], v[132:133], v[134:135]
	v_div_scale_f64 v[54:55], vcc_lo, v[134:135], v[132:133], v[134:135]
	v_rcp_f64_e32 v[42:43], v[40:41]
	s_waitcnt_depctr 0xfff
	v_fma_f64 v[52:53], -v[40:41], v[42:43], 1.0
	s_delay_alu instid0(VALU_DEP_1) | instskip(NEXT) | instid1(VALU_DEP_1)
	v_fma_f64 v[42:43], v[42:43], v[52:53], v[42:43]
	v_fma_f64 v[52:53], -v[40:41], v[42:43], 1.0
	s_delay_alu instid0(VALU_DEP_1) | instskip(NEXT) | instid1(VALU_DEP_1)
	v_fma_f64 v[42:43], v[42:43], v[52:53], v[42:43]
	v_mul_f64 v[52:53], v[54:55], v[42:43]
	s_delay_alu instid0(VALU_DEP_1) | instskip(NEXT) | instid1(VALU_DEP_1)
	v_fma_f64 v[40:41], -v[40:41], v[52:53], v[54:55]
	v_div_fmas_f64 v[40:41], v[40:41], v[42:43], v[52:53]
	s_delay_alu instid0(VALU_DEP_1) | instskip(NEXT) | instid1(VALU_DEP_1)
	v_div_fixup_f64 v[40:41], v[40:41], v[132:133], v[134:135]
	v_fma_f64 v[42:43], v[134:135], v[40:41], v[132:133]
	s_delay_alu instid0(VALU_DEP_1) | instskip(NEXT) | instid1(VALU_DEP_1)
	v_div_scale_f64 v[52:53], null, v[42:43], v[42:43], 1.0
	v_rcp_f64_e32 v[54:55], v[52:53]
	s_waitcnt_depctr 0xfff
	v_fma_f64 v[104:105], -v[52:53], v[54:55], 1.0
	s_delay_alu instid0(VALU_DEP_1) | instskip(NEXT) | instid1(VALU_DEP_1)
	v_fma_f64 v[54:55], v[54:55], v[104:105], v[54:55]
	v_fma_f64 v[104:105], -v[52:53], v[54:55], 1.0
	s_delay_alu instid0(VALU_DEP_1) | instskip(SKIP_1) | instid1(VALU_DEP_1)
	v_fma_f64 v[54:55], v[54:55], v[104:105], v[54:55]
	v_div_scale_f64 v[104:105], vcc_lo, 1.0, v[42:43], 1.0
	v_mul_f64 v[106:107], v[104:105], v[54:55]
	s_delay_alu instid0(VALU_DEP_1) | instskip(NEXT) | instid1(VALU_DEP_1)
	v_fma_f64 v[52:53], -v[52:53], v[106:107], v[104:105]
	v_div_fmas_f64 v[52:53], v[52:53], v[54:55], v[106:107]
	s_delay_alu instid0(VALU_DEP_1) | instskip(NEXT) | instid1(VALU_DEP_1)
	v_div_fixup_f64 v[132:133], v[52:53], v[42:43], 1.0
	v_mul_f64 v[134:135], v[40:41], -v[132:133]
.LBB64_639:
	s_or_b32 exec_lo, exec_lo, s2
.LBB64_640:
	s_delay_alu instid0(SALU_CYCLE_1) | instskip(NEXT) | instid1(SALU_CYCLE_1)
	s_or_b32 exec_lo, exec_lo, s3
	s_mov_b32 s2, exec_lo
	v_cmpx_ne_u32_e64 v174, v140
	s_xor_b32 s2, exec_lo, s2
	s_cbranch_execz .LBB64_646
; %bb.641:
	s_mov_b32 s3, exec_lo
	v_cmpx_eq_u32_e32 30, v174
	s_cbranch_execz .LBB64_645
; %bb.642:
	v_cmp_ne_u32_e32 vcc_lo, 30, v140
	s_xor_b32 s6, s4, -1
	s_delay_alu instid0(SALU_CYCLE_1) | instskip(NEXT) | instid1(SALU_CYCLE_1)
	s_and_b32 s7, s6, vcc_lo
	s_and_saveexec_b32 s6, s7
	s_cbranch_execz .LBB64_644
; %bb.643:
	scratch_load_b64 v[0:1], off, off offset:48 ; 8-byte Folded Reload
	v_ashrrev_i32_e32 v141, 31, v140
	s_delay_alu instid0(VALU_DEP_1) | instskip(SKIP_1) | instid1(VALU_DEP_1)
	v_lshlrev_b64 v[40:41], 2, v[140:141]
	s_waitcnt vmcnt(0)
	v_add_co_u32 v40, vcc_lo, v0, v40
	s_delay_alu instid0(VALU_DEP_2)
	v_add_co_ci_u32_e32 v41, vcc_lo, v1, v41, vcc_lo
	s_clause 0x1
	flat_load_b32 v42, v[40:41]
	flat_load_b32 v43, v[0:1] offset:120
	s_waitcnt vmcnt(1) lgkmcnt(1)
	flat_store_b32 v[0:1], v42 offset:120
	s_waitcnt vmcnt(0) lgkmcnt(1)
	flat_store_b32 v[40:41], v43
.LBB64_644:
	s_or_b32 exec_lo, exec_lo, s6
	v_mov_b32_e32 v174, v140
	v_mov_b32_e32 v173, v140
.LBB64_645:
	s_or_b32 exec_lo, exec_lo, s3
.LBB64_646:
	s_and_not1_saveexec_b32 s2, s2
	s_cbranch_execz .LBB64_648
; %bb.647:
	v_mov_b32_e32 v174, 30
	ds_store_2addr_b64 v172, v[243:244], v[245:246] offset0:62 offset1:63
	ds_store_2addr_b64 v172, v[237:238], v[239:240] offset0:64 offset1:65
.LBB64_648:
	s_or_b32 exec_lo, exec_lo, s2
	s_delay_alu instid0(SALU_CYCLE_1)
	s_mov_b32 s2, exec_lo
	s_waitcnt lgkmcnt(0)
	s_waitcnt_vscnt null, 0x0
	s_barrier
	buffer_gl0_inv
	v_cmpx_lt_i32_e32 30, v174
	s_cbranch_execz .LBB64_650
; %bb.649:
	v_mul_f64 v[40:41], v[132:133], v[10:11]
	v_mul_f64 v[10:11], v[134:135], v[10:11]
	ds_load_2addr_b64 v[140:143], v172 offset0:62 offset1:63
	ds_load_2addr_b64 v[144:147], v172 offset0:64 offset1:65
	v_fma_f64 v[40:41], v[134:135], v[8:9], v[40:41]
	v_fma_f64 v[8:9], v[132:133], v[8:9], -v[10:11]
	s_waitcnt lgkmcnt(1)
	s_delay_alu instid0(VALU_DEP_2) | instskip(SKIP_4) | instid1(VALU_DEP_4)
	v_mul_f64 v[10:11], v[142:143], v[40:41]
	v_mul_f64 v[42:43], v[140:141], v[40:41]
	s_waitcnt lgkmcnt(0)
	v_mul_f64 v[52:53], v[146:147], v[40:41]
	v_mul_f64 v[54:55], v[144:145], v[40:41]
	v_fma_f64 v[10:11], v[140:141], v[8:9], -v[10:11]
	s_delay_alu instid0(VALU_DEP_4) | instskip(NEXT) | instid1(VALU_DEP_4)
	v_fma_f64 v[42:43], v[142:143], v[8:9], v[42:43]
	v_fma_f64 v[52:53], v[144:145], v[8:9], -v[52:53]
	s_delay_alu instid0(VALU_DEP_4) | instskip(NEXT) | instid1(VALU_DEP_4)
	v_fma_f64 v[54:55], v[146:147], v[8:9], v[54:55]
	v_add_f64 v[243:244], v[243:244], -v[10:11]
	s_delay_alu instid0(VALU_DEP_4) | instskip(NEXT) | instid1(VALU_DEP_4)
	v_add_f64 v[245:246], v[245:246], -v[42:43]
	v_add_f64 v[237:238], v[237:238], -v[52:53]
	s_delay_alu instid0(VALU_DEP_4)
	v_add_f64 v[239:240], v[239:240], -v[54:55]
	v_dual_mov_b32 v10, v40 :: v_dual_mov_b32 v11, v41
.LBB64_650:
	s_or_b32 exec_lo, exec_lo, s2
	v_lshl_add_u32 v40, v174, 4, v172
	s_barrier
	buffer_gl0_inv
	v_mov_b32_e32 v140, 31
	ds_store_2addr_b64 v40, v[243:244], v[245:246] offset1:1
	s_waitcnt lgkmcnt(0)
	s_barrier
	buffer_gl0_inv
	ds_load_2addr_b64 v[132:135], v172 offset0:62 offset1:63
	s_cmp_lt_i32 s5, 33
	s_cbranch_scc1 .LBB64_653
; %bb.651:
	v_add3_u32 v141, v170, 0, 0x200
	v_mov_b32_e32 v140, 31
	s_mov_b32 s6, 32
	s_set_inst_prefetch_distance 0x1
	.p2align	6
.LBB64_652:                             ; =>This Inner Loop Header: Depth=1
	ds_load_2addr_b64 v[142:145], v141 offset1:1
	s_waitcnt lgkmcnt(1)
	v_cmp_gt_f64_e32 vcc_lo, 0, v[132:133]
	v_xor_b32_e32 v40, 0x80000000, v133
	v_cmp_gt_f64_e64 s2, 0, v[134:135]
	v_xor_b32_e32 v42, 0x80000000, v135
	v_add_nc_u32_e32 v141, 16, v141
	s_waitcnt lgkmcnt(0)
	v_cmp_gt_f64_e64 s3, 0, v[142:143]
	v_mov_b32_e32 v52, v142
	v_dual_mov_b32 v54, v144 :: v_dual_cndmask_b32 v41, v133, v40
	v_xor_b32_e32 v40, 0x80000000, v143
	v_cndmask_b32_e64 v43, v135, v42, s2
	v_xor_b32_e32 v42, 0x80000000, v145
	s_delay_alu instid0(VALU_DEP_3) | instskip(SKIP_2) | instid1(VALU_DEP_2)
	v_cndmask_b32_e64 v53, v143, v40, s3
	v_cmp_gt_f64_e64 s3, 0, v[144:145]
	v_cndmask_b32_e32 v40, v132, v132, vcc_lo
	v_cndmask_b32_e64 v55, v145, v42, s3
	v_cndmask_b32_e64 v42, v134, v134, s2
	s_delay_alu instid0(VALU_DEP_2) | instskip(NEXT) | instid1(VALU_DEP_2)
	v_add_f64 v[52:53], v[52:53], v[54:55]
	v_add_f64 v[40:41], v[40:41], v[42:43]
	s_delay_alu instid0(VALU_DEP_1)
	v_cmp_lt_f64_e32 vcc_lo, v[40:41], v[52:53]
	v_cndmask_b32_e32 v135, v135, v145, vcc_lo
	v_dual_cndmask_b32 v133, v133, v143 :: v_dual_cndmask_b32 v132, v132, v142
	v_cndmask_b32_e32 v134, v134, v144, vcc_lo
	v_cndmask_b32_e64 v140, v140, s6, vcc_lo
	s_add_i32 s6, s6, 1
	s_delay_alu instid0(SALU_CYCLE_1)
	s_cmp_lg_u32 s5, s6
	s_cbranch_scc1 .LBB64_652
.LBB64_653:
	s_set_inst_prefetch_distance 0x2
	s_waitcnt lgkmcnt(0)
	v_cmp_eq_f64_e32 vcc_lo, 0, v[132:133]
	v_cmp_eq_f64_e64 s2, 0, v[134:135]
	s_delay_alu instid0(VALU_DEP_1) | instskip(NEXT) | instid1(SALU_CYCLE_1)
	s_and_b32 s2, vcc_lo, s2
	s_and_saveexec_b32 s3, s2
	s_delay_alu instid0(SALU_CYCLE_1)
	s_xor_b32 s2, exec_lo, s3
; %bb.654:
	v_cmp_ne_u32_e32 vcc_lo, 0, v255
	v_cndmask_b32_e32 v255, 32, v255, vcc_lo
; %bb.655:
	s_and_not1_saveexec_b32 s3, s2
	s_cbranch_execz .LBB64_661
; %bb.656:
	v_cmp_gt_f64_e32 vcc_lo, 0, v[132:133]
	v_cmp_gt_f64_e64 s2, 0, v[134:135]
	v_xor_b32_e32 v40, 0x80000000, v133
	v_xor_b32_e32 v42, 0x80000000, v135
	s_delay_alu instid0(VALU_DEP_2) | instskip(NEXT) | instid1(VALU_DEP_2)
	v_cndmask_b32_e32 v41, v133, v40, vcc_lo
	v_cndmask_b32_e64 v43, v135, v42, s2
	v_cndmask_b32_e32 v40, v132, v132, vcc_lo
	v_cndmask_b32_e64 v42, v134, v134, s2
	s_mov_b32 s2, exec_lo
	s_delay_alu instid0(VALU_DEP_1)
	v_cmpx_ngt_f64_e32 v[40:41], v[42:43]
	s_xor_b32 s2, exec_lo, s2
	s_cbranch_execz .LBB64_658
; %bb.657:
	v_div_scale_f64 v[40:41], null, v[134:135], v[134:135], v[132:133]
	v_div_scale_f64 v[54:55], vcc_lo, v[132:133], v[134:135], v[132:133]
	s_delay_alu instid0(VALU_DEP_2) | instskip(SKIP_2) | instid1(VALU_DEP_1)
	v_rcp_f64_e32 v[42:43], v[40:41]
	s_waitcnt_depctr 0xfff
	v_fma_f64 v[52:53], -v[40:41], v[42:43], 1.0
	v_fma_f64 v[42:43], v[42:43], v[52:53], v[42:43]
	s_delay_alu instid0(VALU_DEP_1) | instskip(NEXT) | instid1(VALU_DEP_1)
	v_fma_f64 v[52:53], -v[40:41], v[42:43], 1.0
	v_fma_f64 v[42:43], v[42:43], v[52:53], v[42:43]
	s_delay_alu instid0(VALU_DEP_1) | instskip(NEXT) | instid1(VALU_DEP_1)
	v_mul_f64 v[52:53], v[54:55], v[42:43]
	v_fma_f64 v[40:41], -v[40:41], v[52:53], v[54:55]
	s_delay_alu instid0(VALU_DEP_1) | instskip(NEXT) | instid1(VALU_DEP_1)
	v_div_fmas_f64 v[40:41], v[40:41], v[42:43], v[52:53]
	v_div_fixup_f64 v[40:41], v[40:41], v[134:135], v[132:133]
	s_delay_alu instid0(VALU_DEP_1) | instskip(NEXT) | instid1(VALU_DEP_1)
	v_fma_f64 v[42:43], v[132:133], v[40:41], v[134:135]
	v_div_scale_f64 v[52:53], null, v[42:43], v[42:43], 1.0
	s_delay_alu instid0(VALU_DEP_1) | instskip(SKIP_2) | instid1(VALU_DEP_1)
	v_rcp_f64_e32 v[54:55], v[52:53]
	s_waitcnt_depctr 0xfff
	v_fma_f64 v[104:105], -v[52:53], v[54:55], 1.0
	v_fma_f64 v[54:55], v[54:55], v[104:105], v[54:55]
	s_delay_alu instid0(VALU_DEP_1) | instskip(NEXT) | instid1(VALU_DEP_1)
	v_fma_f64 v[104:105], -v[52:53], v[54:55], 1.0
	v_fma_f64 v[54:55], v[54:55], v[104:105], v[54:55]
	v_div_scale_f64 v[104:105], vcc_lo, 1.0, v[42:43], 1.0
	s_delay_alu instid0(VALU_DEP_1) | instskip(NEXT) | instid1(VALU_DEP_1)
	v_mul_f64 v[106:107], v[104:105], v[54:55]
	v_fma_f64 v[52:53], -v[52:53], v[106:107], v[104:105]
	s_delay_alu instid0(VALU_DEP_1) | instskip(NEXT) | instid1(VALU_DEP_1)
	v_div_fmas_f64 v[52:53], v[52:53], v[54:55], v[106:107]
	v_div_fixup_f64 v[134:135], v[52:53], v[42:43], 1.0
	s_delay_alu instid0(VALU_DEP_1)
	v_mul_f64 v[132:133], v[40:41], v[134:135]
	v_xor_b32_e32 v135, 0x80000000, v135
.LBB64_658:
	s_and_not1_saveexec_b32 s2, s2
	s_cbranch_execz .LBB64_660
; %bb.659:
	s_delay_alu instid0(VALU_DEP_1) | instskip(SKIP_1) | instid1(VALU_DEP_2)
	v_div_scale_f64 v[40:41], null, v[132:133], v[132:133], v[134:135]
	v_div_scale_f64 v[54:55], vcc_lo, v[134:135], v[132:133], v[134:135]
	v_rcp_f64_e32 v[42:43], v[40:41]
	s_waitcnt_depctr 0xfff
	v_fma_f64 v[52:53], -v[40:41], v[42:43], 1.0
	s_delay_alu instid0(VALU_DEP_1) | instskip(NEXT) | instid1(VALU_DEP_1)
	v_fma_f64 v[42:43], v[42:43], v[52:53], v[42:43]
	v_fma_f64 v[52:53], -v[40:41], v[42:43], 1.0
	s_delay_alu instid0(VALU_DEP_1) | instskip(NEXT) | instid1(VALU_DEP_1)
	v_fma_f64 v[42:43], v[42:43], v[52:53], v[42:43]
	v_mul_f64 v[52:53], v[54:55], v[42:43]
	s_delay_alu instid0(VALU_DEP_1) | instskip(NEXT) | instid1(VALU_DEP_1)
	v_fma_f64 v[40:41], -v[40:41], v[52:53], v[54:55]
	v_div_fmas_f64 v[40:41], v[40:41], v[42:43], v[52:53]
	s_delay_alu instid0(VALU_DEP_1) | instskip(NEXT) | instid1(VALU_DEP_1)
	v_div_fixup_f64 v[40:41], v[40:41], v[132:133], v[134:135]
	v_fma_f64 v[42:43], v[134:135], v[40:41], v[132:133]
	s_delay_alu instid0(VALU_DEP_1) | instskip(NEXT) | instid1(VALU_DEP_1)
	v_div_scale_f64 v[52:53], null, v[42:43], v[42:43], 1.0
	v_rcp_f64_e32 v[54:55], v[52:53]
	s_waitcnt_depctr 0xfff
	v_fma_f64 v[104:105], -v[52:53], v[54:55], 1.0
	s_delay_alu instid0(VALU_DEP_1) | instskip(NEXT) | instid1(VALU_DEP_1)
	v_fma_f64 v[54:55], v[54:55], v[104:105], v[54:55]
	v_fma_f64 v[104:105], -v[52:53], v[54:55], 1.0
	s_delay_alu instid0(VALU_DEP_1) | instskip(SKIP_1) | instid1(VALU_DEP_1)
	v_fma_f64 v[54:55], v[54:55], v[104:105], v[54:55]
	v_div_scale_f64 v[104:105], vcc_lo, 1.0, v[42:43], 1.0
	v_mul_f64 v[106:107], v[104:105], v[54:55]
	s_delay_alu instid0(VALU_DEP_1) | instskip(NEXT) | instid1(VALU_DEP_1)
	v_fma_f64 v[52:53], -v[52:53], v[106:107], v[104:105]
	v_div_fmas_f64 v[52:53], v[52:53], v[54:55], v[106:107]
	s_delay_alu instid0(VALU_DEP_1) | instskip(NEXT) | instid1(VALU_DEP_1)
	v_div_fixup_f64 v[132:133], v[52:53], v[42:43], 1.0
	v_mul_f64 v[134:135], v[40:41], -v[132:133]
.LBB64_660:
	s_or_b32 exec_lo, exec_lo, s2
.LBB64_661:
	s_delay_alu instid0(SALU_CYCLE_1) | instskip(NEXT) | instid1(SALU_CYCLE_1)
	s_or_b32 exec_lo, exec_lo, s3
	s_mov_b32 s2, exec_lo
	v_cmpx_ne_u32_e64 v174, v140
	s_xor_b32 s2, exec_lo, s2
	s_cbranch_execz .LBB64_667
; %bb.662:
	s_mov_b32 s3, exec_lo
	v_cmpx_eq_u32_e32 31, v174
	s_cbranch_execz .LBB64_666
; %bb.663:
	v_cmp_ne_u32_e32 vcc_lo, 31, v140
	s_xor_b32 s6, s4, -1
	s_delay_alu instid0(SALU_CYCLE_1) | instskip(NEXT) | instid1(SALU_CYCLE_1)
	s_and_b32 s7, s6, vcc_lo
	s_and_saveexec_b32 s6, s7
	s_cbranch_execz .LBB64_665
; %bb.664:
	scratch_load_b64 v[0:1], off, off offset:48 ; 8-byte Folded Reload
	v_ashrrev_i32_e32 v141, 31, v140
	s_delay_alu instid0(VALU_DEP_1) | instskip(SKIP_1) | instid1(VALU_DEP_1)
	v_lshlrev_b64 v[40:41], 2, v[140:141]
	s_waitcnt vmcnt(0)
	v_add_co_u32 v40, vcc_lo, v0, v40
	s_delay_alu instid0(VALU_DEP_2)
	v_add_co_ci_u32_e32 v41, vcc_lo, v1, v41, vcc_lo
	s_clause 0x1
	flat_load_b32 v42, v[40:41]
	flat_load_b32 v43, v[0:1] offset:124
	s_waitcnt vmcnt(1) lgkmcnt(1)
	flat_store_b32 v[0:1], v42 offset:124
	s_waitcnt vmcnt(0) lgkmcnt(1)
	flat_store_b32 v[40:41], v43
.LBB64_665:
	s_or_b32 exec_lo, exec_lo, s6
	v_mov_b32_e32 v174, v140
	v_mov_b32_e32 v173, v140
.LBB64_666:
	s_or_b32 exec_lo, exec_lo, s3
.LBB64_667:
	s_and_not1_saveexec_b32 s2, s2
	s_cbranch_execz .LBB64_669
; %bb.668:
	v_mov_b32_e32 v174, 31
	ds_store_2addr_b64 v172, v[237:238], v[239:240] offset0:64 offset1:65
.LBB64_669:
	s_or_b32 exec_lo, exec_lo, s2
	s_delay_alu instid0(SALU_CYCLE_1)
	s_mov_b32 s2, exec_lo
	s_waitcnt lgkmcnt(0)
	s_waitcnt_vscnt null, 0x0
	s_barrier
	buffer_gl0_inv
	v_cmpx_lt_i32_e32 31, v174
	s_cbranch_execz .LBB64_671
; %bb.670:
	v_mul_f64 v[40:41], v[132:133], v[245:246]
	v_dual_mov_b32 v0, v4 :: v_dual_mov_b32 v1, v5
	v_dual_mov_b32 v2, v6 :: v_dual_mov_b32 v3, v7
	v_mul_f64 v[6:7], v[134:135], v[245:246]
	ds_load_2addr_b64 v[140:143], v172 offset0:64 offset1:65
	v_fma_f64 v[40:41], v[134:135], v[243:244], v[40:41]
	v_fma_f64 v[243:244], v[132:133], v[243:244], -v[6:7]
	s_waitcnt lgkmcnt(0)
	s_delay_alu instid0(VALU_DEP_2) | instskip(SKIP_2) | instid1(VALU_DEP_3)
	v_mul_f64 v[6:7], v[142:143], v[40:41]
	v_mul_f64 v[42:43], v[140:141], v[40:41]
	v_dual_mov_b32 v246, v41 :: v_dual_mov_b32 v245, v40
	v_fma_f64 v[6:7], v[140:141], v[243:244], -v[6:7]
	s_delay_alu instid0(VALU_DEP_3) | instskip(NEXT) | instid1(VALU_DEP_2)
	v_fma_f64 v[42:43], v[142:143], v[243:244], v[42:43]
	v_add_f64 v[237:238], v[237:238], -v[6:7]
	s_delay_alu instid0(VALU_DEP_2)
	v_add_f64 v[239:240], v[239:240], -v[42:43]
	v_dual_mov_b32 v7, v3 :: v_dual_mov_b32 v6, v2
	v_dual_mov_b32 v5, v1 :: v_dual_mov_b32 v4, v0
.LBB64_671:
	s_or_b32 exec_lo, exec_lo, s2
	v_lshl_add_u32 v40, v174, 4, v172
	s_barrier
	buffer_gl0_inv
	v_mov_b32_e32 v140, 32
	ds_store_2addr_b64 v40, v[237:238], v[239:240] offset1:1
	s_waitcnt lgkmcnt(0)
	s_barrier
	buffer_gl0_inv
	ds_load_2addr_b64 v[132:135], v172 offset0:64 offset1:65
	s_cmp_lt_i32 s5, 34
	s_cbranch_scc1 .LBB64_674
; %bb.672:
	v_add3_u32 v141, v170, 0, 0x210
	v_mov_b32_e32 v140, 32
	s_mov_b32 s6, 33
	s_set_inst_prefetch_distance 0x1
	.p2align	6
.LBB64_673:                             ; =>This Inner Loop Header: Depth=1
	ds_load_2addr_b64 v[142:145], v141 offset1:1
	s_waitcnt lgkmcnt(1)
	v_cmp_gt_f64_e32 vcc_lo, 0, v[132:133]
	v_xor_b32_e32 v40, 0x80000000, v133
	v_cmp_gt_f64_e64 s2, 0, v[134:135]
	v_xor_b32_e32 v42, 0x80000000, v135
	v_add_nc_u32_e32 v141, 16, v141
	s_waitcnt lgkmcnt(0)
	v_cmp_gt_f64_e64 s3, 0, v[142:143]
	v_mov_b32_e32 v52, v142
	v_dual_mov_b32 v54, v144 :: v_dual_cndmask_b32 v41, v133, v40
	v_xor_b32_e32 v40, 0x80000000, v143
	v_cndmask_b32_e64 v43, v135, v42, s2
	v_xor_b32_e32 v42, 0x80000000, v145
	s_delay_alu instid0(VALU_DEP_3) | instskip(SKIP_2) | instid1(VALU_DEP_2)
	v_cndmask_b32_e64 v53, v143, v40, s3
	v_cmp_gt_f64_e64 s3, 0, v[144:145]
	v_cndmask_b32_e32 v40, v132, v132, vcc_lo
	v_cndmask_b32_e64 v55, v145, v42, s3
	v_cndmask_b32_e64 v42, v134, v134, s2
	s_delay_alu instid0(VALU_DEP_2) | instskip(NEXT) | instid1(VALU_DEP_2)
	v_add_f64 v[52:53], v[52:53], v[54:55]
	v_add_f64 v[40:41], v[40:41], v[42:43]
	s_delay_alu instid0(VALU_DEP_1)
	v_cmp_lt_f64_e32 vcc_lo, v[40:41], v[52:53]
	v_cndmask_b32_e32 v135, v135, v145, vcc_lo
	v_dual_cndmask_b32 v133, v133, v143 :: v_dual_cndmask_b32 v132, v132, v142
	v_cndmask_b32_e32 v134, v134, v144, vcc_lo
	v_cndmask_b32_e64 v140, v140, s6, vcc_lo
	s_add_i32 s6, s6, 1
	s_delay_alu instid0(SALU_CYCLE_1)
	s_cmp_lg_u32 s5, s6
	s_cbranch_scc1 .LBB64_673
.LBB64_674:
	s_set_inst_prefetch_distance 0x2
	s_waitcnt lgkmcnt(0)
	v_cmp_eq_f64_e32 vcc_lo, 0, v[132:133]
	v_cmp_eq_f64_e64 s2, 0, v[134:135]
	s_delay_alu instid0(VALU_DEP_1) | instskip(NEXT) | instid1(SALU_CYCLE_1)
	s_and_b32 s2, vcc_lo, s2
	s_and_saveexec_b32 s3, s2
	s_delay_alu instid0(SALU_CYCLE_1)
	s_xor_b32 s2, exec_lo, s3
; %bb.675:
	v_cmp_ne_u32_e32 vcc_lo, 0, v255
	v_cndmask_b32_e32 v255, 33, v255, vcc_lo
; %bb.676:
	s_and_not1_saveexec_b32 s3, s2
	s_cbranch_execz .LBB64_682
; %bb.677:
	v_cmp_gt_f64_e32 vcc_lo, 0, v[132:133]
	v_cmp_gt_f64_e64 s2, 0, v[134:135]
	v_xor_b32_e32 v40, 0x80000000, v133
	v_xor_b32_e32 v42, 0x80000000, v135
	s_delay_alu instid0(VALU_DEP_2) | instskip(NEXT) | instid1(VALU_DEP_2)
	v_cndmask_b32_e32 v41, v133, v40, vcc_lo
	v_cndmask_b32_e64 v43, v135, v42, s2
	v_cndmask_b32_e32 v40, v132, v132, vcc_lo
	v_cndmask_b32_e64 v42, v134, v134, s2
	s_mov_b32 s2, exec_lo
	s_delay_alu instid0(VALU_DEP_1)
	v_cmpx_ngt_f64_e32 v[40:41], v[42:43]
	s_xor_b32 s2, exec_lo, s2
	s_cbranch_execz .LBB64_679
; %bb.678:
	v_div_scale_f64 v[40:41], null, v[134:135], v[134:135], v[132:133]
	v_div_scale_f64 v[54:55], vcc_lo, v[132:133], v[134:135], v[132:133]
	s_delay_alu instid0(VALU_DEP_2) | instskip(SKIP_2) | instid1(VALU_DEP_1)
	v_rcp_f64_e32 v[42:43], v[40:41]
	s_waitcnt_depctr 0xfff
	v_fma_f64 v[52:53], -v[40:41], v[42:43], 1.0
	v_fma_f64 v[42:43], v[42:43], v[52:53], v[42:43]
	s_delay_alu instid0(VALU_DEP_1) | instskip(NEXT) | instid1(VALU_DEP_1)
	v_fma_f64 v[52:53], -v[40:41], v[42:43], 1.0
	v_fma_f64 v[42:43], v[42:43], v[52:53], v[42:43]
	s_delay_alu instid0(VALU_DEP_1) | instskip(NEXT) | instid1(VALU_DEP_1)
	v_mul_f64 v[52:53], v[54:55], v[42:43]
	v_fma_f64 v[40:41], -v[40:41], v[52:53], v[54:55]
	s_delay_alu instid0(VALU_DEP_1) | instskip(NEXT) | instid1(VALU_DEP_1)
	v_div_fmas_f64 v[40:41], v[40:41], v[42:43], v[52:53]
	v_div_fixup_f64 v[40:41], v[40:41], v[134:135], v[132:133]
	s_delay_alu instid0(VALU_DEP_1) | instskip(NEXT) | instid1(VALU_DEP_1)
	v_fma_f64 v[42:43], v[132:133], v[40:41], v[134:135]
	v_div_scale_f64 v[52:53], null, v[42:43], v[42:43], 1.0
	s_delay_alu instid0(VALU_DEP_1) | instskip(SKIP_2) | instid1(VALU_DEP_1)
	v_rcp_f64_e32 v[54:55], v[52:53]
	s_waitcnt_depctr 0xfff
	v_fma_f64 v[104:105], -v[52:53], v[54:55], 1.0
	v_fma_f64 v[54:55], v[54:55], v[104:105], v[54:55]
	s_delay_alu instid0(VALU_DEP_1) | instskip(NEXT) | instid1(VALU_DEP_1)
	v_fma_f64 v[104:105], -v[52:53], v[54:55], 1.0
	v_fma_f64 v[54:55], v[54:55], v[104:105], v[54:55]
	v_div_scale_f64 v[104:105], vcc_lo, 1.0, v[42:43], 1.0
	s_delay_alu instid0(VALU_DEP_1) | instskip(NEXT) | instid1(VALU_DEP_1)
	v_mul_f64 v[106:107], v[104:105], v[54:55]
	v_fma_f64 v[52:53], -v[52:53], v[106:107], v[104:105]
	s_delay_alu instid0(VALU_DEP_1) | instskip(NEXT) | instid1(VALU_DEP_1)
	v_div_fmas_f64 v[52:53], v[52:53], v[54:55], v[106:107]
	v_div_fixup_f64 v[134:135], v[52:53], v[42:43], 1.0
	s_delay_alu instid0(VALU_DEP_1)
	v_mul_f64 v[132:133], v[40:41], v[134:135]
	v_xor_b32_e32 v135, 0x80000000, v135
.LBB64_679:
	s_and_not1_saveexec_b32 s2, s2
	s_cbranch_execz .LBB64_681
; %bb.680:
	s_delay_alu instid0(VALU_DEP_1) | instskip(SKIP_1) | instid1(VALU_DEP_2)
	v_div_scale_f64 v[40:41], null, v[132:133], v[132:133], v[134:135]
	v_div_scale_f64 v[54:55], vcc_lo, v[134:135], v[132:133], v[134:135]
	v_rcp_f64_e32 v[42:43], v[40:41]
	s_waitcnt_depctr 0xfff
	v_fma_f64 v[52:53], -v[40:41], v[42:43], 1.0
	s_delay_alu instid0(VALU_DEP_1) | instskip(NEXT) | instid1(VALU_DEP_1)
	v_fma_f64 v[42:43], v[42:43], v[52:53], v[42:43]
	v_fma_f64 v[52:53], -v[40:41], v[42:43], 1.0
	s_delay_alu instid0(VALU_DEP_1) | instskip(NEXT) | instid1(VALU_DEP_1)
	v_fma_f64 v[42:43], v[42:43], v[52:53], v[42:43]
	v_mul_f64 v[52:53], v[54:55], v[42:43]
	s_delay_alu instid0(VALU_DEP_1) | instskip(NEXT) | instid1(VALU_DEP_1)
	v_fma_f64 v[40:41], -v[40:41], v[52:53], v[54:55]
	v_div_fmas_f64 v[40:41], v[40:41], v[42:43], v[52:53]
	s_delay_alu instid0(VALU_DEP_1) | instskip(NEXT) | instid1(VALU_DEP_1)
	v_div_fixup_f64 v[40:41], v[40:41], v[132:133], v[134:135]
	v_fma_f64 v[42:43], v[134:135], v[40:41], v[132:133]
	s_delay_alu instid0(VALU_DEP_1) | instskip(NEXT) | instid1(VALU_DEP_1)
	v_div_scale_f64 v[52:53], null, v[42:43], v[42:43], 1.0
	v_rcp_f64_e32 v[54:55], v[52:53]
	s_waitcnt_depctr 0xfff
	v_fma_f64 v[104:105], -v[52:53], v[54:55], 1.0
	s_delay_alu instid0(VALU_DEP_1) | instskip(NEXT) | instid1(VALU_DEP_1)
	v_fma_f64 v[54:55], v[54:55], v[104:105], v[54:55]
	v_fma_f64 v[104:105], -v[52:53], v[54:55], 1.0
	s_delay_alu instid0(VALU_DEP_1) | instskip(SKIP_1) | instid1(VALU_DEP_1)
	v_fma_f64 v[54:55], v[54:55], v[104:105], v[54:55]
	v_div_scale_f64 v[104:105], vcc_lo, 1.0, v[42:43], 1.0
	v_mul_f64 v[106:107], v[104:105], v[54:55]
	s_delay_alu instid0(VALU_DEP_1) | instskip(NEXT) | instid1(VALU_DEP_1)
	v_fma_f64 v[52:53], -v[52:53], v[106:107], v[104:105]
	v_div_fmas_f64 v[52:53], v[52:53], v[54:55], v[106:107]
	s_delay_alu instid0(VALU_DEP_1) | instskip(NEXT) | instid1(VALU_DEP_1)
	v_div_fixup_f64 v[132:133], v[52:53], v[42:43], 1.0
	v_mul_f64 v[134:135], v[40:41], -v[132:133]
.LBB64_681:
	s_or_b32 exec_lo, exec_lo, s2
.LBB64_682:
	s_delay_alu instid0(SALU_CYCLE_1)
	s_or_b32 exec_lo, exec_lo, s3
	v_mov_b32_e32 v141, 32
	s_mov_b32 s2, exec_lo
	v_cmpx_ne_u32_e64 v174, v140
	s_cbranch_execz .LBB64_688
; %bb.683:
	s_mov_b32 s3, exec_lo
	v_cmpx_eq_u32_e32 32, v174
	s_cbranch_execz .LBB64_687
; %bb.684:
	v_cmp_ne_u32_e32 vcc_lo, 32, v140
	s_xor_b32 s4, s4, -1
	s_delay_alu instid0(SALU_CYCLE_1) | instskip(NEXT) | instid1(SALU_CYCLE_1)
	s_and_b32 s5, s4, vcc_lo
	s_and_saveexec_b32 s4, s5
	s_cbranch_execz .LBB64_686
; %bb.685:
	scratch_load_b64 v[0:1], off, off offset:48 ; 8-byte Folded Reload
	v_ashrrev_i32_e32 v141, 31, v140
	s_delay_alu instid0(VALU_DEP_1) | instskip(SKIP_1) | instid1(VALU_DEP_1)
	v_lshlrev_b64 v[40:41], 2, v[140:141]
	s_waitcnt vmcnt(0)
	v_add_co_u32 v40, vcc_lo, v0, v40
	s_delay_alu instid0(VALU_DEP_2)
	v_add_co_ci_u32_e32 v41, vcc_lo, v1, v41, vcc_lo
	s_clause 0x1
	flat_load_b32 v42, v[40:41]
	flat_load_b32 v43, v[0:1] offset:128
	s_waitcnt vmcnt(1) lgkmcnt(1)
	flat_store_b32 v[0:1], v42 offset:128
	s_waitcnt vmcnt(0) lgkmcnt(1)
	flat_store_b32 v[40:41], v43
.LBB64_686:
	s_or_b32 exec_lo, exec_lo, s4
	v_mov_b32_e32 v174, v140
	v_mov_b32_e32 v173, v140
.LBB64_687:
	s_or_b32 exec_lo, exec_lo, s3
	s_delay_alu instid0(VALU_DEP_2)
	v_mov_b32_e32 v141, v174
.LBB64_688:
	s_or_b32 exec_lo, exec_lo, s2
	s_delay_alu instid0(SALU_CYCLE_1)
	s_mov_b32 s2, exec_lo
	s_waitcnt lgkmcnt(0)
	s_waitcnt_vscnt null, 0x0
	s_barrier
	buffer_gl0_inv
	v_cmpx_lt_i32_e32 32, v141
; %bb.689:
	v_mul_f64 v[40:41], v[134:135], v[239:240]
	v_mul_f64 v[2:3], v[132:133], v[239:240]
	s_delay_alu instid0(VALU_DEP_2) | instskip(NEXT) | instid1(VALU_DEP_2)
	v_fma_f64 v[40:41], v[132:133], v[237:238], -v[40:41]
	v_fma_f64 v[239:240], v[134:135], v[237:238], v[2:3]
	s_delay_alu instid0(VALU_DEP_2)
	v_dual_mov_b32 v238, v41 :: v_dual_mov_b32 v237, v40
; %bb.690:
	s_or_b32 exec_lo, exec_lo, s2
	s_load_b256 s[0:7], s[0:1], 0x28
	v_ashrrev_i32_e32 v142, 31, v141
	s_mov_b32 s9, exec_lo
	s_waitcnt lgkmcnt(0)
	s_barrier
	buffer_gl0_inv
	v_cmpx_gt_i32_e32 33, v141
	s_cbranch_execz .LBB64_692
; %bb.691:
	scratch_load_b64 v[0:1], off, off offset:72 ; 8-byte Folded Reload
	s_lshl_b64 s[2:3], s[2:3], 2
	s_delay_alu instid0(SALU_CYCLE_1)
	s_add_u32 s0, s2, s0
	s_addc_u32 s1, s3, s1
	s_waitcnt vmcnt(0)
	v_mul_lo_u32 v42, v1, s4
	v_mul_lo_u32 v43, v0, s5
	v_mad_u64_u32 v[40:41], null, v0, s4, 0
	s_delay_alu instid0(VALU_DEP_1) | instskip(SKIP_1) | instid1(VALU_DEP_2)
	v_add3_u32 v41, v41, v43, v42
	v_lshlrev_b64 v[42:43], 2, v[141:142]
	v_lshlrev_b64 v[40:41], 2, v[40:41]
	s_delay_alu instid0(VALU_DEP_1) | instskip(NEXT) | instid1(VALU_DEP_2)
	v_add_co_u32 v40, vcc_lo, s0, v40
	v_add_co_ci_u32_e32 v41, vcc_lo, s1, v41, vcc_lo
	s_delay_alu instid0(VALU_DEP_2) | instskip(NEXT) | instid1(VALU_DEP_2)
	v_add_co_u32 v40, vcc_lo, v40, v42
	v_add_co_ci_u32_e32 v41, vcc_lo, v41, v43, vcc_lo
	v_add3_u32 v42, v173, s13, 1
	global_store_b32 v[40:41], v42, off
.LBB64_692:
	s_or_b32 exec_lo, exec_lo, s9
	s_delay_alu instid0(SALU_CYCLE_1)
	s_mov_b32 s1, exec_lo
	v_cmpx_eq_u32_e32 0, v141
	s_cbranch_execz .LBB64_695
; %bb.693:
	scratch_load_b64 v[0:1], off, off offset:72 ; 8-byte Folded Reload
	v_cmp_lt_i32_e64 s0, 0, v255
	s_waitcnt vmcnt(0)
	v_lshlrev_b64 v[40:41], 2, v[0:1]
	s_delay_alu instid0(VALU_DEP_1) | instskip(NEXT) | instid1(VALU_DEP_2)
	v_add_co_u32 v132, vcc_lo, s6, v40
	v_add_co_ci_u32_e32 v133, vcc_lo, s7, v41, vcc_lo
	global_load_b32 v40, v[132:133], off
	s_waitcnt vmcnt(0)
	v_cmp_eq_u32_e32 vcc_lo, 0, v40
	s_and_b32 s0, vcc_lo, s0
	s_delay_alu instid0(SALU_CYCLE_1)
	s_and_b32 exec_lo, exec_lo, s0
	s_cbranch_execz .LBB64_695
; %bb.694:
	v_add_nc_u32_e32 v40, s13, v255
	global_store_b32 v[132:133], v40, off
.LBB64_695:
	s_or_b32 exec_lo, exec_lo, s1
	scratch_load_b128 v[0:3], off, off offset:56 ; 16-byte Folded Reload
	v_add3_u32 v40, s8, s8, v141
	v_lshlrev_b64 v[42:43], 4, v[141:142]
	s_delay_alu instid0(VALU_DEP_2) | instskip(SKIP_1) | instid1(VALU_DEP_3)
	v_ashrrev_i32_e32 v41, 31, v40
	v_add_nc_u32_e32 v52, s8, v40
	v_add_co_u32 v42, vcc_lo, v168, v42
	s_delay_alu instid0(VALU_DEP_4) | instskip(NEXT) | instid1(VALU_DEP_4)
	v_add_co_ci_u32_e32 v43, vcc_lo, v169, v43, vcc_lo
	v_lshlrev_b64 v[40:41], 4, v[40:41]
	s_delay_alu instid0(VALU_DEP_4) | instskip(SKIP_1) | instid1(VALU_DEP_2)
	v_add_nc_u32_e32 v54, s8, v52
	v_ashrrev_i32_e32 v53, 31, v52
	v_add_nc_u32_e32 v104, s8, v54
	v_ashrrev_i32_e32 v55, 31, v54
	s_delay_alu instid0(VALU_DEP_3) | instskip(NEXT) | instid1(VALU_DEP_3)
	v_lshlrev_b64 v[52:53], 4, v[52:53]
	v_ashrrev_i32_e32 v105, 31, v104
	s_waitcnt vmcnt(0)
	global_store_b128 v[42:43], v[0:3], off
	v_add_co_u32 v42, vcc_lo, v42, s10
	v_add_co_ci_u32_e32 v43, vcc_lo, s11, v43, vcc_lo
	v_add_co_u32 v40, vcc_lo, v168, v40
	v_add_co_ci_u32_e32 v41, vcc_lo, v169, v41, vcc_lo
	s_clause 0x1
	global_store_b128 v[42:43], v[112:115], off
	global_store_b128 v[40:41], v[92:95], off
	v_lshlrev_b64 v[40:41], 4, v[54:55]
	v_add_co_u32 v42, vcc_lo, v168, v52
	v_add_co_ci_u32_e32 v43, vcc_lo, v169, v53, vcc_lo
	v_lshlrev_b64 v[52:53], 4, v[104:105]
	s_delay_alu instid0(VALU_DEP_4)
	v_add_co_u32 v40, vcc_lo, v168, v40
	v_add_co_ci_u32_e32 v41, vcc_lo, v169, v41, vcc_lo
	global_store_b128 v[42:43], v[124:127], off
	v_add_co_u32 v52, vcc_lo, v168, v52
	v_add_co_ci_u32_e32 v53, vcc_lo, v169, v53, vcc_lo
	s_clause 0x1
	global_store_b128 v[40:41], v[116:119], off
	global_store_b128 v[52:53], v[247:250], off
	scratch_load_b128 v[0:3], off, off offset:32 ; 16-byte Folded Reload
	v_add_nc_u32_e32 v54, s8, v104
	s_delay_alu instid0(VALU_DEP_1) | instskip(SKIP_1) | instid1(VALU_DEP_2)
	v_ashrrev_i32_e32 v55, 31, v54
	v_add_nc_u32_e32 v104, s8, v54
	v_lshlrev_b64 v[42:43], 4, v[54:55]
	s_delay_alu instid0(VALU_DEP_2) | instskip(SKIP_1) | instid1(VALU_DEP_3)
	v_ashrrev_i32_e32 v105, 31, v104
	v_add_nc_u32_e32 v52, s8, v104
	v_add_co_u32 v42, vcc_lo, v168, v42
	s_delay_alu instid0(VALU_DEP_4) | instskip(NEXT) | instid1(VALU_DEP_4)
	v_add_co_ci_u32_e32 v43, vcc_lo, v169, v43, vcc_lo
	v_lshlrev_b64 v[40:41], 4, v[104:105]
	s_delay_alu instid0(VALU_DEP_4) | instskip(SKIP_1) | instid1(VALU_DEP_3)
	v_add_nc_u32_e32 v54, s8, v52
	v_ashrrev_i32_e32 v53, 31, v52
	v_add_co_u32 v40, vcc_lo, v168, v40
	s_delay_alu instid0(VALU_DEP_3) | instskip(SKIP_3) | instid1(VALU_DEP_4)
	v_add_nc_u32_e32 v104, s8, v54
	v_add_co_ci_u32_e32 v41, vcc_lo, v169, v41, vcc_lo
	v_ashrrev_i32_e32 v55, 31, v54
	v_lshlrev_b64 v[52:53], 4, v[52:53]
	v_ashrrev_i32_e32 v105, 31, v104
	s_waitcnt vmcnt(0)
	global_store_b128 v[42:43], v[0:3], off
	scratch_load_b128 v[0:3], off, off offset:16 ; 16-byte Folded Reload
	v_add_co_u32 v42, vcc_lo, v168, v52
	v_add_co_ci_u32_e32 v43, vcc_lo, v169, v53, vcc_lo
	v_lshlrev_b64 v[52:53], 4, v[104:105]
	s_waitcnt vmcnt(0)
	global_store_b128 v[40:41], v[0:3], off
	v_lshlrev_b64 v[40:41], 4, v[54:55]
	global_store_b128 v[42:43], v[251:254], off
	v_add_nc_u32_e32 v54, s8, v104
	v_add_co_u32 v40, vcc_lo, v168, v40
	v_add_co_ci_u32_e32 v41, vcc_lo, v169, v41, vcc_lo
	v_add_co_u32 v52, vcc_lo, v168, v52
	v_add_co_ci_u32_e32 v53, vcc_lo, v169, v53, vcc_lo
	s_clause 0x1
	global_store_b128 v[40:41], v[120:123], off
	global_store_b128 v[52:53], v[4:7], off
	scratch_load_b128 v[0:3], off, off      ; 16-byte Folded Reload
	v_add_nc_u32_e32 v88, s8, v54
	v_ashrrev_i32_e32 v55, 31, v54
	s_delay_alu instid0(VALU_DEP_2) | instskip(SKIP_1) | instid1(VALU_DEP_3)
	v_ashrrev_i32_e32 v89, 31, v88
	v_add_nc_u32_e32 v52, s8, v88
	v_lshlrev_b64 v[42:43], 4, v[54:55]
	s_delay_alu instid0(VALU_DEP_3) | instskip(NEXT) | instid1(VALU_DEP_3)
	v_lshlrev_b64 v[40:41], 4, v[88:89]
	v_add_nc_u32_e32 v54, s8, v52
	v_ashrrev_i32_e32 v53, 31, v52
	s_delay_alu instid0(VALU_DEP_4) | instskip(SKIP_1) | instid1(VALU_DEP_4)
	v_add_co_u32 v42, vcc_lo, v168, v42
	v_add_co_ci_u32_e32 v43, vcc_lo, v169, v43, vcc_lo
	v_add_nc_u32_e32 v88, s8, v54
	v_add_co_u32 v40, vcc_lo, v168, v40
	v_ashrrev_i32_e32 v55, 31, v54
	v_lshlrev_b64 v[52:53], 4, v[52:53]
	v_add_co_ci_u32_e32 v41, vcc_lo, v169, v41, vcc_lo
	v_ashrrev_i32_e32 v89, 31, v88
	s_waitcnt vmcnt(0)
	s_clause 0x1
	global_store_b128 v[42:43], v[0:3], off
	global_store_b128 v[40:41], v[96:99], off
	v_lshlrev_b64 v[40:41], 4, v[54:55]
	v_add_co_u32 v42, vcc_lo, v168, v52
	v_add_co_ci_u32_e32 v43, vcc_lo, v169, v53, vcc_lo
	v_lshlrev_b64 v[52:53], 4, v[88:89]
	v_add_nc_u32_e32 v54, s8, v88
	v_add_co_u32 v40, vcc_lo, v168, v40
	v_add_co_ci_u32_e32 v41, vcc_lo, v169, v41, vcc_lo
	s_delay_alu instid0(VALU_DEP_4) | instskip(NEXT) | instid1(VALU_DEP_4)
	v_add_co_u32 v52, vcc_lo, v168, v52
	v_add_nc_u32_e32 v88, s8, v54
	v_add_co_ci_u32_e32 v53, vcc_lo, v169, v53, vcc_lo
	v_ashrrev_i32_e32 v55, 31, v54
	global_store_b128 v[42:43], v[84:87], off
	v_ashrrev_i32_e32 v89, 31, v88
	s_clause 0x1
	global_store_b128 v[40:41], v[80:83], off
	global_store_b128 v[52:53], v[76:79], off
	v_add_nc_u32_e32 v52, s8, v88
	v_lshlrev_b64 v[42:43], 4, v[54:55]
	v_lshlrev_b64 v[40:41], 4, v[88:89]
	s_delay_alu instid0(VALU_DEP_3) | instskip(SKIP_1) | instid1(VALU_DEP_4)
	v_add_nc_u32_e32 v54, s8, v52
	v_ashrrev_i32_e32 v53, 31, v52
	v_add_co_u32 v42, vcc_lo, v168, v42
	v_add_co_ci_u32_e32 v43, vcc_lo, v169, v43, vcc_lo
	s_delay_alu instid0(VALU_DEP_4)
	v_add_nc_u32_e32 v76, s8, v54
	v_add_co_u32 v40, vcc_lo, v168, v40
	v_ashrrev_i32_e32 v55, 31, v54
	v_lshlrev_b64 v[52:53], 4, v[52:53]
	v_add_co_ci_u32_e32 v41, vcc_lo, v169, v41, vcc_lo
	v_ashrrev_i32_e32 v77, 31, v76
	s_clause 0x1
	global_store_b128 v[42:43], v[72:75], off
	global_store_b128 v[40:41], v[68:71], off
	v_lshlrev_b64 v[40:41], 4, v[54:55]
	v_add_co_u32 v42, vcc_lo, v168, v52
	v_add_co_ci_u32_e32 v43, vcc_lo, v169, v53, vcc_lo
	v_lshlrev_b64 v[52:53], 4, v[76:77]
	v_add_nc_u32_e32 v54, s8, v76
	v_add_co_u32 v40, vcc_lo, v168, v40
	v_add_co_ci_u32_e32 v41, vcc_lo, v169, v41, vcc_lo
	s_delay_alu instid0(VALU_DEP_4) | instskip(NEXT) | instid1(VALU_DEP_4)
	v_add_co_u32 v52, vcc_lo, v168, v52
	v_add_nc_u32_e32 v68, s8, v54
	v_add_co_ci_u32_e32 v53, vcc_lo, v169, v53, vcc_lo
	v_ashrrev_i32_e32 v55, 31, v54
	global_store_b128 v[42:43], v[64:67], off
	v_ashrrev_i32_e32 v69, 31, v68
	s_clause 0x1
	global_store_b128 v[40:41], v[60:63], off
	global_store_b128 v[52:53], v[56:59], off
	v_add_nc_u32_e32 v52, s8, v68
	v_lshlrev_b64 v[42:43], 4, v[54:55]
	v_lshlrev_b64 v[40:41], 4, v[68:69]
	s_delay_alu instid0(VALU_DEP_3) | instskip(SKIP_1) | instid1(VALU_DEP_4)
	v_add_nc_u32_e32 v54, s8, v52
	v_ashrrev_i32_e32 v53, 31, v52
	v_add_co_u32 v42, vcc_lo, v168, v42
	v_add_co_ci_u32_e32 v43, vcc_lo, v169, v43, vcc_lo
	s_delay_alu instid0(VALU_DEP_4)
	v_add_nc_u32_e32 v56, s8, v54
	v_add_co_u32 v40, vcc_lo, v168, v40
	v_ashrrev_i32_e32 v55, 31, v54
	v_add_co_ci_u32_e32 v41, vcc_lo, v169, v41, vcc_lo
	v_lshlrev_b64 v[52:53], 4, v[52:53]
	v_ashrrev_i32_e32 v57, 31, v56
	s_clause 0x1
	global_store_b128 v[42:43], v[48:51], off
	global_store_b128 v[40:41], v[44:47], off
	v_lshlrev_b64 v[40:41], 4, v[54:55]
	v_add_nc_u32_e32 v46, s8, v56
	v_add_co_u32 v42, vcc_lo, v168, v52
	v_lshlrev_b64 v[44:45], 4, v[56:57]
	v_add_co_ci_u32_e32 v43, vcc_lo, v169, v53, vcc_lo
	v_add_co_u32 v40, vcc_lo, v168, v40
	v_add_nc_u32_e32 v48, s8, v46
	v_add_co_ci_u32_e32 v41, vcc_lo, v169, v41, vcc_lo
	v_ashrrev_i32_e32 v47, 31, v46
	v_add_co_u32 v44, vcc_lo, v168, v44
	v_add_co_ci_u32_e32 v45, vcc_lo, v169, v45, vcc_lo
	v_ashrrev_i32_e32 v49, 31, v48
	global_store_b128 v[42:43], v[36:39], off
	v_lshlrev_b64 v[36:37], 4, v[46:47]
	s_clause 0x1
	global_store_b128 v[40:41], v[32:35], off
	global_store_b128 v[44:45], v[28:31], off
	v_add_nc_u32_e32 v30, s8, v48
	v_lshlrev_b64 v[28:29], 4, v[48:49]
	v_add_co_u32 v32, vcc_lo, v168, v36
	s_delay_alu instid0(VALU_DEP_3) | instskip(SKIP_1) | instid1(VALU_DEP_4)
	v_add_nc_u32_e32 v34, s8, v30
	v_add_co_ci_u32_e32 v33, vcc_lo, v169, v37, vcc_lo
	v_add_co_u32 v28, vcc_lo, v168, v28
	v_add_co_ci_u32_e32 v29, vcc_lo, v169, v29, vcc_lo
	s_delay_alu instid0(VALU_DEP_4)
	v_add_nc_u32_e32 v36, s8, v34
	v_ashrrev_i32_e32 v31, 31, v30
	s_clause 0x1
	global_store_b128 v[32:33], v[24:27], off
	global_store_b128 v[28:29], v[20:23], off
	v_ashrrev_i32_e32 v35, 31, v34
	v_add_nc_u32_e32 v22, s8, v36
	v_lshlrev_b64 v[24:25], 4, v[30:31]
	v_ashrrev_i32_e32 v37, 31, v36
	s_delay_alu instid0(VALU_DEP_4) | instskip(NEXT) | instid1(VALU_DEP_4)
	v_lshlrev_b64 v[20:21], 4, v[34:35]
	v_add_nc_u32_e32 v28, s8, v22
	v_ashrrev_i32_e32 v23, 31, v22
	v_add_co_u32 v24, vcc_lo, v168, v24
	v_lshlrev_b64 v[26:27], 4, v[36:37]
	s_delay_alu instid0(VALU_DEP_4)
	v_ashrrev_i32_e32 v29, 31, v28
	v_add_co_ci_u32_e32 v25, vcc_lo, v169, v25, vcc_lo
	v_add_co_u32 v20, vcc_lo, v168, v20
	v_lshlrev_b64 v[22:23], 4, v[22:23]
	v_add_co_ci_u32_e32 v21, vcc_lo, v169, v21, vcc_lo
	v_add_co_u32 v26, vcc_lo, v168, v26
	v_lshlrev_b64 v[28:29], 4, v[28:29]
	v_add_co_ci_u32_e32 v27, vcc_lo, v169, v27, vcc_lo
	v_add_co_u32 v22, vcc_lo, v168, v22
	v_add_co_ci_u32_e32 v23, vcc_lo, v169, v23, vcc_lo
	s_delay_alu instid0(VALU_DEP_4)
	v_add_co_u32 v28, vcc_lo, v168, v28
	v_add_co_ci_u32_e32 v29, vcc_lo, v169, v29, vcc_lo
	s_clause 0x4
	global_store_b128 v[24:25], v[16:19], off
	global_store_b128 v[20:21], v[12:15], off
	;; [unrolled: 1-line block ×5, first 2 shown]
.LBB64_696:
	s_nop 0
	s_sendmsg sendmsg(MSG_DEALLOC_VGPRS)
	s_endpgm
	.section	.rodata,"a",@progbits
	.p2align	6, 0x0
	.amdhsa_kernel _ZN9rocsolver6v33100L18getf2_small_kernelILi33E19rocblas_complex_numIdEiiPKPS3_EEvT1_T3_lS7_lPS7_llPT2_S7_S7_S9_l
		.amdhsa_group_segment_fixed_size 0
		.amdhsa_private_segment_fixed_size 132
		.amdhsa_kernarg_size 352
		.amdhsa_user_sgpr_count 14
		.amdhsa_user_sgpr_dispatch_ptr 0
		.amdhsa_user_sgpr_queue_ptr 0
		.amdhsa_user_sgpr_kernarg_segment_ptr 1
		.amdhsa_user_sgpr_dispatch_id 0
		.amdhsa_user_sgpr_private_segment_size 0
		.amdhsa_wavefront_size32 1
		.amdhsa_uses_dynamic_stack 0
		.amdhsa_enable_private_segment 1
		.amdhsa_system_sgpr_workgroup_id_x 1
		.amdhsa_system_sgpr_workgroup_id_y 1
		.amdhsa_system_sgpr_workgroup_id_z 0
		.amdhsa_system_sgpr_workgroup_info 0
		.amdhsa_system_vgpr_workitem_id 1
		.amdhsa_next_free_vgpr 256
		.amdhsa_next_free_sgpr 16
		.amdhsa_reserve_vcc 1
		.amdhsa_float_round_mode_32 0
		.amdhsa_float_round_mode_16_64 0
		.amdhsa_float_denorm_mode_32 3
		.amdhsa_float_denorm_mode_16_64 3
		.amdhsa_dx10_clamp 1
		.amdhsa_ieee_mode 1
		.amdhsa_fp16_overflow 0
		.amdhsa_workgroup_processor_mode 1
		.amdhsa_memory_ordered 1
		.amdhsa_forward_progress 0
		.amdhsa_shared_vgpr_count 0
		.amdhsa_exception_fp_ieee_invalid_op 0
		.amdhsa_exception_fp_denorm_src 0
		.amdhsa_exception_fp_ieee_div_zero 0
		.amdhsa_exception_fp_ieee_overflow 0
		.amdhsa_exception_fp_ieee_underflow 0
		.amdhsa_exception_fp_ieee_inexact 0
		.amdhsa_exception_int_div_zero 0
	.end_amdhsa_kernel
	.section	.text._ZN9rocsolver6v33100L18getf2_small_kernelILi33E19rocblas_complex_numIdEiiPKPS3_EEvT1_T3_lS7_lPS7_llPT2_S7_S7_S9_l,"axG",@progbits,_ZN9rocsolver6v33100L18getf2_small_kernelILi33E19rocblas_complex_numIdEiiPKPS3_EEvT1_T3_lS7_lPS7_llPT2_S7_S7_S9_l,comdat
.Lfunc_end64:
	.size	_ZN9rocsolver6v33100L18getf2_small_kernelILi33E19rocblas_complex_numIdEiiPKPS3_EEvT1_T3_lS7_lPS7_llPT2_S7_S7_S9_l, .Lfunc_end64-_ZN9rocsolver6v33100L18getf2_small_kernelILi33E19rocblas_complex_numIdEiiPKPS3_EEvT1_T3_lS7_lPS7_llPT2_S7_S7_S9_l
                                        ; -- End function
	.section	.AMDGPU.csdata,"",@progbits
; Kernel info:
; codeLenInByte = 83740
; NumSgprs: 18
; NumVgprs: 256
; ScratchSize: 132
; MemoryBound: 0
; FloatMode: 240
; IeeeMode: 1
; LDSByteSize: 0 bytes/workgroup (compile time only)
; SGPRBlocks: 2
; VGPRBlocks: 31
; NumSGPRsForWavesPerEU: 18
; NumVGPRsForWavesPerEU: 256
; Occupancy: 5
; WaveLimiterHint : 1
; COMPUTE_PGM_RSRC2:SCRATCH_EN: 1
; COMPUTE_PGM_RSRC2:USER_SGPR: 14
; COMPUTE_PGM_RSRC2:TRAP_HANDLER: 0
; COMPUTE_PGM_RSRC2:TGID_X_EN: 1
; COMPUTE_PGM_RSRC2:TGID_Y_EN: 1
; COMPUTE_PGM_RSRC2:TGID_Z_EN: 0
; COMPUTE_PGM_RSRC2:TIDIG_COMP_CNT: 1
	.section	.text._ZN9rocsolver6v33100L23getf2_npvt_small_kernelILi33E19rocblas_complex_numIdEiiPKPS3_EEvT1_T3_lS7_lPT2_S7_S7_,"axG",@progbits,_ZN9rocsolver6v33100L23getf2_npvt_small_kernelILi33E19rocblas_complex_numIdEiiPKPS3_EEvT1_T3_lS7_lPT2_S7_S7_,comdat
	.globl	_ZN9rocsolver6v33100L23getf2_npvt_small_kernelILi33E19rocblas_complex_numIdEiiPKPS3_EEvT1_T3_lS7_lPT2_S7_S7_ ; -- Begin function _ZN9rocsolver6v33100L23getf2_npvt_small_kernelILi33E19rocblas_complex_numIdEiiPKPS3_EEvT1_T3_lS7_lPT2_S7_S7_
	.p2align	8
	.type	_ZN9rocsolver6v33100L23getf2_npvt_small_kernelILi33E19rocblas_complex_numIdEiiPKPS3_EEvT1_T3_lS7_lPT2_S7_S7_,@function
_ZN9rocsolver6v33100L23getf2_npvt_small_kernelILi33E19rocblas_complex_numIdEiiPKPS3_EEvT1_T3_lS7_lPT2_S7_S7_: ; @_ZN9rocsolver6v33100L23getf2_npvt_small_kernelILi33E19rocblas_complex_numIdEiiPKPS3_EEvT1_T3_lS7_lPT2_S7_S7_
; %bb.0:
	s_clause 0x1
	s_load_b32 s2, s[0:1], 0x44
	s_load_b64 s[10:11], s[0:1], 0x30
	v_bfe_u32 v132, v0, 10, 10
	s_waitcnt lgkmcnt(0)
	s_lshr_b32 s8, s2, 16
	s_mov_b32 s2, exec_lo
	s_delay_alu instid0(VALU_DEP_1) | instskip(NEXT) | instid1(VALU_DEP_1)
	v_mad_u64_u32 v[142:143], null, s15, s8, v[132:133]
	v_cmpx_gt_i32_e64 s10, v142
	s_cbranch_execz .LBB65_302
; %bb.1:
	s_clause 0x1
	s_load_b128 s[4:7], s[0:1], 0x8
	s_load_b32 s2, s[0:1], 0x18
	v_ashrrev_i32_e32 v143, 31, v142
	v_and_b32_e32 v140, 0x3ff, v0
	v_lshlrev_b32_e32 v133, 4, v132
	s_mulk_i32 s8, 0x210
	v_mad_u32_u24 v150, 0x210, v132, 0
	v_lshlrev_b64 v[1:2], 3, v[142:143]
	v_lshlrev_b32_e32 v65, 4, v140
	v_add3_u32 v141, 0, s8, v133
	s_waitcnt lgkmcnt(0)
	s_delay_alu instid0(VALU_DEP_3) | instskip(NEXT) | instid1(VALU_DEP_4)
	v_add_co_u32 v1, vcc_lo, s4, v1
	v_add_co_ci_u32_e32 v2, vcc_lo, s5, v2, vcc_lo
	v_add3_u32 v3, s2, s2, v140
	s_lshl_b64 s[6:7], s[6:7], 4
	s_ashr_i32 s3, s2, 31
	global_load_b64 v[1:2], v[1:2], off
	s_lshl_b64 s[4:5], s[2:3], 4
	v_add_nc_u32_e32 v5, s2, v3
	v_ashrrev_i32_e32 v4, 31, v3
	v_cmp_ne_u32_e64 s3, 0, v140
	s_delay_alu instid0(VALU_DEP_3) | instskip(SKIP_1) | instid1(VALU_DEP_4)
	v_add_nc_u32_e32 v7, s2, v5
	v_ashrrev_i32_e32 v6, 31, v5
	v_lshlrev_b64 v[3:4], 4, v[3:4]
	s_delay_alu instid0(VALU_DEP_3) | instskip(SKIP_1) | instid1(VALU_DEP_4)
	v_add_nc_u32_e32 v9, s2, v7
	v_ashrrev_i32_e32 v8, 31, v7
	v_lshlrev_b64 v[5:6], 4, v[5:6]
	s_delay_alu instid0(VALU_DEP_3) | instskip(SKIP_1) | instid1(VALU_DEP_4)
	v_add_nc_u32_e32 v11, s2, v9
	v_ashrrev_i32_e32 v10, 31, v9
	v_lshlrev_b64 v[7:8], 4, v[7:8]
	s_delay_alu instid0(VALU_DEP_3) | instskip(SKIP_1) | instid1(VALU_DEP_4)
	v_add_nc_u32_e32 v13, s2, v11
	v_ashrrev_i32_e32 v12, 31, v11
	v_lshlrev_b64 v[9:10], 4, v[9:10]
	s_delay_alu instid0(VALU_DEP_3) | instskip(SKIP_1) | instid1(VALU_DEP_4)
	v_add_nc_u32_e32 v15, s2, v13
	v_ashrrev_i32_e32 v14, 31, v13
	v_lshlrev_b64 v[11:12], 4, v[11:12]
	s_delay_alu instid0(VALU_DEP_3) | instskip(SKIP_1) | instid1(VALU_DEP_4)
	v_add_nc_u32_e32 v17, s2, v15
	v_ashrrev_i32_e32 v16, 31, v15
	v_lshlrev_b64 v[13:14], 4, v[13:14]
	s_delay_alu instid0(VALU_DEP_3) | instskip(SKIP_1) | instid1(VALU_DEP_4)
	v_add_nc_u32_e32 v19, s2, v17
	v_ashrrev_i32_e32 v18, 31, v17
	v_lshlrev_b64 v[15:16], 4, v[15:16]
	s_delay_alu instid0(VALU_DEP_3) | instskip(SKIP_1) | instid1(VALU_DEP_4)
	v_add_nc_u32_e32 v21, s2, v19
	v_ashrrev_i32_e32 v20, 31, v19
	v_lshlrev_b64 v[17:18], 4, v[17:18]
	s_delay_alu instid0(VALU_DEP_3) | instskip(SKIP_1) | instid1(VALU_DEP_4)
	v_add_nc_u32_e32 v23, s2, v21
	v_ashrrev_i32_e32 v22, 31, v21
	v_lshlrev_b64 v[19:20], 4, v[19:20]
	s_delay_alu instid0(VALU_DEP_3) | instskip(SKIP_1) | instid1(VALU_DEP_4)
	v_add_nc_u32_e32 v25, s2, v23
	v_ashrrev_i32_e32 v24, 31, v23
	v_lshlrev_b64 v[21:22], 4, v[21:22]
	s_delay_alu instid0(VALU_DEP_3) | instskip(SKIP_1) | instid1(VALU_DEP_4)
	v_add_nc_u32_e32 v27, s2, v25
	v_ashrrev_i32_e32 v26, 31, v25
	v_lshlrev_b64 v[23:24], 4, v[23:24]
	s_delay_alu instid0(VALU_DEP_3) | instskip(SKIP_1) | instid1(VALU_DEP_4)
	v_add_nc_u32_e32 v29, s2, v27
	v_ashrrev_i32_e32 v28, 31, v27
	v_lshlrev_b64 v[25:26], 4, v[25:26]
	s_delay_alu instid0(VALU_DEP_3) | instskip(SKIP_1) | instid1(VALU_DEP_4)
	v_add_nc_u32_e32 v31, s2, v29
	v_ashrrev_i32_e32 v30, 31, v29
	v_lshlrev_b64 v[27:28], 4, v[27:28]
	s_delay_alu instid0(VALU_DEP_3) | instskip(SKIP_1) | instid1(VALU_DEP_4)
	v_add_nc_u32_e32 v33, s2, v31
	v_ashrrev_i32_e32 v32, 31, v31
	v_lshlrev_b64 v[29:30], 4, v[29:30]
	s_delay_alu instid0(VALU_DEP_3) | instskip(SKIP_1) | instid1(VALU_DEP_4)
	v_add_nc_u32_e32 v35, s2, v33
	v_ashrrev_i32_e32 v34, 31, v33
	v_lshlrev_b64 v[31:32], 4, v[31:32]
	s_delay_alu instid0(VALU_DEP_3) | instskip(SKIP_1) | instid1(VALU_DEP_4)
	v_add_nc_u32_e32 v37, s2, v35
	v_ashrrev_i32_e32 v36, 31, v35
	v_lshlrev_b64 v[33:34], 4, v[33:34]
	s_delay_alu instid0(VALU_DEP_3) | instskip(SKIP_1) | instid1(VALU_DEP_4)
	v_add_nc_u32_e32 v39, s2, v37
	v_ashrrev_i32_e32 v38, 31, v37
	v_lshlrev_b64 v[35:36], 4, v[35:36]
	s_delay_alu instid0(VALU_DEP_3) | instskip(SKIP_1) | instid1(VALU_DEP_4)
	v_add_nc_u32_e32 v41, s2, v39
	v_ashrrev_i32_e32 v40, 31, v39
	v_lshlrev_b64 v[37:38], 4, v[37:38]
	s_delay_alu instid0(VALU_DEP_3) | instskip(SKIP_1) | instid1(VALU_DEP_4)
	v_add_nc_u32_e32 v43, s2, v41
	v_ashrrev_i32_e32 v42, 31, v41
	v_lshlrev_b64 v[39:40], 4, v[39:40]
	s_delay_alu instid0(VALU_DEP_3) | instskip(SKIP_1) | instid1(VALU_DEP_4)
	v_add_nc_u32_e32 v45, s2, v43
	v_ashrrev_i32_e32 v44, 31, v43
	v_lshlrev_b64 v[41:42], 4, v[41:42]
	s_delay_alu instid0(VALU_DEP_3) | instskip(SKIP_1) | instid1(VALU_DEP_4)
	v_add_nc_u32_e32 v47, s2, v45
	v_ashrrev_i32_e32 v46, 31, v45
	v_lshlrev_b64 v[43:44], 4, v[43:44]
	s_delay_alu instid0(VALU_DEP_3) | instskip(SKIP_1) | instid1(VALU_DEP_4)
	v_add_nc_u32_e32 v49, s2, v47
	v_ashrrev_i32_e32 v48, 31, v47
	v_lshlrev_b64 v[45:46], 4, v[45:46]
	s_delay_alu instid0(VALU_DEP_3) | instskip(SKIP_1) | instid1(VALU_DEP_4)
	v_add_nc_u32_e32 v51, s2, v49
	v_ashrrev_i32_e32 v50, 31, v49
	v_lshlrev_b64 v[47:48], 4, v[47:48]
	s_delay_alu instid0(VALU_DEP_3) | instskip(SKIP_1) | instid1(VALU_DEP_4)
	v_add_nc_u32_e32 v53, s2, v51
	v_ashrrev_i32_e32 v52, 31, v51
	v_lshlrev_b64 v[49:50], 4, v[49:50]
	s_delay_alu instid0(VALU_DEP_3) | instskip(SKIP_1) | instid1(VALU_DEP_4)
	v_add_nc_u32_e32 v55, s2, v53
	v_ashrrev_i32_e32 v54, 31, v53
	v_lshlrev_b64 v[51:52], 4, v[51:52]
	s_delay_alu instid0(VALU_DEP_3) | instskip(SKIP_1) | instid1(VALU_DEP_4)
	v_add_nc_u32_e32 v57, s2, v55
	v_ashrrev_i32_e32 v56, 31, v55
	v_lshlrev_b64 v[53:54], 4, v[53:54]
	s_delay_alu instid0(VALU_DEP_3) | instskip(SKIP_1) | instid1(VALU_DEP_4)
	v_add_nc_u32_e32 v59, s2, v57
	v_ashrrev_i32_e32 v58, 31, v57
	v_lshlrev_b64 v[55:56], 4, v[55:56]
	s_delay_alu instid0(VALU_DEP_3) | instskip(SKIP_1) | instid1(VALU_DEP_4)
	v_add_nc_u32_e32 v61, s2, v59
	v_ashrrev_i32_e32 v60, 31, v59
	v_lshlrev_b64 v[57:58], 4, v[57:58]
	s_delay_alu instid0(VALU_DEP_3) | instskip(SKIP_1) | instid1(VALU_DEP_4)
	v_add_nc_u32_e32 v63, s2, v61
	v_ashrrev_i32_e32 v62, 31, v61
	v_lshlrev_b64 v[59:60], 4, v[59:60]
	v_cmp_eq_u32_e64 s2, 0, v140
	s_delay_alu instid0(VALU_DEP_4) | instskip(NEXT) | instid1(VALU_DEP_4)
	v_ashrrev_i32_e32 v64, 31, v63
	v_lshlrev_b64 v[61:62], 4, v[61:62]
	s_waitcnt vmcnt(0)
	v_add_co_u32 v66, vcc_lo, v1, s6
	v_add_co_ci_u32_e32 v2, vcc_lo, s7, v2, vcc_lo
	v_lshlrev_b64 v[0:1], 4, v[63:64]
	s_delay_alu instid0(VALU_DEP_3) | instskip(NEXT) | instid1(VALU_DEP_3)
	v_add_co_u32 v193, vcc_lo, v66, v65
	v_add_co_ci_u32_e32 v194, vcc_lo, 0, v2, vcc_lo
	v_add_co_u32 v187, vcc_lo, v66, v3
	v_add_co_ci_u32_e32 v188, vcc_lo, v2, v4, vcc_lo
	;; [unrolled: 2-line block ×32, first 2 shown]
	v_add_co_u32 v191, vcc_lo, v193, s4
	s_clause 0x9
	global_load_b128 v[120:123], v[187:188], off
	global_load_b128 v[116:119], v[189:190], off
	;; [unrolled: 1-line block ×10, first 2 shown]
	s_clause 0x9
	scratch_store_b64 off, v[21:22], off offset:72
	scratch_store_b64 off, v[19:20], off offset:64
	;; [unrolled: 1-line block ×9, first 2 shown]
	scratch_store_b64 off, v[3:4], off
	v_add_co_ci_u32_e32 v192, vcc_lo, s5, v194, vcc_lo
	s_clause 0x16
	global_load_b128 v[80:83], v[21:22], off
	global_load_b128 v[76:79], v[19:20], off
	;; [unrolled: 1-line block ×23, first 2 shown]
	s_and_saveexec_b32 s5, s2
	s_cbranch_execz .LBB65_8
; %bb.2:
	s_waitcnt vmcnt(2)
	ds_store_2addr_b64 v141, v[230:231], v[232:233] offset1:1
	s_waitcnt vmcnt(1)
	ds_store_2addr_b64 v150, v[124:125], v[126:127] offset0:2 offset1:3
	ds_store_2addr_b64 v150, v[120:121], v[122:123] offset0:4 offset1:5
	;; [unrolled: 1-line block ×31, first 2 shown]
	s_waitcnt vmcnt(0)
	ds_store_2addr_b64 v150, v[0:1], v[2:3] offset0:64 offset1:65
	ds_load_2addr_b64 v[132:135], v141 offset1:1
	s_waitcnt lgkmcnt(0)
	v_cmp_neq_f64_e32 vcc_lo, 0, v[132:133]
	v_cmp_neq_f64_e64 s4, 0, v[134:135]
	s_delay_alu instid0(VALU_DEP_1) | instskip(NEXT) | instid1(SALU_CYCLE_1)
	s_or_b32 s4, vcc_lo, s4
	s_and_b32 exec_lo, exec_lo, s4
	s_cbranch_execz .LBB65_8
; %bb.3:
	v_cmp_gt_f64_e32 vcc_lo, 0, v[132:133]
	v_cmp_gt_f64_e64 s4, 0, v[134:135]
	v_xor_b32_e32 v136, 0x80000000, v133
	v_xor_b32_e32 v138, 0x80000000, v135
                                        ; implicit-def: $vgpr148_vgpr149
	s_delay_alu instid0(VALU_DEP_2) | instskip(NEXT) | instid1(VALU_DEP_2)
	v_cndmask_b32_e32 v137, v133, v136, vcc_lo
	v_cndmask_b32_e64 v139, v135, v138, s4
	v_cndmask_b32_e32 v136, v132, v132, vcc_lo
	v_cndmask_b32_e64 v138, v134, v134, s4
	s_mov_b32 s4, exec_lo
	s_delay_alu instid0(VALU_DEP_1)
	v_cmpx_ngt_f64_e32 v[136:137], v[138:139]
	s_xor_b32 s4, exec_lo, s4
                                        ; implicit-def: $vgpr136_vgpr137_vgpr138_vgpr139
	s_cbranch_execz .LBB65_5
; %bb.4:
	v_div_scale_f64 v[136:137], null, v[134:135], v[134:135], v[132:133]
	v_div_scale_f64 v[148:149], vcc_lo, v[132:133], v[134:135], v[132:133]
	s_delay_alu instid0(VALU_DEP_2) | instskip(SKIP_2) | instid1(VALU_DEP_1)
	v_rcp_f64_e32 v[138:139], v[136:137]
	s_waitcnt_depctr 0xfff
	v_fma_f64 v[144:145], -v[136:137], v[138:139], 1.0
	v_fma_f64 v[138:139], v[138:139], v[144:145], v[138:139]
	s_delay_alu instid0(VALU_DEP_1) | instskip(NEXT) | instid1(VALU_DEP_1)
	v_fma_f64 v[144:145], -v[136:137], v[138:139], 1.0
	v_fma_f64 v[138:139], v[138:139], v[144:145], v[138:139]
	s_delay_alu instid0(VALU_DEP_1) | instskip(NEXT) | instid1(VALU_DEP_1)
	v_mul_f64 v[144:145], v[148:149], v[138:139]
	v_fma_f64 v[136:137], -v[136:137], v[144:145], v[148:149]
	s_delay_alu instid0(VALU_DEP_1) | instskip(NEXT) | instid1(VALU_DEP_1)
	v_div_fmas_f64 v[136:137], v[136:137], v[138:139], v[144:145]
	v_div_fixup_f64 v[136:137], v[136:137], v[134:135], v[132:133]
	s_delay_alu instid0(VALU_DEP_1) | instskip(NEXT) | instid1(VALU_DEP_1)
	v_fma_f64 v[132:133], v[132:133], v[136:137], v[134:135]
	v_div_scale_f64 v[134:135], null, v[132:133], v[132:133], 1.0
	s_delay_alu instid0(VALU_DEP_1) | instskip(SKIP_2) | instid1(VALU_DEP_1)
	v_rcp_f64_e32 v[138:139], v[134:135]
	s_waitcnt_depctr 0xfff
	v_fma_f64 v[144:145], -v[134:135], v[138:139], 1.0
	v_fma_f64 v[138:139], v[138:139], v[144:145], v[138:139]
	s_delay_alu instid0(VALU_DEP_1) | instskip(NEXT) | instid1(VALU_DEP_1)
	v_fma_f64 v[144:145], -v[134:135], v[138:139], 1.0
	v_fma_f64 v[138:139], v[138:139], v[144:145], v[138:139]
	v_div_scale_f64 v[144:145], vcc_lo, 1.0, v[132:133], 1.0
	s_delay_alu instid0(VALU_DEP_1) | instskip(NEXT) | instid1(VALU_DEP_1)
	v_mul_f64 v[148:149], v[144:145], v[138:139]
	v_fma_f64 v[134:135], -v[134:135], v[148:149], v[144:145]
	s_delay_alu instid0(VALU_DEP_1) | instskip(NEXT) | instid1(VALU_DEP_1)
	v_div_fmas_f64 v[134:135], v[134:135], v[138:139], v[148:149]
	v_div_fixup_f64 v[138:139], v[134:135], v[132:133], 1.0
                                        ; implicit-def: $vgpr132_vgpr133
	s_delay_alu instid0(VALU_DEP_1)
	v_mul_f64 v[148:149], v[136:137], v[138:139]
	v_xor_b32_e32 v139, 0x80000000, v139
.LBB65_5:
	s_and_not1_saveexec_b32 s4, s4
	s_cbranch_execz .LBB65_7
; %bb.6:
	v_div_scale_f64 v[136:137], null, v[132:133], v[132:133], v[134:135]
	v_div_scale_f64 v[148:149], vcc_lo, v[134:135], v[132:133], v[134:135]
	s_delay_alu instid0(VALU_DEP_2) | instskip(SKIP_2) | instid1(VALU_DEP_1)
	v_rcp_f64_e32 v[138:139], v[136:137]
	s_waitcnt_depctr 0xfff
	v_fma_f64 v[144:145], -v[136:137], v[138:139], 1.0
	v_fma_f64 v[138:139], v[138:139], v[144:145], v[138:139]
	s_delay_alu instid0(VALU_DEP_1) | instskip(NEXT) | instid1(VALU_DEP_1)
	v_fma_f64 v[144:145], -v[136:137], v[138:139], 1.0
	v_fma_f64 v[138:139], v[138:139], v[144:145], v[138:139]
	s_delay_alu instid0(VALU_DEP_1) | instskip(NEXT) | instid1(VALU_DEP_1)
	v_mul_f64 v[144:145], v[148:149], v[138:139]
	v_fma_f64 v[136:137], -v[136:137], v[144:145], v[148:149]
	s_delay_alu instid0(VALU_DEP_1) | instskip(NEXT) | instid1(VALU_DEP_1)
	v_div_fmas_f64 v[136:137], v[136:137], v[138:139], v[144:145]
	v_div_fixup_f64 v[136:137], v[136:137], v[132:133], v[134:135]
	s_delay_alu instid0(VALU_DEP_1) | instskip(NEXT) | instid1(VALU_DEP_1)
	v_fma_f64 v[132:133], v[134:135], v[136:137], v[132:133]
	v_div_scale_f64 v[134:135], null, v[132:133], v[132:133], 1.0
	s_delay_alu instid0(VALU_DEP_1) | instskip(SKIP_2) | instid1(VALU_DEP_1)
	v_rcp_f64_e32 v[138:139], v[134:135]
	s_waitcnt_depctr 0xfff
	v_fma_f64 v[144:145], -v[134:135], v[138:139], 1.0
	v_fma_f64 v[138:139], v[138:139], v[144:145], v[138:139]
	s_delay_alu instid0(VALU_DEP_1) | instskip(NEXT) | instid1(VALU_DEP_1)
	v_fma_f64 v[144:145], -v[134:135], v[138:139], 1.0
	v_fma_f64 v[138:139], v[138:139], v[144:145], v[138:139]
	v_div_scale_f64 v[144:145], vcc_lo, 1.0, v[132:133], 1.0
	s_delay_alu instid0(VALU_DEP_1) | instskip(NEXT) | instid1(VALU_DEP_1)
	v_mul_f64 v[148:149], v[144:145], v[138:139]
	v_fma_f64 v[134:135], -v[134:135], v[148:149], v[144:145]
	s_delay_alu instid0(VALU_DEP_1) | instskip(NEXT) | instid1(VALU_DEP_1)
	v_div_fmas_f64 v[134:135], v[134:135], v[138:139], v[148:149]
	v_div_fixup_f64 v[148:149], v[134:135], v[132:133], 1.0
	s_delay_alu instid0(VALU_DEP_1)
	v_mul_f64 v[138:139], v[136:137], -v[148:149]
.LBB65_7:
	s_or_b32 exec_lo, exec_lo, s4
	ds_store_2addr_b64 v141, v[148:149], v[138:139] offset1:1
.LBB65_8:
	s_or_b32 exec_lo, exec_lo, s5
	s_waitcnt vmcnt(0) lgkmcnt(0)
	s_waitcnt_vscnt null, 0x0
	s_barrier
	buffer_gl0_inv
	ds_load_2addr_b64 v[195:198], v141 offset1:1
	s_and_saveexec_b32 s4, s3
	s_cbranch_execz .LBB65_10
; %bb.9:
	s_waitcnt lgkmcnt(0)
	v_mul_f64 v[130:131], v[195:196], v[232:233]
	v_mul_f64 v[132:133], v[197:198], v[232:233]
	ds_load_2addr_b64 v[134:137], v150 offset0:2 offset1:3
	v_fma_f64 v[232:233], v[197:198], v[230:231], v[130:131]
	v_fma_f64 v[132:133], v[195:196], v[230:231], -v[132:133]
	s_waitcnt lgkmcnt(0)
	s_delay_alu instid0(VALU_DEP_2) | instskip(NEXT) | instid1(VALU_DEP_2)
	v_mul_f64 v[128:129], v[136:137], v[232:233]
	v_dual_mov_b32 v231, v133 :: v_dual_mov_b32 v230, v132
	s_delay_alu instid0(VALU_DEP_2) | instskip(SKIP_1) | instid1(VALU_DEP_2)
	v_fma_f64 v[128:129], v[134:135], v[132:133], -v[128:129]
	v_mul_f64 v[134:135], v[134:135], v[232:233]
	v_add_f64 v[124:125], v[124:125], -v[128:129]
	s_delay_alu instid0(VALU_DEP_2) | instskip(NEXT) | instid1(VALU_DEP_1)
	v_fma_f64 v[134:135], v[136:137], v[132:133], v[134:135]
	v_add_f64 v[126:127], v[126:127], -v[134:135]
	ds_load_2addr_b64 v[134:137], v150 offset0:4 offset1:5
	s_waitcnt lgkmcnt(0)
	v_mul_f64 v[128:129], v[136:137], v[232:233]
	s_delay_alu instid0(VALU_DEP_1) | instskip(SKIP_1) | instid1(VALU_DEP_2)
	v_fma_f64 v[128:129], v[134:135], v[132:133], -v[128:129]
	v_mul_f64 v[134:135], v[134:135], v[232:233]
	v_add_f64 v[120:121], v[120:121], -v[128:129]
	s_delay_alu instid0(VALU_DEP_2) | instskip(NEXT) | instid1(VALU_DEP_1)
	v_fma_f64 v[134:135], v[136:137], v[132:133], v[134:135]
	v_add_f64 v[122:123], v[122:123], -v[134:135]
	ds_load_2addr_b64 v[134:137], v150 offset0:6 offset1:7
	s_waitcnt lgkmcnt(0)
	v_mul_f64 v[128:129], v[136:137], v[232:233]
	s_delay_alu instid0(VALU_DEP_1) | instskip(SKIP_1) | instid1(VALU_DEP_2)
	;; [unrolled: 10-line block ×31, first 2 shown]
	v_fma_f64 v[128:129], v[134:135], v[132:133], -v[128:129]
	v_mul_f64 v[134:135], v[134:135], v[232:233]
	v_add_f64 v[0:1], v[0:1], -v[128:129]
	s_delay_alu instid0(VALU_DEP_2) | instskip(NEXT) | instid1(VALU_DEP_1)
	v_fma_f64 v[134:135], v[136:137], v[132:133], v[134:135]
	v_add_f64 v[2:3], v[2:3], -v[134:135]
.LBB65_10:
	s_or_b32 exec_lo, exec_lo, s4
	s_delay_alu instid0(SALU_CYCLE_1)
	s_mov_b32 s4, exec_lo
	s_waitcnt lgkmcnt(0)
	s_barrier
	buffer_gl0_inv
	v_cmpx_eq_u32_e32 1, v140
	s_cbranch_execz .LBB65_17
; %bb.11:
	ds_store_2addr_b64 v141, v[124:125], v[126:127] offset1:1
	ds_store_2addr_b64 v150, v[120:121], v[122:123] offset0:4 offset1:5
	ds_store_2addr_b64 v150, v[116:117], v[118:119] offset0:6 offset1:7
	;; [unrolled: 1-line block ×31, first 2 shown]
	ds_load_2addr_b64 v[132:135], v141 offset1:1
	s_waitcnt lgkmcnt(0)
	v_cmp_neq_f64_e32 vcc_lo, 0, v[132:133]
	v_cmp_neq_f64_e64 s3, 0, v[134:135]
	s_delay_alu instid0(VALU_DEP_1) | instskip(NEXT) | instid1(SALU_CYCLE_1)
	s_or_b32 s3, vcc_lo, s3
	s_and_b32 exec_lo, exec_lo, s3
	s_cbranch_execz .LBB65_17
; %bb.12:
	v_cmp_gt_f64_e32 vcc_lo, 0, v[132:133]
	v_cmp_gt_f64_e64 s3, 0, v[134:135]
	v_xor_b32_e32 v136, 0x80000000, v133
	v_xor_b32_e32 v138, 0x80000000, v135
                                        ; implicit-def: $vgpr144_vgpr145
	s_delay_alu instid0(VALU_DEP_2) | instskip(NEXT) | instid1(VALU_DEP_2)
	v_cndmask_b32_e32 v137, v133, v136, vcc_lo
	v_cndmask_b32_e64 v139, v135, v138, s3
	v_cndmask_b32_e32 v136, v132, v132, vcc_lo
	v_cndmask_b32_e64 v138, v134, v134, s3
	s_mov_b32 s3, exec_lo
	s_delay_alu instid0(VALU_DEP_1)
	v_cmpx_ngt_f64_e32 v[136:137], v[138:139]
	s_xor_b32 s3, exec_lo, s3
                                        ; implicit-def: $vgpr136_vgpr137_vgpr138_vgpr139
	s_cbranch_execz .LBB65_14
; %bb.13:
	v_div_scale_f64 v[136:137], null, v[134:135], v[134:135], v[132:133]
	v_div_scale_f64 v[148:149], vcc_lo, v[132:133], v[134:135], v[132:133]
	s_delay_alu instid0(VALU_DEP_2) | instskip(SKIP_2) | instid1(VALU_DEP_1)
	v_rcp_f64_e32 v[138:139], v[136:137]
	s_waitcnt_depctr 0xfff
	v_fma_f64 v[144:145], -v[136:137], v[138:139], 1.0
	v_fma_f64 v[138:139], v[138:139], v[144:145], v[138:139]
	s_delay_alu instid0(VALU_DEP_1) | instskip(NEXT) | instid1(VALU_DEP_1)
	v_fma_f64 v[144:145], -v[136:137], v[138:139], 1.0
	v_fma_f64 v[138:139], v[138:139], v[144:145], v[138:139]
	s_delay_alu instid0(VALU_DEP_1) | instskip(NEXT) | instid1(VALU_DEP_1)
	v_mul_f64 v[144:145], v[148:149], v[138:139]
	v_fma_f64 v[136:137], -v[136:137], v[144:145], v[148:149]
	s_delay_alu instid0(VALU_DEP_1) | instskip(NEXT) | instid1(VALU_DEP_1)
	v_div_fmas_f64 v[136:137], v[136:137], v[138:139], v[144:145]
	v_div_fixup_f64 v[136:137], v[136:137], v[134:135], v[132:133]
	s_delay_alu instid0(VALU_DEP_1) | instskip(NEXT) | instid1(VALU_DEP_1)
	v_fma_f64 v[132:133], v[132:133], v[136:137], v[134:135]
	v_div_scale_f64 v[134:135], null, v[132:133], v[132:133], 1.0
	s_delay_alu instid0(VALU_DEP_1) | instskip(SKIP_2) | instid1(VALU_DEP_1)
	v_rcp_f64_e32 v[138:139], v[134:135]
	s_waitcnt_depctr 0xfff
	v_fma_f64 v[144:145], -v[134:135], v[138:139], 1.0
	v_fma_f64 v[138:139], v[138:139], v[144:145], v[138:139]
	s_delay_alu instid0(VALU_DEP_1) | instskip(NEXT) | instid1(VALU_DEP_1)
	v_fma_f64 v[144:145], -v[134:135], v[138:139], 1.0
	v_fma_f64 v[138:139], v[138:139], v[144:145], v[138:139]
	v_div_scale_f64 v[144:145], vcc_lo, 1.0, v[132:133], 1.0
	s_delay_alu instid0(VALU_DEP_1) | instskip(NEXT) | instid1(VALU_DEP_1)
	v_mul_f64 v[148:149], v[144:145], v[138:139]
	v_fma_f64 v[134:135], -v[134:135], v[148:149], v[144:145]
	s_delay_alu instid0(VALU_DEP_1) | instskip(NEXT) | instid1(VALU_DEP_1)
	v_div_fmas_f64 v[134:135], v[134:135], v[138:139], v[148:149]
	v_div_fixup_f64 v[138:139], v[134:135], v[132:133], 1.0
                                        ; implicit-def: $vgpr132_vgpr133
	s_delay_alu instid0(VALU_DEP_1)
	v_mul_f64 v[144:145], v[136:137], v[138:139]
	v_xor_b32_e32 v139, 0x80000000, v139
.LBB65_14:
	s_and_not1_saveexec_b32 s3, s3
	s_cbranch_execz .LBB65_16
; %bb.15:
	v_div_scale_f64 v[136:137], null, v[132:133], v[132:133], v[134:135]
	v_div_scale_f64 v[148:149], vcc_lo, v[134:135], v[132:133], v[134:135]
	s_delay_alu instid0(VALU_DEP_2) | instskip(SKIP_2) | instid1(VALU_DEP_1)
	v_rcp_f64_e32 v[138:139], v[136:137]
	s_waitcnt_depctr 0xfff
	v_fma_f64 v[144:145], -v[136:137], v[138:139], 1.0
	v_fma_f64 v[138:139], v[138:139], v[144:145], v[138:139]
	s_delay_alu instid0(VALU_DEP_1) | instskip(NEXT) | instid1(VALU_DEP_1)
	v_fma_f64 v[144:145], -v[136:137], v[138:139], 1.0
	v_fma_f64 v[138:139], v[138:139], v[144:145], v[138:139]
	s_delay_alu instid0(VALU_DEP_1) | instskip(NEXT) | instid1(VALU_DEP_1)
	v_mul_f64 v[144:145], v[148:149], v[138:139]
	v_fma_f64 v[136:137], -v[136:137], v[144:145], v[148:149]
	s_delay_alu instid0(VALU_DEP_1) | instskip(NEXT) | instid1(VALU_DEP_1)
	v_div_fmas_f64 v[136:137], v[136:137], v[138:139], v[144:145]
	v_div_fixup_f64 v[136:137], v[136:137], v[132:133], v[134:135]
	s_delay_alu instid0(VALU_DEP_1) | instskip(NEXT) | instid1(VALU_DEP_1)
	v_fma_f64 v[132:133], v[134:135], v[136:137], v[132:133]
	v_div_scale_f64 v[134:135], null, v[132:133], v[132:133], 1.0
	s_delay_alu instid0(VALU_DEP_1) | instskip(SKIP_2) | instid1(VALU_DEP_1)
	v_rcp_f64_e32 v[138:139], v[134:135]
	s_waitcnt_depctr 0xfff
	v_fma_f64 v[144:145], -v[134:135], v[138:139], 1.0
	v_fma_f64 v[138:139], v[138:139], v[144:145], v[138:139]
	s_delay_alu instid0(VALU_DEP_1) | instskip(NEXT) | instid1(VALU_DEP_1)
	v_fma_f64 v[144:145], -v[134:135], v[138:139], 1.0
	v_fma_f64 v[138:139], v[138:139], v[144:145], v[138:139]
	v_div_scale_f64 v[144:145], vcc_lo, 1.0, v[132:133], 1.0
	s_delay_alu instid0(VALU_DEP_1) | instskip(NEXT) | instid1(VALU_DEP_1)
	v_mul_f64 v[148:149], v[144:145], v[138:139]
	v_fma_f64 v[134:135], -v[134:135], v[148:149], v[144:145]
	s_delay_alu instid0(VALU_DEP_1) | instskip(NEXT) | instid1(VALU_DEP_1)
	v_div_fmas_f64 v[134:135], v[134:135], v[138:139], v[148:149]
	v_div_fixup_f64 v[144:145], v[134:135], v[132:133], 1.0
	s_delay_alu instid0(VALU_DEP_1)
	v_mul_f64 v[138:139], v[136:137], -v[144:145]
.LBB65_16:
	s_or_b32 exec_lo, exec_lo, s3
	ds_store_2addr_b64 v141, v[144:145], v[138:139] offset1:1
.LBB65_17:
	s_or_b32 exec_lo, exec_lo, s4
	s_waitcnt lgkmcnt(0)
	s_barrier
	buffer_gl0_inv
	ds_load_2addr_b64 v[199:202], v141 offset1:1
	s_mov_b32 s3, exec_lo
	v_cmpx_lt_u32_e32 1, v140
	s_cbranch_execz .LBB65_19
; %bb.18:
	s_waitcnt lgkmcnt(0)
	v_mul_f64 v[132:133], v[201:202], v[126:127]
	v_mul_f64 v[126:127], v[199:200], v[126:127]
	ds_load_2addr_b64 v[134:137], v150 offset0:4 offset1:5
	v_fma_f64 v[132:133], v[199:200], v[124:125], -v[132:133]
	v_fma_f64 v[126:127], v[201:202], v[124:125], v[126:127]
	s_waitcnt lgkmcnt(0)
	s_delay_alu instid0(VALU_DEP_1) | instskip(NEXT) | instid1(VALU_DEP_1)
	v_mul_f64 v[124:125], v[136:137], v[126:127]
	v_fma_f64 v[124:125], v[134:135], v[132:133], -v[124:125]
	v_mul_f64 v[134:135], v[134:135], v[126:127]
	s_delay_alu instid0(VALU_DEP_2) | instskip(NEXT) | instid1(VALU_DEP_2)
	v_add_f64 v[120:121], v[120:121], -v[124:125]
	v_fma_f64 v[134:135], v[136:137], v[132:133], v[134:135]
	s_delay_alu instid0(VALU_DEP_1) | instskip(SKIP_3) | instid1(VALU_DEP_1)
	v_add_f64 v[122:123], v[122:123], -v[134:135]
	ds_load_2addr_b64 v[134:137], v150 offset0:6 offset1:7
	s_waitcnt lgkmcnt(0)
	v_mul_f64 v[124:125], v[136:137], v[126:127]
	v_fma_f64 v[124:125], v[134:135], v[132:133], -v[124:125]
	v_mul_f64 v[134:135], v[134:135], v[126:127]
	s_delay_alu instid0(VALU_DEP_2) | instskip(NEXT) | instid1(VALU_DEP_2)
	v_add_f64 v[116:117], v[116:117], -v[124:125]
	v_fma_f64 v[134:135], v[136:137], v[132:133], v[134:135]
	s_delay_alu instid0(VALU_DEP_1) | instskip(SKIP_3) | instid1(VALU_DEP_1)
	v_add_f64 v[118:119], v[118:119], -v[134:135]
	ds_load_2addr_b64 v[134:137], v150 offset0:8 offset1:9
	s_waitcnt lgkmcnt(0)
	;; [unrolled: 10-line block ×30, first 2 shown]
	v_mul_f64 v[124:125], v[136:137], v[126:127]
	v_fma_f64 v[124:125], v[134:135], v[132:133], -v[124:125]
	v_mul_f64 v[134:135], v[134:135], v[126:127]
	s_delay_alu instid0(VALU_DEP_2) | instskip(NEXT) | instid1(VALU_DEP_2)
	v_add_f64 v[0:1], v[0:1], -v[124:125]
	v_fma_f64 v[134:135], v[136:137], v[132:133], v[134:135]
	v_dual_mov_b32 v124, v132 :: v_dual_mov_b32 v125, v133
	s_delay_alu instid0(VALU_DEP_2)
	v_add_f64 v[2:3], v[2:3], -v[134:135]
.LBB65_19:
	s_or_b32 exec_lo, exec_lo, s3
	s_delay_alu instid0(SALU_CYCLE_1)
	s_mov_b32 s4, exec_lo
	s_waitcnt lgkmcnt(0)
	s_barrier
	buffer_gl0_inv
	v_cmpx_eq_u32_e32 2, v140
	s_cbranch_execz .LBB65_26
; %bb.20:
	ds_store_2addr_b64 v141, v[120:121], v[122:123] offset1:1
	ds_store_2addr_b64 v150, v[116:117], v[118:119] offset0:6 offset1:7
	ds_store_2addr_b64 v150, v[112:113], v[114:115] offset0:8 offset1:9
	ds_store_2addr_b64 v150, v[108:109], v[110:111] offset0:10 offset1:11
	ds_store_2addr_b64 v150, v[104:105], v[106:107] offset0:12 offset1:13
	ds_store_2addr_b64 v150, v[100:101], v[102:103] offset0:14 offset1:15
	ds_store_2addr_b64 v150, v[96:97], v[98:99] offset0:16 offset1:17
	ds_store_2addr_b64 v150, v[92:93], v[94:95] offset0:18 offset1:19
	ds_store_2addr_b64 v150, v[88:89], v[90:91] offset0:20 offset1:21
	ds_store_2addr_b64 v150, v[84:85], v[86:87] offset0:22 offset1:23
	ds_store_2addr_b64 v150, v[80:81], v[82:83] offset0:24 offset1:25
	ds_store_2addr_b64 v150, v[76:77], v[78:79] offset0:26 offset1:27
	ds_store_2addr_b64 v150, v[72:73], v[74:75] offset0:28 offset1:29
	ds_store_2addr_b64 v150, v[68:69], v[70:71] offset0:30 offset1:31
	ds_store_2addr_b64 v150, v[64:65], v[66:67] offset0:32 offset1:33
	ds_store_2addr_b64 v150, v[60:61], v[62:63] offset0:34 offset1:35
	ds_store_2addr_b64 v150, v[56:57], v[58:59] offset0:36 offset1:37
	ds_store_2addr_b64 v150, v[52:53], v[54:55] offset0:38 offset1:39
	ds_store_2addr_b64 v150, v[48:49], v[50:51] offset0:40 offset1:41
	ds_store_2addr_b64 v150, v[44:45], v[46:47] offset0:42 offset1:43
	ds_store_2addr_b64 v150, v[40:41], v[42:43] offset0:44 offset1:45
	ds_store_2addr_b64 v150, v[36:37], v[38:39] offset0:46 offset1:47
	ds_store_2addr_b64 v150, v[32:33], v[34:35] offset0:48 offset1:49
	ds_store_2addr_b64 v150, v[28:29], v[30:31] offset0:50 offset1:51
	ds_store_2addr_b64 v150, v[24:25], v[26:27] offset0:52 offset1:53
	ds_store_2addr_b64 v150, v[20:21], v[22:23] offset0:54 offset1:55
	ds_store_2addr_b64 v150, v[16:17], v[18:19] offset0:56 offset1:57
	ds_store_2addr_b64 v150, v[12:13], v[14:15] offset0:58 offset1:59
	ds_store_2addr_b64 v150, v[8:9], v[10:11] offset0:60 offset1:61
	ds_store_2addr_b64 v150, v[4:5], v[6:7] offset0:62 offset1:63
	ds_store_2addr_b64 v150, v[0:1], v[2:3] offset0:64 offset1:65
	ds_load_2addr_b64 v[132:135], v141 offset1:1
	s_waitcnt lgkmcnt(0)
	v_cmp_neq_f64_e32 vcc_lo, 0, v[132:133]
	v_cmp_neq_f64_e64 s3, 0, v[134:135]
	s_delay_alu instid0(VALU_DEP_1) | instskip(NEXT) | instid1(SALU_CYCLE_1)
	s_or_b32 s3, vcc_lo, s3
	s_and_b32 exec_lo, exec_lo, s3
	s_cbranch_execz .LBB65_26
; %bb.21:
	v_cmp_gt_f64_e32 vcc_lo, 0, v[132:133]
	v_cmp_gt_f64_e64 s3, 0, v[134:135]
	v_xor_b32_e32 v136, 0x80000000, v133
	v_xor_b32_e32 v138, 0x80000000, v135
                                        ; implicit-def: $vgpr144_vgpr145
	s_delay_alu instid0(VALU_DEP_2) | instskip(NEXT) | instid1(VALU_DEP_2)
	v_cndmask_b32_e32 v137, v133, v136, vcc_lo
	v_cndmask_b32_e64 v139, v135, v138, s3
	v_cndmask_b32_e32 v136, v132, v132, vcc_lo
	v_cndmask_b32_e64 v138, v134, v134, s3
	s_mov_b32 s3, exec_lo
	s_delay_alu instid0(VALU_DEP_1)
	v_cmpx_ngt_f64_e32 v[136:137], v[138:139]
	s_xor_b32 s3, exec_lo, s3
                                        ; implicit-def: $vgpr136_vgpr137_vgpr138_vgpr139
	s_cbranch_execz .LBB65_23
; %bb.22:
	v_div_scale_f64 v[136:137], null, v[134:135], v[134:135], v[132:133]
	v_div_scale_f64 v[148:149], vcc_lo, v[132:133], v[134:135], v[132:133]
	s_delay_alu instid0(VALU_DEP_2) | instskip(SKIP_2) | instid1(VALU_DEP_1)
	v_rcp_f64_e32 v[138:139], v[136:137]
	s_waitcnt_depctr 0xfff
	v_fma_f64 v[144:145], -v[136:137], v[138:139], 1.0
	v_fma_f64 v[138:139], v[138:139], v[144:145], v[138:139]
	s_delay_alu instid0(VALU_DEP_1) | instskip(NEXT) | instid1(VALU_DEP_1)
	v_fma_f64 v[144:145], -v[136:137], v[138:139], 1.0
	v_fma_f64 v[138:139], v[138:139], v[144:145], v[138:139]
	s_delay_alu instid0(VALU_DEP_1) | instskip(NEXT) | instid1(VALU_DEP_1)
	v_mul_f64 v[144:145], v[148:149], v[138:139]
	v_fma_f64 v[136:137], -v[136:137], v[144:145], v[148:149]
	s_delay_alu instid0(VALU_DEP_1) | instskip(NEXT) | instid1(VALU_DEP_1)
	v_div_fmas_f64 v[136:137], v[136:137], v[138:139], v[144:145]
	v_div_fixup_f64 v[136:137], v[136:137], v[134:135], v[132:133]
	s_delay_alu instid0(VALU_DEP_1) | instskip(NEXT) | instid1(VALU_DEP_1)
	v_fma_f64 v[132:133], v[132:133], v[136:137], v[134:135]
	v_div_scale_f64 v[134:135], null, v[132:133], v[132:133], 1.0
	s_delay_alu instid0(VALU_DEP_1) | instskip(SKIP_2) | instid1(VALU_DEP_1)
	v_rcp_f64_e32 v[138:139], v[134:135]
	s_waitcnt_depctr 0xfff
	v_fma_f64 v[144:145], -v[134:135], v[138:139], 1.0
	v_fma_f64 v[138:139], v[138:139], v[144:145], v[138:139]
	s_delay_alu instid0(VALU_DEP_1) | instskip(NEXT) | instid1(VALU_DEP_1)
	v_fma_f64 v[144:145], -v[134:135], v[138:139], 1.0
	v_fma_f64 v[138:139], v[138:139], v[144:145], v[138:139]
	v_div_scale_f64 v[144:145], vcc_lo, 1.0, v[132:133], 1.0
	s_delay_alu instid0(VALU_DEP_1) | instskip(NEXT) | instid1(VALU_DEP_1)
	v_mul_f64 v[148:149], v[144:145], v[138:139]
	v_fma_f64 v[134:135], -v[134:135], v[148:149], v[144:145]
	s_delay_alu instid0(VALU_DEP_1) | instskip(NEXT) | instid1(VALU_DEP_1)
	v_div_fmas_f64 v[134:135], v[134:135], v[138:139], v[148:149]
	v_div_fixup_f64 v[138:139], v[134:135], v[132:133], 1.0
                                        ; implicit-def: $vgpr132_vgpr133
	s_delay_alu instid0(VALU_DEP_1)
	v_mul_f64 v[144:145], v[136:137], v[138:139]
	v_xor_b32_e32 v139, 0x80000000, v139
.LBB65_23:
	s_and_not1_saveexec_b32 s3, s3
	s_cbranch_execz .LBB65_25
; %bb.24:
	v_div_scale_f64 v[136:137], null, v[132:133], v[132:133], v[134:135]
	v_div_scale_f64 v[148:149], vcc_lo, v[134:135], v[132:133], v[134:135]
	s_delay_alu instid0(VALU_DEP_2) | instskip(SKIP_2) | instid1(VALU_DEP_1)
	v_rcp_f64_e32 v[138:139], v[136:137]
	s_waitcnt_depctr 0xfff
	v_fma_f64 v[144:145], -v[136:137], v[138:139], 1.0
	v_fma_f64 v[138:139], v[138:139], v[144:145], v[138:139]
	s_delay_alu instid0(VALU_DEP_1) | instskip(NEXT) | instid1(VALU_DEP_1)
	v_fma_f64 v[144:145], -v[136:137], v[138:139], 1.0
	v_fma_f64 v[138:139], v[138:139], v[144:145], v[138:139]
	s_delay_alu instid0(VALU_DEP_1) | instskip(NEXT) | instid1(VALU_DEP_1)
	v_mul_f64 v[144:145], v[148:149], v[138:139]
	v_fma_f64 v[136:137], -v[136:137], v[144:145], v[148:149]
	s_delay_alu instid0(VALU_DEP_1) | instskip(NEXT) | instid1(VALU_DEP_1)
	v_div_fmas_f64 v[136:137], v[136:137], v[138:139], v[144:145]
	v_div_fixup_f64 v[136:137], v[136:137], v[132:133], v[134:135]
	s_delay_alu instid0(VALU_DEP_1) | instskip(NEXT) | instid1(VALU_DEP_1)
	v_fma_f64 v[132:133], v[134:135], v[136:137], v[132:133]
	v_div_scale_f64 v[134:135], null, v[132:133], v[132:133], 1.0
	s_delay_alu instid0(VALU_DEP_1) | instskip(SKIP_2) | instid1(VALU_DEP_1)
	v_rcp_f64_e32 v[138:139], v[134:135]
	s_waitcnt_depctr 0xfff
	v_fma_f64 v[144:145], -v[134:135], v[138:139], 1.0
	v_fma_f64 v[138:139], v[138:139], v[144:145], v[138:139]
	s_delay_alu instid0(VALU_DEP_1) | instskip(NEXT) | instid1(VALU_DEP_1)
	v_fma_f64 v[144:145], -v[134:135], v[138:139], 1.0
	v_fma_f64 v[138:139], v[138:139], v[144:145], v[138:139]
	v_div_scale_f64 v[144:145], vcc_lo, 1.0, v[132:133], 1.0
	s_delay_alu instid0(VALU_DEP_1) | instskip(NEXT) | instid1(VALU_DEP_1)
	v_mul_f64 v[148:149], v[144:145], v[138:139]
	v_fma_f64 v[134:135], -v[134:135], v[148:149], v[144:145]
	s_delay_alu instid0(VALU_DEP_1) | instskip(NEXT) | instid1(VALU_DEP_1)
	v_div_fmas_f64 v[134:135], v[134:135], v[138:139], v[148:149]
	v_div_fixup_f64 v[144:145], v[134:135], v[132:133], 1.0
	s_delay_alu instid0(VALU_DEP_1)
	v_mul_f64 v[138:139], v[136:137], -v[144:145]
.LBB65_25:
	s_or_b32 exec_lo, exec_lo, s3
	ds_store_2addr_b64 v141, v[144:145], v[138:139] offset1:1
.LBB65_26:
	s_or_b32 exec_lo, exec_lo, s4
	s_waitcnt lgkmcnt(0)
	s_barrier
	buffer_gl0_inv
	ds_load_2addr_b64 v[203:206], v141 offset1:1
	s_mov_b32 s3, exec_lo
	v_cmpx_lt_u32_e32 2, v140
	s_cbranch_execz .LBB65_28
; %bb.27:
	s_waitcnt lgkmcnt(0)
	v_mul_f64 v[132:133], v[205:206], v[122:123]
	v_mul_f64 v[122:123], v[203:204], v[122:123]
	ds_load_2addr_b64 v[134:137], v150 offset0:6 offset1:7
	v_fma_f64 v[132:133], v[203:204], v[120:121], -v[132:133]
	v_fma_f64 v[122:123], v[205:206], v[120:121], v[122:123]
	s_waitcnt lgkmcnt(0)
	s_delay_alu instid0(VALU_DEP_1) | instskip(NEXT) | instid1(VALU_DEP_1)
	v_mul_f64 v[120:121], v[136:137], v[122:123]
	v_fma_f64 v[120:121], v[134:135], v[132:133], -v[120:121]
	v_mul_f64 v[134:135], v[134:135], v[122:123]
	s_delay_alu instid0(VALU_DEP_2) | instskip(NEXT) | instid1(VALU_DEP_2)
	v_add_f64 v[116:117], v[116:117], -v[120:121]
	v_fma_f64 v[134:135], v[136:137], v[132:133], v[134:135]
	s_delay_alu instid0(VALU_DEP_1) | instskip(SKIP_3) | instid1(VALU_DEP_1)
	v_add_f64 v[118:119], v[118:119], -v[134:135]
	ds_load_2addr_b64 v[134:137], v150 offset0:8 offset1:9
	s_waitcnt lgkmcnt(0)
	v_mul_f64 v[120:121], v[136:137], v[122:123]
	v_fma_f64 v[120:121], v[134:135], v[132:133], -v[120:121]
	v_mul_f64 v[134:135], v[134:135], v[122:123]
	s_delay_alu instid0(VALU_DEP_2) | instskip(NEXT) | instid1(VALU_DEP_2)
	v_add_f64 v[112:113], v[112:113], -v[120:121]
	v_fma_f64 v[134:135], v[136:137], v[132:133], v[134:135]
	s_delay_alu instid0(VALU_DEP_1) | instskip(SKIP_3) | instid1(VALU_DEP_1)
	v_add_f64 v[114:115], v[114:115], -v[134:135]
	ds_load_2addr_b64 v[134:137], v150 offset0:10 offset1:11
	s_waitcnt lgkmcnt(0)
	v_mul_f64 v[120:121], v[136:137], v[122:123]
	v_fma_f64 v[120:121], v[134:135], v[132:133], -v[120:121]
	v_mul_f64 v[134:135], v[134:135], v[122:123]
	s_delay_alu instid0(VALU_DEP_2) | instskip(NEXT) | instid1(VALU_DEP_2)
	v_add_f64 v[108:109], v[108:109], -v[120:121]
	v_fma_f64 v[134:135], v[136:137], v[132:133], v[134:135]
	s_delay_alu instid0(VALU_DEP_1) | instskip(SKIP_3) | instid1(VALU_DEP_1)
	v_add_f64 v[110:111], v[110:111], -v[134:135]
	ds_load_2addr_b64 v[134:137], v150 offset0:12 offset1:13
	s_waitcnt lgkmcnt(0)
	v_mul_f64 v[120:121], v[136:137], v[122:123]
	v_fma_f64 v[120:121], v[134:135], v[132:133], -v[120:121]
	v_mul_f64 v[134:135], v[134:135], v[122:123]
	s_delay_alu instid0(VALU_DEP_2) | instskip(NEXT) | instid1(VALU_DEP_2)
	v_add_f64 v[104:105], v[104:105], -v[120:121]
	v_fma_f64 v[134:135], v[136:137], v[132:133], v[134:135]
	s_delay_alu instid0(VALU_DEP_1) | instskip(SKIP_3) | instid1(VALU_DEP_1)
	v_add_f64 v[106:107], v[106:107], -v[134:135]
	ds_load_2addr_b64 v[134:137], v150 offset0:14 offset1:15
	s_waitcnt lgkmcnt(0)
	v_mul_f64 v[120:121], v[136:137], v[122:123]
	v_fma_f64 v[120:121], v[134:135], v[132:133], -v[120:121]
	v_mul_f64 v[134:135], v[134:135], v[122:123]
	s_delay_alu instid0(VALU_DEP_2) | instskip(NEXT) | instid1(VALU_DEP_2)
	v_add_f64 v[100:101], v[100:101], -v[120:121]
	v_fma_f64 v[134:135], v[136:137], v[132:133], v[134:135]
	s_delay_alu instid0(VALU_DEP_1) | instskip(SKIP_3) | instid1(VALU_DEP_1)
	v_add_f64 v[102:103], v[102:103], -v[134:135]
	ds_load_2addr_b64 v[134:137], v150 offset0:16 offset1:17
	s_waitcnt lgkmcnt(0)
	v_mul_f64 v[120:121], v[136:137], v[122:123]
	v_fma_f64 v[120:121], v[134:135], v[132:133], -v[120:121]
	v_mul_f64 v[134:135], v[134:135], v[122:123]
	s_delay_alu instid0(VALU_DEP_2) | instskip(NEXT) | instid1(VALU_DEP_2)
	v_add_f64 v[96:97], v[96:97], -v[120:121]
	v_fma_f64 v[134:135], v[136:137], v[132:133], v[134:135]
	s_delay_alu instid0(VALU_DEP_1) | instskip(SKIP_3) | instid1(VALU_DEP_1)
	v_add_f64 v[98:99], v[98:99], -v[134:135]
	ds_load_2addr_b64 v[134:137], v150 offset0:18 offset1:19
	s_waitcnt lgkmcnt(0)
	v_mul_f64 v[120:121], v[136:137], v[122:123]
	v_fma_f64 v[120:121], v[134:135], v[132:133], -v[120:121]
	v_mul_f64 v[134:135], v[134:135], v[122:123]
	s_delay_alu instid0(VALU_DEP_2) | instskip(NEXT) | instid1(VALU_DEP_2)
	v_add_f64 v[92:93], v[92:93], -v[120:121]
	v_fma_f64 v[134:135], v[136:137], v[132:133], v[134:135]
	s_delay_alu instid0(VALU_DEP_1) | instskip(SKIP_3) | instid1(VALU_DEP_1)
	v_add_f64 v[94:95], v[94:95], -v[134:135]
	ds_load_2addr_b64 v[134:137], v150 offset0:20 offset1:21
	s_waitcnt lgkmcnt(0)
	v_mul_f64 v[120:121], v[136:137], v[122:123]
	v_fma_f64 v[120:121], v[134:135], v[132:133], -v[120:121]
	v_mul_f64 v[134:135], v[134:135], v[122:123]
	s_delay_alu instid0(VALU_DEP_2) | instskip(NEXT) | instid1(VALU_DEP_2)
	v_add_f64 v[88:89], v[88:89], -v[120:121]
	v_fma_f64 v[134:135], v[136:137], v[132:133], v[134:135]
	s_delay_alu instid0(VALU_DEP_1) | instskip(SKIP_3) | instid1(VALU_DEP_1)
	v_add_f64 v[90:91], v[90:91], -v[134:135]
	ds_load_2addr_b64 v[134:137], v150 offset0:22 offset1:23
	s_waitcnt lgkmcnt(0)
	v_mul_f64 v[120:121], v[136:137], v[122:123]
	v_fma_f64 v[120:121], v[134:135], v[132:133], -v[120:121]
	v_mul_f64 v[134:135], v[134:135], v[122:123]
	s_delay_alu instid0(VALU_DEP_2) | instskip(NEXT) | instid1(VALU_DEP_2)
	v_add_f64 v[84:85], v[84:85], -v[120:121]
	v_fma_f64 v[134:135], v[136:137], v[132:133], v[134:135]
	s_delay_alu instid0(VALU_DEP_1) | instskip(SKIP_3) | instid1(VALU_DEP_1)
	v_add_f64 v[86:87], v[86:87], -v[134:135]
	ds_load_2addr_b64 v[134:137], v150 offset0:24 offset1:25
	s_waitcnt lgkmcnt(0)
	v_mul_f64 v[120:121], v[136:137], v[122:123]
	v_fma_f64 v[120:121], v[134:135], v[132:133], -v[120:121]
	v_mul_f64 v[134:135], v[134:135], v[122:123]
	s_delay_alu instid0(VALU_DEP_2) | instskip(NEXT) | instid1(VALU_DEP_2)
	v_add_f64 v[80:81], v[80:81], -v[120:121]
	v_fma_f64 v[134:135], v[136:137], v[132:133], v[134:135]
	s_delay_alu instid0(VALU_DEP_1) | instskip(SKIP_3) | instid1(VALU_DEP_1)
	v_add_f64 v[82:83], v[82:83], -v[134:135]
	ds_load_2addr_b64 v[134:137], v150 offset0:26 offset1:27
	s_waitcnt lgkmcnt(0)
	v_mul_f64 v[120:121], v[136:137], v[122:123]
	v_fma_f64 v[120:121], v[134:135], v[132:133], -v[120:121]
	v_mul_f64 v[134:135], v[134:135], v[122:123]
	s_delay_alu instid0(VALU_DEP_2) | instskip(NEXT) | instid1(VALU_DEP_2)
	v_add_f64 v[76:77], v[76:77], -v[120:121]
	v_fma_f64 v[134:135], v[136:137], v[132:133], v[134:135]
	s_delay_alu instid0(VALU_DEP_1) | instskip(SKIP_3) | instid1(VALU_DEP_1)
	v_add_f64 v[78:79], v[78:79], -v[134:135]
	ds_load_2addr_b64 v[134:137], v150 offset0:28 offset1:29
	s_waitcnt lgkmcnt(0)
	v_mul_f64 v[120:121], v[136:137], v[122:123]
	v_fma_f64 v[120:121], v[134:135], v[132:133], -v[120:121]
	v_mul_f64 v[134:135], v[134:135], v[122:123]
	s_delay_alu instid0(VALU_DEP_2) | instskip(NEXT) | instid1(VALU_DEP_2)
	v_add_f64 v[72:73], v[72:73], -v[120:121]
	v_fma_f64 v[134:135], v[136:137], v[132:133], v[134:135]
	s_delay_alu instid0(VALU_DEP_1) | instskip(SKIP_3) | instid1(VALU_DEP_1)
	v_add_f64 v[74:75], v[74:75], -v[134:135]
	ds_load_2addr_b64 v[134:137], v150 offset0:30 offset1:31
	s_waitcnt lgkmcnt(0)
	v_mul_f64 v[120:121], v[136:137], v[122:123]
	v_fma_f64 v[120:121], v[134:135], v[132:133], -v[120:121]
	v_mul_f64 v[134:135], v[134:135], v[122:123]
	s_delay_alu instid0(VALU_DEP_2) | instskip(NEXT) | instid1(VALU_DEP_2)
	v_add_f64 v[68:69], v[68:69], -v[120:121]
	v_fma_f64 v[134:135], v[136:137], v[132:133], v[134:135]
	s_delay_alu instid0(VALU_DEP_1) | instskip(SKIP_3) | instid1(VALU_DEP_1)
	v_add_f64 v[70:71], v[70:71], -v[134:135]
	ds_load_2addr_b64 v[134:137], v150 offset0:32 offset1:33
	s_waitcnt lgkmcnt(0)
	v_mul_f64 v[120:121], v[136:137], v[122:123]
	v_fma_f64 v[120:121], v[134:135], v[132:133], -v[120:121]
	v_mul_f64 v[134:135], v[134:135], v[122:123]
	s_delay_alu instid0(VALU_DEP_2) | instskip(NEXT) | instid1(VALU_DEP_2)
	v_add_f64 v[64:65], v[64:65], -v[120:121]
	v_fma_f64 v[134:135], v[136:137], v[132:133], v[134:135]
	s_delay_alu instid0(VALU_DEP_1) | instskip(SKIP_3) | instid1(VALU_DEP_1)
	v_add_f64 v[66:67], v[66:67], -v[134:135]
	ds_load_2addr_b64 v[134:137], v150 offset0:34 offset1:35
	s_waitcnt lgkmcnt(0)
	v_mul_f64 v[120:121], v[136:137], v[122:123]
	v_fma_f64 v[120:121], v[134:135], v[132:133], -v[120:121]
	v_mul_f64 v[134:135], v[134:135], v[122:123]
	s_delay_alu instid0(VALU_DEP_2) | instskip(NEXT) | instid1(VALU_DEP_2)
	v_add_f64 v[60:61], v[60:61], -v[120:121]
	v_fma_f64 v[134:135], v[136:137], v[132:133], v[134:135]
	s_delay_alu instid0(VALU_DEP_1) | instskip(SKIP_3) | instid1(VALU_DEP_1)
	v_add_f64 v[62:63], v[62:63], -v[134:135]
	ds_load_2addr_b64 v[134:137], v150 offset0:36 offset1:37
	s_waitcnt lgkmcnt(0)
	v_mul_f64 v[120:121], v[136:137], v[122:123]
	v_fma_f64 v[120:121], v[134:135], v[132:133], -v[120:121]
	v_mul_f64 v[134:135], v[134:135], v[122:123]
	s_delay_alu instid0(VALU_DEP_2) | instskip(NEXT) | instid1(VALU_DEP_2)
	v_add_f64 v[56:57], v[56:57], -v[120:121]
	v_fma_f64 v[134:135], v[136:137], v[132:133], v[134:135]
	s_delay_alu instid0(VALU_DEP_1) | instskip(SKIP_3) | instid1(VALU_DEP_1)
	v_add_f64 v[58:59], v[58:59], -v[134:135]
	ds_load_2addr_b64 v[134:137], v150 offset0:38 offset1:39
	s_waitcnt lgkmcnt(0)
	v_mul_f64 v[120:121], v[136:137], v[122:123]
	v_fma_f64 v[120:121], v[134:135], v[132:133], -v[120:121]
	v_mul_f64 v[134:135], v[134:135], v[122:123]
	s_delay_alu instid0(VALU_DEP_2) | instskip(NEXT) | instid1(VALU_DEP_2)
	v_add_f64 v[52:53], v[52:53], -v[120:121]
	v_fma_f64 v[134:135], v[136:137], v[132:133], v[134:135]
	s_delay_alu instid0(VALU_DEP_1) | instskip(SKIP_3) | instid1(VALU_DEP_1)
	v_add_f64 v[54:55], v[54:55], -v[134:135]
	ds_load_2addr_b64 v[134:137], v150 offset0:40 offset1:41
	s_waitcnt lgkmcnt(0)
	v_mul_f64 v[120:121], v[136:137], v[122:123]
	v_fma_f64 v[120:121], v[134:135], v[132:133], -v[120:121]
	v_mul_f64 v[134:135], v[134:135], v[122:123]
	s_delay_alu instid0(VALU_DEP_2) | instskip(NEXT) | instid1(VALU_DEP_2)
	v_add_f64 v[48:49], v[48:49], -v[120:121]
	v_fma_f64 v[134:135], v[136:137], v[132:133], v[134:135]
	s_delay_alu instid0(VALU_DEP_1) | instskip(SKIP_3) | instid1(VALU_DEP_1)
	v_add_f64 v[50:51], v[50:51], -v[134:135]
	ds_load_2addr_b64 v[134:137], v150 offset0:42 offset1:43
	s_waitcnt lgkmcnt(0)
	v_mul_f64 v[120:121], v[136:137], v[122:123]
	v_fma_f64 v[120:121], v[134:135], v[132:133], -v[120:121]
	v_mul_f64 v[134:135], v[134:135], v[122:123]
	s_delay_alu instid0(VALU_DEP_2) | instskip(NEXT) | instid1(VALU_DEP_2)
	v_add_f64 v[44:45], v[44:45], -v[120:121]
	v_fma_f64 v[134:135], v[136:137], v[132:133], v[134:135]
	s_delay_alu instid0(VALU_DEP_1) | instskip(SKIP_3) | instid1(VALU_DEP_1)
	v_add_f64 v[46:47], v[46:47], -v[134:135]
	ds_load_2addr_b64 v[134:137], v150 offset0:44 offset1:45
	s_waitcnt lgkmcnt(0)
	v_mul_f64 v[120:121], v[136:137], v[122:123]
	v_fma_f64 v[120:121], v[134:135], v[132:133], -v[120:121]
	v_mul_f64 v[134:135], v[134:135], v[122:123]
	s_delay_alu instid0(VALU_DEP_2) | instskip(NEXT) | instid1(VALU_DEP_2)
	v_add_f64 v[40:41], v[40:41], -v[120:121]
	v_fma_f64 v[134:135], v[136:137], v[132:133], v[134:135]
	s_delay_alu instid0(VALU_DEP_1) | instskip(SKIP_3) | instid1(VALU_DEP_1)
	v_add_f64 v[42:43], v[42:43], -v[134:135]
	ds_load_2addr_b64 v[134:137], v150 offset0:46 offset1:47
	s_waitcnt lgkmcnt(0)
	v_mul_f64 v[120:121], v[136:137], v[122:123]
	v_fma_f64 v[120:121], v[134:135], v[132:133], -v[120:121]
	v_mul_f64 v[134:135], v[134:135], v[122:123]
	s_delay_alu instid0(VALU_DEP_2) | instskip(NEXT) | instid1(VALU_DEP_2)
	v_add_f64 v[36:37], v[36:37], -v[120:121]
	v_fma_f64 v[134:135], v[136:137], v[132:133], v[134:135]
	s_delay_alu instid0(VALU_DEP_1) | instskip(SKIP_3) | instid1(VALU_DEP_1)
	v_add_f64 v[38:39], v[38:39], -v[134:135]
	ds_load_2addr_b64 v[134:137], v150 offset0:48 offset1:49
	s_waitcnt lgkmcnt(0)
	v_mul_f64 v[120:121], v[136:137], v[122:123]
	v_fma_f64 v[120:121], v[134:135], v[132:133], -v[120:121]
	v_mul_f64 v[134:135], v[134:135], v[122:123]
	s_delay_alu instid0(VALU_DEP_2) | instskip(NEXT) | instid1(VALU_DEP_2)
	v_add_f64 v[32:33], v[32:33], -v[120:121]
	v_fma_f64 v[134:135], v[136:137], v[132:133], v[134:135]
	s_delay_alu instid0(VALU_DEP_1) | instskip(SKIP_3) | instid1(VALU_DEP_1)
	v_add_f64 v[34:35], v[34:35], -v[134:135]
	ds_load_2addr_b64 v[134:137], v150 offset0:50 offset1:51
	s_waitcnt lgkmcnt(0)
	v_mul_f64 v[120:121], v[136:137], v[122:123]
	v_fma_f64 v[120:121], v[134:135], v[132:133], -v[120:121]
	v_mul_f64 v[134:135], v[134:135], v[122:123]
	s_delay_alu instid0(VALU_DEP_2) | instskip(NEXT) | instid1(VALU_DEP_2)
	v_add_f64 v[28:29], v[28:29], -v[120:121]
	v_fma_f64 v[134:135], v[136:137], v[132:133], v[134:135]
	s_delay_alu instid0(VALU_DEP_1) | instskip(SKIP_3) | instid1(VALU_DEP_1)
	v_add_f64 v[30:31], v[30:31], -v[134:135]
	ds_load_2addr_b64 v[134:137], v150 offset0:52 offset1:53
	s_waitcnt lgkmcnt(0)
	v_mul_f64 v[120:121], v[136:137], v[122:123]
	v_fma_f64 v[120:121], v[134:135], v[132:133], -v[120:121]
	v_mul_f64 v[134:135], v[134:135], v[122:123]
	s_delay_alu instid0(VALU_DEP_2) | instskip(NEXT) | instid1(VALU_DEP_2)
	v_add_f64 v[24:25], v[24:25], -v[120:121]
	v_fma_f64 v[134:135], v[136:137], v[132:133], v[134:135]
	s_delay_alu instid0(VALU_DEP_1) | instskip(SKIP_3) | instid1(VALU_DEP_1)
	v_add_f64 v[26:27], v[26:27], -v[134:135]
	ds_load_2addr_b64 v[134:137], v150 offset0:54 offset1:55
	s_waitcnt lgkmcnt(0)
	v_mul_f64 v[120:121], v[136:137], v[122:123]
	v_fma_f64 v[120:121], v[134:135], v[132:133], -v[120:121]
	v_mul_f64 v[134:135], v[134:135], v[122:123]
	s_delay_alu instid0(VALU_DEP_2) | instskip(NEXT) | instid1(VALU_DEP_2)
	v_add_f64 v[20:21], v[20:21], -v[120:121]
	v_fma_f64 v[134:135], v[136:137], v[132:133], v[134:135]
	s_delay_alu instid0(VALU_DEP_1) | instskip(SKIP_3) | instid1(VALU_DEP_1)
	v_add_f64 v[22:23], v[22:23], -v[134:135]
	ds_load_2addr_b64 v[134:137], v150 offset0:56 offset1:57
	s_waitcnt lgkmcnt(0)
	v_mul_f64 v[120:121], v[136:137], v[122:123]
	v_fma_f64 v[120:121], v[134:135], v[132:133], -v[120:121]
	v_mul_f64 v[134:135], v[134:135], v[122:123]
	s_delay_alu instid0(VALU_DEP_2) | instskip(NEXT) | instid1(VALU_DEP_2)
	v_add_f64 v[16:17], v[16:17], -v[120:121]
	v_fma_f64 v[134:135], v[136:137], v[132:133], v[134:135]
	s_delay_alu instid0(VALU_DEP_1) | instskip(SKIP_3) | instid1(VALU_DEP_1)
	v_add_f64 v[18:19], v[18:19], -v[134:135]
	ds_load_2addr_b64 v[134:137], v150 offset0:58 offset1:59
	s_waitcnt lgkmcnt(0)
	v_mul_f64 v[120:121], v[136:137], v[122:123]
	v_fma_f64 v[120:121], v[134:135], v[132:133], -v[120:121]
	v_mul_f64 v[134:135], v[134:135], v[122:123]
	s_delay_alu instid0(VALU_DEP_2) | instskip(NEXT) | instid1(VALU_DEP_2)
	v_add_f64 v[12:13], v[12:13], -v[120:121]
	v_fma_f64 v[134:135], v[136:137], v[132:133], v[134:135]
	s_delay_alu instid0(VALU_DEP_1) | instskip(SKIP_3) | instid1(VALU_DEP_1)
	v_add_f64 v[14:15], v[14:15], -v[134:135]
	ds_load_2addr_b64 v[134:137], v150 offset0:60 offset1:61
	s_waitcnt lgkmcnt(0)
	v_mul_f64 v[120:121], v[136:137], v[122:123]
	v_fma_f64 v[120:121], v[134:135], v[132:133], -v[120:121]
	v_mul_f64 v[134:135], v[134:135], v[122:123]
	s_delay_alu instid0(VALU_DEP_2) | instskip(NEXT) | instid1(VALU_DEP_2)
	v_add_f64 v[8:9], v[8:9], -v[120:121]
	v_fma_f64 v[134:135], v[136:137], v[132:133], v[134:135]
	s_delay_alu instid0(VALU_DEP_1) | instskip(SKIP_3) | instid1(VALU_DEP_1)
	v_add_f64 v[10:11], v[10:11], -v[134:135]
	ds_load_2addr_b64 v[134:137], v150 offset0:62 offset1:63
	s_waitcnt lgkmcnt(0)
	v_mul_f64 v[120:121], v[136:137], v[122:123]
	v_fma_f64 v[120:121], v[134:135], v[132:133], -v[120:121]
	v_mul_f64 v[134:135], v[134:135], v[122:123]
	s_delay_alu instid0(VALU_DEP_2) | instskip(NEXT) | instid1(VALU_DEP_2)
	v_add_f64 v[4:5], v[4:5], -v[120:121]
	v_fma_f64 v[134:135], v[136:137], v[132:133], v[134:135]
	s_delay_alu instid0(VALU_DEP_1) | instskip(SKIP_3) | instid1(VALU_DEP_1)
	v_add_f64 v[6:7], v[6:7], -v[134:135]
	ds_load_2addr_b64 v[134:137], v150 offset0:64 offset1:65
	s_waitcnt lgkmcnt(0)
	v_mul_f64 v[120:121], v[136:137], v[122:123]
	v_fma_f64 v[120:121], v[134:135], v[132:133], -v[120:121]
	v_mul_f64 v[134:135], v[134:135], v[122:123]
	s_delay_alu instid0(VALU_DEP_2) | instskip(NEXT) | instid1(VALU_DEP_2)
	v_add_f64 v[0:1], v[0:1], -v[120:121]
	v_fma_f64 v[134:135], v[136:137], v[132:133], v[134:135]
	v_dual_mov_b32 v120, v132 :: v_dual_mov_b32 v121, v133
	s_delay_alu instid0(VALU_DEP_2)
	v_add_f64 v[2:3], v[2:3], -v[134:135]
.LBB65_28:
	s_or_b32 exec_lo, exec_lo, s3
	s_delay_alu instid0(SALU_CYCLE_1)
	s_mov_b32 s4, exec_lo
	s_waitcnt lgkmcnt(0)
	s_barrier
	buffer_gl0_inv
	v_cmpx_eq_u32_e32 3, v140
	s_cbranch_execz .LBB65_35
; %bb.29:
	ds_store_2addr_b64 v141, v[116:117], v[118:119] offset1:1
	ds_store_2addr_b64 v150, v[112:113], v[114:115] offset0:8 offset1:9
	ds_store_2addr_b64 v150, v[108:109], v[110:111] offset0:10 offset1:11
	;; [unrolled: 1-line block ×29, first 2 shown]
	ds_load_2addr_b64 v[132:135], v141 offset1:1
	s_waitcnt lgkmcnt(0)
	v_cmp_neq_f64_e32 vcc_lo, 0, v[132:133]
	v_cmp_neq_f64_e64 s3, 0, v[134:135]
	s_delay_alu instid0(VALU_DEP_1) | instskip(NEXT) | instid1(SALU_CYCLE_1)
	s_or_b32 s3, vcc_lo, s3
	s_and_b32 exec_lo, exec_lo, s3
	s_cbranch_execz .LBB65_35
; %bb.30:
	v_cmp_gt_f64_e32 vcc_lo, 0, v[132:133]
	v_cmp_gt_f64_e64 s3, 0, v[134:135]
	v_xor_b32_e32 v136, 0x80000000, v133
	v_xor_b32_e32 v138, 0x80000000, v135
                                        ; implicit-def: $vgpr144_vgpr145
	s_delay_alu instid0(VALU_DEP_2) | instskip(NEXT) | instid1(VALU_DEP_2)
	v_cndmask_b32_e32 v137, v133, v136, vcc_lo
	v_cndmask_b32_e64 v139, v135, v138, s3
	v_cndmask_b32_e32 v136, v132, v132, vcc_lo
	v_cndmask_b32_e64 v138, v134, v134, s3
	s_mov_b32 s3, exec_lo
	s_delay_alu instid0(VALU_DEP_1)
	v_cmpx_ngt_f64_e32 v[136:137], v[138:139]
	s_xor_b32 s3, exec_lo, s3
                                        ; implicit-def: $vgpr136_vgpr137_vgpr138_vgpr139
	s_cbranch_execz .LBB65_32
; %bb.31:
	v_div_scale_f64 v[136:137], null, v[134:135], v[134:135], v[132:133]
	v_div_scale_f64 v[148:149], vcc_lo, v[132:133], v[134:135], v[132:133]
	s_delay_alu instid0(VALU_DEP_2) | instskip(SKIP_2) | instid1(VALU_DEP_1)
	v_rcp_f64_e32 v[138:139], v[136:137]
	s_waitcnt_depctr 0xfff
	v_fma_f64 v[144:145], -v[136:137], v[138:139], 1.0
	v_fma_f64 v[138:139], v[138:139], v[144:145], v[138:139]
	s_delay_alu instid0(VALU_DEP_1) | instskip(NEXT) | instid1(VALU_DEP_1)
	v_fma_f64 v[144:145], -v[136:137], v[138:139], 1.0
	v_fma_f64 v[138:139], v[138:139], v[144:145], v[138:139]
	s_delay_alu instid0(VALU_DEP_1) | instskip(NEXT) | instid1(VALU_DEP_1)
	v_mul_f64 v[144:145], v[148:149], v[138:139]
	v_fma_f64 v[136:137], -v[136:137], v[144:145], v[148:149]
	s_delay_alu instid0(VALU_DEP_1) | instskip(NEXT) | instid1(VALU_DEP_1)
	v_div_fmas_f64 v[136:137], v[136:137], v[138:139], v[144:145]
	v_div_fixup_f64 v[136:137], v[136:137], v[134:135], v[132:133]
	s_delay_alu instid0(VALU_DEP_1) | instskip(NEXT) | instid1(VALU_DEP_1)
	v_fma_f64 v[132:133], v[132:133], v[136:137], v[134:135]
	v_div_scale_f64 v[134:135], null, v[132:133], v[132:133], 1.0
	s_delay_alu instid0(VALU_DEP_1) | instskip(SKIP_2) | instid1(VALU_DEP_1)
	v_rcp_f64_e32 v[138:139], v[134:135]
	s_waitcnt_depctr 0xfff
	v_fma_f64 v[144:145], -v[134:135], v[138:139], 1.0
	v_fma_f64 v[138:139], v[138:139], v[144:145], v[138:139]
	s_delay_alu instid0(VALU_DEP_1) | instskip(NEXT) | instid1(VALU_DEP_1)
	v_fma_f64 v[144:145], -v[134:135], v[138:139], 1.0
	v_fma_f64 v[138:139], v[138:139], v[144:145], v[138:139]
	v_div_scale_f64 v[144:145], vcc_lo, 1.0, v[132:133], 1.0
	s_delay_alu instid0(VALU_DEP_1) | instskip(NEXT) | instid1(VALU_DEP_1)
	v_mul_f64 v[148:149], v[144:145], v[138:139]
	v_fma_f64 v[134:135], -v[134:135], v[148:149], v[144:145]
	s_delay_alu instid0(VALU_DEP_1) | instskip(NEXT) | instid1(VALU_DEP_1)
	v_div_fmas_f64 v[134:135], v[134:135], v[138:139], v[148:149]
	v_div_fixup_f64 v[138:139], v[134:135], v[132:133], 1.0
                                        ; implicit-def: $vgpr132_vgpr133
	s_delay_alu instid0(VALU_DEP_1)
	v_mul_f64 v[144:145], v[136:137], v[138:139]
	v_xor_b32_e32 v139, 0x80000000, v139
.LBB65_32:
	s_and_not1_saveexec_b32 s3, s3
	s_cbranch_execz .LBB65_34
; %bb.33:
	v_div_scale_f64 v[136:137], null, v[132:133], v[132:133], v[134:135]
	v_div_scale_f64 v[148:149], vcc_lo, v[134:135], v[132:133], v[134:135]
	s_delay_alu instid0(VALU_DEP_2) | instskip(SKIP_2) | instid1(VALU_DEP_1)
	v_rcp_f64_e32 v[138:139], v[136:137]
	s_waitcnt_depctr 0xfff
	v_fma_f64 v[144:145], -v[136:137], v[138:139], 1.0
	v_fma_f64 v[138:139], v[138:139], v[144:145], v[138:139]
	s_delay_alu instid0(VALU_DEP_1) | instskip(NEXT) | instid1(VALU_DEP_1)
	v_fma_f64 v[144:145], -v[136:137], v[138:139], 1.0
	v_fma_f64 v[138:139], v[138:139], v[144:145], v[138:139]
	s_delay_alu instid0(VALU_DEP_1) | instskip(NEXT) | instid1(VALU_DEP_1)
	v_mul_f64 v[144:145], v[148:149], v[138:139]
	v_fma_f64 v[136:137], -v[136:137], v[144:145], v[148:149]
	s_delay_alu instid0(VALU_DEP_1) | instskip(NEXT) | instid1(VALU_DEP_1)
	v_div_fmas_f64 v[136:137], v[136:137], v[138:139], v[144:145]
	v_div_fixup_f64 v[136:137], v[136:137], v[132:133], v[134:135]
	s_delay_alu instid0(VALU_DEP_1) | instskip(NEXT) | instid1(VALU_DEP_1)
	v_fma_f64 v[132:133], v[134:135], v[136:137], v[132:133]
	v_div_scale_f64 v[134:135], null, v[132:133], v[132:133], 1.0
	s_delay_alu instid0(VALU_DEP_1) | instskip(SKIP_2) | instid1(VALU_DEP_1)
	v_rcp_f64_e32 v[138:139], v[134:135]
	s_waitcnt_depctr 0xfff
	v_fma_f64 v[144:145], -v[134:135], v[138:139], 1.0
	v_fma_f64 v[138:139], v[138:139], v[144:145], v[138:139]
	s_delay_alu instid0(VALU_DEP_1) | instskip(NEXT) | instid1(VALU_DEP_1)
	v_fma_f64 v[144:145], -v[134:135], v[138:139], 1.0
	v_fma_f64 v[138:139], v[138:139], v[144:145], v[138:139]
	v_div_scale_f64 v[144:145], vcc_lo, 1.0, v[132:133], 1.0
	s_delay_alu instid0(VALU_DEP_1) | instskip(NEXT) | instid1(VALU_DEP_1)
	v_mul_f64 v[148:149], v[144:145], v[138:139]
	v_fma_f64 v[134:135], -v[134:135], v[148:149], v[144:145]
	s_delay_alu instid0(VALU_DEP_1) | instskip(NEXT) | instid1(VALU_DEP_1)
	v_div_fmas_f64 v[134:135], v[134:135], v[138:139], v[148:149]
	v_div_fixup_f64 v[144:145], v[134:135], v[132:133], 1.0
	s_delay_alu instid0(VALU_DEP_1)
	v_mul_f64 v[138:139], v[136:137], -v[144:145]
.LBB65_34:
	s_or_b32 exec_lo, exec_lo, s3
	ds_store_2addr_b64 v141, v[144:145], v[138:139] offset1:1
.LBB65_35:
	s_or_b32 exec_lo, exec_lo, s4
	s_waitcnt lgkmcnt(0)
	s_barrier
	buffer_gl0_inv
	ds_load_2addr_b64 v[207:210], v141 offset1:1
	s_mov_b32 s3, exec_lo
	v_cmpx_lt_u32_e32 3, v140
	s_cbranch_execz .LBB65_37
; %bb.36:
	s_waitcnt lgkmcnt(0)
	v_mul_f64 v[132:133], v[209:210], v[118:119]
	v_mul_f64 v[118:119], v[207:208], v[118:119]
	ds_load_2addr_b64 v[134:137], v150 offset0:8 offset1:9
	v_fma_f64 v[132:133], v[207:208], v[116:117], -v[132:133]
	v_fma_f64 v[118:119], v[209:210], v[116:117], v[118:119]
	s_waitcnt lgkmcnt(0)
	s_delay_alu instid0(VALU_DEP_1) | instskip(NEXT) | instid1(VALU_DEP_1)
	v_mul_f64 v[116:117], v[136:137], v[118:119]
	v_fma_f64 v[116:117], v[134:135], v[132:133], -v[116:117]
	v_mul_f64 v[134:135], v[134:135], v[118:119]
	s_delay_alu instid0(VALU_DEP_2) | instskip(NEXT) | instid1(VALU_DEP_2)
	v_add_f64 v[112:113], v[112:113], -v[116:117]
	v_fma_f64 v[134:135], v[136:137], v[132:133], v[134:135]
	s_delay_alu instid0(VALU_DEP_1) | instskip(SKIP_3) | instid1(VALU_DEP_1)
	v_add_f64 v[114:115], v[114:115], -v[134:135]
	ds_load_2addr_b64 v[134:137], v150 offset0:10 offset1:11
	s_waitcnt lgkmcnt(0)
	v_mul_f64 v[116:117], v[136:137], v[118:119]
	v_fma_f64 v[116:117], v[134:135], v[132:133], -v[116:117]
	v_mul_f64 v[134:135], v[134:135], v[118:119]
	s_delay_alu instid0(VALU_DEP_2) | instskip(NEXT) | instid1(VALU_DEP_2)
	v_add_f64 v[108:109], v[108:109], -v[116:117]
	v_fma_f64 v[134:135], v[136:137], v[132:133], v[134:135]
	s_delay_alu instid0(VALU_DEP_1) | instskip(SKIP_3) | instid1(VALU_DEP_1)
	v_add_f64 v[110:111], v[110:111], -v[134:135]
	ds_load_2addr_b64 v[134:137], v150 offset0:12 offset1:13
	s_waitcnt lgkmcnt(0)
	;; [unrolled: 10-line block ×28, first 2 shown]
	v_mul_f64 v[116:117], v[136:137], v[118:119]
	v_fma_f64 v[116:117], v[134:135], v[132:133], -v[116:117]
	v_mul_f64 v[134:135], v[134:135], v[118:119]
	s_delay_alu instid0(VALU_DEP_2) | instskip(NEXT) | instid1(VALU_DEP_2)
	v_add_f64 v[0:1], v[0:1], -v[116:117]
	v_fma_f64 v[134:135], v[136:137], v[132:133], v[134:135]
	v_dual_mov_b32 v116, v132 :: v_dual_mov_b32 v117, v133
	s_delay_alu instid0(VALU_DEP_2)
	v_add_f64 v[2:3], v[2:3], -v[134:135]
.LBB65_37:
	s_or_b32 exec_lo, exec_lo, s3
	s_delay_alu instid0(SALU_CYCLE_1)
	s_mov_b32 s4, exec_lo
	s_waitcnt lgkmcnt(0)
	s_barrier
	buffer_gl0_inv
	v_cmpx_eq_u32_e32 4, v140
	s_cbranch_execz .LBB65_44
; %bb.38:
	ds_store_2addr_b64 v141, v[112:113], v[114:115] offset1:1
	ds_store_2addr_b64 v150, v[108:109], v[110:111] offset0:10 offset1:11
	ds_store_2addr_b64 v150, v[104:105], v[106:107] offset0:12 offset1:13
	;; [unrolled: 1-line block ×28, first 2 shown]
	ds_load_2addr_b64 v[132:135], v141 offset1:1
	s_waitcnt lgkmcnt(0)
	v_cmp_neq_f64_e32 vcc_lo, 0, v[132:133]
	v_cmp_neq_f64_e64 s3, 0, v[134:135]
	s_delay_alu instid0(VALU_DEP_1) | instskip(NEXT) | instid1(SALU_CYCLE_1)
	s_or_b32 s3, vcc_lo, s3
	s_and_b32 exec_lo, exec_lo, s3
	s_cbranch_execz .LBB65_44
; %bb.39:
	v_cmp_gt_f64_e32 vcc_lo, 0, v[132:133]
	v_cmp_gt_f64_e64 s3, 0, v[134:135]
	v_xor_b32_e32 v136, 0x80000000, v133
	v_xor_b32_e32 v138, 0x80000000, v135
                                        ; implicit-def: $vgpr144_vgpr145
	s_delay_alu instid0(VALU_DEP_2) | instskip(NEXT) | instid1(VALU_DEP_2)
	v_cndmask_b32_e32 v137, v133, v136, vcc_lo
	v_cndmask_b32_e64 v139, v135, v138, s3
	v_cndmask_b32_e32 v136, v132, v132, vcc_lo
	v_cndmask_b32_e64 v138, v134, v134, s3
	s_mov_b32 s3, exec_lo
	s_delay_alu instid0(VALU_DEP_1)
	v_cmpx_ngt_f64_e32 v[136:137], v[138:139]
	s_xor_b32 s3, exec_lo, s3
                                        ; implicit-def: $vgpr136_vgpr137_vgpr138_vgpr139
	s_cbranch_execz .LBB65_41
; %bb.40:
	v_div_scale_f64 v[136:137], null, v[134:135], v[134:135], v[132:133]
	v_div_scale_f64 v[148:149], vcc_lo, v[132:133], v[134:135], v[132:133]
	s_delay_alu instid0(VALU_DEP_2) | instskip(SKIP_2) | instid1(VALU_DEP_1)
	v_rcp_f64_e32 v[138:139], v[136:137]
	s_waitcnt_depctr 0xfff
	v_fma_f64 v[144:145], -v[136:137], v[138:139], 1.0
	v_fma_f64 v[138:139], v[138:139], v[144:145], v[138:139]
	s_delay_alu instid0(VALU_DEP_1) | instskip(NEXT) | instid1(VALU_DEP_1)
	v_fma_f64 v[144:145], -v[136:137], v[138:139], 1.0
	v_fma_f64 v[138:139], v[138:139], v[144:145], v[138:139]
	s_delay_alu instid0(VALU_DEP_1) | instskip(NEXT) | instid1(VALU_DEP_1)
	v_mul_f64 v[144:145], v[148:149], v[138:139]
	v_fma_f64 v[136:137], -v[136:137], v[144:145], v[148:149]
	s_delay_alu instid0(VALU_DEP_1) | instskip(NEXT) | instid1(VALU_DEP_1)
	v_div_fmas_f64 v[136:137], v[136:137], v[138:139], v[144:145]
	v_div_fixup_f64 v[136:137], v[136:137], v[134:135], v[132:133]
	s_delay_alu instid0(VALU_DEP_1) | instskip(NEXT) | instid1(VALU_DEP_1)
	v_fma_f64 v[132:133], v[132:133], v[136:137], v[134:135]
	v_div_scale_f64 v[134:135], null, v[132:133], v[132:133], 1.0
	s_delay_alu instid0(VALU_DEP_1) | instskip(SKIP_2) | instid1(VALU_DEP_1)
	v_rcp_f64_e32 v[138:139], v[134:135]
	s_waitcnt_depctr 0xfff
	v_fma_f64 v[144:145], -v[134:135], v[138:139], 1.0
	v_fma_f64 v[138:139], v[138:139], v[144:145], v[138:139]
	s_delay_alu instid0(VALU_DEP_1) | instskip(NEXT) | instid1(VALU_DEP_1)
	v_fma_f64 v[144:145], -v[134:135], v[138:139], 1.0
	v_fma_f64 v[138:139], v[138:139], v[144:145], v[138:139]
	v_div_scale_f64 v[144:145], vcc_lo, 1.0, v[132:133], 1.0
	s_delay_alu instid0(VALU_DEP_1) | instskip(NEXT) | instid1(VALU_DEP_1)
	v_mul_f64 v[148:149], v[144:145], v[138:139]
	v_fma_f64 v[134:135], -v[134:135], v[148:149], v[144:145]
	s_delay_alu instid0(VALU_DEP_1) | instskip(NEXT) | instid1(VALU_DEP_1)
	v_div_fmas_f64 v[134:135], v[134:135], v[138:139], v[148:149]
	v_div_fixup_f64 v[138:139], v[134:135], v[132:133], 1.0
                                        ; implicit-def: $vgpr132_vgpr133
	s_delay_alu instid0(VALU_DEP_1)
	v_mul_f64 v[144:145], v[136:137], v[138:139]
	v_xor_b32_e32 v139, 0x80000000, v139
.LBB65_41:
	s_and_not1_saveexec_b32 s3, s3
	s_cbranch_execz .LBB65_43
; %bb.42:
	v_div_scale_f64 v[136:137], null, v[132:133], v[132:133], v[134:135]
	v_div_scale_f64 v[148:149], vcc_lo, v[134:135], v[132:133], v[134:135]
	s_delay_alu instid0(VALU_DEP_2) | instskip(SKIP_2) | instid1(VALU_DEP_1)
	v_rcp_f64_e32 v[138:139], v[136:137]
	s_waitcnt_depctr 0xfff
	v_fma_f64 v[144:145], -v[136:137], v[138:139], 1.0
	v_fma_f64 v[138:139], v[138:139], v[144:145], v[138:139]
	s_delay_alu instid0(VALU_DEP_1) | instskip(NEXT) | instid1(VALU_DEP_1)
	v_fma_f64 v[144:145], -v[136:137], v[138:139], 1.0
	v_fma_f64 v[138:139], v[138:139], v[144:145], v[138:139]
	s_delay_alu instid0(VALU_DEP_1) | instskip(NEXT) | instid1(VALU_DEP_1)
	v_mul_f64 v[144:145], v[148:149], v[138:139]
	v_fma_f64 v[136:137], -v[136:137], v[144:145], v[148:149]
	s_delay_alu instid0(VALU_DEP_1) | instskip(NEXT) | instid1(VALU_DEP_1)
	v_div_fmas_f64 v[136:137], v[136:137], v[138:139], v[144:145]
	v_div_fixup_f64 v[136:137], v[136:137], v[132:133], v[134:135]
	s_delay_alu instid0(VALU_DEP_1) | instskip(NEXT) | instid1(VALU_DEP_1)
	v_fma_f64 v[132:133], v[134:135], v[136:137], v[132:133]
	v_div_scale_f64 v[134:135], null, v[132:133], v[132:133], 1.0
	s_delay_alu instid0(VALU_DEP_1) | instskip(SKIP_2) | instid1(VALU_DEP_1)
	v_rcp_f64_e32 v[138:139], v[134:135]
	s_waitcnt_depctr 0xfff
	v_fma_f64 v[144:145], -v[134:135], v[138:139], 1.0
	v_fma_f64 v[138:139], v[138:139], v[144:145], v[138:139]
	s_delay_alu instid0(VALU_DEP_1) | instskip(NEXT) | instid1(VALU_DEP_1)
	v_fma_f64 v[144:145], -v[134:135], v[138:139], 1.0
	v_fma_f64 v[138:139], v[138:139], v[144:145], v[138:139]
	v_div_scale_f64 v[144:145], vcc_lo, 1.0, v[132:133], 1.0
	s_delay_alu instid0(VALU_DEP_1) | instskip(NEXT) | instid1(VALU_DEP_1)
	v_mul_f64 v[148:149], v[144:145], v[138:139]
	v_fma_f64 v[134:135], -v[134:135], v[148:149], v[144:145]
	s_delay_alu instid0(VALU_DEP_1) | instskip(NEXT) | instid1(VALU_DEP_1)
	v_div_fmas_f64 v[134:135], v[134:135], v[138:139], v[148:149]
	v_div_fixup_f64 v[144:145], v[134:135], v[132:133], 1.0
	s_delay_alu instid0(VALU_DEP_1)
	v_mul_f64 v[138:139], v[136:137], -v[144:145]
.LBB65_43:
	s_or_b32 exec_lo, exec_lo, s3
	ds_store_2addr_b64 v141, v[144:145], v[138:139] offset1:1
.LBB65_44:
	s_or_b32 exec_lo, exec_lo, s4
	s_waitcnt lgkmcnt(0)
	s_barrier
	buffer_gl0_inv
	ds_load_2addr_b64 v[211:214], v141 offset1:1
	s_mov_b32 s3, exec_lo
	v_cmpx_lt_u32_e32 4, v140
	s_cbranch_execz .LBB65_46
; %bb.45:
	s_waitcnt lgkmcnt(0)
	v_mul_f64 v[132:133], v[213:214], v[114:115]
	v_mul_f64 v[114:115], v[211:212], v[114:115]
	ds_load_2addr_b64 v[134:137], v150 offset0:10 offset1:11
	v_fma_f64 v[132:133], v[211:212], v[112:113], -v[132:133]
	v_fma_f64 v[114:115], v[213:214], v[112:113], v[114:115]
	s_waitcnt lgkmcnt(0)
	s_delay_alu instid0(VALU_DEP_1) | instskip(NEXT) | instid1(VALU_DEP_1)
	v_mul_f64 v[112:113], v[136:137], v[114:115]
	v_fma_f64 v[112:113], v[134:135], v[132:133], -v[112:113]
	v_mul_f64 v[134:135], v[134:135], v[114:115]
	s_delay_alu instid0(VALU_DEP_2) | instskip(NEXT) | instid1(VALU_DEP_2)
	v_add_f64 v[108:109], v[108:109], -v[112:113]
	v_fma_f64 v[134:135], v[136:137], v[132:133], v[134:135]
	s_delay_alu instid0(VALU_DEP_1) | instskip(SKIP_3) | instid1(VALU_DEP_1)
	v_add_f64 v[110:111], v[110:111], -v[134:135]
	ds_load_2addr_b64 v[134:137], v150 offset0:12 offset1:13
	s_waitcnt lgkmcnt(0)
	v_mul_f64 v[112:113], v[136:137], v[114:115]
	v_fma_f64 v[112:113], v[134:135], v[132:133], -v[112:113]
	v_mul_f64 v[134:135], v[134:135], v[114:115]
	s_delay_alu instid0(VALU_DEP_2) | instskip(NEXT) | instid1(VALU_DEP_2)
	v_add_f64 v[104:105], v[104:105], -v[112:113]
	v_fma_f64 v[134:135], v[136:137], v[132:133], v[134:135]
	s_delay_alu instid0(VALU_DEP_1) | instskip(SKIP_3) | instid1(VALU_DEP_1)
	v_add_f64 v[106:107], v[106:107], -v[134:135]
	ds_load_2addr_b64 v[134:137], v150 offset0:14 offset1:15
	s_waitcnt lgkmcnt(0)
	;; [unrolled: 10-line block ×27, first 2 shown]
	v_mul_f64 v[112:113], v[136:137], v[114:115]
	v_fma_f64 v[112:113], v[134:135], v[132:133], -v[112:113]
	v_mul_f64 v[134:135], v[134:135], v[114:115]
	s_delay_alu instid0(VALU_DEP_2) | instskip(NEXT) | instid1(VALU_DEP_2)
	v_add_f64 v[0:1], v[0:1], -v[112:113]
	v_fma_f64 v[134:135], v[136:137], v[132:133], v[134:135]
	v_dual_mov_b32 v112, v132 :: v_dual_mov_b32 v113, v133
	s_delay_alu instid0(VALU_DEP_2)
	v_add_f64 v[2:3], v[2:3], -v[134:135]
.LBB65_46:
	s_or_b32 exec_lo, exec_lo, s3
	s_delay_alu instid0(SALU_CYCLE_1)
	s_mov_b32 s4, exec_lo
	s_waitcnt lgkmcnt(0)
	s_barrier
	buffer_gl0_inv
	v_cmpx_eq_u32_e32 5, v140
	s_cbranch_execz .LBB65_53
; %bb.47:
	ds_store_2addr_b64 v141, v[108:109], v[110:111] offset1:1
	ds_store_2addr_b64 v150, v[104:105], v[106:107] offset0:12 offset1:13
	ds_store_2addr_b64 v150, v[100:101], v[102:103] offset0:14 offset1:15
	;; [unrolled: 1-line block ×27, first 2 shown]
	ds_load_2addr_b64 v[132:135], v141 offset1:1
	s_waitcnt lgkmcnt(0)
	v_cmp_neq_f64_e32 vcc_lo, 0, v[132:133]
	v_cmp_neq_f64_e64 s3, 0, v[134:135]
	s_delay_alu instid0(VALU_DEP_1) | instskip(NEXT) | instid1(SALU_CYCLE_1)
	s_or_b32 s3, vcc_lo, s3
	s_and_b32 exec_lo, exec_lo, s3
	s_cbranch_execz .LBB65_53
; %bb.48:
	v_cmp_gt_f64_e32 vcc_lo, 0, v[132:133]
	v_cmp_gt_f64_e64 s3, 0, v[134:135]
	v_xor_b32_e32 v136, 0x80000000, v133
	v_xor_b32_e32 v138, 0x80000000, v135
                                        ; implicit-def: $vgpr144_vgpr145
	s_delay_alu instid0(VALU_DEP_2) | instskip(NEXT) | instid1(VALU_DEP_2)
	v_cndmask_b32_e32 v137, v133, v136, vcc_lo
	v_cndmask_b32_e64 v139, v135, v138, s3
	v_cndmask_b32_e32 v136, v132, v132, vcc_lo
	v_cndmask_b32_e64 v138, v134, v134, s3
	s_mov_b32 s3, exec_lo
	s_delay_alu instid0(VALU_DEP_1)
	v_cmpx_ngt_f64_e32 v[136:137], v[138:139]
	s_xor_b32 s3, exec_lo, s3
                                        ; implicit-def: $vgpr136_vgpr137_vgpr138_vgpr139
	s_cbranch_execz .LBB65_50
; %bb.49:
	v_div_scale_f64 v[136:137], null, v[134:135], v[134:135], v[132:133]
	v_div_scale_f64 v[148:149], vcc_lo, v[132:133], v[134:135], v[132:133]
	s_delay_alu instid0(VALU_DEP_2) | instskip(SKIP_2) | instid1(VALU_DEP_1)
	v_rcp_f64_e32 v[138:139], v[136:137]
	s_waitcnt_depctr 0xfff
	v_fma_f64 v[144:145], -v[136:137], v[138:139], 1.0
	v_fma_f64 v[138:139], v[138:139], v[144:145], v[138:139]
	s_delay_alu instid0(VALU_DEP_1) | instskip(NEXT) | instid1(VALU_DEP_1)
	v_fma_f64 v[144:145], -v[136:137], v[138:139], 1.0
	v_fma_f64 v[138:139], v[138:139], v[144:145], v[138:139]
	s_delay_alu instid0(VALU_DEP_1) | instskip(NEXT) | instid1(VALU_DEP_1)
	v_mul_f64 v[144:145], v[148:149], v[138:139]
	v_fma_f64 v[136:137], -v[136:137], v[144:145], v[148:149]
	s_delay_alu instid0(VALU_DEP_1) | instskip(NEXT) | instid1(VALU_DEP_1)
	v_div_fmas_f64 v[136:137], v[136:137], v[138:139], v[144:145]
	v_div_fixup_f64 v[136:137], v[136:137], v[134:135], v[132:133]
	s_delay_alu instid0(VALU_DEP_1) | instskip(NEXT) | instid1(VALU_DEP_1)
	v_fma_f64 v[132:133], v[132:133], v[136:137], v[134:135]
	v_div_scale_f64 v[134:135], null, v[132:133], v[132:133], 1.0
	s_delay_alu instid0(VALU_DEP_1) | instskip(SKIP_2) | instid1(VALU_DEP_1)
	v_rcp_f64_e32 v[138:139], v[134:135]
	s_waitcnt_depctr 0xfff
	v_fma_f64 v[144:145], -v[134:135], v[138:139], 1.0
	v_fma_f64 v[138:139], v[138:139], v[144:145], v[138:139]
	s_delay_alu instid0(VALU_DEP_1) | instskip(NEXT) | instid1(VALU_DEP_1)
	v_fma_f64 v[144:145], -v[134:135], v[138:139], 1.0
	v_fma_f64 v[138:139], v[138:139], v[144:145], v[138:139]
	v_div_scale_f64 v[144:145], vcc_lo, 1.0, v[132:133], 1.0
	s_delay_alu instid0(VALU_DEP_1) | instskip(NEXT) | instid1(VALU_DEP_1)
	v_mul_f64 v[148:149], v[144:145], v[138:139]
	v_fma_f64 v[134:135], -v[134:135], v[148:149], v[144:145]
	s_delay_alu instid0(VALU_DEP_1) | instskip(NEXT) | instid1(VALU_DEP_1)
	v_div_fmas_f64 v[134:135], v[134:135], v[138:139], v[148:149]
	v_div_fixup_f64 v[138:139], v[134:135], v[132:133], 1.0
                                        ; implicit-def: $vgpr132_vgpr133
	s_delay_alu instid0(VALU_DEP_1)
	v_mul_f64 v[144:145], v[136:137], v[138:139]
	v_xor_b32_e32 v139, 0x80000000, v139
.LBB65_50:
	s_and_not1_saveexec_b32 s3, s3
	s_cbranch_execz .LBB65_52
; %bb.51:
	v_div_scale_f64 v[136:137], null, v[132:133], v[132:133], v[134:135]
	v_div_scale_f64 v[148:149], vcc_lo, v[134:135], v[132:133], v[134:135]
	s_delay_alu instid0(VALU_DEP_2) | instskip(SKIP_2) | instid1(VALU_DEP_1)
	v_rcp_f64_e32 v[138:139], v[136:137]
	s_waitcnt_depctr 0xfff
	v_fma_f64 v[144:145], -v[136:137], v[138:139], 1.0
	v_fma_f64 v[138:139], v[138:139], v[144:145], v[138:139]
	s_delay_alu instid0(VALU_DEP_1) | instskip(NEXT) | instid1(VALU_DEP_1)
	v_fma_f64 v[144:145], -v[136:137], v[138:139], 1.0
	v_fma_f64 v[138:139], v[138:139], v[144:145], v[138:139]
	s_delay_alu instid0(VALU_DEP_1) | instskip(NEXT) | instid1(VALU_DEP_1)
	v_mul_f64 v[144:145], v[148:149], v[138:139]
	v_fma_f64 v[136:137], -v[136:137], v[144:145], v[148:149]
	s_delay_alu instid0(VALU_DEP_1) | instskip(NEXT) | instid1(VALU_DEP_1)
	v_div_fmas_f64 v[136:137], v[136:137], v[138:139], v[144:145]
	v_div_fixup_f64 v[136:137], v[136:137], v[132:133], v[134:135]
	s_delay_alu instid0(VALU_DEP_1) | instskip(NEXT) | instid1(VALU_DEP_1)
	v_fma_f64 v[132:133], v[134:135], v[136:137], v[132:133]
	v_div_scale_f64 v[134:135], null, v[132:133], v[132:133], 1.0
	s_delay_alu instid0(VALU_DEP_1) | instskip(SKIP_2) | instid1(VALU_DEP_1)
	v_rcp_f64_e32 v[138:139], v[134:135]
	s_waitcnt_depctr 0xfff
	v_fma_f64 v[144:145], -v[134:135], v[138:139], 1.0
	v_fma_f64 v[138:139], v[138:139], v[144:145], v[138:139]
	s_delay_alu instid0(VALU_DEP_1) | instskip(NEXT) | instid1(VALU_DEP_1)
	v_fma_f64 v[144:145], -v[134:135], v[138:139], 1.0
	v_fma_f64 v[138:139], v[138:139], v[144:145], v[138:139]
	v_div_scale_f64 v[144:145], vcc_lo, 1.0, v[132:133], 1.0
	s_delay_alu instid0(VALU_DEP_1) | instskip(NEXT) | instid1(VALU_DEP_1)
	v_mul_f64 v[148:149], v[144:145], v[138:139]
	v_fma_f64 v[134:135], -v[134:135], v[148:149], v[144:145]
	s_delay_alu instid0(VALU_DEP_1) | instskip(NEXT) | instid1(VALU_DEP_1)
	v_div_fmas_f64 v[134:135], v[134:135], v[138:139], v[148:149]
	v_div_fixup_f64 v[144:145], v[134:135], v[132:133], 1.0
	s_delay_alu instid0(VALU_DEP_1)
	v_mul_f64 v[138:139], v[136:137], -v[144:145]
.LBB65_52:
	s_or_b32 exec_lo, exec_lo, s3
	ds_store_2addr_b64 v141, v[144:145], v[138:139] offset1:1
.LBB65_53:
	s_or_b32 exec_lo, exec_lo, s4
	s_waitcnt lgkmcnt(0)
	s_barrier
	buffer_gl0_inv
	ds_load_2addr_b64 v[215:218], v141 offset1:1
	s_mov_b32 s3, exec_lo
	v_cmpx_lt_u32_e32 5, v140
	s_cbranch_execz .LBB65_55
; %bb.54:
	s_waitcnt lgkmcnt(0)
	v_mul_f64 v[132:133], v[217:218], v[110:111]
	v_mul_f64 v[110:111], v[215:216], v[110:111]
	ds_load_2addr_b64 v[134:137], v150 offset0:12 offset1:13
	v_fma_f64 v[132:133], v[215:216], v[108:109], -v[132:133]
	v_fma_f64 v[110:111], v[217:218], v[108:109], v[110:111]
	s_waitcnt lgkmcnt(0)
	s_delay_alu instid0(VALU_DEP_1) | instskip(NEXT) | instid1(VALU_DEP_1)
	v_mul_f64 v[108:109], v[136:137], v[110:111]
	v_fma_f64 v[108:109], v[134:135], v[132:133], -v[108:109]
	v_mul_f64 v[134:135], v[134:135], v[110:111]
	s_delay_alu instid0(VALU_DEP_2) | instskip(NEXT) | instid1(VALU_DEP_2)
	v_add_f64 v[104:105], v[104:105], -v[108:109]
	v_fma_f64 v[134:135], v[136:137], v[132:133], v[134:135]
	s_delay_alu instid0(VALU_DEP_1) | instskip(SKIP_3) | instid1(VALU_DEP_1)
	v_add_f64 v[106:107], v[106:107], -v[134:135]
	ds_load_2addr_b64 v[134:137], v150 offset0:14 offset1:15
	s_waitcnt lgkmcnt(0)
	v_mul_f64 v[108:109], v[136:137], v[110:111]
	v_fma_f64 v[108:109], v[134:135], v[132:133], -v[108:109]
	v_mul_f64 v[134:135], v[134:135], v[110:111]
	s_delay_alu instid0(VALU_DEP_2) | instskip(NEXT) | instid1(VALU_DEP_2)
	v_add_f64 v[100:101], v[100:101], -v[108:109]
	v_fma_f64 v[134:135], v[136:137], v[132:133], v[134:135]
	s_delay_alu instid0(VALU_DEP_1) | instskip(SKIP_3) | instid1(VALU_DEP_1)
	v_add_f64 v[102:103], v[102:103], -v[134:135]
	ds_load_2addr_b64 v[134:137], v150 offset0:16 offset1:17
	s_waitcnt lgkmcnt(0)
	;; [unrolled: 10-line block ×26, first 2 shown]
	v_mul_f64 v[108:109], v[136:137], v[110:111]
	v_fma_f64 v[108:109], v[134:135], v[132:133], -v[108:109]
	v_mul_f64 v[134:135], v[134:135], v[110:111]
	s_delay_alu instid0(VALU_DEP_2) | instskip(NEXT) | instid1(VALU_DEP_2)
	v_add_f64 v[0:1], v[0:1], -v[108:109]
	v_fma_f64 v[134:135], v[136:137], v[132:133], v[134:135]
	v_dual_mov_b32 v108, v132 :: v_dual_mov_b32 v109, v133
	s_delay_alu instid0(VALU_DEP_2)
	v_add_f64 v[2:3], v[2:3], -v[134:135]
.LBB65_55:
	s_or_b32 exec_lo, exec_lo, s3
	s_delay_alu instid0(SALU_CYCLE_1)
	s_mov_b32 s4, exec_lo
	s_waitcnt lgkmcnt(0)
	s_barrier
	buffer_gl0_inv
	v_cmpx_eq_u32_e32 6, v140
	s_cbranch_execz .LBB65_62
; %bb.56:
	ds_store_2addr_b64 v141, v[104:105], v[106:107] offset1:1
	ds_store_2addr_b64 v150, v[100:101], v[102:103] offset0:14 offset1:15
	ds_store_2addr_b64 v150, v[96:97], v[98:99] offset0:16 offset1:17
	;; [unrolled: 1-line block ×26, first 2 shown]
	ds_load_2addr_b64 v[132:135], v141 offset1:1
	s_waitcnt lgkmcnt(0)
	v_cmp_neq_f64_e32 vcc_lo, 0, v[132:133]
	v_cmp_neq_f64_e64 s3, 0, v[134:135]
	s_delay_alu instid0(VALU_DEP_1) | instskip(NEXT) | instid1(SALU_CYCLE_1)
	s_or_b32 s3, vcc_lo, s3
	s_and_b32 exec_lo, exec_lo, s3
	s_cbranch_execz .LBB65_62
; %bb.57:
	v_cmp_gt_f64_e32 vcc_lo, 0, v[132:133]
	v_cmp_gt_f64_e64 s3, 0, v[134:135]
	v_xor_b32_e32 v136, 0x80000000, v133
	v_xor_b32_e32 v138, 0x80000000, v135
                                        ; implicit-def: $vgpr144_vgpr145
	s_delay_alu instid0(VALU_DEP_2) | instskip(NEXT) | instid1(VALU_DEP_2)
	v_cndmask_b32_e32 v137, v133, v136, vcc_lo
	v_cndmask_b32_e64 v139, v135, v138, s3
	v_cndmask_b32_e32 v136, v132, v132, vcc_lo
	v_cndmask_b32_e64 v138, v134, v134, s3
	s_mov_b32 s3, exec_lo
	s_delay_alu instid0(VALU_DEP_1)
	v_cmpx_ngt_f64_e32 v[136:137], v[138:139]
	s_xor_b32 s3, exec_lo, s3
                                        ; implicit-def: $vgpr136_vgpr137_vgpr138_vgpr139
	s_cbranch_execz .LBB65_59
; %bb.58:
	v_div_scale_f64 v[136:137], null, v[134:135], v[134:135], v[132:133]
	v_div_scale_f64 v[148:149], vcc_lo, v[132:133], v[134:135], v[132:133]
	s_delay_alu instid0(VALU_DEP_2) | instskip(SKIP_2) | instid1(VALU_DEP_1)
	v_rcp_f64_e32 v[138:139], v[136:137]
	s_waitcnt_depctr 0xfff
	v_fma_f64 v[144:145], -v[136:137], v[138:139], 1.0
	v_fma_f64 v[138:139], v[138:139], v[144:145], v[138:139]
	s_delay_alu instid0(VALU_DEP_1) | instskip(NEXT) | instid1(VALU_DEP_1)
	v_fma_f64 v[144:145], -v[136:137], v[138:139], 1.0
	v_fma_f64 v[138:139], v[138:139], v[144:145], v[138:139]
	s_delay_alu instid0(VALU_DEP_1) | instskip(NEXT) | instid1(VALU_DEP_1)
	v_mul_f64 v[144:145], v[148:149], v[138:139]
	v_fma_f64 v[136:137], -v[136:137], v[144:145], v[148:149]
	s_delay_alu instid0(VALU_DEP_1) | instskip(NEXT) | instid1(VALU_DEP_1)
	v_div_fmas_f64 v[136:137], v[136:137], v[138:139], v[144:145]
	v_div_fixup_f64 v[136:137], v[136:137], v[134:135], v[132:133]
	s_delay_alu instid0(VALU_DEP_1) | instskip(NEXT) | instid1(VALU_DEP_1)
	v_fma_f64 v[132:133], v[132:133], v[136:137], v[134:135]
	v_div_scale_f64 v[134:135], null, v[132:133], v[132:133], 1.0
	s_delay_alu instid0(VALU_DEP_1) | instskip(SKIP_2) | instid1(VALU_DEP_1)
	v_rcp_f64_e32 v[138:139], v[134:135]
	s_waitcnt_depctr 0xfff
	v_fma_f64 v[144:145], -v[134:135], v[138:139], 1.0
	v_fma_f64 v[138:139], v[138:139], v[144:145], v[138:139]
	s_delay_alu instid0(VALU_DEP_1) | instskip(NEXT) | instid1(VALU_DEP_1)
	v_fma_f64 v[144:145], -v[134:135], v[138:139], 1.0
	v_fma_f64 v[138:139], v[138:139], v[144:145], v[138:139]
	v_div_scale_f64 v[144:145], vcc_lo, 1.0, v[132:133], 1.0
	s_delay_alu instid0(VALU_DEP_1) | instskip(NEXT) | instid1(VALU_DEP_1)
	v_mul_f64 v[148:149], v[144:145], v[138:139]
	v_fma_f64 v[134:135], -v[134:135], v[148:149], v[144:145]
	s_delay_alu instid0(VALU_DEP_1) | instskip(NEXT) | instid1(VALU_DEP_1)
	v_div_fmas_f64 v[134:135], v[134:135], v[138:139], v[148:149]
	v_div_fixup_f64 v[138:139], v[134:135], v[132:133], 1.0
                                        ; implicit-def: $vgpr132_vgpr133
	s_delay_alu instid0(VALU_DEP_1)
	v_mul_f64 v[144:145], v[136:137], v[138:139]
	v_xor_b32_e32 v139, 0x80000000, v139
.LBB65_59:
	s_and_not1_saveexec_b32 s3, s3
	s_cbranch_execz .LBB65_61
; %bb.60:
	v_div_scale_f64 v[136:137], null, v[132:133], v[132:133], v[134:135]
	v_div_scale_f64 v[148:149], vcc_lo, v[134:135], v[132:133], v[134:135]
	s_delay_alu instid0(VALU_DEP_2) | instskip(SKIP_2) | instid1(VALU_DEP_1)
	v_rcp_f64_e32 v[138:139], v[136:137]
	s_waitcnt_depctr 0xfff
	v_fma_f64 v[144:145], -v[136:137], v[138:139], 1.0
	v_fma_f64 v[138:139], v[138:139], v[144:145], v[138:139]
	s_delay_alu instid0(VALU_DEP_1) | instskip(NEXT) | instid1(VALU_DEP_1)
	v_fma_f64 v[144:145], -v[136:137], v[138:139], 1.0
	v_fma_f64 v[138:139], v[138:139], v[144:145], v[138:139]
	s_delay_alu instid0(VALU_DEP_1) | instskip(NEXT) | instid1(VALU_DEP_1)
	v_mul_f64 v[144:145], v[148:149], v[138:139]
	v_fma_f64 v[136:137], -v[136:137], v[144:145], v[148:149]
	s_delay_alu instid0(VALU_DEP_1) | instskip(NEXT) | instid1(VALU_DEP_1)
	v_div_fmas_f64 v[136:137], v[136:137], v[138:139], v[144:145]
	v_div_fixup_f64 v[136:137], v[136:137], v[132:133], v[134:135]
	s_delay_alu instid0(VALU_DEP_1) | instskip(NEXT) | instid1(VALU_DEP_1)
	v_fma_f64 v[132:133], v[134:135], v[136:137], v[132:133]
	v_div_scale_f64 v[134:135], null, v[132:133], v[132:133], 1.0
	s_delay_alu instid0(VALU_DEP_1) | instskip(SKIP_2) | instid1(VALU_DEP_1)
	v_rcp_f64_e32 v[138:139], v[134:135]
	s_waitcnt_depctr 0xfff
	v_fma_f64 v[144:145], -v[134:135], v[138:139], 1.0
	v_fma_f64 v[138:139], v[138:139], v[144:145], v[138:139]
	s_delay_alu instid0(VALU_DEP_1) | instskip(NEXT) | instid1(VALU_DEP_1)
	v_fma_f64 v[144:145], -v[134:135], v[138:139], 1.0
	v_fma_f64 v[138:139], v[138:139], v[144:145], v[138:139]
	v_div_scale_f64 v[144:145], vcc_lo, 1.0, v[132:133], 1.0
	s_delay_alu instid0(VALU_DEP_1) | instskip(NEXT) | instid1(VALU_DEP_1)
	v_mul_f64 v[148:149], v[144:145], v[138:139]
	v_fma_f64 v[134:135], -v[134:135], v[148:149], v[144:145]
	s_delay_alu instid0(VALU_DEP_1) | instskip(NEXT) | instid1(VALU_DEP_1)
	v_div_fmas_f64 v[134:135], v[134:135], v[138:139], v[148:149]
	v_div_fixup_f64 v[144:145], v[134:135], v[132:133], 1.0
	s_delay_alu instid0(VALU_DEP_1)
	v_mul_f64 v[138:139], v[136:137], -v[144:145]
.LBB65_61:
	s_or_b32 exec_lo, exec_lo, s3
	ds_store_2addr_b64 v141, v[144:145], v[138:139] offset1:1
.LBB65_62:
	s_or_b32 exec_lo, exec_lo, s4
	s_waitcnt lgkmcnt(0)
	s_barrier
	buffer_gl0_inv
	ds_load_2addr_b64 v[219:222], v141 offset1:1
	s_mov_b32 s3, exec_lo
	v_cmpx_lt_u32_e32 6, v140
	s_cbranch_execz .LBB65_64
; %bb.63:
	s_waitcnt lgkmcnt(0)
	v_mul_f64 v[132:133], v[221:222], v[106:107]
	v_mul_f64 v[106:107], v[219:220], v[106:107]
	ds_load_2addr_b64 v[134:137], v150 offset0:14 offset1:15
	v_fma_f64 v[132:133], v[219:220], v[104:105], -v[132:133]
	v_fma_f64 v[106:107], v[221:222], v[104:105], v[106:107]
	s_waitcnt lgkmcnt(0)
	s_delay_alu instid0(VALU_DEP_1) | instskip(NEXT) | instid1(VALU_DEP_1)
	v_mul_f64 v[104:105], v[136:137], v[106:107]
	v_fma_f64 v[104:105], v[134:135], v[132:133], -v[104:105]
	v_mul_f64 v[134:135], v[134:135], v[106:107]
	s_delay_alu instid0(VALU_DEP_2) | instskip(NEXT) | instid1(VALU_DEP_2)
	v_add_f64 v[100:101], v[100:101], -v[104:105]
	v_fma_f64 v[134:135], v[136:137], v[132:133], v[134:135]
	s_delay_alu instid0(VALU_DEP_1) | instskip(SKIP_3) | instid1(VALU_DEP_1)
	v_add_f64 v[102:103], v[102:103], -v[134:135]
	ds_load_2addr_b64 v[134:137], v150 offset0:16 offset1:17
	s_waitcnt lgkmcnt(0)
	v_mul_f64 v[104:105], v[136:137], v[106:107]
	v_fma_f64 v[104:105], v[134:135], v[132:133], -v[104:105]
	v_mul_f64 v[134:135], v[134:135], v[106:107]
	s_delay_alu instid0(VALU_DEP_2) | instskip(NEXT) | instid1(VALU_DEP_2)
	v_add_f64 v[96:97], v[96:97], -v[104:105]
	v_fma_f64 v[134:135], v[136:137], v[132:133], v[134:135]
	s_delay_alu instid0(VALU_DEP_1) | instskip(SKIP_3) | instid1(VALU_DEP_1)
	v_add_f64 v[98:99], v[98:99], -v[134:135]
	ds_load_2addr_b64 v[134:137], v150 offset0:18 offset1:19
	s_waitcnt lgkmcnt(0)
	;; [unrolled: 10-line block ×25, first 2 shown]
	v_mul_f64 v[104:105], v[136:137], v[106:107]
	v_fma_f64 v[104:105], v[134:135], v[132:133], -v[104:105]
	v_mul_f64 v[134:135], v[134:135], v[106:107]
	s_delay_alu instid0(VALU_DEP_2) | instskip(NEXT) | instid1(VALU_DEP_2)
	v_add_f64 v[0:1], v[0:1], -v[104:105]
	v_fma_f64 v[134:135], v[136:137], v[132:133], v[134:135]
	v_dual_mov_b32 v104, v132 :: v_dual_mov_b32 v105, v133
	s_delay_alu instid0(VALU_DEP_2)
	v_add_f64 v[2:3], v[2:3], -v[134:135]
.LBB65_64:
	s_or_b32 exec_lo, exec_lo, s3
	s_delay_alu instid0(SALU_CYCLE_1)
	s_mov_b32 s4, exec_lo
	s_waitcnt lgkmcnt(0)
	s_barrier
	buffer_gl0_inv
	v_cmpx_eq_u32_e32 7, v140
	s_cbranch_execz .LBB65_71
; %bb.65:
	ds_store_2addr_b64 v141, v[100:101], v[102:103] offset1:1
	ds_store_2addr_b64 v150, v[96:97], v[98:99] offset0:16 offset1:17
	ds_store_2addr_b64 v150, v[92:93], v[94:95] offset0:18 offset1:19
	;; [unrolled: 1-line block ×25, first 2 shown]
	ds_load_2addr_b64 v[132:135], v141 offset1:1
	s_waitcnt lgkmcnt(0)
	v_cmp_neq_f64_e32 vcc_lo, 0, v[132:133]
	v_cmp_neq_f64_e64 s3, 0, v[134:135]
	s_delay_alu instid0(VALU_DEP_1) | instskip(NEXT) | instid1(SALU_CYCLE_1)
	s_or_b32 s3, vcc_lo, s3
	s_and_b32 exec_lo, exec_lo, s3
	s_cbranch_execz .LBB65_71
; %bb.66:
	v_cmp_gt_f64_e32 vcc_lo, 0, v[132:133]
	v_cmp_gt_f64_e64 s3, 0, v[134:135]
	v_xor_b32_e32 v136, 0x80000000, v133
	v_xor_b32_e32 v138, 0x80000000, v135
                                        ; implicit-def: $vgpr144_vgpr145
	s_delay_alu instid0(VALU_DEP_2) | instskip(NEXT) | instid1(VALU_DEP_2)
	v_cndmask_b32_e32 v137, v133, v136, vcc_lo
	v_cndmask_b32_e64 v139, v135, v138, s3
	v_cndmask_b32_e32 v136, v132, v132, vcc_lo
	v_cndmask_b32_e64 v138, v134, v134, s3
	s_mov_b32 s3, exec_lo
	s_delay_alu instid0(VALU_DEP_1)
	v_cmpx_ngt_f64_e32 v[136:137], v[138:139]
	s_xor_b32 s3, exec_lo, s3
                                        ; implicit-def: $vgpr136_vgpr137_vgpr138_vgpr139
	s_cbranch_execz .LBB65_68
; %bb.67:
	v_div_scale_f64 v[136:137], null, v[134:135], v[134:135], v[132:133]
	v_div_scale_f64 v[148:149], vcc_lo, v[132:133], v[134:135], v[132:133]
	s_delay_alu instid0(VALU_DEP_2) | instskip(SKIP_2) | instid1(VALU_DEP_1)
	v_rcp_f64_e32 v[138:139], v[136:137]
	s_waitcnt_depctr 0xfff
	v_fma_f64 v[144:145], -v[136:137], v[138:139], 1.0
	v_fma_f64 v[138:139], v[138:139], v[144:145], v[138:139]
	s_delay_alu instid0(VALU_DEP_1) | instskip(NEXT) | instid1(VALU_DEP_1)
	v_fma_f64 v[144:145], -v[136:137], v[138:139], 1.0
	v_fma_f64 v[138:139], v[138:139], v[144:145], v[138:139]
	s_delay_alu instid0(VALU_DEP_1) | instskip(NEXT) | instid1(VALU_DEP_1)
	v_mul_f64 v[144:145], v[148:149], v[138:139]
	v_fma_f64 v[136:137], -v[136:137], v[144:145], v[148:149]
	s_delay_alu instid0(VALU_DEP_1) | instskip(NEXT) | instid1(VALU_DEP_1)
	v_div_fmas_f64 v[136:137], v[136:137], v[138:139], v[144:145]
	v_div_fixup_f64 v[136:137], v[136:137], v[134:135], v[132:133]
	s_delay_alu instid0(VALU_DEP_1) | instskip(NEXT) | instid1(VALU_DEP_1)
	v_fma_f64 v[132:133], v[132:133], v[136:137], v[134:135]
	v_div_scale_f64 v[134:135], null, v[132:133], v[132:133], 1.0
	s_delay_alu instid0(VALU_DEP_1) | instskip(SKIP_2) | instid1(VALU_DEP_1)
	v_rcp_f64_e32 v[138:139], v[134:135]
	s_waitcnt_depctr 0xfff
	v_fma_f64 v[144:145], -v[134:135], v[138:139], 1.0
	v_fma_f64 v[138:139], v[138:139], v[144:145], v[138:139]
	s_delay_alu instid0(VALU_DEP_1) | instskip(NEXT) | instid1(VALU_DEP_1)
	v_fma_f64 v[144:145], -v[134:135], v[138:139], 1.0
	v_fma_f64 v[138:139], v[138:139], v[144:145], v[138:139]
	v_div_scale_f64 v[144:145], vcc_lo, 1.0, v[132:133], 1.0
	s_delay_alu instid0(VALU_DEP_1) | instskip(NEXT) | instid1(VALU_DEP_1)
	v_mul_f64 v[148:149], v[144:145], v[138:139]
	v_fma_f64 v[134:135], -v[134:135], v[148:149], v[144:145]
	s_delay_alu instid0(VALU_DEP_1) | instskip(NEXT) | instid1(VALU_DEP_1)
	v_div_fmas_f64 v[134:135], v[134:135], v[138:139], v[148:149]
	v_div_fixup_f64 v[138:139], v[134:135], v[132:133], 1.0
                                        ; implicit-def: $vgpr132_vgpr133
	s_delay_alu instid0(VALU_DEP_1)
	v_mul_f64 v[144:145], v[136:137], v[138:139]
	v_xor_b32_e32 v139, 0x80000000, v139
.LBB65_68:
	s_and_not1_saveexec_b32 s3, s3
	s_cbranch_execz .LBB65_70
; %bb.69:
	v_div_scale_f64 v[136:137], null, v[132:133], v[132:133], v[134:135]
	v_div_scale_f64 v[148:149], vcc_lo, v[134:135], v[132:133], v[134:135]
	s_delay_alu instid0(VALU_DEP_2) | instskip(SKIP_2) | instid1(VALU_DEP_1)
	v_rcp_f64_e32 v[138:139], v[136:137]
	s_waitcnt_depctr 0xfff
	v_fma_f64 v[144:145], -v[136:137], v[138:139], 1.0
	v_fma_f64 v[138:139], v[138:139], v[144:145], v[138:139]
	s_delay_alu instid0(VALU_DEP_1) | instskip(NEXT) | instid1(VALU_DEP_1)
	v_fma_f64 v[144:145], -v[136:137], v[138:139], 1.0
	v_fma_f64 v[138:139], v[138:139], v[144:145], v[138:139]
	s_delay_alu instid0(VALU_DEP_1) | instskip(NEXT) | instid1(VALU_DEP_1)
	v_mul_f64 v[144:145], v[148:149], v[138:139]
	v_fma_f64 v[136:137], -v[136:137], v[144:145], v[148:149]
	s_delay_alu instid0(VALU_DEP_1) | instskip(NEXT) | instid1(VALU_DEP_1)
	v_div_fmas_f64 v[136:137], v[136:137], v[138:139], v[144:145]
	v_div_fixup_f64 v[136:137], v[136:137], v[132:133], v[134:135]
	s_delay_alu instid0(VALU_DEP_1) | instskip(NEXT) | instid1(VALU_DEP_1)
	v_fma_f64 v[132:133], v[134:135], v[136:137], v[132:133]
	v_div_scale_f64 v[134:135], null, v[132:133], v[132:133], 1.0
	s_delay_alu instid0(VALU_DEP_1) | instskip(SKIP_2) | instid1(VALU_DEP_1)
	v_rcp_f64_e32 v[138:139], v[134:135]
	s_waitcnt_depctr 0xfff
	v_fma_f64 v[144:145], -v[134:135], v[138:139], 1.0
	v_fma_f64 v[138:139], v[138:139], v[144:145], v[138:139]
	s_delay_alu instid0(VALU_DEP_1) | instskip(NEXT) | instid1(VALU_DEP_1)
	v_fma_f64 v[144:145], -v[134:135], v[138:139], 1.0
	v_fma_f64 v[138:139], v[138:139], v[144:145], v[138:139]
	v_div_scale_f64 v[144:145], vcc_lo, 1.0, v[132:133], 1.0
	s_delay_alu instid0(VALU_DEP_1) | instskip(NEXT) | instid1(VALU_DEP_1)
	v_mul_f64 v[148:149], v[144:145], v[138:139]
	v_fma_f64 v[134:135], -v[134:135], v[148:149], v[144:145]
	s_delay_alu instid0(VALU_DEP_1) | instskip(NEXT) | instid1(VALU_DEP_1)
	v_div_fmas_f64 v[134:135], v[134:135], v[138:139], v[148:149]
	v_div_fixup_f64 v[144:145], v[134:135], v[132:133], 1.0
	s_delay_alu instid0(VALU_DEP_1)
	v_mul_f64 v[138:139], v[136:137], -v[144:145]
.LBB65_70:
	s_or_b32 exec_lo, exec_lo, s3
	ds_store_2addr_b64 v141, v[144:145], v[138:139] offset1:1
.LBB65_71:
	s_or_b32 exec_lo, exec_lo, s4
	s_waitcnt lgkmcnt(0)
	s_barrier
	buffer_gl0_inv
	ds_load_2addr_b64 v[223:226], v141 offset1:1
	s_mov_b32 s3, exec_lo
	v_cmpx_lt_u32_e32 7, v140
	s_cbranch_execz .LBB65_73
; %bb.72:
	s_waitcnt lgkmcnt(0)
	v_mul_f64 v[132:133], v[225:226], v[102:103]
	v_mul_f64 v[102:103], v[223:224], v[102:103]
	ds_load_2addr_b64 v[134:137], v150 offset0:16 offset1:17
	v_fma_f64 v[132:133], v[223:224], v[100:101], -v[132:133]
	v_fma_f64 v[102:103], v[225:226], v[100:101], v[102:103]
	s_waitcnt lgkmcnt(0)
	s_delay_alu instid0(VALU_DEP_1) | instskip(NEXT) | instid1(VALU_DEP_1)
	v_mul_f64 v[100:101], v[136:137], v[102:103]
	v_fma_f64 v[100:101], v[134:135], v[132:133], -v[100:101]
	v_mul_f64 v[134:135], v[134:135], v[102:103]
	s_delay_alu instid0(VALU_DEP_2) | instskip(NEXT) | instid1(VALU_DEP_2)
	v_add_f64 v[96:97], v[96:97], -v[100:101]
	v_fma_f64 v[134:135], v[136:137], v[132:133], v[134:135]
	s_delay_alu instid0(VALU_DEP_1) | instskip(SKIP_3) | instid1(VALU_DEP_1)
	v_add_f64 v[98:99], v[98:99], -v[134:135]
	ds_load_2addr_b64 v[134:137], v150 offset0:18 offset1:19
	s_waitcnt lgkmcnt(0)
	v_mul_f64 v[100:101], v[136:137], v[102:103]
	v_fma_f64 v[100:101], v[134:135], v[132:133], -v[100:101]
	v_mul_f64 v[134:135], v[134:135], v[102:103]
	s_delay_alu instid0(VALU_DEP_2) | instskip(NEXT) | instid1(VALU_DEP_2)
	v_add_f64 v[92:93], v[92:93], -v[100:101]
	v_fma_f64 v[134:135], v[136:137], v[132:133], v[134:135]
	s_delay_alu instid0(VALU_DEP_1) | instskip(SKIP_3) | instid1(VALU_DEP_1)
	v_add_f64 v[94:95], v[94:95], -v[134:135]
	ds_load_2addr_b64 v[134:137], v150 offset0:20 offset1:21
	s_waitcnt lgkmcnt(0)
	;; [unrolled: 10-line block ×24, first 2 shown]
	v_mul_f64 v[100:101], v[136:137], v[102:103]
	v_fma_f64 v[100:101], v[134:135], v[132:133], -v[100:101]
	v_mul_f64 v[134:135], v[134:135], v[102:103]
	s_delay_alu instid0(VALU_DEP_2) | instskip(NEXT) | instid1(VALU_DEP_2)
	v_add_f64 v[0:1], v[0:1], -v[100:101]
	v_fma_f64 v[134:135], v[136:137], v[132:133], v[134:135]
	v_dual_mov_b32 v100, v132 :: v_dual_mov_b32 v101, v133
	s_delay_alu instid0(VALU_DEP_2)
	v_add_f64 v[2:3], v[2:3], -v[134:135]
.LBB65_73:
	s_or_b32 exec_lo, exec_lo, s3
	s_delay_alu instid0(SALU_CYCLE_1)
	s_mov_b32 s4, exec_lo
	s_waitcnt lgkmcnt(0)
	s_barrier
	buffer_gl0_inv
	v_cmpx_eq_u32_e32 8, v140
	s_cbranch_execz .LBB65_80
; %bb.74:
	ds_store_2addr_b64 v141, v[96:97], v[98:99] offset1:1
	ds_store_2addr_b64 v150, v[92:93], v[94:95] offset0:18 offset1:19
	ds_store_2addr_b64 v150, v[88:89], v[90:91] offset0:20 offset1:21
	;; [unrolled: 1-line block ×24, first 2 shown]
	ds_load_2addr_b64 v[132:135], v141 offset1:1
	s_waitcnt lgkmcnt(0)
	v_cmp_neq_f64_e32 vcc_lo, 0, v[132:133]
	v_cmp_neq_f64_e64 s3, 0, v[134:135]
	s_delay_alu instid0(VALU_DEP_1) | instskip(NEXT) | instid1(SALU_CYCLE_1)
	s_or_b32 s3, vcc_lo, s3
	s_and_b32 exec_lo, exec_lo, s3
	s_cbranch_execz .LBB65_80
; %bb.75:
	v_cmp_gt_f64_e32 vcc_lo, 0, v[132:133]
	v_cmp_gt_f64_e64 s3, 0, v[134:135]
	v_xor_b32_e32 v136, 0x80000000, v133
	v_xor_b32_e32 v138, 0x80000000, v135
                                        ; implicit-def: $vgpr144_vgpr145
	s_delay_alu instid0(VALU_DEP_2) | instskip(NEXT) | instid1(VALU_DEP_2)
	v_cndmask_b32_e32 v137, v133, v136, vcc_lo
	v_cndmask_b32_e64 v139, v135, v138, s3
	v_cndmask_b32_e32 v136, v132, v132, vcc_lo
	v_cndmask_b32_e64 v138, v134, v134, s3
	s_mov_b32 s3, exec_lo
	s_delay_alu instid0(VALU_DEP_1)
	v_cmpx_ngt_f64_e32 v[136:137], v[138:139]
	s_xor_b32 s3, exec_lo, s3
                                        ; implicit-def: $vgpr136_vgpr137_vgpr138_vgpr139
	s_cbranch_execz .LBB65_77
; %bb.76:
	v_div_scale_f64 v[136:137], null, v[134:135], v[134:135], v[132:133]
	v_div_scale_f64 v[148:149], vcc_lo, v[132:133], v[134:135], v[132:133]
	s_delay_alu instid0(VALU_DEP_2) | instskip(SKIP_2) | instid1(VALU_DEP_1)
	v_rcp_f64_e32 v[138:139], v[136:137]
	s_waitcnt_depctr 0xfff
	v_fma_f64 v[144:145], -v[136:137], v[138:139], 1.0
	v_fma_f64 v[138:139], v[138:139], v[144:145], v[138:139]
	s_delay_alu instid0(VALU_DEP_1) | instskip(NEXT) | instid1(VALU_DEP_1)
	v_fma_f64 v[144:145], -v[136:137], v[138:139], 1.0
	v_fma_f64 v[138:139], v[138:139], v[144:145], v[138:139]
	s_delay_alu instid0(VALU_DEP_1) | instskip(NEXT) | instid1(VALU_DEP_1)
	v_mul_f64 v[144:145], v[148:149], v[138:139]
	v_fma_f64 v[136:137], -v[136:137], v[144:145], v[148:149]
	s_delay_alu instid0(VALU_DEP_1) | instskip(NEXT) | instid1(VALU_DEP_1)
	v_div_fmas_f64 v[136:137], v[136:137], v[138:139], v[144:145]
	v_div_fixup_f64 v[136:137], v[136:137], v[134:135], v[132:133]
	s_delay_alu instid0(VALU_DEP_1) | instskip(NEXT) | instid1(VALU_DEP_1)
	v_fma_f64 v[132:133], v[132:133], v[136:137], v[134:135]
	v_div_scale_f64 v[134:135], null, v[132:133], v[132:133], 1.0
	s_delay_alu instid0(VALU_DEP_1) | instskip(SKIP_2) | instid1(VALU_DEP_1)
	v_rcp_f64_e32 v[138:139], v[134:135]
	s_waitcnt_depctr 0xfff
	v_fma_f64 v[144:145], -v[134:135], v[138:139], 1.0
	v_fma_f64 v[138:139], v[138:139], v[144:145], v[138:139]
	s_delay_alu instid0(VALU_DEP_1) | instskip(NEXT) | instid1(VALU_DEP_1)
	v_fma_f64 v[144:145], -v[134:135], v[138:139], 1.0
	v_fma_f64 v[138:139], v[138:139], v[144:145], v[138:139]
	v_div_scale_f64 v[144:145], vcc_lo, 1.0, v[132:133], 1.0
	s_delay_alu instid0(VALU_DEP_1) | instskip(NEXT) | instid1(VALU_DEP_1)
	v_mul_f64 v[148:149], v[144:145], v[138:139]
	v_fma_f64 v[134:135], -v[134:135], v[148:149], v[144:145]
	s_delay_alu instid0(VALU_DEP_1) | instskip(NEXT) | instid1(VALU_DEP_1)
	v_div_fmas_f64 v[134:135], v[134:135], v[138:139], v[148:149]
	v_div_fixup_f64 v[138:139], v[134:135], v[132:133], 1.0
                                        ; implicit-def: $vgpr132_vgpr133
	s_delay_alu instid0(VALU_DEP_1)
	v_mul_f64 v[144:145], v[136:137], v[138:139]
	v_xor_b32_e32 v139, 0x80000000, v139
.LBB65_77:
	s_and_not1_saveexec_b32 s3, s3
	s_cbranch_execz .LBB65_79
; %bb.78:
	v_div_scale_f64 v[136:137], null, v[132:133], v[132:133], v[134:135]
	v_div_scale_f64 v[148:149], vcc_lo, v[134:135], v[132:133], v[134:135]
	s_delay_alu instid0(VALU_DEP_2) | instskip(SKIP_2) | instid1(VALU_DEP_1)
	v_rcp_f64_e32 v[138:139], v[136:137]
	s_waitcnt_depctr 0xfff
	v_fma_f64 v[144:145], -v[136:137], v[138:139], 1.0
	v_fma_f64 v[138:139], v[138:139], v[144:145], v[138:139]
	s_delay_alu instid0(VALU_DEP_1) | instskip(NEXT) | instid1(VALU_DEP_1)
	v_fma_f64 v[144:145], -v[136:137], v[138:139], 1.0
	v_fma_f64 v[138:139], v[138:139], v[144:145], v[138:139]
	s_delay_alu instid0(VALU_DEP_1) | instskip(NEXT) | instid1(VALU_DEP_1)
	v_mul_f64 v[144:145], v[148:149], v[138:139]
	v_fma_f64 v[136:137], -v[136:137], v[144:145], v[148:149]
	s_delay_alu instid0(VALU_DEP_1) | instskip(NEXT) | instid1(VALU_DEP_1)
	v_div_fmas_f64 v[136:137], v[136:137], v[138:139], v[144:145]
	v_div_fixup_f64 v[136:137], v[136:137], v[132:133], v[134:135]
	s_delay_alu instid0(VALU_DEP_1) | instskip(NEXT) | instid1(VALU_DEP_1)
	v_fma_f64 v[132:133], v[134:135], v[136:137], v[132:133]
	v_div_scale_f64 v[134:135], null, v[132:133], v[132:133], 1.0
	s_delay_alu instid0(VALU_DEP_1) | instskip(SKIP_2) | instid1(VALU_DEP_1)
	v_rcp_f64_e32 v[138:139], v[134:135]
	s_waitcnt_depctr 0xfff
	v_fma_f64 v[144:145], -v[134:135], v[138:139], 1.0
	v_fma_f64 v[138:139], v[138:139], v[144:145], v[138:139]
	s_delay_alu instid0(VALU_DEP_1) | instskip(NEXT) | instid1(VALU_DEP_1)
	v_fma_f64 v[144:145], -v[134:135], v[138:139], 1.0
	v_fma_f64 v[138:139], v[138:139], v[144:145], v[138:139]
	v_div_scale_f64 v[144:145], vcc_lo, 1.0, v[132:133], 1.0
	s_delay_alu instid0(VALU_DEP_1) | instskip(NEXT) | instid1(VALU_DEP_1)
	v_mul_f64 v[148:149], v[144:145], v[138:139]
	v_fma_f64 v[134:135], -v[134:135], v[148:149], v[144:145]
	s_delay_alu instid0(VALU_DEP_1) | instskip(NEXT) | instid1(VALU_DEP_1)
	v_div_fmas_f64 v[134:135], v[134:135], v[138:139], v[148:149]
	v_div_fixup_f64 v[144:145], v[134:135], v[132:133], 1.0
	s_delay_alu instid0(VALU_DEP_1)
	v_mul_f64 v[138:139], v[136:137], -v[144:145]
.LBB65_79:
	s_or_b32 exec_lo, exec_lo, s3
	ds_store_2addr_b64 v141, v[144:145], v[138:139] offset1:1
.LBB65_80:
	s_or_b32 exec_lo, exec_lo, s4
	s_waitcnt lgkmcnt(0)
	s_barrier
	buffer_gl0_inv
	ds_load_2addr_b64 v[128:131], v141 offset1:1
	s_mov_b32 s3, exec_lo
	v_cmpx_lt_u32_e32 8, v140
	s_cbranch_execz .LBB65_82
; %bb.81:
	s_waitcnt lgkmcnt(0)
	v_mul_f64 v[132:133], v[130:131], v[98:99]
	v_mul_f64 v[98:99], v[128:129], v[98:99]
	ds_load_2addr_b64 v[134:137], v150 offset0:18 offset1:19
	v_fma_f64 v[132:133], v[128:129], v[96:97], -v[132:133]
	v_fma_f64 v[98:99], v[130:131], v[96:97], v[98:99]
	s_waitcnt lgkmcnt(0)
	s_delay_alu instid0(VALU_DEP_1) | instskip(NEXT) | instid1(VALU_DEP_1)
	v_mul_f64 v[96:97], v[136:137], v[98:99]
	v_fma_f64 v[96:97], v[134:135], v[132:133], -v[96:97]
	v_mul_f64 v[134:135], v[134:135], v[98:99]
	s_delay_alu instid0(VALU_DEP_2) | instskip(NEXT) | instid1(VALU_DEP_2)
	v_add_f64 v[92:93], v[92:93], -v[96:97]
	v_fma_f64 v[134:135], v[136:137], v[132:133], v[134:135]
	s_delay_alu instid0(VALU_DEP_1) | instskip(SKIP_3) | instid1(VALU_DEP_1)
	v_add_f64 v[94:95], v[94:95], -v[134:135]
	ds_load_2addr_b64 v[134:137], v150 offset0:20 offset1:21
	s_waitcnt lgkmcnt(0)
	v_mul_f64 v[96:97], v[136:137], v[98:99]
	v_fma_f64 v[96:97], v[134:135], v[132:133], -v[96:97]
	v_mul_f64 v[134:135], v[134:135], v[98:99]
	s_delay_alu instid0(VALU_DEP_2) | instskip(NEXT) | instid1(VALU_DEP_2)
	v_add_f64 v[88:89], v[88:89], -v[96:97]
	v_fma_f64 v[134:135], v[136:137], v[132:133], v[134:135]
	s_delay_alu instid0(VALU_DEP_1) | instskip(SKIP_3) | instid1(VALU_DEP_1)
	v_add_f64 v[90:91], v[90:91], -v[134:135]
	ds_load_2addr_b64 v[134:137], v150 offset0:22 offset1:23
	s_waitcnt lgkmcnt(0)
	;; [unrolled: 10-line block ×23, first 2 shown]
	v_mul_f64 v[96:97], v[136:137], v[98:99]
	v_fma_f64 v[96:97], v[134:135], v[132:133], -v[96:97]
	v_mul_f64 v[134:135], v[134:135], v[98:99]
	s_delay_alu instid0(VALU_DEP_2) | instskip(NEXT) | instid1(VALU_DEP_2)
	v_add_f64 v[0:1], v[0:1], -v[96:97]
	v_fma_f64 v[134:135], v[136:137], v[132:133], v[134:135]
	v_dual_mov_b32 v96, v132 :: v_dual_mov_b32 v97, v133
	s_delay_alu instid0(VALU_DEP_2)
	v_add_f64 v[2:3], v[2:3], -v[134:135]
.LBB65_82:
	s_or_b32 exec_lo, exec_lo, s3
	s_delay_alu instid0(SALU_CYCLE_1)
	s_mov_b32 s4, exec_lo
	s_waitcnt lgkmcnt(0)
	s_barrier
	buffer_gl0_inv
	v_cmpx_eq_u32_e32 9, v140
	s_cbranch_execz .LBB65_89
; %bb.83:
	ds_store_2addr_b64 v141, v[92:93], v[94:95] offset1:1
	ds_store_2addr_b64 v150, v[88:89], v[90:91] offset0:20 offset1:21
	ds_store_2addr_b64 v150, v[84:85], v[86:87] offset0:22 offset1:23
	;; [unrolled: 1-line block ×23, first 2 shown]
	ds_load_2addr_b64 v[132:135], v141 offset1:1
	s_waitcnt lgkmcnt(0)
	v_cmp_neq_f64_e32 vcc_lo, 0, v[132:133]
	v_cmp_neq_f64_e64 s3, 0, v[134:135]
	s_delay_alu instid0(VALU_DEP_1) | instskip(NEXT) | instid1(SALU_CYCLE_1)
	s_or_b32 s3, vcc_lo, s3
	s_and_b32 exec_lo, exec_lo, s3
	s_cbranch_execz .LBB65_89
; %bb.84:
	v_cmp_gt_f64_e32 vcc_lo, 0, v[132:133]
	v_cmp_gt_f64_e64 s3, 0, v[134:135]
	v_xor_b32_e32 v136, 0x80000000, v133
	v_xor_b32_e32 v138, 0x80000000, v135
                                        ; implicit-def: $vgpr144_vgpr145
	s_delay_alu instid0(VALU_DEP_2) | instskip(NEXT) | instid1(VALU_DEP_2)
	v_cndmask_b32_e32 v137, v133, v136, vcc_lo
	v_cndmask_b32_e64 v139, v135, v138, s3
	v_cndmask_b32_e32 v136, v132, v132, vcc_lo
	v_cndmask_b32_e64 v138, v134, v134, s3
	s_mov_b32 s3, exec_lo
	s_delay_alu instid0(VALU_DEP_1)
	v_cmpx_ngt_f64_e32 v[136:137], v[138:139]
	s_xor_b32 s3, exec_lo, s3
                                        ; implicit-def: $vgpr136_vgpr137_vgpr138_vgpr139
	s_cbranch_execz .LBB65_86
; %bb.85:
	v_div_scale_f64 v[136:137], null, v[134:135], v[134:135], v[132:133]
	v_div_scale_f64 v[148:149], vcc_lo, v[132:133], v[134:135], v[132:133]
	s_delay_alu instid0(VALU_DEP_2) | instskip(SKIP_2) | instid1(VALU_DEP_1)
	v_rcp_f64_e32 v[138:139], v[136:137]
	s_waitcnt_depctr 0xfff
	v_fma_f64 v[144:145], -v[136:137], v[138:139], 1.0
	v_fma_f64 v[138:139], v[138:139], v[144:145], v[138:139]
	s_delay_alu instid0(VALU_DEP_1) | instskip(NEXT) | instid1(VALU_DEP_1)
	v_fma_f64 v[144:145], -v[136:137], v[138:139], 1.0
	v_fma_f64 v[138:139], v[138:139], v[144:145], v[138:139]
	s_delay_alu instid0(VALU_DEP_1) | instskip(NEXT) | instid1(VALU_DEP_1)
	v_mul_f64 v[144:145], v[148:149], v[138:139]
	v_fma_f64 v[136:137], -v[136:137], v[144:145], v[148:149]
	s_delay_alu instid0(VALU_DEP_1) | instskip(NEXT) | instid1(VALU_DEP_1)
	v_div_fmas_f64 v[136:137], v[136:137], v[138:139], v[144:145]
	v_div_fixup_f64 v[136:137], v[136:137], v[134:135], v[132:133]
	s_delay_alu instid0(VALU_DEP_1) | instskip(NEXT) | instid1(VALU_DEP_1)
	v_fma_f64 v[132:133], v[132:133], v[136:137], v[134:135]
	v_div_scale_f64 v[134:135], null, v[132:133], v[132:133], 1.0
	s_delay_alu instid0(VALU_DEP_1) | instskip(SKIP_2) | instid1(VALU_DEP_1)
	v_rcp_f64_e32 v[138:139], v[134:135]
	s_waitcnt_depctr 0xfff
	v_fma_f64 v[144:145], -v[134:135], v[138:139], 1.0
	v_fma_f64 v[138:139], v[138:139], v[144:145], v[138:139]
	s_delay_alu instid0(VALU_DEP_1) | instskip(NEXT) | instid1(VALU_DEP_1)
	v_fma_f64 v[144:145], -v[134:135], v[138:139], 1.0
	v_fma_f64 v[138:139], v[138:139], v[144:145], v[138:139]
	v_div_scale_f64 v[144:145], vcc_lo, 1.0, v[132:133], 1.0
	s_delay_alu instid0(VALU_DEP_1) | instskip(NEXT) | instid1(VALU_DEP_1)
	v_mul_f64 v[148:149], v[144:145], v[138:139]
	v_fma_f64 v[134:135], -v[134:135], v[148:149], v[144:145]
	s_delay_alu instid0(VALU_DEP_1) | instskip(NEXT) | instid1(VALU_DEP_1)
	v_div_fmas_f64 v[134:135], v[134:135], v[138:139], v[148:149]
	v_div_fixup_f64 v[138:139], v[134:135], v[132:133], 1.0
                                        ; implicit-def: $vgpr132_vgpr133
	s_delay_alu instid0(VALU_DEP_1)
	v_mul_f64 v[144:145], v[136:137], v[138:139]
	v_xor_b32_e32 v139, 0x80000000, v139
.LBB65_86:
	s_and_not1_saveexec_b32 s3, s3
	s_cbranch_execz .LBB65_88
; %bb.87:
	v_div_scale_f64 v[136:137], null, v[132:133], v[132:133], v[134:135]
	v_div_scale_f64 v[148:149], vcc_lo, v[134:135], v[132:133], v[134:135]
	s_delay_alu instid0(VALU_DEP_2) | instskip(SKIP_2) | instid1(VALU_DEP_1)
	v_rcp_f64_e32 v[138:139], v[136:137]
	s_waitcnt_depctr 0xfff
	v_fma_f64 v[144:145], -v[136:137], v[138:139], 1.0
	v_fma_f64 v[138:139], v[138:139], v[144:145], v[138:139]
	s_delay_alu instid0(VALU_DEP_1) | instskip(NEXT) | instid1(VALU_DEP_1)
	v_fma_f64 v[144:145], -v[136:137], v[138:139], 1.0
	v_fma_f64 v[138:139], v[138:139], v[144:145], v[138:139]
	s_delay_alu instid0(VALU_DEP_1) | instskip(NEXT) | instid1(VALU_DEP_1)
	v_mul_f64 v[144:145], v[148:149], v[138:139]
	v_fma_f64 v[136:137], -v[136:137], v[144:145], v[148:149]
	s_delay_alu instid0(VALU_DEP_1) | instskip(NEXT) | instid1(VALU_DEP_1)
	v_div_fmas_f64 v[136:137], v[136:137], v[138:139], v[144:145]
	v_div_fixup_f64 v[136:137], v[136:137], v[132:133], v[134:135]
	s_delay_alu instid0(VALU_DEP_1) | instskip(NEXT) | instid1(VALU_DEP_1)
	v_fma_f64 v[132:133], v[134:135], v[136:137], v[132:133]
	v_div_scale_f64 v[134:135], null, v[132:133], v[132:133], 1.0
	s_delay_alu instid0(VALU_DEP_1) | instskip(SKIP_2) | instid1(VALU_DEP_1)
	v_rcp_f64_e32 v[138:139], v[134:135]
	s_waitcnt_depctr 0xfff
	v_fma_f64 v[144:145], -v[134:135], v[138:139], 1.0
	v_fma_f64 v[138:139], v[138:139], v[144:145], v[138:139]
	s_delay_alu instid0(VALU_DEP_1) | instskip(NEXT) | instid1(VALU_DEP_1)
	v_fma_f64 v[144:145], -v[134:135], v[138:139], 1.0
	v_fma_f64 v[138:139], v[138:139], v[144:145], v[138:139]
	v_div_scale_f64 v[144:145], vcc_lo, 1.0, v[132:133], 1.0
	s_delay_alu instid0(VALU_DEP_1) | instskip(NEXT) | instid1(VALU_DEP_1)
	v_mul_f64 v[148:149], v[144:145], v[138:139]
	v_fma_f64 v[134:135], -v[134:135], v[148:149], v[144:145]
	s_delay_alu instid0(VALU_DEP_1) | instskip(NEXT) | instid1(VALU_DEP_1)
	v_div_fmas_f64 v[134:135], v[134:135], v[138:139], v[148:149]
	v_div_fixup_f64 v[144:145], v[134:135], v[132:133], 1.0
	s_delay_alu instid0(VALU_DEP_1)
	v_mul_f64 v[138:139], v[136:137], -v[144:145]
.LBB65_88:
	s_or_b32 exec_lo, exec_lo, s3
	ds_store_2addr_b64 v141, v[144:145], v[138:139] offset1:1
.LBB65_89:
	s_or_b32 exec_lo, exec_lo, s4
	s_waitcnt lgkmcnt(0)
	s_barrier
	buffer_gl0_inv
	ds_load_2addr_b64 v[132:135], v141 offset1:1
	s_mov_b32 s3, exec_lo
	s_waitcnt lgkmcnt(0)
	scratch_store_b128 off, v[132:135], off offset:80 ; 16-byte Folded Spill
	v_cmpx_lt_u32_e32 9, v140
	s_cbranch_execz .LBB65_91
; %bb.90:
	scratch_load_b128 v[134:137], off, off offset:80 ; 16-byte Folded Reload
	s_waitcnt vmcnt(0)
	v_mul_f64 v[132:133], v[136:137], v[94:95]
	v_mul_f64 v[94:95], v[134:135], v[94:95]
	s_delay_alu instid0(VALU_DEP_2) | instskip(NEXT) | instid1(VALU_DEP_2)
	v_fma_f64 v[132:133], v[134:135], v[92:93], -v[132:133]
	v_fma_f64 v[94:95], v[136:137], v[92:93], v[94:95]
	ds_load_2addr_b64 v[134:137], v150 offset0:20 offset1:21
	s_waitcnt lgkmcnt(0)
	v_mul_f64 v[92:93], v[136:137], v[94:95]
	s_delay_alu instid0(VALU_DEP_1) | instskip(SKIP_1) | instid1(VALU_DEP_2)
	v_fma_f64 v[92:93], v[134:135], v[132:133], -v[92:93]
	v_mul_f64 v[134:135], v[134:135], v[94:95]
	v_add_f64 v[88:89], v[88:89], -v[92:93]
	s_delay_alu instid0(VALU_DEP_2) | instskip(NEXT) | instid1(VALU_DEP_1)
	v_fma_f64 v[134:135], v[136:137], v[132:133], v[134:135]
	v_add_f64 v[90:91], v[90:91], -v[134:135]
	ds_load_2addr_b64 v[134:137], v150 offset0:22 offset1:23
	s_waitcnt lgkmcnt(0)
	v_mul_f64 v[92:93], v[136:137], v[94:95]
	s_delay_alu instid0(VALU_DEP_1) | instskip(SKIP_1) | instid1(VALU_DEP_2)
	v_fma_f64 v[92:93], v[134:135], v[132:133], -v[92:93]
	v_mul_f64 v[134:135], v[134:135], v[94:95]
	v_add_f64 v[84:85], v[84:85], -v[92:93]
	s_delay_alu instid0(VALU_DEP_2) | instskip(NEXT) | instid1(VALU_DEP_1)
	v_fma_f64 v[134:135], v[136:137], v[132:133], v[134:135]
	v_add_f64 v[86:87], v[86:87], -v[134:135]
	;; [unrolled: 10-line block ×22, first 2 shown]
	ds_load_2addr_b64 v[134:137], v150 offset0:64 offset1:65
	s_waitcnt lgkmcnt(0)
	v_mul_f64 v[92:93], v[136:137], v[94:95]
	s_delay_alu instid0(VALU_DEP_1) | instskip(SKIP_1) | instid1(VALU_DEP_2)
	v_fma_f64 v[92:93], v[134:135], v[132:133], -v[92:93]
	v_mul_f64 v[134:135], v[134:135], v[94:95]
	v_add_f64 v[0:1], v[0:1], -v[92:93]
	s_delay_alu instid0(VALU_DEP_2) | instskip(SKIP_1) | instid1(VALU_DEP_2)
	v_fma_f64 v[134:135], v[136:137], v[132:133], v[134:135]
	v_dual_mov_b32 v92, v132 :: v_dual_mov_b32 v93, v133
	v_add_f64 v[2:3], v[2:3], -v[134:135]
.LBB65_91:
	s_or_b32 exec_lo, exec_lo, s3
	s_delay_alu instid0(SALU_CYCLE_1)
	s_mov_b32 s4, exec_lo
	s_waitcnt_vscnt null, 0x0
	s_barrier
	buffer_gl0_inv
	v_cmpx_eq_u32_e32 10, v140
	s_cbranch_execz .LBB65_98
; %bb.92:
	ds_store_2addr_b64 v141, v[88:89], v[90:91] offset1:1
	ds_store_2addr_b64 v150, v[84:85], v[86:87] offset0:22 offset1:23
	ds_store_2addr_b64 v150, v[80:81], v[82:83] offset0:24 offset1:25
	;; [unrolled: 1-line block ×22, first 2 shown]
	ds_load_2addr_b64 v[132:135], v141 offset1:1
	s_waitcnt lgkmcnt(0)
	v_cmp_neq_f64_e32 vcc_lo, 0, v[132:133]
	v_cmp_neq_f64_e64 s3, 0, v[134:135]
	s_delay_alu instid0(VALU_DEP_1) | instskip(NEXT) | instid1(SALU_CYCLE_1)
	s_or_b32 s3, vcc_lo, s3
	s_and_b32 exec_lo, exec_lo, s3
	s_cbranch_execz .LBB65_98
; %bb.93:
	v_cmp_gt_f64_e32 vcc_lo, 0, v[132:133]
	v_cmp_gt_f64_e64 s3, 0, v[134:135]
	v_xor_b32_e32 v136, 0x80000000, v133
	v_xor_b32_e32 v138, 0x80000000, v135
                                        ; implicit-def: $vgpr144_vgpr145
	s_delay_alu instid0(VALU_DEP_2) | instskip(NEXT) | instid1(VALU_DEP_2)
	v_cndmask_b32_e32 v137, v133, v136, vcc_lo
	v_cndmask_b32_e64 v139, v135, v138, s3
	v_cndmask_b32_e32 v136, v132, v132, vcc_lo
	v_cndmask_b32_e64 v138, v134, v134, s3
	s_mov_b32 s3, exec_lo
	s_delay_alu instid0(VALU_DEP_1)
	v_cmpx_ngt_f64_e32 v[136:137], v[138:139]
	s_xor_b32 s3, exec_lo, s3
                                        ; implicit-def: $vgpr136_vgpr137_vgpr138_vgpr139
	s_cbranch_execz .LBB65_95
; %bb.94:
	v_div_scale_f64 v[136:137], null, v[134:135], v[134:135], v[132:133]
	v_div_scale_f64 v[148:149], vcc_lo, v[132:133], v[134:135], v[132:133]
	s_delay_alu instid0(VALU_DEP_2) | instskip(SKIP_2) | instid1(VALU_DEP_1)
	v_rcp_f64_e32 v[138:139], v[136:137]
	s_waitcnt_depctr 0xfff
	v_fma_f64 v[144:145], -v[136:137], v[138:139], 1.0
	v_fma_f64 v[138:139], v[138:139], v[144:145], v[138:139]
	s_delay_alu instid0(VALU_DEP_1) | instskip(NEXT) | instid1(VALU_DEP_1)
	v_fma_f64 v[144:145], -v[136:137], v[138:139], 1.0
	v_fma_f64 v[138:139], v[138:139], v[144:145], v[138:139]
	s_delay_alu instid0(VALU_DEP_1) | instskip(NEXT) | instid1(VALU_DEP_1)
	v_mul_f64 v[144:145], v[148:149], v[138:139]
	v_fma_f64 v[136:137], -v[136:137], v[144:145], v[148:149]
	s_delay_alu instid0(VALU_DEP_1) | instskip(NEXT) | instid1(VALU_DEP_1)
	v_div_fmas_f64 v[136:137], v[136:137], v[138:139], v[144:145]
	v_div_fixup_f64 v[136:137], v[136:137], v[134:135], v[132:133]
	s_delay_alu instid0(VALU_DEP_1) | instskip(NEXT) | instid1(VALU_DEP_1)
	v_fma_f64 v[132:133], v[132:133], v[136:137], v[134:135]
	v_div_scale_f64 v[134:135], null, v[132:133], v[132:133], 1.0
	s_delay_alu instid0(VALU_DEP_1) | instskip(SKIP_2) | instid1(VALU_DEP_1)
	v_rcp_f64_e32 v[138:139], v[134:135]
	s_waitcnt_depctr 0xfff
	v_fma_f64 v[144:145], -v[134:135], v[138:139], 1.0
	v_fma_f64 v[138:139], v[138:139], v[144:145], v[138:139]
	s_delay_alu instid0(VALU_DEP_1) | instskip(NEXT) | instid1(VALU_DEP_1)
	v_fma_f64 v[144:145], -v[134:135], v[138:139], 1.0
	v_fma_f64 v[138:139], v[138:139], v[144:145], v[138:139]
	v_div_scale_f64 v[144:145], vcc_lo, 1.0, v[132:133], 1.0
	s_delay_alu instid0(VALU_DEP_1) | instskip(NEXT) | instid1(VALU_DEP_1)
	v_mul_f64 v[148:149], v[144:145], v[138:139]
	v_fma_f64 v[134:135], -v[134:135], v[148:149], v[144:145]
	s_delay_alu instid0(VALU_DEP_1) | instskip(NEXT) | instid1(VALU_DEP_1)
	v_div_fmas_f64 v[134:135], v[134:135], v[138:139], v[148:149]
	v_div_fixup_f64 v[138:139], v[134:135], v[132:133], 1.0
                                        ; implicit-def: $vgpr132_vgpr133
	s_delay_alu instid0(VALU_DEP_1)
	v_mul_f64 v[144:145], v[136:137], v[138:139]
	v_xor_b32_e32 v139, 0x80000000, v139
.LBB65_95:
	s_and_not1_saveexec_b32 s3, s3
	s_cbranch_execz .LBB65_97
; %bb.96:
	v_div_scale_f64 v[136:137], null, v[132:133], v[132:133], v[134:135]
	v_div_scale_f64 v[148:149], vcc_lo, v[134:135], v[132:133], v[134:135]
	s_delay_alu instid0(VALU_DEP_2) | instskip(SKIP_2) | instid1(VALU_DEP_1)
	v_rcp_f64_e32 v[138:139], v[136:137]
	s_waitcnt_depctr 0xfff
	v_fma_f64 v[144:145], -v[136:137], v[138:139], 1.0
	v_fma_f64 v[138:139], v[138:139], v[144:145], v[138:139]
	s_delay_alu instid0(VALU_DEP_1) | instskip(NEXT) | instid1(VALU_DEP_1)
	v_fma_f64 v[144:145], -v[136:137], v[138:139], 1.0
	v_fma_f64 v[138:139], v[138:139], v[144:145], v[138:139]
	s_delay_alu instid0(VALU_DEP_1) | instskip(NEXT) | instid1(VALU_DEP_1)
	v_mul_f64 v[144:145], v[148:149], v[138:139]
	v_fma_f64 v[136:137], -v[136:137], v[144:145], v[148:149]
	s_delay_alu instid0(VALU_DEP_1) | instskip(NEXT) | instid1(VALU_DEP_1)
	v_div_fmas_f64 v[136:137], v[136:137], v[138:139], v[144:145]
	v_div_fixup_f64 v[136:137], v[136:137], v[132:133], v[134:135]
	s_delay_alu instid0(VALU_DEP_1) | instskip(NEXT) | instid1(VALU_DEP_1)
	v_fma_f64 v[132:133], v[134:135], v[136:137], v[132:133]
	v_div_scale_f64 v[134:135], null, v[132:133], v[132:133], 1.0
	s_delay_alu instid0(VALU_DEP_1) | instskip(SKIP_2) | instid1(VALU_DEP_1)
	v_rcp_f64_e32 v[138:139], v[134:135]
	s_waitcnt_depctr 0xfff
	v_fma_f64 v[144:145], -v[134:135], v[138:139], 1.0
	v_fma_f64 v[138:139], v[138:139], v[144:145], v[138:139]
	s_delay_alu instid0(VALU_DEP_1) | instskip(NEXT) | instid1(VALU_DEP_1)
	v_fma_f64 v[144:145], -v[134:135], v[138:139], 1.0
	v_fma_f64 v[138:139], v[138:139], v[144:145], v[138:139]
	v_div_scale_f64 v[144:145], vcc_lo, 1.0, v[132:133], 1.0
	s_delay_alu instid0(VALU_DEP_1) | instskip(NEXT) | instid1(VALU_DEP_1)
	v_mul_f64 v[148:149], v[144:145], v[138:139]
	v_fma_f64 v[134:135], -v[134:135], v[148:149], v[144:145]
	s_delay_alu instid0(VALU_DEP_1) | instskip(NEXT) | instid1(VALU_DEP_1)
	v_div_fmas_f64 v[134:135], v[134:135], v[138:139], v[148:149]
	v_div_fixup_f64 v[144:145], v[134:135], v[132:133], 1.0
	s_delay_alu instid0(VALU_DEP_1)
	v_mul_f64 v[138:139], v[136:137], -v[144:145]
.LBB65_97:
	s_or_b32 exec_lo, exec_lo, s3
	ds_store_2addr_b64 v141, v[144:145], v[138:139] offset1:1
.LBB65_98:
	s_or_b32 exec_lo, exec_lo, s4
	s_waitcnt lgkmcnt(0)
	s_barrier
	buffer_gl0_inv
	ds_load_2addr_b64 v[132:135], v141 offset1:1
	s_mov_b32 s3, exec_lo
	s_waitcnt lgkmcnt(0)
	scratch_store_b128 off, v[132:135], off offset:96 ; 16-byte Folded Spill
	v_cmpx_lt_u32_e32 10, v140
	s_cbranch_execz .LBB65_100
; %bb.99:
	scratch_load_b128 v[134:137], off, off offset:96 ; 16-byte Folded Reload
	s_waitcnt vmcnt(0)
	v_mul_f64 v[132:133], v[136:137], v[90:91]
	v_mul_f64 v[90:91], v[134:135], v[90:91]
	s_delay_alu instid0(VALU_DEP_2) | instskip(NEXT) | instid1(VALU_DEP_2)
	v_fma_f64 v[132:133], v[134:135], v[88:89], -v[132:133]
	v_fma_f64 v[90:91], v[136:137], v[88:89], v[90:91]
	ds_load_2addr_b64 v[134:137], v150 offset0:22 offset1:23
	s_waitcnt lgkmcnt(0)
	v_mul_f64 v[88:89], v[136:137], v[90:91]
	s_delay_alu instid0(VALU_DEP_1) | instskip(SKIP_1) | instid1(VALU_DEP_2)
	v_fma_f64 v[88:89], v[134:135], v[132:133], -v[88:89]
	v_mul_f64 v[134:135], v[134:135], v[90:91]
	v_add_f64 v[84:85], v[84:85], -v[88:89]
	s_delay_alu instid0(VALU_DEP_2) | instskip(NEXT) | instid1(VALU_DEP_1)
	v_fma_f64 v[134:135], v[136:137], v[132:133], v[134:135]
	v_add_f64 v[86:87], v[86:87], -v[134:135]
	ds_load_2addr_b64 v[134:137], v150 offset0:24 offset1:25
	s_waitcnt lgkmcnt(0)
	v_mul_f64 v[88:89], v[136:137], v[90:91]
	s_delay_alu instid0(VALU_DEP_1) | instskip(SKIP_1) | instid1(VALU_DEP_2)
	v_fma_f64 v[88:89], v[134:135], v[132:133], -v[88:89]
	v_mul_f64 v[134:135], v[134:135], v[90:91]
	v_add_f64 v[80:81], v[80:81], -v[88:89]
	s_delay_alu instid0(VALU_DEP_2) | instskip(NEXT) | instid1(VALU_DEP_1)
	v_fma_f64 v[134:135], v[136:137], v[132:133], v[134:135]
	v_add_f64 v[82:83], v[82:83], -v[134:135]
	;; [unrolled: 10-line block ×21, first 2 shown]
	ds_load_2addr_b64 v[134:137], v150 offset0:64 offset1:65
	s_waitcnt lgkmcnt(0)
	v_mul_f64 v[88:89], v[136:137], v[90:91]
	s_delay_alu instid0(VALU_DEP_1) | instskip(SKIP_1) | instid1(VALU_DEP_2)
	v_fma_f64 v[88:89], v[134:135], v[132:133], -v[88:89]
	v_mul_f64 v[134:135], v[134:135], v[90:91]
	v_add_f64 v[0:1], v[0:1], -v[88:89]
	s_delay_alu instid0(VALU_DEP_2) | instskip(SKIP_1) | instid1(VALU_DEP_2)
	v_fma_f64 v[134:135], v[136:137], v[132:133], v[134:135]
	v_dual_mov_b32 v88, v132 :: v_dual_mov_b32 v89, v133
	v_add_f64 v[2:3], v[2:3], -v[134:135]
.LBB65_100:
	s_or_b32 exec_lo, exec_lo, s3
	s_delay_alu instid0(SALU_CYCLE_1)
	s_mov_b32 s4, exec_lo
	s_waitcnt_vscnt null, 0x0
	s_barrier
	buffer_gl0_inv
	v_cmpx_eq_u32_e32 11, v140
	s_cbranch_execz .LBB65_107
; %bb.101:
	ds_store_2addr_b64 v141, v[84:85], v[86:87] offset1:1
	ds_store_2addr_b64 v150, v[80:81], v[82:83] offset0:24 offset1:25
	ds_store_2addr_b64 v150, v[76:77], v[78:79] offset0:26 offset1:27
	;; [unrolled: 1-line block ×21, first 2 shown]
	ds_load_2addr_b64 v[132:135], v141 offset1:1
	s_waitcnt lgkmcnt(0)
	v_cmp_neq_f64_e32 vcc_lo, 0, v[132:133]
	v_cmp_neq_f64_e64 s3, 0, v[134:135]
	s_delay_alu instid0(VALU_DEP_1) | instskip(NEXT) | instid1(SALU_CYCLE_1)
	s_or_b32 s3, vcc_lo, s3
	s_and_b32 exec_lo, exec_lo, s3
	s_cbranch_execz .LBB65_107
; %bb.102:
	v_cmp_gt_f64_e32 vcc_lo, 0, v[132:133]
	v_cmp_gt_f64_e64 s3, 0, v[134:135]
	v_xor_b32_e32 v136, 0x80000000, v133
	v_xor_b32_e32 v138, 0x80000000, v135
                                        ; implicit-def: $vgpr144_vgpr145
	s_delay_alu instid0(VALU_DEP_2) | instskip(NEXT) | instid1(VALU_DEP_2)
	v_cndmask_b32_e32 v137, v133, v136, vcc_lo
	v_cndmask_b32_e64 v139, v135, v138, s3
	v_cndmask_b32_e32 v136, v132, v132, vcc_lo
	v_cndmask_b32_e64 v138, v134, v134, s3
	s_mov_b32 s3, exec_lo
	s_delay_alu instid0(VALU_DEP_1)
	v_cmpx_ngt_f64_e32 v[136:137], v[138:139]
	s_xor_b32 s3, exec_lo, s3
                                        ; implicit-def: $vgpr136_vgpr137_vgpr138_vgpr139
	s_cbranch_execz .LBB65_104
; %bb.103:
	v_div_scale_f64 v[136:137], null, v[134:135], v[134:135], v[132:133]
	v_div_scale_f64 v[148:149], vcc_lo, v[132:133], v[134:135], v[132:133]
	s_delay_alu instid0(VALU_DEP_2) | instskip(SKIP_2) | instid1(VALU_DEP_1)
	v_rcp_f64_e32 v[138:139], v[136:137]
	s_waitcnt_depctr 0xfff
	v_fma_f64 v[144:145], -v[136:137], v[138:139], 1.0
	v_fma_f64 v[138:139], v[138:139], v[144:145], v[138:139]
	s_delay_alu instid0(VALU_DEP_1) | instskip(NEXT) | instid1(VALU_DEP_1)
	v_fma_f64 v[144:145], -v[136:137], v[138:139], 1.0
	v_fma_f64 v[138:139], v[138:139], v[144:145], v[138:139]
	s_delay_alu instid0(VALU_DEP_1) | instskip(NEXT) | instid1(VALU_DEP_1)
	v_mul_f64 v[144:145], v[148:149], v[138:139]
	v_fma_f64 v[136:137], -v[136:137], v[144:145], v[148:149]
	s_delay_alu instid0(VALU_DEP_1) | instskip(NEXT) | instid1(VALU_DEP_1)
	v_div_fmas_f64 v[136:137], v[136:137], v[138:139], v[144:145]
	v_div_fixup_f64 v[136:137], v[136:137], v[134:135], v[132:133]
	s_delay_alu instid0(VALU_DEP_1) | instskip(NEXT) | instid1(VALU_DEP_1)
	v_fma_f64 v[132:133], v[132:133], v[136:137], v[134:135]
	v_div_scale_f64 v[134:135], null, v[132:133], v[132:133], 1.0
	s_delay_alu instid0(VALU_DEP_1) | instskip(SKIP_2) | instid1(VALU_DEP_1)
	v_rcp_f64_e32 v[138:139], v[134:135]
	s_waitcnt_depctr 0xfff
	v_fma_f64 v[144:145], -v[134:135], v[138:139], 1.0
	v_fma_f64 v[138:139], v[138:139], v[144:145], v[138:139]
	s_delay_alu instid0(VALU_DEP_1) | instskip(NEXT) | instid1(VALU_DEP_1)
	v_fma_f64 v[144:145], -v[134:135], v[138:139], 1.0
	v_fma_f64 v[138:139], v[138:139], v[144:145], v[138:139]
	v_div_scale_f64 v[144:145], vcc_lo, 1.0, v[132:133], 1.0
	s_delay_alu instid0(VALU_DEP_1) | instskip(NEXT) | instid1(VALU_DEP_1)
	v_mul_f64 v[148:149], v[144:145], v[138:139]
	v_fma_f64 v[134:135], -v[134:135], v[148:149], v[144:145]
	s_delay_alu instid0(VALU_DEP_1) | instskip(NEXT) | instid1(VALU_DEP_1)
	v_div_fmas_f64 v[134:135], v[134:135], v[138:139], v[148:149]
	v_div_fixup_f64 v[138:139], v[134:135], v[132:133], 1.0
                                        ; implicit-def: $vgpr132_vgpr133
	s_delay_alu instid0(VALU_DEP_1)
	v_mul_f64 v[144:145], v[136:137], v[138:139]
	v_xor_b32_e32 v139, 0x80000000, v139
.LBB65_104:
	s_and_not1_saveexec_b32 s3, s3
	s_cbranch_execz .LBB65_106
; %bb.105:
	v_div_scale_f64 v[136:137], null, v[132:133], v[132:133], v[134:135]
	v_div_scale_f64 v[148:149], vcc_lo, v[134:135], v[132:133], v[134:135]
	s_delay_alu instid0(VALU_DEP_2) | instskip(SKIP_2) | instid1(VALU_DEP_1)
	v_rcp_f64_e32 v[138:139], v[136:137]
	s_waitcnt_depctr 0xfff
	v_fma_f64 v[144:145], -v[136:137], v[138:139], 1.0
	v_fma_f64 v[138:139], v[138:139], v[144:145], v[138:139]
	s_delay_alu instid0(VALU_DEP_1) | instskip(NEXT) | instid1(VALU_DEP_1)
	v_fma_f64 v[144:145], -v[136:137], v[138:139], 1.0
	v_fma_f64 v[138:139], v[138:139], v[144:145], v[138:139]
	s_delay_alu instid0(VALU_DEP_1) | instskip(NEXT) | instid1(VALU_DEP_1)
	v_mul_f64 v[144:145], v[148:149], v[138:139]
	v_fma_f64 v[136:137], -v[136:137], v[144:145], v[148:149]
	s_delay_alu instid0(VALU_DEP_1) | instskip(NEXT) | instid1(VALU_DEP_1)
	v_div_fmas_f64 v[136:137], v[136:137], v[138:139], v[144:145]
	v_div_fixup_f64 v[136:137], v[136:137], v[132:133], v[134:135]
	s_delay_alu instid0(VALU_DEP_1) | instskip(NEXT) | instid1(VALU_DEP_1)
	v_fma_f64 v[132:133], v[134:135], v[136:137], v[132:133]
	v_div_scale_f64 v[134:135], null, v[132:133], v[132:133], 1.0
	s_delay_alu instid0(VALU_DEP_1) | instskip(SKIP_2) | instid1(VALU_DEP_1)
	v_rcp_f64_e32 v[138:139], v[134:135]
	s_waitcnt_depctr 0xfff
	v_fma_f64 v[144:145], -v[134:135], v[138:139], 1.0
	v_fma_f64 v[138:139], v[138:139], v[144:145], v[138:139]
	s_delay_alu instid0(VALU_DEP_1) | instskip(NEXT) | instid1(VALU_DEP_1)
	v_fma_f64 v[144:145], -v[134:135], v[138:139], 1.0
	v_fma_f64 v[138:139], v[138:139], v[144:145], v[138:139]
	v_div_scale_f64 v[144:145], vcc_lo, 1.0, v[132:133], 1.0
	s_delay_alu instid0(VALU_DEP_1) | instskip(NEXT) | instid1(VALU_DEP_1)
	v_mul_f64 v[148:149], v[144:145], v[138:139]
	v_fma_f64 v[134:135], -v[134:135], v[148:149], v[144:145]
	s_delay_alu instid0(VALU_DEP_1) | instskip(NEXT) | instid1(VALU_DEP_1)
	v_div_fmas_f64 v[134:135], v[134:135], v[138:139], v[148:149]
	v_div_fixup_f64 v[144:145], v[134:135], v[132:133], 1.0
	s_delay_alu instid0(VALU_DEP_1)
	v_mul_f64 v[138:139], v[136:137], -v[144:145]
.LBB65_106:
	s_or_b32 exec_lo, exec_lo, s3
	ds_store_2addr_b64 v141, v[144:145], v[138:139] offset1:1
.LBB65_107:
	s_or_b32 exec_lo, exec_lo, s4
	s_waitcnt lgkmcnt(0)
	s_barrier
	buffer_gl0_inv
	ds_load_2addr_b64 v[132:135], v141 offset1:1
	s_mov_b32 s3, exec_lo
	s_waitcnt lgkmcnt(0)
	scratch_store_b128 off, v[132:135], off offset:112 ; 16-byte Folded Spill
	v_cmpx_lt_u32_e32 11, v140
	s_cbranch_execz .LBB65_109
; %bb.108:
	scratch_load_b128 v[134:137], off, off offset:112 ; 16-byte Folded Reload
	s_waitcnt vmcnt(0)
	v_mul_f64 v[132:133], v[136:137], v[86:87]
	v_mul_f64 v[86:87], v[134:135], v[86:87]
	s_delay_alu instid0(VALU_DEP_2) | instskip(NEXT) | instid1(VALU_DEP_2)
	v_fma_f64 v[132:133], v[134:135], v[84:85], -v[132:133]
	v_fma_f64 v[86:87], v[136:137], v[84:85], v[86:87]
	ds_load_2addr_b64 v[134:137], v150 offset0:24 offset1:25
	s_waitcnt lgkmcnt(0)
	v_mul_f64 v[84:85], v[136:137], v[86:87]
	s_delay_alu instid0(VALU_DEP_1) | instskip(SKIP_1) | instid1(VALU_DEP_2)
	v_fma_f64 v[84:85], v[134:135], v[132:133], -v[84:85]
	v_mul_f64 v[134:135], v[134:135], v[86:87]
	v_add_f64 v[80:81], v[80:81], -v[84:85]
	s_delay_alu instid0(VALU_DEP_2) | instskip(NEXT) | instid1(VALU_DEP_1)
	v_fma_f64 v[134:135], v[136:137], v[132:133], v[134:135]
	v_add_f64 v[82:83], v[82:83], -v[134:135]
	ds_load_2addr_b64 v[134:137], v150 offset0:26 offset1:27
	s_waitcnt lgkmcnt(0)
	v_mul_f64 v[84:85], v[136:137], v[86:87]
	s_delay_alu instid0(VALU_DEP_1) | instskip(SKIP_1) | instid1(VALU_DEP_2)
	v_fma_f64 v[84:85], v[134:135], v[132:133], -v[84:85]
	v_mul_f64 v[134:135], v[134:135], v[86:87]
	v_add_f64 v[76:77], v[76:77], -v[84:85]
	s_delay_alu instid0(VALU_DEP_2) | instskip(NEXT) | instid1(VALU_DEP_1)
	v_fma_f64 v[134:135], v[136:137], v[132:133], v[134:135]
	v_add_f64 v[78:79], v[78:79], -v[134:135]
	;; [unrolled: 10-line block ×20, first 2 shown]
	ds_load_2addr_b64 v[134:137], v150 offset0:64 offset1:65
	s_waitcnt lgkmcnt(0)
	v_mul_f64 v[84:85], v[136:137], v[86:87]
	s_delay_alu instid0(VALU_DEP_1) | instskip(SKIP_1) | instid1(VALU_DEP_2)
	v_fma_f64 v[84:85], v[134:135], v[132:133], -v[84:85]
	v_mul_f64 v[134:135], v[134:135], v[86:87]
	v_add_f64 v[0:1], v[0:1], -v[84:85]
	s_delay_alu instid0(VALU_DEP_2) | instskip(SKIP_1) | instid1(VALU_DEP_2)
	v_fma_f64 v[134:135], v[136:137], v[132:133], v[134:135]
	v_dual_mov_b32 v84, v132 :: v_dual_mov_b32 v85, v133
	v_add_f64 v[2:3], v[2:3], -v[134:135]
.LBB65_109:
	s_or_b32 exec_lo, exec_lo, s3
	s_delay_alu instid0(SALU_CYCLE_1)
	s_mov_b32 s4, exec_lo
	s_waitcnt_vscnt null, 0x0
	s_barrier
	buffer_gl0_inv
	v_cmpx_eq_u32_e32 12, v140
	s_cbranch_execz .LBB65_116
; %bb.110:
	ds_store_2addr_b64 v141, v[80:81], v[82:83] offset1:1
	ds_store_2addr_b64 v150, v[76:77], v[78:79] offset0:26 offset1:27
	ds_store_2addr_b64 v150, v[72:73], v[74:75] offset0:28 offset1:29
	;; [unrolled: 1-line block ×20, first 2 shown]
	ds_load_2addr_b64 v[132:135], v141 offset1:1
	s_waitcnt lgkmcnt(0)
	v_cmp_neq_f64_e32 vcc_lo, 0, v[132:133]
	v_cmp_neq_f64_e64 s3, 0, v[134:135]
	s_delay_alu instid0(VALU_DEP_1) | instskip(NEXT) | instid1(SALU_CYCLE_1)
	s_or_b32 s3, vcc_lo, s3
	s_and_b32 exec_lo, exec_lo, s3
	s_cbranch_execz .LBB65_116
; %bb.111:
	v_cmp_gt_f64_e32 vcc_lo, 0, v[132:133]
	v_xor_b32_e32 v136, 0x80000000, v133
	v_xor_b32_e32 v138, 0x80000000, v135
	s_mov_b32 s3, exec_lo
                                        ; implicit-def: $vgpr144_vgpr145
	s_delay_alu instid0(VALU_DEP_2) | instskip(SKIP_4) | instid1(VALU_DEP_1)
	v_cndmask_b32_e32 v137, v133, v136, vcc_lo
	v_cndmask_b32_e32 v136, v132, v132, vcc_lo
	v_cmp_gt_f64_e32 vcc_lo, 0, v[134:135]
	v_cndmask_b32_e32 v139, v135, v138, vcc_lo
	v_cndmask_b32_e32 v138, v134, v134, vcc_lo
	v_cmpx_ngt_f64_e32 v[136:137], v[138:139]
	s_xor_b32 s3, exec_lo, s3
                                        ; implicit-def: $vgpr136_vgpr137_vgpr138_vgpr139
	s_cbranch_execz .LBB65_113
; %bb.112:
	v_div_scale_f64 v[136:137], null, v[134:135], v[134:135], v[132:133]
	v_div_scale_f64 v[148:149], vcc_lo, v[132:133], v[134:135], v[132:133]
	s_delay_alu instid0(VALU_DEP_2) | instskip(SKIP_2) | instid1(VALU_DEP_1)
	v_rcp_f64_e32 v[138:139], v[136:137]
	s_waitcnt_depctr 0xfff
	v_fma_f64 v[144:145], -v[136:137], v[138:139], 1.0
	v_fma_f64 v[138:139], v[138:139], v[144:145], v[138:139]
	s_delay_alu instid0(VALU_DEP_1) | instskip(NEXT) | instid1(VALU_DEP_1)
	v_fma_f64 v[144:145], -v[136:137], v[138:139], 1.0
	v_fma_f64 v[138:139], v[138:139], v[144:145], v[138:139]
	s_delay_alu instid0(VALU_DEP_1) | instskip(NEXT) | instid1(VALU_DEP_1)
	v_mul_f64 v[144:145], v[148:149], v[138:139]
	v_fma_f64 v[136:137], -v[136:137], v[144:145], v[148:149]
	s_delay_alu instid0(VALU_DEP_1) | instskip(NEXT) | instid1(VALU_DEP_1)
	v_div_fmas_f64 v[136:137], v[136:137], v[138:139], v[144:145]
	v_div_fixup_f64 v[136:137], v[136:137], v[134:135], v[132:133]
	s_delay_alu instid0(VALU_DEP_1) | instskip(NEXT) | instid1(VALU_DEP_1)
	v_fma_f64 v[132:133], v[132:133], v[136:137], v[134:135]
	v_div_scale_f64 v[134:135], null, v[132:133], v[132:133], 1.0
	s_delay_alu instid0(VALU_DEP_1) | instskip(SKIP_2) | instid1(VALU_DEP_1)
	v_rcp_f64_e32 v[138:139], v[134:135]
	s_waitcnt_depctr 0xfff
	v_fma_f64 v[144:145], -v[134:135], v[138:139], 1.0
	v_fma_f64 v[138:139], v[138:139], v[144:145], v[138:139]
	s_delay_alu instid0(VALU_DEP_1) | instskip(NEXT) | instid1(VALU_DEP_1)
	v_fma_f64 v[144:145], -v[134:135], v[138:139], 1.0
	v_fma_f64 v[138:139], v[138:139], v[144:145], v[138:139]
	v_div_scale_f64 v[144:145], vcc_lo, 1.0, v[132:133], 1.0
	s_delay_alu instid0(VALU_DEP_1) | instskip(NEXT) | instid1(VALU_DEP_1)
	v_mul_f64 v[148:149], v[144:145], v[138:139]
	v_fma_f64 v[134:135], -v[134:135], v[148:149], v[144:145]
	s_delay_alu instid0(VALU_DEP_1) | instskip(NEXT) | instid1(VALU_DEP_1)
	v_div_fmas_f64 v[134:135], v[134:135], v[138:139], v[148:149]
	v_div_fixup_f64 v[138:139], v[134:135], v[132:133], 1.0
                                        ; implicit-def: $vgpr132_vgpr133
	s_delay_alu instid0(VALU_DEP_1)
	v_mul_f64 v[144:145], v[136:137], v[138:139]
	v_xor_b32_e32 v139, 0x80000000, v139
.LBB65_113:
	s_and_not1_saveexec_b32 s3, s3
	s_cbranch_execz .LBB65_115
; %bb.114:
	v_div_scale_f64 v[136:137], null, v[132:133], v[132:133], v[134:135]
	v_div_scale_f64 v[148:149], vcc_lo, v[134:135], v[132:133], v[134:135]
	s_delay_alu instid0(VALU_DEP_2) | instskip(SKIP_2) | instid1(VALU_DEP_1)
	v_rcp_f64_e32 v[138:139], v[136:137]
	s_waitcnt_depctr 0xfff
	v_fma_f64 v[144:145], -v[136:137], v[138:139], 1.0
	v_fma_f64 v[138:139], v[138:139], v[144:145], v[138:139]
	s_delay_alu instid0(VALU_DEP_1) | instskip(NEXT) | instid1(VALU_DEP_1)
	v_fma_f64 v[144:145], -v[136:137], v[138:139], 1.0
	v_fma_f64 v[138:139], v[138:139], v[144:145], v[138:139]
	s_delay_alu instid0(VALU_DEP_1) | instskip(NEXT) | instid1(VALU_DEP_1)
	v_mul_f64 v[144:145], v[148:149], v[138:139]
	v_fma_f64 v[136:137], -v[136:137], v[144:145], v[148:149]
	s_delay_alu instid0(VALU_DEP_1) | instskip(NEXT) | instid1(VALU_DEP_1)
	v_div_fmas_f64 v[136:137], v[136:137], v[138:139], v[144:145]
	v_div_fixup_f64 v[136:137], v[136:137], v[132:133], v[134:135]
	s_delay_alu instid0(VALU_DEP_1) | instskip(NEXT) | instid1(VALU_DEP_1)
	v_fma_f64 v[132:133], v[134:135], v[136:137], v[132:133]
	v_div_scale_f64 v[134:135], null, v[132:133], v[132:133], 1.0
	s_delay_alu instid0(VALU_DEP_1) | instskip(SKIP_2) | instid1(VALU_DEP_1)
	v_rcp_f64_e32 v[138:139], v[134:135]
	s_waitcnt_depctr 0xfff
	v_fma_f64 v[144:145], -v[134:135], v[138:139], 1.0
	v_fma_f64 v[138:139], v[138:139], v[144:145], v[138:139]
	s_delay_alu instid0(VALU_DEP_1) | instskip(NEXT) | instid1(VALU_DEP_1)
	v_fma_f64 v[144:145], -v[134:135], v[138:139], 1.0
	v_fma_f64 v[138:139], v[138:139], v[144:145], v[138:139]
	v_div_scale_f64 v[144:145], vcc_lo, 1.0, v[132:133], 1.0
	s_delay_alu instid0(VALU_DEP_1) | instskip(NEXT) | instid1(VALU_DEP_1)
	v_mul_f64 v[148:149], v[144:145], v[138:139]
	v_fma_f64 v[134:135], -v[134:135], v[148:149], v[144:145]
	s_delay_alu instid0(VALU_DEP_1) | instskip(NEXT) | instid1(VALU_DEP_1)
	v_div_fmas_f64 v[134:135], v[134:135], v[138:139], v[148:149]
	v_div_fixup_f64 v[144:145], v[134:135], v[132:133], 1.0
	s_delay_alu instid0(VALU_DEP_1)
	v_mul_f64 v[138:139], v[136:137], -v[144:145]
.LBB65_115:
	s_or_b32 exec_lo, exec_lo, s3
	ds_store_2addr_b64 v141, v[144:145], v[138:139] offset1:1
.LBB65_116:
	s_or_b32 exec_lo, exec_lo, s4
	s_waitcnt lgkmcnt(0)
	s_barrier
	buffer_gl0_inv
	ds_load_2addr_b64 v[132:135], v141 offset1:1
	s_mov_b32 s3, exec_lo
	s_waitcnt lgkmcnt(0)
	scratch_store_b128 off, v[132:135], off offset:128 ; 16-byte Folded Spill
	v_cmpx_lt_u32_e32 12, v140
	s_cbranch_execz .LBB65_118
; %bb.117:
	scratch_load_b128 v[134:137], off, off offset:128 ; 16-byte Folded Reload
	s_waitcnt vmcnt(0)
	v_mul_f64 v[132:133], v[136:137], v[82:83]
	v_mul_f64 v[82:83], v[134:135], v[82:83]
	s_delay_alu instid0(VALU_DEP_2) | instskip(NEXT) | instid1(VALU_DEP_2)
	v_fma_f64 v[132:133], v[134:135], v[80:81], -v[132:133]
	v_fma_f64 v[82:83], v[136:137], v[80:81], v[82:83]
	ds_load_2addr_b64 v[134:137], v150 offset0:26 offset1:27
	s_waitcnt lgkmcnt(0)
	v_mul_f64 v[80:81], v[136:137], v[82:83]
	s_delay_alu instid0(VALU_DEP_1) | instskip(SKIP_1) | instid1(VALU_DEP_2)
	v_fma_f64 v[80:81], v[134:135], v[132:133], -v[80:81]
	v_mul_f64 v[134:135], v[134:135], v[82:83]
	v_add_f64 v[76:77], v[76:77], -v[80:81]
	s_delay_alu instid0(VALU_DEP_2) | instskip(NEXT) | instid1(VALU_DEP_1)
	v_fma_f64 v[134:135], v[136:137], v[132:133], v[134:135]
	v_add_f64 v[78:79], v[78:79], -v[134:135]
	ds_load_2addr_b64 v[134:137], v150 offset0:28 offset1:29
	s_waitcnt lgkmcnt(0)
	v_mul_f64 v[80:81], v[136:137], v[82:83]
	s_delay_alu instid0(VALU_DEP_1) | instskip(SKIP_1) | instid1(VALU_DEP_2)
	v_fma_f64 v[80:81], v[134:135], v[132:133], -v[80:81]
	v_mul_f64 v[134:135], v[134:135], v[82:83]
	v_add_f64 v[72:73], v[72:73], -v[80:81]
	s_delay_alu instid0(VALU_DEP_2) | instskip(NEXT) | instid1(VALU_DEP_1)
	v_fma_f64 v[134:135], v[136:137], v[132:133], v[134:135]
	v_add_f64 v[74:75], v[74:75], -v[134:135]
	;; [unrolled: 10-line block ×19, first 2 shown]
	ds_load_2addr_b64 v[134:137], v150 offset0:64 offset1:65
	s_waitcnt lgkmcnt(0)
	v_mul_f64 v[80:81], v[136:137], v[82:83]
	s_delay_alu instid0(VALU_DEP_1) | instskip(SKIP_1) | instid1(VALU_DEP_2)
	v_fma_f64 v[80:81], v[134:135], v[132:133], -v[80:81]
	v_mul_f64 v[134:135], v[134:135], v[82:83]
	v_add_f64 v[0:1], v[0:1], -v[80:81]
	s_delay_alu instid0(VALU_DEP_2) | instskip(SKIP_1) | instid1(VALU_DEP_2)
	v_fma_f64 v[134:135], v[136:137], v[132:133], v[134:135]
	v_dual_mov_b32 v80, v132 :: v_dual_mov_b32 v81, v133
	v_add_f64 v[2:3], v[2:3], -v[134:135]
.LBB65_118:
	s_or_b32 exec_lo, exec_lo, s3
	s_delay_alu instid0(SALU_CYCLE_1)
	s_mov_b32 s4, exec_lo
	s_waitcnt_vscnt null, 0x0
	s_barrier
	buffer_gl0_inv
	v_cmpx_eq_u32_e32 13, v140
	s_cbranch_execz .LBB65_125
; %bb.119:
	ds_store_2addr_b64 v141, v[76:77], v[78:79] offset1:1
	ds_store_2addr_b64 v150, v[72:73], v[74:75] offset0:28 offset1:29
	ds_store_2addr_b64 v150, v[68:69], v[70:71] offset0:30 offset1:31
	;; [unrolled: 1-line block ×19, first 2 shown]
	ds_load_2addr_b64 v[132:135], v141 offset1:1
	s_waitcnt lgkmcnt(0)
	v_cmp_neq_f64_e32 vcc_lo, 0, v[132:133]
	v_cmp_neq_f64_e64 s3, 0, v[134:135]
	s_delay_alu instid0(VALU_DEP_1) | instskip(NEXT) | instid1(SALU_CYCLE_1)
	s_or_b32 s3, vcc_lo, s3
	s_and_b32 exec_lo, exec_lo, s3
	s_cbranch_execz .LBB65_125
; %bb.120:
	v_cmp_gt_f64_e32 vcc_lo, 0, v[132:133]
	v_xor_b32_e32 v136, 0x80000000, v133
	v_xor_b32_e32 v138, 0x80000000, v135
	s_mov_b32 s3, exec_lo
                                        ; implicit-def: $vgpr144_vgpr145
	s_delay_alu instid0(VALU_DEP_2) | instskip(SKIP_4) | instid1(VALU_DEP_1)
	v_cndmask_b32_e32 v137, v133, v136, vcc_lo
	v_cndmask_b32_e32 v136, v132, v132, vcc_lo
	v_cmp_gt_f64_e32 vcc_lo, 0, v[134:135]
	v_cndmask_b32_e32 v139, v135, v138, vcc_lo
	v_cndmask_b32_e32 v138, v134, v134, vcc_lo
	v_cmpx_ngt_f64_e32 v[136:137], v[138:139]
	s_xor_b32 s3, exec_lo, s3
                                        ; implicit-def: $vgpr136_vgpr137_vgpr138_vgpr139
	s_cbranch_execz .LBB65_122
; %bb.121:
	v_div_scale_f64 v[136:137], null, v[134:135], v[134:135], v[132:133]
	v_div_scale_f64 v[148:149], vcc_lo, v[132:133], v[134:135], v[132:133]
	s_delay_alu instid0(VALU_DEP_2) | instskip(SKIP_2) | instid1(VALU_DEP_1)
	v_rcp_f64_e32 v[138:139], v[136:137]
	s_waitcnt_depctr 0xfff
	v_fma_f64 v[144:145], -v[136:137], v[138:139], 1.0
	v_fma_f64 v[138:139], v[138:139], v[144:145], v[138:139]
	s_delay_alu instid0(VALU_DEP_1) | instskip(NEXT) | instid1(VALU_DEP_1)
	v_fma_f64 v[144:145], -v[136:137], v[138:139], 1.0
	v_fma_f64 v[138:139], v[138:139], v[144:145], v[138:139]
	s_delay_alu instid0(VALU_DEP_1) | instskip(NEXT) | instid1(VALU_DEP_1)
	v_mul_f64 v[144:145], v[148:149], v[138:139]
	v_fma_f64 v[136:137], -v[136:137], v[144:145], v[148:149]
	s_delay_alu instid0(VALU_DEP_1) | instskip(NEXT) | instid1(VALU_DEP_1)
	v_div_fmas_f64 v[136:137], v[136:137], v[138:139], v[144:145]
	v_div_fixup_f64 v[136:137], v[136:137], v[134:135], v[132:133]
	s_delay_alu instid0(VALU_DEP_1) | instskip(NEXT) | instid1(VALU_DEP_1)
	v_fma_f64 v[132:133], v[132:133], v[136:137], v[134:135]
	v_div_scale_f64 v[134:135], null, v[132:133], v[132:133], 1.0
	s_delay_alu instid0(VALU_DEP_1) | instskip(SKIP_2) | instid1(VALU_DEP_1)
	v_rcp_f64_e32 v[138:139], v[134:135]
	s_waitcnt_depctr 0xfff
	v_fma_f64 v[144:145], -v[134:135], v[138:139], 1.0
	v_fma_f64 v[138:139], v[138:139], v[144:145], v[138:139]
	s_delay_alu instid0(VALU_DEP_1) | instskip(NEXT) | instid1(VALU_DEP_1)
	v_fma_f64 v[144:145], -v[134:135], v[138:139], 1.0
	v_fma_f64 v[138:139], v[138:139], v[144:145], v[138:139]
	v_div_scale_f64 v[144:145], vcc_lo, 1.0, v[132:133], 1.0
	s_delay_alu instid0(VALU_DEP_1) | instskip(NEXT) | instid1(VALU_DEP_1)
	v_mul_f64 v[148:149], v[144:145], v[138:139]
	v_fma_f64 v[134:135], -v[134:135], v[148:149], v[144:145]
	s_delay_alu instid0(VALU_DEP_1) | instskip(NEXT) | instid1(VALU_DEP_1)
	v_div_fmas_f64 v[134:135], v[134:135], v[138:139], v[148:149]
	v_div_fixup_f64 v[138:139], v[134:135], v[132:133], 1.0
                                        ; implicit-def: $vgpr132_vgpr133
	s_delay_alu instid0(VALU_DEP_1)
	v_mul_f64 v[144:145], v[136:137], v[138:139]
	v_xor_b32_e32 v139, 0x80000000, v139
.LBB65_122:
	s_and_not1_saveexec_b32 s3, s3
	s_cbranch_execz .LBB65_124
; %bb.123:
	v_div_scale_f64 v[136:137], null, v[132:133], v[132:133], v[134:135]
	v_div_scale_f64 v[148:149], vcc_lo, v[134:135], v[132:133], v[134:135]
	s_delay_alu instid0(VALU_DEP_2) | instskip(SKIP_2) | instid1(VALU_DEP_1)
	v_rcp_f64_e32 v[138:139], v[136:137]
	s_waitcnt_depctr 0xfff
	v_fma_f64 v[144:145], -v[136:137], v[138:139], 1.0
	v_fma_f64 v[138:139], v[138:139], v[144:145], v[138:139]
	s_delay_alu instid0(VALU_DEP_1) | instskip(NEXT) | instid1(VALU_DEP_1)
	v_fma_f64 v[144:145], -v[136:137], v[138:139], 1.0
	v_fma_f64 v[138:139], v[138:139], v[144:145], v[138:139]
	s_delay_alu instid0(VALU_DEP_1) | instskip(NEXT) | instid1(VALU_DEP_1)
	v_mul_f64 v[144:145], v[148:149], v[138:139]
	v_fma_f64 v[136:137], -v[136:137], v[144:145], v[148:149]
	s_delay_alu instid0(VALU_DEP_1) | instskip(NEXT) | instid1(VALU_DEP_1)
	v_div_fmas_f64 v[136:137], v[136:137], v[138:139], v[144:145]
	v_div_fixup_f64 v[136:137], v[136:137], v[132:133], v[134:135]
	s_delay_alu instid0(VALU_DEP_1) | instskip(NEXT) | instid1(VALU_DEP_1)
	v_fma_f64 v[132:133], v[134:135], v[136:137], v[132:133]
	v_div_scale_f64 v[134:135], null, v[132:133], v[132:133], 1.0
	s_delay_alu instid0(VALU_DEP_1) | instskip(SKIP_2) | instid1(VALU_DEP_1)
	v_rcp_f64_e32 v[138:139], v[134:135]
	s_waitcnt_depctr 0xfff
	v_fma_f64 v[144:145], -v[134:135], v[138:139], 1.0
	v_fma_f64 v[138:139], v[138:139], v[144:145], v[138:139]
	s_delay_alu instid0(VALU_DEP_1) | instskip(NEXT) | instid1(VALU_DEP_1)
	v_fma_f64 v[144:145], -v[134:135], v[138:139], 1.0
	v_fma_f64 v[138:139], v[138:139], v[144:145], v[138:139]
	v_div_scale_f64 v[144:145], vcc_lo, 1.0, v[132:133], 1.0
	s_delay_alu instid0(VALU_DEP_1) | instskip(NEXT) | instid1(VALU_DEP_1)
	v_mul_f64 v[148:149], v[144:145], v[138:139]
	v_fma_f64 v[134:135], -v[134:135], v[148:149], v[144:145]
	s_delay_alu instid0(VALU_DEP_1) | instskip(NEXT) | instid1(VALU_DEP_1)
	v_div_fmas_f64 v[134:135], v[134:135], v[138:139], v[148:149]
	v_div_fixup_f64 v[144:145], v[134:135], v[132:133], 1.0
	s_delay_alu instid0(VALU_DEP_1)
	v_mul_f64 v[138:139], v[136:137], -v[144:145]
.LBB65_124:
	s_or_b32 exec_lo, exec_lo, s3
	ds_store_2addr_b64 v141, v[144:145], v[138:139] offset1:1
.LBB65_125:
	s_or_b32 exec_lo, exec_lo, s4
	s_waitcnt lgkmcnt(0)
	s_barrier
	buffer_gl0_inv
	ds_load_2addr_b64 v[132:135], v141 offset1:1
	s_mov_b32 s3, exec_lo
	s_waitcnt lgkmcnt(0)
	scratch_store_b128 off, v[132:135], off offset:144 ; 16-byte Folded Spill
	v_cmpx_lt_u32_e32 13, v140
	s_cbranch_execz .LBB65_127
; %bb.126:
	scratch_load_b128 v[134:137], off, off offset:144 ; 16-byte Folded Reload
	s_waitcnt vmcnt(0)
	v_mul_f64 v[132:133], v[136:137], v[78:79]
	v_mul_f64 v[78:79], v[134:135], v[78:79]
	s_delay_alu instid0(VALU_DEP_2) | instskip(NEXT) | instid1(VALU_DEP_2)
	v_fma_f64 v[132:133], v[134:135], v[76:77], -v[132:133]
	v_fma_f64 v[78:79], v[136:137], v[76:77], v[78:79]
	ds_load_2addr_b64 v[134:137], v150 offset0:28 offset1:29
	s_waitcnt lgkmcnt(0)
	v_mul_f64 v[76:77], v[136:137], v[78:79]
	s_delay_alu instid0(VALU_DEP_1) | instskip(SKIP_1) | instid1(VALU_DEP_2)
	v_fma_f64 v[76:77], v[134:135], v[132:133], -v[76:77]
	v_mul_f64 v[134:135], v[134:135], v[78:79]
	v_add_f64 v[72:73], v[72:73], -v[76:77]
	s_delay_alu instid0(VALU_DEP_2) | instskip(NEXT) | instid1(VALU_DEP_1)
	v_fma_f64 v[134:135], v[136:137], v[132:133], v[134:135]
	v_add_f64 v[74:75], v[74:75], -v[134:135]
	ds_load_2addr_b64 v[134:137], v150 offset0:30 offset1:31
	s_waitcnt lgkmcnt(0)
	v_mul_f64 v[76:77], v[136:137], v[78:79]
	s_delay_alu instid0(VALU_DEP_1) | instskip(SKIP_1) | instid1(VALU_DEP_2)
	v_fma_f64 v[76:77], v[134:135], v[132:133], -v[76:77]
	v_mul_f64 v[134:135], v[134:135], v[78:79]
	v_add_f64 v[68:69], v[68:69], -v[76:77]
	s_delay_alu instid0(VALU_DEP_2) | instskip(NEXT) | instid1(VALU_DEP_1)
	v_fma_f64 v[134:135], v[136:137], v[132:133], v[134:135]
	v_add_f64 v[70:71], v[70:71], -v[134:135]
	;; [unrolled: 10-line block ×18, first 2 shown]
	ds_load_2addr_b64 v[134:137], v150 offset0:64 offset1:65
	s_waitcnt lgkmcnt(0)
	v_mul_f64 v[76:77], v[136:137], v[78:79]
	s_delay_alu instid0(VALU_DEP_1) | instskip(SKIP_1) | instid1(VALU_DEP_2)
	v_fma_f64 v[76:77], v[134:135], v[132:133], -v[76:77]
	v_mul_f64 v[134:135], v[134:135], v[78:79]
	v_add_f64 v[0:1], v[0:1], -v[76:77]
	s_delay_alu instid0(VALU_DEP_2) | instskip(SKIP_1) | instid1(VALU_DEP_2)
	v_fma_f64 v[134:135], v[136:137], v[132:133], v[134:135]
	v_dual_mov_b32 v76, v132 :: v_dual_mov_b32 v77, v133
	v_add_f64 v[2:3], v[2:3], -v[134:135]
.LBB65_127:
	s_or_b32 exec_lo, exec_lo, s3
	s_delay_alu instid0(SALU_CYCLE_1)
	s_mov_b32 s4, exec_lo
	s_waitcnt_vscnt null, 0x0
	s_barrier
	buffer_gl0_inv
	v_cmpx_eq_u32_e32 14, v140
	s_cbranch_execz .LBB65_134
; %bb.128:
	ds_store_2addr_b64 v141, v[72:73], v[74:75] offset1:1
	ds_store_2addr_b64 v150, v[68:69], v[70:71] offset0:30 offset1:31
	ds_store_2addr_b64 v150, v[64:65], v[66:67] offset0:32 offset1:33
	;; [unrolled: 1-line block ×18, first 2 shown]
	ds_load_2addr_b64 v[132:135], v141 offset1:1
	s_waitcnt lgkmcnt(0)
	v_cmp_neq_f64_e32 vcc_lo, 0, v[132:133]
	v_cmp_neq_f64_e64 s3, 0, v[134:135]
	s_delay_alu instid0(VALU_DEP_1) | instskip(NEXT) | instid1(SALU_CYCLE_1)
	s_or_b32 s3, vcc_lo, s3
	s_and_b32 exec_lo, exec_lo, s3
	s_cbranch_execz .LBB65_134
; %bb.129:
	v_cmp_gt_f64_e32 vcc_lo, 0, v[132:133]
	v_xor_b32_e32 v136, 0x80000000, v133
	v_xor_b32_e32 v138, 0x80000000, v135
	s_mov_b32 s3, exec_lo
                                        ; implicit-def: $vgpr144_vgpr145
	s_delay_alu instid0(VALU_DEP_2) | instskip(SKIP_4) | instid1(VALU_DEP_1)
	v_cndmask_b32_e32 v137, v133, v136, vcc_lo
	v_cndmask_b32_e32 v136, v132, v132, vcc_lo
	v_cmp_gt_f64_e32 vcc_lo, 0, v[134:135]
	v_cndmask_b32_e32 v139, v135, v138, vcc_lo
	v_cndmask_b32_e32 v138, v134, v134, vcc_lo
	v_cmpx_ngt_f64_e32 v[136:137], v[138:139]
	s_xor_b32 s3, exec_lo, s3
                                        ; implicit-def: $vgpr136_vgpr137_vgpr138_vgpr139
	s_cbranch_execz .LBB65_131
; %bb.130:
	v_div_scale_f64 v[136:137], null, v[134:135], v[134:135], v[132:133]
	v_div_scale_f64 v[148:149], vcc_lo, v[132:133], v[134:135], v[132:133]
	s_delay_alu instid0(VALU_DEP_2) | instskip(SKIP_2) | instid1(VALU_DEP_1)
	v_rcp_f64_e32 v[138:139], v[136:137]
	s_waitcnt_depctr 0xfff
	v_fma_f64 v[144:145], -v[136:137], v[138:139], 1.0
	v_fma_f64 v[138:139], v[138:139], v[144:145], v[138:139]
	s_delay_alu instid0(VALU_DEP_1) | instskip(NEXT) | instid1(VALU_DEP_1)
	v_fma_f64 v[144:145], -v[136:137], v[138:139], 1.0
	v_fma_f64 v[138:139], v[138:139], v[144:145], v[138:139]
	s_delay_alu instid0(VALU_DEP_1) | instskip(NEXT) | instid1(VALU_DEP_1)
	v_mul_f64 v[144:145], v[148:149], v[138:139]
	v_fma_f64 v[136:137], -v[136:137], v[144:145], v[148:149]
	s_delay_alu instid0(VALU_DEP_1) | instskip(NEXT) | instid1(VALU_DEP_1)
	v_div_fmas_f64 v[136:137], v[136:137], v[138:139], v[144:145]
	v_div_fixup_f64 v[136:137], v[136:137], v[134:135], v[132:133]
	s_delay_alu instid0(VALU_DEP_1) | instskip(NEXT) | instid1(VALU_DEP_1)
	v_fma_f64 v[132:133], v[132:133], v[136:137], v[134:135]
	v_div_scale_f64 v[134:135], null, v[132:133], v[132:133], 1.0
	s_delay_alu instid0(VALU_DEP_1) | instskip(SKIP_2) | instid1(VALU_DEP_1)
	v_rcp_f64_e32 v[138:139], v[134:135]
	s_waitcnt_depctr 0xfff
	v_fma_f64 v[144:145], -v[134:135], v[138:139], 1.0
	v_fma_f64 v[138:139], v[138:139], v[144:145], v[138:139]
	s_delay_alu instid0(VALU_DEP_1) | instskip(NEXT) | instid1(VALU_DEP_1)
	v_fma_f64 v[144:145], -v[134:135], v[138:139], 1.0
	v_fma_f64 v[138:139], v[138:139], v[144:145], v[138:139]
	v_div_scale_f64 v[144:145], vcc_lo, 1.0, v[132:133], 1.0
	s_delay_alu instid0(VALU_DEP_1) | instskip(NEXT) | instid1(VALU_DEP_1)
	v_mul_f64 v[148:149], v[144:145], v[138:139]
	v_fma_f64 v[134:135], -v[134:135], v[148:149], v[144:145]
	s_delay_alu instid0(VALU_DEP_1) | instskip(NEXT) | instid1(VALU_DEP_1)
	v_div_fmas_f64 v[134:135], v[134:135], v[138:139], v[148:149]
	v_div_fixup_f64 v[138:139], v[134:135], v[132:133], 1.0
                                        ; implicit-def: $vgpr132_vgpr133
	s_delay_alu instid0(VALU_DEP_1)
	v_mul_f64 v[144:145], v[136:137], v[138:139]
	v_xor_b32_e32 v139, 0x80000000, v139
.LBB65_131:
	s_and_not1_saveexec_b32 s3, s3
	s_cbranch_execz .LBB65_133
; %bb.132:
	v_div_scale_f64 v[136:137], null, v[132:133], v[132:133], v[134:135]
	v_div_scale_f64 v[148:149], vcc_lo, v[134:135], v[132:133], v[134:135]
	s_delay_alu instid0(VALU_DEP_2) | instskip(SKIP_2) | instid1(VALU_DEP_1)
	v_rcp_f64_e32 v[138:139], v[136:137]
	s_waitcnt_depctr 0xfff
	v_fma_f64 v[144:145], -v[136:137], v[138:139], 1.0
	v_fma_f64 v[138:139], v[138:139], v[144:145], v[138:139]
	s_delay_alu instid0(VALU_DEP_1) | instskip(NEXT) | instid1(VALU_DEP_1)
	v_fma_f64 v[144:145], -v[136:137], v[138:139], 1.0
	v_fma_f64 v[138:139], v[138:139], v[144:145], v[138:139]
	s_delay_alu instid0(VALU_DEP_1) | instskip(NEXT) | instid1(VALU_DEP_1)
	v_mul_f64 v[144:145], v[148:149], v[138:139]
	v_fma_f64 v[136:137], -v[136:137], v[144:145], v[148:149]
	s_delay_alu instid0(VALU_DEP_1) | instskip(NEXT) | instid1(VALU_DEP_1)
	v_div_fmas_f64 v[136:137], v[136:137], v[138:139], v[144:145]
	v_div_fixup_f64 v[136:137], v[136:137], v[132:133], v[134:135]
	s_delay_alu instid0(VALU_DEP_1) | instskip(NEXT) | instid1(VALU_DEP_1)
	v_fma_f64 v[132:133], v[134:135], v[136:137], v[132:133]
	v_div_scale_f64 v[134:135], null, v[132:133], v[132:133], 1.0
	s_delay_alu instid0(VALU_DEP_1) | instskip(SKIP_2) | instid1(VALU_DEP_1)
	v_rcp_f64_e32 v[138:139], v[134:135]
	s_waitcnt_depctr 0xfff
	v_fma_f64 v[144:145], -v[134:135], v[138:139], 1.0
	v_fma_f64 v[138:139], v[138:139], v[144:145], v[138:139]
	s_delay_alu instid0(VALU_DEP_1) | instskip(NEXT) | instid1(VALU_DEP_1)
	v_fma_f64 v[144:145], -v[134:135], v[138:139], 1.0
	v_fma_f64 v[138:139], v[138:139], v[144:145], v[138:139]
	v_div_scale_f64 v[144:145], vcc_lo, 1.0, v[132:133], 1.0
	s_delay_alu instid0(VALU_DEP_1) | instskip(NEXT) | instid1(VALU_DEP_1)
	v_mul_f64 v[148:149], v[144:145], v[138:139]
	v_fma_f64 v[134:135], -v[134:135], v[148:149], v[144:145]
	s_delay_alu instid0(VALU_DEP_1) | instskip(NEXT) | instid1(VALU_DEP_1)
	v_div_fmas_f64 v[134:135], v[134:135], v[138:139], v[148:149]
	v_div_fixup_f64 v[144:145], v[134:135], v[132:133], 1.0
	s_delay_alu instid0(VALU_DEP_1)
	v_mul_f64 v[138:139], v[136:137], -v[144:145]
.LBB65_133:
	s_or_b32 exec_lo, exec_lo, s3
	ds_store_2addr_b64 v141, v[144:145], v[138:139] offset1:1
.LBB65_134:
	s_or_b32 exec_lo, exec_lo, s4
	s_waitcnt lgkmcnt(0)
	s_barrier
	buffer_gl0_inv
	ds_load_2addr_b64 v[132:135], v141 offset1:1
	s_mov_b32 s3, exec_lo
	s_waitcnt lgkmcnt(0)
	scratch_store_b128 off, v[132:135], off offset:160 ; 16-byte Folded Spill
	v_cmpx_lt_u32_e32 14, v140
	s_cbranch_execz .LBB65_136
; %bb.135:
	scratch_load_b128 v[134:137], off, off offset:160 ; 16-byte Folded Reload
	s_waitcnt vmcnt(0)
	v_mul_f64 v[132:133], v[136:137], v[74:75]
	v_mul_f64 v[74:75], v[134:135], v[74:75]
	s_delay_alu instid0(VALU_DEP_2) | instskip(NEXT) | instid1(VALU_DEP_2)
	v_fma_f64 v[132:133], v[134:135], v[72:73], -v[132:133]
	v_fma_f64 v[74:75], v[136:137], v[72:73], v[74:75]
	ds_load_2addr_b64 v[134:137], v150 offset0:30 offset1:31
	s_waitcnt lgkmcnt(0)
	v_mul_f64 v[72:73], v[136:137], v[74:75]
	s_delay_alu instid0(VALU_DEP_1) | instskip(SKIP_1) | instid1(VALU_DEP_2)
	v_fma_f64 v[72:73], v[134:135], v[132:133], -v[72:73]
	v_mul_f64 v[134:135], v[134:135], v[74:75]
	v_add_f64 v[68:69], v[68:69], -v[72:73]
	s_delay_alu instid0(VALU_DEP_2) | instskip(NEXT) | instid1(VALU_DEP_1)
	v_fma_f64 v[134:135], v[136:137], v[132:133], v[134:135]
	v_add_f64 v[70:71], v[70:71], -v[134:135]
	ds_load_2addr_b64 v[134:137], v150 offset0:32 offset1:33
	s_waitcnt lgkmcnt(0)
	v_mul_f64 v[72:73], v[136:137], v[74:75]
	s_delay_alu instid0(VALU_DEP_1) | instskip(SKIP_1) | instid1(VALU_DEP_2)
	v_fma_f64 v[72:73], v[134:135], v[132:133], -v[72:73]
	v_mul_f64 v[134:135], v[134:135], v[74:75]
	v_add_f64 v[64:65], v[64:65], -v[72:73]
	s_delay_alu instid0(VALU_DEP_2) | instskip(NEXT) | instid1(VALU_DEP_1)
	v_fma_f64 v[134:135], v[136:137], v[132:133], v[134:135]
	v_add_f64 v[66:67], v[66:67], -v[134:135]
	;; [unrolled: 10-line block ×17, first 2 shown]
	ds_load_2addr_b64 v[134:137], v150 offset0:64 offset1:65
	s_waitcnt lgkmcnt(0)
	v_mul_f64 v[72:73], v[136:137], v[74:75]
	s_delay_alu instid0(VALU_DEP_1) | instskip(SKIP_1) | instid1(VALU_DEP_2)
	v_fma_f64 v[72:73], v[134:135], v[132:133], -v[72:73]
	v_mul_f64 v[134:135], v[134:135], v[74:75]
	v_add_f64 v[0:1], v[0:1], -v[72:73]
	s_delay_alu instid0(VALU_DEP_2) | instskip(SKIP_1) | instid1(VALU_DEP_2)
	v_fma_f64 v[134:135], v[136:137], v[132:133], v[134:135]
	v_dual_mov_b32 v72, v132 :: v_dual_mov_b32 v73, v133
	v_add_f64 v[2:3], v[2:3], -v[134:135]
.LBB65_136:
	s_or_b32 exec_lo, exec_lo, s3
	s_delay_alu instid0(SALU_CYCLE_1)
	s_mov_b32 s4, exec_lo
	s_waitcnt_vscnt null, 0x0
	s_barrier
	buffer_gl0_inv
	v_cmpx_eq_u32_e32 15, v140
	s_cbranch_execz .LBB65_143
; %bb.137:
	ds_store_2addr_b64 v141, v[68:69], v[70:71] offset1:1
	ds_store_2addr_b64 v150, v[64:65], v[66:67] offset0:32 offset1:33
	ds_store_2addr_b64 v150, v[60:61], v[62:63] offset0:34 offset1:35
	;; [unrolled: 1-line block ×17, first 2 shown]
	ds_load_2addr_b64 v[132:135], v141 offset1:1
	s_waitcnt lgkmcnt(0)
	v_cmp_neq_f64_e32 vcc_lo, 0, v[132:133]
	v_cmp_neq_f64_e64 s3, 0, v[134:135]
	s_delay_alu instid0(VALU_DEP_1) | instskip(NEXT) | instid1(SALU_CYCLE_1)
	s_or_b32 s3, vcc_lo, s3
	s_and_b32 exec_lo, exec_lo, s3
	s_cbranch_execz .LBB65_143
; %bb.138:
	v_cmp_gt_f64_e32 vcc_lo, 0, v[132:133]
	v_xor_b32_e32 v136, 0x80000000, v133
	v_xor_b32_e32 v138, 0x80000000, v135
	s_mov_b32 s3, exec_lo
                                        ; implicit-def: $vgpr144_vgpr145
	s_delay_alu instid0(VALU_DEP_2) | instskip(SKIP_4) | instid1(VALU_DEP_1)
	v_cndmask_b32_e32 v137, v133, v136, vcc_lo
	v_cndmask_b32_e32 v136, v132, v132, vcc_lo
	v_cmp_gt_f64_e32 vcc_lo, 0, v[134:135]
	v_cndmask_b32_e32 v139, v135, v138, vcc_lo
	v_cndmask_b32_e32 v138, v134, v134, vcc_lo
	v_cmpx_ngt_f64_e32 v[136:137], v[138:139]
	s_xor_b32 s3, exec_lo, s3
                                        ; implicit-def: $vgpr136_vgpr137_vgpr138_vgpr139
	s_cbranch_execz .LBB65_140
; %bb.139:
	v_div_scale_f64 v[136:137], null, v[134:135], v[134:135], v[132:133]
	v_div_scale_f64 v[148:149], vcc_lo, v[132:133], v[134:135], v[132:133]
	s_delay_alu instid0(VALU_DEP_2) | instskip(SKIP_2) | instid1(VALU_DEP_1)
	v_rcp_f64_e32 v[138:139], v[136:137]
	s_waitcnt_depctr 0xfff
	v_fma_f64 v[144:145], -v[136:137], v[138:139], 1.0
	v_fma_f64 v[138:139], v[138:139], v[144:145], v[138:139]
	s_delay_alu instid0(VALU_DEP_1) | instskip(NEXT) | instid1(VALU_DEP_1)
	v_fma_f64 v[144:145], -v[136:137], v[138:139], 1.0
	v_fma_f64 v[138:139], v[138:139], v[144:145], v[138:139]
	s_delay_alu instid0(VALU_DEP_1) | instskip(NEXT) | instid1(VALU_DEP_1)
	v_mul_f64 v[144:145], v[148:149], v[138:139]
	v_fma_f64 v[136:137], -v[136:137], v[144:145], v[148:149]
	s_delay_alu instid0(VALU_DEP_1) | instskip(NEXT) | instid1(VALU_DEP_1)
	v_div_fmas_f64 v[136:137], v[136:137], v[138:139], v[144:145]
	v_div_fixup_f64 v[136:137], v[136:137], v[134:135], v[132:133]
	s_delay_alu instid0(VALU_DEP_1) | instskip(NEXT) | instid1(VALU_DEP_1)
	v_fma_f64 v[132:133], v[132:133], v[136:137], v[134:135]
	v_div_scale_f64 v[134:135], null, v[132:133], v[132:133], 1.0
	s_delay_alu instid0(VALU_DEP_1) | instskip(SKIP_2) | instid1(VALU_DEP_1)
	v_rcp_f64_e32 v[138:139], v[134:135]
	s_waitcnt_depctr 0xfff
	v_fma_f64 v[144:145], -v[134:135], v[138:139], 1.0
	v_fma_f64 v[138:139], v[138:139], v[144:145], v[138:139]
	s_delay_alu instid0(VALU_DEP_1) | instskip(NEXT) | instid1(VALU_DEP_1)
	v_fma_f64 v[144:145], -v[134:135], v[138:139], 1.0
	v_fma_f64 v[138:139], v[138:139], v[144:145], v[138:139]
	v_div_scale_f64 v[144:145], vcc_lo, 1.0, v[132:133], 1.0
	s_delay_alu instid0(VALU_DEP_1) | instskip(NEXT) | instid1(VALU_DEP_1)
	v_mul_f64 v[148:149], v[144:145], v[138:139]
	v_fma_f64 v[134:135], -v[134:135], v[148:149], v[144:145]
	s_delay_alu instid0(VALU_DEP_1) | instskip(NEXT) | instid1(VALU_DEP_1)
	v_div_fmas_f64 v[134:135], v[134:135], v[138:139], v[148:149]
	v_div_fixup_f64 v[138:139], v[134:135], v[132:133], 1.0
                                        ; implicit-def: $vgpr132_vgpr133
	s_delay_alu instid0(VALU_DEP_1)
	v_mul_f64 v[144:145], v[136:137], v[138:139]
	v_xor_b32_e32 v139, 0x80000000, v139
.LBB65_140:
	s_and_not1_saveexec_b32 s3, s3
	s_cbranch_execz .LBB65_142
; %bb.141:
	v_div_scale_f64 v[136:137], null, v[132:133], v[132:133], v[134:135]
	v_div_scale_f64 v[148:149], vcc_lo, v[134:135], v[132:133], v[134:135]
	s_delay_alu instid0(VALU_DEP_2) | instskip(SKIP_2) | instid1(VALU_DEP_1)
	v_rcp_f64_e32 v[138:139], v[136:137]
	s_waitcnt_depctr 0xfff
	v_fma_f64 v[144:145], -v[136:137], v[138:139], 1.0
	v_fma_f64 v[138:139], v[138:139], v[144:145], v[138:139]
	s_delay_alu instid0(VALU_DEP_1) | instskip(NEXT) | instid1(VALU_DEP_1)
	v_fma_f64 v[144:145], -v[136:137], v[138:139], 1.0
	v_fma_f64 v[138:139], v[138:139], v[144:145], v[138:139]
	s_delay_alu instid0(VALU_DEP_1) | instskip(NEXT) | instid1(VALU_DEP_1)
	v_mul_f64 v[144:145], v[148:149], v[138:139]
	v_fma_f64 v[136:137], -v[136:137], v[144:145], v[148:149]
	s_delay_alu instid0(VALU_DEP_1) | instskip(NEXT) | instid1(VALU_DEP_1)
	v_div_fmas_f64 v[136:137], v[136:137], v[138:139], v[144:145]
	v_div_fixup_f64 v[136:137], v[136:137], v[132:133], v[134:135]
	s_delay_alu instid0(VALU_DEP_1) | instskip(NEXT) | instid1(VALU_DEP_1)
	v_fma_f64 v[132:133], v[134:135], v[136:137], v[132:133]
	v_div_scale_f64 v[134:135], null, v[132:133], v[132:133], 1.0
	s_delay_alu instid0(VALU_DEP_1) | instskip(SKIP_2) | instid1(VALU_DEP_1)
	v_rcp_f64_e32 v[138:139], v[134:135]
	s_waitcnt_depctr 0xfff
	v_fma_f64 v[144:145], -v[134:135], v[138:139], 1.0
	v_fma_f64 v[138:139], v[138:139], v[144:145], v[138:139]
	s_delay_alu instid0(VALU_DEP_1) | instskip(NEXT) | instid1(VALU_DEP_1)
	v_fma_f64 v[144:145], -v[134:135], v[138:139], 1.0
	v_fma_f64 v[138:139], v[138:139], v[144:145], v[138:139]
	v_div_scale_f64 v[144:145], vcc_lo, 1.0, v[132:133], 1.0
	s_delay_alu instid0(VALU_DEP_1) | instskip(NEXT) | instid1(VALU_DEP_1)
	v_mul_f64 v[148:149], v[144:145], v[138:139]
	v_fma_f64 v[134:135], -v[134:135], v[148:149], v[144:145]
	s_delay_alu instid0(VALU_DEP_1) | instskip(NEXT) | instid1(VALU_DEP_1)
	v_div_fmas_f64 v[134:135], v[134:135], v[138:139], v[148:149]
	v_div_fixup_f64 v[144:145], v[134:135], v[132:133], 1.0
	s_delay_alu instid0(VALU_DEP_1)
	v_mul_f64 v[138:139], v[136:137], -v[144:145]
.LBB65_142:
	s_or_b32 exec_lo, exec_lo, s3
	ds_store_2addr_b64 v141, v[144:145], v[138:139] offset1:1
.LBB65_143:
	s_or_b32 exec_lo, exec_lo, s4
	s_waitcnt lgkmcnt(0)
	s_barrier
	buffer_gl0_inv
	ds_load_2addr_b64 v[132:135], v141 offset1:1
	s_mov_b32 s3, exec_lo
	s_waitcnt lgkmcnt(0)
	scratch_store_b128 off, v[132:135], off offset:176 ; 16-byte Folded Spill
	v_cmpx_lt_u32_e32 15, v140
	s_cbranch_execz .LBB65_145
; %bb.144:
	scratch_load_b128 v[134:137], off, off offset:176 ; 16-byte Folded Reload
	s_waitcnt vmcnt(0)
	v_mul_f64 v[132:133], v[136:137], v[70:71]
	v_mul_f64 v[70:71], v[134:135], v[70:71]
	s_delay_alu instid0(VALU_DEP_2) | instskip(NEXT) | instid1(VALU_DEP_2)
	v_fma_f64 v[132:133], v[134:135], v[68:69], -v[132:133]
	v_fma_f64 v[70:71], v[136:137], v[68:69], v[70:71]
	ds_load_2addr_b64 v[134:137], v150 offset0:32 offset1:33
	s_waitcnt lgkmcnt(0)
	v_mul_f64 v[68:69], v[136:137], v[70:71]
	s_delay_alu instid0(VALU_DEP_1) | instskip(SKIP_1) | instid1(VALU_DEP_2)
	v_fma_f64 v[68:69], v[134:135], v[132:133], -v[68:69]
	v_mul_f64 v[134:135], v[134:135], v[70:71]
	v_add_f64 v[64:65], v[64:65], -v[68:69]
	s_delay_alu instid0(VALU_DEP_2) | instskip(NEXT) | instid1(VALU_DEP_1)
	v_fma_f64 v[134:135], v[136:137], v[132:133], v[134:135]
	v_add_f64 v[66:67], v[66:67], -v[134:135]
	ds_load_2addr_b64 v[134:137], v150 offset0:34 offset1:35
	s_waitcnt lgkmcnt(0)
	v_mul_f64 v[68:69], v[136:137], v[70:71]
	s_delay_alu instid0(VALU_DEP_1) | instskip(SKIP_1) | instid1(VALU_DEP_2)
	v_fma_f64 v[68:69], v[134:135], v[132:133], -v[68:69]
	v_mul_f64 v[134:135], v[134:135], v[70:71]
	v_add_f64 v[60:61], v[60:61], -v[68:69]
	s_delay_alu instid0(VALU_DEP_2) | instskip(NEXT) | instid1(VALU_DEP_1)
	v_fma_f64 v[134:135], v[136:137], v[132:133], v[134:135]
	v_add_f64 v[62:63], v[62:63], -v[134:135]
	ds_load_2addr_b64 v[134:137], v150 offset0:36 offset1:37
	s_waitcnt lgkmcnt(0)
	v_mul_f64 v[68:69], v[136:137], v[70:71]
	s_delay_alu instid0(VALU_DEP_1) | instskip(SKIP_1) | instid1(VALU_DEP_2)
	v_fma_f64 v[68:69], v[134:135], v[132:133], -v[68:69]
	v_mul_f64 v[134:135], v[134:135], v[70:71]
	v_add_f64 v[56:57], v[56:57], -v[68:69]
	s_delay_alu instid0(VALU_DEP_2) | instskip(NEXT) | instid1(VALU_DEP_1)
	v_fma_f64 v[134:135], v[136:137], v[132:133], v[134:135]
	v_add_f64 v[58:59], v[58:59], -v[134:135]
	ds_load_2addr_b64 v[134:137], v150 offset0:38 offset1:39
	s_waitcnt lgkmcnt(0)
	v_mul_f64 v[68:69], v[136:137], v[70:71]
	s_delay_alu instid0(VALU_DEP_1) | instskip(SKIP_1) | instid1(VALU_DEP_2)
	v_fma_f64 v[68:69], v[134:135], v[132:133], -v[68:69]
	v_mul_f64 v[134:135], v[134:135], v[70:71]
	v_add_f64 v[52:53], v[52:53], -v[68:69]
	s_delay_alu instid0(VALU_DEP_2) | instskip(NEXT) | instid1(VALU_DEP_1)
	v_fma_f64 v[134:135], v[136:137], v[132:133], v[134:135]
	v_add_f64 v[54:55], v[54:55], -v[134:135]
	ds_load_2addr_b64 v[134:137], v150 offset0:40 offset1:41
	s_waitcnt lgkmcnt(0)
	v_mul_f64 v[68:69], v[136:137], v[70:71]
	s_delay_alu instid0(VALU_DEP_1) | instskip(SKIP_1) | instid1(VALU_DEP_2)
	v_fma_f64 v[68:69], v[134:135], v[132:133], -v[68:69]
	v_mul_f64 v[134:135], v[134:135], v[70:71]
	v_add_f64 v[48:49], v[48:49], -v[68:69]
	s_delay_alu instid0(VALU_DEP_2) | instskip(NEXT) | instid1(VALU_DEP_1)
	v_fma_f64 v[134:135], v[136:137], v[132:133], v[134:135]
	v_add_f64 v[50:51], v[50:51], -v[134:135]
	ds_load_2addr_b64 v[134:137], v150 offset0:42 offset1:43
	s_waitcnt lgkmcnt(0)
	v_mul_f64 v[68:69], v[136:137], v[70:71]
	s_delay_alu instid0(VALU_DEP_1) | instskip(SKIP_1) | instid1(VALU_DEP_2)
	v_fma_f64 v[68:69], v[134:135], v[132:133], -v[68:69]
	v_mul_f64 v[134:135], v[134:135], v[70:71]
	v_add_f64 v[44:45], v[44:45], -v[68:69]
	s_delay_alu instid0(VALU_DEP_2) | instskip(NEXT) | instid1(VALU_DEP_1)
	v_fma_f64 v[134:135], v[136:137], v[132:133], v[134:135]
	v_add_f64 v[46:47], v[46:47], -v[134:135]
	ds_load_2addr_b64 v[134:137], v150 offset0:44 offset1:45
	s_waitcnt lgkmcnt(0)
	v_mul_f64 v[68:69], v[136:137], v[70:71]
	s_delay_alu instid0(VALU_DEP_1) | instskip(SKIP_1) | instid1(VALU_DEP_2)
	v_fma_f64 v[68:69], v[134:135], v[132:133], -v[68:69]
	v_mul_f64 v[134:135], v[134:135], v[70:71]
	v_add_f64 v[40:41], v[40:41], -v[68:69]
	s_delay_alu instid0(VALU_DEP_2) | instskip(NEXT) | instid1(VALU_DEP_1)
	v_fma_f64 v[134:135], v[136:137], v[132:133], v[134:135]
	v_add_f64 v[42:43], v[42:43], -v[134:135]
	ds_load_2addr_b64 v[134:137], v150 offset0:46 offset1:47
	s_waitcnt lgkmcnt(0)
	v_mul_f64 v[68:69], v[136:137], v[70:71]
	s_delay_alu instid0(VALU_DEP_1) | instskip(SKIP_1) | instid1(VALU_DEP_2)
	v_fma_f64 v[68:69], v[134:135], v[132:133], -v[68:69]
	v_mul_f64 v[134:135], v[134:135], v[70:71]
	v_add_f64 v[36:37], v[36:37], -v[68:69]
	s_delay_alu instid0(VALU_DEP_2) | instskip(NEXT) | instid1(VALU_DEP_1)
	v_fma_f64 v[134:135], v[136:137], v[132:133], v[134:135]
	v_add_f64 v[38:39], v[38:39], -v[134:135]
	ds_load_2addr_b64 v[134:137], v150 offset0:48 offset1:49
	s_waitcnt lgkmcnt(0)
	v_mul_f64 v[68:69], v[136:137], v[70:71]
	s_delay_alu instid0(VALU_DEP_1) | instskip(SKIP_1) | instid1(VALU_DEP_2)
	v_fma_f64 v[68:69], v[134:135], v[132:133], -v[68:69]
	v_mul_f64 v[134:135], v[134:135], v[70:71]
	v_add_f64 v[32:33], v[32:33], -v[68:69]
	s_delay_alu instid0(VALU_DEP_2) | instskip(NEXT) | instid1(VALU_DEP_1)
	v_fma_f64 v[134:135], v[136:137], v[132:133], v[134:135]
	v_add_f64 v[34:35], v[34:35], -v[134:135]
	ds_load_2addr_b64 v[134:137], v150 offset0:50 offset1:51
	s_waitcnt lgkmcnt(0)
	v_mul_f64 v[68:69], v[136:137], v[70:71]
	s_delay_alu instid0(VALU_DEP_1) | instskip(SKIP_1) | instid1(VALU_DEP_2)
	v_fma_f64 v[68:69], v[134:135], v[132:133], -v[68:69]
	v_mul_f64 v[134:135], v[134:135], v[70:71]
	v_add_f64 v[28:29], v[28:29], -v[68:69]
	s_delay_alu instid0(VALU_DEP_2) | instskip(NEXT) | instid1(VALU_DEP_1)
	v_fma_f64 v[134:135], v[136:137], v[132:133], v[134:135]
	v_add_f64 v[30:31], v[30:31], -v[134:135]
	ds_load_2addr_b64 v[134:137], v150 offset0:52 offset1:53
	s_waitcnt lgkmcnt(0)
	v_mul_f64 v[68:69], v[136:137], v[70:71]
	s_delay_alu instid0(VALU_DEP_1) | instskip(SKIP_1) | instid1(VALU_DEP_2)
	v_fma_f64 v[68:69], v[134:135], v[132:133], -v[68:69]
	v_mul_f64 v[134:135], v[134:135], v[70:71]
	v_add_f64 v[24:25], v[24:25], -v[68:69]
	s_delay_alu instid0(VALU_DEP_2) | instskip(NEXT) | instid1(VALU_DEP_1)
	v_fma_f64 v[134:135], v[136:137], v[132:133], v[134:135]
	v_add_f64 v[26:27], v[26:27], -v[134:135]
	ds_load_2addr_b64 v[134:137], v150 offset0:54 offset1:55
	s_waitcnt lgkmcnt(0)
	v_mul_f64 v[68:69], v[136:137], v[70:71]
	s_delay_alu instid0(VALU_DEP_1) | instskip(SKIP_1) | instid1(VALU_DEP_2)
	v_fma_f64 v[68:69], v[134:135], v[132:133], -v[68:69]
	v_mul_f64 v[134:135], v[134:135], v[70:71]
	v_add_f64 v[20:21], v[20:21], -v[68:69]
	s_delay_alu instid0(VALU_DEP_2) | instskip(NEXT) | instid1(VALU_DEP_1)
	v_fma_f64 v[134:135], v[136:137], v[132:133], v[134:135]
	v_add_f64 v[22:23], v[22:23], -v[134:135]
	ds_load_2addr_b64 v[134:137], v150 offset0:56 offset1:57
	s_waitcnt lgkmcnt(0)
	v_mul_f64 v[68:69], v[136:137], v[70:71]
	s_delay_alu instid0(VALU_DEP_1) | instskip(SKIP_1) | instid1(VALU_DEP_2)
	v_fma_f64 v[68:69], v[134:135], v[132:133], -v[68:69]
	v_mul_f64 v[134:135], v[134:135], v[70:71]
	v_add_f64 v[16:17], v[16:17], -v[68:69]
	s_delay_alu instid0(VALU_DEP_2) | instskip(NEXT) | instid1(VALU_DEP_1)
	v_fma_f64 v[134:135], v[136:137], v[132:133], v[134:135]
	v_add_f64 v[18:19], v[18:19], -v[134:135]
	ds_load_2addr_b64 v[134:137], v150 offset0:58 offset1:59
	s_waitcnt lgkmcnt(0)
	v_mul_f64 v[68:69], v[136:137], v[70:71]
	s_delay_alu instid0(VALU_DEP_1) | instskip(SKIP_1) | instid1(VALU_DEP_2)
	v_fma_f64 v[68:69], v[134:135], v[132:133], -v[68:69]
	v_mul_f64 v[134:135], v[134:135], v[70:71]
	v_add_f64 v[12:13], v[12:13], -v[68:69]
	s_delay_alu instid0(VALU_DEP_2) | instskip(NEXT) | instid1(VALU_DEP_1)
	v_fma_f64 v[134:135], v[136:137], v[132:133], v[134:135]
	v_add_f64 v[14:15], v[14:15], -v[134:135]
	ds_load_2addr_b64 v[134:137], v150 offset0:60 offset1:61
	s_waitcnt lgkmcnt(0)
	v_mul_f64 v[68:69], v[136:137], v[70:71]
	s_delay_alu instid0(VALU_DEP_1) | instskip(SKIP_1) | instid1(VALU_DEP_2)
	v_fma_f64 v[68:69], v[134:135], v[132:133], -v[68:69]
	v_mul_f64 v[134:135], v[134:135], v[70:71]
	v_add_f64 v[8:9], v[8:9], -v[68:69]
	s_delay_alu instid0(VALU_DEP_2) | instskip(NEXT) | instid1(VALU_DEP_1)
	v_fma_f64 v[134:135], v[136:137], v[132:133], v[134:135]
	v_add_f64 v[10:11], v[10:11], -v[134:135]
	ds_load_2addr_b64 v[134:137], v150 offset0:62 offset1:63
	s_waitcnt lgkmcnt(0)
	v_mul_f64 v[68:69], v[136:137], v[70:71]
	s_delay_alu instid0(VALU_DEP_1) | instskip(SKIP_1) | instid1(VALU_DEP_2)
	v_fma_f64 v[68:69], v[134:135], v[132:133], -v[68:69]
	v_mul_f64 v[134:135], v[134:135], v[70:71]
	v_add_f64 v[4:5], v[4:5], -v[68:69]
	s_delay_alu instid0(VALU_DEP_2) | instskip(NEXT) | instid1(VALU_DEP_1)
	v_fma_f64 v[134:135], v[136:137], v[132:133], v[134:135]
	v_add_f64 v[6:7], v[6:7], -v[134:135]
	ds_load_2addr_b64 v[134:137], v150 offset0:64 offset1:65
	s_waitcnt lgkmcnt(0)
	v_mul_f64 v[68:69], v[136:137], v[70:71]
	s_delay_alu instid0(VALU_DEP_1) | instskip(SKIP_1) | instid1(VALU_DEP_2)
	v_fma_f64 v[68:69], v[134:135], v[132:133], -v[68:69]
	v_mul_f64 v[134:135], v[134:135], v[70:71]
	v_add_f64 v[0:1], v[0:1], -v[68:69]
	s_delay_alu instid0(VALU_DEP_2) | instskip(SKIP_1) | instid1(VALU_DEP_2)
	v_fma_f64 v[134:135], v[136:137], v[132:133], v[134:135]
	v_dual_mov_b32 v68, v132 :: v_dual_mov_b32 v69, v133
	v_add_f64 v[2:3], v[2:3], -v[134:135]
.LBB65_145:
	s_or_b32 exec_lo, exec_lo, s3
	s_delay_alu instid0(SALU_CYCLE_1)
	s_mov_b32 s4, exec_lo
	s_waitcnt_vscnt null, 0x0
	s_barrier
	buffer_gl0_inv
	v_cmpx_eq_u32_e32 16, v140
	s_cbranch_execz .LBB65_152
; %bb.146:
	ds_store_2addr_b64 v141, v[64:65], v[66:67] offset1:1
	ds_store_2addr_b64 v150, v[60:61], v[62:63] offset0:34 offset1:35
	ds_store_2addr_b64 v150, v[56:57], v[58:59] offset0:36 offset1:37
	;; [unrolled: 1-line block ×16, first 2 shown]
	ds_load_2addr_b64 v[132:135], v141 offset1:1
	s_waitcnt lgkmcnt(0)
	v_cmp_neq_f64_e32 vcc_lo, 0, v[132:133]
	v_cmp_neq_f64_e64 s3, 0, v[134:135]
	s_delay_alu instid0(VALU_DEP_1) | instskip(NEXT) | instid1(SALU_CYCLE_1)
	s_or_b32 s3, vcc_lo, s3
	s_and_b32 exec_lo, exec_lo, s3
	s_cbranch_execz .LBB65_152
; %bb.147:
	v_cmp_gt_f64_e32 vcc_lo, 0, v[132:133]
	v_xor_b32_e32 v136, 0x80000000, v133
	v_xor_b32_e32 v138, 0x80000000, v135
	s_mov_b32 s3, exec_lo
                                        ; implicit-def: $vgpr144_vgpr145
	s_delay_alu instid0(VALU_DEP_2) | instskip(SKIP_4) | instid1(VALU_DEP_1)
	v_cndmask_b32_e32 v137, v133, v136, vcc_lo
	v_cndmask_b32_e32 v136, v132, v132, vcc_lo
	v_cmp_gt_f64_e32 vcc_lo, 0, v[134:135]
	v_cndmask_b32_e32 v139, v135, v138, vcc_lo
	v_cndmask_b32_e32 v138, v134, v134, vcc_lo
	v_cmpx_ngt_f64_e32 v[136:137], v[138:139]
	s_xor_b32 s3, exec_lo, s3
                                        ; implicit-def: $vgpr136_vgpr137_vgpr138_vgpr139
	s_cbranch_execz .LBB65_149
; %bb.148:
	v_div_scale_f64 v[136:137], null, v[134:135], v[134:135], v[132:133]
	v_div_scale_f64 v[148:149], vcc_lo, v[132:133], v[134:135], v[132:133]
	s_delay_alu instid0(VALU_DEP_2) | instskip(SKIP_2) | instid1(VALU_DEP_1)
	v_rcp_f64_e32 v[138:139], v[136:137]
	s_waitcnt_depctr 0xfff
	v_fma_f64 v[144:145], -v[136:137], v[138:139], 1.0
	v_fma_f64 v[138:139], v[138:139], v[144:145], v[138:139]
	s_delay_alu instid0(VALU_DEP_1) | instskip(NEXT) | instid1(VALU_DEP_1)
	v_fma_f64 v[144:145], -v[136:137], v[138:139], 1.0
	v_fma_f64 v[138:139], v[138:139], v[144:145], v[138:139]
	s_delay_alu instid0(VALU_DEP_1) | instskip(NEXT) | instid1(VALU_DEP_1)
	v_mul_f64 v[144:145], v[148:149], v[138:139]
	v_fma_f64 v[136:137], -v[136:137], v[144:145], v[148:149]
	s_delay_alu instid0(VALU_DEP_1) | instskip(NEXT) | instid1(VALU_DEP_1)
	v_div_fmas_f64 v[136:137], v[136:137], v[138:139], v[144:145]
	v_div_fixup_f64 v[136:137], v[136:137], v[134:135], v[132:133]
	s_delay_alu instid0(VALU_DEP_1) | instskip(NEXT) | instid1(VALU_DEP_1)
	v_fma_f64 v[132:133], v[132:133], v[136:137], v[134:135]
	v_div_scale_f64 v[134:135], null, v[132:133], v[132:133], 1.0
	s_delay_alu instid0(VALU_DEP_1) | instskip(SKIP_2) | instid1(VALU_DEP_1)
	v_rcp_f64_e32 v[138:139], v[134:135]
	s_waitcnt_depctr 0xfff
	v_fma_f64 v[144:145], -v[134:135], v[138:139], 1.0
	v_fma_f64 v[138:139], v[138:139], v[144:145], v[138:139]
	s_delay_alu instid0(VALU_DEP_1) | instskip(NEXT) | instid1(VALU_DEP_1)
	v_fma_f64 v[144:145], -v[134:135], v[138:139], 1.0
	v_fma_f64 v[138:139], v[138:139], v[144:145], v[138:139]
	v_div_scale_f64 v[144:145], vcc_lo, 1.0, v[132:133], 1.0
	s_delay_alu instid0(VALU_DEP_1) | instskip(NEXT) | instid1(VALU_DEP_1)
	v_mul_f64 v[148:149], v[144:145], v[138:139]
	v_fma_f64 v[134:135], -v[134:135], v[148:149], v[144:145]
	s_delay_alu instid0(VALU_DEP_1) | instskip(NEXT) | instid1(VALU_DEP_1)
	v_div_fmas_f64 v[134:135], v[134:135], v[138:139], v[148:149]
	v_div_fixup_f64 v[138:139], v[134:135], v[132:133], 1.0
                                        ; implicit-def: $vgpr132_vgpr133
	s_delay_alu instid0(VALU_DEP_1)
	v_mul_f64 v[144:145], v[136:137], v[138:139]
	v_xor_b32_e32 v139, 0x80000000, v139
.LBB65_149:
	s_and_not1_saveexec_b32 s3, s3
	s_cbranch_execz .LBB65_151
; %bb.150:
	v_div_scale_f64 v[136:137], null, v[132:133], v[132:133], v[134:135]
	v_div_scale_f64 v[148:149], vcc_lo, v[134:135], v[132:133], v[134:135]
	s_delay_alu instid0(VALU_DEP_2) | instskip(SKIP_2) | instid1(VALU_DEP_1)
	v_rcp_f64_e32 v[138:139], v[136:137]
	s_waitcnt_depctr 0xfff
	v_fma_f64 v[144:145], -v[136:137], v[138:139], 1.0
	v_fma_f64 v[138:139], v[138:139], v[144:145], v[138:139]
	s_delay_alu instid0(VALU_DEP_1) | instskip(NEXT) | instid1(VALU_DEP_1)
	v_fma_f64 v[144:145], -v[136:137], v[138:139], 1.0
	v_fma_f64 v[138:139], v[138:139], v[144:145], v[138:139]
	s_delay_alu instid0(VALU_DEP_1) | instskip(NEXT) | instid1(VALU_DEP_1)
	v_mul_f64 v[144:145], v[148:149], v[138:139]
	v_fma_f64 v[136:137], -v[136:137], v[144:145], v[148:149]
	s_delay_alu instid0(VALU_DEP_1) | instskip(NEXT) | instid1(VALU_DEP_1)
	v_div_fmas_f64 v[136:137], v[136:137], v[138:139], v[144:145]
	v_div_fixup_f64 v[136:137], v[136:137], v[132:133], v[134:135]
	s_delay_alu instid0(VALU_DEP_1) | instskip(NEXT) | instid1(VALU_DEP_1)
	v_fma_f64 v[132:133], v[134:135], v[136:137], v[132:133]
	v_div_scale_f64 v[134:135], null, v[132:133], v[132:133], 1.0
	s_delay_alu instid0(VALU_DEP_1) | instskip(SKIP_2) | instid1(VALU_DEP_1)
	v_rcp_f64_e32 v[138:139], v[134:135]
	s_waitcnt_depctr 0xfff
	v_fma_f64 v[144:145], -v[134:135], v[138:139], 1.0
	v_fma_f64 v[138:139], v[138:139], v[144:145], v[138:139]
	s_delay_alu instid0(VALU_DEP_1) | instskip(NEXT) | instid1(VALU_DEP_1)
	v_fma_f64 v[144:145], -v[134:135], v[138:139], 1.0
	v_fma_f64 v[138:139], v[138:139], v[144:145], v[138:139]
	v_div_scale_f64 v[144:145], vcc_lo, 1.0, v[132:133], 1.0
	s_delay_alu instid0(VALU_DEP_1) | instskip(NEXT) | instid1(VALU_DEP_1)
	v_mul_f64 v[148:149], v[144:145], v[138:139]
	v_fma_f64 v[134:135], -v[134:135], v[148:149], v[144:145]
	s_delay_alu instid0(VALU_DEP_1) | instskip(NEXT) | instid1(VALU_DEP_1)
	v_div_fmas_f64 v[134:135], v[134:135], v[138:139], v[148:149]
	v_div_fixup_f64 v[144:145], v[134:135], v[132:133], 1.0
	s_delay_alu instid0(VALU_DEP_1)
	v_mul_f64 v[138:139], v[136:137], -v[144:145]
.LBB65_151:
	s_or_b32 exec_lo, exec_lo, s3
	ds_store_2addr_b64 v141, v[144:145], v[138:139] offset1:1
.LBB65_152:
	s_or_b32 exec_lo, exec_lo, s4
	s_waitcnt lgkmcnt(0)
	s_barrier
	buffer_gl0_inv
	ds_load_2addr_b64 v[132:135], v141 offset1:1
	s_mov_b32 s3, exec_lo
	s_waitcnt lgkmcnt(0)
	scratch_store_b128 off, v[132:135], off offset:192 ; 16-byte Folded Spill
	v_cmpx_lt_u32_e32 16, v140
	s_cbranch_execz .LBB65_154
; %bb.153:
	scratch_load_b128 v[134:137], off, off offset:192 ; 16-byte Folded Reload
	s_waitcnt vmcnt(0)
	v_mul_f64 v[132:133], v[134:135], v[66:67]
	v_mul_f64 v[66:67], v[136:137], v[66:67]
	s_delay_alu instid0(VALU_DEP_2) | instskip(NEXT) | instid1(VALU_DEP_2)
	v_fma_f64 v[132:133], v[136:137], v[64:65], v[132:133]
	v_fma_f64 v[64:65], v[134:135], v[64:65], -v[66:67]
	ds_load_2addr_b64 v[134:137], v150 offset0:34 offset1:35
	s_waitcnt lgkmcnt(0)
	v_mul_f64 v[66:67], v[136:137], v[132:133]
	s_delay_alu instid0(VALU_DEP_1) | instskip(SKIP_1) | instid1(VALU_DEP_2)
	v_fma_f64 v[66:67], v[134:135], v[64:65], -v[66:67]
	v_mul_f64 v[134:135], v[134:135], v[132:133]
	v_add_f64 v[60:61], v[60:61], -v[66:67]
	s_delay_alu instid0(VALU_DEP_2) | instskip(NEXT) | instid1(VALU_DEP_1)
	v_fma_f64 v[134:135], v[136:137], v[64:65], v[134:135]
	v_add_f64 v[62:63], v[62:63], -v[134:135]
	ds_load_2addr_b64 v[134:137], v150 offset0:36 offset1:37
	s_waitcnt lgkmcnt(0)
	v_mul_f64 v[66:67], v[136:137], v[132:133]
	s_delay_alu instid0(VALU_DEP_1) | instskip(SKIP_1) | instid1(VALU_DEP_2)
	v_fma_f64 v[66:67], v[134:135], v[64:65], -v[66:67]
	v_mul_f64 v[134:135], v[134:135], v[132:133]
	v_add_f64 v[56:57], v[56:57], -v[66:67]
	s_delay_alu instid0(VALU_DEP_2) | instskip(NEXT) | instid1(VALU_DEP_1)
	v_fma_f64 v[134:135], v[136:137], v[64:65], v[134:135]
	v_add_f64 v[58:59], v[58:59], -v[134:135]
	ds_load_2addr_b64 v[134:137], v150 offset0:38 offset1:39
	s_waitcnt lgkmcnt(0)
	v_mul_f64 v[66:67], v[136:137], v[132:133]
	s_delay_alu instid0(VALU_DEP_1) | instskip(SKIP_1) | instid1(VALU_DEP_2)
	v_fma_f64 v[66:67], v[134:135], v[64:65], -v[66:67]
	v_mul_f64 v[134:135], v[134:135], v[132:133]
	v_add_f64 v[52:53], v[52:53], -v[66:67]
	s_delay_alu instid0(VALU_DEP_2) | instskip(NEXT) | instid1(VALU_DEP_1)
	v_fma_f64 v[134:135], v[136:137], v[64:65], v[134:135]
	v_add_f64 v[54:55], v[54:55], -v[134:135]
	ds_load_2addr_b64 v[134:137], v150 offset0:40 offset1:41
	s_waitcnt lgkmcnt(0)
	v_mul_f64 v[66:67], v[136:137], v[132:133]
	s_delay_alu instid0(VALU_DEP_1) | instskip(SKIP_1) | instid1(VALU_DEP_2)
	v_fma_f64 v[66:67], v[134:135], v[64:65], -v[66:67]
	v_mul_f64 v[134:135], v[134:135], v[132:133]
	v_add_f64 v[48:49], v[48:49], -v[66:67]
	s_delay_alu instid0(VALU_DEP_2) | instskip(NEXT) | instid1(VALU_DEP_1)
	v_fma_f64 v[134:135], v[136:137], v[64:65], v[134:135]
	v_add_f64 v[50:51], v[50:51], -v[134:135]
	ds_load_2addr_b64 v[134:137], v150 offset0:42 offset1:43
	s_waitcnt lgkmcnt(0)
	v_mul_f64 v[66:67], v[136:137], v[132:133]
	s_delay_alu instid0(VALU_DEP_1) | instskip(SKIP_1) | instid1(VALU_DEP_2)
	v_fma_f64 v[66:67], v[134:135], v[64:65], -v[66:67]
	v_mul_f64 v[134:135], v[134:135], v[132:133]
	v_add_f64 v[44:45], v[44:45], -v[66:67]
	s_delay_alu instid0(VALU_DEP_2) | instskip(NEXT) | instid1(VALU_DEP_1)
	v_fma_f64 v[134:135], v[136:137], v[64:65], v[134:135]
	v_add_f64 v[46:47], v[46:47], -v[134:135]
	ds_load_2addr_b64 v[134:137], v150 offset0:44 offset1:45
	s_waitcnt lgkmcnt(0)
	v_mul_f64 v[66:67], v[136:137], v[132:133]
	s_delay_alu instid0(VALU_DEP_1) | instskip(SKIP_1) | instid1(VALU_DEP_2)
	v_fma_f64 v[66:67], v[134:135], v[64:65], -v[66:67]
	v_mul_f64 v[134:135], v[134:135], v[132:133]
	v_add_f64 v[40:41], v[40:41], -v[66:67]
	s_delay_alu instid0(VALU_DEP_2) | instskip(NEXT) | instid1(VALU_DEP_1)
	v_fma_f64 v[134:135], v[136:137], v[64:65], v[134:135]
	v_add_f64 v[42:43], v[42:43], -v[134:135]
	ds_load_2addr_b64 v[134:137], v150 offset0:46 offset1:47
	s_waitcnt lgkmcnt(0)
	v_mul_f64 v[66:67], v[136:137], v[132:133]
	s_delay_alu instid0(VALU_DEP_1) | instskip(SKIP_1) | instid1(VALU_DEP_2)
	v_fma_f64 v[66:67], v[134:135], v[64:65], -v[66:67]
	v_mul_f64 v[134:135], v[134:135], v[132:133]
	v_add_f64 v[36:37], v[36:37], -v[66:67]
	s_delay_alu instid0(VALU_DEP_2) | instskip(NEXT) | instid1(VALU_DEP_1)
	v_fma_f64 v[134:135], v[136:137], v[64:65], v[134:135]
	v_add_f64 v[38:39], v[38:39], -v[134:135]
	ds_load_2addr_b64 v[134:137], v150 offset0:48 offset1:49
	s_waitcnt lgkmcnt(0)
	v_mul_f64 v[66:67], v[136:137], v[132:133]
	s_delay_alu instid0(VALU_DEP_1) | instskip(SKIP_1) | instid1(VALU_DEP_2)
	v_fma_f64 v[66:67], v[134:135], v[64:65], -v[66:67]
	v_mul_f64 v[134:135], v[134:135], v[132:133]
	v_add_f64 v[32:33], v[32:33], -v[66:67]
	s_delay_alu instid0(VALU_DEP_2) | instskip(NEXT) | instid1(VALU_DEP_1)
	v_fma_f64 v[134:135], v[136:137], v[64:65], v[134:135]
	v_add_f64 v[34:35], v[34:35], -v[134:135]
	ds_load_2addr_b64 v[134:137], v150 offset0:50 offset1:51
	s_waitcnt lgkmcnt(0)
	v_mul_f64 v[66:67], v[136:137], v[132:133]
	s_delay_alu instid0(VALU_DEP_1) | instskip(SKIP_1) | instid1(VALU_DEP_2)
	v_fma_f64 v[66:67], v[134:135], v[64:65], -v[66:67]
	v_mul_f64 v[134:135], v[134:135], v[132:133]
	v_add_f64 v[28:29], v[28:29], -v[66:67]
	s_delay_alu instid0(VALU_DEP_2) | instskip(NEXT) | instid1(VALU_DEP_1)
	v_fma_f64 v[134:135], v[136:137], v[64:65], v[134:135]
	v_add_f64 v[30:31], v[30:31], -v[134:135]
	ds_load_2addr_b64 v[134:137], v150 offset0:52 offset1:53
	s_waitcnt lgkmcnt(0)
	v_mul_f64 v[66:67], v[136:137], v[132:133]
	s_delay_alu instid0(VALU_DEP_1) | instskip(SKIP_1) | instid1(VALU_DEP_2)
	v_fma_f64 v[66:67], v[134:135], v[64:65], -v[66:67]
	v_mul_f64 v[134:135], v[134:135], v[132:133]
	v_add_f64 v[24:25], v[24:25], -v[66:67]
	s_delay_alu instid0(VALU_DEP_2) | instskip(NEXT) | instid1(VALU_DEP_1)
	v_fma_f64 v[134:135], v[136:137], v[64:65], v[134:135]
	v_add_f64 v[26:27], v[26:27], -v[134:135]
	ds_load_2addr_b64 v[134:137], v150 offset0:54 offset1:55
	s_waitcnt lgkmcnt(0)
	v_mul_f64 v[66:67], v[136:137], v[132:133]
	s_delay_alu instid0(VALU_DEP_1) | instskip(SKIP_1) | instid1(VALU_DEP_2)
	v_fma_f64 v[66:67], v[134:135], v[64:65], -v[66:67]
	v_mul_f64 v[134:135], v[134:135], v[132:133]
	v_add_f64 v[20:21], v[20:21], -v[66:67]
	s_delay_alu instid0(VALU_DEP_2) | instskip(NEXT) | instid1(VALU_DEP_1)
	v_fma_f64 v[134:135], v[136:137], v[64:65], v[134:135]
	v_add_f64 v[22:23], v[22:23], -v[134:135]
	ds_load_2addr_b64 v[134:137], v150 offset0:56 offset1:57
	s_waitcnt lgkmcnt(0)
	v_mul_f64 v[66:67], v[136:137], v[132:133]
	s_delay_alu instid0(VALU_DEP_1) | instskip(SKIP_1) | instid1(VALU_DEP_2)
	v_fma_f64 v[66:67], v[134:135], v[64:65], -v[66:67]
	v_mul_f64 v[134:135], v[134:135], v[132:133]
	v_add_f64 v[16:17], v[16:17], -v[66:67]
	s_delay_alu instid0(VALU_DEP_2) | instskip(NEXT) | instid1(VALU_DEP_1)
	v_fma_f64 v[134:135], v[136:137], v[64:65], v[134:135]
	v_add_f64 v[18:19], v[18:19], -v[134:135]
	ds_load_2addr_b64 v[134:137], v150 offset0:58 offset1:59
	s_waitcnt lgkmcnt(0)
	v_mul_f64 v[66:67], v[136:137], v[132:133]
	s_delay_alu instid0(VALU_DEP_1) | instskip(SKIP_1) | instid1(VALU_DEP_2)
	v_fma_f64 v[66:67], v[134:135], v[64:65], -v[66:67]
	v_mul_f64 v[134:135], v[134:135], v[132:133]
	v_add_f64 v[12:13], v[12:13], -v[66:67]
	s_delay_alu instid0(VALU_DEP_2) | instskip(NEXT) | instid1(VALU_DEP_1)
	v_fma_f64 v[134:135], v[136:137], v[64:65], v[134:135]
	v_add_f64 v[14:15], v[14:15], -v[134:135]
	ds_load_2addr_b64 v[134:137], v150 offset0:60 offset1:61
	s_waitcnt lgkmcnt(0)
	v_mul_f64 v[66:67], v[136:137], v[132:133]
	s_delay_alu instid0(VALU_DEP_1) | instskip(SKIP_1) | instid1(VALU_DEP_2)
	v_fma_f64 v[66:67], v[134:135], v[64:65], -v[66:67]
	v_mul_f64 v[134:135], v[134:135], v[132:133]
	v_add_f64 v[8:9], v[8:9], -v[66:67]
	s_delay_alu instid0(VALU_DEP_2) | instskip(NEXT) | instid1(VALU_DEP_1)
	v_fma_f64 v[134:135], v[136:137], v[64:65], v[134:135]
	v_add_f64 v[10:11], v[10:11], -v[134:135]
	ds_load_2addr_b64 v[134:137], v150 offset0:62 offset1:63
	s_waitcnt lgkmcnt(0)
	v_mul_f64 v[66:67], v[136:137], v[132:133]
	s_delay_alu instid0(VALU_DEP_1) | instskip(SKIP_1) | instid1(VALU_DEP_2)
	v_fma_f64 v[66:67], v[134:135], v[64:65], -v[66:67]
	v_mul_f64 v[134:135], v[134:135], v[132:133]
	v_add_f64 v[4:5], v[4:5], -v[66:67]
	s_delay_alu instid0(VALU_DEP_2) | instskip(NEXT) | instid1(VALU_DEP_1)
	v_fma_f64 v[134:135], v[136:137], v[64:65], v[134:135]
	v_add_f64 v[6:7], v[6:7], -v[134:135]
	ds_load_2addr_b64 v[134:137], v150 offset0:64 offset1:65
	s_waitcnt lgkmcnt(0)
	v_mul_f64 v[66:67], v[136:137], v[132:133]
	s_delay_alu instid0(VALU_DEP_1) | instskip(SKIP_1) | instid1(VALU_DEP_2)
	v_fma_f64 v[66:67], v[134:135], v[64:65], -v[66:67]
	v_mul_f64 v[134:135], v[134:135], v[132:133]
	v_add_f64 v[0:1], v[0:1], -v[66:67]
	s_delay_alu instid0(VALU_DEP_2) | instskip(SKIP_1) | instid1(VALU_DEP_2)
	v_fma_f64 v[134:135], v[136:137], v[64:65], v[134:135]
	v_dual_mov_b32 v66, v132 :: v_dual_mov_b32 v67, v133
	v_add_f64 v[2:3], v[2:3], -v[134:135]
.LBB65_154:
	s_or_b32 exec_lo, exec_lo, s3
	s_delay_alu instid0(SALU_CYCLE_1)
	s_mov_b32 s4, exec_lo
	s_waitcnt_vscnt null, 0x0
	s_barrier
	buffer_gl0_inv
	v_cmpx_eq_u32_e32 17, v140
	s_cbranch_execz .LBB65_161
; %bb.155:
	ds_store_2addr_b64 v141, v[60:61], v[62:63] offset1:1
	ds_store_2addr_b64 v150, v[56:57], v[58:59] offset0:36 offset1:37
	ds_store_2addr_b64 v150, v[52:53], v[54:55] offset0:38 offset1:39
	;; [unrolled: 1-line block ×15, first 2 shown]
	ds_load_2addr_b64 v[132:135], v141 offset1:1
	s_waitcnt lgkmcnt(0)
	v_cmp_neq_f64_e32 vcc_lo, 0, v[132:133]
	v_cmp_neq_f64_e64 s3, 0, v[134:135]
	s_delay_alu instid0(VALU_DEP_1) | instskip(NEXT) | instid1(SALU_CYCLE_1)
	s_or_b32 s3, vcc_lo, s3
	s_and_b32 exec_lo, exec_lo, s3
	s_cbranch_execz .LBB65_161
; %bb.156:
	v_cmp_gt_f64_e32 vcc_lo, 0, v[132:133]
	v_xor_b32_e32 v136, 0x80000000, v133
	v_xor_b32_e32 v138, 0x80000000, v135
	s_mov_b32 s3, exec_lo
                                        ; implicit-def: $vgpr144_vgpr145
	s_delay_alu instid0(VALU_DEP_2) | instskip(SKIP_4) | instid1(VALU_DEP_1)
	v_cndmask_b32_e32 v137, v133, v136, vcc_lo
	v_cndmask_b32_e32 v136, v132, v132, vcc_lo
	v_cmp_gt_f64_e32 vcc_lo, 0, v[134:135]
	v_cndmask_b32_e32 v139, v135, v138, vcc_lo
	v_cndmask_b32_e32 v138, v134, v134, vcc_lo
	v_cmpx_ngt_f64_e32 v[136:137], v[138:139]
	s_xor_b32 s3, exec_lo, s3
                                        ; implicit-def: $vgpr136_vgpr137_vgpr138_vgpr139
	s_cbranch_execz .LBB65_158
; %bb.157:
	v_div_scale_f64 v[136:137], null, v[134:135], v[134:135], v[132:133]
	v_div_scale_f64 v[148:149], vcc_lo, v[132:133], v[134:135], v[132:133]
	s_delay_alu instid0(VALU_DEP_2) | instskip(SKIP_2) | instid1(VALU_DEP_1)
	v_rcp_f64_e32 v[138:139], v[136:137]
	s_waitcnt_depctr 0xfff
	v_fma_f64 v[144:145], -v[136:137], v[138:139], 1.0
	v_fma_f64 v[138:139], v[138:139], v[144:145], v[138:139]
	s_delay_alu instid0(VALU_DEP_1) | instskip(NEXT) | instid1(VALU_DEP_1)
	v_fma_f64 v[144:145], -v[136:137], v[138:139], 1.0
	v_fma_f64 v[138:139], v[138:139], v[144:145], v[138:139]
	s_delay_alu instid0(VALU_DEP_1) | instskip(NEXT) | instid1(VALU_DEP_1)
	v_mul_f64 v[144:145], v[148:149], v[138:139]
	v_fma_f64 v[136:137], -v[136:137], v[144:145], v[148:149]
	s_delay_alu instid0(VALU_DEP_1) | instskip(NEXT) | instid1(VALU_DEP_1)
	v_div_fmas_f64 v[136:137], v[136:137], v[138:139], v[144:145]
	v_div_fixup_f64 v[136:137], v[136:137], v[134:135], v[132:133]
	s_delay_alu instid0(VALU_DEP_1) | instskip(NEXT) | instid1(VALU_DEP_1)
	v_fma_f64 v[132:133], v[132:133], v[136:137], v[134:135]
	v_div_scale_f64 v[134:135], null, v[132:133], v[132:133], 1.0
	s_delay_alu instid0(VALU_DEP_1) | instskip(SKIP_2) | instid1(VALU_DEP_1)
	v_rcp_f64_e32 v[138:139], v[134:135]
	s_waitcnt_depctr 0xfff
	v_fma_f64 v[144:145], -v[134:135], v[138:139], 1.0
	v_fma_f64 v[138:139], v[138:139], v[144:145], v[138:139]
	s_delay_alu instid0(VALU_DEP_1) | instskip(NEXT) | instid1(VALU_DEP_1)
	v_fma_f64 v[144:145], -v[134:135], v[138:139], 1.0
	v_fma_f64 v[138:139], v[138:139], v[144:145], v[138:139]
	v_div_scale_f64 v[144:145], vcc_lo, 1.0, v[132:133], 1.0
	s_delay_alu instid0(VALU_DEP_1) | instskip(NEXT) | instid1(VALU_DEP_1)
	v_mul_f64 v[148:149], v[144:145], v[138:139]
	v_fma_f64 v[134:135], -v[134:135], v[148:149], v[144:145]
	s_delay_alu instid0(VALU_DEP_1) | instskip(NEXT) | instid1(VALU_DEP_1)
	v_div_fmas_f64 v[134:135], v[134:135], v[138:139], v[148:149]
	v_div_fixup_f64 v[138:139], v[134:135], v[132:133], 1.0
                                        ; implicit-def: $vgpr132_vgpr133
	s_delay_alu instid0(VALU_DEP_1)
	v_mul_f64 v[144:145], v[136:137], v[138:139]
	v_xor_b32_e32 v139, 0x80000000, v139
.LBB65_158:
	s_and_not1_saveexec_b32 s3, s3
	s_cbranch_execz .LBB65_160
; %bb.159:
	v_div_scale_f64 v[136:137], null, v[132:133], v[132:133], v[134:135]
	v_div_scale_f64 v[148:149], vcc_lo, v[134:135], v[132:133], v[134:135]
	s_delay_alu instid0(VALU_DEP_2) | instskip(SKIP_2) | instid1(VALU_DEP_1)
	v_rcp_f64_e32 v[138:139], v[136:137]
	s_waitcnt_depctr 0xfff
	v_fma_f64 v[144:145], -v[136:137], v[138:139], 1.0
	v_fma_f64 v[138:139], v[138:139], v[144:145], v[138:139]
	s_delay_alu instid0(VALU_DEP_1) | instskip(NEXT) | instid1(VALU_DEP_1)
	v_fma_f64 v[144:145], -v[136:137], v[138:139], 1.0
	v_fma_f64 v[138:139], v[138:139], v[144:145], v[138:139]
	s_delay_alu instid0(VALU_DEP_1) | instskip(NEXT) | instid1(VALU_DEP_1)
	v_mul_f64 v[144:145], v[148:149], v[138:139]
	v_fma_f64 v[136:137], -v[136:137], v[144:145], v[148:149]
	s_delay_alu instid0(VALU_DEP_1) | instskip(NEXT) | instid1(VALU_DEP_1)
	v_div_fmas_f64 v[136:137], v[136:137], v[138:139], v[144:145]
	v_div_fixup_f64 v[136:137], v[136:137], v[132:133], v[134:135]
	s_delay_alu instid0(VALU_DEP_1) | instskip(NEXT) | instid1(VALU_DEP_1)
	v_fma_f64 v[132:133], v[134:135], v[136:137], v[132:133]
	v_div_scale_f64 v[134:135], null, v[132:133], v[132:133], 1.0
	s_delay_alu instid0(VALU_DEP_1) | instskip(SKIP_2) | instid1(VALU_DEP_1)
	v_rcp_f64_e32 v[138:139], v[134:135]
	s_waitcnt_depctr 0xfff
	v_fma_f64 v[144:145], -v[134:135], v[138:139], 1.0
	v_fma_f64 v[138:139], v[138:139], v[144:145], v[138:139]
	s_delay_alu instid0(VALU_DEP_1) | instskip(NEXT) | instid1(VALU_DEP_1)
	v_fma_f64 v[144:145], -v[134:135], v[138:139], 1.0
	v_fma_f64 v[138:139], v[138:139], v[144:145], v[138:139]
	v_div_scale_f64 v[144:145], vcc_lo, 1.0, v[132:133], 1.0
	s_delay_alu instid0(VALU_DEP_1) | instskip(NEXT) | instid1(VALU_DEP_1)
	v_mul_f64 v[148:149], v[144:145], v[138:139]
	v_fma_f64 v[134:135], -v[134:135], v[148:149], v[144:145]
	s_delay_alu instid0(VALU_DEP_1) | instskip(NEXT) | instid1(VALU_DEP_1)
	v_div_fmas_f64 v[134:135], v[134:135], v[138:139], v[148:149]
	v_div_fixup_f64 v[144:145], v[134:135], v[132:133], 1.0
	s_delay_alu instid0(VALU_DEP_1)
	v_mul_f64 v[138:139], v[136:137], -v[144:145]
.LBB65_160:
	s_or_b32 exec_lo, exec_lo, s3
	ds_store_2addr_b64 v141, v[144:145], v[138:139] offset1:1
.LBB65_161:
	s_or_b32 exec_lo, exec_lo, s4
	s_waitcnt lgkmcnt(0)
	s_barrier
	buffer_gl0_inv
	ds_load_2addr_b64 v[132:135], v141 offset1:1
	s_mov_b32 s3, exec_lo
	s_waitcnt lgkmcnt(0)
	scratch_store_b128 off, v[132:135], off offset:208 ; 16-byte Folded Spill
	v_cmpx_lt_u32_e32 17, v140
	s_cbranch_execz .LBB65_163
; %bb.162:
	scratch_load_b128 v[134:137], off, off offset:208 ; 16-byte Folded Reload
	s_waitcnt vmcnt(0)
	v_mul_f64 v[132:133], v[134:135], v[62:63]
	v_mul_f64 v[62:63], v[136:137], v[62:63]
	s_delay_alu instid0(VALU_DEP_2) | instskip(NEXT) | instid1(VALU_DEP_2)
	v_fma_f64 v[132:133], v[136:137], v[60:61], v[132:133]
	v_fma_f64 v[60:61], v[134:135], v[60:61], -v[62:63]
	ds_load_2addr_b64 v[134:137], v150 offset0:36 offset1:37
	s_waitcnt lgkmcnt(0)
	v_mul_f64 v[62:63], v[136:137], v[132:133]
	s_delay_alu instid0(VALU_DEP_1) | instskip(SKIP_1) | instid1(VALU_DEP_2)
	v_fma_f64 v[62:63], v[134:135], v[60:61], -v[62:63]
	v_mul_f64 v[134:135], v[134:135], v[132:133]
	v_add_f64 v[56:57], v[56:57], -v[62:63]
	s_delay_alu instid0(VALU_DEP_2) | instskip(NEXT) | instid1(VALU_DEP_1)
	v_fma_f64 v[134:135], v[136:137], v[60:61], v[134:135]
	v_add_f64 v[58:59], v[58:59], -v[134:135]
	ds_load_2addr_b64 v[134:137], v150 offset0:38 offset1:39
	s_waitcnt lgkmcnt(0)
	v_mul_f64 v[62:63], v[136:137], v[132:133]
	s_delay_alu instid0(VALU_DEP_1) | instskip(SKIP_1) | instid1(VALU_DEP_2)
	v_fma_f64 v[62:63], v[134:135], v[60:61], -v[62:63]
	v_mul_f64 v[134:135], v[134:135], v[132:133]
	v_add_f64 v[52:53], v[52:53], -v[62:63]
	s_delay_alu instid0(VALU_DEP_2) | instskip(NEXT) | instid1(VALU_DEP_1)
	v_fma_f64 v[134:135], v[136:137], v[60:61], v[134:135]
	v_add_f64 v[54:55], v[54:55], -v[134:135]
	ds_load_2addr_b64 v[134:137], v150 offset0:40 offset1:41
	s_waitcnt lgkmcnt(0)
	v_mul_f64 v[62:63], v[136:137], v[132:133]
	s_delay_alu instid0(VALU_DEP_1) | instskip(SKIP_1) | instid1(VALU_DEP_2)
	v_fma_f64 v[62:63], v[134:135], v[60:61], -v[62:63]
	v_mul_f64 v[134:135], v[134:135], v[132:133]
	v_add_f64 v[48:49], v[48:49], -v[62:63]
	s_delay_alu instid0(VALU_DEP_2) | instskip(NEXT) | instid1(VALU_DEP_1)
	v_fma_f64 v[134:135], v[136:137], v[60:61], v[134:135]
	v_add_f64 v[50:51], v[50:51], -v[134:135]
	ds_load_2addr_b64 v[134:137], v150 offset0:42 offset1:43
	s_waitcnt lgkmcnt(0)
	v_mul_f64 v[62:63], v[136:137], v[132:133]
	s_delay_alu instid0(VALU_DEP_1) | instskip(SKIP_1) | instid1(VALU_DEP_2)
	v_fma_f64 v[62:63], v[134:135], v[60:61], -v[62:63]
	v_mul_f64 v[134:135], v[134:135], v[132:133]
	v_add_f64 v[44:45], v[44:45], -v[62:63]
	s_delay_alu instid0(VALU_DEP_2) | instskip(NEXT) | instid1(VALU_DEP_1)
	v_fma_f64 v[134:135], v[136:137], v[60:61], v[134:135]
	v_add_f64 v[46:47], v[46:47], -v[134:135]
	ds_load_2addr_b64 v[134:137], v150 offset0:44 offset1:45
	s_waitcnt lgkmcnt(0)
	v_mul_f64 v[62:63], v[136:137], v[132:133]
	s_delay_alu instid0(VALU_DEP_1) | instskip(SKIP_1) | instid1(VALU_DEP_2)
	v_fma_f64 v[62:63], v[134:135], v[60:61], -v[62:63]
	v_mul_f64 v[134:135], v[134:135], v[132:133]
	v_add_f64 v[40:41], v[40:41], -v[62:63]
	s_delay_alu instid0(VALU_DEP_2) | instskip(NEXT) | instid1(VALU_DEP_1)
	v_fma_f64 v[134:135], v[136:137], v[60:61], v[134:135]
	v_add_f64 v[42:43], v[42:43], -v[134:135]
	ds_load_2addr_b64 v[134:137], v150 offset0:46 offset1:47
	s_waitcnt lgkmcnt(0)
	v_mul_f64 v[62:63], v[136:137], v[132:133]
	s_delay_alu instid0(VALU_DEP_1) | instskip(SKIP_1) | instid1(VALU_DEP_2)
	v_fma_f64 v[62:63], v[134:135], v[60:61], -v[62:63]
	v_mul_f64 v[134:135], v[134:135], v[132:133]
	v_add_f64 v[36:37], v[36:37], -v[62:63]
	s_delay_alu instid0(VALU_DEP_2) | instskip(NEXT) | instid1(VALU_DEP_1)
	v_fma_f64 v[134:135], v[136:137], v[60:61], v[134:135]
	v_add_f64 v[38:39], v[38:39], -v[134:135]
	ds_load_2addr_b64 v[134:137], v150 offset0:48 offset1:49
	s_waitcnt lgkmcnt(0)
	v_mul_f64 v[62:63], v[136:137], v[132:133]
	s_delay_alu instid0(VALU_DEP_1) | instskip(SKIP_1) | instid1(VALU_DEP_2)
	v_fma_f64 v[62:63], v[134:135], v[60:61], -v[62:63]
	v_mul_f64 v[134:135], v[134:135], v[132:133]
	v_add_f64 v[32:33], v[32:33], -v[62:63]
	s_delay_alu instid0(VALU_DEP_2) | instskip(NEXT) | instid1(VALU_DEP_1)
	v_fma_f64 v[134:135], v[136:137], v[60:61], v[134:135]
	v_add_f64 v[34:35], v[34:35], -v[134:135]
	ds_load_2addr_b64 v[134:137], v150 offset0:50 offset1:51
	s_waitcnt lgkmcnt(0)
	v_mul_f64 v[62:63], v[136:137], v[132:133]
	s_delay_alu instid0(VALU_DEP_1) | instskip(SKIP_1) | instid1(VALU_DEP_2)
	v_fma_f64 v[62:63], v[134:135], v[60:61], -v[62:63]
	v_mul_f64 v[134:135], v[134:135], v[132:133]
	v_add_f64 v[28:29], v[28:29], -v[62:63]
	s_delay_alu instid0(VALU_DEP_2) | instskip(NEXT) | instid1(VALU_DEP_1)
	v_fma_f64 v[134:135], v[136:137], v[60:61], v[134:135]
	v_add_f64 v[30:31], v[30:31], -v[134:135]
	ds_load_2addr_b64 v[134:137], v150 offset0:52 offset1:53
	s_waitcnt lgkmcnt(0)
	v_mul_f64 v[62:63], v[136:137], v[132:133]
	s_delay_alu instid0(VALU_DEP_1) | instskip(SKIP_1) | instid1(VALU_DEP_2)
	v_fma_f64 v[62:63], v[134:135], v[60:61], -v[62:63]
	v_mul_f64 v[134:135], v[134:135], v[132:133]
	v_add_f64 v[24:25], v[24:25], -v[62:63]
	s_delay_alu instid0(VALU_DEP_2) | instskip(NEXT) | instid1(VALU_DEP_1)
	v_fma_f64 v[134:135], v[136:137], v[60:61], v[134:135]
	v_add_f64 v[26:27], v[26:27], -v[134:135]
	ds_load_2addr_b64 v[134:137], v150 offset0:54 offset1:55
	s_waitcnt lgkmcnt(0)
	v_mul_f64 v[62:63], v[136:137], v[132:133]
	s_delay_alu instid0(VALU_DEP_1) | instskip(SKIP_1) | instid1(VALU_DEP_2)
	v_fma_f64 v[62:63], v[134:135], v[60:61], -v[62:63]
	v_mul_f64 v[134:135], v[134:135], v[132:133]
	v_add_f64 v[20:21], v[20:21], -v[62:63]
	s_delay_alu instid0(VALU_DEP_2) | instskip(NEXT) | instid1(VALU_DEP_1)
	v_fma_f64 v[134:135], v[136:137], v[60:61], v[134:135]
	v_add_f64 v[22:23], v[22:23], -v[134:135]
	ds_load_2addr_b64 v[134:137], v150 offset0:56 offset1:57
	s_waitcnt lgkmcnt(0)
	v_mul_f64 v[62:63], v[136:137], v[132:133]
	s_delay_alu instid0(VALU_DEP_1) | instskip(SKIP_1) | instid1(VALU_DEP_2)
	v_fma_f64 v[62:63], v[134:135], v[60:61], -v[62:63]
	v_mul_f64 v[134:135], v[134:135], v[132:133]
	v_add_f64 v[16:17], v[16:17], -v[62:63]
	s_delay_alu instid0(VALU_DEP_2) | instskip(NEXT) | instid1(VALU_DEP_1)
	v_fma_f64 v[134:135], v[136:137], v[60:61], v[134:135]
	v_add_f64 v[18:19], v[18:19], -v[134:135]
	ds_load_2addr_b64 v[134:137], v150 offset0:58 offset1:59
	s_waitcnt lgkmcnt(0)
	v_mul_f64 v[62:63], v[136:137], v[132:133]
	s_delay_alu instid0(VALU_DEP_1) | instskip(SKIP_1) | instid1(VALU_DEP_2)
	v_fma_f64 v[62:63], v[134:135], v[60:61], -v[62:63]
	v_mul_f64 v[134:135], v[134:135], v[132:133]
	v_add_f64 v[12:13], v[12:13], -v[62:63]
	s_delay_alu instid0(VALU_DEP_2) | instskip(NEXT) | instid1(VALU_DEP_1)
	v_fma_f64 v[134:135], v[136:137], v[60:61], v[134:135]
	v_add_f64 v[14:15], v[14:15], -v[134:135]
	ds_load_2addr_b64 v[134:137], v150 offset0:60 offset1:61
	s_waitcnt lgkmcnt(0)
	v_mul_f64 v[62:63], v[136:137], v[132:133]
	s_delay_alu instid0(VALU_DEP_1) | instskip(SKIP_1) | instid1(VALU_DEP_2)
	v_fma_f64 v[62:63], v[134:135], v[60:61], -v[62:63]
	v_mul_f64 v[134:135], v[134:135], v[132:133]
	v_add_f64 v[8:9], v[8:9], -v[62:63]
	s_delay_alu instid0(VALU_DEP_2) | instskip(NEXT) | instid1(VALU_DEP_1)
	v_fma_f64 v[134:135], v[136:137], v[60:61], v[134:135]
	v_add_f64 v[10:11], v[10:11], -v[134:135]
	ds_load_2addr_b64 v[134:137], v150 offset0:62 offset1:63
	s_waitcnt lgkmcnt(0)
	v_mul_f64 v[62:63], v[136:137], v[132:133]
	s_delay_alu instid0(VALU_DEP_1) | instskip(SKIP_1) | instid1(VALU_DEP_2)
	v_fma_f64 v[62:63], v[134:135], v[60:61], -v[62:63]
	v_mul_f64 v[134:135], v[134:135], v[132:133]
	v_add_f64 v[4:5], v[4:5], -v[62:63]
	s_delay_alu instid0(VALU_DEP_2) | instskip(NEXT) | instid1(VALU_DEP_1)
	v_fma_f64 v[134:135], v[136:137], v[60:61], v[134:135]
	v_add_f64 v[6:7], v[6:7], -v[134:135]
	ds_load_2addr_b64 v[134:137], v150 offset0:64 offset1:65
	s_waitcnt lgkmcnt(0)
	v_mul_f64 v[62:63], v[136:137], v[132:133]
	s_delay_alu instid0(VALU_DEP_1) | instskip(SKIP_1) | instid1(VALU_DEP_2)
	v_fma_f64 v[62:63], v[134:135], v[60:61], -v[62:63]
	v_mul_f64 v[134:135], v[134:135], v[132:133]
	v_add_f64 v[0:1], v[0:1], -v[62:63]
	s_delay_alu instid0(VALU_DEP_2) | instskip(SKIP_1) | instid1(VALU_DEP_2)
	v_fma_f64 v[134:135], v[136:137], v[60:61], v[134:135]
	v_dual_mov_b32 v62, v132 :: v_dual_mov_b32 v63, v133
	v_add_f64 v[2:3], v[2:3], -v[134:135]
.LBB65_163:
	s_or_b32 exec_lo, exec_lo, s3
	s_delay_alu instid0(SALU_CYCLE_1)
	s_mov_b32 s4, exec_lo
	s_waitcnt_vscnt null, 0x0
	s_barrier
	buffer_gl0_inv
	v_cmpx_eq_u32_e32 18, v140
	s_cbranch_execz .LBB65_170
; %bb.164:
	ds_store_2addr_b64 v141, v[56:57], v[58:59] offset1:1
	ds_store_2addr_b64 v150, v[52:53], v[54:55] offset0:38 offset1:39
	ds_store_2addr_b64 v150, v[48:49], v[50:51] offset0:40 offset1:41
	;; [unrolled: 1-line block ×14, first 2 shown]
	ds_load_2addr_b64 v[132:135], v141 offset1:1
	s_waitcnt lgkmcnt(0)
	v_cmp_neq_f64_e32 vcc_lo, 0, v[132:133]
	v_cmp_neq_f64_e64 s3, 0, v[134:135]
	s_delay_alu instid0(VALU_DEP_1) | instskip(NEXT) | instid1(SALU_CYCLE_1)
	s_or_b32 s3, vcc_lo, s3
	s_and_b32 exec_lo, exec_lo, s3
	s_cbranch_execz .LBB65_170
; %bb.165:
	v_cmp_gt_f64_e32 vcc_lo, 0, v[132:133]
	v_xor_b32_e32 v136, 0x80000000, v133
	v_xor_b32_e32 v138, 0x80000000, v135
	s_mov_b32 s3, exec_lo
                                        ; implicit-def: $vgpr144_vgpr145
	s_delay_alu instid0(VALU_DEP_2) | instskip(SKIP_4) | instid1(VALU_DEP_1)
	v_cndmask_b32_e32 v137, v133, v136, vcc_lo
	v_cndmask_b32_e32 v136, v132, v132, vcc_lo
	v_cmp_gt_f64_e32 vcc_lo, 0, v[134:135]
	v_cndmask_b32_e32 v139, v135, v138, vcc_lo
	v_cndmask_b32_e32 v138, v134, v134, vcc_lo
	v_cmpx_ngt_f64_e32 v[136:137], v[138:139]
	s_xor_b32 s3, exec_lo, s3
                                        ; implicit-def: $vgpr136_vgpr137_vgpr138_vgpr139
	s_cbranch_execz .LBB65_167
; %bb.166:
	v_div_scale_f64 v[136:137], null, v[134:135], v[134:135], v[132:133]
	v_div_scale_f64 v[148:149], vcc_lo, v[132:133], v[134:135], v[132:133]
	s_delay_alu instid0(VALU_DEP_2) | instskip(SKIP_2) | instid1(VALU_DEP_1)
	v_rcp_f64_e32 v[138:139], v[136:137]
	s_waitcnt_depctr 0xfff
	v_fma_f64 v[144:145], -v[136:137], v[138:139], 1.0
	v_fma_f64 v[138:139], v[138:139], v[144:145], v[138:139]
	s_delay_alu instid0(VALU_DEP_1) | instskip(NEXT) | instid1(VALU_DEP_1)
	v_fma_f64 v[144:145], -v[136:137], v[138:139], 1.0
	v_fma_f64 v[138:139], v[138:139], v[144:145], v[138:139]
	s_delay_alu instid0(VALU_DEP_1) | instskip(NEXT) | instid1(VALU_DEP_1)
	v_mul_f64 v[144:145], v[148:149], v[138:139]
	v_fma_f64 v[136:137], -v[136:137], v[144:145], v[148:149]
	s_delay_alu instid0(VALU_DEP_1) | instskip(NEXT) | instid1(VALU_DEP_1)
	v_div_fmas_f64 v[136:137], v[136:137], v[138:139], v[144:145]
	v_div_fixup_f64 v[136:137], v[136:137], v[134:135], v[132:133]
	s_delay_alu instid0(VALU_DEP_1) | instskip(NEXT) | instid1(VALU_DEP_1)
	v_fma_f64 v[132:133], v[132:133], v[136:137], v[134:135]
	v_div_scale_f64 v[134:135], null, v[132:133], v[132:133], 1.0
	s_delay_alu instid0(VALU_DEP_1) | instskip(SKIP_2) | instid1(VALU_DEP_1)
	v_rcp_f64_e32 v[138:139], v[134:135]
	s_waitcnt_depctr 0xfff
	v_fma_f64 v[144:145], -v[134:135], v[138:139], 1.0
	v_fma_f64 v[138:139], v[138:139], v[144:145], v[138:139]
	s_delay_alu instid0(VALU_DEP_1) | instskip(NEXT) | instid1(VALU_DEP_1)
	v_fma_f64 v[144:145], -v[134:135], v[138:139], 1.0
	v_fma_f64 v[138:139], v[138:139], v[144:145], v[138:139]
	v_div_scale_f64 v[144:145], vcc_lo, 1.0, v[132:133], 1.0
	s_delay_alu instid0(VALU_DEP_1) | instskip(NEXT) | instid1(VALU_DEP_1)
	v_mul_f64 v[148:149], v[144:145], v[138:139]
	v_fma_f64 v[134:135], -v[134:135], v[148:149], v[144:145]
	s_delay_alu instid0(VALU_DEP_1) | instskip(NEXT) | instid1(VALU_DEP_1)
	v_div_fmas_f64 v[134:135], v[134:135], v[138:139], v[148:149]
	v_div_fixup_f64 v[138:139], v[134:135], v[132:133], 1.0
                                        ; implicit-def: $vgpr132_vgpr133
	s_delay_alu instid0(VALU_DEP_1)
	v_mul_f64 v[144:145], v[136:137], v[138:139]
	v_xor_b32_e32 v139, 0x80000000, v139
.LBB65_167:
	s_and_not1_saveexec_b32 s3, s3
	s_cbranch_execz .LBB65_169
; %bb.168:
	v_div_scale_f64 v[136:137], null, v[132:133], v[132:133], v[134:135]
	v_div_scale_f64 v[148:149], vcc_lo, v[134:135], v[132:133], v[134:135]
	s_delay_alu instid0(VALU_DEP_2) | instskip(SKIP_2) | instid1(VALU_DEP_1)
	v_rcp_f64_e32 v[138:139], v[136:137]
	s_waitcnt_depctr 0xfff
	v_fma_f64 v[144:145], -v[136:137], v[138:139], 1.0
	v_fma_f64 v[138:139], v[138:139], v[144:145], v[138:139]
	s_delay_alu instid0(VALU_DEP_1) | instskip(NEXT) | instid1(VALU_DEP_1)
	v_fma_f64 v[144:145], -v[136:137], v[138:139], 1.0
	v_fma_f64 v[138:139], v[138:139], v[144:145], v[138:139]
	s_delay_alu instid0(VALU_DEP_1) | instskip(NEXT) | instid1(VALU_DEP_1)
	v_mul_f64 v[144:145], v[148:149], v[138:139]
	v_fma_f64 v[136:137], -v[136:137], v[144:145], v[148:149]
	s_delay_alu instid0(VALU_DEP_1) | instskip(NEXT) | instid1(VALU_DEP_1)
	v_div_fmas_f64 v[136:137], v[136:137], v[138:139], v[144:145]
	v_div_fixup_f64 v[136:137], v[136:137], v[132:133], v[134:135]
	s_delay_alu instid0(VALU_DEP_1) | instskip(NEXT) | instid1(VALU_DEP_1)
	v_fma_f64 v[132:133], v[134:135], v[136:137], v[132:133]
	v_div_scale_f64 v[134:135], null, v[132:133], v[132:133], 1.0
	s_delay_alu instid0(VALU_DEP_1) | instskip(SKIP_2) | instid1(VALU_DEP_1)
	v_rcp_f64_e32 v[138:139], v[134:135]
	s_waitcnt_depctr 0xfff
	v_fma_f64 v[144:145], -v[134:135], v[138:139], 1.0
	v_fma_f64 v[138:139], v[138:139], v[144:145], v[138:139]
	s_delay_alu instid0(VALU_DEP_1) | instskip(NEXT) | instid1(VALU_DEP_1)
	v_fma_f64 v[144:145], -v[134:135], v[138:139], 1.0
	v_fma_f64 v[138:139], v[138:139], v[144:145], v[138:139]
	v_div_scale_f64 v[144:145], vcc_lo, 1.0, v[132:133], 1.0
	s_delay_alu instid0(VALU_DEP_1) | instskip(NEXT) | instid1(VALU_DEP_1)
	v_mul_f64 v[148:149], v[144:145], v[138:139]
	v_fma_f64 v[134:135], -v[134:135], v[148:149], v[144:145]
	s_delay_alu instid0(VALU_DEP_1) | instskip(NEXT) | instid1(VALU_DEP_1)
	v_div_fmas_f64 v[134:135], v[134:135], v[138:139], v[148:149]
	v_div_fixup_f64 v[144:145], v[134:135], v[132:133], 1.0
	s_delay_alu instid0(VALU_DEP_1)
	v_mul_f64 v[138:139], v[136:137], -v[144:145]
.LBB65_169:
	s_or_b32 exec_lo, exec_lo, s3
	ds_store_2addr_b64 v141, v[144:145], v[138:139] offset1:1
.LBB65_170:
	s_or_b32 exec_lo, exec_lo, s4
	s_waitcnt lgkmcnt(0)
	s_barrier
	buffer_gl0_inv
	ds_load_2addr_b64 v[132:135], v141 offset1:1
	s_mov_b32 s3, exec_lo
	s_waitcnt lgkmcnt(0)
	scratch_store_b128 off, v[132:135], off offset:224 ; 16-byte Folded Spill
	v_cmpx_lt_u32_e32 18, v140
	s_cbranch_execz .LBB65_172
; %bb.171:
	scratch_load_b128 v[134:137], off, off offset:224 ; 16-byte Folded Reload
	s_waitcnt vmcnt(0)
	v_mul_f64 v[132:133], v[134:135], v[58:59]
	v_mul_f64 v[58:59], v[136:137], v[58:59]
	s_delay_alu instid0(VALU_DEP_2) | instskip(NEXT) | instid1(VALU_DEP_2)
	v_fma_f64 v[132:133], v[136:137], v[56:57], v[132:133]
	v_fma_f64 v[56:57], v[134:135], v[56:57], -v[58:59]
	ds_load_2addr_b64 v[134:137], v150 offset0:38 offset1:39
	s_waitcnt lgkmcnt(0)
	v_mul_f64 v[58:59], v[136:137], v[132:133]
	s_delay_alu instid0(VALU_DEP_1) | instskip(SKIP_1) | instid1(VALU_DEP_2)
	v_fma_f64 v[58:59], v[134:135], v[56:57], -v[58:59]
	v_mul_f64 v[134:135], v[134:135], v[132:133]
	v_add_f64 v[52:53], v[52:53], -v[58:59]
	s_delay_alu instid0(VALU_DEP_2) | instskip(NEXT) | instid1(VALU_DEP_1)
	v_fma_f64 v[134:135], v[136:137], v[56:57], v[134:135]
	v_add_f64 v[54:55], v[54:55], -v[134:135]
	ds_load_2addr_b64 v[134:137], v150 offset0:40 offset1:41
	s_waitcnt lgkmcnt(0)
	v_mul_f64 v[58:59], v[136:137], v[132:133]
	s_delay_alu instid0(VALU_DEP_1) | instskip(SKIP_1) | instid1(VALU_DEP_2)
	v_fma_f64 v[58:59], v[134:135], v[56:57], -v[58:59]
	v_mul_f64 v[134:135], v[134:135], v[132:133]
	v_add_f64 v[48:49], v[48:49], -v[58:59]
	s_delay_alu instid0(VALU_DEP_2) | instskip(NEXT) | instid1(VALU_DEP_1)
	v_fma_f64 v[134:135], v[136:137], v[56:57], v[134:135]
	v_add_f64 v[50:51], v[50:51], -v[134:135]
	;; [unrolled: 10-line block ×13, first 2 shown]
	ds_load_2addr_b64 v[134:137], v150 offset0:64 offset1:65
	s_waitcnt lgkmcnt(0)
	v_mul_f64 v[58:59], v[136:137], v[132:133]
	s_delay_alu instid0(VALU_DEP_1) | instskip(SKIP_1) | instid1(VALU_DEP_2)
	v_fma_f64 v[58:59], v[134:135], v[56:57], -v[58:59]
	v_mul_f64 v[134:135], v[134:135], v[132:133]
	v_add_f64 v[0:1], v[0:1], -v[58:59]
	s_delay_alu instid0(VALU_DEP_2) | instskip(SKIP_1) | instid1(VALU_DEP_2)
	v_fma_f64 v[134:135], v[136:137], v[56:57], v[134:135]
	v_dual_mov_b32 v58, v132 :: v_dual_mov_b32 v59, v133
	v_add_f64 v[2:3], v[2:3], -v[134:135]
.LBB65_172:
	s_or_b32 exec_lo, exec_lo, s3
	s_delay_alu instid0(SALU_CYCLE_1)
	s_mov_b32 s4, exec_lo
	s_waitcnt_vscnt null, 0x0
	s_barrier
	buffer_gl0_inv
	v_cmpx_eq_u32_e32 19, v140
	s_cbranch_execz .LBB65_179
; %bb.173:
	ds_store_2addr_b64 v141, v[52:53], v[54:55] offset1:1
	ds_store_2addr_b64 v150, v[48:49], v[50:51] offset0:40 offset1:41
	ds_store_2addr_b64 v150, v[44:45], v[46:47] offset0:42 offset1:43
	;; [unrolled: 1-line block ×13, first 2 shown]
	ds_load_2addr_b64 v[132:135], v141 offset1:1
	s_waitcnt lgkmcnt(0)
	v_cmp_neq_f64_e32 vcc_lo, 0, v[132:133]
	v_cmp_neq_f64_e64 s3, 0, v[134:135]
	s_delay_alu instid0(VALU_DEP_1) | instskip(NEXT) | instid1(SALU_CYCLE_1)
	s_or_b32 s3, vcc_lo, s3
	s_and_b32 exec_lo, exec_lo, s3
	s_cbranch_execz .LBB65_179
; %bb.174:
	v_cmp_gt_f64_e32 vcc_lo, 0, v[132:133]
	v_xor_b32_e32 v136, 0x80000000, v133
	v_xor_b32_e32 v138, 0x80000000, v135
	s_mov_b32 s3, exec_lo
                                        ; implicit-def: $vgpr144_vgpr145
	s_delay_alu instid0(VALU_DEP_2) | instskip(SKIP_4) | instid1(VALU_DEP_1)
	v_cndmask_b32_e32 v137, v133, v136, vcc_lo
	v_cndmask_b32_e32 v136, v132, v132, vcc_lo
	v_cmp_gt_f64_e32 vcc_lo, 0, v[134:135]
	v_cndmask_b32_e32 v139, v135, v138, vcc_lo
	v_cndmask_b32_e32 v138, v134, v134, vcc_lo
	v_cmpx_ngt_f64_e32 v[136:137], v[138:139]
	s_xor_b32 s3, exec_lo, s3
                                        ; implicit-def: $vgpr136_vgpr137_vgpr138_vgpr139
	s_cbranch_execz .LBB65_176
; %bb.175:
	v_div_scale_f64 v[136:137], null, v[134:135], v[134:135], v[132:133]
	v_div_scale_f64 v[148:149], vcc_lo, v[132:133], v[134:135], v[132:133]
	s_delay_alu instid0(VALU_DEP_2) | instskip(SKIP_2) | instid1(VALU_DEP_1)
	v_rcp_f64_e32 v[138:139], v[136:137]
	s_waitcnt_depctr 0xfff
	v_fma_f64 v[144:145], -v[136:137], v[138:139], 1.0
	v_fma_f64 v[138:139], v[138:139], v[144:145], v[138:139]
	s_delay_alu instid0(VALU_DEP_1) | instskip(NEXT) | instid1(VALU_DEP_1)
	v_fma_f64 v[144:145], -v[136:137], v[138:139], 1.0
	v_fma_f64 v[138:139], v[138:139], v[144:145], v[138:139]
	s_delay_alu instid0(VALU_DEP_1) | instskip(NEXT) | instid1(VALU_DEP_1)
	v_mul_f64 v[144:145], v[148:149], v[138:139]
	v_fma_f64 v[136:137], -v[136:137], v[144:145], v[148:149]
	s_delay_alu instid0(VALU_DEP_1) | instskip(NEXT) | instid1(VALU_DEP_1)
	v_div_fmas_f64 v[136:137], v[136:137], v[138:139], v[144:145]
	v_div_fixup_f64 v[136:137], v[136:137], v[134:135], v[132:133]
	s_delay_alu instid0(VALU_DEP_1) | instskip(NEXT) | instid1(VALU_DEP_1)
	v_fma_f64 v[132:133], v[132:133], v[136:137], v[134:135]
	v_div_scale_f64 v[134:135], null, v[132:133], v[132:133], 1.0
	s_delay_alu instid0(VALU_DEP_1) | instskip(SKIP_2) | instid1(VALU_DEP_1)
	v_rcp_f64_e32 v[138:139], v[134:135]
	s_waitcnt_depctr 0xfff
	v_fma_f64 v[144:145], -v[134:135], v[138:139], 1.0
	v_fma_f64 v[138:139], v[138:139], v[144:145], v[138:139]
	s_delay_alu instid0(VALU_DEP_1) | instskip(NEXT) | instid1(VALU_DEP_1)
	v_fma_f64 v[144:145], -v[134:135], v[138:139], 1.0
	v_fma_f64 v[138:139], v[138:139], v[144:145], v[138:139]
	v_div_scale_f64 v[144:145], vcc_lo, 1.0, v[132:133], 1.0
	s_delay_alu instid0(VALU_DEP_1) | instskip(NEXT) | instid1(VALU_DEP_1)
	v_mul_f64 v[148:149], v[144:145], v[138:139]
	v_fma_f64 v[134:135], -v[134:135], v[148:149], v[144:145]
	s_delay_alu instid0(VALU_DEP_1) | instskip(NEXT) | instid1(VALU_DEP_1)
	v_div_fmas_f64 v[134:135], v[134:135], v[138:139], v[148:149]
	v_div_fixup_f64 v[138:139], v[134:135], v[132:133], 1.0
                                        ; implicit-def: $vgpr132_vgpr133
	s_delay_alu instid0(VALU_DEP_1)
	v_mul_f64 v[144:145], v[136:137], v[138:139]
	v_xor_b32_e32 v139, 0x80000000, v139
.LBB65_176:
	s_and_not1_saveexec_b32 s3, s3
	s_cbranch_execz .LBB65_178
; %bb.177:
	v_div_scale_f64 v[136:137], null, v[132:133], v[132:133], v[134:135]
	v_div_scale_f64 v[148:149], vcc_lo, v[134:135], v[132:133], v[134:135]
	s_delay_alu instid0(VALU_DEP_2) | instskip(SKIP_2) | instid1(VALU_DEP_1)
	v_rcp_f64_e32 v[138:139], v[136:137]
	s_waitcnt_depctr 0xfff
	v_fma_f64 v[144:145], -v[136:137], v[138:139], 1.0
	v_fma_f64 v[138:139], v[138:139], v[144:145], v[138:139]
	s_delay_alu instid0(VALU_DEP_1) | instskip(NEXT) | instid1(VALU_DEP_1)
	v_fma_f64 v[144:145], -v[136:137], v[138:139], 1.0
	v_fma_f64 v[138:139], v[138:139], v[144:145], v[138:139]
	s_delay_alu instid0(VALU_DEP_1) | instskip(NEXT) | instid1(VALU_DEP_1)
	v_mul_f64 v[144:145], v[148:149], v[138:139]
	v_fma_f64 v[136:137], -v[136:137], v[144:145], v[148:149]
	s_delay_alu instid0(VALU_DEP_1) | instskip(NEXT) | instid1(VALU_DEP_1)
	v_div_fmas_f64 v[136:137], v[136:137], v[138:139], v[144:145]
	v_div_fixup_f64 v[136:137], v[136:137], v[132:133], v[134:135]
	s_delay_alu instid0(VALU_DEP_1) | instskip(NEXT) | instid1(VALU_DEP_1)
	v_fma_f64 v[132:133], v[134:135], v[136:137], v[132:133]
	v_div_scale_f64 v[134:135], null, v[132:133], v[132:133], 1.0
	s_delay_alu instid0(VALU_DEP_1) | instskip(SKIP_2) | instid1(VALU_DEP_1)
	v_rcp_f64_e32 v[138:139], v[134:135]
	s_waitcnt_depctr 0xfff
	v_fma_f64 v[144:145], -v[134:135], v[138:139], 1.0
	v_fma_f64 v[138:139], v[138:139], v[144:145], v[138:139]
	s_delay_alu instid0(VALU_DEP_1) | instskip(NEXT) | instid1(VALU_DEP_1)
	v_fma_f64 v[144:145], -v[134:135], v[138:139], 1.0
	v_fma_f64 v[138:139], v[138:139], v[144:145], v[138:139]
	v_div_scale_f64 v[144:145], vcc_lo, 1.0, v[132:133], 1.0
	s_delay_alu instid0(VALU_DEP_1) | instskip(NEXT) | instid1(VALU_DEP_1)
	v_mul_f64 v[148:149], v[144:145], v[138:139]
	v_fma_f64 v[134:135], -v[134:135], v[148:149], v[144:145]
	s_delay_alu instid0(VALU_DEP_1) | instskip(NEXT) | instid1(VALU_DEP_1)
	v_div_fmas_f64 v[134:135], v[134:135], v[138:139], v[148:149]
	v_div_fixup_f64 v[144:145], v[134:135], v[132:133], 1.0
	s_delay_alu instid0(VALU_DEP_1)
	v_mul_f64 v[138:139], v[136:137], -v[144:145]
.LBB65_178:
	s_or_b32 exec_lo, exec_lo, s3
	ds_store_2addr_b64 v141, v[144:145], v[138:139] offset1:1
.LBB65_179:
	s_or_b32 exec_lo, exec_lo, s4
	s_waitcnt lgkmcnt(0)
	s_barrier
	buffer_gl0_inv
	ds_load_2addr_b64 v[132:135], v141 offset1:1
	s_mov_b32 s3, exec_lo
	s_waitcnt lgkmcnt(0)
	scratch_store_b128 off, v[132:135], off offset:240 ; 16-byte Folded Spill
	v_cmpx_lt_u32_e32 19, v140
	s_cbranch_execz .LBB65_181
; %bb.180:
	scratch_load_b128 v[134:137], off, off offset:240 ; 16-byte Folded Reload
	s_waitcnt vmcnt(0)
	v_mul_f64 v[132:133], v[134:135], v[54:55]
	v_mul_f64 v[54:55], v[136:137], v[54:55]
	s_delay_alu instid0(VALU_DEP_2) | instskip(NEXT) | instid1(VALU_DEP_2)
	v_fma_f64 v[132:133], v[136:137], v[52:53], v[132:133]
	v_fma_f64 v[52:53], v[134:135], v[52:53], -v[54:55]
	ds_load_2addr_b64 v[134:137], v150 offset0:40 offset1:41
	s_waitcnt lgkmcnt(0)
	v_mul_f64 v[54:55], v[136:137], v[132:133]
	s_delay_alu instid0(VALU_DEP_1) | instskip(SKIP_1) | instid1(VALU_DEP_2)
	v_fma_f64 v[54:55], v[134:135], v[52:53], -v[54:55]
	v_mul_f64 v[134:135], v[134:135], v[132:133]
	v_add_f64 v[48:49], v[48:49], -v[54:55]
	s_delay_alu instid0(VALU_DEP_2) | instskip(NEXT) | instid1(VALU_DEP_1)
	v_fma_f64 v[134:135], v[136:137], v[52:53], v[134:135]
	v_add_f64 v[50:51], v[50:51], -v[134:135]
	ds_load_2addr_b64 v[134:137], v150 offset0:42 offset1:43
	s_waitcnt lgkmcnt(0)
	v_mul_f64 v[54:55], v[136:137], v[132:133]
	s_delay_alu instid0(VALU_DEP_1) | instskip(SKIP_1) | instid1(VALU_DEP_2)
	v_fma_f64 v[54:55], v[134:135], v[52:53], -v[54:55]
	v_mul_f64 v[134:135], v[134:135], v[132:133]
	v_add_f64 v[44:45], v[44:45], -v[54:55]
	s_delay_alu instid0(VALU_DEP_2) | instskip(NEXT) | instid1(VALU_DEP_1)
	v_fma_f64 v[134:135], v[136:137], v[52:53], v[134:135]
	v_add_f64 v[46:47], v[46:47], -v[134:135]
	;; [unrolled: 10-line block ×12, first 2 shown]
	ds_load_2addr_b64 v[134:137], v150 offset0:64 offset1:65
	s_waitcnt lgkmcnt(0)
	v_mul_f64 v[54:55], v[136:137], v[132:133]
	s_delay_alu instid0(VALU_DEP_1) | instskip(SKIP_1) | instid1(VALU_DEP_2)
	v_fma_f64 v[54:55], v[134:135], v[52:53], -v[54:55]
	v_mul_f64 v[134:135], v[134:135], v[132:133]
	v_add_f64 v[0:1], v[0:1], -v[54:55]
	s_delay_alu instid0(VALU_DEP_2) | instskip(SKIP_1) | instid1(VALU_DEP_2)
	v_fma_f64 v[134:135], v[136:137], v[52:53], v[134:135]
	v_dual_mov_b32 v54, v132 :: v_dual_mov_b32 v55, v133
	v_add_f64 v[2:3], v[2:3], -v[134:135]
.LBB65_181:
	s_or_b32 exec_lo, exec_lo, s3
	s_delay_alu instid0(SALU_CYCLE_1)
	s_mov_b32 s4, exec_lo
	s_waitcnt_vscnt null, 0x0
	s_barrier
	buffer_gl0_inv
	v_cmpx_eq_u32_e32 20, v140
	s_cbranch_execz .LBB65_188
; %bb.182:
	ds_store_2addr_b64 v141, v[48:49], v[50:51] offset1:1
	ds_store_2addr_b64 v150, v[44:45], v[46:47] offset0:42 offset1:43
	ds_store_2addr_b64 v150, v[40:41], v[42:43] offset0:44 offset1:45
	;; [unrolled: 1-line block ×12, first 2 shown]
	ds_load_2addr_b64 v[132:135], v141 offset1:1
	s_waitcnt lgkmcnt(0)
	v_cmp_neq_f64_e32 vcc_lo, 0, v[132:133]
	v_cmp_neq_f64_e64 s3, 0, v[134:135]
	s_delay_alu instid0(VALU_DEP_1) | instskip(NEXT) | instid1(SALU_CYCLE_1)
	s_or_b32 s3, vcc_lo, s3
	s_and_b32 exec_lo, exec_lo, s3
	s_cbranch_execz .LBB65_188
; %bb.183:
	v_cmp_gt_f64_e32 vcc_lo, 0, v[132:133]
	v_xor_b32_e32 v136, 0x80000000, v133
	v_xor_b32_e32 v138, 0x80000000, v135
	s_mov_b32 s3, exec_lo
                                        ; implicit-def: $vgpr144_vgpr145
	s_delay_alu instid0(VALU_DEP_2) | instskip(SKIP_4) | instid1(VALU_DEP_1)
	v_cndmask_b32_e32 v137, v133, v136, vcc_lo
	v_cndmask_b32_e32 v136, v132, v132, vcc_lo
	v_cmp_gt_f64_e32 vcc_lo, 0, v[134:135]
	v_cndmask_b32_e32 v139, v135, v138, vcc_lo
	v_cndmask_b32_e32 v138, v134, v134, vcc_lo
	v_cmpx_ngt_f64_e32 v[136:137], v[138:139]
	s_xor_b32 s3, exec_lo, s3
                                        ; implicit-def: $vgpr136_vgpr137_vgpr138_vgpr139
	s_cbranch_execz .LBB65_185
; %bb.184:
	v_div_scale_f64 v[136:137], null, v[134:135], v[134:135], v[132:133]
	v_div_scale_f64 v[148:149], vcc_lo, v[132:133], v[134:135], v[132:133]
	s_delay_alu instid0(VALU_DEP_2) | instskip(SKIP_2) | instid1(VALU_DEP_1)
	v_rcp_f64_e32 v[138:139], v[136:137]
	s_waitcnt_depctr 0xfff
	v_fma_f64 v[144:145], -v[136:137], v[138:139], 1.0
	v_fma_f64 v[138:139], v[138:139], v[144:145], v[138:139]
	s_delay_alu instid0(VALU_DEP_1) | instskip(NEXT) | instid1(VALU_DEP_1)
	v_fma_f64 v[144:145], -v[136:137], v[138:139], 1.0
	v_fma_f64 v[138:139], v[138:139], v[144:145], v[138:139]
	s_delay_alu instid0(VALU_DEP_1) | instskip(NEXT) | instid1(VALU_DEP_1)
	v_mul_f64 v[144:145], v[148:149], v[138:139]
	v_fma_f64 v[136:137], -v[136:137], v[144:145], v[148:149]
	s_delay_alu instid0(VALU_DEP_1) | instskip(NEXT) | instid1(VALU_DEP_1)
	v_div_fmas_f64 v[136:137], v[136:137], v[138:139], v[144:145]
	v_div_fixup_f64 v[136:137], v[136:137], v[134:135], v[132:133]
	s_delay_alu instid0(VALU_DEP_1) | instskip(NEXT) | instid1(VALU_DEP_1)
	v_fma_f64 v[132:133], v[132:133], v[136:137], v[134:135]
	v_div_scale_f64 v[134:135], null, v[132:133], v[132:133], 1.0
	s_delay_alu instid0(VALU_DEP_1) | instskip(SKIP_2) | instid1(VALU_DEP_1)
	v_rcp_f64_e32 v[138:139], v[134:135]
	s_waitcnt_depctr 0xfff
	v_fma_f64 v[144:145], -v[134:135], v[138:139], 1.0
	v_fma_f64 v[138:139], v[138:139], v[144:145], v[138:139]
	s_delay_alu instid0(VALU_DEP_1) | instskip(NEXT) | instid1(VALU_DEP_1)
	v_fma_f64 v[144:145], -v[134:135], v[138:139], 1.0
	v_fma_f64 v[138:139], v[138:139], v[144:145], v[138:139]
	v_div_scale_f64 v[144:145], vcc_lo, 1.0, v[132:133], 1.0
	s_delay_alu instid0(VALU_DEP_1) | instskip(NEXT) | instid1(VALU_DEP_1)
	v_mul_f64 v[148:149], v[144:145], v[138:139]
	v_fma_f64 v[134:135], -v[134:135], v[148:149], v[144:145]
	s_delay_alu instid0(VALU_DEP_1) | instskip(NEXT) | instid1(VALU_DEP_1)
	v_div_fmas_f64 v[134:135], v[134:135], v[138:139], v[148:149]
	v_div_fixup_f64 v[138:139], v[134:135], v[132:133], 1.0
                                        ; implicit-def: $vgpr132_vgpr133
	s_delay_alu instid0(VALU_DEP_1)
	v_mul_f64 v[144:145], v[136:137], v[138:139]
	v_xor_b32_e32 v139, 0x80000000, v139
.LBB65_185:
	s_and_not1_saveexec_b32 s3, s3
	s_cbranch_execz .LBB65_187
; %bb.186:
	v_div_scale_f64 v[136:137], null, v[132:133], v[132:133], v[134:135]
	v_div_scale_f64 v[148:149], vcc_lo, v[134:135], v[132:133], v[134:135]
	s_delay_alu instid0(VALU_DEP_2) | instskip(SKIP_2) | instid1(VALU_DEP_1)
	v_rcp_f64_e32 v[138:139], v[136:137]
	s_waitcnt_depctr 0xfff
	v_fma_f64 v[144:145], -v[136:137], v[138:139], 1.0
	v_fma_f64 v[138:139], v[138:139], v[144:145], v[138:139]
	s_delay_alu instid0(VALU_DEP_1) | instskip(NEXT) | instid1(VALU_DEP_1)
	v_fma_f64 v[144:145], -v[136:137], v[138:139], 1.0
	v_fma_f64 v[138:139], v[138:139], v[144:145], v[138:139]
	s_delay_alu instid0(VALU_DEP_1) | instskip(NEXT) | instid1(VALU_DEP_1)
	v_mul_f64 v[144:145], v[148:149], v[138:139]
	v_fma_f64 v[136:137], -v[136:137], v[144:145], v[148:149]
	s_delay_alu instid0(VALU_DEP_1) | instskip(NEXT) | instid1(VALU_DEP_1)
	v_div_fmas_f64 v[136:137], v[136:137], v[138:139], v[144:145]
	v_div_fixup_f64 v[136:137], v[136:137], v[132:133], v[134:135]
	s_delay_alu instid0(VALU_DEP_1) | instskip(NEXT) | instid1(VALU_DEP_1)
	v_fma_f64 v[132:133], v[134:135], v[136:137], v[132:133]
	v_div_scale_f64 v[134:135], null, v[132:133], v[132:133], 1.0
	s_delay_alu instid0(VALU_DEP_1) | instskip(SKIP_2) | instid1(VALU_DEP_1)
	v_rcp_f64_e32 v[138:139], v[134:135]
	s_waitcnt_depctr 0xfff
	v_fma_f64 v[144:145], -v[134:135], v[138:139], 1.0
	v_fma_f64 v[138:139], v[138:139], v[144:145], v[138:139]
	s_delay_alu instid0(VALU_DEP_1) | instskip(NEXT) | instid1(VALU_DEP_1)
	v_fma_f64 v[144:145], -v[134:135], v[138:139], 1.0
	v_fma_f64 v[138:139], v[138:139], v[144:145], v[138:139]
	v_div_scale_f64 v[144:145], vcc_lo, 1.0, v[132:133], 1.0
	s_delay_alu instid0(VALU_DEP_1) | instskip(NEXT) | instid1(VALU_DEP_1)
	v_mul_f64 v[148:149], v[144:145], v[138:139]
	v_fma_f64 v[134:135], -v[134:135], v[148:149], v[144:145]
	s_delay_alu instid0(VALU_DEP_1) | instskip(NEXT) | instid1(VALU_DEP_1)
	v_div_fmas_f64 v[134:135], v[134:135], v[138:139], v[148:149]
	v_div_fixup_f64 v[144:145], v[134:135], v[132:133], 1.0
	s_delay_alu instid0(VALU_DEP_1)
	v_mul_f64 v[138:139], v[136:137], -v[144:145]
.LBB65_187:
	s_or_b32 exec_lo, exec_lo, s3
	ds_store_2addr_b64 v141, v[144:145], v[138:139] offset1:1
.LBB65_188:
	s_or_b32 exec_lo, exec_lo, s4
	s_waitcnt lgkmcnt(0)
	s_barrier
	buffer_gl0_inv
	ds_load_2addr_b64 v[132:135], v141 offset1:1
	s_mov_b32 s3, exec_lo
	s_waitcnt lgkmcnt(0)
	scratch_store_b128 off, v[132:135], off offset:256 ; 16-byte Folded Spill
	v_cmpx_lt_u32_e32 20, v140
	s_cbranch_execz .LBB65_190
; %bb.189:
	scratch_load_b128 v[234:237], off, off offset:256 ; 16-byte Folded Reload
	s_waitcnt vmcnt(0)
	v_mul_f64 v[132:133], v[234:235], v[50:51]
	v_mul_f64 v[50:51], v[236:237], v[50:51]
	s_delay_alu instid0(VALU_DEP_2) | instskip(SKIP_4) | instid1(VALU_DEP_1)
	v_fma_f64 v[136:137], v[236:237], v[48:49], v[132:133]
	ds_load_2addr_b64 v[132:135], v150 offset0:42 offset1:43
	v_fma_f64 v[48:49], v[234:235], v[48:49], -v[50:51]
	s_waitcnt lgkmcnt(0)
	v_mul_f64 v[50:51], v[134:135], v[136:137]
	v_fma_f64 v[50:51], v[132:133], v[48:49], -v[50:51]
	v_mul_f64 v[132:133], v[132:133], v[136:137]
	s_delay_alu instid0(VALU_DEP_2) | instskip(NEXT) | instid1(VALU_DEP_2)
	v_add_f64 v[44:45], v[44:45], -v[50:51]
	v_fma_f64 v[132:133], v[134:135], v[48:49], v[132:133]
	s_delay_alu instid0(VALU_DEP_1) | instskip(SKIP_3) | instid1(VALU_DEP_1)
	v_add_f64 v[46:47], v[46:47], -v[132:133]
	ds_load_2addr_b64 v[132:135], v150 offset0:44 offset1:45
	s_waitcnt lgkmcnt(0)
	v_mul_f64 v[50:51], v[134:135], v[136:137]
	v_fma_f64 v[50:51], v[132:133], v[48:49], -v[50:51]
	v_mul_f64 v[132:133], v[132:133], v[136:137]
	s_delay_alu instid0(VALU_DEP_2) | instskip(NEXT) | instid1(VALU_DEP_2)
	v_add_f64 v[40:41], v[40:41], -v[50:51]
	v_fma_f64 v[132:133], v[134:135], v[48:49], v[132:133]
	s_delay_alu instid0(VALU_DEP_1) | instskip(SKIP_3) | instid1(VALU_DEP_1)
	v_add_f64 v[42:43], v[42:43], -v[132:133]
	ds_load_2addr_b64 v[132:135], v150 offset0:46 offset1:47
	s_waitcnt lgkmcnt(0)
	v_mul_f64 v[50:51], v[134:135], v[136:137]
	v_fma_f64 v[50:51], v[132:133], v[48:49], -v[50:51]
	v_mul_f64 v[132:133], v[132:133], v[136:137]
	s_delay_alu instid0(VALU_DEP_2) | instskip(NEXT) | instid1(VALU_DEP_2)
	v_add_f64 v[36:37], v[36:37], -v[50:51]
	v_fma_f64 v[132:133], v[134:135], v[48:49], v[132:133]
	s_delay_alu instid0(VALU_DEP_1) | instskip(SKIP_3) | instid1(VALU_DEP_1)
	v_add_f64 v[38:39], v[38:39], -v[132:133]
	ds_load_2addr_b64 v[132:135], v150 offset0:48 offset1:49
	s_waitcnt lgkmcnt(0)
	v_mul_f64 v[50:51], v[134:135], v[136:137]
	v_fma_f64 v[50:51], v[132:133], v[48:49], -v[50:51]
	v_mul_f64 v[132:133], v[132:133], v[136:137]
	s_delay_alu instid0(VALU_DEP_2) | instskip(NEXT) | instid1(VALU_DEP_2)
	v_add_f64 v[32:33], v[32:33], -v[50:51]
	v_fma_f64 v[132:133], v[134:135], v[48:49], v[132:133]
	s_delay_alu instid0(VALU_DEP_1) | instskip(SKIP_3) | instid1(VALU_DEP_1)
	v_add_f64 v[34:35], v[34:35], -v[132:133]
	ds_load_2addr_b64 v[132:135], v150 offset0:50 offset1:51
	s_waitcnt lgkmcnt(0)
	v_mul_f64 v[50:51], v[134:135], v[136:137]
	v_fma_f64 v[50:51], v[132:133], v[48:49], -v[50:51]
	v_mul_f64 v[132:133], v[132:133], v[136:137]
	s_delay_alu instid0(VALU_DEP_2) | instskip(NEXT) | instid1(VALU_DEP_2)
	v_add_f64 v[28:29], v[28:29], -v[50:51]
	v_fma_f64 v[132:133], v[134:135], v[48:49], v[132:133]
	s_delay_alu instid0(VALU_DEP_1) | instskip(SKIP_3) | instid1(VALU_DEP_1)
	v_add_f64 v[30:31], v[30:31], -v[132:133]
	ds_load_2addr_b64 v[132:135], v150 offset0:52 offset1:53
	s_waitcnt lgkmcnt(0)
	v_mul_f64 v[50:51], v[134:135], v[136:137]
	v_fma_f64 v[50:51], v[132:133], v[48:49], -v[50:51]
	v_mul_f64 v[132:133], v[132:133], v[136:137]
	s_delay_alu instid0(VALU_DEP_2) | instskip(NEXT) | instid1(VALU_DEP_2)
	v_add_f64 v[24:25], v[24:25], -v[50:51]
	v_fma_f64 v[132:133], v[134:135], v[48:49], v[132:133]
	s_delay_alu instid0(VALU_DEP_1) | instskip(SKIP_3) | instid1(VALU_DEP_1)
	v_add_f64 v[26:27], v[26:27], -v[132:133]
	ds_load_2addr_b64 v[132:135], v150 offset0:54 offset1:55
	s_waitcnt lgkmcnt(0)
	v_mul_f64 v[50:51], v[134:135], v[136:137]
	v_fma_f64 v[50:51], v[132:133], v[48:49], -v[50:51]
	v_mul_f64 v[132:133], v[132:133], v[136:137]
	s_delay_alu instid0(VALU_DEP_2) | instskip(NEXT) | instid1(VALU_DEP_2)
	v_add_f64 v[20:21], v[20:21], -v[50:51]
	v_fma_f64 v[132:133], v[134:135], v[48:49], v[132:133]
	s_delay_alu instid0(VALU_DEP_1) | instskip(SKIP_3) | instid1(VALU_DEP_1)
	v_add_f64 v[22:23], v[22:23], -v[132:133]
	ds_load_2addr_b64 v[132:135], v150 offset0:56 offset1:57
	s_waitcnt lgkmcnt(0)
	v_mul_f64 v[50:51], v[134:135], v[136:137]
	v_fma_f64 v[50:51], v[132:133], v[48:49], -v[50:51]
	v_mul_f64 v[132:133], v[132:133], v[136:137]
	s_delay_alu instid0(VALU_DEP_2) | instskip(NEXT) | instid1(VALU_DEP_2)
	v_add_f64 v[16:17], v[16:17], -v[50:51]
	v_fma_f64 v[132:133], v[134:135], v[48:49], v[132:133]
	s_delay_alu instid0(VALU_DEP_1) | instskip(SKIP_3) | instid1(VALU_DEP_1)
	v_add_f64 v[18:19], v[18:19], -v[132:133]
	ds_load_2addr_b64 v[132:135], v150 offset0:58 offset1:59
	s_waitcnt lgkmcnt(0)
	v_mul_f64 v[50:51], v[134:135], v[136:137]
	v_fma_f64 v[50:51], v[132:133], v[48:49], -v[50:51]
	v_mul_f64 v[132:133], v[132:133], v[136:137]
	s_delay_alu instid0(VALU_DEP_2) | instskip(NEXT) | instid1(VALU_DEP_2)
	v_add_f64 v[12:13], v[12:13], -v[50:51]
	v_fma_f64 v[132:133], v[134:135], v[48:49], v[132:133]
	s_delay_alu instid0(VALU_DEP_1) | instskip(SKIP_3) | instid1(VALU_DEP_1)
	v_add_f64 v[14:15], v[14:15], -v[132:133]
	ds_load_2addr_b64 v[132:135], v150 offset0:60 offset1:61
	s_waitcnt lgkmcnt(0)
	v_mul_f64 v[50:51], v[134:135], v[136:137]
	v_fma_f64 v[50:51], v[132:133], v[48:49], -v[50:51]
	v_mul_f64 v[132:133], v[132:133], v[136:137]
	s_delay_alu instid0(VALU_DEP_2) | instskip(NEXT) | instid1(VALU_DEP_2)
	v_add_f64 v[8:9], v[8:9], -v[50:51]
	v_fma_f64 v[132:133], v[134:135], v[48:49], v[132:133]
	s_delay_alu instid0(VALU_DEP_1) | instskip(SKIP_3) | instid1(VALU_DEP_1)
	v_add_f64 v[10:11], v[10:11], -v[132:133]
	ds_load_2addr_b64 v[132:135], v150 offset0:62 offset1:63
	s_waitcnt lgkmcnt(0)
	v_mul_f64 v[50:51], v[134:135], v[136:137]
	v_fma_f64 v[50:51], v[132:133], v[48:49], -v[50:51]
	v_mul_f64 v[132:133], v[132:133], v[136:137]
	s_delay_alu instid0(VALU_DEP_2) | instskip(NEXT) | instid1(VALU_DEP_2)
	v_add_f64 v[4:5], v[4:5], -v[50:51]
	v_fma_f64 v[132:133], v[134:135], v[48:49], v[132:133]
	s_delay_alu instid0(VALU_DEP_1) | instskip(SKIP_3) | instid1(VALU_DEP_1)
	v_add_f64 v[6:7], v[6:7], -v[132:133]
	ds_load_2addr_b64 v[132:135], v150 offset0:64 offset1:65
	s_waitcnt lgkmcnt(0)
	v_mul_f64 v[50:51], v[134:135], v[136:137]
	v_fma_f64 v[50:51], v[132:133], v[48:49], -v[50:51]
	v_mul_f64 v[132:133], v[132:133], v[136:137]
	s_delay_alu instid0(VALU_DEP_2) | instskip(NEXT) | instid1(VALU_DEP_2)
	v_add_f64 v[0:1], v[0:1], -v[50:51]
	v_fma_f64 v[132:133], v[134:135], v[48:49], v[132:133]
	v_dual_mov_b32 v50, v136 :: v_dual_mov_b32 v51, v137
	s_delay_alu instid0(VALU_DEP_2)
	v_add_f64 v[2:3], v[2:3], -v[132:133]
.LBB65_190:
	s_or_b32 exec_lo, exec_lo, s3
	s_delay_alu instid0(SALU_CYCLE_1)
	s_mov_b32 s4, exec_lo
	s_waitcnt_vscnt null, 0x0
	s_barrier
	buffer_gl0_inv
	v_cmpx_eq_u32_e32 21, v140
	s_cbranch_execz .LBB65_197
; %bb.191:
	ds_store_2addr_b64 v141, v[44:45], v[46:47] offset1:1
	ds_store_2addr_b64 v150, v[40:41], v[42:43] offset0:44 offset1:45
	ds_store_2addr_b64 v150, v[36:37], v[38:39] offset0:46 offset1:47
	;; [unrolled: 1-line block ×11, first 2 shown]
	ds_load_2addr_b64 v[132:135], v141 offset1:1
	s_waitcnt lgkmcnt(0)
	v_cmp_neq_f64_e32 vcc_lo, 0, v[132:133]
	v_cmp_neq_f64_e64 s3, 0, v[134:135]
	s_delay_alu instid0(VALU_DEP_1) | instskip(NEXT) | instid1(SALU_CYCLE_1)
	s_or_b32 s3, vcc_lo, s3
	s_and_b32 exec_lo, exec_lo, s3
	s_cbranch_execz .LBB65_197
; %bb.192:
	v_cmp_gt_f64_e32 vcc_lo, 0, v[132:133]
	v_xor_b32_e32 v136, 0x80000000, v133
	v_xor_b32_e32 v138, 0x80000000, v135
	s_mov_b32 s3, exec_lo
                                        ; implicit-def: $vgpr144_vgpr145
	s_delay_alu instid0(VALU_DEP_2) | instskip(SKIP_4) | instid1(VALU_DEP_1)
	v_cndmask_b32_e32 v137, v133, v136, vcc_lo
	v_cndmask_b32_e32 v136, v132, v132, vcc_lo
	v_cmp_gt_f64_e32 vcc_lo, 0, v[134:135]
	v_cndmask_b32_e32 v139, v135, v138, vcc_lo
	v_cndmask_b32_e32 v138, v134, v134, vcc_lo
	v_cmpx_ngt_f64_e32 v[136:137], v[138:139]
	s_xor_b32 s3, exec_lo, s3
                                        ; implicit-def: $vgpr136_vgpr137_vgpr138_vgpr139
	s_cbranch_execz .LBB65_194
; %bb.193:
	v_div_scale_f64 v[136:137], null, v[134:135], v[134:135], v[132:133]
	v_div_scale_f64 v[148:149], vcc_lo, v[132:133], v[134:135], v[132:133]
	s_delay_alu instid0(VALU_DEP_2) | instskip(SKIP_2) | instid1(VALU_DEP_1)
	v_rcp_f64_e32 v[138:139], v[136:137]
	s_waitcnt_depctr 0xfff
	v_fma_f64 v[144:145], -v[136:137], v[138:139], 1.0
	v_fma_f64 v[138:139], v[138:139], v[144:145], v[138:139]
	s_delay_alu instid0(VALU_DEP_1) | instskip(NEXT) | instid1(VALU_DEP_1)
	v_fma_f64 v[144:145], -v[136:137], v[138:139], 1.0
	v_fma_f64 v[138:139], v[138:139], v[144:145], v[138:139]
	s_delay_alu instid0(VALU_DEP_1) | instskip(NEXT) | instid1(VALU_DEP_1)
	v_mul_f64 v[144:145], v[148:149], v[138:139]
	v_fma_f64 v[136:137], -v[136:137], v[144:145], v[148:149]
	s_delay_alu instid0(VALU_DEP_1) | instskip(NEXT) | instid1(VALU_DEP_1)
	v_div_fmas_f64 v[136:137], v[136:137], v[138:139], v[144:145]
	v_div_fixup_f64 v[136:137], v[136:137], v[134:135], v[132:133]
	s_delay_alu instid0(VALU_DEP_1) | instskip(NEXT) | instid1(VALU_DEP_1)
	v_fma_f64 v[132:133], v[132:133], v[136:137], v[134:135]
	v_div_scale_f64 v[134:135], null, v[132:133], v[132:133], 1.0
	s_delay_alu instid0(VALU_DEP_1) | instskip(SKIP_2) | instid1(VALU_DEP_1)
	v_rcp_f64_e32 v[138:139], v[134:135]
	s_waitcnt_depctr 0xfff
	v_fma_f64 v[144:145], -v[134:135], v[138:139], 1.0
	v_fma_f64 v[138:139], v[138:139], v[144:145], v[138:139]
	s_delay_alu instid0(VALU_DEP_1) | instskip(NEXT) | instid1(VALU_DEP_1)
	v_fma_f64 v[144:145], -v[134:135], v[138:139], 1.0
	v_fma_f64 v[138:139], v[138:139], v[144:145], v[138:139]
	v_div_scale_f64 v[144:145], vcc_lo, 1.0, v[132:133], 1.0
	s_delay_alu instid0(VALU_DEP_1) | instskip(NEXT) | instid1(VALU_DEP_1)
	v_mul_f64 v[148:149], v[144:145], v[138:139]
	v_fma_f64 v[134:135], -v[134:135], v[148:149], v[144:145]
	s_delay_alu instid0(VALU_DEP_1) | instskip(NEXT) | instid1(VALU_DEP_1)
	v_div_fmas_f64 v[134:135], v[134:135], v[138:139], v[148:149]
	v_div_fixup_f64 v[138:139], v[134:135], v[132:133], 1.0
                                        ; implicit-def: $vgpr132_vgpr133
	s_delay_alu instid0(VALU_DEP_1)
	v_mul_f64 v[144:145], v[136:137], v[138:139]
	v_xor_b32_e32 v139, 0x80000000, v139
.LBB65_194:
	s_and_not1_saveexec_b32 s3, s3
	s_cbranch_execz .LBB65_196
; %bb.195:
	v_div_scale_f64 v[136:137], null, v[132:133], v[132:133], v[134:135]
	v_div_scale_f64 v[148:149], vcc_lo, v[134:135], v[132:133], v[134:135]
	s_delay_alu instid0(VALU_DEP_2) | instskip(SKIP_2) | instid1(VALU_DEP_1)
	v_rcp_f64_e32 v[138:139], v[136:137]
	s_waitcnt_depctr 0xfff
	v_fma_f64 v[144:145], -v[136:137], v[138:139], 1.0
	v_fma_f64 v[138:139], v[138:139], v[144:145], v[138:139]
	s_delay_alu instid0(VALU_DEP_1) | instskip(NEXT) | instid1(VALU_DEP_1)
	v_fma_f64 v[144:145], -v[136:137], v[138:139], 1.0
	v_fma_f64 v[138:139], v[138:139], v[144:145], v[138:139]
	s_delay_alu instid0(VALU_DEP_1) | instskip(NEXT) | instid1(VALU_DEP_1)
	v_mul_f64 v[144:145], v[148:149], v[138:139]
	v_fma_f64 v[136:137], -v[136:137], v[144:145], v[148:149]
	s_delay_alu instid0(VALU_DEP_1) | instskip(NEXT) | instid1(VALU_DEP_1)
	v_div_fmas_f64 v[136:137], v[136:137], v[138:139], v[144:145]
	v_div_fixup_f64 v[136:137], v[136:137], v[132:133], v[134:135]
	s_delay_alu instid0(VALU_DEP_1) | instskip(NEXT) | instid1(VALU_DEP_1)
	v_fma_f64 v[132:133], v[134:135], v[136:137], v[132:133]
	v_div_scale_f64 v[134:135], null, v[132:133], v[132:133], 1.0
	s_delay_alu instid0(VALU_DEP_1) | instskip(SKIP_2) | instid1(VALU_DEP_1)
	v_rcp_f64_e32 v[138:139], v[134:135]
	s_waitcnt_depctr 0xfff
	v_fma_f64 v[144:145], -v[134:135], v[138:139], 1.0
	v_fma_f64 v[138:139], v[138:139], v[144:145], v[138:139]
	s_delay_alu instid0(VALU_DEP_1) | instskip(NEXT) | instid1(VALU_DEP_1)
	v_fma_f64 v[144:145], -v[134:135], v[138:139], 1.0
	v_fma_f64 v[138:139], v[138:139], v[144:145], v[138:139]
	v_div_scale_f64 v[144:145], vcc_lo, 1.0, v[132:133], 1.0
	s_delay_alu instid0(VALU_DEP_1) | instskip(NEXT) | instid1(VALU_DEP_1)
	v_mul_f64 v[148:149], v[144:145], v[138:139]
	v_fma_f64 v[134:135], -v[134:135], v[148:149], v[144:145]
	s_delay_alu instid0(VALU_DEP_1) | instskip(NEXT) | instid1(VALU_DEP_1)
	v_div_fmas_f64 v[134:135], v[134:135], v[138:139], v[148:149]
	v_div_fixup_f64 v[144:145], v[134:135], v[132:133], 1.0
	s_delay_alu instid0(VALU_DEP_1)
	v_mul_f64 v[138:139], v[136:137], -v[144:145]
.LBB65_196:
	s_or_b32 exec_lo, exec_lo, s3
	ds_store_2addr_b64 v141, v[144:145], v[138:139] offset1:1
.LBB65_197:
	s_or_b32 exec_lo, exec_lo, s4
	s_waitcnt lgkmcnt(0)
	s_barrier
	buffer_gl0_inv
	ds_load_2addr_b64 v[132:135], v141 offset1:1
	s_mov_b32 s3, exec_lo
	s_waitcnt lgkmcnt(0)
	scratch_store_b128 off, v[132:135], off offset:272 ; 16-byte Folded Spill
	v_cmpx_lt_u32_e32 21, v140
	s_cbranch_execz .LBB65_199
; %bb.198:
	scratch_load_b128 v[234:237], off, off offset:272 ; 16-byte Folded Reload
	s_waitcnt vmcnt(0)
	v_mul_f64 v[132:133], v[234:235], v[46:47]
	v_mul_f64 v[46:47], v[236:237], v[46:47]
	s_delay_alu instid0(VALU_DEP_2) | instskip(SKIP_4) | instid1(VALU_DEP_1)
	v_fma_f64 v[136:137], v[236:237], v[44:45], v[132:133]
	ds_load_2addr_b64 v[132:135], v150 offset0:44 offset1:45
	v_fma_f64 v[44:45], v[234:235], v[44:45], -v[46:47]
	s_waitcnt lgkmcnt(0)
	v_mul_f64 v[46:47], v[134:135], v[136:137]
	v_fma_f64 v[46:47], v[132:133], v[44:45], -v[46:47]
	v_mul_f64 v[132:133], v[132:133], v[136:137]
	s_delay_alu instid0(VALU_DEP_2) | instskip(NEXT) | instid1(VALU_DEP_2)
	v_add_f64 v[40:41], v[40:41], -v[46:47]
	v_fma_f64 v[132:133], v[134:135], v[44:45], v[132:133]
	s_delay_alu instid0(VALU_DEP_1) | instskip(SKIP_3) | instid1(VALU_DEP_1)
	v_add_f64 v[42:43], v[42:43], -v[132:133]
	ds_load_2addr_b64 v[132:135], v150 offset0:46 offset1:47
	s_waitcnt lgkmcnt(0)
	v_mul_f64 v[46:47], v[134:135], v[136:137]
	v_fma_f64 v[46:47], v[132:133], v[44:45], -v[46:47]
	v_mul_f64 v[132:133], v[132:133], v[136:137]
	s_delay_alu instid0(VALU_DEP_2) | instskip(NEXT) | instid1(VALU_DEP_2)
	v_add_f64 v[36:37], v[36:37], -v[46:47]
	v_fma_f64 v[132:133], v[134:135], v[44:45], v[132:133]
	s_delay_alu instid0(VALU_DEP_1) | instskip(SKIP_3) | instid1(VALU_DEP_1)
	v_add_f64 v[38:39], v[38:39], -v[132:133]
	ds_load_2addr_b64 v[132:135], v150 offset0:48 offset1:49
	s_waitcnt lgkmcnt(0)
	v_mul_f64 v[46:47], v[134:135], v[136:137]
	v_fma_f64 v[46:47], v[132:133], v[44:45], -v[46:47]
	v_mul_f64 v[132:133], v[132:133], v[136:137]
	s_delay_alu instid0(VALU_DEP_2) | instskip(NEXT) | instid1(VALU_DEP_2)
	v_add_f64 v[32:33], v[32:33], -v[46:47]
	v_fma_f64 v[132:133], v[134:135], v[44:45], v[132:133]
	s_delay_alu instid0(VALU_DEP_1) | instskip(SKIP_3) | instid1(VALU_DEP_1)
	v_add_f64 v[34:35], v[34:35], -v[132:133]
	ds_load_2addr_b64 v[132:135], v150 offset0:50 offset1:51
	s_waitcnt lgkmcnt(0)
	v_mul_f64 v[46:47], v[134:135], v[136:137]
	v_fma_f64 v[46:47], v[132:133], v[44:45], -v[46:47]
	v_mul_f64 v[132:133], v[132:133], v[136:137]
	s_delay_alu instid0(VALU_DEP_2) | instskip(NEXT) | instid1(VALU_DEP_2)
	v_add_f64 v[28:29], v[28:29], -v[46:47]
	v_fma_f64 v[132:133], v[134:135], v[44:45], v[132:133]
	s_delay_alu instid0(VALU_DEP_1) | instskip(SKIP_3) | instid1(VALU_DEP_1)
	v_add_f64 v[30:31], v[30:31], -v[132:133]
	ds_load_2addr_b64 v[132:135], v150 offset0:52 offset1:53
	s_waitcnt lgkmcnt(0)
	v_mul_f64 v[46:47], v[134:135], v[136:137]
	v_fma_f64 v[46:47], v[132:133], v[44:45], -v[46:47]
	v_mul_f64 v[132:133], v[132:133], v[136:137]
	s_delay_alu instid0(VALU_DEP_2) | instskip(NEXT) | instid1(VALU_DEP_2)
	v_add_f64 v[24:25], v[24:25], -v[46:47]
	v_fma_f64 v[132:133], v[134:135], v[44:45], v[132:133]
	s_delay_alu instid0(VALU_DEP_1) | instskip(SKIP_3) | instid1(VALU_DEP_1)
	v_add_f64 v[26:27], v[26:27], -v[132:133]
	ds_load_2addr_b64 v[132:135], v150 offset0:54 offset1:55
	s_waitcnt lgkmcnt(0)
	v_mul_f64 v[46:47], v[134:135], v[136:137]
	v_fma_f64 v[46:47], v[132:133], v[44:45], -v[46:47]
	v_mul_f64 v[132:133], v[132:133], v[136:137]
	s_delay_alu instid0(VALU_DEP_2) | instskip(NEXT) | instid1(VALU_DEP_2)
	v_add_f64 v[20:21], v[20:21], -v[46:47]
	v_fma_f64 v[132:133], v[134:135], v[44:45], v[132:133]
	s_delay_alu instid0(VALU_DEP_1) | instskip(SKIP_3) | instid1(VALU_DEP_1)
	v_add_f64 v[22:23], v[22:23], -v[132:133]
	ds_load_2addr_b64 v[132:135], v150 offset0:56 offset1:57
	s_waitcnt lgkmcnt(0)
	v_mul_f64 v[46:47], v[134:135], v[136:137]
	v_fma_f64 v[46:47], v[132:133], v[44:45], -v[46:47]
	v_mul_f64 v[132:133], v[132:133], v[136:137]
	s_delay_alu instid0(VALU_DEP_2) | instskip(NEXT) | instid1(VALU_DEP_2)
	v_add_f64 v[16:17], v[16:17], -v[46:47]
	v_fma_f64 v[132:133], v[134:135], v[44:45], v[132:133]
	s_delay_alu instid0(VALU_DEP_1) | instskip(SKIP_3) | instid1(VALU_DEP_1)
	v_add_f64 v[18:19], v[18:19], -v[132:133]
	ds_load_2addr_b64 v[132:135], v150 offset0:58 offset1:59
	s_waitcnt lgkmcnt(0)
	v_mul_f64 v[46:47], v[134:135], v[136:137]
	v_fma_f64 v[46:47], v[132:133], v[44:45], -v[46:47]
	v_mul_f64 v[132:133], v[132:133], v[136:137]
	s_delay_alu instid0(VALU_DEP_2) | instskip(NEXT) | instid1(VALU_DEP_2)
	v_add_f64 v[12:13], v[12:13], -v[46:47]
	v_fma_f64 v[132:133], v[134:135], v[44:45], v[132:133]
	s_delay_alu instid0(VALU_DEP_1) | instskip(SKIP_3) | instid1(VALU_DEP_1)
	v_add_f64 v[14:15], v[14:15], -v[132:133]
	ds_load_2addr_b64 v[132:135], v150 offset0:60 offset1:61
	s_waitcnt lgkmcnt(0)
	v_mul_f64 v[46:47], v[134:135], v[136:137]
	v_fma_f64 v[46:47], v[132:133], v[44:45], -v[46:47]
	v_mul_f64 v[132:133], v[132:133], v[136:137]
	s_delay_alu instid0(VALU_DEP_2) | instskip(NEXT) | instid1(VALU_DEP_2)
	v_add_f64 v[8:9], v[8:9], -v[46:47]
	v_fma_f64 v[132:133], v[134:135], v[44:45], v[132:133]
	s_delay_alu instid0(VALU_DEP_1) | instskip(SKIP_3) | instid1(VALU_DEP_1)
	v_add_f64 v[10:11], v[10:11], -v[132:133]
	ds_load_2addr_b64 v[132:135], v150 offset0:62 offset1:63
	s_waitcnt lgkmcnt(0)
	v_mul_f64 v[46:47], v[134:135], v[136:137]
	v_fma_f64 v[46:47], v[132:133], v[44:45], -v[46:47]
	v_mul_f64 v[132:133], v[132:133], v[136:137]
	s_delay_alu instid0(VALU_DEP_2) | instskip(NEXT) | instid1(VALU_DEP_2)
	v_add_f64 v[4:5], v[4:5], -v[46:47]
	v_fma_f64 v[132:133], v[134:135], v[44:45], v[132:133]
	s_delay_alu instid0(VALU_DEP_1) | instskip(SKIP_3) | instid1(VALU_DEP_1)
	v_add_f64 v[6:7], v[6:7], -v[132:133]
	ds_load_2addr_b64 v[132:135], v150 offset0:64 offset1:65
	s_waitcnt lgkmcnt(0)
	v_mul_f64 v[46:47], v[134:135], v[136:137]
	v_fma_f64 v[46:47], v[132:133], v[44:45], -v[46:47]
	v_mul_f64 v[132:133], v[132:133], v[136:137]
	s_delay_alu instid0(VALU_DEP_2) | instskip(NEXT) | instid1(VALU_DEP_2)
	v_add_f64 v[0:1], v[0:1], -v[46:47]
	v_fma_f64 v[132:133], v[134:135], v[44:45], v[132:133]
	v_dual_mov_b32 v46, v136 :: v_dual_mov_b32 v47, v137
	s_delay_alu instid0(VALU_DEP_2)
	v_add_f64 v[2:3], v[2:3], -v[132:133]
.LBB65_199:
	s_or_b32 exec_lo, exec_lo, s3
	s_delay_alu instid0(SALU_CYCLE_1)
	s_mov_b32 s4, exec_lo
	s_waitcnt_vscnt null, 0x0
	s_barrier
	buffer_gl0_inv
	v_cmpx_eq_u32_e32 22, v140
	s_cbranch_execz .LBB65_206
; %bb.200:
	ds_store_2addr_b64 v141, v[40:41], v[42:43] offset1:1
	ds_store_2addr_b64 v150, v[36:37], v[38:39] offset0:46 offset1:47
	ds_store_2addr_b64 v150, v[32:33], v[34:35] offset0:48 offset1:49
	;; [unrolled: 1-line block ×10, first 2 shown]
	ds_load_2addr_b64 v[132:135], v141 offset1:1
	s_waitcnt lgkmcnt(0)
	v_cmp_neq_f64_e32 vcc_lo, 0, v[132:133]
	v_cmp_neq_f64_e64 s3, 0, v[134:135]
	s_delay_alu instid0(VALU_DEP_1) | instskip(NEXT) | instid1(SALU_CYCLE_1)
	s_or_b32 s3, vcc_lo, s3
	s_and_b32 exec_lo, exec_lo, s3
	s_cbranch_execz .LBB65_206
; %bb.201:
	v_cmp_gt_f64_e32 vcc_lo, 0, v[132:133]
	v_xor_b32_e32 v136, 0x80000000, v133
	v_xor_b32_e32 v138, 0x80000000, v135
	s_mov_b32 s3, exec_lo
                                        ; implicit-def: $vgpr144_vgpr145
	s_delay_alu instid0(VALU_DEP_2) | instskip(SKIP_4) | instid1(VALU_DEP_1)
	v_cndmask_b32_e32 v137, v133, v136, vcc_lo
	v_cndmask_b32_e32 v136, v132, v132, vcc_lo
	v_cmp_gt_f64_e32 vcc_lo, 0, v[134:135]
	v_cndmask_b32_e32 v139, v135, v138, vcc_lo
	v_cndmask_b32_e32 v138, v134, v134, vcc_lo
	v_cmpx_ngt_f64_e32 v[136:137], v[138:139]
	s_xor_b32 s3, exec_lo, s3
                                        ; implicit-def: $vgpr136_vgpr137_vgpr138_vgpr139
	s_cbranch_execz .LBB65_203
; %bb.202:
	v_div_scale_f64 v[136:137], null, v[134:135], v[134:135], v[132:133]
	v_div_scale_f64 v[148:149], vcc_lo, v[132:133], v[134:135], v[132:133]
	s_delay_alu instid0(VALU_DEP_2) | instskip(SKIP_2) | instid1(VALU_DEP_1)
	v_rcp_f64_e32 v[138:139], v[136:137]
	s_waitcnt_depctr 0xfff
	v_fma_f64 v[144:145], -v[136:137], v[138:139], 1.0
	v_fma_f64 v[138:139], v[138:139], v[144:145], v[138:139]
	s_delay_alu instid0(VALU_DEP_1) | instskip(NEXT) | instid1(VALU_DEP_1)
	v_fma_f64 v[144:145], -v[136:137], v[138:139], 1.0
	v_fma_f64 v[138:139], v[138:139], v[144:145], v[138:139]
	s_delay_alu instid0(VALU_DEP_1) | instskip(NEXT) | instid1(VALU_DEP_1)
	v_mul_f64 v[144:145], v[148:149], v[138:139]
	v_fma_f64 v[136:137], -v[136:137], v[144:145], v[148:149]
	s_delay_alu instid0(VALU_DEP_1) | instskip(NEXT) | instid1(VALU_DEP_1)
	v_div_fmas_f64 v[136:137], v[136:137], v[138:139], v[144:145]
	v_div_fixup_f64 v[136:137], v[136:137], v[134:135], v[132:133]
	s_delay_alu instid0(VALU_DEP_1) | instskip(NEXT) | instid1(VALU_DEP_1)
	v_fma_f64 v[132:133], v[132:133], v[136:137], v[134:135]
	v_div_scale_f64 v[134:135], null, v[132:133], v[132:133], 1.0
	s_delay_alu instid0(VALU_DEP_1) | instskip(SKIP_2) | instid1(VALU_DEP_1)
	v_rcp_f64_e32 v[138:139], v[134:135]
	s_waitcnt_depctr 0xfff
	v_fma_f64 v[144:145], -v[134:135], v[138:139], 1.0
	v_fma_f64 v[138:139], v[138:139], v[144:145], v[138:139]
	s_delay_alu instid0(VALU_DEP_1) | instskip(NEXT) | instid1(VALU_DEP_1)
	v_fma_f64 v[144:145], -v[134:135], v[138:139], 1.0
	v_fma_f64 v[138:139], v[138:139], v[144:145], v[138:139]
	v_div_scale_f64 v[144:145], vcc_lo, 1.0, v[132:133], 1.0
	s_delay_alu instid0(VALU_DEP_1) | instskip(NEXT) | instid1(VALU_DEP_1)
	v_mul_f64 v[148:149], v[144:145], v[138:139]
	v_fma_f64 v[134:135], -v[134:135], v[148:149], v[144:145]
	s_delay_alu instid0(VALU_DEP_1) | instskip(NEXT) | instid1(VALU_DEP_1)
	v_div_fmas_f64 v[134:135], v[134:135], v[138:139], v[148:149]
	v_div_fixup_f64 v[138:139], v[134:135], v[132:133], 1.0
                                        ; implicit-def: $vgpr132_vgpr133
	s_delay_alu instid0(VALU_DEP_1)
	v_mul_f64 v[144:145], v[136:137], v[138:139]
	v_xor_b32_e32 v139, 0x80000000, v139
.LBB65_203:
	s_and_not1_saveexec_b32 s3, s3
	s_cbranch_execz .LBB65_205
; %bb.204:
	v_div_scale_f64 v[136:137], null, v[132:133], v[132:133], v[134:135]
	v_div_scale_f64 v[148:149], vcc_lo, v[134:135], v[132:133], v[134:135]
	s_delay_alu instid0(VALU_DEP_2) | instskip(SKIP_2) | instid1(VALU_DEP_1)
	v_rcp_f64_e32 v[138:139], v[136:137]
	s_waitcnt_depctr 0xfff
	v_fma_f64 v[144:145], -v[136:137], v[138:139], 1.0
	v_fma_f64 v[138:139], v[138:139], v[144:145], v[138:139]
	s_delay_alu instid0(VALU_DEP_1) | instskip(NEXT) | instid1(VALU_DEP_1)
	v_fma_f64 v[144:145], -v[136:137], v[138:139], 1.0
	v_fma_f64 v[138:139], v[138:139], v[144:145], v[138:139]
	s_delay_alu instid0(VALU_DEP_1) | instskip(NEXT) | instid1(VALU_DEP_1)
	v_mul_f64 v[144:145], v[148:149], v[138:139]
	v_fma_f64 v[136:137], -v[136:137], v[144:145], v[148:149]
	s_delay_alu instid0(VALU_DEP_1) | instskip(NEXT) | instid1(VALU_DEP_1)
	v_div_fmas_f64 v[136:137], v[136:137], v[138:139], v[144:145]
	v_div_fixup_f64 v[136:137], v[136:137], v[132:133], v[134:135]
	s_delay_alu instid0(VALU_DEP_1) | instskip(NEXT) | instid1(VALU_DEP_1)
	v_fma_f64 v[132:133], v[134:135], v[136:137], v[132:133]
	v_div_scale_f64 v[134:135], null, v[132:133], v[132:133], 1.0
	s_delay_alu instid0(VALU_DEP_1) | instskip(SKIP_2) | instid1(VALU_DEP_1)
	v_rcp_f64_e32 v[138:139], v[134:135]
	s_waitcnt_depctr 0xfff
	v_fma_f64 v[144:145], -v[134:135], v[138:139], 1.0
	v_fma_f64 v[138:139], v[138:139], v[144:145], v[138:139]
	s_delay_alu instid0(VALU_DEP_1) | instskip(NEXT) | instid1(VALU_DEP_1)
	v_fma_f64 v[144:145], -v[134:135], v[138:139], 1.0
	v_fma_f64 v[138:139], v[138:139], v[144:145], v[138:139]
	v_div_scale_f64 v[144:145], vcc_lo, 1.0, v[132:133], 1.0
	s_delay_alu instid0(VALU_DEP_1) | instskip(NEXT) | instid1(VALU_DEP_1)
	v_mul_f64 v[148:149], v[144:145], v[138:139]
	v_fma_f64 v[134:135], -v[134:135], v[148:149], v[144:145]
	s_delay_alu instid0(VALU_DEP_1) | instskip(NEXT) | instid1(VALU_DEP_1)
	v_div_fmas_f64 v[134:135], v[134:135], v[138:139], v[148:149]
	v_div_fixup_f64 v[144:145], v[134:135], v[132:133], 1.0
	s_delay_alu instid0(VALU_DEP_1)
	v_mul_f64 v[138:139], v[136:137], -v[144:145]
.LBB65_205:
	s_or_b32 exec_lo, exec_lo, s3
	ds_store_2addr_b64 v141, v[144:145], v[138:139] offset1:1
.LBB65_206:
	s_or_b32 exec_lo, exec_lo, s4
	s_waitcnt lgkmcnt(0)
	s_barrier
	buffer_gl0_inv
	ds_load_2addr_b64 v[132:135], v141 offset1:1
	s_mov_b32 s3, exec_lo
	s_waitcnt lgkmcnt(0)
	scratch_store_b128 off, v[132:135], off offset:288 ; 16-byte Folded Spill
	v_cmpx_lt_u32_e32 22, v140
	s_cbranch_execz .LBB65_208
; %bb.207:
	scratch_load_b128 v[234:237], off, off offset:288 ; 16-byte Folded Reload
	s_waitcnt vmcnt(0)
	v_mul_f64 v[132:133], v[234:235], v[42:43]
	v_mul_f64 v[42:43], v[236:237], v[42:43]
	s_delay_alu instid0(VALU_DEP_2) | instskip(SKIP_4) | instid1(VALU_DEP_1)
	v_fma_f64 v[136:137], v[236:237], v[40:41], v[132:133]
	ds_load_2addr_b64 v[132:135], v150 offset0:46 offset1:47
	v_fma_f64 v[40:41], v[234:235], v[40:41], -v[42:43]
	s_waitcnt lgkmcnt(0)
	v_mul_f64 v[42:43], v[134:135], v[136:137]
	v_fma_f64 v[42:43], v[132:133], v[40:41], -v[42:43]
	v_mul_f64 v[132:133], v[132:133], v[136:137]
	s_delay_alu instid0(VALU_DEP_2) | instskip(NEXT) | instid1(VALU_DEP_2)
	v_add_f64 v[36:37], v[36:37], -v[42:43]
	v_fma_f64 v[132:133], v[134:135], v[40:41], v[132:133]
	s_delay_alu instid0(VALU_DEP_1) | instskip(SKIP_3) | instid1(VALU_DEP_1)
	v_add_f64 v[38:39], v[38:39], -v[132:133]
	ds_load_2addr_b64 v[132:135], v150 offset0:48 offset1:49
	s_waitcnt lgkmcnt(0)
	v_mul_f64 v[42:43], v[134:135], v[136:137]
	v_fma_f64 v[42:43], v[132:133], v[40:41], -v[42:43]
	v_mul_f64 v[132:133], v[132:133], v[136:137]
	s_delay_alu instid0(VALU_DEP_2) | instskip(NEXT) | instid1(VALU_DEP_2)
	v_add_f64 v[32:33], v[32:33], -v[42:43]
	v_fma_f64 v[132:133], v[134:135], v[40:41], v[132:133]
	s_delay_alu instid0(VALU_DEP_1) | instskip(SKIP_3) | instid1(VALU_DEP_1)
	v_add_f64 v[34:35], v[34:35], -v[132:133]
	ds_load_2addr_b64 v[132:135], v150 offset0:50 offset1:51
	;; [unrolled: 10-line block ×9, first 2 shown]
	s_waitcnt lgkmcnt(0)
	v_mul_f64 v[42:43], v[134:135], v[136:137]
	v_fma_f64 v[42:43], v[132:133], v[40:41], -v[42:43]
	v_mul_f64 v[132:133], v[132:133], v[136:137]
	s_delay_alu instid0(VALU_DEP_2) | instskip(NEXT) | instid1(VALU_DEP_2)
	v_add_f64 v[0:1], v[0:1], -v[42:43]
	v_fma_f64 v[132:133], v[134:135], v[40:41], v[132:133]
	v_dual_mov_b32 v42, v136 :: v_dual_mov_b32 v43, v137
	s_delay_alu instid0(VALU_DEP_2)
	v_add_f64 v[2:3], v[2:3], -v[132:133]
.LBB65_208:
	s_or_b32 exec_lo, exec_lo, s3
	s_delay_alu instid0(SALU_CYCLE_1)
	s_mov_b32 s4, exec_lo
	s_waitcnt_vscnt null, 0x0
	s_barrier
	buffer_gl0_inv
	v_cmpx_eq_u32_e32 23, v140
	s_cbranch_execz .LBB65_215
; %bb.209:
	ds_store_2addr_b64 v141, v[36:37], v[38:39] offset1:1
	ds_store_2addr_b64 v150, v[32:33], v[34:35] offset0:48 offset1:49
	ds_store_2addr_b64 v150, v[28:29], v[30:31] offset0:50 offset1:51
	;; [unrolled: 1-line block ×9, first 2 shown]
	ds_load_2addr_b64 v[132:135], v141 offset1:1
	s_waitcnt lgkmcnt(0)
	v_cmp_neq_f64_e32 vcc_lo, 0, v[132:133]
	v_cmp_neq_f64_e64 s3, 0, v[134:135]
	s_delay_alu instid0(VALU_DEP_1) | instskip(NEXT) | instid1(SALU_CYCLE_1)
	s_or_b32 s3, vcc_lo, s3
	s_and_b32 exec_lo, exec_lo, s3
	s_cbranch_execz .LBB65_215
; %bb.210:
	v_cmp_gt_f64_e32 vcc_lo, 0, v[132:133]
	v_xor_b32_e32 v136, 0x80000000, v133
	v_xor_b32_e32 v138, 0x80000000, v135
	s_mov_b32 s3, exec_lo
                                        ; implicit-def: $vgpr144_vgpr145
	s_delay_alu instid0(VALU_DEP_2) | instskip(SKIP_4) | instid1(VALU_DEP_1)
	v_cndmask_b32_e32 v137, v133, v136, vcc_lo
	v_cndmask_b32_e32 v136, v132, v132, vcc_lo
	v_cmp_gt_f64_e32 vcc_lo, 0, v[134:135]
	v_cndmask_b32_e32 v139, v135, v138, vcc_lo
	v_cndmask_b32_e32 v138, v134, v134, vcc_lo
	v_cmpx_ngt_f64_e32 v[136:137], v[138:139]
	s_xor_b32 s3, exec_lo, s3
                                        ; implicit-def: $vgpr136_vgpr137_vgpr138_vgpr139
	s_cbranch_execz .LBB65_212
; %bb.211:
	v_div_scale_f64 v[136:137], null, v[134:135], v[134:135], v[132:133]
	v_div_scale_f64 v[148:149], vcc_lo, v[132:133], v[134:135], v[132:133]
	s_delay_alu instid0(VALU_DEP_2) | instskip(SKIP_2) | instid1(VALU_DEP_1)
	v_rcp_f64_e32 v[138:139], v[136:137]
	s_waitcnt_depctr 0xfff
	v_fma_f64 v[144:145], -v[136:137], v[138:139], 1.0
	v_fma_f64 v[138:139], v[138:139], v[144:145], v[138:139]
	s_delay_alu instid0(VALU_DEP_1) | instskip(NEXT) | instid1(VALU_DEP_1)
	v_fma_f64 v[144:145], -v[136:137], v[138:139], 1.0
	v_fma_f64 v[138:139], v[138:139], v[144:145], v[138:139]
	s_delay_alu instid0(VALU_DEP_1) | instskip(NEXT) | instid1(VALU_DEP_1)
	v_mul_f64 v[144:145], v[148:149], v[138:139]
	v_fma_f64 v[136:137], -v[136:137], v[144:145], v[148:149]
	s_delay_alu instid0(VALU_DEP_1) | instskip(NEXT) | instid1(VALU_DEP_1)
	v_div_fmas_f64 v[136:137], v[136:137], v[138:139], v[144:145]
	v_div_fixup_f64 v[136:137], v[136:137], v[134:135], v[132:133]
	s_delay_alu instid0(VALU_DEP_1) | instskip(NEXT) | instid1(VALU_DEP_1)
	v_fma_f64 v[132:133], v[132:133], v[136:137], v[134:135]
	v_div_scale_f64 v[134:135], null, v[132:133], v[132:133], 1.0
	s_delay_alu instid0(VALU_DEP_1) | instskip(SKIP_2) | instid1(VALU_DEP_1)
	v_rcp_f64_e32 v[138:139], v[134:135]
	s_waitcnt_depctr 0xfff
	v_fma_f64 v[144:145], -v[134:135], v[138:139], 1.0
	v_fma_f64 v[138:139], v[138:139], v[144:145], v[138:139]
	s_delay_alu instid0(VALU_DEP_1) | instskip(NEXT) | instid1(VALU_DEP_1)
	v_fma_f64 v[144:145], -v[134:135], v[138:139], 1.0
	v_fma_f64 v[138:139], v[138:139], v[144:145], v[138:139]
	v_div_scale_f64 v[144:145], vcc_lo, 1.0, v[132:133], 1.0
	s_delay_alu instid0(VALU_DEP_1) | instskip(NEXT) | instid1(VALU_DEP_1)
	v_mul_f64 v[148:149], v[144:145], v[138:139]
	v_fma_f64 v[134:135], -v[134:135], v[148:149], v[144:145]
	s_delay_alu instid0(VALU_DEP_1) | instskip(NEXT) | instid1(VALU_DEP_1)
	v_div_fmas_f64 v[134:135], v[134:135], v[138:139], v[148:149]
	v_div_fixup_f64 v[138:139], v[134:135], v[132:133], 1.0
                                        ; implicit-def: $vgpr132_vgpr133
	s_delay_alu instid0(VALU_DEP_1)
	v_mul_f64 v[144:145], v[136:137], v[138:139]
	v_xor_b32_e32 v139, 0x80000000, v139
.LBB65_212:
	s_and_not1_saveexec_b32 s3, s3
	s_cbranch_execz .LBB65_214
; %bb.213:
	v_div_scale_f64 v[136:137], null, v[132:133], v[132:133], v[134:135]
	v_div_scale_f64 v[148:149], vcc_lo, v[134:135], v[132:133], v[134:135]
	s_delay_alu instid0(VALU_DEP_2) | instskip(SKIP_2) | instid1(VALU_DEP_1)
	v_rcp_f64_e32 v[138:139], v[136:137]
	s_waitcnt_depctr 0xfff
	v_fma_f64 v[144:145], -v[136:137], v[138:139], 1.0
	v_fma_f64 v[138:139], v[138:139], v[144:145], v[138:139]
	s_delay_alu instid0(VALU_DEP_1) | instskip(NEXT) | instid1(VALU_DEP_1)
	v_fma_f64 v[144:145], -v[136:137], v[138:139], 1.0
	v_fma_f64 v[138:139], v[138:139], v[144:145], v[138:139]
	s_delay_alu instid0(VALU_DEP_1) | instskip(NEXT) | instid1(VALU_DEP_1)
	v_mul_f64 v[144:145], v[148:149], v[138:139]
	v_fma_f64 v[136:137], -v[136:137], v[144:145], v[148:149]
	s_delay_alu instid0(VALU_DEP_1) | instskip(NEXT) | instid1(VALU_DEP_1)
	v_div_fmas_f64 v[136:137], v[136:137], v[138:139], v[144:145]
	v_div_fixup_f64 v[136:137], v[136:137], v[132:133], v[134:135]
	s_delay_alu instid0(VALU_DEP_1) | instskip(NEXT) | instid1(VALU_DEP_1)
	v_fma_f64 v[132:133], v[134:135], v[136:137], v[132:133]
	v_div_scale_f64 v[134:135], null, v[132:133], v[132:133], 1.0
	s_delay_alu instid0(VALU_DEP_1) | instskip(SKIP_2) | instid1(VALU_DEP_1)
	v_rcp_f64_e32 v[138:139], v[134:135]
	s_waitcnt_depctr 0xfff
	v_fma_f64 v[144:145], -v[134:135], v[138:139], 1.0
	v_fma_f64 v[138:139], v[138:139], v[144:145], v[138:139]
	s_delay_alu instid0(VALU_DEP_1) | instskip(NEXT) | instid1(VALU_DEP_1)
	v_fma_f64 v[144:145], -v[134:135], v[138:139], 1.0
	v_fma_f64 v[138:139], v[138:139], v[144:145], v[138:139]
	v_div_scale_f64 v[144:145], vcc_lo, 1.0, v[132:133], 1.0
	s_delay_alu instid0(VALU_DEP_1) | instskip(NEXT) | instid1(VALU_DEP_1)
	v_mul_f64 v[148:149], v[144:145], v[138:139]
	v_fma_f64 v[134:135], -v[134:135], v[148:149], v[144:145]
	s_delay_alu instid0(VALU_DEP_1) | instskip(NEXT) | instid1(VALU_DEP_1)
	v_div_fmas_f64 v[134:135], v[134:135], v[138:139], v[148:149]
	v_div_fixup_f64 v[144:145], v[134:135], v[132:133], 1.0
	s_delay_alu instid0(VALU_DEP_1)
	v_mul_f64 v[138:139], v[136:137], -v[144:145]
.LBB65_214:
	s_or_b32 exec_lo, exec_lo, s3
	ds_store_2addr_b64 v141, v[144:145], v[138:139] offset1:1
.LBB65_215:
	s_or_b32 exec_lo, exec_lo, s4
	s_waitcnt lgkmcnt(0)
	s_barrier
	buffer_gl0_inv
	ds_load_2addr_b64 v[132:135], v141 offset1:1
	s_mov_b32 s3, exec_lo
	s_waitcnt lgkmcnt(0)
	scratch_store_b128 off, v[132:135], off offset:304 ; 16-byte Folded Spill
	v_cmpx_lt_u32_e32 23, v140
	s_cbranch_execz .LBB65_217
; %bb.216:
	scratch_load_b128 v[234:237], off, off offset:304 ; 16-byte Folded Reload
	s_waitcnt vmcnt(0)
	v_mul_f64 v[132:133], v[234:235], v[38:39]
	v_mul_f64 v[38:39], v[236:237], v[38:39]
	s_delay_alu instid0(VALU_DEP_2) | instskip(SKIP_4) | instid1(VALU_DEP_1)
	v_fma_f64 v[136:137], v[236:237], v[36:37], v[132:133]
	ds_load_2addr_b64 v[132:135], v150 offset0:48 offset1:49
	v_fma_f64 v[36:37], v[234:235], v[36:37], -v[38:39]
	s_waitcnt lgkmcnt(0)
	v_mul_f64 v[38:39], v[134:135], v[136:137]
	v_fma_f64 v[38:39], v[132:133], v[36:37], -v[38:39]
	v_mul_f64 v[132:133], v[132:133], v[136:137]
	s_delay_alu instid0(VALU_DEP_2) | instskip(NEXT) | instid1(VALU_DEP_2)
	v_add_f64 v[32:33], v[32:33], -v[38:39]
	v_fma_f64 v[132:133], v[134:135], v[36:37], v[132:133]
	s_delay_alu instid0(VALU_DEP_1) | instskip(SKIP_3) | instid1(VALU_DEP_1)
	v_add_f64 v[34:35], v[34:35], -v[132:133]
	ds_load_2addr_b64 v[132:135], v150 offset0:50 offset1:51
	s_waitcnt lgkmcnt(0)
	v_mul_f64 v[38:39], v[134:135], v[136:137]
	v_fma_f64 v[38:39], v[132:133], v[36:37], -v[38:39]
	v_mul_f64 v[132:133], v[132:133], v[136:137]
	s_delay_alu instid0(VALU_DEP_2) | instskip(NEXT) | instid1(VALU_DEP_2)
	v_add_f64 v[28:29], v[28:29], -v[38:39]
	v_fma_f64 v[132:133], v[134:135], v[36:37], v[132:133]
	s_delay_alu instid0(VALU_DEP_1) | instskip(SKIP_3) | instid1(VALU_DEP_1)
	v_add_f64 v[30:31], v[30:31], -v[132:133]
	ds_load_2addr_b64 v[132:135], v150 offset0:52 offset1:53
	;; [unrolled: 10-line block ×8, first 2 shown]
	s_waitcnt lgkmcnt(0)
	v_mul_f64 v[38:39], v[134:135], v[136:137]
	v_fma_f64 v[38:39], v[132:133], v[36:37], -v[38:39]
	v_mul_f64 v[132:133], v[132:133], v[136:137]
	s_delay_alu instid0(VALU_DEP_2) | instskip(NEXT) | instid1(VALU_DEP_2)
	v_add_f64 v[0:1], v[0:1], -v[38:39]
	v_fma_f64 v[132:133], v[134:135], v[36:37], v[132:133]
	v_dual_mov_b32 v38, v136 :: v_dual_mov_b32 v39, v137
	s_delay_alu instid0(VALU_DEP_2)
	v_add_f64 v[2:3], v[2:3], -v[132:133]
.LBB65_217:
	s_or_b32 exec_lo, exec_lo, s3
	s_delay_alu instid0(SALU_CYCLE_1)
	s_mov_b32 s4, exec_lo
	s_waitcnt_vscnt null, 0x0
	s_barrier
	buffer_gl0_inv
	v_cmpx_eq_u32_e32 24, v140
	s_cbranch_execz .LBB65_224
; %bb.218:
	ds_store_2addr_b64 v141, v[32:33], v[34:35] offset1:1
	ds_store_2addr_b64 v150, v[28:29], v[30:31] offset0:50 offset1:51
	ds_store_2addr_b64 v150, v[24:25], v[26:27] offset0:52 offset1:53
	;; [unrolled: 1-line block ×8, first 2 shown]
	ds_load_2addr_b64 v[132:135], v141 offset1:1
	s_waitcnt lgkmcnt(0)
	v_cmp_neq_f64_e32 vcc_lo, 0, v[132:133]
	v_cmp_neq_f64_e64 s3, 0, v[134:135]
	s_delay_alu instid0(VALU_DEP_1) | instskip(NEXT) | instid1(SALU_CYCLE_1)
	s_or_b32 s3, vcc_lo, s3
	s_and_b32 exec_lo, exec_lo, s3
	s_cbranch_execz .LBB65_224
; %bb.219:
	v_cmp_gt_f64_e32 vcc_lo, 0, v[132:133]
	v_xor_b32_e32 v136, 0x80000000, v133
	v_xor_b32_e32 v138, 0x80000000, v135
	s_mov_b32 s3, exec_lo
                                        ; implicit-def: $vgpr144_vgpr145
	s_delay_alu instid0(VALU_DEP_2) | instskip(SKIP_4) | instid1(VALU_DEP_1)
	v_cndmask_b32_e32 v137, v133, v136, vcc_lo
	v_cndmask_b32_e32 v136, v132, v132, vcc_lo
	v_cmp_gt_f64_e32 vcc_lo, 0, v[134:135]
	v_cndmask_b32_e32 v139, v135, v138, vcc_lo
	v_cndmask_b32_e32 v138, v134, v134, vcc_lo
	v_cmpx_ngt_f64_e32 v[136:137], v[138:139]
	s_xor_b32 s3, exec_lo, s3
                                        ; implicit-def: $vgpr136_vgpr137_vgpr138_vgpr139
	s_cbranch_execz .LBB65_221
; %bb.220:
	v_div_scale_f64 v[136:137], null, v[134:135], v[134:135], v[132:133]
	v_div_scale_f64 v[148:149], vcc_lo, v[132:133], v[134:135], v[132:133]
	s_delay_alu instid0(VALU_DEP_2) | instskip(SKIP_2) | instid1(VALU_DEP_1)
	v_rcp_f64_e32 v[138:139], v[136:137]
	s_waitcnt_depctr 0xfff
	v_fma_f64 v[144:145], -v[136:137], v[138:139], 1.0
	v_fma_f64 v[138:139], v[138:139], v[144:145], v[138:139]
	s_delay_alu instid0(VALU_DEP_1) | instskip(NEXT) | instid1(VALU_DEP_1)
	v_fma_f64 v[144:145], -v[136:137], v[138:139], 1.0
	v_fma_f64 v[138:139], v[138:139], v[144:145], v[138:139]
	s_delay_alu instid0(VALU_DEP_1) | instskip(NEXT) | instid1(VALU_DEP_1)
	v_mul_f64 v[144:145], v[148:149], v[138:139]
	v_fma_f64 v[136:137], -v[136:137], v[144:145], v[148:149]
	s_delay_alu instid0(VALU_DEP_1) | instskip(NEXT) | instid1(VALU_DEP_1)
	v_div_fmas_f64 v[136:137], v[136:137], v[138:139], v[144:145]
	v_div_fixup_f64 v[136:137], v[136:137], v[134:135], v[132:133]
	s_delay_alu instid0(VALU_DEP_1) | instskip(NEXT) | instid1(VALU_DEP_1)
	v_fma_f64 v[132:133], v[132:133], v[136:137], v[134:135]
	v_div_scale_f64 v[134:135], null, v[132:133], v[132:133], 1.0
	s_delay_alu instid0(VALU_DEP_1) | instskip(SKIP_2) | instid1(VALU_DEP_1)
	v_rcp_f64_e32 v[138:139], v[134:135]
	s_waitcnt_depctr 0xfff
	v_fma_f64 v[144:145], -v[134:135], v[138:139], 1.0
	v_fma_f64 v[138:139], v[138:139], v[144:145], v[138:139]
	s_delay_alu instid0(VALU_DEP_1) | instskip(NEXT) | instid1(VALU_DEP_1)
	v_fma_f64 v[144:145], -v[134:135], v[138:139], 1.0
	v_fma_f64 v[138:139], v[138:139], v[144:145], v[138:139]
	v_div_scale_f64 v[144:145], vcc_lo, 1.0, v[132:133], 1.0
	s_delay_alu instid0(VALU_DEP_1) | instskip(NEXT) | instid1(VALU_DEP_1)
	v_mul_f64 v[148:149], v[144:145], v[138:139]
	v_fma_f64 v[134:135], -v[134:135], v[148:149], v[144:145]
	s_delay_alu instid0(VALU_DEP_1) | instskip(NEXT) | instid1(VALU_DEP_1)
	v_div_fmas_f64 v[134:135], v[134:135], v[138:139], v[148:149]
	v_div_fixup_f64 v[138:139], v[134:135], v[132:133], 1.0
                                        ; implicit-def: $vgpr132_vgpr133
	s_delay_alu instid0(VALU_DEP_1)
	v_mul_f64 v[144:145], v[136:137], v[138:139]
	v_xor_b32_e32 v139, 0x80000000, v139
.LBB65_221:
	s_and_not1_saveexec_b32 s3, s3
	s_cbranch_execz .LBB65_223
; %bb.222:
	v_div_scale_f64 v[136:137], null, v[132:133], v[132:133], v[134:135]
	v_div_scale_f64 v[148:149], vcc_lo, v[134:135], v[132:133], v[134:135]
	s_delay_alu instid0(VALU_DEP_2) | instskip(SKIP_2) | instid1(VALU_DEP_1)
	v_rcp_f64_e32 v[138:139], v[136:137]
	s_waitcnt_depctr 0xfff
	v_fma_f64 v[144:145], -v[136:137], v[138:139], 1.0
	v_fma_f64 v[138:139], v[138:139], v[144:145], v[138:139]
	s_delay_alu instid0(VALU_DEP_1) | instskip(NEXT) | instid1(VALU_DEP_1)
	v_fma_f64 v[144:145], -v[136:137], v[138:139], 1.0
	v_fma_f64 v[138:139], v[138:139], v[144:145], v[138:139]
	s_delay_alu instid0(VALU_DEP_1) | instskip(NEXT) | instid1(VALU_DEP_1)
	v_mul_f64 v[144:145], v[148:149], v[138:139]
	v_fma_f64 v[136:137], -v[136:137], v[144:145], v[148:149]
	s_delay_alu instid0(VALU_DEP_1) | instskip(NEXT) | instid1(VALU_DEP_1)
	v_div_fmas_f64 v[136:137], v[136:137], v[138:139], v[144:145]
	v_div_fixup_f64 v[136:137], v[136:137], v[132:133], v[134:135]
	s_delay_alu instid0(VALU_DEP_1) | instskip(NEXT) | instid1(VALU_DEP_1)
	v_fma_f64 v[132:133], v[134:135], v[136:137], v[132:133]
	v_div_scale_f64 v[134:135], null, v[132:133], v[132:133], 1.0
	s_delay_alu instid0(VALU_DEP_1) | instskip(SKIP_2) | instid1(VALU_DEP_1)
	v_rcp_f64_e32 v[138:139], v[134:135]
	s_waitcnt_depctr 0xfff
	v_fma_f64 v[144:145], -v[134:135], v[138:139], 1.0
	v_fma_f64 v[138:139], v[138:139], v[144:145], v[138:139]
	s_delay_alu instid0(VALU_DEP_1) | instskip(NEXT) | instid1(VALU_DEP_1)
	v_fma_f64 v[144:145], -v[134:135], v[138:139], 1.0
	v_fma_f64 v[138:139], v[138:139], v[144:145], v[138:139]
	v_div_scale_f64 v[144:145], vcc_lo, 1.0, v[132:133], 1.0
	s_delay_alu instid0(VALU_DEP_1) | instskip(NEXT) | instid1(VALU_DEP_1)
	v_mul_f64 v[148:149], v[144:145], v[138:139]
	v_fma_f64 v[134:135], -v[134:135], v[148:149], v[144:145]
	s_delay_alu instid0(VALU_DEP_1) | instskip(NEXT) | instid1(VALU_DEP_1)
	v_div_fmas_f64 v[134:135], v[134:135], v[138:139], v[148:149]
	v_div_fixup_f64 v[144:145], v[134:135], v[132:133], 1.0
	s_delay_alu instid0(VALU_DEP_1)
	v_mul_f64 v[138:139], v[136:137], -v[144:145]
.LBB65_223:
	s_or_b32 exec_lo, exec_lo, s3
	ds_store_2addr_b64 v141, v[144:145], v[138:139] offset1:1
.LBB65_224:
	s_or_b32 exec_lo, exec_lo, s4
	s_waitcnt lgkmcnt(0)
	s_barrier
	buffer_gl0_inv
	ds_load_2addr_b64 v[132:135], v141 offset1:1
	s_mov_b32 s3, exec_lo
	s_waitcnt lgkmcnt(0)
	scratch_store_b128 off, v[132:135], off offset:320 ; 16-byte Folded Spill
	v_cmpx_lt_u32_e32 24, v140
	s_cbranch_execz .LBB65_226
; %bb.225:
	scratch_load_b128 v[234:237], off, off offset:320 ; 16-byte Folded Reload
	s_waitcnt vmcnt(0)
	v_mul_f64 v[132:133], v[234:235], v[34:35]
	v_mul_f64 v[34:35], v[236:237], v[34:35]
	s_delay_alu instid0(VALU_DEP_2) | instskip(SKIP_4) | instid1(VALU_DEP_1)
	v_fma_f64 v[136:137], v[236:237], v[32:33], v[132:133]
	ds_load_2addr_b64 v[132:135], v150 offset0:50 offset1:51
	v_fma_f64 v[32:33], v[234:235], v[32:33], -v[34:35]
	s_waitcnt lgkmcnt(0)
	v_mul_f64 v[34:35], v[134:135], v[136:137]
	v_fma_f64 v[34:35], v[132:133], v[32:33], -v[34:35]
	v_mul_f64 v[132:133], v[132:133], v[136:137]
	s_delay_alu instid0(VALU_DEP_2) | instskip(NEXT) | instid1(VALU_DEP_2)
	v_add_f64 v[28:29], v[28:29], -v[34:35]
	v_fma_f64 v[132:133], v[134:135], v[32:33], v[132:133]
	s_delay_alu instid0(VALU_DEP_1) | instskip(SKIP_3) | instid1(VALU_DEP_1)
	v_add_f64 v[30:31], v[30:31], -v[132:133]
	ds_load_2addr_b64 v[132:135], v150 offset0:52 offset1:53
	s_waitcnt lgkmcnt(0)
	v_mul_f64 v[34:35], v[134:135], v[136:137]
	v_fma_f64 v[34:35], v[132:133], v[32:33], -v[34:35]
	v_mul_f64 v[132:133], v[132:133], v[136:137]
	s_delay_alu instid0(VALU_DEP_2) | instskip(NEXT) | instid1(VALU_DEP_2)
	v_add_f64 v[24:25], v[24:25], -v[34:35]
	v_fma_f64 v[132:133], v[134:135], v[32:33], v[132:133]
	s_delay_alu instid0(VALU_DEP_1) | instskip(SKIP_3) | instid1(VALU_DEP_1)
	v_add_f64 v[26:27], v[26:27], -v[132:133]
	ds_load_2addr_b64 v[132:135], v150 offset0:54 offset1:55
	;; [unrolled: 10-line block ×7, first 2 shown]
	s_waitcnt lgkmcnt(0)
	v_mul_f64 v[34:35], v[134:135], v[136:137]
	v_fma_f64 v[34:35], v[132:133], v[32:33], -v[34:35]
	v_mul_f64 v[132:133], v[132:133], v[136:137]
	s_delay_alu instid0(VALU_DEP_2) | instskip(NEXT) | instid1(VALU_DEP_2)
	v_add_f64 v[0:1], v[0:1], -v[34:35]
	v_fma_f64 v[132:133], v[134:135], v[32:33], v[132:133]
	v_dual_mov_b32 v34, v136 :: v_dual_mov_b32 v35, v137
	s_delay_alu instid0(VALU_DEP_2)
	v_add_f64 v[2:3], v[2:3], -v[132:133]
.LBB65_226:
	s_or_b32 exec_lo, exec_lo, s3
	s_delay_alu instid0(SALU_CYCLE_1)
	s_mov_b32 s4, exec_lo
	s_waitcnt_vscnt null, 0x0
	s_barrier
	buffer_gl0_inv
	v_cmpx_eq_u32_e32 25, v140
	s_cbranch_execz .LBB65_233
; %bb.227:
	ds_store_2addr_b64 v141, v[28:29], v[30:31] offset1:1
	ds_store_2addr_b64 v150, v[24:25], v[26:27] offset0:52 offset1:53
	ds_store_2addr_b64 v150, v[20:21], v[22:23] offset0:54 offset1:55
	;; [unrolled: 1-line block ×7, first 2 shown]
	ds_load_2addr_b64 v[132:135], v141 offset1:1
	s_waitcnt lgkmcnt(0)
	v_cmp_neq_f64_e32 vcc_lo, 0, v[132:133]
	v_cmp_neq_f64_e64 s3, 0, v[134:135]
	s_delay_alu instid0(VALU_DEP_1) | instskip(NEXT) | instid1(SALU_CYCLE_1)
	s_or_b32 s3, vcc_lo, s3
	s_and_b32 exec_lo, exec_lo, s3
	s_cbranch_execz .LBB65_233
; %bb.228:
	v_cmp_gt_f64_e32 vcc_lo, 0, v[132:133]
	v_xor_b32_e32 v136, 0x80000000, v133
	v_xor_b32_e32 v138, 0x80000000, v135
	s_mov_b32 s3, exec_lo
                                        ; implicit-def: $vgpr144_vgpr145
	s_delay_alu instid0(VALU_DEP_2) | instskip(SKIP_4) | instid1(VALU_DEP_1)
	v_cndmask_b32_e32 v137, v133, v136, vcc_lo
	v_cndmask_b32_e32 v136, v132, v132, vcc_lo
	v_cmp_gt_f64_e32 vcc_lo, 0, v[134:135]
	v_cndmask_b32_e32 v139, v135, v138, vcc_lo
	v_cndmask_b32_e32 v138, v134, v134, vcc_lo
	v_cmpx_ngt_f64_e32 v[136:137], v[138:139]
	s_xor_b32 s3, exec_lo, s3
                                        ; implicit-def: $vgpr136_vgpr137_vgpr138_vgpr139
	s_cbranch_execz .LBB65_230
; %bb.229:
	v_div_scale_f64 v[136:137], null, v[134:135], v[134:135], v[132:133]
	v_div_scale_f64 v[148:149], vcc_lo, v[132:133], v[134:135], v[132:133]
	s_delay_alu instid0(VALU_DEP_2) | instskip(SKIP_2) | instid1(VALU_DEP_1)
	v_rcp_f64_e32 v[138:139], v[136:137]
	s_waitcnt_depctr 0xfff
	v_fma_f64 v[144:145], -v[136:137], v[138:139], 1.0
	v_fma_f64 v[138:139], v[138:139], v[144:145], v[138:139]
	s_delay_alu instid0(VALU_DEP_1) | instskip(NEXT) | instid1(VALU_DEP_1)
	v_fma_f64 v[144:145], -v[136:137], v[138:139], 1.0
	v_fma_f64 v[138:139], v[138:139], v[144:145], v[138:139]
	s_delay_alu instid0(VALU_DEP_1) | instskip(NEXT) | instid1(VALU_DEP_1)
	v_mul_f64 v[144:145], v[148:149], v[138:139]
	v_fma_f64 v[136:137], -v[136:137], v[144:145], v[148:149]
	s_delay_alu instid0(VALU_DEP_1) | instskip(NEXT) | instid1(VALU_DEP_1)
	v_div_fmas_f64 v[136:137], v[136:137], v[138:139], v[144:145]
	v_div_fixup_f64 v[136:137], v[136:137], v[134:135], v[132:133]
	s_delay_alu instid0(VALU_DEP_1) | instskip(NEXT) | instid1(VALU_DEP_1)
	v_fma_f64 v[132:133], v[132:133], v[136:137], v[134:135]
	v_div_scale_f64 v[134:135], null, v[132:133], v[132:133], 1.0
	s_delay_alu instid0(VALU_DEP_1) | instskip(SKIP_2) | instid1(VALU_DEP_1)
	v_rcp_f64_e32 v[138:139], v[134:135]
	s_waitcnt_depctr 0xfff
	v_fma_f64 v[144:145], -v[134:135], v[138:139], 1.0
	v_fma_f64 v[138:139], v[138:139], v[144:145], v[138:139]
	s_delay_alu instid0(VALU_DEP_1) | instskip(NEXT) | instid1(VALU_DEP_1)
	v_fma_f64 v[144:145], -v[134:135], v[138:139], 1.0
	v_fma_f64 v[138:139], v[138:139], v[144:145], v[138:139]
	v_div_scale_f64 v[144:145], vcc_lo, 1.0, v[132:133], 1.0
	s_delay_alu instid0(VALU_DEP_1) | instskip(NEXT) | instid1(VALU_DEP_1)
	v_mul_f64 v[148:149], v[144:145], v[138:139]
	v_fma_f64 v[134:135], -v[134:135], v[148:149], v[144:145]
	s_delay_alu instid0(VALU_DEP_1) | instskip(NEXT) | instid1(VALU_DEP_1)
	v_div_fmas_f64 v[134:135], v[134:135], v[138:139], v[148:149]
	v_div_fixup_f64 v[138:139], v[134:135], v[132:133], 1.0
                                        ; implicit-def: $vgpr132_vgpr133
	s_delay_alu instid0(VALU_DEP_1)
	v_mul_f64 v[144:145], v[136:137], v[138:139]
	v_xor_b32_e32 v139, 0x80000000, v139
.LBB65_230:
	s_and_not1_saveexec_b32 s3, s3
	s_cbranch_execz .LBB65_232
; %bb.231:
	v_div_scale_f64 v[136:137], null, v[132:133], v[132:133], v[134:135]
	v_div_scale_f64 v[148:149], vcc_lo, v[134:135], v[132:133], v[134:135]
	s_delay_alu instid0(VALU_DEP_2) | instskip(SKIP_2) | instid1(VALU_DEP_1)
	v_rcp_f64_e32 v[138:139], v[136:137]
	s_waitcnt_depctr 0xfff
	v_fma_f64 v[144:145], -v[136:137], v[138:139], 1.0
	v_fma_f64 v[138:139], v[138:139], v[144:145], v[138:139]
	s_delay_alu instid0(VALU_DEP_1) | instskip(NEXT) | instid1(VALU_DEP_1)
	v_fma_f64 v[144:145], -v[136:137], v[138:139], 1.0
	v_fma_f64 v[138:139], v[138:139], v[144:145], v[138:139]
	s_delay_alu instid0(VALU_DEP_1) | instskip(NEXT) | instid1(VALU_DEP_1)
	v_mul_f64 v[144:145], v[148:149], v[138:139]
	v_fma_f64 v[136:137], -v[136:137], v[144:145], v[148:149]
	s_delay_alu instid0(VALU_DEP_1) | instskip(NEXT) | instid1(VALU_DEP_1)
	v_div_fmas_f64 v[136:137], v[136:137], v[138:139], v[144:145]
	v_div_fixup_f64 v[136:137], v[136:137], v[132:133], v[134:135]
	s_delay_alu instid0(VALU_DEP_1) | instskip(NEXT) | instid1(VALU_DEP_1)
	v_fma_f64 v[132:133], v[134:135], v[136:137], v[132:133]
	v_div_scale_f64 v[134:135], null, v[132:133], v[132:133], 1.0
	s_delay_alu instid0(VALU_DEP_1) | instskip(SKIP_2) | instid1(VALU_DEP_1)
	v_rcp_f64_e32 v[138:139], v[134:135]
	s_waitcnt_depctr 0xfff
	v_fma_f64 v[144:145], -v[134:135], v[138:139], 1.0
	v_fma_f64 v[138:139], v[138:139], v[144:145], v[138:139]
	s_delay_alu instid0(VALU_DEP_1) | instskip(NEXT) | instid1(VALU_DEP_1)
	v_fma_f64 v[144:145], -v[134:135], v[138:139], 1.0
	v_fma_f64 v[138:139], v[138:139], v[144:145], v[138:139]
	v_div_scale_f64 v[144:145], vcc_lo, 1.0, v[132:133], 1.0
	s_delay_alu instid0(VALU_DEP_1) | instskip(NEXT) | instid1(VALU_DEP_1)
	v_mul_f64 v[148:149], v[144:145], v[138:139]
	v_fma_f64 v[134:135], -v[134:135], v[148:149], v[144:145]
	s_delay_alu instid0(VALU_DEP_1) | instskip(NEXT) | instid1(VALU_DEP_1)
	v_div_fmas_f64 v[134:135], v[134:135], v[138:139], v[148:149]
	v_div_fixup_f64 v[144:145], v[134:135], v[132:133], 1.0
	s_delay_alu instid0(VALU_DEP_1)
	v_mul_f64 v[138:139], v[136:137], -v[144:145]
.LBB65_232:
	s_or_b32 exec_lo, exec_lo, s3
	ds_store_2addr_b64 v141, v[144:145], v[138:139] offset1:1
.LBB65_233:
	s_or_b32 exec_lo, exec_lo, s4
	s_waitcnt lgkmcnt(0)
	s_barrier
	buffer_gl0_inv
	ds_load_2addr_b64 v[132:135], v141 offset1:1
	s_mov_b32 s3, exec_lo
	s_waitcnt lgkmcnt(0)
	scratch_store_b128 off, v[132:135], off offset:336 ; 16-byte Folded Spill
	v_cmpx_lt_u32_e32 25, v140
	s_cbranch_execz .LBB65_235
; %bb.234:
	scratch_load_b128 v[234:237], off, off offset:336 ; 16-byte Folded Reload
	s_waitcnt vmcnt(0)
	v_mul_f64 v[132:133], v[234:235], v[30:31]
	v_mul_f64 v[30:31], v[236:237], v[30:31]
	s_delay_alu instid0(VALU_DEP_2) | instskip(SKIP_4) | instid1(VALU_DEP_1)
	v_fma_f64 v[136:137], v[236:237], v[28:29], v[132:133]
	ds_load_2addr_b64 v[132:135], v150 offset0:52 offset1:53
	v_fma_f64 v[28:29], v[234:235], v[28:29], -v[30:31]
	s_waitcnt lgkmcnt(0)
	v_mul_f64 v[30:31], v[134:135], v[136:137]
	v_fma_f64 v[30:31], v[132:133], v[28:29], -v[30:31]
	v_mul_f64 v[132:133], v[132:133], v[136:137]
	s_delay_alu instid0(VALU_DEP_2) | instskip(NEXT) | instid1(VALU_DEP_2)
	v_add_f64 v[24:25], v[24:25], -v[30:31]
	v_fma_f64 v[132:133], v[134:135], v[28:29], v[132:133]
	s_delay_alu instid0(VALU_DEP_1) | instskip(SKIP_3) | instid1(VALU_DEP_1)
	v_add_f64 v[26:27], v[26:27], -v[132:133]
	ds_load_2addr_b64 v[132:135], v150 offset0:54 offset1:55
	s_waitcnt lgkmcnt(0)
	v_mul_f64 v[30:31], v[134:135], v[136:137]
	v_fma_f64 v[30:31], v[132:133], v[28:29], -v[30:31]
	v_mul_f64 v[132:133], v[132:133], v[136:137]
	s_delay_alu instid0(VALU_DEP_2) | instskip(NEXT) | instid1(VALU_DEP_2)
	v_add_f64 v[20:21], v[20:21], -v[30:31]
	v_fma_f64 v[132:133], v[134:135], v[28:29], v[132:133]
	s_delay_alu instid0(VALU_DEP_1) | instskip(SKIP_3) | instid1(VALU_DEP_1)
	v_add_f64 v[22:23], v[22:23], -v[132:133]
	ds_load_2addr_b64 v[132:135], v150 offset0:56 offset1:57
	;; [unrolled: 10-line block ×6, first 2 shown]
	s_waitcnt lgkmcnt(0)
	v_mul_f64 v[30:31], v[134:135], v[136:137]
	v_fma_f64 v[30:31], v[132:133], v[28:29], -v[30:31]
	v_mul_f64 v[132:133], v[132:133], v[136:137]
	s_delay_alu instid0(VALU_DEP_2) | instskip(NEXT) | instid1(VALU_DEP_2)
	v_add_f64 v[0:1], v[0:1], -v[30:31]
	v_fma_f64 v[132:133], v[134:135], v[28:29], v[132:133]
	v_dual_mov_b32 v30, v136 :: v_dual_mov_b32 v31, v137
	s_delay_alu instid0(VALU_DEP_2)
	v_add_f64 v[2:3], v[2:3], -v[132:133]
.LBB65_235:
	s_or_b32 exec_lo, exec_lo, s3
	s_delay_alu instid0(SALU_CYCLE_1)
	s_mov_b32 s4, exec_lo
	s_waitcnt_vscnt null, 0x0
	s_barrier
	buffer_gl0_inv
	v_cmpx_eq_u32_e32 26, v140
	s_cbranch_execz .LBB65_242
; %bb.236:
	ds_store_2addr_b64 v141, v[24:25], v[26:27] offset1:1
	ds_store_2addr_b64 v150, v[20:21], v[22:23] offset0:54 offset1:55
	ds_store_2addr_b64 v150, v[16:17], v[18:19] offset0:56 offset1:57
	;; [unrolled: 1-line block ×6, first 2 shown]
	ds_load_2addr_b64 v[132:135], v141 offset1:1
	s_waitcnt lgkmcnt(0)
	v_cmp_neq_f64_e32 vcc_lo, 0, v[132:133]
	v_cmp_neq_f64_e64 s3, 0, v[134:135]
	s_delay_alu instid0(VALU_DEP_1) | instskip(NEXT) | instid1(SALU_CYCLE_1)
	s_or_b32 s3, vcc_lo, s3
	s_and_b32 exec_lo, exec_lo, s3
	s_cbranch_execz .LBB65_242
; %bb.237:
	v_cmp_gt_f64_e32 vcc_lo, 0, v[132:133]
	v_xor_b32_e32 v136, 0x80000000, v133
	v_xor_b32_e32 v138, 0x80000000, v135
	s_mov_b32 s3, exec_lo
                                        ; implicit-def: $vgpr144_vgpr145
	s_delay_alu instid0(VALU_DEP_2) | instskip(SKIP_4) | instid1(VALU_DEP_1)
	v_cndmask_b32_e32 v137, v133, v136, vcc_lo
	v_cndmask_b32_e32 v136, v132, v132, vcc_lo
	v_cmp_gt_f64_e32 vcc_lo, 0, v[134:135]
	v_cndmask_b32_e32 v139, v135, v138, vcc_lo
	v_cndmask_b32_e32 v138, v134, v134, vcc_lo
	v_cmpx_ngt_f64_e32 v[136:137], v[138:139]
	s_xor_b32 s3, exec_lo, s3
                                        ; implicit-def: $vgpr136_vgpr137_vgpr138_vgpr139
	s_cbranch_execz .LBB65_239
; %bb.238:
	v_div_scale_f64 v[136:137], null, v[134:135], v[134:135], v[132:133]
	v_div_scale_f64 v[148:149], vcc_lo, v[132:133], v[134:135], v[132:133]
	s_delay_alu instid0(VALU_DEP_2) | instskip(SKIP_2) | instid1(VALU_DEP_1)
	v_rcp_f64_e32 v[138:139], v[136:137]
	s_waitcnt_depctr 0xfff
	v_fma_f64 v[144:145], -v[136:137], v[138:139], 1.0
	v_fma_f64 v[138:139], v[138:139], v[144:145], v[138:139]
	s_delay_alu instid0(VALU_DEP_1) | instskip(NEXT) | instid1(VALU_DEP_1)
	v_fma_f64 v[144:145], -v[136:137], v[138:139], 1.0
	v_fma_f64 v[138:139], v[138:139], v[144:145], v[138:139]
	s_delay_alu instid0(VALU_DEP_1) | instskip(NEXT) | instid1(VALU_DEP_1)
	v_mul_f64 v[144:145], v[148:149], v[138:139]
	v_fma_f64 v[136:137], -v[136:137], v[144:145], v[148:149]
	s_delay_alu instid0(VALU_DEP_1) | instskip(NEXT) | instid1(VALU_DEP_1)
	v_div_fmas_f64 v[136:137], v[136:137], v[138:139], v[144:145]
	v_div_fixup_f64 v[136:137], v[136:137], v[134:135], v[132:133]
	s_delay_alu instid0(VALU_DEP_1) | instskip(NEXT) | instid1(VALU_DEP_1)
	v_fma_f64 v[132:133], v[132:133], v[136:137], v[134:135]
	v_div_scale_f64 v[134:135], null, v[132:133], v[132:133], 1.0
	s_delay_alu instid0(VALU_DEP_1) | instskip(SKIP_2) | instid1(VALU_DEP_1)
	v_rcp_f64_e32 v[138:139], v[134:135]
	s_waitcnt_depctr 0xfff
	v_fma_f64 v[144:145], -v[134:135], v[138:139], 1.0
	v_fma_f64 v[138:139], v[138:139], v[144:145], v[138:139]
	s_delay_alu instid0(VALU_DEP_1) | instskip(NEXT) | instid1(VALU_DEP_1)
	v_fma_f64 v[144:145], -v[134:135], v[138:139], 1.0
	v_fma_f64 v[138:139], v[138:139], v[144:145], v[138:139]
	v_div_scale_f64 v[144:145], vcc_lo, 1.0, v[132:133], 1.0
	s_delay_alu instid0(VALU_DEP_1) | instskip(NEXT) | instid1(VALU_DEP_1)
	v_mul_f64 v[148:149], v[144:145], v[138:139]
	v_fma_f64 v[134:135], -v[134:135], v[148:149], v[144:145]
	s_delay_alu instid0(VALU_DEP_1) | instskip(NEXT) | instid1(VALU_DEP_1)
	v_div_fmas_f64 v[134:135], v[134:135], v[138:139], v[148:149]
	v_div_fixup_f64 v[138:139], v[134:135], v[132:133], 1.0
                                        ; implicit-def: $vgpr132_vgpr133
	s_delay_alu instid0(VALU_DEP_1)
	v_mul_f64 v[144:145], v[136:137], v[138:139]
	v_xor_b32_e32 v139, 0x80000000, v139
.LBB65_239:
	s_and_not1_saveexec_b32 s3, s3
	s_cbranch_execz .LBB65_241
; %bb.240:
	v_div_scale_f64 v[136:137], null, v[132:133], v[132:133], v[134:135]
	v_div_scale_f64 v[148:149], vcc_lo, v[134:135], v[132:133], v[134:135]
	s_delay_alu instid0(VALU_DEP_2) | instskip(SKIP_2) | instid1(VALU_DEP_1)
	v_rcp_f64_e32 v[138:139], v[136:137]
	s_waitcnt_depctr 0xfff
	v_fma_f64 v[144:145], -v[136:137], v[138:139], 1.0
	v_fma_f64 v[138:139], v[138:139], v[144:145], v[138:139]
	s_delay_alu instid0(VALU_DEP_1) | instskip(NEXT) | instid1(VALU_DEP_1)
	v_fma_f64 v[144:145], -v[136:137], v[138:139], 1.0
	v_fma_f64 v[138:139], v[138:139], v[144:145], v[138:139]
	s_delay_alu instid0(VALU_DEP_1) | instskip(NEXT) | instid1(VALU_DEP_1)
	v_mul_f64 v[144:145], v[148:149], v[138:139]
	v_fma_f64 v[136:137], -v[136:137], v[144:145], v[148:149]
	s_delay_alu instid0(VALU_DEP_1) | instskip(NEXT) | instid1(VALU_DEP_1)
	v_div_fmas_f64 v[136:137], v[136:137], v[138:139], v[144:145]
	v_div_fixup_f64 v[136:137], v[136:137], v[132:133], v[134:135]
	s_delay_alu instid0(VALU_DEP_1) | instskip(NEXT) | instid1(VALU_DEP_1)
	v_fma_f64 v[132:133], v[134:135], v[136:137], v[132:133]
	v_div_scale_f64 v[134:135], null, v[132:133], v[132:133], 1.0
	s_delay_alu instid0(VALU_DEP_1) | instskip(SKIP_2) | instid1(VALU_DEP_1)
	v_rcp_f64_e32 v[138:139], v[134:135]
	s_waitcnt_depctr 0xfff
	v_fma_f64 v[144:145], -v[134:135], v[138:139], 1.0
	v_fma_f64 v[138:139], v[138:139], v[144:145], v[138:139]
	s_delay_alu instid0(VALU_DEP_1) | instskip(NEXT) | instid1(VALU_DEP_1)
	v_fma_f64 v[144:145], -v[134:135], v[138:139], 1.0
	v_fma_f64 v[138:139], v[138:139], v[144:145], v[138:139]
	v_div_scale_f64 v[144:145], vcc_lo, 1.0, v[132:133], 1.0
	s_delay_alu instid0(VALU_DEP_1) | instskip(NEXT) | instid1(VALU_DEP_1)
	v_mul_f64 v[148:149], v[144:145], v[138:139]
	v_fma_f64 v[134:135], -v[134:135], v[148:149], v[144:145]
	s_delay_alu instid0(VALU_DEP_1) | instskip(NEXT) | instid1(VALU_DEP_1)
	v_div_fmas_f64 v[134:135], v[134:135], v[138:139], v[148:149]
	v_div_fixup_f64 v[144:145], v[134:135], v[132:133], 1.0
	s_delay_alu instid0(VALU_DEP_1)
	v_mul_f64 v[138:139], v[136:137], -v[144:145]
.LBB65_241:
	s_or_b32 exec_lo, exec_lo, s3
	ds_store_2addr_b64 v141, v[144:145], v[138:139] offset1:1
.LBB65_242:
	s_or_b32 exec_lo, exec_lo, s4
	s_waitcnt lgkmcnt(0)
	s_barrier
	buffer_gl0_inv
	ds_load_2addr_b64 v[236:239], v141 offset1:1
	s_mov_b32 s3, exec_lo
	v_cmpx_lt_u32_e32 26, v140
	s_cbranch_execz .LBB65_244
; %bb.243:
	s_waitcnt lgkmcnt(0)
	v_mul_f64 v[132:133], v[236:237], v[26:27]
	v_mul_f64 v[26:27], v[238:239], v[26:27]
	s_delay_alu instid0(VALU_DEP_2) | instskip(SKIP_4) | instid1(VALU_DEP_1)
	v_fma_f64 v[136:137], v[238:239], v[24:25], v[132:133]
	ds_load_2addr_b64 v[132:135], v150 offset0:54 offset1:55
	v_fma_f64 v[24:25], v[236:237], v[24:25], -v[26:27]
	s_waitcnt lgkmcnt(0)
	v_mul_f64 v[26:27], v[134:135], v[136:137]
	v_fma_f64 v[26:27], v[132:133], v[24:25], -v[26:27]
	v_mul_f64 v[132:133], v[132:133], v[136:137]
	s_delay_alu instid0(VALU_DEP_2) | instskip(NEXT) | instid1(VALU_DEP_2)
	v_add_f64 v[20:21], v[20:21], -v[26:27]
	v_fma_f64 v[132:133], v[134:135], v[24:25], v[132:133]
	s_delay_alu instid0(VALU_DEP_1) | instskip(SKIP_3) | instid1(VALU_DEP_1)
	v_add_f64 v[22:23], v[22:23], -v[132:133]
	ds_load_2addr_b64 v[132:135], v150 offset0:56 offset1:57
	s_waitcnt lgkmcnt(0)
	v_mul_f64 v[26:27], v[134:135], v[136:137]
	v_fma_f64 v[26:27], v[132:133], v[24:25], -v[26:27]
	v_mul_f64 v[132:133], v[132:133], v[136:137]
	s_delay_alu instid0(VALU_DEP_2) | instskip(NEXT) | instid1(VALU_DEP_2)
	v_add_f64 v[16:17], v[16:17], -v[26:27]
	v_fma_f64 v[132:133], v[134:135], v[24:25], v[132:133]
	s_delay_alu instid0(VALU_DEP_1) | instskip(SKIP_3) | instid1(VALU_DEP_1)
	v_add_f64 v[18:19], v[18:19], -v[132:133]
	ds_load_2addr_b64 v[132:135], v150 offset0:58 offset1:59
	;; [unrolled: 10-line block ×5, first 2 shown]
	s_waitcnt lgkmcnt(0)
	v_mul_f64 v[26:27], v[134:135], v[136:137]
	v_fma_f64 v[26:27], v[132:133], v[24:25], -v[26:27]
	v_mul_f64 v[132:133], v[132:133], v[136:137]
	s_delay_alu instid0(VALU_DEP_2) | instskip(NEXT) | instid1(VALU_DEP_2)
	v_add_f64 v[0:1], v[0:1], -v[26:27]
	v_fma_f64 v[132:133], v[134:135], v[24:25], v[132:133]
	v_dual_mov_b32 v26, v136 :: v_dual_mov_b32 v27, v137
	s_delay_alu instid0(VALU_DEP_2)
	v_add_f64 v[2:3], v[2:3], -v[132:133]
.LBB65_244:
	s_or_b32 exec_lo, exec_lo, s3
	s_delay_alu instid0(SALU_CYCLE_1)
	s_mov_b32 s4, exec_lo
	s_waitcnt lgkmcnt(0)
	s_barrier
	buffer_gl0_inv
	v_cmpx_eq_u32_e32 27, v140
	s_cbranch_execz .LBB65_251
; %bb.245:
	ds_store_2addr_b64 v141, v[20:21], v[22:23] offset1:1
	ds_store_2addr_b64 v150, v[16:17], v[18:19] offset0:56 offset1:57
	ds_store_2addr_b64 v150, v[12:13], v[14:15] offset0:58 offset1:59
	;; [unrolled: 1-line block ×5, first 2 shown]
	ds_load_2addr_b64 v[132:135], v141 offset1:1
	s_waitcnt lgkmcnt(0)
	v_cmp_neq_f64_e32 vcc_lo, 0, v[132:133]
	v_cmp_neq_f64_e64 s3, 0, v[134:135]
	s_delay_alu instid0(VALU_DEP_1) | instskip(NEXT) | instid1(SALU_CYCLE_1)
	s_or_b32 s3, vcc_lo, s3
	s_and_b32 exec_lo, exec_lo, s3
	s_cbranch_execz .LBB65_251
; %bb.246:
	v_cmp_gt_f64_e32 vcc_lo, 0, v[132:133]
	v_xor_b32_e32 v136, 0x80000000, v133
	v_xor_b32_e32 v138, 0x80000000, v135
	s_mov_b32 s3, exec_lo
                                        ; implicit-def: $vgpr144_vgpr145
	s_delay_alu instid0(VALU_DEP_2) | instskip(SKIP_4) | instid1(VALU_DEP_1)
	v_cndmask_b32_e32 v137, v133, v136, vcc_lo
	v_cndmask_b32_e32 v136, v132, v132, vcc_lo
	v_cmp_gt_f64_e32 vcc_lo, 0, v[134:135]
	v_cndmask_b32_e32 v139, v135, v138, vcc_lo
	v_cndmask_b32_e32 v138, v134, v134, vcc_lo
	v_cmpx_ngt_f64_e32 v[136:137], v[138:139]
	s_xor_b32 s3, exec_lo, s3
                                        ; implicit-def: $vgpr136_vgpr137_vgpr138_vgpr139
	s_cbranch_execz .LBB65_248
; %bb.247:
	v_div_scale_f64 v[136:137], null, v[134:135], v[134:135], v[132:133]
	v_div_scale_f64 v[148:149], vcc_lo, v[132:133], v[134:135], v[132:133]
	s_delay_alu instid0(VALU_DEP_2) | instskip(SKIP_2) | instid1(VALU_DEP_1)
	v_rcp_f64_e32 v[138:139], v[136:137]
	s_waitcnt_depctr 0xfff
	v_fma_f64 v[144:145], -v[136:137], v[138:139], 1.0
	v_fma_f64 v[138:139], v[138:139], v[144:145], v[138:139]
	s_delay_alu instid0(VALU_DEP_1) | instskip(NEXT) | instid1(VALU_DEP_1)
	v_fma_f64 v[144:145], -v[136:137], v[138:139], 1.0
	v_fma_f64 v[138:139], v[138:139], v[144:145], v[138:139]
	s_delay_alu instid0(VALU_DEP_1) | instskip(NEXT) | instid1(VALU_DEP_1)
	v_mul_f64 v[144:145], v[148:149], v[138:139]
	v_fma_f64 v[136:137], -v[136:137], v[144:145], v[148:149]
	s_delay_alu instid0(VALU_DEP_1) | instskip(NEXT) | instid1(VALU_DEP_1)
	v_div_fmas_f64 v[136:137], v[136:137], v[138:139], v[144:145]
	v_div_fixup_f64 v[136:137], v[136:137], v[134:135], v[132:133]
	s_delay_alu instid0(VALU_DEP_1) | instskip(NEXT) | instid1(VALU_DEP_1)
	v_fma_f64 v[132:133], v[132:133], v[136:137], v[134:135]
	v_div_scale_f64 v[134:135], null, v[132:133], v[132:133], 1.0
	s_delay_alu instid0(VALU_DEP_1) | instskip(SKIP_2) | instid1(VALU_DEP_1)
	v_rcp_f64_e32 v[138:139], v[134:135]
	s_waitcnt_depctr 0xfff
	v_fma_f64 v[144:145], -v[134:135], v[138:139], 1.0
	v_fma_f64 v[138:139], v[138:139], v[144:145], v[138:139]
	s_delay_alu instid0(VALU_DEP_1) | instskip(NEXT) | instid1(VALU_DEP_1)
	v_fma_f64 v[144:145], -v[134:135], v[138:139], 1.0
	v_fma_f64 v[138:139], v[138:139], v[144:145], v[138:139]
	v_div_scale_f64 v[144:145], vcc_lo, 1.0, v[132:133], 1.0
	s_delay_alu instid0(VALU_DEP_1) | instskip(NEXT) | instid1(VALU_DEP_1)
	v_mul_f64 v[148:149], v[144:145], v[138:139]
	v_fma_f64 v[134:135], -v[134:135], v[148:149], v[144:145]
	s_delay_alu instid0(VALU_DEP_1) | instskip(NEXT) | instid1(VALU_DEP_1)
	v_div_fmas_f64 v[134:135], v[134:135], v[138:139], v[148:149]
	v_div_fixup_f64 v[138:139], v[134:135], v[132:133], 1.0
                                        ; implicit-def: $vgpr132_vgpr133
	s_delay_alu instid0(VALU_DEP_1)
	v_mul_f64 v[144:145], v[136:137], v[138:139]
	v_xor_b32_e32 v139, 0x80000000, v139
.LBB65_248:
	s_and_not1_saveexec_b32 s3, s3
	s_cbranch_execz .LBB65_250
; %bb.249:
	v_div_scale_f64 v[136:137], null, v[132:133], v[132:133], v[134:135]
	v_div_scale_f64 v[148:149], vcc_lo, v[134:135], v[132:133], v[134:135]
	s_delay_alu instid0(VALU_DEP_2) | instskip(SKIP_2) | instid1(VALU_DEP_1)
	v_rcp_f64_e32 v[138:139], v[136:137]
	s_waitcnt_depctr 0xfff
	v_fma_f64 v[144:145], -v[136:137], v[138:139], 1.0
	v_fma_f64 v[138:139], v[138:139], v[144:145], v[138:139]
	s_delay_alu instid0(VALU_DEP_1) | instskip(NEXT) | instid1(VALU_DEP_1)
	v_fma_f64 v[144:145], -v[136:137], v[138:139], 1.0
	v_fma_f64 v[138:139], v[138:139], v[144:145], v[138:139]
	s_delay_alu instid0(VALU_DEP_1) | instskip(NEXT) | instid1(VALU_DEP_1)
	v_mul_f64 v[144:145], v[148:149], v[138:139]
	v_fma_f64 v[136:137], -v[136:137], v[144:145], v[148:149]
	s_delay_alu instid0(VALU_DEP_1) | instskip(NEXT) | instid1(VALU_DEP_1)
	v_div_fmas_f64 v[136:137], v[136:137], v[138:139], v[144:145]
	v_div_fixup_f64 v[136:137], v[136:137], v[132:133], v[134:135]
	s_delay_alu instid0(VALU_DEP_1) | instskip(NEXT) | instid1(VALU_DEP_1)
	v_fma_f64 v[132:133], v[134:135], v[136:137], v[132:133]
	v_div_scale_f64 v[134:135], null, v[132:133], v[132:133], 1.0
	s_delay_alu instid0(VALU_DEP_1) | instskip(SKIP_2) | instid1(VALU_DEP_1)
	v_rcp_f64_e32 v[138:139], v[134:135]
	s_waitcnt_depctr 0xfff
	v_fma_f64 v[144:145], -v[134:135], v[138:139], 1.0
	v_fma_f64 v[138:139], v[138:139], v[144:145], v[138:139]
	s_delay_alu instid0(VALU_DEP_1) | instskip(NEXT) | instid1(VALU_DEP_1)
	v_fma_f64 v[144:145], -v[134:135], v[138:139], 1.0
	v_fma_f64 v[138:139], v[138:139], v[144:145], v[138:139]
	v_div_scale_f64 v[144:145], vcc_lo, 1.0, v[132:133], 1.0
	s_delay_alu instid0(VALU_DEP_1) | instskip(NEXT) | instid1(VALU_DEP_1)
	v_mul_f64 v[148:149], v[144:145], v[138:139]
	v_fma_f64 v[134:135], -v[134:135], v[148:149], v[144:145]
	s_delay_alu instid0(VALU_DEP_1) | instskip(NEXT) | instid1(VALU_DEP_1)
	v_div_fmas_f64 v[134:135], v[134:135], v[138:139], v[148:149]
	v_div_fixup_f64 v[144:145], v[134:135], v[132:133], 1.0
	s_delay_alu instid0(VALU_DEP_1)
	v_mul_f64 v[138:139], v[136:137], -v[144:145]
.LBB65_250:
	s_or_b32 exec_lo, exec_lo, s3
	ds_store_2addr_b64 v141, v[144:145], v[138:139] offset1:1
.LBB65_251:
	s_or_b32 exec_lo, exec_lo, s4
	s_waitcnt lgkmcnt(0)
	s_barrier
	buffer_gl0_inv
	ds_load_2addr_b64 v[240:243], v141 offset1:1
	s_mov_b32 s3, exec_lo
	v_cmpx_lt_u32_e32 27, v140
	s_cbranch_execz .LBB65_253
; %bb.252:
	s_waitcnt lgkmcnt(0)
	v_mul_f64 v[132:133], v[240:241], v[22:23]
	v_mul_f64 v[22:23], v[242:243], v[22:23]
	s_delay_alu instid0(VALU_DEP_2) | instskip(SKIP_4) | instid1(VALU_DEP_1)
	v_fma_f64 v[136:137], v[242:243], v[20:21], v[132:133]
	ds_load_2addr_b64 v[132:135], v150 offset0:56 offset1:57
	v_fma_f64 v[20:21], v[240:241], v[20:21], -v[22:23]
	s_waitcnt lgkmcnt(0)
	v_mul_f64 v[22:23], v[134:135], v[136:137]
	v_fma_f64 v[22:23], v[132:133], v[20:21], -v[22:23]
	v_mul_f64 v[132:133], v[132:133], v[136:137]
	s_delay_alu instid0(VALU_DEP_2) | instskip(NEXT) | instid1(VALU_DEP_2)
	v_add_f64 v[16:17], v[16:17], -v[22:23]
	v_fma_f64 v[132:133], v[134:135], v[20:21], v[132:133]
	s_delay_alu instid0(VALU_DEP_1) | instskip(SKIP_3) | instid1(VALU_DEP_1)
	v_add_f64 v[18:19], v[18:19], -v[132:133]
	ds_load_2addr_b64 v[132:135], v150 offset0:58 offset1:59
	s_waitcnt lgkmcnt(0)
	v_mul_f64 v[22:23], v[134:135], v[136:137]
	v_fma_f64 v[22:23], v[132:133], v[20:21], -v[22:23]
	v_mul_f64 v[132:133], v[132:133], v[136:137]
	s_delay_alu instid0(VALU_DEP_2) | instskip(NEXT) | instid1(VALU_DEP_2)
	v_add_f64 v[12:13], v[12:13], -v[22:23]
	v_fma_f64 v[132:133], v[134:135], v[20:21], v[132:133]
	s_delay_alu instid0(VALU_DEP_1) | instskip(SKIP_3) | instid1(VALU_DEP_1)
	v_add_f64 v[14:15], v[14:15], -v[132:133]
	ds_load_2addr_b64 v[132:135], v150 offset0:60 offset1:61
	;; [unrolled: 10-line block ×4, first 2 shown]
	s_waitcnt lgkmcnt(0)
	v_mul_f64 v[22:23], v[134:135], v[136:137]
	v_fma_f64 v[22:23], v[132:133], v[20:21], -v[22:23]
	v_mul_f64 v[132:133], v[132:133], v[136:137]
	s_delay_alu instid0(VALU_DEP_2) | instskip(NEXT) | instid1(VALU_DEP_2)
	v_add_f64 v[0:1], v[0:1], -v[22:23]
	v_fma_f64 v[132:133], v[134:135], v[20:21], v[132:133]
	v_dual_mov_b32 v22, v136 :: v_dual_mov_b32 v23, v137
	s_delay_alu instid0(VALU_DEP_2)
	v_add_f64 v[2:3], v[2:3], -v[132:133]
.LBB65_253:
	s_or_b32 exec_lo, exec_lo, s3
	s_delay_alu instid0(SALU_CYCLE_1)
	s_mov_b32 s4, exec_lo
	s_waitcnt lgkmcnt(0)
	s_barrier
	buffer_gl0_inv
	v_cmpx_eq_u32_e32 28, v140
	s_cbranch_execz .LBB65_260
; %bb.254:
	ds_store_2addr_b64 v141, v[16:17], v[18:19] offset1:1
	ds_store_2addr_b64 v150, v[12:13], v[14:15] offset0:58 offset1:59
	ds_store_2addr_b64 v150, v[8:9], v[10:11] offset0:60 offset1:61
	;; [unrolled: 1-line block ×4, first 2 shown]
	ds_load_2addr_b64 v[132:135], v141 offset1:1
	s_waitcnt lgkmcnt(0)
	v_cmp_neq_f64_e32 vcc_lo, 0, v[132:133]
	v_cmp_neq_f64_e64 s3, 0, v[134:135]
	s_delay_alu instid0(VALU_DEP_1) | instskip(NEXT) | instid1(SALU_CYCLE_1)
	s_or_b32 s3, vcc_lo, s3
	s_and_b32 exec_lo, exec_lo, s3
	s_cbranch_execz .LBB65_260
; %bb.255:
	v_cmp_gt_f64_e32 vcc_lo, 0, v[132:133]
	v_xor_b32_e32 v136, 0x80000000, v133
	v_xor_b32_e32 v138, 0x80000000, v135
	s_mov_b32 s3, exec_lo
                                        ; implicit-def: $vgpr144_vgpr145
	s_delay_alu instid0(VALU_DEP_2) | instskip(SKIP_4) | instid1(VALU_DEP_1)
	v_cndmask_b32_e32 v137, v133, v136, vcc_lo
	v_cndmask_b32_e32 v136, v132, v132, vcc_lo
	v_cmp_gt_f64_e32 vcc_lo, 0, v[134:135]
	v_cndmask_b32_e32 v139, v135, v138, vcc_lo
	v_cndmask_b32_e32 v138, v134, v134, vcc_lo
	v_cmpx_ngt_f64_e32 v[136:137], v[138:139]
	s_xor_b32 s3, exec_lo, s3
                                        ; implicit-def: $vgpr136_vgpr137_vgpr138_vgpr139
	s_cbranch_execz .LBB65_257
; %bb.256:
	v_div_scale_f64 v[136:137], null, v[134:135], v[134:135], v[132:133]
	v_div_scale_f64 v[148:149], vcc_lo, v[132:133], v[134:135], v[132:133]
	s_delay_alu instid0(VALU_DEP_2) | instskip(SKIP_2) | instid1(VALU_DEP_1)
	v_rcp_f64_e32 v[138:139], v[136:137]
	s_waitcnt_depctr 0xfff
	v_fma_f64 v[144:145], -v[136:137], v[138:139], 1.0
	v_fma_f64 v[138:139], v[138:139], v[144:145], v[138:139]
	s_delay_alu instid0(VALU_DEP_1) | instskip(NEXT) | instid1(VALU_DEP_1)
	v_fma_f64 v[144:145], -v[136:137], v[138:139], 1.0
	v_fma_f64 v[138:139], v[138:139], v[144:145], v[138:139]
	s_delay_alu instid0(VALU_DEP_1) | instskip(NEXT) | instid1(VALU_DEP_1)
	v_mul_f64 v[144:145], v[148:149], v[138:139]
	v_fma_f64 v[136:137], -v[136:137], v[144:145], v[148:149]
	s_delay_alu instid0(VALU_DEP_1) | instskip(NEXT) | instid1(VALU_DEP_1)
	v_div_fmas_f64 v[136:137], v[136:137], v[138:139], v[144:145]
	v_div_fixup_f64 v[136:137], v[136:137], v[134:135], v[132:133]
	s_delay_alu instid0(VALU_DEP_1) | instskip(NEXT) | instid1(VALU_DEP_1)
	v_fma_f64 v[132:133], v[132:133], v[136:137], v[134:135]
	v_div_scale_f64 v[134:135], null, v[132:133], v[132:133], 1.0
	s_delay_alu instid0(VALU_DEP_1) | instskip(SKIP_2) | instid1(VALU_DEP_1)
	v_rcp_f64_e32 v[138:139], v[134:135]
	s_waitcnt_depctr 0xfff
	v_fma_f64 v[144:145], -v[134:135], v[138:139], 1.0
	v_fma_f64 v[138:139], v[138:139], v[144:145], v[138:139]
	s_delay_alu instid0(VALU_DEP_1) | instskip(NEXT) | instid1(VALU_DEP_1)
	v_fma_f64 v[144:145], -v[134:135], v[138:139], 1.0
	v_fma_f64 v[138:139], v[138:139], v[144:145], v[138:139]
	v_div_scale_f64 v[144:145], vcc_lo, 1.0, v[132:133], 1.0
	s_delay_alu instid0(VALU_DEP_1) | instskip(NEXT) | instid1(VALU_DEP_1)
	v_mul_f64 v[148:149], v[144:145], v[138:139]
	v_fma_f64 v[134:135], -v[134:135], v[148:149], v[144:145]
	s_delay_alu instid0(VALU_DEP_1) | instskip(NEXT) | instid1(VALU_DEP_1)
	v_div_fmas_f64 v[134:135], v[134:135], v[138:139], v[148:149]
	v_div_fixup_f64 v[138:139], v[134:135], v[132:133], 1.0
                                        ; implicit-def: $vgpr132_vgpr133
	s_delay_alu instid0(VALU_DEP_1)
	v_mul_f64 v[144:145], v[136:137], v[138:139]
	v_xor_b32_e32 v139, 0x80000000, v139
.LBB65_257:
	s_and_not1_saveexec_b32 s3, s3
	s_cbranch_execz .LBB65_259
; %bb.258:
	v_div_scale_f64 v[136:137], null, v[132:133], v[132:133], v[134:135]
	v_div_scale_f64 v[148:149], vcc_lo, v[134:135], v[132:133], v[134:135]
	s_delay_alu instid0(VALU_DEP_2) | instskip(SKIP_2) | instid1(VALU_DEP_1)
	v_rcp_f64_e32 v[138:139], v[136:137]
	s_waitcnt_depctr 0xfff
	v_fma_f64 v[144:145], -v[136:137], v[138:139], 1.0
	v_fma_f64 v[138:139], v[138:139], v[144:145], v[138:139]
	s_delay_alu instid0(VALU_DEP_1) | instskip(NEXT) | instid1(VALU_DEP_1)
	v_fma_f64 v[144:145], -v[136:137], v[138:139], 1.0
	v_fma_f64 v[138:139], v[138:139], v[144:145], v[138:139]
	s_delay_alu instid0(VALU_DEP_1) | instskip(NEXT) | instid1(VALU_DEP_1)
	v_mul_f64 v[144:145], v[148:149], v[138:139]
	v_fma_f64 v[136:137], -v[136:137], v[144:145], v[148:149]
	s_delay_alu instid0(VALU_DEP_1) | instskip(NEXT) | instid1(VALU_DEP_1)
	v_div_fmas_f64 v[136:137], v[136:137], v[138:139], v[144:145]
	v_div_fixup_f64 v[136:137], v[136:137], v[132:133], v[134:135]
	s_delay_alu instid0(VALU_DEP_1) | instskip(NEXT) | instid1(VALU_DEP_1)
	v_fma_f64 v[132:133], v[134:135], v[136:137], v[132:133]
	v_div_scale_f64 v[134:135], null, v[132:133], v[132:133], 1.0
	s_delay_alu instid0(VALU_DEP_1) | instskip(SKIP_2) | instid1(VALU_DEP_1)
	v_rcp_f64_e32 v[138:139], v[134:135]
	s_waitcnt_depctr 0xfff
	v_fma_f64 v[144:145], -v[134:135], v[138:139], 1.0
	v_fma_f64 v[138:139], v[138:139], v[144:145], v[138:139]
	s_delay_alu instid0(VALU_DEP_1) | instskip(NEXT) | instid1(VALU_DEP_1)
	v_fma_f64 v[144:145], -v[134:135], v[138:139], 1.0
	v_fma_f64 v[138:139], v[138:139], v[144:145], v[138:139]
	v_div_scale_f64 v[144:145], vcc_lo, 1.0, v[132:133], 1.0
	s_delay_alu instid0(VALU_DEP_1) | instskip(NEXT) | instid1(VALU_DEP_1)
	v_mul_f64 v[148:149], v[144:145], v[138:139]
	v_fma_f64 v[134:135], -v[134:135], v[148:149], v[144:145]
	s_delay_alu instid0(VALU_DEP_1) | instskip(NEXT) | instid1(VALU_DEP_1)
	v_div_fmas_f64 v[134:135], v[134:135], v[138:139], v[148:149]
	v_div_fixup_f64 v[144:145], v[134:135], v[132:133], 1.0
	s_delay_alu instid0(VALU_DEP_1)
	v_mul_f64 v[138:139], v[136:137], -v[144:145]
.LBB65_259:
	s_or_b32 exec_lo, exec_lo, s3
	ds_store_2addr_b64 v141, v[144:145], v[138:139] offset1:1
.LBB65_260:
	s_or_b32 exec_lo, exec_lo, s4
	s_waitcnt lgkmcnt(0)
	s_barrier
	buffer_gl0_inv
	ds_load_2addr_b64 v[244:247], v141 offset1:1
	s_mov_b32 s3, exec_lo
	v_cmpx_lt_u32_e32 28, v140
	s_cbranch_execz .LBB65_262
; %bb.261:
	s_waitcnt lgkmcnt(0)
	v_mul_f64 v[132:133], v[244:245], v[18:19]
	v_mul_f64 v[18:19], v[246:247], v[18:19]
	s_delay_alu instid0(VALU_DEP_2) | instskip(SKIP_4) | instid1(VALU_DEP_1)
	v_fma_f64 v[136:137], v[246:247], v[16:17], v[132:133]
	ds_load_2addr_b64 v[132:135], v150 offset0:58 offset1:59
	v_fma_f64 v[16:17], v[244:245], v[16:17], -v[18:19]
	s_waitcnt lgkmcnt(0)
	v_mul_f64 v[18:19], v[134:135], v[136:137]
	v_fma_f64 v[18:19], v[132:133], v[16:17], -v[18:19]
	v_mul_f64 v[132:133], v[132:133], v[136:137]
	s_delay_alu instid0(VALU_DEP_2) | instskip(NEXT) | instid1(VALU_DEP_2)
	v_add_f64 v[12:13], v[12:13], -v[18:19]
	v_fma_f64 v[132:133], v[134:135], v[16:17], v[132:133]
	s_delay_alu instid0(VALU_DEP_1) | instskip(SKIP_3) | instid1(VALU_DEP_1)
	v_add_f64 v[14:15], v[14:15], -v[132:133]
	ds_load_2addr_b64 v[132:135], v150 offset0:60 offset1:61
	s_waitcnt lgkmcnt(0)
	v_mul_f64 v[18:19], v[134:135], v[136:137]
	v_fma_f64 v[18:19], v[132:133], v[16:17], -v[18:19]
	v_mul_f64 v[132:133], v[132:133], v[136:137]
	s_delay_alu instid0(VALU_DEP_2) | instskip(NEXT) | instid1(VALU_DEP_2)
	v_add_f64 v[8:9], v[8:9], -v[18:19]
	v_fma_f64 v[132:133], v[134:135], v[16:17], v[132:133]
	s_delay_alu instid0(VALU_DEP_1) | instskip(SKIP_3) | instid1(VALU_DEP_1)
	v_add_f64 v[10:11], v[10:11], -v[132:133]
	ds_load_2addr_b64 v[132:135], v150 offset0:62 offset1:63
	;; [unrolled: 10-line block ×3, first 2 shown]
	s_waitcnt lgkmcnt(0)
	v_mul_f64 v[18:19], v[134:135], v[136:137]
	v_fma_f64 v[18:19], v[132:133], v[16:17], -v[18:19]
	v_mul_f64 v[132:133], v[132:133], v[136:137]
	s_delay_alu instid0(VALU_DEP_2) | instskip(NEXT) | instid1(VALU_DEP_2)
	v_add_f64 v[0:1], v[0:1], -v[18:19]
	v_fma_f64 v[132:133], v[134:135], v[16:17], v[132:133]
	v_dual_mov_b32 v18, v136 :: v_dual_mov_b32 v19, v137
	s_delay_alu instid0(VALU_DEP_2)
	v_add_f64 v[2:3], v[2:3], -v[132:133]
.LBB65_262:
	s_or_b32 exec_lo, exec_lo, s3
	s_delay_alu instid0(SALU_CYCLE_1)
	s_mov_b32 s4, exec_lo
	s_waitcnt lgkmcnt(0)
	s_barrier
	buffer_gl0_inv
	v_cmpx_eq_u32_e32 29, v140
	s_cbranch_execz .LBB65_269
; %bb.263:
	ds_store_2addr_b64 v141, v[12:13], v[14:15] offset1:1
	ds_store_2addr_b64 v150, v[8:9], v[10:11] offset0:60 offset1:61
	ds_store_2addr_b64 v150, v[4:5], v[6:7] offset0:62 offset1:63
	;; [unrolled: 1-line block ×3, first 2 shown]
	ds_load_2addr_b64 v[132:135], v141 offset1:1
	s_waitcnt lgkmcnt(0)
	v_cmp_neq_f64_e32 vcc_lo, 0, v[132:133]
	v_cmp_neq_f64_e64 s3, 0, v[134:135]
	s_delay_alu instid0(VALU_DEP_1) | instskip(NEXT) | instid1(SALU_CYCLE_1)
	s_or_b32 s3, vcc_lo, s3
	s_and_b32 exec_lo, exec_lo, s3
	s_cbranch_execz .LBB65_269
; %bb.264:
	v_cmp_gt_f64_e32 vcc_lo, 0, v[132:133]
	v_xor_b32_e32 v136, 0x80000000, v133
	v_xor_b32_e32 v138, 0x80000000, v135
	s_mov_b32 s3, exec_lo
                                        ; implicit-def: $vgpr144_vgpr145
	s_delay_alu instid0(VALU_DEP_2) | instskip(SKIP_4) | instid1(VALU_DEP_1)
	v_cndmask_b32_e32 v137, v133, v136, vcc_lo
	v_cndmask_b32_e32 v136, v132, v132, vcc_lo
	v_cmp_gt_f64_e32 vcc_lo, 0, v[134:135]
	v_cndmask_b32_e32 v139, v135, v138, vcc_lo
	v_cndmask_b32_e32 v138, v134, v134, vcc_lo
	v_cmpx_ngt_f64_e32 v[136:137], v[138:139]
	s_xor_b32 s3, exec_lo, s3
                                        ; implicit-def: $vgpr136_vgpr137_vgpr138_vgpr139
	s_cbranch_execz .LBB65_266
; %bb.265:
	v_div_scale_f64 v[136:137], null, v[134:135], v[134:135], v[132:133]
	v_div_scale_f64 v[148:149], vcc_lo, v[132:133], v[134:135], v[132:133]
	s_delay_alu instid0(VALU_DEP_2) | instskip(SKIP_2) | instid1(VALU_DEP_1)
	v_rcp_f64_e32 v[138:139], v[136:137]
	s_waitcnt_depctr 0xfff
	v_fma_f64 v[144:145], -v[136:137], v[138:139], 1.0
	v_fma_f64 v[138:139], v[138:139], v[144:145], v[138:139]
	s_delay_alu instid0(VALU_DEP_1) | instskip(NEXT) | instid1(VALU_DEP_1)
	v_fma_f64 v[144:145], -v[136:137], v[138:139], 1.0
	v_fma_f64 v[138:139], v[138:139], v[144:145], v[138:139]
	s_delay_alu instid0(VALU_DEP_1) | instskip(NEXT) | instid1(VALU_DEP_1)
	v_mul_f64 v[144:145], v[148:149], v[138:139]
	v_fma_f64 v[136:137], -v[136:137], v[144:145], v[148:149]
	s_delay_alu instid0(VALU_DEP_1) | instskip(NEXT) | instid1(VALU_DEP_1)
	v_div_fmas_f64 v[136:137], v[136:137], v[138:139], v[144:145]
	v_div_fixup_f64 v[136:137], v[136:137], v[134:135], v[132:133]
	s_delay_alu instid0(VALU_DEP_1) | instskip(NEXT) | instid1(VALU_DEP_1)
	v_fma_f64 v[132:133], v[132:133], v[136:137], v[134:135]
	v_div_scale_f64 v[134:135], null, v[132:133], v[132:133], 1.0
	s_delay_alu instid0(VALU_DEP_1) | instskip(SKIP_2) | instid1(VALU_DEP_1)
	v_rcp_f64_e32 v[138:139], v[134:135]
	s_waitcnt_depctr 0xfff
	v_fma_f64 v[144:145], -v[134:135], v[138:139], 1.0
	v_fma_f64 v[138:139], v[138:139], v[144:145], v[138:139]
	s_delay_alu instid0(VALU_DEP_1) | instskip(NEXT) | instid1(VALU_DEP_1)
	v_fma_f64 v[144:145], -v[134:135], v[138:139], 1.0
	v_fma_f64 v[138:139], v[138:139], v[144:145], v[138:139]
	v_div_scale_f64 v[144:145], vcc_lo, 1.0, v[132:133], 1.0
	s_delay_alu instid0(VALU_DEP_1) | instskip(NEXT) | instid1(VALU_DEP_1)
	v_mul_f64 v[148:149], v[144:145], v[138:139]
	v_fma_f64 v[134:135], -v[134:135], v[148:149], v[144:145]
	s_delay_alu instid0(VALU_DEP_1) | instskip(NEXT) | instid1(VALU_DEP_1)
	v_div_fmas_f64 v[134:135], v[134:135], v[138:139], v[148:149]
	v_div_fixup_f64 v[138:139], v[134:135], v[132:133], 1.0
                                        ; implicit-def: $vgpr132_vgpr133
	s_delay_alu instid0(VALU_DEP_1)
	v_mul_f64 v[144:145], v[136:137], v[138:139]
	v_xor_b32_e32 v139, 0x80000000, v139
.LBB65_266:
	s_and_not1_saveexec_b32 s3, s3
	s_cbranch_execz .LBB65_268
; %bb.267:
	v_div_scale_f64 v[136:137], null, v[132:133], v[132:133], v[134:135]
	v_div_scale_f64 v[148:149], vcc_lo, v[134:135], v[132:133], v[134:135]
	s_delay_alu instid0(VALU_DEP_2) | instskip(SKIP_2) | instid1(VALU_DEP_1)
	v_rcp_f64_e32 v[138:139], v[136:137]
	s_waitcnt_depctr 0xfff
	v_fma_f64 v[144:145], -v[136:137], v[138:139], 1.0
	v_fma_f64 v[138:139], v[138:139], v[144:145], v[138:139]
	s_delay_alu instid0(VALU_DEP_1) | instskip(NEXT) | instid1(VALU_DEP_1)
	v_fma_f64 v[144:145], -v[136:137], v[138:139], 1.0
	v_fma_f64 v[138:139], v[138:139], v[144:145], v[138:139]
	s_delay_alu instid0(VALU_DEP_1) | instskip(NEXT) | instid1(VALU_DEP_1)
	v_mul_f64 v[144:145], v[148:149], v[138:139]
	v_fma_f64 v[136:137], -v[136:137], v[144:145], v[148:149]
	s_delay_alu instid0(VALU_DEP_1) | instskip(NEXT) | instid1(VALU_DEP_1)
	v_div_fmas_f64 v[136:137], v[136:137], v[138:139], v[144:145]
	v_div_fixup_f64 v[136:137], v[136:137], v[132:133], v[134:135]
	s_delay_alu instid0(VALU_DEP_1) | instskip(NEXT) | instid1(VALU_DEP_1)
	v_fma_f64 v[132:133], v[134:135], v[136:137], v[132:133]
	v_div_scale_f64 v[134:135], null, v[132:133], v[132:133], 1.0
	s_delay_alu instid0(VALU_DEP_1) | instskip(SKIP_2) | instid1(VALU_DEP_1)
	v_rcp_f64_e32 v[138:139], v[134:135]
	s_waitcnt_depctr 0xfff
	v_fma_f64 v[144:145], -v[134:135], v[138:139], 1.0
	v_fma_f64 v[138:139], v[138:139], v[144:145], v[138:139]
	s_delay_alu instid0(VALU_DEP_1) | instskip(NEXT) | instid1(VALU_DEP_1)
	v_fma_f64 v[144:145], -v[134:135], v[138:139], 1.0
	v_fma_f64 v[138:139], v[138:139], v[144:145], v[138:139]
	v_div_scale_f64 v[144:145], vcc_lo, 1.0, v[132:133], 1.0
	s_delay_alu instid0(VALU_DEP_1) | instskip(NEXT) | instid1(VALU_DEP_1)
	v_mul_f64 v[148:149], v[144:145], v[138:139]
	v_fma_f64 v[134:135], -v[134:135], v[148:149], v[144:145]
	s_delay_alu instid0(VALU_DEP_1) | instskip(NEXT) | instid1(VALU_DEP_1)
	v_div_fmas_f64 v[134:135], v[134:135], v[138:139], v[148:149]
	v_div_fixup_f64 v[144:145], v[134:135], v[132:133], 1.0
	s_delay_alu instid0(VALU_DEP_1)
	v_mul_f64 v[138:139], v[136:137], -v[144:145]
.LBB65_268:
	s_or_b32 exec_lo, exec_lo, s3
	ds_store_2addr_b64 v141, v[144:145], v[138:139] offset1:1
.LBB65_269:
	s_or_b32 exec_lo, exec_lo, s4
	s_waitcnt lgkmcnt(0)
	s_barrier
	buffer_gl0_inv
	ds_load_2addr_b64 v[248:251], v141 offset1:1
	s_mov_b32 s3, exec_lo
	v_cmpx_lt_u32_e32 29, v140
	s_cbranch_execz .LBB65_271
; %bb.270:
	s_waitcnt lgkmcnt(0)
	v_mul_f64 v[132:133], v[248:249], v[14:15]
	v_mul_f64 v[14:15], v[250:251], v[14:15]
	s_delay_alu instid0(VALU_DEP_2) | instskip(SKIP_4) | instid1(VALU_DEP_1)
	v_fma_f64 v[136:137], v[250:251], v[12:13], v[132:133]
	ds_load_2addr_b64 v[132:135], v150 offset0:60 offset1:61
	v_fma_f64 v[12:13], v[248:249], v[12:13], -v[14:15]
	s_waitcnt lgkmcnt(0)
	v_mul_f64 v[14:15], v[134:135], v[136:137]
	v_fma_f64 v[14:15], v[132:133], v[12:13], -v[14:15]
	v_mul_f64 v[132:133], v[132:133], v[136:137]
	s_delay_alu instid0(VALU_DEP_2) | instskip(NEXT) | instid1(VALU_DEP_2)
	v_add_f64 v[8:9], v[8:9], -v[14:15]
	v_fma_f64 v[132:133], v[134:135], v[12:13], v[132:133]
	s_delay_alu instid0(VALU_DEP_1) | instskip(SKIP_3) | instid1(VALU_DEP_1)
	v_add_f64 v[10:11], v[10:11], -v[132:133]
	ds_load_2addr_b64 v[132:135], v150 offset0:62 offset1:63
	s_waitcnt lgkmcnt(0)
	v_mul_f64 v[14:15], v[134:135], v[136:137]
	v_fma_f64 v[14:15], v[132:133], v[12:13], -v[14:15]
	v_mul_f64 v[132:133], v[132:133], v[136:137]
	s_delay_alu instid0(VALU_DEP_2) | instskip(NEXT) | instid1(VALU_DEP_2)
	v_add_f64 v[4:5], v[4:5], -v[14:15]
	v_fma_f64 v[132:133], v[134:135], v[12:13], v[132:133]
	s_delay_alu instid0(VALU_DEP_1) | instskip(SKIP_3) | instid1(VALU_DEP_1)
	v_add_f64 v[6:7], v[6:7], -v[132:133]
	ds_load_2addr_b64 v[132:135], v150 offset0:64 offset1:65
	s_waitcnt lgkmcnt(0)
	v_mul_f64 v[14:15], v[134:135], v[136:137]
	v_fma_f64 v[14:15], v[132:133], v[12:13], -v[14:15]
	v_mul_f64 v[132:133], v[132:133], v[136:137]
	s_delay_alu instid0(VALU_DEP_2) | instskip(NEXT) | instid1(VALU_DEP_2)
	v_add_f64 v[0:1], v[0:1], -v[14:15]
	v_fma_f64 v[132:133], v[134:135], v[12:13], v[132:133]
	v_dual_mov_b32 v14, v136 :: v_dual_mov_b32 v15, v137
	s_delay_alu instid0(VALU_DEP_2)
	v_add_f64 v[2:3], v[2:3], -v[132:133]
.LBB65_271:
	s_or_b32 exec_lo, exec_lo, s3
	s_delay_alu instid0(SALU_CYCLE_1)
	s_mov_b32 s4, exec_lo
	s_waitcnt lgkmcnt(0)
	s_barrier
	buffer_gl0_inv
	v_cmpx_eq_u32_e32 30, v140
	s_cbranch_execz .LBB65_278
; %bb.272:
	ds_store_2addr_b64 v141, v[8:9], v[10:11] offset1:1
	ds_store_2addr_b64 v150, v[4:5], v[6:7] offset0:62 offset1:63
	ds_store_2addr_b64 v150, v[0:1], v[2:3] offset0:64 offset1:65
	ds_load_2addr_b64 v[132:135], v141 offset1:1
	s_waitcnt lgkmcnt(0)
	v_cmp_neq_f64_e32 vcc_lo, 0, v[132:133]
	v_cmp_neq_f64_e64 s3, 0, v[134:135]
	s_delay_alu instid0(VALU_DEP_1) | instskip(NEXT) | instid1(SALU_CYCLE_1)
	s_or_b32 s3, vcc_lo, s3
	s_and_b32 exec_lo, exec_lo, s3
	s_cbranch_execz .LBB65_278
; %bb.273:
	v_cmp_gt_f64_e32 vcc_lo, 0, v[132:133]
	v_xor_b32_e32 v136, 0x80000000, v133
	v_xor_b32_e32 v138, 0x80000000, v135
	s_mov_b32 s3, exec_lo
                                        ; implicit-def: $vgpr144_vgpr145
	s_delay_alu instid0(VALU_DEP_2) | instskip(SKIP_4) | instid1(VALU_DEP_1)
	v_cndmask_b32_e32 v137, v133, v136, vcc_lo
	v_cndmask_b32_e32 v136, v132, v132, vcc_lo
	v_cmp_gt_f64_e32 vcc_lo, 0, v[134:135]
	v_cndmask_b32_e32 v139, v135, v138, vcc_lo
	v_cndmask_b32_e32 v138, v134, v134, vcc_lo
	v_cmpx_ngt_f64_e32 v[136:137], v[138:139]
	s_xor_b32 s3, exec_lo, s3
                                        ; implicit-def: $vgpr136_vgpr137_vgpr138_vgpr139
	s_cbranch_execz .LBB65_275
; %bb.274:
	v_div_scale_f64 v[136:137], null, v[134:135], v[134:135], v[132:133]
	v_div_scale_f64 v[148:149], vcc_lo, v[132:133], v[134:135], v[132:133]
	s_delay_alu instid0(VALU_DEP_2) | instskip(SKIP_2) | instid1(VALU_DEP_1)
	v_rcp_f64_e32 v[138:139], v[136:137]
	s_waitcnt_depctr 0xfff
	v_fma_f64 v[144:145], -v[136:137], v[138:139], 1.0
	v_fma_f64 v[138:139], v[138:139], v[144:145], v[138:139]
	s_delay_alu instid0(VALU_DEP_1) | instskip(NEXT) | instid1(VALU_DEP_1)
	v_fma_f64 v[144:145], -v[136:137], v[138:139], 1.0
	v_fma_f64 v[138:139], v[138:139], v[144:145], v[138:139]
	s_delay_alu instid0(VALU_DEP_1) | instskip(NEXT) | instid1(VALU_DEP_1)
	v_mul_f64 v[144:145], v[148:149], v[138:139]
	v_fma_f64 v[136:137], -v[136:137], v[144:145], v[148:149]
	s_delay_alu instid0(VALU_DEP_1) | instskip(NEXT) | instid1(VALU_DEP_1)
	v_div_fmas_f64 v[136:137], v[136:137], v[138:139], v[144:145]
	v_div_fixup_f64 v[136:137], v[136:137], v[134:135], v[132:133]
	s_delay_alu instid0(VALU_DEP_1) | instskip(NEXT) | instid1(VALU_DEP_1)
	v_fma_f64 v[132:133], v[132:133], v[136:137], v[134:135]
	v_div_scale_f64 v[134:135], null, v[132:133], v[132:133], 1.0
	s_delay_alu instid0(VALU_DEP_1) | instskip(SKIP_2) | instid1(VALU_DEP_1)
	v_rcp_f64_e32 v[138:139], v[134:135]
	s_waitcnt_depctr 0xfff
	v_fma_f64 v[144:145], -v[134:135], v[138:139], 1.0
	v_fma_f64 v[138:139], v[138:139], v[144:145], v[138:139]
	s_delay_alu instid0(VALU_DEP_1) | instskip(NEXT) | instid1(VALU_DEP_1)
	v_fma_f64 v[144:145], -v[134:135], v[138:139], 1.0
	v_fma_f64 v[138:139], v[138:139], v[144:145], v[138:139]
	v_div_scale_f64 v[144:145], vcc_lo, 1.0, v[132:133], 1.0
	s_delay_alu instid0(VALU_DEP_1) | instskip(NEXT) | instid1(VALU_DEP_1)
	v_mul_f64 v[148:149], v[144:145], v[138:139]
	v_fma_f64 v[134:135], -v[134:135], v[148:149], v[144:145]
	s_delay_alu instid0(VALU_DEP_1) | instskip(NEXT) | instid1(VALU_DEP_1)
	v_div_fmas_f64 v[134:135], v[134:135], v[138:139], v[148:149]
	v_div_fixup_f64 v[138:139], v[134:135], v[132:133], 1.0
                                        ; implicit-def: $vgpr132_vgpr133
	s_delay_alu instid0(VALU_DEP_1)
	v_mul_f64 v[144:145], v[136:137], v[138:139]
	v_xor_b32_e32 v139, 0x80000000, v139
.LBB65_275:
	s_and_not1_saveexec_b32 s3, s3
	s_cbranch_execz .LBB65_277
; %bb.276:
	v_div_scale_f64 v[136:137], null, v[132:133], v[132:133], v[134:135]
	v_div_scale_f64 v[148:149], vcc_lo, v[134:135], v[132:133], v[134:135]
	s_delay_alu instid0(VALU_DEP_2) | instskip(SKIP_2) | instid1(VALU_DEP_1)
	v_rcp_f64_e32 v[138:139], v[136:137]
	s_waitcnt_depctr 0xfff
	v_fma_f64 v[144:145], -v[136:137], v[138:139], 1.0
	v_fma_f64 v[138:139], v[138:139], v[144:145], v[138:139]
	s_delay_alu instid0(VALU_DEP_1) | instskip(NEXT) | instid1(VALU_DEP_1)
	v_fma_f64 v[144:145], -v[136:137], v[138:139], 1.0
	v_fma_f64 v[138:139], v[138:139], v[144:145], v[138:139]
	s_delay_alu instid0(VALU_DEP_1) | instskip(NEXT) | instid1(VALU_DEP_1)
	v_mul_f64 v[144:145], v[148:149], v[138:139]
	v_fma_f64 v[136:137], -v[136:137], v[144:145], v[148:149]
	s_delay_alu instid0(VALU_DEP_1) | instskip(NEXT) | instid1(VALU_DEP_1)
	v_div_fmas_f64 v[136:137], v[136:137], v[138:139], v[144:145]
	v_div_fixup_f64 v[136:137], v[136:137], v[132:133], v[134:135]
	s_delay_alu instid0(VALU_DEP_1) | instskip(NEXT) | instid1(VALU_DEP_1)
	v_fma_f64 v[132:133], v[134:135], v[136:137], v[132:133]
	v_div_scale_f64 v[134:135], null, v[132:133], v[132:133], 1.0
	s_delay_alu instid0(VALU_DEP_1) | instskip(SKIP_2) | instid1(VALU_DEP_1)
	v_rcp_f64_e32 v[138:139], v[134:135]
	s_waitcnt_depctr 0xfff
	v_fma_f64 v[144:145], -v[134:135], v[138:139], 1.0
	v_fma_f64 v[138:139], v[138:139], v[144:145], v[138:139]
	s_delay_alu instid0(VALU_DEP_1) | instskip(NEXT) | instid1(VALU_DEP_1)
	v_fma_f64 v[144:145], -v[134:135], v[138:139], 1.0
	v_fma_f64 v[138:139], v[138:139], v[144:145], v[138:139]
	v_div_scale_f64 v[144:145], vcc_lo, 1.0, v[132:133], 1.0
	s_delay_alu instid0(VALU_DEP_1) | instskip(NEXT) | instid1(VALU_DEP_1)
	v_mul_f64 v[148:149], v[144:145], v[138:139]
	v_fma_f64 v[134:135], -v[134:135], v[148:149], v[144:145]
	s_delay_alu instid0(VALU_DEP_1) | instskip(NEXT) | instid1(VALU_DEP_1)
	v_div_fmas_f64 v[134:135], v[134:135], v[138:139], v[148:149]
	v_div_fixup_f64 v[144:145], v[134:135], v[132:133], 1.0
	s_delay_alu instid0(VALU_DEP_1)
	v_mul_f64 v[138:139], v[136:137], -v[144:145]
.LBB65_277:
	s_or_b32 exec_lo, exec_lo, s3
	ds_store_2addr_b64 v141, v[144:145], v[138:139] offset1:1
.LBB65_278:
	s_or_b32 exec_lo, exec_lo, s4
	s_waitcnt lgkmcnt(0)
	s_barrier
	buffer_gl0_inv
	ds_load_2addr_b64 v[252:255], v141 offset1:1
	s_mov_b32 s3, exec_lo
	v_cmpx_lt_u32_e32 30, v140
	s_cbranch_execz .LBB65_280
; %bb.279:
	s_waitcnt lgkmcnt(0)
	v_mul_f64 v[132:133], v[252:253], v[10:11]
	v_mul_f64 v[10:11], v[254:255], v[10:11]
	s_delay_alu instid0(VALU_DEP_2) | instskip(SKIP_4) | instid1(VALU_DEP_1)
	v_fma_f64 v[136:137], v[254:255], v[8:9], v[132:133]
	ds_load_2addr_b64 v[132:135], v150 offset0:62 offset1:63
	v_fma_f64 v[8:9], v[252:253], v[8:9], -v[10:11]
	s_waitcnt lgkmcnt(0)
	v_mul_f64 v[10:11], v[134:135], v[136:137]
	v_fma_f64 v[10:11], v[132:133], v[8:9], -v[10:11]
	v_mul_f64 v[132:133], v[132:133], v[136:137]
	s_delay_alu instid0(VALU_DEP_2) | instskip(NEXT) | instid1(VALU_DEP_2)
	v_add_f64 v[4:5], v[4:5], -v[10:11]
	v_fma_f64 v[132:133], v[134:135], v[8:9], v[132:133]
	s_delay_alu instid0(VALU_DEP_1) | instskip(SKIP_3) | instid1(VALU_DEP_1)
	v_add_f64 v[6:7], v[6:7], -v[132:133]
	ds_load_2addr_b64 v[132:135], v150 offset0:64 offset1:65
	s_waitcnt lgkmcnt(0)
	v_mul_f64 v[10:11], v[134:135], v[136:137]
	v_fma_f64 v[10:11], v[132:133], v[8:9], -v[10:11]
	v_mul_f64 v[132:133], v[132:133], v[136:137]
	s_delay_alu instid0(VALU_DEP_2) | instskip(NEXT) | instid1(VALU_DEP_2)
	v_add_f64 v[0:1], v[0:1], -v[10:11]
	v_fma_f64 v[132:133], v[134:135], v[8:9], v[132:133]
	v_dual_mov_b32 v10, v136 :: v_dual_mov_b32 v11, v137
	s_delay_alu instid0(VALU_DEP_2)
	v_add_f64 v[2:3], v[2:3], -v[132:133]
.LBB65_280:
	s_or_b32 exec_lo, exec_lo, s3
	s_delay_alu instid0(SALU_CYCLE_1)
	s_mov_b32 s4, exec_lo
	s_waitcnt lgkmcnt(0)
	s_barrier
	buffer_gl0_inv
	v_cmpx_eq_u32_e32 31, v140
	s_cbranch_execz .LBB65_287
; %bb.281:
	ds_store_2addr_b64 v141, v[4:5], v[6:7] offset1:1
	ds_store_2addr_b64 v150, v[0:1], v[2:3] offset0:64 offset1:65
	ds_load_2addr_b64 v[132:135], v141 offset1:1
	s_waitcnt lgkmcnt(0)
	v_cmp_neq_f64_e32 vcc_lo, 0, v[132:133]
	v_cmp_neq_f64_e64 s3, 0, v[134:135]
	s_delay_alu instid0(VALU_DEP_1) | instskip(NEXT) | instid1(SALU_CYCLE_1)
	s_or_b32 s3, vcc_lo, s3
	s_and_b32 exec_lo, exec_lo, s3
	s_cbranch_execz .LBB65_287
; %bb.282:
	v_cmp_gt_f64_e32 vcc_lo, 0, v[132:133]
	v_xor_b32_e32 v136, 0x80000000, v133
	v_xor_b32_e32 v138, 0x80000000, v135
	s_mov_b32 s3, exec_lo
                                        ; implicit-def: $vgpr144_vgpr145
	s_delay_alu instid0(VALU_DEP_2) | instskip(SKIP_4) | instid1(VALU_DEP_1)
	v_cndmask_b32_e32 v137, v133, v136, vcc_lo
	v_cndmask_b32_e32 v136, v132, v132, vcc_lo
	v_cmp_gt_f64_e32 vcc_lo, 0, v[134:135]
	v_cndmask_b32_e32 v139, v135, v138, vcc_lo
	v_cndmask_b32_e32 v138, v134, v134, vcc_lo
	v_cmpx_ngt_f64_e32 v[136:137], v[138:139]
	s_xor_b32 s3, exec_lo, s3
                                        ; implicit-def: $vgpr136_vgpr137_vgpr138_vgpr139
	s_cbranch_execz .LBB65_284
; %bb.283:
	v_div_scale_f64 v[136:137], null, v[134:135], v[134:135], v[132:133]
	v_div_scale_f64 v[148:149], vcc_lo, v[132:133], v[134:135], v[132:133]
	s_delay_alu instid0(VALU_DEP_2) | instskip(SKIP_2) | instid1(VALU_DEP_1)
	v_rcp_f64_e32 v[138:139], v[136:137]
	s_waitcnt_depctr 0xfff
	v_fma_f64 v[144:145], -v[136:137], v[138:139], 1.0
	v_fma_f64 v[138:139], v[138:139], v[144:145], v[138:139]
	s_delay_alu instid0(VALU_DEP_1) | instskip(NEXT) | instid1(VALU_DEP_1)
	v_fma_f64 v[144:145], -v[136:137], v[138:139], 1.0
	v_fma_f64 v[138:139], v[138:139], v[144:145], v[138:139]
	s_delay_alu instid0(VALU_DEP_1) | instskip(NEXT) | instid1(VALU_DEP_1)
	v_mul_f64 v[144:145], v[148:149], v[138:139]
	v_fma_f64 v[136:137], -v[136:137], v[144:145], v[148:149]
	s_delay_alu instid0(VALU_DEP_1) | instskip(NEXT) | instid1(VALU_DEP_1)
	v_div_fmas_f64 v[136:137], v[136:137], v[138:139], v[144:145]
	v_div_fixup_f64 v[136:137], v[136:137], v[134:135], v[132:133]
	s_delay_alu instid0(VALU_DEP_1) | instskip(NEXT) | instid1(VALU_DEP_1)
	v_fma_f64 v[132:133], v[132:133], v[136:137], v[134:135]
	v_div_scale_f64 v[134:135], null, v[132:133], v[132:133], 1.0
	s_delay_alu instid0(VALU_DEP_1) | instskip(SKIP_2) | instid1(VALU_DEP_1)
	v_rcp_f64_e32 v[138:139], v[134:135]
	s_waitcnt_depctr 0xfff
	v_fma_f64 v[144:145], -v[134:135], v[138:139], 1.0
	v_fma_f64 v[138:139], v[138:139], v[144:145], v[138:139]
	s_delay_alu instid0(VALU_DEP_1) | instskip(NEXT) | instid1(VALU_DEP_1)
	v_fma_f64 v[144:145], -v[134:135], v[138:139], 1.0
	v_fma_f64 v[138:139], v[138:139], v[144:145], v[138:139]
	v_div_scale_f64 v[144:145], vcc_lo, 1.0, v[132:133], 1.0
	s_delay_alu instid0(VALU_DEP_1) | instskip(NEXT) | instid1(VALU_DEP_1)
	v_mul_f64 v[148:149], v[144:145], v[138:139]
	v_fma_f64 v[134:135], -v[134:135], v[148:149], v[144:145]
	s_delay_alu instid0(VALU_DEP_1) | instskip(NEXT) | instid1(VALU_DEP_1)
	v_div_fmas_f64 v[134:135], v[134:135], v[138:139], v[148:149]
	v_div_fixup_f64 v[138:139], v[134:135], v[132:133], 1.0
                                        ; implicit-def: $vgpr132_vgpr133
	s_delay_alu instid0(VALU_DEP_1)
	v_mul_f64 v[144:145], v[136:137], v[138:139]
	v_xor_b32_e32 v139, 0x80000000, v139
.LBB65_284:
	s_and_not1_saveexec_b32 s3, s3
	s_cbranch_execz .LBB65_286
; %bb.285:
	v_div_scale_f64 v[136:137], null, v[132:133], v[132:133], v[134:135]
	v_div_scale_f64 v[148:149], vcc_lo, v[134:135], v[132:133], v[134:135]
	s_delay_alu instid0(VALU_DEP_2) | instskip(SKIP_2) | instid1(VALU_DEP_1)
	v_rcp_f64_e32 v[138:139], v[136:137]
	s_waitcnt_depctr 0xfff
	v_fma_f64 v[144:145], -v[136:137], v[138:139], 1.0
	v_fma_f64 v[138:139], v[138:139], v[144:145], v[138:139]
	s_delay_alu instid0(VALU_DEP_1) | instskip(NEXT) | instid1(VALU_DEP_1)
	v_fma_f64 v[144:145], -v[136:137], v[138:139], 1.0
	v_fma_f64 v[138:139], v[138:139], v[144:145], v[138:139]
	s_delay_alu instid0(VALU_DEP_1) | instskip(NEXT) | instid1(VALU_DEP_1)
	v_mul_f64 v[144:145], v[148:149], v[138:139]
	v_fma_f64 v[136:137], -v[136:137], v[144:145], v[148:149]
	s_delay_alu instid0(VALU_DEP_1) | instskip(NEXT) | instid1(VALU_DEP_1)
	v_div_fmas_f64 v[136:137], v[136:137], v[138:139], v[144:145]
	v_div_fixup_f64 v[136:137], v[136:137], v[132:133], v[134:135]
	s_delay_alu instid0(VALU_DEP_1) | instskip(NEXT) | instid1(VALU_DEP_1)
	v_fma_f64 v[132:133], v[134:135], v[136:137], v[132:133]
	v_div_scale_f64 v[134:135], null, v[132:133], v[132:133], 1.0
	s_delay_alu instid0(VALU_DEP_1) | instskip(SKIP_2) | instid1(VALU_DEP_1)
	v_rcp_f64_e32 v[138:139], v[134:135]
	s_waitcnt_depctr 0xfff
	v_fma_f64 v[144:145], -v[134:135], v[138:139], 1.0
	v_fma_f64 v[138:139], v[138:139], v[144:145], v[138:139]
	s_delay_alu instid0(VALU_DEP_1) | instskip(NEXT) | instid1(VALU_DEP_1)
	v_fma_f64 v[144:145], -v[134:135], v[138:139], 1.0
	v_fma_f64 v[138:139], v[138:139], v[144:145], v[138:139]
	v_div_scale_f64 v[144:145], vcc_lo, 1.0, v[132:133], 1.0
	s_delay_alu instid0(VALU_DEP_1) | instskip(NEXT) | instid1(VALU_DEP_1)
	v_mul_f64 v[148:149], v[144:145], v[138:139]
	v_fma_f64 v[134:135], -v[134:135], v[148:149], v[144:145]
	s_delay_alu instid0(VALU_DEP_1) | instskip(NEXT) | instid1(VALU_DEP_1)
	v_div_fmas_f64 v[134:135], v[134:135], v[138:139], v[148:149]
	v_div_fixup_f64 v[144:145], v[134:135], v[132:133], 1.0
	s_delay_alu instid0(VALU_DEP_1)
	v_mul_f64 v[138:139], v[136:137], -v[144:145]
.LBB65_286:
	s_or_b32 exec_lo, exec_lo, s3
	ds_store_2addr_b64 v141, v[144:145], v[138:139] offset1:1
.LBB65_287:
	s_or_b32 exec_lo, exec_lo, s4
	s_waitcnt lgkmcnt(0)
	s_barrier
	buffer_gl0_inv
	ds_load_2addr_b64 v[132:135], v141 offset1:1
	s_mov_b32 s3, exec_lo
	v_cmpx_lt_u32_e32 31, v140
	s_cbranch_execz .LBB65_289
; %bb.288:
	s_waitcnt lgkmcnt(0)
	v_mul_f64 v[136:137], v[132:133], v[6:7]
	v_mul_f64 v[6:7], v[134:135], v[6:7]
	s_delay_alu instid0(VALU_DEP_2) | instskip(SKIP_4) | instid1(VALU_DEP_1)
	v_fma_f64 v[144:145], v[134:135], v[4:5], v[136:137]
	ds_load_2addr_b64 v[136:139], v150 offset0:64 offset1:65
	v_fma_f64 v[4:5], v[132:133], v[4:5], -v[6:7]
	s_waitcnt lgkmcnt(0)
	v_mul_f64 v[6:7], v[138:139], v[144:145]
	v_fma_f64 v[6:7], v[136:137], v[4:5], -v[6:7]
	v_mul_f64 v[136:137], v[136:137], v[144:145]
	s_delay_alu instid0(VALU_DEP_2) | instskip(NEXT) | instid1(VALU_DEP_2)
	v_add_f64 v[0:1], v[0:1], -v[6:7]
	v_fma_f64 v[136:137], v[138:139], v[4:5], v[136:137]
	v_dual_mov_b32 v6, v144 :: v_dual_mov_b32 v7, v145
	s_delay_alu instid0(VALU_DEP_2)
	v_add_f64 v[2:3], v[2:3], -v[136:137]
.LBB65_289:
	s_or_b32 exec_lo, exec_lo, s3
	s_delay_alu instid0(SALU_CYCLE_1)
	s_mov_b32 s4, exec_lo
	s_waitcnt lgkmcnt(0)
	s_barrier
	buffer_gl0_inv
	v_cmpx_eq_u32_e32 32, v140
	s_cbranch_execz .LBB65_296
; %bb.290:
	v_cmp_neq_f64_e32 vcc_lo, 0, v[0:1]
	v_cmp_neq_f64_e64 s3, 0, v[2:3]
	ds_store_2addr_b64 v141, v[0:1], v[2:3] offset1:1
	s_or_b32 s3, vcc_lo, s3
	s_delay_alu instid0(SALU_CYCLE_1)
	s_and_b32 exec_lo, exec_lo, s3
	s_cbranch_execz .LBB65_296
; %bb.291:
	v_cmp_gt_f64_e32 vcc_lo, 0, v[0:1]
	v_xor_b32_e32 v136, 0x80000000, v1
	v_xor_b32_e32 v138, 0x80000000, v3
	s_mov_b32 s3, exec_lo
                                        ; implicit-def: $vgpr144_vgpr145
	s_delay_alu instid0(VALU_DEP_2) | instskip(SKIP_4) | instid1(VALU_DEP_1)
	v_cndmask_b32_e32 v137, v1, v136, vcc_lo
	v_cndmask_b32_e32 v136, v0, v0, vcc_lo
	v_cmp_gt_f64_e32 vcc_lo, 0, v[2:3]
	v_cndmask_b32_e32 v139, v3, v138, vcc_lo
	v_cndmask_b32_e32 v138, v2, v2, vcc_lo
	v_cmpx_ngt_f64_e32 v[136:137], v[138:139]
	s_xor_b32 s3, exec_lo, s3
                                        ; implicit-def: $vgpr136_vgpr137_vgpr138_vgpr139
	s_cbranch_execz .LBB65_293
; %bb.292:
	v_div_scale_f64 v[136:137], null, v[2:3], v[2:3], v[0:1]
	v_div_scale_f64 v[148:149], vcc_lo, v[0:1], v[2:3], v[0:1]
	v_mov_b32_e32 v229, v226
	v_dual_mov_b32 v228, v225 :: v_dual_mov_b32 v227, v224
	v_dual_mov_b32 v226, v223 :: v_dual_mov_b32 v225, v222
	v_dual_mov_b32 v224, v221 :: v_dual_mov_b32 v223, v220
	v_dual_mov_b32 v222, v219 :: v_dual_mov_b32 v221, v218
	v_dual_mov_b32 v220, v217 :: v_dual_mov_b32 v219, v216
	v_dual_mov_b32 v218, v215 :: v_dual_mov_b32 v217, v214
	v_dual_mov_b32 v216, v213 :: v_dual_mov_b32 v215, v212
	v_dual_mov_b32 v214, v211 :: v_dual_mov_b32 v213, v210
	v_dual_mov_b32 v212, v209 :: v_dual_mov_b32 v211, v208
	v_dual_mov_b32 v210, v207 :: v_dual_mov_b32 v209, v206
	v_dual_mov_b32 v208, v205 :: v_dual_mov_b32 v207, v204
	v_dual_mov_b32 v206, v203 :: v_dual_mov_b32 v205, v202
	v_dual_mov_b32 v204, v201 :: v_dual_mov_b32 v203, v200
	v_dual_mov_b32 v202, v199 :: v_dual_mov_b32 v201, v198
	v_dual_mov_b32 v200, v197 :: v_dual_mov_b32 v199, v196
	v_dual_mov_b32 v198, v195 :: v_dual_mov_b32 v197, v194
	v_mov_b32_e32 v196, v193
	v_rcp_f64_e32 v[138:139], v[136:137]
	v_dual_mov_b32 v195, v192 :: v_dual_mov_b32 v194, v191
	v_dual_mov_b32 v193, v190 :: v_dual_mov_b32 v192, v189
	;; [unrolled: 1-line block ×20, first 2 shown]
	s_delay_alu instid0(TRANS32_DEP_1) | instskip(SKIP_3) | instid1(VALU_DEP_4)
	v_fma_f64 v[144:145], -v[136:137], v[138:139], 1.0
	v_dual_mov_b32 v159, v156 :: v_dual_mov_b32 v158, v155
	v_dual_mov_b32 v157, v154 :: v_dual_mov_b32 v156, v153
	v_dual_mov_b32 v155, v152 :: v_dual_mov_b32 v154, v151
	v_fma_f64 v[138:139], v[138:139], v[144:145], v[138:139]
	s_delay_alu instid0(VALU_DEP_1) | instskip(NEXT) | instid1(VALU_DEP_1)
	v_fma_f64 v[144:145], -v[136:137], v[138:139], 1.0
	v_fma_f64 v[138:139], v[138:139], v[144:145], v[138:139]
	s_delay_alu instid0(VALU_DEP_1) | instskip(NEXT) | instid1(VALU_DEP_1)
	v_mul_f64 v[144:145], v[148:149], v[138:139]
	v_fma_f64 v[136:137], -v[136:137], v[144:145], v[148:149]
	s_delay_alu instid0(VALU_DEP_1) | instskip(NEXT) | instid1(VALU_DEP_1)
	v_div_fmas_f64 v[136:137], v[136:137], v[138:139], v[144:145]
	v_div_fixup_f64 v[136:137], v[136:137], v[2:3], v[0:1]
	s_delay_alu instid0(VALU_DEP_1) | instskip(NEXT) | instid1(VALU_DEP_1)
	v_fma_f64 v[138:139], v[0:1], v[136:137], v[2:3]
	v_div_scale_f64 v[144:145], null, v[138:139], v[138:139], 1.0
	s_delay_alu instid0(VALU_DEP_1) | instskip(SKIP_2) | instid1(VALU_DEP_1)
	v_rcp_f64_e32 v[148:149], v[144:145]
	s_waitcnt_depctr 0xfff
	v_fma_f64 v[150:151], -v[144:145], v[148:149], 1.0
	v_fma_f64 v[148:149], v[148:149], v[150:151], v[148:149]
	s_delay_alu instid0(VALU_DEP_1) | instskip(NEXT) | instid1(VALU_DEP_1)
	v_fma_f64 v[150:151], -v[144:145], v[148:149], 1.0
	v_fma_f64 v[148:149], v[148:149], v[150:151], v[148:149]
	v_div_scale_f64 v[150:151], vcc_lo, 1.0, v[138:139], 1.0
	s_delay_alu instid0(VALU_DEP_1) | instskip(NEXT) | instid1(VALU_DEP_1)
	v_mul_f64 v[152:153], v[150:151], v[148:149]
	v_fma_f64 v[144:145], -v[144:145], v[152:153], v[150:151]
	s_delay_alu instid0(VALU_DEP_1)
	v_div_fmas_f64 v[144:145], v[144:145], v[148:149], v[152:153]
	v_dual_mov_b32 v151, v154 :: v_dual_mov_b32 v152, v155
	v_dual_mov_b32 v153, v156 :: v_dual_mov_b32 v154, v157
	;; [unrolled: 1-line block ×19, first 2 shown]
	v_div_fixup_f64 v[138:139], v[144:145], v[138:139], 1.0
	v_dual_mov_b32 v185, v188 :: v_dual_mov_b32 v186, v189
	v_dual_mov_b32 v187, v190 :: v_dual_mov_b32 v188, v191
	;; [unrolled: 1-line block ×5, first 2 shown]
	v_mov_b32_e32 v195, v198
	v_dual_mov_b32 v196, v199 :: v_dual_mov_b32 v197, v200
	v_dual_mov_b32 v198, v201 :: v_dual_mov_b32 v199, v202
	;; [unrolled: 1-line block ×13, first 2 shown]
	v_mul_f64 v[144:145], v[136:137], v[138:139]
	v_dual_mov_b32 v222, v225 :: v_dual_mov_b32 v223, v226
	v_dual_mov_b32 v224, v227 :: v_dual_mov_b32 v225, v228
	v_mov_b32_e32 v226, v229
	v_xor_b32_e32 v139, 0x80000000, v139
.LBB65_293:
	s_and_not1_saveexec_b32 s3, s3
	s_cbranch_execz .LBB65_295
; %bb.294:
	v_div_scale_f64 v[136:137], null, v[0:1], v[0:1], v[2:3]
	v_div_scale_f64 v[148:149], vcc_lo, v[2:3], v[0:1], v[2:3]
	v_mov_b32_e32 v229, v226
	v_dual_mov_b32 v228, v225 :: v_dual_mov_b32 v227, v224
	v_dual_mov_b32 v226, v223 :: v_dual_mov_b32 v225, v222
	v_dual_mov_b32 v224, v221 :: v_dual_mov_b32 v223, v220
	v_dual_mov_b32 v222, v219 :: v_dual_mov_b32 v221, v218
	v_dual_mov_b32 v220, v217 :: v_dual_mov_b32 v219, v216
	v_dual_mov_b32 v218, v215 :: v_dual_mov_b32 v217, v214
	v_dual_mov_b32 v216, v213 :: v_dual_mov_b32 v215, v212
	v_dual_mov_b32 v214, v211 :: v_dual_mov_b32 v213, v210
	v_dual_mov_b32 v212, v209 :: v_dual_mov_b32 v211, v208
	v_dual_mov_b32 v210, v207 :: v_dual_mov_b32 v209, v206
	v_dual_mov_b32 v208, v205 :: v_dual_mov_b32 v207, v204
	v_dual_mov_b32 v206, v203 :: v_dual_mov_b32 v205, v202
	v_dual_mov_b32 v204, v201 :: v_dual_mov_b32 v203, v200
	v_dual_mov_b32 v202, v199 :: v_dual_mov_b32 v201, v198
	v_dual_mov_b32 v200, v197 :: v_dual_mov_b32 v199, v196
	v_dual_mov_b32 v198, v195 :: v_dual_mov_b32 v197, v194
	v_mov_b32_e32 v196, v193
	v_rcp_f64_e32 v[138:139], v[136:137]
	v_dual_mov_b32 v195, v192 :: v_dual_mov_b32 v194, v191
	v_dual_mov_b32 v193, v190 :: v_dual_mov_b32 v192, v189
	;; [unrolled: 1-line block ×20, first 2 shown]
	s_delay_alu instid0(TRANS32_DEP_1) | instskip(SKIP_3) | instid1(VALU_DEP_4)
	v_fma_f64 v[144:145], -v[136:137], v[138:139], 1.0
	v_dual_mov_b32 v159, v156 :: v_dual_mov_b32 v158, v155
	v_dual_mov_b32 v157, v154 :: v_dual_mov_b32 v156, v153
	;; [unrolled: 1-line block ×3, first 2 shown]
	v_fma_f64 v[138:139], v[138:139], v[144:145], v[138:139]
	s_delay_alu instid0(VALU_DEP_1) | instskip(NEXT) | instid1(VALU_DEP_1)
	v_fma_f64 v[144:145], -v[136:137], v[138:139], 1.0
	v_fma_f64 v[138:139], v[138:139], v[144:145], v[138:139]
	s_delay_alu instid0(VALU_DEP_1) | instskip(NEXT) | instid1(VALU_DEP_1)
	v_mul_f64 v[144:145], v[148:149], v[138:139]
	v_fma_f64 v[136:137], -v[136:137], v[144:145], v[148:149]
	s_delay_alu instid0(VALU_DEP_1) | instskip(NEXT) | instid1(VALU_DEP_1)
	v_div_fmas_f64 v[136:137], v[136:137], v[138:139], v[144:145]
	v_div_fixup_f64 v[136:137], v[136:137], v[0:1], v[2:3]
	s_delay_alu instid0(VALU_DEP_1) | instskip(NEXT) | instid1(VALU_DEP_1)
	v_fma_f64 v[138:139], v[2:3], v[136:137], v[0:1]
	v_div_scale_f64 v[144:145], null, v[138:139], v[138:139], 1.0
	s_delay_alu instid0(VALU_DEP_1) | instskip(SKIP_2) | instid1(VALU_DEP_1)
	v_rcp_f64_e32 v[148:149], v[144:145]
	s_waitcnt_depctr 0xfff
	v_fma_f64 v[150:151], -v[144:145], v[148:149], 1.0
	v_fma_f64 v[148:149], v[148:149], v[150:151], v[148:149]
	s_delay_alu instid0(VALU_DEP_1) | instskip(NEXT) | instid1(VALU_DEP_1)
	v_fma_f64 v[150:151], -v[144:145], v[148:149], 1.0
	v_fma_f64 v[148:149], v[148:149], v[150:151], v[148:149]
	v_div_scale_f64 v[150:151], vcc_lo, 1.0, v[138:139], 1.0
	s_delay_alu instid0(VALU_DEP_1) | instskip(NEXT) | instid1(VALU_DEP_1)
	v_mul_f64 v[152:153], v[150:151], v[148:149]
	v_fma_f64 v[144:145], -v[144:145], v[152:153], v[150:151]
	s_delay_alu instid0(VALU_DEP_1)
	v_div_fmas_f64 v[144:145], v[144:145], v[148:149], v[152:153]
	v_dual_mov_b32 v151, v154 :: v_dual_mov_b32 v152, v155
	v_dual_mov_b32 v153, v156 :: v_dual_mov_b32 v154, v157
	;; [unrolled: 1-line block ×19, first 2 shown]
	v_div_fixup_f64 v[144:145], v[144:145], v[138:139], 1.0
	v_dual_mov_b32 v185, v188 :: v_dual_mov_b32 v186, v189
	v_dual_mov_b32 v187, v190 :: v_dual_mov_b32 v188, v191
	;; [unrolled: 1-line block ×5, first 2 shown]
	v_mov_b32_e32 v195, v198
	v_dual_mov_b32 v196, v199 :: v_dual_mov_b32 v197, v200
	v_dual_mov_b32 v198, v201 :: v_dual_mov_b32 v199, v202
	v_dual_mov_b32 v200, v203 :: v_dual_mov_b32 v201, v204
	v_dual_mov_b32 v202, v205 :: v_dual_mov_b32 v203, v206
	v_dual_mov_b32 v204, v207 :: v_dual_mov_b32 v205, v208
	v_dual_mov_b32 v206, v209 :: v_dual_mov_b32 v207, v210
	v_dual_mov_b32 v208, v211 :: v_dual_mov_b32 v209, v212
	v_dual_mov_b32 v210, v213 :: v_dual_mov_b32 v211, v214
	v_dual_mov_b32 v212, v215 :: v_dual_mov_b32 v213, v216
	v_dual_mov_b32 v214, v217 :: v_dual_mov_b32 v215, v218
	v_dual_mov_b32 v216, v219 :: v_dual_mov_b32 v217, v220
	v_dual_mov_b32 v218, v221 :: v_dual_mov_b32 v219, v222
	v_dual_mov_b32 v220, v223 :: v_dual_mov_b32 v221, v224
	v_mul_f64 v[138:139], v[136:137], -v[144:145]
	v_dual_mov_b32 v222, v225 :: v_dual_mov_b32 v223, v226
	v_dual_mov_b32 v224, v227 :: v_dual_mov_b32 v225, v228
	v_mov_b32_e32 v226, v229
.LBB65_295:
	s_or_b32 exec_lo, exec_lo, s3
	ds_store_2addr_b64 v141, v[144:145], v[138:139] offset1:1
.LBB65_296:
	s_or_b32 exec_lo, exec_lo, s4
	s_waitcnt lgkmcnt(0)
	s_barrier
	buffer_gl0_inv
	ds_load_2addr_b64 v[136:139], v141 offset1:1
	s_mov_b32 s3, exec_lo
	v_cmpx_lt_u32_e32 32, v140
	s_cbranch_execz .LBB65_298
; %bb.297:
	s_waitcnt lgkmcnt(0)
	v_mul_f64 v[140:141], v[138:139], v[2:3]
	v_mul_f64 v[2:3], v[136:137], v[2:3]
	s_delay_alu instid0(VALU_DEP_2) | instskip(NEXT) | instid1(VALU_DEP_2)
	v_fma_f64 v[140:141], v[136:137], v[0:1], -v[140:141]
	v_fma_f64 v[2:3], v[138:139], v[0:1], v[2:3]
	s_delay_alu instid0(VALU_DEP_2)
	v_dual_mov_b32 v0, v140 :: v_dual_mov_b32 v1, v141
.LBB65_298:
	s_or_b32 exec_lo, exec_lo, s3
	s_waitcnt lgkmcnt(0)
	s_barrier
	buffer_gl0_inv
	s_and_saveexec_b32 s12, s2
	s_cbranch_execz .LBB65_301
; %bb.299:
	v_cmp_eq_f64_e32 vcc_lo, 0, v[195:196]
	v_cmp_eq_f64_e64 s2, 0, v[197:198]
	v_cmp_neq_f64_e64 s3, 0, v[199:200]
	v_cmp_neq_f64_e64 s4, 0, v[201:202]
	v_cmp_eq_f64_e64 s5, 0, v[203:204]
	v_cmp_eq_f64_e64 s6, 0, v[205:206]
	;; [unrolled: 1-line block ×6, first 2 shown]
	s_load_b64 s[14:15], s[0:1], 0x28
	v_cmp_eq_f64_e64 s0, 0, v[217:218]
	s_and_b32 s2, vcc_lo, s2
	s_delay_alu instid0(SALU_CYCLE_1) | instskip(SKIP_1) | instid1(SALU_CYCLE_1)
	v_cndmask_b32_e64 v140, 0, 1, s2
	s_or_b32 s3, s3, s4
	s_or_b32 vcc_lo, s3, s2
	s_and_b32 s2, s5, s6
	s_delay_alu instid0(VALU_DEP_1) | instskip(SKIP_1) | instid1(VALU_DEP_4)
	v_cndmask_b32_e32 v140, 2, v140, vcc_lo
	s_and_b32 s5, s7, s8
	s_and_b32 s6, s9, s10
	v_cmp_eq_f64_e32 vcc_lo, 0, v[215:216]
	s_delay_alu instid0(VALU_DEP_2) | instskip(NEXT) | instid1(VALU_DEP_1)
	v_cmp_eq_u32_e64 s1, 0, v140
	s_and_b32 s1, s2, s1
	v_cmp_eq_f64_e64 s2, 0, v[221:222]
	v_cndmask_b32_e64 v144, v140, 3, s1
	v_lshlrev_b64 v[140:141], 2, v[142:143]
	v_cmp_eq_f64_e64 s1, 0, v[219:220]
	s_delay_alu instid0(VALU_DEP_3) | instskip(SKIP_1) | instid1(VALU_DEP_3)
	v_cmp_eq_u32_e64 s3, 0, v144
	s_waitcnt lgkmcnt(0)
	v_add_co_u32 v142, s4, s14, v140
	s_delay_alu instid0(VALU_DEP_1) | instskip(NEXT) | instid1(VALU_DEP_3)
	v_add_co_ci_u32_e64 v143, s4, s15, v141, s4
	s_and_b32 s3, s5, s3
	v_cmp_eq_f64_e64 s4, 0, v[225:226]
	v_cndmask_b32_e64 v141, v144, 4, s3
	v_cmp_eq_f64_e64 s3, 0, v[223:224]
	global_load_b32 v140, v[142:143], off
	v_cmp_eq_u32_e64 s5, 0, v141
	s_delay_alu instid0(VALU_DEP_1)
	s_and_b32 s5, s6, s5
	v_cmp_eq_f64_e64 s6, 0, v[130:131]
	v_cndmask_b32_e64 v141, v141, 5, s5
	v_cmp_eq_f64_e64 s5, 0, v[128:129]
	scratch_load_b128 v[128:131], off, off offset:80 ; 16-byte Folded Reload
	s_and_b32 s0, vcc_lo, s0
	v_cmp_eq_u32_e64 s7, 0, v141
	s_delay_alu instid0(VALU_DEP_1) | instskip(NEXT) | instid1(SALU_CYCLE_1)
	s_and_b32 s0, s0, s7
	v_cndmask_b32_e64 v141, v141, 6, s0
	s_and_b32 s1, s1, s2
	s_delay_alu instid0(VALU_DEP_1) | instskip(NEXT) | instid1(VALU_DEP_1)
	v_cmp_eq_u32_e64 s7, 0, v141
	s_and_b32 s1, s1, s7
	s_delay_alu instid0(SALU_CYCLE_1) | instskip(SKIP_1) | instid1(VALU_DEP_1)
	v_cndmask_b32_e64 v141, v141, 7, s1
	s_and_b32 s3, s3, s4
	v_cmp_eq_u32_e64 s7, 0, v141
	s_delay_alu instid0(VALU_DEP_1) | instskip(NEXT) | instid1(SALU_CYCLE_1)
	s_and_b32 s3, s3, s7
	v_cndmask_b32_e64 v141, v141, 8, s3
	s_and_b32 s5, s5, s6
	s_delay_alu instid0(VALU_DEP_1) | instskip(NEXT) | instid1(VALU_DEP_1)
	v_cmp_eq_u32_e64 s7, 0, v141
	s_and_b32 s5, s5, s7
	s_delay_alu instid0(SALU_CYCLE_1) | instskip(NEXT) | instid1(VALU_DEP_1)
	v_cndmask_b32_e64 v141, v141, 9, s5
	v_cmp_eq_u32_e64 s7, 0, v141
	s_waitcnt vmcnt(0)
	v_cmp_eq_f64_e32 vcc_lo, 0, v[128:129]
	v_cmp_eq_f64_e64 s0, 0, v[130:131]
	scratch_load_b128 v[128:131], off, off offset:96 ; 16-byte Folded Reload
	s_and_b32 s0, vcc_lo, s0
	s_delay_alu instid0(SALU_CYCLE_1) | instskip(NEXT) | instid1(SALU_CYCLE_1)
	s_and_b32 s0, s0, s7
	v_cndmask_b32_e64 v141, v141, 10, s0
	s_delay_alu instid0(VALU_DEP_1)
	v_cmp_eq_u32_e64 s7, 0, v141
	s_waitcnt vmcnt(0)
	v_cmp_eq_f64_e64 s1, 0, v[128:129]
	v_cmp_eq_f64_e64 s2, 0, v[130:131]
	scratch_load_b128 v[128:131], off, off offset:112 ; 16-byte Folded Reload
	s_and_b32 s1, s1, s2
	s_delay_alu instid0(SALU_CYCLE_1) | instskip(NEXT) | instid1(SALU_CYCLE_1)
	s_and_b32 s1, s1, s7
	v_cndmask_b32_e64 v141, v141, 11, s1
	s_delay_alu instid0(VALU_DEP_1)
	v_cmp_eq_u32_e64 s7, 0, v141
	s_waitcnt vmcnt(0)
	v_cmp_eq_f64_e64 s3, 0, v[128:129]
	v_cmp_eq_f64_e64 s4, 0, v[130:131]
	scratch_load_b128 v[128:131], off, off offset:128 ; 16-byte Folded Reload
	s_and_b32 s3, s3, s4
	s_delay_alu instid0(SALU_CYCLE_1) | instskip(NEXT) | instid1(SALU_CYCLE_1)
	s_and_b32 s3, s3, s7
	v_cndmask_b32_e64 v141, v141, 12, s3
	s_delay_alu instid0(VALU_DEP_1)
	v_cmp_eq_u32_e64 s7, 0, v141
	s_waitcnt vmcnt(0)
	v_cmp_eq_f64_e64 s5, 0, v[128:129]
	v_cmp_eq_f64_e64 s6, 0, v[130:131]
	scratch_load_b128 v[128:131], off, off offset:144 ; 16-byte Folded Reload
	s_and_b32 s5, s5, s6
	s_delay_alu instid0(SALU_CYCLE_1) | instskip(NEXT) | instid1(SALU_CYCLE_1)
	s_and_b32 s5, s5, s7
	v_cndmask_b32_e64 v141, v141, 13, s5
	s_delay_alu instid0(VALU_DEP_1)
	v_cmp_eq_u32_e64 s7, 0, v141
	s_waitcnt vmcnt(0)
	v_cmp_eq_f64_e32 vcc_lo, 0, v[128:129]
	v_cmp_eq_f64_e64 s0, 0, v[130:131]
	scratch_load_b128 v[128:131], off, off offset:160 ; 16-byte Folded Reload
	s_and_b32 s0, vcc_lo, s0
	s_delay_alu instid0(SALU_CYCLE_1) | instskip(NEXT) | instid1(SALU_CYCLE_1)
	s_and_b32 s0, s0, s7
	v_cndmask_b32_e64 v141, v141, 14, s0
	s_delay_alu instid0(VALU_DEP_1)
	v_cmp_eq_u32_e64 s7, 0, v141
	s_waitcnt vmcnt(0)
	v_cmp_eq_f64_e64 s1, 0, v[128:129]
	v_cmp_eq_f64_e64 s2, 0, v[130:131]
	scratch_load_b128 v[128:131], off, off offset:176 ; 16-byte Folded Reload
	s_and_b32 s1, s1, s2
	s_delay_alu instid0(SALU_CYCLE_1) | instskip(NEXT) | instid1(SALU_CYCLE_1)
	s_and_b32 s1, s1, s7
	v_cndmask_b32_e64 v141, v141, 15, s1
	s_delay_alu instid0(VALU_DEP_1)
	v_cmp_eq_u32_e64 s7, 0, v141
	s_waitcnt vmcnt(0)
	v_cmp_eq_f64_e64 s3, 0, v[128:129]
	v_cmp_eq_f64_e64 s4, 0, v[130:131]
	scratch_load_b128 v[128:131], off, off offset:192 ; 16-byte Folded Reload
	s_and_b32 s3, s3, s4
	s_delay_alu instid0(SALU_CYCLE_1) | instskip(NEXT) | instid1(SALU_CYCLE_1)
	s_and_b32 s3, s3, s7
	v_cndmask_b32_e64 v141, v141, 16, s3
	s_delay_alu instid0(VALU_DEP_1)
	v_cmp_eq_u32_e64 s7, 0, v141
	s_waitcnt vmcnt(0)
	v_cmp_eq_f64_e64 s5, 0, v[128:129]
	v_cmp_eq_f64_e64 s6, 0, v[130:131]
	scratch_load_b128 v[128:131], off, off offset:208 ; 16-byte Folded Reload
	s_and_b32 s5, s5, s6
	s_delay_alu instid0(SALU_CYCLE_1) | instskip(NEXT) | instid1(SALU_CYCLE_1)
	s_and_b32 s5, s5, s7
	v_cndmask_b32_e64 v141, v141, 17, s5
	s_delay_alu instid0(VALU_DEP_1)
	;; [unrolled: 40-line block ×3, first 2 shown]
	v_cmp_eq_u32_e64 s7, 0, v141
	s_waitcnt vmcnt(0)
	v_cmp_eq_f64_e32 vcc_lo, 0, v[128:129]
	v_cmp_eq_f64_e64 s0, 0, v[130:131]
	scratch_load_b128 v[128:131], off, off offset:288 ; 16-byte Folded Reload
	s_and_b32 s0, vcc_lo, s0
	s_delay_alu instid0(SALU_CYCLE_1) | instskip(NEXT) | instid1(SALU_CYCLE_1)
	s_and_b32 s0, s0, s7
	v_cndmask_b32_e64 v141, v141, 22, s0
	s_delay_alu instid0(VALU_DEP_1)
	v_cmp_eq_u32_e64 s7, 0, v141
	s_waitcnt vmcnt(0)
	v_cmp_eq_f64_e64 s1, 0, v[128:129]
	v_cmp_eq_f64_e64 s2, 0, v[130:131]
	scratch_load_b128 v[128:131], off, off offset:304 ; 16-byte Folded Reload
	s_and_b32 s1, s1, s2
	v_cmp_eq_f64_e64 s2, 0, v[238:239]
	s_and_b32 s1, s1, s7
	s_delay_alu instid0(SALU_CYCLE_1) | instskip(SKIP_1) | instid1(VALU_DEP_2)
	v_cndmask_b32_e64 v141, v141, 23, s1
	v_cmp_eq_f64_e64 s1, 0, v[236:237]
	v_cmp_eq_u32_e64 s7, 0, v141
	s_delay_alu instid0(VALU_DEP_2)
	s_and_b32 s1, s1, s2
	v_cmp_eq_f64_e64 s2, 0, v[254:255]
	s_waitcnt vmcnt(0)
	v_cmp_eq_f64_e64 s3, 0, v[128:129]
	v_cmp_eq_f64_e64 s4, 0, v[130:131]
	scratch_load_b128 v[128:131], off, off offset:320 ; 16-byte Folded Reload
	s_and_b32 s3, s3, s4
	v_cmp_eq_f64_e64 s4, 0, v[242:243]
	s_and_b32 s3, s3, s7
	s_delay_alu instid0(SALU_CYCLE_1) | instskip(SKIP_1) | instid1(VALU_DEP_2)
	v_cndmask_b32_e64 v141, v141, 24, s3
	v_cmp_eq_f64_e64 s3, 0, v[240:241]
	v_cmp_eq_u32_e64 s7, 0, v141
	s_delay_alu instid0(VALU_DEP_2)
	s_and_b32 s3, s3, s4
	v_cmp_eq_f64_e64 s4, 0, v[134:135]
	s_waitcnt vmcnt(0)
	v_cmp_eq_f64_e64 s5, 0, v[128:129]
	v_cmp_eq_f64_e64 s6, 0, v[130:131]
	scratch_load_b128 v[128:131], off, off offset:336 ; 16-byte Folded Reload
	s_and_b32 s5, s5, s6
	v_cmp_eq_f64_e64 s6, 0, v[246:247]
	s_and_b32 s5, s5, s7
	s_delay_alu instid0(SALU_CYCLE_1) | instskip(SKIP_1) | instid1(VALU_DEP_2)
	v_cndmask_b32_e64 v141, v141, 25, s5
	v_cmp_eq_f64_e64 s5, 0, v[244:245]
	v_cmp_eq_u32_e64 s7, 0, v141
	s_delay_alu instid0(VALU_DEP_2) | instskip(SKIP_4) | instid1(VALU_DEP_1)
	s_and_b32 s5, s5, s6
	v_cmp_eq_f64_e64 s6, 0, v[138:139]
	s_waitcnt vmcnt(0)
	v_cmp_eq_f64_e32 vcc_lo, 0, v[128:129]
	v_cmp_eq_f64_e64 s0, 0, v[130:131]
	s_and_b32 s0, vcc_lo, s0
	v_cmp_eq_f64_e32 vcc_lo, 0, v[248:249]
	s_and_b32 s0, s0, s7
	s_delay_alu instid0(SALU_CYCLE_1) | instskip(SKIP_1) | instid1(VALU_DEP_2)
	v_cndmask_b32_e64 v141, v141, 26, s0
	v_cmp_eq_f64_e64 s0, 0, v[250:251]
	v_cmp_eq_u32_e64 s7, 0, v141
	s_delay_alu instid0(VALU_DEP_1) | instskip(NEXT) | instid1(SALU_CYCLE_1)
	s_and_b32 s1, s1, s7
	v_cndmask_b32_e64 v141, v141, 27, s1
	v_cmp_eq_f64_e64 s1, 0, v[252:253]
	s_delay_alu instid0(VALU_DEP_2) | instskip(NEXT) | instid1(VALU_DEP_1)
	v_cmp_eq_u32_e64 s7, 0, v141
	s_and_b32 s3, s3, s7
	s_delay_alu instid0(SALU_CYCLE_1) | instskip(SKIP_1) | instid1(VALU_DEP_2)
	v_cndmask_b32_e64 v141, v141, 28, s3
	v_cmp_eq_f64_e64 s3, 0, v[132:133]
	v_cmp_eq_u32_e64 s7, 0, v141
	s_delay_alu instid0(VALU_DEP_1) | instskip(NEXT) | instid1(SALU_CYCLE_1)
	s_and_b32 s5, s5, s7
	v_cndmask_b32_e64 v132, v141, 29, s5
	v_cmp_eq_f64_e64 s5, 0, v[136:137]
	s_and_b32 s0, vcc_lo, s0
	s_delay_alu instid0(VALU_DEP_2) | instskip(NEXT) | instid1(VALU_DEP_1)
	v_cmp_eq_u32_e64 s7, 0, v132
	s_and_b32 s0, s0, s7
	s_delay_alu instid0(SALU_CYCLE_1) | instskip(SKIP_1) | instid1(VALU_DEP_1)
	v_cndmask_b32_e64 v132, v132, 30, s0
	s_and_b32 s0, s1, s2
	v_cmp_eq_u32_e32 vcc_lo, 0, v132
	s_and_b32 s0, s0, vcc_lo
	s_delay_alu instid0(SALU_CYCLE_1) | instskip(SKIP_1) | instid1(VALU_DEP_1)
	v_cndmask_b32_e64 v132, v132, 31, s0
	s_and_b32 s0, s3, s4
	v_cmp_eq_u32_e32 vcc_lo, 0, v132
	s_and_b32 s0, s0, vcc_lo
	s_delay_alu instid0(SALU_CYCLE_1) | instskip(SKIP_1) | instid1(VALU_DEP_1)
	v_cndmask_b32_e64 v132, v132, 32, s0
	s_and_b32 s0, s5, s6
	v_cmp_eq_u32_e32 vcc_lo, 0, v132
	s_and_b32 s0, s0, vcc_lo
	v_cmp_eq_u32_e32 vcc_lo, 0, v140
	v_cndmask_b32_e64 v132, v132, 33, s0
	s_delay_alu instid0(VALU_DEP_1) | instskip(NEXT) | instid1(VALU_DEP_1)
	v_cmp_ne_u32_e64 s0, 0, v132
	s_and_b32 s0, vcc_lo, s0
	s_delay_alu instid0(SALU_CYCLE_1)
	s_and_b32 exec_lo, exec_lo, s0
	s_cbranch_execz .LBB65_301
; %bb.300:
	v_add_nc_u32_e32 v132, s11, v132
	global_store_b32 v[142:143], v132, off
.LBB65_301:
	s_or_b32 exec_lo, exec_lo, s12
	s_clause 0xb
	global_store_b128 v[193:194], v[230:233], off
	global_store_b128 v[191:192], v[124:127], off
	;; [unrolled: 1-line block ×12, first 2 shown]
	scratch_load_b64 v[84:85], off, off offset:72 ; 8-byte Folded Reload
	s_waitcnt vmcnt(0)
	global_store_b128 v[84:85], v[80:83], off
	scratch_load_b64 v[80:81], off, off offset:64 ; 8-byte Folded Reload
	s_waitcnt vmcnt(0)
	global_store_b128 v[80:81], v[76:79], off
	scratch_load_b64 v[76:77], off, off offset:56 ; 8-byte Folded Reload
	s_waitcnt vmcnt(0)
	global_store_b128 v[76:77], v[72:75], off
	scratch_load_b64 v[72:73], off, off offset:48 ; 8-byte Folded Reload
	s_waitcnt vmcnt(0)
	global_store_b128 v[72:73], v[68:71], off
	scratch_load_b64 v[68:69], off, off offset:40 ; 8-byte Folded Reload
	s_waitcnt vmcnt(0)
	global_store_b128 v[68:69], v[64:67], off
	scratch_load_b64 v[64:65], off, off offset:32 ; 8-byte Folded Reload
	s_waitcnt vmcnt(0)
	global_store_b128 v[64:65], v[60:63], off
	scratch_load_b64 v[60:61], off, off offset:24 ; 8-byte Folded Reload
	s_waitcnt vmcnt(0)
	global_store_b128 v[60:61], v[56:59], off
	scratch_load_b64 v[56:57], off, off offset:16 ; 8-byte Folded Reload
	s_waitcnt vmcnt(0)
	global_store_b128 v[56:57], v[52:55], off
	scratch_load_b64 v[52:53], off, off offset:8 ; 8-byte Folded Reload
	s_waitcnt vmcnt(0)
	global_store_b128 v[52:53], v[48:51], off
	scratch_load_b64 v[48:49], off, off     ; 8-byte Folded Reload
	s_waitcnt vmcnt(0)
	s_clause 0xb
	global_store_b128 v[48:49], v[44:47], off
	global_store_b128 v[167:168], v[40:43], off
	;; [unrolled: 1-line block ×12, first 2 shown]
.LBB65_302:
	s_nop 0
	s_sendmsg sendmsg(MSG_DEALLOC_VGPRS)
	s_endpgm
	.section	.rodata,"a",@progbits
	.p2align	6, 0x0
	.amdhsa_kernel _ZN9rocsolver6v33100L23getf2_npvt_small_kernelILi33E19rocblas_complex_numIdEiiPKPS3_EEvT1_T3_lS7_lPT2_S7_S7_
		.amdhsa_group_segment_fixed_size 0
		.amdhsa_private_segment_fixed_size 356
		.amdhsa_kernarg_size 312
		.amdhsa_user_sgpr_count 14
		.amdhsa_user_sgpr_dispatch_ptr 0
		.amdhsa_user_sgpr_queue_ptr 0
		.amdhsa_user_sgpr_kernarg_segment_ptr 1
		.amdhsa_user_sgpr_dispatch_id 0
		.amdhsa_user_sgpr_private_segment_size 0
		.amdhsa_wavefront_size32 1
		.amdhsa_uses_dynamic_stack 0
		.amdhsa_enable_private_segment 1
		.amdhsa_system_sgpr_workgroup_id_x 1
		.amdhsa_system_sgpr_workgroup_id_y 1
		.amdhsa_system_sgpr_workgroup_id_z 0
		.amdhsa_system_sgpr_workgroup_info 0
		.amdhsa_system_vgpr_workitem_id 1
		.amdhsa_next_free_vgpr 256
		.amdhsa_next_free_sgpr 16
		.amdhsa_reserve_vcc 1
		.amdhsa_float_round_mode_32 0
		.amdhsa_float_round_mode_16_64 0
		.amdhsa_float_denorm_mode_32 3
		.amdhsa_float_denorm_mode_16_64 3
		.amdhsa_dx10_clamp 1
		.amdhsa_ieee_mode 1
		.amdhsa_fp16_overflow 0
		.amdhsa_workgroup_processor_mode 1
		.amdhsa_memory_ordered 1
		.amdhsa_forward_progress 0
		.amdhsa_shared_vgpr_count 0
		.amdhsa_exception_fp_ieee_invalid_op 0
		.amdhsa_exception_fp_denorm_src 0
		.amdhsa_exception_fp_ieee_div_zero 0
		.amdhsa_exception_fp_ieee_overflow 0
		.amdhsa_exception_fp_ieee_underflow 0
		.amdhsa_exception_fp_ieee_inexact 0
		.amdhsa_exception_int_div_zero 0
	.end_amdhsa_kernel
	.section	.text._ZN9rocsolver6v33100L23getf2_npvt_small_kernelILi33E19rocblas_complex_numIdEiiPKPS3_EEvT1_T3_lS7_lPT2_S7_S7_,"axG",@progbits,_ZN9rocsolver6v33100L23getf2_npvt_small_kernelILi33E19rocblas_complex_numIdEiiPKPS3_EEvT1_T3_lS7_lPT2_S7_S7_,comdat
.Lfunc_end65:
	.size	_ZN9rocsolver6v33100L23getf2_npvt_small_kernelILi33E19rocblas_complex_numIdEiiPKPS3_EEvT1_T3_lS7_lPT2_S7_S7_, .Lfunc_end65-_ZN9rocsolver6v33100L23getf2_npvt_small_kernelILi33E19rocblas_complex_numIdEiiPKPS3_EEvT1_T3_lS7_lPT2_S7_S7_
                                        ; -- End function
	.section	.AMDGPU.csdata,"",@progbits
; Kernel info:
; codeLenInByte = 69568
; NumSgprs: 18
; NumVgprs: 256
; ScratchSize: 356
; MemoryBound: 1
; FloatMode: 240
; IeeeMode: 1
; LDSByteSize: 0 bytes/workgroup (compile time only)
; SGPRBlocks: 2
; VGPRBlocks: 31
; NumSGPRsForWavesPerEU: 18
; NumVGPRsForWavesPerEU: 256
; Occupancy: 5
; WaveLimiterHint : 1
; COMPUTE_PGM_RSRC2:SCRATCH_EN: 1
; COMPUTE_PGM_RSRC2:USER_SGPR: 14
; COMPUTE_PGM_RSRC2:TRAP_HANDLER: 0
; COMPUTE_PGM_RSRC2:TGID_X_EN: 1
; COMPUTE_PGM_RSRC2:TGID_Y_EN: 1
; COMPUTE_PGM_RSRC2:TGID_Z_EN: 0
; COMPUTE_PGM_RSRC2:TIDIG_COMP_CNT: 1
	.section	.text._ZN9rocsolver6v33100L18getf2_small_kernelILi34E19rocblas_complex_numIdEiiPKPS3_EEvT1_T3_lS7_lPS7_llPT2_S7_S7_S9_l,"axG",@progbits,_ZN9rocsolver6v33100L18getf2_small_kernelILi34E19rocblas_complex_numIdEiiPKPS3_EEvT1_T3_lS7_lPS7_llPT2_S7_S7_S9_l,comdat
	.globl	_ZN9rocsolver6v33100L18getf2_small_kernelILi34E19rocblas_complex_numIdEiiPKPS3_EEvT1_T3_lS7_lPS7_llPT2_S7_S7_S9_l ; -- Begin function _ZN9rocsolver6v33100L18getf2_small_kernelILi34E19rocblas_complex_numIdEiiPKPS3_EEvT1_T3_lS7_lPS7_llPT2_S7_S7_S9_l
	.p2align	8
	.type	_ZN9rocsolver6v33100L18getf2_small_kernelILi34E19rocblas_complex_numIdEiiPKPS3_EEvT1_T3_lS7_lPS7_llPT2_S7_S7_S9_l,@function
_ZN9rocsolver6v33100L18getf2_small_kernelILi34E19rocblas_complex_numIdEiiPKPS3_EEvT1_T3_lS7_lPS7_llPT2_S7_S7_S9_l: ; @_ZN9rocsolver6v33100L18getf2_small_kernelILi34E19rocblas_complex_numIdEiiPKPS3_EEvT1_T3_lS7_lPS7_llPT2_S7_S7_S9_l
; %bb.0:
	s_clause 0x1
	s_load_b32 s2, s[0:1], 0x6c
	s_load_b64 s[12:13], s[0:1], 0x48
	v_bfe_u32 v136, v0, 10, 10
	s_waitcnt lgkmcnt(0)
	s_lshr_b32 s2, s2, 16
	s_delay_alu instid0(VALU_DEP_1) | instid1(SALU_CYCLE_1)
	v_mad_u64_u32 v[2:3], null, s15, s2, v[136:137]
	s_mov_b32 s2, exec_lo
	s_delay_alu instid0(VALU_DEP_1)
	v_mov_b32_e32 v1, v2
	v_cmpx_gt_i32_e64 s12, v2
	s_cbranch_execz .LBB66_717
; %bb.1:
	s_clause 0x1
	s_load_b128 s[4:7], s[0:1], 0x8
	s_load_b128 s[8:11], s[0:1], 0x50
	v_ashrrev_i32_e32 v2, 31, v1
	v_mov_b32_e32 v3, 0
	v_mov_b32_e32 v4, 0
	scratch_store_b64 off, v[1:2], off offset:72 ; 8-byte Folded Spill
	v_lshlrev_b64 v[1:2], 3, v[1:2]
	scratch_store_b64 off, v[3:4], off offset:32 ; 8-byte Folded Spill
	s_waitcnt lgkmcnt(0)
	v_add_co_u32 v1, vcc_lo, s4, v1
	v_add_co_ci_u32_e32 v2, vcc_lo, s5, v2, vcc_lo
	s_cmp_eq_u64 s[8:9], 0
	s_cselect_b32 s4, -1, 0
	global_load_b64 v[1:2], v[1:2], off
	s_and_b32 vcc_lo, exec_lo, s4
	s_cbranch_vccnz .LBB66_3
; %bb.2:
	scratch_load_b64 v[7:8], off, off offset:72 ; 8-byte Folded Reload
	s_waitcnt vmcnt(0)
	v_mul_lo_u32 v5, v8, s10
	v_mul_lo_u32 v6, v7, s11
	v_mad_u64_u32 v[3:4], null, v7, s10, 0
	s_delay_alu instid0(VALU_DEP_1) | instskip(NEXT) | instid1(VALU_DEP_1)
	v_add3_u32 v4, v4, v6, v5
	v_lshlrev_b64 v[3:4], 2, v[3:4]
	s_delay_alu instid0(VALU_DEP_1) | instskip(NEXT) | instid1(VALU_DEP_2)
	v_add_co_u32 v3, vcc_lo, s8, v3
	v_add_co_ci_u32_e32 v4, vcc_lo, s9, v4, vcc_lo
	scratch_store_b64 off, v[3:4], off offset:32 ; 8-byte Folded Spill
.LBB66_3:
	s_clause 0x1
	s_load_b32 s8, s[0:1], 0x18
	s_load_b32 s5, s[0:1], 0x0
	v_and_b32_e32 v172, 0x3ff, v0
	s_lshl_b64 s[2:3], s[6:7], 4
	s_waitcnt vmcnt(0)
	v_add_co_u32 v177, vcc_lo, v1, s2
	s_delay_alu instid0(VALU_DEP_2) | instskip(SKIP_1) | instid1(VALU_DEP_2)
	v_lshlrev_b32_e32 v137, 4, v172
	v_add_co_ci_u32_e32 v173, vcc_lo, s3, v2, vcc_lo
	v_add_co_u32 v2, vcc_lo, v177, v137
	s_delay_alu instid0(VALU_DEP_2)
	v_add_co_ci_u32_e32 v3, vcc_lo, 0, v173, vcc_lo
	s_waitcnt lgkmcnt(0)
	s_ashr_i32 s9, s8, 31
	v_add3_u32 v0, s8, s8, v172
	s_lshl_b64 s[10:11], s[8:9], 4
	s_max_i32 s2, s5, 34
	v_add_co_u32 v6, vcc_lo, v2, s10
	v_add_co_ci_u32_e32 v7, vcc_lo, s11, v3, vcc_lo
	v_ashrrev_i32_e32 v1, 31, v0
	v_add_nc_u32_e32 v4, s8, v0
	s_clause 0x1
	global_load_b128 v[50:53], v[2:3], off
	global_load_b128 v[9:12], v[6:7], off
	v_mul_lo_u32 v48, s2, v136
	s_cmp_lt_i32 s5, 2
	v_lshlrev_b64 v[0:1], 4, v[0:1]
	v_ashrrev_i32_e32 v5, 31, v4
	v_add_nc_u32_e32 v8, s8, v4
	s_delay_alu instid0(VALU_DEP_3) | instskip(NEXT) | instid1(VALU_DEP_4)
	v_add_co_u32 v0, vcc_lo, v177, v0
	v_add_co_ci_u32_e32 v1, vcc_lo, v173, v1, vcc_lo
	s_delay_alu instid0(VALU_DEP_4) | instskip(NEXT) | instid1(VALU_DEP_4)
	v_lshlrev_b64 v[2:3], 4, v[4:5]
	v_add_nc_u32_e32 v4, s8, v8
	v_lshl_add_u32 v176, v48, 4, 0
	v_lshlrev_b32_e32 v174, 4, v48
	s_delay_alu instid0(VALU_DEP_3)
	v_ashrrev_i32_e32 v5, 31, v4
	v_add_co_u32 v2, vcc_lo, v177, v2
	v_add_co_ci_u32_e32 v3, vcc_lo, v173, v3, vcc_lo
	global_load_b128 v[108:111], v[2:3], off
	s_waitcnt vmcnt(1)
	scratch_store_b128 off, v[9:12], off offset:40 ; 16-byte Folded Spill
	global_load_b128 v[11:14], v[0:1], off
	v_ashrrev_i32_e32 v9, 31, v8
	s_delay_alu instid0(VALU_DEP_1) | instskip(SKIP_2) | instid1(VALU_DEP_2)
	v_lshlrev_b64 v[6:7], 4, v[8:9]
	v_add_nc_u32_e32 v8, s8, v4
	v_lshlrev_b64 v[4:5], 4, v[4:5]
	v_add_nc_u32_e32 v10, s8, v8
	v_ashrrev_i32_e32 v9, 31, v8
	v_add_co_u32 v0, vcc_lo, v177, v6
	v_add_co_ci_u32_e32 v1, vcc_lo, v173, v7, vcc_lo
	s_delay_alu instid0(VALU_DEP_4) | instskip(NEXT) | instid1(VALU_DEP_4)
	v_add_nc_u32_e32 v6, s8, v10
	v_lshlrev_b64 v[2:3], 4, v[8:9]
	v_add_co_u32 v4, vcc_lo, v177, v4
	v_add_co_ci_u32_e32 v5, vcc_lo, v173, v5, vcc_lo
	s_delay_alu instid0(VALU_DEP_4)
	v_ashrrev_i32_e32 v7, 31, v6
	s_waitcnt vmcnt(0)
	scratch_store_b128 off, v[11:14], off offset:16 ; 16-byte Folded Spill
	v_ashrrev_i32_e32 v11, 31, v10
	s_clause 0x1
	global_load_b128 v[132:135], v[0:1], off
	global_load_b128 v[247:250], v[4:5], off
	v_add_co_u32 v0, vcc_lo, v177, v2
	v_add_co_ci_u32_e32 v1, vcc_lo, v173, v3, vcc_lo
	v_lshlrev_b64 v[8:9], 4, v[10:11]
	v_add_nc_u32_e32 v10, s8, v6
	v_lshlrev_b64 v[2:3], 4, v[6:7]
	s_delay_alu instid0(VALU_DEP_2) | instskip(SKIP_3) | instid1(VALU_DEP_4)
	v_ashrrev_i32_e32 v11, 31, v10
	v_add_nc_u32_e32 v4, s8, v10
	v_add_co_u32 v6, vcc_lo, v177, v8
	v_add_co_ci_u32_e32 v7, vcc_lo, v173, v9, vcc_lo
	v_lshlrev_b64 v[8:9], 4, v[10:11]
	s_delay_alu instid0(VALU_DEP_4)
	v_ashrrev_i32_e32 v5, 31, v4
	v_add_nc_u32_e32 v10, s8, v4
	s_clause 0x1
	global_load_b128 v[120:123], v[0:1], off
	global_load_b128 v[88:91], v[6:7], off
	v_add_co_u32 v0, vcc_lo, v177, v2
	v_add_co_ci_u32_e32 v1, vcc_lo, v173, v3, vcc_lo
	v_lshlrev_b64 v[2:3], 4, v[4:5]
	v_ashrrev_i32_e32 v11, 31, v10
	v_add_nc_u32_e32 v4, s8, v10
	v_add_co_u32 v6, vcc_lo, v177, v8
	v_add_co_ci_u32_e32 v7, vcc_lo, v173, v9, vcc_lo
	s_delay_alu instid0(VALU_DEP_4) | instskip(NEXT) | instid1(VALU_DEP_4)
	v_lshlrev_b64 v[8:9], 4, v[10:11]
	v_add_nc_u32_e32 v10, s8, v4
	v_ashrrev_i32_e32 v5, 31, v4
	v_add_co_u32 v2, vcc_lo, v177, v2
	v_add_co_ci_u32_e32 v3, vcc_lo, v173, v3, vcc_lo
	s_delay_alu instid0(VALU_DEP_4) | instskip(SKIP_3) | instid1(VALU_DEP_4)
	v_add_nc_u32_e32 v12, s8, v10
	v_ashrrev_i32_e32 v11, 31, v10
	v_lshlrev_b64 v[4:5], 4, v[4:5]
	v_add_co_u32 v8, vcc_lo, v177, v8
	v_add_nc_u32_e32 v14, s8, v12
	v_ashrrev_i32_e32 v13, 31, v12
	v_lshlrev_b64 v[10:11], 4, v[10:11]
	v_add_co_ci_u32_e32 v9, vcc_lo, v173, v9, vcc_lo
	s_delay_alu instid0(VALU_DEP_4) | instskip(SKIP_3) | instid1(VALU_DEP_4)
	v_add_nc_u32_e32 v16, s8, v14
	v_ashrrev_i32_e32 v15, 31, v14
	v_add_co_u32 v4, vcc_lo, v177, v4
	v_lshlrev_b64 v[12:13], 4, v[12:13]
	v_add_nc_u32_e32 v18, s8, v16
	v_ashrrev_i32_e32 v17, 31, v16
	v_add_co_ci_u32_e32 v5, vcc_lo, v173, v5, vcc_lo
	v_add_co_u32 v10, vcc_lo, v177, v10
	s_delay_alu instid0(VALU_DEP_4) | instskip(SKIP_3) | instid1(VALU_DEP_4)
	v_add_nc_u32_e32 v20, s8, v18
	v_lshlrev_b64 v[14:15], 4, v[14:15]
	v_ashrrev_i32_e32 v19, 31, v18
	v_add_co_ci_u32_e32 v11, vcc_lo, v173, v11, vcc_lo
	v_add_nc_u32_e32 v22, s8, v20
	v_add_co_u32 v12, vcc_lo, v177, v12
	v_lshlrev_b64 v[16:17], 4, v[16:17]
	v_ashrrev_i32_e32 v21, 31, v20
	s_delay_alu instid0(VALU_DEP_4) | instskip(SKIP_2) | instid1(VALU_DEP_3)
	v_add_nc_u32_e32 v24, s8, v22
	v_add_co_ci_u32_e32 v13, vcc_lo, v173, v13, vcc_lo
	v_add_co_u32 v14, vcc_lo, v177, v14
	v_add_nc_u32_e32 v26, s8, v24
	v_lshlrev_b64 v[18:19], 4, v[18:19]
	v_ashrrev_i32_e32 v23, 31, v22
	v_add_co_ci_u32_e32 v15, vcc_lo, v173, v15, vcc_lo
	s_delay_alu instid0(VALU_DEP_4) | instskip(SKIP_3) | instid1(VALU_DEP_4)
	v_add_nc_u32_e32 v28, s8, v26
	v_add_co_u32 v16, vcc_lo, v177, v16
	v_lshlrev_b64 v[20:21], 4, v[20:21]
	v_ashrrev_i32_e32 v25, 31, v24
	v_add_nc_u32_e32 v30, s8, v28
	v_add_co_ci_u32_e32 v17, vcc_lo, v173, v17, vcc_lo
	v_add_co_u32 v18, vcc_lo, v177, v18
	s_delay_alu instid0(VALU_DEP_3)
	v_add_nc_u32_e32 v32, s8, v30
	v_lshlrev_b64 v[22:23], 4, v[22:23]
	v_ashrrev_i32_e32 v27, 31, v26
	v_add_co_ci_u32_e32 v19, vcc_lo, v173, v19, vcc_lo
	v_add_co_u32 v20, vcc_lo, v177, v20
	v_lshlrev_b64 v[24:25], 4, v[24:25]
	v_ashrrev_i32_e32 v29, 31, v28
	v_add_nc_u32_e32 v34, s8, v32
	v_add_co_ci_u32_e32 v21, vcc_lo, v173, v21, vcc_lo
	v_add_co_u32 v22, vcc_lo, v177, v22
	v_lshlrev_b64 v[26:27], 4, v[26:27]
	v_ashrrev_i32_e32 v31, 31, v30
	v_add_co_ci_u32_e32 v23, vcc_lo, v173, v23, vcc_lo
	v_add_co_u32 v24, vcc_lo, v177, v24
	v_lshlrev_b64 v[28:29], 4, v[28:29]
	v_add_nc_u32_e32 v36, s8, v34
	v_ashrrev_i32_e32 v33, 31, v32
	v_add_co_ci_u32_e32 v25, vcc_lo, v173, v25, vcc_lo
	v_add_co_u32 v26, vcc_lo, v177, v26
	v_lshlrev_b64 v[30:31], 4, v[30:31]
	v_ashrrev_i32_e32 v35, 31, v34
	v_add_co_ci_u32_e32 v27, vcc_lo, v173, v27, vcc_lo
	v_add_nc_u32_e32 v38, s8, v36
	v_add_co_u32 v28, vcc_lo, v177, v28
	v_lshlrev_b64 v[32:33], 4, v[32:33]
	v_ashrrev_i32_e32 v37, 31, v36
	v_add_co_ci_u32_e32 v29, vcc_lo, v173, v29, vcc_lo
	v_add_co_u32 v30, vcc_lo, v177, v30
	v_lshlrev_b64 v[34:35], 4, v[34:35]
	v_add_nc_u32_e32 v40, s8, v38
	v_add_co_ci_u32_e32 v31, vcc_lo, v173, v31, vcc_lo
	v_add_co_u32 v32, vcc_lo, v177, v32
	v_lshlrev_b64 v[36:37], 4, v[36:37]
	v_ashrrev_i32_e32 v39, 31, v38
	v_add_co_ci_u32_e32 v33, vcc_lo, v173, v33, vcc_lo
	v_add_co_u32 v34, vcc_lo, v177, v34
	v_ashrrev_i32_e32 v41, 31, v40
	v_add_nc_u32_e32 v42, s8, v40
	v_add_co_ci_u32_e32 v35, vcc_lo, v173, v35, vcc_lo
	v_lshlrev_b64 v[38:39], 4, v[38:39]
	v_add_co_u32 v138, vcc_lo, v177, v36
	v_add_co_ci_u32_e32 v139, vcc_lo, v173, v37, vcc_lo
	v_lshlrev_b64 v[36:37], 4, v[40:41]
	v_ashrrev_i32_e32 v43, 31, v42
	v_add_nc_u32_e32 v40, s8, v42
	v_add_co_u32 v144, vcc_lo, v177, v38
	v_add_co_ci_u32_e32 v145, vcc_lo, v173, v39, vcc_lo
	s_delay_alu instid0(VALU_DEP_4) | instskip(NEXT) | instid1(VALU_DEP_4)
	v_lshlrev_b64 v[38:39], 4, v[42:43]
	v_ashrrev_i32_e32 v41, 31, v40
	v_add_nc_u32_e32 v42, s8, v40
	v_add_co_u32 v146, vcc_lo, v177, v36
	v_add_co_ci_u32_e32 v147, vcc_lo, v173, v37, vcc_lo
	s_delay_alu instid0(VALU_DEP_4) | instskip(NEXT) | instid1(VALU_DEP_4)
	;; [unrolled: 6-line block ×3, first 2 shown]
	v_lshlrev_b64 v[38:39], 4, v[42:43]
	v_add_nc_u32_e32 v42, s8, v40
	v_ashrrev_i32_e32 v41, 31, v40
	v_add_co_u32 v150, vcc_lo, v177, v36
	v_add_co_ci_u32_e32 v151, vcc_lo, v173, v37, vcc_lo
	s_delay_alu instid0(VALU_DEP_4) | instskip(NEXT) | instid1(VALU_DEP_4)
	v_ashrrev_i32_e32 v43, 31, v42
	v_lshlrev_b64 v[36:37], 4, v[40:41]
	v_add_co_u32 v152, vcc_lo, v177, v38
	v_add_co_ci_u32_e32 v153, vcc_lo, v173, v39, vcc_lo
	s_delay_alu instid0(VALU_DEP_4) | instskip(NEXT) | instid1(VALU_DEP_4)
	v_lshlrev_b64 v[38:39], 4, v[42:43]
	v_add_co_u32 v154, vcc_lo, v177, v36
	v_add_co_ci_u32_e32 v155, vcc_lo, v173, v37, vcc_lo
	s_delay_alu instid0(VALU_DEP_3) | instskip(NEXT) | instid1(VALU_DEP_4)
	v_add_co_u32 v156, vcc_lo, v177, v38
	v_add_co_ci_u32_e32 v157, vcc_lo, v173, v39, vcc_lo
	s_clause 0x1
	global_load_b128 v[251:254], v[0:1], off
	global_load_b128 v[36:39], v[6:7], off
	s_waitcnt vmcnt(0)
	scratch_store_b128 off, v[36:39], off   ; 16-byte Folded Spill
	s_clause 0x17
	global_load_b128 v[116:119], v[2:3], off
	global_load_b128 v[112:115], v[8:9], off
	;; [unrolled: 1-line block ×24, first 2 shown]
	v_dual_mov_b32 v144, 0 :: v_dual_add_nc_u32 v49, v176, v137
	scratch_store_b128 off, v[50:53], off offset:56 ; 16-byte Folded Spill
	ds_store_2addr_b64 v49, v[50:51], v[52:53] offset1:1
	s_waitcnt vmcnt(0) lgkmcnt(0)
	s_waitcnt_vscnt null, 0x0
	s_barrier
	buffer_gl0_inv
	ds_load_2addr_b64 v[136:139], v176 offset1:1
	s_cbranch_scc1 .LBB66_6
; %bb.4:
	v_add3_u32 v145, v174, 0, 16
	v_mov_b32_e32 v144, 0
	s_mov_b32 s6, 1
	s_set_inst_prefetch_distance 0x1
	.p2align	6
.LBB66_5:                               ; =>This Inner Loop Header: Depth=1
	ds_load_2addr_b64 v[146:149], v145 offset1:1
	s_waitcnt lgkmcnt(1)
	v_cmp_gt_f64_e32 vcc_lo, 0, v[136:137]
	v_xor_b32_e32 v48, 0x80000000, v137
	v_cmp_gt_f64_e64 s2, 0, v[138:139]
	v_xor_b32_e32 v49, 0x80000000, v139
	v_add_nc_u32_e32 v145, 16, v145
	s_waitcnt lgkmcnt(0)
	v_cmp_gt_f64_e64 s3, 0, v[146:147]
	v_mov_b32_e32 v154, v146
	v_dual_mov_b32 v156, v148 :: v_dual_cndmask_b32 v151, v137, v48
	v_xor_b32_e32 v48, 0x80000000, v147
	v_cndmask_b32_e64 v153, v139, v49, s2
	v_xor_b32_e32 v49, 0x80000000, v149
	v_cndmask_b32_e32 v150, v136, v136, vcc_lo
	v_cndmask_b32_e64 v152, v138, v138, s2
	s_delay_alu instid0(VALU_DEP_1) | instskip(SKIP_2) | instid1(VALU_DEP_1)
	v_add_f64 v[150:151], v[150:151], v[152:153]
	v_cndmask_b32_e64 v155, v147, v48, s3
	v_cmp_gt_f64_e64 s3, 0, v[148:149]
	v_cndmask_b32_e64 v157, v149, v49, s3
	s_delay_alu instid0(VALU_DEP_1) | instskip(NEXT) | instid1(VALU_DEP_1)
	v_add_f64 v[154:155], v[154:155], v[156:157]
	v_cmp_lt_f64_e32 vcc_lo, v[150:151], v[154:155]
	v_cndmask_b32_e32 v139, v139, v149, vcc_lo
	v_dual_cndmask_b32 v137, v137, v147 :: v_dual_cndmask_b32 v136, v136, v146
	v_cndmask_b32_e32 v138, v138, v148, vcc_lo
	v_cndmask_b32_e64 v144, v144, s6, vcc_lo
	s_add_i32 s6, s6, 1
	s_delay_alu instid0(SALU_CYCLE_1)
	s_cmp_eq_u32 s5, s6
	s_cbranch_scc0 .LBB66_5
.LBB66_6:
	s_set_inst_prefetch_distance 0x2
	s_waitcnt lgkmcnt(0)
	v_cmp_neq_f64_e32 vcc_lo, 0, v[136:137]
	v_cmp_neq_f64_e64 s2, 0, v[138:139]
	v_dual_mov_b32 v255, 1 :: v_dual_mov_b32 v164, 1
	s_delay_alu instid0(VALU_DEP_2) | instskip(NEXT) | instid1(SALU_CYCLE_1)
	s_or_b32 s2, vcc_lo, s2
	s_and_saveexec_b32 s3, s2
	s_cbranch_execz .LBB66_12
; %bb.7:
	v_cmp_gt_f64_e32 vcc_lo, 0, v[136:137]
	v_cmp_gt_f64_e64 s2, 0, v[138:139]
	v_xor_b32_e32 v48, 0x80000000, v137
	v_xor_b32_e32 v49, 0x80000000, v139
                                        ; implicit-def: $sgpr6
                                        ; implicit-def: $sgpr7
	s_delay_alu instid0(VALU_DEP_2) | instskip(NEXT) | instid1(VALU_DEP_2)
	v_cndmask_b32_e32 v146, v137, v48, vcc_lo
	v_cndmask_b32_e64 v148, v139, v49, s2
	v_cndmask_b32_e32 v145, v136, v136, vcc_lo
	v_cndmask_b32_e64 v147, v138, v138, s2
	s_mov_b32 s2, exec_lo
	s_delay_alu instid0(VALU_DEP_1)
	v_cmpx_ngt_f64_e32 v[145:146], v[147:148]
	s_xor_b32 s2, exec_lo, s2
	s_cbranch_execz .LBB66_9
; %bb.8:
	v_div_scale_f64 v[145:146], null, v[138:139], v[138:139], v[136:137]
	v_div_scale_f64 v[151:152], vcc_lo, v[136:137], v[138:139], v[136:137]
	s_mov_b32 s7, 2
	s_mov_b32 s6, 0
	s_delay_alu instid0(VALU_DEP_2) | instskip(SKIP_2) | instid1(VALU_DEP_1)
	v_rcp_f64_e32 v[147:148], v[145:146]
	s_waitcnt_depctr 0xfff
	v_fma_f64 v[149:150], -v[145:146], v[147:148], 1.0
	v_fma_f64 v[147:148], v[147:148], v[149:150], v[147:148]
	s_delay_alu instid0(VALU_DEP_1) | instskip(NEXT) | instid1(VALU_DEP_1)
	v_fma_f64 v[149:150], -v[145:146], v[147:148], 1.0
	v_fma_f64 v[147:148], v[147:148], v[149:150], v[147:148]
	s_delay_alu instid0(VALU_DEP_1) | instskip(NEXT) | instid1(VALU_DEP_1)
	v_mul_f64 v[149:150], v[151:152], v[147:148]
	v_fma_f64 v[145:146], -v[145:146], v[149:150], v[151:152]
	s_delay_alu instid0(VALU_DEP_1) | instskip(NEXT) | instid1(VALU_DEP_1)
	v_div_fmas_f64 v[145:146], v[145:146], v[147:148], v[149:150]
	v_div_fixup_f64 v[145:146], v[145:146], v[138:139], v[136:137]
	s_delay_alu instid0(VALU_DEP_1) | instskip(NEXT) | instid1(VALU_DEP_1)
	v_fma_f64 v[136:137], v[136:137], v[145:146], v[138:139]
	v_div_scale_f64 v[138:139], null, v[136:137], v[136:137], 1.0
	s_delay_alu instid0(VALU_DEP_1) | instskip(SKIP_2) | instid1(VALU_DEP_1)
	v_rcp_f64_e32 v[147:148], v[138:139]
	s_waitcnt_depctr 0xfff
	v_fma_f64 v[149:150], -v[138:139], v[147:148], 1.0
	v_fma_f64 v[147:148], v[147:148], v[149:150], v[147:148]
	s_delay_alu instid0(VALU_DEP_1) | instskip(NEXT) | instid1(VALU_DEP_1)
	v_fma_f64 v[149:150], -v[138:139], v[147:148], 1.0
	v_fma_f64 v[147:148], v[147:148], v[149:150], v[147:148]
	v_div_scale_f64 v[149:150], vcc_lo, 1.0, v[136:137], 1.0
	s_delay_alu instid0(VALU_DEP_1) | instskip(NEXT) | instid1(VALU_DEP_1)
	v_mul_f64 v[151:152], v[149:150], v[147:148]
	v_fma_f64 v[138:139], -v[138:139], v[151:152], v[149:150]
	s_delay_alu instid0(VALU_DEP_1) | instskip(NEXT) | instid1(VALU_DEP_1)
	v_div_fmas_f64 v[138:139], v[138:139], v[147:148], v[151:152]
	v_div_fixup_f64 v[138:139], v[138:139], v[136:137], 1.0
	s_delay_alu instid0(VALU_DEP_1)
	v_mul_f64 v[136:137], v[145:146], v[138:139]
	v_xor_b32_e32 v139, 0x80000000, v139
.LBB66_9:
	s_or_saveexec_b32 s2, s2
	v_dual_mov_b32 v164, s6 :: v_dual_mov_b32 v255, s7
	s_xor_b32 exec_lo, exec_lo, s2
	s_cbranch_execz .LBB66_11
; %bb.10:
	s_delay_alu instid0(VALU_DEP_3) | instskip(SKIP_2) | instid1(VALU_DEP_3)
	v_div_scale_f64 v[145:146], null, v[136:137], v[136:137], v[138:139]
	v_div_scale_f64 v[151:152], vcc_lo, v[138:139], v[136:137], v[138:139]
	v_dual_mov_b32 v164, 0 :: v_dual_mov_b32 v255, 2
	v_rcp_f64_e32 v[147:148], v[145:146]
	s_waitcnt_depctr 0xfff
	v_fma_f64 v[149:150], -v[145:146], v[147:148], 1.0
	s_delay_alu instid0(VALU_DEP_1) | instskip(NEXT) | instid1(VALU_DEP_1)
	v_fma_f64 v[147:148], v[147:148], v[149:150], v[147:148]
	v_fma_f64 v[149:150], -v[145:146], v[147:148], 1.0
	s_delay_alu instid0(VALU_DEP_1) | instskip(NEXT) | instid1(VALU_DEP_1)
	v_fma_f64 v[147:148], v[147:148], v[149:150], v[147:148]
	v_mul_f64 v[149:150], v[151:152], v[147:148]
	s_delay_alu instid0(VALU_DEP_1) | instskip(NEXT) | instid1(VALU_DEP_1)
	v_fma_f64 v[145:146], -v[145:146], v[149:150], v[151:152]
	v_div_fmas_f64 v[145:146], v[145:146], v[147:148], v[149:150]
	s_delay_alu instid0(VALU_DEP_1) | instskip(NEXT) | instid1(VALU_DEP_1)
	v_div_fixup_f64 v[145:146], v[145:146], v[136:137], v[138:139]
	v_fma_f64 v[136:137], v[138:139], v[145:146], v[136:137]
	s_delay_alu instid0(VALU_DEP_1) | instskip(NEXT) | instid1(VALU_DEP_1)
	v_div_scale_f64 v[138:139], null, v[136:137], v[136:137], 1.0
	v_rcp_f64_e32 v[147:148], v[138:139]
	s_waitcnt_depctr 0xfff
	v_fma_f64 v[149:150], -v[138:139], v[147:148], 1.0
	s_delay_alu instid0(VALU_DEP_1) | instskip(NEXT) | instid1(VALU_DEP_1)
	v_fma_f64 v[147:148], v[147:148], v[149:150], v[147:148]
	v_fma_f64 v[149:150], -v[138:139], v[147:148], 1.0
	s_delay_alu instid0(VALU_DEP_1) | instskip(SKIP_1) | instid1(VALU_DEP_1)
	v_fma_f64 v[147:148], v[147:148], v[149:150], v[147:148]
	v_div_scale_f64 v[149:150], vcc_lo, 1.0, v[136:137], 1.0
	v_mul_f64 v[151:152], v[149:150], v[147:148]
	s_delay_alu instid0(VALU_DEP_1) | instskip(NEXT) | instid1(VALU_DEP_1)
	v_fma_f64 v[138:139], -v[138:139], v[151:152], v[149:150]
	v_div_fmas_f64 v[138:139], v[138:139], v[147:148], v[151:152]
	s_delay_alu instid0(VALU_DEP_1) | instskip(NEXT) | instid1(VALU_DEP_1)
	v_div_fixup_f64 v[136:137], v[138:139], v[136:137], 1.0
	v_mul_f64 v[138:139], v[145:146], -v[136:137]
.LBB66_11:
	s_or_b32 exec_lo, exec_lo, s2
.LBB66_12:
	s_delay_alu instid0(SALU_CYCLE_1) | instskip(NEXT) | instid1(SALU_CYCLE_1)
	s_or_b32 exec_lo, exec_lo, s3
	s_mov_b32 s2, exec_lo
	v_cmpx_ne_u32_e64 v172, v144
	s_xor_b32 s2, exec_lo, s2
	s_cbranch_execz .LBB66_18
; %bb.13:
	s_mov_b32 s3, exec_lo
	v_cmpx_eq_u32_e32 0, v172
	s_cbranch_execz .LBB66_17
; %bb.14:
	v_cmp_ne_u32_e32 vcc_lo, 0, v144
	s_xor_b32 s6, s4, -1
	s_delay_alu instid0(SALU_CYCLE_1) | instskip(NEXT) | instid1(SALU_CYCLE_1)
	s_and_b32 s7, s6, vcc_lo
	s_and_saveexec_b32 s6, s7
	s_cbranch_execz .LBB66_16
; %bb.15:
	scratch_load_b64 v[50:51], off, off offset:32 ; 8-byte Folded Reload
	v_ashrrev_i32_e32 v145, 31, v144
	s_delay_alu instid0(VALU_DEP_1) | instskip(SKIP_1) | instid1(VALU_DEP_1)
	v_lshlrev_b64 v[145:146], 2, v[144:145]
	s_waitcnt vmcnt(0)
	v_add_co_u32 v145, vcc_lo, v50, v145
	s_delay_alu instid0(VALU_DEP_2)
	v_add_co_ci_u32_e32 v146, vcc_lo, v51, v146, vcc_lo
	s_clause 0x1
	flat_load_b32 v48, v[145:146]
	flat_load_b32 v49, v[50:51]
	s_waitcnt vmcnt(1) lgkmcnt(1)
	flat_store_b32 v[50:51], v48
	s_waitcnt vmcnt(0) lgkmcnt(1)
	flat_store_b32 v[145:146], v49
.LBB66_16:
	s_or_b32 exec_lo, exec_lo, s6
	v_mov_b32_e32 v172, v144
.LBB66_17:
	s_or_b32 exec_lo, exec_lo, s3
.LBB66_18:
	s_or_saveexec_b32 s2, s2
	s_delay_alu instid0(VALU_DEP_1)
	v_mov_b32_e32 v178, v172
	s_xor_b32 exec_lo, exec_lo, s2
	s_cbranch_execz .LBB66_20
; %bb.19:
	s_clause 0x1
	scratch_load_b128 v[48:51], off, off offset:40
	scratch_load_b128 v[0:3], off, off offset:16
	v_mov_b32_e32 v178, 0
	s_waitcnt vmcnt(1)
	ds_store_2addr_b64 v176, v[48:49], v[50:51] offset0:2 offset1:3
	s_waitcnt vmcnt(0)
	ds_store_2addr_b64 v176, v[0:1], v[2:3] offset0:4 offset1:5
	ds_store_2addr_b64 v176, v[108:109], v[110:111] offset0:6 offset1:7
	;; [unrolled: 1-line block ×7, first 2 shown]
	scratch_load_b128 v[0:3], off, off      ; 16-byte Folded Reload
	s_waitcnt vmcnt(0)
	ds_store_2addr_b64 v176, v[0:1], v[2:3] offset0:18 offset1:19
	ds_store_2addr_b64 v176, v[116:117], v[118:119] offset0:20 offset1:21
	;; [unrolled: 1-line block ×25, first 2 shown]
.LBB66_20:
	s_or_b32 exec_lo, exec_lo, s2
	s_delay_alu instid0(VALU_DEP_1)
	v_cmp_lt_i32_e32 vcc_lo, 0, v178
	s_waitcnt lgkmcnt(0)
	s_waitcnt_vscnt null, 0x0
	s_barrier
	buffer_gl0_inv
	s_mov_b32 s2, exec_lo
	s_delay_alu instid0(SALU_CYCLE_1)
	s_and_b32 s3, s2, vcc_lo
	scratch_store_b32 off, v174, off offset:80 ; 4-byte Folded Spill
	s_mov_b32 exec_lo, s3
	s_cbranch_execz .LBB66_22
; %bb.21:
	v_dual_mov_b32 v186, v111 :: v_dual_mov_b32 v185, v110
	v_dual_mov_b32 v184, v109 :: v_dual_mov_b32 v183, v108
	scratch_load_b128 v[108:111], off, off offset:56 ; 16-byte Folded Reload
	v_dual_mov_b32 v100, v243 :: v_dual_mov_b32 v101, v244
	v_dual_mov_b32 v102, v245 :: v_dual_mov_b32 v103, v246
	s_waitcnt vmcnt(0)
	v_mul_f64 v[54:55], v[136:137], v[110:111]
	v_mul_f64 v[144:145], v[138:139], v[110:111]
	s_delay_alu instid0(VALU_DEP_2) | instskip(NEXT) | instid1(VALU_DEP_2)
	v_fma_f64 v[110:111], v[138:139], v[108:109], v[54:55]
	v_fma_f64 v[144:145], v[136:137], v[108:109], -v[144:145]
	ds_load_2addr_b64 v[136:139], v176 offset0:2 offset1:3
	ds_load_2addr_b64 v[146:149], v176 offset0:4 offset1:5
	s_waitcnt lgkmcnt(1)
	v_mul_f64 v[52:53], v[138:139], v[110:111]
	s_delay_alu instid0(VALU_DEP_1)
	v_fma_f64 v[0:1], v[136:137], v[144:145], -v[52:53]
	v_mul_f64 v[136:137], v[136:137], v[110:111]
	scratch_store_b64 off, v[0:1], off offset:56 ; 8-byte Folded Spill
	v_fma_f64 v[0:1], v[138:139], v[144:145], v[136:137]
	s_waitcnt lgkmcnt(0)
	v_mul_f64 v[138:139], v[148:149], v[110:111]
	scratch_store_b64 off, v[0:1], off offset:84 ; 8-byte Folded Spill
	v_fma_f64 v[0:1], v[146:147], v[144:145], -v[138:139]
	v_mul_f64 v[146:147], v[146:147], v[110:111]
	scratch_store_b64 off, v[0:1], off offset:92 ; 8-byte Folded Spill
	v_fma_f64 v[0:1], v[148:149], v[144:145], v[146:147]
	scratch_store_b64 off, v[0:1], off offset:100 ; 8-byte Folded Spill
	ds_load_2addr_b64 v[150:153], v176 offset0:6 offset1:7
	ds_load_2addr_b64 v[154:157], v176 offset0:8 offset1:9
	s_waitcnt lgkmcnt(1)
	v_mul_f64 v[148:149], v[152:153], v[110:111]
	s_delay_alu instid0(VALU_DEP_1)
	v_fma_f64 v[0:1], v[150:151], v[144:145], -v[148:149]
	v_mul_f64 v[150:151], v[150:151], v[110:111]
	scratch_store_b64 off, v[0:1], off offset:108 ; 8-byte Folded Spill
	v_fma_f64 v[0:1], v[152:153], v[144:145], v[150:151]
	s_waitcnt lgkmcnt(0)
	v_mul_f64 v[152:153], v[156:157], v[110:111]
	scratch_store_b64 off, v[0:1], off offset:116 ; 8-byte Folded Spill
	v_fma_f64 v[0:1], v[154:155], v[144:145], -v[152:153]
	v_mul_f64 v[154:155], v[154:155], v[110:111]
	scratch_store_b64 off, v[0:1], off offset:124 ; 8-byte Folded Spill
	v_fma_f64 v[0:1], v[156:157], v[144:145], v[154:155]
	scratch_store_b64 off, v[0:1], off offset:132 ; 8-byte Folded Spill
	ds_load_2addr_b64 v[158:161], v176 offset0:10 offset1:11
	ds_load_2addr_b64 v[165:168], v176 offset0:12 offset1:13
	s_waitcnt lgkmcnt(1)
	v_mul_f64 v[156:157], v[160:161], v[110:111]
	s_waitcnt lgkmcnt(0)
	v_mul_f64 v[162:163], v[165:166], v[110:111]
	s_delay_alu instid0(VALU_DEP_2) | instskip(SKIP_1) | instid1(VALU_DEP_3)
	v_fma_f64 v[0:1], v[158:159], v[144:145], -v[156:157]
	v_mul_f64 v[158:159], v[158:159], v[110:111]
	v_fma_f64 v[162:163], v[167:168], v[144:145], v[162:163]
	v_dual_mov_b32 v154, v251 :: v_dual_mov_b32 v155, v252
	v_dual_mov_b32 v156, v253 :: v_dual_mov_b32 v157, v254
	scratch_store_b64 off, v[0:1], off offset:140 ; 8-byte Folded Spill
	v_fma_f64 v[211:212], v[160:161], v[144:145], v[158:159]
	v_mul_f64 v[160:161], v[167:168], v[110:111]
	v_dual_mov_b32 v0, v4 :: v_dual_mov_b32 v1, v5
	v_dual_mov_b32 v2, v6 :: v_dual_mov_b32 v3, v7
	;; [unrolled: 1-line block ×19, first 2 shown]
	v_fma_f64 v[160:161], v[165:166], v[144:145], -v[160:161]
	ds_load_2addr_b64 v[165:168], v176 offset0:14 offset1:15
	ds_load_2addr_b64 v[179:182], v176 offset0:16 offset1:17
	v_dual_mov_b32 v38, v42 :: v_dual_mov_b32 v39, v43
	v_dual_mov_b32 v40, v44 :: v_dual_mov_b32 v41, v45
	;; [unrolled: 1-line block ×9, first 2 shown]
	s_waitcnt lgkmcnt(1)
	v_mul_f64 v[169:170], v[167:168], v[110:111]
	v_dual_mov_b32 v64, v68 :: v_dual_mov_b32 v65, v69
	v_dual_mov_b32 v66, v70 :: v_dual_mov_b32 v67, v71
	v_add_f64 v[249:250], v[249:250], -v[211:212]
	v_add_f64 v[122:123], v[122:123], -v[162:163]
	;; [unrolled: 1-line block ×3, first 2 shown]
	v_fma_f64 v[169:170], v[165:166], v[144:145], -v[169:170]
	v_mul_f64 v[165:166], v[165:166], v[110:111]
	s_delay_alu instid0(VALU_DEP_2) | instskip(NEXT) | instid1(VALU_DEP_2)
	v_add_f64 v[88:89], v[88:89], -v[169:170]
	v_fma_f64 v[158:159], v[167:168], v[144:145], v[165:166]
	s_waitcnt lgkmcnt(0)
	v_mul_f64 v[165:166], v[181:182], v[110:111]
	s_delay_alu instid0(VALU_DEP_2) | instskip(NEXT) | instid1(VALU_DEP_2)
	v_add_f64 v[90:91], v[90:91], -v[158:159]
	v_fma_f64 v[152:153], v[179:180], v[144:145], -v[165:166]
	v_mul_f64 v[165:166], v[179:180], v[110:111]
	s_delay_alu instid0(VALU_DEP_2) | instskip(NEXT) | instid1(VALU_DEP_2)
	v_add_f64 v[154:155], v[154:155], -v[152:153]
	v_fma_f64 v[187:188], v[181:182], v[144:145], v[165:166]
	ds_load_2addr_b64 v[165:168], v176 offset0:18 offset1:19
	ds_load_2addr_b64 v[179:182], v176 offset0:20 offset1:21
	s_waitcnt lgkmcnt(1)
	v_mul_f64 v[189:190], v[167:168], v[110:111]
	v_add_f64 v[156:157], v[156:157], -v[187:188]
	s_delay_alu instid0(VALU_DEP_2) | instskip(SKIP_1) | instid1(VALU_DEP_1)
	v_fma_f64 v[189:190], v[165:166], v[144:145], -v[189:190]
	v_mul_f64 v[165:166], v[165:166], v[110:111]
	v_fma_f64 v[191:192], v[167:168], v[144:145], v[165:166]
	s_waitcnt lgkmcnt(0)
	v_mul_f64 v[165:166], v[181:182], v[110:111]
	s_delay_alu instid0(VALU_DEP_1) | instskip(SKIP_1) | instid1(VALU_DEP_2)
	v_fma_f64 v[193:194], v[179:180], v[144:145], -v[165:166]
	v_mul_f64 v[165:166], v[179:180], v[110:111]
	v_add_f64 v[116:117], v[116:117], -v[193:194]
	s_delay_alu instid0(VALU_DEP_2)
	v_fma_f64 v[195:196], v[181:182], v[144:145], v[165:166]
	ds_load_2addr_b64 v[165:168], v176 offset0:22 offset1:23
	ds_load_2addr_b64 v[179:182], v176 offset0:24 offset1:25
	s_waitcnt lgkmcnt(1)
	v_mul_f64 v[197:198], v[167:168], v[110:111]
	v_add_f64 v[118:119], v[118:119], -v[195:196]
	s_delay_alu instid0(VALU_DEP_2) | instskip(SKIP_1) | instid1(VALU_DEP_2)
	v_fma_f64 v[197:198], v[165:166], v[144:145], -v[197:198]
	v_mul_f64 v[165:166], v[165:166], v[110:111]
	v_add_f64 v[112:113], v[112:113], -v[197:198]
	s_delay_alu instid0(VALU_DEP_2) | instskip(SKIP_2) | instid1(VALU_DEP_2)
	v_fma_f64 v[199:200], v[167:168], v[144:145], v[165:166]
	s_waitcnt lgkmcnt(0)
	v_mul_f64 v[165:166], v[181:182], v[110:111]
	v_add_f64 v[114:115], v[114:115], -v[199:200]
	s_delay_alu instid0(VALU_DEP_2) | instskip(SKIP_1) | instid1(VALU_DEP_2)
	v_fma_f64 v[201:202], v[179:180], v[144:145], -v[165:166]
	v_mul_f64 v[165:166], v[179:180], v[110:111]
	v_add_f64 v[96:97], v[96:97], -v[201:202]
	s_delay_alu instid0(VALU_DEP_2)
	v_fma_f64 v[203:204], v[181:182], v[144:145], v[165:166]
	ds_load_2addr_b64 v[165:168], v176 offset0:26 offset1:27
	ds_load_2addr_b64 v[179:182], v176 offset0:28 offset1:29
	s_waitcnt lgkmcnt(1)
	v_mul_f64 v[205:206], v[167:168], v[110:111]
	v_add_f64 v[98:99], v[98:99], -v[203:204]
	s_delay_alu instid0(VALU_DEP_2) | instskip(SKIP_1) | instid1(VALU_DEP_2)
	v_fma_f64 v[205:206], v[165:166], v[144:145], -v[205:206]
	v_mul_f64 v[165:166], v[165:166], v[110:111]
	v_add_f64 v[92:93], v[92:93], -v[205:206]
	s_delay_alu instid0(VALU_DEP_2) | instskip(SKIP_2) | instid1(VALU_DEP_2)
	v_fma_f64 v[146:147], v[167:168], v[144:145], v[165:166]
	s_waitcnt lgkmcnt(0)
	v_mul_f64 v[165:166], v[181:182], v[110:111]
	v_add_f64 v[94:95], v[94:95], -v[146:147]
	s_delay_alu instid0(VALU_DEP_2) | instskip(SKIP_1) | instid1(VALU_DEP_2)
	v_fma_f64 v[136:137], v[179:180], v[144:145], -v[165:166]
	v_mul_f64 v[165:166], v[179:180], v[110:111]
	v_add_f64 v[84:85], v[84:85], -v[136:137]
	s_delay_alu instid0(VALU_DEP_2)
	v_fma_f64 v[108:109], v[181:182], v[144:145], v[165:166]
	ds_load_2addr_b64 v[165:168], v176 offset0:30 offset1:31
	ds_load_2addr_b64 v[179:182], v176 offset0:32 offset1:33
	s_waitcnt lgkmcnt(1)
	v_mul_f64 v[213:214], v[167:168], v[110:111]
	v_add_f64 v[86:87], v[86:87], -v[108:109]
	v_dual_mov_b32 v108, v144 :: v_dual_mov_b32 v109, v145
	s_delay_alu instid0(VALU_DEP_3) | instskip(SKIP_1) | instid1(VALU_DEP_2)
	v_fma_f64 v[213:214], v[165:166], v[144:145], -v[213:214]
	v_mul_f64 v[165:166], v[165:166], v[110:111]
	v_add_f64 v[80:81], v[80:81], -v[213:214]
	s_delay_alu instid0(VALU_DEP_2) | instskip(SKIP_2) | instid1(VALU_DEP_2)
	v_fma_f64 v[215:216], v[167:168], v[144:145], v[165:166]
	s_waitcnt lgkmcnt(0)
	v_mul_f64 v[165:166], v[181:182], v[110:111]
	v_add_f64 v[82:83], v[82:83], -v[215:216]
	s_delay_alu instid0(VALU_DEP_2) | instskip(SKIP_1) | instid1(VALU_DEP_2)
	v_fma_f64 v[217:218], v[179:180], v[144:145], -v[165:166]
	v_mul_f64 v[165:166], v[179:180], v[110:111]
	v_add_f64 v[76:77], v[76:77], -v[217:218]
	s_delay_alu instid0(VALU_DEP_2)
	v_fma_f64 v[219:220], v[181:182], v[144:145], v[165:166]
	ds_load_2addr_b64 v[165:168], v176 offset0:34 offset1:35
	ds_load_2addr_b64 v[179:182], v176 offset0:36 offset1:37
	s_waitcnt lgkmcnt(1)
	v_mul_f64 v[221:222], v[167:168], v[110:111]
	v_add_f64 v[78:79], v[78:79], -v[219:220]
	s_delay_alu instid0(VALU_DEP_2) | instskip(SKIP_1) | instid1(VALU_DEP_2)
	v_fma_f64 v[221:222], v[165:166], v[144:145], -v[221:222]
	v_mul_f64 v[165:166], v[165:166], v[110:111]
	v_add_f64 v[72:73], v[72:73], -v[221:222]
	s_delay_alu instid0(VALU_DEP_2) | instskip(SKIP_2) | instid1(VALU_DEP_2)
	v_fma_f64 v[223:224], v[167:168], v[144:145], v[165:166]
	s_waitcnt lgkmcnt(0)
	v_mul_f64 v[165:166], v[181:182], v[110:111]
	v_add_f64 v[74:75], v[74:75], -v[223:224]
	s_delay_alu instid0(VALU_DEP_2) | instskip(SKIP_1) | instid1(VALU_DEP_2)
	v_fma_f64 v[225:226], v[179:180], v[144:145], -v[165:166]
	v_mul_f64 v[165:166], v[179:180], v[110:111]
	v_add_f64 v[64:65], v[64:65], -v[225:226]
	s_delay_alu instid0(VALU_DEP_2)
	v_fma_f64 v[227:228], v[181:182], v[144:145], v[165:166]
	ds_load_2addr_b64 v[165:168], v176 offset0:38 offset1:39
	ds_load_2addr_b64 v[179:182], v176 offset0:40 offset1:41
	s_waitcnt lgkmcnt(1)
	v_mul_f64 v[229:230], v[167:168], v[110:111]
	v_add_f64 v[66:67], v[66:67], -v[227:228]
	s_delay_alu instid0(VALU_DEP_2) | instskip(SKIP_1) | instid1(VALU_DEP_2)
	v_fma_f64 v[229:230], v[165:166], v[144:145], -v[229:230]
	v_mul_f64 v[165:166], v[165:166], v[110:111]
	v_add_f64 v[60:61], v[60:61], -v[229:230]
	s_delay_alu instid0(VALU_DEP_2) | instskip(SKIP_2) | instid1(VALU_DEP_2)
	v_fma_f64 v[231:232], v[167:168], v[144:145], v[165:166]
	s_waitcnt lgkmcnt(0)
	v_mul_f64 v[165:166], v[181:182], v[110:111]
	v_add_f64 v[62:63], v[62:63], -v[231:232]
	s_delay_alu instid0(VALU_DEP_2) | instskip(SKIP_1) | instid1(VALU_DEP_2)
	v_fma_f64 v[233:234], v[179:180], v[144:145], -v[165:166]
	v_mul_f64 v[165:166], v[179:180], v[110:111]
	v_add_f64 v[56:57], v[56:57], -v[233:234]
	s_delay_alu instid0(VALU_DEP_2)
	v_fma_f64 v[235:236], v[181:182], v[144:145], v[165:166]
	ds_load_2addr_b64 v[165:168], v176 offset0:42 offset1:43
	ds_load_2addr_b64 v[179:182], v176 offset0:44 offset1:45
	scratch_load_b128 v[68:71], off, off    ; 16-byte Folded Reload
	s_waitcnt lgkmcnt(1)
	v_mul_f64 v[237:238], v[167:168], v[110:111]
	v_add_f64 v[58:59], v[58:59], -v[235:236]
	s_delay_alu instid0(VALU_DEP_2) | instskip(SKIP_1) | instid1(VALU_DEP_2)
	v_fma_f64 v[237:238], v[165:166], v[144:145], -v[237:238]
	v_mul_f64 v[165:166], v[165:166], v[110:111]
	v_add_f64 v[44:45], v[44:45], -v[237:238]
	s_delay_alu instid0(VALU_DEP_2) | instskip(SKIP_2) | instid1(VALU_DEP_2)
	v_fma_f64 v[239:240], v[167:168], v[144:145], v[165:166]
	s_waitcnt lgkmcnt(0)
	v_mul_f64 v[165:166], v[181:182], v[110:111]
	v_add_f64 v[46:47], v[46:47], -v[239:240]
	s_delay_alu instid0(VALU_DEP_2) | instskip(SKIP_1) | instid1(VALU_DEP_2)
	v_fma_f64 v[241:242], v[179:180], v[144:145], -v[165:166]
	v_mul_f64 v[165:166], v[179:180], v[110:111]
	v_add_f64 v[40:41], v[40:41], -v[241:242]
	s_delay_alu instid0(VALU_DEP_2)
	v_fma_f64 v[243:244], v[181:182], v[144:145], v[165:166]
	ds_load_2addr_b64 v[165:168], v176 offset0:46 offset1:47
	ds_load_2addr_b64 v[179:182], v176 offset0:48 offset1:49
	s_waitcnt lgkmcnt(1)
	v_mul_f64 v[245:246], v[167:168], v[110:111]
	v_add_f64 v[42:43], v[42:43], -v[243:244]
	s_delay_alu instid0(VALU_DEP_2) | instskip(SKIP_1) | instid1(VALU_DEP_2)
	v_fma_f64 v[245:246], v[165:166], v[144:145], -v[245:246]
	v_mul_f64 v[165:166], v[165:166], v[110:111]
	v_add_f64 v[36:37], v[36:37], -v[245:246]
	s_delay_alu instid0(VALU_DEP_2) | instskip(SKIP_4) | instid1(VALU_DEP_3)
	v_fma_f64 v[174:175], v[167:168], v[144:145], v[165:166]
	s_waitcnt lgkmcnt(0)
	v_mul_f64 v[165:166], v[181:182], v[110:111]
	v_dual_mov_b32 v246, v103 :: v_dual_mov_b32 v245, v102
	v_dual_mov_b32 v244, v101 :: v_dual_mov_b32 v243, v100
	v_fma_f64 v[106:107], v[179:180], v[144:145], -v[165:166]
	v_mul_f64 v[165:166], v[179:180], v[110:111]
	s_waitcnt vmcnt(0)
	v_add_f64 v[68:69], v[68:69], -v[189:190]
	v_add_f64 v[70:71], v[70:71], -v[191:192]
	s_delay_alu instid0(VALU_DEP_3) | instskip(SKIP_4) | instid1(VALU_DEP_1)
	v_fma_f64 v[251:252], v[181:182], v[144:145], v[165:166]
	ds_load_2addr_b64 v[165:168], v176 offset0:50 offset1:51
	ds_load_2addr_b64 v[179:182], v176 offset0:52 offset1:53
	s_waitcnt lgkmcnt(1)
	v_mul_f64 v[253:254], v[167:168], v[110:111]
	v_fma_f64 v[253:254], v[165:166], v[144:145], -v[253:254]
	v_mul_f64 v[165:166], v[165:166], v[110:111]
	s_delay_alu instid0(VALU_DEP_1) | instskip(SKIP_2) | instid1(VALU_DEP_1)
	v_fma_f64 v[140:141], v[167:168], v[144:145], v[165:166]
	s_waitcnt lgkmcnt(0)
	v_mul_f64 v[165:166], v[181:182], v[110:111]
	v_fma_f64 v[142:143], v[179:180], v[144:145], -v[165:166]
	v_mul_f64 v[165:166], v[179:180], v[110:111]
	s_delay_alu instid0(VALU_DEP_1)
	v_fma_f64 v[54:55], v[181:182], v[144:145], v[165:166]
	ds_load_2addr_b64 v[165:168], v176 offset0:54 offset1:55
	ds_load_2addr_b64 v[179:182], v176 offset0:56 offset1:57
	s_waitcnt lgkmcnt(1)
	v_mul_f64 v[52:53], v[167:168], v[110:111]
	s_waitcnt lgkmcnt(0)
	v_mul_f64 v[50:51], v[181:182], v[110:111]
	s_delay_alu instid0(VALU_DEP_2) | instskip(SKIP_1) | instid1(VALU_DEP_3)
	v_fma_f64 v[52:53], v[165:166], v[144:145], -v[52:53]
	v_mul_f64 v[165:166], v[165:166], v[110:111]
	v_fma_f64 v[50:51], v[179:180], v[144:145], -v[50:51]
	s_delay_alu instid0(VALU_DEP_2) | instskip(SKIP_1) | instid1(VALU_DEP_1)
	v_fma_f64 v[48:49], v[167:168], v[144:145], v[165:166]
	v_mul_f64 v[165:166], v[179:180], v[110:111]
	v_fma_f64 v[128:129], v[181:182], v[144:145], v[165:166]
	ds_load_2addr_b64 v[165:168], v176 offset0:58 offset1:59
	ds_load_2addr_b64 v[179:182], v176 offset0:60 offset1:61
	s_waitcnt lgkmcnt(1)
	v_mul_f64 v[130:131], v[167:168], v[110:111]
	s_waitcnt lgkmcnt(0)
	v_mul_f64 v[126:127], v[181:182], v[110:111]
	s_delay_alu instid0(VALU_DEP_2) | instskip(SKIP_1) | instid1(VALU_DEP_3)
	v_fma_f64 v[130:131], v[165:166], v[144:145], -v[130:131]
	v_mul_f64 v[165:166], v[165:166], v[110:111]
	v_fma_f64 v[126:127], v[179:180], v[144:145], -v[126:127]
	s_delay_alu instid0(VALU_DEP_2) | instskip(SKIP_1) | instid1(VALU_DEP_1)
	v_fma_f64 v[124:125], v[167:168], v[144:145], v[165:166]
	v_mul_f64 v[165:166], v[179:180], v[110:111]
	v_fma_f64 v[104:105], v[181:182], v[144:145], v[165:166]
	ds_load_2addr_b64 v[165:168], v176 offset0:62 offset1:63
	ds_load_2addr_b64 v[179:182], v176 offset0:64 offset1:65
	s_waitcnt lgkmcnt(1)
	v_mul_f64 v[138:139], v[167:168], v[110:111]
	s_delay_alu instid0(VALU_DEP_1) | instskip(SKIP_1) | instid1(VALU_DEP_1)
	v_fma_f64 v[138:139], v[165:166], v[144:145], -v[138:139]
	v_mul_f64 v[165:166], v[165:166], v[110:111]
	v_fma_f64 v[207:208], v[167:168], v[144:145], v[165:166]
	s_waitcnt lgkmcnt(0)
	v_mul_f64 v[165:166], v[181:182], v[110:111]
	s_delay_alu instid0(VALU_DEP_1) | instskip(SKIP_1) | instid1(VALU_DEP_1)
	v_fma_f64 v[209:210], v[179:180], v[144:145], -v[165:166]
	v_mul_f64 v[165:166], v[179:180], v[110:111]
	v_fma_f64 v[179:180], v[181:182], v[144:145], v[165:166]
	ds_load_2addr_b64 v[165:168], v176 offset0:66 offset1:67
	s_waitcnt lgkmcnt(0)
	v_mul_f64 v[181:182], v[167:168], v[110:111]
	s_delay_alu instid0(VALU_DEP_1) | instskip(SKIP_1) | instid1(VALU_DEP_2)
	v_fma_f64 v[181:182], v[165:166], v[144:145], -v[181:182]
	v_mul_f64 v[165:166], v[165:166], v[110:111]
	v_add_f64 v[243:244], v[243:244], -v[181:182]
	s_delay_alu instid0(VALU_DEP_2)
	v_fma_f64 v[165:166], v[167:168], v[144:145], v[165:166]
	s_clause 0x1
	scratch_load_b128 v[148:151], off, off offset:40
	scratch_load_b64 v[167:168], off, off offset:56
	v_add_f64 v[245:246], v[245:246], -v[165:166]
	s_waitcnt vmcnt(0)
	v_add_f64 v[148:149], v[148:149], -v[167:168]
	scratch_load_b64 v[167:168], off, off offset:84 ; 8-byte Folded Reload
	s_waitcnt vmcnt(0)
	v_add_f64 v[150:151], v[150:151], -v[167:168]
	scratch_store_b128 off, v[148:151], off offset:40 ; 16-byte Folded Spill
	s_clause 0x1
	scratch_load_b128 v[148:151], off, off offset:16
	scratch_load_b64 v[167:168], off, off offset:92
	s_clause 0x1
	scratch_store_b128 off, v[68:71], off
	scratch_store_b128 off, v[108:111], off offset:56
	v_dual_mov_b32 v71, v67 :: v_dual_mov_b32 v70, v66
	v_dual_mov_b32 v69, v65 :: v_dual_mov_b32 v68, v64
	;; [unrolled: 1-line block ×13, first 2 shown]
	s_delay_alu instid0(VALU_DEP_3)
	v_add_f64 v[42:43], v[42:43], -v[174:175]
	v_dual_mov_b32 v37, v33 :: v_dual_mov_b32 v36, v32
	v_dual_mov_b32 v35, v31 :: v_dual_mov_b32 v34, v30
	;; [unrolled: 1-line block ×17, first 2 shown]
	v_add_f64 v[36:37], v[36:37], -v[106:107]
	v_add_f64 v[38:39], v[38:39], -v[251:252]
	;; [unrolled: 1-line block ×18, first 2 shown]
	v_dual_mov_b32 v254, v157 :: v_dual_mov_b32 v253, v156
	v_dual_mov_b32 v252, v155 :: v_dual_mov_b32 v251, v154
	scratch_load_b32 v174, off, off offset:80 ; 4-byte Folded Reload
	s_waitcnt vmcnt(1)
	v_add_f64 v[148:149], v[148:149], -v[167:168]
	scratch_load_b64 v[167:168], off, off offset:100 ; 8-byte Folded Reload
	s_waitcnt vmcnt(0)
	v_add_f64 v[150:151], v[150:151], -v[167:168]
	scratch_store_b128 off, v[148:151], off offset:16 ; 16-byte Folded Spill
	scratch_load_b64 v[148:149], off, off offset:108 ; 8-byte Folded Reload
	s_waitcnt vmcnt(0)
	v_add_f64 v[183:184], v[183:184], -v[148:149]
	scratch_load_b64 v[148:149], off, off offset:116 ; 8-byte Folded Reload
	s_waitcnt vmcnt(0)
	v_add_f64 v[185:186], v[185:186], -v[148:149]
	scratch_load_b64 v[148:149], off, off offset:124 ; 8-byte Folded Reload
	v_dual_mov_b32 v108, v183 :: v_dual_mov_b32 v109, v184
	v_dual_mov_b32 v110, v185 :: v_dual_mov_b32 v111, v186
	s_waitcnt vmcnt(0)
	v_add_f64 v[132:133], v[132:133], -v[148:149]
	scratch_load_b64 v[148:149], off, off offset:132 ; 8-byte Folded Reload
	s_waitcnt vmcnt(0)
	v_add_f64 v[134:135], v[134:135], -v[148:149]
	scratch_load_b64 v[148:149], off, off offset:140 ; 8-byte Folded Reload
	s_waitcnt vmcnt(0)
	v_add_f64 v[247:248], v[247:248], -v[148:149]
.LBB66_22:
	s_or_b32 exec_lo, exec_lo, s2
	s_waitcnt_vscnt null, 0x0
	s_barrier
	buffer_gl0_inv
	scratch_load_b128 v[49:52], off, off offset:40 ; 16-byte Folded Reload
	v_lshl_add_u32 v48, v178, 4, v176
	v_mov_b32_e32 v144, 1
	s_cmp_lt_i32 s5, 3
	s_waitcnt vmcnt(0)
	ds_store_2addr_b64 v48, v[49:50], v[51:52] offset1:1
	s_waitcnt lgkmcnt(0)
	s_barrier
	buffer_gl0_inv
	ds_load_2addr_b64 v[136:139], v176 offset0:2 offset1:3
	s_cbranch_scc1 .LBB66_25
; %bb.23:
	v_add3_u32 v145, v174, 0, 32
	v_mov_b32_e32 v144, 1
	s_mov_b32 s6, 2
	s_set_inst_prefetch_distance 0x1
	.p2align	6
.LBB66_24:                              ; =>This Inner Loop Header: Depth=1
	ds_load_2addr_b64 v[146:149], v145 offset1:1
	s_waitcnt lgkmcnt(1)
	v_cmp_gt_f64_e32 vcc_lo, 0, v[136:137]
	v_xor_b32_e32 v48, 0x80000000, v137
	v_cmp_gt_f64_e64 s2, 0, v[138:139]
	v_xor_b32_e32 v50, 0x80000000, v139
	v_add_nc_u32_e32 v145, 16, v145
	s_waitcnt lgkmcnt(0)
	v_cmp_gt_f64_e64 s3, 0, v[146:147]
	v_mov_b32_e32 v52, v146
	v_dual_mov_b32 v54, v148 :: v_dual_cndmask_b32 v49, v137, v48
	v_xor_b32_e32 v48, 0x80000000, v147
	v_cndmask_b32_e64 v51, v139, v50, s2
	v_xor_b32_e32 v50, 0x80000000, v149
	s_delay_alu instid0(VALU_DEP_3) | instskip(SKIP_2) | instid1(VALU_DEP_2)
	v_cndmask_b32_e64 v53, v147, v48, s3
	v_cmp_gt_f64_e64 s3, 0, v[148:149]
	v_cndmask_b32_e32 v48, v136, v136, vcc_lo
	v_cndmask_b32_e64 v55, v149, v50, s3
	v_cndmask_b32_e64 v50, v138, v138, s2
	s_delay_alu instid0(VALU_DEP_2) | instskip(NEXT) | instid1(VALU_DEP_2)
	v_add_f64 v[52:53], v[52:53], v[54:55]
	v_add_f64 v[48:49], v[48:49], v[50:51]
	s_delay_alu instid0(VALU_DEP_1)
	v_cmp_lt_f64_e32 vcc_lo, v[48:49], v[52:53]
	v_cndmask_b32_e32 v139, v139, v149, vcc_lo
	v_dual_cndmask_b32 v137, v137, v147 :: v_dual_cndmask_b32 v136, v136, v146
	v_cndmask_b32_e32 v138, v138, v148, vcc_lo
	v_cndmask_b32_e64 v144, v144, s6, vcc_lo
	s_add_i32 s6, s6, 1
	s_delay_alu instid0(SALU_CYCLE_1)
	s_cmp_lg_u32 s5, s6
	s_cbranch_scc1 .LBB66_24
.LBB66_25:
	s_set_inst_prefetch_distance 0x2
	s_waitcnt lgkmcnt(0)
	v_cmp_neq_f64_e32 vcc_lo, 0, v[136:137]
	v_cmp_neq_f64_e64 s2, 0, v[138:139]
	s_delay_alu instid0(VALU_DEP_1) | instskip(NEXT) | instid1(SALU_CYCLE_1)
	s_or_b32 s2, vcc_lo, s2
	s_and_saveexec_b32 s3, s2
	s_cbranch_execz .LBB66_31
; %bb.26:
	v_cmp_gt_f64_e32 vcc_lo, 0, v[136:137]
	v_cmp_gt_f64_e64 s2, 0, v[138:139]
	v_xor_b32_e32 v48, 0x80000000, v137
	v_xor_b32_e32 v50, 0x80000000, v139
	s_delay_alu instid0(VALU_DEP_2) | instskip(NEXT) | instid1(VALU_DEP_2)
	v_cndmask_b32_e32 v49, v137, v48, vcc_lo
	v_cndmask_b32_e64 v51, v139, v50, s2
	v_cndmask_b32_e32 v48, v136, v136, vcc_lo
	v_cndmask_b32_e64 v50, v138, v138, s2
	s_mov_b32 s2, exec_lo
	s_delay_alu instid0(VALU_DEP_1)
	v_cmpx_ngt_f64_e32 v[48:49], v[50:51]
	s_xor_b32 s2, exec_lo, s2
	s_cbranch_execz .LBB66_28
; %bb.27:
	v_div_scale_f64 v[48:49], null, v[138:139], v[138:139], v[136:137]
	v_div_scale_f64 v[54:55], vcc_lo, v[136:137], v[138:139], v[136:137]
	s_delay_alu instid0(VALU_DEP_2) | instskip(SKIP_2) | instid1(VALU_DEP_1)
	v_rcp_f64_e32 v[50:51], v[48:49]
	s_waitcnt_depctr 0xfff
	v_fma_f64 v[52:53], -v[48:49], v[50:51], 1.0
	v_fma_f64 v[50:51], v[50:51], v[52:53], v[50:51]
	s_delay_alu instid0(VALU_DEP_1) | instskip(NEXT) | instid1(VALU_DEP_1)
	v_fma_f64 v[52:53], -v[48:49], v[50:51], 1.0
	v_fma_f64 v[50:51], v[50:51], v[52:53], v[50:51]
	s_delay_alu instid0(VALU_DEP_1) | instskip(NEXT) | instid1(VALU_DEP_1)
	v_mul_f64 v[52:53], v[54:55], v[50:51]
	v_fma_f64 v[48:49], -v[48:49], v[52:53], v[54:55]
	s_delay_alu instid0(VALU_DEP_1) | instskip(NEXT) | instid1(VALU_DEP_1)
	v_div_fmas_f64 v[48:49], v[48:49], v[50:51], v[52:53]
	v_div_fixup_f64 v[48:49], v[48:49], v[138:139], v[136:137]
	s_delay_alu instid0(VALU_DEP_1) | instskip(NEXT) | instid1(VALU_DEP_1)
	v_fma_f64 v[50:51], v[136:137], v[48:49], v[138:139]
	v_div_scale_f64 v[52:53], null, v[50:51], v[50:51], 1.0
	s_delay_alu instid0(VALU_DEP_1) | instskip(SKIP_2) | instid1(VALU_DEP_1)
	v_rcp_f64_e32 v[54:55], v[52:53]
	s_waitcnt_depctr 0xfff
	v_fma_f64 v[104:105], -v[52:53], v[54:55], 1.0
	v_fma_f64 v[54:55], v[54:55], v[104:105], v[54:55]
	s_delay_alu instid0(VALU_DEP_1) | instskip(NEXT) | instid1(VALU_DEP_1)
	v_fma_f64 v[104:105], -v[52:53], v[54:55], 1.0
	v_fma_f64 v[54:55], v[54:55], v[104:105], v[54:55]
	v_div_scale_f64 v[104:105], vcc_lo, 1.0, v[50:51], 1.0
	s_delay_alu instid0(VALU_DEP_1) | instskip(NEXT) | instid1(VALU_DEP_1)
	v_mul_f64 v[106:107], v[104:105], v[54:55]
	v_fma_f64 v[52:53], -v[52:53], v[106:107], v[104:105]
	s_delay_alu instid0(VALU_DEP_1) | instskip(NEXT) | instid1(VALU_DEP_1)
	v_div_fmas_f64 v[52:53], v[52:53], v[54:55], v[106:107]
	v_div_fixup_f64 v[138:139], v[52:53], v[50:51], 1.0
	s_delay_alu instid0(VALU_DEP_1)
	v_mul_f64 v[136:137], v[48:49], v[138:139]
	v_xor_b32_e32 v139, 0x80000000, v139
.LBB66_28:
	s_and_not1_saveexec_b32 s2, s2
	s_cbranch_execz .LBB66_30
; %bb.29:
	s_delay_alu instid0(VALU_DEP_1) | instskip(SKIP_1) | instid1(VALU_DEP_2)
	v_div_scale_f64 v[48:49], null, v[136:137], v[136:137], v[138:139]
	v_div_scale_f64 v[54:55], vcc_lo, v[138:139], v[136:137], v[138:139]
	v_rcp_f64_e32 v[50:51], v[48:49]
	s_waitcnt_depctr 0xfff
	v_fma_f64 v[52:53], -v[48:49], v[50:51], 1.0
	s_delay_alu instid0(VALU_DEP_1) | instskip(NEXT) | instid1(VALU_DEP_1)
	v_fma_f64 v[50:51], v[50:51], v[52:53], v[50:51]
	v_fma_f64 v[52:53], -v[48:49], v[50:51], 1.0
	s_delay_alu instid0(VALU_DEP_1) | instskip(NEXT) | instid1(VALU_DEP_1)
	v_fma_f64 v[50:51], v[50:51], v[52:53], v[50:51]
	v_mul_f64 v[52:53], v[54:55], v[50:51]
	s_delay_alu instid0(VALU_DEP_1) | instskip(NEXT) | instid1(VALU_DEP_1)
	v_fma_f64 v[48:49], -v[48:49], v[52:53], v[54:55]
	v_div_fmas_f64 v[48:49], v[48:49], v[50:51], v[52:53]
	s_delay_alu instid0(VALU_DEP_1) | instskip(NEXT) | instid1(VALU_DEP_1)
	v_div_fixup_f64 v[48:49], v[48:49], v[136:137], v[138:139]
	v_fma_f64 v[50:51], v[138:139], v[48:49], v[136:137]
	s_delay_alu instid0(VALU_DEP_1) | instskip(NEXT) | instid1(VALU_DEP_1)
	v_div_scale_f64 v[52:53], null, v[50:51], v[50:51], 1.0
	v_rcp_f64_e32 v[54:55], v[52:53]
	s_waitcnt_depctr 0xfff
	v_fma_f64 v[104:105], -v[52:53], v[54:55], 1.0
	s_delay_alu instid0(VALU_DEP_1) | instskip(NEXT) | instid1(VALU_DEP_1)
	v_fma_f64 v[54:55], v[54:55], v[104:105], v[54:55]
	v_fma_f64 v[104:105], -v[52:53], v[54:55], 1.0
	s_delay_alu instid0(VALU_DEP_1) | instskip(SKIP_1) | instid1(VALU_DEP_1)
	v_fma_f64 v[54:55], v[54:55], v[104:105], v[54:55]
	v_div_scale_f64 v[104:105], vcc_lo, 1.0, v[50:51], 1.0
	v_mul_f64 v[106:107], v[104:105], v[54:55]
	s_delay_alu instid0(VALU_DEP_1) | instskip(NEXT) | instid1(VALU_DEP_1)
	v_fma_f64 v[52:53], -v[52:53], v[106:107], v[104:105]
	v_div_fmas_f64 v[52:53], v[52:53], v[54:55], v[106:107]
	s_delay_alu instid0(VALU_DEP_1) | instskip(NEXT) | instid1(VALU_DEP_1)
	v_div_fixup_f64 v[136:137], v[52:53], v[50:51], 1.0
	v_mul_f64 v[138:139], v[48:49], -v[136:137]
.LBB66_30:
	s_or_b32 exec_lo, exec_lo, s2
	v_mov_b32_e32 v255, v164
.LBB66_31:
	s_or_b32 exec_lo, exec_lo, s3
	s_delay_alu instid0(SALU_CYCLE_1)
	s_mov_b32 s2, exec_lo
	v_cmpx_ne_u32_e64 v178, v144
	s_xor_b32 s2, exec_lo, s2
	s_cbranch_execz .LBB66_37
; %bb.32:
	s_mov_b32 s3, exec_lo
	v_cmpx_eq_u32_e32 1, v178
	s_cbranch_execz .LBB66_36
; %bb.33:
	v_cmp_ne_u32_e32 vcc_lo, 1, v144
	s_xor_b32 s6, s4, -1
	s_delay_alu instid0(SALU_CYCLE_1) | instskip(NEXT) | instid1(SALU_CYCLE_1)
	s_and_b32 s7, s6, vcc_lo
	s_and_saveexec_b32 s6, s7
	s_cbranch_execz .LBB66_35
; %bb.34:
	scratch_load_b64 v[52:53], off, off offset:32 ; 8-byte Folded Reload
	v_ashrrev_i32_e32 v145, 31, v144
	s_delay_alu instid0(VALU_DEP_1) | instskip(SKIP_1) | instid1(VALU_DEP_1)
	v_lshlrev_b64 v[48:49], 2, v[144:145]
	s_waitcnt vmcnt(0)
	v_add_co_u32 v48, vcc_lo, v52, v48
	s_delay_alu instid0(VALU_DEP_2)
	v_add_co_ci_u32_e32 v49, vcc_lo, v53, v49, vcc_lo
	s_clause 0x1
	flat_load_b32 v50, v[48:49]
	flat_load_b32 v51, v[52:53] offset:4
	s_waitcnt vmcnt(1) lgkmcnt(1)
	flat_store_b32 v[52:53], v50 offset:4
	s_waitcnt vmcnt(0) lgkmcnt(1)
	flat_store_b32 v[48:49], v51
.LBB66_35:
	s_or_b32 exec_lo, exec_lo, s6
	v_mov_b32_e32 v178, v144
	v_mov_b32_e32 v172, v144
.LBB66_36:
	s_or_b32 exec_lo, exec_lo, s3
.LBB66_37:
	s_and_not1_saveexec_b32 s2, s2
	s_cbranch_execz .LBB66_39
; %bb.38:
	scratch_load_b128 v[0:3], off, off offset:16 ; 16-byte Folded Reload
	v_mov_b32_e32 v178, 1
	s_waitcnt vmcnt(0)
	ds_store_2addr_b64 v176, v[0:1], v[2:3] offset0:4 offset1:5
	ds_store_2addr_b64 v176, v[108:109], v[110:111] offset0:6 offset1:7
	;; [unrolled: 1-line block ×7, first 2 shown]
	scratch_load_b128 v[0:3], off, off      ; 16-byte Folded Reload
	s_waitcnt vmcnt(0)
	ds_store_2addr_b64 v176, v[0:1], v[2:3] offset0:18 offset1:19
	ds_store_2addr_b64 v176, v[116:117], v[118:119] offset0:20 offset1:21
	;; [unrolled: 1-line block ×25, first 2 shown]
.LBB66_39:
	s_or_b32 exec_lo, exec_lo, s2
	s_delay_alu instid0(SALU_CYCLE_1)
	s_mov_b32 s2, exec_lo
	s_waitcnt lgkmcnt(0)
	s_waitcnt_vscnt null, 0x0
	s_barrier
	buffer_gl0_inv
	v_cmpx_lt_i32_e32 1, v178
	s_cbranch_execz .LBB66_41
; %bb.40:
	scratch_load_b128 v[100:103], off, off offset:40 ; 16-byte Folded Reload
	s_waitcnt vmcnt(0)
	v_mul_f64 v[48:49], v[138:139], v[102:103]
	s_delay_alu instid0(VALU_DEP_1) | instskip(SKIP_1) | instid1(VALU_DEP_1)
	v_fma_f64 v[144:145], v[136:137], v[100:101], -v[48:49]
	v_mul_f64 v[48:49], v[136:137], v[102:103]
	v_fma_f64 v[102:103], v[138:139], v[100:101], v[48:49]
	ds_load_2addr_b64 v[136:139], v176 offset0:4 offset1:5
	ds_load_2addr_b64 v[146:149], v176 offset0:6 offset1:7
	s_waitcnt lgkmcnt(1)
	v_mul_f64 v[48:49], v[138:139], v[102:103]
	v_mul_f64 v[50:51], v[136:137], v[102:103]
	s_waitcnt lgkmcnt(0)
	v_mul_f64 v[52:53], v[148:149], v[102:103]
	v_mul_f64 v[54:55], v[146:147], v[102:103]
	s_delay_alu instid0(VALU_DEP_4)
	v_fma_f64 v[0:1], v[136:137], v[144:145], -v[48:49]
	scratch_store_b64 off, v[0:1], off offset:40 ; 8-byte Folded Spill
	v_fma_f64 v[0:1], v[138:139], v[144:145], v[50:51]
	v_dual_mov_b32 v51, v7 :: v_dual_mov_b32 v50, v6
	v_dual_mov_b32 v49, v5 :: v_dual_mov_b32 v48, v4
	;; [unrolled: 1-line block ×19, first 2 shown]
	scratch_store_b64 off, v[0:1], off offset:84 ; 8-byte Folded Spill
	v_fma_f64 v[0:1], v[146:147], v[144:145], -v[52:53]
	v_dual_mov_b32 v38, v42 :: v_dual_mov_b32 v39, v43
	v_dual_mov_b32 v40, v44 :: v_dual_mov_b32 v41, v45
	;; [unrolled: 1-line block ×11, first 2 shown]
	scratch_store_b64 off, v[0:1], off offset:92 ; 8-byte Folded Spill
	v_fma_f64 v[0:1], v[148:149], v[144:145], v[54:55]
	v_dual_mov_b32 v52, v243 :: v_dual_mov_b32 v53, v244
	v_dual_mov_b32 v54, v245 :: v_dual_mov_b32 v55, v246
	scratch_store_b64 off, v[0:1], off offset:100 ; 8-byte Folded Spill
	ds_load_2addr_b64 v[136:139], v176 offset0:8 offset1:9
	ds_load_2addr_b64 v[146:149], v176 offset0:10 offset1:11
	s_waitcnt lgkmcnt(1)
	v_mul_f64 v[104:105], v[138:139], v[102:103]
	v_mul_f64 v[106:107], v[136:137], v[102:103]
	s_waitcnt lgkmcnt(0)
	v_mul_f64 v[124:125], v[148:149], v[102:103]
	v_mul_f64 v[126:127], v[146:147], v[102:103]
	s_delay_alu instid0(VALU_DEP_4) | instskip(NEXT) | instid1(VALU_DEP_2)
	v_fma_f64 v[0:1], v[136:137], v[144:145], -v[104:105]
	v_fma_f64 v[126:127], v[148:149], v[144:145], v[126:127]
	scratch_store_b64 off, v[0:1], off offset:108 ; 8-byte Folded Spill
	v_fma_f64 v[0:1], v[138:139], v[144:145], v[106:107]
	v_add_f64 v[249:250], v[249:250], -v[126:127]
	scratch_store_b64 off, v[0:1], off offset:116 ; 8-byte Folded Spill
	v_fma_f64 v[0:1], v[146:147], v[144:145], -v[124:125]
	scratch_store_b64 off, v[0:1], off offset:124 ; 8-byte Folded Spill
	ds_load_2addr_b64 v[136:139], v176 offset0:12 offset1:13
	ds_load_2addr_b64 v[146:149], v176 offset0:14 offset1:15
	v_dual_mov_b32 v0, v251 :: v_dual_mov_b32 v1, v252
	v_dual_mov_b32 v2, v253 :: v_dual_mov_b32 v3, v254
	s_waitcnt lgkmcnt(1)
	v_mul_f64 v[128:129], v[138:139], v[102:103]
	v_mul_f64 v[130:131], v[136:137], v[102:103]
	s_delay_alu instid0(VALU_DEP_2) | instskip(SKIP_2) | instid1(VALU_DEP_3)
	v_fma_f64 v[128:129], v[136:137], v[144:145], -v[128:129]
	s_waitcnt lgkmcnt(0)
	v_mul_f64 v[136:137], v[148:149], v[102:103]
	v_fma_f64 v[130:131], v[138:139], v[144:145], v[130:131]
	s_delay_alu instid0(VALU_DEP_3) | instskip(NEXT) | instid1(VALU_DEP_3)
	v_add_f64 v[120:121], v[120:121], -v[128:129]
	v_fma_f64 v[140:141], v[146:147], v[144:145], -v[136:137]
	v_mul_f64 v[136:137], v[146:147], v[102:103]
	s_delay_alu instid0(VALU_DEP_4) | instskip(NEXT) | instid1(VALU_DEP_3)
	v_add_f64 v[122:123], v[122:123], -v[130:131]
	v_add_f64 v[88:89], v[88:89], -v[140:141]
	s_delay_alu instid0(VALU_DEP_3)
	v_fma_f64 v[142:143], v[148:149], v[144:145], v[136:137]
	ds_load_2addr_b64 v[136:139], v176 offset0:16 offset1:17
	ds_load_2addr_b64 v[146:149], v176 offset0:18 offset1:19
	s_waitcnt lgkmcnt(1)
	v_mul_f64 v[150:151], v[138:139], v[102:103]
	v_add_f64 v[90:91], v[90:91], -v[142:143]
	s_delay_alu instid0(VALU_DEP_2) | instskip(SKIP_1) | instid1(VALU_DEP_2)
	v_fma_f64 v[150:151], v[136:137], v[144:145], -v[150:151]
	v_mul_f64 v[136:137], v[136:137], v[102:103]
	v_add_f64 v[0:1], v[0:1], -v[150:151]
	s_delay_alu instid0(VALU_DEP_2) | instskip(SKIP_2) | instid1(VALU_DEP_2)
	v_fma_f64 v[152:153], v[138:139], v[144:145], v[136:137]
	s_waitcnt lgkmcnt(0)
	v_mul_f64 v[136:137], v[148:149], v[102:103]
	v_add_f64 v[2:3], v[2:3], -v[152:153]
	s_delay_alu instid0(VALU_DEP_2) | instskip(SKIP_1) | instid1(VALU_DEP_1)
	v_fma_f64 v[154:155], v[146:147], v[144:145], -v[136:137]
	v_mul_f64 v[136:137], v[146:147], v[102:103]
	v_fma_f64 v[156:157], v[148:149], v[144:145], v[136:137]
	ds_load_2addr_b64 v[136:139], v176 offset0:20 offset1:21
	ds_load_2addr_b64 v[146:149], v176 offset0:22 offset1:23
	s_waitcnt lgkmcnt(1)
	v_mul_f64 v[158:159], v[138:139], v[102:103]
	s_delay_alu instid0(VALU_DEP_1) | instskip(SKIP_1) | instid1(VALU_DEP_2)
	v_fma_f64 v[158:159], v[136:137], v[144:145], -v[158:159]
	v_mul_f64 v[136:137], v[136:137], v[102:103]
	v_add_f64 v[116:117], v[116:117], -v[158:159]
	s_delay_alu instid0(VALU_DEP_2) | instskip(SKIP_2) | instid1(VALU_DEP_2)
	v_fma_f64 v[160:161], v[138:139], v[144:145], v[136:137]
	s_waitcnt lgkmcnt(0)
	v_mul_f64 v[136:137], v[148:149], v[102:103]
	v_add_f64 v[118:119], v[118:119], -v[160:161]
	s_delay_alu instid0(VALU_DEP_2) | instskip(SKIP_1) | instid1(VALU_DEP_2)
	v_fma_f64 v[162:163], v[146:147], v[144:145], -v[136:137]
	v_mul_f64 v[136:137], v[146:147], v[102:103]
	v_add_f64 v[112:113], v[112:113], -v[162:163]
	s_delay_alu instid0(VALU_DEP_2)
	v_fma_f64 v[164:165], v[148:149], v[144:145], v[136:137]
	ds_load_2addr_b64 v[136:139], v176 offset0:24 offset1:25
	ds_load_2addr_b64 v[146:149], v176 offset0:26 offset1:27
	s_waitcnt lgkmcnt(1)
	v_mul_f64 v[166:167], v[138:139], v[102:103]
	v_add_f64 v[114:115], v[114:115], -v[164:165]
	s_delay_alu instid0(VALU_DEP_2) | instskip(SKIP_1) | instid1(VALU_DEP_2)
	v_fma_f64 v[166:167], v[136:137], v[144:145], -v[166:167]
	v_mul_f64 v[136:137], v[136:137], v[102:103]
	v_add_f64 v[96:97], v[96:97], -v[166:167]
	s_delay_alu instid0(VALU_DEP_2) | instskip(SKIP_2) | instid1(VALU_DEP_2)
	v_fma_f64 v[168:169], v[138:139], v[144:145], v[136:137]
	s_waitcnt lgkmcnt(0)
	v_mul_f64 v[136:137], v[148:149], v[102:103]
	v_add_f64 v[98:99], v[98:99], -v[168:169]
	s_delay_alu instid0(VALU_DEP_2) | instskip(SKIP_1) | instid1(VALU_DEP_2)
	v_fma_f64 v[170:171], v[146:147], v[144:145], -v[136:137]
	v_mul_f64 v[136:137], v[146:147], v[102:103]
	v_add_f64 v[92:93], v[92:93], -v[170:171]
	s_delay_alu instid0(VALU_DEP_2)
	v_fma_f64 v[179:180], v[148:149], v[144:145], v[136:137]
	ds_load_2addr_b64 v[136:139], v176 offset0:28 offset1:29
	ds_load_2addr_b64 v[146:149], v176 offset0:30 offset1:31
	s_waitcnt lgkmcnt(1)
	v_mul_f64 v[181:182], v[138:139], v[102:103]
	v_add_f64 v[94:95], v[94:95], -v[179:180]
	s_delay_alu instid0(VALU_DEP_2) | instskip(SKIP_1) | instid1(VALU_DEP_2)
	;; [unrolled: 20-line block ×8, first 2 shown]
	v_fma_f64 v[229:230], v[136:137], v[144:145], -v[229:230]
	v_mul_f64 v[136:137], v[136:137], v[102:103]
	v_add_f64 v[24:25], v[24:25], -v[229:230]
	s_delay_alu instid0(VALU_DEP_2) | instskip(SKIP_2) | instid1(VALU_DEP_2)
	v_fma_f64 v[231:232], v[138:139], v[144:145], v[136:137]
	s_waitcnt lgkmcnt(0)
	v_mul_f64 v[136:137], v[148:149], v[102:103]
	v_add_f64 v[26:27], v[26:27], -v[231:232]
	s_delay_alu instid0(VALU_DEP_2) | instskip(SKIP_1) | instid1(VALU_DEP_2)
	v_fma_f64 v[233:234], v[146:147], v[144:145], -v[136:137]
	v_mul_f64 v[136:137], v[146:147], v[102:103]
	v_add_f64 v[20:21], v[20:21], -v[233:234]
	s_delay_alu instid0(VALU_DEP_2)
	v_fma_f64 v[235:236], v[148:149], v[144:145], v[136:137]
	ds_load_2addr_b64 v[136:139], v176 offset0:56 offset1:57
	ds_load_2addr_b64 v[146:149], v176 offset0:58 offset1:59
	scratch_load_b128 v[68:71], off, off    ; 16-byte Folded Reload
	s_waitcnt lgkmcnt(1)
	v_mul_f64 v[237:238], v[138:139], v[102:103]
	v_add_f64 v[22:23], v[22:23], -v[235:236]
	s_delay_alu instid0(VALU_DEP_2) | instskip(SKIP_1) | instid1(VALU_DEP_2)
	v_fma_f64 v[237:238], v[136:137], v[144:145], -v[237:238]
	v_mul_f64 v[136:137], v[136:137], v[102:103]
	v_add_f64 v[16:17], v[16:17], -v[237:238]
	s_delay_alu instid0(VALU_DEP_2) | instskip(SKIP_2) | instid1(VALU_DEP_2)
	v_fma_f64 v[239:240], v[138:139], v[144:145], v[136:137]
	s_waitcnt lgkmcnt(0)
	v_mul_f64 v[136:137], v[148:149], v[102:103]
	v_add_f64 v[18:19], v[18:19], -v[239:240]
	s_delay_alu instid0(VALU_DEP_2) | instskip(SKIP_1) | instid1(VALU_DEP_2)
	v_fma_f64 v[241:242], v[146:147], v[144:145], -v[136:137]
	v_mul_f64 v[136:137], v[146:147], v[102:103]
	v_add_f64 v[12:13], v[12:13], -v[241:242]
	s_delay_alu instid0(VALU_DEP_2)
	v_fma_f64 v[243:244], v[148:149], v[144:145], v[136:137]
	ds_load_2addr_b64 v[136:139], v176 offset0:60 offset1:61
	ds_load_2addr_b64 v[146:149], v176 offset0:62 offset1:63
	s_waitcnt lgkmcnt(1)
	v_mul_f64 v[245:246], v[138:139], v[102:103]
	v_add_f64 v[14:15], v[14:15], -v[243:244]
	s_delay_alu instid0(VALU_DEP_2) | instskip(SKIP_1) | instid1(VALU_DEP_2)
	v_fma_f64 v[245:246], v[136:137], v[144:145], -v[245:246]
	v_mul_f64 v[136:137], v[136:137], v[102:103]
	v_add_f64 v[8:9], v[8:9], -v[245:246]
	s_delay_alu instid0(VALU_DEP_2) | instskip(SKIP_4) | instid1(VALU_DEP_3)
	v_fma_f64 v[124:125], v[138:139], v[144:145], v[136:137]
	s_waitcnt lgkmcnt(0)
	v_mul_f64 v[136:137], v[148:149], v[102:103]
	v_dual_mov_b32 v246, v55 :: v_dual_mov_b32 v245, v54
	v_dual_mov_b32 v244, v53 :: v_dual_mov_b32 v243, v52
	v_fma_f64 v[174:175], v[146:147], v[144:145], -v[136:137]
	v_mul_f64 v[136:137], v[146:147], v[102:103]
	s_waitcnt vmcnt(0)
	v_add_f64 v[68:69], v[68:69], -v[154:155]
	v_add_f64 v[70:71], v[70:71], -v[156:157]
	s_delay_alu instid0(VALU_DEP_3) | instskip(SKIP_4) | instid1(VALU_DEP_1)
	v_fma_f64 v[100:101], v[148:149], v[144:145], v[136:137]
	ds_load_2addr_b64 v[136:139], v176 offset0:64 offset1:65
	ds_load_2addr_b64 v[146:149], v176 offset0:66 offset1:67
	s_waitcnt lgkmcnt(1)
	v_mul_f64 v[253:254], v[138:139], v[102:103]
	v_fma_f64 v[253:254], v[136:137], v[144:145], -v[253:254]
	v_mul_f64 v[136:137], v[136:137], v[102:103]
	s_delay_alu instid0(VALU_DEP_1) | instskip(SKIP_2) | instid1(VALU_DEP_1)
	v_fma_f64 v[136:137], v[138:139], v[144:145], v[136:137]
	s_waitcnt lgkmcnt(0)
	v_mul_f64 v[138:139], v[148:149], v[102:103]
	v_fma_f64 v[138:139], v[146:147], v[144:145], -v[138:139]
	v_mul_f64 v[146:147], v[146:147], v[102:103]
	s_delay_alu instid0(VALU_DEP_2) | instskip(NEXT) | instid1(VALU_DEP_2)
	v_add_f64 v[243:244], v[243:244], -v[138:139]
	v_fma_f64 v[146:147], v[148:149], v[144:145], v[146:147]
	s_clause 0x1
	scratch_load_b128 v[104:107], off, off offset:16
	scratch_load_b64 v[148:149], off, off offset:40
	scratch_store_b128 off, v[68:71], off   ; 16-byte Folded Spill
	v_dual_mov_b32 v71, v67 :: v_dual_mov_b32 v70, v66
	v_dual_mov_b32 v69, v65 :: v_dual_mov_b32 v68, v64
	v_dual_mov_b32 v67, v63 :: v_dual_mov_b32 v66, v62
	v_dual_mov_b32 v65, v61 :: v_dual_mov_b32 v64, v60
	v_dual_mov_b32 v63, v59 :: v_dual_mov_b32 v62, v58
	v_dual_mov_b32 v61, v57 :: v_dual_mov_b32 v60, v56
	v_dual_mov_b32 v59, v47 :: v_dual_mov_b32 v58, v46
	v_dual_mov_b32 v57, v45 :: v_dual_mov_b32 v56, v44
	v_dual_mov_b32 v47, v43 :: v_dual_mov_b32 v46, v42
	v_dual_mov_b32 v45, v41 :: v_dual_mov_b32 v44, v40
	v_dual_mov_b32 v43, v39 :: v_dual_mov_b32 v42, v38
	v_dual_mov_b32 v41, v37 :: v_dual_mov_b32 v40, v36
	v_dual_mov_b32 v39, v35 :: v_dual_mov_b32 v38, v34
	v_dual_mov_b32 v37, v33 :: v_dual_mov_b32 v36, v32
	v_dual_mov_b32 v35, v31 :: v_dual_mov_b32 v34, v30
	v_dual_mov_b32 v33, v29 :: v_dual_mov_b32 v32, v28
	v_dual_mov_b32 v31, v27 :: v_dual_mov_b32 v30, v26
	v_dual_mov_b32 v29, v25 :: v_dual_mov_b32 v28, v24
	v_dual_mov_b32 v27, v23 :: v_dual_mov_b32 v26, v22
	v_dual_mov_b32 v25, v21 :: v_dual_mov_b32 v24, v20
	v_dual_mov_b32 v23, v19 :: v_dual_mov_b32 v22, v18
	v_dual_mov_b32 v21, v17 :: v_dual_mov_b32 v20, v16
	v_dual_mov_b32 v19, v15 :: v_dual_mov_b32 v18, v14
	v_dual_mov_b32 v17, v13 :: v_dual_mov_b32 v16, v12
	v_dual_mov_b32 v15, v11 :: v_dual_mov_b32 v14, v10
	v_dual_mov_b32 v13, v9 :: v_dual_mov_b32 v12, v8
	v_dual_mov_b32 v11, v7 :: v_dual_mov_b32 v10, v6
	v_dual_mov_b32 v9, v5 :: v_dual_mov_b32 v8, v4
	v_dual_mov_b32 v4, v48 :: v_dual_mov_b32 v5, v49
	s_delay_alu instid0(VALU_DEP_3) | instskip(SKIP_1) | instid1(VALU_DEP_4)
	v_add_f64 v[10:11], v[10:11], -v[100:101]
	v_dual_mov_b32 v100, v144 :: v_dual_mov_b32 v101, v145
	v_add_f64 v[8:9], v[8:9], -v[174:175]
	v_dual_mov_b32 v6, v50 :: v_dual_mov_b32 v7, v51
	v_add_f64 v[14:15], v[14:15], -v[124:125]
	v_add_f64 v[4:5], v[4:5], -v[253:254]
	;; [unrolled: 1-line block ×3, first 2 shown]
	v_dual_mov_b32 v254, v3 :: v_dual_mov_b32 v253, v2
	v_add_f64 v[6:7], v[6:7], -v[136:137]
	v_dual_mov_b32 v252, v1 :: v_dual_mov_b32 v251, v0
	scratch_load_b32 v174, off, off offset:80 ; 4-byte Folded Reload
	scratch_store_b128 off, v[100:103], off offset:40 ; 16-byte Folded Spill
	s_waitcnt vmcnt(1)
	v_add_f64 v[104:105], v[104:105], -v[148:149]
	scratch_load_b64 v[148:149], off, off offset:84 ; 8-byte Folded Reload
	s_waitcnt vmcnt(0)
	v_add_f64 v[106:107], v[106:107], -v[148:149]
	scratch_store_b128 off, v[104:107], off offset:16 ; 16-byte Folded Spill
	scratch_load_b64 v[104:105], off, off offset:92 ; 8-byte Folded Reload
	s_waitcnt vmcnt(0)
	v_add_f64 v[108:109], v[108:109], -v[104:105]
	scratch_load_b64 v[104:105], off, off offset:100 ; 8-byte Folded Reload
	s_waitcnt vmcnt(0)
	v_add_f64 v[110:111], v[110:111], -v[104:105]
	;; [unrolled: 3-line block ×5, first 2 shown]
.LBB66_41:
	s_or_b32 exec_lo, exec_lo, s2
	s_waitcnt_vscnt null, 0x0
	s_barrier
	buffer_gl0_inv
	scratch_load_b128 v[0:3], off, off offset:16 ; 16-byte Folded Reload
	v_lshl_add_u32 v48, v178, 4, v176
	v_mov_b32_e32 v144, 2
	s_cmp_lt_i32 s5, 4
	s_waitcnt vmcnt(0)
	ds_store_2addr_b64 v48, v[0:1], v[2:3] offset1:1
	s_waitcnt lgkmcnt(0)
	s_barrier
	buffer_gl0_inv
	ds_load_2addr_b64 v[136:139], v176 offset0:4 offset1:5
	s_cbranch_scc1 .LBB66_44
; %bb.42:
	v_add3_u32 v145, v174, 0, 48
	v_mov_b32_e32 v144, 2
	s_mov_b32 s6, 3
	s_set_inst_prefetch_distance 0x1
	.p2align	6
.LBB66_43:                              ; =>This Inner Loop Header: Depth=1
	ds_load_2addr_b64 v[146:149], v145 offset1:1
	s_waitcnt lgkmcnt(1)
	v_cmp_gt_f64_e32 vcc_lo, 0, v[136:137]
	v_xor_b32_e32 v48, 0x80000000, v137
	v_cmp_gt_f64_e64 s2, 0, v[138:139]
	v_xor_b32_e32 v50, 0x80000000, v139
	v_add_nc_u32_e32 v145, 16, v145
	s_waitcnt lgkmcnt(0)
	v_cmp_gt_f64_e64 s3, 0, v[146:147]
	v_mov_b32_e32 v52, v146
	v_dual_mov_b32 v54, v148 :: v_dual_cndmask_b32 v49, v137, v48
	v_xor_b32_e32 v48, 0x80000000, v147
	v_cndmask_b32_e64 v51, v139, v50, s2
	v_xor_b32_e32 v50, 0x80000000, v149
	s_delay_alu instid0(VALU_DEP_3) | instskip(SKIP_2) | instid1(VALU_DEP_2)
	v_cndmask_b32_e64 v53, v147, v48, s3
	v_cmp_gt_f64_e64 s3, 0, v[148:149]
	v_cndmask_b32_e32 v48, v136, v136, vcc_lo
	v_cndmask_b32_e64 v55, v149, v50, s3
	v_cndmask_b32_e64 v50, v138, v138, s2
	s_delay_alu instid0(VALU_DEP_2) | instskip(NEXT) | instid1(VALU_DEP_2)
	v_add_f64 v[52:53], v[52:53], v[54:55]
	v_add_f64 v[48:49], v[48:49], v[50:51]
	s_delay_alu instid0(VALU_DEP_1)
	v_cmp_lt_f64_e32 vcc_lo, v[48:49], v[52:53]
	v_cndmask_b32_e32 v139, v139, v149, vcc_lo
	v_dual_cndmask_b32 v137, v137, v147 :: v_dual_cndmask_b32 v136, v136, v146
	v_cndmask_b32_e32 v138, v138, v148, vcc_lo
	v_cndmask_b32_e64 v144, v144, s6, vcc_lo
	s_add_i32 s6, s6, 1
	s_delay_alu instid0(SALU_CYCLE_1)
	s_cmp_lg_u32 s5, s6
	s_cbranch_scc1 .LBB66_43
.LBB66_44:
	s_set_inst_prefetch_distance 0x2
	s_waitcnt lgkmcnt(0)
	v_cmp_eq_f64_e32 vcc_lo, 0, v[136:137]
	v_cmp_eq_f64_e64 s2, 0, v[138:139]
	s_delay_alu instid0(VALU_DEP_1) | instskip(NEXT) | instid1(SALU_CYCLE_1)
	s_and_b32 s2, vcc_lo, s2
	s_and_saveexec_b32 s3, s2
	s_delay_alu instid0(SALU_CYCLE_1)
	s_xor_b32 s2, exec_lo, s3
; %bb.45:
	v_cmp_ne_u32_e32 vcc_lo, 0, v255
	v_cndmask_b32_e32 v255, 3, v255, vcc_lo
; %bb.46:
	s_and_not1_saveexec_b32 s3, s2
	s_cbranch_execz .LBB66_52
; %bb.47:
	v_cmp_gt_f64_e32 vcc_lo, 0, v[136:137]
	v_cmp_gt_f64_e64 s2, 0, v[138:139]
	v_xor_b32_e32 v48, 0x80000000, v137
	v_xor_b32_e32 v50, 0x80000000, v139
	s_delay_alu instid0(VALU_DEP_2) | instskip(NEXT) | instid1(VALU_DEP_2)
	v_cndmask_b32_e32 v49, v137, v48, vcc_lo
	v_cndmask_b32_e64 v51, v139, v50, s2
	v_cndmask_b32_e32 v48, v136, v136, vcc_lo
	v_cndmask_b32_e64 v50, v138, v138, s2
	s_mov_b32 s2, exec_lo
	s_delay_alu instid0(VALU_DEP_1)
	v_cmpx_ngt_f64_e32 v[48:49], v[50:51]
	s_xor_b32 s2, exec_lo, s2
	s_cbranch_execz .LBB66_49
; %bb.48:
	v_div_scale_f64 v[48:49], null, v[138:139], v[138:139], v[136:137]
	v_div_scale_f64 v[54:55], vcc_lo, v[136:137], v[138:139], v[136:137]
	s_delay_alu instid0(VALU_DEP_2) | instskip(SKIP_2) | instid1(VALU_DEP_1)
	v_rcp_f64_e32 v[50:51], v[48:49]
	s_waitcnt_depctr 0xfff
	v_fma_f64 v[52:53], -v[48:49], v[50:51], 1.0
	v_fma_f64 v[50:51], v[50:51], v[52:53], v[50:51]
	s_delay_alu instid0(VALU_DEP_1) | instskip(NEXT) | instid1(VALU_DEP_1)
	v_fma_f64 v[52:53], -v[48:49], v[50:51], 1.0
	v_fma_f64 v[50:51], v[50:51], v[52:53], v[50:51]
	s_delay_alu instid0(VALU_DEP_1) | instskip(NEXT) | instid1(VALU_DEP_1)
	v_mul_f64 v[52:53], v[54:55], v[50:51]
	v_fma_f64 v[48:49], -v[48:49], v[52:53], v[54:55]
	s_delay_alu instid0(VALU_DEP_1) | instskip(NEXT) | instid1(VALU_DEP_1)
	v_div_fmas_f64 v[48:49], v[48:49], v[50:51], v[52:53]
	v_div_fixup_f64 v[48:49], v[48:49], v[138:139], v[136:137]
	s_delay_alu instid0(VALU_DEP_1) | instskip(NEXT) | instid1(VALU_DEP_1)
	v_fma_f64 v[50:51], v[136:137], v[48:49], v[138:139]
	v_div_scale_f64 v[52:53], null, v[50:51], v[50:51], 1.0
	s_delay_alu instid0(VALU_DEP_1) | instskip(SKIP_2) | instid1(VALU_DEP_1)
	v_rcp_f64_e32 v[54:55], v[52:53]
	s_waitcnt_depctr 0xfff
	v_fma_f64 v[104:105], -v[52:53], v[54:55], 1.0
	v_fma_f64 v[54:55], v[54:55], v[104:105], v[54:55]
	s_delay_alu instid0(VALU_DEP_1) | instskip(NEXT) | instid1(VALU_DEP_1)
	v_fma_f64 v[104:105], -v[52:53], v[54:55], 1.0
	v_fma_f64 v[54:55], v[54:55], v[104:105], v[54:55]
	v_div_scale_f64 v[104:105], vcc_lo, 1.0, v[50:51], 1.0
	s_delay_alu instid0(VALU_DEP_1) | instskip(NEXT) | instid1(VALU_DEP_1)
	v_mul_f64 v[106:107], v[104:105], v[54:55]
	v_fma_f64 v[52:53], -v[52:53], v[106:107], v[104:105]
	s_delay_alu instid0(VALU_DEP_1) | instskip(NEXT) | instid1(VALU_DEP_1)
	v_div_fmas_f64 v[52:53], v[52:53], v[54:55], v[106:107]
	v_div_fixup_f64 v[138:139], v[52:53], v[50:51], 1.0
	s_delay_alu instid0(VALU_DEP_1)
	v_mul_f64 v[136:137], v[48:49], v[138:139]
	v_xor_b32_e32 v139, 0x80000000, v139
.LBB66_49:
	s_and_not1_saveexec_b32 s2, s2
	s_cbranch_execz .LBB66_51
; %bb.50:
	s_delay_alu instid0(VALU_DEP_1) | instskip(SKIP_1) | instid1(VALU_DEP_2)
	v_div_scale_f64 v[48:49], null, v[136:137], v[136:137], v[138:139]
	v_div_scale_f64 v[54:55], vcc_lo, v[138:139], v[136:137], v[138:139]
	v_rcp_f64_e32 v[50:51], v[48:49]
	s_waitcnt_depctr 0xfff
	v_fma_f64 v[52:53], -v[48:49], v[50:51], 1.0
	s_delay_alu instid0(VALU_DEP_1) | instskip(NEXT) | instid1(VALU_DEP_1)
	v_fma_f64 v[50:51], v[50:51], v[52:53], v[50:51]
	v_fma_f64 v[52:53], -v[48:49], v[50:51], 1.0
	s_delay_alu instid0(VALU_DEP_1) | instskip(NEXT) | instid1(VALU_DEP_1)
	v_fma_f64 v[50:51], v[50:51], v[52:53], v[50:51]
	v_mul_f64 v[52:53], v[54:55], v[50:51]
	s_delay_alu instid0(VALU_DEP_1) | instskip(NEXT) | instid1(VALU_DEP_1)
	v_fma_f64 v[48:49], -v[48:49], v[52:53], v[54:55]
	v_div_fmas_f64 v[48:49], v[48:49], v[50:51], v[52:53]
	s_delay_alu instid0(VALU_DEP_1) | instskip(NEXT) | instid1(VALU_DEP_1)
	v_div_fixup_f64 v[48:49], v[48:49], v[136:137], v[138:139]
	v_fma_f64 v[50:51], v[138:139], v[48:49], v[136:137]
	s_delay_alu instid0(VALU_DEP_1) | instskip(NEXT) | instid1(VALU_DEP_1)
	v_div_scale_f64 v[52:53], null, v[50:51], v[50:51], 1.0
	v_rcp_f64_e32 v[54:55], v[52:53]
	s_waitcnt_depctr 0xfff
	v_fma_f64 v[104:105], -v[52:53], v[54:55], 1.0
	s_delay_alu instid0(VALU_DEP_1) | instskip(NEXT) | instid1(VALU_DEP_1)
	v_fma_f64 v[54:55], v[54:55], v[104:105], v[54:55]
	v_fma_f64 v[104:105], -v[52:53], v[54:55], 1.0
	s_delay_alu instid0(VALU_DEP_1) | instskip(SKIP_1) | instid1(VALU_DEP_1)
	v_fma_f64 v[54:55], v[54:55], v[104:105], v[54:55]
	v_div_scale_f64 v[104:105], vcc_lo, 1.0, v[50:51], 1.0
	v_mul_f64 v[106:107], v[104:105], v[54:55]
	s_delay_alu instid0(VALU_DEP_1) | instskip(NEXT) | instid1(VALU_DEP_1)
	v_fma_f64 v[52:53], -v[52:53], v[106:107], v[104:105]
	v_div_fmas_f64 v[52:53], v[52:53], v[54:55], v[106:107]
	s_delay_alu instid0(VALU_DEP_1) | instskip(NEXT) | instid1(VALU_DEP_1)
	v_div_fixup_f64 v[136:137], v[52:53], v[50:51], 1.0
	v_mul_f64 v[138:139], v[48:49], -v[136:137]
.LBB66_51:
	s_or_b32 exec_lo, exec_lo, s2
.LBB66_52:
	s_delay_alu instid0(SALU_CYCLE_1) | instskip(NEXT) | instid1(SALU_CYCLE_1)
	s_or_b32 exec_lo, exec_lo, s3
	s_mov_b32 s2, exec_lo
	v_cmpx_ne_u32_e64 v178, v144
	s_xor_b32 s2, exec_lo, s2
	s_cbranch_execz .LBB66_58
; %bb.53:
	s_mov_b32 s3, exec_lo
	v_cmpx_eq_u32_e32 2, v178
	s_cbranch_execz .LBB66_57
; %bb.54:
	v_cmp_ne_u32_e32 vcc_lo, 2, v144
	s_xor_b32 s6, s4, -1
	s_delay_alu instid0(SALU_CYCLE_1) | instskip(NEXT) | instid1(SALU_CYCLE_1)
	s_and_b32 s7, s6, vcc_lo
	s_and_saveexec_b32 s6, s7
	s_cbranch_execz .LBB66_56
; %bb.55:
	scratch_load_b64 v[52:53], off, off offset:32 ; 8-byte Folded Reload
	v_ashrrev_i32_e32 v145, 31, v144
	s_delay_alu instid0(VALU_DEP_1) | instskip(SKIP_1) | instid1(VALU_DEP_1)
	v_lshlrev_b64 v[48:49], 2, v[144:145]
	s_waitcnt vmcnt(0)
	v_add_co_u32 v48, vcc_lo, v52, v48
	s_delay_alu instid0(VALU_DEP_2)
	v_add_co_ci_u32_e32 v49, vcc_lo, v53, v49, vcc_lo
	s_clause 0x1
	flat_load_b32 v50, v[48:49]
	flat_load_b32 v51, v[52:53] offset:8
	s_waitcnt vmcnt(1) lgkmcnt(1)
	flat_store_b32 v[52:53], v50 offset:8
	s_waitcnt vmcnt(0) lgkmcnt(1)
	flat_store_b32 v[48:49], v51
.LBB66_56:
	s_or_b32 exec_lo, exec_lo, s6
	v_mov_b32_e32 v178, v144
	v_mov_b32_e32 v172, v144
.LBB66_57:
	s_or_b32 exec_lo, exec_lo, s3
.LBB66_58:
	s_and_not1_saveexec_b32 s2, s2
	s_cbranch_execz .LBB66_60
; %bb.59:
	ds_store_2addr_b64 v176, v[108:109], v[110:111] offset0:6 offset1:7
	ds_store_2addr_b64 v176, v[132:133], v[134:135] offset0:8 offset1:9
	;; [unrolled: 1-line block ×6, first 2 shown]
	scratch_load_b128 v[0:3], off, off      ; 16-byte Folded Reload
	v_mov_b32_e32 v178, 2
	s_waitcnt vmcnt(0)
	ds_store_2addr_b64 v176, v[0:1], v[2:3] offset0:18 offset1:19
	ds_store_2addr_b64 v176, v[116:117], v[118:119] offset0:20 offset1:21
	;; [unrolled: 1-line block ×25, first 2 shown]
.LBB66_60:
	s_or_b32 exec_lo, exec_lo, s2
	s_delay_alu instid0(SALU_CYCLE_1)
	s_mov_b32 s2, exec_lo
	s_waitcnt lgkmcnt(0)
	s_waitcnt_vscnt null, 0x0
	s_barrier
	buffer_gl0_inv
	v_cmpx_lt_i32_e32 2, v178
	s_cbranch_execz .LBB66_62
; %bb.61:
	scratch_load_b128 v[0:3], off, off offset:16 ; 16-byte Folded Reload
	v_dual_mov_b32 v100, v243 :: v_dual_mov_b32 v101, v244
	v_dual_mov_b32 v102, v245 :: v_dual_mov_b32 v103, v246
	s_waitcnt vmcnt(0)
	v_mul_f64 v[48:49], v[138:139], v[2:3]
	s_delay_alu instid0(VALU_DEP_1) | instskip(SKIP_1) | instid1(VALU_DEP_1)
	v_fma_f64 v[144:145], v[136:137], v[0:1], -v[48:49]
	v_mul_f64 v[48:49], v[136:137], v[2:3]
	v_fma_f64 v[2:3], v[138:139], v[0:1], v[48:49]
	ds_load_2addr_b64 v[136:139], v176 offset0:6 offset1:7
	ds_load_2addr_b64 v[146:149], v176 offset0:8 offset1:9
	s_waitcnt lgkmcnt(1)
	v_mul_f64 v[48:49], v[138:139], v[2:3]
	s_waitcnt lgkmcnt(0)
	v_mul_f64 v[52:53], v[148:149], v[2:3]
	v_mul_f64 v[50:51], v[136:137], v[2:3]
	;; [unrolled: 1-line block ×3, first 2 shown]
	s_delay_alu instid0(VALU_DEP_4) | instskip(NEXT) | instid1(VALU_DEP_4)
	v_fma_f64 v[0:1], v[136:137], v[144:145], -v[48:49]
	v_fma_f64 v[48:49], v[146:147], v[144:145], -v[52:53]
	s_delay_alu instid0(VALU_DEP_3)
	v_fma_f64 v[54:55], v[148:149], v[144:145], v[54:55]
	s_clause 0x1
	scratch_store_b64 off, v[0:1], off offset:16
	scratch_store_b64 off, v[48:49], off offset:84
	v_fma_f64 v[0:1], v[138:139], v[144:145], v[50:51]
	ds_load_2addr_b64 v[136:139], v176 offset0:10 offset1:11
	ds_load_2addr_b64 v[146:149], v176 offset0:12 offset1:13
	v_dual_mov_b32 v51, v7 :: v_dual_mov_b32 v50, v6
	v_dual_mov_b32 v49, v5 :: v_dual_mov_b32 v48, v4
	;; [unrolled: 1-line block ×9, first 2 shown]
	s_waitcnt lgkmcnt(1)
	v_mul_f64 v[104:105], v[138:139], v[2:3]
	v_mul_f64 v[106:107], v[136:137], v[2:3]
	s_waitcnt lgkmcnt(0)
	v_mul_f64 v[124:125], v[148:149], v[2:3]
	v_mul_f64 v[126:127], v[146:147], v[2:3]
	v_dual_mov_b32 v18, v22 :: v_dual_mov_b32 v19, v23
	v_dual_mov_b32 v20, v24 :: v_dual_mov_b32 v21, v25
	;; [unrolled: 1-line block ×17, first 2 shown]
	v_fma_f64 v[104:105], v[136:137], v[144:145], -v[104:105]
	v_fma_f64 v[106:107], v[138:139], v[144:145], v[106:107]
	v_fma_f64 v[124:125], v[146:147], v[144:145], -v[124:125]
	v_fma_f64 v[126:127], v[148:149], v[144:145], v[126:127]
	ds_load_2addr_b64 v[136:139], v176 offset0:14 offset1:15
	ds_load_2addr_b64 v[146:149], v176 offset0:16 offset1:17
	v_dual_mov_b32 v60, v64 :: v_dual_mov_b32 v61, v65
	v_dual_mov_b32 v62, v66 :: v_dual_mov_b32 v63, v67
	;; [unrolled: 1-line block ×4, first 2 shown]
	v_add_f64 v[110:111], v[110:111], -v[0:1]
	v_add_f64 v[134:135], v[134:135], -v[54:55]
	s_waitcnt lgkmcnt(1)
	v_mul_f64 v[128:129], v[138:139], v[2:3]
	v_mul_f64 v[130:131], v[136:137], v[2:3]
	v_add_f64 v[247:248], v[247:248], -v[104:105]
	v_add_f64 v[249:250], v[249:250], -v[106:107]
	;; [unrolled: 1-line block ×4, first 2 shown]
	v_fma_f64 v[128:129], v[136:137], v[144:145], -v[128:129]
	s_waitcnt lgkmcnt(0)
	v_mul_f64 v[136:137], v[148:149], v[2:3]
	v_fma_f64 v[130:131], v[138:139], v[144:145], v[130:131]
	s_delay_alu instid0(VALU_DEP_3) | instskip(NEXT) | instid1(VALU_DEP_3)
	v_add_f64 v[88:89], v[88:89], -v[128:129]
	v_fma_f64 v[140:141], v[146:147], v[144:145], -v[136:137]
	v_mul_f64 v[136:137], v[146:147], v[2:3]
	s_delay_alu instid0(VALU_DEP_4) | instskip(NEXT) | instid1(VALU_DEP_3)
	v_add_f64 v[90:91], v[90:91], -v[130:131]
	v_add_f64 v[251:252], v[251:252], -v[140:141]
	s_delay_alu instid0(VALU_DEP_3)
	v_fma_f64 v[142:143], v[148:149], v[144:145], v[136:137]
	ds_load_2addr_b64 v[136:139], v176 offset0:18 offset1:19
	ds_load_2addr_b64 v[146:149], v176 offset0:20 offset1:21
	s_waitcnt lgkmcnt(1)
	v_mul_f64 v[150:151], v[138:139], v[2:3]
	v_add_f64 v[253:254], v[253:254], -v[142:143]
	s_delay_alu instid0(VALU_DEP_2) | instskip(SKIP_1) | instid1(VALU_DEP_1)
	v_fma_f64 v[150:151], v[136:137], v[144:145], -v[150:151]
	v_mul_f64 v[136:137], v[136:137], v[2:3]
	v_fma_f64 v[152:153], v[138:139], v[144:145], v[136:137]
	s_waitcnt lgkmcnt(0)
	v_mul_f64 v[136:137], v[148:149], v[2:3]
	s_delay_alu instid0(VALU_DEP_1) | instskip(SKIP_1) | instid1(VALU_DEP_2)
	v_fma_f64 v[154:155], v[146:147], v[144:145], -v[136:137]
	v_mul_f64 v[136:137], v[146:147], v[2:3]
	v_add_f64 v[116:117], v[116:117], -v[154:155]
	s_delay_alu instid0(VALU_DEP_2)
	v_fma_f64 v[156:157], v[148:149], v[144:145], v[136:137]
	ds_load_2addr_b64 v[136:139], v176 offset0:22 offset1:23
	ds_load_2addr_b64 v[146:149], v176 offset0:24 offset1:25
	s_waitcnt lgkmcnt(1)
	v_mul_f64 v[158:159], v[138:139], v[2:3]
	v_add_f64 v[118:119], v[118:119], -v[156:157]
	s_delay_alu instid0(VALU_DEP_2) | instskip(SKIP_1) | instid1(VALU_DEP_2)
	v_fma_f64 v[158:159], v[136:137], v[144:145], -v[158:159]
	v_mul_f64 v[136:137], v[136:137], v[2:3]
	v_add_f64 v[112:113], v[112:113], -v[158:159]
	s_delay_alu instid0(VALU_DEP_2) | instskip(SKIP_2) | instid1(VALU_DEP_2)
	v_fma_f64 v[160:161], v[138:139], v[144:145], v[136:137]
	s_waitcnt lgkmcnt(0)
	v_mul_f64 v[136:137], v[148:149], v[2:3]
	v_add_f64 v[114:115], v[114:115], -v[160:161]
	s_delay_alu instid0(VALU_DEP_2) | instskip(SKIP_1) | instid1(VALU_DEP_2)
	v_fma_f64 v[162:163], v[146:147], v[144:145], -v[136:137]
	v_mul_f64 v[136:137], v[146:147], v[2:3]
	v_add_f64 v[96:97], v[96:97], -v[162:163]
	s_delay_alu instid0(VALU_DEP_2)
	v_fma_f64 v[164:165], v[148:149], v[144:145], v[136:137]
	ds_load_2addr_b64 v[136:139], v176 offset0:26 offset1:27
	ds_load_2addr_b64 v[146:149], v176 offset0:28 offset1:29
	s_waitcnt lgkmcnt(1)
	v_mul_f64 v[166:167], v[138:139], v[2:3]
	v_add_f64 v[98:99], v[98:99], -v[164:165]
	s_delay_alu instid0(VALU_DEP_2) | instskip(SKIP_1) | instid1(VALU_DEP_2)
	v_fma_f64 v[166:167], v[136:137], v[144:145], -v[166:167]
	v_mul_f64 v[136:137], v[136:137], v[2:3]
	v_add_f64 v[92:93], v[92:93], -v[166:167]
	s_delay_alu instid0(VALU_DEP_2) | instskip(SKIP_2) | instid1(VALU_DEP_2)
	v_fma_f64 v[168:169], v[138:139], v[144:145], v[136:137]
	s_waitcnt lgkmcnt(0)
	v_mul_f64 v[136:137], v[148:149], v[2:3]
	v_add_f64 v[94:95], v[94:95], -v[168:169]
	s_delay_alu instid0(VALU_DEP_2) | instskip(SKIP_1) | instid1(VALU_DEP_2)
	;; [unrolled: 20-line block ×9, first 2 shown]
	v_fma_f64 v[233:234], v[146:147], v[144:145], -v[136:137]
	v_mul_f64 v[136:137], v[146:147], v[2:3]
	v_add_f64 v[16:17], v[16:17], -v[233:234]
	s_delay_alu instid0(VALU_DEP_2)
	v_fma_f64 v[235:236], v[148:149], v[144:145], v[136:137]
	ds_load_2addr_b64 v[136:139], v176 offset0:58 offset1:59
	ds_load_2addr_b64 v[146:149], v176 offset0:60 offset1:61
	scratch_load_b128 v[68:71], off, off    ; 16-byte Folded Reload
	s_waitcnt lgkmcnt(1)
	v_mul_f64 v[237:238], v[138:139], v[2:3]
	v_add_f64 v[18:19], v[18:19], -v[235:236]
	s_delay_alu instid0(VALU_DEP_2) | instskip(SKIP_1) | instid1(VALU_DEP_2)
	v_fma_f64 v[237:238], v[136:137], v[144:145], -v[237:238]
	v_mul_f64 v[136:137], v[136:137], v[2:3]
	v_add_f64 v[12:13], v[12:13], -v[237:238]
	s_delay_alu instid0(VALU_DEP_2) | instskip(SKIP_2) | instid1(VALU_DEP_2)
	v_fma_f64 v[239:240], v[138:139], v[144:145], v[136:137]
	s_waitcnt lgkmcnt(0)
	v_mul_f64 v[136:137], v[148:149], v[2:3]
	v_add_f64 v[14:15], v[14:15], -v[239:240]
	s_delay_alu instid0(VALU_DEP_2) | instskip(SKIP_1) | instid1(VALU_DEP_2)
	v_fma_f64 v[241:242], v[146:147], v[144:145], -v[136:137]
	v_mul_f64 v[136:137], v[146:147], v[2:3]
	v_add_f64 v[8:9], v[8:9], -v[241:242]
	s_delay_alu instid0(VALU_DEP_2)
	v_fma_f64 v[243:244], v[148:149], v[144:145], v[136:137]
	ds_load_2addr_b64 v[136:139], v176 offset0:62 offset1:63
	ds_load_2addr_b64 v[146:149], v176 offset0:64 offset1:65
	scratch_load_b64 v[0:1], off, off offset:84 ; 8-byte Folded Reload
	s_waitcnt lgkmcnt(1)
	v_mul_f64 v[245:246], v[138:139], v[2:3]
	v_add_f64 v[10:11], v[10:11], -v[243:244]
	s_delay_alu instid0(VALU_DEP_2) | instskip(SKIP_1) | instid1(VALU_DEP_2)
	v_fma_f64 v[245:246], v[136:137], v[144:145], -v[245:246]
	v_mul_f64 v[136:137], v[136:137], v[2:3]
	v_add_f64 v[4:5], v[4:5], -v[245:246]
	s_delay_alu instid0(VALU_DEP_2) | instskip(SKIP_4) | instid1(VALU_DEP_3)
	v_fma_f64 v[52:53], v[138:139], v[144:145], v[136:137]
	s_waitcnt lgkmcnt(0)
	v_mul_f64 v[136:137], v[148:149], v[2:3]
	v_dual_mov_b32 v246, v103 :: v_dual_mov_b32 v245, v102
	v_dual_mov_b32 v244, v101 :: v_dual_mov_b32 v243, v100
	v_fma_f64 v[174:175], v[146:147], v[144:145], -v[136:137]
	v_mul_f64 v[136:137], v[146:147], v[2:3]
	s_waitcnt vmcnt(1)
	v_add_f64 v[68:69], v[68:69], -v[150:151]
	v_add_f64 v[70:71], v[70:71], -v[152:153]
	s_delay_alu instid0(VALU_DEP_3)
	v_fma_f64 v[146:147], v[148:149], v[144:145], v[136:137]
	ds_load_2addr_b64 v[136:139], v176 offset0:66 offset1:67
	scratch_store_b128 off, v[68:71], off   ; 16-byte Folded Spill
	v_dual_mov_b32 v71, v67 :: v_dual_mov_b32 v70, v66
	v_dual_mov_b32 v69, v65 :: v_dual_mov_b32 v68, v64
	v_dual_mov_b32 v67, v63 :: v_dual_mov_b32 v66, v62
	v_dual_mov_b32 v65, v61 :: v_dual_mov_b32 v64, v60
	v_dual_mov_b32 v63, v59 :: v_dual_mov_b32 v62, v58
	s_waitcnt lgkmcnt(0)
	v_mul_f64 v[148:149], v[138:139], v[2:3]
	v_dual_mov_b32 v61, v57 :: v_dual_mov_b32 v60, v56
	v_dual_mov_b32 v59, v47 :: v_dual_mov_b32 v58, v46
	;; [unrolled: 1-line block ×19, first 2 shown]
	v_fma_f64 v[148:149], v[136:137], v[144:145], -v[148:149]
	v_mul_f64 v[136:137], v[136:137], v[2:3]
	v_dual_mov_b32 v15, v11 :: v_dual_mov_b32 v14, v10
	v_dual_mov_b32 v13, v9 :: v_dual_mov_b32 v12, v8
	;; [unrolled: 1-line block ×6, first 2 shown]
	s_delay_alu instid0(VALU_DEP_4) | instskip(NEXT) | instid1(VALU_DEP_3)
	v_add_f64 v[10:11], v[10:11], -v[52:53]
	v_add_f64 v[4:5], v[4:5], -v[174:175]
	scratch_load_b32 v174, off, off offset:80 ; 4-byte Folded Reload
	v_add_f64 v[6:7], v[6:7], -v[146:147]
	v_add_f64 v[243:244], v[243:244], -v[148:149]
	v_fma_f64 v[136:137], v[138:139], v[144:145], v[136:137]
	scratch_load_b64 v[138:139], off, off offset:16 ; 8-byte Folded Reload
	v_add_f64 v[245:246], v[245:246], -v[136:137]
	s_waitcnt vmcnt(2)
	v_add_f64 v[132:133], v[132:133], -v[0:1]
	v_dual_mov_b32 v0, v144 :: v_dual_mov_b32 v1, v145
	scratch_store_b128 off, v[0:3], off offset:16 ; 16-byte Folded Spill
	s_waitcnt vmcnt(0)
	v_add_f64 v[108:109], v[108:109], -v[138:139]
.LBB66_62:
	s_or_b32 exec_lo, exec_lo, s2
	v_lshl_add_u32 v48, v178, 4, v176
	s_waitcnt_vscnt null, 0x0
	s_barrier
	buffer_gl0_inv
	v_mov_b32_e32 v144, 3
	ds_store_2addr_b64 v48, v[108:109], v[110:111] offset1:1
	s_waitcnt lgkmcnt(0)
	s_barrier
	buffer_gl0_inv
	ds_load_2addr_b64 v[136:139], v176 offset0:6 offset1:7
	s_cmp_lt_i32 s5, 5
	s_mov_b32 s6, 4
	s_cbranch_scc1 .LBB66_65
; %bb.63:
	v_add3_u32 v145, v174, 0, 64
	v_mov_b32_e32 v144, 3
	s_set_inst_prefetch_distance 0x1
	.p2align	6
.LBB66_64:                              ; =>This Inner Loop Header: Depth=1
	ds_load_2addr_b64 v[146:149], v145 offset1:1
	s_waitcnt lgkmcnt(1)
	v_cmp_gt_f64_e32 vcc_lo, 0, v[136:137]
	v_xor_b32_e32 v48, 0x80000000, v137
	v_cmp_gt_f64_e64 s2, 0, v[138:139]
	v_xor_b32_e32 v50, 0x80000000, v139
	v_add_nc_u32_e32 v145, 16, v145
	s_waitcnt lgkmcnt(0)
	v_cmp_gt_f64_e64 s3, 0, v[146:147]
	v_mov_b32_e32 v52, v146
	v_dual_mov_b32 v54, v148 :: v_dual_cndmask_b32 v49, v137, v48
	v_xor_b32_e32 v48, 0x80000000, v147
	v_cndmask_b32_e64 v51, v139, v50, s2
	v_xor_b32_e32 v50, 0x80000000, v149
	s_delay_alu instid0(VALU_DEP_3) | instskip(SKIP_2) | instid1(VALU_DEP_2)
	v_cndmask_b32_e64 v53, v147, v48, s3
	v_cmp_gt_f64_e64 s3, 0, v[148:149]
	v_cndmask_b32_e32 v48, v136, v136, vcc_lo
	v_cndmask_b32_e64 v55, v149, v50, s3
	v_cndmask_b32_e64 v50, v138, v138, s2
	s_delay_alu instid0(VALU_DEP_2) | instskip(NEXT) | instid1(VALU_DEP_2)
	v_add_f64 v[52:53], v[52:53], v[54:55]
	v_add_f64 v[48:49], v[48:49], v[50:51]
	s_delay_alu instid0(VALU_DEP_1)
	v_cmp_lt_f64_e32 vcc_lo, v[48:49], v[52:53]
	v_cndmask_b32_e32 v139, v139, v149, vcc_lo
	v_dual_cndmask_b32 v137, v137, v147 :: v_dual_cndmask_b32 v136, v136, v146
	v_cndmask_b32_e32 v138, v138, v148, vcc_lo
	v_cndmask_b32_e64 v144, v144, s6, vcc_lo
	s_add_i32 s6, s6, 1
	s_delay_alu instid0(SALU_CYCLE_1)
	s_cmp_lg_u32 s5, s6
	s_cbranch_scc1 .LBB66_64
.LBB66_65:
	s_set_inst_prefetch_distance 0x2
	s_waitcnt lgkmcnt(0)
	v_cmp_eq_f64_e32 vcc_lo, 0, v[136:137]
	v_cmp_eq_f64_e64 s2, 0, v[138:139]
	s_delay_alu instid0(VALU_DEP_1) | instskip(NEXT) | instid1(SALU_CYCLE_1)
	s_and_b32 s2, vcc_lo, s2
	s_and_saveexec_b32 s3, s2
	s_delay_alu instid0(SALU_CYCLE_1)
	s_xor_b32 s2, exec_lo, s3
; %bb.66:
	v_cmp_ne_u32_e32 vcc_lo, 0, v255
	v_cndmask_b32_e32 v255, 4, v255, vcc_lo
; %bb.67:
	s_and_not1_saveexec_b32 s3, s2
	s_cbranch_execz .LBB66_73
; %bb.68:
	v_cmp_gt_f64_e32 vcc_lo, 0, v[136:137]
	v_cmp_gt_f64_e64 s2, 0, v[138:139]
	v_xor_b32_e32 v48, 0x80000000, v137
	v_xor_b32_e32 v50, 0x80000000, v139
	s_delay_alu instid0(VALU_DEP_2) | instskip(NEXT) | instid1(VALU_DEP_2)
	v_cndmask_b32_e32 v49, v137, v48, vcc_lo
	v_cndmask_b32_e64 v51, v139, v50, s2
	v_cndmask_b32_e32 v48, v136, v136, vcc_lo
	v_cndmask_b32_e64 v50, v138, v138, s2
	s_mov_b32 s2, exec_lo
	s_delay_alu instid0(VALU_DEP_1)
	v_cmpx_ngt_f64_e32 v[48:49], v[50:51]
	s_xor_b32 s2, exec_lo, s2
	s_cbranch_execz .LBB66_70
; %bb.69:
	v_div_scale_f64 v[48:49], null, v[138:139], v[138:139], v[136:137]
	v_div_scale_f64 v[54:55], vcc_lo, v[136:137], v[138:139], v[136:137]
	s_delay_alu instid0(VALU_DEP_2) | instskip(SKIP_2) | instid1(VALU_DEP_1)
	v_rcp_f64_e32 v[50:51], v[48:49]
	s_waitcnt_depctr 0xfff
	v_fma_f64 v[52:53], -v[48:49], v[50:51], 1.0
	v_fma_f64 v[50:51], v[50:51], v[52:53], v[50:51]
	s_delay_alu instid0(VALU_DEP_1) | instskip(NEXT) | instid1(VALU_DEP_1)
	v_fma_f64 v[52:53], -v[48:49], v[50:51], 1.0
	v_fma_f64 v[50:51], v[50:51], v[52:53], v[50:51]
	s_delay_alu instid0(VALU_DEP_1) | instskip(NEXT) | instid1(VALU_DEP_1)
	v_mul_f64 v[52:53], v[54:55], v[50:51]
	v_fma_f64 v[48:49], -v[48:49], v[52:53], v[54:55]
	s_delay_alu instid0(VALU_DEP_1) | instskip(NEXT) | instid1(VALU_DEP_1)
	v_div_fmas_f64 v[48:49], v[48:49], v[50:51], v[52:53]
	v_div_fixup_f64 v[48:49], v[48:49], v[138:139], v[136:137]
	s_delay_alu instid0(VALU_DEP_1) | instskip(NEXT) | instid1(VALU_DEP_1)
	v_fma_f64 v[50:51], v[136:137], v[48:49], v[138:139]
	v_div_scale_f64 v[52:53], null, v[50:51], v[50:51], 1.0
	s_delay_alu instid0(VALU_DEP_1) | instskip(SKIP_2) | instid1(VALU_DEP_1)
	v_rcp_f64_e32 v[54:55], v[52:53]
	s_waitcnt_depctr 0xfff
	v_fma_f64 v[104:105], -v[52:53], v[54:55], 1.0
	v_fma_f64 v[54:55], v[54:55], v[104:105], v[54:55]
	s_delay_alu instid0(VALU_DEP_1) | instskip(NEXT) | instid1(VALU_DEP_1)
	v_fma_f64 v[104:105], -v[52:53], v[54:55], 1.0
	v_fma_f64 v[54:55], v[54:55], v[104:105], v[54:55]
	v_div_scale_f64 v[104:105], vcc_lo, 1.0, v[50:51], 1.0
	s_delay_alu instid0(VALU_DEP_1) | instskip(NEXT) | instid1(VALU_DEP_1)
	v_mul_f64 v[106:107], v[104:105], v[54:55]
	v_fma_f64 v[52:53], -v[52:53], v[106:107], v[104:105]
	s_delay_alu instid0(VALU_DEP_1) | instskip(NEXT) | instid1(VALU_DEP_1)
	v_div_fmas_f64 v[52:53], v[52:53], v[54:55], v[106:107]
	v_div_fixup_f64 v[138:139], v[52:53], v[50:51], 1.0
	s_delay_alu instid0(VALU_DEP_1)
	v_mul_f64 v[136:137], v[48:49], v[138:139]
	v_xor_b32_e32 v139, 0x80000000, v139
.LBB66_70:
	s_and_not1_saveexec_b32 s2, s2
	s_cbranch_execz .LBB66_72
; %bb.71:
	s_delay_alu instid0(VALU_DEP_1) | instskip(SKIP_1) | instid1(VALU_DEP_2)
	v_div_scale_f64 v[48:49], null, v[136:137], v[136:137], v[138:139]
	v_div_scale_f64 v[54:55], vcc_lo, v[138:139], v[136:137], v[138:139]
	v_rcp_f64_e32 v[50:51], v[48:49]
	s_waitcnt_depctr 0xfff
	v_fma_f64 v[52:53], -v[48:49], v[50:51], 1.0
	s_delay_alu instid0(VALU_DEP_1) | instskip(NEXT) | instid1(VALU_DEP_1)
	v_fma_f64 v[50:51], v[50:51], v[52:53], v[50:51]
	v_fma_f64 v[52:53], -v[48:49], v[50:51], 1.0
	s_delay_alu instid0(VALU_DEP_1) | instskip(NEXT) | instid1(VALU_DEP_1)
	v_fma_f64 v[50:51], v[50:51], v[52:53], v[50:51]
	v_mul_f64 v[52:53], v[54:55], v[50:51]
	s_delay_alu instid0(VALU_DEP_1) | instskip(NEXT) | instid1(VALU_DEP_1)
	v_fma_f64 v[48:49], -v[48:49], v[52:53], v[54:55]
	v_div_fmas_f64 v[48:49], v[48:49], v[50:51], v[52:53]
	s_delay_alu instid0(VALU_DEP_1) | instskip(NEXT) | instid1(VALU_DEP_1)
	v_div_fixup_f64 v[48:49], v[48:49], v[136:137], v[138:139]
	v_fma_f64 v[50:51], v[138:139], v[48:49], v[136:137]
	s_delay_alu instid0(VALU_DEP_1) | instskip(NEXT) | instid1(VALU_DEP_1)
	v_div_scale_f64 v[52:53], null, v[50:51], v[50:51], 1.0
	v_rcp_f64_e32 v[54:55], v[52:53]
	s_waitcnt_depctr 0xfff
	v_fma_f64 v[104:105], -v[52:53], v[54:55], 1.0
	s_delay_alu instid0(VALU_DEP_1) | instskip(NEXT) | instid1(VALU_DEP_1)
	v_fma_f64 v[54:55], v[54:55], v[104:105], v[54:55]
	v_fma_f64 v[104:105], -v[52:53], v[54:55], 1.0
	s_delay_alu instid0(VALU_DEP_1) | instskip(SKIP_1) | instid1(VALU_DEP_1)
	v_fma_f64 v[54:55], v[54:55], v[104:105], v[54:55]
	v_div_scale_f64 v[104:105], vcc_lo, 1.0, v[50:51], 1.0
	v_mul_f64 v[106:107], v[104:105], v[54:55]
	s_delay_alu instid0(VALU_DEP_1) | instskip(NEXT) | instid1(VALU_DEP_1)
	v_fma_f64 v[52:53], -v[52:53], v[106:107], v[104:105]
	v_div_fmas_f64 v[52:53], v[52:53], v[54:55], v[106:107]
	s_delay_alu instid0(VALU_DEP_1) | instskip(NEXT) | instid1(VALU_DEP_1)
	v_div_fixup_f64 v[136:137], v[52:53], v[50:51], 1.0
	v_mul_f64 v[138:139], v[48:49], -v[136:137]
.LBB66_72:
	s_or_b32 exec_lo, exec_lo, s2
.LBB66_73:
	s_delay_alu instid0(SALU_CYCLE_1) | instskip(NEXT) | instid1(SALU_CYCLE_1)
	s_or_b32 exec_lo, exec_lo, s3
	s_mov_b32 s2, exec_lo
	v_cmpx_ne_u32_e64 v178, v144
	s_xor_b32 s2, exec_lo, s2
	s_cbranch_execz .LBB66_79
; %bb.74:
	s_mov_b32 s3, exec_lo
	v_cmpx_eq_u32_e32 3, v178
	s_cbranch_execz .LBB66_78
; %bb.75:
	v_cmp_ne_u32_e32 vcc_lo, 3, v144
	s_xor_b32 s6, s4, -1
	s_delay_alu instid0(SALU_CYCLE_1) | instskip(NEXT) | instid1(SALU_CYCLE_1)
	s_and_b32 s7, s6, vcc_lo
	s_and_saveexec_b32 s6, s7
	s_cbranch_execz .LBB66_77
; %bb.76:
	scratch_load_b64 v[52:53], off, off offset:32 ; 8-byte Folded Reload
	v_ashrrev_i32_e32 v145, 31, v144
	s_delay_alu instid0(VALU_DEP_1) | instskip(SKIP_1) | instid1(VALU_DEP_1)
	v_lshlrev_b64 v[48:49], 2, v[144:145]
	s_waitcnt vmcnt(0)
	v_add_co_u32 v48, vcc_lo, v52, v48
	s_delay_alu instid0(VALU_DEP_2)
	v_add_co_ci_u32_e32 v49, vcc_lo, v53, v49, vcc_lo
	s_clause 0x1
	flat_load_b32 v50, v[48:49]
	flat_load_b32 v51, v[52:53] offset:12
	s_waitcnt vmcnt(1) lgkmcnt(1)
	flat_store_b32 v[52:53], v50 offset:12
	s_waitcnt vmcnt(0) lgkmcnt(1)
	flat_store_b32 v[48:49], v51
.LBB66_77:
	s_or_b32 exec_lo, exec_lo, s6
	v_mov_b32_e32 v178, v144
	v_mov_b32_e32 v172, v144
.LBB66_78:
	s_or_b32 exec_lo, exec_lo, s3
.LBB66_79:
	s_and_not1_saveexec_b32 s2, s2
	s_cbranch_execz .LBB66_81
; %bb.80:
	ds_store_2addr_b64 v176, v[132:133], v[134:135] offset0:8 offset1:9
	ds_store_2addr_b64 v176, v[247:248], v[249:250] offset0:10 offset1:11
	;; [unrolled: 1-line block ×5, first 2 shown]
	scratch_load_b128 v[0:3], off, off      ; 16-byte Folded Reload
	v_mov_b32_e32 v178, 3
	s_waitcnt vmcnt(0)
	ds_store_2addr_b64 v176, v[0:1], v[2:3] offset0:18 offset1:19
	ds_store_2addr_b64 v176, v[116:117], v[118:119] offset0:20 offset1:21
	;; [unrolled: 1-line block ×25, first 2 shown]
.LBB66_81:
	s_or_b32 exec_lo, exec_lo, s2
	s_delay_alu instid0(SALU_CYCLE_1)
	s_mov_b32 s2, exec_lo
	s_waitcnt lgkmcnt(0)
	s_waitcnt_vscnt null, 0x0
	s_barrier
	buffer_gl0_inv
	v_cmpx_lt_i32_e32 3, v178
	s_cbranch_execz .LBB66_83
; %bb.82:
	v_mul_f64 v[48:49], v[138:139], v[110:111]
	v_dual_mov_b32 v0, v4 :: v_dual_mov_b32 v1, v5
	v_dual_mov_b32 v2, v6 :: v_dual_mov_b32 v3, v7
	v_dual_mov_b32 v4, v8 :: v_dual_mov_b32 v5, v9
	v_dual_mov_b32 v6, v10 :: v_dual_mov_b32 v7, v11
	v_dual_mov_b32 v8, v12 :: v_dual_mov_b32 v9, v13
	v_dual_mov_b32 v10, v14 :: v_dual_mov_b32 v11, v15
	v_dual_mov_b32 v12, v16 :: v_dual_mov_b32 v13, v17
	v_dual_mov_b32 v14, v18 :: v_dual_mov_b32 v15, v19
	v_dual_mov_b32 v16, v20 :: v_dual_mov_b32 v17, v21
	v_dual_mov_b32 v18, v22 :: v_dual_mov_b32 v19, v23
	v_dual_mov_b32 v20, v24 :: v_dual_mov_b32 v21, v25
	v_dual_mov_b32 v22, v26 :: v_dual_mov_b32 v23, v27
	v_dual_mov_b32 v24, v28 :: v_dual_mov_b32 v25, v29
	v_dual_mov_b32 v26, v30 :: v_dual_mov_b32 v27, v31
	v_dual_mov_b32 v28, v32 :: v_dual_mov_b32 v29, v33
	v_dual_mov_b32 v30, v34 :: v_dual_mov_b32 v31, v35
	v_dual_mov_b32 v32, v36 :: v_dual_mov_b32 v33, v37
	v_dual_mov_b32 v34, v38 :: v_dual_mov_b32 v35, v39
	v_dual_mov_b32 v36, v40 :: v_dual_mov_b32 v37, v41
	v_fma_f64 v[144:145], v[136:137], v[108:109], -v[48:49]
	v_mul_f64 v[48:49], v[136:137], v[110:111]
	v_dual_mov_b32 v38, v42 :: v_dual_mov_b32 v39, v43
	v_dual_mov_b32 v40, v44 :: v_dual_mov_b32 v41, v45
	;; [unrolled: 1-line block ×13, first 2 shown]
	v_fma_f64 v[110:111], v[138:139], v[108:109], v[48:49]
	ds_load_2addr_b64 v[136:139], v176 offset0:8 offset1:9
	ds_load_2addr_b64 v[146:149], v176 offset0:10 offset1:11
	v_dual_mov_b32 v108, v144 :: v_dual_mov_b32 v109, v145
	s_waitcnt lgkmcnt(1)
	v_mul_f64 v[48:49], v[138:139], v[110:111]
	v_mul_f64 v[50:51], v[136:137], v[110:111]
	s_waitcnt lgkmcnt(0)
	v_mul_f64 v[52:53], v[148:149], v[110:111]
	v_mul_f64 v[54:55], v[146:147], v[110:111]
	s_delay_alu instid0(VALU_DEP_4) | instskip(NEXT) | instid1(VALU_DEP_4)
	v_fma_f64 v[48:49], v[136:137], v[144:145], -v[48:49]
	v_fma_f64 v[50:51], v[138:139], v[144:145], v[50:51]
	s_delay_alu instid0(VALU_DEP_4) | instskip(NEXT) | instid1(VALU_DEP_4)
	v_fma_f64 v[52:53], v[146:147], v[144:145], -v[52:53]
	v_fma_f64 v[54:55], v[148:149], v[144:145], v[54:55]
	ds_load_2addr_b64 v[136:139], v176 offset0:12 offset1:13
	ds_load_2addr_b64 v[146:149], v176 offset0:14 offset1:15
	s_waitcnt lgkmcnt(1)
	v_mul_f64 v[104:105], v[138:139], v[110:111]
	v_mul_f64 v[106:107], v[136:137], v[110:111]
	s_waitcnt lgkmcnt(0)
	v_mul_f64 v[124:125], v[148:149], v[110:111]
	v_mul_f64 v[126:127], v[146:147], v[110:111]
	v_add_f64 v[132:133], v[132:133], -v[48:49]
	v_add_f64 v[134:135], v[134:135], -v[50:51]
	;; [unrolled: 1-line block ×4, first 2 shown]
	v_fma_f64 v[104:105], v[136:137], v[144:145], -v[104:105]
	v_fma_f64 v[106:107], v[138:139], v[144:145], v[106:107]
	v_fma_f64 v[124:125], v[146:147], v[144:145], -v[124:125]
	v_fma_f64 v[126:127], v[148:149], v[144:145], v[126:127]
	ds_load_2addr_b64 v[136:139], v176 offset0:16 offset1:17
	ds_load_2addr_b64 v[146:149], v176 offset0:18 offset1:19
	s_waitcnt lgkmcnt(1)
	v_mul_f64 v[128:129], v[138:139], v[110:111]
	v_mul_f64 v[130:131], v[136:137], v[110:111]
	v_add_f64 v[120:121], v[120:121], -v[104:105]
	v_add_f64 v[122:123], v[122:123], -v[106:107]
	;; [unrolled: 1-line block ×4, first 2 shown]
	v_fma_f64 v[128:129], v[136:137], v[144:145], -v[128:129]
	s_waitcnt lgkmcnt(0)
	v_mul_f64 v[136:137], v[148:149], v[110:111]
	v_fma_f64 v[130:131], v[138:139], v[144:145], v[130:131]
	s_delay_alu instid0(VALU_DEP_3) | instskip(NEXT) | instid1(VALU_DEP_3)
	v_add_f64 v[251:252], v[251:252], -v[128:129]
	v_fma_f64 v[140:141], v[146:147], v[144:145], -v[136:137]
	v_mul_f64 v[136:137], v[146:147], v[110:111]
	s_delay_alu instid0(VALU_DEP_4) | instskip(NEXT) | instid1(VALU_DEP_2)
	v_add_f64 v[253:254], v[253:254], -v[130:131]
	v_fma_f64 v[142:143], v[148:149], v[144:145], v[136:137]
	ds_load_2addr_b64 v[136:139], v176 offset0:20 offset1:21
	ds_load_2addr_b64 v[146:149], v176 offset0:22 offset1:23
	s_waitcnt lgkmcnt(1)
	v_mul_f64 v[150:151], v[138:139], v[110:111]
	s_delay_alu instid0(VALU_DEP_1) | instskip(SKIP_1) | instid1(VALU_DEP_2)
	v_fma_f64 v[150:151], v[136:137], v[144:145], -v[150:151]
	v_mul_f64 v[136:137], v[136:137], v[110:111]
	v_add_f64 v[116:117], v[116:117], -v[150:151]
	s_delay_alu instid0(VALU_DEP_2) | instskip(SKIP_2) | instid1(VALU_DEP_2)
	v_fma_f64 v[152:153], v[138:139], v[144:145], v[136:137]
	s_waitcnt lgkmcnt(0)
	v_mul_f64 v[136:137], v[148:149], v[110:111]
	v_add_f64 v[118:119], v[118:119], -v[152:153]
	s_delay_alu instid0(VALU_DEP_2) | instskip(SKIP_1) | instid1(VALU_DEP_2)
	v_fma_f64 v[154:155], v[146:147], v[144:145], -v[136:137]
	v_mul_f64 v[136:137], v[146:147], v[110:111]
	v_add_f64 v[112:113], v[112:113], -v[154:155]
	s_delay_alu instid0(VALU_DEP_2)
	v_fma_f64 v[156:157], v[148:149], v[144:145], v[136:137]
	ds_load_2addr_b64 v[136:139], v176 offset0:24 offset1:25
	ds_load_2addr_b64 v[146:149], v176 offset0:26 offset1:27
	s_waitcnt lgkmcnt(1)
	v_mul_f64 v[158:159], v[138:139], v[110:111]
	v_add_f64 v[114:115], v[114:115], -v[156:157]
	s_delay_alu instid0(VALU_DEP_2) | instskip(SKIP_1) | instid1(VALU_DEP_2)
	v_fma_f64 v[158:159], v[136:137], v[144:145], -v[158:159]
	v_mul_f64 v[136:137], v[136:137], v[110:111]
	v_add_f64 v[96:97], v[96:97], -v[158:159]
	s_delay_alu instid0(VALU_DEP_2) | instskip(SKIP_2) | instid1(VALU_DEP_2)
	v_fma_f64 v[160:161], v[138:139], v[144:145], v[136:137]
	s_waitcnt lgkmcnt(0)
	v_mul_f64 v[136:137], v[148:149], v[110:111]
	v_add_f64 v[98:99], v[98:99], -v[160:161]
	s_delay_alu instid0(VALU_DEP_2) | instskip(SKIP_1) | instid1(VALU_DEP_2)
	v_fma_f64 v[162:163], v[146:147], v[144:145], -v[136:137]
	v_mul_f64 v[136:137], v[146:147], v[110:111]
	v_add_f64 v[92:93], v[92:93], -v[162:163]
	s_delay_alu instid0(VALU_DEP_2)
	v_fma_f64 v[164:165], v[148:149], v[144:145], v[136:137]
	ds_load_2addr_b64 v[136:139], v176 offset0:28 offset1:29
	ds_load_2addr_b64 v[146:149], v176 offset0:30 offset1:31
	s_waitcnt lgkmcnt(1)
	v_mul_f64 v[166:167], v[138:139], v[110:111]
	v_add_f64 v[94:95], v[94:95], -v[164:165]
	s_delay_alu instid0(VALU_DEP_2) | instskip(SKIP_1) | instid1(VALU_DEP_2)
	;; [unrolled: 20-line block ×9, first 2 shown]
	v_fma_f64 v[229:230], v[136:137], v[144:145], -v[229:230]
	v_mul_f64 v[136:137], v[136:137], v[110:111]
	v_add_f64 v[16:17], v[16:17], -v[229:230]
	s_delay_alu instid0(VALU_DEP_2) | instskip(SKIP_2) | instid1(VALU_DEP_2)
	v_fma_f64 v[231:232], v[138:139], v[144:145], v[136:137]
	s_waitcnt lgkmcnt(0)
	v_mul_f64 v[136:137], v[148:149], v[110:111]
	v_add_f64 v[18:19], v[18:19], -v[231:232]
	s_delay_alu instid0(VALU_DEP_2) | instskip(SKIP_1) | instid1(VALU_DEP_2)
	v_fma_f64 v[233:234], v[146:147], v[144:145], -v[136:137]
	v_mul_f64 v[136:137], v[146:147], v[110:111]
	v_add_f64 v[12:13], v[12:13], -v[233:234]
	s_delay_alu instid0(VALU_DEP_2)
	v_fma_f64 v[235:236], v[148:149], v[144:145], v[136:137]
	ds_load_2addr_b64 v[136:139], v176 offset0:60 offset1:61
	ds_load_2addr_b64 v[146:149], v176 offset0:62 offset1:63
	scratch_load_b128 v[68:71], off, off    ; 16-byte Folded Reload
	s_waitcnt lgkmcnt(1)
	v_mul_f64 v[237:238], v[138:139], v[110:111]
	v_add_f64 v[14:15], v[14:15], -v[235:236]
	s_delay_alu instid0(VALU_DEP_2) | instskip(SKIP_1) | instid1(VALU_DEP_2)
	v_fma_f64 v[237:238], v[136:137], v[144:145], -v[237:238]
	v_mul_f64 v[136:137], v[136:137], v[110:111]
	v_add_f64 v[8:9], v[8:9], -v[237:238]
	s_delay_alu instid0(VALU_DEP_2) | instskip(SKIP_2) | instid1(VALU_DEP_2)
	v_fma_f64 v[239:240], v[138:139], v[144:145], v[136:137]
	s_waitcnt lgkmcnt(0)
	v_mul_f64 v[136:137], v[148:149], v[110:111]
	v_add_f64 v[10:11], v[10:11], -v[239:240]
	s_delay_alu instid0(VALU_DEP_2) | instskip(SKIP_1) | instid1(VALU_DEP_2)
	v_fma_f64 v[241:242], v[146:147], v[144:145], -v[136:137]
	v_mul_f64 v[136:137], v[146:147], v[110:111]
	v_add_f64 v[4:5], v[4:5], -v[241:242]
	s_delay_alu instid0(VALU_DEP_2)
	v_fma_f64 v[243:244], v[148:149], v[144:145], v[136:137]
	ds_load_2addr_b64 v[136:139], v176 offset0:64 offset1:65
	ds_load_2addr_b64 v[146:149], v176 offset0:66 offset1:67
	s_waitcnt lgkmcnt(1)
	v_mul_f64 v[245:246], v[138:139], v[110:111]
	v_add_f64 v[6:7], v[6:7], -v[243:244]
	s_delay_alu instid0(VALU_DEP_2) | instskip(SKIP_1) | instid1(VALU_DEP_2)
	v_fma_f64 v[245:246], v[136:137], v[144:145], -v[245:246]
	v_mul_f64 v[136:137], v[136:137], v[110:111]
	v_add_f64 v[0:1], v[0:1], -v[245:246]
	s_delay_alu instid0(VALU_DEP_2) | instskip(SKIP_4) | instid1(VALU_DEP_3)
	v_fma_f64 v[136:137], v[138:139], v[144:145], v[136:137]
	s_waitcnt lgkmcnt(0)
	v_mul_f64 v[138:139], v[148:149], v[110:111]
	v_dual_mov_b32 v246, v103 :: v_dual_mov_b32 v245, v102
	v_dual_mov_b32 v244, v101 :: v_dual_mov_b32 v243, v100
	v_fma_f64 v[138:139], v[146:147], v[144:145], -v[138:139]
	v_mul_f64 v[146:147], v[146:147], v[110:111]
	s_waitcnt vmcnt(0)
	v_add_f64 v[68:69], v[68:69], -v[140:141]
	v_add_f64 v[70:71], v[70:71], -v[142:143]
	s_delay_alu instid0(VALU_DEP_4) | instskip(NEXT) | instid1(VALU_DEP_4)
	v_add_f64 v[243:244], v[243:244], -v[138:139]
	v_fma_f64 v[146:147], v[148:149], v[144:145], v[146:147]
	scratch_store_b128 off, v[68:71], off   ; 16-byte Folded Spill
	v_dual_mov_b32 v71, v67 :: v_dual_mov_b32 v70, v66
	v_dual_mov_b32 v69, v65 :: v_dual_mov_b32 v68, v64
	;; [unrolled: 1-line block ×29, first 2 shown]
	v_add_f64 v[245:246], v[245:246], -v[146:147]
	v_dual_mov_b32 v5, v1 :: v_dual_mov_b32 v4, v0
	s_delay_alu instid0(VALU_DEP_3)
	v_add_f64 v[6:7], v[6:7], -v[136:137]
.LBB66_83:
	s_or_b32 exec_lo, exec_lo, s2
	v_lshl_add_u32 v48, v178, 4, v176
	s_waitcnt_vscnt null, 0x0
	s_barrier
	buffer_gl0_inv
	v_mov_b32_e32 v144, 4
	ds_store_2addr_b64 v48, v[132:133], v[134:135] offset1:1
	s_waitcnt lgkmcnt(0)
	s_barrier
	buffer_gl0_inv
	ds_load_2addr_b64 v[136:139], v176 offset0:8 offset1:9
	s_cmp_lt_i32 s5, 6
	s_cbranch_scc1 .LBB66_86
; %bb.84:
	v_add3_u32 v145, v174, 0, 0x50
	v_mov_b32_e32 v144, 4
	s_mov_b32 s6, 5
	s_set_inst_prefetch_distance 0x1
	.p2align	6
.LBB66_85:                              ; =>This Inner Loop Header: Depth=1
	ds_load_2addr_b64 v[146:149], v145 offset1:1
	s_waitcnt lgkmcnt(1)
	v_cmp_gt_f64_e32 vcc_lo, 0, v[136:137]
	v_xor_b32_e32 v48, 0x80000000, v137
	v_cmp_gt_f64_e64 s2, 0, v[138:139]
	v_xor_b32_e32 v50, 0x80000000, v139
	v_add_nc_u32_e32 v145, 16, v145
	s_waitcnt lgkmcnt(0)
	v_cmp_gt_f64_e64 s3, 0, v[146:147]
	v_mov_b32_e32 v52, v146
	v_dual_mov_b32 v54, v148 :: v_dual_cndmask_b32 v49, v137, v48
	v_xor_b32_e32 v48, 0x80000000, v147
	v_cndmask_b32_e64 v51, v139, v50, s2
	v_xor_b32_e32 v50, 0x80000000, v149
	s_delay_alu instid0(VALU_DEP_3) | instskip(SKIP_2) | instid1(VALU_DEP_2)
	v_cndmask_b32_e64 v53, v147, v48, s3
	v_cmp_gt_f64_e64 s3, 0, v[148:149]
	v_cndmask_b32_e32 v48, v136, v136, vcc_lo
	v_cndmask_b32_e64 v55, v149, v50, s3
	v_cndmask_b32_e64 v50, v138, v138, s2
	s_delay_alu instid0(VALU_DEP_2) | instskip(NEXT) | instid1(VALU_DEP_2)
	v_add_f64 v[52:53], v[52:53], v[54:55]
	v_add_f64 v[48:49], v[48:49], v[50:51]
	s_delay_alu instid0(VALU_DEP_1)
	v_cmp_lt_f64_e32 vcc_lo, v[48:49], v[52:53]
	v_cndmask_b32_e32 v139, v139, v149, vcc_lo
	v_dual_cndmask_b32 v137, v137, v147 :: v_dual_cndmask_b32 v136, v136, v146
	v_cndmask_b32_e32 v138, v138, v148, vcc_lo
	v_cndmask_b32_e64 v144, v144, s6, vcc_lo
	s_add_i32 s6, s6, 1
	s_delay_alu instid0(SALU_CYCLE_1)
	s_cmp_lg_u32 s5, s6
	s_cbranch_scc1 .LBB66_85
.LBB66_86:
	s_set_inst_prefetch_distance 0x2
	s_waitcnt lgkmcnt(0)
	v_cmp_eq_f64_e32 vcc_lo, 0, v[136:137]
	v_cmp_eq_f64_e64 s2, 0, v[138:139]
	s_delay_alu instid0(VALU_DEP_1) | instskip(NEXT) | instid1(SALU_CYCLE_1)
	s_and_b32 s2, vcc_lo, s2
	s_and_saveexec_b32 s3, s2
	s_delay_alu instid0(SALU_CYCLE_1)
	s_xor_b32 s2, exec_lo, s3
; %bb.87:
	v_cmp_ne_u32_e32 vcc_lo, 0, v255
	v_cndmask_b32_e32 v255, 5, v255, vcc_lo
; %bb.88:
	s_and_not1_saveexec_b32 s3, s2
	s_cbranch_execz .LBB66_94
; %bb.89:
	v_cmp_gt_f64_e32 vcc_lo, 0, v[136:137]
	v_cmp_gt_f64_e64 s2, 0, v[138:139]
	v_xor_b32_e32 v48, 0x80000000, v137
	v_xor_b32_e32 v50, 0x80000000, v139
	s_delay_alu instid0(VALU_DEP_2) | instskip(NEXT) | instid1(VALU_DEP_2)
	v_cndmask_b32_e32 v49, v137, v48, vcc_lo
	v_cndmask_b32_e64 v51, v139, v50, s2
	v_cndmask_b32_e32 v48, v136, v136, vcc_lo
	v_cndmask_b32_e64 v50, v138, v138, s2
	s_mov_b32 s2, exec_lo
	s_delay_alu instid0(VALU_DEP_1)
	v_cmpx_ngt_f64_e32 v[48:49], v[50:51]
	s_xor_b32 s2, exec_lo, s2
	s_cbranch_execz .LBB66_91
; %bb.90:
	v_div_scale_f64 v[48:49], null, v[138:139], v[138:139], v[136:137]
	v_div_scale_f64 v[54:55], vcc_lo, v[136:137], v[138:139], v[136:137]
	s_delay_alu instid0(VALU_DEP_2) | instskip(SKIP_2) | instid1(VALU_DEP_1)
	v_rcp_f64_e32 v[50:51], v[48:49]
	s_waitcnt_depctr 0xfff
	v_fma_f64 v[52:53], -v[48:49], v[50:51], 1.0
	v_fma_f64 v[50:51], v[50:51], v[52:53], v[50:51]
	s_delay_alu instid0(VALU_DEP_1) | instskip(NEXT) | instid1(VALU_DEP_1)
	v_fma_f64 v[52:53], -v[48:49], v[50:51], 1.0
	v_fma_f64 v[50:51], v[50:51], v[52:53], v[50:51]
	s_delay_alu instid0(VALU_DEP_1) | instskip(NEXT) | instid1(VALU_DEP_1)
	v_mul_f64 v[52:53], v[54:55], v[50:51]
	v_fma_f64 v[48:49], -v[48:49], v[52:53], v[54:55]
	s_delay_alu instid0(VALU_DEP_1) | instskip(NEXT) | instid1(VALU_DEP_1)
	v_div_fmas_f64 v[48:49], v[48:49], v[50:51], v[52:53]
	v_div_fixup_f64 v[48:49], v[48:49], v[138:139], v[136:137]
	s_delay_alu instid0(VALU_DEP_1) | instskip(NEXT) | instid1(VALU_DEP_1)
	v_fma_f64 v[50:51], v[136:137], v[48:49], v[138:139]
	v_div_scale_f64 v[52:53], null, v[50:51], v[50:51], 1.0
	s_delay_alu instid0(VALU_DEP_1) | instskip(SKIP_2) | instid1(VALU_DEP_1)
	v_rcp_f64_e32 v[54:55], v[52:53]
	s_waitcnt_depctr 0xfff
	v_fma_f64 v[104:105], -v[52:53], v[54:55], 1.0
	v_fma_f64 v[54:55], v[54:55], v[104:105], v[54:55]
	s_delay_alu instid0(VALU_DEP_1) | instskip(NEXT) | instid1(VALU_DEP_1)
	v_fma_f64 v[104:105], -v[52:53], v[54:55], 1.0
	v_fma_f64 v[54:55], v[54:55], v[104:105], v[54:55]
	v_div_scale_f64 v[104:105], vcc_lo, 1.0, v[50:51], 1.0
	s_delay_alu instid0(VALU_DEP_1) | instskip(NEXT) | instid1(VALU_DEP_1)
	v_mul_f64 v[106:107], v[104:105], v[54:55]
	v_fma_f64 v[52:53], -v[52:53], v[106:107], v[104:105]
	s_delay_alu instid0(VALU_DEP_1) | instskip(NEXT) | instid1(VALU_DEP_1)
	v_div_fmas_f64 v[52:53], v[52:53], v[54:55], v[106:107]
	v_div_fixup_f64 v[138:139], v[52:53], v[50:51], 1.0
	s_delay_alu instid0(VALU_DEP_1)
	v_mul_f64 v[136:137], v[48:49], v[138:139]
	v_xor_b32_e32 v139, 0x80000000, v139
.LBB66_91:
	s_and_not1_saveexec_b32 s2, s2
	s_cbranch_execz .LBB66_93
; %bb.92:
	s_delay_alu instid0(VALU_DEP_1) | instskip(SKIP_1) | instid1(VALU_DEP_2)
	v_div_scale_f64 v[48:49], null, v[136:137], v[136:137], v[138:139]
	v_div_scale_f64 v[54:55], vcc_lo, v[138:139], v[136:137], v[138:139]
	v_rcp_f64_e32 v[50:51], v[48:49]
	s_waitcnt_depctr 0xfff
	v_fma_f64 v[52:53], -v[48:49], v[50:51], 1.0
	s_delay_alu instid0(VALU_DEP_1) | instskip(NEXT) | instid1(VALU_DEP_1)
	v_fma_f64 v[50:51], v[50:51], v[52:53], v[50:51]
	v_fma_f64 v[52:53], -v[48:49], v[50:51], 1.0
	s_delay_alu instid0(VALU_DEP_1) | instskip(NEXT) | instid1(VALU_DEP_1)
	v_fma_f64 v[50:51], v[50:51], v[52:53], v[50:51]
	v_mul_f64 v[52:53], v[54:55], v[50:51]
	s_delay_alu instid0(VALU_DEP_1) | instskip(NEXT) | instid1(VALU_DEP_1)
	v_fma_f64 v[48:49], -v[48:49], v[52:53], v[54:55]
	v_div_fmas_f64 v[48:49], v[48:49], v[50:51], v[52:53]
	s_delay_alu instid0(VALU_DEP_1) | instskip(NEXT) | instid1(VALU_DEP_1)
	v_div_fixup_f64 v[48:49], v[48:49], v[136:137], v[138:139]
	v_fma_f64 v[50:51], v[138:139], v[48:49], v[136:137]
	s_delay_alu instid0(VALU_DEP_1) | instskip(NEXT) | instid1(VALU_DEP_1)
	v_div_scale_f64 v[52:53], null, v[50:51], v[50:51], 1.0
	v_rcp_f64_e32 v[54:55], v[52:53]
	s_waitcnt_depctr 0xfff
	v_fma_f64 v[104:105], -v[52:53], v[54:55], 1.0
	s_delay_alu instid0(VALU_DEP_1) | instskip(NEXT) | instid1(VALU_DEP_1)
	v_fma_f64 v[54:55], v[54:55], v[104:105], v[54:55]
	v_fma_f64 v[104:105], -v[52:53], v[54:55], 1.0
	s_delay_alu instid0(VALU_DEP_1) | instskip(SKIP_1) | instid1(VALU_DEP_1)
	v_fma_f64 v[54:55], v[54:55], v[104:105], v[54:55]
	v_div_scale_f64 v[104:105], vcc_lo, 1.0, v[50:51], 1.0
	v_mul_f64 v[106:107], v[104:105], v[54:55]
	s_delay_alu instid0(VALU_DEP_1) | instskip(NEXT) | instid1(VALU_DEP_1)
	v_fma_f64 v[52:53], -v[52:53], v[106:107], v[104:105]
	v_div_fmas_f64 v[52:53], v[52:53], v[54:55], v[106:107]
	s_delay_alu instid0(VALU_DEP_1) | instskip(NEXT) | instid1(VALU_DEP_1)
	v_div_fixup_f64 v[136:137], v[52:53], v[50:51], 1.0
	v_mul_f64 v[138:139], v[48:49], -v[136:137]
.LBB66_93:
	s_or_b32 exec_lo, exec_lo, s2
.LBB66_94:
	s_delay_alu instid0(SALU_CYCLE_1) | instskip(NEXT) | instid1(SALU_CYCLE_1)
	s_or_b32 exec_lo, exec_lo, s3
	s_mov_b32 s2, exec_lo
	v_cmpx_ne_u32_e64 v178, v144
	s_xor_b32 s2, exec_lo, s2
	s_cbranch_execz .LBB66_100
; %bb.95:
	s_mov_b32 s3, exec_lo
	v_cmpx_eq_u32_e32 4, v178
	s_cbranch_execz .LBB66_99
; %bb.96:
	v_cmp_ne_u32_e32 vcc_lo, 4, v144
	s_xor_b32 s6, s4, -1
	s_delay_alu instid0(SALU_CYCLE_1) | instskip(NEXT) | instid1(SALU_CYCLE_1)
	s_and_b32 s7, s6, vcc_lo
	s_and_saveexec_b32 s6, s7
	s_cbranch_execz .LBB66_98
; %bb.97:
	scratch_load_b64 v[52:53], off, off offset:32 ; 8-byte Folded Reload
	v_ashrrev_i32_e32 v145, 31, v144
	s_delay_alu instid0(VALU_DEP_1) | instskip(SKIP_1) | instid1(VALU_DEP_1)
	v_lshlrev_b64 v[48:49], 2, v[144:145]
	s_waitcnt vmcnt(0)
	v_add_co_u32 v48, vcc_lo, v52, v48
	s_delay_alu instid0(VALU_DEP_2)
	v_add_co_ci_u32_e32 v49, vcc_lo, v53, v49, vcc_lo
	s_clause 0x1
	flat_load_b32 v50, v[48:49]
	flat_load_b32 v51, v[52:53] offset:16
	s_waitcnt vmcnt(1) lgkmcnt(1)
	flat_store_b32 v[52:53], v50 offset:16
	s_waitcnt vmcnt(0) lgkmcnt(1)
	flat_store_b32 v[48:49], v51
.LBB66_98:
	s_or_b32 exec_lo, exec_lo, s6
	v_mov_b32_e32 v178, v144
	v_mov_b32_e32 v172, v144
.LBB66_99:
	s_or_b32 exec_lo, exec_lo, s3
.LBB66_100:
	s_and_not1_saveexec_b32 s2, s2
	s_cbranch_execz .LBB66_102
; %bb.101:
	ds_store_2addr_b64 v176, v[247:248], v[249:250] offset0:10 offset1:11
	ds_store_2addr_b64 v176, v[120:121], v[122:123] offset0:12 offset1:13
	ds_store_2addr_b64 v176, v[88:89], v[90:91] offset0:14 offset1:15
	ds_store_2addr_b64 v176, v[251:252], v[253:254] offset0:16 offset1:17
	scratch_load_b128 v[0:3], off, off      ; 16-byte Folded Reload
	v_mov_b32_e32 v178, 4
	s_waitcnt vmcnt(0)
	ds_store_2addr_b64 v176, v[0:1], v[2:3] offset0:18 offset1:19
	ds_store_2addr_b64 v176, v[116:117], v[118:119] offset0:20 offset1:21
	;; [unrolled: 1-line block ×25, first 2 shown]
.LBB66_102:
	s_or_b32 exec_lo, exec_lo, s2
	s_delay_alu instid0(SALU_CYCLE_1)
	s_mov_b32 s2, exec_lo
	s_waitcnt lgkmcnt(0)
	s_waitcnt_vscnt null, 0x0
	s_barrier
	buffer_gl0_inv
	v_cmpx_lt_i32_e32 4, v178
	s_cbranch_execz .LBB66_104
; %bb.103:
	v_mul_f64 v[48:49], v[138:139], v[134:135]
	s_delay_alu instid0(VALU_DEP_1) | instskip(SKIP_1) | instid1(VALU_DEP_1)
	v_fma_f64 v[144:145], v[136:137], v[132:133], -v[48:49]
	v_mul_f64 v[48:49], v[136:137], v[134:135]
	v_fma_f64 v[134:135], v[138:139], v[132:133], v[48:49]
	ds_load_2addr_b64 v[136:139], v176 offset0:10 offset1:11
	ds_load_2addr_b64 v[146:149], v176 offset0:12 offset1:13
	v_dual_mov_b32 v132, v144 :: v_dual_mov_b32 v133, v145
	s_waitcnt lgkmcnt(1)
	v_mul_f64 v[48:49], v[138:139], v[134:135]
	v_mul_f64 v[50:51], v[136:137], v[134:135]
	s_waitcnt lgkmcnt(0)
	v_mul_f64 v[52:53], v[148:149], v[134:135]
	v_mul_f64 v[54:55], v[146:147], v[134:135]
	s_delay_alu instid0(VALU_DEP_4) | instskip(NEXT) | instid1(VALU_DEP_4)
	v_fma_f64 v[48:49], v[136:137], v[144:145], -v[48:49]
	v_fma_f64 v[50:51], v[138:139], v[144:145], v[50:51]
	s_delay_alu instid0(VALU_DEP_4) | instskip(NEXT) | instid1(VALU_DEP_4)
	v_fma_f64 v[52:53], v[146:147], v[144:145], -v[52:53]
	v_fma_f64 v[54:55], v[148:149], v[144:145], v[54:55]
	ds_load_2addr_b64 v[136:139], v176 offset0:14 offset1:15
	ds_load_2addr_b64 v[146:149], v176 offset0:16 offset1:17
	s_waitcnt lgkmcnt(1)
	v_mul_f64 v[104:105], v[138:139], v[134:135]
	v_mul_f64 v[106:107], v[136:137], v[134:135]
	s_waitcnt lgkmcnt(0)
	v_mul_f64 v[124:125], v[148:149], v[134:135]
	v_mul_f64 v[126:127], v[146:147], v[134:135]
	v_add_f64 v[247:248], v[247:248], -v[48:49]
	v_add_f64 v[249:250], v[249:250], -v[50:51]
	v_add_f64 v[120:121], v[120:121], -v[52:53]
	v_add_f64 v[122:123], v[122:123], -v[54:55]
	v_fma_f64 v[104:105], v[136:137], v[144:145], -v[104:105]
	v_fma_f64 v[106:107], v[138:139], v[144:145], v[106:107]
	v_fma_f64 v[124:125], v[146:147], v[144:145], -v[124:125]
	v_fma_f64 v[126:127], v[148:149], v[144:145], v[126:127]
	ds_load_2addr_b64 v[136:139], v176 offset0:18 offset1:19
	ds_load_2addr_b64 v[146:149], v176 offset0:20 offset1:21
	s_waitcnt lgkmcnt(1)
	v_mul_f64 v[128:129], v[138:139], v[134:135]
	v_mul_f64 v[130:131], v[136:137], v[134:135]
	v_add_f64 v[88:89], v[88:89], -v[104:105]
	v_add_f64 v[90:91], v[90:91], -v[106:107]
	;; [unrolled: 1-line block ×4, first 2 shown]
	v_fma_f64 v[128:129], v[136:137], v[144:145], -v[128:129]
	s_waitcnt lgkmcnt(0)
	v_mul_f64 v[136:137], v[148:149], v[134:135]
	v_fma_f64 v[130:131], v[138:139], v[144:145], v[130:131]
	s_delay_alu instid0(VALU_DEP_2) | instskip(SKIP_1) | instid1(VALU_DEP_2)
	v_fma_f64 v[140:141], v[146:147], v[144:145], -v[136:137]
	v_mul_f64 v[136:137], v[146:147], v[134:135]
	v_add_f64 v[116:117], v[116:117], -v[140:141]
	s_delay_alu instid0(VALU_DEP_2)
	v_fma_f64 v[142:143], v[148:149], v[144:145], v[136:137]
	ds_load_2addr_b64 v[136:139], v176 offset0:22 offset1:23
	ds_load_2addr_b64 v[146:149], v176 offset0:24 offset1:25
	s_waitcnt lgkmcnt(1)
	v_mul_f64 v[150:151], v[138:139], v[134:135]
	v_add_f64 v[118:119], v[118:119], -v[142:143]
	s_delay_alu instid0(VALU_DEP_2) | instskip(SKIP_1) | instid1(VALU_DEP_2)
	v_fma_f64 v[150:151], v[136:137], v[144:145], -v[150:151]
	v_mul_f64 v[136:137], v[136:137], v[134:135]
	v_add_f64 v[112:113], v[112:113], -v[150:151]
	s_delay_alu instid0(VALU_DEP_2) | instskip(SKIP_2) | instid1(VALU_DEP_2)
	v_fma_f64 v[152:153], v[138:139], v[144:145], v[136:137]
	s_waitcnt lgkmcnt(0)
	v_mul_f64 v[136:137], v[148:149], v[134:135]
	v_add_f64 v[114:115], v[114:115], -v[152:153]
	s_delay_alu instid0(VALU_DEP_2) | instskip(SKIP_1) | instid1(VALU_DEP_2)
	v_fma_f64 v[154:155], v[146:147], v[144:145], -v[136:137]
	v_mul_f64 v[136:137], v[146:147], v[134:135]
	v_add_f64 v[96:97], v[96:97], -v[154:155]
	s_delay_alu instid0(VALU_DEP_2)
	v_fma_f64 v[156:157], v[148:149], v[144:145], v[136:137]
	ds_load_2addr_b64 v[136:139], v176 offset0:26 offset1:27
	ds_load_2addr_b64 v[146:149], v176 offset0:28 offset1:29
	s_waitcnt lgkmcnt(1)
	v_mul_f64 v[158:159], v[138:139], v[134:135]
	v_add_f64 v[98:99], v[98:99], -v[156:157]
	s_delay_alu instid0(VALU_DEP_2) | instskip(SKIP_1) | instid1(VALU_DEP_2)
	v_fma_f64 v[158:159], v[136:137], v[144:145], -v[158:159]
	v_mul_f64 v[136:137], v[136:137], v[134:135]
	v_add_f64 v[92:93], v[92:93], -v[158:159]
	s_delay_alu instid0(VALU_DEP_2) | instskip(SKIP_2) | instid1(VALU_DEP_2)
	v_fma_f64 v[160:161], v[138:139], v[144:145], v[136:137]
	s_waitcnt lgkmcnt(0)
	v_mul_f64 v[136:137], v[148:149], v[134:135]
	v_add_f64 v[94:95], v[94:95], -v[160:161]
	;; [unrolled: 20-line block ×10, first 2 shown]
	s_delay_alu instid0(VALU_DEP_2) | instskip(SKIP_1) | instid1(VALU_DEP_2)
	v_fma_f64 v[233:234], v[146:147], v[144:145], -v[136:137]
	v_mul_f64 v[136:137], v[146:147], v[134:135]
	v_add_f64 v[12:13], v[12:13], -v[233:234]
	s_delay_alu instid0(VALU_DEP_2)
	v_fma_f64 v[235:236], v[148:149], v[144:145], v[136:137]
	ds_load_2addr_b64 v[136:139], v176 offset0:62 offset1:63
	ds_load_2addr_b64 v[146:149], v176 offset0:64 offset1:65
	scratch_load_b128 v[0:3], off, off      ; 16-byte Folded Reload
	s_waitcnt lgkmcnt(1)
	v_mul_f64 v[237:238], v[138:139], v[134:135]
	v_add_f64 v[14:15], v[14:15], -v[235:236]
	s_delay_alu instid0(VALU_DEP_2) | instskip(SKIP_1) | instid1(VALU_DEP_2)
	v_fma_f64 v[237:238], v[136:137], v[144:145], -v[237:238]
	v_mul_f64 v[136:137], v[136:137], v[134:135]
	v_add_f64 v[8:9], v[8:9], -v[237:238]
	s_delay_alu instid0(VALU_DEP_2) | instskip(SKIP_2) | instid1(VALU_DEP_2)
	v_fma_f64 v[239:240], v[138:139], v[144:145], v[136:137]
	s_waitcnt lgkmcnt(0)
	v_mul_f64 v[136:137], v[148:149], v[134:135]
	v_add_f64 v[10:11], v[10:11], -v[239:240]
	s_delay_alu instid0(VALU_DEP_2) | instskip(SKIP_1) | instid1(VALU_DEP_2)
	v_fma_f64 v[241:242], v[146:147], v[144:145], -v[136:137]
	v_mul_f64 v[136:137], v[146:147], v[134:135]
	v_add_f64 v[4:5], v[4:5], -v[241:242]
	s_delay_alu instid0(VALU_DEP_2) | instskip(SKIP_4) | instid1(VALU_DEP_2)
	v_fma_f64 v[146:147], v[148:149], v[144:145], v[136:137]
	ds_load_2addr_b64 v[136:139], v176 offset0:66 offset1:67
	s_waitcnt lgkmcnt(0)
	v_mul_f64 v[148:149], v[138:139], v[134:135]
	v_add_f64 v[6:7], v[6:7], -v[146:147]
	v_fma_f64 v[148:149], v[136:137], v[144:145], -v[148:149]
	v_mul_f64 v[136:137], v[136:137], v[134:135]
	s_delay_alu instid0(VALU_DEP_2) | instskip(NEXT) | instid1(VALU_DEP_2)
	v_add_f64 v[243:244], v[243:244], -v[148:149]
	v_fma_f64 v[136:137], v[138:139], v[144:145], v[136:137]
	s_delay_alu instid0(VALU_DEP_1)
	v_add_f64 v[245:246], v[245:246], -v[136:137]
	s_waitcnt vmcnt(0)
	v_add_f64 v[0:1], v[0:1], -v[128:129]
	v_add_f64 v[2:3], v[2:3], -v[130:131]
	scratch_store_b128 off, v[0:3], off     ; 16-byte Folded Spill
.LBB66_104:
	s_or_b32 exec_lo, exec_lo, s2
	v_lshl_add_u32 v48, v178, 4, v176
	s_waitcnt_vscnt null, 0x0
	s_barrier
	buffer_gl0_inv
	v_mov_b32_e32 v144, 5
	ds_store_2addr_b64 v48, v[247:248], v[249:250] offset1:1
	s_waitcnt lgkmcnt(0)
	s_barrier
	buffer_gl0_inv
	ds_load_2addr_b64 v[136:139], v176 offset0:10 offset1:11
	s_cmp_lt_i32 s5, 7
	s_cbranch_scc1 .LBB66_107
; %bb.105:
	v_add3_u32 v145, v174, 0, 0x60
	v_mov_b32_e32 v144, 5
	s_mov_b32 s6, 6
	s_set_inst_prefetch_distance 0x1
	.p2align	6
.LBB66_106:                             ; =>This Inner Loop Header: Depth=1
	ds_load_2addr_b64 v[146:149], v145 offset1:1
	s_waitcnt lgkmcnt(1)
	v_cmp_gt_f64_e32 vcc_lo, 0, v[136:137]
	v_xor_b32_e32 v48, 0x80000000, v137
	v_cmp_gt_f64_e64 s2, 0, v[138:139]
	v_xor_b32_e32 v50, 0x80000000, v139
	v_add_nc_u32_e32 v145, 16, v145
	s_waitcnt lgkmcnt(0)
	v_cmp_gt_f64_e64 s3, 0, v[146:147]
	v_mov_b32_e32 v52, v146
	v_dual_mov_b32 v54, v148 :: v_dual_cndmask_b32 v49, v137, v48
	v_xor_b32_e32 v48, 0x80000000, v147
	v_cndmask_b32_e64 v51, v139, v50, s2
	v_xor_b32_e32 v50, 0x80000000, v149
	s_delay_alu instid0(VALU_DEP_3) | instskip(SKIP_2) | instid1(VALU_DEP_2)
	v_cndmask_b32_e64 v53, v147, v48, s3
	v_cmp_gt_f64_e64 s3, 0, v[148:149]
	v_cndmask_b32_e32 v48, v136, v136, vcc_lo
	v_cndmask_b32_e64 v55, v149, v50, s3
	v_cndmask_b32_e64 v50, v138, v138, s2
	s_delay_alu instid0(VALU_DEP_2) | instskip(NEXT) | instid1(VALU_DEP_2)
	v_add_f64 v[52:53], v[52:53], v[54:55]
	v_add_f64 v[48:49], v[48:49], v[50:51]
	s_delay_alu instid0(VALU_DEP_1)
	v_cmp_lt_f64_e32 vcc_lo, v[48:49], v[52:53]
	v_cndmask_b32_e32 v139, v139, v149, vcc_lo
	v_dual_cndmask_b32 v137, v137, v147 :: v_dual_cndmask_b32 v136, v136, v146
	v_cndmask_b32_e32 v138, v138, v148, vcc_lo
	v_cndmask_b32_e64 v144, v144, s6, vcc_lo
	s_add_i32 s6, s6, 1
	s_delay_alu instid0(SALU_CYCLE_1)
	s_cmp_lg_u32 s5, s6
	s_cbranch_scc1 .LBB66_106
.LBB66_107:
	s_set_inst_prefetch_distance 0x2
	s_waitcnt lgkmcnt(0)
	v_cmp_eq_f64_e32 vcc_lo, 0, v[136:137]
	v_cmp_eq_f64_e64 s2, 0, v[138:139]
	s_delay_alu instid0(VALU_DEP_1) | instskip(NEXT) | instid1(SALU_CYCLE_1)
	s_and_b32 s2, vcc_lo, s2
	s_and_saveexec_b32 s3, s2
	s_delay_alu instid0(SALU_CYCLE_1)
	s_xor_b32 s2, exec_lo, s3
; %bb.108:
	v_cmp_ne_u32_e32 vcc_lo, 0, v255
	v_cndmask_b32_e32 v255, 6, v255, vcc_lo
; %bb.109:
	s_and_not1_saveexec_b32 s3, s2
	s_cbranch_execz .LBB66_115
; %bb.110:
	v_cmp_gt_f64_e32 vcc_lo, 0, v[136:137]
	v_cmp_gt_f64_e64 s2, 0, v[138:139]
	v_xor_b32_e32 v48, 0x80000000, v137
	v_xor_b32_e32 v50, 0x80000000, v139
	s_delay_alu instid0(VALU_DEP_2) | instskip(NEXT) | instid1(VALU_DEP_2)
	v_cndmask_b32_e32 v49, v137, v48, vcc_lo
	v_cndmask_b32_e64 v51, v139, v50, s2
	v_cndmask_b32_e32 v48, v136, v136, vcc_lo
	v_cndmask_b32_e64 v50, v138, v138, s2
	s_mov_b32 s2, exec_lo
	s_delay_alu instid0(VALU_DEP_1)
	v_cmpx_ngt_f64_e32 v[48:49], v[50:51]
	s_xor_b32 s2, exec_lo, s2
	s_cbranch_execz .LBB66_112
; %bb.111:
	v_div_scale_f64 v[48:49], null, v[138:139], v[138:139], v[136:137]
	v_div_scale_f64 v[54:55], vcc_lo, v[136:137], v[138:139], v[136:137]
	s_delay_alu instid0(VALU_DEP_2) | instskip(SKIP_2) | instid1(VALU_DEP_1)
	v_rcp_f64_e32 v[50:51], v[48:49]
	s_waitcnt_depctr 0xfff
	v_fma_f64 v[52:53], -v[48:49], v[50:51], 1.0
	v_fma_f64 v[50:51], v[50:51], v[52:53], v[50:51]
	s_delay_alu instid0(VALU_DEP_1) | instskip(NEXT) | instid1(VALU_DEP_1)
	v_fma_f64 v[52:53], -v[48:49], v[50:51], 1.0
	v_fma_f64 v[50:51], v[50:51], v[52:53], v[50:51]
	s_delay_alu instid0(VALU_DEP_1) | instskip(NEXT) | instid1(VALU_DEP_1)
	v_mul_f64 v[52:53], v[54:55], v[50:51]
	v_fma_f64 v[48:49], -v[48:49], v[52:53], v[54:55]
	s_delay_alu instid0(VALU_DEP_1) | instskip(NEXT) | instid1(VALU_DEP_1)
	v_div_fmas_f64 v[48:49], v[48:49], v[50:51], v[52:53]
	v_div_fixup_f64 v[48:49], v[48:49], v[138:139], v[136:137]
	s_delay_alu instid0(VALU_DEP_1) | instskip(NEXT) | instid1(VALU_DEP_1)
	v_fma_f64 v[50:51], v[136:137], v[48:49], v[138:139]
	v_div_scale_f64 v[52:53], null, v[50:51], v[50:51], 1.0
	s_delay_alu instid0(VALU_DEP_1) | instskip(SKIP_2) | instid1(VALU_DEP_1)
	v_rcp_f64_e32 v[54:55], v[52:53]
	s_waitcnt_depctr 0xfff
	v_fma_f64 v[104:105], -v[52:53], v[54:55], 1.0
	v_fma_f64 v[54:55], v[54:55], v[104:105], v[54:55]
	s_delay_alu instid0(VALU_DEP_1) | instskip(NEXT) | instid1(VALU_DEP_1)
	v_fma_f64 v[104:105], -v[52:53], v[54:55], 1.0
	v_fma_f64 v[54:55], v[54:55], v[104:105], v[54:55]
	v_div_scale_f64 v[104:105], vcc_lo, 1.0, v[50:51], 1.0
	s_delay_alu instid0(VALU_DEP_1) | instskip(NEXT) | instid1(VALU_DEP_1)
	v_mul_f64 v[106:107], v[104:105], v[54:55]
	v_fma_f64 v[52:53], -v[52:53], v[106:107], v[104:105]
	s_delay_alu instid0(VALU_DEP_1) | instskip(NEXT) | instid1(VALU_DEP_1)
	v_div_fmas_f64 v[52:53], v[52:53], v[54:55], v[106:107]
	v_div_fixup_f64 v[138:139], v[52:53], v[50:51], 1.0
	s_delay_alu instid0(VALU_DEP_1)
	v_mul_f64 v[136:137], v[48:49], v[138:139]
	v_xor_b32_e32 v139, 0x80000000, v139
.LBB66_112:
	s_and_not1_saveexec_b32 s2, s2
	s_cbranch_execz .LBB66_114
; %bb.113:
	s_delay_alu instid0(VALU_DEP_1) | instskip(SKIP_1) | instid1(VALU_DEP_2)
	v_div_scale_f64 v[48:49], null, v[136:137], v[136:137], v[138:139]
	v_div_scale_f64 v[54:55], vcc_lo, v[138:139], v[136:137], v[138:139]
	v_rcp_f64_e32 v[50:51], v[48:49]
	s_waitcnt_depctr 0xfff
	v_fma_f64 v[52:53], -v[48:49], v[50:51], 1.0
	s_delay_alu instid0(VALU_DEP_1) | instskip(NEXT) | instid1(VALU_DEP_1)
	v_fma_f64 v[50:51], v[50:51], v[52:53], v[50:51]
	v_fma_f64 v[52:53], -v[48:49], v[50:51], 1.0
	s_delay_alu instid0(VALU_DEP_1) | instskip(NEXT) | instid1(VALU_DEP_1)
	v_fma_f64 v[50:51], v[50:51], v[52:53], v[50:51]
	v_mul_f64 v[52:53], v[54:55], v[50:51]
	s_delay_alu instid0(VALU_DEP_1) | instskip(NEXT) | instid1(VALU_DEP_1)
	v_fma_f64 v[48:49], -v[48:49], v[52:53], v[54:55]
	v_div_fmas_f64 v[48:49], v[48:49], v[50:51], v[52:53]
	s_delay_alu instid0(VALU_DEP_1) | instskip(NEXT) | instid1(VALU_DEP_1)
	v_div_fixup_f64 v[48:49], v[48:49], v[136:137], v[138:139]
	v_fma_f64 v[50:51], v[138:139], v[48:49], v[136:137]
	s_delay_alu instid0(VALU_DEP_1) | instskip(NEXT) | instid1(VALU_DEP_1)
	v_div_scale_f64 v[52:53], null, v[50:51], v[50:51], 1.0
	v_rcp_f64_e32 v[54:55], v[52:53]
	s_waitcnt_depctr 0xfff
	v_fma_f64 v[104:105], -v[52:53], v[54:55], 1.0
	s_delay_alu instid0(VALU_DEP_1) | instskip(NEXT) | instid1(VALU_DEP_1)
	v_fma_f64 v[54:55], v[54:55], v[104:105], v[54:55]
	v_fma_f64 v[104:105], -v[52:53], v[54:55], 1.0
	s_delay_alu instid0(VALU_DEP_1) | instskip(SKIP_1) | instid1(VALU_DEP_1)
	v_fma_f64 v[54:55], v[54:55], v[104:105], v[54:55]
	v_div_scale_f64 v[104:105], vcc_lo, 1.0, v[50:51], 1.0
	v_mul_f64 v[106:107], v[104:105], v[54:55]
	s_delay_alu instid0(VALU_DEP_1) | instskip(NEXT) | instid1(VALU_DEP_1)
	v_fma_f64 v[52:53], -v[52:53], v[106:107], v[104:105]
	v_div_fmas_f64 v[52:53], v[52:53], v[54:55], v[106:107]
	s_delay_alu instid0(VALU_DEP_1) | instskip(NEXT) | instid1(VALU_DEP_1)
	v_div_fixup_f64 v[136:137], v[52:53], v[50:51], 1.0
	v_mul_f64 v[138:139], v[48:49], -v[136:137]
.LBB66_114:
	s_or_b32 exec_lo, exec_lo, s2
.LBB66_115:
	s_delay_alu instid0(SALU_CYCLE_1) | instskip(NEXT) | instid1(SALU_CYCLE_1)
	s_or_b32 exec_lo, exec_lo, s3
	s_mov_b32 s2, exec_lo
	v_cmpx_ne_u32_e64 v178, v144
	s_xor_b32 s2, exec_lo, s2
	s_cbranch_execz .LBB66_121
; %bb.116:
	s_mov_b32 s3, exec_lo
	v_cmpx_eq_u32_e32 5, v178
	s_cbranch_execz .LBB66_120
; %bb.117:
	v_cmp_ne_u32_e32 vcc_lo, 5, v144
	s_xor_b32 s6, s4, -1
	s_delay_alu instid0(SALU_CYCLE_1) | instskip(NEXT) | instid1(SALU_CYCLE_1)
	s_and_b32 s7, s6, vcc_lo
	s_and_saveexec_b32 s6, s7
	s_cbranch_execz .LBB66_119
; %bb.118:
	scratch_load_b64 v[52:53], off, off offset:32 ; 8-byte Folded Reload
	v_ashrrev_i32_e32 v145, 31, v144
	s_delay_alu instid0(VALU_DEP_1) | instskip(SKIP_1) | instid1(VALU_DEP_1)
	v_lshlrev_b64 v[48:49], 2, v[144:145]
	s_waitcnt vmcnt(0)
	v_add_co_u32 v48, vcc_lo, v52, v48
	s_delay_alu instid0(VALU_DEP_2)
	v_add_co_ci_u32_e32 v49, vcc_lo, v53, v49, vcc_lo
	s_clause 0x1
	flat_load_b32 v50, v[48:49]
	flat_load_b32 v51, v[52:53] offset:20
	s_waitcnt vmcnt(1) lgkmcnt(1)
	flat_store_b32 v[52:53], v50 offset:20
	s_waitcnt vmcnt(0) lgkmcnt(1)
	flat_store_b32 v[48:49], v51
.LBB66_119:
	s_or_b32 exec_lo, exec_lo, s6
	v_mov_b32_e32 v178, v144
	v_mov_b32_e32 v172, v144
.LBB66_120:
	s_or_b32 exec_lo, exec_lo, s3
.LBB66_121:
	s_and_not1_saveexec_b32 s2, s2
	s_cbranch_execz .LBB66_123
; %bb.122:
	ds_store_2addr_b64 v176, v[120:121], v[122:123] offset0:12 offset1:13
	ds_store_2addr_b64 v176, v[88:89], v[90:91] offset0:14 offset1:15
	;; [unrolled: 1-line block ×3, first 2 shown]
	scratch_load_b128 v[0:3], off, off      ; 16-byte Folded Reload
	v_mov_b32_e32 v178, 5
	s_waitcnt vmcnt(0)
	ds_store_2addr_b64 v176, v[0:1], v[2:3] offset0:18 offset1:19
	ds_store_2addr_b64 v176, v[116:117], v[118:119] offset0:20 offset1:21
	;; [unrolled: 1-line block ×25, first 2 shown]
.LBB66_123:
	s_or_b32 exec_lo, exec_lo, s2
	s_delay_alu instid0(SALU_CYCLE_1)
	s_mov_b32 s2, exec_lo
	s_waitcnt lgkmcnt(0)
	s_waitcnt_vscnt null, 0x0
	s_barrier
	buffer_gl0_inv
	v_cmpx_lt_i32_e32 5, v178
	s_cbranch_execz .LBB66_125
; %bb.124:
	v_mul_f64 v[48:49], v[138:139], v[249:250]
	s_delay_alu instid0(VALU_DEP_1) | instskip(SKIP_1) | instid1(VALU_DEP_1)
	v_fma_f64 v[144:145], v[136:137], v[247:248], -v[48:49]
	v_mul_f64 v[48:49], v[136:137], v[249:250]
	v_fma_f64 v[249:250], v[138:139], v[247:248], v[48:49]
	ds_load_2addr_b64 v[136:139], v176 offset0:12 offset1:13
	ds_load_2addr_b64 v[146:149], v176 offset0:14 offset1:15
	v_dual_mov_b32 v248, v145 :: v_dual_mov_b32 v247, v144
	s_waitcnt lgkmcnt(1)
	v_mul_f64 v[48:49], v[138:139], v[249:250]
	v_mul_f64 v[50:51], v[136:137], v[249:250]
	s_waitcnt lgkmcnt(0)
	v_mul_f64 v[52:53], v[148:149], v[249:250]
	v_mul_f64 v[54:55], v[146:147], v[249:250]
	s_delay_alu instid0(VALU_DEP_4) | instskip(NEXT) | instid1(VALU_DEP_4)
	v_fma_f64 v[48:49], v[136:137], v[144:145], -v[48:49]
	v_fma_f64 v[50:51], v[138:139], v[144:145], v[50:51]
	s_delay_alu instid0(VALU_DEP_4) | instskip(NEXT) | instid1(VALU_DEP_4)
	v_fma_f64 v[52:53], v[146:147], v[144:145], -v[52:53]
	v_fma_f64 v[54:55], v[148:149], v[144:145], v[54:55]
	ds_load_2addr_b64 v[136:139], v176 offset0:16 offset1:17
	ds_load_2addr_b64 v[146:149], v176 offset0:18 offset1:19
	s_waitcnt lgkmcnt(1)
	v_mul_f64 v[100:101], v[138:139], v[249:250]
	v_mul_f64 v[104:105], v[136:137], v[249:250]
	s_waitcnt lgkmcnt(0)
	v_mul_f64 v[106:107], v[148:149], v[249:250]
	v_mul_f64 v[124:125], v[146:147], v[249:250]
	v_add_f64 v[120:121], v[120:121], -v[48:49]
	v_add_f64 v[122:123], v[122:123], -v[50:51]
	;; [unrolled: 1-line block ×4, first 2 shown]
	v_fma_f64 v[100:101], v[136:137], v[144:145], -v[100:101]
	v_fma_f64 v[104:105], v[138:139], v[144:145], v[104:105]
	v_fma_f64 v[106:107], v[146:147], v[144:145], -v[106:107]
	v_fma_f64 v[124:125], v[148:149], v[144:145], v[124:125]
	ds_load_2addr_b64 v[136:139], v176 offset0:20 offset1:21
	ds_load_2addr_b64 v[146:149], v176 offset0:22 offset1:23
	s_waitcnt lgkmcnt(1)
	v_mul_f64 v[126:127], v[138:139], v[249:250]
	v_mul_f64 v[128:129], v[136:137], v[249:250]
	s_waitcnt lgkmcnt(0)
	v_mul_f64 v[130:131], v[148:149], v[249:250]
	v_add_f64 v[251:252], v[251:252], -v[100:101]
	v_add_f64 v[253:254], v[253:254], -v[104:105]
	v_fma_f64 v[126:127], v[136:137], v[144:145], -v[126:127]
	v_mul_f64 v[136:137], v[146:147], v[249:250]
	v_fma_f64 v[128:129], v[138:139], v[144:145], v[128:129]
	v_fma_f64 v[130:131], v[146:147], v[144:145], -v[130:131]
	s_delay_alu instid0(VALU_DEP_4) | instskip(NEXT) | instid1(VALU_DEP_4)
	v_add_f64 v[116:117], v[116:117], -v[126:127]
	v_fma_f64 v[140:141], v[148:149], v[144:145], v[136:137]
	ds_load_2addr_b64 v[136:139], v176 offset0:24 offset1:25
	ds_load_2addr_b64 v[146:149], v176 offset0:26 offset1:27
	v_add_f64 v[118:119], v[118:119], -v[128:129]
	v_add_f64 v[112:113], v[112:113], -v[130:131]
	s_waitcnt lgkmcnt(1)
	v_mul_f64 v[142:143], v[138:139], v[249:250]
	v_add_f64 v[114:115], v[114:115], -v[140:141]
	s_delay_alu instid0(VALU_DEP_2) | instskip(SKIP_1) | instid1(VALU_DEP_2)
	v_fma_f64 v[142:143], v[136:137], v[144:145], -v[142:143]
	v_mul_f64 v[136:137], v[136:137], v[249:250]
	v_add_f64 v[96:97], v[96:97], -v[142:143]
	s_delay_alu instid0(VALU_DEP_2) | instskip(SKIP_2) | instid1(VALU_DEP_2)
	v_fma_f64 v[150:151], v[138:139], v[144:145], v[136:137]
	s_waitcnt lgkmcnt(0)
	v_mul_f64 v[136:137], v[148:149], v[249:250]
	v_add_f64 v[98:99], v[98:99], -v[150:151]
	s_delay_alu instid0(VALU_DEP_2) | instskip(SKIP_1) | instid1(VALU_DEP_2)
	v_fma_f64 v[152:153], v[146:147], v[144:145], -v[136:137]
	v_mul_f64 v[136:137], v[146:147], v[249:250]
	v_add_f64 v[92:93], v[92:93], -v[152:153]
	s_delay_alu instid0(VALU_DEP_2)
	v_fma_f64 v[154:155], v[148:149], v[144:145], v[136:137]
	ds_load_2addr_b64 v[136:139], v176 offset0:28 offset1:29
	ds_load_2addr_b64 v[146:149], v176 offset0:30 offset1:31
	s_waitcnt lgkmcnt(1)
	v_mul_f64 v[156:157], v[138:139], v[249:250]
	v_add_f64 v[94:95], v[94:95], -v[154:155]
	s_delay_alu instid0(VALU_DEP_2) | instskip(SKIP_1) | instid1(VALU_DEP_2)
	v_fma_f64 v[156:157], v[136:137], v[144:145], -v[156:157]
	v_mul_f64 v[136:137], v[136:137], v[249:250]
	v_add_f64 v[84:85], v[84:85], -v[156:157]
	s_delay_alu instid0(VALU_DEP_2) | instskip(SKIP_2) | instid1(VALU_DEP_2)
	v_fma_f64 v[158:159], v[138:139], v[144:145], v[136:137]
	s_waitcnt lgkmcnt(0)
	v_mul_f64 v[136:137], v[148:149], v[249:250]
	v_add_f64 v[86:87], v[86:87], -v[158:159]
	s_delay_alu instid0(VALU_DEP_2) | instskip(SKIP_1) | instid1(VALU_DEP_2)
	v_fma_f64 v[160:161], v[146:147], v[144:145], -v[136:137]
	v_mul_f64 v[136:137], v[146:147], v[249:250]
	v_add_f64 v[80:81], v[80:81], -v[160:161]
	s_delay_alu instid0(VALU_DEP_2)
	v_fma_f64 v[162:163], v[148:149], v[144:145], v[136:137]
	ds_load_2addr_b64 v[136:139], v176 offset0:32 offset1:33
	ds_load_2addr_b64 v[146:149], v176 offset0:34 offset1:35
	;; [unrolled: 20-line block ×10, first 2 shown]
	scratch_load_b128 v[0:3], off, off      ; 16-byte Folded Reload
	s_waitcnt lgkmcnt(1)
	v_mul_f64 v[235:236], v[138:139], v[249:250]
	v_add_f64 v[10:11], v[10:11], -v[233:234]
	s_delay_alu instid0(VALU_DEP_2) | instskip(SKIP_1) | instid1(VALU_DEP_2)
	v_fma_f64 v[235:236], v[136:137], v[144:145], -v[235:236]
	v_mul_f64 v[136:137], v[136:137], v[249:250]
	v_add_f64 v[4:5], v[4:5], -v[235:236]
	s_delay_alu instid0(VALU_DEP_2) | instskip(SKIP_2) | instid1(VALU_DEP_2)
	v_fma_f64 v[136:137], v[138:139], v[144:145], v[136:137]
	s_waitcnt lgkmcnt(0)
	v_mul_f64 v[138:139], v[148:149], v[249:250]
	v_add_f64 v[6:7], v[6:7], -v[136:137]
	s_delay_alu instid0(VALU_DEP_2) | instskip(SKIP_1) | instid1(VALU_DEP_2)
	v_fma_f64 v[138:139], v[146:147], v[144:145], -v[138:139]
	v_mul_f64 v[146:147], v[146:147], v[249:250]
	v_add_f64 v[243:244], v[243:244], -v[138:139]
	s_delay_alu instid0(VALU_DEP_2) | instskip(NEXT) | instid1(VALU_DEP_1)
	v_fma_f64 v[146:147], v[148:149], v[144:145], v[146:147]
	v_add_f64 v[245:246], v[245:246], -v[146:147]
	s_waitcnt vmcnt(0)
	v_add_f64 v[0:1], v[0:1], -v[106:107]
	v_add_f64 v[2:3], v[2:3], -v[124:125]
	scratch_store_b128 off, v[0:3], off     ; 16-byte Folded Spill
.LBB66_125:
	s_or_b32 exec_lo, exec_lo, s2
	v_lshl_add_u32 v48, v178, 4, v176
	s_waitcnt_vscnt null, 0x0
	s_barrier
	buffer_gl0_inv
	v_mov_b32_e32 v144, 6
	ds_store_2addr_b64 v48, v[120:121], v[122:123] offset1:1
	s_waitcnt lgkmcnt(0)
	s_barrier
	buffer_gl0_inv
	ds_load_2addr_b64 v[136:139], v176 offset0:12 offset1:13
	s_cmp_lt_i32 s5, 8
	s_cbranch_scc1 .LBB66_128
; %bb.126:
	v_add3_u32 v145, v174, 0, 0x70
	v_mov_b32_e32 v144, 6
	s_mov_b32 s6, 7
	s_set_inst_prefetch_distance 0x1
	.p2align	6
.LBB66_127:                             ; =>This Inner Loop Header: Depth=1
	ds_load_2addr_b64 v[146:149], v145 offset1:1
	s_waitcnt lgkmcnt(1)
	v_cmp_gt_f64_e32 vcc_lo, 0, v[136:137]
	v_xor_b32_e32 v48, 0x80000000, v137
	v_cmp_gt_f64_e64 s2, 0, v[138:139]
	v_xor_b32_e32 v50, 0x80000000, v139
	v_add_nc_u32_e32 v145, 16, v145
	s_waitcnt lgkmcnt(0)
	v_cmp_gt_f64_e64 s3, 0, v[146:147]
	v_mov_b32_e32 v52, v146
	v_dual_mov_b32 v54, v148 :: v_dual_cndmask_b32 v49, v137, v48
	v_xor_b32_e32 v48, 0x80000000, v147
	v_cndmask_b32_e64 v51, v139, v50, s2
	v_xor_b32_e32 v50, 0x80000000, v149
	s_delay_alu instid0(VALU_DEP_3) | instskip(SKIP_2) | instid1(VALU_DEP_2)
	v_cndmask_b32_e64 v53, v147, v48, s3
	v_cmp_gt_f64_e64 s3, 0, v[148:149]
	v_cndmask_b32_e32 v48, v136, v136, vcc_lo
	v_cndmask_b32_e64 v55, v149, v50, s3
	v_cndmask_b32_e64 v50, v138, v138, s2
	s_delay_alu instid0(VALU_DEP_2) | instskip(NEXT) | instid1(VALU_DEP_2)
	v_add_f64 v[52:53], v[52:53], v[54:55]
	v_add_f64 v[48:49], v[48:49], v[50:51]
	s_delay_alu instid0(VALU_DEP_1)
	v_cmp_lt_f64_e32 vcc_lo, v[48:49], v[52:53]
	v_cndmask_b32_e32 v139, v139, v149, vcc_lo
	v_dual_cndmask_b32 v137, v137, v147 :: v_dual_cndmask_b32 v136, v136, v146
	v_cndmask_b32_e32 v138, v138, v148, vcc_lo
	v_cndmask_b32_e64 v144, v144, s6, vcc_lo
	s_add_i32 s6, s6, 1
	s_delay_alu instid0(SALU_CYCLE_1)
	s_cmp_lg_u32 s5, s6
	s_cbranch_scc1 .LBB66_127
.LBB66_128:
	s_set_inst_prefetch_distance 0x2
	s_waitcnt lgkmcnt(0)
	v_cmp_eq_f64_e32 vcc_lo, 0, v[136:137]
	v_cmp_eq_f64_e64 s2, 0, v[138:139]
	s_delay_alu instid0(VALU_DEP_1) | instskip(NEXT) | instid1(SALU_CYCLE_1)
	s_and_b32 s2, vcc_lo, s2
	s_and_saveexec_b32 s3, s2
	s_delay_alu instid0(SALU_CYCLE_1)
	s_xor_b32 s2, exec_lo, s3
; %bb.129:
	v_cmp_ne_u32_e32 vcc_lo, 0, v255
	v_cndmask_b32_e32 v255, 7, v255, vcc_lo
; %bb.130:
	s_and_not1_saveexec_b32 s3, s2
	s_cbranch_execz .LBB66_136
; %bb.131:
	v_cmp_gt_f64_e32 vcc_lo, 0, v[136:137]
	v_cmp_gt_f64_e64 s2, 0, v[138:139]
	v_xor_b32_e32 v48, 0x80000000, v137
	v_xor_b32_e32 v50, 0x80000000, v139
	s_delay_alu instid0(VALU_DEP_2) | instskip(NEXT) | instid1(VALU_DEP_2)
	v_cndmask_b32_e32 v49, v137, v48, vcc_lo
	v_cndmask_b32_e64 v51, v139, v50, s2
	v_cndmask_b32_e32 v48, v136, v136, vcc_lo
	v_cndmask_b32_e64 v50, v138, v138, s2
	s_mov_b32 s2, exec_lo
	s_delay_alu instid0(VALU_DEP_1)
	v_cmpx_ngt_f64_e32 v[48:49], v[50:51]
	s_xor_b32 s2, exec_lo, s2
	s_cbranch_execz .LBB66_133
; %bb.132:
	v_div_scale_f64 v[48:49], null, v[138:139], v[138:139], v[136:137]
	v_div_scale_f64 v[54:55], vcc_lo, v[136:137], v[138:139], v[136:137]
	s_delay_alu instid0(VALU_DEP_2) | instskip(SKIP_2) | instid1(VALU_DEP_1)
	v_rcp_f64_e32 v[50:51], v[48:49]
	s_waitcnt_depctr 0xfff
	v_fma_f64 v[52:53], -v[48:49], v[50:51], 1.0
	v_fma_f64 v[50:51], v[50:51], v[52:53], v[50:51]
	s_delay_alu instid0(VALU_DEP_1) | instskip(NEXT) | instid1(VALU_DEP_1)
	v_fma_f64 v[52:53], -v[48:49], v[50:51], 1.0
	v_fma_f64 v[50:51], v[50:51], v[52:53], v[50:51]
	s_delay_alu instid0(VALU_DEP_1) | instskip(NEXT) | instid1(VALU_DEP_1)
	v_mul_f64 v[52:53], v[54:55], v[50:51]
	v_fma_f64 v[48:49], -v[48:49], v[52:53], v[54:55]
	s_delay_alu instid0(VALU_DEP_1) | instskip(NEXT) | instid1(VALU_DEP_1)
	v_div_fmas_f64 v[48:49], v[48:49], v[50:51], v[52:53]
	v_div_fixup_f64 v[48:49], v[48:49], v[138:139], v[136:137]
	s_delay_alu instid0(VALU_DEP_1) | instskip(NEXT) | instid1(VALU_DEP_1)
	v_fma_f64 v[50:51], v[136:137], v[48:49], v[138:139]
	v_div_scale_f64 v[52:53], null, v[50:51], v[50:51], 1.0
	s_delay_alu instid0(VALU_DEP_1) | instskip(SKIP_2) | instid1(VALU_DEP_1)
	v_rcp_f64_e32 v[54:55], v[52:53]
	s_waitcnt_depctr 0xfff
	v_fma_f64 v[104:105], -v[52:53], v[54:55], 1.0
	v_fma_f64 v[54:55], v[54:55], v[104:105], v[54:55]
	s_delay_alu instid0(VALU_DEP_1) | instskip(NEXT) | instid1(VALU_DEP_1)
	v_fma_f64 v[104:105], -v[52:53], v[54:55], 1.0
	v_fma_f64 v[54:55], v[54:55], v[104:105], v[54:55]
	v_div_scale_f64 v[104:105], vcc_lo, 1.0, v[50:51], 1.0
	s_delay_alu instid0(VALU_DEP_1) | instskip(NEXT) | instid1(VALU_DEP_1)
	v_mul_f64 v[106:107], v[104:105], v[54:55]
	v_fma_f64 v[52:53], -v[52:53], v[106:107], v[104:105]
	s_delay_alu instid0(VALU_DEP_1) | instskip(NEXT) | instid1(VALU_DEP_1)
	v_div_fmas_f64 v[52:53], v[52:53], v[54:55], v[106:107]
	v_div_fixup_f64 v[138:139], v[52:53], v[50:51], 1.0
	s_delay_alu instid0(VALU_DEP_1)
	v_mul_f64 v[136:137], v[48:49], v[138:139]
	v_xor_b32_e32 v139, 0x80000000, v139
.LBB66_133:
	s_and_not1_saveexec_b32 s2, s2
	s_cbranch_execz .LBB66_135
; %bb.134:
	s_delay_alu instid0(VALU_DEP_1) | instskip(SKIP_1) | instid1(VALU_DEP_2)
	v_div_scale_f64 v[48:49], null, v[136:137], v[136:137], v[138:139]
	v_div_scale_f64 v[54:55], vcc_lo, v[138:139], v[136:137], v[138:139]
	v_rcp_f64_e32 v[50:51], v[48:49]
	s_waitcnt_depctr 0xfff
	v_fma_f64 v[52:53], -v[48:49], v[50:51], 1.0
	s_delay_alu instid0(VALU_DEP_1) | instskip(NEXT) | instid1(VALU_DEP_1)
	v_fma_f64 v[50:51], v[50:51], v[52:53], v[50:51]
	v_fma_f64 v[52:53], -v[48:49], v[50:51], 1.0
	s_delay_alu instid0(VALU_DEP_1) | instskip(NEXT) | instid1(VALU_DEP_1)
	v_fma_f64 v[50:51], v[50:51], v[52:53], v[50:51]
	v_mul_f64 v[52:53], v[54:55], v[50:51]
	s_delay_alu instid0(VALU_DEP_1) | instskip(NEXT) | instid1(VALU_DEP_1)
	v_fma_f64 v[48:49], -v[48:49], v[52:53], v[54:55]
	v_div_fmas_f64 v[48:49], v[48:49], v[50:51], v[52:53]
	s_delay_alu instid0(VALU_DEP_1) | instskip(NEXT) | instid1(VALU_DEP_1)
	v_div_fixup_f64 v[48:49], v[48:49], v[136:137], v[138:139]
	v_fma_f64 v[50:51], v[138:139], v[48:49], v[136:137]
	s_delay_alu instid0(VALU_DEP_1) | instskip(NEXT) | instid1(VALU_DEP_1)
	v_div_scale_f64 v[52:53], null, v[50:51], v[50:51], 1.0
	v_rcp_f64_e32 v[54:55], v[52:53]
	s_waitcnt_depctr 0xfff
	v_fma_f64 v[104:105], -v[52:53], v[54:55], 1.0
	s_delay_alu instid0(VALU_DEP_1) | instskip(NEXT) | instid1(VALU_DEP_1)
	v_fma_f64 v[54:55], v[54:55], v[104:105], v[54:55]
	v_fma_f64 v[104:105], -v[52:53], v[54:55], 1.0
	s_delay_alu instid0(VALU_DEP_1) | instskip(SKIP_1) | instid1(VALU_DEP_1)
	v_fma_f64 v[54:55], v[54:55], v[104:105], v[54:55]
	v_div_scale_f64 v[104:105], vcc_lo, 1.0, v[50:51], 1.0
	v_mul_f64 v[106:107], v[104:105], v[54:55]
	s_delay_alu instid0(VALU_DEP_1) | instskip(NEXT) | instid1(VALU_DEP_1)
	v_fma_f64 v[52:53], -v[52:53], v[106:107], v[104:105]
	v_div_fmas_f64 v[52:53], v[52:53], v[54:55], v[106:107]
	s_delay_alu instid0(VALU_DEP_1) | instskip(NEXT) | instid1(VALU_DEP_1)
	v_div_fixup_f64 v[136:137], v[52:53], v[50:51], 1.0
	v_mul_f64 v[138:139], v[48:49], -v[136:137]
.LBB66_135:
	s_or_b32 exec_lo, exec_lo, s2
.LBB66_136:
	s_delay_alu instid0(SALU_CYCLE_1) | instskip(NEXT) | instid1(SALU_CYCLE_1)
	s_or_b32 exec_lo, exec_lo, s3
	s_mov_b32 s2, exec_lo
	v_cmpx_ne_u32_e64 v178, v144
	s_xor_b32 s2, exec_lo, s2
	s_cbranch_execz .LBB66_142
; %bb.137:
	s_mov_b32 s3, exec_lo
	v_cmpx_eq_u32_e32 6, v178
	s_cbranch_execz .LBB66_141
; %bb.138:
	v_cmp_ne_u32_e32 vcc_lo, 6, v144
	s_xor_b32 s6, s4, -1
	s_delay_alu instid0(SALU_CYCLE_1) | instskip(NEXT) | instid1(SALU_CYCLE_1)
	s_and_b32 s7, s6, vcc_lo
	s_and_saveexec_b32 s6, s7
	s_cbranch_execz .LBB66_140
; %bb.139:
	scratch_load_b64 v[52:53], off, off offset:32 ; 8-byte Folded Reload
	v_ashrrev_i32_e32 v145, 31, v144
	s_delay_alu instid0(VALU_DEP_1) | instskip(SKIP_1) | instid1(VALU_DEP_1)
	v_lshlrev_b64 v[48:49], 2, v[144:145]
	s_waitcnt vmcnt(0)
	v_add_co_u32 v48, vcc_lo, v52, v48
	s_delay_alu instid0(VALU_DEP_2)
	v_add_co_ci_u32_e32 v49, vcc_lo, v53, v49, vcc_lo
	s_clause 0x1
	flat_load_b32 v50, v[48:49]
	flat_load_b32 v51, v[52:53] offset:24
	s_waitcnt vmcnt(1) lgkmcnt(1)
	flat_store_b32 v[52:53], v50 offset:24
	s_waitcnt vmcnt(0) lgkmcnt(1)
	flat_store_b32 v[48:49], v51
.LBB66_140:
	s_or_b32 exec_lo, exec_lo, s6
	v_mov_b32_e32 v178, v144
	v_mov_b32_e32 v172, v144
.LBB66_141:
	s_or_b32 exec_lo, exec_lo, s3
.LBB66_142:
	s_and_not1_saveexec_b32 s2, s2
	s_cbranch_execz .LBB66_144
; %bb.143:
	ds_store_2addr_b64 v176, v[88:89], v[90:91] offset0:14 offset1:15
	ds_store_2addr_b64 v176, v[251:252], v[253:254] offset0:16 offset1:17
	scratch_load_b128 v[0:3], off, off      ; 16-byte Folded Reload
	v_mov_b32_e32 v178, 6
	s_waitcnt vmcnt(0)
	ds_store_2addr_b64 v176, v[0:1], v[2:3] offset0:18 offset1:19
	ds_store_2addr_b64 v176, v[116:117], v[118:119] offset0:20 offset1:21
	;; [unrolled: 1-line block ×25, first 2 shown]
.LBB66_144:
	s_or_b32 exec_lo, exec_lo, s2
	s_delay_alu instid0(SALU_CYCLE_1)
	s_mov_b32 s2, exec_lo
	s_waitcnt lgkmcnt(0)
	s_waitcnt_vscnt null, 0x0
	s_barrier
	buffer_gl0_inv
	v_cmpx_lt_i32_e32 6, v178
	s_cbranch_execz .LBB66_146
; %bb.145:
	v_mul_f64 v[48:49], v[138:139], v[122:123]
	v_dual_mov_b32 v100, v108 :: v_dual_mov_b32 v101, v109
	v_dual_mov_b32 v102, v110 :: v_dual_mov_b32 v103, v111
	s_delay_alu instid0(VALU_DEP_3) | instskip(SKIP_1) | instid1(VALU_DEP_1)
	v_fma_f64 v[144:145], v[136:137], v[120:121], -v[48:49]
	v_mul_f64 v[48:49], v[136:137], v[122:123]
	v_fma_f64 v[122:123], v[138:139], v[120:121], v[48:49]
	ds_load_2addr_b64 v[136:139], v176 offset0:14 offset1:15
	ds_load_2addr_b64 v[146:149], v176 offset0:16 offset1:17
	v_dual_mov_b32 v120, v144 :: v_dual_mov_b32 v121, v145
	s_waitcnt lgkmcnt(1)
	v_mul_f64 v[48:49], v[138:139], v[122:123]
	v_mul_f64 v[50:51], v[136:137], v[122:123]
	s_waitcnt lgkmcnt(0)
	v_mul_f64 v[52:53], v[148:149], v[122:123]
	v_mul_f64 v[54:55], v[146:147], v[122:123]
	s_delay_alu instid0(VALU_DEP_4) | instskip(NEXT) | instid1(VALU_DEP_4)
	v_fma_f64 v[48:49], v[136:137], v[144:145], -v[48:49]
	v_fma_f64 v[50:51], v[138:139], v[144:145], v[50:51]
	s_delay_alu instid0(VALU_DEP_4) | instskip(NEXT) | instid1(VALU_DEP_4)
	v_fma_f64 v[52:53], v[146:147], v[144:145], -v[52:53]
	v_fma_f64 v[54:55], v[148:149], v[144:145], v[54:55]
	ds_load_2addr_b64 v[136:139], v176 offset0:18 offset1:19
	ds_load_2addr_b64 v[146:149], v176 offset0:20 offset1:21
	s_waitcnt lgkmcnt(1)
	v_mul_f64 v[104:105], v[138:139], v[122:123]
	v_mul_f64 v[106:107], v[136:137], v[122:123]
	s_waitcnt lgkmcnt(0)
	v_mul_f64 v[108:109], v[148:149], v[122:123]
	v_mul_f64 v[124:125], v[146:147], v[122:123]
	v_add_f64 v[88:89], v[88:89], -v[48:49]
	v_add_f64 v[90:91], v[90:91], -v[50:51]
	;; [unrolled: 1-line block ×4, first 2 shown]
	v_fma_f64 v[104:105], v[136:137], v[144:145], -v[104:105]
	v_fma_f64 v[106:107], v[138:139], v[144:145], v[106:107]
	v_fma_f64 v[108:109], v[146:147], v[144:145], -v[108:109]
	v_fma_f64 v[124:125], v[148:149], v[144:145], v[124:125]
	ds_load_2addr_b64 v[136:139], v176 offset0:22 offset1:23
	ds_load_2addr_b64 v[146:149], v176 offset0:24 offset1:25
	s_waitcnt lgkmcnt(1)
	v_mul_f64 v[126:127], v[138:139], v[122:123]
	v_mul_f64 v[128:129], v[136:137], v[122:123]
	s_waitcnt lgkmcnt(0)
	v_mul_f64 v[130:131], v[148:149], v[122:123]
	v_add_f64 v[116:117], v[116:117], -v[108:109]
	v_add_f64 v[118:119], v[118:119], -v[124:125]
	v_dual_mov_b32 v111, v103 :: v_dual_mov_b32 v110, v102
	v_dual_mov_b32 v109, v101 :: v_dual_mov_b32 v108, v100
	v_fma_f64 v[126:127], v[136:137], v[144:145], -v[126:127]
	v_mul_f64 v[136:137], v[146:147], v[122:123]
	v_fma_f64 v[128:129], v[138:139], v[144:145], v[128:129]
	v_fma_f64 v[130:131], v[146:147], v[144:145], -v[130:131]
	s_delay_alu instid0(VALU_DEP_4) | instskip(NEXT) | instid1(VALU_DEP_4)
	v_add_f64 v[112:113], v[112:113], -v[126:127]
	v_fma_f64 v[140:141], v[148:149], v[144:145], v[136:137]
	ds_load_2addr_b64 v[136:139], v176 offset0:26 offset1:27
	ds_load_2addr_b64 v[146:149], v176 offset0:28 offset1:29
	v_add_f64 v[114:115], v[114:115], -v[128:129]
	v_add_f64 v[96:97], v[96:97], -v[130:131]
	s_waitcnt lgkmcnt(1)
	v_mul_f64 v[142:143], v[138:139], v[122:123]
	v_add_f64 v[98:99], v[98:99], -v[140:141]
	s_delay_alu instid0(VALU_DEP_2) | instskip(SKIP_1) | instid1(VALU_DEP_2)
	v_fma_f64 v[142:143], v[136:137], v[144:145], -v[142:143]
	v_mul_f64 v[136:137], v[136:137], v[122:123]
	v_add_f64 v[92:93], v[92:93], -v[142:143]
	s_delay_alu instid0(VALU_DEP_2) | instskip(SKIP_2) | instid1(VALU_DEP_2)
	v_fma_f64 v[150:151], v[138:139], v[144:145], v[136:137]
	s_waitcnt lgkmcnt(0)
	v_mul_f64 v[136:137], v[148:149], v[122:123]
	v_add_f64 v[94:95], v[94:95], -v[150:151]
	s_delay_alu instid0(VALU_DEP_2) | instskip(SKIP_1) | instid1(VALU_DEP_2)
	v_fma_f64 v[152:153], v[146:147], v[144:145], -v[136:137]
	v_mul_f64 v[136:137], v[146:147], v[122:123]
	v_add_f64 v[84:85], v[84:85], -v[152:153]
	s_delay_alu instid0(VALU_DEP_2)
	v_fma_f64 v[154:155], v[148:149], v[144:145], v[136:137]
	ds_load_2addr_b64 v[136:139], v176 offset0:30 offset1:31
	ds_load_2addr_b64 v[146:149], v176 offset0:32 offset1:33
	s_waitcnt lgkmcnt(1)
	v_mul_f64 v[156:157], v[138:139], v[122:123]
	v_add_f64 v[86:87], v[86:87], -v[154:155]
	s_delay_alu instid0(VALU_DEP_2) | instskip(SKIP_1) | instid1(VALU_DEP_2)
	v_fma_f64 v[156:157], v[136:137], v[144:145], -v[156:157]
	v_mul_f64 v[136:137], v[136:137], v[122:123]
	v_add_f64 v[80:81], v[80:81], -v[156:157]
	s_delay_alu instid0(VALU_DEP_2) | instskip(SKIP_2) | instid1(VALU_DEP_2)
	v_fma_f64 v[158:159], v[138:139], v[144:145], v[136:137]
	s_waitcnt lgkmcnt(0)
	v_mul_f64 v[136:137], v[148:149], v[122:123]
	v_add_f64 v[82:83], v[82:83], -v[158:159]
	s_delay_alu instid0(VALU_DEP_2) | instskip(SKIP_1) | instid1(VALU_DEP_2)
	v_fma_f64 v[160:161], v[146:147], v[144:145], -v[136:137]
	v_mul_f64 v[136:137], v[146:147], v[122:123]
	v_add_f64 v[76:77], v[76:77], -v[160:161]
	s_delay_alu instid0(VALU_DEP_2)
	v_fma_f64 v[162:163], v[148:149], v[144:145], v[136:137]
	ds_load_2addr_b64 v[136:139], v176 offset0:34 offset1:35
	ds_load_2addr_b64 v[146:149], v176 offset0:36 offset1:37
	;; [unrolled: 20-line block ×9, first 2 shown]
	scratch_load_b128 v[0:3], off, off      ; 16-byte Folded Reload
	s_waitcnt lgkmcnt(1)
	v_mul_f64 v[227:228], v[138:139], v[122:123]
	v_add_f64 v[14:15], v[14:15], -v[225:226]
	s_delay_alu instid0(VALU_DEP_2) | instskip(SKIP_1) | instid1(VALU_DEP_2)
	v_fma_f64 v[227:228], v[136:137], v[144:145], -v[227:228]
	v_mul_f64 v[136:137], v[136:137], v[122:123]
	v_add_f64 v[8:9], v[8:9], -v[227:228]
	s_delay_alu instid0(VALU_DEP_2) | instskip(SKIP_2) | instid1(VALU_DEP_2)
	v_fma_f64 v[229:230], v[138:139], v[144:145], v[136:137]
	s_waitcnt lgkmcnt(0)
	v_mul_f64 v[136:137], v[148:149], v[122:123]
	v_add_f64 v[10:11], v[10:11], -v[229:230]
	s_delay_alu instid0(VALU_DEP_2) | instskip(SKIP_1) | instid1(VALU_DEP_2)
	v_fma_f64 v[231:232], v[146:147], v[144:145], -v[136:137]
	v_mul_f64 v[136:137], v[146:147], v[122:123]
	v_add_f64 v[4:5], v[4:5], -v[231:232]
	s_delay_alu instid0(VALU_DEP_2) | instskip(SKIP_4) | instid1(VALU_DEP_2)
	v_fma_f64 v[146:147], v[148:149], v[144:145], v[136:137]
	ds_load_2addr_b64 v[136:139], v176 offset0:66 offset1:67
	s_waitcnt lgkmcnt(0)
	v_mul_f64 v[148:149], v[138:139], v[122:123]
	v_add_f64 v[6:7], v[6:7], -v[146:147]
	v_fma_f64 v[148:149], v[136:137], v[144:145], -v[148:149]
	v_mul_f64 v[136:137], v[136:137], v[122:123]
	s_delay_alu instid0(VALU_DEP_2) | instskip(NEXT) | instid1(VALU_DEP_2)
	v_add_f64 v[243:244], v[243:244], -v[148:149]
	v_fma_f64 v[136:137], v[138:139], v[144:145], v[136:137]
	s_delay_alu instid0(VALU_DEP_1)
	v_add_f64 v[245:246], v[245:246], -v[136:137]
	s_waitcnt vmcnt(0)
	v_add_f64 v[0:1], v[0:1], -v[104:105]
	v_add_f64 v[2:3], v[2:3], -v[106:107]
	scratch_store_b128 off, v[0:3], off     ; 16-byte Folded Spill
.LBB66_146:
	s_or_b32 exec_lo, exec_lo, s2
	v_lshl_add_u32 v48, v178, 4, v176
	s_waitcnt_vscnt null, 0x0
	s_barrier
	buffer_gl0_inv
	v_mov_b32_e32 v144, 7
	ds_store_2addr_b64 v48, v[88:89], v[90:91] offset1:1
	s_waitcnt lgkmcnt(0)
	s_barrier
	buffer_gl0_inv
	ds_load_2addr_b64 v[136:139], v176 offset0:14 offset1:15
	s_cmp_lt_i32 s5, 9
	s_cbranch_scc1 .LBB66_149
; %bb.147:
	v_add3_u32 v145, v174, 0, 0x80
	v_mov_b32_e32 v144, 7
	s_mov_b32 s6, 8
	s_set_inst_prefetch_distance 0x1
	.p2align	6
.LBB66_148:                             ; =>This Inner Loop Header: Depth=1
	ds_load_2addr_b64 v[146:149], v145 offset1:1
	s_waitcnt lgkmcnt(1)
	v_cmp_gt_f64_e32 vcc_lo, 0, v[136:137]
	v_xor_b32_e32 v48, 0x80000000, v137
	v_cmp_gt_f64_e64 s2, 0, v[138:139]
	v_xor_b32_e32 v50, 0x80000000, v139
	v_add_nc_u32_e32 v145, 16, v145
	s_waitcnt lgkmcnt(0)
	v_cmp_gt_f64_e64 s3, 0, v[146:147]
	v_mov_b32_e32 v52, v146
	v_dual_mov_b32 v54, v148 :: v_dual_cndmask_b32 v49, v137, v48
	v_xor_b32_e32 v48, 0x80000000, v147
	v_cndmask_b32_e64 v51, v139, v50, s2
	v_xor_b32_e32 v50, 0x80000000, v149
	s_delay_alu instid0(VALU_DEP_3) | instskip(SKIP_2) | instid1(VALU_DEP_2)
	v_cndmask_b32_e64 v53, v147, v48, s3
	v_cmp_gt_f64_e64 s3, 0, v[148:149]
	v_cndmask_b32_e32 v48, v136, v136, vcc_lo
	v_cndmask_b32_e64 v55, v149, v50, s3
	v_cndmask_b32_e64 v50, v138, v138, s2
	s_delay_alu instid0(VALU_DEP_2) | instskip(NEXT) | instid1(VALU_DEP_2)
	v_add_f64 v[52:53], v[52:53], v[54:55]
	v_add_f64 v[48:49], v[48:49], v[50:51]
	s_delay_alu instid0(VALU_DEP_1)
	v_cmp_lt_f64_e32 vcc_lo, v[48:49], v[52:53]
	v_cndmask_b32_e32 v139, v139, v149, vcc_lo
	v_dual_cndmask_b32 v137, v137, v147 :: v_dual_cndmask_b32 v136, v136, v146
	v_cndmask_b32_e32 v138, v138, v148, vcc_lo
	v_cndmask_b32_e64 v144, v144, s6, vcc_lo
	s_add_i32 s6, s6, 1
	s_delay_alu instid0(SALU_CYCLE_1)
	s_cmp_lg_u32 s5, s6
	s_cbranch_scc1 .LBB66_148
.LBB66_149:
	s_set_inst_prefetch_distance 0x2
	s_waitcnt lgkmcnt(0)
	v_cmp_eq_f64_e32 vcc_lo, 0, v[136:137]
	v_cmp_eq_f64_e64 s2, 0, v[138:139]
	s_delay_alu instid0(VALU_DEP_1) | instskip(NEXT) | instid1(SALU_CYCLE_1)
	s_and_b32 s2, vcc_lo, s2
	s_and_saveexec_b32 s3, s2
	s_delay_alu instid0(SALU_CYCLE_1)
	s_xor_b32 s2, exec_lo, s3
; %bb.150:
	v_cmp_ne_u32_e32 vcc_lo, 0, v255
	v_cndmask_b32_e32 v255, 8, v255, vcc_lo
; %bb.151:
	s_and_not1_saveexec_b32 s3, s2
	s_cbranch_execz .LBB66_157
; %bb.152:
	v_cmp_gt_f64_e32 vcc_lo, 0, v[136:137]
	v_cmp_gt_f64_e64 s2, 0, v[138:139]
	v_xor_b32_e32 v48, 0x80000000, v137
	v_xor_b32_e32 v50, 0x80000000, v139
	s_delay_alu instid0(VALU_DEP_2) | instskip(NEXT) | instid1(VALU_DEP_2)
	v_cndmask_b32_e32 v49, v137, v48, vcc_lo
	v_cndmask_b32_e64 v51, v139, v50, s2
	v_cndmask_b32_e32 v48, v136, v136, vcc_lo
	v_cndmask_b32_e64 v50, v138, v138, s2
	s_mov_b32 s2, exec_lo
	s_delay_alu instid0(VALU_DEP_1)
	v_cmpx_ngt_f64_e32 v[48:49], v[50:51]
	s_xor_b32 s2, exec_lo, s2
	s_cbranch_execz .LBB66_154
; %bb.153:
	v_div_scale_f64 v[48:49], null, v[138:139], v[138:139], v[136:137]
	v_div_scale_f64 v[54:55], vcc_lo, v[136:137], v[138:139], v[136:137]
	s_delay_alu instid0(VALU_DEP_2) | instskip(SKIP_2) | instid1(VALU_DEP_1)
	v_rcp_f64_e32 v[50:51], v[48:49]
	s_waitcnt_depctr 0xfff
	v_fma_f64 v[52:53], -v[48:49], v[50:51], 1.0
	v_fma_f64 v[50:51], v[50:51], v[52:53], v[50:51]
	s_delay_alu instid0(VALU_DEP_1) | instskip(NEXT) | instid1(VALU_DEP_1)
	v_fma_f64 v[52:53], -v[48:49], v[50:51], 1.0
	v_fma_f64 v[50:51], v[50:51], v[52:53], v[50:51]
	s_delay_alu instid0(VALU_DEP_1) | instskip(NEXT) | instid1(VALU_DEP_1)
	v_mul_f64 v[52:53], v[54:55], v[50:51]
	v_fma_f64 v[48:49], -v[48:49], v[52:53], v[54:55]
	s_delay_alu instid0(VALU_DEP_1) | instskip(NEXT) | instid1(VALU_DEP_1)
	v_div_fmas_f64 v[48:49], v[48:49], v[50:51], v[52:53]
	v_div_fixup_f64 v[48:49], v[48:49], v[138:139], v[136:137]
	s_delay_alu instid0(VALU_DEP_1) | instskip(NEXT) | instid1(VALU_DEP_1)
	v_fma_f64 v[50:51], v[136:137], v[48:49], v[138:139]
	v_div_scale_f64 v[52:53], null, v[50:51], v[50:51], 1.0
	s_delay_alu instid0(VALU_DEP_1) | instskip(SKIP_2) | instid1(VALU_DEP_1)
	v_rcp_f64_e32 v[54:55], v[52:53]
	s_waitcnt_depctr 0xfff
	v_fma_f64 v[104:105], -v[52:53], v[54:55], 1.0
	v_fma_f64 v[54:55], v[54:55], v[104:105], v[54:55]
	s_delay_alu instid0(VALU_DEP_1) | instskip(NEXT) | instid1(VALU_DEP_1)
	v_fma_f64 v[104:105], -v[52:53], v[54:55], 1.0
	v_fma_f64 v[54:55], v[54:55], v[104:105], v[54:55]
	v_div_scale_f64 v[104:105], vcc_lo, 1.0, v[50:51], 1.0
	s_delay_alu instid0(VALU_DEP_1) | instskip(NEXT) | instid1(VALU_DEP_1)
	v_mul_f64 v[106:107], v[104:105], v[54:55]
	v_fma_f64 v[52:53], -v[52:53], v[106:107], v[104:105]
	s_delay_alu instid0(VALU_DEP_1) | instskip(NEXT) | instid1(VALU_DEP_1)
	v_div_fmas_f64 v[52:53], v[52:53], v[54:55], v[106:107]
	v_div_fixup_f64 v[138:139], v[52:53], v[50:51], 1.0
	s_delay_alu instid0(VALU_DEP_1)
	v_mul_f64 v[136:137], v[48:49], v[138:139]
	v_xor_b32_e32 v139, 0x80000000, v139
.LBB66_154:
	s_and_not1_saveexec_b32 s2, s2
	s_cbranch_execz .LBB66_156
; %bb.155:
	s_delay_alu instid0(VALU_DEP_1) | instskip(SKIP_1) | instid1(VALU_DEP_2)
	v_div_scale_f64 v[48:49], null, v[136:137], v[136:137], v[138:139]
	v_div_scale_f64 v[54:55], vcc_lo, v[138:139], v[136:137], v[138:139]
	v_rcp_f64_e32 v[50:51], v[48:49]
	s_waitcnt_depctr 0xfff
	v_fma_f64 v[52:53], -v[48:49], v[50:51], 1.0
	s_delay_alu instid0(VALU_DEP_1) | instskip(NEXT) | instid1(VALU_DEP_1)
	v_fma_f64 v[50:51], v[50:51], v[52:53], v[50:51]
	v_fma_f64 v[52:53], -v[48:49], v[50:51], 1.0
	s_delay_alu instid0(VALU_DEP_1) | instskip(NEXT) | instid1(VALU_DEP_1)
	v_fma_f64 v[50:51], v[50:51], v[52:53], v[50:51]
	v_mul_f64 v[52:53], v[54:55], v[50:51]
	s_delay_alu instid0(VALU_DEP_1) | instskip(NEXT) | instid1(VALU_DEP_1)
	v_fma_f64 v[48:49], -v[48:49], v[52:53], v[54:55]
	v_div_fmas_f64 v[48:49], v[48:49], v[50:51], v[52:53]
	s_delay_alu instid0(VALU_DEP_1) | instskip(NEXT) | instid1(VALU_DEP_1)
	v_div_fixup_f64 v[48:49], v[48:49], v[136:137], v[138:139]
	v_fma_f64 v[50:51], v[138:139], v[48:49], v[136:137]
	s_delay_alu instid0(VALU_DEP_1) | instskip(NEXT) | instid1(VALU_DEP_1)
	v_div_scale_f64 v[52:53], null, v[50:51], v[50:51], 1.0
	v_rcp_f64_e32 v[54:55], v[52:53]
	s_waitcnt_depctr 0xfff
	v_fma_f64 v[104:105], -v[52:53], v[54:55], 1.0
	s_delay_alu instid0(VALU_DEP_1) | instskip(NEXT) | instid1(VALU_DEP_1)
	v_fma_f64 v[54:55], v[54:55], v[104:105], v[54:55]
	v_fma_f64 v[104:105], -v[52:53], v[54:55], 1.0
	s_delay_alu instid0(VALU_DEP_1) | instskip(SKIP_1) | instid1(VALU_DEP_1)
	v_fma_f64 v[54:55], v[54:55], v[104:105], v[54:55]
	v_div_scale_f64 v[104:105], vcc_lo, 1.0, v[50:51], 1.0
	v_mul_f64 v[106:107], v[104:105], v[54:55]
	s_delay_alu instid0(VALU_DEP_1) | instskip(NEXT) | instid1(VALU_DEP_1)
	v_fma_f64 v[52:53], -v[52:53], v[106:107], v[104:105]
	v_div_fmas_f64 v[52:53], v[52:53], v[54:55], v[106:107]
	s_delay_alu instid0(VALU_DEP_1) | instskip(NEXT) | instid1(VALU_DEP_1)
	v_div_fixup_f64 v[136:137], v[52:53], v[50:51], 1.0
	v_mul_f64 v[138:139], v[48:49], -v[136:137]
.LBB66_156:
	s_or_b32 exec_lo, exec_lo, s2
.LBB66_157:
	s_delay_alu instid0(SALU_CYCLE_1) | instskip(NEXT) | instid1(SALU_CYCLE_1)
	s_or_b32 exec_lo, exec_lo, s3
	s_mov_b32 s2, exec_lo
	v_cmpx_ne_u32_e64 v178, v144
	s_xor_b32 s2, exec_lo, s2
	s_cbranch_execz .LBB66_163
; %bb.158:
	s_mov_b32 s3, exec_lo
	v_cmpx_eq_u32_e32 7, v178
	s_cbranch_execz .LBB66_162
; %bb.159:
	v_cmp_ne_u32_e32 vcc_lo, 7, v144
	s_xor_b32 s6, s4, -1
	s_delay_alu instid0(SALU_CYCLE_1) | instskip(NEXT) | instid1(SALU_CYCLE_1)
	s_and_b32 s7, s6, vcc_lo
	s_and_saveexec_b32 s6, s7
	s_cbranch_execz .LBB66_161
; %bb.160:
	scratch_load_b64 v[52:53], off, off offset:32 ; 8-byte Folded Reload
	v_ashrrev_i32_e32 v145, 31, v144
	s_delay_alu instid0(VALU_DEP_1) | instskip(SKIP_1) | instid1(VALU_DEP_1)
	v_lshlrev_b64 v[48:49], 2, v[144:145]
	s_waitcnt vmcnt(0)
	v_add_co_u32 v48, vcc_lo, v52, v48
	s_delay_alu instid0(VALU_DEP_2)
	v_add_co_ci_u32_e32 v49, vcc_lo, v53, v49, vcc_lo
	s_clause 0x1
	flat_load_b32 v50, v[48:49]
	flat_load_b32 v51, v[52:53] offset:28
	s_waitcnt vmcnt(1) lgkmcnt(1)
	flat_store_b32 v[52:53], v50 offset:28
	s_waitcnt vmcnt(0) lgkmcnt(1)
	flat_store_b32 v[48:49], v51
.LBB66_161:
	s_or_b32 exec_lo, exec_lo, s6
	v_mov_b32_e32 v178, v144
	v_mov_b32_e32 v172, v144
.LBB66_162:
	s_or_b32 exec_lo, exec_lo, s3
.LBB66_163:
	s_and_not1_saveexec_b32 s2, s2
	s_cbranch_execz .LBB66_165
; %bb.164:
	scratch_load_b128 v[0:3], off, off      ; 16-byte Folded Reload
	v_mov_b32_e32 v178, 7
	ds_store_2addr_b64 v176, v[251:252], v[253:254] offset0:16 offset1:17
	s_waitcnt vmcnt(0)
	ds_store_2addr_b64 v176, v[0:1], v[2:3] offset0:18 offset1:19
	ds_store_2addr_b64 v176, v[116:117], v[118:119] offset0:20 offset1:21
	;; [unrolled: 1-line block ×25, first 2 shown]
.LBB66_165:
	s_or_b32 exec_lo, exec_lo, s2
	s_delay_alu instid0(SALU_CYCLE_1)
	s_mov_b32 s2, exec_lo
	s_waitcnt lgkmcnt(0)
	s_waitcnt_vscnt null, 0x0
	s_barrier
	buffer_gl0_inv
	v_cmpx_lt_i32_e32 7, v178
	s_cbranch_execz .LBB66_167
; %bb.166:
	v_mul_f64 v[48:49], v[138:139], v[90:91]
	s_delay_alu instid0(VALU_DEP_1) | instskip(SKIP_1) | instid1(VALU_DEP_1)
	v_fma_f64 v[144:145], v[136:137], v[88:89], -v[48:49]
	v_mul_f64 v[48:49], v[136:137], v[90:91]
	v_fma_f64 v[90:91], v[138:139], v[88:89], v[48:49]
	ds_load_2addr_b64 v[136:139], v176 offset0:16 offset1:17
	ds_load_2addr_b64 v[146:149], v176 offset0:18 offset1:19
	;; [unrolled: 1-line block ×8, first 2 shown]
	s_waitcnt lgkmcnt(7)
	v_mul_f64 v[48:49], v[138:139], v[90:91]
	s_delay_alu instid0(VALU_DEP_1) | instskip(SKIP_1) | instid1(VALU_DEP_2)
	v_fma_f64 v[88:89], v[136:137], v[144:145], -v[48:49]
	v_mul_f64 v[48:49], v[136:137], v[90:91]
	v_add_f64 v[251:252], v[251:252], -v[88:89]
	s_delay_alu instid0(VALU_DEP_2) | instskip(SKIP_3) | instid1(VALU_DEP_3)
	v_fma_f64 v[136:137], v[138:139], v[144:145], v[48:49]
	s_waitcnt lgkmcnt(6)
	v_mul_f64 v[48:49], v[148:149], v[90:91]
	v_dual_mov_b32 v88, v144 :: v_dual_mov_b32 v89, v145
	v_add_f64 v[253:254], v[253:254], -v[136:137]
	s_delay_alu instid0(VALU_DEP_3) | instskip(SKIP_1) | instid1(VALU_DEP_1)
	v_fma_f64 v[138:139], v[146:147], v[144:145], -v[48:49]
	v_mul_f64 v[48:49], v[146:147], v[90:91]
	v_fma_f64 v[146:147], v[148:149], v[144:145], v[48:49]
	s_waitcnt lgkmcnt(5)
	v_mul_f64 v[48:49], v[152:153], v[90:91]
	s_delay_alu instid0(VALU_DEP_1) | instskip(SKIP_1) | instid1(VALU_DEP_2)
	v_fma_f64 v[148:149], v[150:151], v[144:145], -v[48:49]
	v_mul_f64 v[48:49], v[150:151], v[90:91]
	v_add_f64 v[116:117], v[116:117], -v[148:149]
	s_delay_alu instid0(VALU_DEP_2) | instskip(SKIP_2) | instid1(VALU_DEP_2)
	v_fma_f64 v[150:151], v[152:153], v[144:145], v[48:49]
	s_waitcnt lgkmcnt(4)
	v_mul_f64 v[48:49], v[156:157], v[90:91]
	v_add_f64 v[118:119], v[118:119], -v[150:151]
	s_delay_alu instid0(VALU_DEP_2) | instskip(SKIP_1) | instid1(VALU_DEP_2)
	v_fma_f64 v[152:153], v[154:155], v[144:145], -v[48:49]
	v_mul_f64 v[48:49], v[154:155], v[90:91]
	v_add_f64 v[112:113], v[112:113], -v[152:153]
	s_delay_alu instid0(VALU_DEP_2) | instskip(SKIP_2) | instid1(VALU_DEP_2)
	v_fma_f64 v[154:155], v[156:157], v[144:145], v[48:49]
	s_waitcnt lgkmcnt(3)
	v_mul_f64 v[48:49], v[160:161], v[90:91]
	v_add_f64 v[114:115], v[114:115], -v[154:155]
	s_delay_alu instid0(VALU_DEP_2) | instskip(SKIP_1) | instid1(VALU_DEP_2)
	;; [unrolled: 9-line block ×5, first 2 shown]
	v_fma_f64 v[168:169], v[179:180], v[144:145], -v[48:49]
	v_mul_f64 v[48:49], v[179:180], v[90:91]
	v_add_f64 v[80:81], v[80:81], -v[168:169]
	s_delay_alu instid0(VALU_DEP_2)
	v_fma_f64 v[170:171], v[181:182], v[144:145], v[48:49]
	ds_load_2addr_b64 v[179:182], v176 offset0:32 offset1:33
	ds_load_2addr_b64 v[183:186], v176 offset0:34 offset1:35
	s_waitcnt lgkmcnt(1)
	v_mul_f64 v[48:49], v[181:182], v[90:91]
	v_mul_f64 v[50:51], v[179:180], v[90:91]
	s_waitcnt lgkmcnt(0)
	v_mul_f64 v[52:53], v[185:186], v[90:91]
	v_mul_f64 v[54:55], v[183:184], v[90:91]
	v_add_f64 v[82:83], v[82:83], -v[170:171]
	v_fma_f64 v[48:49], v[179:180], v[144:145], -v[48:49]
	v_fma_f64 v[50:51], v[181:182], v[144:145], v[50:51]
	v_fma_f64 v[52:53], v[183:184], v[144:145], -v[52:53]
	v_fma_f64 v[54:55], v[185:186], v[144:145], v[54:55]
	ds_load_2addr_b64 v[179:182], v176 offset0:36 offset1:37
	ds_load_2addr_b64 v[183:186], v176 offset0:38 offset1:39
	s_waitcnt lgkmcnt(1)
	v_mul_f64 v[104:105], v[181:182], v[90:91]
	v_mul_f64 v[106:107], v[179:180], v[90:91]
	s_waitcnt lgkmcnt(0)
	v_mul_f64 v[124:125], v[185:186], v[90:91]
	v_mul_f64 v[126:127], v[183:184], v[90:91]
	v_add_f64 v[76:77], v[76:77], -v[48:49]
	v_add_f64 v[78:79], v[78:79], -v[50:51]
	;; [unrolled: 1-line block ×4, first 2 shown]
	v_fma_f64 v[104:105], v[179:180], v[144:145], -v[104:105]
	v_fma_f64 v[106:107], v[181:182], v[144:145], v[106:107]
	v_fma_f64 v[124:125], v[183:184], v[144:145], -v[124:125]
	v_fma_f64 v[126:127], v[185:186], v[144:145], v[126:127]
	ds_load_2addr_b64 v[179:182], v176 offset0:40 offset1:41
	ds_load_2addr_b64 v[183:186], v176 offset0:42 offset1:43
	s_waitcnt lgkmcnt(1)
	v_mul_f64 v[128:129], v[181:182], v[90:91]
	v_mul_f64 v[130:131], v[179:180], v[90:91]
	s_waitcnt lgkmcnt(0)
	v_mul_f64 v[140:141], v[185:186], v[90:91]
	v_mul_f64 v[142:143], v[183:184], v[90:91]
	v_add_f64 v[68:69], v[68:69], -v[104:105]
	v_add_f64 v[70:71], v[70:71], -v[106:107]
	;; [unrolled: 1-line block ×4, first 2 shown]
	v_fma_f64 v[128:129], v[179:180], v[144:145], -v[128:129]
	v_fma_f64 v[130:131], v[181:182], v[144:145], v[130:131]
	v_fma_f64 v[140:141], v[183:184], v[144:145], -v[140:141]
	v_fma_f64 v[142:143], v[185:186], v[144:145], v[142:143]
	ds_load_2addr_b64 v[179:182], v176 offset0:44 offset1:45
	ds_load_2addr_b64 v[183:186], v176 offset0:46 offset1:47
	s_waitcnt lgkmcnt(1)
	v_mul_f64 v[187:188], v[181:182], v[90:91]
	v_add_f64 v[60:61], v[60:61], -v[128:129]
	v_add_f64 v[62:63], v[62:63], -v[130:131]
	;; [unrolled: 1-line block ×4, first 2 shown]
	v_fma_f64 v[187:188], v[179:180], v[144:145], -v[187:188]
	v_mul_f64 v[179:180], v[179:180], v[90:91]
	s_delay_alu instid0(VALU_DEP_2) | instskip(NEXT) | instid1(VALU_DEP_2)
	v_add_f64 v[44:45], v[44:45], -v[187:188]
	v_fma_f64 v[189:190], v[181:182], v[144:145], v[179:180]
	s_waitcnt lgkmcnt(0)
	v_mul_f64 v[179:180], v[185:186], v[90:91]
	s_delay_alu instid0(VALU_DEP_2) | instskip(NEXT) | instid1(VALU_DEP_2)
	v_add_f64 v[46:47], v[46:47], -v[189:190]
	v_fma_f64 v[191:192], v[183:184], v[144:145], -v[179:180]
	v_mul_f64 v[179:180], v[183:184], v[90:91]
	s_delay_alu instid0(VALU_DEP_2) | instskip(NEXT) | instid1(VALU_DEP_2)
	v_add_f64 v[40:41], v[40:41], -v[191:192]
	v_fma_f64 v[193:194], v[185:186], v[144:145], v[179:180]
	ds_load_2addr_b64 v[179:182], v176 offset0:48 offset1:49
	ds_load_2addr_b64 v[183:186], v176 offset0:50 offset1:51
	s_waitcnt lgkmcnt(1)
	v_mul_f64 v[195:196], v[181:182], v[90:91]
	v_add_f64 v[42:43], v[42:43], -v[193:194]
	s_delay_alu instid0(VALU_DEP_2) | instskip(SKIP_1) | instid1(VALU_DEP_2)
	v_fma_f64 v[195:196], v[179:180], v[144:145], -v[195:196]
	v_mul_f64 v[179:180], v[179:180], v[90:91]
	v_add_f64 v[36:37], v[36:37], -v[195:196]
	s_delay_alu instid0(VALU_DEP_2) | instskip(SKIP_2) | instid1(VALU_DEP_2)
	v_fma_f64 v[197:198], v[181:182], v[144:145], v[179:180]
	s_waitcnt lgkmcnt(0)
	v_mul_f64 v[179:180], v[185:186], v[90:91]
	v_add_f64 v[38:39], v[38:39], -v[197:198]
	s_delay_alu instid0(VALU_DEP_2) | instskip(SKIP_1) | instid1(VALU_DEP_2)
	v_fma_f64 v[199:200], v[183:184], v[144:145], -v[179:180]
	v_mul_f64 v[179:180], v[183:184], v[90:91]
	v_add_f64 v[32:33], v[32:33], -v[199:200]
	s_delay_alu instid0(VALU_DEP_2)
	v_fma_f64 v[201:202], v[185:186], v[144:145], v[179:180]
	ds_load_2addr_b64 v[179:182], v176 offset0:52 offset1:53
	ds_load_2addr_b64 v[183:186], v176 offset0:54 offset1:55
	s_waitcnt lgkmcnt(1)
	v_mul_f64 v[203:204], v[181:182], v[90:91]
	v_add_f64 v[34:35], v[34:35], -v[201:202]
	s_delay_alu instid0(VALU_DEP_2) | instskip(SKIP_1) | instid1(VALU_DEP_2)
	v_fma_f64 v[203:204], v[179:180], v[144:145], -v[203:204]
	v_mul_f64 v[179:180], v[179:180], v[90:91]
	v_add_f64 v[28:29], v[28:29], -v[203:204]
	s_delay_alu instid0(VALU_DEP_2) | instskip(SKIP_2) | instid1(VALU_DEP_2)
	v_fma_f64 v[205:206], v[181:182], v[144:145], v[179:180]
	s_waitcnt lgkmcnt(0)
	v_mul_f64 v[179:180], v[185:186], v[90:91]
	v_add_f64 v[30:31], v[30:31], -v[205:206]
	s_delay_alu instid0(VALU_DEP_2) | instskip(SKIP_1) | instid1(VALU_DEP_2)
	v_fma_f64 v[207:208], v[183:184], v[144:145], -v[179:180]
	v_mul_f64 v[179:180], v[183:184], v[90:91]
	v_add_f64 v[24:25], v[24:25], -v[207:208]
	s_delay_alu instid0(VALU_DEP_2)
	;; [unrolled: 20-line block ×4, first 2 shown]
	v_fma_f64 v[225:226], v[185:186], v[144:145], v[179:180]
	ds_load_2addr_b64 v[179:182], v176 offset0:64 offset1:65
	ds_load_2addr_b64 v[183:186], v176 offset0:66 offset1:67
	scratch_load_b128 v[0:3], off, off      ; 16-byte Folded Reload
	s_waitcnt lgkmcnt(1)
	v_mul_f64 v[227:228], v[181:182], v[90:91]
	v_add_f64 v[10:11], v[10:11], -v[225:226]
	s_delay_alu instid0(VALU_DEP_2) | instskip(SKIP_1) | instid1(VALU_DEP_2)
	v_fma_f64 v[227:228], v[179:180], v[144:145], -v[227:228]
	v_mul_f64 v[179:180], v[179:180], v[90:91]
	v_add_f64 v[4:5], v[4:5], -v[227:228]
	s_delay_alu instid0(VALU_DEP_2) | instskip(SKIP_2) | instid1(VALU_DEP_2)
	v_fma_f64 v[179:180], v[181:182], v[144:145], v[179:180]
	s_waitcnt lgkmcnt(0)
	v_mul_f64 v[181:182], v[185:186], v[90:91]
	v_add_f64 v[6:7], v[6:7], -v[179:180]
	s_delay_alu instid0(VALU_DEP_2) | instskip(SKIP_1) | instid1(VALU_DEP_2)
	v_fma_f64 v[181:182], v[183:184], v[144:145], -v[181:182]
	v_mul_f64 v[183:184], v[183:184], v[90:91]
	v_add_f64 v[243:244], v[243:244], -v[181:182]
	s_delay_alu instid0(VALU_DEP_2) | instskip(NEXT) | instid1(VALU_DEP_1)
	v_fma_f64 v[183:184], v[185:186], v[144:145], v[183:184]
	v_add_f64 v[245:246], v[245:246], -v[183:184]
	s_waitcnt vmcnt(0)
	v_add_f64 v[0:1], v[0:1], -v[138:139]
	v_add_f64 v[2:3], v[2:3], -v[146:147]
	scratch_store_b128 off, v[0:3], off     ; 16-byte Folded Spill
.LBB66_167:
	s_or_b32 exec_lo, exec_lo, s2
	v_lshl_add_u32 v48, v178, 4, v176
	s_waitcnt_vscnt null, 0x0
	s_barrier
	buffer_gl0_inv
	v_mov_b32_e32 v144, 8
	ds_store_2addr_b64 v48, v[251:252], v[253:254] offset1:1
	s_waitcnt lgkmcnt(0)
	s_barrier
	buffer_gl0_inv
	ds_load_2addr_b64 v[136:139], v176 offset0:16 offset1:17
	s_cmp_lt_i32 s5, 10
	s_cbranch_scc1 .LBB66_170
; %bb.168:
	v_add3_u32 v145, v174, 0, 0x90
	v_mov_b32_e32 v144, 8
	s_mov_b32 s6, 9
	s_set_inst_prefetch_distance 0x1
	.p2align	6
.LBB66_169:                             ; =>This Inner Loop Header: Depth=1
	ds_load_2addr_b64 v[146:149], v145 offset1:1
	s_waitcnt lgkmcnt(1)
	v_cmp_gt_f64_e32 vcc_lo, 0, v[136:137]
	v_xor_b32_e32 v48, 0x80000000, v137
	v_cmp_gt_f64_e64 s2, 0, v[138:139]
	v_xor_b32_e32 v50, 0x80000000, v139
	v_add_nc_u32_e32 v145, 16, v145
	s_waitcnt lgkmcnt(0)
	v_cmp_gt_f64_e64 s3, 0, v[146:147]
	v_mov_b32_e32 v52, v146
	v_dual_mov_b32 v54, v148 :: v_dual_cndmask_b32 v49, v137, v48
	v_xor_b32_e32 v48, 0x80000000, v147
	v_cndmask_b32_e64 v51, v139, v50, s2
	v_xor_b32_e32 v50, 0x80000000, v149
	s_delay_alu instid0(VALU_DEP_3) | instskip(SKIP_2) | instid1(VALU_DEP_2)
	v_cndmask_b32_e64 v53, v147, v48, s3
	v_cmp_gt_f64_e64 s3, 0, v[148:149]
	v_cndmask_b32_e32 v48, v136, v136, vcc_lo
	v_cndmask_b32_e64 v55, v149, v50, s3
	v_cndmask_b32_e64 v50, v138, v138, s2
	s_delay_alu instid0(VALU_DEP_2) | instskip(NEXT) | instid1(VALU_DEP_2)
	v_add_f64 v[52:53], v[52:53], v[54:55]
	v_add_f64 v[48:49], v[48:49], v[50:51]
	s_delay_alu instid0(VALU_DEP_1)
	v_cmp_lt_f64_e32 vcc_lo, v[48:49], v[52:53]
	v_cndmask_b32_e32 v139, v139, v149, vcc_lo
	v_dual_cndmask_b32 v137, v137, v147 :: v_dual_cndmask_b32 v136, v136, v146
	v_cndmask_b32_e32 v138, v138, v148, vcc_lo
	v_cndmask_b32_e64 v144, v144, s6, vcc_lo
	s_add_i32 s6, s6, 1
	s_delay_alu instid0(SALU_CYCLE_1)
	s_cmp_lg_u32 s5, s6
	s_cbranch_scc1 .LBB66_169
.LBB66_170:
	s_set_inst_prefetch_distance 0x2
	s_waitcnt lgkmcnt(0)
	v_cmp_eq_f64_e32 vcc_lo, 0, v[136:137]
	v_cmp_eq_f64_e64 s2, 0, v[138:139]
	s_delay_alu instid0(VALU_DEP_1) | instskip(NEXT) | instid1(SALU_CYCLE_1)
	s_and_b32 s2, vcc_lo, s2
	s_and_saveexec_b32 s3, s2
	s_delay_alu instid0(SALU_CYCLE_1)
	s_xor_b32 s2, exec_lo, s3
; %bb.171:
	v_cmp_ne_u32_e32 vcc_lo, 0, v255
	v_cndmask_b32_e32 v255, 9, v255, vcc_lo
; %bb.172:
	s_and_not1_saveexec_b32 s3, s2
	s_cbranch_execz .LBB66_178
; %bb.173:
	v_cmp_gt_f64_e32 vcc_lo, 0, v[136:137]
	v_cmp_gt_f64_e64 s2, 0, v[138:139]
	v_xor_b32_e32 v48, 0x80000000, v137
	v_xor_b32_e32 v50, 0x80000000, v139
	s_delay_alu instid0(VALU_DEP_2) | instskip(NEXT) | instid1(VALU_DEP_2)
	v_cndmask_b32_e32 v49, v137, v48, vcc_lo
	v_cndmask_b32_e64 v51, v139, v50, s2
	v_cndmask_b32_e32 v48, v136, v136, vcc_lo
	v_cndmask_b32_e64 v50, v138, v138, s2
	s_mov_b32 s2, exec_lo
	s_delay_alu instid0(VALU_DEP_1)
	v_cmpx_ngt_f64_e32 v[48:49], v[50:51]
	s_xor_b32 s2, exec_lo, s2
	s_cbranch_execz .LBB66_175
; %bb.174:
	v_div_scale_f64 v[48:49], null, v[138:139], v[138:139], v[136:137]
	v_div_scale_f64 v[54:55], vcc_lo, v[136:137], v[138:139], v[136:137]
	s_delay_alu instid0(VALU_DEP_2) | instskip(SKIP_2) | instid1(VALU_DEP_1)
	v_rcp_f64_e32 v[50:51], v[48:49]
	s_waitcnt_depctr 0xfff
	v_fma_f64 v[52:53], -v[48:49], v[50:51], 1.0
	v_fma_f64 v[50:51], v[50:51], v[52:53], v[50:51]
	s_delay_alu instid0(VALU_DEP_1) | instskip(NEXT) | instid1(VALU_DEP_1)
	v_fma_f64 v[52:53], -v[48:49], v[50:51], 1.0
	v_fma_f64 v[50:51], v[50:51], v[52:53], v[50:51]
	s_delay_alu instid0(VALU_DEP_1) | instskip(NEXT) | instid1(VALU_DEP_1)
	v_mul_f64 v[52:53], v[54:55], v[50:51]
	v_fma_f64 v[48:49], -v[48:49], v[52:53], v[54:55]
	s_delay_alu instid0(VALU_DEP_1) | instskip(NEXT) | instid1(VALU_DEP_1)
	v_div_fmas_f64 v[48:49], v[48:49], v[50:51], v[52:53]
	v_div_fixup_f64 v[48:49], v[48:49], v[138:139], v[136:137]
	s_delay_alu instid0(VALU_DEP_1) | instskip(NEXT) | instid1(VALU_DEP_1)
	v_fma_f64 v[50:51], v[136:137], v[48:49], v[138:139]
	v_div_scale_f64 v[52:53], null, v[50:51], v[50:51], 1.0
	s_delay_alu instid0(VALU_DEP_1) | instskip(SKIP_2) | instid1(VALU_DEP_1)
	v_rcp_f64_e32 v[54:55], v[52:53]
	s_waitcnt_depctr 0xfff
	v_fma_f64 v[104:105], -v[52:53], v[54:55], 1.0
	v_fma_f64 v[54:55], v[54:55], v[104:105], v[54:55]
	s_delay_alu instid0(VALU_DEP_1) | instskip(NEXT) | instid1(VALU_DEP_1)
	v_fma_f64 v[104:105], -v[52:53], v[54:55], 1.0
	v_fma_f64 v[54:55], v[54:55], v[104:105], v[54:55]
	v_div_scale_f64 v[104:105], vcc_lo, 1.0, v[50:51], 1.0
	s_delay_alu instid0(VALU_DEP_1) | instskip(NEXT) | instid1(VALU_DEP_1)
	v_mul_f64 v[106:107], v[104:105], v[54:55]
	v_fma_f64 v[52:53], -v[52:53], v[106:107], v[104:105]
	s_delay_alu instid0(VALU_DEP_1) | instskip(NEXT) | instid1(VALU_DEP_1)
	v_div_fmas_f64 v[52:53], v[52:53], v[54:55], v[106:107]
	v_div_fixup_f64 v[138:139], v[52:53], v[50:51], 1.0
	s_delay_alu instid0(VALU_DEP_1)
	v_mul_f64 v[136:137], v[48:49], v[138:139]
	v_xor_b32_e32 v139, 0x80000000, v139
.LBB66_175:
	s_and_not1_saveexec_b32 s2, s2
	s_cbranch_execz .LBB66_177
; %bb.176:
	s_delay_alu instid0(VALU_DEP_1) | instskip(SKIP_1) | instid1(VALU_DEP_2)
	v_div_scale_f64 v[48:49], null, v[136:137], v[136:137], v[138:139]
	v_div_scale_f64 v[54:55], vcc_lo, v[138:139], v[136:137], v[138:139]
	v_rcp_f64_e32 v[50:51], v[48:49]
	s_waitcnt_depctr 0xfff
	v_fma_f64 v[52:53], -v[48:49], v[50:51], 1.0
	s_delay_alu instid0(VALU_DEP_1) | instskip(NEXT) | instid1(VALU_DEP_1)
	v_fma_f64 v[50:51], v[50:51], v[52:53], v[50:51]
	v_fma_f64 v[52:53], -v[48:49], v[50:51], 1.0
	s_delay_alu instid0(VALU_DEP_1) | instskip(NEXT) | instid1(VALU_DEP_1)
	v_fma_f64 v[50:51], v[50:51], v[52:53], v[50:51]
	v_mul_f64 v[52:53], v[54:55], v[50:51]
	s_delay_alu instid0(VALU_DEP_1) | instskip(NEXT) | instid1(VALU_DEP_1)
	v_fma_f64 v[48:49], -v[48:49], v[52:53], v[54:55]
	v_div_fmas_f64 v[48:49], v[48:49], v[50:51], v[52:53]
	s_delay_alu instid0(VALU_DEP_1) | instskip(NEXT) | instid1(VALU_DEP_1)
	v_div_fixup_f64 v[48:49], v[48:49], v[136:137], v[138:139]
	v_fma_f64 v[50:51], v[138:139], v[48:49], v[136:137]
	s_delay_alu instid0(VALU_DEP_1) | instskip(NEXT) | instid1(VALU_DEP_1)
	v_div_scale_f64 v[52:53], null, v[50:51], v[50:51], 1.0
	v_rcp_f64_e32 v[54:55], v[52:53]
	s_waitcnt_depctr 0xfff
	v_fma_f64 v[104:105], -v[52:53], v[54:55], 1.0
	s_delay_alu instid0(VALU_DEP_1) | instskip(NEXT) | instid1(VALU_DEP_1)
	v_fma_f64 v[54:55], v[54:55], v[104:105], v[54:55]
	v_fma_f64 v[104:105], -v[52:53], v[54:55], 1.0
	s_delay_alu instid0(VALU_DEP_1) | instskip(SKIP_1) | instid1(VALU_DEP_1)
	v_fma_f64 v[54:55], v[54:55], v[104:105], v[54:55]
	v_div_scale_f64 v[104:105], vcc_lo, 1.0, v[50:51], 1.0
	v_mul_f64 v[106:107], v[104:105], v[54:55]
	s_delay_alu instid0(VALU_DEP_1) | instskip(NEXT) | instid1(VALU_DEP_1)
	v_fma_f64 v[52:53], -v[52:53], v[106:107], v[104:105]
	v_div_fmas_f64 v[52:53], v[52:53], v[54:55], v[106:107]
	s_delay_alu instid0(VALU_DEP_1) | instskip(NEXT) | instid1(VALU_DEP_1)
	v_div_fixup_f64 v[136:137], v[52:53], v[50:51], 1.0
	v_mul_f64 v[138:139], v[48:49], -v[136:137]
.LBB66_177:
	s_or_b32 exec_lo, exec_lo, s2
.LBB66_178:
	s_delay_alu instid0(SALU_CYCLE_1) | instskip(NEXT) | instid1(SALU_CYCLE_1)
	s_or_b32 exec_lo, exec_lo, s3
	s_mov_b32 s2, exec_lo
	v_cmpx_ne_u32_e64 v178, v144
	s_xor_b32 s2, exec_lo, s2
	s_cbranch_execz .LBB66_184
; %bb.179:
	s_mov_b32 s3, exec_lo
	v_cmpx_eq_u32_e32 8, v178
	s_cbranch_execz .LBB66_183
; %bb.180:
	v_cmp_ne_u32_e32 vcc_lo, 8, v144
	s_xor_b32 s6, s4, -1
	s_delay_alu instid0(SALU_CYCLE_1) | instskip(NEXT) | instid1(SALU_CYCLE_1)
	s_and_b32 s7, s6, vcc_lo
	s_and_saveexec_b32 s6, s7
	s_cbranch_execz .LBB66_182
; %bb.181:
	scratch_load_b64 v[52:53], off, off offset:32 ; 8-byte Folded Reload
	v_ashrrev_i32_e32 v145, 31, v144
	s_delay_alu instid0(VALU_DEP_1) | instskip(SKIP_1) | instid1(VALU_DEP_1)
	v_lshlrev_b64 v[48:49], 2, v[144:145]
	s_waitcnt vmcnt(0)
	v_add_co_u32 v48, vcc_lo, v52, v48
	s_delay_alu instid0(VALU_DEP_2)
	v_add_co_ci_u32_e32 v49, vcc_lo, v53, v49, vcc_lo
	s_clause 0x1
	flat_load_b32 v50, v[48:49]
	flat_load_b32 v51, v[52:53] offset:32
	s_waitcnt vmcnt(1) lgkmcnt(1)
	flat_store_b32 v[52:53], v50 offset:32
	s_waitcnt vmcnt(0) lgkmcnt(1)
	flat_store_b32 v[48:49], v51
.LBB66_182:
	s_or_b32 exec_lo, exec_lo, s6
	v_mov_b32_e32 v178, v144
	v_mov_b32_e32 v172, v144
.LBB66_183:
	s_or_b32 exec_lo, exec_lo, s3
.LBB66_184:
	s_and_not1_saveexec_b32 s2, s2
	s_cbranch_execz .LBB66_186
; %bb.185:
	scratch_load_b128 v[0:3], off, off      ; 16-byte Folded Reload
	v_mov_b32_e32 v178, 8
	s_waitcnt vmcnt(0)
	ds_store_2addr_b64 v176, v[0:1], v[2:3] offset0:18 offset1:19
	ds_store_2addr_b64 v176, v[116:117], v[118:119] offset0:20 offset1:21
	;; [unrolled: 1-line block ×25, first 2 shown]
.LBB66_186:
	s_or_b32 exec_lo, exec_lo, s2
	s_delay_alu instid0(SALU_CYCLE_1)
	s_mov_b32 s2, exec_lo
	s_waitcnt lgkmcnt(0)
	s_waitcnt_vscnt null, 0x0
	s_barrier
	buffer_gl0_inv
	v_cmpx_lt_i32_e32 8, v178
	s_cbranch_execz .LBB66_188
; %bb.187:
	v_mul_f64 v[48:49], v[138:139], v[253:254]
	v_dual_mov_b32 v228, v135 :: v_dual_mov_b32 v227, v134
	v_dual_mov_b32 v226, v133 :: v_dual_mov_b32 v225, v132
	s_delay_alu instid0(VALU_DEP_3) | instskip(SKIP_1) | instid1(VALU_DEP_1)
	v_fma_f64 v[144:145], v[136:137], v[251:252], -v[48:49]
	v_mul_f64 v[48:49], v[136:137], v[253:254]
	v_fma_f64 v[253:254], v[138:139], v[251:252], v[48:49]
	ds_load_2addr_b64 v[136:139], v176 offset0:18 offset1:19
	ds_load_2addr_b64 v[146:149], v176 offset0:20 offset1:21
	;; [unrolled: 1-line block ×8, first 2 shown]
	v_dual_mov_b32 v252, v145 :: v_dual_mov_b32 v251, v144
	s_waitcnt lgkmcnt(7)
	v_mul_f64 v[48:49], v[138:139], v[253:254]
	s_delay_alu instid0(VALU_DEP_1) | instskip(SKIP_1) | instid1(VALU_DEP_1)
	v_fma_f64 v[132:133], v[136:137], v[144:145], -v[48:49]
	v_mul_f64 v[48:49], v[136:137], v[253:254]
	v_fma_f64 v[136:137], v[138:139], v[144:145], v[48:49]
	s_waitcnt lgkmcnt(6)
	v_mul_f64 v[48:49], v[148:149], v[253:254]
	s_delay_alu instid0(VALU_DEP_1) | instskip(SKIP_1) | instid1(VALU_DEP_2)
	v_fma_f64 v[138:139], v[146:147], v[144:145], -v[48:49]
	v_mul_f64 v[48:49], v[146:147], v[253:254]
	v_add_f64 v[116:117], v[116:117], -v[138:139]
	s_delay_alu instid0(VALU_DEP_2) | instskip(SKIP_2) | instid1(VALU_DEP_2)
	v_fma_f64 v[146:147], v[148:149], v[144:145], v[48:49]
	s_waitcnt lgkmcnt(5)
	v_mul_f64 v[48:49], v[152:153], v[253:254]
	v_add_f64 v[118:119], v[118:119], -v[146:147]
	s_delay_alu instid0(VALU_DEP_2) | instskip(SKIP_1) | instid1(VALU_DEP_2)
	v_fma_f64 v[148:149], v[150:151], v[144:145], -v[48:49]
	v_mul_f64 v[48:49], v[150:151], v[253:254]
	v_add_f64 v[112:113], v[112:113], -v[148:149]
	s_delay_alu instid0(VALU_DEP_2) | instskip(SKIP_2) | instid1(VALU_DEP_2)
	v_fma_f64 v[150:151], v[152:153], v[144:145], v[48:49]
	s_waitcnt lgkmcnt(4)
	v_mul_f64 v[48:49], v[156:157], v[253:254]
	v_add_f64 v[114:115], v[114:115], -v[150:151]
	s_delay_alu instid0(VALU_DEP_2) | instskip(SKIP_1) | instid1(VALU_DEP_2)
	;; [unrolled: 9-line block ×6, first 2 shown]
	v_fma_f64 v[168:169], v[179:180], v[144:145], -v[48:49]
	v_mul_f64 v[48:49], v[179:180], v[253:254]
	v_add_f64 v[76:77], v[76:77], -v[168:169]
	s_delay_alu instid0(VALU_DEP_2)
	v_fma_f64 v[170:171], v[181:182], v[144:145], v[48:49]
	ds_load_2addr_b64 v[179:182], v176 offset0:34 offset1:35
	ds_load_2addr_b64 v[183:186], v176 offset0:36 offset1:37
	s_waitcnt lgkmcnt(1)
	v_mul_f64 v[48:49], v[181:182], v[253:254]
	v_mul_f64 v[50:51], v[179:180], v[253:254]
	s_waitcnt lgkmcnt(0)
	v_mul_f64 v[52:53], v[185:186], v[253:254]
	v_mul_f64 v[54:55], v[183:184], v[253:254]
	v_add_f64 v[78:79], v[78:79], -v[170:171]
	v_fma_f64 v[48:49], v[179:180], v[144:145], -v[48:49]
	v_fma_f64 v[50:51], v[181:182], v[144:145], v[50:51]
	v_fma_f64 v[52:53], v[183:184], v[144:145], -v[52:53]
	v_fma_f64 v[54:55], v[185:186], v[144:145], v[54:55]
	ds_load_2addr_b64 v[179:182], v176 offset0:38 offset1:39
	ds_load_2addr_b64 v[183:186], v176 offset0:40 offset1:41
	s_waitcnt lgkmcnt(1)
	v_mul_f64 v[104:105], v[181:182], v[253:254]
	v_mul_f64 v[106:107], v[179:180], v[253:254]
	s_waitcnt lgkmcnt(0)
	v_mul_f64 v[124:125], v[185:186], v[253:254]
	v_mul_f64 v[126:127], v[183:184], v[253:254]
	v_add_f64 v[72:73], v[72:73], -v[48:49]
	v_add_f64 v[74:75], v[74:75], -v[50:51]
	;; [unrolled: 1-line block ×4, first 2 shown]
	v_fma_f64 v[104:105], v[179:180], v[144:145], -v[104:105]
	v_fma_f64 v[106:107], v[181:182], v[144:145], v[106:107]
	v_fma_f64 v[124:125], v[183:184], v[144:145], -v[124:125]
	v_fma_f64 v[126:127], v[185:186], v[144:145], v[126:127]
	ds_load_2addr_b64 v[179:182], v176 offset0:42 offset1:43
	ds_load_2addr_b64 v[183:186], v176 offset0:44 offset1:45
	s_waitcnt lgkmcnt(1)
	v_mul_f64 v[128:129], v[181:182], v[253:254]
	v_mul_f64 v[130:131], v[179:180], v[253:254]
	s_waitcnt lgkmcnt(0)
	v_mul_f64 v[140:141], v[185:186], v[253:254]
	v_mul_f64 v[142:143], v[183:184], v[253:254]
	v_add_f64 v[64:65], v[64:65], -v[104:105]
	v_add_f64 v[66:67], v[66:67], -v[106:107]
	;; [unrolled: 1-line block ×4, first 2 shown]
	v_fma_f64 v[128:129], v[179:180], v[144:145], -v[128:129]
	v_fma_f64 v[130:131], v[181:182], v[144:145], v[130:131]
	v_fma_f64 v[140:141], v[183:184], v[144:145], -v[140:141]
	v_fma_f64 v[142:143], v[185:186], v[144:145], v[142:143]
	ds_load_2addr_b64 v[179:182], v176 offset0:46 offset1:47
	ds_load_2addr_b64 v[183:186], v176 offset0:48 offset1:49
	s_waitcnt lgkmcnt(1)
	v_mul_f64 v[187:188], v[181:182], v[253:254]
	v_add_f64 v[56:57], v[56:57], -v[128:129]
	v_add_f64 v[58:59], v[58:59], -v[130:131]
	;; [unrolled: 1-line block ×4, first 2 shown]
	v_fma_f64 v[187:188], v[179:180], v[144:145], -v[187:188]
	v_mul_f64 v[179:180], v[179:180], v[253:254]
	s_delay_alu instid0(VALU_DEP_2) | instskip(NEXT) | instid1(VALU_DEP_2)
	v_add_f64 v[40:41], v[40:41], -v[187:188]
	v_fma_f64 v[189:190], v[181:182], v[144:145], v[179:180]
	s_waitcnt lgkmcnt(0)
	v_mul_f64 v[179:180], v[185:186], v[253:254]
	s_delay_alu instid0(VALU_DEP_2) | instskip(NEXT) | instid1(VALU_DEP_2)
	v_add_f64 v[42:43], v[42:43], -v[189:190]
	v_fma_f64 v[191:192], v[183:184], v[144:145], -v[179:180]
	v_mul_f64 v[179:180], v[183:184], v[253:254]
	s_delay_alu instid0(VALU_DEP_2) | instskip(NEXT) | instid1(VALU_DEP_2)
	v_add_f64 v[36:37], v[36:37], -v[191:192]
	v_fma_f64 v[193:194], v[185:186], v[144:145], v[179:180]
	ds_load_2addr_b64 v[179:182], v176 offset0:50 offset1:51
	ds_load_2addr_b64 v[183:186], v176 offset0:52 offset1:53
	s_waitcnt lgkmcnt(1)
	v_mul_f64 v[195:196], v[181:182], v[253:254]
	v_add_f64 v[38:39], v[38:39], -v[193:194]
	s_delay_alu instid0(VALU_DEP_2) | instskip(SKIP_1) | instid1(VALU_DEP_2)
	v_fma_f64 v[195:196], v[179:180], v[144:145], -v[195:196]
	v_mul_f64 v[179:180], v[179:180], v[253:254]
	v_add_f64 v[32:33], v[32:33], -v[195:196]
	s_delay_alu instid0(VALU_DEP_2) | instskip(SKIP_2) | instid1(VALU_DEP_2)
	v_fma_f64 v[197:198], v[181:182], v[144:145], v[179:180]
	s_waitcnt lgkmcnt(0)
	v_mul_f64 v[179:180], v[185:186], v[253:254]
	v_add_f64 v[34:35], v[34:35], -v[197:198]
	s_delay_alu instid0(VALU_DEP_2) | instskip(SKIP_1) | instid1(VALU_DEP_2)
	v_fma_f64 v[199:200], v[183:184], v[144:145], -v[179:180]
	v_mul_f64 v[179:180], v[183:184], v[253:254]
	v_add_f64 v[28:29], v[28:29], -v[199:200]
	s_delay_alu instid0(VALU_DEP_2)
	v_fma_f64 v[201:202], v[185:186], v[144:145], v[179:180]
	ds_load_2addr_b64 v[179:182], v176 offset0:54 offset1:55
	ds_load_2addr_b64 v[183:186], v176 offset0:56 offset1:57
	s_waitcnt lgkmcnt(1)
	v_mul_f64 v[203:204], v[181:182], v[253:254]
	v_add_f64 v[30:31], v[30:31], -v[201:202]
	s_delay_alu instid0(VALU_DEP_2) | instskip(SKIP_1) | instid1(VALU_DEP_2)
	v_fma_f64 v[203:204], v[179:180], v[144:145], -v[203:204]
	v_mul_f64 v[179:180], v[179:180], v[253:254]
	v_add_f64 v[24:25], v[24:25], -v[203:204]
	s_delay_alu instid0(VALU_DEP_2) | instskip(SKIP_2) | instid1(VALU_DEP_2)
	v_fma_f64 v[205:206], v[181:182], v[144:145], v[179:180]
	s_waitcnt lgkmcnt(0)
	v_mul_f64 v[179:180], v[185:186], v[253:254]
	v_add_f64 v[26:27], v[26:27], -v[205:206]
	s_delay_alu instid0(VALU_DEP_2) | instskip(SKIP_1) | instid1(VALU_DEP_2)
	v_fma_f64 v[207:208], v[183:184], v[144:145], -v[179:180]
	v_mul_f64 v[179:180], v[183:184], v[253:254]
	v_add_f64 v[20:21], v[20:21], -v[207:208]
	s_delay_alu instid0(VALU_DEP_2)
	;; [unrolled: 20-line block ×3, first 2 shown]
	v_fma_f64 v[217:218], v[185:186], v[144:145], v[179:180]
	ds_load_2addr_b64 v[179:182], v176 offset0:62 offset1:63
	ds_load_2addr_b64 v[183:186], v176 offset0:64 offset1:65
	scratch_load_b128 v[0:3], off, off      ; 16-byte Folded Reload
	s_waitcnt lgkmcnt(1)
	v_mul_f64 v[219:220], v[181:182], v[253:254]
	v_add_f64 v[14:15], v[14:15], -v[217:218]
	s_delay_alu instid0(VALU_DEP_2) | instskip(SKIP_1) | instid1(VALU_DEP_2)
	v_fma_f64 v[219:220], v[179:180], v[144:145], -v[219:220]
	v_mul_f64 v[179:180], v[179:180], v[253:254]
	v_add_f64 v[8:9], v[8:9], -v[219:220]
	s_delay_alu instid0(VALU_DEP_2) | instskip(SKIP_2) | instid1(VALU_DEP_2)
	v_fma_f64 v[221:222], v[181:182], v[144:145], v[179:180]
	s_waitcnt lgkmcnt(0)
	v_mul_f64 v[179:180], v[185:186], v[253:254]
	v_add_f64 v[10:11], v[10:11], -v[221:222]
	s_delay_alu instid0(VALU_DEP_2) | instskip(SKIP_1) | instid1(VALU_DEP_2)
	v_fma_f64 v[223:224], v[183:184], v[144:145], -v[179:180]
	v_mul_f64 v[179:180], v[183:184], v[253:254]
	v_add_f64 v[4:5], v[4:5], -v[223:224]
	s_delay_alu instid0(VALU_DEP_2) | instskip(SKIP_4) | instid1(VALU_DEP_2)
	v_fma_f64 v[183:184], v[185:186], v[144:145], v[179:180]
	ds_load_2addr_b64 v[179:182], v176 offset0:66 offset1:67
	s_waitcnt lgkmcnt(0)
	v_mul_f64 v[185:186], v[181:182], v[253:254]
	v_add_f64 v[6:7], v[6:7], -v[183:184]
	v_fma_f64 v[185:186], v[179:180], v[144:145], -v[185:186]
	v_mul_f64 v[179:180], v[179:180], v[253:254]
	s_delay_alu instid0(VALU_DEP_2) | instskip(NEXT) | instid1(VALU_DEP_2)
	v_add_f64 v[243:244], v[243:244], -v[185:186]
	v_fma_f64 v[179:180], v[181:182], v[144:145], v[179:180]
	s_delay_alu instid0(VALU_DEP_1)
	v_add_f64 v[245:246], v[245:246], -v[179:180]
	s_waitcnt vmcnt(0)
	v_add_f64 v[0:1], v[0:1], -v[132:133]
	v_add_f64 v[2:3], v[2:3], -v[136:137]
	v_dual_mov_b32 v132, v225 :: v_dual_mov_b32 v133, v226
	v_dual_mov_b32 v134, v227 :: v_dual_mov_b32 v135, v228
	scratch_store_b128 off, v[0:3], off     ; 16-byte Folded Spill
.LBB66_188:
	s_or_b32 exec_lo, exec_lo, s2
	s_waitcnt_vscnt null, 0x0
	s_barrier
	buffer_gl0_inv
	scratch_load_b128 v[0:3], off, off      ; 16-byte Folded Reload
	v_lshl_add_u32 v48, v178, 4, v176
	v_mov_b32_e32 v144, 9
	s_cmp_lt_i32 s5, 11
	s_waitcnt vmcnt(0)
	ds_store_2addr_b64 v48, v[0:1], v[2:3] offset1:1
	s_waitcnt lgkmcnt(0)
	s_barrier
	buffer_gl0_inv
	ds_load_2addr_b64 v[136:139], v176 offset0:18 offset1:19
	s_cbranch_scc1 .LBB66_191
; %bb.189:
	v_add3_u32 v145, v174, 0, 0xa0
	v_mov_b32_e32 v144, 9
	s_mov_b32 s6, 10
	s_set_inst_prefetch_distance 0x1
	.p2align	6
.LBB66_190:                             ; =>This Inner Loop Header: Depth=1
	ds_load_2addr_b64 v[146:149], v145 offset1:1
	s_waitcnt lgkmcnt(1)
	v_cmp_gt_f64_e32 vcc_lo, 0, v[136:137]
	v_xor_b32_e32 v48, 0x80000000, v137
	v_cmp_gt_f64_e64 s2, 0, v[138:139]
	v_xor_b32_e32 v50, 0x80000000, v139
	v_add_nc_u32_e32 v145, 16, v145
	s_waitcnt lgkmcnt(0)
	v_cmp_gt_f64_e64 s3, 0, v[146:147]
	v_mov_b32_e32 v52, v146
	v_dual_mov_b32 v54, v148 :: v_dual_cndmask_b32 v49, v137, v48
	v_xor_b32_e32 v48, 0x80000000, v147
	v_cndmask_b32_e64 v51, v139, v50, s2
	v_xor_b32_e32 v50, 0x80000000, v149
	s_delay_alu instid0(VALU_DEP_3) | instskip(SKIP_2) | instid1(VALU_DEP_2)
	v_cndmask_b32_e64 v53, v147, v48, s3
	v_cmp_gt_f64_e64 s3, 0, v[148:149]
	v_cndmask_b32_e32 v48, v136, v136, vcc_lo
	v_cndmask_b32_e64 v55, v149, v50, s3
	v_cndmask_b32_e64 v50, v138, v138, s2
	s_delay_alu instid0(VALU_DEP_2) | instskip(NEXT) | instid1(VALU_DEP_2)
	v_add_f64 v[52:53], v[52:53], v[54:55]
	v_add_f64 v[48:49], v[48:49], v[50:51]
	s_delay_alu instid0(VALU_DEP_1)
	v_cmp_lt_f64_e32 vcc_lo, v[48:49], v[52:53]
	v_cndmask_b32_e32 v139, v139, v149, vcc_lo
	v_dual_cndmask_b32 v137, v137, v147 :: v_dual_cndmask_b32 v136, v136, v146
	v_cndmask_b32_e32 v138, v138, v148, vcc_lo
	v_cndmask_b32_e64 v144, v144, s6, vcc_lo
	s_add_i32 s6, s6, 1
	s_delay_alu instid0(SALU_CYCLE_1)
	s_cmp_lg_u32 s5, s6
	s_cbranch_scc1 .LBB66_190
.LBB66_191:
	s_set_inst_prefetch_distance 0x2
	s_waitcnt lgkmcnt(0)
	v_cmp_eq_f64_e32 vcc_lo, 0, v[136:137]
	v_cmp_eq_f64_e64 s2, 0, v[138:139]
	s_delay_alu instid0(VALU_DEP_1) | instskip(NEXT) | instid1(SALU_CYCLE_1)
	s_and_b32 s2, vcc_lo, s2
	s_and_saveexec_b32 s3, s2
	s_delay_alu instid0(SALU_CYCLE_1)
	s_xor_b32 s2, exec_lo, s3
; %bb.192:
	v_cmp_ne_u32_e32 vcc_lo, 0, v255
	v_cndmask_b32_e32 v255, 10, v255, vcc_lo
; %bb.193:
	s_and_not1_saveexec_b32 s3, s2
	s_cbranch_execz .LBB66_199
; %bb.194:
	v_cmp_gt_f64_e32 vcc_lo, 0, v[136:137]
	v_cmp_gt_f64_e64 s2, 0, v[138:139]
	v_xor_b32_e32 v48, 0x80000000, v137
	v_xor_b32_e32 v50, 0x80000000, v139
	s_delay_alu instid0(VALU_DEP_2) | instskip(NEXT) | instid1(VALU_DEP_2)
	v_cndmask_b32_e32 v49, v137, v48, vcc_lo
	v_cndmask_b32_e64 v51, v139, v50, s2
	v_cndmask_b32_e32 v48, v136, v136, vcc_lo
	v_cndmask_b32_e64 v50, v138, v138, s2
	s_mov_b32 s2, exec_lo
	s_delay_alu instid0(VALU_DEP_1)
	v_cmpx_ngt_f64_e32 v[48:49], v[50:51]
	s_xor_b32 s2, exec_lo, s2
	s_cbranch_execz .LBB66_196
; %bb.195:
	v_div_scale_f64 v[48:49], null, v[138:139], v[138:139], v[136:137]
	v_div_scale_f64 v[54:55], vcc_lo, v[136:137], v[138:139], v[136:137]
	s_delay_alu instid0(VALU_DEP_2) | instskip(SKIP_2) | instid1(VALU_DEP_1)
	v_rcp_f64_e32 v[50:51], v[48:49]
	s_waitcnt_depctr 0xfff
	v_fma_f64 v[52:53], -v[48:49], v[50:51], 1.0
	v_fma_f64 v[50:51], v[50:51], v[52:53], v[50:51]
	s_delay_alu instid0(VALU_DEP_1) | instskip(NEXT) | instid1(VALU_DEP_1)
	v_fma_f64 v[52:53], -v[48:49], v[50:51], 1.0
	v_fma_f64 v[50:51], v[50:51], v[52:53], v[50:51]
	s_delay_alu instid0(VALU_DEP_1) | instskip(NEXT) | instid1(VALU_DEP_1)
	v_mul_f64 v[52:53], v[54:55], v[50:51]
	v_fma_f64 v[48:49], -v[48:49], v[52:53], v[54:55]
	s_delay_alu instid0(VALU_DEP_1) | instskip(NEXT) | instid1(VALU_DEP_1)
	v_div_fmas_f64 v[48:49], v[48:49], v[50:51], v[52:53]
	v_div_fixup_f64 v[48:49], v[48:49], v[138:139], v[136:137]
	s_delay_alu instid0(VALU_DEP_1) | instskip(NEXT) | instid1(VALU_DEP_1)
	v_fma_f64 v[50:51], v[136:137], v[48:49], v[138:139]
	v_div_scale_f64 v[52:53], null, v[50:51], v[50:51], 1.0
	s_delay_alu instid0(VALU_DEP_1) | instskip(SKIP_2) | instid1(VALU_DEP_1)
	v_rcp_f64_e32 v[54:55], v[52:53]
	s_waitcnt_depctr 0xfff
	v_fma_f64 v[104:105], -v[52:53], v[54:55], 1.0
	v_fma_f64 v[54:55], v[54:55], v[104:105], v[54:55]
	s_delay_alu instid0(VALU_DEP_1) | instskip(NEXT) | instid1(VALU_DEP_1)
	v_fma_f64 v[104:105], -v[52:53], v[54:55], 1.0
	v_fma_f64 v[54:55], v[54:55], v[104:105], v[54:55]
	v_div_scale_f64 v[104:105], vcc_lo, 1.0, v[50:51], 1.0
	s_delay_alu instid0(VALU_DEP_1) | instskip(NEXT) | instid1(VALU_DEP_1)
	v_mul_f64 v[106:107], v[104:105], v[54:55]
	v_fma_f64 v[52:53], -v[52:53], v[106:107], v[104:105]
	s_delay_alu instid0(VALU_DEP_1) | instskip(NEXT) | instid1(VALU_DEP_1)
	v_div_fmas_f64 v[52:53], v[52:53], v[54:55], v[106:107]
	v_div_fixup_f64 v[138:139], v[52:53], v[50:51], 1.0
	s_delay_alu instid0(VALU_DEP_1)
	v_mul_f64 v[136:137], v[48:49], v[138:139]
	v_xor_b32_e32 v139, 0x80000000, v139
.LBB66_196:
	s_and_not1_saveexec_b32 s2, s2
	s_cbranch_execz .LBB66_198
; %bb.197:
	s_delay_alu instid0(VALU_DEP_1) | instskip(SKIP_1) | instid1(VALU_DEP_2)
	v_div_scale_f64 v[48:49], null, v[136:137], v[136:137], v[138:139]
	v_div_scale_f64 v[54:55], vcc_lo, v[138:139], v[136:137], v[138:139]
	v_rcp_f64_e32 v[50:51], v[48:49]
	s_waitcnt_depctr 0xfff
	v_fma_f64 v[52:53], -v[48:49], v[50:51], 1.0
	s_delay_alu instid0(VALU_DEP_1) | instskip(NEXT) | instid1(VALU_DEP_1)
	v_fma_f64 v[50:51], v[50:51], v[52:53], v[50:51]
	v_fma_f64 v[52:53], -v[48:49], v[50:51], 1.0
	s_delay_alu instid0(VALU_DEP_1) | instskip(NEXT) | instid1(VALU_DEP_1)
	v_fma_f64 v[50:51], v[50:51], v[52:53], v[50:51]
	v_mul_f64 v[52:53], v[54:55], v[50:51]
	s_delay_alu instid0(VALU_DEP_1) | instskip(NEXT) | instid1(VALU_DEP_1)
	v_fma_f64 v[48:49], -v[48:49], v[52:53], v[54:55]
	v_div_fmas_f64 v[48:49], v[48:49], v[50:51], v[52:53]
	s_delay_alu instid0(VALU_DEP_1) | instskip(NEXT) | instid1(VALU_DEP_1)
	v_div_fixup_f64 v[48:49], v[48:49], v[136:137], v[138:139]
	v_fma_f64 v[50:51], v[138:139], v[48:49], v[136:137]
	s_delay_alu instid0(VALU_DEP_1) | instskip(NEXT) | instid1(VALU_DEP_1)
	v_div_scale_f64 v[52:53], null, v[50:51], v[50:51], 1.0
	v_rcp_f64_e32 v[54:55], v[52:53]
	s_waitcnt_depctr 0xfff
	v_fma_f64 v[104:105], -v[52:53], v[54:55], 1.0
	s_delay_alu instid0(VALU_DEP_1) | instskip(NEXT) | instid1(VALU_DEP_1)
	v_fma_f64 v[54:55], v[54:55], v[104:105], v[54:55]
	v_fma_f64 v[104:105], -v[52:53], v[54:55], 1.0
	s_delay_alu instid0(VALU_DEP_1) | instskip(SKIP_1) | instid1(VALU_DEP_1)
	v_fma_f64 v[54:55], v[54:55], v[104:105], v[54:55]
	v_div_scale_f64 v[104:105], vcc_lo, 1.0, v[50:51], 1.0
	v_mul_f64 v[106:107], v[104:105], v[54:55]
	s_delay_alu instid0(VALU_DEP_1) | instskip(NEXT) | instid1(VALU_DEP_1)
	v_fma_f64 v[52:53], -v[52:53], v[106:107], v[104:105]
	v_div_fmas_f64 v[52:53], v[52:53], v[54:55], v[106:107]
	s_delay_alu instid0(VALU_DEP_1) | instskip(NEXT) | instid1(VALU_DEP_1)
	v_div_fixup_f64 v[136:137], v[52:53], v[50:51], 1.0
	v_mul_f64 v[138:139], v[48:49], -v[136:137]
.LBB66_198:
	s_or_b32 exec_lo, exec_lo, s2
.LBB66_199:
	s_delay_alu instid0(SALU_CYCLE_1) | instskip(NEXT) | instid1(SALU_CYCLE_1)
	s_or_b32 exec_lo, exec_lo, s3
	s_mov_b32 s2, exec_lo
	v_cmpx_ne_u32_e64 v178, v144
	s_xor_b32 s2, exec_lo, s2
	s_cbranch_execz .LBB66_205
; %bb.200:
	s_mov_b32 s3, exec_lo
	v_cmpx_eq_u32_e32 9, v178
	s_cbranch_execz .LBB66_204
; %bb.201:
	v_cmp_ne_u32_e32 vcc_lo, 9, v144
	s_xor_b32 s6, s4, -1
	s_delay_alu instid0(SALU_CYCLE_1) | instskip(NEXT) | instid1(SALU_CYCLE_1)
	s_and_b32 s7, s6, vcc_lo
	s_and_saveexec_b32 s6, s7
	s_cbranch_execz .LBB66_203
; %bb.202:
	scratch_load_b64 v[52:53], off, off offset:32 ; 8-byte Folded Reload
	v_ashrrev_i32_e32 v145, 31, v144
	s_delay_alu instid0(VALU_DEP_1) | instskip(SKIP_1) | instid1(VALU_DEP_1)
	v_lshlrev_b64 v[48:49], 2, v[144:145]
	s_waitcnt vmcnt(0)
	v_add_co_u32 v48, vcc_lo, v52, v48
	s_delay_alu instid0(VALU_DEP_2)
	v_add_co_ci_u32_e32 v49, vcc_lo, v53, v49, vcc_lo
	s_clause 0x1
	flat_load_b32 v50, v[48:49]
	flat_load_b32 v51, v[52:53] offset:36
	s_waitcnt vmcnt(1) lgkmcnt(1)
	flat_store_b32 v[52:53], v50 offset:36
	s_waitcnt vmcnt(0) lgkmcnt(1)
	flat_store_b32 v[48:49], v51
.LBB66_203:
	s_or_b32 exec_lo, exec_lo, s6
	v_mov_b32_e32 v178, v144
	v_mov_b32_e32 v172, v144
.LBB66_204:
	s_or_b32 exec_lo, exec_lo, s3
.LBB66_205:
	s_and_not1_saveexec_b32 s2, s2
	s_cbranch_execz .LBB66_207
; %bb.206:
	v_mov_b32_e32 v178, 9
	ds_store_2addr_b64 v176, v[116:117], v[118:119] offset0:20 offset1:21
	ds_store_2addr_b64 v176, v[112:113], v[114:115] offset0:22 offset1:23
	;; [unrolled: 1-line block ×24, first 2 shown]
.LBB66_207:
	s_or_b32 exec_lo, exec_lo, s2
	s_delay_alu instid0(SALU_CYCLE_1)
	s_mov_b32 s2, exec_lo
	s_waitcnt lgkmcnt(0)
	s_waitcnt_vscnt null, 0x0
	s_barrier
	buffer_gl0_inv
	v_cmpx_lt_i32_e32 9, v178
	s_cbranch_execz .LBB66_209
; %bb.208:
	scratch_load_b128 v[0:3], off, off      ; 16-byte Folded Reload
	v_dual_mov_b32 v224, v123 :: v_dual_mov_b32 v223, v122
	v_dual_mov_b32 v222, v121 :: v_dual_mov_b32 v221, v120
	s_waitcnt vmcnt(0)
	v_mul_f64 v[48:49], v[138:139], v[2:3]
	s_delay_alu instid0(VALU_DEP_1) | instskip(SKIP_1) | instid1(VALU_DEP_1)
	v_fma_f64 v[144:145], v[136:137], v[0:1], -v[48:49]
	v_mul_f64 v[48:49], v[136:137], v[2:3]
	v_fma_f64 v[2:3], v[138:139], v[0:1], v[48:49]
	ds_load_2addr_b64 v[136:139], v176 offset0:20 offset1:21
	ds_load_2addr_b64 v[146:149], v176 offset0:22 offset1:23
	ds_load_2addr_b64 v[150:153], v176 offset0:24 offset1:25
	ds_load_2addr_b64 v[154:157], v176 offset0:26 offset1:27
	ds_load_2addr_b64 v[158:161], v176 offset0:28 offset1:29
	ds_load_2addr_b64 v[162:165], v176 offset0:30 offset1:31
	v_dual_mov_b32 v0, v144 :: v_dual_mov_b32 v1, v145
	s_waitcnt lgkmcnt(5)
	v_mul_f64 v[48:49], v[138:139], v[2:3]
	s_delay_alu instid0(VALU_DEP_1) | instskip(SKIP_1) | instid1(VALU_DEP_2)
	v_fma_f64 v[120:121], v[136:137], v[144:145], -v[48:49]
	v_mul_f64 v[48:49], v[136:137], v[2:3]
	v_add_f64 v[116:117], v[116:117], -v[120:121]
	s_delay_alu instid0(VALU_DEP_2) | instskip(SKIP_4) | instid1(VALU_DEP_4)
	v_fma_f64 v[136:137], v[138:139], v[144:145], v[48:49]
	s_waitcnt lgkmcnt(4)
	v_mul_f64 v[48:49], v[148:149], v[2:3]
	v_dual_mov_b32 v120, v221 :: v_dual_mov_b32 v121, v222
	v_dual_mov_b32 v122, v223 :: v_dual_mov_b32 v123, v224
	v_add_f64 v[118:119], v[118:119], -v[136:137]
	s_delay_alu instid0(VALU_DEP_4) | instskip(SKIP_1) | instid1(VALU_DEP_2)
	v_fma_f64 v[138:139], v[146:147], v[144:145], -v[48:49]
	v_mul_f64 v[48:49], v[146:147], v[2:3]
	v_add_f64 v[112:113], v[112:113], -v[138:139]
	s_delay_alu instid0(VALU_DEP_2) | instskip(SKIP_2) | instid1(VALU_DEP_2)
	v_fma_f64 v[146:147], v[148:149], v[144:145], v[48:49]
	s_waitcnt lgkmcnt(3)
	v_mul_f64 v[48:49], v[152:153], v[2:3]
	v_add_f64 v[114:115], v[114:115], -v[146:147]
	s_delay_alu instid0(VALU_DEP_2) | instskip(SKIP_1) | instid1(VALU_DEP_2)
	v_fma_f64 v[148:149], v[150:151], v[144:145], -v[48:49]
	v_mul_f64 v[48:49], v[150:151], v[2:3]
	v_add_f64 v[96:97], v[96:97], -v[148:149]
	s_delay_alu instid0(VALU_DEP_2) | instskip(SKIP_2) | instid1(VALU_DEP_2)
	v_fma_f64 v[150:151], v[152:153], v[144:145], v[48:49]
	s_waitcnt lgkmcnt(2)
	v_mul_f64 v[48:49], v[156:157], v[2:3]
	v_add_f64 v[98:99], v[98:99], -v[150:151]
	s_delay_alu instid0(VALU_DEP_2) | instskip(SKIP_1) | instid1(VALU_DEP_2)
	;; [unrolled: 9-line block ×4, first 2 shown]
	v_fma_f64 v[160:161], v[162:163], v[144:145], -v[48:49]
	v_mul_f64 v[48:49], v[162:163], v[2:3]
	v_add_f64 v[80:81], v[80:81], -v[160:161]
	s_delay_alu instid0(VALU_DEP_2)
	v_fma_f64 v[162:163], v[164:165], v[144:145], v[48:49]
	ds_load_2addr_b64 v[164:167], v176 offset0:32 offset1:33
	ds_load_2addr_b64 v[168:171], v176 offset0:34 offset1:35
	s_waitcnt lgkmcnt(1)
	v_mul_f64 v[48:49], v[166:167], v[2:3]
	v_mul_f64 v[50:51], v[164:165], v[2:3]
	s_waitcnt lgkmcnt(0)
	v_mul_f64 v[52:53], v[170:171], v[2:3]
	v_mul_f64 v[54:55], v[168:169], v[2:3]
	v_add_f64 v[82:83], v[82:83], -v[162:163]
	v_fma_f64 v[48:49], v[164:165], v[144:145], -v[48:49]
	v_fma_f64 v[50:51], v[166:167], v[144:145], v[50:51]
	v_fma_f64 v[52:53], v[168:169], v[144:145], -v[52:53]
	v_fma_f64 v[54:55], v[170:171], v[144:145], v[54:55]
	ds_load_2addr_b64 v[164:167], v176 offset0:36 offset1:37
	ds_load_2addr_b64 v[168:171], v176 offset0:38 offset1:39
	s_waitcnt lgkmcnt(1)
	v_mul_f64 v[104:105], v[166:167], v[2:3]
	v_mul_f64 v[106:107], v[164:165], v[2:3]
	s_waitcnt lgkmcnt(0)
	v_mul_f64 v[124:125], v[170:171], v[2:3]
	v_mul_f64 v[126:127], v[168:169], v[2:3]
	v_add_f64 v[76:77], v[76:77], -v[48:49]
	v_add_f64 v[78:79], v[78:79], -v[50:51]
	;; [unrolled: 1-line block ×4, first 2 shown]
	v_fma_f64 v[104:105], v[164:165], v[144:145], -v[104:105]
	v_fma_f64 v[106:107], v[166:167], v[144:145], v[106:107]
	v_fma_f64 v[124:125], v[168:169], v[144:145], -v[124:125]
	v_fma_f64 v[126:127], v[170:171], v[144:145], v[126:127]
	ds_load_2addr_b64 v[164:167], v176 offset0:40 offset1:41
	ds_load_2addr_b64 v[168:171], v176 offset0:42 offset1:43
	s_waitcnt lgkmcnt(1)
	v_mul_f64 v[128:129], v[166:167], v[2:3]
	v_mul_f64 v[130:131], v[164:165], v[2:3]
	s_waitcnt lgkmcnt(0)
	v_mul_f64 v[140:141], v[170:171], v[2:3]
	v_mul_f64 v[142:143], v[168:169], v[2:3]
	v_add_f64 v[68:69], v[68:69], -v[104:105]
	v_add_f64 v[70:71], v[70:71], -v[106:107]
	;; [unrolled: 1-line block ×4, first 2 shown]
	v_fma_f64 v[128:129], v[164:165], v[144:145], -v[128:129]
	v_fma_f64 v[130:131], v[166:167], v[144:145], v[130:131]
	v_fma_f64 v[140:141], v[168:169], v[144:145], -v[140:141]
	v_fma_f64 v[142:143], v[170:171], v[144:145], v[142:143]
	ds_load_2addr_b64 v[164:167], v176 offset0:44 offset1:45
	ds_load_2addr_b64 v[168:171], v176 offset0:46 offset1:47
	s_waitcnt lgkmcnt(1)
	v_mul_f64 v[179:180], v[166:167], v[2:3]
	v_add_f64 v[60:61], v[60:61], -v[128:129]
	v_add_f64 v[62:63], v[62:63], -v[130:131]
	;; [unrolled: 1-line block ×4, first 2 shown]
	v_fma_f64 v[179:180], v[164:165], v[144:145], -v[179:180]
	v_mul_f64 v[164:165], v[164:165], v[2:3]
	s_delay_alu instid0(VALU_DEP_2) | instskip(NEXT) | instid1(VALU_DEP_2)
	v_add_f64 v[44:45], v[44:45], -v[179:180]
	v_fma_f64 v[181:182], v[166:167], v[144:145], v[164:165]
	s_waitcnt lgkmcnt(0)
	v_mul_f64 v[164:165], v[170:171], v[2:3]
	s_delay_alu instid0(VALU_DEP_2) | instskip(NEXT) | instid1(VALU_DEP_2)
	v_add_f64 v[46:47], v[46:47], -v[181:182]
	v_fma_f64 v[183:184], v[168:169], v[144:145], -v[164:165]
	v_mul_f64 v[164:165], v[168:169], v[2:3]
	s_delay_alu instid0(VALU_DEP_2) | instskip(NEXT) | instid1(VALU_DEP_2)
	v_add_f64 v[40:41], v[40:41], -v[183:184]
	v_fma_f64 v[185:186], v[170:171], v[144:145], v[164:165]
	ds_load_2addr_b64 v[164:167], v176 offset0:48 offset1:49
	ds_load_2addr_b64 v[168:171], v176 offset0:50 offset1:51
	s_waitcnt lgkmcnt(1)
	v_mul_f64 v[187:188], v[166:167], v[2:3]
	v_add_f64 v[42:43], v[42:43], -v[185:186]
	s_delay_alu instid0(VALU_DEP_2) | instskip(SKIP_1) | instid1(VALU_DEP_2)
	v_fma_f64 v[187:188], v[164:165], v[144:145], -v[187:188]
	v_mul_f64 v[164:165], v[164:165], v[2:3]
	v_add_f64 v[36:37], v[36:37], -v[187:188]
	s_delay_alu instid0(VALU_DEP_2) | instskip(SKIP_2) | instid1(VALU_DEP_2)
	v_fma_f64 v[189:190], v[166:167], v[144:145], v[164:165]
	s_waitcnt lgkmcnt(0)
	v_mul_f64 v[164:165], v[170:171], v[2:3]
	v_add_f64 v[38:39], v[38:39], -v[189:190]
	s_delay_alu instid0(VALU_DEP_2) | instskip(SKIP_1) | instid1(VALU_DEP_2)
	v_fma_f64 v[191:192], v[168:169], v[144:145], -v[164:165]
	v_mul_f64 v[164:165], v[168:169], v[2:3]
	v_add_f64 v[32:33], v[32:33], -v[191:192]
	s_delay_alu instid0(VALU_DEP_2)
	v_fma_f64 v[193:194], v[170:171], v[144:145], v[164:165]
	ds_load_2addr_b64 v[164:167], v176 offset0:52 offset1:53
	ds_load_2addr_b64 v[168:171], v176 offset0:54 offset1:55
	s_waitcnt lgkmcnt(1)
	v_mul_f64 v[195:196], v[166:167], v[2:3]
	v_add_f64 v[34:35], v[34:35], -v[193:194]
	s_delay_alu instid0(VALU_DEP_2) | instskip(SKIP_1) | instid1(VALU_DEP_2)
	v_fma_f64 v[195:196], v[164:165], v[144:145], -v[195:196]
	v_mul_f64 v[164:165], v[164:165], v[2:3]
	v_add_f64 v[28:29], v[28:29], -v[195:196]
	s_delay_alu instid0(VALU_DEP_2) | instskip(SKIP_2) | instid1(VALU_DEP_2)
	v_fma_f64 v[197:198], v[166:167], v[144:145], v[164:165]
	s_waitcnt lgkmcnt(0)
	v_mul_f64 v[164:165], v[170:171], v[2:3]
	v_add_f64 v[30:31], v[30:31], -v[197:198]
	s_delay_alu instid0(VALU_DEP_2) | instskip(SKIP_1) | instid1(VALU_DEP_2)
	v_fma_f64 v[199:200], v[168:169], v[144:145], -v[164:165]
	v_mul_f64 v[164:165], v[168:169], v[2:3]
	v_add_f64 v[24:25], v[24:25], -v[199:200]
	s_delay_alu instid0(VALU_DEP_2)
	;; [unrolled: 20-line block ×4, first 2 shown]
	v_fma_f64 v[217:218], v[170:171], v[144:145], v[164:165]
	ds_load_2addr_b64 v[164:167], v176 offset0:64 offset1:65
	ds_load_2addr_b64 v[168:171], v176 offset0:66 offset1:67
	scratch_store_b128 off, v[0:3], off     ; 16-byte Folded Spill
	s_waitcnt lgkmcnt(1)
	v_mul_f64 v[219:220], v[166:167], v[2:3]
	v_add_f64 v[10:11], v[10:11], -v[217:218]
	s_delay_alu instid0(VALU_DEP_2) | instskip(SKIP_1) | instid1(VALU_DEP_2)
	v_fma_f64 v[219:220], v[164:165], v[144:145], -v[219:220]
	v_mul_f64 v[164:165], v[164:165], v[2:3]
	v_add_f64 v[4:5], v[4:5], -v[219:220]
	s_delay_alu instid0(VALU_DEP_2) | instskip(SKIP_2) | instid1(VALU_DEP_2)
	v_fma_f64 v[164:165], v[166:167], v[144:145], v[164:165]
	s_waitcnt lgkmcnt(0)
	v_mul_f64 v[166:167], v[170:171], v[2:3]
	v_add_f64 v[6:7], v[6:7], -v[164:165]
	s_delay_alu instid0(VALU_DEP_2) | instskip(SKIP_1) | instid1(VALU_DEP_2)
	v_fma_f64 v[166:167], v[168:169], v[144:145], -v[166:167]
	v_mul_f64 v[168:169], v[168:169], v[2:3]
	v_add_f64 v[243:244], v[243:244], -v[166:167]
	s_delay_alu instid0(VALU_DEP_2) | instskip(NEXT) | instid1(VALU_DEP_1)
	v_fma_f64 v[168:169], v[170:171], v[144:145], v[168:169]
	v_add_f64 v[245:246], v[245:246], -v[168:169]
.LBB66_209:
	s_or_b32 exec_lo, exec_lo, s2
	v_lshl_add_u32 v48, v178, 4, v176
	s_waitcnt_vscnt null, 0x0
	s_barrier
	buffer_gl0_inv
	v_mov_b32_e32 v144, 10
	ds_store_2addr_b64 v48, v[116:117], v[118:119] offset1:1
	s_waitcnt lgkmcnt(0)
	s_barrier
	buffer_gl0_inv
	ds_load_2addr_b64 v[136:139], v176 offset0:20 offset1:21
	s_cmp_lt_i32 s5, 12
	s_cbranch_scc1 .LBB66_212
; %bb.210:
	v_add3_u32 v145, v174, 0, 0xb0
	v_mov_b32_e32 v144, 10
	s_mov_b32 s6, 11
	s_set_inst_prefetch_distance 0x1
	.p2align	6
.LBB66_211:                             ; =>This Inner Loop Header: Depth=1
	ds_load_2addr_b64 v[146:149], v145 offset1:1
	s_waitcnt lgkmcnt(1)
	v_cmp_gt_f64_e32 vcc_lo, 0, v[136:137]
	v_xor_b32_e32 v48, 0x80000000, v137
	v_cmp_gt_f64_e64 s2, 0, v[138:139]
	v_xor_b32_e32 v50, 0x80000000, v139
	v_add_nc_u32_e32 v145, 16, v145
	s_waitcnt lgkmcnt(0)
	v_cmp_gt_f64_e64 s3, 0, v[146:147]
	v_mov_b32_e32 v52, v146
	v_dual_mov_b32 v54, v148 :: v_dual_cndmask_b32 v49, v137, v48
	v_xor_b32_e32 v48, 0x80000000, v147
	v_cndmask_b32_e64 v51, v139, v50, s2
	v_xor_b32_e32 v50, 0x80000000, v149
	s_delay_alu instid0(VALU_DEP_3) | instskip(SKIP_2) | instid1(VALU_DEP_2)
	v_cndmask_b32_e64 v53, v147, v48, s3
	v_cmp_gt_f64_e64 s3, 0, v[148:149]
	v_cndmask_b32_e32 v48, v136, v136, vcc_lo
	v_cndmask_b32_e64 v55, v149, v50, s3
	v_cndmask_b32_e64 v50, v138, v138, s2
	s_delay_alu instid0(VALU_DEP_2) | instskip(NEXT) | instid1(VALU_DEP_2)
	v_add_f64 v[52:53], v[52:53], v[54:55]
	v_add_f64 v[48:49], v[48:49], v[50:51]
	s_delay_alu instid0(VALU_DEP_1)
	v_cmp_lt_f64_e32 vcc_lo, v[48:49], v[52:53]
	v_cndmask_b32_e32 v139, v139, v149, vcc_lo
	v_dual_cndmask_b32 v137, v137, v147 :: v_dual_cndmask_b32 v136, v136, v146
	v_cndmask_b32_e32 v138, v138, v148, vcc_lo
	v_cndmask_b32_e64 v144, v144, s6, vcc_lo
	s_add_i32 s6, s6, 1
	s_delay_alu instid0(SALU_CYCLE_1)
	s_cmp_lg_u32 s5, s6
	s_cbranch_scc1 .LBB66_211
.LBB66_212:
	s_set_inst_prefetch_distance 0x2
	s_waitcnt lgkmcnt(0)
	v_cmp_eq_f64_e32 vcc_lo, 0, v[136:137]
	v_cmp_eq_f64_e64 s2, 0, v[138:139]
	s_delay_alu instid0(VALU_DEP_1) | instskip(NEXT) | instid1(SALU_CYCLE_1)
	s_and_b32 s2, vcc_lo, s2
	s_and_saveexec_b32 s3, s2
	s_delay_alu instid0(SALU_CYCLE_1)
	s_xor_b32 s2, exec_lo, s3
; %bb.213:
	v_cmp_ne_u32_e32 vcc_lo, 0, v255
	v_cndmask_b32_e32 v255, 11, v255, vcc_lo
; %bb.214:
	s_and_not1_saveexec_b32 s3, s2
	s_cbranch_execz .LBB66_220
; %bb.215:
	v_cmp_gt_f64_e32 vcc_lo, 0, v[136:137]
	v_cmp_gt_f64_e64 s2, 0, v[138:139]
	v_xor_b32_e32 v48, 0x80000000, v137
	v_xor_b32_e32 v50, 0x80000000, v139
	s_delay_alu instid0(VALU_DEP_2) | instskip(NEXT) | instid1(VALU_DEP_2)
	v_cndmask_b32_e32 v49, v137, v48, vcc_lo
	v_cndmask_b32_e64 v51, v139, v50, s2
	v_cndmask_b32_e32 v48, v136, v136, vcc_lo
	v_cndmask_b32_e64 v50, v138, v138, s2
	s_mov_b32 s2, exec_lo
	s_delay_alu instid0(VALU_DEP_1)
	v_cmpx_ngt_f64_e32 v[48:49], v[50:51]
	s_xor_b32 s2, exec_lo, s2
	s_cbranch_execz .LBB66_217
; %bb.216:
	v_div_scale_f64 v[48:49], null, v[138:139], v[138:139], v[136:137]
	v_div_scale_f64 v[54:55], vcc_lo, v[136:137], v[138:139], v[136:137]
	s_delay_alu instid0(VALU_DEP_2) | instskip(SKIP_2) | instid1(VALU_DEP_1)
	v_rcp_f64_e32 v[50:51], v[48:49]
	s_waitcnt_depctr 0xfff
	v_fma_f64 v[52:53], -v[48:49], v[50:51], 1.0
	v_fma_f64 v[50:51], v[50:51], v[52:53], v[50:51]
	s_delay_alu instid0(VALU_DEP_1) | instskip(NEXT) | instid1(VALU_DEP_1)
	v_fma_f64 v[52:53], -v[48:49], v[50:51], 1.0
	v_fma_f64 v[50:51], v[50:51], v[52:53], v[50:51]
	s_delay_alu instid0(VALU_DEP_1) | instskip(NEXT) | instid1(VALU_DEP_1)
	v_mul_f64 v[52:53], v[54:55], v[50:51]
	v_fma_f64 v[48:49], -v[48:49], v[52:53], v[54:55]
	s_delay_alu instid0(VALU_DEP_1) | instskip(NEXT) | instid1(VALU_DEP_1)
	v_div_fmas_f64 v[48:49], v[48:49], v[50:51], v[52:53]
	v_div_fixup_f64 v[48:49], v[48:49], v[138:139], v[136:137]
	s_delay_alu instid0(VALU_DEP_1) | instskip(NEXT) | instid1(VALU_DEP_1)
	v_fma_f64 v[50:51], v[136:137], v[48:49], v[138:139]
	v_div_scale_f64 v[52:53], null, v[50:51], v[50:51], 1.0
	s_delay_alu instid0(VALU_DEP_1) | instskip(SKIP_2) | instid1(VALU_DEP_1)
	v_rcp_f64_e32 v[54:55], v[52:53]
	s_waitcnt_depctr 0xfff
	v_fma_f64 v[104:105], -v[52:53], v[54:55], 1.0
	v_fma_f64 v[54:55], v[54:55], v[104:105], v[54:55]
	s_delay_alu instid0(VALU_DEP_1) | instskip(NEXT) | instid1(VALU_DEP_1)
	v_fma_f64 v[104:105], -v[52:53], v[54:55], 1.0
	v_fma_f64 v[54:55], v[54:55], v[104:105], v[54:55]
	v_div_scale_f64 v[104:105], vcc_lo, 1.0, v[50:51], 1.0
	s_delay_alu instid0(VALU_DEP_1) | instskip(NEXT) | instid1(VALU_DEP_1)
	v_mul_f64 v[106:107], v[104:105], v[54:55]
	v_fma_f64 v[52:53], -v[52:53], v[106:107], v[104:105]
	s_delay_alu instid0(VALU_DEP_1) | instskip(NEXT) | instid1(VALU_DEP_1)
	v_div_fmas_f64 v[52:53], v[52:53], v[54:55], v[106:107]
	v_div_fixup_f64 v[138:139], v[52:53], v[50:51], 1.0
	s_delay_alu instid0(VALU_DEP_1)
	v_mul_f64 v[136:137], v[48:49], v[138:139]
	v_xor_b32_e32 v139, 0x80000000, v139
.LBB66_217:
	s_and_not1_saveexec_b32 s2, s2
	s_cbranch_execz .LBB66_219
; %bb.218:
	s_delay_alu instid0(VALU_DEP_1) | instskip(SKIP_1) | instid1(VALU_DEP_2)
	v_div_scale_f64 v[48:49], null, v[136:137], v[136:137], v[138:139]
	v_div_scale_f64 v[54:55], vcc_lo, v[138:139], v[136:137], v[138:139]
	v_rcp_f64_e32 v[50:51], v[48:49]
	s_waitcnt_depctr 0xfff
	v_fma_f64 v[52:53], -v[48:49], v[50:51], 1.0
	s_delay_alu instid0(VALU_DEP_1) | instskip(NEXT) | instid1(VALU_DEP_1)
	v_fma_f64 v[50:51], v[50:51], v[52:53], v[50:51]
	v_fma_f64 v[52:53], -v[48:49], v[50:51], 1.0
	s_delay_alu instid0(VALU_DEP_1) | instskip(NEXT) | instid1(VALU_DEP_1)
	v_fma_f64 v[50:51], v[50:51], v[52:53], v[50:51]
	v_mul_f64 v[52:53], v[54:55], v[50:51]
	s_delay_alu instid0(VALU_DEP_1) | instskip(NEXT) | instid1(VALU_DEP_1)
	v_fma_f64 v[48:49], -v[48:49], v[52:53], v[54:55]
	v_div_fmas_f64 v[48:49], v[48:49], v[50:51], v[52:53]
	s_delay_alu instid0(VALU_DEP_1) | instskip(NEXT) | instid1(VALU_DEP_1)
	v_div_fixup_f64 v[48:49], v[48:49], v[136:137], v[138:139]
	v_fma_f64 v[50:51], v[138:139], v[48:49], v[136:137]
	s_delay_alu instid0(VALU_DEP_1) | instskip(NEXT) | instid1(VALU_DEP_1)
	v_div_scale_f64 v[52:53], null, v[50:51], v[50:51], 1.0
	v_rcp_f64_e32 v[54:55], v[52:53]
	s_waitcnt_depctr 0xfff
	v_fma_f64 v[104:105], -v[52:53], v[54:55], 1.0
	s_delay_alu instid0(VALU_DEP_1) | instskip(NEXT) | instid1(VALU_DEP_1)
	v_fma_f64 v[54:55], v[54:55], v[104:105], v[54:55]
	v_fma_f64 v[104:105], -v[52:53], v[54:55], 1.0
	s_delay_alu instid0(VALU_DEP_1) | instskip(SKIP_1) | instid1(VALU_DEP_1)
	v_fma_f64 v[54:55], v[54:55], v[104:105], v[54:55]
	v_div_scale_f64 v[104:105], vcc_lo, 1.0, v[50:51], 1.0
	v_mul_f64 v[106:107], v[104:105], v[54:55]
	s_delay_alu instid0(VALU_DEP_1) | instskip(NEXT) | instid1(VALU_DEP_1)
	v_fma_f64 v[52:53], -v[52:53], v[106:107], v[104:105]
	v_div_fmas_f64 v[52:53], v[52:53], v[54:55], v[106:107]
	s_delay_alu instid0(VALU_DEP_1) | instskip(NEXT) | instid1(VALU_DEP_1)
	v_div_fixup_f64 v[136:137], v[52:53], v[50:51], 1.0
	v_mul_f64 v[138:139], v[48:49], -v[136:137]
.LBB66_219:
	s_or_b32 exec_lo, exec_lo, s2
.LBB66_220:
	s_delay_alu instid0(SALU_CYCLE_1) | instskip(NEXT) | instid1(SALU_CYCLE_1)
	s_or_b32 exec_lo, exec_lo, s3
	s_mov_b32 s2, exec_lo
	v_cmpx_ne_u32_e64 v178, v144
	s_xor_b32 s2, exec_lo, s2
	s_cbranch_execz .LBB66_226
; %bb.221:
	s_mov_b32 s3, exec_lo
	v_cmpx_eq_u32_e32 10, v178
	s_cbranch_execz .LBB66_225
; %bb.222:
	v_cmp_ne_u32_e32 vcc_lo, 10, v144
	s_xor_b32 s6, s4, -1
	s_delay_alu instid0(SALU_CYCLE_1) | instskip(NEXT) | instid1(SALU_CYCLE_1)
	s_and_b32 s7, s6, vcc_lo
	s_and_saveexec_b32 s6, s7
	s_cbranch_execz .LBB66_224
; %bb.223:
	scratch_load_b64 v[52:53], off, off offset:32 ; 8-byte Folded Reload
	v_ashrrev_i32_e32 v145, 31, v144
	s_delay_alu instid0(VALU_DEP_1) | instskip(SKIP_1) | instid1(VALU_DEP_1)
	v_lshlrev_b64 v[48:49], 2, v[144:145]
	s_waitcnt vmcnt(0)
	v_add_co_u32 v48, vcc_lo, v52, v48
	s_delay_alu instid0(VALU_DEP_2)
	v_add_co_ci_u32_e32 v49, vcc_lo, v53, v49, vcc_lo
	s_clause 0x1
	flat_load_b32 v50, v[48:49]
	flat_load_b32 v51, v[52:53] offset:40
	s_waitcnt vmcnt(1) lgkmcnt(1)
	flat_store_b32 v[52:53], v50 offset:40
	s_waitcnt vmcnt(0) lgkmcnt(1)
	flat_store_b32 v[48:49], v51
.LBB66_224:
	s_or_b32 exec_lo, exec_lo, s6
	v_mov_b32_e32 v178, v144
	v_mov_b32_e32 v172, v144
.LBB66_225:
	s_or_b32 exec_lo, exec_lo, s3
.LBB66_226:
	s_and_not1_saveexec_b32 s2, s2
	s_cbranch_execz .LBB66_228
; %bb.227:
	v_mov_b32_e32 v178, 10
	ds_store_2addr_b64 v176, v[112:113], v[114:115] offset0:22 offset1:23
	ds_store_2addr_b64 v176, v[96:97], v[98:99] offset0:24 offset1:25
	;; [unrolled: 1-line block ×23, first 2 shown]
.LBB66_228:
	s_or_b32 exec_lo, exec_lo, s2
	s_delay_alu instid0(SALU_CYCLE_1)
	s_mov_b32 s2, exec_lo
	s_waitcnt lgkmcnt(0)
	s_waitcnt_vscnt null, 0x0
	s_barrier
	buffer_gl0_inv
	v_cmpx_lt_i32_e32 10, v178
	s_cbranch_execz .LBB66_230
; %bb.229:
	v_mul_f64 v[48:49], v[138:139], v[118:119]
	s_delay_alu instid0(VALU_DEP_1) | instskip(SKIP_1) | instid1(VALU_DEP_1)
	v_fma_f64 v[144:145], v[136:137], v[116:117], -v[48:49]
	v_mul_f64 v[48:49], v[136:137], v[118:119]
	v_fma_f64 v[118:119], v[138:139], v[116:117], v[48:49]
	ds_load_2addr_b64 v[136:139], v176 offset0:22 offset1:23
	ds_load_2addr_b64 v[146:149], v176 offset0:24 offset1:25
	;; [unrolled: 1-line block ×4, first 2 shown]
	s_waitcnt lgkmcnt(3)
	v_mul_f64 v[48:49], v[138:139], v[118:119]
	s_delay_alu instid0(VALU_DEP_1) | instskip(SKIP_1) | instid1(VALU_DEP_2)
	v_fma_f64 v[116:117], v[136:137], v[144:145], -v[48:49]
	v_mul_f64 v[48:49], v[136:137], v[118:119]
	v_add_f64 v[112:113], v[112:113], -v[116:117]
	s_delay_alu instid0(VALU_DEP_2) | instskip(SKIP_3) | instid1(VALU_DEP_3)
	v_fma_f64 v[136:137], v[138:139], v[144:145], v[48:49]
	s_waitcnt lgkmcnt(2)
	v_mul_f64 v[48:49], v[148:149], v[118:119]
	v_dual_mov_b32 v116, v144 :: v_dual_mov_b32 v117, v145
	v_add_f64 v[114:115], v[114:115], -v[136:137]
	s_delay_alu instid0(VALU_DEP_3) | instskip(SKIP_1) | instid1(VALU_DEP_2)
	v_fma_f64 v[138:139], v[146:147], v[144:145], -v[48:49]
	v_mul_f64 v[48:49], v[146:147], v[118:119]
	v_add_f64 v[96:97], v[96:97], -v[138:139]
	s_delay_alu instid0(VALU_DEP_2) | instskip(SKIP_2) | instid1(VALU_DEP_2)
	v_fma_f64 v[146:147], v[148:149], v[144:145], v[48:49]
	s_waitcnt lgkmcnt(1)
	v_mul_f64 v[48:49], v[152:153], v[118:119]
	v_add_f64 v[98:99], v[98:99], -v[146:147]
	s_delay_alu instid0(VALU_DEP_2) | instskip(SKIP_1) | instid1(VALU_DEP_2)
	v_fma_f64 v[148:149], v[150:151], v[144:145], -v[48:49]
	v_mul_f64 v[48:49], v[150:151], v[118:119]
	v_add_f64 v[92:93], v[92:93], -v[148:149]
	s_delay_alu instid0(VALU_DEP_2) | instskip(SKIP_2) | instid1(VALU_DEP_2)
	v_fma_f64 v[150:151], v[152:153], v[144:145], v[48:49]
	s_waitcnt lgkmcnt(0)
	v_mul_f64 v[48:49], v[156:157], v[118:119]
	v_add_f64 v[94:95], v[94:95], -v[150:151]
	s_delay_alu instid0(VALU_DEP_2) | instskip(SKIP_1) | instid1(VALU_DEP_2)
	v_fma_f64 v[152:153], v[154:155], v[144:145], -v[48:49]
	v_mul_f64 v[48:49], v[154:155], v[118:119]
	v_add_f64 v[84:85], v[84:85], -v[152:153]
	s_delay_alu instid0(VALU_DEP_2)
	v_fma_f64 v[154:155], v[156:157], v[144:145], v[48:49]
	ds_load_2addr_b64 v[156:159], v176 offset0:30 offset1:31
	ds_load_2addr_b64 v[160:163], v176 offset0:32 offset1:33
	s_waitcnt lgkmcnt(1)
	v_mul_f64 v[48:49], v[158:159], v[118:119]
	v_mul_f64 v[50:51], v[156:157], v[118:119]
	s_waitcnt lgkmcnt(0)
	v_mul_f64 v[52:53], v[162:163], v[118:119]
	v_mul_f64 v[54:55], v[160:161], v[118:119]
	v_add_f64 v[86:87], v[86:87], -v[154:155]
	v_fma_f64 v[48:49], v[156:157], v[144:145], -v[48:49]
	v_fma_f64 v[50:51], v[158:159], v[144:145], v[50:51]
	v_fma_f64 v[52:53], v[160:161], v[144:145], -v[52:53]
	v_fma_f64 v[54:55], v[162:163], v[144:145], v[54:55]
	ds_load_2addr_b64 v[156:159], v176 offset0:34 offset1:35
	ds_load_2addr_b64 v[160:163], v176 offset0:36 offset1:37
	s_waitcnt lgkmcnt(1)
	v_mul_f64 v[104:105], v[158:159], v[118:119]
	v_mul_f64 v[106:107], v[156:157], v[118:119]
	s_waitcnt lgkmcnt(0)
	v_mul_f64 v[124:125], v[162:163], v[118:119]
	v_mul_f64 v[126:127], v[160:161], v[118:119]
	v_add_f64 v[80:81], v[80:81], -v[48:49]
	v_add_f64 v[82:83], v[82:83], -v[50:51]
	;; [unrolled: 1-line block ×4, first 2 shown]
	v_fma_f64 v[104:105], v[156:157], v[144:145], -v[104:105]
	v_fma_f64 v[106:107], v[158:159], v[144:145], v[106:107]
	v_fma_f64 v[124:125], v[160:161], v[144:145], -v[124:125]
	v_fma_f64 v[126:127], v[162:163], v[144:145], v[126:127]
	ds_load_2addr_b64 v[156:159], v176 offset0:38 offset1:39
	ds_load_2addr_b64 v[160:163], v176 offset0:40 offset1:41
	s_waitcnt lgkmcnt(1)
	v_mul_f64 v[128:129], v[158:159], v[118:119]
	v_mul_f64 v[130:131], v[156:157], v[118:119]
	s_waitcnt lgkmcnt(0)
	v_mul_f64 v[140:141], v[162:163], v[118:119]
	v_mul_f64 v[142:143], v[160:161], v[118:119]
	v_add_f64 v[72:73], v[72:73], -v[104:105]
	v_add_f64 v[74:75], v[74:75], -v[106:107]
	;; [unrolled: 1-line block ×4, first 2 shown]
	v_fma_f64 v[128:129], v[156:157], v[144:145], -v[128:129]
	v_fma_f64 v[130:131], v[158:159], v[144:145], v[130:131]
	v_fma_f64 v[140:141], v[160:161], v[144:145], -v[140:141]
	v_fma_f64 v[142:143], v[162:163], v[144:145], v[142:143]
	ds_load_2addr_b64 v[156:159], v176 offset0:42 offset1:43
	ds_load_2addr_b64 v[160:163], v176 offset0:44 offset1:45
	s_waitcnt lgkmcnt(1)
	v_mul_f64 v[164:165], v[158:159], v[118:119]
	v_add_f64 v[64:65], v[64:65], -v[128:129]
	v_add_f64 v[66:67], v[66:67], -v[130:131]
	;; [unrolled: 1-line block ×4, first 2 shown]
	v_fma_f64 v[164:165], v[156:157], v[144:145], -v[164:165]
	v_mul_f64 v[156:157], v[156:157], v[118:119]
	s_delay_alu instid0(VALU_DEP_2) | instskip(NEXT) | instid1(VALU_DEP_2)
	v_add_f64 v[56:57], v[56:57], -v[164:165]
	v_fma_f64 v[166:167], v[158:159], v[144:145], v[156:157]
	s_waitcnt lgkmcnt(0)
	v_mul_f64 v[156:157], v[162:163], v[118:119]
	s_delay_alu instid0(VALU_DEP_2) | instskip(NEXT) | instid1(VALU_DEP_2)
	v_add_f64 v[58:59], v[58:59], -v[166:167]
	v_fma_f64 v[168:169], v[160:161], v[144:145], -v[156:157]
	v_mul_f64 v[156:157], v[160:161], v[118:119]
	s_delay_alu instid0(VALU_DEP_2) | instskip(NEXT) | instid1(VALU_DEP_2)
	v_add_f64 v[44:45], v[44:45], -v[168:169]
	v_fma_f64 v[170:171], v[162:163], v[144:145], v[156:157]
	ds_load_2addr_b64 v[156:159], v176 offset0:46 offset1:47
	ds_load_2addr_b64 v[160:163], v176 offset0:48 offset1:49
	s_waitcnt lgkmcnt(1)
	v_mul_f64 v[179:180], v[158:159], v[118:119]
	v_add_f64 v[46:47], v[46:47], -v[170:171]
	s_delay_alu instid0(VALU_DEP_2) | instskip(SKIP_1) | instid1(VALU_DEP_2)
	v_fma_f64 v[179:180], v[156:157], v[144:145], -v[179:180]
	v_mul_f64 v[156:157], v[156:157], v[118:119]
	v_add_f64 v[40:41], v[40:41], -v[179:180]
	s_delay_alu instid0(VALU_DEP_2) | instskip(SKIP_2) | instid1(VALU_DEP_2)
	v_fma_f64 v[181:182], v[158:159], v[144:145], v[156:157]
	s_waitcnt lgkmcnt(0)
	v_mul_f64 v[156:157], v[162:163], v[118:119]
	v_add_f64 v[42:43], v[42:43], -v[181:182]
	s_delay_alu instid0(VALU_DEP_2) | instskip(SKIP_1) | instid1(VALU_DEP_2)
	v_fma_f64 v[183:184], v[160:161], v[144:145], -v[156:157]
	v_mul_f64 v[156:157], v[160:161], v[118:119]
	v_add_f64 v[36:37], v[36:37], -v[183:184]
	s_delay_alu instid0(VALU_DEP_2)
	v_fma_f64 v[185:186], v[162:163], v[144:145], v[156:157]
	ds_load_2addr_b64 v[156:159], v176 offset0:50 offset1:51
	ds_load_2addr_b64 v[160:163], v176 offset0:52 offset1:53
	s_waitcnt lgkmcnt(1)
	v_mul_f64 v[187:188], v[158:159], v[118:119]
	v_add_f64 v[38:39], v[38:39], -v[185:186]
	s_delay_alu instid0(VALU_DEP_2) | instskip(SKIP_1) | instid1(VALU_DEP_2)
	v_fma_f64 v[187:188], v[156:157], v[144:145], -v[187:188]
	v_mul_f64 v[156:157], v[156:157], v[118:119]
	v_add_f64 v[32:33], v[32:33], -v[187:188]
	s_delay_alu instid0(VALU_DEP_2) | instskip(SKIP_2) | instid1(VALU_DEP_2)
	v_fma_f64 v[189:190], v[158:159], v[144:145], v[156:157]
	s_waitcnt lgkmcnt(0)
	v_mul_f64 v[156:157], v[162:163], v[118:119]
	v_add_f64 v[34:35], v[34:35], -v[189:190]
	s_delay_alu instid0(VALU_DEP_2) | instskip(SKIP_1) | instid1(VALU_DEP_2)
	v_fma_f64 v[191:192], v[160:161], v[144:145], -v[156:157]
	v_mul_f64 v[156:157], v[160:161], v[118:119]
	v_add_f64 v[28:29], v[28:29], -v[191:192]
	s_delay_alu instid0(VALU_DEP_2)
	;; [unrolled: 20-line block ×4, first 2 shown]
	v_fma_f64 v[209:210], v[162:163], v[144:145], v[156:157]
	ds_load_2addr_b64 v[156:159], v176 offset0:62 offset1:63
	ds_load_2addr_b64 v[160:163], v176 offset0:64 offset1:65
	s_waitcnt lgkmcnt(1)
	v_mul_f64 v[211:212], v[158:159], v[118:119]
	v_add_f64 v[14:15], v[14:15], -v[209:210]
	s_delay_alu instid0(VALU_DEP_2) | instskip(SKIP_1) | instid1(VALU_DEP_2)
	v_fma_f64 v[211:212], v[156:157], v[144:145], -v[211:212]
	v_mul_f64 v[156:157], v[156:157], v[118:119]
	v_add_f64 v[8:9], v[8:9], -v[211:212]
	s_delay_alu instid0(VALU_DEP_2) | instskip(SKIP_2) | instid1(VALU_DEP_2)
	v_fma_f64 v[213:214], v[158:159], v[144:145], v[156:157]
	s_waitcnt lgkmcnt(0)
	v_mul_f64 v[156:157], v[162:163], v[118:119]
	v_add_f64 v[10:11], v[10:11], -v[213:214]
	s_delay_alu instid0(VALU_DEP_2) | instskip(SKIP_1) | instid1(VALU_DEP_2)
	v_fma_f64 v[215:216], v[160:161], v[144:145], -v[156:157]
	v_mul_f64 v[156:157], v[160:161], v[118:119]
	v_add_f64 v[4:5], v[4:5], -v[215:216]
	s_delay_alu instid0(VALU_DEP_2) | instskip(SKIP_4) | instid1(VALU_DEP_2)
	v_fma_f64 v[160:161], v[162:163], v[144:145], v[156:157]
	ds_load_2addr_b64 v[156:159], v176 offset0:66 offset1:67
	s_waitcnt lgkmcnt(0)
	v_mul_f64 v[162:163], v[158:159], v[118:119]
	v_add_f64 v[6:7], v[6:7], -v[160:161]
	v_fma_f64 v[162:163], v[156:157], v[144:145], -v[162:163]
	v_mul_f64 v[156:157], v[156:157], v[118:119]
	s_delay_alu instid0(VALU_DEP_2) | instskip(NEXT) | instid1(VALU_DEP_2)
	v_add_f64 v[243:244], v[243:244], -v[162:163]
	v_fma_f64 v[156:157], v[158:159], v[144:145], v[156:157]
	s_delay_alu instid0(VALU_DEP_1)
	v_add_f64 v[245:246], v[245:246], -v[156:157]
.LBB66_230:
	s_or_b32 exec_lo, exec_lo, s2
	v_lshl_add_u32 v48, v178, 4, v176
	s_barrier
	buffer_gl0_inv
	v_mov_b32_e32 v144, 11
	ds_store_2addr_b64 v48, v[112:113], v[114:115] offset1:1
	s_waitcnt lgkmcnt(0)
	s_barrier
	buffer_gl0_inv
	ds_load_2addr_b64 v[136:139], v176 offset0:22 offset1:23
	s_cmp_lt_i32 s5, 13
	s_cbranch_scc1 .LBB66_233
; %bb.231:
	v_add3_u32 v145, v174, 0, 0xc0
	v_mov_b32_e32 v144, 11
	s_mov_b32 s6, 12
	s_set_inst_prefetch_distance 0x1
	.p2align	6
.LBB66_232:                             ; =>This Inner Loop Header: Depth=1
	ds_load_2addr_b64 v[146:149], v145 offset1:1
	s_waitcnt lgkmcnt(1)
	v_cmp_gt_f64_e32 vcc_lo, 0, v[136:137]
	v_xor_b32_e32 v48, 0x80000000, v137
	v_cmp_gt_f64_e64 s2, 0, v[138:139]
	v_xor_b32_e32 v50, 0x80000000, v139
	v_add_nc_u32_e32 v145, 16, v145
	s_waitcnt lgkmcnt(0)
	v_cmp_gt_f64_e64 s3, 0, v[146:147]
	v_mov_b32_e32 v52, v146
	v_dual_mov_b32 v54, v148 :: v_dual_cndmask_b32 v49, v137, v48
	v_xor_b32_e32 v48, 0x80000000, v147
	v_cndmask_b32_e64 v51, v139, v50, s2
	v_xor_b32_e32 v50, 0x80000000, v149
	s_delay_alu instid0(VALU_DEP_3) | instskip(SKIP_2) | instid1(VALU_DEP_2)
	v_cndmask_b32_e64 v53, v147, v48, s3
	v_cmp_gt_f64_e64 s3, 0, v[148:149]
	v_cndmask_b32_e32 v48, v136, v136, vcc_lo
	v_cndmask_b32_e64 v55, v149, v50, s3
	v_cndmask_b32_e64 v50, v138, v138, s2
	s_delay_alu instid0(VALU_DEP_2) | instskip(NEXT) | instid1(VALU_DEP_2)
	v_add_f64 v[52:53], v[52:53], v[54:55]
	v_add_f64 v[48:49], v[48:49], v[50:51]
	s_delay_alu instid0(VALU_DEP_1)
	v_cmp_lt_f64_e32 vcc_lo, v[48:49], v[52:53]
	v_cndmask_b32_e32 v139, v139, v149, vcc_lo
	v_dual_cndmask_b32 v137, v137, v147 :: v_dual_cndmask_b32 v136, v136, v146
	v_cndmask_b32_e32 v138, v138, v148, vcc_lo
	v_cndmask_b32_e64 v144, v144, s6, vcc_lo
	s_add_i32 s6, s6, 1
	s_delay_alu instid0(SALU_CYCLE_1)
	s_cmp_lg_u32 s5, s6
	s_cbranch_scc1 .LBB66_232
.LBB66_233:
	s_set_inst_prefetch_distance 0x2
	s_waitcnt lgkmcnt(0)
	v_cmp_eq_f64_e32 vcc_lo, 0, v[136:137]
	v_cmp_eq_f64_e64 s2, 0, v[138:139]
	s_delay_alu instid0(VALU_DEP_1) | instskip(NEXT) | instid1(SALU_CYCLE_1)
	s_and_b32 s2, vcc_lo, s2
	s_and_saveexec_b32 s3, s2
	s_delay_alu instid0(SALU_CYCLE_1)
	s_xor_b32 s2, exec_lo, s3
; %bb.234:
	v_cmp_ne_u32_e32 vcc_lo, 0, v255
	v_cndmask_b32_e32 v255, 12, v255, vcc_lo
; %bb.235:
	s_and_not1_saveexec_b32 s3, s2
	s_cbranch_execz .LBB66_241
; %bb.236:
	v_cmp_gt_f64_e32 vcc_lo, 0, v[136:137]
	v_cmp_gt_f64_e64 s2, 0, v[138:139]
	v_xor_b32_e32 v48, 0x80000000, v137
	v_xor_b32_e32 v50, 0x80000000, v139
	s_delay_alu instid0(VALU_DEP_2) | instskip(NEXT) | instid1(VALU_DEP_2)
	v_cndmask_b32_e32 v49, v137, v48, vcc_lo
	v_cndmask_b32_e64 v51, v139, v50, s2
	v_cndmask_b32_e32 v48, v136, v136, vcc_lo
	v_cndmask_b32_e64 v50, v138, v138, s2
	s_mov_b32 s2, exec_lo
	s_delay_alu instid0(VALU_DEP_1)
	v_cmpx_ngt_f64_e32 v[48:49], v[50:51]
	s_xor_b32 s2, exec_lo, s2
	s_cbranch_execz .LBB66_238
; %bb.237:
	v_div_scale_f64 v[48:49], null, v[138:139], v[138:139], v[136:137]
	v_div_scale_f64 v[54:55], vcc_lo, v[136:137], v[138:139], v[136:137]
	s_delay_alu instid0(VALU_DEP_2) | instskip(SKIP_2) | instid1(VALU_DEP_1)
	v_rcp_f64_e32 v[50:51], v[48:49]
	s_waitcnt_depctr 0xfff
	v_fma_f64 v[52:53], -v[48:49], v[50:51], 1.0
	v_fma_f64 v[50:51], v[50:51], v[52:53], v[50:51]
	s_delay_alu instid0(VALU_DEP_1) | instskip(NEXT) | instid1(VALU_DEP_1)
	v_fma_f64 v[52:53], -v[48:49], v[50:51], 1.0
	v_fma_f64 v[50:51], v[50:51], v[52:53], v[50:51]
	s_delay_alu instid0(VALU_DEP_1) | instskip(NEXT) | instid1(VALU_DEP_1)
	v_mul_f64 v[52:53], v[54:55], v[50:51]
	v_fma_f64 v[48:49], -v[48:49], v[52:53], v[54:55]
	s_delay_alu instid0(VALU_DEP_1) | instskip(NEXT) | instid1(VALU_DEP_1)
	v_div_fmas_f64 v[48:49], v[48:49], v[50:51], v[52:53]
	v_div_fixup_f64 v[48:49], v[48:49], v[138:139], v[136:137]
	s_delay_alu instid0(VALU_DEP_1) | instskip(NEXT) | instid1(VALU_DEP_1)
	v_fma_f64 v[50:51], v[136:137], v[48:49], v[138:139]
	v_div_scale_f64 v[52:53], null, v[50:51], v[50:51], 1.0
	s_delay_alu instid0(VALU_DEP_1) | instskip(SKIP_2) | instid1(VALU_DEP_1)
	v_rcp_f64_e32 v[54:55], v[52:53]
	s_waitcnt_depctr 0xfff
	v_fma_f64 v[104:105], -v[52:53], v[54:55], 1.0
	v_fma_f64 v[54:55], v[54:55], v[104:105], v[54:55]
	s_delay_alu instid0(VALU_DEP_1) | instskip(NEXT) | instid1(VALU_DEP_1)
	v_fma_f64 v[104:105], -v[52:53], v[54:55], 1.0
	v_fma_f64 v[54:55], v[54:55], v[104:105], v[54:55]
	v_div_scale_f64 v[104:105], vcc_lo, 1.0, v[50:51], 1.0
	s_delay_alu instid0(VALU_DEP_1) | instskip(NEXT) | instid1(VALU_DEP_1)
	v_mul_f64 v[106:107], v[104:105], v[54:55]
	v_fma_f64 v[52:53], -v[52:53], v[106:107], v[104:105]
	s_delay_alu instid0(VALU_DEP_1) | instskip(NEXT) | instid1(VALU_DEP_1)
	v_div_fmas_f64 v[52:53], v[52:53], v[54:55], v[106:107]
	v_div_fixup_f64 v[138:139], v[52:53], v[50:51], 1.0
	s_delay_alu instid0(VALU_DEP_1)
	v_mul_f64 v[136:137], v[48:49], v[138:139]
	v_xor_b32_e32 v139, 0x80000000, v139
.LBB66_238:
	s_and_not1_saveexec_b32 s2, s2
	s_cbranch_execz .LBB66_240
; %bb.239:
	s_delay_alu instid0(VALU_DEP_1) | instskip(SKIP_1) | instid1(VALU_DEP_2)
	v_div_scale_f64 v[48:49], null, v[136:137], v[136:137], v[138:139]
	v_div_scale_f64 v[54:55], vcc_lo, v[138:139], v[136:137], v[138:139]
	v_rcp_f64_e32 v[50:51], v[48:49]
	s_waitcnt_depctr 0xfff
	v_fma_f64 v[52:53], -v[48:49], v[50:51], 1.0
	s_delay_alu instid0(VALU_DEP_1) | instskip(NEXT) | instid1(VALU_DEP_1)
	v_fma_f64 v[50:51], v[50:51], v[52:53], v[50:51]
	v_fma_f64 v[52:53], -v[48:49], v[50:51], 1.0
	s_delay_alu instid0(VALU_DEP_1) | instskip(NEXT) | instid1(VALU_DEP_1)
	v_fma_f64 v[50:51], v[50:51], v[52:53], v[50:51]
	v_mul_f64 v[52:53], v[54:55], v[50:51]
	s_delay_alu instid0(VALU_DEP_1) | instskip(NEXT) | instid1(VALU_DEP_1)
	v_fma_f64 v[48:49], -v[48:49], v[52:53], v[54:55]
	v_div_fmas_f64 v[48:49], v[48:49], v[50:51], v[52:53]
	s_delay_alu instid0(VALU_DEP_1) | instskip(NEXT) | instid1(VALU_DEP_1)
	v_div_fixup_f64 v[48:49], v[48:49], v[136:137], v[138:139]
	v_fma_f64 v[50:51], v[138:139], v[48:49], v[136:137]
	s_delay_alu instid0(VALU_DEP_1) | instskip(NEXT) | instid1(VALU_DEP_1)
	v_div_scale_f64 v[52:53], null, v[50:51], v[50:51], 1.0
	v_rcp_f64_e32 v[54:55], v[52:53]
	s_waitcnt_depctr 0xfff
	v_fma_f64 v[104:105], -v[52:53], v[54:55], 1.0
	s_delay_alu instid0(VALU_DEP_1) | instskip(NEXT) | instid1(VALU_DEP_1)
	v_fma_f64 v[54:55], v[54:55], v[104:105], v[54:55]
	v_fma_f64 v[104:105], -v[52:53], v[54:55], 1.0
	s_delay_alu instid0(VALU_DEP_1) | instskip(SKIP_1) | instid1(VALU_DEP_1)
	v_fma_f64 v[54:55], v[54:55], v[104:105], v[54:55]
	v_div_scale_f64 v[104:105], vcc_lo, 1.0, v[50:51], 1.0
	v_mul_f64 v[106:107], v[104:105], v[54:55]
	s_delay_alu instid0(VALU_DEP_1) | instskip(NEXT) | instid1(VALU_DEP_1)
	v_fma_f64 v[52:53], -v[52:53], v[106:107], v[104:105]
	v_div_fmas_f64 v[52:53], v[52:53], v[54:55], v[106:107]
	s_delay_alu instid0(VALU_DEP_1) | instskip(NEXT) | instid1(VALU_DEP_1)
	v_div_fixup_f64 v[136:137], v[52:53], v[50:51], 1.0
	v_mul_f64 v[138:139], v[48:49], -v[136:137]
.LBB66_240:
	s_or_b32 exec_lo, exec_lo, s2
.LBB66_241:
	s_delay_alu instid0(SALU_CYCLE_1) | instskip(NEXT) | instid1(SALU_CYCLE_1)
	s_or_b32 exec_lo, exec_lo, s3
	s_mov_b32 s2, exec_lo
	v_cmpx_ne_u32_e64 v178, v144
	s_xor_b32 s2, exec_lo, s2
	s_cbranch_execz .LBB66_247
; %bb.242:
	s_mov_b32 s3, exec_lo
	v_cmpx_eq_u32_e32 11, v178
	s_cbranch_execz .LBB66_246
; %bb.243:
	v_cmp_ne_u32_e32 vcc_lo, 11, v144
	s_xor_b32 s6, s4, -1
	s_delay_alu instid0(SALU_CYCLE_1) | instskip(NEXT) | instid1(SALU_CYCLE_1)
	s_and_b32 s7, s6, vcc_lo
	s_and_saveexec_b32 s6, s7
	s_cbranch_execz .LBB66_245
; %bb.244:
	scratch_load_b64 v[52:53], off, off offset:32 ; 8-byte Folded Reload
	v_ashrrev_i32_e32 v145, 31, v144
	s_delay_alu instid0(VALU_DEP_1) | instskip(SKIP_1) | instid1(VALU_DEP_1)
	v_lshlrev_b64 v[48:49], 2, v[144:145]
	s_waitcnt vmcnt(0)
	v_add_co_u32 v48, vcc_lo, v52, v48
	s_delay_alu instid0(VALU_DEP_2)
	v_add_co_ci_u32_e32 v49, vcc_lo, v53, v49, vcc_lo
	s_clause 0x1
	flat_load_b32 v50, v[48:49]
	flat_load_b32 v51, v[52:53] offset:44
	s_waitcnt vmcnt(1) lgkmcnt(1)
	flat_store_b32 v[52:53], v50 offset:44
	s_waitcnt vmcnt(0) lgkmcnt(1)
	flat_store_b32 v[48:49], v51
.LBB66_245:
	s_or_b32 exec_lo, exec_lo, s6
	v_mov_b32_e32 v178, v144
	v_mov_b32_e32 v172, v144
.LBB66_246:
	s_or_b32 exec_lo, exec_lo, s3
.LBB66_247:
	s_and_not1_saveexec_b32 s2, s2
	s_cbranch_execz .LBB66_249
; %bb.248:
	v_mov_b32_e32 v178, 11
	ds_store_2addr_b64 v176, v[96:97], v[98:99] offset0:24 offset1:25
	ds_store_2addr_b64 v176, v[92:93], v[94:95] offset0:26 offset1:27
	;; [unrolled: 1-line block ×22, first 2 shown]
.LBB66_249:
	s_or_b32 exec_lo, exec_lo, s2
	s_delay_alu instid0(SALU_CYCLE_1)
	s_mov_b32 s2, exec_lo
	s_waitcnt lgkmcnt(0)
	s_waitcnt_vscnt null, 0x0
	s_barrier
	buffer_gl0_inv
	v_cmpx_lt_i32_e32 11, v178
	s_cbranch_execz .LBB66_251
; %bb.250:
	v_mul_f64 v[48:49], v[138:139], v[114:115]
	s_delay_alu instid0(VALU_DEP_1) | instskip(SKIP_1) | instid1(VALU_DEP_1)
	v_fma_f64 v[144:145], v[136:137], v[112:113], -v[48:49]
	v_mul_f64 v[48:49], v[136:137], v[114:115]
	v_fma_f64 v[114:115], v[138:139], v[112:113], v[48:49]
	ds_load_2addr_b64 v[136:139], v176 offset0:24 offset1:25
	ds_load_2addr_b64 v[146:149], v176 offset0:26 offset1:27
	;; [unrolled: 1-line block ×4, first 2 shown]
	s_waitcnt lgkmcnt(3)
	v_mul_f64 v[48:49], v[138:139], v[114:115]
	s_delay_alu instid0(VALU_DEP_1) | instskip(SKIP_1) | instid1(VALU_DEP_2)
	v_fma_f64 v[112:113], v[136:137], v[144:145], -v[48:49]
	v_mul_f64 v[48:49], v[136:137], v[114:115]
	v_add_f64 v[96:97], v[96:97], -v[112:113]
	s_delay_alu instid0(VALU_DEP_2) | instskip(SKIP_3) | instid1(VALU_DEP_3)
	v_fma_f64 v[136:137], v[138:139], v[144:145], v[48:49]
	s_waitcnt lgkmcnt(2)
	v_mul_f64 v[48:49], v[148:149], v[114:115]
	v_dual_mov_b32 v112, v144 :: v_dual_mov_b32 v113, v145
	v_add_f64 v[98:99], v[98:99], -v[136:137]
	s_delay_alu instid0(VALU_DEP_3) | instskip(SKIP_1) | instid1(VALU_DEP_2)
	v_fma_f64 v[138:139], v[146:147], v[144:145], -v[48:49]
	v_mul_f64 v[48:49], v[146:147], v[114:115]
	v_add_f64 v[92:93], v[92:93], -v[138:139]
	s_delay_alu instid0(VALU_DEP_2) | instskip(SKIP_2) | instid1(VALU_DEP_2)
	v_fma_f64 v[146:147], v[148:149], v[144:145], v[48:49]
	s_waitcnt lgkmcnt(1)
	v_mul_f64 v[48:49], v[152:153], v[114:115]
	v_add_f64 v[94:95], v[94:95], -v[146:147]
	s_delay_alu instid0(VALU_DEP_2) | instskip(SKIP_1) | instid1(VALU_DEP_2)
	v_fma_f64 v[148:149], v[150:151], v[144:145], -v[48:49]
	v_mul_f64 v[48:49], v[150:151], v[114:115]
	v_add_f64 v[84:85], v[84:85], -v[148:149]
	s_delay_alu instid0(VALU_DEP_2) | instskip(SKIP_2) | instid1(VALU_DEP_2)
	v_fma_f64 v[150:151], v[152:153], v[144:145], v[48:49]
	s_waitcnt lgkmcnt(0)
	v_mul_f64 v[48:49], v[156:157], v[114:115]
	v_add_f64 v[86:87], v[86:87], -v[150:151]
	s_delay_alu instid0(VALU_DEP_2) | instskip(SKIP_1) | instid1(VALU_DEP_2)
	v_fma_f64 v[152:153], v[154:155], v[144:145], -v[48:49]
	v_mul_f64 v[48:49], v[154:155], v[114:115]
	v_add_f64 v[80:81], v[80:81], -v[152:153]
	s_delay_alu instid0(VALU_DEP_2)
	v_fma_f64 v[154:155], v[156:157], v[144:145], v[48:49]
	ds_load_2addr_b64 v[156:159], v176 offset0:32 offset1:33
	ds_load_2addr_b64 v[160:163], v176 offset0:34 offset1:35
	s_waitcnt lgkmcnt(1)
	v_mul_f64 v[48:49], v[158:159], v[114:115]
	v_mul_f64 v[50:51], v[156:157], v[114:115]
	s_waitcnt lgkmcnt(0)
	v_mul_f64 v[52:53], v[162:163], v[114:115]
	v_mul_f64 v[54:55], v[160:161], v[114:115]
	v_add_f64 v[82:83], v[82:83], -v[154:155]
	v_fma_f64 v[48:49], v[156:157], v[144:145], -v[48:49]
	v_fma_f64 v[50:51], v[158:159], v[144:145], v[50:51]
	v_fma_f64 v[52:53], v[160:161], v[144:145], -v[52:53]
	v_fma_f64 v[54:55], v[162:163], v[144:145], v[54:55]
	ds_load_2addr_b64 v[156:159], v176 offset0:36 offset1:37
	ds_load_2addr_b64 v[160:163], v176 offset0:38 offset1:39
	s_waitcnt lgkmcnt(1)
	v_mul_f64 v[104:105], v[158:159], v[114:115]
	v_mul_f64 v[106:107], v[156:157], v[114:115]
	s_waitcnt lgkmcnt(0)
	v_mul_f64 v[124:125], v[162:163], v[114:115]
	v_mul_f64 v[126:127], v[160:161], v[114:115]
	v_add_f64 v[76:77], v[76:77], -v[48:49]
	v_add_f64 v[78:79], v[78:79], -v[50:51]
	;; [unrolled: 1-line block ×4, first 2 shown]
	v_fma_f64 v[104:105], v[156:157], v[144:145], -v[104:105]
	v_fma_f64 v[106:107], v[158:159], v[144:145], v[106:107]
	v_fma_f64 v[124:125], v[160:161], v[144:145], -v[124:125]
	v_fma_f64 v[126:127], v[162:163], v[144:145], v[126:127]
	ds_load_2addr_b64 v[156:159], v176 offset0:40 offset1:41
	ds_load_2addr_b64 v[160:163], v176 offset0:42 offset1:43
	s_waitcnt lgkmcnt(1)
	v_mul_f64 v[128:129], v[158:159], v[114:115]
	v_mul_f64 v[130:131], v[156:157], v[114:115]
	s_waitcnt lgkmcnt(0)
	v_mul_f64 v[140:141], v[162:163], v[114:115]
	v_mul_f64 v[142:143], v[160:161], v[114:115]
	v_add_f64 v[68:69], v[68:69], -v[104:105]
	v_add_f64 v[70:71], v[70:71], -v[106:107]
	v_add_f64 v[64:65], v[64:65], -v[124:125]
	v_add_f64 v[66:67], v[66:67], -v[126:127]
	v_fma_f64 v[128:129], v[156:157], v[144:145], -v[128:129]
	v_fma_f64 v[130:131], v[158:159], v[144:145], v[130:131]
	v_fma_f64 v[140:141], v[160:161], v[144:145], -v[140:141]
	v_fma_f64 v[142:143], v[162:163], v[144:145], v[142:143]
	ds_load_2addr_b64 v[156:159], v176 offset0:44 offset1:45
	ds_load_2addr_b64 v[160:163], v176 offset0:46 offset1:47
	s_waitcnt lgkmcnt(1)
	v_mul_f64 v[164:165], v[158:159], v[114:115]
	v_add_f64 v[60:61], v[60:61], -v[128:129]
	v_add_f64 v[62:63], v[62:63], -v[130:131]
	;; [unrolled: 1-line block ×4, first 2 shown]
	v_fma_f64 v[164:165], v[156:157], v[144:145], -v[164:165]
	v_mul_f64 v[156:157], v[156:157], v[114:115]
	s_delay_alu instid0(VALU_DEP_2) | instskip(NEXT) | instid1(VALU_DEP_2)
	v_add_f64 v[44:45], v[44:45], -v[164:165]
	v_fma_f64 v[166:167], v[158:159], v[144:145], v[156:157]
	s_waitcnt lgkmcnt(0)
	v_mul_f64 v[156:157], v[162:163], v[114:115]
	s_delay_alu instid0(VALU_DEP_2) | instskip(NEXT) | instid1(VALU_DEP_2)
	v_add_f64 v[46:47], v[46:47], -v[166:167]
	v_fma_f64 v[168:169], v[160:161], v[144:145], -v[156:157]
	v_mul_f64 v[156:157], v[160:161], v[114:115]
	s_delay_alu instid0(VALU_DEP_2) | instskip(NEXT) | instid1(VALU_DEP_2)
	v_add_f64 v[40:41], v[40:41], -v[168:169]
	v_fma_f64 v[170:171], v[162:163], v[144:145], v[156:157]
	ds_load_2addr_b64 v[156:159], v176 offset0:48 offset1:49
	ds_load_2addr_b64 v[160:163], v176 offset0:50 offset1:51
	s_waitcnt lgkmcnt(1)
	v_mul_f64 v[179:180], v[158:159], v[114:115]
	v_add_f64 v[42:43], v[42:43], -v[170:171]
	s_delay_alu instid0(VALU_DEP_2) | instskip(SKIP_1) | instid1(VALU_DEP_2)
	v_fma_f64 v[179:180], v[156:157], v[144:145], -v[179:180]
	v_mul_f64 v[156:157], v[156:157], v[114:115]
	v_add_f64 v[36:37], v[36:37], -v[179:180]
	s_delay_alu instid0(VALU_DEP_2) | instskip(SKIP_2) | instid1(VALU_DEP_2)
	v_fma_f64 v[181:182], v[158:159], v[144:145], v[156:157]
	s_waitcnt lgkmcnt(0)
	v_mul_f64 v[156:157], v[162:163], v[114:115]
	v_add_f64 v[38:39], v[38:39], -v[181:182]
	s_delay_alu instid0(VALU_DEP_2) | instskip(SKIP_1) | instid1(VALU_DEP_2)
	v_fma_f64 v[183:184], v[160:161], v[144:145], -v[156:157]
	v_mul_f64 v[156:157], v[160:161], v[114:115]
	v_add_f64 v[32:33], v[32:33], -v[183:184]
	s_delay_alu instid0(VALU_DEP_2)
	v_fma_f64 v[185:186], v[162:163], v[144:145], v[156:157]
	ds_load_2addr_b64 v[156:159], v176 offset0:52 offset1:53
	ds_load_2addr_b64 v[160:163], v176 offset0:54 offset1:55
	s_waitcnt lgkmcnt(1)
	v_mul_f64 v[187:188], v[158:159], v[114:115]
	v_add_f64 v[34:35], v[34:35], -v[185:186]
	s_delay_alu instid0(VALU_DEP_2) | instskip(SKIP_1) | instid1(VALU_DEP_2)
	v_fma_f64 v[187:188], v[156:157], v[144:145], -v[187:188]
	v_mul_f64 v[156:157], v[156:157], v[114:115]
	v_add_f64 v[28:29], v[28:29], -v[187:188]
	s_delay_alu instid0(VALU_DEP_2) | instskip(SKIP_2) | instid1(VALU_DEP_2)
	v_fma_f64 v[189:190], v[158:159], v[144:145], v[156:157]
	s_waitcnt lgkmcnt(0)
	v_mul_f64 v[156:157], v[162:163], v[114:115]
	v_add_f64 v[30:31], v[30:31], -v[189:190]
	s_delay_alu instid0(VALU_DEP_2) | instskip(SKIP_1) | instid1(VALU_DEP_2)
	v_fma_f64 v[191:192], v[160:161], v[144:145], -v[156:157]
	v_mul_f64 v[156:157], v[160:161], v[114:115]
	v_add_f64 v[24:25], v[24:25], -v[191:192]
	s_delay_alu instid0(VALU_DEP_2)
	;; [unrolled: 20-line block ×4, first 2 shown]
	v_fma_f64 v[209:210], v[162:163], v[144:145], v[156:157]
	ds_load_2addr_b64 v[156:159], v176 offset0:64 offset1:65
	ds_load_2addr_b64 v[160:163], v176 offset0:66 offset1:67
	s_waitcnt lgkmcnt(1)
	v_mul_f64 v[211:212], v[158:159], v[114:115]
	v_add_f64 v[10:11], v[10:11], -v[209:210]
	s_delay_alu instid0(VALU_DEP_2) | instskip(SKIP_1) | instid1(VALU_DEP_2)
	v_fma_f64 v[211:212], v[156:157], v[144:145], -v[211:212]
	v_mul_f64 v[156:157], v[156:157], v[114:115]
	v_add_f64 v[4:5], v[4:5], -v[211:212]
	s_delay_alu instid0(VALU_DEP_2) | instskip(SKIP_2) | instid1(VALU_DEP_2)
	v_fma_f64 v[156:157], v[158:159], v[144:145], v[156:157]
	s_waitcnt lgkmcnt(0)
	v_mul_f64 v[158:159], v[162:163], v[114:115]
	v_add_f64 v[6:7], v[6:7], -v[156:157]
	s_delay_alu instid0(VALU_DEP_2) | instskip(SKIP_1) | instid1(VALU_DEP_2)
	v_fma_f64 v[158:159], v[160:161], v[144:145], -v[158:159]
	v_mul_f64 v[160:161], v[160:161], v[114:115]
	v_add_f64 v[243:244], v[243:244], -v[158:159]
	s_delay_alu instid0(VALU_DEP_2) | instskip(NEXT) | instid1(VALU_DEP_1)
	v_fma_f64 v[160:161], v[162:163], v[144:145], v[160:161]
	v_add_f64 v[245:246], v[245:246], -v[160:161]
.LBB66_251:
	s_or_b32 exec_lo, exec_lo, s2
	v_lshl_add_u32 v48, v178, 4, v176
	s_barrier
	buffer_gl0_inv
	v_mov_b32_e32 v144, 12
	ds_store_2addr_b64 v48, v[96:97], v[98:99] offset1:1
	s_waitcnt lgkmcnt(0)
	s_barrier
	buffer_gl0_inv
	ds_load_2addr_b64 v[136:139], v176 offset0:24 offset1:25
	s_cmp_lt_i32 s5, 14
	s_cbranch_scc1 .LBB66_254
; %bb.252:
	v_add3_u32 v145, v174, 0, 0xd0
	v_mov_b32_e32 v144, 12
	s_mov_b32 s6, 13
	s_set_inst_prefetch_distance 0x1
	.p2align	6
.LBB66_253:                             ; =>This Inner Loop Header: Depth=1
	ds_load_2addr_b64 v[146:149], v145 offset1:1
	s_waitcnt lgkmcnt(1)
	v_cmp_gt_f64_e32 vcc_lo, 0, v[136:137]
	v_xor_b32_e32 v48, 0x80000000, v137
	v_cmp_gt_f64_e64 s2, 0, v[138:139]
	v_xor_b32_e32 v50, 0x80000000, v139
	v_add_nc_u32_e32 v145, 16, v145
	s_waitcnt lgkmcnt(0)
	v_cmp_gt_f64_e64 s3, 0, v[146:147]
	v_mov_b32_e32 v52, v146
	v_dual_mov_b32 v54, v148 :: v_dual_cndmask_b32 v49, v137, v48
	v_xor_b32_e32 v48, 0x80000000, v147
	v_cndmask_b32_e64 v51, v139, v50, s2
	v_xor_b32_e32 v50, 0x80000000, v149
	s_delay_alu instid0(VALU_DEP_3) | instskip(SKIP_2) | instid1(VALU_DEP_2)
	v_cndmask_b32_e64 v53, v147, v48, s3
	v_cmp_gt_f64_e64 s3, 0, v[148:149]
	v_cndmask_b32_e32 v48, v136, v136, vcc_lo
	v_cndmask_b32_e64 v55, v149, v50, s3
	v_cndmask_b32_e64 v50, v138, v138, s2
	s_delay_alu instid0(VALU_DEP_2) | instskip(NEXT) | instid1(VALU_DEP_2)
	v_add_f64 v[52:53], v[52:53], v[54:55]
	v_add_f64 v[48:49], v[48:49], v[50:51]
	s_delay_alu instid0(VALU_DEP_1)
	v_cmp_lt_f64_e32 vcc_lo, v[48:49], v[52:53]
	v_cndmask_b32_e32 v139, v139, v149, vcc_lo
	v_dual_cndmask_b32 v137, v137, v147 :: v_dual_cndmask_b32 v136, v136, v146
	v_cndmask_b32_e32 v138, v138, v148, vcc_lo
	v_cndmask_b32_e64 v144, v144, s6, vcc_lo
	s_add_i32 s6, s6, 1
	s_delay_alu instid0(SALU_CYCLE_1)
	s_cmp_lg_u32 s5, s6
	s_cbranch_scc1 .LBB66_253
.LBB66_254:
	s_set_inst_prefetch_distance 0x2
	s_waitcnt lgkmcnt(0)
	v_cmp_eq_f64_e32 vcc_lo, 0, v[136:137]
	v_cmp_eq_f64_e64 s2, 0, v[138:139]
	s_delay_alu instid0(VALU_DEP_1) | instskip(NEXT) | instid1(SALU_CYCLE_1)
	s_and_b32 s2, vcc_lo, s2
	s_and_saveexec_b32 s3, s2
	s_delay_alu instid0(SALU_CYCLE_1)
	s_xor_b32 s2, exec_lo, s3
; %bb.255:
	v_cmp_ne_u32_e32 vcc_lo, 0, v255
	v_cndmask_b32_e32 v255, 13, v255, vcc_lo
; %bb.256:
	s_and_not1_saveexec_b32 s3, s2
	s_cbranch_execz .LBB66_262
; %bb.257:
	v_cmp_gt_f64_e32 vcc_lo, 0, v[136:137]
	v_cmp_gt_f64_e64 s2, 0, v[138:139]
	v_xor_b32_e32 v48, 0x80000000, v137
	v_xor_b32_e32 v50, 0x80000000, v139
	s_delay_alu instid0(VALU_DEP_2) | instskip(NEXT) | instid1(VALU_DEP_2)
	v_cndmask_b32_e32 v49, v137, v48, vcc_lo
	v_cndmask_b32_e64 v51, v139, v50, s2
	v_cndmask_b32_e32 v48, v136, v136, vcc_lo
	v_cndmask_b32_e64 v50, v138, v138, s2
	s_mov_b32 s2, exec_lo
	s_delay_alu instid0(VALU_DEP_1)
	v_cmpx_ngt_f64_e32 v[48:49], v[50:51]
	s_xor_b32 s2, exec_lo, s2
	s_cbranch_execz .LBB66_259
; %bb.258:
	v_div_scale_f64 v[48:49], null, v[138:139], v[138:139], v[136:137]
	v_div_scale_f64 v[54:55], vcc_lo, v[136:137], v[138:139], v[136:137]
	s_delay_alu instid0(VALU_DEP_2) | instskip(SKIP_2) | instid1(VALU_DEP_1)
	v_rcp_f64_e32 v[50:51], v[48:49]
	s_waitcnt_depctr 0xfff
	v_fma_f64 v[52:53], -v[48:49], v[50:51], 1.0
	v_fma_f64 v[50:51], v[50:51], v[52:53], v[50:51]
	s_delay_alu instid0(VALU_DEP_1) | instskip(NEXT) | instid1(VALU_DEP_1)
	v_fma_f64 v[52:53], -v[48:49], v[50:51], 1.0
	v_fma_f64 v[50:51], v[50:51], v[52:53], v[50:51]
	s_delay_alu instid0(VALU_DEP_1) | instskip(NEXT) | instid1(VALU_DEP_1)
	v_mul_f64 v[52:53], v[54:55], v[50:51]
	v_fma_f64 v[48:49], -v[48:49], v[52:53], v[54:55]
	s_delay_alu instid0(VALU_DEP_1) | instskip(NEXT) | instid1(VALU_DEP_1)
	v_div_fmas_f64 v[48:49], v[48:49], v[50:51], v[52:53]
	v_div_fixup_f64 v[48:49], v[48:49], v[138:139], v[136:137]
	s_delay_alu instid0(VALU_DEP_1) | instskip(NEXT) | instid1(VALU_DEP_1)
	v_fma_f64 v[50:51], v[136:137], v[48:49], v[138:139]
	v_div_scale_f64 v[52:53], null, v[50:51], v[50:51], 1.0
	s_delay_alu instid0(VALU_DEP_1) | instskip(SKIP_2) | instid1(VALU_DEP_1)
	v_rcp_f64_e32 v[54:55], v[52:53]
	s_waitcnt_depctr 0xfff
	v_fma_f64 v[104:105], -v[52:53], v[54:55], 1.0
	v_fma_f64 v[54:55], v[54:55], v[104:105], v[54:55]
	s_delay_alu instid0(VALU_DEP_1) | instskip(NEXT) | instid1(VALU_DEP_1)
	v_fma_f64 v[104:105], -v[52:53], v[54:55], 1.0
	v_fma_f64 v[54:55], v[54:55], v[104:105], v[54:55]
	v_div_scale_f64 v[104:105], vcc_lo, 1.0, v[50:51], 1.0
	s_delay_alu instid0(VALU_DEP_1) | instskip(NEXT) | instid1(VALU_DEP_1)
	v_mul_f64 v[106:107], v[104:105], v[54:55]
	v_fma_f64 v[52:53], -v[52:53], v[106:107], v[104:105]
	s_delay_alu instid0(VALU_DEP_1) | instskip(NEXT) | instid1(VALU_DEP_1)
	v_div_fmas_f64 v[52:53], v[52:53], v[54:55], v[106:107]
	v_div_fixup_f64 v[138:139], v[52:53], v[50:51], 1.0
	s_delay_alu instid0(VALU_DEP_1)
	v_mul_f64 v[136:137], v[48:49], v[138:139]
	v_xor_b32_e32 v139, 0x80000000, v139
.LBB66_259:
	s_and_not1_saveexec_b32 s2, s2
	s_cbranch_execz .LBB66_261
; %bb.260:
	s_delay_alu instid0(VALU_DEP_1) | instskip(SKIP_1) | instid1(VALU_DEP_2)
	v_div_scale_f64 v[48:49], null, v[136:137], v[136:137], v[138:139]
	v_div_scale_f64 v[54:55], vcc_lo, v[138:139], v[136:137], v[138:139]
	v_rcp_f64_e32 v[50:51], v[48:49]
	s_waitcnt_depctr 0xfff
	v_fma_f64 v[52:53], -v[48:49], v[50:51], 1.0
	s_delay_alu instid0(VALU_DEP_1) | instskip(NEXT) | instid1(VALU_DEP_1)
	v_fma_f64 v[50:51], v[50:51], v[52:53], v[50:51]
	v_fma_f64 v[52:53], -v[48:49], v[50:51], 1.0
	s_delay_alu instid0(VALU_DEP_1) | instskip(NEXT) | instid1(VALU_DEP_1)
	v_fma_f64 v[50:51], v[50:51], v[52:53], v[50:51]
	v_mul_f64 v[52:53], v[54:55], v[50:51]
	s_delay_alu instid0(VALU_DEP_1) | instskip(NEXT) | instid1(VALU_DEP_1)
	v_fma_f64 v[48:49], -v[48:49], v[52:53], v[54:55]
	v_div_fmas_f64 v[48:49], v[48:49], v[50:51], v[52:53]
	s_delay_alu instid0(VALU_DEP_1) | instskip(NEXT) | instid1(VALU_DEP_1)
	v_div_fixup_f64 v[48:49], v[48:49], v[136:137], v[138:139]
	v_fma_f64 v[50:51], v[138:139], v[48:49], v[136:137]
	s_delay_alu instid0(VALU_DEP_1) | instskip(NEXT) | instid1(VALU_DEP_1)
	v_div_scale_f64 v[52:53], null, v[50:51], v[50:51], 1.0
	v_rcp_f64_e32 v[54:55], v[52:53]
	s_waitcnt_depctr 0xfff
	v_fma_f64 v[104:105], -v[52:53], v[54:55], 1.0
	s_delay_alu instid0(VALU_DEP_1) | instskip(NEXT) | instid1(VALU_DEP_1)
	v_fma_f64 v[54:55], v[54:55], v[104:105], v[54:55]
	v_fma_f64 v[104:105], -v[52:53], v[54:55], 1.0
	s_delay_alu instid0(VALU_DEP_1) | instskip(SKIP_1) | instid1(VALU_DEP_1)
	v_fma_f64 v[54:55], v[54:55], v[104:105], v[54:55]
	v_div_scale_f64 v[104:105], vcc_lo, 1.0, v[50:51], 1.0
	v_mul_f64 v[106:107], v[104:105], v[54:55]
	s_delay_alu instid0(VALU_DEP_1) | instskip(NEXT) | instid1(VALU_DEP_1)
	v_fma_f64 v[52:53], -v[52:53], v[106:107], v[104:105]
	v_div_fmas_f64 v[52:53], v[52:53], v[54:55], v[106:107]
	s_delay_alu instid0(VALU_DEP_1) | instskip(NEXT) | instid1(VALU_DEP_1)
	v_div_fixup_f64 v[136:137], v[52:53], v[50:51], 1.0
	v_mul_f64 v[138:139], v[48:49], -v[136:137]
.LBB66_261:
	s_or_b32 exec_lo, exec_lo, s2
.LBB66_262:
	s_delay_alu instid0(SALU_CYCLE_1) | instskip(NEXT) | instid1(SALU_CYCLE_1)
	s_or_b32 exec_lo, exec_lo, s3
	s_mov_b32 s2, exec_lo
	v_cmpx_ne_u32_e64 v178, v144
	s_xor_b32 s2, exec_lo, s2
	s_cbranch_execz .LBB66_268
; %bb.263:
	s_mov_b32 s3, exec_lo
	v_cmpx_eq_u32_e32 12, v178
	s_cbranch_execz .LBB66_267
; %bb.264:
	v_cmp_ne_u32_e32 vcc_lo, 12, v144
	s_xor_b32 s6, s4, -1
	s_delay_alu instid0(SALU_CYCLE_1) | instskip(NEXT) | instid1(SALU_CYCLE_1)
	s_and_b32 s7, s6, vcc_lo
	s_and_saveexec_b32 s6, s7
	s_cbranch_execz .LBB66_266
; %bb.265:
	scratch_load_b64 v[52:53], off, off offset:32 ; 8-byte Folded Reload
	v_ashrrev_i32_e32 v145, 31, v144
	s_delay_alu instid0(VALU_DEP_1) | instskip(SKIP_1) | instid1(VALU_DEP_1)
	v_lshlrev_b64 v[48:49], 2, v[144:145]
	s_waitcnt vmcnt(0)
	v_add_co_u32 v48, vcc_lo, v52, v48
	s_delay_alu instid0(VALU_DEP_2)
	v_add_co_ci_u32_e32 v49, vcc_lo, v53, v49, vcc_lo
	s_clause 0x1
	flat_load_b32 v50, v[48:49]
	flat_load_b32 v51, v[52:53] offset:48
	s_waitcnt vmcnt(1) lgkmcnt(1)
	flat_store_b32 v[52:53], v50 offset:48
	s_waitcnt vmcnt(0) lgkmcnt(1)
	flat_store_b32 v[48:49], v51
.LBB66_266:
	s_or_b32 exec_lo, exec_lo, s6
	v_mov_b32_e32 v178, v144
	v_mov_b32_e32 v172, v144
.LBB66_267:
	s_or_b32 exec_lo, exec_lo, s3
.LBB66_268:
	s_and_not1_saveexec_b32 s2, s2
	s_cbranch_execz .LBB66_270
; %bb.269:
	v_mov_b32_e32 v178, 12
	ds_store_2addr_b64 v176, v[92:93], v[94:95] offset0:26 offset1:27
	ds_store_2addr_b64 v176, v[84:85], v[86:87] offset0:28 offset1:29
	;; [unrolled: 1-line block ×21, first 2 shown]
.LBB66_270:
	s_or_b32 exec_lo, exec_lo, s2
	s_delay_alu instid0(SALU_CYCLE_1)
	s_mov_b32 s2, exec_lo
	s_waitcnt lgkmcnt(0)
	s_waitcnt_vscnt null, 0x0
	s_barrier
	buffer_gl0_inv
	v_cmpx_lt_i32_e32 12, v178
	s_cbranch_execz .LBB66_272
; %bb.271:
	v_mul_f64 v[48:49], v[138:139], v[98:99]
	s_delay_alu instid0(VALU_DEP_1) | instskip(SKIP_1) | instid1(VALU_DEP_1)
	v_fma_f64 v[144:145], v[136:137], v[96:97], -v[48:49]
	v_mul_f64 v[48:49], v[136:137], v[98:99]
	v_fma_f64 v[98:99], v[138:139], v[96:97], v[48:49]
	ds_load_2addr_b64 v[136:139], v176 offset0:26 offset1:27
	ds_load_2addr_b64 v[146:149], v176 offset0:28 offset1:29
	s_waitcnt lgkmcnt(1)
	v_mul_f64 v[48:49], v[138:139], v[98:99]
	s_delay_alu instid0(VALU_DEP_1) | instskip(SKIP_1) | instid1(VALU_DEP_2)
	v_fma_f64 v[96:97], v[136:137], v[144:145], -v[48:49]
	v_mul_f64 v[48:49], v[136:137], v[98:99]
	v_add_f64 v[92:93], v[92:93], -v[96:97]
	s_delay_alu instid0(VALU_DEP_2) | instskip(SKIP_3) | instid1(VALU_DEP_3)
	v_fma_f64 v[136:137], v[138:139], v[144:145], v[48:49]
	s_waitcnt lgkmcnt(0)
	v_mul_f64 v[48:49], v[148:149], v[98:99]
	v_dual_mov_b32 v96, v144 :: v_dual_mov_b32 v97, v145
	v_add_f64 v[94:95], v[94:95], -v[136:137]
	s_delay_alu instid0(VALU_DEP_3) | instskip(SKIP_1) | instid1(VALU_DEP_2)
	v_fma_f64 v[138:139], v[146:147], v[144:145], -v[48:49]
	v_mul_f64 v[48:49], v[146:147], v[98:99]
	v_add_f64 v[84:85], v[84:85], -v[138:139]
	s_delay_alu instid0(VALU_DEP_2)
	v_fma_f64 v[146:147], v[148:149], v[144:145], v[48:49]
	ds_load_2addr_b64 v[148:151], v176 offset0:30 offset1:31
	ds_load_2addr_b64 v[152:155], v176 offset0:32 offset1:33
	s_waitcnt lgkmcnt(1)
	v_mul_f64 v[48:49], v[150:151], v[98:99]
	v_mul_f64 v[50:51], v[148:149], v[98:99]
	s_waitcnt lgkmcnt(0)
	v_mul_f64 v[52:53], v[154:155], v[98:99]
	v_mul_f64 v[54:55], v[152:153], v[98:99]
	v_add_f64 v[86:87], v[86:87], -v[146:147]
	v_fma_f64 v[48:49], v[148:149], v[144:145], -v[48:49]
	v_fma_f64 v[50:51], v[150:151], v[144:145], v[50:51]
	v_fma_f64 v[52:53], v[152:153], v[144:145], -v[52:53]
	v_fma_f64 v[54:55], v[154:155], v[144:145], v[54:55]
	ds_load_2addr_b64 v[148:151], v176 offset0:34 offset1:35
	ds_load_2addr_b64 v[152:155], v176 offset0:36 offset1:37
	s_waitcnt lgkmcnt(1)
	v_mul_f64 v[104:105], v[150:151], v[98:99]
	v_mul_f64 v[106:107], v[148:149], v[98:99]
	s_waitcnt lgkmcnt(0)
	v_mul_f64 v[124:125], v[154:155], v[98:99]
	v_mul_f64 v[126:127], v[152:153], v[98:99]
	v_add_f64 v[80:81], v[80:81], -v[48:49]
	v_add_f64 v[82:83], v[82:83], -v[50:51]
	;; [unrolled: 1-line block ×4, first 2 shown]
	v_fma_f64 v[104:105], v[148:149], v[144:145], -v[104:105]
	v_fma_f64 v[106:107], v[150:151], v[144:145], v[106:107]
	v_fma_f64 v[124:125], v[152:153], v[144:145], -v[124:125]
	v_fma_f64 v[126:127], v[154:155], v[144:145], v[126:127]
	ds_load_2addr_b64 v[148:151], v176 offset0:38 offset1:39
	ds_load_2addr_b64 v[152:155], v176 offset0:40 offset1:41
	s_waitcnt lgkmcnt(1)
	v_mul_f64 v[128:129], v[150:151], v[98:99]
	v_mul_f64 v[130:131], v[148:149], v[98:99]
	s_waitcnt lgkmcnt(0)
	v_mul_f64 v[140:141], v[154:155], v[98:99]
	v_mul_f64 v[142:143], v[152:153], v[98:99]
	v_add_f64 v[72:73], v[72:73], -v[104:105]
	v_add_f64 v[74:75], v[74:75], -v[106:107]
	;; [unrolled: 1-line block ×4, first 2 shown]
	v_fma_f64 v[128:129], v[148:149], v[144:145], -v[128:129]
	v_fma_f64 v[130:131], v[150:151], v[144:145], v[130:131]
	v_fma_f64 v[140:141], v[152:153], v[144:145], -v[140:141]
	v_fma_f64 v[142:143], v[154:155], v[144:145], v[142:143]
	ds_load_2addr_b64 v[148:151], v176 offset0:42 offset1:43
	ds_load_2addr_b64 v[152:155], v176 offset0:44 offset1:45
	s_waitcnt lgkmcnt(1)
	v_mul_f64 v[156:157], v[150:151], v[98:99]
	v_add_f64 v[64:65], v[64:65], -v[128:129]
	v_add_f64 v[66:67], v[66:67], -v[130:131]
	;; [unrolled: 1-line block ×4, first 2 shown]
	v_fma_f64 v[156:157], v[148:149], v[144:145], -v[156:157]
	v_mul_f64 v[148:149], v[148:149], v[98:99]
	s_delay_alu instid0(VALU_DEP_2) | instskip(NEXT) | instid1(VALU_DEP_2)
	v_add_f64 v[56:57], v[56:57], -v[156:157]
	v_fma_f64 v[158:159], v[150:151], v[144:145], v[148:149]
	s_waitcnt lgkmcnt(0)
	v_mul_f64 v[148:149], v[154:155], v[98:99]
	s_delay_alu instid0(VALU_DEP_2) | instskip(NEXT) | instid1(VALU_DEP_2)
	v_add_f64 v[58:59], v[58:59], -v[158:159]
	v_fma_f64 v[160:161], v[152:153], v[144:145], -v[148:149]
	v_mul_f64 v[148:149], v[152:153], v[98:99]
	s_delay_alu instid0(VALU_DEP_2) | instskip(NEXT) | instid1(VALU_DEP_2)
	v_add_f64 v[44:45], v[44:45], -v[160:161]
	v_fma_f64 v[162:163], v[154:155], v[144:145], v[148:149]
	ds_load_2addr_b64 v[148:151], v176 offset0:46 offset1:47
	ds_load_2addr_b64 v[152:155], v176 offset0:48 offset1:49
	s_waitcnt lgkmcnt(1)
	v_mul_f64 v[164:165], v[150:151], v[98:99]
	v_add_f64 v[46:47], v[46:47], -v[162:163]
	s_delay_alu instid0(VALU_DEP_2) | instskip(SKIP_1) | instid1(VALU_DEP_2)
	v_fma_f64 v[164:165], v[148:149], v[144:145], -v[164:165]
	v_mul_f64 v[148:149], v[148:149], v[98:99]
	v_add_f64 v[40:41], v[40:41], -v[164:165]
	s_delay_alu instid0(VALU_DEP_2) | instskip(SKIP_2) | instid1(VALU_DEP_2)
	v_fma_f64 v[166:167], v[150:151], v[144:145], v[148:149]
	s_waitcnt lgkmcnt(0)
	v_mul_f64 v[148:149], v[154:155], v[98:99]
	v_add_f64 v[42:43], v[42:43], -v[166:167]
	s_delay_alu instid0(VALU_DEP_2) | instskip(SKIP_1) | instid1(VALU_DEP_2)
	v_fma_f64 v[168:169], v[152:153], v[144:145], -v[148:149]
	v_mul_f64 v[148:149], v[152:153], v[98:99]
	v_add_f64 v[36:37], v[36:37], -v[168:169]
	s_delay_alu instid0(VALU_DEP_2)
	v_fma_f64 v[170:171], v[154:155], v[144:145], v[148:149]
	ds_load_2addr_b64 v[148:151], v176 offset0:50 offset1:51
	ds_load_2addr_b64 v[152:155], v176 offset0:52 offset1:53
	s_waitcnt lgkmcnt(1)
	v_mul_f64 v[179:180], v[150:151], v[98:99]
	v_add_f64 v[38:39], v[38:39], -v[170:171]
	s_delay_alu instid0(VALU_DEP_2) | instskip(SKIP_1) | instid1(VALU_DEP_2)
	v_fma_f64 v[179:180], v[148:149], v[144:145], -v[179:180]
	v_mul_f64 v[148:149], v[148:149], v[98:99]
	v_add_f64 v[32:33], v[32:33], -v[179:180]
	s_delay_alu instid0(VALU_DEP_2) | instskip(SKIP_2) | instid1(VALU_DEP_2)
	v_fma_f64 v[181:182], v[150:151], v[144:145], v[148:149]
	s_waitcnt lgkmcnt(0)
	v_mul_f64 v[148:149], v[154:155], v[98:99]
	v_add_f64 v[34:35], v[34:35], -v[181:182]
	s_delay_alu instid0(VALU_DEP_2) | instskip(SKIP_1) | instid1(VALU_DEP_2)
	v_fma_f64 v[183:184], v[152:153], v[144:145], -v[148:149]
	v_mul_f64 v[148:149], v[152:153], v[98:99]
	v_add_f64 v[28:29], v[28:29], -v[183:184]
	s_delay_alu instid0(VALU_DEP_2)
	v_fma_f64 v[185:186], v[154:155], v[144:145], v[148:149]
	ds_load_2addr_b64 v[148:151], v176 offset0:54 offset1:55
	ds_load_2addr_b64 v[152:155], v176 offset0:56 offset1:57
	s_waitcnt lgkmcnt(1)
	v_mul_f64 v[187:188], v[150:151], v[98:99]
	v_add_f64 v[30:31], v[30:31], -v[185:186]
	s_delay_alu instid0(VALU_DEP_2) | instskip(SKIP_1) | instid1(VALU_DEP_2)
	v_fma_f64 v[187:188], v[148:149], v[144:145], -v[187:188]
	v_mul_f64 v[148:149], v[148:149], v[98:99]
	v_add_f64 v[24:25], v[24:25], -v[187:188]
	s_delay_alu instid0(VALU_DEP_2) | instskip(SKIP_2) | instid1(VALU_DEP_2)
	v_fma_f64 v[189:190], v[150:151], v[144:145], v[148:149]
	s_waitcnt lgkmcnt(0)
	v_mul_f64 v[148:149], v[154:155], v[98:99]
	v_add_f64 v[26:27], v[26:27], -v[189:190]
	s_delay_alu instid0(VALU_DEP_2) | instskip(SKIP_1) | instid1(VALU_DEP_2)
	v_fma_f64 v[191:192], v[152:153], v[144:145], -v[148:149]
	v_mul_f64 v[148:149], v[152:153], v[98:99]
	v_add_f64 v[20:21], v[20:21], -v[191:192]
	s_delay_alu instid0(VALU_DEP_2)
	v_fma_f64 v[193:194], v[154:155], v[144:145], v[148:149]
	ds_load_2addr_b64 v[148:151], v176 offset0:58 offset1:59
	ds_load_2addr_b64 v[152:155], v176 offset0:60 offset1:61
	s_waitcnt lgkmcnt(1)
	v_mul_f64 v[195:196], v[150:151], v[98:99]
	v_add_f64 v[22:23], v[22:23], -v[193:194]
	s_delay_alu instid0(VALU_DEP_2) | instskip(SKIP_1) | instid1(VALU_DEP_2)
	v_fma_f64 v[195:196], v[148:149], v[144:145], -v[195:196]
	v_mul_f64 v[148:149], v[148:149], v[98:99]
	v_add_f64 v[16:17], v[16:17], -v[195:196]
	s_delay_alu instid0(VALU_DEP_2) | instskip(SKIP_2) | instid1(VALU_DEP_2)
	v_fma_f64 v[197:198], v[150:151], v[144:145], v[148:149]
	s_waitcnt lgkmcnt(0)
	v_mul_f64 v[148:149], v[154:155], v[98:99]
	v_add_f64 v[18:19], v[18:19], -v[197:198]
	s_delay_alu instid0(VALU_DEP_2) | instskip(SKIP_1) | instid1(VALU_DEP_2)
	v_fma_f64 v[199:200], v[152:153], v[144:145], -v[148:149]
	v_mul_f64 v[148:149], v[152:153], v[98:99]
	v_add_f64 v[12:13], v[12:13], -v[199:200]
	s_delay_alu instid0(VALU_DEP_2)
	v_fma_f64 v[201:202], v[154:155], v[144:145], v[148:149]
	ds_load_2addr_b64 v[148:151], v176 offset0:62 offset1:63
	ds_load_2addr_b64 v[152:155], v176 offset0:64 offset1:65
	s_waitcnt lgkmcnt(1)
	v_mul_f64 v[203:204], v[150:151], v[98:99]
	v_add_f64 v[14:15], v[14:15], -v[201:202]
	s_delay_alu instid0(VALU_DEP_2) | instskip(SKIP_1) | instid1(VALU_DEP_2)
	v_fma_f64 v[203:204], v[148:149], v[144:145], -v[203:204]
	v_mul_f64 v[148:149], v[148:149], v[98:99]
	v_add_f64 v[8:9], v[8:9], -v[203:204]
	s_delay_alu instid0(VALU_DEP_2) | instskip(SKIP_2) | instid1(VALU_DEP_2)
	v_fma_f64 v[205:206], v[150:151], v[144:145], v[148:149]
	s_waitcnt lgkmcnt(0)
	v_mul_f64 v[148:149], v[154:155], v[98:99]
	v_add_f64 v[10:11], v[10:11], -v[205:206]
	s_delay_alu instid0(VALU_DEP_2) | instskip(SKIP_1) | instid1(VALU_DEP_2)
	v_fma_f64 v[207:208], v[152:153], v[144:145], -v[148:149]
	v_mul_f64 v[148:149], v[152:153], v[98:99]
	v_add_f64 v[4:5], v[4:5], -v[207:208]
	s_delay_alu instid0(VALU_DEP_2) | instskip(SKIP_4) | instid1(VALU_DEP_2)
	v_fma_f64 v[152:153], v[154:155], v[144:145], v[148:149]
	ds_load_2addr_b64 v[148:151], v176 offset0:66 offset1:67
	s_waitcnt lgkmcnt(0)
	v_mul_f64 v[154:155], v[150:151], v[98:99]
	v_add_f64 v[6:7], v[6:7], -v[152:153]
	v_fma_f64 v[154:155], v[148:149], v[144:145], -v[154:155]
	v_mul_f64 v[148:149], v[148:149], v[98:99]
	s_delay_alu instid0(VALU_DEP_2) | instskip(NEXT) | instid1(VALU_DEP_2)
	v_add_f64 v[243:244], v[243:244], -v[154:155]
	v_fma_f64 v[148:149], v[150:151], v[144:145], v[148:149]
	s_delay_alu instid0(VALU_DEP_1)
	v_add_f64 v[245:246], v[245:246], -v[148:149]
.LBB66_272:
	s_or_b32 exec_lo, exec_lo, s2
	v_lshl_add_u32 v48, v178, 4, v176
	s_barrier
	buffer_gl0_inv
	v_mov_b32_e32 v144, 13
	ds_store_2addr_b64 v48, v[92:93], v[94:95] offset1:1
	s_waitcnt lgkmcnt(0)
	s_barrier
	buffer_gl0_inv
	ds_load_2addr_b64 v[136:139], v176 offset0:26 offset1:27
	s_cmp_lt_i32 s5, 15
	s_cbranch_scc1 .LBB66_275
; %bb.273:
	v_add3_u32 v145, v174, 0, 0xe0
	v_mov_b32_e32 v144, 13
	s_mov_b32 s6, 14
	s_set_inst_prefetch_distance 0x1
	.p2align	6
.LBB66_274:                             ; =>This Inner Loop Header: Depth=1
	ds_load_2addr_b64 v[146:149], v145 offset1:1
	s_waitcnt lgkmcnt(1)
	v_cmp_gt_f64_e32 vcc_lo, 0, v[136:137]
	v_xor_b32_e32 v48, 0x80000000, v137
	v_cmp_gt_f64_e64 s2, 0, v[138:139]
	v_xor_b32_e32 v50, 0x80000000, v139
	v_add_nc_u32_e32 v145, 16, v145
	s_waitcnt lgkmcnt(0)
	v_cmp_gt_f64_e64 s3, 0, v[146:147]
	v_mov_b32_e32 v52, v146
	v_dual_mov_b32 v54, v148 :: v_dual_cndmask_b32 v49, v137, v48
	v_xor_b32_e32 v48, 0x80000000, v147
	v_cndmask_b32_e64 v51, v139, v50, s2
	v_xor_b32_e32 v50, 0x80000000, v149
	s_delay_alu instid0(VALU_DEP_3) | instskip(SKIP_2) | instid1(VALU_DEP_2)
	v_cndmask_b32_e64 v53, v147, v48, s3
	v_cmp_gt_f64_e64 s3, 0, v[148:149]
	v_cndmask_b32_e32 v48, v136, v136, vcc_lo
	v_cndmask_b32_e64 v55, v149, v50, s3
	v_cndmask_b32_e64 v50, v138, v138, s2
	s_delay_alu instid0(VALU_DEP_2) | instskip(NEXT) | instid1(VALU_DEP_2)
	v_add_f64 v[52:53], v[52:53], v[54:55]
	v_add_f64 v[48:49], v[48:49], v[50:51]
	s_delay_alu instid0(VALU_DEP_1)
	v_cmp_lt_f64_e32 vcc_lo, v[48:49], v[52:53]
	v_cndmask_b32_e32 v139, v139, v149, vcc_lo
	v_dual_cndmask_b32 v137, v137, v147 :: v_dual_cndmask_b32 v136, v136, v146
	v_cndmask_b32_e32 v138, v138, v148, vcc_lo
	v_cndmask_b32_e64 v144, v144, s6, vcc_lo
	s_add_i32 s6, s6, 1
	s_delay_alu instid0(SALU_CYCLE_1)
	s_cmp_lg_u32 s5, s6
	s_cbranch_scc1 .LBB66_274
.LBB66_275:
	s_set_inst_prefetch_distance 0x2
	s_waitcnt lgkmcnt(0)
	v_cmp_eq_f64_e32 vcc_lo, 0, v[136:137]
	v_cmp_eq_f64_e64 s2, 0, v[138:139]
	s_delay_alu instid0(VALU_DEP_1) | instskip(NEXT) | instid1(SALU_CYCLE_1)
	s_and_b32 s2, vcc_lo, s2
	s_and_saveexec_b32 s3, s2
	s_delay_alu instid0(SALU_CYCLE_1)
	s_xor_b32 s2, exec_lo, s3
; %bb.276:
	v_cmp_ne_u32_e32 vcc_lo, 0, v255
	v_cndmask_b32_e32 v255, 14, v255, vcc_lo
; %bb.277:
	s_and_not1_saveexec_b32 s3, s2
	s_cbranch_execz .LBB66_283
; %bb.278:
	v_cmp_gt_f64_e32 vcc_lo, 0, v[136:137]
	v_cmp_gt_f64_e64 s2, 0, v[138:139]
	v_xor_b32_e32 v48, 0x80000000, v137
	v_xor_b32_e32 v50, 0x80000000, v139
	s_delay_alu instid0(VALU_DEP_2) | instskip(NEXT) | instid1(VALU_DEP_2)
	v_cndmask_b32_e32 v49, v137, v48, vcc_lo
	v_cndmask_b32_e64 v51, v139, v50, s2
	v_cndmask_b32_e32 v48, v136, v136, vcc_lo
	v_cndmask_b32_e64 v50, v138, v138, s2
	s_mov_b32 s2, exec_lo
	s_delay_alu instid0(VALU_DEP_1)
	v_cmpx_ngt_f64_e32 v[48:49], v[50:51]
	s_xor_b32 s2, exec_lo, s2
	s_cbranch_execz .LBB66_280
; %bb.279:
	v_div_scale_f64 v[48:49], null, v[138:139], v[138:139], v[136:137]
	v_div_scale_f64 v[54:55], vcc_lo, v[136:137], v[138:139], v[136:137]
	s_delay_alu instid0(VALU_DEP_2) | instskip(SKIP_2) | instid1(VALU_DEP_1)
	v_rcp_f64_e32 v[50:51], v[48:49]
	s_waitcnt_depctr 0xfff
	v_fma_f64 v[52:53], -v[48:49], v[50:51], 1.0
	v_fma_f64 v[50:51], v[50:51], v[52:53], v[50:51]
	s_delay_alu instid0(VALU_DEP_1) | instskip(NEXT) | instid1(VALU_DEP_1)
	v_fma_f64 v[52:53], -v[48:49], v[50:51], 1.0
	v_fma_f64 v[50:51], v[50:51], v[52:53], v[50:51]
	s_delay_alu instid0(VALU_DEP_1) | instskip(NEXT) | instid1(VALU_DEP_1)
	v_mul_f64 v[52:53], v[54:55], v[50:51]
	v_fma_f64 v[48:49], -v[48:49], v[52:53], v[54:55]
	s_delay_alu instid0(VALU_DEP_1) | instskip(NEXT) | instid1(VALU_DEP_1)
	v_div_fmas_f64 v[48:49], v[48:49], v[50:51], v[52:53]
	v_div_fixup_f64 v[48:49], v[48:49], v[138:139], v[136:137]
	s_delay_alu instid0(VALU_DEP_1) | instskip(NEXT) | instid1(VALU_DEP_1)
	v_fma_f64 v[50:51], v[136:137], v[48:49], v[138:139]
	v_div_scale_f64 v[52:53], null, v[50:51], v[50:51], 1.0
	s_delay_alu instid0(VALU_DEP_1) | instskip(SKIP_2) | instid1(VALU_DEP_1)
	v_rcp_f64_e32 v[54:55], v[52:53]
	s_waitcnt_depctr 0xfff
	v_fma_f64 v[104:105], -v[52:53], v[54:55], 1.0
	v_fma_f64 v[54:55], v[54:55], v[104:105], v[54:55]
	s_delay_alu instid0(VALU_DEP_1) | instskip(NEXT) | instid1(VALU_DEP_1)
	v_fma_f64 v[104:105], -v[52:53], v[54:55], 1.0
	v_fma_f64 v[54:55], v[54:55], v[104:105], v[54:55]
	v_div_scale_f64 v[104:105], vcc_lo, 1.0, v[50:51], 1.0
	s_delay_alu instid0(VALU_DEP_1) | instskip(NEXT) | instid1(VALU_DEP_1)
	v_mul_f64 v[106:107], v[104:105], v[54:55]
	v_fma_f64 v[52:53], -v[52:53], v[106:107], v[104:105]
	s_delay_alu instid0(VALU_DEP_1) | instskip(NEXT) | instid1(VALU_DEP_1)
	v_div_fmas_f64 v[52:53], v[52:53], v[54:55], v[106:107]
	v_div_fixup_f64 v[138:139], v[52:53], v[50:51], 1.0
	s_delay_alu instid0(VALU_DEP_1)
	v_mul_f64 v[136:137], v[48:49], v[138:139]
	v_xor_b32_e32 v139, 0x80000000, v139
.LBB66_280:
	s_and_not1_saveexec_b32 s2, s2
	s_cbranch_execz .LBB66_282
; %bb.281:
	s_delay_alu instid0(VALU_DEP_1) | instskip(SKIP_1) | instid1(VALU_DEP_2)
	v_div_scale_f64 v[48:49], null, v[136:137], v[136:137], v[138:139]
	v_div_scale_f64 v[54:55], vcc_lo, v[138:139], v[136:137], v[138:139]
	v_rcp_f64_e32 v[50:51], v[48:49]
	s_waitcnt_depctr 0xfff
	v_fma_f64 v[52:53], -v[48:49], v[50:51], 1.0
	s_delay_alu instid0(VALU_DEP_1) | instskip(NEXT) | instid1(VALU_DEP_1)
	v_fma_f64 v[50:51], v[50:51], v[52:53], v[50:51]
	v_fma_f64 v[52:53], -v[48:49], v[50:51], 1.0
	s_delay_alu instid0(VALU_DEP_1) | instskip(NEXT) | instid1(VALU_DEP_1)
	v_fma_f64 v[50:51], v[50:51], v[52:53], v[50:51]
	v_mul_f64 v[52:53], v[54:55], v[50:51]
	s_delay_alu instid0(VALU_DEP_1) | instskip(NEXT) | instid1(VALU_DEP_1)
	v_fma_f64 v[48:49], -v[48:49], v[52:53], v[54:55]
	v_div_fmas_f64 v[48:49], v[48:49], v[50:51], v[52:53]
	s_delay_alu instid0(VALU_DEP_1) | instskip(NEXT) | instid1(VALU_DEP_1)
	v_div_fixup_f64 v[48:49], v[48:49], v[136:137], v[138:139]
	v_fma_f64 v[50:51], v[138:139], v[48:49], v[136:137]
	s_delay_alu instid0(VALU_DEP_1) | instskip(NEXT) | instid1(VALU_DEP_1)
	v_div_scale_f64 v[52:53], null, v[50:51], v[50:51], 1.0
	v_rcp_f64_e32 v[54:55], v[52:53]
	s_waitcnt_depctr 0xfff
	v_fma_f64 v[104:105], -v[52:53], v[54:55], 1.0
	s_delay_alu instid0(VALU_DEP_1) | instskip(NEXT) | instid1(VALU_DEP_1)
	v_fma_f64 v[54:55], v[54:55], v[104:105], v[54:55]
	v_fma_f64 v[104:105], -v[52:53], v[54:55], 1.0
	s_delay_alu instid0(VALU_DEP_1) | instskip(SKIP_1) | instid1(VALU_DEP_1)
	v_fma_f64 v[54:55], v[54:55], v[104:105], v[54:55]
	v_div_scale_f64 v[104:105], vcc_lo, 1.0, v[50:51], 1.0
	v_mul_f64 v[106:107], v[104:105], v[54:55]
	s_delay_alu instid0(VALU_DEP_1) | instskip(NEXT) | instid1(VALU_DEP_1)
	v_fma_f64 v[52:53], -v[52:53], v[106:107], v[104:105]
	v_div_fmas_f64 v[52:53], v[52:53], v[54:55], v[106:107]
	s_delay_alu instid0(VALU_DEP_1) | instskip(NEXT) | instid1(VALU_DEP_1)
	v_div_fixup_f64 v[136:137], v[52:53], v[50:51], 1.0
	v_mul_f64 v[138:139], v[48:49], -v[136:137]
.LBB66_282:
	s_or_b32 exec_lo, exec_lo, s2
.LBB66_283:
	s_delay_alu instid0(SALU_CYCLE_1) | instskip(NEXT) | instid1(SALU_CYCLE_1)
	s_or_b32 exec_lo, exec_lo, s3
	s_mov_b32 s2, exec_lo
	v_cmpx_ne_u32_e64 v178, v144
	s_xor_b32 s2, exec_lo, s2
	s_cbranch_execz .LBB66_289
; %bb.284:
	s_mov_b32 s3, exec_lo
	v_cmpx_eq_u32_e32 13, v178
	s_cbranch_execz .LBB66_288
; %bb.285:
	v_cmp_ne_u32_e32 vcc_lo, 13, v144
	s_xor_b32 s6, s4, -1
	s_delay_alu instid0(SALU_CYCLE_1) | instskip(NEXT) | instid1(SALU_CYCLE_1)
	s_and_b32 s7, s6, vcc_lo
	s_and_saveexec_b32 s6, s7
	s_cbranch_execz .LBB66_287
; %bb.286:
	scratch_load_b64 v[52:53], off, off offset:32 ; 8-byte Folded Reload
	v_ashrrev_i32_e32 v145, 31, v144
	s_delay_alu instid0(VALU_DEP_1) | instskip(SKIP_1) | instid1(VALU_DEP_1)
	v_lshlrev_b64 v[48:49], 2, v[144:145]
	s_waitcnt vmcnt(0)
	v_add_co_u32 v48, vcc_lo, v52, v48
	s_delay_alu instid0(VALU_DEP_2)
	v_add_co_ci_u32_e32 v49, vcc_lo, v53, v49, vcc_lo
	s_clause 0x1
	flat_load_b32 v50, v[48:49]
	flat_load_b32 v51, v[52:53] offset:52
	s_waitcnt vmcnt(1) lgkmcnt(1)
	flat_store_b32 v[52:53], v50 offset:52
	s_waitcnt vmcnt(0) lgkmcnt(1)
	flat_store_b32 v[48:49], v51
.LBB66_287:
	s_or_b32 exec_lo, exec_lo, s6
	v_mov_b32_e32 v178, v144
	v_mov_b32_e32 v172, v144
.LBB66_288:
	s_or_b32 exec_lo, exec_lo, s3
.LBB66_289:
	s_and_not1_saveexec_b32 s2, s2
	s_cbranch_execz .LBB66_291
; %bb.290:
	v_mov_b32_e32 v178, 13
	ds_store_2addr_b64 v176, v[84:85], v[86:87] offset0:28 offset1:29
	ds_store_2addr_b64 v176, v[80:81], v[82:83] offset0:30 offset1:31
	ds_store_2addr_b64 v176, v[76:77], v[78:79] offset0:32 offset1:33
	ds_store_2addr_b64 v176, v[72:73], v[74:75] offset0:34 offset1:35
	ds_store_2addr_b64 v176, v[68:69], v[70:71] offset0:36 offset1:37
	ds_store_2addr_b64 v176, v[64:65], v[66:67] offset0:38 offset1:39
	ds_store_2addr_b64 v176, v[60:61], v[62:63] offset0:40 offset1:41
	ds_store_2addr_b64 v176, v[56:57], v[58:59] offset0:42 offset1:43
	ds_store_2addr_b64 v176, v[44:45], v[46:47] offset0:44 offset1:45
	ds_store_2addr_b64 v176, v[40:41], v[42:43] offset0:46 offset1:47
	ds_store_2addr_b64 v176, v[36:37], v[38:39] offset0:48 offset1:49
	ds_store_2addr_b64 v176, v[32:33], v[34:35] offset0:50 offset1:51
	ds_store_2addr_b64 v176, v[28:29], v[30:31] offset0:52 offset1:53
	ds_store_2addr_b64 v176, v[24:25], v[26:27] offset0:54 offset1:55
	ds_store_2addr_b64 v176, v[20:21], v[22:23] offset0:56 offset1:57
	ds_store_2addr_b64 v176, v[16:17], v[18:19] offset0:58 offset1:59
	ds_store_2addr_b64 v176, v[12:13], v[14:15] offset0:60 offset1:61
	ds_store_2addr_b64 v176, v[8:9], v[10:11] offset0:62 offset1:63
	ds_store_2addr_b64 v176, v[4:5], v[6:7] offset0:64 offset1:65
	ds_store_2addr_b64 v176, v[243:244], v[245:246] offset0:66 offset1:67
.LBB66_291:
	s_or_b32 exec_lo, exec_lo, s2
	s_delay_alu instid0(SALU_CYCLE_1)
	s_mov_b32 s2, exec_lo
	s_waitcnt lgkmcnt(0)
	s_waitcnt_vscnt null, 0x0
	s_barrier
	buffer_gl0_inv
	v_cmpx_lt_i32_e32 13, v178
	s_cbranch_execz .LBB66_293
; %bb.292:
	v_mul_f64 v[48:49], v[138:139], v[94:95]
	s_delay_alu instid0(VALU_DEP_1) | instskip(SKIP_1) | instid1(VALU_DEP_1)
	v_fma_f64 v[144:145], v[136:137], v[92:93], -v[48:49]
	v_mul_f64 v[48:49], v[136:137], v[94:95]
	v_fma_f64 v[94:95], v[138:139], v[92:93], v[48:49]
	ds_load_2addr_b64 v[136:139], v176 offset0:28 offset1:29
	ds_load_2addr_b64 v[146:149], v176 offset0:30 offset1:31
	s_waitcnt lgkmcnt(1)
	v_mul_f64 v[48:49], v[138:139], v[94:95]
	v_mul_f64 v[50:51], v[136:137], v[94:95]
	s_waitcnt lgkmcnt(0)
	v_mul_f64 v[52:53], v[148:149], v[94:95]
	v_mul_f64 v[54:55], v[146:147], v[94:95]
	s_delay_alu instid0(VALU_DEP_4) | instskip(NEXT) | instid1(VALU_DEP_4)
	v_fma_f64 v[48:49], v[136:137], v[144:145], -v[48:49]
	v_fma_f64 v[50:51], v[138:139], v[144:145], v[50:51]
	s_delay_alu instid0(VALU_DEP_4) | instskip(NEXT) | instid1(VALU_DEP_4)
	v_fma_f64 v[52:53], v[146:147], v[144:145], -v[52:53]
	v_fma_f64 v[54:55], v[148:149], v[144:145], v[54:55]
	ds_load_2addr_b64 v[136:139], v176 offset0:32 offset1:33
	ds_load_2addr_b64 v[146:149], v176 offset0:34 offset1:35
	s_waitcnt lgkmcnt(1)
	v_mul_f64 v[92:93], v[138:139], v[94:95]
	v_mul_f64 v[104:105], v[136:137], v[94:95]
	s_waitcnt lgkmcnt(0)
	v_mul_f64 v[106:107], v[148:149], v[94:95]
	v_mul_f64 v[124:125], v[146:147], v[94:95]
	v_add_f64 v[84:85], v[84:85], -v[48:49]
	v_add_f64 v[86:87], v[86:87], -v[50:51]
	;; [unrolled: 1-line block ×4, first 2 shown]
	v_fma_f64 v[92:93], v[136:137], v[144:145], -v[92:93]
	v_fma_f64 v[104:105], v[138:139], v[144:145], v[104:105]
	v_fma_f64 v[106:107], v[146:147], v[144:145], -v[106:107]
	v_fma_f64 v[124:125], v[148:149], v[144:145], v[124:125]
	ds_load_2addr_b64 v[136:139], v176 offset0:36 offset1:37
	ds_load_2addr_b64 v[146:149], v176 offset0:38 offset1:39
	s_waitcnt lgkmcnt(1)
	v_mul_f64 v[126:127], v[138:139], v[94:95]
	v_mul_f64 v[128:129], v[136:137], v[94:95]
	s_waitcnt lgkmcnt(0)
	v_mul_f64 v[130:131], v[148:149], v[94:95]
	v_add_f64 v[76:77], v[76:77], -v[92:93]
	v_add_f64 v[78:79], v[78:79], -v[104:105]
	;; [unrolled: 1-line block ×4, first 2 shown]
	v_dual_mov_b32 v92, v144 :: v_dual_mov_b32 v93, v145
	v_fma_f64 v[126:127], v[136:137], v[144:145], -v[126:127]
	v_mul_f64 v[136:137], v[146:147], v[94:95]
	v_fma_f64 v[128:129], v[138:139], v[144:145], v[128:129]
	v_fma_f64 v[130:131], v[146:147], v[144:145], -v[130:131]
	s_delay_alu instid0(VALU_DEP_4) | instskip(NEXT) | instid1(VALU_DEP_4)
	v_add_f64 v[68:69], v[68:69], -v[126:127]
	v_fma_f64 v[140:141], v[148:149], v[144:145], v[136:137]
	ds_load_2addr_b64 v[136:139], v176 offset0:40 offset1:41
	ds_load_2addr_b64 v[146:149], v176 offset0:42 offset1:43
	v_add_f64 v[70:71], v[70:71], -v[128:129]
	v_add_f64 v[64:65], v[64:65], -v[130:131]
	s_waitcnt lgkmcnt(1)
	v_mul_f64 v[142:143], v[138:139], v[94:95]
	v_add_f64 v[66:67], v[66:67], -v[140:141]
	s_delay_alu instid0(VALU_DEP_2) | instskip(SKIP_1) | instid1(VALU_DEP_2)
	v_fma_f64 v[142:143], v[136:137], v[144:145], -v[142:143]
	v_mul_f64 v[136:137], v[136:137], v[94:95]
	v_add_f64 v[60:61], v[60:61], -v[142:143]
	s_delay_alu instid0(VALU_DEP_2) | instskip(SKIP_2) | instid1(VALU_DEP_2)
	v_fma_f64 v[150:151], v[138:139], v[144:145], v[136:137]
	s_waitcnt lgkmcnt(0)
	v_mul_f64 v[136:137], v[148:149], v[94:95]
	v_add_f64 v[62:63], v[62:63], -v[150:151]
	s_delay_alu instid0(VALU_DEP_2) | instskip(SKIP_1) | instid1(VALU_DEP_2)
	v_fma_f64 v[152:153], v[146:147], v[144:145], -v[136:137]
	v_mul_f64 v[136:137], v[146:147], v[94:95]
	v_add_f64 v[56:57], v[56:57], -v[152:153]
	s_delay_alu instid0(VALU_DEP_2)
	v_fma_f64 v[154:155], v[148:149], v[144:145], v[136:137]
	ds_load_2addr_b64 v[136:139], v176 offset0:44 offset1:45
	ds_load_2addr_b64 v[146:149], v176 offset0:46 offset1:47
	s_waitcnt lgkmcnt(1)
	v_mul_f64 v[156:157], v[138:139], v[94:95]
	v_add_f64 v[58:59], v[58:59], -v[154:155]
	s_delay_alu instid0(VALU_DEP_2) | instskip(SKIP_1) | instid1(VALU_DEP_2)
	v_fma_f64 v[156:157], v[136:137], v[144:145], -v[156:157]
	v_mul_f64 v[136:137], v[136:137], v[94:95]
	v_add_f64 v[44:45], v[44:45], -v[156:157]
	s_delay_alu instid0(VALU_DEP_2) | instskip(SKIP_2) | instid1(VALU_DEP_2)
	v_fma_f64 v[158:159], v[138:139], v[144:145], v[136:137]
	s_waitcnt lgkmcnt(0)
	v_mul_f64 v[136:137], v[148:149], v[94:95]
	v_add_f64 v[46:47], v[46:47], -v[158:159]
	s_delay_alu instid0(VALU_DEP_2) | instskip(SKIP_1) | instid1(VALU_DEP_2)
	v_fma_f64 v[160:161], v[146:147], v[144:145], -v[136:137]
	v_mul_f64 v[136:137], v[146:147], v[94:95]
	v_add_f64 v[40:41], v[40:41], -v[160:161]
	s_delay_alu instid0(VALU_DEP_2)
	v_fma_f64 v[162:163], v[148:149], v[144:145], v[136:137]
	ds_load_2addr_b64 v[136:139], v176 offset0:48 offset1:49
	ds_load_2addr_b64 v[146:149], v176 offset0:50 offset1:51
	;; [unrolled: 20-line block ×6, first 2 shown]
	s_waitcnt lgkmcnt(1)
	v_mul_f64 v[203:204], v[138:139], v[94:95]
	v_add_f64 v[10:11], v[10:11], -v[201:202]
	s_delay_alu instid0(VALU_DEP_2) | instskip(SKIP_1) | instid1(VALU_DEP_2)
	v_fma_f64 v[203:204], v[136:137], v[144:145], -v[203:204]
	v_mul_f64 v[136:137], v[136:137], v[94:95]
	v_add_f64 v[4:5], v[4:5], -v[203:204]
	s_delay_alu instid0(VALU_DEP_2) | instskip(SKIP_2) | instid1(VALU_DEP_2)
	v_fma_f64 v[136:137], v[138:139], v[144:145], v[136:137]
	s_waitcnt lgkmcnt(0)
	v_mul_f64 v[138:139], v[148:149], v[94:95]
	v_add_f64 v[6:7], v[6:7], -v[136:137]
	s_delay_alu instid0(VALU_DEP_2) | instskip(SKIP_1) | instid1(VALU_DEP_2)
	v_fma_f64 v[138:139], v[146:147], v[144:145], -v[138:139]
	v_mul_f64 v[146:147], v[146:147], v[94:95]
	v_add_f64 v[243:244], v[243:244], -v[138:139]
	s_delay_alu instid0(VALU_DEP_2) | instskip(NEXT) | instid1(VALU_DEP_1)
	v_fma_f64 v[146:147], v[148:149], v[144:145], v[146:147]
	v_add_f64 v[245:246], v[245:246], -v[146:147]
.LBB66_293:
	s_or_b32 exec_lo, exec_lo, s2
	v_lshl_add_u32 v48, v178, 4, v176
	s_barrier
	buffer_gl0_inv
	v_mov_b32_e32 v144, 14
	ds_store_2addr_b64 v48, v[84:85], v[86:87] offset1:1
	s_waitcnt lgkmcnt(0)
	s_barrier
	buffer_gl0_inv
	ds_load_2addr_b64 v[136:139], v176 offset0:28 offset1:29
	s_cmp_lt_i32 s5, 16
	s_cbranch_scc1 .LBB66_296
; %bb.294:
	v_add3_u32 v145, v174, 0, 0xf0
	v_mov_b32_e32 v144, 14
	s_mov_b32 s6, 15
	s_set_inst_prefetch_distance 0x1
	.p2align	6
.LBB66_295:                             ; =>This Inner Loop Header: Depth=1
	ds_load_2addr_b64 v[146:149], v145 offset1:1
	s_waitcnt lgkmcnt(1)
	v_cmp_gt_f64_e32 vcc_lo, 0, v[136:137]
	v_xor_b32_e32 v48, 0x80000000, v137
	v_cmp_gt_f64_e64 s2, 0, v[138:139]
	v_xor_b32_e32 v50, 0x80000000, v139
	v_add_nc_u32_e32 v145, 16, v145
	s_waitcnt lgkmcnt(0)
	v_cmp_gt_f64_e64 s3, 0, v[146:147]
	v_mov_b32_e32 v52, v146
	v_dual_mov_b32 v54, v148 :: v_dual_cndmask_b32 v49, v137, v48
	v_xor_b32_e32 v48, 0x80000000, v147
	v_cndmask_b32_e64 v51, v139, v50, s2
	v_xor_b32_e32 v50, 0x80000000, v149
	s_delay_alu instid0(VALU_DEP_3) | instskip(SKIP_2) | instid1(VALU_DEP_2)
	v_cndmask_b32_e64 v53, v147, v48, s3
	v_cmp_gt_f64_e64 s3, 0, v[148:149]
	v_cndmask_b32_e32 v48, v136, v136, vcc_lo
	v_cndmask_b32_e64 v55, v149, v50, s3
	v_cndmask_b32_e64 v50, v138, v138, s2
	s_delay_alu instid0(VALU_DEP_2) | instskip(NEXT) | instid1(VALU_DEP_2)
	v_add_f64 v[52:53], v[52:53], v[54:55]
	v_add_f64 v[48:49], v[48:49], v[50:51]
	s_delay_alu instid0(VALU_DEP_1)
	v_cmp_lt_f64_e32 vcc_lo, v[48:49], v[52:53]
	v_cndmask_b32_e32 v139, v139, v149, vcc_lo
	v_dual_cndmask_b32 v137, v137, v147 :: v_dual_cndmask_b32 v136, v136, v146
	v_cndmask_b32_e32 v138, v138, v148, vcc_lo
	v_cndmask_b32_e64 v144, v144, s6, vcc_lo
	s_add_i32 s6, s6, 1
	s_delay_alu instid0(SALU_CYCLE_1)
	s_cmp_lg_u32 s5, s6
	s_cbranch_scc1 .LBB66_295
.LBB66_296:
	s_set_inst_prefetch_distance 0x2
	s_waitcnt lgkmcnt(0)
	v_cmp_eq_f64_e32 vcc_lo, 0, v[136:137]
	v_cmp_eq_f64_e64 s2, 0, v[138:139]
	s_delay_alu instid0(VALU_DEP_1) | instskip(NEXT) | instid1(SALU_CYCLE_1)
	s_and_b32 s2, vcc_lo, s2
	s_and_saveexec_b32 s3, s2
	s_delay_alu instid0(SALU_CYCLE_1)
	s_xor_b32 s2, exec_lo, s3
; %bb.297:
	v_cmp_ne_u32_e32 vcc_lo, 0, v255
	v_cndmask_b32_e32 v255, 15, v255, vcc_lo
; %bb.298:
	s_and_not1_saveexec_b32 s3, s2
	s_cbranch_execz .LBB66_304
; %bb.299:
	v_cmp_gt_f64_e32 vcc_lo, 0, v[136:137]
	v_cmp_gt_f64_e64 s2, 0, v[138:139]
	v_xor_b32_e32 v48, 0x80000000, v137
	v_xor_b32_e32 v50, 0x80000000, v139
	s_delay_alu instid0(VALU_DEP_2) | instskip(NEXT) | instid1(VALU_DEP_2)
	v_cndmask_b32_e32 v49, v137, v48, vcc_lo
	v_cndmask_b32_e64 v51, v139, v50, s2
	v_cndmask_b32_e32 v48, v136, v136, vcc_lo
	v_cndmask_b32_e64 v50, v138, v138, s2
	s_mov_b32 s2, exec_lo
	s_delay_alu instid0(VALU_DEP_1)
	v_cmpx_ngt_f64_e32 v[48:49], v[50:51]
	s_xor_b32 s2, exec_lo, s2
	s_cbranch_execz .LBB66_301
; %bb.300:
	v_div_scale_f64 v[48:49], null, v[138:139], v[138:139], v[136:137]
	v_div_scale_f64 v[54:55], vcc_lo, v[136:137], v[138:139], v[136:137]
	s_delay_alu instid0(VALU_DEP_2) | instskip(SKIP_2) | instid1(VALU_DEP_1)
	v_rcp_f64_e32 v[50:51], v[48:49]
	s_waitcnt_depctr 0xfff
	v_fma_f64 v[52:53], -v[48:49], v[50:51], 1.0
	v_fma_f64 v[50:51], v[50:51], v[52:53], v[50:51]
	s_delay_alu instid0(VALU_DEP_1) | instskip(NEXT) | instid1(VALU_DEP_1)
	v_fma_f64 v[52:53], -v[48:49], v[50:51], 1.0
	v_fma_f64 v[50:51], v[50:51], v[52:53], v[50:51]
	s_delay_alu instid0(VALU_DEP_1) | instskip(NEXT) | instid1(VALU_DEP_1)
	v_mul_f64 v[52:53], v[54:55], v[50:51]
	v_fma_f64 v[48:49], -v[48:49], v[52:53], v[54:55]
	s_delay_alu instid0(VALU_DEP_1) | instskip(NEXT) | instid1(VALU_DEP_1)
	v_div_fmas_f64 v[48:49], v[48:49], v[50:51], v[52:53]
	v_div_fixup_f64 v[48:49], v[48:49], v[138:139], v[136:137]
	s_delay_alu instid0(VALU_DEP_1) | instskip(NEXT) | instid1(VALU_DEP_1)
	v_fma_f64 v[50:51], v[136:137], v[48:49], v[138:139]
	v_div_scale_f64 v[52:53], null, v[50:51], v[50:51], 1.0
	s_delay_alu instid0(VALU_DEP_1) | instskip(SKIP_2) | instid1(VALU_DEP_1)
	v_rcp_f64_e32 v[54:55], v[52:53]
	s_waitcnt_depctr 0xfff
	v_fma_f64 v[104:105], -v[52:53], v[54:55], 1.0
	v_fma_f64 v[54:55], v[54:55], v[104:105], v[54:55]
	s_delay_alu instid0(VALU_DEP_1) | instskip(NEXT) | instid1(VALU_DEP_1)
	v_fma_f64 v[104:105], -v[52:53], v[54:55], 1.0
	v_fma_f64 v[54:55], v[54:55], v[104:105], v[54:55]
	v_div_scale_f64 v[104:105], vcc_lo, 1.0, v[50:51], 1.0
	s_delay_alu instid0(VALU_DEP_1) | instskip(NEXT) | instid1(VALU_DEP_1)
	v_mul_f64 v[106:107], v[104:105], v[54:55]
	v_fma_f64 v[52:53], -v[52:53], v[106:107], v[104:105]
	s_delay_alu instid0(VALU_DEP_1) | instskip(NEXT) | instid1(VALU_DEP_1)
	v_div_fmas_f64 v[52:53], v[52:53], v[54:55], v[106:107]
	v_div_fixup_f64 v[138:139], v[52:53], v[50:51], 1.0
	s_delay_alu instid0(VALU_DEP_1)
	v_mul_f64 v[136:137], v[48:49], v[138:139]
	v_xor_b32_e32 v139, 0x80000000, v139
.LBB66_301:
	s_and_not1_saveexec_b32 s2, s2
	s_cbranch_execz .LBB66_303
; %bb.302:
	s_delay_alu instid0(VALU_DEP_1) | instskip(SKIP_1) | instid1(VALU_DEP_2)
	v_div_scale_f64 v[48:49], null, v[136:137], v[136:137], v[138:139]
	v_div_scale_f64 v[54:55], vcc_lo, v[138:139], v[136:137], v[138:139]
	v_rcp_f64_e32 v[50:51], v[48:49]
	s_waitcnt_depctr 0xfff
	v_fma_f64 v[52:53], -v[48:49], v[50:51], 1.0
	s_delay_alu instid0(VALU_DEP_1) | instskip(NEXT) | instid1(VALU_DEP_1)
	v_fma_f64 v[50:51], v[50:51], v[52:53], v[50:51]
	v_fma_f64 v[52:53], -v[48:49], v[50:51], 1.0
	s_delay_alu instid0(VALU_DEP_1) | instskip(NEXT) | instid1(VALU_DEP_1)
	v_fma_f64 v[50:51], v[50:51], v[52:53], v[50:51]
	v_mul_f64 v[52:53], v[54:55], v[50:51]
	s_delay_alu instid0(VALU_DEP_1) | instskip(NEXT) | instid1(VALU_DEP_1)
	v_fma_f64 v[48:49], -v[48:49], v[52:53], v[54:55]
	v_div_fmas_f64 v[48:49], v[48:49], v[50:51], v[52:53]
	s_delay_alu instid0(VALU_DEP_1) | instskip(NEXT) | instid1(VALU_DEP_1)
	v_div_fixup_f64 v[48:49], v[48:49], v[136:137], v[138:139]
	v_fma_f64 v[50:51], v[138:139], v[48:49], v[136:137]
	s_delay_alu instid0(VALU_DEP_1) | instskip(NEXT) | instid1(VALU_DEP_1)
	v_div_scale_f64 v[52:53], null, v[50:51], v[50:51], 1.0
	v_rcp_f64_e32 v[54:55], v[52:53]
	s_waitcnt_depctr 0xfff
	v_fma_f64 v[104:105], -v[52:53], v[54:55], 1.0
	s_delay_alu instid0(VALU_DEP_1) | instskip(NEXT) | instid1(VALU_DEP_1)
	v_fma_f64 v[54:55], v[54:55], v[104:105], v[54:55]
	v_fma_f64 v[104:105], -v[52:53], v[54:55], 1.0
	s_delay_alu instid0(VALU_DEP_1) | instskip(SKIP_1) | instid1(VALU_DEP_1)
	v_fma_f64 v[54:55], v[54:55], v[104:105], v[54:55]
	v_div_scale_f64 v[104:105], vcc_lo, 1.0, v[50:51], 1.0
	v_mul_f64 v[106:107], v[104:105], v[54:55]
	s_delay_alu instid0(VALU_DEP_1) | instskip(NEXT) | instid1(VALU_DEP_1)
	v_fma_f64 v[52:53], -v[52:53], v[106:107], v[104:105]
	v_div_fmas_f64 v[52:53], v[52:53], v[54:55], v[106:107]
	s_delay_alu instid0(VALU_DEP_1) | instskip(NEXT) | instid1(VALU_DEP_1)
	v_div_fixup_f64 v[136:137], v[52:53], v[50:51], 1.0
	v_mul_f64 v[138:139], v[48:49], -v[136:137]
.LBB66_303:
	s_or_b32 exec_lo, exec_lo, s2
.LBB66_304:
	s_delay_alu instid0(SALU_CYCLE_1) | instskip(NEXT) | instid1(SALU_CYCLE_1)
	s_or_b32 exec_lo, exec_lo, s3
	s_mov_b32 s2, exec_lo
	v_cmpx_ne_u32_e64 v178, v144
	s_xor_b32 s2, exec_lo, s2
	s_cbranch_execz .LBB66_310
; %bb.305:
	s_mov_b32 s3, exec_lo
	v_cmpx_eq_u32_e32 14, v178
	s_cbranch_execz .LBB66_309
; %bb.306:
	v_cmp_ne_u32_e32 vcc_lo, 14, v144
	s_xor_b32 s6, s4, -1
	s_delay_alu instid0(SALU_CYCLE_1) | instskip(NEXT) | instid1(SALU_CYCLE_1)
	s_and_b32 s7, s6, vcc_lo
	s_and_saveexec_b32 s6, s7
	s_cbranch_execz .LBB66_308
; %bb.307:
	scratch_load_b64 v[52:53], off, off offset:32 ; 8-byte Folded Reload
	v_ashrrev_i32_e32 v145, 31, v144
	s_delay_alu instid0(VALU_DEP_1) | instskip(SKIP_1) | instid1(VALU_DEP_1)
	v_lshlrev_b64 v[48:49], 2, v[144:145]
	s_waitcnt vmcnt(0)
	v_add_co_u32 v48, vcc_lo, v52, v48
	s_delay_alu instid0(VALU_DEP_2)
	v_add_co_ci_u32_e32 v49, vcc_lo, v53, v49, vcc_lo
	s_clause 0x1
	flat_load_b32 v50, v[48:49]
	flat_load_b32 v51, v[52:53] offset:56
	s_waitcnt vmcnt(1) lgkmcnt(1)
	flat_store_b32 v[52:53], v50 offset:56
	s_waitcnt vmcnt(0) lgkmcnt(1)
	flat_store_b32 v[48:49], v51
.LBB66_308:
	s_or_b32 exec_lo, exec_lo, s6
	v_mov_b32_e32 v178, v144
	v_mov_b32_e32 v172, v144
.LBB66_309:
	s_or_b32 exec_lo, exec_lo, s3
.LBB66_310:
	s_and_not1_saveexec_b32 s2, s2
	s_cbranch_execz .LBB66_312
; %bb.311:
	v_mov_b32_e32 v178, 14
	ds_store_2addr_b64 v176, v[80:81], v[82:83] offset0:30 offset1:31
	ds_store_2addr_b64 v176, v[76:77], v[78:79] offset0:32 offset1:33
	;; [unrolled: 1-line block ×19, first 2 shown]
.LBB66_312:
	s_or_b32 exec_lo, exec_lo, s2
	s_delay_alu instid0(SALU_CYCLE_1)
	s_mov_b32 s2, exec_lo
	s_waitcnt lgkmcnt(0)
	s_waitcnt_vscnt null, 0x0
	s_barrier
	buffer_gl0_inv
	v_cmpx_lt_i32_e32 14, v178
	s_cbranch_execz .LBB66_314
; %bb.313:
	v_mul_f64 v[48:49], v[138:139], v[86:87]
	s_delay_alu instid0(VALU_DEP_1) | instskip(SKIP_1) | instid1(VALU_DEP_1)
	v_fma_f64 v[144:145], v[136:137], v[84:85], -v[48:49]
	v_mul_f64 v[48:49], v[136:137], v[86:87]
	v_fma_f64 v[86:87], v[138:139], v[84:85], v[48:49]
	ds_load_2addr_b64 v[136:139], v176 offset0:30 offset1:31
	ds_load_2addr_b64 v[146:149], v176 offset0:32 offset1:33
	s_waitcnt lgkmcnt(1)
	v_mul_f64 v[48:49], v[138:139], v[86:87]
	v_mul_f64 v[50:51], v[136:137], v[86:87]
	s_waitcnt lgkmcnt(0)
	v_mul_f64 v[52:53], v[148:149], v[86:87]
	v_mul_f64 v[54:55], v[146:147], v[86:87]
	s_delay_alu instid0(VALU_DEP_4) | instskip(NEXT) | instid1(VALU_DEP_4)
	v_fma_f64 v[48:49], v[136:137], v[144:145], -v[48:49]
	v_fma_f64 v[50:51], v[138:139], v[144:145], v[50:51]
	s_delay_alu instid0(VALU_DEP_4) | instskip(NEXT) | instid1(VALU_DEP_4)
	v_fma_f64 v[52:53], v[146:147], v[144:145], -v[52:53]
	v_fma_f64 v[54:55], v[148:149], v[144:145], v[54:55]
	ds_load_2addr_b64 v[136:139], v176 offset0:34 offset1:35
	ds_load_2addr_b64 v[146:149], v176 offset0:36 offset1:37
	s_waitcnt lgkmcnt(1)
	v_mul_f64 v[84:85], v[138:139], v[86:87]
	v_mul_f64 v[104:105], v[136:137], v[86:87]
	s_waitcnt lgkmcnt(0)
	v_mul_f64 v[106:107], v[148:149], v[86:87]
	v_mul_f64 v[124:125], v[146:147], v[86:87]
	v_add_f64 v[80:81], v[80:81], -v[48:49]
	v_add_f64 v[82:83], v[82:83], -v[50:51]
	;; [unrolled: 1-line block ×4, first 2 shown]
	v_fma_f64 v[84:85], v[136:137], v[144:145], -v[84:85]
	v_fma_f64 v[104:105], v[138:139], v[144:145], v[104:105]
	v_fma_f64 v[106:107], v[146:147], v[144:145], -v[106:107]
	v_fma_f64 v[124:125], v[148:149], v[144:145], v[124:125]
	ds_load_2addr_b64 v[136:139], v176 offset0:38 offset1:39
	ds_load_2addr_b64 v[146:149], v176 offset0:40 offset1:41
	s_waitcnt lgkmcnt(1)
	v_mul_f64 v[126:127], v[138:139], v[86:87]
	v_mul_f64 v[128:129], v[136:137], v[86:87]
	s_waitcnt lgkmcnt(0)
	v_mul_f64 v[130:131], v[148:149], v[86:87]
	v_add_f64 v[72:73], v[72:73], -v[84:85]
	v_add_f64 v[74:75], v[74:75], -v[104:105]
	v_add_f64 v[68:69], v[68:69], -v[106:107]
	v_add_f64 v[70:71], v[70:71], -v[124:125]
	v_dual_mov_b32 v84, v144 :: v_dual_mov_b32 v85, v145
	v_fma_f64 v[126:127], v[136:137], v[144:145], -v[126:127]
	v_mul_f64 v[136:137], v[146:147], v[86:87]
	v_fma_f64 v[128:129], v[138:139], v[144:145], v[128:129]
	v_fma_f64 v[130:131], v[146:147], v[144:145], -v[130:131]
	s_delay_alu instid0(VALU_DEP_4) | instskip(NEXT) | instid1(VALU_DEP_4)
	v_add_f64 v[64:65], v[64:65], -v[126:127]
	v_fma_f64 v[140:141], v[148:149], v[144:145], v[136:137]
	ds_load_2addr_b64 v[136:139], v176 offset0:42 offset1:43
	ds_load_2addr_b64 v[146:149], v176 offset0:44 offset1:45
	v_add_f64 v[66:67], v[66:67], -v[128:129]
	v_add_f64 v[60:61], v[60:61], -v[130:131]
	s_waitcnt lgkmcnt(1)
	v_mul_f64 v[142:143], v[138:139], v[86:87]
	v_add_f64 v[62:63], v[62:63], -v[140:141]
	s_delay_alu instid0(VALU_DEP_2) | instskip(SKIP_1) | instid1(VALU_DEP_2)
	v_fma_f64 v[142:143], v[136:137], v[144:145], -v[142:143]
	v_mul_f64 v[136:137], v[136:137], v[86:87]
	v_add_f64 v[56:57], v[56:57], -v[142:143]
	s_delay_alu instid0(VALU_DEP_2) | instskip(SKIP_2) | instid1(VALU_DEP_2)
	v_fma_f64 v[150:151], v[138:139], v[144:145], v[136:137]
	s_waitcnt lgkmcnt(0)
	v_mul_f64 v[136:137], v[148:149], v[86:87]
	v_add_f64 v[58:59], v[58:59], -v[150:151]
	s_delay_alu instid0(VALU_DEP_2) | instskip(SKIP_1) | instid1(VALU_DEP_2)
	v_fma_f64 v[152:153], v[146:147], v[144:145], -v[136:137]
	v_mul_f64 v[136:137], v[146:147], v[86:87]
	v_add_f64 v[44:45], v[44:45], -v[152:153]
	s_delay_alu instid0(VALU_DEP_2)
	v_fma_f64 v[154:155], v[148:149], v[144:145], v[136:137]
	ds_load_2addr_b64 v[136:139], v176 offset0:46 offset1:47
	ds_load_2addr_b64 v[146:149], v176 offset0:48 offset1:49
	s_waitcnt lgkmcnt(1)
	v_mul_f64 v[156:157], v[138:139], v[86:87]
	v_add_f64 v[46:47], v[46:47], -v[154:155]
	s_delay_alu instid0(VALU_DEP_2) | instskip(SKIP_1) | instid1(VALU_DEP_2)
	v_fma_f64 v[156:157], v[136:137], v[144:145], -v[156:157]
	v_mul_f64 v[136:137], v[136:137], v[86:87]
	v_add_f64 v[40:41], v[40:41], -v[156:157]
	s_delay_alu instid0(VALU_DEP_2) | instskip(SKIP_2) | instid1(VALU_DEP_2)
	v_fma_f64 v[158:159], v[138:139], v[144:145], v[136:137]
	s_waitcnt lgkmcnt(0)
	v_mul_f64 v[136:137], v[148:149], v[86:87]
	v_add_f64 v[42:43], v[42:43], -v[158:159]
	s_delay_alu instid0(VALU_DEP_2) | instskip(SKIP_1) | instid1(VALU_DEP_2)
	v_fma_f64 v[160:161], v[146:147], v[144:145], -v[136:137]
	v_mul_f64 v[136:137], v[146:147], v[86:87]
	v_add_f64 v[36:37], v[36:37], -v[160:161]
	s_delay_alu instid0(VALU_DEP_2)
	v_fma_f64 v[162:163], v[148:149], v[144:145], v[136:137]
	ds_load_2addr_b64 v[136:139], v176 offset0:50 offset1:51
	ds_load_2addr_b64 v[146:149], v176 offset0:52 offset1:53
	;; [unrolled: 20-line block ×5, first 2 shown]
	s_waitcnt lgkmcnt(1)
	v_mul_f64 v[195:196], v[138:139], v[86:87]
	v_add_f64 v[14:15], v[14:15], -v[193:194]
	s_delay_alu instid0(VALU_DEP_2) | instskip(SKIP_1) | instid1(VALU_DEP_2)
	v_fma_f64 v[195:196], v[136:137], v[144:145], -v[195:196]
	v_mul_f64 v[136:137], v[136:137], v[86:87]
	v_add_f64 v[8:9], v[8:9], -v[195:196]
	s_delay_alu instid0(VALU_DEP_2) | instskip(SKIP_2) | instid1(VALU_DEP_2)
	v_fma_f64 v[197:198], v[138:139], v[144:145], v[136:137]
	s_waitcnt lgkmcnt(0)
	v_mul_f64 v[136:137], v[148:149], v[86:87]
	v_add_f64 v[10:11], v[10:11], -v[197:198]
	s_delay_alu instid0(VALU_DEP_2) | instskip(SKIP_1) | instid1(VALU_DEP_2)
	v_fma_f64 v[199:200], v[146:147], v[144:145], -v[136:137]
	v_mul_f64 v[136:137], v[146:147], v[86:87]
	v_add_f64 v[4:5], v[4:5], -v[199:200]
	s_delay_alu instid0(VALU_DEP_2) | instskip(SKIP_4) | instid1(VALU_DEP_2)
	v_fma_f64 v[146:147], v[148:149], v[144:145], v[136:137]
	ds_load_2addr_b64 v[136:139], v176 offset0:66 offset1:67
	s_waitcnt lgkmcnt(0)
	v_mul_f64 v[148:149], v[138:139], v[86:87]
	v_add_f64 v[6:7], v[6:7], -v[146:147]
	v_fma_f64 v[148:149], v[136:137], v[144:145], -v[148:149]
	v_mul_f64 v[136:137], v[136:137], v[86:87]
	s_delay_alu instid0(VALU_DEP_2) | instskip(NEXT) | instid1(VALU_DEP_2)
	v_add_f64 v[243:244], v[243:244], -v[148:149]
	v_fma_f64 v[136:137], v[138:139], v[144:145], v[136:137]
	s_delay_alu instid0(VALU_DEP_1)
	v_add_f64 v[245:246], v[245:246], -v[136:137]
.LBB66_314:
	s_or_b32 exec_lo, exec_lo, s2
	v_lshl_add_u32 v48, v178, 4, v176
	s_barrier
	buffer_gl0_inv
	v_mov_b32_e32 v144, 15
	ds_store_2addr_b64 v48, v[80:81], v[82:83] offset1:1
	s_waitcnt lgkmcnt(0)
	s_barrier
	buffer_gl0_inv
	ds_load_2addr_b64 v[136:139], v176 offset0:30 offset1:31
	s_cmp_lt_i32 s5, 17
	s_cbranch_scc1 .LBB66_317
; %bb.315:
	v_add3_u32 v145, v174, 0, 0x100
	v_mov_b32_e32 v144, 15
	s_mov_b32 s6, 16
	s_set_inst_prefetch_distance 0x1
	.p2align	6
.LBB66_316:                             ; =>This Inner Loop Header: Depth=1
	ds_load_2addr_b64 v[146:149], v145 offset1:1
	s_waitcnt lgkmcnt(1)
	v_cmp_gt_f64_e32 vcc_lo, 0, v[136:137]
	v_xor_b32_e32 v48, 0x80000000, v137
	v_cmp_gt_f64_e64 s2, 0, v[138:139]
	v_xor_b32_e32 v50, 0x80000000, v139
	v_add_nc_u32_e32 v145, 16, v145
	s_waitcnt lgkmcnt(0)
	v_cmp_gt_f64_e64 s3, 0, v[146:147]
	v_mov_b32_e32 v52, v146
	v_dual_mov_b32 v54, v148 :: v_dual_cndmask_b32 v49, v137, v48
	v_xor_b32_e32 v48, 0x80000000, v147
	v_cndmask_b32_e64 v51, v139, v50, s2
	v_xor_b32_e32 v50, 0x80000000, v149
	s_delay_alu instid0(VALU_DEP_3) | instskip(SKIP_2) | instid1(VALU_DEP_2)
	v_cndmask_b32_e64 v53, v147, v48, s3
	v_cmp_gt_f64_e64 s3, 0, v[148:149]
	v_cndmask_b32_e32 v48, v136, v136, vcc_lo
	v_cndmask_b32_e64 v55, v149, v50, s3
	v_cndmask_b32_e64 v50, v138, v138, s2
	s_delay_alu instid0(VALU_DEP_2) | instskip(NEXT) | instid1(VALU_DEP_2)
	v_add_f64 v[52:53], v[52:53], v[54:55]
	v_add_f64 v[48:49], v[48:49], v[50:51]
	s_delay_alu instid0(VALU_DEP_1)
	v_cmp_lt_f64_e32 vcc_lo, v[48:49], v[52:53]
	v_cndmask_b32_e32 v139, v139, v149, vcc_lo
	v_dual_cndmask_b32 v137, v137, v147 :: v_dual_cndmask_b32 v136, v136, v146
	v_cndmask_b32_e32 v138, v138, v148, vcc_lo
	v_cndmask_b32_e64 v144, v144, s6, vcc_lo
	s_add_i32 s6, s6, 1
	s_delay_alu instid0(SALU_CYCLE_1)
	s_cmp_lg_u32 s5, s6
	s_cbranch_scc1 .LBB66_316
.LBB66_317:
	s_set_inst_prefetch_distance 0x2
	s_waitcnt lgkmcnt(0)
	v_cmp_eq_f64_e32 vcc_lo, 0, v[136:137]
	v_cmp_eq_f64_e64 s2, 0, v[138:139]
	s_delay_alu instid0(VALU_DEP_1) | instskip(NEXT) | instid1(SALU_CYCLE_1)
	s_and_b32 s2, vcc_lo, s2
	s_and_saveexec_b32 s3, s2
	s_delay_alu instid0(SALU_CYCLE_1)
	s_xor_b32 s2, exec_lo, s3
; %bb.318:
	v_cmp_ne_u32_e32 vcc_lo, 0, v255
	v_cndmask_b32_e32 v255, 16, v255, vcc_lo
; %bb.319:
	s_and_not1_saveexec_b32 s3, s2
	s_cbranch_execz .LBB66_325
; %bb.320:
	v_cmp_gt_f64_e32 vcc_lo, 0, v[136:137]
	v_cmp_gt_f64_e64 s2, 0, v[138:139]
	v_xor_b32_e32 v48, 0x80000000, v137
	v_xor_b32_e32 v50, 0x80000000, v139
	s_delay_alu instid0(VALU_DEP_2) | instskip(NEXT) | instid1(VALU_DEP_2)
	v_cndmask_b32_e32 v49, v137, v48, vcc_lo
	v_cndmask_b32_e64 v51, v139, v50, s2
	v_cndmask_b32_e32 v48, v136, v136, vcc_lo
	v_cndmask_b32_e64 v50, v138, v138, s2
	s_mov_b32 s2, exec_lo
	s_delay_alu instid0(VALU_DEP_1)
	v_cmpx_ngt_f64_e32 v[48:49], v[50:51]
	s_xor_b32 s2, exec_lo, s2
	s_cbranch_execz .LBB66_322
; %bb.321:
	v_div_scale_f64 v[48:49], null, v[138:139], v[138:139], v[136:137]
	v_div_scale_f64 v[54:55], vcc_lo, v[136:137], v[138:139], v[136:137]
	s_delay_alu instid0(VALU_DEP_2) | instskip(SKIP_2) | instid1(VALU_DEP_1)
	v_rcp_f64_e32 v[50:51], v[48:49]
	s_waitcnt_depctr 0xfff
	v_fma_f64 v[52:53], -v[48:49], v[50:51], 1.0
	v_fma_f64 v[50:51], v[50:51], v[52:53], v[50:51]
	s_delay_alu instid0(VALU_DEP_1) | instskip(NEXT) | instid1(VALU_DEP_1)
	v_fma_f64 v[52:53], -v[48:49], v[50:51], 1.0
	v_fma_f64 v[50:51], v[50:51], v[52:53], v[50:51]
	s_delay_alu instid0(VALU_DEP_1) | instskip(NEXT) | instid1(VALU_DEP_1)
	v_mul_f64 v[52:53], v[54:55], v[50:51]
	v_fma_f64 v[48:49], -v[48:49], v[52:53], v[54:55]
	s_delay_alu instid0(VALU_DEP_1) | instskip(NEXT) | instid1(VALU_DEP_1)
	v_div_fmas_f64 v[48:49], v[48:49], v[50:51], v[52:53]
	v_div_fixup_f64 v[48:49], v[48:49], v[138:139], v[136:137]
	s_delay_alu instid0(VALU_DEP_1) | instskip(NEXT) | instid1(VALU_DEP_1)
	v_fma_f64 v[50:51], v[136:137], v[48:49], v[138:139]
	v_div_scale_f64 v[52:53], null, v[50:51], v[50:51], 1.0
	s_delay_alu instid0(VALU_DEP_1) | instskip(SKIP_2) | instid1(VALU_DEP_1)
	v_rcp_f64_e32 v[54:55], v[52:53]
	s_waitcnt_depctr 0xfff
	v_fma_f64 v[104:105], -v[52:53], v[54:55], 1.0
	v_fma_f64 v[54:55], v[54:55], v[104:105], v[54:55]
	s_delay_alu instid0(VALU_DEP_1) | instskip(NEXT) | instid1(VALU_DEP_1)
	v_fma_f64 v[104:105], -v[52:53], v[54:55], 1.0
	v_fma_f64 v[54:55], v[54:55], v[104:105], v[54:55]
	v_div_scale_f64 v[104:105], vcc_lo, 1.0, v[50:51], 1.0
	s_delay_alu instid0(VALU_DEP_1) | instskip(NEXT) | instid1(VALU_DEP_1)
	v_mul_f64 v[106:107], v[104:105], v[54:55]
	v_fma_f64 v[52:53], -v[52:53], v[106:107], v[104:105]
	s_delay_alu instid0(VALU_DEP_1) | instskip(NEXT) | instid1(VALU_DEP_1)
	v_div_fmas_f64 v[52:53], v[52:53], v[54:55], v[106:107]
	v_div_fixup_f64 v[138:139], v[52:53], v[50:51], 1.0
	s_delay_alu instid0(VALU_DEP_1)
	v_mul_f64 v[136:137], v[48:49], v[138:139]
	v_xor_b32_e32 v139, 0x80000000, v139
.LBB66_322:
	s_and_not1_saveexec_b32 s2, s2
	s_cbranch_execz .LBB66_324
; %bb.323:
	s_delay_alu instid0(VALU_DEP_1) | instskip(SKIP_1) | instid1(VALU_DEP_2)
	v_div_scale_f64 v[48:49], null, v[136:137], v[136:137], v[138:139]
	v_div_scale_f64 v[54:55], vcc_lo, v[138:139], v[136:137], v[138:139]
	v_rcp_f64_e32 v[50:51], v[48:49]
	s_waitcnt_depctr 0xfff
	v_fma_f64 v[52:53], -v[48:49], v[50:51], 1.0
	s_delay_alu instid0(VALU_DEP_1) | instskip(NEXT) | instid1(VALU_DEP_1)
	v_fma_f64 v[50:51], v[50:51], v[52:53], v[50:51]
	v_fma_f64 v[52:53], -v[48:49], v[50:51], 1.0
	s_delay_alu instid0(VALU_DEP_1) | instskip(NEXT) | instid1(VALU_DEP_1)
	v_fma_f64 v[50:51], v[50:51], v[52:53], v[50:51]
	v_mul_f64 v[52:53], v[54:55], v[50:51]
	s_delay_alu instid0(VALU_DEP_1) | instskip(NEXT) | instid1(VALU_DEP_1)
	v_fma_f64 v[48:49], -v[48:49], v[52:53], v[54:55]
	v_div_fmas_f64 v[48:49], v[48:49], v[50:51], v[52:53]
	s_delay_alu instid0(VALU_DEP_1) | instskip(NEXT) | instid1(VALU_DEP_1)
	v_div_fixup_f64 v[48:49], v[48:49], v[136:137], v[138:139]
	v_fma_f64 v[50:51], v[138:139], v[48:49], v[136:137]
	s_delay_alu instid0(VALU_DEP_1) | instskip(NEXT) | instid1(VALU_DEP_1)
	v_div_scale_f64 v[52:53], null, v[50:51], v[50:51], 1.0
	v_rcp_f64_e32 v[54:55], v[52:53]
	s_waitcnt_depctr 0xfff
	v_fma_f64 v[104:105], -v[52:53], v[54:55], 1.0
	s_delay_alu instid0(VALU_DEP_1) | instskip(NEXT) | instid1(VALU_DEP_1)
	v_fma_f64 v[54:55], v[54:55], v[104:105], v[54:55]
	v_fma_f64 v[104:105], -v[52:53], v[54:55], 1.0
	s_delay_alu instid0(VALU_DEP_1) | instskip(SKIP_1) | instid1(VALU_DEP_1)
	v_fma_f64 v[54:55], v[54:55], v[104:105], v[54:55]
	v_div_scale_f64 v[104:105], vcc_lo, 1.0, v[50:51], 1.0
	v_mul_f64 v[106:107], v[104:105], v[54:55]
	s_delay_alu instid0(VALU_DEP_1) | instskip(NEXT) | instid1(VALU_DEP_1)
	v_fma_f64 v[52:53], -v[52:53], v[106:107], v[104:105]
	v_div_fmas_f64 v[52:53], v[52:53], v[54:55], v[106:107]
	s_delay_alu instid0(VALU_DEP_1) | instskip(NEXT) | instid1(VALU_DEP_1)
	v_div_fixup_f64 v[136:137], v[52:53], v[50:51], 1.0
	v_mul_f64 v[138:139], v[48:49], -v[136:137]
.LBB66_324:
	s_or_b32 exec_lo, exec_lo, s2
.LBB66_325:
	s_delay_alu instid0(SALU_CYCLE_1) | instskip(NEXT) | instid1(SALU_CYCLE_1)
	s_or_b32 exec_lo, exec_lo, s3
	s_mov_b32 s2, exec_lo
	v_cmpx_ne_u32_e64 v178, v144
	s_xor_b32 s2, exec_lo, s2
	s_cbranch_execz .LBB66_331
; %bb.326:
	s_mov_b32 s3, exec_lo
	v_cmpx_eq_u32_e32 15, v178
	s_cbranch_execz .LBB66_330
; %bb.327:
	v_cmp_ne_u32_e32 vcc_lo, 15, v144
	s_xor_b32 s6, s4, -1
	s_delay_alu instid0(SALU_CYCLE_1) | instskip(NEXT) | instid1(SALU_CYCLE_1)
	s_and_b32 s7, s6, vcc_lo
	s_and_saveexec_b32 s6, s7
	s_cbranch_execz .LBB66_329
; %bb.328:
	scratch_load_b64 v[52:53], off, off offset:32 ; 8-byte Folded Reload
	v_ashrrev_i32_e32 v145, 31, v144
	s_delay_alu instid0(VALU_DEP_1) | instskip(SKIP_1) | instid1(VALU_DEP_1)
	v_lshlrev_b64 v[48:49], 2, v[144:145]
	s_waitcnt vmcnt(0)
	v_add_co_u32 v48, vcc_lo, v52, v48
	s_delay_alu instid0(VALU_DEP_2)
	v_add_co_ci_u32_e32 v49, vcc_lo, v53, v49, vcc_lo
	s_clause 0x1
	flat_load_b32 v50, v[48:49]
	flat_load_b32 v51, v[52:53] offset:60
	s_waitcnt vmcnt(1) lgkmcnt(1)
	flat_store_b32 v[52:53], v50 offset:60
	s_waitcnt vmcnt(0) lgkmcnt(1)
	flat_store_b32 v[48:49], v51
.LBB66_329:
	s_or_b32 exec_lo, exec_lo, s6
	v_mov_b32_e32 v178, v144
	v_mov_b32_e32 v172, v144
.LBB66_330:
	s_or_b32 exec_lo, exec_lo, s3
.LBB66_331:
	s_and_not1_saveexec_b32 s2, s2
	s_cbranch_execz .LBB66_333
; %bb.332:
	v_mov_b32_e32 v178, 15
	ds_store_2addr_b64 v176, v[76:77], v[78:79] offset0:32 offset1:33
	ds_store_2addr_b64 v176, v[72:73], v[74:75] offset0:34 offset1:35
	;; [unrolled: 1-line block ×18, first 2 shown]
.LBB66_333:
	s_or_b32 exec_lo, exec_lo, s2
	s_delay_alu instid0(SALU_CYCLE_1)
	s_mov_b32 s2, exec_lo
	s_waitcnt lgkmcnt(0)
	s_waitcnt_vscnt null, 0x0
	s_barrier
	buffer_gl0_inv
	v_cmpx_lt_i32_e32 15, v178
	s_cbranch_execz .LBB66_335
; %bb.334:
	v_mul_f64 v[48:49], v[138:139], v[82:83]
	s_delay_alu instid0(VALU_DEP_1) | instskip(SKIP_1) | instid1(VALU_DEP_1)
	v_fma_f64 v[144:145], v[136:137], v[80:81], -v[48:49]
	v_mul_f64 v[48:49], v[136:137], v[82:83]
	v_fma_f64 v[82:83], v[138:139], v[80:81], v[48:49]
	ds_load_2addr_b64 v[136:139], v176 offset0:32 offset1:33
	ds_load_2addr_b64 v[146:149], v176 offset0:34 offset1:35
	s_waitcnt lgkmcnt(1)
	v_mul_f64 v[48:49], v[138:139], v[82:83]
	v_mul_f64 v[50:51], v[136:137], v[82:83]
	s_waitcnt lgkmcnt(0)
	v_mul_f64 v[52:53], v[148:149], v[82:83]
	v_mul_f64 v[54:55], v[146:147], v[82:83]
	s_delay_alu instid0(VALU_DEP_4) | instskip(NEXT) | instid1(VALU_DEP_4)
	v_fma_f64 v[48:49], v[136:137], v[144:145], -v[48:49]
	v_fma_f64 v[50:51], v[138:139], v[144:145], v[50:51]
	s_delay_alu instid0(VALU_DEP_4) | instskip(NEXT) | instid1(VALU_DEP_4)
	v_fma_f64 v[52:53], v[146:147], v[144:145], -v[52:53]
	v_fma_f64 v[54:55], v[148:149], v[144:145], v[54:55]
	ds_load_2addr_b64 v[136:139], v176 offset0:36 offset1:37
	ds_load_2addr_b64 v[146:149], v176 offset0:38 offset1:39
	s_waitcnt lgkmcnt(1)
	v_mul_f64 v[80:81], v[138:139], v[82:83]
	v_mul_f64 v[104:105], v[136:137], v[82:83]
	s_waitcnt lgkmcnt(0)
	v_mul_f64 v[106:107], v[148:149], v[82:83]
	v_mul_f64 v[124:125], v[146:147], v[82:83]
	v_add_f64 v[76:77], v[76:77], -v[48:49]
	v_add_f64 v[78:79], v[78:79], -v[50:51]
	;; [unrolled: 1-line block ×4, first 2 shown]
	v_fma_f64 v[80:81], v[136:137], v[144:145], -v[80:81]
	v_fma_f64 v[104:105], v[138:139], v[144:145], v[104:105]
	v_fma_f64 v[106:107], v[146:147], v[144:145], -v[106:107]
	v_fma_f64 v[124:125], v[148:149], v[144:145], v[124:125]
	ds_load_2addr_b64 v[136:139], v176 offset0:40 offset1:41
	ds_load_2addr_b64 v[146:149], v176 offset0:42 offset1:43
	s_waitcnt lgkmcnt(1)
	v_mul_f64 v[126:127], v[138:139], v[82:83]
	v_mul_f64 v[128:129], v[136:137], v[82:83]
	s_waitcnt lgkmcnt(0)
	v_mul_f64 v[130:131], v[148:149], v[82:83]
	v_add_f64 v[68:69], v[68:69], -v[80:81]
	v_add_f64 v[70:71], v[70:71], -v[104:105]
	;; [unrolled: 1-line block ×4, first 2 shown]
	v_dual_mov_b32 v80, v144 :: v_dual_mov_b32 v81, v145
	v_fma_f64 v[126:127], v[136:137], v[144:145], -v[126:127]
	v_mul_f64 v[136:137], v[146:147], v[82:83]
	v_fma_f64 v[128:129], v[138:139], v[144:145], v[128:129]
	v_fma_f64 v[130:131], v[146:147], v[144:145], -v[130:131]
	s_delay_alu instid0(VALU_DEP_4) | instskip(NEXT) | instid1(VALU_DEP_4)
	v_add_f64 v[60:61], v[60:61], -v[126:127]
	v_fma_f64 v[140:141], v[148:149], v[144:145], v[136:137]
	ds_load_2addr_b64 v[136:139], v176 offset0:44 offset1:45
	ds_load_2addr_b64 v[146:149], v176 offset0:46 offset1:47
	v_add_f64 v[62:63], v[62:63], -v[128:129]
	v_add_f64 v[56:57], v[56:57], -v[130:131]
	s_waitcnt lgkmcnt(1)
	v_mul_f64 v[142:143], v[138:139], v[82:83]
	v_add_f64 v[58:59], v[58:59], -v[140:141]
	s_delay_alu instid0(VALU_DEP_2) | instskip(SKIP_1) | instid1(VALU_DEP_2)
	v_fma_f64 v[142:143], v[136:137], v[144:145], -v[142:143]
	v_mul_f64 v[136:137], v[136:137], v[82:83]
	v_add_f64 v[44:45], v[44:45], -v[142:143]
	s_delay_alu instid0(VALU_DEP_2) | instskip(SKIP_2) | instid1(VALU_DEP_2)
	v_fma_f64 v[150:151], v[138:139], v[144:145], v[136:137]
	s_waitcnt lgkmcnt(0)
	v_mul_f64 v[136:137], v[148:149], v[82:83]
	v_add_f64 v[46:47], v[46:47], -v[150:151]
	s_delay_alu instid0(VALU_DEP_2) | instskip(SKIP_1) | instid1(VALU_DEP_2)
	v_fma_f64 v[152:153], v[146:147], v[144:145], -v[136:137]
	v_mul_f64 v[136:137], v[146:147], v[82:83]
	v_add_f64 v[40:41], v[40:41], -v[152:153]
	s_delay_alu instid0(VALU_DEP_2)
	v_fma_f64 v[154:155], v[148:149], v[144:145], v[136:137]
	ds_load_2addr_b64 v[136:139], v176 offset0:48 offset1:49
	ds_load_2addr_b64 v[146:149], v176 offset0:50 offset1:51
	s_waitcnt lgkmcnt(1)
	v_mul_f64 v[156:157], v[138:139], v[82:83]
	v_add_f64 v[42:43], v[42:43], -v[154:155]
	s_delay_alu instid0(VALU_DEP_2) | instskip(SKIP_1) | instid1(VALU_DEP_2)
	v_fma_f64 v[156:157], v[136:137], v[144:145], -v[156:157]
	v_mul_f64 v[136:137], v[136:137], v[82:83]
	v_add_f64 v[36:37], v[36:37], -v[156:157]
	s_delay_alu instid0(VALU_DEP_2) | instskip(SKIP_2) | instid1(VALU_DEP_2)
	v_fma_f64 v[158:159], v[138:139], v[144:145], v[136:137]
	s_waitcnt lgkmcnt(0)
	v_mul_f64 v[136:137], v[148:149], v[82:83]
	v_add_f64 v[38:39], v[38:39], -v[158:159]
	s_delay_alu instid0(VALU_DEP_2) | instskip(SKIP_1) | instid1(VALU_DEP_2)
	v_fma_f64 v[160:161], v[146:147], v[144:145], -v[136:137]
	v_mul_f64 v[136:137], v[146:147], v[82:83]
	v_add_f64 v[32:33], v[32:33], -v[160:161]
	s_delay_alu instid0(VALU_DEP_2)
	v_fma_f64 v[162:163], v[148:149], v[144:145], v[136:137]
	ds_load_2addr_b64 v[136:139], v176 offset0:52 offset1:53
	ds_load_2addr_b64 v[146:149], v176 offset0:54 offset1:55
	;; [unrolled: 20-line block ×5, first 2 shown]
	s_waitcnt lgkmcnt(1)
	v_mul_f64 v[195:196], v[138:139], v[82:83]
	v_add_f64 v[10:11], v[10:11], -v[193:194]
	s_delay_alu instid0(VALU_DEP_2) | instskip(SKIP_1) | instid1(VALU_DEP_2)
	v_fma_f64 v[195:196], v[136:137], v[144:145], -v[195:196]
	v_mul_f64 v[136:137], v[136:137], v[82:83]
	v_add_f64 v[4:5], v[4:5], -v[195:196]
	s_delay_alu instid0(VALU_DEP_2) | instskip(SKIP_2) | instid1(VALU_DEP_2)
	v_fma_f64 v[136:137], v[138:139], v[144:145], v[136:137]
	s_waitcnt lgkmcnt(0)
	v_mul_f64 v[138:139], v[148:149], v[82:83]
	v_add_f64 v[6:7], v[6:7], -v[136:137]
	s_delay_alu instid0(VALU_DEP_2) | instskip(SKIP_1) | instid1(VALU_DEP_2)
	v_fma_f64 v[138:139], v[146:147], v[144:145], -v[138:139]
	v_mul_f64 v[146:147], v[146:147], v[82:83]
	v_add_f64 v[243:244], v[243:244], -v[138:139]
	s_delay_alu instid0(VALU_DEP_2) | instskip(NEXT) | instid1(VALU_DEP_1)
	v_fma_f64 v[146:147], v[148:149], v[144:145], v[146:147]
	v_add_f64 v[245:246], v[245:246], -v[146:147]
.LBB66_335:
	s_or_b32 exec_lo, exec_lo, s2
	v_lshl_add_u32 v48, v178, 4, v176
	s_barrier
	buffer_gl0_inv
	v_mov_b32_e32 v144, 16
	ds_store_2addr_b64 v48, v[76:77], v[78:79] offset1:1
	s_waitcnt lgkmcnt(0)
	s_barrier
	buffer_gl0_inv
	ds_load_2addr_b64 v[136:139], v176 offset0:32 offset1:33
	s_cmp_lt_i32 s5, 18
	s_cbranch_scc1 .LBB66_338
; %bb.336:
	v_add3_u32 v145, v174, 0, 0x110
	v_mov_b32_e32 v144, 16
	s_mov_b32 s6, 17
	s_set_inst_prefetch_distance 0x1
	.p2align	6
.LBB66_337:                             ; =>This Inner Loop Header: Depth=1
	ds_load_2addr_b64 v[146:149], v145 offset1:1
	s_waitcnt lgkmcnt(1)
	v_cmp_gt_f64_e32 vcc_lo, 0, v[136:137]
	v_xor_b32_e32 v48, 0x80000000, v137
	v_cmp_gt_f64_e64 s2, 0, v[138:139]
	v_xor_b32_e32 v50, 0x80000000, v139
	v_add_nc_u32_e32 v145, 16, v145
	s_waitcnt lgkmcnt(0)
	v_cmp_gt_f64_e64 s3, 0, v[146:147]
	v_mov_b32_e32 v52, v146
	v_dual_mov_b32 v54, v148 :: v_dual_cndmask_b32 v49, v137, v48
	v_xor_b32_e32 v48, 0x80000000, v147
	v_cndmask_b32_e64 v51, v139, v50, s2
	v_xor_b32_e32 v50, 0x80000000, v149
	s_delay_alu instid0(VALU_DEP_3) | instskip(SKIP_2) | instid1(VALU_DEP_2)
	v_cndmask_b32_e64 v53, v147, v48, s3
	v_cmp_gt_f64_e64 s3, 0, v[148:149]
	v_cndmask_b32_e32 v48, v136, v136, vcc_lo
	v_cndmask_b32_e64 v55, v149, v50, s3
	v_cndmask_b32_e64 v50, v138, v138, s2
	s_delay_alu instid0(VALU_DEP_2) | instskip(NEXT) | instid1(VALU_DEP_2)
	v_add_f64 v[52:53], v[52:53], v[54:55]
	v_add_f64 v[48:49], v[48:49], v[50:51]
	s_delay_alu instid0(VALU_DEP_1)
	v_cmp_lt_f64_e32 vcc_lo, v[48:49], v[52:53]
	v_cndmask_b32_e32 v139, v139, v149, vcc_lo
	v_dual_cndmask_b32 v137, v137, v147 :: v_dual_cndmask_b32 v136, v136, v146
	v_cndmask_b32_e32 v138, v138, v148, vcc_lo
	v_cndmask_b32_e64 v144, v144, s6, vcc_lo
	s_add_i32 s6, s6, 1
	s_delay_alu instid0(SALU_CYCLE_1)
	s_cmp_lg_u32 s5, s6
	s_cbranch_scc1 .LBB66_337
.LBB66_338:
	s_set_inst_prefetch_distance 0x2
	s_waitcnt lgkmcnt(0)
	v_cmp_eq_f64_e32 vcc_lo, 0, v[136:137]
	v_cmp_eq_f64_e64 s2, 0, v[138:139]
	s_delay_alu instid0(VALU_DEP_1) | instskip(NEXT) | instid1(SALU_CYCLE_1)
	s_and_b32 s2, vcc_lo, s2
	s_and_saveexec_b32 s3, s2
	s_delay_alu instid0(SALU_CYCLE_1)
	s_xor_b32 s2, exec_lo, s3
; %bb.339:
	v_cmp_ne_u32_e32 vcc_lo, 0, v255
	v_cndmask_b32_e32 v255, 17, v255, vcc_lo
; %bb.340:
	s_and_not1_saveexec_b32 s3, s2
	s_cbranch_execz .LBB66_346
; %bb.341:
	v_cmp_gt_f64_e32 vcc_lo, 0, v[136:137]
	v_cmp_gt_f64_e64 s2, 0, v[138:139]
	v_xor_b32_e32 v48, 0x80000000, v137
	v_xor_b32_e32 v50, 0x80000000, v139
	s_delay_alu instid0(VALU_DEP_2) | instskip(NEXT) | instid1(VALU_DEP_2)
	v_cndmask_b32_e32 v49, v137, v48, vcc_lo
	v_cndmask_b32_e64 v51, v139, v50, s2
	v_cndmask_b32_e32 v48, v136, v136, vcc_lo
	v_cndmask_b32_e64 v50, v138, v138, s2
	s_mov_b32 s2, exec_lo
	s_delay_alu instid0(VALU_DEP_1)
	v_cmpx_ngt_f64_e32 v[48:49], v[50:51]
	s_xor_b32 s2, exec_lo, s2
	s_cbranch_execz .LBB66_343
; %bb.342:
	v_div_scale_f64 v[48:49], null, v[138:139], v[138:139], v[136:137]
	v_div_scale_f64 v[54:55], vcc_lo, v[136:137], v[138:139], v[136:137]
	s_delay_alu instid0(VALU_DEP_2) | instskip(SKIP_2) | instid1(VALU_DEP_1)
	v_rcp_f64_e32 v[50:51], v[48:49]
	s_waitcnt_depctr 0xfff
	v_fma_f64 v[52:53], -v[48:49], v[50:51], 1.0
	v_fma_f64 v[50:51], v[50:51], v[52:53], v[50:51]
	s_delay_alu instid0(VALU_DEP_1) | instskip(NEXT) | instid1(VALU_DEP_1)
	v_fma_f64 v[52:53], -v[48:49], v[50:51], 1.0
	v_fma_f64 v[50:51], v[50:51], v[52:53], v[50:51]
	s_delay_alu instid0(VALU_DEP_1) | instskip(NEXT) | instid1(VALU_DEP_1)
	v_mul_f64 v[52:53], v[54:55], v[50:51]
	v_fma_f64 v[48:49], -v[48:49], v[52:53], v[54:55]
	s_delay_alu instid0(VALU_DEP_1) | instskip(NEXT) | instid1(VALU_DEP_1)
	v_div_fmas_f64 v[48:49], v[48:49], v[50:51], v[52:53]
	v_div_fixup_f64 v[48:49], v[48:49], v[138:139], v[136:137]
	s_delay_alu instid0(VALU_DEP_1) | instskip(NEXT) | instid1(VALU_DEP_1)
	v_fma_f64 v[50:51], v[136:137], v[48:49], v[138:139]
	v_div_scale_f64 v[52:53], null, v[50:51], v[50:51], 1.0
	s_delay_alu instid0(VALU_DEP_1) | instskip(SKIP_2) | instid1(VALU_DEP_1)
	v_rcp_f64_e32 v[54:55], v[52:53]
	s_waitcnt_depctr 0xfff
	v_fma_f64 v[104:105], -v[52:53], v[54:55], 1.0
	v_fma_f64 v[54:55], v[54:55], v[104:105], v[54:55]
	s_delay_alu instid0(VALU_DEP_1) | instskip(NEXT) | instid1(VALU_DEP_1)
	v_fma_f64 v[104:105], -v[52:53], v[54:55], 1.0
	v_fma_f64 v[54:55], v[54:55], v[104:105], v[54:55]
	v_div_scale_f64 v[104:105], vcc_lo, 1.0, v[50:51], 1.0
	s_delay_alu instid0(VALU_DEP_1) | instskip(NEXT) | instid1(VALU_DEP_1)
	v_mul_f64 v[106:107], v[104:105], v[54:55]
	v_fma_f64 v[52:53], -v[52:53], v[106:107], v[104:105]
	s_delay_alu instid0(VALU_DEP_1) | instskip(NEXT) | instid1(VALU_DEP_1)
	v_div_fmas_f64 v[52:53], v[52:53], v[54:55], v[106:107]
	v_div_fixup_f64 v[138:139], v[52:53], v[50:51], 1.0
	s_delay_alu instid0(VALU_DEP_1)
	v_mul_f64 v[136:137], v[48:49], v[138:139]
	v_xor_b32_e32 v139, 0x80000000, v139
.LBB66_343:
	s_and_not1_saveexec_b32 s2, s2
	s_cbranch_execz .LBB66_345
; %bb.344:
	s_delay_alu instid0(VALU_DEP_1) | instskip(SKIP_1) | instid1(VALU_DEP_2)
	v_div_scale_f64 v[48:49], null, v[136:137], v[136:137], v[138:139]
	v_div_scale_f64 v[54:55], vcc_lo, v[138:139], v[136:137], v[138:139]
	v_rcp_f64_e32 v[50:51], v[48:49]
	s_waitcnt_depctr 0xfff
	v_fma_f64 v[52:53], -v[48:49], v[50:51], 1.0
	s_delay_alu instid0(VALU_DEP_1) | instskip(NEXT) | instid1(VALU_DEP_1)
	v_fma_f64 v[50:51], v[50:51], v[52:53], v[50:51]
	v_fma_f64 v[52:53], -v[48:49], v[50:51], 1.0
	s_delay_alu instid0(VALU_DEP_1) | instskip(NEXT) | instid1(VALU_DEP_1)
	v_fma_f64 v[50:51], v[50:51], v[52:53], v[50:51]
	v_mul_f64 v[52:53], v[54:55], v[50:51]
	s_delay_alu instid0(VALU_DEP_1) | instskip(NEXT) | instid1(VALU_DEP_1)
	v_fma_f64 v[48:49], -v[48:49], v[52:53], v[54:55]
	v_div_fmas_f64 v[48:49], v[48:49], v[50:51], v[52:53]
	s_delay_alu instid0(VALU_DEP_1) | instskip(NEXT) | instid1(VALU_DEP_1)
	v_div_fixup_f64 v[48:49], v[48:49], v[136:137], v[138:139]
	v_fma_f64 v[50:51], v[138:139], v[48:49], v[136:137]
	s_delay_alu instid0(VALU_DEP_1) | instskip(NEXT) | instid1(VALU_DEP_1)
	v_div_scale_f64 v[52:53], null, v[50:51], v[50:51], 1.0
	v_rcp_f64_e32 v[54:55], v[52:53]
	s_waitcnt_depctr 0xfff
	v_fma_f64 v[104:105], -v[52:53], v[54:55], 1.0
	s_delay_alu instid0(VALU_DEP_1) | instskip(NEXT) | instid1(VALU_DEP_1)
	v_fma_f64 v[54:55], v[54:55], v[104:105], v[54:55]
	v_fma_f64 v[104:105], -v[52:53], v[54:55], 1.0
	s_delay_alu instid0(VALU_DEP_1) | instskip(SKIP_1) | instid1(VALU_DEP_1)
	v_fma_f64 v[54:55], v[54:55], v[104:105], v[54:55]
	v_div_scale_f64 v[104:105], vcc_lo, 1.0, v[50:51], 1.0
	v_mul_f64 v[106:107], v[104:105], v[54:55]
	s_delay_alu instid0(VALU_DEP_1) | instskip(NEXT) | instid1(VALU_DEP_1)
	v_fma_f64 v[52:53], -v[52:53], v[106:107], v[104:105]
	v_div_fmas_f64 v[52:53], v[52:53], v[54:55], v[106:107]
	s_delay_alu instid0(VALU_DEP_1) | instskip(NEXT) | instid1(VALU_DEP_1)
	v_div_fixup_f64 v[136:137], v[52:53], v[50:51], 1.0
	v_mul_f64 v[138:139], v[48:49], -v[136:137]
.LBB66_345:
	s_or_b32 exec_lo, exec_lo, s2
.LBB66_346:
	s_delay_alu instid0(SALU_CYCLE_1) | instskip(NEXT) | instid1(SALU_CYCLE_1)
	s_or_b32 exec_lo, exec_lo, s3
	s_mov_b32 s2, exec_lo
	v_cmpx_ne_u32_e64 v178, v144
	s_xor_b32 s2, exec_lo, s2
	s_cbranch_execz .LBB66_352
; %bb.347:
	s_mov_b32 s3, exec_lo
	v_cmpx_eq_u32_e32 16, v178
	s_cbranch_execz .LBB66_351
; %bb.348:
	v_cmp_ne_u32_e32 vcc_lo, 16, v144
	s_xor_b32 s6, s4, -1
	s_delay_alu instid0(SALU_CYCLE_1) | instskip(NEXT) | instid1(SALU_CYCLE_1)
	s_and_b32 s7, s6, vcc_lo
	s_and_saveexec_b32 s6, s7
	s_cbranch_execz .LBB66_350
; %bb.349:
	scratch_load_b64 v[52:53], off, off offset:32 ; 8-byte Folded Reload
	v_ashrrev_i32_e32 v145, 31, v144
	s_delay_alu instid0(VALU_DEP_1) | instskip(SKIP_1) | instid1(VALU_DEP_1)
	v_lshlrev_b64 v[48:49], 2, v[144:145]
	s_waitcnt vmcnt(0)
	v_add_co_u32 v48, vcc_lo, v52, v48
	s_delay_alu instid0(VALU_DEP_2)
	v_add_co_ci_u32_e32 v49, vcc_lo, v53, v49, vcc_lo
	s_clause 0x1
	flat_load_b32 v50, v[48:49]
	flat_load_b32 v51, v[52:53] offset:64
	s_waitcnt vmcnt(1) lgkmcnt(1)
	flat_store_b32 v[52:53], v50 offset:64
	s_waitcnt vmcnt(0) lgkmcnt(1)
	flat_store_b32 v[48:49], v51
.LBB66_350:
	s_or_b32 exec_lo, exec_lo, s6
	v_mov_b32_e32 v178, v144
	v_mov_b32_e32 v172, v144
.LBB66_351:
	s_or_b32 exec_lo, exec_lo, s3
.LBB66_352:
	s_and_not1_saveexec_b32 s2, s2
	s_cbranch_execz .LBB66_354
; %bb.353:
	v_mov_b32_e32 v178, 16
	ds_store_2addr_b64 v176, v[72:73], v[74:75] offset0:34 offset1:35
	ds_store_2addr_b64 v176, v[68:69], v[70:71] offset0:36 offset1:37
	;; [unrolled: 1-line block ×17, first 2 shown]
.LBB66_354:
	s_or_b32 exec_lo, exec_lo, s2
	s_delay_alu instid0(SALU_CYCLE_1)
	s_mov_b32 s2, exec_lo
	s_waitcnt lgkmcnt(0)
	s_waitcnt_vscnt null, 0x0
	s_barrier
	buffer_gl0_inv
	v_cmpx_lt_i32_e32 16, v178
	s_cbranch_execz .LBB66_356
; %bb.355:
	v_mul_f64 v[48:49], v[138:139], v[78:79]
	s_delay_alu instid0(VALU_DEP_1) | instskip(SKIP_1) | instid1(VALU_DEP_1)
	v_fma_f64 v[144:145], v[136:137], v[76:77], -v[48:49]
	v_mul_f64 v[48:49], v[136:137], v[78:79]
	v_fma_f64 v[78:79], v[138:139], v[76:77], v[48:49]
	ds_load_2addr_b64 v[136:139], v176 offset0:34 offset1:35
	ds_load_2addr_b64 v[146:149], v176 offset0:36 offset1:37
	s_waitcnt lgkmcnt(1)
	v_mul_f64 v[48:49], v[138:139], v[78:79]
	v_mul_f64 v[50:51], v[136:137], v[78:79]
	s_waitcnt lgkmcnt(0)
	v_mul_f64 v[52:53], v[148:149], v[78:79]
	v_mul_f64 v[54:55], v[146:147], v[78:79]
	s_delay_alu instid0(VALU_DEP_4) | instskip(NEXT) | instid1(VALU_DEP_4)
	v_fma_f64 v[48:49], v[136:137], v[144:145], -v[48:49]
	v_fma_f64 v[50:51], v[138:139], v[144:145], v[50:51]
	s_delay_alu instid0(VALU_DEP_4) | instskip(NEXT) | instid1(VALU_DEP_4)
	v_fma_f64 v[52:53], v[146:147], v[144:145], -v[52:53]
	v_fma_f64 v[54:55], v[148:149], v[144:145], v[54:55]
	ds_load_2addr_b64 v[136:139], v176 offset0:38 offset1:39
	ds_load_2addr_b64 v[146:149], v176 offset0:40 offset1:41
	s_waitcnt lgkmcnt(1)
	v_mul_f64 v[76:77], v[138:139], v[78:79]
	v_mul_f64 v[104:105], v[136:137], v[78:79]
	s_waitcnt lgkmcnt(0)
	v_mul_f64 v[106:107], v[148:149], v[78:79]
	v_mul_f64 v[124:125], v[146:147], v[78:79]
	v_add_f64 v[72:73], v[72:73], -v[48:49]
	v_add_f64 v[74:75], v[74:75], -v[50:51]
	;; [unrolled: 1-line block ×4, first 2 shown]
	v_fma_f64 v[76:77], v[136:137], v[144:145], -v[76:77]
	v_fma_f64 v[104:105], v[138:139], v[144:145], v[104:105]
	v_fma_f64 v[106:107], v[146:147], v[144:145], -v[106:107]
	v_fma_f64 v[124:125], v[148:149], v[144:145], v[124:125]
	ds_load_2addr_b64 v[136:139], v176 offset0:42 offset1:43
	ds_load_2addr_b64 v[146:149], v176 offset0:44 offset1:45
	s_waitcnt lgkmcnt(1)
	v_mul_f64 v[126:127], v[138:139], v[78:79]
	v_mul_f64 v[128:129], v[136:137], v[78:79]
	s_waitcnt lgkmcnt(0)
	v_mul_f64 v[130:131], v[148:149], v[78:79]
	v_add_f64 v[64:65], v[64:65], -v[76:77]
	v_add_f64 v[66:67], v[66:67], -v[104:105]
	;; [unrolled: 1-line block ×4, first 2 shown]
	v_dual_mov_b32 v76, v144 :: v_dual_mov_b32 v77, v145
	v_fma_f64 v[126:127], v[136:137], v[144:145], -v[126:127]
	v_mul_f64 v[136:137], v[146:147], v[78:79]
	v_fma_f64 v[128:129], v[138:139], v[144:145], v[128:129]
	v_fma_f64 v[130:131], v[146:147], v[144:145], -v[130:131]
	s_delay_alu instid0(VALU_DEP_4) | instskip(NEXT) | instid1(VALU_DEP_4)
	v_add_f64 v[56:57], v[56:57], -v[126:127]
	v_fma_f64 v[140:141], v[148:149], v[144:145], v[136:137]
	ds_load_2addr_b64 v[136:139], v176 offset0:46 offset1:47
	ds_load_2addr_b64 v[146:149], v176 offset0:48 offset1:49
	v_add_f64 v[58:59], v[58:59], -v[128:129]
	v_add_f64 v[44:45], v[44:45], -v[130:131]
	s_waitcnt lgkmcnt(1)
	v_mul_f64 v[142:143], v[138:139], v[78:79]
	v_add_f64 v[46:47], v[46:47], -v[140:141]
	s_delay_alu instid0(VALU_DEP_2) | instskip(SKIP_1) | instid1(VALU_DEP_2)
	v_fma_f64 v[142:143], v[136:137], v[144:145], -v[142:143]
	v_mul_f64 v[136:137], v[136:137], v[78:79]
	v_add_f64 v[40:41], v[40:41], -v[142:143]
	s_delay_alu instid0(VALU_DEP_2) | instskip(SKIP_2) | instid1(VALU_DEP_2)
	v_fma_f64 v[150:151], v[138:139], v[144:145], v[136:137]
	s_waitcnt lgkmcnt(0)
	v_mul_f64 v[136:137], v[148:149], v[78:79]
	v_add_f64 v[42:43], v[42:43], -v[150:151]
	s_delay_alu instid0(VALU_DEP_2) | instskip(SKIP_1) | instid1(VALU_DEP_2)
	v_fma_f64 v[152:153], v[146:147], v[144:145], -v[136:137]
	v_mul_f64 v[136:137], v[146:147], v[78:79]
	v_add_f64 v[36:37], v[36:37], -v[152:153]
	s_delay_alu instid0(VALU_DEP_2)
	v_fma_f64 v[154:155], v[148:149], v[144:145], v[136:137]
	ds_load_2addr_b64 v[136:139], v176 offset0:50 offset1:51
	ds_load_2addr_b64 v[146:149], v176 offset0:52 offset1:53
	s_waitcnt lgkmcnt(1)
	v_mul_f64 v[156:157], v[138:139], v[78:79]
	v_add_f64 v[38:39], v[38:39], -v[154:155]
	s_delay_alu instid0(VALU_DEP_2) | instskip(SKIP_1) | instid1(VALU_DEP_2)
	v_fma_f64 v[156:157], v[136:137], v[144:145], -v[156:157]
	v_mul_f64 v[136:137], v[136:137], v[78:79]
	v_add_f64 v[32:33], v[32:33], -v[156:157]
	s_delay_alu instid0(VALU_DEP_2) | instskip(SKIP_2) | instid1(VALU_DEP_2)
	v_fma_f64 v[158:159], v[138:139], v[144:145], v[136:137]
	s_waitcnt lgkmcnt(0)
	v_mul_f64 v[136:137], v[148:149], v[78:79]
	v_add_f64 v[34:35], v[34:35], -v[158:159]
	s_delay_alu instid0(VALU_DEP_2) | instskip(SKIP_1) | instid1(VALU_DEP_2)
	v_fma_f64 v[160:161], v[146:147], v[144:145], -v[136:137]
	v_mul_f64 v[136:137], v[146:147], v[78:79]
	v_add_f64 v[28:29], v[28:29], -v[160:161]
	s_delay_alu instid0(VALU_DEP_2)
	v_fma_f64 v[162:163], v[148:149], v[144:145], v[136:137]
	ds_load_2addr_b64 v[136:139], v176 offset0:54 offset1:55
	ds_load_2addr_b64 v[146:149], v176 offset0:56 offset1:57
	;; [unrolled: 20-line block ×4, first 2 shown]
	s_waitcnt lgkmcnt(1)
	v_mul_f64 v[187:188], v[138:139], v[78:79]
	v_add_f64 v[14:15], v[14:15], -v[185:186]
	s_delay_alu instid0(VALU_DEP_2) | instskip(SKIP_1) | instid1(VALU_DEP_2)
	v_fma_f64 v[187:188], v[136:137], v[144:145], -v[187:188]
	v_mul_f64 v[136:137], v[136:137], v[78:79]
	v_add_f64 v[8:9], v[8:9], -v[187:188]
	s_delay_alu instid0(VALU_DEP_2) | instskip(SKIP_2) | instid1(VALU_DEP_2)
	v_fma_f64 v[189:190], v[138:139], v[144:145], v[136:137]
	s_waitcnt lgkmcnt(0)
	v_mul_f64 v[136:137], v[148:149], v[78:79]
	v_add_f64 v[10:11], v[10:11], -v[189:190]
	s_delay_alu instid0(VALU_DEP_2) | instskip(SKIP_1) | instid1(VALU_DEP_2)
	v_fma_f64 v[191:192], v[146:147], v[144:145], -v[136:137]
	v_mul_f64 v[136:137], v[146:147], v[78:79]
	v_add_f64 v[4:5], v[4:5], -v[191:192]
	s_delay_alu instid0(VALU_DEP_2) | instskip(SKIP_4) | instid1(VALU_DEP_2)
	v_fma_f64 v[146:147], v[148:149], v[144:145], v[136:137]
	ds_load_2addr_b64 v[136:139], v176 offset0:66 offset1:67
	s_waitcnt lgkmcnt(0)
	v_mul_f64 v[148:149], v[138:139], v[78:79]
	v_add_f64 v[6:7], v[6:7], -v[146:147]
	v_fma_f64 v[148:149], v[136:137], v[144:145], -v[148:149]
	v_mul_f64 v[136:137], v[136:137], v[78:79]
	s_delay_alu instid0(VALU_DEP_2) | instskip(NEXT) | instid1(VALU_DEP_2)
	v_add_f64 v[243:244], v[243:244], -v[148:149]
	v_fma_f64 v[136:137], v[138:139], v[144:145], v[136:137]
	s_delay_alu instid0(VALU_DEP_1)
	v_add_f64 v[245:246], v[245:246], -v[136:137]
.LBB66_356:
	s_or_b32 exec_lo, exec_lo, s2
	v_lshl_add_u32 v48, v178, 4, v176
	s_barrier
	buffer_gl0_inv
	v_mov_b32_e32 v144, 17
	ds_store_2addr_b64 v48, v[72:73], v[74:75] offset1:1
	s_waitcnt lgkmcnt(0)
	s_barrier
	buffer_gl0_inv
	ds_load_2addr_b64 v[136:139], v176 offset0:34 offset1:35
	s_cmp_lt_i32 s5, 19
	s_cbranch_scc1 .LBB66_359
; %bb.357:
	v_add3_u32 v145, v174, 0, 0x120
	v_mov_b32_e32 v144, 17
	s_mov_b32 s6, 18
	s_set_inst_prefetch_distance 0x1
	.p2align	6
.LBB66_358:                             ; =>This Inner Loop Header: Depth=1
	ds_load_2addr_b64 v[146:149], v145 offset1:1
	s_waitcnt lgkmcnt(1)
	v_cmp_gt_f64_e32 vcc_lo, 0, v[136:137]
	v_xor_b32_e32 v48, 0x80000000, v137
	v_cmp_gt_f64_e64 s2, 0, v[138:139]
	v_xor_b32_e32 v50, 0x80000000, v139
	v_add_nc_u32_e32 v145, 16, v145
	s_waitcnt lgkmcnt(0)
	v_cmp_gt_f64_e64 s3, 0, v[146:147]
	v_mov_b32_e32 v52, v146
	v_dual_mov_b32 v54, v148 :: v_dual_cndmask_b32 v49, v137, v48
	v_xor_b32_e32 v48, 0x80000000, v147
	v_cndmask_b32_e64 v51, v139, v50, s2
	v_xor_b32_e32 v50, 0x80000000, v149
	s_delay_alu instid0(VALU_DEP_3) | instskip(SKIP_2) | instid1(VALU_DEP_2)
	v_cndmask_b32_e64 v53, v147, v48, s3
	v_cmp_gt_f64_e64 s3, 0, v[148:149]
	v_cndmask_b32_e32 v48, v136, v136, vcc_lo
	v_cndmask_b32_e64 v55, v149, v50, s3
	v_cndmask_b32_e64 v50, v138, v138, s2
	s_delay_alu instid0(VALU_DEP_2) | instskip(NEXT) | instid1(VALU_DEP_2)
	v_add_f64 v[52:53], v[52:53], v[54:55]
	v_add_f64 v[48:49], v[48:49], v[50:51]
	s_delay_alu instid0(VALU_DEP_1)
	v_cmp_lt_f64_e32 vcc_lo, v[48:49], v[52:53]
	v_cndmask_b32_e32 v139, v139, v149, vcc_lo
	v_dual_cndmask_b32 v137, v137, v147 :: v_dual_cndmask_b32 v136, v136, v146
	v_cndmask_b32_e32 v138, v138, v148, vcc_lo
	v_cndmask_b32_e64 v144, v144, s6, vcc_lo
	s_add_i32 s6, s6, 1
	s_delay_alu instid0(SALU_CYCLE_1)
	s_cmp_lg_u32 s5, s6
	s_cbranch_scc1 .LBB66_358
.LBB66_359:
	s_set_inst_prefetch_distance 0x2
	s_waitcnt lgkmcnt(0)
	v_cmp_eq_f64_e32 vcc_lo, 0, v[136:137]
	v_cmp_eq_f64_e64 s2, 0, v[138:139]
	s_delay_alu instid0(VALU_DEP_1) | instskip(NEXT) | instid1(SALU_CYCLE_1)
	s_and_b32 s2, vcc_lo, s2
	s_and_saveexec_b32 s3, s2
	s_delay_alu instid0(SALU_CYCLE_1)
	s_xor_b32 s2, exec_lo, s3
; %bb.360:
	v_cmp_ne_u32_e32 vcc_lo, 0, v255
	v_cndmask_b32_e32 v255, 18, v255, vcc_lo
; %bb.361:
	s_and_not1_saveexec_b32 s3, s2
	s_cbranch_execz .LBB66_367
; %bb.362:
	v_cmp_gt_f64_e32 vcc_lo, 0, v[136:137]
	v_cmp_gt_f64_e64 s2, 0, v[138:139]
	v_xor_b32_e32 v48, 0x80000000, v137
	v_xor_b32_e32 v50, 0x80000000, v139
	s_delay_alu instid0(VALU_DEP_2) | instskip(NEXT) | instid1(VALU_DEP_2)
	v_cndmask_b32_e32 v49, v137, v48, vcc_lo
	v_cndmask_b32_e64 v51, v139, v50, s2
	v_cndmask_b32_e32 v48, v136, v136, vcc_lo
	v_cndmask_b32_e64 v50, v138, v138, s2
	s_mov_b32 s2, exec_lo
	s_delay_alu instid0(VALU_DEP_1)
	v_cmpx_ngt_f64_e32 v[48:49], v[50:51]
	s_xor_b32 s2, exec_lo, s2
	s_cbranch_execz .LBB66_364
; %bb.363:
	v_div_scale_f64 v[48:49], null, v[138:139], v[138:139], v[136:137]
	v_div_scale_f64 v[54:55], vcc_lo, v[136:137], v[138:139], v[136:137]
	s_delay_alu instid0(VALU_DEP_2) | instskip(SKIP_2) | instid1(VALU_DEP_1)
	v_rcp_f64_e32 v[50:51], v[48:49]
	s_waitcnt_depctr 0xfff
	v_fma_f64 v[52:53], -v[48:49], v[50:51], 1.0
	v_fma_f64 v[50:51], v[50:51], v[52:53], v[50:51]
	s_delay_alu instid0(VALU_DEP_1) | instskip(NEXT) | instid1(VALU_DEP_1)
	v_fma_f64 v[52:53], -v[48:49], v[50:51], 1.0
	v_fma_f64 v[50:51], v[50:51], v[52:53], v[50:51]
	s_delay_alu instid0(VALU_DEP_1) | instskip(NEXT) | instid1(VALU_DEP_1)
	v_mul_f64 v[52:53], v[54:55], v[50:51]
	v_fma_f64 v[48:49], -v[48:49], v[52:53], v[54:55]
	s_delay_alu instid0(VALU_DEP_1) | instskip(NEXT) | instid1(VALU_DEP_1)
	v_div_fmas_f64 v[48:49], v[48:49], v[50:51], v[52:53]
	v_div_fixup_f64 v[48:49], v[48:49], v[138:139], v[136:137]
	s_delay_alu instid0(VALU_DEP_1) | instskip(NEXT) | instid1(VALU_DEP_1)
	v_fma_f64 v[50:51], v[136:137], v[48:49], v[138:139]
	v_div_scale_f64 v[52:53], null, v[50:51], v[50:51], 1.0
	s_delay_alu instid0(VALU_DEP_1) | instskip(SKIP_2) | instid1(VALU_DEP_1)
	v_rcp_f64_e32 v[54:55], v[52:53]
	s_waitcnt_depctr 0xfff
	v_fma_f64 v[104:105], -v[52:53], v[54:55], 1.0
	v_fma_f64 v[54:55], v[54:55], v[104:105], v[54:55]
	s_delay_alu instid0(VALU_DEP_1) | instskip(NEXT) | instid1(VALU_DEP_1)
	v_fma_f64 v[104:105], -v[52:53], v[54:55], 1.0
	v_fma_f64 v[54:55], v[54:55], v[104:105], v[54:55]
	v_div_scale_f64 v[104:105], vcc_lo, 1.0, v[50:51], 1.0
	s_delay_alu instid0(VALU_DEP_1) | instskip(NEXT) | instid1(VALU_DEP_1)
	v_mul_f64 v[106:107], v[104:105], v[54:55]
	v_fma_f64 v[52:53], -v[52:53], v[106:107], v[104:105]
	s_delay_alu instid0(VALU_DEP_1) | instskip(NEXT) | instid1(VALU_DEP_1)
	v_div_fmas_f64 v[52:53], v[52:53], v[54:55], v[106:107]
	v_div_fixup_f64 v[138:139], v[52:53], v[50:51], 1.0
	s_delay_alu instid0(VALU_DEP_1)
	v_mul_f64 v[136:137], v[48:49], v[138:139]
	v_xor_b32_e32 v139, 0x80000000, v139
.LBB66_364:
	s_and_not1_saveexec_b32 s2, s2
	s_cbranch_execz .LBB66_366
; %bb.365:
	s_delay_alu instid0(VALU_DEP_1) | instskip(SKIP_1) | instid1(VALU_DEP_2)
	v_div_scale_f64 v[48:49], null, v[136:137], v[136:137], v[138:139]
	v_div_scale_f64 v[54:55], vcc_lo, v[138:139], v[136:137], v[138:139]
	v_rcp_f64_e32 v[50:51], v[48:49]
	s_waitcnt_depctr 0xfff
	v_fma_f64 v[52:53], -v[48:49], v[50:51], 1.0
	s_delay_alu instid0(VALU_DEP_1) | instskip(NEXT) | instid1(VALU_DEP_1)
	v_fma_f64 v[50:51], v[50:51], v[52:53], v[50:51]
	v_fma_f64 v[52:53], -v[48:49], v[50:51], 1.0
	s_delay_alu instid0(VALU_DEP_1) | instskip(NEXT) | instid1(VALU_DEP_1)
	v_fma_f64 v[50:51], v[50:51], v[52:53], v[50:51]
	v_mul_f64 v[52:53], v[54:55], v[50:51]
	s_delay_alu instid0(VALU_DEP_1) | instskip(NEXT) | instid1(VALU_DEP_1)
	v_fma_f64 v[48:49], -v[48:49], v[52:53], v[54:55]
	v_div_fmas_f64 v[48:49], v[48:49], v[50:51], v[52:53]
	s_delay_alu instid0(VALU_DEP_1) | instskip(NEXT) | instid1(VALU_DEP_1)
	v_div_fixup_f64 v[48:49], v[48:49], v[136:137], v[138:139]
	v_fma_f64 v[50:51], v[138:139], v[48:49], v[136:137]
	s_delay_alu instid0(VALU_DEP_1) | instskip(NEXT) | instid1(VALU_DEP_1)
	v_div_scale_f64 v[52:53], null, v[50:51], v[50:51], 1.0
	v_rcp_f64_e32 v[54:55], v[52:53]
	s_waitcnt_depctr 0xfff
	v_fma_f64 v[104:105], -v[52:53], v[54:55], 1.0
	s_delay_alu instid0(VALU_DEP_1) | instskip(NEXT) | instid1(VALU_DEP_1)
	v_fma_f64 v[54:55], v[54:55], v[104:105], v[54:55]
	v_fma_f64 v[104:105], -v[52:53], v[54:55], 1.0
	s_delay_alu instid0(VALU_DEP_1) | instskip(SKIP_1) | instid1(VALU_DEP_1)
	v_fma_f64 v[54:55], v[54:55], v[104:105], v[54:55]
	v_div_scale_f64 v[104:105], vcc_lo, 1.0, v[50:51], 1.0
	v_mul_f64 v[106:107], v[104:105], v[54:55]
	s_delay_alu instid0(VALU_DEP_1) | instskip(NEXT) | instid1(VALU_DEP_1)
	v_fma_f64 v[52:53], -v[52:53], v[106:107], v[104:105]
	v_div_fmas_f64 v[52:53], v[52:53], v[54:55], v[106:107]
	s_delay_alu instid0(VALU_DEP_1) | instskip(NEXT) | instid1(VALU_DEP_1)
	v_div_fixup_f64 v[136:137], v[52:53], v[50:51], 1.0
	v_mul_f64 v[138:139], v[48:49], -v[136:137]
.LBB66_366:
	s_or_b32 exec_lo, exec_lo, s2
.LBB66_367:
	s_delay_alu instid0(SALU_CYCLE_1) | instskip(NEXT) | instid1(SALU_CYCLE_1)
	s_or_b32 exec_lo, exec_lo, s3
	s_mov_b32 s2, exec_lo
	v_cmpx_ne_u32_e64 v178, v144
	s_xor_b32 s2, exec_lo, s2
	s_cbranch_execz .LBB66_373
; %bb.368:
	s_mov_b32 s3, exec_lo
	v_cmpx_eq_u32_e32 17, v178
	s_cbranch_execz .LBB66_372
; %bb.369:
	v_cmp_ne_u32_e32 vcc_lo, 17, v144
	s_xor_b32 s6, s4, -1
	s_delay_alu instid0(SALU_CYCLE_1) | instskip(NEXT) | instid1(SALU_CYCLE_1)
	s_and_b32 s7, s6, vcc_lo
	s_and_saveexec_b32 s6, s7
	s_cbranch_execz .LBB66_371
; %bb.370:
	scratch_load_b64 v[52:53], off, off offset:32 ; 8-byte Folded Reload
	v_ashrrev_i32_e32 v145, 31, v144
	s_delay_alu instid0(VALU_DEP_1) | instskip(SKIP_1) | instid1(VALU_DEP_1)
	v_lshlrev_b64 v[48:49], 2, v[144:145]
	s_waitcnt vmcnt(0)
	v_add_co_u32 v48, vcc_lo, v52, v48
	s_delay_alu instid0(VALU_DEP_2)
	v_add_co_ci_u32_e32 v49, vcc_lo, v53, v49, vcc_lo
	s_clause 0x1
	flat_load_b32 v50, v[48:49]
	flat_load_b32 v51, v[52:53] offset:68
	s_waitcnt vmcnt(1) lgkmcnt(1)
	flat_store_b32 v[52:53], v50 offset:68
	s_waitcnt vmcnt(0) lgkmcnt(1)
	flat_store_b32 v[48:49], v51
.LBB66_371:
	s_or_b32 exec_lo, exec_lo, s6
	v_mov_b32_e32 v178, v144
	v_mov_b32_e32 v172, v144
.LBB66_372:
	s_or_b32 exec_lo, exec_lo, s3
.LBB66_373:
	s_and_not1_saveexec_b32 s2, s2
	s_cbranch_execz .LBB66_375
; %bb.374:
	v_mov_b32_e32 v178, 17
	ds_store_2addr_b64 v176, v[68:69], v[70:71] offset0:36 offset1:37
	ds_store_2addr_b64 v176, v[64:65], v[66:67] offset0:38 offset1:39
	;; [unrolled: 1-line block ×16, first 2 shown]
.LBB66_375:
	s_or_b32 exec_lo, exec_lo, s2
	s_delay_alu instid0(SALU_CYCLE_1)
	s_mov_b32 s2, exec_lo
	s_waitcnt lgkmcnt(0)
	s_waitcnt_vscnt null, 0x0
	s_barrier
	buffer_gl0_inv
	v_cmpx_lt_i32_e32 17, v178
	s_cbranch_execz .LBB66_377
; %bb.376:
	v_mul_f64 v[48:49], v[136:137], v[74:75]
	s_delay_alu instid0(VALU_DEP_1) | instskip(SKIP_1) | instid1(VALU_DEP_1)
	v_fma_f64 v[144:145], v[138:139], v[72:73], v[48:49]
	v_mul_f64 v[48:49], v[138:139], v[74:75]
	v_fma_f64 v[72:73], v[136:137], v[72:73], -v[48:49]
	ds_load_2addr_b64 v[136:139], v176 offset0:36 offset1:37
	ds_load_2addr_b64 v[146:149], v176 offset0:38 offset1:39
	s_waitcnt lgkmcnt(1)
	v_mul_f64 v[48:49], v[138:139], v[144:145]
	v_mul_f64 v[50:51], v[136:137], v[144:145]
	s_waitcnt lgkmcnt(0)
	v_mul_f64 v[52:53], v[148:149], v[144:145]
	v_mul_f64 v[54:55], v[146:147], v[144:145]
	s_delay_alu instid0(VALU_DEP_4) | instskip(NEXT) | instid1(VALU_DEP_4)
	v_fma_f64 v[48:49], v[136:137], v[72:73], -v[48:49]
	v_fma_f64 v[50:51], v[138:139], v[72:73], v[50:51]
	s_delay_alu instid0(VALU_DEP_4) | instskip(NEXT) | instid1(VALU_DEP_4)
	v_fma_f64 v[52:53], v[146:147], v[72:73], -v[52:53]
	v_fma_f64 v[54:55], v[148:149], v[72:73], v[54:55]
	ds_load_2addr_b64 v[136:139], v176 offset0:40 offset1:41
	ds_load_2addr_b64 v[146:149], v176 offset0:42 offset1:43
	s_waitcnt lgkmcnt(1)
	v_mul_f64 v[74:75], v[138:139], v[144:145]
	v_mul_f64 v[104:105], v[136:137], v[144:145]
	s_waitcnt lgkmcnt(0)
	v_mul_f64 v[106:107], v[148:149], v[144:145]
	v_mul_f64 v[124:125], v[146:147], v[144:145]
	v_add_f64 v[68:69], v[68:69], -v[48:49]
	v_add_f64 v[70:71], v[70:71], -v[50:51]
	;; [unrolled: 1-line block ×4, first 2 shown]
	v_fma_f64 v[74:75], v[136:137], v[72:73], -v[74:75]
	v_fma_f64 v[104:105], v[138:139], v[72:73], v[104:105]
	v_fma_f64 v[106:107], v[146:147], v[72:73], -v[106:107]
	v_fma_f64 v[124:125], v[148:149], v[72:73], v[124:125]
	ds_load_2addr_b64 v[136:139], v176 offset0:44 offset1:45
	ds_load_2addr_b64 v[146:149], v176 offset0:46 offset1:47
	s_waitcnt lgkmcnt(1)
	v_mul_f64 v[126:127], v[138:139], v[144:145]
	v_mul_f64 v[128:129], v[136:137], v[144:145]
	s_waitcnt lgkmcnt(0)
	v_mul_f64 v[130:131], v[148:149], v[144:145]
	v_add_f64 v[60:61], v[60:61], -v[74:75]
	v_add_f64 v[62:63], v[62:63], -v[104:105]
	;; [unrolled: 1-line block ×4, first 2 shown]
	v_dual_mov_b32 v74, v144 :: v_dual_mov_b32 v75, v145
	v_fma_f64 v[126:127], v[136:137], v[72:73], -v[126:127]
	v_mul_f64 v[136:137], v[146:147], v[144:145]
	v_fma_f64 v[128:129], v[138:139], v[72:73], v[128:129]
	v_fma_f64 v[130:131], v[146:147], v[72:73], -v[130:131]
	s_delay_alu instid0(VALU_DEP_4) | instskip(NEXT) | instid1(VALU_DEP_4)
	v_add_f64 v[44:45], v[44:45], -v[126:127]
	v_fma_f64 v[140:141], v[148:149], v[72:73], v[136:137]
	ds_load_2addr_b64 v[136:139], v176 offset0:48 offset1:49
	ds_load_2addr_b64 v[146:149], v176 offset0:50 offset1:51
	v_add_f64 v[46:47], v[46:47], -v[128:129]
	v_add_f64 v[40:41], v[40:41], -v[130:131]
	s_waitcnt lgkmcnt(1)
	v_mul_f64 v[142:143], v[138:139], v[144:145]
	v_add_f64 v[42:43], v[42:43], -v[140:141]
	s_delay_alu instid0(VALU_DEP_2) | instskip(SKIP_1) | instid1(VALU_DEP_2)
	v_fma_f64 v[142:143], v[136:137], v[72:73], -v[142:143]
	v_mul_f64 v[136:137], v[136:137], v[144:145]
	v_add_f64 v[36:37], v[36:37], -v[142:143]
	s_delay_alu instid0(VALU_DEP_2) | instskip(SKIP_2) | instid1(VALU_DEP_2)
	v_fma_f64 v[150:151], v[138:139], v[72:73], v[136:137]
	s_waitcnt lgkmcnt(0)
	v_mul_f64 v[136:137], v[148:149], v[144:145]
	v_add_f64 v[38:39], v[38:39], -v[150:151]
	s_delay_alu instid0(VALU_DEP_2) | instskip(SKIP_1) | instid1(VALU_DEP_2)
	v_fma_f64 v[152:153], v[146:147], v[72:73], -v[136:137]
	v_mul_f64 v[136:137], v[146:147], v[144:145]
	v_add_f64 v[32:33], v[32:33], -v[152:153]
	s_delay_alu instid0(VALU_DEP_2)
	v_fma_f64 v[154:155], v[148:149], v[72:73], v[136:137]
	ds_load_2addr_b64 v[136:139], v176 offset0:52 offset1:53
	ds_load_2addr_b64 v[146:149], v176 offset0:54 offset1:55
	s_waitcnt lgkmcnt(1)
	v_mul_f64 v[156:157], v[138:139], v[144:145]
	v_add_f64 v[34:35], v[34:35], -v[154:155]
	s_delay_alu instid0(VALU_DEP_2) | instskip(SKIP_1) | instid1(VALU_DEP_2)
	v_fma_f64 v[156:157], v[136:137], v[72:73], -v[156:157]
	v_mul_f64 v[136:137], v[136:137], v[144:145]
	v_add_f64 v[28:29], v[28:29], -v[156:157]
	s_delay_alu instid0(VALU_DEP_2) | instskip(SKIP_2) | instid1(VALU_DEP_2)
	v_fma_f64 v[158:159], v[138:139], v[72:73], v[136:137]
	s_waitcnt lgkmcnt(0)
	v_mul_f64 v[136:137], v[148:149], v[144:145]
	v_add_f64 v[30:31], v[30:31], -v[158:159]
	s_delay_alu instid0(VALU_DEP_2) | instskip(SKIP_1) | instid1(VALU_DEP_2)
	v_fma_f64 v[160:161], v[146:147], v[72:73], -v[136:137]
	v_mul_f64 v[136:137], v[146:147], v[144:145]
	v_add_f64 v[24:25], v[24:25], -v[160:161]
	s_delay_alu instid0(VALU_DEP_2)
	v_fma_f64 v[162:163], v[148:149], v[72:73], v[136:137]
	ds_load_2addr_b64 v[136:139], v176 offset0:56 offset1:57
	ds_load_2addr_b64 v[146:149], v176 offset0:58 offset1:59
	;; [unrolled: 20-line block ×4, first 2 shown]
	s_waitcnt lgkmcnt(1)
	v_mul_f64 v[187:188], v[138:139], v[144:145]
	v_add_f64 v[10:11], v[10:11], -v[185:186]
	s_delay_alu instid0(VALU_DEP_2) | instskip(SKIP_1) | instid1(VALU_DEP_2)
	v_fma_f64 v[187:188], v[136:137], v[72:73], -v[187:188]
	v_mul_f64 v[136:137], v[136:137], v[144:145]
	v_add_f64 v[4:5], v[4:5], -v[187:188]
	s_delay_alu instid0(VALU_DEP_2) | instskip(SKIP_2) | instid1(VALU_DEP_2)
	v_fma_f64 v[136:137], v[138:139], v[72:73], v[136:137]
	s_waitcnt lgkmcnt(0)
	v_mul_f64 v[138:139], v[148:149], v[144:145]
	v_add_f64 v[6:7], v[6:7], -v[136:137]
	s_delay_alu instid0(VALU_DEP_2) | instskip(SKIP_1) | instid1(VALU_DEP_2)
	v_fma_f64 v[138:139], v[146:147], v[72:73], -v[138:139]
	v_mul_f64 v[146:147], v[146:147], v[144:145]
	v_add_f64 v[243:244], v[243:244], -v[138:139]
	s_delay_alu instid0(VALU_DEP_2) | instskip(NEXT) | instid1(VALU_DEP_1)
	v_fma_f64 v[146:147], v[148:149], v[72:73], v[146:147]
	v_add_f64 v[245:246], v[245:246], -v[146:147]
.LBB66_377:
	s_or_b32 exec_lo, exec_lo, s2
	v_lshl_add_u32 v48, v178, 4, v176
	s_barrier
	buffer_gl0_inv
	v_mov_b32_e32 v144, 18
	ds_store_2addr_b64 v48, v[68:69], v[70:71] offset1:1
	s_waitcnt lgkmcnt(0)
	s_barrier
	buffer_gl0_inv
	ds_load_2addr_b64 v[136:139], v176 offset0:36 offset1:37
	s_cmp_lt_i32 s5, 20
	s_cbranch_scc1 .LBB66_380
; %bb.378:
	v_add3_u32 v145, v174, 0, 0x130
	v_mov_b32_e32 v144, 18
	s_mov_b32 s6, 19
	s_set_inst_prefetch_distance 0x1
	.p2align	6
.LBB66_379:                             ; =>This Inner Loop Header: Depth=1
	ds_load_2addr_b64 v[146:149], v145 offset1:1
	s_waitcnt lgkmcnt(1)
	v_cmp_gt_f64_e32 vcc_lo, 0, v[136:137]
	v_xor_b32_e32 v48, 0x80000000, v137
	v_cmp_gt_f64_e64 s2, 0, v[138:139]
	v_xor_b32_e32 v50, 0x80000000, v139
	v_add_nc_u32_e32 v145, 16, v145
	s_waitcnt lgkmcnt(0)
	v_cmp_gt_f64_e64 s3, 0, v[146:147]
	v_mov_b32_e32 v52, v146
	v_dual_mov_b32 v54, v148 :: v_dual_cndmask_b32 v49, v137, v48
	v_xor_b32_e32 v48, 0x80000000, v147
	v_cndmask_b32_e64 v51, v139, v50, s2
	v_xor_b32_e32 v50, 0x80000000, v149
	s_delay_alu instid0(VALU_DEP_3) | instskip(SKIP_2) | instid1(VALU_DEP_2)
	v_cndmask_b32_e64 v53, v147, v48, s3
	v_cmp_gt_f64_e64 s3, 0, v[148:149]
	v_cndmask_b32_e32 v48, v136, v136, vcc_lo
	v_cndmask_b32_e64 v55, v149, v50, s3
	v_cndmask_b32_e64 v50, v138, v138, s2
	s_delay_alu instid0(VALU_DEP_2) | instskip(NEXT) | instid1(VALU_DEP_2)
	v_add_f64 v[52:53], v[52:53], v[54:55]
	v_add_f64 v[48:49], v[48:49], v[50:51]
	s_delay_alu instid0(VALU_DEP_1)
	v_cmp_lt_f64_e32 vcc_lo, v[48:49], v[52:53]
	v_cndmask_b32_e32 v139, v139, v149, vcc_lo
	v_dual_cndmask_b32 v137, v137, v147 :: v_dual_cndmask_b32 v136, v136, v146
	v_cndmask_b32_e32 v138, v138, v148, vcc_lo
	v_cndmask_b32_e64 v144, v144, s6, vcc_lo
	s_add_i32 s6, s6, 1
	s_delay_alu instid0(SALU_CYCLE_1)
	s_cmp_lg_u32 s5, s6
	s_cbranch_scc1 .LBB66_379
.LBB66_380:
	s_set_inst_prefetch_distance 0x2
	s_waitcnt lgkmcnt(0)
	v_cmp_eq_f64_e32 vcc_lo, 0, v[136:137]
	v_cmp_eq_f64_e64 s2, 0, v[138:139]
	s_delay_alu instid0(VALU_DEP_1) | instskip(NEXT) | instid1(SALU_CYCLE_1)
	s_and_b32 s2, vcc_lo, s2
	s_and_saveexec_b32 s3, s2
	s_delay_alu instid0(SALU_CYCLE_1)
	s_xor_b32 s2, exec_lo, s3
; %bb.381:
	v_cmp_ne_u32_e32 vcc_lo, 0, v255
	v_cndmask_b32_e32 v255, 19, v255, vcc_lo
; %bb.382:
	s_and_not1_saveexec_b32 s3, s2
	s_cbranch_execz .LBB66_388
; %bb.383:
	v_cmp_gt_f64_e32 vcc_lo, 0, v[136:137]
	v_cmp_gt_f64_e64 s2, 0, v[138:139]
	v_xor_b32_e32 v48, 0x80000000, v137
	v_xor_b32_e32 v50, 0x80000000, v139
	s_delay_alu instid0(VALU_DEP_2) | instskip(NEXT) | instid1(VALU_DEP_2)
	v_cndmask_b32_e32 v49, v137, v48, vcc_lo
	v_cndmask_b32_e64 v51, v139, v50, s2
	v_cndmask_b32_e32 v48, v136, v136, vcc_lo
	v_cndmask_b32_e64 v50, v138, v138, s2
	s_mov_b32 s2, exec_lo
	s_delay_alu instid0(VALU_DEP_1)
	v_cmpx_ngt_f64_e32 v[48:49], v[50:51]
	s_xor_b32 s2, exec_lo, s2
	s_cbranch_execz .LBB66_385
; %bb.384:
	v_div_scale_f64 v[48:49], null, v[138:139], v[138:139], v[136:137]
	v_div_scale_f64 v[54:55], vcc_lo, v[136:137], v[138:139], v[136:137]
	s_delay_alu instid0(VALU_DEP_2) | instskip(SKIP_2) | instid1(VALU_DEP_1)
	v_rcp_f64_e32 v[50:51], v[48:49]
	s_waitcnt_depctr 0xfff
	v_fma_f64 v[52:53], -v[48:49], v[50:51], 1.0
	v_fma_f64 v[50:51], v[50:51], v[52:53], v[50:51]
	s_delay_alu instid0(VALU_DEP_1) | instskip(NEXT) | instid1(VALU_DEP_1)
	v_fma_f64 v[52:53], -v[48:49], v[50:51], 1.0
	v_fma_f64 v[50:51], v[50:51], v[52:53], v[50:51]
	s_delay_alu instid0(VALU_DEP_1) | instskip(NEXT) | instid1(VALU_DEP_1)
	v_mul_f64 v[52:53], v[54:55], v[50:51]
	v_fma_f64 v[48:49], -v[48:49], v[52:53], v[54:55]
	s_delay_alu instid0(VALU_DEP_1) | instskip(NEXT) | instid1(VALU_DEP_1)
	v_div_fmas_f64 v[48:49], v[48:49], v[50:51], v[52:53]
	v_div_fixup_f64 v[48:49], v[48:49], v[138:139], v[136:137]
	s_delay_alu instid0(VALU_DEP_1) | instskip(NEXT) | instid1(VALU_DEP_1)
	v_fma_f64 v[50:51], v[136:137], v[48:49], v[138:139]
	v_div_scale_f64 v[52:53], null, v[50:51], v[50:51], 1.0
	s_delay_alu instid0(VALU_DEP_1) | instskip(SKIP_2) | instid1(VALU_DEP_1)
	v_rcp_f64_e32 v[54:55], v[52:53]
	s_waitcnt_depctr 0xfff
	v_fma_f64 v[104:105], -v[52:53], v[54:55], 1.0
	v_fma_f64 v[54:55], v[54:55], v[104:105], v[54:55]
	s_delay_alu instid0(VALU_DEP_1) | instskip(NEXT) | instid1(VALU_DEP_1)
	v_fma_f64 v[104:105], -v[52:53], v[54:55], 1.0
	v_fma_f64 v[54:55], v[54:55], v[104:105], v[54:55]
	v_div_scale_f64 v[104:105], vcc_lo, 1.0, v[50:51], 1.0
	s_delay_alu instid0(VALU_DEP_1) | instskip(NEXT) | instid1(VALU_DEP_1)
	v_mul_f64 v[106:107], v[104:105], v[54:55]
	v_fma_f64 v[52:53], -v[52:53], v[106:107], v[104:105]
	s_delay_alu instid0(VALU_DEP_1) | instskip(NEXT) | instid1(VALU_DEP_1)
	v_div_fmas_f64 v[52:53], v[52:53], v[54:55], v[106:107]
	v_div_fixup_f64 v[138:139], v[52:53], v[50:51], 1.0
	s_delay_alu instid0(VALU_DEP_1)
	v_mul_f64 v[136:137], v[48:49], v[138:139]
	v_xor_b32_e32 v139, 0x80000000, v139
.LBB66_385:
	s_and_not1_saveexec_b32 s2, s2
	s_cbranch_execz .LBB66_387
; %bb.386:
	s_delay_alu instid0(VALU_DEP_1) | instskip(SKIP_1) | instid1(VALU_DEP_2)
	v_div_scale_f64 v[48:49], null, v[136:137], v[136:137], v[138:139]
	v_div_scale_f64 v[54:55], vcc_lo, v[138:139], v[136:137], v[138:139]
	v_rcp_f64_e32 v[50:51], v[48:49]
	s_waitcnt_depctr 0xfff
	v_fma_f64 v[52:53], -v[48:49], v[50:51], 1.0
	s_delay_alu instid0(VALU_DEP_1) | instskip(NEXT) | instid1(VALU_DEP_1)
	v_fma_f64 v[50:51], v[50:51], v[52:53], v[50:51]
	v_fma_f64 v[52:53], -v[48:49], v[50:51], 1.0
	s_delay_alu instid0(VALU_DEP_1) | instskip(NEXT) | instid1(VALU_DEP_1)
	v_fma_f64 v[50:51], v[50:51], v[52:53], v[50:51]
	v_mul_f64 v[52:53], v[54:55], v[50:51]
	s_delay_alu instid0(VALU_DEP_1) | instskip(NEXT) | instid1(VALU_DEP_1)
	v_fma_f64 v[48:49], -v[48:49], v[52:53], v[54:55]
	v_div_fmas_f64 v[48:49], v[48:49], v[50:51], v[52:53]
	s_delay_alu instid0(VALU_DEP_1) | instskip(NEXT) | instid1(VALU_DEP_1)
	v_div_fixup_f64 v[48:49], v[48:49], v[136:137], v[138:139]
	v_fma_f64 v[50:51], v[138:139], v[48:49], v[136:137]
	s_delay_alu instid0(VALU_DEP_1) | instskip(NEXT) | instid1(VALU_DEP_1)
	v_div_scale_f64 v[52:53], null, v[50:51], v[50:51], 1.0
	v_rcp_f64_e32 v[54:55], v[52:53]
	s_waitcnt_depctr 0xfff
	v_fma_f64 v[104:105], -v[52:53], v[54:55], 1.0
	s_delay_alu instid0(VALU_DEP_1) | instskip(NEXT) | instid1(VALU_DEP_1)
	v_fma_f64 v[54:55], v[54:55], v[104:105], v[54:55]
	v_fma_f64 v[104:105], -v[52:53], v[54:55], 1.0
	s_delay_alu instid0(VALU_DEP_1) | instskip(SKIP_1) | instid1(VALU_DEP_1)
	v_fma_f64 v[54:55], v[54:55], v[104:105], v[54:55]
	v_div_scale_f64 v[104:105], vcc_lo, 1.0, v[50:51], 1.0
	v_mul_f64 v[106:107], v[104:105], v[54:55]
	s_delay_alu instid0(VALU_DEP_1) | instskip(NEXT) | instid1(VALU_DEP_1)
	v_fma_f64 v[52:53], -v[52:53], v[106:107], v[104:105]
	v_div_fmas_f64 v[52:53], v[52:53], v[54:55], v[106:107]
	s_delay_alu instid0(VALU_DEP_1) | instskip(NEXT) | instid1(VALU_DEP_1)
	v_div_fixup_f64 v[136:137], v[52:53], v[50:51], 1.0
	v_mul_f64 v[138:139], v[48:49], -v[136:137]
.LBB66_387:
	s_or_b32 exec_lo, exec_lo, s2
.LBB66_388:
	s_delay_alu instid0(SALU_CYCLE_1) | instskip(NEXT) | instid1(SALU_CYCLE_1)
	s_or_b32 exec_lo, exec_lo, s3
	s_mov_b32 s2, exec_lo
	v_cmpx_ne_u32_e64 v178, v144
	s_xor_b32 s2, exec_lo, s2
	s_cbranch_execz .LBB66_394
; %bb.389:
	s_mov_b32 s3, exec_lo
	v_cmpx_eq_u32_e32 18, v178
	s_cbranch_execz .LBB66_393
; %bb.390:
	v_cmp_ne_u32_e32 vcc_lo, 18, v144
	s_xor_b32 s6, s4, -1
	s_delay_alu instid0(SALU_CYCLE_1) | instskip(NEXT) | instid1(SALU_CYCLE_1)
	s_and_b32 s7, s6, vcc_lo
	s_and_saveexec_b32 s6, s7
	s_cbranch_execz .LBB66_392
; %bb.391:
	scratch_load_b64 v[52:53], off, off offset:32 ; 8-byte Folded Reload
	v_ashrrev_i32_e32 v145, 31, v144
	s_delay_alu instid0(VALU_DEP_1) | instskip(SKIP_1) | instid1(VALU_DEP_1)
	v_lshlrev_b64 v[48:49], 2, v[144:145]
	s_waitcnt vmcnt(0)
	v_add_co_u32 v48, vcc_lo, v52, v48
	s_delay_alu instid0(VALU_DEP_2)
	v_add_co_ci_u32_e32 v49, vcc_lo, v53, v49, vcc_lo
	s_clause 0x1
	flat_load_b32 v50, v[48:49]
	flat_load_b32 v51, v[52:53] offset:72
	s_waitcnt vmcnt(1) lgkmcnt(1)
	flat_store_b32 v[52:53], v50 offset:72
	s_waitcnt vmcnt(0) lgkmcnt(1)
	flat_store_b32 v[48:49], v51
.LBB66_392:
	s_or_b32 exec_lo, exec_lo, s6
	v_mov_b32_e32 v178, v144
	v_mov_b32_e32 v172, v144
.LBB66_393:
	s_or_b32 exec_lo, exec_lo, s3
.LBB66_394:
	s_and_not1_saveexec_b32 s2, s2
	s_cbranch_execz .LBB66_396
; %bb.395:
	v_mov_b32_e32 v178, 18
	ds_store_2addr_b64 v176, v[64:65], v[66:67] offset0:38 offset1:39
	ds_store_2addr_b64 v176, v[60:61], v[62:63] offset0:40 offset1:41
	;; [unrolled: 1-line block ×15, first 2 shown]
.LBB66_396:
	s_or_b32 exec_lo, exec_lo, s2
	s_delay_alu instid0(SALU_CYCLE_1)
	s_mov_b32 s2, exec_lo
	s_waitcnt lgkmcnt(0)
	s_waitcnt_vscnt null, 0x0
	s_barrier
	buffer_gl0_inv
	v_cmpx_lt_i32_e32 18, v178
	s_cbranch_execz .LBB66_398
; %bb.397:
	v_mul_f64 v[48:49], v[136:137], v[70:71]
	v_mul_f64 v[50:51], v[138:139], v[70:71]
	s_delay_alu instid0(VALU_DEP_2) | instskip(NEXT) | instid1(VALU_DEP_2)
	v_fma_f64 v[48:49], v[138:139], v[68:69], v[48:49]
	v_fma_f64 v[68:69], v[136:137], v[68:69], -v[50:51]
	ds_load_2addr_b64 v[136:139], v176 offset0:38 offset1:39
	ds_load_2addr_b64 v[144:147], v176 offset0:40 offset1:41
	s_waitcnt lgkmcnt(1)
	v_mul_f64 v[50:51], v[138:139], v[48:49]
	v_mul_f64 v[52:53], v[136:137], v[48:49]
	s_waitcnt lgkmcnt(0)
	v_mul_f64 v[54:55], v[146:147], v[48:49]
	v_mul_f64 v[70:71], v[144:145], v[48:49]
	s_delay_alu instid0(VALU_DEP_4) | instskip(NEXT) | instid1(VALU_DEP_4)
	v_fma_f64 v[50:51], v[136:137], v[68:69], -v[50:51]
	v_fma_f64 v[52:53], v[138:139], v[68:69], v[52:53]
	s_delay_alu instid0(VALU_DEP_4) | instskip(NEXT) | instid1(VALU_DEP_4)
	v_fma_f64 v[54:55], v[144:145], v[68:69], -v[54:55]
	v_fma_f64 v[70:71], v[146:147], v[68:69], v[70:71]
	ds_load_2addr_b64 v[136:139], v176 offset0:42 offset1:43
	ds_load_2addr_b64 v[144:147], v176 offset0:44 offset1:45
	s_waitcnt lgkmcnt(1)
	v_mul_f64 v[104:105], v[138:139], v[48:49]
	v_mul_f64 v[106:107], v[136:137], v[48:49]
	s_waitcnt lgkmcnt(0)
	v_mul_f64 v[124:125], v[146:147], v[48:49]
	v_mul_f64 v[126:127], v[144:145], v[48:49]
	v_add_f64 v[64:65], v[64:65], -v[50:51]
	v_add_f64 v[66:67], v[66:67], -v[52:53]
	;; [unrolled: 1-line block ×4, first 2 shown]
	v_dual_mov_b32 v71, v49 :: v_dual_mov_b32 v70, v48
	v_fma_f64 v[104:105], v[136:137], v[68:69], -v[104:105]
	v_fma_f64 v[106:107], v[138:139], v[68:69], v[106:107]
	v_fma_f64 v[124:125], v[144:145], v[68:69], -v[124:125]
	v_fma_f64 v[126:127], v[146:147], v[68:69], v[126:127]
	ds_load_2addr_b64 v[136:139], v176 offset0:46 offset1:47
	ds_load_2addr_b64 v[144:147], v176 offset0:48 offset1:49
	s_waitcnt lgkmcnt(1)
	v_mul_f64 v[128:129], v[138:139], v[48:49]
	v_mul_f64 v[130:131], v[136:137], v[48:49]
	v_add_f64 v[56:57], v[56:57], -v[104:105]
	v_add_f64 v[58:59], v[58:59], -v[106:107]
	;; [unrolled: 1-line block ×4, first 2 shown]
	v_fma_f64 v[128:129], v[136:137], v[68:69], -v[128:129]
	s_waitcnt lgkmcnt(0)
	v_mul_f64 v[136:137], v[146:147], v[48:49]
	v_fma_f64 v[130:131], v[138:139], v[68:69], v[130:131]
	s_delay_alu instid0(VALU_DEP_3) | instskip(NEXT) | instid1(VALU_DEP_3)
	v_add_f64 v[40:41], v[40:41], -v[128:129]
	v_fma_f64 v[140:141], v[144:145], v[68:69], -v[136:137]
	v_mul_f64 v[136:137], v[144:145], v[48:49]
	s_delay_alu instid0(VALU_DEP_4) | instskip(NEXT) | instid1(VALU_DEP_3)
	v_add_f64 v[42:43], v[42:43], -v[130:131]
	v_add_f64 v[36:37], v[36:37], -v[140:141]
	s_delay_alu instid0(VALU_DEP_3)
	v_fma_f64 v[142:143], v[146:147], v[68:69], v[136:137]
	ds_load_2addr_b64 v[136:139], v176 offset0:50 offset1:51
	ds_load_2addr_b64 v[144:147], v176 offset0:52 offset1:53
	s_waitcnt lgkmcnt(1)
	v_mul_f64 v[148:149], v[138:139], v[48:49]
	v_add_f64 v[38:39], v[38:39], -v[142:143]
	s_delay_alu instid0(VALU_DEP_2) | instskip(SKIP_1) | instid1(VALU_DEP_2)
	v_fma_f64 v[148:149], v[136:137], v[68:69], -v[148:149]
	v_mul_f64 v[136:137], v[136:137], v[48:49]
	v_add_f64 v[32:33], v[32:33], -v[148:149]
	s_delay_alu instid0(VALU_DEP_2) | instskip(SKIP_2) | instid1(VALU_DEP_2)
	v_fma_f64 v[150:151], v[138:139], v[68:69], v[136:137]
	s_waitcnt lgkmcnt(0)
	v_mul_f64 v[136:137], v[146:147], v[48:49]
	v_add_f64 v[34:35], v[34:35], -v[150:151]
	s_delay_alu instid0(VALU_DEP_2) | instskip(SKIP_1) | instid1(VALU_DEP_2)
	v_fma_f64 v[152:153], v[144:145], v[68:69], -v[136:137]
	v_mul_f64 v[136:137], v[144:145], v[48:49]
	v_add_f64 v[28:29], v[28:29], -v[152:153]
	s_delay_alu instid0(VALU_DEP_2)
	v_fma_f64 v[154:155], v[146:147], v[68:69], v[136:137]
	ds_load_2addr_b64 v[136:139], v176 offset0:54 offset1:55
	ds_load_2addr_b64 v[144:147], v176 offset0:56 offset1:57
	s_waitcnt lgkmcnt(1)
	v_mul_f64 v[156:157], v[138:139], v[48:49]
	v_add_f64 v[30:31], v[30:31], -v[154:155]
	s_delay_alu instid0(VALU_DEP_2) | instskip(SKIP_1) | instid1(VALU_DEP_2)
	v_fma_f64 v[156:157], v[136:137], v[68:69], -v[156:157]
	v_mul_f64 v[136:137], v[136:137], v[48:49]
	v_add_f64 v[24:25], v[24:25], -v[156:157]
	s_delay_alu instid0(VALU_DEP_2) | instskip(SKIP_2) | instid1(VALU_DEP_2)
	v_fma_f64 v[158:159], v[138:139], v[68:69], v[136:137]
	s_waitcnt lgkmcnt(0)
	v_mul_f64 v[136:137], v[146:147], v[48:49]
	v_add_f64 v[26:27], v[26:27], -v[158:159]
	s_delay_alu instid0(VALU_DEP_2) | instskip(SKIP_1) | instid1(VALU_DEP_2)
	v_fma_f64 v[160:161], v[144:145], v[68:69], -v[136:137]
	v_mul_f64 v[136:137], v[144:145], v[48:49]
	v_add_f64 v[20:21], v[20:21], -v[160:161]
	s_delay_alu instid0(VALU_DEP_2)
	v_fma_f64 v[162:163], v[146:147], v[68:69], v[136:137]
	ds_load_2addr_b64 v[136:139], v176 offset0:58 offset1:59
	ds_load_2addr_b64 v[144:147], v176 offset0:60 offset1:61
	s_waitcnt lgkmcnt(1)
	v_mul_f64 v[164:165], v[138:139], v[48:49]
	v_add_f64 v[22:23], v[22:23], -v[162:163]
	s_delay_alu instid0(VALU_DEP_2) | instskip(SKIP_1) | instid1(VALU_DEP_2)
	v_fma_f64 v[164:165], v[136:137], v[68:69], -v[164:165]
	v_mul_f64 v[136:137], v[136:137], v[48:49]
	v_add_f64 v[16:17], v[16:17], -v[164:165]
	s_delay_alu instid0(VALU_DEP_2) | instskip(SKIP_2) | instid1(VALU_DEP_2)
	v_fma_f64 v[166:167], v[138:139], v[68:69], v[136:137]
	s_waitcnt lgkmcnt(0)
	v_mul_f64 v[136:137], v[146:147], v[48:49]
	v_add_f64 v[18:19], v[18:19], -v[166:167]
	s_delay_alu instid0(VALU_DEP_2) | instskip(SKIP_1) | instid1(VALU_DEP_2)
	v_fma_f64 v[168:169], v[144:145], v[68:69], -v[136:137]
	v_mul_f64 v[136:137], v[144:145], v[48:49]
	v_add_f64 v[12:13], v[12:13], -v[168:169]
	s_delay_alu instid0(VALU_DEP_2)
	v_fma_f64 v[170:171], v[146:147], v[68:69], v[136:137]
	ds_load_2addr_b64 v[136:139], v176 offset0:62 offset1:63
	ds_load_2addr_b64 v[144:147], v176 offset0:64 offset1:65
	s_waitcnt lgkmcnt(1)
	v_mul_f64 v[179:180], v[138:139], v[48:49]
	v_add_f64 v[14:15], v[14:15], -v[170:171]
	s_delay_alu instid0(VALU_DEP_2) | instskip(SKIP_1) | instid1(VALU_DEP_2)
	v_fma_f64 v[179:180], v[136:137], v[68:69], -v[179:180]
	v_mul_f64 v[136:137], v[136:137], v[48:49]
	v_add_f64 v[8:9], v[8:9], -v[179:180]
	s_delay_alu instid0(VALU_DEP_2) | instskip(SKIP_2) | instid1(VALU_DEP_2)
	v_fma_f64 v[181:182], v[138:139], v[68:69], v[136:137]
	s_waitcnt lgkmcnt(0)
	v_mul_f64 v[136:137], v[146:147], v[48:49]
	v_add_f64 v[10:11], v[10:11], -v[181:182]
	s_delay_alu instid0(VALU_DEP_2) | instskip(SKIP_1) | instid1(VALU_DEP_2)
	v_fma_f64 v[183:184], v[144:145], v[68:69], -v[136:137]
	v_mul_f64 v[136:137], v[144:145], v[48:49]
	v_add_f64 v[4:5], v[4:5], -v[183:184]
	s_delay_alu instid0(VALU_DEP_2) | instskip(SKIP_4) | instid1(VALU_DEP_2)
	v_fma_f64 v[144:145], v[146:147], v[68:69], v[136:137]
	ds_load_2addr_b64 v[136:139], v176 offset0:66 offset1:67
	s_waitcnt lgkmcnt(0)
	v_mul_f64 v[146:147], v[138:139], v[48:49]
	v_add_f64 v[6:7], v[6:7], -v[144:145]
	v_fma_f64 v[146:147], v[136:137], v[68:69], -v[146:147]
	v_mul_f64 v[136:137], v[136:137], v[48:49]
	s_delay_alu instid0(VALU_DEP_2) | instskip(NEXT) | instid1(VALU_DEP_2)
	v_add_f64 v[243:244], v[243:244], -v[146:147]
	v_fma_f64 v[136:137], v[138:139], v[68:69], v[136:137]
	s_delay_alu instid0(VALU_DEP_1)
	v_add_f64 v[245:246], v[245:246], -v[136:137]
.LBB66_398:
	s_or_b32 exec_lo, exec_lo, s2
	v_lshl_add_u32 v48, v178, 4, v176
	s_barrier
	buffer_gl0_inv
	v_mov_b32_e32 v144, 19
	ds_store_2addr_b64 v48, v[64:65], v[66:67] offset1:1
	s_waitcnt lgkmcnt(0)
	s_barrier
	buffer_gl0_inv
	ds_load_2addr_b64 v[136:139], v176 offset0:38 offset1:39
	s_cmp_lt_i32 s5, 21
	s_cbranch_scc1 .LBB66_401
; %bb.399:
	v_add3_u32 v145, v174, 0, 0x140
	v_mov_b32_e32 v144, 19
	s_mov_b32 s6, 20
	s_set_inst_prefetch_distance 0x1
	.p2align	6
.LBB66_400:                             ; =>This Inner Loop Header: Depth=1
	ds_load_2addr_b64 v[146:149], v145 offset1:1
	s_waitcnt lgkmcnt(1)
	v_cmp_gt_f64_e32 vcc_lo, 0, v[136:137]
	v_xor_b32_e32 v48, 0x80000000, v137
	v_cmp_gt_f64_e64 s2, 0, v[138:139]
	v_xor_b32_e32 v50, 0x80000000, v139
	v_add_nc_u32_e32 v145, 16, v145
	s_waitcnt lgkmcnt(0)
	v_cmp_gt_f64_e64 s3, 0, v[146:147]
	v_mov_b32_e32 v52, v146
	v_dual_mov_b32 v54, v148 :: v_dual_cndmask_b32 v49, v137, v48
	v_xor_b32_e32 v48, 0x80000000, v147
	v_cndmask_b32_e64 v51, v139, v50, s2
	v_xor_b32_e32 v50, 0x80000000, v149
	s_delay_alu instid0(VALU_DEP_3) | instskip(SKIP_2) | instid1(VALU_DEP_2)
	v_cndmask_b32_e64 v53, v147, v48, s3
	v_cmp_gt_f64_e64 s3, 0, v[148:149]
	v_cndmask_b32_e32 v48, v136, v136, vcc_lo
	v_cndmask_b32_e64 v55, v149, v50, s3
	v_cndmask_b32_e64 v50, v138, v138, s2
	s_delay_alu instid0(VALU_DEP_2) | instskip(NEXT) | instid1(VALU_DEP_2)
	v_add_f64 v[52:53], v[52:53], v[54:55]
	v_add_f64 v[48:49], v[48:49], v[50:51]
	s_delay_alu instid0(VALU_DEP_1)
	v_cmp_lt_f64_e32 vcc_lo, v[48:49], v[52:53]
	v_cndmask_b32_e32 v139, v139, v149, vcc_lo
	v_dual_cndmask_b32 v137, v137, v147 :: v_dual_cndmask_b32 v136, v136, v146
	v_cndmask_b32_e32 v138, v138, v148, vcc_lo
	v_cndmask_b32_e64 v144, v144, s6, vcc_lo
	s_add_i32 s6, s6, 1
	s_delay_alu instid0(SALU_CYCLE_1)
	s_cmp_lg_u32 s5, s6
	s_cbranch_scc1 .LBB66_400
.LBB66_401:
	s_set_inst_prefetch_distance 0x2
	s_waitcnt lgkmcnt(0)
	v_cmp_eq_f64_e32 vcc_lo, 0, v[136:137]
	v_cmp_eq_f64_e64 s2, 0, v[138:139]
	s_delay_alu instid0(VALU_DEP_1) | instskip(NEXT) | instid1(SALU_CYCLE_1)
	s_and_b32 s2, vcc_lo, s2
	s_and_saveexec_b32 s3, s2
	s_delay_alu instid0(SALU_CYCLE_1)
	s_xor_b32 s2, exec_lo, s3
; %bb.402:
	v_cmp_ne_u32_e32 vcc_lo, 0, v255
	v_cndmask_b32_e32 v255, 20, v255, vcc_lo
; %bb.403:
	s_and_not1_saveexec_b32 s3, s2
	s_cbranch_execz .LBB66_409
; %bb.404:
	v_cmp_gt_f64_e32 vcc_lo, 0, v[136:137]
	v_cmp_gt_f64_e64 s2, 0, v[138:139]
	v_xor_b32_e32 v48, 0x80000000, v137
	v_xor_b32_e32 v50, 0x80000000, v139
	s_delay_alu instid0(VALU_DEP_2) | instskip(NEXT) | instid1(VALU_DEP_2)
	v_cndmask_b32_e32 v49, v137, v48, vcc_lo
	v_cndmask_b32_e64 v51, v139, v50, s2
	v_cndmask_b32_e32 v48, v136, v136, vcc_lo
	v_cndmask_b32_e64 v50, v138, v138, s2
	s_mov_b32 s2, exec_lo
	s_delay_alu instid0(VALU_DEP_1)
	v_cmpx_ngt_f64_e32 v[48:49], v[50:51]
	s_xor_b32 s2, exec_lo, s2
	s_cbranch_execz .LBB66_406
; %bb.405:
	v_div_scale_f64 v[48:49], null, v[138:139], v[138:139], v[136:137]
	v_div_scale_f64 v[54:55], vcc_lo, v[136:137], v[138:139], v[136:137]
	s_delay_alu instid0(VALU_DEP_2) | instskip(SKIP_2) | instid1(VALU_DEP_1)
	v_rcp_f64_e32 v[50:51], v[48:49]
	s_waitcnt_depctr 0xfff
	v_fma_f64 v[52:53], -v[48:49], v[50:51], 1.0
	v_fma_f64 v[50:51], v[50:51], v[52:53], v[50:51]
	s_delay_alu instid0(VALU_DEP_1) | instskip(NEXT) | instid1(VALU_DEP_1)
	v_fma_f64 v[52:53], -v[48:49], v[50:51], 1.0
	v_fma_f64 v[50:51], v[50:51], v[52:53], v[50:51]
	s_delay_alu instid0(VALU_DEP_1) | instskip(NEXT) | instid1(VALU_DEP_1)
	v_mul_f64 v[52:53], v[54:55], v[50:51]
	v_fma_f64 v[48:49], -v[48:49], v[52:53], v[54:55]
	s_delay_alu instid0(VALU_DEP_1) | instskip(NEXT) | instid1(VALU_DEP_1)
	v_div_fmas_f64 v[48:49], v[48:49], v[50:51], v[52:53]
	v_div_fixup_f64 v[48:49], v[48:49], v[138:139], v[136:137]
	s_delay_alu instid0(VALU_DEP_1) | instskip(NEXT) | instid1(VALU_DEP_1)
	v_fma_f64 v[50:51], v[136:137], v[48:49], v[138:139]
	v_div_scale_f64 v[52:53], null, v[50:51], v[50:51], 1.0
	s_delay_alu instid0(VALU_DEP_1) | instskip(SKIP_2) | instid1(VALU_DEP_1)
	v_rcp_f64_e32 v[54:55], v[52:53]
	s_waitcnt_depctr 0xfff
	v_fma_f64 v[104:105], -v[52:53], v[54:55], 1.0
	v_fma_f64 v[54:55], v[54:55], v[104:105], v[54:55]
	s_delay_alu instid0(VALU_DEP_1) | instskip(NEXT) | instid1(VALU_DEP_1)
	v_fma_f64 v[104:105], -v[52:53], v[54:55], 1.0
	v_fma_f64 v[54:55], v[54:55], v[104:105], v[54:55]
	v_div_scale_f64 v[104:105], vcc_lo, 1.0, v[50:51], 1.0
	s_delay_alu instid0(VALU_DEP_1) | instskip(NEXT) | instid1(VALU_DEP_1)
	v_mul_f64 v[106:107], v[104:105], v[54:55]
	v_fma_f64 v[52:53], -v[52:53], v[106:107], v[104:105]
	s_delay_alu instid0(VALU_DEP_1) | instskip(NEXT) | instid1(VALU_DEP_1)
	v_div_fmas_f64 v[52:53], v[52:53], v[54:55], v[106:107]
	v_div_fixup_f64 v[138:139], v[52:53], v[50:51], 1.0
	s_delay_alu instid0(VALU_DEP_1)
	v_mul_f64 v[136:137], v[48:49], v[138:139]
	v_xor_b32_e32 v139, 0x80000000, v139
.LBB66_406:
	s_and_not1_saveexec_b32 s2, s2
	s_cbranch_execz .LBB66_408
; %bb.407:
	s_delay_alu instid0(VALU_DEP_1) | instskip(SKIP_1) | instid1(VALU_DEP_2)
	v_div_scale_f64 v[48:49], null, v[136:137], v[136:137], v[138:139]
	v_div_scale_f64 v[54:55], vcc_lo, v[138:139], v[136:137], v[138:139]
	v_rcp_f64_e32 v[50:51], v[48:49]
	s_waitcnt_depctr 0xfff
	v_fma_f64 v[52:53], -v[48:49], v[50:51], 1.0
	s_delay_alu instid0(VALU_DEP_1) | instskip(NEXT) | instid1(VALU_DEP_1)
	v_fma_f64 v[50:51], v[50:51], v[52:53], v[50:51]
	v_fma_f64 v[52:53], -v[48:49], v[50:51], 1.0
	s_delay_alu instid0(VALU_DEP_1) | instskip(NEXT) | instid1(VALU_DEP_1)
	v_fma_f64 v[50:51], v[50:51], v[52:53], v[50:51]
	v_mul_f64 v[52:53], v[54:55], v[50:51]
	s_delay_alu instid0(VALU_DEP_1) | instskip(NEXT) | instid1(VALU_DEP_1)
	v_fma_f64 v[48:49], -v[48:49], v[52:53], v[54:55]
	v_div_fmas_f64 v[48:49], v[48:49], v[50:51], v[52:53]
	s_delay_alu instid0(VALU_DEP_1) | instskip(NEXT) | instid1(VALU_DEP_1)
	v_div_fixup_f64 v[48:49], v[48:49], v[136:137], v[138:139]
	v_fma_f64 v[50:51], v[138:139], v[48:49], v[136:137]
	s_delay_alu instid0(VALU_DEP_1) | instskip(NEXT) | instid1(VALU_DEP_1)
	v_div_scale_f64 v[52:53], null, v[50:51], v[50:51], 1.0
	v_rcp_f64_e32 v[54:55], v[52:53]
	s_waitcnt_depctr 0xfff
	v_fma_f64 v[104:105], -v[52:53], v[54:55], 1.0
	s_delay_alu instid0(VALU_DEP_1) | instskip(NEXT) | instid1(VALU_DEP_1)
	v_fma_f64 v[54:55], v[54:55], v[104:105], v[54:55]
	v_fma_f64 v[104:105], -v[52:53], v[54:55], 1.0
	s_delay_alu instid0(VALU_DEP_1) | instskip(SKIP_1) | instid1(VALU_DEP_1)
	v_fma_f64 v[54:55], v[54:55], v[104:105], v[54:55]
	v_div_scale_f64 v[104:105], vcc_lo, 1.0, v[50:51], 1.0
	v_mul_f64 v[106:107], v[104:105], v[54:55]
	s_delay_alu instid0(VALU_DEP_1) | instskip(NEXT) | instid1(VALU_DEP_1)
	v_fma_f64 v[52:53], -v[52:53], v[106:107], v[104:105]
	v_div_fmas_f64 v[52:53], v[52:53], v[54:55], v[106:107]
	s_delay_alu instid0(VALU_DEP_1) | instskip(NEXT) | instid1(VALU_DEP_1)
	v_div_fixup_f64 v[136:137], v[52:53], v[50:51], 1.0
	v_mul_f64 v[138:139], v[48:49], -v[136:137]
.LBB66_408:
	s_or_b32 exec_lo, exec_lo, s2
.LBB66_409:
	s_delay_alu instid0(SALU_CYCLE_1) | instskip(NEXT) | instid1(SALU_CYCLE_1)
	s_or_b32 exec_lo, exec_lo, s3
	s_mov_b32 s2, exec_lo
	v_cmpx_ne_u32_e64 v178, v144
	s_xor_b32 s2, exec_lo, s2
	s_cbranch_execz .LBB66_415
; %bb.410:
	s_mov_b32 s3, exec_lo
	v_cmpx_eq_u32_e32 19, v178
	s_cbranch_execz .LBB66_414
; %bb.411:
	v_cmp_ne_u32_e32 vcc_lo, 19, v144
	s_xor_b32 s6, s4, -1
	s_delay_alu instid0(SALU_CYCLE_1) | instskip(NEXT) | instid1(SALU_CYCLE_1)
	s_and_b32 s7, s6, vcc_lo
	s_and_saveexec_b32 s6, s7
	s_cbranch_execz .LBB66_413
; %bb.412:
	scratch_load_b64 v[52:53], off, off offset:32 ; 8-byte Folded Reload
	v_ashrrev_i32_e32 v145, 31, v144
	s_delay_alu instid0(VALU_DEP_1) | instskip(SKIP_1) | instid1(VALU_DEP_1)
	v_lshlrev_b64 v[48:49], 2, v[144:145]
	s_waitcnt vmcnt(0)
	v_add_co_u32 v48, vcc_lo, v52, v48
	s_delay_alu instid0(VALU_DEP_2)
	v_add_co_ci_u32_e32 v49, vcc_lo, v53, v49, vcc_lo
	s_clause 0x1
	flat_load_b32 v50, v[48:49]
	flat_load_b32 v51, v[52:53] offset:76
	s_waitcnt vmcnt(1) lgkmcnt(1)
	flat_store_b32 v[52:53], v50 offset:76
	s_waitcnt vmcnt(0) lgkmcnt(1)
	flat_store_b32 v[48:49], v51
.LBB66_413:
	s_or_b32 exec_lo, exec_lo, s6
	v_mov_b32_e32 v178, v144
	v_mov_b32_e32 v172, v144
.LBB66_414:
	s_or_b32 exec_lo, exec_lo, s3
.LBB66_415:
	s_and_not1_saveexec_b32 s2, s2
	s_cbranch_execz .LBB66_417
; %bb.416:
	v_mov_b32_e32 v178, 19
	ds_store_2addr_b64 v176, v[60:61], v[62:63] offset0:40 offset1:41
	ds_store_2addr_b64 v176, v[56:57], v[58:59] offset0:42 offset1:43
	;; [unrolled: 1-line block ×14, first 2 shown]
.LBB66_417:
	s_or_b32 exec_lo, exec_lo, s2
	s_delay_alu instid0(SALU_CYCLE_1)
	s_mov_b32 s2, exec_lo
	s_waitcnt lgkmcnt(0)
	s_waitcnt_vscnt null, 0x0
	s_barrier
	buffer_gl0_inv
	v_cmpx_lt_i32_e32 19, v178
	s_cbranch_execz .LBB66_419
; %bb.418:
	v_mul_f64 v[48:49], v[136:137], v[66:67]
	v_mul_f64 v[50:51], v[138:139], v[66:67]
	s_delay_alu instid0(VALU_DEP_2) | instskip(NEXT) | instid1(VALU_DEP_2)
	v_fma_f64 v[48:49], v[138:139], v[64:65], v[48:49]
	v_fma_f64 v[64:65], v[136:137], v[64:65], -v[50:51]
	ds_load_2addr_b64 v[136:139], v176 offset0:40 offset1:41
	ds_load_2addr_b64 v[144:147], v176 offset0:42 offset1:43
	s_waitcnt lgkmcnt(1)
	v_mul_f64 v[50:51], v[138:139], v[48:49]
	v_mul_f64 v[52:53], v[136:137], v[48:49]
	s_waitcnt lgkmcnt(0)
	v_mul_f64 v[54:55], v[146:147], v[48:49]
	v_mul_f64 v[66:67], v[144:145], v[48:49]
	s_delay_alu instid0(VALU_DEP_4) | instskip(NEXT) | instid1(VALU_DEP_4)
	v_fma_f64 v[50:51], v[136:137], v[64:65], -v[50:51]
	v_fma_f64 v[52:53], v[138:139], v[64:65], v[52:53]
	s_delay_alu instid0(VALU_DEP_4) | instskip(NEXT) | instid1(VALU_DEP_4)
	v_fma_f64 v[54:55], v[144:145], v[64:65], -v[54:55]
	v_fma_f64 v[66:67], v[146:147], v[64:65], v[66:67]
	ds_load_2addr_b64 v[136:139], v176 offset0:44 offset1:45
	ds_load_2addr_b64 v[144:147], v176 offset0:46 offset1:47
	s_waitcnt lgkmcnt(1)
	v_mul_f64 v[104:105], v[138:139], v[48:49]
	v_mul_f64 v[106:107], v[136:137], v[48:49]
	s_waitcnt lgkmcnt(0)
	v_mul_f64 v[124:125], v[146:147], v[48:49]
	v_mul_f64 v[126:127], v[144:145], v[48:49]
	v_add_f64 v[60:61], v[60:61], -v[50:51]
	v_add_f64 v[62:63], v[62:63], -v[52:53]
	;; [unrolled: 1-line block ×4, first 2 shown]
	v_dual_mov_b32 v67, v49 :: v_dual_mov_b32 v66, v48
	v_fma_f64 v[104:105], v[136:137], v[64:65], -v[104:105]
	v_fma_f64 v[106:107], v[138:139], v[64:65], v[106:107]
	v_fma_f64 v[124:125], v[144:145], v[64:65], -v[124:125]
	v_fma_f64 v[126:127], v[146:147], v[64:65], v[126:127]
	ds_load_2addr_b64 v[136:139], v176 offset0:48 offset1:49
	ds_load_2addr_b64 v[144:147], v176 offset0:50 offset1:51
	s_waitcnt lgkmcnt(1)
	v_mul_f64 v[128:129], v[138:139], v[48:49]
	v_mul_f64 v[130:131], v[136:137], v[48:49]
	v_add_f64 v[44:45], v[44:45], -v[104:105]
	v_add_f64 v[46:47], v[46:47], -v[106:107]
	;; [unrolled: 1-line block ×4, first 2 shown]
	v_fma_f64 v[128:129], v[136:137], v[64:65], -v[128:129]
	s_waitcnt lgkmcnt(0)
	v_mul_f64 v[136:137], v[146:147], v[48:49]
	v_fma_f64 v[130:131], v[138:139], v[64:65], v[130:131]
	s_delay_alu instid0(VALU_DEP_3) | instskip(NEXT) | instid1(VALU_DEP_3)
	v_add_f64 v[36:37], v[36:37], -v[128:129]
	v_fma_f64 v[140:141], v[144:145], v[64:65], -v[136:137]
	v_mul_f64 v[136:137], v[144:145], v[48:49]
	s_delay_alu instid0(VALU_DEP_4) | instskip(NEXT) | instid1(VALU_DEP_3)
	v_add_f64 v[38:39], v[38:39], -v[130:131]
	v_add_f64 v[32:33], v[32:33], -v[140:141]
	s_delay_alu instid0(VALU_DEP_3)
	v_fma_f64 v[142:143], v[146:147], v[64:65], v[136:137]
	ds_load_2addr_b64 v[136:139], v176 offset0:52 offset1:53
	ds_load_2addr_b64 v[144:147], v176 offset0:54 offset1:55
	s_waitcnt lgkmcnt(1)
	v_mul_f64 v[148:149], v[138:139], v[48:49]
	v_add_f64 v[34:35], v[34:35], -v[142:143]
	s_delay_alu instid0(VALU_DEP_2) | instskip(SKIP_1) | instid1(VALU_DEP_2)
	v_fma_f64 v[148:149], v[136:137], v[64:65], -v[148:149]
	v_mul_f64 v[136:137], v[136:137], v[48:49]
	v_add_f64 v[28:29], v[28:29], -v[148:149]
	s_delay_alu instid0(VALU_DEP_2) | instskip(SKIP_2) | instid1(VALU_DEP_2)
	v_fma_f64 v[150:151], v[138:139], v[64:65], v[136:137]
	s_waitcnt lgkmcnt(0)
	v_mul_f64 v[136:137], v[146:147], v[48:49]
	v_add_f64 v[30:31], v[30:31], -v[150:151]
	s_delay_alu instid0(VALU_DEP_2) | instskip(SKIP_1) | instid1(VALU_DEP_2)
	v_fma_f64 v[152:153], v[144:145], v[64:65], -v[136:137]
	v_mul_f64 v[136:137], v[144:145], v[48:49]
	v_add_f64 v[24:25], v[24:25], -v[152:153]
	s_delay_alu instid0(VALU_DEP_2)
	v_fma_f64 v[154:155], v[146:147], v[64:65], v[136:137]
	ds_load_2addr_b64 v[136:139], v176 offset0:56 offset1:57
	ds_load_2addr_b64 v[144:147], v176 offset0:58 offset1:59
	s_waitcnt lgkmcnt(1)
	v_mul_f64 v[156:157], v[138:139], v[48:49]
	v_add_f64 v[26:27], v[26:27], -v[154:155]
	s_delay_alu instid0(VALU_DEP_2) | instskip(SKIP_1) | instid1(VALU_DEP_2)
	v_fma_f64 v[156:157], v[136:137], v[64:65], -v[156:157]
	v_mul_f64 v[136:137], v[136:137], v[48:49]
	v_add_f64 v[20:21], v[20:21], -v[156:157]
	s_delay_alu instid0(VALU_DEP_2) | instskip(SKIP_2) | instid1(VALU_DEP_2)
	v_fma_f64 v[158:159], v[138:139], v[64:65], v[136:137]
	s_waitcnt lgkmcnt(0)
	v_mul_f64 v[136:137], v[146:147], v[48:49]
	v_add_f64 v[22:23], v[22:23], -v[158:159]
	s_delay_alu instid0(VALU_DEP_2) | instskip(SKIP_1) | instid1(VALU_DEP_2)
	v_fma_f64 v[160:161], v[144:145], v[64:65], -v[136:137]
	v_mul_f64 v[136:137], v[144:145], v[48:49]
	v_add_f64 v[16:17], v[16:17], -v[160:161]
	s_delay_alu instid0(VALU_DEP_2)
	;; [unrolled: 20-line block ×3, first 2 shown]
	v_fma_f64 v[170:171], v[146:147], v[64:65], v[136:137]
	ds_load_2addr_b64 v[136:139], v176 offset0:64 offset1:65
	ds_load_2addr_b64 v[144:147], v176 offset0:66 offset1:67
	s_waitcnt lgkmcnt(1)
	v_mul_f64 v[179:180], v[138:139], v[48:49]
	v_add_f64 v[10:11], v[10:11], -v[170:171]
	s_delay_alu instid0(VALU_DEP_2) | instskip(SKIP_1) | instid1(VALU_DEP_2)
	v_fma_f64 v[179:180], v[136:137], v[64:65], -v[179:180]
	v_mul_f64 v[136:137], v[136:137], v[48:49]
	v_add_f64 v[4:5], v[4:5], -v[179:180]
	s_delay_alu instid0(VALU_DEP_2) | instskip(SKIP_2) | instid1(VALU_DEP_2)
	v_fma_f64 v[136:137], v[138:139], v[64:65], v[136:137]
	s_waitcnt lgkmcnt(0)
	v_mul_f64 v[138:139], v[146:147], v[48:49]
	v_add_f64 v[6:7], v[6:7], -v[136:137]
	s_delay_alu instid0(VALU_DEP_2) | instskip(SKIP_1) | instid1(VALU_DEP_2)
	v_fma_f64 v[138:139], v[144:145], v[64:65], -v[138:139]
	v_mul_f64 v[144:145], v[144:145], v[48:49]
	v_add_f64 v[243:244], v[243:244], -v[138:139]
	s_delay_alu instid0(VALU_DEP_2) | instskip(NEXT) | instid1(VALU_DEP_1)
	v_fma_f64 v[144:145], v[146:147], v[64:65], v[144:145]
	v_add_f64 v[245:246], v[245:246], -v[144:145]
.LBB66_419:
	s_or_b32 exec_lo, exec_lo, s2
	v_lshl_add_u32 v48, v178, 4, v176
	s_barrier
	buffer_gl0_inv
	v_mov_b32_e32 v144, 20
	ds_store_2addr_b64 v48, v[60:61], v[62:63] offset1:1
	s_waitcnt lgkmcnt(0)
	s_barrier
	buffer_gl0_inv
	ds_load_2addr_b64 v[136:139], v176 offset0:40 offset1:41
	s_cmp_lt_i32 s5, 22
	s_cbranch_scc1 .LBB66_422
; %bb.420:
	v_add3_u32 v145, v174, 0, 0x150
	v_mov_b32_e32 v144, 20
	s_mov_b32 s6, 21
	s_set_inst_prefetch_distance 0x1
	.p2align	6
.LBB66_421:                             ; =>This Inner Loop Header: Depth=1
	ds_load_2addr_b64 v[146:149], v145 offset1:1
	s_waitcnt lgkmcnt(1)
	v_cmp_gt_f64_e32 vcc_lo, 0, v[136:137]
	v_xor_b32_e32 v48, 0x80000000, v137
	v_cmp_gt_f64_e64 s2, 0, v[138:139]
	v_xor_b32_e32 v50, 0x80000000, v139
	v_add_nc_u32_e32 v145, 16, v145
	s_waitcnt lgkmcnt(0)
	v_cmp_gt_f64_e64 s3, 0, v[146:147]
	v_mov_b32_e32 v52, v146
	v_dual_mov_b32 v54, v148 :: v_dual_cndmask_b32 v49, v137, v48
	v_xor_b32_e32 v48, 0x80000000, v147
	v_cndmask_b32_e64 v51, v139, v50, s2
	v_xor_b32_e32 v50, 0x80000000, v149
	s_delay_alu instid0(VALU_DEP_3) | instskip(SKIP_2) | instid1(VALU_DEP_2)
	v_cndmask_b32_e64 v53, v147, v48, s3
	v_cmp_gt_f64_e64 s3, 0, v[148:149]
	v_cndmask_b32_e32 v48, v136, v136, vcc_lo
	v_cndmask_b32_e64 v55, v149, v50, s3
	v_cndmask_b32_e64 v50, v138, v138, s2
	s_delay_alu instid0(VALU_DEP_2) | instskip(NEXT) | instid1(VALU_DEP_2)
	v_add_f64 v[52:53], v[52:53], v[54:55]
	v_add_f64 v[48:49], v[48:49], v[50:51]
	s_delay_alu instid0(VALU_DEP_1)
	v_cmp_lt_f64_e32 vcc_lo, v[48:49], v[52:53]
	v_cndmask_b32_e32 v139, v139, v149, vcc_lo
	v_dual_cndmask_b32 v137, v137, v147 :: v_dual_cndmask_b32 v136, v136, v146
	v_cndmask_b32_e32 v138, v138, v148, vcc_lo
	v_cndmask_b32_e64 v144, v144, s6, vcc_lo
	s_add_i32 s6, s6, 1
	s_delay_alu instid0(SALU_CYCLE_1)
	s_cmp_lg_u32 s5, s6
	s_cbranch_scc1 .LBB66_421
.LBB66_422:
	s_set_inst_prefetch_distance 0x2
	s_waitcnt lgkmcnt(0)
	v_cmp_eq_f64_e32 vcc_lo, 0, v[136:137]
	v_cmp_eq_f64_e64 s2, 0, v[138:139]
	s_delay_alu instid0(VALU_DEP_1) | instskip(NEXT) | instid1(SALU_CYCLE_1)
	s_and_b32 s2, vcc_lo, s2
	s_and_saveexec_b32 s3, s2
	s_delay_alu instid0(SALU_CYCLE_1)
	s_xor_b32 s2, exec_lo, s3
; %bb.423:
	v_cmp_ne_u32_e32 vcc_lo, 0, v255
	v_cndmask_b32_e32 v255, 21, v255, vcc_lo
; %bb.424:
	s_and_not1_saveexec_b32 s3, s2
	s_cbranch_execz .LBB66_430
; %bb.425:
	v_cmp_gt_f64_e32 vcc_lo, 0, v[136:137]
	v_cmp_gt_f64_e64 s2, 0, v[138:139]
	v_xor_b32_e32 v48, 0x80000000, v137
	v_xor_b32_e32 v50, 0x80000000, v139
	s_delay_alu instid0(VALU_DEP_2) | instskip(NEXT) | instid1(VALU_DEP_2)
	v_cndmask_b32_e32 v49, v137, v48, vcc_lo
	v_cndmask_b32_e64 v51, v139, v50, s2
	v_cndmask_b32_e32 v48, v136, v136, vcc_lo
	v_cndmask_b32_e64 v50, v138, v138, s2
	s_mov_b32 s2, exec_lo
	s_delay_alu instid0(VALU_DEP_1)
	v_cmpx_ngt_f64_e32 v[48:49], v[50:51]
	s_xor_b32 s2, exec_lo, s2
	s_cbranch_execz .LBB66_427
; %bb.426:
	v_div_scale_f64 v[48:49], null, v[138:139], v[138:139], v[136:137]
	v_div_scale_f64 v[54:55], vcc_lo, v[136:137], v[138:139], v[136:137]
	s_delay_alu instid0(VALU_DEP_2) | instskip(SKIP_2) | instid1(VALU_DEP_1)
	v_rcp_f64_e32 v[50:51], v[48:49]
	s_waitcnt_depctr 0xfff
	v_fma_f64 v[52:53], -v[48:49], v[50:51], 1.0
	v_fma_f64 v[50:51], v[50:51], v[52:53], v[50:51]
	s_delay_alu instid0(VALU_DEP_1) | instskip(NEXT) | instid1(VALU_DEP_1)
	v_fma_f64 v[52:53], -v[48:49], v[50:51], 1.0
	v_fma_f64 v[50:51], v[50:51], v[52:53], v[50:51]
	s_delay_alu instid0(VALU_DEP_1) | instskip(NEXT) | instid1(VALU_DEP_1)
	v_mul_f64 v[52:53], v[54:55], v[50:51]
	v_fma_f64 v[48:49], -v[48:49], v[52:53], v[54:55]
	s_delay_alu instid0(VALU_DEP_1) | instskip(NEXT) | instid1(VALU_DEP_1)
	v_div_fmas_f64 v[48:49], v[48:49], v[50:51], v[52:53]
	v_div_fixup_f64 v[48:49], v[48:49], v[138:139], v[136:137]
	s_delay_alu instid0(VALU_DEP_1) | instskip(NEXT) | instid1(VALU_DEP_1)
	v_fma_f64 v[50:51], v[136:137], v[48:49], v[138:139]
	v_div_scale_f64 v[52:53], null, v[50:51], v[50:51], 1.0
	s_delay_alu instid0(VALU_DEP_1) | instskip(SKIP_2) | instid1(VALU_DEP_1)
	v_rcp_f64_e32 v[54:55], v[52:53]
	s_waitcnt_depctr 0xfff
	v_fma_f64 v[104:105], -v[52:53], v[54:55], 1.0
	v_fma_f64 v[54:55], v[54:55], v[104:105], v[54:55]
	s_delay_alu instid0(VALU_DEP_1) | instskip(NEXT) | instid1(VALU_DEP_1)
	v_fma_f64 v[104:105], -v[52:53], v[54:55], 1.0
	v_fma_f64 v[54:55], v[54:55], v[104:105], v[54:55]
	v_div_scale_f64 v[104:105], vcc_lo, 1.0, v[50:51], 1.0
	s_delay_alu instid0(VALU_DEP_1) | instskip(NEXT) | instid1(VALU_DEP_1)
	v_mul_f64 v[106:107], v[104:105], v[54:55]
	v_fma_f64 v[52:53], -v[52:53], v[106:107], v[104:105]
	s_delay_alu instid0(VALU_DEP_1) | instskip(NEXT) | instid1(VALU_DEP_1)
	v_div_fmas_f64 v[52:53], v[52:53], v[54:55], v[106:107]
	v_div_fixup_f64 v[138:139], v[52:53], v[50:51], 1.0
	s_delay_alu instid0(VALU_DEP_1)
	v_mul_f64 v[136:137], v[48:49], v[138:139]
	v_xor_b32_e32 v139, 0x80000000, v139
.LBB66_427:
	s_and_not1_saveexec_b32 s2, s2
	s_cbranch_execz .LBB66_429
; %bb.428:
	s_delay_alu instid0(VALU_DEP_1) | instskip(SKIP_1) | instid1(VALU_DEP_2)
	v_div_scale_f64 v[48:49], null, v[136:137], v[136:137], v[138:139]
	v_div_scale_f64 v[54:55], vcc_lo, v[138:139], v[136:137], v[138:139]
	v_rcp_f64_e32 v[50:51], v[48:49]
	s_waitcnt_depctr 0xfff
	v_fma_f64 v[52:53], -v[48:49], v[50:51], 1.0
	s_delay_alu instid0(VALU_DEP_1) | instskip(NEXT) | instid1(VALU_DEP_1)
	v_fma_f64 v[50:51], v[50:51], v[52:53], v[50:51]
	v_fma_f64 v[52:53], -v[48:49], v[50:51], 1.0
	s_delay_alu instid0(VALU_DEP_1) | instskip(NEXT) | instid1(VALU_DEP_1)
	v_fma_f64 v[50:51], v[50:51], v[52:53], v[50:51]
	v_mul_f64 v[52:53], v[54:55], v[50:51]
	s_delay_alu instid0(VALU_DEP_1) | instskip(NEXT) | instid1(VALU_DEP_1)
	v_fma_f64 v[48:49], -v[48:49], v[52:53], v[54:55]
	v_div_fmas_f64 v[48:49], v[48:49], v[50:51], v[52:53]
	s_delay_alu instid0(VALU_DEP_1) | instskip(NEXT) | instid1(VALU_DEP_1)
	v_div_fixup_f64 v[48:49], v[48:49], v[136:137], v[138:139]
	v_fma_f64 v[50:51], v[138:139], v[48:49], v[136:137]
	s_delay_alu instid0(VALU_DEP_1) | instskip(NEXT) | instid1(VALU_DEP_1)
	v_div_scale_f64 v[52:53], null, v[50:51], v[50:51], 1.0
	v_rcp_f64_e32 v[54:55], v[52:53]
	s_waitcnt_depctr 0xfff
	v_fma_f64 v[104:105], -v[52:53], v[54:55], 1.0
	s_delay_alu instid0(VALU_DEP_1) | instskip(NEXT) | instid1(VALU_DEP_1)
	v_fma_f64 v[54:55], v[54:55], v[104:105], v[54:55]
	v_fma_f64 v[104:105], -v[52:53], v[54:55], 1.0
	s_delay_alu instid0(VALU_DEP_1) | instskip(SKIP_1) | instid1(VALU_DEP_1)
	v_fma_f64 v[54:55], v[54:55], v[104:105], v[54:55]
	v_div_scale_f64 v[104:105], vcc_lo, 1.0, v[50:51], 1.0
	v_mul_f64 v[106:107], v[104:105], v[54:55]
	s_delay_alu instid0(VALU_DEP_1) | instskip(NEXT) | instid1(VALU_DEP_1)
	v_fma_f64 v[52:53], -v[52:53], v[106:107], v[104:105]
	v_div_fmas_f64 v[52:53], v[52:53], v[54:55], v[106:107]
	s_delay_alu instid0(VALU_DEP_1) | instskip(NEXT) | instid1(VALU_DEP_1)
	v_div_fixup_f64 v[136:137], v[52:53], v[50:51], 1.0
	v_mul_f64 v[138:139], v[48:49], -v[136:137]
.LBB66_429:
	s_or_b32 exec_lo, exec_lo, s2
.LBB66_430:
	s_delay_alu instid0(SALU_CYCLE_1) | instskip(NEXT) | instid1(SALU_CYCLE_1)
	s_or_b32 exec_lo, exec_lo, s3
	s_mov_b32 s2, exec_lo
	v_cmpx_ne_u32_e64 v178, v144
	s_xor_b32 s2, exec_lo, s2
	s_cbranch_execz .LBB66_436
; %bb.431:
	s_mov_b32 s3, exec_lo
	v_cmpx_eq_u32_e32 20, v178
	s_cbranch_execz .LBB66_435
; %bb.432:
	v_cmp_ne_u32_e32 vcc_lo, 20, v144
	s_xor_b32 s6, s4, -1
	s_delay_alu instid0(SALU_CYCLE_1) | instskip(NEXT) | instid1(SALU_CYCLE_1)
	s_and_b32 s7, s6, vcc_lo
	s_and_saveexec_b32 s6, s7
	s_cbranch_execz .LBB66_434
; %bb.433:
	scratch_load_b64 v[52:53], off, off offset:32 ; 8-byte Folded Reload
	v_ashrrev_i32_e32 v145, 31, v144
	s_delay_alu instid0(VALU_DEP_1) | instskip(SKIP_1) | instid1(VALU_DEP_1)
	v_lshlrev_b64 v[48:49], 2, v[144:145]
	s_waitcnt vmcnt(0)
	v_add_co_u32 v48, vcc_lo, v52, v48
	s_delay_alu instid0(VALU_DEP_2)
	v_add_co_ci_u32_e32 v49, vcc_lo, v53, v49, vcc_lo
	s_clause 0x1
	flat_load_b32 v50, v[48:49]
	flat_load_b32 v51, v[52:53] offset:80
	s_waitcnt vmcnt(1) lgkmcnt(1)
	flat_store_b32 v[52:53], v50 offset:80
	s_waitcnt vmcnt(0) lgkmcnt(1)
	flat_store_b32 v[48:49], v51
.LBB66_434:
	s_or_b32 exec_lo, exec_lo, s6
	v_mov_b32_e32 v178, v144
	v_mov_b32_e32 v172, v144
.LBB66_435:
	s_or_b32 exec_lo, exec_lo, s3
.LBB66_436:
	s_and_not1_saveexec_b32 s2, s2
	s_cbranch_execz .LBB66_438
; %bb.437:
	v_mov_b32_e32 v178, 20
	ds_store_2addr_b64 v176, v[56:57], v[58:59] offset0:42 offset1:43
	ds_store_2addr_b64 v176, v[44:45], v[46:47] offset0:44 offset1:45
	;; [unrolled: 1-line block ×13, first 2 shown]
.LBB66_438:
	s_or_b32 exec_lo, exec_lo, s2
	s_delay_alu instid0(SALU_CYCLE_1)
	s_mov_b32 s2, exec_lo
	s_waitcnt lgkmcnt(0)
	s_waitcnt_vscnt null, 0x0
	s_barrier
	buffer_gl0_inv
	v_cmpx_lt_i32_e32 20, v178
	s_cbranch_execz .LBB66_440
; %bb.439:
	v_mul_f64 v[48:49], v[136:137], v[62:63]
	v_mul_f64 v[50:51], v[138:139], v[62:63]
	ds_load_2addr_b64 v[144:147], v176 offset0:42 offset1:43
	ds_load_2addr_b64 v[148:151], v176 offset0:44 offset1:45
	;; [unrolled: 1-line block ×13, first 2 shown]
	v_fma_f64 v[48:49], v[138:139], v[60:61], v[48:49]
	v_fma_f64 v[60:61], v[136:137], v[60:61], -v[50:51]
	s_waitcnt lgkmcnt(12)
	s_delay_alu instid0(VALU_DEP_2)
	v_mul_f64 v[50:51], v[146:147], v[48:49]
	v_mul_f64 v[52:53], v[144:145], v[48:49]
	s_waitcnt lgkmcnt(11)
	v_mul_f64 v[54:55], v[150:151], v[48:49]
	v_mul_f64 v[62:63], v[148:149], v[48:49]
	s_waitcnt lgkmcnt(10)
	;; [unrolled: 3-line block ×12, first 2 shown]
	v_mul_f64 v[223:224], v[201:202], v[48:49]
	v_mul_f64 v[225:226], v[199:200], v[48:49]
	v_fma_f64 v[50:51], v[144:145], v[60:61], -v[50:51]
	v_fma_f64 v[52:53], v[146:147], v[60:61], v[52:53]
	v_fma_f64 v[54:55], v[148:149], v[60:61], -v[54:55]
	v_fma_f64 v[62:63], v[150:151], v[60:61], v[62:63]
	;; [unrolled: 2-line block ×13, first 2 shown]
	v_add_f64 v[56:57], v[56:57], -v[50:51]
	v_add_f64 v[58:59], v[58:59], -v[52:53]
	;; [unrolled: 1-line block ×26, first 2 shown]
	v_dual_mov_b32 v63, v49 :: v_dual_mov_b32 v62, v48
.LBB66_440:
	s_or_b32 exec_lo, exec_lo, s2
	v_lshl_add_u32 v48, v178, 4, v176
	s_barrier
	buffer_gl0_inv
	v_mov_b32_e32 v144, 21
	ds_store_2addr_b64 v48, v[56:57], v[58:59] offset1:1
	s_waitcnt lgkmcnt(0)
	s_barrier
	buffer_gl0_inv
	ds_load_2addr_b64 v[136:139], v176 offset0:42 offset1:43
	s_cmp_lt_i32 s5, 23
	s_cbranch_scc1 .LBB66_443
; %bb.441:
	v_add3_u32 v145, v174, 0, 0x160
	v_mov_b32_e32 v144, 21
	s_mov_b32 s6, 22
	s_set_inst_prefetch_distance 0x1
	.p2align	6
.LBB66_442:                             ; =>This Inner Loop Header: Depth=1
	ds_load_2addr_b64 v[146:149], v145 offset1:1
	s_waitcnt lgkmcnt(1)
	v_cmp_gt_f64_e32 vcc_lo, 0, v[136:137]
	v_xor_b32_e32 v48, 0x80000000, v137
	v_cmp_gt_f64_e64 s2, 0, v[138:139]
	v_xor_b32_e32 v50, 0x80000000, v139
	v_add_nc_u32_e32 v145, 16, v145
	s_waitcnt lgkmcnt(0)
	v_cmp_gt_f64_e64 s3, 0, v[146:147]
	v_mov_b32_e32 v52, v146
	v_dual_mov_b32 v54, v148 :: v_dual_cndmask_b32 v49, v137, v48
	v_xor_b32_e32 v48, 0x80000000, v147
	v_cndmask_b32_e64 v51, v139, v50, s2
	v_xor_b32_e32 v50, 0x80000000, v149
	s_delay_alu instid0(VALU_DEP_3) | instskip(SKIP_2) | instid1(VALU_DEP_2)
	v_cndmask_b32_e64 v53, v147, v48, s3
	v_cmp_gt_f64_e64 s3, 0, v[148:149]
	v_cndmask_b32_e32 v48, v136, v136, vcc_lo
	v_cndmask_b32_e64 v55, v149, v50, s3
	v_cndmask_b32_e64 v50, v138, v138, s2
	s_delay_alu instid0(VALU_DEP_2) | instskip(NEXT) | instid1(VALU_DEP_2)
	v_add_f64 v[52:53], v[52:53], v[54:55]
	v_add_f64 v[48:49], v[48:49], v[50:51]
	s_delay_alu instid0(VALU_DEP_1)
	v_cmp_lt_f64_e32 vcc_lo, v[48:49], v[52:53]
	v_cndmask_b32_e32 v139, v139, v149, vcc_lo
	v_dual_cndmask_b32 v137, v137, v147 :: v_dual_cndmask_b32 v136, v136, v146
	v_cndmask_b32_e32 v138, v138, v148, vcc_lo
	v_cndmask_b32_e64 v144, v144, s6, vcc_lo
	s_add_i32 s6, s6, 1
	s_delay_alu instid0(SALU_CYCLE_1)
	s_cmp_lg_u32 s5, s6
	s_cbranch_scc1 .LBB66_442
.LBB66_443:
	s_set_inst_prefetch_distance 0x2
	s_waitcnt lgkmcnt(0)
	v_cmp_eq_f64_e32 vcc_lo, 0, v[136:137]
	v_cmp_eq_f64_e64 s2, 0, v[138:139]
	s_delay_alu instid0(VALU_DEP_1) | instskip(NEXT) | instid1(SALU_CYCLE_1)
	s_and_b32 s2, vcc_lo, s2
	s_and_saveexec_b32 s3, s2
	s_delay_alu instid0(SALU_CYCLE_1)
	s_xor_b32 s2, exec_lo, s3
; %bb.444:
	v_cmp_ne_u32_e32 vcc_lo, 0, v255
	v_cndmask_b32_e32 v255, 22, v255, vcc_lo
; %bb.445:
	s_and_not1_saveexec_b32 s3, s2
	s_cbranch_execz .LBB66_451
; %bb.446:
	v_cmp_gt_f64_e32 vcc_lo, 0, v[136:137]
	v_cmp_gt_f64_e64 s2, 0, v[138:139]
	v_xor_b32_e32 v48, 0x80000000, v137
	v_xor_b32_e32 v50, 0x80000000, v139
	s_delay_alu instid0(VALU_DEP_2) | instskip(NEXT) | instid1(VALU_DEP_2)
	v_cndmask_b32_e32 v49, v137, v48, vcc_lo
	v_cndmask_b32_e64 v51, v139, v50, s2
	v_cndmask_b32_e32 v48, v136, v136, vcc_lo
	v_cndmask_b32_e64 v50, v138, v138, s2
	s_mov_b32 s2, exec_lo
	s_delay_alu instid0(VALU_DEP_1)
	v_cmpx_ngt_f64_e32 v[48:49], v[50:51]
	s_xor_b32 s2, exec_lo, s2
	s_cbranch_execz .LBB66_448
; %bb.447:
	v_div_scale_f64 v[48:49], null, v[138:139], v[138:139], v[136:137]
	v_div_scale_f64 v[54:55], vcc_lo, v[136:137], v[138:139], v[136:137]
	s_delay_alu instid0(VALU_DEP_2) | instskip(SKIP_2) | instid1(VALU_DEP_1)
	v_rcp_f64_e32 v[50:51], v[48:49]
	s_waitcnt_depctr 0xfff
	v_fma_f64 v[52:53], -v[48:49], v[50:51], 1.0
	v_fma_f64 v[50:51], v[50:51], v[52:53], v[50:51]
	s_delay_alu instid0(VALU_DEP_1) | instskip(NEXT) | instid1(VALU_DEP_1)
	v_fma_f64 v[52:53], -v[48:49], v[50:51], 1.0
	v_fma_f64 v[50:51], v[50:51], v[52:53], v[50:51]
	s_delay_alu instid0(VALU_DEP_1) | instskip(NEXT) | instid1(VALU_DEP_1)
	v_mul_f64 v[52:53], v[54:55], v[50:51]
	v_fma_f64 v[48:49], -v[48:49], v[52:53], v[54:55]
	s_delay_alu instid0(VALU_DEP_1) | instskip(NEXT) | instid1(VALU_DEP_1)
	v_div_fmas_f64 v[48:49], v[48:49], v[50:51], v[52:53]
	v_div_fixup_f64 v[48:49], v[48:49], v[138:139], v[136:137]
	s_delay_alu instid0(VALU_DEP_1) | instskip(NEXT) | instid1(VALU_DEP_1)
	v_fma_f64 v[50:51], v[136:137], v[48:49], v[138:139]
	v_div_scale_f64 v[52:53], null, v[50:51], v[50:51], 1.0
	s_delay_alu instid0(VALU_DEP_1) | instskip(SKIP_2) | instid1(VALU_DEP_1)
	v_rcp_f64_e32 v[54:55], v[52:53]
	s_waitcnt_depctr 0xfff
	v_fma_f64 v[104:105], -v[52:53], v[54:55], 1.0
	v_fma_f64 v[54:55], v[54:55], v[104:105], v[54:55]
	s_delay_alu instid0(VALU_DEP_1) | instskip(NEXT) | instid1(VALU_DEP_1)
	v_fma_f64 v[104:105], -v[52:53], v[54:55], 1.0
	v_fma_f64 v[54:55], v[54:55], v[104:105], v[54:55]
	v_div_scale_f64 v[104:105], vcc_lo, 1.0, v[50:51], 1.0
	s_delay_alu instid0(VALU_DEP_1) | instskip(NEXT) | instid1(VALU_DEP_1)
	v_mul_f64 v[106:107], v[104:105], v[54:55]
	v_fma_f64 v[52:53], -v[52:53], v[106:107], v[104:105]
	s_delay_alu instid0(VALU_DEP_1) | instskip(NEXT) | instid1(VALU_DEP_1)
	v_div_fmas_f64 v[52:53], v[52:53], v[54:55], v[106:107]
	v_div_fixup_f64 v[138:139], v[52:53], v[50:51], 1.0
	s_delay_alu instid0(VALU_DEP_1)
	v_mul_f64 v[136:137], v[48:49], v[138:139]
	v_xor_b32_e32 v139, 0x80000000, v139
.LBB66_448:
	s_and_not1_saveexec_b32 s2, s2
	s_cbranch_execz .LBB66_450
; %bb.449:
	s_delay_alu instid0(VALU_DEP_1) | instskip(SKIP_1) | instid1(VALU_DEP_2)
	v_div_scale_f64 v[48:49], null, v[136:137], v[136:137], v[138:139]
	v_div_scale_f64 v[54:55], vcc_lo, v[138:139], v[136:137], v[138:139]
	v_rcp_f64_e32 v[50:51], v[48:49]
	s_waitcnt_depctr 0xfff
	v_fma_f64 v[52:53], -v[48:49], v[50:51], 1.0
	s_delay_alu instid0(VALU_DEP_1) | instskip(NEXT) | instid1(VALU_DEP_1)
	v_fma_f64 v[50:51], v[50:51], v[52:53], v[50:51]
	v_fma_f64 v[52:53], -v[48:49], v[50:51], 1.0
	s_delay_alu instid0(VALU_DEP_1) | instskip(NEXT) | instid1(VALU_DEP_1)
	v_fma_f64 v[50:51], v[50:51], v[52:53], v[50:51]
	v_mul_f64 v[52:53], v[54:55], v[50:51]
	s_delay_alu instid0(VALU_DEP_1) | instskip(NEXT) | instid1(VALU_DEP_1)
	v_fma_f64 v[48:49], -v[48:49], v[52:53], v[54:55]
	v_div_fmas_f64 v[48:49], v[48:49], v[50:51], v[52:53]
	s_delay_alu instid0(VALU_DEP_1) | instskip(NEXT) | instid1(VALU_DEP_1)
	v_div_fixup_f64 v[48:49], v[48:49], v[136:137], v[138:139]
	v_fma_f64 v[50:51], v[138:139], v[48:49], v[136:137]
	s_delay_alu instid0(VALU_DEP_1) | instskip(NEXT) | instid1(VALU_DEP_1)
	v_div_scale_f64 v[52:53], null, v[50:51], v[50:51], 1.0
	v_rcp_f64_e32 v[54:55], v[52:53]
	s_waitcnt_depctr 0xfff
	v_fma_f64 v[104:105], -v[52:53], v[54:55], 1.0
	s_delay_alu instid0(VALU_DEP_1) | instskip(NEXT) | instid1(VALU_DEP_1)
	v_fma_f64 v[54:55], v[54:55], v[104:105], v[54:55]
	v_fma_f64 v[104:105], -v[52:53], v[54:55], 1.0
	s_delay_alu instid0(VALU_DEP_1) | instskip(SKIP_1) | instid1(VALU_DEP_1)
	v_fma_f64 v[54:55], v[54:55], v[104:105], v[54:55]
	v_div_scale_f64 v[104:105], vcc_lo, 1.0, v[50:51], 1.0
	v_mul_f64 v[106:107], v[104:105], v[54:55]
	s_delay_alu instid0(VALU_DEP_1) | instskip(NEXT) | instid1(VALU_DEP_1)
	v_fma_f64 v[52:53], -v[52:53], v[106:107], v[104:105]
	v_div_fmas_f64 v[52:53], v[52:53], v[54:55], v[106:107]
	s_delay_alu instid0(VALU_DEP_1) | instskip(NEXT) | instid1(VALU_DEP_1)
	v_div_fixup_f64 v[136:137], v[52:53], v[50:51], 1.0
	v_mul_f64 v[138:139], v[48:49], -v[136:137]
.LBB66_450:
	s_or_b32 exec_lo, exec_lo, s2
.LBB66_451:
	s_delay_alu instid0(SALU_CYCLE_1) | instskip(NEXT) | instid1(SALU_CYCLE_1)
	s_or_b32 exec_lo, exec_lo, s3
	s_mov_b32 s2, exec_lo
	v_cmpx_ne_u32_e64 v178, v144
	s_xor_b32 s2, exec_lo, s2
	s_cbranch_execz .LBB66_457
; %bb.452:
	s_mov_b32 s3, exec_lo
	v_cmpx_eq_u32_e32 21, v178
	s_cbranch_execz .LBB66_456
; %bb.453:
	v_cmp_ne_u32_e32 vcc_lo, 21, v144
	s_xor_b32 s6, s4, -1
	s_delay_alu instid0(SALU_CYCLE_1) | instskip(NEXT) | instid1(SALU_CYCLE_1)
	s_and_b32 s7, s6, vcc_lo
	s_and_saveexec_b32 s6, s7
	s_cbranch_execz .LBB66_455
; %bb.454:
	scratch_load_b64 v[52:53], off, off offset:32 ; 8-byte Folded Reload
	v_ashrrev_i32_e32 v145, 31, v144
	s_delay_alu instid0(VALU_DEP_1) | instskip(SKIP_1) | instid1(VALU_DEP_1)
	v_lshlrev_b64 v[48:49], 2, v[144:145]
	s_waitcnt vmcnt(0)
	v_add_co_u32 v48, vcc_lo, v52, v48
	s_delay_alu instid0(VALU_DEP_2)
	v_add_co_ci_u32_e32 v49, vcc_lo, v53, v49, vcc_lo
	s_clause 0x1
	flat_load_b32 v50, v[48:49]
	flat_load_b32 v51, v[52:53] offset:84
	s_waitcnt vmcnt(1) lgkmcnt(1)
	flat_store_b32 v[52:53], v50 offset:84
	s_waitcnt vmcnt(0) lgkmcnt(1)
	flat_store_b32 v[48:49], v51
.LBB66_455:
	s_or_b32 exec_lo, exec_lo, s6
	v_mov_b32_e32 v178, v144
	v_mov_b32_e32 v172, v144
.LBB66_456:
	s_or_b32 exec_lo, exec_lo, s3
.LBB66_457:
	s_and_not1_saveexec_b32 s2, s2
	s_cbranch_execz .LBB66_459
; %bb.458:
	v_mov_b32_e32 v178, 21
	ds_store_2addr_b64 v176, v[44:45], v[46:47] offset0:44 offset1:45
	ds_store_2addr_b64 v176, v[40:41], v[42:43] offset0:46 offset1:47
	;; [unrolled: 1-line block ×12, first 2 shown]
.LBB66_459:
	s_or_b32 exec_lo, exec_lo, s2
	s_delay_alu instid0(SALU_CYCLE_1)
	s_mov_b32 s2, exec_lo
	s_waitcnt lgkmcnt(0)
	s_waitcnt_vscnt null, 0x0
	s_barrier
	buffer_gl0_inv
	v_cmpx_lt_i32_e32 21, v178
	s_cbranch_execz .LBB66_461
; %bb.460:
	v_mul_f64 v[48:49], v[136:137], v[58:59]
	v_mul_f64 v[50:51], v[138:139], v[58:59]
	ds_load_2addr_b64 v[144:147], v176 offset0:44 offset1:45
	ds_load_2addr_b64 v[148:151], v176 offset0:46 offset1:47
	ds_load_2addr_b64 v[152:155], v176 offset0:48 offset1:49
	ds_load_2addr_b64 v[156:159], v176 offset0:50 offset1:51
	ds_load_2addr_b64 v[160:163], v176 offset0:52 offset1:53
	ds_load_2addr_b64 v[164:167], v176 offset0:54 offset1:55
	ds_load_2addr_b64 v[168:171], v176 offset0:56 offset1:57
	ds_load_2addr_b64 v[179:182], v176 offset0:58 offset1:59
	ds_load_2addr_b64 v[183:186], v176 offset0:60 offset1:61
	ds_load_2addr_b64 v[187:190], v176 offset0:62 offset1:63
	ds_load_2addr_b64 v[191:194], v176 offset0:64 offset1:65
	ds_load_2addr_b64 v[195:198], v176 offset0:66 offset1:67
	v_fma_f64 v[48:49], v[138:139], v[56:57], v[48:49]
	v_fma_f64 v[56:57], v[136:137], v[56:57], -v[50:51]
	s_waitcnt lgkmcnt(11)
	s_delay_alu instid0(VALU_DEP_2)
	v_mul_f64 v[50:51], v[146:147], v[48:49]
	v_mul_f64 v[52:53], v[144:145], v[48:49]
	s_waitcnt lgkmcnt(10)
	v_mul_f64 v[54:55], v[150:151], v[48:49]
	v_mul_f64 v[58:59], v[148:149], v[48:49]
	s_waitcnt lgkmcnt(9)
	;; [unrolled: 3-line block ×11, first 2 shown]
	v_mul_f64 v[215:216], v[197:198], v[48:49]
	v_mul_f64 v[217:218], v[195:196], v[48:49]
	v_fma_f64 v[50:51], v[144:145], v[56:57], -v[50:51]
	v_fma_f64 v[52:53], v[146:147], v[56:57], v[52:53]
	v_fma_f64 v[54:55], v[148:149], v[56:57], -v[54:55]
	v_fma_f64 v[58:59], v[150:151], v[56:57], v[58:59]
	v_fma_f64 v[104:105], v[152:153], v[56:57], -v[104:105]
	v_fma_f64 v[106:107], v[154:155], v[56:57], v[106:107]
	v_fma_f64 v[124:125], v[156:157], v[56:57], -v[124:125]
	v_fma_f64 v[126:127], v[158:159], v[56:57], v[126:127]
	v_fma_f64 v[128:129], v[160:161], v[56:57], -v[128:129]
	v_fma_f64 v[130:131], v[162:163], v[56:57], v[130:131]
	v_fma_f64 v[136:137], v[164:165], v[56:57], -v[136:137]
	v_fma_f64 v[138:139], v[166:167], v[56:57], v[138:139]
	v_fma_f64 v[140:141], v[168:169], v[56:57], -v[140:141]
	v_fma_f64 v[142:143], v[170:171], v[56:57], v[142:143]
	v_fma_f64 v[144:145], v[179:180], v[56:57], -v[199:200]
	v_fma_f64 v[146:147], v[181:182], v[56:57], v[201:202]
	v_fma_f64 v[148:149], v[183:184], v[56:57], -v[203:204]
	v_fma_f64 v[150:151], v[185:186], v[56:57], v[205:206]
	v_fma_f64 v[152:153], v[187:188], v[56:57], -v[207:208]
	v_fma_f64 v[154:155], v[189:190], v[56:57], v[209:210]
	v_fma_f64 v[156:157], v[191:192], v[56:57], -v[211:212]
	v_fma_f64 v[158:159], v[193:194], v[56:57], v[213:214]
	v_fma_f64 v[160:161], v[195:196], v[56:57], -v[215:216]
	v_fma_f64 v[162:163], v[197:198], v[56:57], v[217:218]
	v_add_f64 v[44:45], v[44:45], -v[50:51]
	v_add_f64 v[46:47], v[46:47], -v[52:53]
	;; [unrolled: 1-line block ×24, first 2 shown]
	v_dual_mov_b32 v59, v49 :: v_dual_mov_b32 v58, v48
.LBB66_461:
	s_or_b32 exec_lo, exec_lo, s2
	v_lshl_add_u32 v48, v178, 4, v176
	s_barrier
	buffer_gl0_inv
	v_mov_b32_e32 v144, 22
	ds_store_2addr_b64 v48, v[44:45], v[46:47] offset1:1
	s_waitcnt lgkmcnt(0)
	s_barrier
	buffer_gl0_inv
	ds_load_2addr_b64 v[136:139], v176 offset0:44 offset1:45
	s_cmp_lt_i32 s5, 24
	s_cbranch_scc1 .LBB66_464
; %bb.462:
	v_add3_u32 v145, v174, 0, 0x170
	v_mov_b32_e32 v144, 22
	s_mov_b32 s6, 23
	s_set_inst_prefetch_distance 0x1
	.p2align	6
.LBB66_463:                             ; =>This Inner Loop Header: Depth=1
	ds_load_2addr_b64 v[146:149], v145 offset1:1
	s_waitcnt lgkmcnt(1)
	v_cmp_gt_f64_e32 vcc_lo, 0, v[136:137]
	v_xor_b32_e32 v48, 0x80000000, v137
	v_cmp_gt_f64_e64 s2, 0, v[138:139]
	v_xor_b32_e32 v50, 0x80000000, v139
	v_add_nc_u32_e32 v145, 16, v145
	s_waitcnt lgkmcnt(0)
	v_cmp_gt_f64_e64 s3, 0, v[146:147]
	v_mov_b32_e32 v52, v146
	v_dual_mov_b32 v54, v148 :: v_dual_cndmask_b32 v49, v137, v48
	v_xor_b32_e32 v48, 0x80000000, v147
	v_cndmask_b32_e64 v51, v139, v50, s2
	v_xor_b32_e32 v50, 0x80000000, v149
	s_delay_alu instid0(VALU_DEP_3) | instskip(SKIP_2) | instid1(VALU_DEP_2)
	v_cndmask_b32_e64 v53, v147, v48, s3
	v_cmp_gt_f64_e64 s3, 0, v[148:149]
	v_cndmask_b32_e32 v48, v136, v136, vcc_lo
	v_cndmask_b32_e64 v55, v149, v50, s3
	v_cndmask_b32_e64 v50, v138, v138, s2
	s_delay_alu instid0(VALU_DEP_2) | instskip(NEXT) | instid1(VALU_DEP_2)
	v_add_f64 v[52:53], v[52:53], v[54:55]
	v_add_f64 v[48:49], v[48:49], v[50:51]
	s_delay_alu instid0(VALU_DEP_1)
	v_cmp_lt_f64_e32 vcc_lo, v[48:49], v[52:53]
	v_cndmask_b32_e32 v139, v139, v149, vcc_lo
	v_dual_cndmask_b32 v137, v137, v147 :: v_dual_cndmask_b32 v136, v136, v146
	v_cndmask_b32_e32 v138, v138, v148, vcc_lo
	v_cndmask_b32_e64 v144, v144, s6, vcc_lo
	s_add_i32 s6, s6, 1
	s_delay_alu instid0(SALU_CYCLE_1)
	s_cmp_lg_u32 s5, s6
	s_cbranch_scc1 .LBB66_463
.LBB66_464:
	s_set_inst_prefetch_distance 0x2
	s_waitcnt lgkmcnt(0)
	v_cmp_eq_f64_e32 vcc_lo, 0, v[136:137]
	v_cmp_eq_f64_e64 s2, 0, v[138:139]
	s_delay_alu instid0(VALU_DEP_1) | instskip(NEXT) | instid1(SALU_CYCLE_1)
	s_and_b32 s2, vcc_lo, s2
	s_and_saveexec_b32 s3, s2
	s_delay_alu instid0(SALU_CYCLE_1)
	s_xor_b32 s2, exec_lo, s3
; %bb.465:
	v_cmp_ne_u32_e32 vcc_lo, 0, v255
	v_cndmask_b32_e32 v255, 23, v255, vcc_lo
; %bb.466:
	s_and_not1_saveexec_b32 s3, s2
	s_cbranch_execz .LBB66_472
; %bb.467:
	v_cmp_gt_f64_e32 vcc_lo, 0, v[136:137]
	v_cmp_gt_f64_e64 s2, 0, v[138:139]
	v_xor_b32_e32 v48, 0x80000000, v137
	v_xor_b32_e32 v50, 0x80000000, v139
	s_delay_alu instid0(VALU_DEP_2) | instskip(NEXT) | instid1(VALU_DEP_2)
	v_cndmask_b32_e32 v49, v137, v48, vcc_lo
	v_cndmask_b32_e64 v51, v139, v50, s2
	v_cndmask_b32_e32 v48, v136, v136, vcc_lo
	v_cndmask_b32_e64 v50, v138, v138, s2
	s_mov_b32 s2, exec_lo
	s_delay_alu instid0(VALU_DEP_1)
	v_cmpx_ngt_f64_e32 v[48:49], v[50:51]
	s_xor_b32 s2, exec_lo, s2
	s_cbranch_execz .LBB66_469
; %bb.468:
	v_div_scale_f64 v[48:49], null, v[138:139], v[138:139], v[136:137]
	v_div_scale_f64 v[54:55], vcc_lo, v[136:137], v[138:139], v[136:137]
	s_delay_alu instid0(VALU_DEP_2) | instskip(SKIP_2) | instid1(VALU_DEP_1)
	v_rcp_f64_e32 v[50:51], v[48:49]
	s_waitcnt_depctr 0xfff
	v_fma_f64 v[52:53], -v[48:49], v[50:51], 1.0
	v_fma_f64 v[50:51], v[50:51], v[52:53], v[50:51]
	s_delay_alu instid0(VALU_DEP_1) | instskip(NEXT) | instid1(VALU_DEP_1)
	v_fma_f64 v[52:53], -v[48:49], v[50:51], 1.0
	v_fma_f64 v[50:51], v[50:51], v[52:53], v[50:51]
	s_delay_alu instid0(VALU_DEP_1) | instskip(NEXT) | instid1(VALU_DEP_1)
	v_mul_f64 v[52:53], v[54:55], v[50:51]
	v_fma_f64 v[48:49], -v[48:49], v[52:53], v[54:55]
	s_delay_alu instid0(VALU_DEP_1) | instskip(NEXT) | instid1(VALU_DEP_1)
	v_div_fmas_f64 v[48:49], v[48:49], v[50:51], v[52:53]
	v_div_fixup_f64 v[48:49], v[48:49], v[138:139], v[136:137]
	s_delay_alu instid0(VALU_DEP_1) | instskip(NEXT) | instid1(VALU_DEP_1)
	v_fma_f64 v[50:51], v[136:137], v[48:49], v[138:139]
	v_div_scale_f64 v[52:53], null, v[50:51], v[50:51], 1.0
	s_delay_alu instid0(VALU_DEP_1) | instskip(SKIP_2) | instid1(VALU_DEP_1)
	v_rcp_f64_e32 v[54:55], v[52:53]
	s_waitcnt_depctr 0xfff
	v_fma_f64 v[104:105], -v[52:53], v[54:55], 1.0
	v_fma_f64 v[54:55], v[54:55], v[104:105], v[54:55]
	s_delay_alu instid0(VALU_DEP_1) | instskip(NEXT) | instid1(VALU_DEP_1)
	v_fma_f64 v[104:105], -v[52:53], v[54:55], 1.0
	v_fma_f64 v[54:55], v[54:55], v[104:105], v[54:55]
	v_div_scale_f64 v[104:105], vcc_lo, 1.0, v[50:51], 1.0
	s_delay_alu instid0(VALU_DEP_1) | instskip(NEXT) | instid1(VALU_DEP_1)
	v_mul_f64 v[106:107], v[104:105], v[54:55]
	v_fma_f64 v[52:53], -v[52:53], v[106:107], v[104:105]
	s_delay_alu instid0(VALU_DEP_1) | instskip(NEXT) | instid1(VALU_DEP_1)
	v_div_fmas_f64 v[52:53], v[52:53], v[54:55], v[106:107]
	v_div_fixup_f64 v[138:139], v[52:53], v[50:51], 1.0
	s_delay_alu instid0(VALU_DEP_1)
	v_mul_f64 v[136:137], v[48:49], v[138:139]
	v_xor_b32_e32 v139, 0x80000000, v139
.LBB66_469:
	s_and_not1_saveexec_b32 s2, s2
	s_cbranch_execz .LBB66_471
; %bb.470:
	s_delay_alu instid0(VALU_DEP_1) | instskip(SKIP_1) | instid1(VALU_DEP_2)
	v_div_scale_f64 v[48:49], null, v[136:137], v[136:137], v[138:139]
	v_div_scale_f64 v[54:55], vcc_lo, v[138:139], v[136:137], v[138:139]
	v_rcp_f64_e32 v[50:51], v[48:49]
	s_waitcnt_depctr 0xfff
	v_fma_f64 v[52:53], -v[48:49], v[50:51], 1.0
	s_delay_alu instid0(VALU_DEP_1) | instskip(NEXT) | instid1(VALU_DEP_1)
	v_fma_f64 v[50:51], v[50:51], v[52:53], v[50:51]
	v_fma_f64 v[52:53], -v[48:49], v[50:51], 1.0
	s_delay_alu instid0(VALU_DEP_1) | instskip(NEXT) | instid1(VALU_DEP_1)
	v_fma_f64 v[50:51], v[50:51], v[52:53], v[50:51]
	v_mul_f64 v[52:53], v[54:55], v[50:51]
	s_delay_alu instid0(VALU_DEP_1) | instskip(NEXT) | instid1(VALU_DEP_1)
	v_fma_f64 v[48:49], -v[48:49], v[52:53], v[54:55]
	v_div_fmas_f64 v[48:49], v[48:49], v[50:51], v[52:53]
	s_delay_alu instid0(VALU_DEP_1) | instskip(NEXT) | instid1(VALU_DEP_1)
	v_div_fixup_f64 v[48:49], v[48:49], v[136:137], v[138:139]
	v_fma_f64 v[50:51], v[138:139], v[48:49], v[136:137]
	s_delay_alu instid0(VALU_DEP_1) | instskip(NEXT) | instid1(VALU_DEP_1)
	v_div_scale_f64 v[52:53], null, v[50:51], v[50:51], 1.0
	v_rcp_f64_e32 v[54:55], v[52:53]
	s_waitcnt_depctr 0xfff
	v_fma_f64 v[104:105], -v[52:53], v[54:55], 1.0
	s_delay_alu instid0(VALU_DEP_1) | instskip(NEXT) | instid1(VALU_DEP_1)
	v_fma_f64 v[54:55], v[54:55], v[104:105], v[54:55]
	v_fma_f64 v[104:105], -v[52:53], v[54:55], 1.0
	s_delay_alu instid0(VALU_DEP_1) | instskip(SKIP_1) | instid1(VALU_DEP_1)
	v_fma_f64 v[54:55], v[54:55], v[104:105], v[54:55]
	v_div_scale_f64 v[104:105], vcc_lo, 1.0, v[50:51], 1.0
	v_mul_f64 v[106:107], v[104:105], v[54:55]
	s_delay_alu instid0(VALU_DEP_1) | instskip(NEXT) | instid1(VALU_DEP_1)
	v_fma_f64 v[52:53], -v[52:53], v[106:107], v[104:105]
	v_div_fmas_f64 v[52:53], v[52:53], v[54:55], v[106:107]
	s_delay_alu instid0(VALU_DEP_1) | instskip(NEXT) | instid1(VALU_DEP_1)
	v_div_fixup_f64 v[136:137], v[52:53], v[50:51], 1.0
	v_mul_f64 v[138:139], v[48:49], -v[136:137]
.LBB66_471:
	s_or_b32 exec_lo, exec_lo, s2
.LBB66_472:
	s_delay_alu instid0(SALU_CYCLE_1) | instskip(NEXT) | instid1(SALU_CYCLE_1)
	s_or_b32 exec_lo, exec_lo, s3
	s_mov_b32 s2, exec_lo
	v_cmpx_ne_u32_e64 v178, v144
	s_xor_b32 s2, exec_lo, s2
	s_cbranch_execz .LBB66_478
; %bb.473:
	s_mov_b32 s3, exec_lo
	v_cmpx_eq_u32_e32 22, v178
	s_cbranch_execz .LBB66_477
; %bb.474:
	v_cmp_ne_u32_e32 vcc_lo, 22, v144
	s_xor_b32 s6, s4, -1
	s_delay_alu instid0(SALU_CYCLE_1) | instskip(NEXT) | instid1(SALU_CYCLE_1)
	s_and_b32 s7, s6, vcc_lo
	s_and_saveexec_b32 s6, s7
	s_cbranch_execz .LBB66_476
; %bb.475:
	scratch_load_b64 v[52:53], off, off offset:32 ; 8-byte Folded Reload
	v_ashrrev_i32_e32 v145, 31, v144
	s_delay_alu instid0(VALU_DEP_1) | instskip(SKIP_1) | instid1(VALU_DEP_1)
	v_lshlrev_b64 v[48:49], 2, v[144:145]
	s_waitcnt vmcnt(0)
	v_add_co_u32 v48, vcc_lo, v52, v48
	s_delay_alu instid0(VALU_DEP_2)
	v_add_co_ci_u32_e32 v49, vcc_lo, v53, v49, vcc_lo
	s_clause 0x1
	flat_load_b32 v50, v[48:49]
	flat_load_b32 v51, v[52:53] offset:88
	s_waitcnt vmcnt(1) lgkmcnt(1)
	flat_store_b32 v[52:53], v50 offset:88
	s_waitcnt vmcnt(0) lgkmcnt(1)
	flat_store_b32 v[48:49], v51
.LBB66_476:
	s_or_b32 exec_lo, exec_lo, s6
	v_mov_b32_e32 v178, v144
	v_mov_b32_e32 v172, v144
.LBB66_477:
	s_or_b32 exec_lo, exec_lo, s3
.LBB66_478:
	s_and_not1_saveexec_b32 s2, s2
	s_cbranch_execz .LBB66_480
; %bb.479:
	v_mov_b32_e32 v178, 22
	ds_store_2addr_b64 v176, v[40:41], v[42:43] offset0:46 offset1:47
	ds_store_2addr_b64 v176, v[36:37], v[38:39] offset0:48 offset1:49
	;; [unrolled: 1-line block ×11, first 2 shown]
.LBB66_480:
	s_or_b32 exec_lo, exec_lo, s2
	s_delay_alu instid0(SALU_CYCLE_1)
	s_mov_b32 s2, exec_lo
	s_waitcnt lgkmcnt(0)
	s_waitcnt_vscnt null, 0x0
	s_barrier
	buffer_gl0_inv
	v_cmpx_lt_i32_e32 22, v178
	s_cbranch_execz .LBB66_482
; %bb.481:
	v_mul_f64 v[48:49], v[136:137], v[46:47]
	v_mul_f64 v[46:47], v[138:139], v[46:47]
	ds_load_2addr_b64 v[144:147], v176 offset0:46 offset1:47
	ds_load_2addr_b64 v[148:151], v176 offset0:48 offset1:49
	;; [unrolled: 1-line block ×11, first 2 shown]
	v_fma_f64 v[48:49], v[138:139], v[44:45], v[48:49]
	v_fma_f64 v[44:45], v[136:137], v[44:45], -v[46:47]
	s_waitcnt lgkmcnt(10)
	s_delay_alu instid0(VALU_DEP_2)
	v_mul_f64 v[46:47], v[146:147], v[48:49]
	v_mul_f64 v[50:51], v[144:145], v[48:49]
	s_waitcnt lgkmcnt(9)
	v_mul_f64 v[52:53], v[150:151], v[48:49]
	v_mul_f64 v[54:55], v[148:149], v[48:49]
	s_waitcnt lgkmcnt(8)
	;; [unrolled: 3-line block ×10, first 2 shown]
	v_mul_f64 v[207:208], v[193:194], v[48:49]
	v_mul_f64 v[209:210], v[191:192], v[48:49]
	v_fma_f64 v[46:47], v[144:145], v[44:45], -v[46:47]
	v_fma_f64 v[50:51], v[146:147], v[44:45], v[50:51]
	v_fma_f64 v[52:53], v[148:149], v[44:45], -v[52:53]
	v_fma_f64 v[54:55], v[150:151], v[44:45], v[54:55]
	;; [unrolled: 2-line block ×11, first 2 shown]
	v_add_f64 v[40:41], v[40:41], -v[46:47]
	v_add_f64 v[42:43], v[42:43], -v[50:51]
	;; [unrolled: 1-line block ×22, first 2 shown]
	v_dual_mov_b32 v46, v48 :: v_dual_mov_b32 v47, v49
.LBB66_482:
	s_or_b32 exec_lo, exec_lo, s2
	v_lshl_add_u32 v48, v178, 4, v176
	s_barrier
	buffer_gl0_inv
	v_mov_b32_e32 v144, 23
	ds_store_2addr_b64 v48, v[40:41], v[42:43] offset1:1
	s_waitcnt lgkmcnt(0)
	s_barrier
	buffer_gl0_inv
	ds_load_2addr_b64 v[136:139], v176 offset0:46 offset1:47
	s_cmp_lt_i32 s5, 25
	s_cbranch_scc1 .LBB66_485
; %bb.483:
	v_add3_u32 v145, v174, 0, 0x180
	v_mov_b32_e32 v144, 23
	s_mov_b32 s6, 24
	s_set_inst_prefetch_distance 0x1
	.p2align	6
.LBB66_484:                             ; =>This Inner Loop Header: Depth=1
	ds_load_2addr_b64 v[146:149], v145 offset1:1
	s_waitcnt lgkmcnt(1)
	v_cmp_gt_f64_e32 vcc_lo, 0, v[136:137]
	v_xor_b32_e32 v48, 0x80000000, v137
	v_cmp_gt_f64_e64 s2, 0, v[138:139]
	v_xor_b32_e32 v50, 0x80000000, v139
	v_add_nc_u32_e32 v145, 16, v145
	s_waitcnt lgkmcnt(0)
	v_cmp_gt_f64_e64 s3, 0, v[146:147]
	v_mov_b32_e32 v52, v146
	v_dual_mov_b32 v54, v148 :: v_dual_cndmask_b32 v49, v137, v48
	v_xor_b32_e32 v48, 0x80000000, v147
	v_cndmask_b32_e64 v51, v139, v50, s2
	v_xor_b32_e32 v50, 0x80000000, v149
	s_delay_alu instid0(VALU_DEP_3) | instskip(SKIP_2) | instid1(VALU_DEP_2)
	v_cndmask_b32_e64 v53, v147, v48, s3
	v_cmp_gt_f64_e64 s3, 0, v[148:149]
	v_cndmask_b32_e32 v48, v136, v136, vcc_lo
	v_cndmask_b32_e64 v55, v149, v50, s3
	v_cndmask_b32_e64 v50, v138, v138, s2
	s_delay_alu instid0(VALU_DEP_2) | instskip(NEXT) | instid1(VALU_DEP_2)
	v_add_f64 v[52:53], v[52:53], v[54:55]
	v_add_f64 v[48:49], v[48:49], v[50:51]
	s_delay_alu instid0(VALU_DEP_1)
	v_cmp_lt_f64_e32 vcc_lo, v[48:49], v[52:53]
	v_cndmask_b32_e32 v139, v139, v149, vcc_lo
	v_dual_cndmask_b32 v137, v137, v147 :: v_dual_cndmask_b32 v136, v136, v146
	v_cndmask_b32_e32 v138, v138, v148, vcc_lo
	v_cndmask_b32_e64 v144, v144, s6, vcc_lo
	s_add_i32 s6, s6, 1
	s_delay_alu instid0(SALU_CYCLE_1)
	s_cmp_lg_u32 s5, s6
	s_cbranch_scc1 .LBB66_484
.LBB66_485:
	s_set_inst_prefetch_distance 0x2
	s_waitcnt lgkmcnt(0)
	v_cmp_eq_f64_e32 vcc_lo, 0, v[136:137]
	v_cmp_eq_f64_e64 s2, 0, v[138:139]
	s_delay_alu instid0(VALU_DEP_1) | instskip(NEXT) | instid1(SALU_CYCLE_1)
	s_and_b32 s2, vcc_lo, s2
	s_and_saveexec_b32 s3, s2
	s_delay_alu instid0(SALU_CYCLE_1)
	s_xor_b32 s2, exec_lo, s3
; %bb.486:
	v_cmp_ne_u32_e32 vcc_lo, 0, v255
	v_cndmask_b32_e32 v255, 24, v255, vcc_lo
; %bb.487:
	s_and_not1_saveexec_b32 s3, s2
	s_cbranch_execz .LBB66_493
; %bb.488:
	v_cmp_gt_f64_e32 vcc_lo, 0, v[136:137]
	v_cmp_gt_f64_e64 s2, 0, v[138:139]
	v_xor_b32_e32 v48, 0x80000000, v137
	v_xor_b32_e32 v50, 0x80000000, v139
	s_delay_alu instid0(VALU_DEP_2) | instskip(NEXT) | instid1(VALU_DEP_2)
	v_cndmask_b32_e32 v49, v137, v48, vcc_lo
	v_cndmask_b32_e64 v51, v139, v50, s2
	v_cndmask_b32_e32 v48, v136, v136, vcc_lo
	v_cndmask_b32_e64 v50, v138, v138, s2
	s_mov_b32 s2, exec_lo
	s_delay_alu instid0(VALU_DEP_1)
	v_cmpx_ngt_f64_e32 v[48:49], v[50:51]
	s_xor_b32 s2, exec_lo, s2
	s_cbranch_execz .LBB66_490
; %bb.489:
	v_div_scale_f64 v[48:49], null, v[138:139], v[138:139], v[136:137]
	v_div_scale_f64 v[54:55], vcc_lo, v[136:137], v[138:139], v[136:137]
	s_delay_alu instid0(VALU_DEP_2) | instskip(SKIP_2) | instid1(VALU_DEP_1)
	v_rcp_f64_e32 v[50:51], v[48:49]
	s_waitcnt_depctr 0xfff
	v_fma_f64 v[52:53], -v[48:49], v[50:51], 1.0
	v_fma_f64 v[50:51], v[50:51], v[52:53], v[50:51]
	s_delay_alu instid0(VALU_DEP_1) | instskip(NEXT) | instid1(VALU_DEP_1)
	v_fma_f64 v[52:53], -v[48:49], v[50:51], 1.0
	v_fma_f64 v[50:51], v[50:51], v[52:53], v[50:51]
	s_delay_alu instid0(VALU_DEP_1) | instskip(NEXT) | instid1(VALU_DEP_1)
	v_mul_f64 v[52:53], v[54:55], v[50:51]
	v_fma_f64 v[48:49], -v[48:49], v[52:53], v[54:55]
	s_delay_alu instid0(VALU_DEP_1) | instskip(NEXT) | instid1(VALU_DEP_1)
	v_div_fmas_f64 v[48:49], v[48:49], v[50:51], v[52:53]
	v_div_fixup_f64 v[48:49], v[48:49], v[138:139], v[136:137]
	s_delay_alu instid0(VALU_DEP_1) | instskip(NEXT) | instid1(VALU_DEP_1)
	v_fma_f64 v[50:51], v[136:137], v[48:49], v[138:139]
	v_div_scale_f64 v[52:53], null, v[50:51], v[50:51], 1.0
	s_delay_alu instid0(VALU_DEP_1) | instskip(SKIP_2) | instid1(VALU_DEP_1)
	v_rcp_f64_e32 v[54:55], v[52:53]
	s_waitcnt_depctr 0xfff
	v_fma_f64 v[104:105], -v[52:53], v[54:55], 1.0
	v_fma_f64 v[54:55], v[54:55], v[104:105], v[54:55]
	s_delay_alu instid0(VALU_DEP_1) | instskip(NEXT) | instid1(VALU_DEP_1)
	v_fma_f64 v[104:105], -v[52:53], v[54:55], 1.0
	v_fma_f64 v[54:55], v[54:55], v[104:105], v[54:55]
	v_div_scale_f64 v[104:105], vcc_lo, 1.0, v[50:51], 1.0
	s_delay_alu instid0(VALU_DEP_1) | instskip(NEXT) | instid1(VALU_DEP_1)
	v_mul_f64 v[106:107], v[104:105], v[54:55]
	v_fma_f64 v[52:53], -v[52:53], v[106:107], v[104:105]
	s_delay_alu instid0(VALU_DEP_1) | instskip(NEXT) | instid1(VALU_DEP_1)
	v_div_fmas_f64 v[52:53], v[52:53], v[54:55], v[106:107]
	v_div_fixup_f64 v[138:139], v[52:53], v[50:51], 1.0
	s_delay_alu instid0(VALU_DEP_1)
	v_mul_f64 v[136:137], v[48:49], v[138:139]
	v_xor_b32_e32 v139, 0x80000000, v139
.LBB66_490:
	s_and_not1_saveexec_b32 s2, s2
	s_cbranch_execz .LBB66_492
; %bb.491:
	s_delay_alu instid0(VALU_DEP_1) | instskip(SKIP_1) | instid1(VALU_DEP_2)
	v_div_scale_f64 v[48:49], null, v[136:137], v[136:137], v[138:139]
	v_div_scale_f64 v[54:55], vcc_lo, v[138:139], v[136:137], v[138:139]
	v_rcp_f64_e32 v[50:51], v[48:49]
	s_waitcnt_depctr 0xfff
	v_fma_f64 v[52:53], -v[48:49], v[50:51], 1.0
	s_delay_alu instid0(VALU_DEP_1) | instskip(NEXT) | instid1(VALU_DEP_1)
	v_fma_f64 v[50:51], v[50:51], v[52:53], v[50:51]
	v_fma_f64 v[52:53], -v[48:49], v[50:51], 1.0
	s_delay_alu instid0(VALU_DEP_1) | instskip(NEXT) | instid1(VALU_DEP_1)
	v_fma_f64 v[50:51], v[50:51], v[52:53], v[50:51]
	v_mul_f64 v[52:53], v[54:55], v[50:51]
	s_delay_alu instid0(VALU_DEP_1) | instskip(NEXT) | instid1(VALU_DEP_1)
	v_fma_f64 v[48:49], -v[48:49], v[52:53], v[54:55]
	v_div_fmas_f64 v[48:49], v[48:49], v[50:51], v[52:53]
	s_delay_alu instid0(VALU_DEP_1) | instskip(NEXT) | instid1(VALU_DEP_1)
	v_div_fixup_f64 v[48:49], v[48:49], v[136:137], v[138:139]
	v_fma_f64 v[50:51], v[138:139], v[48:49], v[136:137]
	s_delay_alu instid0(VALU_DEP_1) | instskip(NEXT) | instid1(VALU_DEP_1)
	v_div_scale_f64 v[52:53], null, v[50:51], v[50:51], 1.0
	v_rcp_f64_e32 v[54:55], v[52:53]
	s_waitcnt_depctr 0xfff
	v_fma_f64 v[104:105], -v[52:53], v[54:55], 1.0
	s_delay_alu instid0(VALU_DEP_1) | instskip(NEXT) | instid1(VALU_DEP_1)
	v_fma_f64 v[54:55], v[54:55], v[104:105], v[54:55]
	v_fma_f64 v[104:105], -v[52:53], v[54:55], 1.0
	s_delay_alu instid0(VALU_DEP_1) | instskip(SKIP_1) | instid1(VALU_DEP_1)
	v_fma_f64 v[54:55], v[54:55], v[104:105], v[54:55]
	v_div_scale_f64 v[104:105], vcc_lo, 1.0, v[50:51], 1.0
	v_mul_f64 v[106:107], v[104:105], v[54:55]
	s_delay_alu instid0(VALU_DEP_1) | instskip(NEXT) | instid1(VALU_DEP_1)
	v_fma_f64 v[52:53], -v[52:53], v[106:107], v[104:105]
	v_div_fmas_f64 v[52:53], v[52:53], v[54:55], v[106:107]
	s_delay_alu instid0(VALU_DEP_1) | instskip(NEXT) | instid1(VALU_DEP_1)
	v_div_fixup_f64 v[136:137], v[52:53], v[50:51], 1.0
	v_mul_f64 v[138:139], v[48:49], -v[136:137]
.LBB66_492:
	s_or_b32 exec_lo, exec_lo, s2
.LBB66_493:
	s_delay_alu instid0(SALU_CYCLE_1) | instskip(NEXT) | instid1(SALU_CYCLE_1)
	s_or_b32 exec_lo, exec_lo, s3
	s_mov_b32 s2, exec_lo
	v_cmpx_ne_u32_e64 v178, v144
	s_xor_b32 s2, exec_lo, s2
	s_cbranch_execz .LBB66_499
; %bb.494:
	s_mov_b32 s3, exec_lo
	v_cmpx_eq_u32_e32 23, v178
	s_cbranch_execz .LBB66_498
; %bb.495:
	v_cmp_ne_u32_e32 vcc_lo, 23, v144
	s_xor_b32 s6, s4, -1
	s_delay_alu instid0(SALU_CYCLE_1) | instskip(NEXT) | instid1(SALU_CYCLE_1)
	s_and_b32 s7, s6, vcc_lo
	s_and_saveexec_b32 s6, s7
	s_cbranch_execz .LBB66_497
; %bb.496:
	scratch_load_b64 v[52:53], off, off offset:32 ; 8-byte Folded Reload
	v_ashrrev_i32_e32 v145, 31, v144
	s_delay_alu instid0(VALU_DEP_1) | instskip(SKIP_1) | instid1(VALU_DEP_1)
	v_lshlrev_b64 v[48:49], 2, v[144:145]
	s_waitcnt vmcnt(0)
	v_add_co_u32 v48, vcc_lo, v52, v48
	s_delay_alu instid0(VALU_DEP_2)
	v_add_co_ci_u32_e32 v49, vcc_lo, v53, v49, vcc_lo
	s_clause 0x1
	flat_load_b32 v50, v[48:49]
	flat_load_b32 v51, v[52:53] offset:92
	s_waitcnt vmcnt(1) lgkmcnt(1)
	flat_store_b32 v[52:53], v50 offset:92
	s_waitcnt vmcnt(0) lgkmcnt(1)
	flat_store_b32 v[48:49], v51
.LBB66_497:
	s_or_b32 exec_lo, exec_lo, s6
	v_mov_b32_e32 v178, v144
	v_mov_b32_e32 v172, v144
.LBB66_498:
	s_or_b32 exec_lo, exec_lo, s3
.LBB66_499:
	s_and_not1_saveexec_b32 s2, s2
	s_cbranch_execz .LBB66_501
; %bb.500:
	v_mov_b32_e32 v178, 23
	ds_store_2addr_b64 v176, v[36:37], v[38:39] offset0:48 offset1:49
	ds_store_2addr_b64 v176, v[32:33], v[34:35] offset0:50 offset1:51
	;; [unrolled: 1-line block ×10, first 2 shown]
.LBB66_501:
	s_or_b32 exec_lo, exec_lo, s2
	s_delay_alu instid0(SALU_CYCLE_1)
	s_mov_b32 s2, exec_lo
	s_waitcnt lgkmcnt(0)
	s_waitcnt_vscnt null, 0x0
	s_barrier
	buffer_gl0_inv
	v_cmpx_lt_i32_e32 23, v178
	s_cbranch_execz .LBB66_503
; %bb.502:
	v_mul_f64 v[48:49], v[136:137], v[42:43]
	v_mul_f64 v[42:43], v[138:139], v[42:43]
	ds_load_2addr_b64 v[144:147], v176 offset0:48 offset1:49
	ds_load_2addr_b64 v[148:151], v176 offset0:50 offset1:51
	ds_load_2addr_b64 v[152:155], v176 offset0:52 offset1:53
	ds_load_2addr_b64 v[156:159], v176 offset0:54 offset1:55
	ds_load_2addr_b64 v[160:163], v176 offset0:56 offset1:57
	ds_load_2addr_b64 v[164:167], v176 offset0:58 offset1:59
	ds_load_2addr_b64 v[168:171], v176 offset0:60 offset1:61
	ds_load_2addr_b64 v[179:182], v176 offset0:62 offset1:63
	ds_load_2addr_b64 v[183:186], v176 offset0:64 offset1:65
	ds_load_2addr_b64 v[187:190], v176 offset0:66 offset1:67
	v_fma_f64 v[48:49], v[138:139], v[40:41], v[48:49]
	v_fma_f64 v[40:41], v[136:137], v[40:41], -v[42:43]
	s_waitcnt lgkmcnt(9)
	s_delay_alu instid0(VALU_DEP_2)
	v_mul_f64 v[42:43], v[146:147], v[48:49]
	v_mul_f64 v[50:51], v[144:145], v[48:49]
	s_waitcnt lgkmcnt(8)
	v_mul_f64 v[52:53], v[150:151], v[48:49]
	v_mul_f64 v[54:55], v[148:149], v[48:49]
	s_waitcnt lgkmcnt(7)
	;; [unrolled: 3-line block ×9, first 2 shown]
	v_mul_f64 v[199:200], v[189:190], v[48:49]
	v_mul_f64 v[201:202], v[187:188], v[48:49]
	v_fma_f64 v[42:43], v[144:145], v[40:41], -v[42:43]
	v_fma_f64 v[50:51], v[146:147], v[40:41], v[50:51]
	v_fma_f64 v[52:53], v[148:149], v[40:41], -v[52:53]
	v_fma_f64 v[54:55], v[150:151], v[40:41], v[54:55]
	;; [unrolled: 2-line block ×10, first 2 shown]
	v_add_f64 v[36:37], v[36:37], -v[42:43]
	v_add_f64 v[38:39], v[38:39], -v[50:51]
	;; [unrolled: 1-line block ×20, first 2 shown]
	v_dual_mov_b32 v42, v48 :: v_dual_mov_b32 v43, v49
.LBB66_503:
	s_or_b32 exec_lo, exec_lo, s2
	v_lshl_add_u32 v48, v178, 4, v176
	s_barrier
	buffer_gl0_inv
	v_mov_b32_e32 v144, 24
	ds_store_2addr_b64 v48, v[36:37], v[38:39] offset1:1
	s_waitcnt lgkmcnt(0)
	s_barrier
	buffer_gl0_inv
	ds_load_2addr_b64 v[136:139], v176 offset0:48 offset1:49
	s_cmp_lt_i32 s5, 26
	s_cbranch_scc1 .LBB66_506
; %bb.504:
	v_add3_u32 v145, v174, 0, 0x190
	v_mov_b32_e32 v144, 24
	s_mov_b32 s6, 25
	s_set_inst_prefetch_distance 0x1
	.p2align	6
.LBB66_505:                             ; =>This Inner Loop Header: Depth=1
	ds_load_2addr_b64 v[146:149], v145 offset1:1
	s_waitcnt lgkmcnt(1)
	v_cmp_gt_f64_e32 vcc_lo, 0, v[136:137]
	v_xor_b32_e32 v48, 0x80000000, v137
	v_cmp_gt_f64_e64 s2, 0, v[138:139]
	v_xor_b32_e32 v50, 0x80000000, v139
	v_add_nc_u32_e32 v145, 16, v145
	s_waitcnt lgkmcnt(0)
	v_cmp_gt_f64_e64 s3, 0, v[146:147]
	v_mov_b32_e32 v52, v146
	v_dual_mov_b32 v54, v148 :: v_dual_cndmask_b32 v49, v137, v48
	v_xor_b32_e32 v48, 0x80000000, v147
	v_cndmask_b32_e64 v51, v139, v50, s2
	v_xor_b32_e32 v50, 0x80000000, v149
	s_delay_alu instid0(VALU_DEP_3) | instskip(SKIP_2) | instid1(VALU_DEP_2)
	v_cndmask_b32_e64 v53, v147, v48, s3
	v_cmp_gt_f64_e64 s3, 0, v[148:149]
	v_cndmask_b32_e32 v48, v136, v136, vcc_lo
	v_cndmask_b32_e64 v55, v149, v50, s3
	v_cndmask_b32_e64 v50, v138, v138, s2
	s_delay_alu instid0(VALU_DEP_2) | instskip(NEXT) | instid1(VALU_DEP_2)
	v_add_f64 v[52:53], v[52:53], v[54:55]
	v_add_f64 v[48:49], v[48:49], v[50:51]
	s_delay_alu instid0(VALU_DEP_1)
	v_cmp_lt_f64_e32 vcc_lo, v[48:49], v[52:53]
	v_cndmask_b32_e32 v139, v139, v149, vcc_lo
	v_dual_cndmask_b32 v137, v137, v147 :: v_dual_cndmask_b32 v136, v136, v146
	v_cndmask_b32_e32 v138, v138, v148, vcc_lo
	v_cndmask_b32_e64 v144, v144, s6, vcc_lo
	s_add_i32 s6, s6, 1
	s_delay_alu instid0(SALU_CYCLE_1)
	s_cmp_lg_u32 s5, s6
	s_cbranch_scc1 .LBB66_505
.LBB66_506:
	s_set_inst_prefetch_distance 0x2
	s_waitcnt lgkmcnt(0)
	v_cmp_eq_f64_e32 vcc_lo, 0, v[136:137]
	v_cmp_eq_f64_e64 s2, 0, v[138:139]
	s_delay_alu instid0(VALU_DEP_1) | instskip(NEXT) | instid1(SALU_CYCLE_1)
	s_and_b32 s2, vcc_lo, s2
	s_and_saveexec_b32 s3, s2
	s_delay_alu instid0(SALU_CYCLE_1)
	s_xor_b32 s2, exec_lo, s3
; %bb.507:
	v_cmp_ne_u32_e32 vcc_lo, 0, v255
	v_cndmask_b32_e32 v255, 25, v255, vcc_lo
; %bb.508:
	s_and_not1_saveexec_b32 s3, s2
	s_cbranch_execz .LBB66_514
; %bb.509:
	v_cmp_gt_f64_e32 vcc_lo, 0, v[136:137]
	v_cmp_gt_f64_e64 s2, 0, v[138:139]
	v_xor_b32_e32 v48, 0x80000000, v137
	v_xor_b32_e32 v50, 0x80000000, v139
	s_delay_alu instid0(VALU_DEP_2) | instskip(NEXT) | instid1(VALU_DEP_2)
	v_cndmask_b32_e32 v49, v137, v48, vcc_lo
	v_cndmask_b32_e64 v51, v139, v50, s2
	v_cndmask_b32_e32 v48, v136, v136, vcc_lo
	v_cndmask_b32_e64 v50, v138, v138, s2
	s_mov_b32 s2, exec_lo
	s_delay_alu instid0(VALU_DEP_1)
	v_cmpx_ngt_f64_e32 v[48:49], v[50:51]
	s_xor_b32 s2, exec_lo, s2
	s_cbranch_execz .LBB66_511
; %bb.510:
	v_div_scale_f64 v[48:49], null, v[138:139], v[138:139], v[136:137]
	v_div_scale_f64 v[54:55], vcc_lo, v[136:137], v[138:139], v[136:137]
	s_delay_alu instid0(VALU_DEP_2) | instskip(SKIP_2) | instid1(VALU_DEP_1)
	v_rcp_f64_e32 v[50:51], v[48:49]
	s_waitcnt_depctr 0xfff
	v_fma_f64 v[52:53], -v[48:49], v[50:51], 1.0
	v_fma_f64 v[50:51], v[50:51], v[52:53], v[50:51]
	s_delay_alu instid0(VALU_DEP_1) | instskip(NEXT) | instid1(VALU_DEP_1)
	v_fma_f64 v[52:53], -v[48:49], v[50:51], 1.0
	v_fma_f64 v[50:51], v[50:51], v[52:53], v[50:51]
	s_delay_alu instid0(VALU_DEP_1) | instskip(NEXT) | instid1(VALU_DEP_1)
	v_mul_f64 v[52:53], v[54:55], v[50:51]
	v_fma_f64 v[48:49], -v[48:49], v[52:53], v[54:55]
	s_delay_alu instid0(VALU_DEP_1) | instskip(NEXT) | instid1(VALU_DEP_1)
	v_div_fmas_f64 v[48:49], v[48:49], v[50:51], v[52:53]
	v_div_fixup_f64 v[48:49], v[48:49], v[138:139], v[136:137]
	s_delay_alu instid0(VALU_DEP_1) | instskip(NEXT) | instid1(VALU_DEP_1)
	v_fma_f64 v[50:51], v[136:137], v[48:49], v[138:139]
	v_div_scale_f64 v[52:53], null, v[50:51], v[50:51], 1.0
	s_delay_alu instid0(VALU_DEP_1) | instskip(SKIP_2) | instid1(VALU_DEP_1)
	v_rcp_f64_e32 v[54:55], v[52:53]
	s_waitcnt_depctr 0xfff
	v_fma_f64 v[104:105], -v[52:53], v[54:55], 1.0
	v_fma_f64 v[54:55], v[54:55], v[104:105], v[54:55]
	s_delay_alu instid0(VALU_DEP_1) | instskip(NEXT) | instid1(VALU_DEP_1)
	v_fma_f64 v[104:105], -v[52:53], v[54:55], 1.0
	v_fma_f64 v[54:55], v[54:55], v[104:105], v[54:55]
	v_div_scale_f64 v[104:105], vcc_lo, 1.0, v[50:51], 1.0
	s_delay_alu instid0(VALU_DEP_1) | instskip(NEXT) | instid1(VALU_DEP_1)
	v_mul_f64 v[106:107], v[104:105], v[54:55]
	v_fma_f64 v[52:53], -v[52:53], v[106:107], v[104:105]
	s_delay_alu instid0(VALU_DEP_1) | instskip(NEXT) | instid1(VALU_DEP_1)
	v_div_fmas_f64 v[52:53], v[52:53], v[54:55], v[106:107]
	v_div_fixup_f64 v[138:139], v[52:53], v[50:51], 1.0
	s_delay_alu instid0(VALU_DEP_1)
	v_mul_f64 v[136:137], v[48:49], v[138:139]
	v_xor_b32_e32 v139, 0x80000000, v139
.LBB66_511:
	s_and_not1_saveexec_b32 s2, s2
	s_cbranch_execz .LBB66_513
; %bb.512:
	s_delay_alu instid0(VALU_DEP_1) | instskip(SKIP_1) | instid1(VALU_DEP_2)
	v_div_scale_f64 v[48:49], null, v[136:137], v[136:137], v[138:139]
	v_div_scale_f64 v[54:55], vcc_lo, v[138:139], v[136:137], v[138:139]
	v_rcp_f64_e32 v[50:51], v[48:49]
	s_waitcnt_depctr 0xfff
	v_fma_f64 v[52:53], -v[48:49], v[50:51], 1.0
	s_delay_alu instid0(VALU_DEP_1) | instskip(NEXT) | instid1(VALU_DEP_1)
	v_fma_f64 v[50:51], v[50:51], v[52:53], v[50:51]
	v_fma_f64 v[52:53], -v[48:49], v[50:51], 1.0
	s_delay_alu instid0(VALU_DEP_1) | instskip(NEXT) | instid1(VALU_DEP_1)
	v_fma_f64 v[50:51], v[50:51], v[52:53], v[50:51]
	v_mul_f64 v[52:53], v[54:55], v[50:51]
	s_delay_alu instid0(VALU_DEP_1) | instskip(NEXT) | instid1(VALU_DEP_1)
	v_fma_f64 v[48:49], -v[48:49], v[52:53], v[54:55]
	v_div_fmas_f64 v[48:49], v[48:49], v[50:51], v[52:53]
	s_delay_alu instid0(VALU_DEP_1) | instskip(NEXT) | instid1(VALU_DEP_1)
	v_div_fixup_f64 v[48:49], v[48:49], v[136:137], v[138:139]
	v_fma_f64 v[50:51], v[138:139], v[48:49], v[136:137]
	s_delay_alu instid0(VALU_DEP_1) | instskip(NEXT) | instid1(VALU_DEP_1)
	v_div_scale_f64 v[52:53], null, v[50:51], v[50:51], 1.0
	v_rcp_f64_e32 v[54:55], v[52:53]
	s_waitcnt_depctr 0xfff
	v_fma_f64 v[104:105], -v[52:53], v[54:55], 1.0
	s_delay_alu instid0(VALU_DEP_1) | instskip(NEXT) | instid1(VALU_DEP_1)
	v_fma_f64 v[54:55], v[54:55], v[104:105], v[54:55]
	v_fma_f64 v[104:105], -v[52:53], v[54:55], 1.0
	s_delay_alu instid0(VALU_DEP_1) | instskip(SKIP_1) | instid1(VALU_DEP_1)
	v_fma_f64 v[54:55], v[54:55], v[104:105], v[54:55]
	v_div_scale_f64 v[104:105], vcc_lo, 1.0, v[50:51], 1.0
	v_mul_f64 v[106:107], v[104:105], v[54:55]
	s_delay_alu instid0(VALU_DEP_1) | instskip(NEXT) | instid1(VALU_DEP_1)
	v_fma_f64 v[52:53], -v[52:53], v[106:107], v[104:105]
	v_div_fmas_f64 v[52:53], v[52:53], v[54:55], v[106:107]
	s_delay_alu instid0(VALU_DEP_1) | instskip(NEXT) | instid1(VALU_DEP_1)
	v_div_fixup_f64 v[136:137], v[52:53], v[50:51], 1.0
	v_mul_f64 v[138:139], v[48:49], -v[136:137]
.LBB66_513:
	s_or_b32 exec_lo, exec_lo, s2
.LBB66_514:
	s_delay_alu instid0(SALU_CYCLE_1) | instskip(NEXT) | instid1(SALU_CYCLE_1)
	s_or_b32 exec_lo, exec_lo, s3
	s_mov_b32 s2, exec_lo
	v_cmpx_ne_u32_e64 v178, v144
	s_xor_b32 s2, exec_lo, s2
	s_cbranch_execz .LBB66_520
; %bb.515:
	s_mov_b32 s3, exec_lo
	v_cmpx_eq_u32_e32 24, v178
	s_cbranch_execz .LBB66_519
; %bb.516:
	v_cmp_ne_u32_e32 vcc_lo, 24, v144
	s_xor_b32 s6, s4, -1
	s_delay_alu instid0(SALU_CYCLE_1) | instskip(NEXT) | instid1(SALU_CYCLE_1)
	s_and_b32 s7, s6, vcc_lo
	s_and_saveexec_b32 s6, s7
	s_cbranch_execz .LBB66_518
; %bb.517:
	scratch_load_b64 v[52:53], off, off offset:32 ; 8-byte Folded Reload
	v_ashrrev_i32_e32 v145, 31, v144
	s_delay_alu instid0(VALU_DEP_1) | instskip(SKIP_1) | instid1(VALU_DEP_1)
	v_lshlrev_b64 v[48:49], 2, v[144:145]
	s_waitcnt vmcnt(0)
	v_add_co_u32 v48, vcc_lo, v52, v48
	s_delay_alu instid0(VALU_DEP_2)
	v_add_co_ci_u32_e32 v49, vcc_lo, v53, v49, vcc_lo
	s_clause 0x1
	flat_load_b32 v50, v[48:49]
	flat_load_b32 v51, v[52:53] offset:96
	s_waitcnt vmcnt(1) lgkmcnt(1)
	flat_store_b32 v[52:53], v50 offset:96
	s_waitcnt vmcnt(0) lgkmcnt(1)
	flat_store_b32 v[48:49], v51
.LBB66_518:
	s_or_b32 exec_lo, exec_lo, s6
	v_mov_b32_e32 v178, v144
	v_mov_b32_e32 v172, v144
.LBB66_519:
	s_or_b32 exec_lo, exec_lo, s3
.LBB66_520:
	s_and_not1_saveexec_b32 s2, s2
	s_cbranch_execz .LBB66_522
; %bb.521:
	v_mov_b32_e32 v178, 24
	ds_store_2addr_b64 v176, v[32:33], v[34:35] offset0:50 offset1:51
	ds_store_2addr_b64 v176, v[28:29], v[30:31] offset0:52 offset1:53
	;; [unrolled: 1-line block ×9, first 2 shown]
.LBB66_522:
	s_or_b32 exec_lo, exec_lo, s2
	s_delay_alu instid0(SALU_CYCLE_1)
	s_mov_b32 s2, exec_lo
	s_waitcnt lgkmcnt(0)
	s_waitcnt_vscnt null, 0x0
	s_barrier
	buffer_gl0_inv
	v_cmpx_lt_i32_e32 24, v178
	s_cbranch_execz .LBB66_524
; %bb.523:
	v_mul_f64 v[48:49], v[136:137], v[38:39]
	v_mul_f64 v[38:39], v[138:139], v[38:39]
	ds_load_2addr_b64 v[144:147], v176 offset0:50 offset1:51
	ds_load_2addr_b64 v[148:151], v176 offset0:52 offset1:53
	;; [unrolled: 1-line block ×9, first 2 shown]
	v_fma_f64 v[48:49], v[138:139], v[36:37], v[48:49]
	v_fma_f64 v[36:37], v[136:137], v[36:37], -v[38:39]
	s_waitcnt lgkmcnt(8)
	s_delay_alu instid0(VALU_DEP_2)
	v_mul_f64 v[38:39], v[146:147], v[48:49]
	v_mul_f64 v[50:51], v[144:145], v[48:49]
	s_waitcnt lgkmcnt(7)
	v_mul_f64 v[52:53], v[150:151], v[48:49]
	v_mul_f64 v[54:55], v[148:149], v[48:49]
	s_waitcnt lgkmcnt(6)
	;; [unrolled: 3-line block ×8, first 2 shown]
	v_mul_f64 v[191:192], v[185:186], v[48:49]
	v_mul_f64 v[193:194], v[183:184], v[48:49]
	v_fma_f64 v[38:39], v[144:145], v[36:37], -v[38:39]
	v_fma_f64 v[50:51], v[146:147], v[36:37], v[50:51]
	v_fma_f64 v[52:53], v[148:149], v[36:37], -v[52:53]
	v_fma_f64 v[54:55], v[150:151], v[36:37], v[54:55]
	;; [unrolled: 2-line block ×9, first 2 shown]
	v_add_f64 v[32:33], v[32:33], -v[38:39]
	v_add_f64 v[34:35], v[34:35], -v[50:51]
	v_add_f64 v[28:29], v[28:29], -v[52:53]
	v_add_f64 v[30:31], v[30:31], -v[54:55]
	v_add_f64 v[24:25], v[24:25], -v[104:105]
	v_add_f64 v[26:27], v[26:27], -v[106:107]
	v_add_f64 v[20:21], v[20:21], -v[124:125]
	v_add_f64 v[22:23], v[22:23], -v[126:127]
	v_add_f64 v[16:17], v[16:17], -v[128:129]
	v_add_f64 v[18:19], v[18:19], -v[130:131]
	v_add_f64 v[12:13], v[12:13], -v[136:137]
	v_add_f64 v[14:15], v[14:15], -v[138:139]
	v_add_f64 v[8:9], v[8:9], -v[140:141]
	v_add_f64 v[10:11], v[10:11], -v[142:143]
	v_add_f64 v[4:5], v[4:5], -v[144:145]
	v_add_f64 v[6:7], v[6:7], -v[146:147]
	v_add_f64 v[243:244], v[243:244], -v[148:149]
	v_add_f64 v[245:246], v[245:246], -v[150:151]
	v_dual_mov_b32 v38, v48 :: v_dual_mov_b32 v39, v49
.LBB66_524:
	s_or_b32 exec_lo, exec_lo, s2
	v_lshl_add_u32 v48, v178, 4, v176
	s_barrier
	buffer_gl0_inv
	v_mov_b32_e32 v144, 25
	ds_store_2addr_b64 v48, v[32:33], v[34:35] offset1:1
	s_waitcnt lgkmcnt(0)
	s_barrier
	buffer_gl0_inv
	ds_load_2addr_b64 v[136:139], v176 offset0:50 offset1:51
	s_cmp_lt_i32 s5, 27
	s_cbranch_scc1 .LBB66_527
; %bb.525:
	v_add3_u32 v145, v174, 0, 0x1a0
	v_mov_b32_e32 v144, 25
	s_mov_b32 s6, 26
	s_set_inst_prefetch_distance 0x1
	.p2align	6
.LBB66_526:                             ; =>This Inner Loop Header: Depth=1
	ds_load_2addr_b64 v[146:149], v145 offset1:1
	s_waitcnt lgkmcnt(1)
	v_cmp_gt_f64_e32 vcc_lo, 0, v[136:137]
	v_xor_b32_e32 v48, 0x80000000, v137
	v_cmp_gt_f64_e64 s2, 0, v[138:139]
	v_xor_b32_e32 v50, 0x80000000, v139
	v_add_nc_u32_e32 v145, 16, v145
	s_waitcnt lgkmcnt(0)
	v_cmp_gt_f64_e64 s3, 0, v[146:147]
	v_mov_b32_e32 v52, v146
	v_dual_mov_b32 v54, v148 :: v_dual_cndmask_b32 v49, v137, v48
	v_xor_b32_e32 v48, 0x80000000, v147
	v_cndmask_b32_e64 v51, v139, v50, s2
	v_xor_b32_e32 v50, 0x80000000, v149
	s_delay_alu instid0(VALU_DEP_3) | instskip(SKIP_2) | instid1(VALU_DEP_2)
	v_cndmask_b32_e64 v53, v147, v48, s3
	v_cmp_gt_f64_e64 s3, 0, v[148:149]
	v_cndmask_b32_e32 v48, v136, v136, vcc_lo
	v_cndmask_b32_e64 v55, v149, v50, s3
	v_cndmask_b32_e64 v50, v138, v138, s2
	s_delay_alu instid0(VALU_DEP_2) | instskip(NEXT) | instid1(VALU_DEP_2)
	v_add_f64 v[52:53], v[52:53], v[54:55]
	v_add_f64 v[48:49], v[48:49], v[50:51]
	s_delay_alu instid0(VALU_DEP_1)
	v_cmp_lt_f64_e32 vcc_lo, v[48:49], v[52:53]
	v_cndmask_b32_e32 v139, v139, v149, vcc_lo
	v_dual_cndmask_b32 v137, v137, v147 :: v_dual_cndmask_b32 v136, v136, v146
	v_cndmask_b32_e32 v138, v138, v148, vcc_lo
	v_cndmask_b32_e64 v144, v144, s6, vcc_lo
	s_add_i32 s6, s6, 1
	s_delay_alu instid0(SALU_CYCLE_1)
	s_cmp_lg_u32 s5, s6
	s_cbranch_scc1 .LBB66_526
.LBB66_527:
	s_set_inst_prefetch_distance 0x2
	s_waitcnt lgkmcnt(0)
	v_cmp_eq_f64_e32 vcc_lo, 0, v[136:137]
	v_cmp_eq_f64_e64 s2, 0, v[138:139]
	s_delay_alu instid0(VALU_DEP_1) | instskip(NEXT) | instid1(SALU_CYCLE_1)
	s_and_b32 s2, vcc_lo, s2
	s_and_saveexec_b32 s3, s2
	s_delay_alu instid0(SALU_CYCLE_1)
	s_xor_b32 s2, exec_lo, s3
; %bb.528:
	v_cmp_ne_u32_e32 vcc_lo, 0, v255
	v_cndmask_b32_e32 v255, 26, v255, vcc_lo
; %bb.529:
	s_and_not1_saveexec_b32 s3, s2
	s_cbranch_execz .LBB66_535
; %bb.530:
	v_cmp_gt_f64_e32 vcc_lo, 0, v[136:137]
	v_cmp_gt_f64_e64 s2, 0, v[138:139]
	v_xor_b32_e32 v48, 0x80000000, v137
	v_xor_b32_e32 v50, 0x80000000, v139
	s_delay_alu instid0(VALU_DEP_2) | instskip(NEXT) | instid1(VALU_DEP_2)
	v_cndmask_b32_e32 v49, v137, v48, vcc_lo
	v_cndmask_b32_e64 v51, v139, v50, s2
	v_cndmask_b32_e32 v48, v136, v136, vcc_lo
	v_cndmask_b32_e64 v50, v138, v138, s2
	s_mov_b32 s2, exec_lo
	s_delay_alu instid0(VALU_DEP_1)
	v_cmpx_ngt_f64_e32 v[48:49], v[50:51]
	s_xor_b32 s2, exec_lo, s2
	s_cbranch_execz .LBB66_532
; %bb.531:
	v_div_scale_f64 v[48:49], null, v[138:139], v[138:139], v[136:137]
	v_div_scale_f64 v[54:55], vcc_lo, v[136:137], v[138:139], v[136:137]
	s_delay_alu instid0(VALU_DEP_2) | instskip(SKIP_2) | instid1(VALU_DEP_1)
	v_rcp_f64_e32 v[50:51], v[48:49]
	s_waitcnt_depctr 0xfff
	v_fma_f64 v[52:53], -v[48:49], v[50:51], 1.0
	v_fma_f64 v[50:51], v[50:51], v[52:53], v[50:51]
	s_delay_alu instid0(VALU_DEP_1) | instskip(NEXT) | instid1(VALU_DEP_1)
	v_fma_f64 v[52:53], -v[48:49], v[50:51], 1.0
	v_fma_f64 v[50:51], v[50:51], v[52:53], v[50:51]
	s_delay_alu instid0(VALU_DEP_1) | instskip(NEXT) | instid1(VALU_DEP_1)
	v_mul_f64 v[52:53], v[54:55], v[50:51]
	v_fma_f64 v[48:49], -v[48:49], v[52:53], v[54:55]
	s_delay_alu instid0(VALU_DEP_1) | instskip(NEXT) | instid1(VALU_DEP_1)
	v_div_fmas_f64 v[48:49], v[48:49], v[50:51], v[52:53]
	v_div_fixup_f64 v[48:49], v[48:49], v[138:139], v[136:137]
	s_delay_alu instid0(VALU_DEP_1) | instskip(NEXT) | instid1(VALU_DEP_1)
	v_fma_f64 v[50:51], v[136:137], v[48:49], v[138:139]
	v_div_scale_f64 v[52:53], null, v[50:51], v[50:51], 1.0
	s_delay_alu instid0(VALU_DEP_1) | instskip(SKIP_2) | instid1(VALU_DEP_1)
	v_rcp_f64_e32 v[54:55], v[52:53]
	s_waitcnt_depctr 0xfff
	v_fma_f64 v[104:105], -v[52:53], v[54:55], 1.0
	v_fma_f64 v[54:55], v[54:55], v[104:105], v[54:55]
	s_delay_alu instid0(VALU_DEP_1) | instskip(NEXT) | instid1(VALU_DEP_1)
	v_fma_f64 v[104:105], -v[52:53], v[54:55], 1.0
	v_fma_f64 v[54:55], v[54:55], v[104:105], v[54:55]
	v_div_scale_f64 v[104:105], vcc_lo, 1.0, v[50:51], 1.0
	s_delay_alu instid0(VALU_DEP_1) | instskip(NEXT) | instid1(VALU_DEP_1)
	v_mul_f64 v[106:107], v[104:105], v[54:55]
	v_fma_f64 v[52:53], -v[52:53], v[106:107], v[104:105]
	s_delay_alu instid0(VALU_DEP_1) | instskip(NEXT) | instid1(VALU_DEP_1)
	v_div_fmas_f64 v[52:53], v[52:53], v[54:55], v[106:107]
	v_div_fixup_f64 v[138:139], v[52:53], v[50:51], 1.0
	s_delay_alu instid0(VALU_DEP_1)
	v_mul_f64 v[136:137], v[48:49], v[138:139]
	v_xor_b32_e32 v139, 0x80000000, v139
.LBB66_532:
	s_and_not1_saveexec_b32 s2, s2
	s_cbranch_execz .LBB66_534
; %bb.533:
	s_delay_alu instid0(VALU_DEP_1) | instskip(SKIP_1) | instid1(VALU_DEP_2)
	v_div_scale_f64 v[48:49], null, v[136:137], v[136:137], v[138:139]
	v_div_scale_f64 v[54:55], vcc_lo, v[138:139], v[136:137], v[138:139]
	v_rcp_f64_e32 v[50:51], v[48:49]
	s_waitcnt_depctr 0xfff
	v_fma_f64 v[52:53], -v[48:49], v[50:51], 1.0
	s_delay_alu instid0(VALU_DEP_1) | instskip(NEXT) | instid1(VALU_DEP_1)
	v_fma_f64 v[50:51], v[50:51], v[52:53], v[50:51]
	v_fma_f64 v[52:53], -v[48:49], v[50:51], 1.0
	s_delay_alu instid0(VALU_DEP_1) | instskip(NEXT) | instid1(VALU_DEP_1)
	v_fma_f64 v[50:51], v[50:51], v[52:53], v[50:51]
	v_mul_f64 v[52:53], v[54:55], v[50:51]
	s_delay_alu instid0(VALU_DEP_1) | instskip(NEXT) | instid1(VALU_DEP_1)
	v_fma_f64 v[48:49], -v[48:49], v[52:53], v[54:55]
	v_div_fmas_f64 v[48:49], v[48:49], v[50:51], v[52:53]
	s_delay_alu instid0(VALU_DEP_1) | instskip(NEXT) | instid1(VALU_DEP_1)
	v_div_fixup_f64 v[48:49], v[48:49], v[136:137], v[138:139]
	v_fma_f64 v[50:51], v[138:139], v[48:49], v[136:137]
	s_delay_alu instid0(VALU_DEP_1) | instskip(NEXT) | instid1(VALU_DEP_1)
	v_div_scale_f64 v[52:53], null, v[50:51], v[50:51], 1.0
	v_rcp_f64_e32 v[54:55], v[52:53]
	s_waitcnt_depctr 0xfff
	v_fma_f64 v[104:105], -v[52:53], v[54:55], 1.0
	s_delay_alu instid0(VALU_DEP_1) | instskip(NEXT) | instid1(VALU_DEP_1)
	v_fma_f64 v[54:55], v[54:55], v[104:105], v[54:55]
	v_fma_f64 v[104:105], -v[52:53], v[54:55], 1.0
	s_delay_alu instid0(VALU_DEP_1) | instskip(SKIP_1) | instid1(VALU_DEP_1)
	v_fma_f64 v[54:55], v[54:55], v[104:105], v[54:55]
	v_div_scale_f64 v[104:105], vcc_lo, 1.0, v[50:51], 1.0
	v_mul_f64 v[106:107], v[104:105], v[54:55]
	s_delay_alu instid0(VALU_DEP_1) | instskip(NEXT) | instid1(VALU_DEP_1)
	v_fma_f64 v[52:53], -v[52:53], v[106:107], v[104:105]
	v_div_fmas_f64 v[52:53], v[52:53], v[54:55], v[106:107]
	s_delay_alu instid0(VALU_DEP_1) | instskip(NEXT) | instid1(VALU_DEP_1)
	v_div_fixup_f64 v[136:137], v[52:53], v[50:51], 1.0
	v_mul_f64 v[138:139], v[48:49], -v[136:137]
.LBB66_534:
	s_or_b32 exec_lo, exec_lo, s2
.LBB66_535:
	s_delay_alu instid0(SALU_CYCLE_1) | instskip(NEXT) | instid1(SALU_CYCLE_1)
	s_or_b32 exec_lo, exec_lo, s3
	s_mov_b32 s2, exec_lo
	v_cmpx_ne_u32_e64 v178, v144
	s_xor_b32 s2, exec_lo, s2
	s_cbranch_execz .LBB66_541
; %bb.536:
	s_mov_b32 s3, exec_lo
	v_cmpx_eq_u32_e32 25, v178
	s_cbranch_execz .LBB66_540
; %bb.537:
	v_cmp_ne_u32_e32 vcc_lo, 25, v144
	s_xor_b32 s6, s4, -1
	s_delay_alu instid0(SALU_CYCLE_1) | instskip(NEXT) | instid1(SALU_CYCLE_1)
	s_and_b32 s7, s6, vcc_lo
	s_and_saveexec_b32 s6, s7
	s_cbranch_execz .LBB66_539
; %bb.538:
	scratch_load_b64 v[52:53], off, off offset:32 ; 8-byte Folded Reload
	v_ashrrev_i32_e32 v145, 31, v144
	s_delay_alu instid0(VALU_DEP_1) | instskip(SKIP_1) | instid1(VALU_DEP_1)
	v_lshlrev_b64 v[48:49], 2, v[144:145]
	s_waitcnt vmcnt(0)
	v_add_co_u32 v48, vcc_lo, v52, v48
	s_delay_alu instid0(VALU_DEP_2)
	v_add_co_ci_u32_e32 v49, vcc_lo, v53, v49, vcc_lo
	s_clause 0x1
	flat_load_b32 v50, v[48:49]
	flat_load_b32 v51, v[52:53] offset:100
	s_waitcnt vmcnt(1) lgkmcnt(1)
	flat_store_b32 v[52:53], v50 offset:100
	s_waitcnt vmcnt(0) lgkmcnt(1)
	flat_store_b32 v[48:49], v51
.LBB66_539:
	s_or_b32 exec_lo, exec_lo, s6
	v_mov_b32_e32 v178, v144
	v_mov_b32_e32 v172, v144
.LBB66_540:
	s_or_b32 exec_lo, exec_lo, s3
.LBB66_541:
	s_and_not1_saveexec_b32 s2, s2
	s_cbranch_execz .LBB66_543
; %bb.542:
	v_mov_b32_e32 v178, 25
	ds_store_2addr_b64 v176, v[28:29], v[30:31] offset0:52 offset1:53
	ds_store_2addr_b64 v176, v[24:25], v[26:27] offset0:54 offset1:55
	;; [unrolled: 1-line block ×8, first 2 shown]
.LBB66_543:
	s_or_b32 exec_lo, exec_lo, s2
	s_delay_alu instid0(SALU_CYCLE_1)
	s_mov_b32 s2, exec_lo
	s_waitcnt lgkmcnt(0)
	s_waitcnt_vscnt null, 0x0
	s_barrier
	buffer_gl0_inv
	v_cmpx_lt_i32_e32 25, v178
	s_cbranch_execz .LBB66_545
; %bb.544:
	v_mul_f64 v[48:49], v[136:137], v[34:35]
	v_mul_f64 v[34:35], v[138:139], v[34:35]
	ds_load_2addr_b64 v[144:147], v176 offset0:52 offset1:53
	ds_load_2addr_b64 v[148:151], v176 offset0:54 offset1:55
	ds_load_2addr_b64 v[152:155], v176 offset0:56 offset1:57
	ds_load_2addr_b64 v[156:159], v176 offset0:58 offset1:59
	ds_load_2addr_b64 v[160:163], v176 offset0:60 offset1:61
	ds_load_2addr_b64 v[164:167], v176 offset0:62 offset1:63
	ds_load_2addr_b64 v[168:171], v176 offset0:64 offset1:65
	ds_load_2addr_b64 v[179:182], v176 offset0:66 offset1:67
	v_fma_f64 v[48:49], v[138:139], v[32:33], v[48:49]
	v_fma_f64 v[32:33], v[136:137], v[32:33], -v[34:35]
	s_waitcnt lgkmcnt(7)
	s_delay_alu instid0(VALU_DEP_2)
	v_mul_f64 v[34:35], v[146:147], v[48:49]
	v_mul_f64 v[50:51], v[144:145], v[48:49]
	s_waitcnt lgkmcnt(6)
	v_mul_f64 v[52:53], v[150:151], v[48:49]
	v_mul_f64 v[54:55], v[148:149], v[48:49]
	s_waitcnt lgkmcnt(5)
	;; [unrolled: 3-line block ×7, first 2 shown]
	v_mul_f64 v[183:184], v[181:182], v[48:49]
	v_mul_f64 v[185:186], v[179:180], v[48:49]
	v_fma_f64 v[34:35], v[144:145], v[32:33], -v[34:35]
	v_fma_f64 v[50:51], v[146:147], v[32:33], v[50:51]
	v_fma_f64 v[52:53], v[148:149], v[32:33], -v[52:53]
	v_fma_f64 v[54:55], v[150:151], v[32:33], v[54:55]
	;; [unrolled: 2-line block ×8, first 2 shown]
	v_add_f64 v[28:29], v[28:29], -v[34:35]
	v_add_f64 v[30:31], v[30:31], -v[50:51]
	v_add_f64 v[24:25], v[24:25], -v[52:53]
	v_add_f64 v[26:27], v[26:27], -v[54:55]
	v_add_f64 v[20:21], v[20:21], -v[104:105]
	v_add_f64 v[22:23], v[22:23], -v[106:107]
	v_add_f64 v[16:17], v[16:17], -v[124:125]
	v_add_f64 v[18:19], v[18:19], -v[126:127]
	v_add_f64 v[12:13], v[12:13], -v[128:129]
	v_add_f64 v[14:15], v[14:15], -v[130:131]
	v_add_f64 v[8:9], v[8:9], -v[136:137]
	v_add_f64 v[10:11], v[10:11], -v[138:139]
	v_add_f64 v[4:5], v[4:5], -v[140:141]
	v_add_f64 v[6:7], v[6:7], -v[142:143]
	v_add_f64 v[243:244], v[243:244], -v[144:145]
	v_add_f64 v[245:246], v[245:246], -v[146:147]
	v_dual_mov_b32 v34, v48 :: v_dual_mov_b32 v35, v49
.LBB66_545:
	s_or_b32 exec_lo, exec_lo, s2
	v_lshl_add_u32 v48, v178, 4, v176
	s_barrier
	buffer_gl0_inv
	v_mov_b32_e32 v144, 26
	ds_store_2addr_b64 v48, v[28:29], v[30:31] offset1:1
	s_waitcnt lgkmcnt(0)
	s_barrier
	buffer_gl0_inv
	ds_load_2addr_b64 v[136:139], v176 offset0:52 offset1:53
	s_cmp_lt_i32 s5, 28
	s_cbranch_scc1 .LBB66_548
; %bb.546:
	v_add3_u32 v145, v174, 0, 0x1b0
	v_mov_b32_e32 v144, 26
	s_mov_b32 s6, 27
	s_set_inst_prefetch_distance 0x1
	.p2align	6
.LBB66_547:                             ; =>This Inner Loop Header: Depth=1
	ds_load_2addr_b64 v[146:149], v145 offset1:1
	s_waitcnt lgkmcnt(1)
	v_cmp_gt_f64_e32 vcc_lo, 0, v[136:137]
	v_xor_b32_e32 v48, 0x80000000, v137
	v_cmp_gt_f64_e64 s2, 0, v[138:139]
	v_xor_b32_e32 v50, 0x80000000, v139
	v_add_nc_u32_e32 v145, 16, v145
	s_waitcnt lgkmcnt(0)
	v_cmp_gt_f64_e64 s3, 0, v[146:147]
	v_mov_b32_e32 v52, v146
	v_dual_mov_b32 v54, v148 :: v_dual_cndmask_b32 v49, v137, v48
	v_xor_b32_e32 v48, 0x80000000, v147
	v_cndmask_b32_e64 v51, v139, v50, s2
	v_xor_b32_e32 v50, 0x80000000, v149
	s_delay_alu instid0(VALU_DEP_3) | instskip(SKIP_2) | instid1(VALU_DEP_2)
	v_cndmask_b32_e64 v53, v147, v48, s3
	v_cmp_gt_f64_e64 s3, 0, v[148:149]
	v_cndmask_b32_e32 v48, v136, v136, vcc_lo
	v_cndmask_b32_e64 v55, v149, v50, s3
	v_cndmask_b32_e64 v50, v138, v138, s2
	s_delay_alu instid0(VALU_DEP_2) | instskip(NEXT) | instid1(VALU_DEP_2)
	v_add_f64 v[52:53], v[52:53], v[54:55]
	v_add_f64 v[48:49], v[48:49], v[50:51]
	s_delay_alu instid0(VALU_DEP_1)
	v_cmp_lt_f64_e32 vcc_lo, v[48:49], v[52:53]
	v_cndmask_b32_e32 v139, v139, v149, vcc_lo
	v_dual_cndmask_b32 v137, v137, v147 :: v_dual_cndmask_b32 v136, v136, v146
	v_cndmask_b32_e32 v138, v138, v148, vcc_lo
	v_cndmask_b32_e64 v144, v144, s6, vcc_lo
	s_add_i32 s6, s6, 1
	s_delay_alu instid0(SALU_CYCLE_1)
	s_cmp_lg_u32 s5, s6
	s_cbranch_scc1 .LBB66_547
.LBB66_548:
	s_set_inst_prefetch_distance 0x2
	s_waitcnt lgkmcnt(0)
	v_cmp_eq_f64_e32 vcc_lo, 0, v[136:137]
	v_cmp_eq_f64_e64 s2, 0, v[138:139]
	s_delay_alu instid0(VALU_DEP_1) | instskip(NEXT) | instid1(SALU_CYCLE_1)
	s_and_b32 s2, vcc_lo, s2
	s_and_saveexec_b32 s3, s2
	s_delay_alu instid0(SALU_CYCLE_1)
	s_xor_b32 s2, exec_lo, s3
; %bb.549:
	v_cmp_ne_u32_e32 vcc_lo, 0, v255
	v_cndmask_b32_e32 v255, 27, v255, vcc_lo
; %bb.550:
	s_and_not1_saveexec_b32 s3, s2
	s_cbranch_execz .LBB66_556
; %bb.551:
	v_cmp_gt_f64_e32 vcc_lo, 0, v[136:137]
	v_cmp_gt_f64_e64 s2, 0, v[138:139]
	v_xor_b32_e32 v48, 0x80000000, v137
	v_xor_b32_e32 v50, 0x80000000, v139
	s_delay_alu instid0(VALU_DEP_2) | instskip(NEXT) | instid1(VALU_DEP_2)
	v_cndmask_b32_e32 v49, v137, v48, vcc_lo
	v_cndmask_b32_e64 v51, v139, v50, s2
	v_cndmask_b32_e32 v48, v136, v136, vcc_lo
	v_cndmask_b32_e64 v50, v138, v138, s2
	s_mov_b32 s2, exec_lo
	s_delay_alu instid0(VALU_DEP_1)
	v_cmpx_ngt_f64_e32 v[48:49], v[50:51]
	s_xor_b32 s2, exec_lo, s2
	s_cbranch_execz .LBB66_553
; %bb.552:
	v_div_scale_f64 v[48:49], null, v[138:139], v[138:139], v[136:137]
	v_div_scale_f64 v[54:55], vcc_lo, v[136:137], v[138:139], v[136:137]
	s_delay_alu instid0(VALU_DEP_2) | instskip(SKIP_2) | instid1(VALU_DEP_1)
	v_rcp_f64_e32 v[50:51], v[48:49]
	s_waitcnt_depctr 0xfff
	v_fma_f64 v[52:53], -v[48:49], v[50:51], 1.0
	v_fma_f64 v[50:51], v[50:51], v[52:53], v[50:51]
	s_delay_alu instid0(VALU_DEP_1) | instskip(NEXT) | instid1(VALU_DEP_1)
	v_fma_f64 v[52:53], -v[48:49], v[50:51], 1.0
	v_fma_f64 v[50:51], v[50:51], v[52:53], v[50:51]
	s_delay_alu instid0(VALU_DEP_1) | instskip(NEXT) | instid1(VALU_DEP_1)
	v_mul_f64 v[52:53], v[54:55], v[50:51]
	v_fma_f64 v[48:49], -v[48:49], v[52:53], v[54:55]
	s_delay_alu instid0(VALU_DEP_1) | instskip(NEXT) | instid1(VALU_DEP_1)
	v_div_fmas_f64 v[48:49], v[48:49], v[50:51], v[52:53]
	v_div_fixup_f64 v[48:49], v[48:49], v[138:139], v[136:137]
	s_delay_alu instid0(VALU_DEP_1) | instskip(NEXT) | instid1(VALU_DEP_1)
	v_fma_f64 v[50:51], v[136:137], v[48:49], v[138:139]
	v_div_scale_f64 v[52:53], null, v[50:51], v[50:51], 1.0
	s_delay_alu instid0(VALU_DEP_1) | instskip(SKIP_2) | instid1(VALU_DEP_1)
	v_rcp_f64_e32 v[54:55], v[52:53]
	s_waitcnt_depctr 0xfff
	v_fma_f64 v[104:105], -v[52:53], v[54:55], 1.0
	v_fma_f64 v[54:55], v[54:55], v[104:105], v[54:55]
	s_delay_alu instid0(VALU_DEP_1) | instskip(NEXT) | instid1(VALU_DEP_1)
	v_fma_f64 v[104:105], -v[52:53], v[54:55], 1.0
	v_fma_f64 v[54:55], v[54:55], v[104:105], v[54:55]
	v_div_scale_f64 v[104:105], vcc_lo, 1.0, v[50:51], 1.0
	s_delay_alu instid0(VALU_DEP_1) | instskip(NEXT) | instid1(VALU_DEP_1)
	v_mul_f64 v[106:107], v[104:105], v[54:55]
	v_fma_f64 v[52:53], -v[52:53], v[106:107], v[104:105]
	s_delay_alu instid0(VALU_DEP_1) | instskip(NEXT) | instid1(VALU_DEP_1)
	v_div_fmas_f64 v[52:53], v[52:53], v[54:55], v[106:107]
	v_div_fixup_f64 v[138:139], v[52:53], v[50:51], 1.0
	s_delay_alu instid0(VALU_DEP_1)
	v_mul_f64 v[136:137], v[48:49], v[138:139]
	v_xor_b32_e32 v139, 0x80000000, v139
.LBB66_553:
	s_and_not1_saveexec_b32 s2, s2
	s_cbranch_execz .LBB66_555
; %bb.554:
	s_delay_alu instid0(VALU_DEP_1) | instskip(SKIP_1) | instid1(VALU_DEP_2)
	v_div_scale_f64 v[48:49], null, v[136:137], v[136:137], v[138:139]
	v_div_scale_f64 v[54:55], vcc_lo, v[138:139], v[136:137], v[138:139]
	v_rcp_f64_e32 v[50:51], v[48:49]
	s_waitcnt_depctr 0xfff
	v_fma_f64 v[52:53], -v[48:49], v[50:51], 1.0
	s_delay_alu instid0(VALU_DEP_1) | instskip(NEXT) | instid1(VALU_DEP_1)
	v_fma_f64 v[50:51], v[50:51], v[52:53], v[50:51]
	v_fma_f64 v[52:53], -v[48:49], v[50:51], 1.0
	s_delay_alu instid0(VALU_DEP_1) | instskip(NEXT) | instid1(VALU_DEP_1)
	v_fma_f64 v[50:51], v[50:51], v[52:53], v[50:51]
	v_mul_f64 v[52:53], v[54:55], v[50:51]
	s_delay_alu instid0(VALU_DEP_1) | instskip(NEXT) | instid1(VALU_DEP_1)
	v_fma_f64 v[48:49], -v[48:49], v[52:53], v[54:55]
	v_div_fmas_f64 v[48:49], v[48:49], v[50:51], v[52:53]
	s_delay_alu instid0(VALU_DEP_1) | instskip(NEXT) | instid1(VALU_DEP_1)
	v_div_fixup_f64 v[48:49], v[48:49], v[136:137], v[138:139]
	v_fma_f64 v[50:51], v[138:139], v[48:49], v[136:137]
	s_delay_alu instid0(VALU_DEP_1) | instskip(NEXT) | instid1(VALU_DEP_1)
	v_div_scale_f64 v[52:53], null, v[50:51], v[50:51], 1.0
	v_rcp_f64_e32 v[54:55], v[52:53]
	s_waitcnt_depctr 0xfff
	v_fma_f64 v[104:105], -v[52:53], v[54:55], 1.0
	s_delay_alu instid0(VALU_DEP_1) | instskip(NEXT) | instid1(VALU_DEP_1)
	v_fma_f64 v[54:55], v[54:55], v[104:105], v[54:55]
	v_fma_f64 v[104:105], -v[52:53], v[54:55], 1.0
	s_delay_alu instid0(VALU_DEP_1) | instskip(SKIP_1) | instid1(VALU_DEP_1)
	v_fma_f64 v[54:55], v[54:55], v[104:105], v[54:55]
	v_div_scale_f64 v[104:105], vcc_lo, 1.0, v[50:51], 1.0
	v_mul_f64 v[106:107], v[104:105], v[54:55]
	s_delay_alu instid0(VALU_DEP_1) | instskip(NEXT) | instid1(VALU_DEP_1)
	v_fma_f64 v[52:53], -v[52:53], v[106:107], v[104:105]
	v_div_fmas_f64 v[52:53], v[52:53], v[54:55], v[106:107]
	s_delay_alu instid0(VALU_DEP_1) | instskip(NEXT) | instid1(VALU_DEP_1)
	v_div_fixup_f64 v[136:137], v[52:53], v[50:51], 1.0
	v_mul_f64 v[138:139], v[48:49], -v[136:137]
.LBB66_555:
	s_or_b32 exec_lo, exec_lo, s2
.LBB66_556:
	s_delay_alu instid0(SALU_CYCLE_1) | instskip(NEXT) | instid1(SALU_CYCLE_1)
	s_or_b32 exec_lo, exec_lo, s3
	s_mov_b32 s2, exec_lo
	v_cmpx_ne_u32_e64 v178, v144
	s_xor_b32 s2, exec_lo, s2
	s_cbranch_execz .LBB66_562
; %bb.557:
	s_mov_b32 s3, exec_lo
	v_cmpx_eq_u32_e32 26, v178
	s_cbranch_execz .LBB66_561
; %bb.558:
	v_cmp_ne_u32_e32 vcc_lo, 26, v144
	s_xor_b32 s6, s4, -1
	s_delay_alu instid0(SALU_CYCLE_1) | instskip(NEXT) | instid1(SALU_CYCLE_1)
	s_and_b32 s7, s6, vcc_lo
	s_and_saveexec_b32 s6, s7
	s_cbranch_execz .LBB66_560
; %bb.559:
	scratch_load_b64 v[52:53], off, off offset:32 ; 8-byte Folded Reload
	v_ashrrev_i32_e32 v145, 31, v144
	s_delay_alu instid0(VALU_DEP_1) | instskip(SKIP_1) | instid1(VALU_DEP_1)
	v_lshlrev_b64 v[48:49], 2, v[144:145]
	s_waitcnt vmcnt(0)
	v_add_co_u32 v48, vcc_lo, v52, v48
	s_delay_alu instid0(VALU_DEP_2)
	v_add_co_ci_u32_e32 v49, vcc_lo, v53, v49, vcc_lo
	s_clause 0x1
	flat_load_b32 v50, v[48:49]
	flat_load_b32 v51, v[52:53] offset:104
	s_waitcnt vmcnt(1) lgkmcnt(1)
	flat_store_b32 v[52:53], v50 offset:104
	s_waitcnt vmcnt(0) lgkmcnt(1)
	flat_store_b32 v[48:49], v51
.LBB66_560:
	s_or_b32 exec_lo, exec_lo, s6
	v_mov_b32_e32 v178, v144
	v_mov_b32_e32 v172, v144
.LBB66_561:
	s_or_b32 exec_lo, exec_lo, s3
.LBB66_562:
	s_and_not1_saveexec_b32 s2, s2
	s_cbranch_execz .LBB66_564
; %bb.563:
	v_mov_b32_e32 v178, 26
	ds_store_2addr_b64 v176, v[24:25], v[26:27] offset0:54 offset1:55
	ds_store_2addr_b64 v176, v[20:21], v[22:23] offset0:56 offset1:57
	;; [unrolled: 1-line block ×7, first 2 shown]
.LBB66_564:
	s_or_b32 exec_lo, exec_lo, s2
	s_delay_alu instid0(SALU_CYCLE_1)
	s_mov_b32 s2, exec_lo
	s_waitcnt lgkmcnt(0)
	s_waitcnt_vscnt null, 0x0
	s_barrier
	buffer_gl0_inv
	v_cmpx_lt_i32_e32 26, v178
	s_cbranch_execz .LBB66_566
; %bb.565:
	v_mul_f64 v[48:49], v[136:137], v[30:31]
	v_mul_f64 v[30:31], v[138:139], v[30:31]
	ds_load_2addr_b64 v[144:147], v176 offset0:54 offset1:55
	ds_load_2addr_b64 v[148:151], v176 offset0:56 offset1:57
	;; [unrolled: 1-line block ×7, first 2 shown]
	v_fma_f64 v[48:49], v[138:139], v[28:29], v[48:49]
	v_fma_f64 v[28:29], v[136:137], v[28:29], -v[30:31]
	s_waitcnt lgkmcnt(6)
	s_delay_alu instid0(VALU_DEP_2)
	v_mul_f64 v[30:31], v[146:147], v[48:49]
	v_mul_f64 v[50:51], v[144:145], v[48:49]
	s_waitcnt lgkmcnt(5)
	v_mul_f64 v[52:53], v[150:151], v[48:49]
	v_mul_f64 v[54:55], v[148:149], v[48:49]
	s_waitcnt lgkmcnt(4)
	;; [unrolled: 3-line block ×6, first 2 shown]
	v_mul_f64 v[140:141], v[170:171], v[48:49]
	v_mul_f64 v[142:143], v[168:169], v[48:49]
	v_fma_f64 v[30:31], v[144:145], v[28:29], -v[30:31]
	v_fma_f64 v[50:51], v[146:147], v[28:29], v[50:51]
	v_fma_f64 v[52:53], v[148:149], v[28:29], -v[52:53]
	v_fma_f64 v[54:55], v[150:151], v[28:29], v[54:55]
	v_fma_f64 v[104:105], v[152:153], v[28:29], -v[104:105]
	v_fma_f64 v[106:107], v[154:155], v[28:29], v[106:107]
	v_fma_f64 v[124:125], v[156:157], v[28:29], -v[124:125]
	v_fma_f64 v[126:127], v[158:159], v[28:29], v[126:127]
	v_fma_f64 v[128:129], v[160:161], v[28:29], -v[128:129]
	v_fma_f64 v[130:131], v[162:163], v[28:29], v[130:131]
	v_fma_f64 v[136:137], v[164:165], v[28:29], -v[136:137]
	v_fma_f64 v[138:139], v[166:167], v[28:29], v[138:139]
	v_fma_f64 v[140:141], v[168:169], v[28:29], -v[140:141]
	v_fma_f64 v[142:143], v[170:171], v[28:29], v[142:143]
	v_add_f64 v[24:25], v[24:25], -v[30:31]
	v_add_f64 v[26:27], v[26:27], -v[50:51]
	;; [unrolled: 1-line block ×14, first 2 shown]
	v_dual_mov_b32 v30, v48 :: v_dual_mov_b32 v31, v49
.LBB66_566:
	s_or_b32 exec_lo, exec_lo, s2
	v_lshl_add_u32 v48, v178, 4, v176
	s_barrier
	buffer_gl0_inv
	v_mov_b32_e32 v144, 27
	ds_store_2addr_b64 v48, v[24:25], v[26:27] offset1:1
	s_waitcnt lgkmcnt(0)
	s_barrier
	buffer_gl0_inv
	ds_load_2addr_b64 v[136:139], v176 offset0:54 offset1:55
	s_cmp_lt_i32 s5, 29
	s_cbranch_scc1 .LBB66_569
; %bb.567:
	v_add3_u32 v145, v174, 0, 0x1c0
	v_mov_b32_e32 v144, 27
	s_mov_b32 s6, 28
	s_set_inst_prefetch_distance 0x1
	.p2align	6
.LBB66_568:                             ; =>This Inner Loop Header: Depth=1
	ds_load_2addr_b64 v[146:149], v145 offset1:1
	s_waitcnt lgkmcnt(1)
	v_cmp_gt_f64_e32 vcc_lo, 0, v[136:137]
	v_xor_b32_e32 v48, 0x80000000, v137
	v_cmp_gt_f64_e64 s2, 0, v[138:139]
	v_xor_b32_e32 v50, 0x80000000, v139
	v_add_nc_u32_e32 v145, 16, v145
	s_waitcnt lgkmcnt(0)
	v_cmp_gt_f64_e64 s3, 0, v[146:147]
	v_mov_b32_e32 v52, v146
	v_dual_mov_b32 v54, v148 :: v_dual_cndmask_b32 v49, v137, v48
	v_xor_b32_e32 v48, 0x80000000, v147
	v_cndmask_b32_e64 v51, v139, v50, s2
	v_xor_b32_e32 v50, 0x80000000, v149
	s_delay_alu instid0(VALU_DEP_3) | instskip(SKIP_2) | instid1(VALU_DEP_2)
	v_cndmask_b32_e64 v53, v147, v48, s3
	v_cmp_gt_f64_e64 s3, 0, v[148:149]
	v_cndmask_b32_e32 v48, v136, v136, vcc_lo
	v_cndmask_b32_e64 v55, v149, v50, s3
	v_cndmask_b32_e64 v50, v138, v138, s2
	s_delay_alu instid0(VALU_DEP_2) | instskip(NEXT) | instid1(VALU_DEP_2)
	v_add_f64 v[52:53], v[52:53], v[54:55]
	v_add_f64 v[48:49], v[48:49], v[50:51]
	s_delay_alu instid0(VALU_DEP_1)
	v_cmp_lt_f64_e32 vcc_lo, v[48:49], v[52:53]
	v_cndmask_b32_e32 v139, v139, v149, vcc_lo
	v_dual_cndmask_b32 v137, v137, v147 :: v_dual_cndmask_b32 v136, v136, v146
	v_cndmask_b32_e32 v138, v138, v148, vcc_lo
	v_cndmask_b32_e64 v144, v144, s6, vcc_lo
	s_add_i32 s6, s6, 1
	s_delay_alu instid0(SALU_CYCLE_1)
	s_cmp_lg_u32 s5, s6
	s_cbranch_scc1 .LBB66_568
.LBB66_569:
	s_set_inst_prefetch_distance 0x2
	s_waitcnt lgkmcnt(0)
	v_cmp_eq_f64_e32 vcc_lo, 0, v[136:137]
	v_cmp_eq_f64_e64 s2, 0, v[138:139]
	s_delay_alu instid0(VALU_DEP_1) | instskip(NEXT) | instid1(SALU_CYCLE_1)
	s_and_b32 s2, vcc_lo, s2
	s_and_saveexec_b32 s3, s2
	s_delay_alu instid0(SALU_CYCLE_1)
	s_xor_b32 s2, exec_lo, s3
; %bb.570:
	v_cmp_ne_u32_e32 vcc_lo, 0, v255
	v_cndmask_b32_e32 v255, 28, v255, vcc_lo
; %bb.571:
	s_and_not1_saveexec_b32 s3, s2
	s_cbranch_execz .LBB66_577
; %bb.572:
	v_cmp_gt_f64_e32 vcc_lo, 0, v[136:137]
	v_cmp_gt_f64_e64 s2, 0, v[138:139]
	v_xor_b32_e32 v48, 0x80000000, v137
	v_xor_b32_e32 v50, 0x80000000, v139
	s_delay_alu instid0(VALU_DEP_2) | instskip(NEXT) | instid1(VALU_DEP_2)
	v_cndmask_b32_e32 v49, v137, v48, vcc_lo
	v_cndmask_b32_e64 v51, v139, v50, s2
	v_cndmask_b32_e32 v48, v136, v136, vcc_lo
	v_cndmask_b32_e64 v50, v138, v138, s2
	s_mov_b32 s2, exec_lo
	s_delay_alu instid0(VALU_DEP_1)
	v_cmpx_ngt_f64_e32 v[48:49], v[50:51]
	s_xor_b32 s2, exec_lo, s2
	s_cbranch_execz .LBB66_574
; %bb.573:
	v_div_scale_f64 v[48:49], null, v[138:139], v[138:139], v[136:137]
	v_div_scale_f64 v[54:55], vcc_lo, v[136:137], v[138:139], v[136:137]
	s_delay_alu instid0(VALU_DEP_2) | instskip(SKIP_2) | instid1(VALU_DEP_1)
	v_rcp_f64_e32 v[50:51], v[48:49]
	s_waitcnt_depctr 0xfff
	v_fma_f64 v[52:53], -v[48:49], v[50:51], 1.0
	v_fma_f64 v[50:51], v[50:51], v[52:53], v[50:51]
	s_delay_alu instid0(VALU_DEP_1) | instskip(NEXT) | instid1(VALU_DEP_1)
	v_fma_f64 v[52:53], -v[48:49], v[50:51], 1.0
	v_fma_f64 v[50:51], v[50:51], v[52:53], v[50:51]
	s_delay_alu instid0(VALU_DEP_1) | instskip(NEXT) | instid1(VALU_DEP_1)
	v_mul_f64 v[52:53], v[54:55], v[50:51]
	v_fma_f64 v[48:49], -v[48:49], v[52:53], v[54:55]
	s_delay_alu instid0(VALU_DEP_1) | instskip(NEXT) | instid1(VALU_DEP_1)
	v_div_fmas_f64 v[48:49], v[48:49], v[50:51], v[52:53]
	v_div_fixup_f64 v[48:49], v[48:49], v[138:139], v[136:137]
	s_delay_alu instid0(VALU_DEP_1) | instskip(NEXT) | instid1(VALU_DEP_1)
	v_fma_f64 v[50:51], v[136:137], v[48:49], v[138:139]
	v_div_scale_f64 v[52:53], null, v[50:51], v[50:51], 1.0
	s_delay_alu instid0(VALU_DEP_1) | instskip(SKIP_2) | instid1(VALU_DEP_1)
	v_rcp_f64_e32 v[54:55], v[52:53]
	s_waitcnt_depctr 0xfff
	v_fma_f64 v[104:105], -v[52:53], v[54:55], 1.0
	v_fma_f64 v[54:55], v[54:55], v[104:105], v[54:55]
	s_delay_alu instid0(VALU_DEP_1) | instskip(NEXT) | instid1(VALU_DEP_1)
	v_fma_f64 v[104:105], -v[52:53], v[54:55], 1.0
	v_fma_f64 v[54:55], v[54:55], v[104:105], v[54:55]
	v_div_scale_f64 v[104:105], vcc_lo, 1.0, v[50:51], 1.0
	s_delay_alu instid0(VALU_DEP_1) | instskip(NEXT) | instid1(VALU_DEP_1)
	v_mul_f64 v[106:107], v[104:105], v[54:55]
	v_fma_f64 v[52:53], -v[52:53], v[106:107], v[104:105]
	s_delay_alu instid0(VALU_DEP_1) | instskip(NEXT) | instid1(VALU_DEP_1)
	v_div_fmas_f64 v[52:53], v[52:53], v[54:55], v[106:107]
	v_div_fixup_f64 v[138:139], v[52:53], v[50:51], 1.0
	s_delay_alu instid0(VALU_DEP_1)
	v_mul_f64 v[136:137], v[48:49], v[138:139]
	v_xor_b32_e32 v139, 0x80000000, v139
.LBB66_574:
	s_and_not1_saveexec_b32 s2, s2
	s_cbranch_execz .LBB66_576
; %bb.575:
	s_delay_alu instid0(VALU_DEP_1) | instskip(SKIP_1) | instid1(VALU_DEP_2)
	v_div_scale_f64 v[48:49], null, v[136:137], v[136:137], v[138:139]
	v_div_scale_f64 v[54:55], vcc_lo, v[138:139], v[136:137], v[138:139]
	v_rcp_f64_e32 v[50:51], v[48:49]
	s_waitcnt_depctr 0xfff
	v_fma_f64 v[52:53], -v[48:49], v[50:51], 1.0
	s_delay_alu instid0(VALU_DEP_1) | instskip(NEXT) | instid1(VALU_DEP_1)
	v_fma_f64 v[50:51], v[50:51], v[52:53], v[50:51]
	v_fma_f64 v[52:53], -v[48:49], v[50:51], 1.0
	s_delay_alu instid0(VALU_DEP_1) | instskip(NEXT) | instid1(VALU_DEP_1)
	v_fma_f64 v[50:51], v[50:51], v[52:53], v[50:51]
	v_mul_f64 v[52:53], v[54:55], v[50:51]
	s_delay_alu instid0(VALU_DEP_1) | instskip(NEXT) | instid1(VALU_DEP_1)
	v_fma_f64 v[48:49], -v[48:49], v[52:53], v[54:55]
	v_div_fmas_f64 v[48:49], v[48:49], v[50:51], v[52:53]
	s_delay_alu instid0(VALU_DEP_1) | instskip(NEXT) | instid1(VALU_DEP_1)
	v_div_fixup_f64 v[48:49], v[48:49], v[136:137], v[138:139]
	v_fma_f64 v[50:51], v[138:139], v[48:49], v[136:137]
	s_delay_alu instid0(VALU_DEP_1) | instskip(NEXT) | instid1(VALU_DEP_1)
	v_div_scale_f64 v[52:53], null, v[50:51], v[50:51], 1.0
	v_rcp_f64_e32 v[54:55], v[52:53]
	s_waitcnt_depctr 0xfff
	v_fma_f64 v[104:105], -v[52:53], v[54:55], 1.0
	s_delay_alu instid0(VALU_DEP_1) | instskip(NEXT) | instid1(VALU_DEP_1)
	v_fma_f64 v[54:55], v[54:55], v[104:105], v[54:55]
	v_fma_f64 v[104:105], -v[52:53], v[54:55], 1.0
	s_delay_alu instid0(VALU_DEP_1) | instskip(SKIP_1) | instid1(VALU_DEP_1)
	v_fma_f64 v[54:55], v[54:55], v[104:105], v[54:55]
	v_div_scale_f64 v[104:105], vcc_lo, 1.0, v[50:51], 1.0
	v_mul_f64 v[106:107], v[104:105], v[54:55]
	s_delay_alu instid0(VALU_DEP_1) | instskip(NEXT) | instid1(VALU_DEP_1)
	v_fma_f64 v[52:53], -v[52:53], v[106:107], v[104:105]
	v_div_fmas_f64 v[52:53], v[52:53], v[54:55], v[106:107]
	s_delay_alu instid0(VALU_DEP_1) | instskip(NEXT) | instid1(VALU_DEP_1)
	v_div_fixup_f64 v[136:137], v[52:53], v[50:51], 1.0
	v_mul_f64 v[138:139], v[48:49], -v[136:137]
.LBB66_576:
	s_or_b32 exec_lo, exec_lo, s2
.LBB66_577:
	s_delay_alu instid0(SALU_CYCLE_1) | instskip(NEXT) | instid1(SALU_CYCLE_1)
	s_or_b32 exec_lo, exec_lo, s3
	s_mov_b32 s2, exec_lo
	v_cmpx_ne_u32_e64 v178, v144
	s_xor_b32 s2, exec_lo, s2
	s_cbranch_execz .LBB66_583
; %bb.578:
	s_mov_b32 s3, exec_lo
	v_cmpx_eq_u32_e32 27, v178
	s_cbranch_execz .LBB66_582
; %bb.579:
	v_cmp_ne_u32_e32 vcc_lo, 27, v144
	s_xor_b32 s6, s4, -1
	s_delay_alu instid0(SALU_CYCLE_1) | instskip(NEXT) | instid1(SALU_CYCLE_1)
	s_and_b32 s7, s6, vcc_lo
	s_and_saveexec_b32 s6, s7
	s_cbranch_execz .LBB66_581
; %bb.580:
	scratch_load_b64 v[52:53], off, off offset:32 ; 8-byte Folded Reload
	v_ashrrev_i32_e32 v145, 31, v144
	s_delay_alu instid0(VALU_DEP_1) | instskip(SKIP_1) | instid1(VALU_DEP_1)
	v_lshlrev_b64 v[48:49], 2, v[144:145]
	s_waitcnt vmcnt(0)
	v_add_co_u32 v48, vcc_lo, v52, v48
	s_delay_alu instid0(VALU_DEP_2)
	v_add_co_ci_u32_e32 v49, vcc_lo, v53, v49, vcc_lo
	s_clause 0x1
	flat_load_b32 v50, v[48:49]
	flat_load_b32 v51, v[52:53] offset:108
	s_waitcnt vmcnt(1) lgkmcnt(1)
	flat_store_b32 v[52:53], v50 offset:108
	s_waitcnt vmcnt(0) lgkmcnt(1)
	flat_store_b32 v[48:49], v51
.LBB66_581:
	s_or_b32 exec_lo, exec_lo, s6
	v_mov_b32_e32 v178, v144
	v_mov_b32_e32 v172, v144
.LBB66_582:
	s_or_b32 exec_lo, exec_lo, s3
.LBB66_583:
	s_and_not1_saveexec_b32 s2, s2
	s_cbranch_execz .LBB66_585
; %bb.584:
	v_mov_b32_e32 v178, 27
	ds_store_2addr_b64 v176, v[20:21], v[22:23] offset0:56 offset1:57
	ds_store_2addr_b64 v176, v[16:17], v[18:19] offset0:58 offset1:59
	ds_store_2addr_b64 v176, v[12:13], v[14:15] offset0:60 offset1:61
	ds_store_2addr_b64 v176, v[8:9], v[10:11] offset0:62 offset1:63
	ds_store_2addr_b64 v176, v[4:5], v[6:7] offset0:64 offset1:65
	ds_store_2addr_b64 v176, v[243:244], v[245:246] offset0:66 offset1:67
.LBB66_585:
	s_or_b32 exec_lo, exec_lo, s2
	s_delay_alu instid0(SALU_CYCLE_1)
	s_mov_b32 s2, exec_lo
	s_waitcnt lgkmcnt(0)
	s_waitcnt_vscnt null, 0x0
	s_barrier
	buffer_gl0_inv
	v_cmpx_lt_i32_e32 27, v178
	s_cbranch_execz .LBB66_587
; %bb.586:
	v_mul_f64 v[48:49], v[136:137], v[26:27]
	v_mul_f64 v[26:27], v[138:139], v[26:27]
	ds_load_2addr_b64 v[144:147], v176 offset0:56 offset1:57
	ds_load_2addr_b64 v[148:151], v176 offset0:58 offset1:59
	;; [unrolled: 1-line block ×6, first 2 shown]
	v_fma_f64 v[48:49], v[138:139], v[24:25], v[48:49]
	v_fma_f64 v[24:25], v[136:137], v[24:25], -v[26:27]
	s_waitcnt lgkmcnt(5)
	s_delay_alu instid0(VALU_DEP_2)
	v_mul_f64 v[26:27], v[146:147], v[48:49]
	v_mul_f64 v[50:51], v[144:145], v[48:49]
	s_waitcnt lgkmcnt(4)
	v_mul_f64 v[52:53], v[150:151], v[48:49]
	v_mul_f64 v[54:55], v[148:149], v[48:49]
	s_waitcnt lgkmcnt(3)
	;; [unrolled: 3-line block ×5, first 2 shown]
	v_mul_f64 v[136:137], v[166:167], v[48:49]
	v_mul_f64 v[138:139], v[164:165], v[48:49]
	v_fma_f64 v[26:27], v[144:145], v[24:25], -v[26:27]
	v_fma_f64 v[50:51], v[146:147], v[24:25], v[50:51]
	v_fma_f64 v[52:53], v[148:149], v[24:25], -v[52:53]
	v_fma_f64 v[54:55], v[150:151], v[24:25], v[54:55]
	;; [unrolled: 2-line block ×6, first 2 shown]
	v_add_f64 v[20:21], v[20:21], -v[26:27]
	v_add_f64 v[22:23], v[22:23], -v[50:51]
	;; [unrolled: 1-line block ×12, first 2 shown]
	v_dual_mov_b32 v26, v48 :: v_dual_mov_b32 v27, v49
.LBB66_587:
	s_or_b32 exec_lo, exec_lo, s2
	v_lshl_add_u32 v48, v178, 4, v176
	s_barrier
	buffer_gl0_inv
	v_mov_b32_e32 v144, 28
	ds_store_2addr_b64 v48, v[20:21], v[22:23] offset1:1
	s_waitcnt lgkmcnt(0)
	s_barrier
	buffer_gl0_inv
	ds_load_2addr_b64 v[136:139], v176 offset0:56 offset1:57
	s_cmp_lt_i32 s5, 30
	s_cbranch_scc1 .LBB66_590
; %bb.588:
	v_add3_u32 v145, v174, 0, 0x1d0
	v_mov_b32_e32 v144, 28
	s_mov_b32 s6, 29
	s_set_inst_prefetch_distance 0x1
	.p2align	6
.LBB66_589:                             ; =>This Inner Loop Header: Depth=1
	ds_load_2addr_b64 v[146:149], v145 offset1:1
	s_waitcnt lgkmcnt(1)
	v_cmp_gt_f64_e32 vcc_lo, 0, v[136:137]
	v_xor_b32_e32 v48, 0x80000000, v137
	v_cmp_gt_f64_e64 s2, 0, v[138:139]
	v_xor_b32_e32 v50, 0x80000000, v139
	v_add_nc_u32_e32 v145, 16, v145
	s_waitcnt lgkmcnt(0)
	v_cmp_gt_f64_e64 s3, 0, v[146:147]
	v_mov_b32_e32 v52, v146
	v_dual_mov_b32 v54, v148 :: v_dual_cndmask_b32 v49, v137, v48
	v_xor_b32_e32 v48, 0x80000000, v147
	v_cndmask_b32_e64 v51, v139, v50, s2
	v_xor_b32_e32 v50, 0x80000000, v149
	s_delay_alu instid0(VALU_DEP_3) | instskip(SKIP_2) | instid1(VALU_DEP_2)
	v_cndmask_b32_e64 v53, v147, v48, s3
	v_cmp_gt_f64_e64 s3, 0, v[148:149]
	v_cndmask_b32_e32 v48, v136, v136, vcc_lo
	v_cndmask_b32_e64 v55, v149, v50, s3
	v_cndmask_b32_e64 v50, v138, v138, s2
	s_delay_alu instid0(VALU_DEP_2) | instskip(NEXT) | instid1(VALU_DEP_2)
	v_add_f64 v[52:53], v[52:53], v[54:55]
	v_add_f64 v[48:49], v[48:49], v[50:51]
	s_delay_alu instid0(VALU_DEP_1)
	v_cmp_lt_f64_e32 vcc_lo, v[48:49], v[52:53]
	v_cndmask_b32_e32 v139, v139, v149, vcc_lo
	v_dual_cndmask_b32 v137, v137, v147 :: v_dual_cndmask_b32 v136, v136, v146
	v_cndmask_b32_e32 v138, v138, v148, vcc_lo
	v_cndmask_b32_e64 v144, v144, s6, vcc_lo
	s_add_i32 s6, s6, 1
	s_delay_alu instid0(SALU_CYCLE_1)
	s_cmp_lg_u32 s5, s6
	s_cbranch_scc1 .LBB66_589
.LBB66_590:
	s_set_inst_prefetch_distance 0x2
	s_waitcnt lgkmcnt(0)
	v_cmp_eq_f64_e32 vcc_lo, 0, v[136:137]
	v_cmp_eq_f64_e64 s2, 0, v[138:139]
	s_delay_alu instid0(VALU_DEP_1) | instskip(NEXT) | instid1(SALU_CYCLE_1)
	s_and_b32 s2, vcc_lo, s2
	s_and_saveexec_b32 s3, s2
	s_delay_alu instid0(SALU_CYCLE_1)
	s_xor_b32 s2, exec_lo, s3
; %bb.591:
	v_cmp_ne_u32_e32 vcc_lo, 0, v255
	v_cndmask_b32_e32 v255, 29, v255, vcc_lo
; %bb.592:
	s_and_not1_saveexec_b32 s3, s2
	s_cbranch_execz .LBB66_598
; %bb.593:
	v_cmp_gt_f64_e32 vcc_lo, 0, v[136:137]
	v_cmp_gt_f64_e64 s2, 0, v[138:139]
	v_xor_b32_e32 v48, 0x80000000, v137
	v_xor_b32_e32 v50, 0x80000000, v139
	s_delay_alu instid0(VALU_DEP_2) | instskip(NEXT) | instid1(VALU_DEP_2)
	v_cndmask_b32_e32 v49, v137, v48, vcc_lo
	v_cndmask_b32_e64 v51, v139, v50, s2
	v_cndmask_b32_e32 v48, v136, v136, vcc_lo
	v_cndmask_b32_e64 v50, v138, v138, s2
	s_mov_b32 s2, exec_lo
	s_delay_alu instid0(VALU_DEP_1)
	v_cmpx_ngt_f64_e32 v[48:49], v[50:51]
	s_xor_b32 s2, exec_lo, s2
	s_cbranch_execz .LBB66_595
; %bb.594:
	v_div_scale_f64 v[48:49], null, v[138:139], v[138:139], v[136:137]
	v_div_scale_f64 v[54:55], vcc_lo, v[136:137], v[138:139], v[136:137]
	s_delay_alu instid0(VALU_DEP_2) | instskip(SKIP_2) | instid1(VALU_DEP_1)
	v_rcp_f64_e32 v[50:51], v[48:49]
	s_waitcnt_depctr 0xfff
	v_fma_f64 v[52:53], -v[48:49], v[50:51], 1.0
	v_fma_f64 v[50:51], v[50:51], v[52:53], v[50:51]
	s_delay_alu instid0(VALU_DEP_1) | instskip(NEXT) | instid1(VALU_DEP_1)
	v_fma_f64 v[52:53], -v[48:49], v[50:51], 1.0
	v_fma_f64 v[50:51], v[50:51], v[52:53], v[50:51]
	s_delay_alu instid0(VALU_DEP_1) | instskip(NEXT) | instid1(VALU_DEP_1)
	v_mul_f64 v[52:53], v[54:55], v[50:51]
	v_fma_f64 v[48:49], -v[48:49], v[52:53], v[54:55]
	s_delay_alu instid0(VALU_DEP_1) | instskip(NEXT) | instid1(VALU_DEP_1)
	v_div_fmas_f64 v[48:49], v[48:49], v[50:51], v[52:53]
	v_div_fixup_f64 v[48:49], v[48:49], v[138:139], v[136:137]
	s_delay_alu instid0(VALU_DEP_1) | instskip(NEXT) | instid1(VALU_DEP_1)
	v_fma_f64 v[50:51], v[136:137], v[48:49], v[138:139]
	v_div_scale_f64 v[52:53], null, v[50:51], v[50:51], 1.0
	s_delay_alu instid0(VALU_DEP_1) | instskip(SKIP_2) | instid1(VALU_DEP_1)
	v_rcp_f64_e32 v[54:55], v[52:53]
	s_waitcnt_depctr 0xfff
	v_fma_f64 v[104:105], -v[52:53], v[54:55], 1.0
	v_fma_f64 v[54:55], v[54:55], v[104:105], v[54:55]
	s_delay_alu instid0(VALU_DEP_1) | instskip(NEXT) | instid1(VALU_DEP_1)
	v_fma_f64 v[104:105], -v[52:53], v[54:55], 1.0
	v_fma_f64 v[54:55], v[54:55], v[104:105], v[54:55]
	v_div_scale_f64 v[104:105], vcc_lo, 1.0, v[50:51], 1.0
	s_delay_alu instid0(VALU_DEP_1) | instskip(NEXT) | instid1(VALU_DEP_1)
	v_mul_f64 v[106:107], v[104:105], v[54:55]
	v_fma_f64 v[52:53], -v[52:53], v[106:107], v[104:105]
	s_delay_alu instid0(VALU_DEP_1) | instskip(NEXT) | instid1(VALU_DEP_1)
	v_div_fmas_f64 v[52:53], v[52:53], v[54:55], v[106:107]
	v_div_fixup_f64 v[138:139], v[52:53], v[50:51], 1.0
	s_delay_alu instid0(VALU_DEP_1)
	v_mul_f64 v[136:137], v[48:49], v[138:139]
	v_xor_b32_e32 v139, 0x80000000, v139
.LBB66_595:
	s_and_not1_saveexec_b32 s2, s2
	s_cbranch_execz .LBB66_597
; %bb.596:
	s_delay_alu instid0(VALU_DEP_1) | instskip(SKIP_1) | instid1(VALU_DEP_2)
	v_div_scale_f64 v[48:49], null, v[136:137], v[136:137], v[138:139]
	v_div_scale_f64 v[54:55], vcc_lo, v[138:139], v[136:137], v[138:139]
	v_rcp_f64_e32 v[50:51], v[48:49]
	s_waitcnt_depctr 0xfff
	v_fma_f64 v[52:53], -v[48:49], v[50:51], 1.0
	s_delay_alu instid0(VALU_DEP_1) | instskip(NEXT) | instid1(VALU_DEP_1)
	v_fma_f64 v[50:51], v[50:51], v[52:53], v[50:51]
	v_fma_f64 v[52:53], -v[48:49], v[50:51], 1.0
	s_delay_alu instid0(VALU_DEP_1) | instskip(NEXT) | instid1(VALU_DEP_1)
	v_fma_f64 v[50:51], v[50:51], v[52:53], v[50:51]
	v_mul_f64 v[52:53], v[54:55], v[50:51]
	s_delay_alu instid0(VALU_DEP_1) | instskip(NEXT) | instid1(VALU_DEP_1)
	v_fma_f64 v[48:49], -v[48:49], v[52:53], v[54:55]
	v_div_fmas_f64 v[48:49], v[48:49], v[50:51], v[52:53]
	s_delay_alu instid0(VALU_DEP_1) | instskip(NEXT) | instid1(VALU_DEP_1)
	v_div_fixup_f64 v[48:49], v[48:49], v[136:137], v[138:139]
	v_fma_f64 v[50:51], v[138:139], v[48:49], v[136:137]
	s_delay_alu instid0(VALU_DEP_1) | instskip(NEXT) | instid1(VALU_DEP_1)
	v_div_scale_f64 v[52:53], null, v[50:51], v[50:51], 1.0
	v_rcp_f64_e32 v[54:55], v[52:53]
	s_waitcnt_depctr 0xfff
	v_fma_f64 v[104:105], -v[52:53], v[54:55], 1.0
	s_delay_alu instid0(VALU_DEP_1) | instskip(NEXT) | instid1(VALU_DEP_1)
	v_fma_f64 v[54:55], v[54:55], v[104:105], v[54:55]
	v_fma_f64 v[104:105], -v[52:53], v[54:55], 1.0
	s_delay_alu instid0(VALU_DEP_1) | instskip(SKIP_1) | instid1(VALU_DEP_1)
	v_fma_f64 v[54:55], v[54:55], v[104:105], v[54:55]
	v_div_scale_f64 v[104:105], vcc_lo, 1.0, v[50:51], 1.0
	v_mul_f64 v[106:107], v[104:105], v[54:55]
	s_delay_alu instid0(VALU_DEP_1) | instskip(NEXT) | instid1(VALU_DEP_1)
	v_fma_f64 v[52:53], -v[52:53], v[106:107], v[104:105]
	v_div_fmas_f64 v[52:53], v[52:53], v[54:55], v[106:107]
	s_delay_alu instid0(VALU_DEP_1) | instskip(NEXT) | instid1(VALU_DEP_1)
	v_div_fixup_f64 v[136:137], v[52:53], v[50:51], 1.0
	v_mul_f64 v[138:139], v[48:49], -v[136:137]
.LBB66_597:
	s_or_b32 exec_lo, exec_lo, s2
.LBB66_598:
	s_delay_alu instid0(SALU_CYCLE_1) | instskip(NEXT) | instid1(SALU_CYCLE_1)
	s_or_b32 exec_lo, exec_lo, s3
	s_mov_b32 s2, exec_lo
	v_cmpx_ne_u32_e64 v178, v144
	s_xor_b32 s2, exec_lo, s2
	s_cbranch_execz .LBB66_604
; %bb.599:
	s_mov_b32 s3, exec_lo
	v_cmpx_eq_u32_e32 28, v178
	s_cbranch_execz .LBB66_603
; %bb.600:
	v_cmp_ne_u32_e32 vcc_lo, 28, v144
	s_xor_b32 s6, s4, -1
	s_delay_alu instid0(SALU_CYCLE_1) | instskip(NEXT) | instid1(SALU_CYCLE_1)
	s_and_b32 s7, s6, vcc_lo
	s_and_saveexec_b32 s6, s7
	s_cbranch_execz .LBB66_602
; %bb.601:
	scratch_load_b64 v[52:53], off, off offset:32 ; 8-byte Folded Reload
	v_ashrrev_i32_e32 v145, 31, v144
	s_delay_alu instid0(VALU_DEP_1) | instskip(SKIP_1) | instid1(VALU_DEP_1)
	v_lshlrev_b64 v[48:49], 2, v[144:145]
	s_waitcnt vmcnt(0)
	v_add_co_u32 v48, vcc_lo, v52, v48
	s_delay_alu instid0(VALU_DEP_2)
	v_add_co_ci_u32_e32 v49, vcc_lo, v53, v49, vcc_lo
	s_clause 0x1
	flat_load_b32 v50, v[48:49]
	flat_load_b32 v51, v[52:53] offset:112
	s_waitcnt vmcnt(1) lgkmcnt(1)
	flat_store_b32 v[52:53], v50 offset:112
	s_waitcnt vmcnt(0) lgkmcnt(1)
	flat_store_b32 v[48:49], v51
.LBB66_602:
	s_or_b32 exec_lo, exec_lo, s6
	v_mov_b32_e32 v178, v144
	v_mov_b32_e32 v172, v144
.LBB66_603:
	s_or_b32 exec_lo, exec_lo, s3
.LBB66_604:
	s_and_not1_saveexec_b32 s2, s2
	s_cbranch_execz .LBB66_606
; %bb.605:
	v_mov_b32_e32 v178, 28
	ds_store_2addr_b64 v176, v[16:17], v[18:19] offset0:58 offset1:59
	ds_store_2addr_b64 v176, v[12:13], v[14:15] offset0:60 offset1:61
	;; [unrolled: 1-line block ×5, first 2 shown]
.LBB66_606:
	s_or_b32 exec_lo, exec_lo, s2
	s_delay_alu instid0(SALU_CYCLE_1)
	s_mov_b32 s2, exec_lo
	s_waitcnt lgkmcnt(0)
	s_waitcnt_vscnt null, 0x0
	s_barrier
	buffer_gl0_inv
	v_cmpx_lt_i32_e32 28, v178
	s_cbranch_execz .LBB66_608
; %bb.607:
	v_mul_f64 v[48:49], v[136:137], v[22:23]
	v_mul_f64 v[22:23], v[138:139], v[22:23]
	ds_load_2addr_b64 v[144:147], v176 offset0:58 offset1:59
	ds_load_2addr_b64 v[148:151], v176 offset0:60 offset1:61
	;; [unrolled: 1-line block ×5, first 2 shown]
	v_fma_f64 v[48:49], v[138:139], v[20:21], v[48:49]
	v_fma_f64 v[20:21], v[136:137], v[20:21], -v[22:23]
	s_waitcnt lgkmcnt(4)
	s_delay_alu instid0(VALU_DEP_2)
	v_mul_f64 v[22:23], v[146:147], v[48:49]
	v_mul_f64 v[50:51], v[144:145], v[48:49]
	s_waitcnt lgkmcnt(3)
	v_mul_f64 v[52:53], v[150:151], v[48:49]
	v_mul_f64 v[54:55], v[148:149], v[48:49]
	s_waitcnt lgkmcnt(2)
	;; [unrolled: 3-line block ×4, first 2 shown]
	v_mul_f64 v[128:129], v[162:163], v[48:49]
	v_mul_f64 v[130:131], v[160:161], v[48:49]
	v_fma_f64 v[22:23], v[144:145], v[20:21], -v[22:23]
	v_fma_f64 v[50:51], v[146:147], v[20:21], v[50:51]
	v_fma_f64 v[52:53], v[148:149], v[20:21], -v[52:53]
	v_fma_f64 v[54:55], v[150:151], v[20:21], v[54:55]
	;; [unrolled: 2-line block ×5, first 2 shown]
	v_add_f64 v[16:17], v[16:17], -v[22:23]
	v_add_f64 v[18:19], v[18:19], -v[50:51]
	;; [unrolled: 1-line block ×10, first 2 shown]
	v_dual_mov_b32 v22, v48 :: v_dual_mov_b32 v23, v49
.LBB66_608:
	s_or_b32 exec_lo, exec_lo, s2
	v_lshl_add_u32 v48, v178, 4, v176
	s_barrier
	buffer_gl0_inv
	v_mov_b32_e32 v144, 29
	ds_store_2addr_b64 v48, v[16:17], v[18:19] offset1:1
	s_waitcnt lgkmcnt(0)
	s_barrier
	buffer_gl0_inv
	ds_load_2addr_b64 v[136:139], v176 offset0:58 offset1:59
	s_cmp_lt_i32 s5, 31
	s_cbranch_scc1 .LBB66_611
; %bb.609:
	v_add3_u32 v145, v174, 0, 0x1e0
	v_mov_b32_e32 v144, 29
	s_mov_b32 s6, 30
	s_set_inst_prefetch_distance 0x1
	.p2align	6
.LBB66_610:                             ; =>This Inner Loop Header: Depth=1
	ds_load_2addr_b64 v[146:149], v145 offset1:1
	s_waitcnt lgkmcnt(1)
	v_cmp_gt_f64_e32 vcc_lo, 0, v[136:137]
	v_xor_b32_e32 v48, 0x80000000, v137
	v_cmp_gt_f64_e64 s2, 0, v[138:139]
	v_xor_b32_e32 v50, 0x80000000, v139
	v_add_nc_u32_e32 v145, 16, v145
	s_waitcnt lgkmcnt(0)
	v_cmp_gt_f64_e64 s3, 0, v[146:147]
	v_mov_b32_e32 v52, v146
	v_dual_mov_b32 v54, v148 :: v_dual_cndmask_b32 v49, v137, v48
	v_xor_b32_e32 v48, 0x80000000, v147
	v_cndmask_b32_e64 v51, v139, v50, s2
	v_xor_b32_e32 v50, 0x80000000, v149
	s_delay_alu instid0(VALU_DEP_3) | instskip(SKIP_2) | instid1(VALU_DEP_2)
	v_cndmask_b32_e64 v53, v147, v48, s3
	v_cmp_gt_f64_e64 s3, 0, v[148:149]
	v_cndmask_b32_e32 v48, v136, v136, vcc_lo
	v_cndmask_b32_e64 v55, v149, v50, s3
	v_cndmask_b32_e64 v50, v138, v138, s2
	s_delay_alu instid0(VALU_DEP_2) | instskip(NEXT) | instid1(VALU_DEP_2)
	v_add_f64 v[52:53], v[52:53], v[54:55]
	v_add_f64 v[48:49], v[48:49], v[50:51]
	s_delay_alu instid0(VALU_DEP_1)
	v_cmp_lt_f64_e32 vcc_lo, v[48:49], v[52:53]
	v_cndmask_b32_e32 v139, v139, v149, vcc_lo
	v_dual_cndmask_b32 v137, v137, v147 :: v_dual_cndmask_b32 v136, v136, v146
	v_cndmask_b32_e32 v138, v138, v148, vcc_lo
	v_cndmask_b32_e64 v144, v144, s6, vcc_lo
	s_add_i32 s6, s6, 1
	s_delay_alu instid0(SALU_CYCLE_1)
	s_cmp_lg_u32 s5, s6
	s_cbranch_scc1 .LBB66_610
.LBB66_611:
	s_set_inst_prefetch_distance 0x2
	s_waitcnt lgkmcnt(0)
	v_cmp_eq_f64_e32 vcc_lo, 0, v[136:137]
	v_cmp_eq_f64_e64 s2, 0, v[138:139]
	s_delay_alu instid0(VALU_DEP_1) | instskip(NEXT) | instid1(SALU_CYCLE_1)
	s_and_b32 s2, vcc_lo, s2
	s_and_saveexec_b32 s3, s2
	s_delay_alu instid0(SALU_CYCLE_1)
	s_xor_b32 s2, exec_lo, s3
; %bb.612:
	v_cmp_ne_u32_e32 vcc_lo, 0, v255
	v_cndmask_b32_e32 v255, 30, v255, vcc_lo
; %bb.613:
	s_and_not1_saveexec_b32 s3, s2
	s_cbranch_execz .LBB66_619
; %bb.614:
	v_cmp_gt_f64_e32 vcc_lo, 0, v[136:137]
	v_cmp_gt_f64_e64 s2, 0, v[138:139]
	v_xor_b32_e32 v48, 0x80000000, v137
	v_xor_b32_e32 v50, 0x80000000, v139
	s_delay_alu instid0(VALU_DEP_2) | instskip(NEXT) | instid1(VALU_DEP_2)
	v_cndmask_b32_e32 v49, v137, v48, vcc_lo
	v_cndmask_b32_e64 v51, v139, v50, s2
	v_cndmask_b32_e32 v48, v136, v136, vcc_lo
	v_cndmask_b32_e64 v50, v138, v138, s2
	s_mov_b32 s2, exec_lo
	s_delay_alu instid0(VALU_DEP_1)
	v_cmpx_ngt_f64_e32 v[48:49], v[50:51]
	s_xor_b32 s2, exec_lo, s2
	s_cbranch_execz .LBB66_616
; %bb.615:
	v_div_scale_f64 v[48:49], null, v[138:139], v[138:139], v[136:137]
	v_div_scale_f64 v[54:55], vcc_lo, v[136:137], v[138:139], v[136:137]
	s_delay_alu instid0(VALU_DEP_2) | instskip(SKIP_2) | instid1(VALU_DEP_1)
	v_rcp_f64_e32 v[50:51], v[48:49]
	s_waitcnt_depctr 0xfff
	v_fma_f64 v[52:53], -v[48:49], v[50:51], 1.0
	v_fma_f64 v[50:51], v[50:51], v[52:53], v[50:51]
	s_delay_alu instid0(VALU_DEP_1) | instskip(NEXT) | instid1(VALU_DEP_1)
	v_fma_f64 v[52:53], -v[48:49], v[50:51], 1.0
	v_fma_f64 v[50:51], v[50:51], v[52:53], v[50:51]
	s_delay_alu instid0(VALU_DEP_1) | instskip(NEXT) | instid1(VALU_DEP_1)
	v_mul_f64 v[52:53], v[54:55], v[50:51]
	v_fma_f64 v[48:49], -v[48:49], v[52:53], v[54:55]
	s_delay_alu instid0(VALU_DEP_1) | instskip(NEXT) | instid1(VALU_DEP_1)
	v_div_fmas_f64 v[48:49], v[48:49], v[50:51], v[52:53]
	v_div_fixup_f64 v[48:49], v[48:49], v[138:139], v[136:137]
	s_delay_alu instid0(VALU_DEP_1) | instskip(NEXT) | instid1(VALU_DEP_1)
	v_fma_f64 v[50:51], v[136:137], v[48:49], v[138:139]
	v_div_scale_f64 v[52:53], null, v[50:51], v[50:51], 1.0
	s_delay_alu instid0(VALU_DEP_1) | instskip(SKIP_2) | instid1(VALU_DEP_1)
	v_rcp_f64_e32 v[54:55], v[52:53]
	s_waitcnt_depctr 0xfff
	v_fma_f64 v[104:105], -v[52:53], v[54:55], 1.0
	v_fma_f64 v[54:55], v[54:55], v[104:105], v[54:55]
	s_delay_alu instid0(VALU_DEP_1) | instskip(NEXT) | instid1(VALU_DEP_1)
	v_fma_f64 v[104:105], -v[52:53], v[54:55], 1.0
	v_fma_f64 v[54:55], v[54:55], v[104:105], v[54:55]
	v_div_scale_f64 v[104:105], vcc_lo, 1.0, v[50:51], 1.0
	s_delay_alu instid0(VALU_DEP_1) | instskip(NEXT) | instid1(VALU_DEP_1)
	v_mul_f64 v[106:107], v[104:105], v[54:55]
	v_fma_f64 v[52:53], -v[52:53], v[106:107], v[104:105]
	s_delay_alu instid0(VALU_DEP_1) | instskip(NEXT) | instid1(VALU_DEP_1)
	v_div_fmas_f64 v[52:53], v[52:53], v[54:55], v[106:107]
	v_div_fixup_f64 v[138:139], v[52:53], v[50:51], 1.0
	s_delay_alu instid0(VALU_DEP_1)
	v_mul_f64 v[136:137], v[48:49], v[138:139]
	v_xor_b32_e32 v139, 0x80000000, v139
.LBB66_616:
	s_and_not1_saveexec_b32 s2, s2
	s_cbranch_execz .LBB66_618
; %bb.617:
	s_delay_alu instid0(VALU_DEP_1) | instskip(SKIP_1) | instid1(VALU_DEP_2)
	v_div_scale_f64 v[48:49], null, v[136:137], v[136:137], v[138:139]
	v_div_scale_f64 v[54:55], vcc_lo, v[138:139], v[136:137], v[138:139]
	v_rcp_f64_e32 v[50:51], v[48:49]
	s_waitcnt_depctr 0xfff
	v_fma_f64 v[52:53], -v[48:49], v[50:51], 1.0
	s_delay_alu instid0(VALU_DEP_1) | instskip(NEXT) | instid1(VALU_DEP_1)
	v_fma_f64 v[50:51], v[50:51], v[52:53], v[50:51]
	v_fma_f64 v[52:53], -v[48:49], v[50:51], 1.0
	s_delay_alu instid0(VALU_DEP_1) | instskip(NEXT) | instid1(VALU_DEP_1)
	v_fma_f64 v[50:51], v[50:51], v[52:53], v[50:51]
	v_mul_f64 v[52:53], v[54:55], v[50:51]
	s_delay_alu instid0(VALU_DEP_1) | instskip(NEXT) | instid1(VALU_DEP_1)
	v_fma_f64 v[48:49], -v[48:49], v[52:53], v[54:55]
	v_div_fmas_f64 v[48:49], v[48:49], v[50:51], v[52:53]
	s_delay_alu instid0(VALU_DEP_1) | instskip(NEXT) | instid1(VALU_DEP_1)
	v_div_fixup_f64 v[48:49], v[48:49], v[136:137], v[138:139]
	v_fma_f64 v[50:51], v[138:139], v[48:49], v[136:137]
	s_delay_alu instid0(VALU_DEP_1) | instskip(NEXT) | instid1(VALU_DEP_1)
	v_div_scale_f64 v[52:53], null, v[50:51], v[50:51], 1.0
	v_rcp_f64_e32 v[54:55], v[52:53]
	s_waitcnt_depctr 0xfff
	v_fma_f64 v[104:105], -v[52:53], v[54:55], 1.0
	s_delay_alu instid0(VALU_DEP_1) | instskip(NEXT) | instid1(VALU_DEP_1)
	v_fma_f64 v[54:55], v[54:55], v[104:105], v[54:55]
	v_fma_f64 v[104:105], -v[52:53], v[54:55], 1.0
	s_delay_alu instid0(VALU_DEP_1) | instskip(SKIP_1) | instid1(VALU_DEP_1)
	v_fma_f64 v[54:55], v[54:55], v[104:105], v[54:55]
	v_div_scale_f64 v[104:105], vcc_lo, 1.0, v[50:51], 1.0
	v_mul_f64 v[106:107], v[104:105], v[54:55]
	s_delay_alu instid0(VALU_DEP_1) | instskip(NEXT) | instid1(VALU_DEP_1)
	v_fma_f64 v[52:53], -v[52:53], v[106:107], v[104:105]
	v_div_fmas_f64 v[52:53], v[52:53], v[54:55], v[106:107]
	s_delay_alu instid0(VALU_DEP_1) | instskip(NEXT) | instid1(VALU_DEP_1)
	v_div_fixup_f64 v[136:137], v[52:53], v[50:51], 1.0
	v_mul_f64 v[138:139], v[48:49], -v[136:137]
.LBB66_618:
	s_or_b32 exec_lo, exec_lo, s2
.LBB66_619:
	s_delay_alu instid0(SALU_CYCLE_1) | instskip(NEXT) | instid1(SALU_CYCLE_1)
	s_or_b32 exec_lo, exec_lo, s3
	s_mov_b32 s2, exec_lo
	v_cmpx_ne_u32_e64 v178, v144
	s_xor_b32 s2, exec_lo, s2
	s_cbranch_execz .LBB66_625
; %bb.620:
	s_mov_b32 s3, exec_lo
	v_cmpx_eq_u32_e32 29, v178
	s_cbranch_execz .LBB66_624
; %bb.621:
	v_cmp_ne_u32_e32 vcc_lo, 29, v144
	s_xor_b32 s6, s4, -1
	s_delay_alu instid0(SALU_CYCLE_1) | instskip(NEXT) | instid1(SALU_CYCLE_1)
	s_and_b32 s7, s6, vcc_lo
	s_and_saveexec_b32 s6, s7
	s_cbranch_execz .LBB66_623
; %bb.622:
	scratch_load_b64 v[52:53], off, off offset:32 ; 8-byte Folded Reload
	v_ashrrev_i32_e32 v145, 31, v144
	s_delay_alu instid0(VALU_DEP_1) | instskip(SKIP_1) | instid1(VALU_DEP_1)
	v_lshlrev_b64 v[48:49], 2, v[144:145]
	s_waitcnt vmcnt(0)
	v_add_co_u32 v48, vcc_lo, v52, v48
	s_delay_alu instid0(VALU_DEP_2)
	v_add_co_ci_u32_e32 v49, vcc_lo, v53, v49, vcc_lo
	s_clause 0x1
	flat_load_b32 v50, v[48:49]
	flat_load_b32 v51, v[52:53] offset:116
	s_waitcnt vmcnt(1) lgkmcnt(1)
	flat_store_b32 v[52:53], v50 offset:116
	s_waitcnt vmcnt(0) lgkmcnt(1)
	flat_store_b32 v[48:49], v51
.LBB66_623:
	s_or_b32 exec_lo, exec_lo, s6
	v_mov_b32_e32 v178, v144
	v_mov_b32_e32 v172, v144
.LBB66_624:
	s_or_b32 exec_lo, exec_lo, s3
.LBB66_625:
	s_and_not1_saveexec_b32 s2, s2
	s_cbranch_execz .LBB66_627
; %bb.626:
	v_mov_b32_e32 v178, 29
	ds_store_2addr_b64 v176, v[12:13], v[14:15] offset0:60 offset1:61
	ds_store_2addr_b64 v176, v[8:9], v[10:11] offset0:62 offset1:63
	;; [unrolled: 1-line block ×4, first 2 shown]
.LBB66_627:
	s_or_b32 exec_lo, exec_lo, s2
	s_delay_alu instid0(SALU_CYCLE_1)
	s_mov_b32 s2, exec_lo
	s_waitcnt lgkmcnt(0)
	s_waitcnt_vscnt null, 0x0
	s_barrier
	buffer_gl0_inv
	v_cmpx_lt_i32_e32 29, v178
	s_cbranch_execz .LBB66_629
; %bb.628:
	v_mul_f64 v[48:49], v[136:137], v[18:19]
	v_mul_f64 v[18:19], v[138:139], v[18:19]
	ds_load_2addr_b64 v[144:147], v176 offset0:60 offset1:61
	ds_load_2addr_b64 v[148:151], v176 offset0:62 offset1:63
	;; [unrolled: 1-line block ×4, first 2 shown]
	v_fma_f64 v[48:49], v[138:139], v[16:17], v[48:49]
	v_fma_f64 v[16:17], v[136:137], v[16:17], -v[18:19]
	s_waitcnt lgkmcnt(3)
	s_delay_alu instid0(VALU_DEP_2)
	v_mul_f64 v[18:19], v[146:147], v[48:49]
	v_mul_f64 v[50:51], v[144:145], v[48:49]
	s_waitcnt lgkmcnt(2)
	v_mul_f64 v[52:53], v[150:151], v[48:49]
	v_mul_f64 v[54:55], v[148:149], v[48:49]
	s_waitcnt lgkmcnt(1)
	;; [unrolled: 3-line block ×3, first 2 shown]
	v_mul_f64 v[124:125], v[158:159], v[48:49]
	v_mul_f64 v[126:127], v[156:157], v[48:49]
	v_fma_f64 v[18:19], v[144:145], v[16:17], -v[18:19]
	v_fma_f64 v[50:51], v[146:147], v[16:17], v[50:51]
	v_fma_f64 v[52:53], v[148:149], v[16:17], -v[52:53]
	v_fma_f64 v[54:55], v[150:151], v[16:17], v[54:55]
	;; [unrolled: 2-line block ×4, first 2 shown]
	v_add_f64 v[12:13], v[12:13], -v[18:19]
	v_add_f64 v[14:15], v[14:15], -v[50:51]
	;; [unrolled: 1-line block ×8, first 2 shown]
	v_dual_mov_b32 v18, v48 :: v_dual_mov_b32 v19, v49
.LBB66_629:
	s_or_b32 exec_lo, exec_lo, s2
	v_lshl_add_u32 v48, v178, 4, v176
	s_barrier
	buffer_gl0_inv
	v_mov_b32_e32 v144, 30
	ds_store_2addr_b64 v48, v[12:13], v[14:15] offset1:1
	s_waitcnt lgkmcnt(0)
	s_barrier
	buffer_gl0_inv
	ds_load_2addr_b64 v[136:139], v176 offset0:60 offset1:61
	s_cmp_lt_i32 s5, 32
	s_cbranch_scc1 .LBB66_632
; %bb.630:
	v_add3_u32 v145, v174, 0, 0x1f0
	v_mov_b32_e32 v144, 30
	s_mov_b32 s6, 31
	s_set_inst_prefetch_distance 0x1
	.p2align	6
.LBB66_631:                             ; =>This Inner Loop Header: Depth=1
	ds_load_2addr_b64 v[146:149], v145 offset1:1
	s_waitcnt lgkmcnt(1)
	v_cmp_gt_f64_e32 vcc_lo, 0, v[136:137]
	v_xor_b32_e32 v48, 0x80000000, v137
	v_cmp_gt_f64_e64 s2, 0, v[138:139]
	v_xor_b32_e32 v50, 0x80000000, v139
	v_add_nc_u32_e32 v145, 16, v145
	s_waitcnt lgkmcnt(0)
	v_cmp_gt_f64_e64 s3, 0, v[146:147]
	v_mov_b32_e32 v52, v146
	v_dual_mov_b32 v54, v148 :: v_dual_cndmask_b32 v49, v137, v48
	v_xor_b32_e32 v48, 0x80000000, v147
	v_cndmask_b32_e64 v51, v139, v50, s2
	v_xor_b32_e32 v50, 0x80000000, v149
	s_delay_alu instid0(VALU_DEP_3) | instskip(SKIP_2) | instid1(VALU_DEP_2)
	v_cndmask_b32_e64 v53, v147, v48, s3
	v_cmp_gt_f64_e64 s3, 0, v[148:149]
	v_cndmask_b32_e32 v48, v136, v136, vcc_lo
	v_cndmask_b32_e64 v55, v149, v50, s3
	v_cndmask_b32_e64 v50, v138, v138, s2
	s_delay_alu instid0(VALU_DEP_2) | instskip(NEXT) | instid1(VALU_DEP_2)
	v_add_f64 v[52:53], v[52:53], v[54:55]
	v_add_f64 v[48:49], v[48:49], v[50:51]
	s_delay_alu instid0(VALU_DEP_1)
	v_cmp_lt_f64_e32 vcc_lo, v[48:49], v[52:53]
	v_cndmask_b32_e32 v139, v139, v149, vcc_lo
	v_dual_cndmask_b32 v137, v137, v147 :: v_dual_cndmask_b32 v136, v136, v146
	v_cndmask_b32_e32 v138, v138, v148, vcc_lo
	v_cndmask_b32_e64 v144, v144, s6, vcc_lo
	s_add_i32 s6, s6, 1
	s_delay_alu instid0(SALU_CYCLE_1)
	s_cmp_lg_u32 s5, s6
	s_cbranch_scc1 .LBB66_631
.LBB66_632:
	s_set_inst_prefetch_distance 0x2
	s_waitcnt lgkmcnt(0)
	v_cmp_eq_f64_e32 vcc_lo, 0, v[136:137]
	v_cmp_eq_f64_e64 s2, 0, v[138:139]
	s_delay_alu instid0(VALU_DEP_1) | instskip(NEXT) | instid1(SALU_CYCLE_1)
	s_and_b32 s2, vcc_lo, s2
	s_and_saveexec_b32 s3, s2
	s_delay_alu instid0(SALU_CYCLE_1)
	s_xor_b32 s2, exec_lo, s3
; %bb.633:
	v_cmp_ne_u32_e32 vcc_lo, 0, v255
	v_cndmask_b32_e32 v255, 31, v255, vcc_lo
; %bb.634:
	s_and_not1_saveexec_b32 s3, s2
	s_cbranch_execz .LBB66_640
; %bb.635:
	v_cmp_gt_f64_e32 vcc_lo, 0, v[136:137]
	v_cmp_gt_f64_e64 s2, 0, v[138:139]
	v_xor_b32_e32 v48, 0x80000000, v137
	v_xor_b32_e32 v50, 0x80000000, v139
	s_delay_alu instid0(VALU_DEP_2) | instskip(NEXT) | instid1(VALU_DEP_2)
	v_cndmask_b32_e32 v49, v137, v48, vcc_lo
	v_cndmask_b32_e64 v51, v139, v50, s2
	v_cndmask_b32_e32 v48, v136, v136, vcc_lo
	v_cndmask_b32_e64 v50, v138, v138, s2
	s_mov_b32 s2, exec_lo
	s_delay_alu instid0(VALU_DEP_1)
	v_cmpx_ngt_f64_e32 v[48:49], v[50:51]
	s_xor_b32 s2, exec_lo, s2
	s_cbranch_execz .LBB66_637
; %bb.636:
	v_div_scale_f64 v[48:49], null, v[138:139], v[138:139], v[136:137]
	v_div_scale_f64 v[54:55], vcc_lo, v[136:137], v[138:139], v[136:137]
	s_delay_alu instid0(VALU_DEP_2) | instskip(SKIP_2) | instid1(VALU_DEP_1)
	v_rcp_f64_e32 v[50:51], v[48:49]
	s_waitcnt_depctr 0xfff
	v_fma_f64 v[52:53], -v[48:49], v[50:51], 1.0
	v_fma_f64 v[50:51], v[50:51], v[52:53], v[50:51]
	s_delay_alu instid0(VALU_DEP_1) | instskip(NEXT) | instid1(VALU_DEP_1)
	v_fma_f64 v[52:53], -v[48:49], v[50:51], 1.0
	v_fma_f64 v[50:51], v[50:51], v[52:53], v[50:51]
	s_delay_alu instid0(VALU_DEP_1) | instskip(NEXT) | instid1(VALU_DEP_1)
	v_mul_f64 v[52:53], v[54:55], v[50:51]
	v_fma_f64 v[48:49], -v[48:49], v[52:53], v[54:55]
	s_delay_alu instid0(VALU_DEP_1) | instskip(NEXT) | instid1(VALU_DEP_1)
	v_div_fmas_f64 v[48:49], v[48:49], v[50:51], v[52:53]
	v_div_fixup_f64 v[48:49], v[48:49], v[138:139], v[136:137]
	s_delay_alu instid0(VALU_DEP_1) | instskip(NEXT) | instid1(VALU_DEP_1)
	v_fma_f64 v[50:51], v[136:137], v[48:49], v[138:139]
	v_div_scale_f64 v[52:53], null, v[50:51], v[50:51], 1.0
	s_delay_alu instid0(VALU_DEP_1) | instskip(SKIP_2) | instid1(VALU_DEP_1)
	v_rcp_f64_e32 v[54:55], v[52:53]
	s_waitcnt_depctr 0xfff
	v_fma_f64 v[104:105], -v[52:53], v[54:55], 1.0
	v_fma_f64 v[54:55], v[54:55], v[104:105], v[54:55]
	s_delay_alu instid0(VALU_DEP_1) | instskip(NEXT) | instid1(VALU_DEP_1)
	v_fma_f64 v[104:105], -v[52:53], v[54:55], 1.0
	v_fma_f64 v[54:55], v[54:55], v[104:105], v[54:55]
	v_div_scale_f64 v[104:105], vcc_lo, 1.0, v[50:51], 1.0
	s_delay_alu instid0(VALU_DEP_1) | instskip(NEXT) | instid1(VALU_DEP_1)
	v_mul_f64 v[106:107], v[104:105], v[54:55]
	v_fma_f64 v[52:53], -v[52:53], v[106:107], v[104:105]
	s_delay_alu instid0(VALU_DEP_1) | instskip(NEXT) | instid1(VALU_DEP_1)
	v_div_fmas_f64 v[52:53], v[52:53], v[54:55], v[106:107]
	v_div_fixup_f64 v[138:139], v[52:53], v[50:51], 1.0
	s_delay_alu instid0(VALU_DEP_1)
	v_mul_f64 v[136:137], v[48:49], v[138:139]
	v_xor_b32_e32 v139, 0x80000000, v139
.LBB66_637:
	s_and_not1_saveexec_b32 s2, s2
	s_cbranch_execz .LBB66_639
; %bb.638:
	s_delay_alu instid0(VALU_DEP_1) | instskip(SKIP_1) | instid1(VALU_DEP_2)
	v_div_scale_f64 v[48:49], null, v[136:137], v[136:137], v[138:139]
	v_div_scale_f64 v[54:55], vcc_lo, v[138:139], v[136:137], v[138:139]
	v_rcp_f64_e32 v[50:51], v[48:49]
	s_waitcnt_depctr 0xfff
	v_fma_f64 v[52:53], -v[48:49], v[50:51], 1.0
	s_delay_alu instid0(VALU_DEP_1) | instskip(NEXT) | instid1(VALU_DEP_1)
	v_fma_f64 v[50:51], v[50:51], v[52:53], v[50:51]
	v_fma_f64 v[52:53], -v[48:49], v[50:51], 1.0
	s_delay_alu instid0(VALU_DEP_1) | instskip(NEXT) | instid1(VALU_DEP_1)
	v_fma_f64 v[50:51], v[50:51], v[52:53], v[50:51]
	v_mul_f64 v[52:53], v[54:55], v[50:51]
	s_delay_alu instid0(VALU_DEP_1) | instskip(NEXT) | instid1(VALU_DEP_1)
	v_fma_f64 v[48:49], -v[48:49], v[52:53], v[54:55]
	v_div_fmas_f64 v[48:49], v[48:49], v[50:51], v[52:53]
	s_delay_alu instid0(VALU_DEP_1) | instskip(NEXT) | instid1(VALU_DEP_1)
	v_div_fixup_f64 v[48:49], v[48:49], v[136:137], v[138:139]
	v_fma_f64 v[50:51], v[138:139], v[48:49], v[136:137]
	s_delay_alu instid0(VALU_DEP_1) | instskip(NEXT) | instid1(VALU_DEP_1)
	v_div_scale_f64 v[52:53], null, v[50:51], v[50:51], 1.0
	v_rcp_f64_e32 v[54:55], v[52:53]
	s_waitcnt_depctr 0xfff
	v_fma_f64 v[104:105], -v[52:53], v[54:55], 1.0
	s_delay_alu instid0(VALU_DEP_1) | instskip(NEXT) | instid1(VALU_DEP_1)
	v_fma_f64 v[54:55], v[54:55], v[104:105], v[54:55]
	v_fma_f64 v[104:105], -v[52:53], v[54:55], 1.0
	s_delay_alu instid0(VALU_DEP_1) | instskip(SKIP_1) | instid1(VALU_DEP_1)
	v_fma_f64 v[54:55], v[54:55], v[104:105], v[54:55]
	v_div_scale_f64 v[104:105], vcc_lo, 1.0, v[50:51], 1.0
	v_mul_f64 v[106:107], v[104:105], v[54:55]
	s_delay_alu instid0(VALU_DEP_1) | instskip(NEXT) | instid1(VALU_DEP_1)
	v_fma_f64 v[52:53], -v[52:53], v[106:107], v[104:105]
	v_div_fmas_f64 v[52:53], v[52:53], v[54:55], v[106:107]
	s_delay_alu instid0(VALU_DEP_1) | instskip(NEXT) | instid1(VALU_DEP_1)
	v_div_fixup_f64 v[136:137], v[52:53], v[50:51], 1.0
	v_mul_f64 v[138:139], v[48:49], -v[136:137]
.LBB66_639:
	s_or_b32 exec_lo, exec_lo, s2
.LBB66_640:
	s_delay_alu instid0(SALU_CYCLE_1) | instskip(NEXT) | instid1(SALU_CYCLE_1)
	s_or_b32 exec_lo, exec_lo, s3
	s_mov_b32 s2, exec_lo
	v_cmpx_ne_u32_e64 v178, v144
	s_xor_b32 s2, exec_lo, s2
	s_cbranch_execz .LBB66_646
; %bb.641:
	s_mov_b32 s3, exec_lo
	v_cmpx_eq_u32_e32 30, v178
	s_cbranch_execz .LBB66_645
; %bb.642:
	v_cmp_ne_u32_e32 vcc_lo, 30, v144
	s_xor_b32 s6, s4, -1
	s_delay_alu instid0(SALU_CYCLE_1) | instskip(NEXT) | instid1(SALU_CYCLE_1)
	s_and_b32 s7, s6, vcc_lo
	s_and_saveexec_b32 s6, s7
	s_cbranch_execz .LBB66_644
; %bb.643:
	scratch_load_b64 v[52:53], off, off offset:32 ; 8-byte Folded Reload
	v_ashrrev_i32_e32 v145, 31, v144
	s_delay_alu instid0(VALU_DEP_1) | instskip(SKIP_1) | instid1(VALU_DEP_1)
	v_lshlrev_b64 v[48:49], 2, v[144:145]
	s_waitcnt vmcnt(0)
	v_add_co_u32 v48, vcc_lo, v52, v48
	s_delay_alu instid0(VALU_DEP_2)
	v_add_co_ci_u32_e32 v49, vcc_lo, v53, v49, vcc_lo
	s_clause 0x1
	flat_load_b32 v50, v[48:49]
	flat_load_b32 v51, v[52:53] offset:120
	s_waitcnt vmcnt(1) lgkmcnt(1)
	flat_store_b32 v[52:53], v50 offset:120
	s_waitcnt vmcnt(0) lgkmcnt(1)
	flat_store_b32 v[48:49], v51
.LBB66_644:
	s_or_b32 exec_lo, exec_lo, s6
	v_mov_b32_e32 v178, v144
	v_mov_b32_e32 v172, v144
.LBB66_645:
	s_or_b32 exec_lo, exec_lo, s3
.LBB66_646:
	s_and_not1_saveexec_b32 s2, s2
	s_cbranch_execz .LBB66_648
; %bb.647:
	v_mov_b32_e32 v178, 30
	ds_store_2addr_b64 v176, v[8:9], v[10:11] offset0:62 offset1:63
	ds_store_2addr_b64 v176, v[4:5], v[6:7] offset0:64 offset1:65
	;; [unrolled: 1-line block ×3, first 2 shown]
.LBB66_648:
	s_or_b32 exec_lo, exec_lo, s2
	s_delay_alu instid0(SALU_CYCLE_1)
	s_mov_b32 s2, exec_lo
	s_waitcnt lgkmcnt(0)
	s_waitcnt_vscnt null, 0x0
	s_barrier
	buffer_gl0_inv
	v_cmpx_lt_i32_e32 30, v178
	s_cbranch_execz .LBB66_650
; %bb.649:
	v_mul_f64 v[48:49], v[136:137], v[14:15]
	v_mul_f64 v[14:15], v[138:139], v[14:15]
	ds_load_2addr_b64 v[144:147], v176 offset0:62 offset1:63
	ds_load_2addr_b64 v[148:151], v176 offset0:64 offset1:65
	;; [unrolled: 1-line block ×3, first 2 shown]
	v_fma_f64 v[48:49], v[138:139], v[12:13], v[48:49]
	v_fma_f64 v[12:13], v[136:137], v[12:13], -v[14:15]
	s_waitcnt lgkmcnt(2)
	s_delay_alu instid0(VALU_DEP_2)
	v_mul_f64 v[14:15], v[146:147], v[48:49]
	v_mul_f64 v[50:51], v[144:145], v[48:49]
	s_waitcnt lgkmcnt(1)
	v_mul_f64 v[52:53], v[150:151], v[48:49]
	v_mul_f64 v[54:55], v[148:149], v[48:49]
	s_waitcnt lgkmcnt(0)
	v_mul_f64 v[104:105], v[154:155], v[48:49]
	v_mul_f64 v[106:107], v[152:153], v[48:49]
	v_fma_f64 v[14:15], v[144:145], v[12:13], -v[14:15]
	v_fma_f64 v[50:51], v[146:147], v[12:13], v[50:51]
	v_fma_f64 v[52:53], v[148:149], v[12:13], -v[52:53]
	v_fma_f64 v[54:55], v[150:151], v[12:13], v[54:55]
	;; [unrolled: 2-line block ×3, first 2 shown]
	v_add_f64 v[8:9], v[8:9], -v[14:15]
	v_add_f64 v[10:11], v[10:11], -v[50:51]
	;; [unrolled: 1-line block ×6, first 2 shown]
	v_dual_mov_b32 v14, v48 :: v_dual_mov_b32 v15, v49
.LBB66_650:
	s_or_b32 exec_lo, exec_lo, s2
	v_lshl_add_u32 v48, v178, 4, v176
	s_barrier
	buffer_gl0_inv
	v_mov_b32_e32 v144, 31
	ds_store_2addr_b64 v48, v[8:9], v[10:11] offset1:1
	s_waitcnt lgkmcnt(0)
	s_barrier
	buffer_gl0_inv
	ds_load_2addr_b64 v[136:139], v176 offset0:62 offset1:63
	s_cmp_lt_i32 s5, 33
	s_cbranch_scc1 .LBB66_653
; %bb.651:
	v_add3_u32 v145, v174, 0, 0x200
	v_mov_b32_e32 v144, 31
	s_mov_b32 s6, 32
	s_set_inst_prefetch_distance 0x1
	.p2align	6
.LBB66_652:                             ; =>This Inner Loop Header: Depth=1
	ds_load_2addr_b64 v[146:149], v145 offset1:1
	s_waitcnt lgkmcnt(1)
	v_cmp_gt_f64_e32 vcc_lo, 0, v[136:137]
	v_xor_b32_e32 v48, 0x80000000, v137
	v_cmp_gt_f64_e64 s2, 0, v[138:139]
	v_xor_b32_e32 v50, 0x80000000, v139
	v_add_nc_u32_e32 v145, 16, v145
	s_waitcnt lgkmcnt(0)
	v_cmp_gt_f64_e64 s3, 0, v[146:147]
	v_mov_b32_e32 v52, v146
	v_dual_mov_b32 v54, v148 :: v_dual_cndmask_b32 v49, v137, v48
	v_xor_b32_e32 v48, 0x80000000, v147
	v_cndmask_b32_e64 v51, v139, v50, s2
	v_xor_b32_e32 v50, 0x80000000, v149
	s_delay_alu instid0(VALU_DEP_3) | instskip(SKIP_2) | instid1(VALU_DEP_2)
	v_cndmask_b32_e64 v53, v147, v48, s3
	v_cmp_gt_f64_e64 s3, 0, v[148:149]
	v_cndmask_b32_e32 v48, v136, v136, vcc_lo
	v_cndmask_b32_e64 v55, v149, v50, s3
	v_cndmask_b32_e64 v50, v138, v138, s2
	s_delay_alu instid0(VALU_DEP_2) | instskip(NEXT) | instid1(VALU_DEP_2)
	v_add_f64 v[52:53], v[52:53], v[54:55]
	v_add_f64 v[48:49], v[48:49], v[50:51]
	s_delay_alu instid0(VALU_DEP_1)
	v_cmp_lt_f64_e32 vcc_lo, v[48:49], v[52:53]
	v_cndmask_b32_e32 v139, v139, v149, vcc_lo
	v_dual_cndmask_b32 v137, v137, v147 :: v_dual_cndmask_b32 v136, v136, v146
	v_cndmask_b32_e32 v138, v138, v148, vcc_lo
	v_cndmask_b32_e64 v144, v144, s6, vcc_lo
	s_add_i32 s6, s6, 1
	s_delay_alu instid0(SALU_CYCLE_1)
	s_cmp_lg_u32 s5, s6
	s_cbranch_scc1 .LBB66_652
.LBB66_653:
	s_set_inst_prefetch_distance 0x2
	s_waitcnt lgkmcnt(0)
	v_cmp_eq_f64_e32 vcc_lo, 0, v[136:137]
	v_cmp_eq_f64_e64 s2, 0, v[138:139]
	s_delay_alu instid0(VALU_DEP_1) | instskip(NEXT) | instid1(SALU_CYCLE_1)
	s_and_b32 s2, vcc_lo, s2
	s_and_saveexec_b32 s3, s2
	s_delay_alu instid0(SALU_CYCLE_1)
	s_xor_b32 s2, exec_lo, s3
; %bb.654:
	v_cmp_ne_u32_e32 vcc_lo, 0, v255
	v_cndmask_b32_e32 v255, 32, v255, vcc_lo
; %bb.655:
	s_and_not1_saveexec_b32 s3, s2
	s_cbranch_execz .LBB66_661
; %bb.656:
	v_cmp_gt_f64_e32 vcc_lo, 0, v[136:137]
	v_cmp_gt_f64_e64 s2, 0, v[138:139]
	v_xor_b32_e32 v48, 0x80000000, v137
	v_xor_b32_e32 v50, 0x80000000, v139
	s_delay_alu instid0(VALU_DEP_2) | instskip(NEXT) | instid1(VALU_DEP_2)
	v_cndmask_b32_e32 v49, v137, v48, vcc_lo
	v_cndmask_b32_e64 v51, v139, v50, s2
	v_cndmask_b32_e32 v48, v136, v136, vcc_lo
	v_cndmask_b32_e64 v50, v138, v138, s2
	s_mov_b32 s2, exec_lo
	s_delay_alu instid0(VALU_DEP_1)
	v_cmpx_ngt_f64_e32 v[48:49], v[50:51]
	s_xor_b32 s2, exec_lo, s2
	s_cbranch_execz .LBB66_658
; %bb.657:
	v_div_scale_f64 v[48:49], null, v[138:139], v[138:139], v[136:137]
	v_div_scale_f64 v[54:55], vcc_lo, v[136:137], v[138:139], v[136:137]
	s_delay_alu instid0(VALU_DEP_2) | instskip(SKIP_2) | instid1(VALU_DEP_1)
	v_rcp_f64_e32 v[50:51], v[48:49]
	s_waitcnt_depctr 0xfff
	v_fma_f64 v[52:53], -v[48:49], v[50:51], 1.0
	v_fma_f64 v[50:51], v[50:51], v[52:53], v[50:51]
	s_delay_alu instid0(VALU_DEP_1) | instskip(NEXT) | instid1(VALU_DEP_1)
	v_fma_f64 v[52:53], -v[48:49], v[50:51], 1.0
	v_fma_f64 v[50:51], v[50:51], v[52:53], v[50:51]
	s_delay_alu instid0(VALU_DEP_1) | instskip(NEXT) | instid1(VALU_DEP_1)
	v_mul_f64 v[52:53], v[54:55], v[50:51]
	v_fma_f64 v[48:49], -v[48:49], v[52:53], v[54:55]
	s_delay_alu instid0(VALU_DEP_1) | instskip(NEXT) | instid1(VALU_DEP_1)
	v_div_fmas_f64 v[48:49], v[48:49], v[50:51], v[52:53]
	v_div_fixup_f64 v[48:49], v[48:49], v[138:139], v[136:137]
	s_delay_alu instid0(VALU_DEP_1) | instskip(NEXT) | instid1(VALU_DEP_1)
	v_fma_f64 v[50:51], v[136:137], v[48:49], v[138:139]
	v_div_scale_f64 v[52:53], null, v[50:51], v[50:51], 1.0
	s_delay_alu instid0(VALU_DEP_1) | instskip(SKIP_2) | instid1(VALU_DEP_1)
	v_rcp_f64_e32 v[54:55], v[52:53]
	s_waitcnt_depctr 0xfff
	v_fma_f64 v[104:105], -v[52:53], v[54:55], 1.0
	v_fma_f64 v[54:55], v[54:55], v[104:105], v[54:55]
	s_delay_alu instid0(VALU_DEP_1) | instskip(NEXT) | instid1(VALU_DEP_1)
	v_fma_f64 v[104:105], -v[52:53], v[54:55], 1.0
	v_fma_f64 v[54:55], v[54:55], v[104:105], v[54:55]
	v_div_scale_f64 v[104:105], vcc_lo, 1.0, v[50:51], 1.0
	s_delay_alu instid0(VALU_DEP_1) | instskip(NEXT) | instid1(VALU_DEP_1)
	v_mul_f64 v[106:107], v[104:105], v[54:55]
	v_fma_f64 v[52:53], -v[52:53], v[106:107], v[104:105]
	s_delay_alu instid0(VALU_DEP_1) | instskip(NEXT) | instid1(VALU_DEP_1)
	v_div_fmas_f64 v[52:53], v[52:53], v[54:55], v[106:107]
	v_div_fixup_f64 v[138:139], v[52:53], v[50:51], 1.0
	s_delay_alu instid0(VALU_DEP_1)
	v_mul_f64 v[136:137], v[48:49], v[138:139]
	v_xor_b32_e32 v139, 0x80000000, v139
.LBB66_658:
	s_and_not1_saveexec_b32 s2, s2
	s_cbranch_execz .LBB66_660
; %bb.659:
	s_delay_alu instid0(VALU_DEP_1) | instskip(SKIP_1) | instid1(VALU_DEP_2)
	v_div_scale_f64 v[48:49], null, v[136:137], v[136:137], v[138:139]
	v_div_scale_f64 v[54:55], vcc_lo, v[138:139], v[136:137], v[138:139]
	v_rcp_f64_e32 v[50:51], v[48:49]
	s_waitcnt_depctr 0xfff
	v_fma_f64 v[52:53], -v[48:49], v[50:51], 1.0
	s_delay_alu instid0(VALU_DEP_1) | instskip(NEXT) | instid1(VALU_DEP_1)
	v_fma_f64 v[50:51], v[50:51], v[52:53], v[50:51]
	v_fma_f64 v[52:53], -v[48:49], v[50:51], 1.0
	s_delay_alu instid0(VALU_DEP_1) | instskip(NEXT) | instid1(VALU_DEP_1)
	v_fma_f64 v[50:51], v[50:51], v[52:53], v[50:51]
	v_mul_f64 v[52:53], v[54:55], v[50:51]
	s_delay_alu instid0(VALU_DEP_1) | instskip(NEXT) | instid1(VALU_DEP_1)
	v_fma_f64 v[48:49], -v[48:49], v[52:53], v[54:55]
	v_div_fmas_f64 v[48:49], v[48:49], v[50:51], v[52:53]
	s_delay_alu instid0(VALU_DEP_1) | instskip(NEXT) | instid1(VALU_DEP_1)
	v_div_fixup_f64 v[48:49], v[48:49], v[136:137], v[138:139]
	v_fma_f64 v[50:51], v[138:139], v[48:49], v[136:137]
	s_delay_alu instid0(VALU_DEP_1) | instskip(NEXT) | instid1(VALU_DEP_1)
	v_div_scale_f64 v[52:53], null, v[50:51], v[50:51], 1.0
	v_rcp_f64_e32 v[54:55], v[52:53]
	s_waitcnt_depctr 0xfff
	v_fma_f64 v[104:105], -v[52:53], v[54:55], 1.0
	s_delay_alu instid0(VALU_DEP_1) | instskip(NEXT) | instid1(VALU_DEP_1)
	v_fma_f64 v[54:55], v[54:55], v[104:105], v[54:55]
	v_fma_f64 v[104:105], -v[52:53], v[54:55], 1.0
	s_delay_alu instid0(VALU_DEP_1) | instskip(SKIP_1) | instid1(VALU_DEP_1)
	v_fma_f64 v[54:55], v[54:55], v[104:105], v[54:55]
	v_div_scale_f64 v[104:105], vcc_lo, 1.0, v[50:51], 1.0
	v_mul_f64 v[106:107], v[104:105], v[54:55]
	s_delay_alu instid0(VALU_DEP_1) | instskip(NEXT) | instid1(VALU_DEP_1)
	v_fma_f64 v[52:53], -v[52:53], v[106:107], v[104:105]
	v_div_fmas_f64 v[52:53], v[52:53], v[54:55], v[106:107]
	s_delay_alu instid0(VALU_DEP_1) | instskip(NEXT) | instid1(VALU_DEP_1)
	v_div_fixup_f64 v[136:137], v[52:53], v[50:51], 1.0
	v_mul_f64 v[138:139], v[48:49], -v[136:137]
.LBB66_660:
	s_or_b32 exec_lo, exec_lo, s2
.LBB66_661:
	s_delay_alu instid0(SALU_CYCLE_1) | instskip(NEXT) | instid1(SALU_CYCLE_1)
	s_or_b32 exec_lo, exec_lo, s3
	s_mov_b32 s2, exec_lo
	v_cmpx_ne_u32_e64 v178, v144
	s_xor_b32 s2, exec_lo, s2
	s_cbranch_execz .LBB66_667
; %bb.662:
	s_mov_b32 s3, exec_lo
	v_cmpx_eq_u32_e32 31, v178
	s_cbranch_execz .LBB66_666
; %bb.663:
	v_cmp_ne_u32_e32 vcc_lo, 31, v144
	s_xor_b32 s6, s4, -1
	s_delay_alu instid0(SALU_CYCLE_1) | instskip(NEXT) | instid1(SALU_CYCLE_1)
	s_and_b32 s7, s6, vcc_lo
	s_and_saveexec_b32 s6, s7
	s_cbranch_execz .LBB66_665
; %bb.664:
	scratch_load_b64 v[52:53], off, off offset:32 ; 8-byte Folded Reload
	v_ashrrev_i32_e32 v145, 31, v144
	s_delay_alu instid0(VALU_DEP_1) | instskip(SKIP_1) | instid1(VALU_DEP_1)
	v_lshlrev_b64 v[48:49], 2, v[144:145]
	s_waitcnt vmcnt(0)
	v_add_co_u32 v48, vcc_lo, v52, v48
	s_delay_alu instid0(VALU_DEP_2)
	v_add_co_ci_u32_e32 v49, vcc_lo, v53, v49, vcc_lo
	s_clause 0x1
	flat_load_b32 v50, v[48:49]
	flat_load_b32 v51, v[52:53] offset:124
	s_waitcnt vmcnt(1) lgkmcnt(1)
	flat_store_b32 v[52:53], v50 offset:124
	s_waitcnt vmcnt(0) lgkmcnt(1)
	flat_store_b32 v[48:49], v51
.LBB66_665:
	s_or_b32 exec_lo, exec_lo, s6
	v_mov_b32_e32 v178, v144
	v_mov_b32_e32 v172, v144
.LBB66_666:
	s_or_b32 exec_lo, exec_lo, s3
.LBB66_667:
	s_and_not1_saveexec_b32 s2, s2
	s_cbranch_execz .LBB66_669
; %bb.668:
	v_mov_b32_e32 v178, 31
	ds_store_2addr_b64 v176, v[4:5], v[6:7] offset0:64 offset1:65
	ds_store_2addr_b64 v176, v[243:244], v[245:246] offset0:66 offset1:67
.LBB66_669:
	s_or_b32 exec_lo, exec_lo, s2
	s_delay_alu instid0(SALU_CYCLE_1)
	s_mov_b32 s2, exec_lo
	s_waitcnt lgkmcnt(0)
	s_waitcnt_vscnt null, 0x0
	s_barrier
	buffer_gl0_inv
	v_cmpx_lt_i32_e32 31, v178
	s_cbranch_execz .LBB66_671
; %bb.670:
	v_mul_f64 v[48:49], v[136:137], v[10:11]
	v_mul_f64 v[10:11], v[138:139], v[10:11]
	ds_load_2addr_b64 v[144:147], v176 offset0:64 offset1:65
	ds_load_2addr_b64 v[148:151], v176 offset0:66 offset1:67
	v_fma_f64 v[48:49], v[138:139], v[8:9], v[48:49]
	v_fma_f64 v[8:9], v[136:137], v[8:9], -v[10:11]
	s_waitcnt lgkmcnt(1)
	s_delay_alu instid0(VALU_DEP_2) | instskip(SKIP_4) | instid1(VALU_DEP_4)
	v_mul_f64 v[10:11], v[146:147], v[48:49]
	v_mul_f64 v[50:51], v[144:145], v[48:49]
	s_waitcnt lgkmcnt(0)
	v_mul_f64 v[52:53], v[150:151], v[48:49]
	v_mul_f64 v[54:55], v[148:149], v[48:49]
	v_fma_f64 v[10:11], v[144:145], v[8:9], -v[10:11]
	s_delay_alu instid0(VALU_DEP_4) | instskip(NEXT) | instid1(VALU_DEP_4)
	v_fma_f64 v[50:51], v[146:147], v[8:9], v[50:51]
	v_fma_f64 v[52:53], v[148:149], v[8:9], -v[52:53]
	s_delay_alu instid0(VALU_DEP_4) | instskip(NEXT) | instid1(VALU_DEP_4)
	v_fma_f64 v[54:55], v[150:151], v[8:9], v[54:55]
	v_add_f64 v[4:5], v[4:5], -v[10:11]
	s_delay_alu instid0(VALU_DEP_4) | instskip(NEXT) | instid1(VALU_DEP_4)
	v_add_f64 v[6:7], v[6:7], -v[50:51]
	v_add_f64 v[243:244], v[243:244], -v[52:53]
	s_delay_alu instid0(VALU_DEP_4)
	v_add_f64 v[245:246], v[245:246], -v[54:55]
	v_dual_mov_b32 v10, v48 :: v_dual_mov_b32 v11, v49
.LBB66_671:
	s_or_b32 exec_lo, exec_lo, s2
	v_lshl_add_u32 v48, v178, 4, v176
	s_barrier
	buffer_gl0_inv
	v_mov_b32_e32 v144, 32
	ds_store_2addr_b64 v48, v[4:5], v[6:7] offset1:1
	s_waitcnt lgkmcnt(0)
	s_barrier
	buffer_gl0_inv
	ds_load_2addr_b64 v[136:139], v176 offset0:64 offset1:65
	s_cmp_lt_i32 s5, 34
	s_cbranch_scc1 .LBB66_674
; %bb.672:
	v_add3_u32 v145, v174, 0, 0x210
	v_mov_b32_e32 v144, 32
	s_mov_b32 s6, 33
	s_set_inst_prefetch_distance 0x1
	.p2align	6
.LBB66_673:                             ; =>This Inner Loop Header: Depth=1
	ds_load_2addr_b64 v[146:149], v145 offset1:1
	s_waitcnt lgkmcnt(1)
	v_cmp_gt_f64_e32 vcc_lo, 0, v[136:137]
	v_xor_b32_e32 v48, 0x80000000, v137
	v_cmp_gt_f64_e64 s2, 0, v[138:139]
	v_xor_b32_e32 v50, 0x80000000, v139
	v_add_nc_u32_e32 v145, 16, v145
	s_waitcnt lgkmcnt(0)
	v_cmp_gt_f64_e64 s3, 0, v[146:147]
	v_mov_b32_e32 v52, v146
	v_dual_mov_b32 v54, v148 :: v_dual_cndmask_b32 v49, v137, v48
	v_xor_b32_e32 v48, 0x80000000, v147
	v_cndmask_b32_e64 v51, v139, v50, s2
	v_xor_b32_e32 v50, 0x80000000, v149
	s_delay_alu instid0(VALU_DEP_3) | instskip(SKIP_2) | instid1(VALU_DEP_2)
	v_cndmask_b32_e64 v53, v147, v48, s3
	v_cmp_gt_f64_e64 s3, 0, v[148:149]
	v_cndmask_b32_e32 v48, v136, v136, vcc_lo
	v_cndmask_b32_e64 v55, v149, v50, s3
	v_cndmask_b32_e64 v50, v138, v138, s2
	s_delay_alu instid0(VALU_DEP_2) | instskip(NEXT) | instid1(VALU_DEP_2)
	v_add_f64 v[52:53], v[52:53], v[54:55]
	v_add_f64 v[48:49], v[48:49], v[50:51]
	s_delay_alu instid0(VALU_DEP_1)
	v_cmp_lt_f64_e32 vcc_lo, v[48:49], v[52:53]
	v_cndmask_b32_e32 v139, v139, v149, vcc_lo
	v_dual_cndmask_b32 v137, v137, v147 :: v_dual_cndmask_b32 v136, v136, v146
	v_cndmask_b32_e32 v138, v138, v148, vcc_lo
	v_cndmask_b32_e64 v144, v144, s6, vcc_lo
	s_add_i32 s6, s6, 1
	s_delay_alu instid0(SALU_CYCLE_1)
	s_cmp_lg_u32 s5, s6
	s_cbranch_scc1 .LBB66_673
.LBB66_674:
	s_set_inst_prefetch_distance 0x2
	s_waitcnt lgkmcnt(0)
	v_cmp_eq_f64_e32 vcc_lo, 0, v[136:137]
	v_cmp_eq_f64_e64 s2, 0, v[138:139]
	s_delay_alu instid0(VALU_DEP_1) | instskip(NEXT) | instid1(SALU_CYCLE_1)
	s_and_b32 s2, vcc_lo, s2
	s_and_saveexec_b32 s3, s2
	s_delay_alu instid0(SALU_CYCLE_1)
	s_xor_b32 s2, exec_lo, s3
; %bb.675:
	v_cmp_ne_u32_e32 vcc_lo, 0, v255
	v_cndmask_b32_e32 v255, 33, v255, vcc_lo
; %bb.676:
	s_and_not1_saveexec_b32 s3, s2
	s_cbranch_execz .LBB66_682
; %bb.677:
	v_cmp_gt_f64_e32 vcc_lo, 0, v[136:137]
	v_cmp_gt_f64_e64 s2, 0, v[138:139]
	v_xor_b32_e32 v48, 0x80000000, v137
	v_xor_b32_e32 v50, 0x80000000, v139
	s_delay_alu instid0(VALU_DEP_2) | instskip(NEXT) | instid1(VALU_DEP_2)
	v_cndmask_b32_e32 v49, v137, v48, vcc_lo
	v_cndmask_b32_e64 v51, v139, v50, s2
	v_cndmask_b32_e32 v48, v136, v136, vcc_lo
	v_cndmask_b32_e64 v50, v138, v138, s2
	s_mov_b32 s2, exec_lo
	s_delay_alu instid0(VALU_DEP_1)
	v_cmpx_ngt_f64_e32 v[48:49], v[50:51]
	s_xor_b32 s2, exec_lo, s2
	s_cbranch_execz .LBB66_679
; %bb.678:
	v_div_scale_f64 v[48:49], null, v[138:139], v[138:139], v[136:137]
	v_div_scale_f64 v[54:55], vcc_lo, v[136:137], v[138:139], v[136:137]
	s_delay_alu instid0(VALU_DEP_2) | instskip(SKIP_2) | instid1(VALU_DEP_1)
	v_rcp_f64_e32 v[50:51], v[48:49]
	s_waitcnt_depctr 0xfff
	v_fma_f64 v[52:53], -v[48:49], v[50:51], 1.0
	v_fma_f64 v[50:51], v[50:51], v[52:53], v[50:51]
	s_delay_alu instid0(VALU_DEP_1) | instskip(NEXT) | instid1(VALU_DEP_1)
	v_fma_f64 v[52:53], -v[48:49], v[50:51], 1.0
	v_fma_f64 v[50:51], v[50:51], v[52:53], v[50:51]
	s_delay_alu instid0(VALU_DEP_1) | instskip(NEXT) | instid1(VALU_DEP_1)
	v_mul_f64 v[52:53], v[54:55], v[50:51]
	v_fma_f64 v[48:49], -v[48:49], v[52:53], v[54:55]
	s_delay_alu instid0(VALU_DEP_1) | instskip(NEXT) | instid1(VALU_DEP_1)
	v_div_fmas_f64 v[48:49], v[48:49], v[50:51], v[52:53]
	v_div_fixup_f64 v[48:49], v[48:49], v[138:139], v[136:137]
	s_delay_alu instid0(VALU_DEP_1) | instskip(NEXT) | instid1(VALU_DEP_1)
	v_fma_f64 v[50:51], v[136:137], v[48:49], v[138:139]
	v_div_scale_f64 v[52:53], null, v[50:51], v[50:51], 1.0
	s_delay_alu instid0(VALU_DEP_1) | instskip(SKIP_2) | instid1(VALU_DEP_1)
	v_rcp_f64_e32 v[54:55], v[52:53]
	s_waitcnt_depctr 0xfff
	v_fma_f64 v[104:105], -v[52:53], v[54:55], 1.0
	v_fma_f64 v[54:55], v[54:55], v[104:105], v[54:55]
	s_delay_alu instid0(VALU_DEP_1) | instskip(NEXT) | instid1(VALU_DEP_1)
	v_fma_f64 v[104:105], -v[52:53], v[54:55], 1.0
	v_fma_f64 v[54:55], v[54:55], v[104:105], v[54:55]
	v_div_scale_f64 v[104:105], vcc_lo, 1.0, v[50:51], 1.0
	s_delay_alu instid0(VALU_DEP_1) | instskip(NEXT) | instid1(VALU_DEP_1)
	v_mul_f64 v[106:107], v[104:105], v[54:55]
	v_fma_f64 v[52:53], -v[52:53], v[106:107], v[104:105]
	s_delay_alu instid0(VALU_DEP_1) | instskip(NEXT) | instid1(VALU_DEP_1)
	v_div_fmas_f64 v[52:53], v[52:53], v[54:55], v[106:107]
	v_div_fixup_f64 v[138:139], v[52:53], v[50:51], 1.0
	s_delay_alu instid0(VALU_DEP_1)
	v_mul_f64 v[136:137], v[48:49], v[138:139]
	v_xor_b32_e32 v139, 0x80000000, v139
.LBB66_679:
	s_and_not1_saveexec_b32 s2, s2
	s_cbranch_execz .LBB66_681
; %bb.680:
	s_delay_alu instid0(VALU_DEP_1) | instskip(SKIP_1) | instid1(VALU_DEP_2)
	v_div_scale_f64 v[48:49], null, v[136:137], v[136:137], v[138:139]
	v_div_scale_f64 v[54:55], vcc_lo, v[138:139], v[136:137], v[138:139]
	v_rcp_f64_e32 v[50:51], v[48:49]
	s_waitcnt_depctr 0xfff
	v_fma_f64 v[52:53], -v[48:49], v[50:51], 1.0
	s_delay_alu instid0(VALU_DEP_1) | instskip(NEXT) | instid1(VALU_DEP_1)
	v_fma_f64 v[50:51], v[50:51], v[52:53], v[50:51]
	v_fma_f64 v[52:53], -v[48:49], v[50:51], 1.0
	s_delay_alu instid0(VALU_DEP_1) | instskip(NEXT) | instid1(VALU_DEP_1)
	v_fma_f64 v[50:51], v[50:51], v[52:53], v[50:51]
	v_mul_f64 v[52:53], v[54:55], v[50:51]
	s_delay_alu instid0(VALU_DEP_1) | instskip(NEXT) | instid1(VALU_DEP_1)
	v_fma_f64 v[48:49], -v[48:49], v[52:53], v[54:55]
	v_div_fmas_f64 v[48:49], v[48:49], v[50:51], v[52:53]
	s_delay_alu instid0(VALU_DEP_1) | instskip(NEXT) | instid1(VALU_DEP_1)
	v_div_fixup_f64 v[48:49], v[48:49], v[136:137], v[138:139]
	v_fma_f64 v[50:51], v[138:139], v[48:49], v[136:137]
	s_delay_alu instid0(VALU_DEP_1) | instskip(NEXT) | instid1(VALU_DEP_1)
	v_div_scale_f64 v[52:53], null, v[50:51], v[50:51], 1.0
	v_rcp_f64_e32 v[54:55], v[52:53]
	s_waitcnt_depctr 0xfff
	v_fma_f64 v[104:105], -v[52:53], v[54:55], 1.0
	s_delay_alu instid0(VALU_DEP_1) | instskip(NEXT) | instid1(VALU_DEP_1)
	v_fma_f64 v[54:55], v[54:55], v[104:105], v[54:55]
	v_fma_f64 v[104:105], -v[52:53], v[54:55], 1.0
	s_delay_alu instid0(VALU_DEP_1) | instskip(SKIP_1) | instid1(VALU_DEP_1)
	v_fma_f64 v[54:55], v[54:55], v[104:105], v[54:55]
	v_div_scale_f64 v[104:105], vcc_lo, 1.0, v[50:51], 1.0
	v_mul_f64 v[106:107], v[104:105], v[54:55]
	s_delay_alu instid0(VALU_DEP_1) | instskip(NEXT) | instid1(VALU_DEP_1)
	v_fma_f64 v[52:53], -v[52:53], v[106:107], v[104:105]
	v_div_fmas_f64 v[52:53], v[52:53], v[54:55], v[106:107]
	s_delay_alu instid0(VALU_DEP_1) | instskip(NEXT) | instid1(VALU_DEP_1)
	v_div_fixup_f64 v[136:137], v[52:53], v[50:51], 1.0
	v_mul_f64 v[138:139], v[48:49], -v[136:137]
.LBB66_681:
	s_or_b32 exec_lo, exec_lo, s2
.LBB66_682:
	s_delay_alu instid0(SALU_CYCLE_1) | instskip(NEXT) | instid1(SALU_CYCLE_1)
	s_or_b32 exec_lo, exec_lo, s3
	s_mov_b32 s2, exec_lo
	v_cmpx_ne_u32_e64 v178, v144
	s_xor_b32 s2, exec_lo, s2
	s_cbranch_execz .LBB66_688
; %bb.683:
	s_mov_b32 s3, exec_lo
	v_cmpx_eq_u32_e32 32, v178
	s_cbranch_execz .LBB66_687
; %bb.684:
	v_cmp_ne_u32_e32 vcc_lo, 32, v144
	s_xor_b32 s6, s4, -1
	s_delay_alu instid0(SALU_CYCLE_1) | instskip(NEXT) | instid1(SALU_CYCLE_1)
	s_and_b32 s7, s6, vcc_lo
	s_and_saveexec_b32 s6, s7
	s_cbranch_execz .LBB66_686
; %bb.685:
	scratch_load_b64 v[52:53], off, off offset:32 ; 8-byte Folded Reload
	v_ashrrev_i32_e32 v145, 31, v144
	s_delay_alu instid0(VALU_DEP_1) | instskip(SKIP_1) | instid1(VALU_DEP_1)
	v_lshlrev_b64 v[48:49], 2, v[144:145]
	s_waitcnt vmcnt(0)
	v_add_co_u32 v48, vcc_lo, v52, v48
	s_delay_alu instid0(VALU_DEP_2)
	v_add_co_ci_u32_e32 v49, vcc_lo, v53, v49, vcc_lo
	s_clause 0x1
	flat_load_b32 v50, v[48:49]
	flat_load_b32 v51, v[52:53] offset:128
	s_waitcnt vmcnt(1) lgkmcnt(1)
	flat_store_b32 v[52:53], v50 offset:128
	s_waitcnt vmcnt(0) lgkmcnt(1)
	flat_store_b32 v[48:49], v51
.LBB66_686:
	s_or_b32 exec_lo, exec_lo, s6
	v_mov_b32_e32 v178, v144
	v_mov_b32_e32 v172, v144
.LBB66_687:
	s_or_b32 exec_lo, exec_lo, s3
.LBB66_688:
	s_and_not1_saveexec_b32 s2, s2
	s_cbranch_execz .LBB66_690
; %bb.689:
	v_mov_b32_e32 v178, 32
	ds_store_2addr_b64 v176, v[243:244], v[245:246] offset0:66 offset1:67
.LBB66_690:
	s_or_b32 exec_lo, exec_lo, s2
	s_delay_alu instid0(SALU_CYCLE_1)
	s_mov_b32 s2, exec_lo
	s_waitcnt lgkmcnt(0)
	s_waitcnt_vscnt null, 0x0
	s_barrier
	buffer_gl0_inv
	v_cmpx_lt_i32_e32 32, v178
	s_cbranch_execz .LBB66_692
; %bb.691:
	v_mul_f64 v[48:49], v[136:137], v[6:7]
	v_mul_f64 v[6:7], v[138:139], v[6:7]
	ds_load_2addr_b64 v[144:147], v176 offset0:66 offset1:67
	v_fma_f64 v[48:49], v[138:139], v[4:5], v[48:49]
	v_fma_f64 v[4:5], v[136:137], v[4:5], -v[6:7]
	s_waitcnt lgkmcnt(0)
	s_delay_alu instid0(VALU_DEP_2) | instskip(SKIP_1) | instid1(VALU_DEP_2)
	v_mul_f64 v[6:7], v[146:147], v[48:49]
	v_mul_f64 v[50:51], v[144:145], v[48:49]
	v_fma_f64 v[6:7], v[144:145], v[4:5], -v[6:7]
	s_delay_alu instid0(VALU_DEP_2) | instskip(NEXT) | instid1(VALU_DEP_2)
	v_fma_f64 v[50:51], v[146:147], v[4:5], v[50:51]
	v_add_f64 v[243:244], v[243:244], -v[6:7]
	s_delay_alu instid0(VALU_DEP_2)
	v_add_f64 v[245:246], v[245:246], -v[50:51]
	v_dual_mov_b32 v6, v48 :: v_dual_mov_b32 v7, v49
.LBB66_692:
	s_or_b32 exec_lo, exec_lo, s2
	v_lshl_add_u32 v48, v178, 4, v176
	s_barrier
	buffer_gl0_inv
	v_mov_b32_e32 v144, 33
	ds_store_2addr_b64 v48, v[243:244], v[245:246] offset1:1
	s_waitcnt lgkmcnt(0)
	s_barrier
	buffer_gl0_inv
	ds_load_2addr_b64 v[136:139], v176 offset0:66 offset1:67
	s_cmp_lt_i32 s5, 35
	s_cbranch_scc1 .LBB66_695
; %bb.693:
	v_add3_u32 v145, v174, 0, 0x220
	v_mov_b32_e32 v144, 33
	s_mov_b32 s6, 34
	s_set_inst_prefetch_distance 0x1
	.p2align	6
.LBB66_694:                             ; =>This Inner Loop Header: Depth=1
	ds_load_2addr_b64 v[146:149], v145 offset1:1
	s_waitcnt lgkmcnt(1)
	v_cmp_gt_f64_e32 vcc_lo, 0, v[136:137]
	v_xor_b32_e32 v48, 0x80000000, v137
	v_cmp_gt_f64_e64 s2, 0, v[138:139]
	v_xor_b32_e32 v50, 0x80000000, v139
	v_add_nc_u32_e32 v145, 16, v145
	s_waitcnt lgkmcnt(0)
	v_cmp_gt_f64_e64 s3, 0, v[146:147]
	v_mov_b32_e32 v52, v146
	v_dual_mov_b32 v54, v148 :: v_dual_cndmask_b32 v49, v137, v48
	v_xor_b32_e32 v48, 0x80000000, v147
	v_cndmask_b32_e64 v51, v139, v50, s2
	v_xor_b32_e32 v50, 0x80000000, v149
	s_delay_alu instid0(VALU_DEP_3) | instskip(SKIP_2) | instid1(VALU_DEP_2)
	v_cndmask_b32_e64 v53, v147, v48, s3
	v_cmp_gt_f64_e64 s3, 0, v[148:149]
	v_cndmask_b32_e32 v48, v136, v136, vcc_lo
	v_cndmask_b32_e64 v55, v149, v50, s3
	v_cndmask_b32_e64 v50, v138, v138, s2
	s_delay_alu instid0(VALU_DEP_2) | instskip(NEXT) | instid1(VALU_DEP_2)
	v_add_f64 v[52:53], v[52:53], v[54:55]
	v_add_f64 v[48:49], v[48:49], v[50:51]
	s_delay_alu instid0(VALU_DEP_1)
	v_cmp_lt_f64_e32 vcc_lo, v[48:49], v[52:53]
	v_cndmask_b32_e32 v139, v139, v149, vcc_lo
	v_dual_cndmask_b32 v137, v137, v147 :: v_dual_cndmask_b32 v136, v136, v146
	v_cndmask_b32_e32 v138, v138, v148, vcc_lo
	v_cndmask_b32_e64 v144, v144, s6, vcc_lo
	s_add_i32 s6, s6, 1
	s_delay_alu instid0(SALU_CYCLE_1)
	s_cmp_lg_u32 s5, s6
	s_cbranch_scc1 .LBB66_694
.LBB66_695:
	s_set_inst_prefetch_distance 0x2
	s_waitcnt lgkmcnt(0)
	v_cmp_eq_f64_e32 vcc_lo, 0, v[136:137]
	v_cmp_eq_f64_e64 s2, 0, v[138:139]
	s_delay_alu instid0(VALU_DEP_1) | instskip(NEXT) | instid1(SALU_CYCLE_1)
	s_and_b32 s2, vcc_lo, s2
	s_and_saveexec_b32 s3, s2
	s_delay_alu instid0(SALU_CYCLE_1)
	s_xor_b32 s2, exec_lo, s3
; %bb.696:
	v_cmp_ne_u32_e32 vcc_lo, 0, v255
	v_cndmask_b32_e32 v255, 34, v255, vcc_lo
; %bb.697:
	s_and_not1_saveexec_b32 s3, s2
	s_cbranch_execz .LBB66_703
; %bb.698:
	v_cmp_gt_f64_e32 vcc_lo, 0, v[136:137]
	v_cmp_gt_f64_e64 s2, 0, v[138:139]
	v_xor_b32_e32 v48, 0x80000000, v137
	v_xor_b32_e32 v50, 0x80000000, v139
	s_delay_alu instid0(VALU_DEP_2) | instskip(NEXT) | instid1(VALU_DEP_2)
	v_cndmask_b32_e32 v49, v137, v48, vcc_lo
	v_cndmask_b32_e64 v51, v139, v50, s2
	v_cndmask_b32_e32 v48, v136, v136, vcc_lo
	v_cndmask_b32_e64 v50, v138, v138, s2
	s_mov_b32 s2, exec_lo
	s_delay_alu instid0(VALU_DEP_1)
	v_cmpx_ngt_f64_e32 v[48:49], v[50:51]
	s_xor_b32 s2, exec_lo, s2
	s_cbranch_execz .LBB66_700
; %bb.699:
	v_div_scale_f64 v[48:49], null, v[138:139], v[138:139], v[136:137]
	v_div_scale_f64 v[54:55], vcc_lo, v[136:137], v[138:139], v[136:137]
	s_delay_alu instid0(VALU_DEP_2) | instskip(SKIP_2) | instid1(VALU_DEP_1)
	v_rcp_f64_e32 v[50:51], v[48:49]
	s_waitcnt_depctr 0xfff
	v_fma_f64 v[52:53], -v[48:49], v[50:51], 1.0
	v_fma_f64 v[50:51], v[50:51], v[52:53], v[50:51]
	s_delay_alu instid0(VALU_DEP_1) | instskip(NEXT) | instid1(VALU_DEP_1)
	v_fma_f64 v[52:53], -v[48:49], v[50:51], 1.0
	v_fma_f64 v[50:51], v[50:51], v[52:53], v[50:51]
	s_delay_alu instid0(VALU_DEP_1) | instskip(NEXT) | instid1(VALU_DEP_1)
	v_mul_f64 v[52:53], v[54:55], v[50:51]
	v_fma_f64 v[48:49], -v[48:49], v[52:53], v[54:55]
	s_delay_alu instid0(VALU_DEP_1) | instskip(NEXT) | instid1(VALU_DEP_1)
	v_div_fmas_f64 v[48:49], v[48:49], v[50:51], v[52:53]
	v_div_fixup_f64 v[48:49], v[48:49], v[138:139], v[136:137]
	s_delay_alu instid0(VALU_DEP_1) | instskip(NEXT) | instid1(VALU_DEP_1)
	v_fma_f64 v[50:51], v[136:137], v[48:49], v[138:139]
	v_div_scale_f64 v[52:53], null, v[50:51], v[50:51], 1.0
	s_delay_alu instid0(VALU_DEP_1) | instskip(SKIP_2) | instid1(VALU_DEP_1)
	v_rcp_f64_e32 v[54:55], v[52:53]
	s_waitcnt_depctr 0xfff
	v_fma_f64 v[104:105], -v[52:53], v[54:55], 1.0
	v_fma_f64 v[54:55], v[54:55], v[104:105], v[54:55]
	s_delay_alu instid0(VALU_DEP_1) | instskip(NEXT) | instid1(VALU_DEP_1)
	v_fma_f64 v[104:105], -v[52:53], v[54:55], 1.0
	v_fma_f64 v[54:55], v[54:55], v[104:105], v[54:55]
	v_div_scale_f64 v[104:105], vcc_lo, 1.0, v[50:51], 1.0
	s_delay_alu instid0(VALU_DEP_1) | instskip(NEXT) | instid1(VALU_DEP_1)
	v_mul_f64 v[106:107], v[104:105], v[54:55]
	v_fma_f64 v[52:53], -v[52:53], v[106:107], v[104:105]
	s_delay_alu instid0(VALU_DEP_1) | instskip(NEXT) | instid1(VALU_DEP_1)
	v_div_fmas_f64 v[52:53], v[52:53], v[54:55], v[106:107]
	v_div_fixup_f64 v[138:139], v[52:53], v[50:51], 1.0
	s_delay_alu instid0(VALU_DEP_1)
	v_mul_f64 v[136:137], v[48:49], v[138:139]
	v_xor_b32_e32 v139, 0x80000000, v139
.LBB66_700:
	s_and_not1_saveexec_b32 s2, s2
	s_cbranch_execz .LBB66_702
; %bb.701:
	s_delay_alu instid0(VALU_DEP_1) | instskip(SKIP_1) | instid1(VALU_DEP_2)
	v_div_scale_f64 v[48:49], null, v[136:137], v[136:137], v[138:139]
	v_div_scale_f64 v[54:55], vcc_lo, v[138:139], v[136:137], v[138:139]
	v_rcp_f64_e32 v[50:51], v[48:49]
	s_waitcnt_depctr 0xfff
	v_fma_f64 v[52:53], -v[48:49], v[50:51], 1.0
	s_delay_alu instid0(VALU_DEP_1) | instskip(NEXT) | instid1(VALU_DEP_1)
	v_fma_f64 v[50:51], v[50:51], v[52:53], v[50:51]
	v_fma_f64 v[52:53], -v[48:49], v[50:51], 1.0
	s_delay_alu instid0(VALU_DEP_1) | instskip(NEXT) | instid1(VALU_DEP_1)
	v_fma_f64 v[50:51], v[50:51], v[52:53], v[50:51]
	v_mul_f64 v[52:53], v[54:55], v[50:51]
	s_delay_alu instid0(VALU_DEP_1) | instskip(NEXT) | instid1(VALU_DEP_1)
	v_fma_f64 v[48:49], -v[48:49], v[52:53], v[54:55]
	v_div_fmas_f64 v[48:49], v[48:49], v[50:51], v[52:53]
	s_delay_alu instid0(VALU_DEP_1) | instskip(NEXT) | instid1(VALU_DEP_1)
	v_div_fixup_f64 v[48:49], v[48:49], v[136:137], v[138:139]
	v_fma_f64 v[50:51], v[138:139], v[48:49], v[136:137]
	s_delay_alu instid0(VALU_DEP_1) | instskip(NEXT) | instid1(VALU_DEP_1)
	v_div_scale_f64 v[52:53], null, v[50:51], v[50:51], 1.0
	v_rcp_f64_e32 v[54:55], v[52:53]
	s_waitcnt_depctr 0xfff
	v_fma_f64 v[104:105], -v[52:53], v[54:55], 1.0
	s_delay_alu instid0(VALU_DEP_1) | instskip(NEXT) | instid1(VALU_DEP_1)
	v_fma_f64 v[54:55], v[54:55], v[104:105], v[54:55]
	v_fma_f64 v[104:105], -v[52:53], v[54:55], 1.0
	s_delay_alu instid0(VALU_DEP_1) | instskip(SKIP_1) | instid1(VALU_DEP_1)
	v_fma_f64 v[54:55], v[54:55], v[104:105], v[54:55]
	v_div_scale_f64 v[104:105], vcc_lo, 1.0, v[50:51], 1.0
	v_mul_f64 v[106:107], v[104:105], v[54:55]
	s_delay_alu instid0(VALU_DEP_1) | instskip(NEXT) | instid1(VALU_DEP_1)
	v_fma_f64 v[52:53], -v[52:53], v[106:107], v[104:105]
	v_div_fmas_f64 v[52:53], v[52:53], v[54:55], v[106:107]
	s_delay_alu instid0(VALU_DEP_1) | instskip(NEXT) | instid1(VALU_DEP_1)
	v_div_fixup_f64 v[136:137], v[52:53], v[50:51], 1.0
	v_mul_f64 v[138:139], v[48:49], -v[136:137]
.LBB66_702:
	s_or_b32 exec_lo, exec_lo, s2
.LBB66_703:
	s_delay_alu instid0(SALU_CYCLE_1)
	s_or_b32 exec_lo, exec_lo, s3
	v_mov_b32_e32 v145, 33
	s_mov_b32 s2, exec_lo
	v_cmpx_ne_u32_e64 v178, v144
	s_cbranch_execz .LBB66_709
; %bb.704:
	s_mov_b32 s3, exec_lo
	v_cmpx_eq_u32_e32 33, v178
	s_cbranch_execz .LBB66_708
; %bb.705:
	v_cmp_ne_u32_e32 vcc_lo, 33, v144
	s_xor_b32 s4, s4, -1
	s_delay_alu instid0(SALU_CYCLE_1) | instskip(NEXT) | instid1(SALU_CYCLE_1)
	s_and_b32 s5, s4, vcc_lo
	s_and_saveexec_b32 s4, s5
	s_cbranch_execz .LBB66_707
; %bb.706:
	scratch_load_b64 v[52:53], off, off offset:32 ; 8-byte Folded Reload
	v_ashrrev_i32_e32 v145, 31, v144
	s_delay_alu instid0(VALU_DEP_1) | instskip(SKIP_1) | instid1(VALU_DEP_1)
	v_lshlrev_b64 v[48:49], 2, v[144:145]
	s_waitcnt vmcnt(0)
	v_add_co_u32 v48, vcc_lo, v52, v48
	s_delay_alu instid0(VALU_DEP_2)
	v_add_co_ci_u32_e32 v49, vcc_lo, v53, v49, vcc_lo
	s_clause 0x1
	flat_load_b32 v50, v[48:49]
	flat_load_b32 v51, v[52:53] offset:132
	s_waitcnt vmcnt(1) lgkmcnt(1)
	flat_store_b32 v[52:53], v50 offset:132
	s_waitcnt vmcnt(0) lgkmcnt(1)
	flat_store_b32 v[48:49], v51
.LBB66_707:
	s_or_b32 exec_lo, exec_lo, s4
	v_mov_b32_e32 v178, v144
	v_mov_b32_e32 v172, v144
.LBB66_708:
	s_or_b32 exec_lo, exec_lo, s3
	s_delay_alu instid0(VALU_DEP_2)
	v_mov_b32_e32 v145, v178
.LBB66_709:
	s_or_b32 exec_lo, exec_lo, s2
	s_delay_alu instid0(SALU_CYCLE_1)
	s_mov_b32 s2, exec_lo
	s_waitcnt lgkmcnt(0)
	s_waitcnt_vscnt null, 0x0
	s_barrier
	buffer_gl0_inv
	v_cmpx_lt_i32_e32 33, v145
; %bb.710:
	v_mul_f64 v[48:49], v[138:139], v[245:246]
	v_mul_f64 v[2:3], v[136:137], v[245:246]
	s_delay_alu instid0(VALU_DEP_2) | instskip(NEXT) | instid1(VALU_DEP_2)
	v_fma_f64 v[48:49], v[136:137], v[243:244], -v[48:49]
	v_fma_f64 v[245:246], v[138:139], v[243:244], v[2:3]
	s_delay_alu instid0(VALU_DEP_2)
	v_dual_mov_b32 v244, v49 :: v_dual_mov_b32 v243, v48
; %bb.711:
	s_or_b32 exec_lo, exec_lo, s2
	s_load_b256 s[0:7], s[0:1], 0x28
	v_ashrrev_i32_e32 v146, 31, v145
	s_mov_b32 s9, exec_lo
	s_waitcnt lgkmcnt(0)
	s_barrier
	buffer_gl0_inv
	v_cmpx_gt_i32_e32 34, v145
	s_cbranch_execz .LBB66_713
; %bb.712:
	scratch_load_b64 v[0:1], off, off offset:72 ; 8-byte Folded Reload
	s_lshl_b64 s[2:3], s[2:3], 2
	s_delay_alu instid0(SALU_CYCLE_1)
	s_add_u32 s0, s2, s0
	s_addc_u32 s1, s3, s1
	s_waitcnt vmcnt(0)
	v_mul_lo_u32 v50, v1, s4
	v_mul_lo_u32 v51, v0, s5
	v_mad_u64_u32 v[48:49], null, v0, s4, 0
	s_delay_alu instid0(VALU_DEP_1) | instskip(SKIP_1) | instid1(VALU_DEP_2)
	v_add3_u32 v49, v49, v51, v50
	v_lshlrev_b64 v[50:51], 2, v[145:146]
	v_lshlrev_b64 v[48:49], 2, v[48:49]
	s_delay_alu instid0(VALU_DEP_1) | instskip(NEXT) | instid1(VALU_DEP_2)
	v_add_co_u32 v48, vcc_lo, s0, v48
	v_add_co_ci_u32_e32 v49, vcc_lo, s1, v49, vcc_lo
	s_delay_alu instid0(VALU_DEP_2) | instskip(NEXT) | instid1(VALU_DEP_2)
	v_add_co_u32 v48, vcc_lo, v48, v50
	v_add_co_ci_u32_e32 v49, vcc_lo, v49, v51, vcc_lo
	v_add3_u32 v50, v172, s13, 1
	global_store_b32 v[48:49], v50, off
.LBB66_713:
	s_or_b32 exec_lo, exec_lo, s9
	s_delay_alu instid0(SALU_CYCLE_1)
	s_mov_b32 s1, exec_lo
	v_cmpx_eq_u32_e32 0, v145
	s_cbranch_execz .LBB66_716
; %bb.714:
	scratch_load_b64 v[0:1], off, off offset:72 ; 8-byte Folded Reload
	v_cmp_lt_i32_e64 s0, 0, v255
	s_waitcnt vmcnt(0)
	v_lshlrev_b64 v[48:49], 2, v[0:1]
	s_delay_alu instid0(VALU_DEP_1) | instskip(NEXT) | instid1(VALU_DEP_2)
	v_add_co_u32 v136, vcc_lo, s6, v48
	v_add_co_ci_u32_e32 v137, vcc_lo, s7, v49, vcc_lo
	global_load_b32 v48, v[136:137], off
	s_waitcnt vmcnt(0)
	v_cmp_eq_u32_e32 vcc_lo, 0, v48
	s_and_b32 s0, vcc_lo, s0
	s_delay_alu instid0(SALU_CYCLE_1)
	s_and_b32 exec_lo, exec_lo, s0
	s_cbranch_execz .LBB66_716
; %bb.715:
	v_add_nc_u32_e32 v48, s13, v255
	global_store_b32 v[136:137], v48, off
.LBB66_716:
	s_or_b32 exec_lo, exec_lo, s1
	s_clause 0x2
	scratch_load_b128 v[104:107], off, off offset:56
	scratch_load_b128 v[100:103], off, off offset:40
	;; [unrolled: 1-line block ×3, first 2 shown]
	v_add3_u32 v48, s8, s8, v145
	v_lshlrev_b64 v[50:51], 4, v[145:146]
	s_delay_alu instid0(VALU_DEP_2) | instskip(SKIP_1) | instid1(VALU_DEP_3)
	v_add_nc_u32_e32 v52, s8, v48
	v_ashrrev_i32_e32 v49, 31, v48
	v_add_co_u32 v50, vcc_lo, v177, v50
	s_delay_alu instid0(VALU_DEP_4) | instskip(NEXT) | instid1(VALU_DEP_4)
	v_add_co_ci_u32_e32 v51, vcc_lo, v173, v51, vcc_lo
	v_ashrrev_i32_e32 v53, 31, v52
	s_delay_alu instid0(VALU_DEP_3) | instskip(NEXT) | instid1(VALU_DEP_3)
	v_add_co_u32 v54, vcc_lo, v50, s10
	v_add_co_ci_u32_e32 v55, vcc_lo, s11, v51, vcc_lo
	v_lshlrev_b64 v[48:49], 4, v[48:49]
	s_delay_alu instid0(VALU_DEP_1) | instskip(NEXT) | instid1(VALU_DEP_2)
	v_add_co_u32 v48, vcc_lo, v177, v48
	v_add_co_ci_u32_e32 v49, vcc_lo, v173, v49, vcc_lo
	s_waitcnt vmcnt(2)
	global_store_b128 v[50:51], v[104:107], off
	v_lshlrev_b64 v[50:51], 4, v[52:53]
	v_add_nc_u32_e32 v52, s8, v52
	s_waitcnt vmcnt(1)
	global_store_b128 v[54:55], v[100:103], off
	v_add_nc_u32_e32 v54, s8, v52
	v_ashrrev_i32_e32 v53, 31, v52
	v_add_co_u32 v50, vcc_lo, v177, v50
	v_add_co_ci_u32_e32 v51, vcc_lo, v173, v51, vcc_lo
	s_delay_alu instid0(VALU_DEP_4)
	v_add_nc_u32_e32 v104, s8, v54
	v_ashrrev_i32_e32 v55, 31, v54
	v_lshlrev_b64 v[52:53], 4, v[52:53]
	s_waitcnt vmcnt(0)
	s_clause 0x1
	global_store_b128 v[48:49], v[0:3], off
	global_store_b128 v[50:51], v[108:111], off
	v_ashrrev_i32_e32 v105, 31, v104
	v_lshlrev_b64 v[48:49], 4, v[54:55]
	v_add_nc_u32_e32 v54, s8, v104
	v_add_co_u32 v50, vcc_lo, v177, v52
	v_add_co_ci_u32_e32 v51, vcc_lo, v173, v53, vcc_lo
	v_lshlrev_b64 v[52:53], 4, v[104:105]
	s_delay_alu instid0(VALU_DEP_4)
	v_add_nc_u32_e32 v104, s8, v54
	v_add_co_u32 v48, vcc_lo, v177, v48
	v_ashrrev_i32_e32 v55, 31, v54
	v_add_co_ci_u32_e32 v49, vcc_lo, v173, v49, vcc_lo
	v_add_co_u32 v52, vcc_lo, v177, v52
	v_ashrrev_i32_e32 v105, 31, v104
	v_add_co_ci_u32_e32 v53, vcc_lo, v173, v53, vcc_lo
	global_store_b128 v[50:51], v[132:135], off
	v_lshlrev_b64 v[50:51], 4, v[54:55]
	s_clause 0x1
	global_store_b128 v[48:49], v[247:250], off
	global_store_b128 v[52:53], v[120:123], off
	v_lshlrev_b64 v[48:49], 4, v[104:105]
	v_add_nc_u32_e32 v52, s8, v104
	v_add_co_u32 v50, vcc_lo, v177, v50
	v_add_co_ci_u32_e32 v51, vcc_lo, v173, v51, vcc_lo
	s_delay_alu instid0(VALU_DEP_4)
	v_add_co_u32 v48, vcc_lo, v177, v48
	v_add_co_ci_u32_e32 v49, vcc_lo, v173, v49, vcc_lo
	s_clause 0x1
	global_store_b128 v[50:51], v[88:91], off
	global_store_b128 v[48:49], v[251:254], off
	scratch_load_b128 v[0:3], off, off      ; 16-byte Folded Reload
	v_add_nc_u32_e32 v54, s8, v52
	v_ashrrev_i32_e32 v53, 31, v52
	s_delay_alu instid0(VALU_DEP_2) | instskip(SKIP_1) | instid1(VALU_DEP_3)
	v_add_nc_u32_e32 v100, s8, v54
	v_ashrrev_i32_e32 v55, 31, v54
	v_lshlrev_b64 v[52:53], 4, v[52:53]
	s_delay_alu instid0(VALU_DEP_3) | instskip(NEXT) | instid1(VALU_DEP_3)
	v_ashrrev_i32_e32 v101, 31, v100
	v_lshlrev_b64 v[48:49], 4, v[54:55]
	v_add_nc_u32_e32 v54, s8, v100
	s_delay_alu instid0(VALU_DEP_4)
	v_add_co_u32 v50, vcc_lo, v177, v52
	v_add_co_ci_u32_e32 v51, vcc_lo, v173, v53, vcc_lo
	v_lshlrev_b64 v[52:53], 4, v[100:101]
	v_add_co_u32 v48, vcc_lo, v177, v48
	v_add_co_ci_u32_e32 v49, vcc_lo, v173, v49, vcc_lo
	v_add_nc_u32_e32 v88, s8, v54
	s_delay_alu instid0(VALU_DEP_4) | instskip(SKIP_2) | instid1(VALU_DEP_4)
	v_add_co_u32 v52, vcc_lo, v177, v52
	v_add_co_ci_u32_e32 v53, vcc_lo, v173, v53, vcc_lo
	v_ashrrev_i32_e32 v55, 31, v54
	v_ashrrev_i32_e32 v89, 31, v88
	s_waitcnt vmcnt(0)
	s_clause 0x2
	global_store_b128 v[50:51], v[0:3], off
	global_store_b128 v[48:49], v[116:119], off
	;; [unrolled: 1-line block ×3, first 2 shown]
	v_add_nc_u32_e32 v52, s8, v88
	v_lshlrev_b64 v[50:51], 4, v[54:55]
	v_lshlrev_b64 v[48:49], 4, v[88:89]
	s_delay_alu instid0(VALU_DEP_3) | instskip(SKIP_1) | instid1(VALU_DEP_4)
	v_add_nc_u32_e32 v54, s8, v52
	v_ashrrev_i32_e32 v53, 31, v52
	v_add_co_u32 v50, vcc_lo, v177, v50
	v_add_co_ci_u32_e32 v51, vcc_lo, v173, v51, vcc_lo
	s_delay_alu instid0(VALU_DEP_4)
	v_add_nc_u32_e32 v88, s8, v54
	v_add_co_u32 v48, vcc_lo, v177, v48
	v_ashrrev_i32_e32 v55, 31, v54
	v_lshlrev_b64 v[52:53], 4, v[52:53]
	v_add_co_ci_u32_e32 v49, vcc_lo, v173, v49, vcc_lo
	v_ashrrev_i32_e32 v89, 31, v88
	s_clause 0x1
	global_store_b128 v[50:51], v[96:99], off
	global_store_b128 v[48:49], v[92:95], off
	v_lshlrev_b64 v[48:49], 4, v[54:55]
	v_add_co_u32 v50, vcc_lo, v177, v52
	v_add_co_ci_u32_e32 v51, vcc_lo, v173, v53, vcc_lo
	v_lshlrev_b64 v[52:53], 4, v[88:89]
	v_add_nc_u32_e32 v54, s8, v88
	v_add_co_u32 v48, vcc_lo, v177, v48
	v_add_co_ci_u32_e32 v49, vcc_lo, v173, v49, vcc_lo
	s_delay_alu instid0(VALU_DEP_4) | instskip(NEXT) | instid1(VALU_DEP_4)
	v_add_co_u32 v52, vcc_lo, v177, v52
	v_add_nc_u32_e32 v88, s8, v54
	v_add_co_ci_u32_e32 v53, vcc_lo, v173, v53, vcc_lo
	v_ashrrev_i32_e32 v55, 31, v54
	global_store_b128 v[50:51], v[84:87], off
	v_ashrrev_i32_e32 v89, 31, v88
	s_clause 0x1
	global_store_b128 v[48:49], v[80:83], off
	global_store_b128 v[52:53], v[76:79], off
	v_add_nc_u32_e32 v52, s8, v88
	v_lshlrev_b64 v[50:51], 4, v[54:55]
	v_lshlrev_b64 v[48:49], 4, v[88:89]
	s_delay_alu instid0(VALU_DEP_3) | instskip(SKIP_1) | instid1(VALU_DEP_4)
	v_add_nc_u32_e32 v54, s8, v52
	v_ashrrev_i32_e32 v53, 31, v52
	v_add_co_u32 v50, vcc_lo, v177, v50
	v_add_co_ci_u32_e32 v51, vcc_lo, v173, v51, vcc_lo
	s_delay_alu instid0(VALU_DEP_4)
	v_add_nc_u32_e32 v76, s8, v54
	v_add_co_u32 v48, vcc_lo, v177, v48
	v_ashrrev_i32_e32 v55, 31, v54
	v_lshlrev_b64 v[52:53], 4, v[52:53]
	v_add_co_ci_u32_e32 v49, vcc_lo, v173, v49, vcc_lo
	v_ashrrev_i32_e32 v77, 31, v76
	s_clause 0x1
	global_store_b128 v[50:51], v[72:75], off
	global_store_b128 v[48:49], v[68:71], off
	v_lshlrev_b64 v[48:49], 4, v[54:55]
	v_add_co_u32 v50, vcc_lo, v177, v52
	v_add_co_ci_u32_e32 v51, vcc_lo, v173, v53, vcc_lo
	v_lshlrev_b64 v[52:53], 4, v[76:77]
	v_add_nc_u32_e32 v54, s8, v76
	v_add_co_u32 v48, vcc_lo, v177, v48
	v_add_co_ci_u32_e32 v49, vcc_lo, v173, v49, vcc_lo
	s_delay_alu instid0(VALU_DEP_4) | instskip(NEXT) | instid1(VALU_DEP_4)
	v_add_co_u32 v52, vcc_lo, v177, v52
	v_add_nc_u32_e32 v68, s8, v54
	v_add_co_ci_u32_e32 v53, vcc_lo, v173, v53, vcc_lo
	v_ashrrev_i32_e32 v55, 31, v54
	global_store_b128 v[50:51], v[64:67], off
	v_ashrrev_i32_e32 v69, 31, v68
	s_clause 0x1
	global_store_b128 v[48:49], v[60:63], off
	global_store_b128 v[52:53], v[56:59], off
	v_add_nc_u32_e32 v52, s8, v68
	v_lshlrev_b64 v[50:51], 4, v[54:55]
	v_lshlrev_b64 v[48:49], 4, v[68:69]
	s_delay_alu instid0(VALU_DEP_3) | instskip(SKIP_1) | instid1(VALU_DEP_4)
	v_add_nc_u32_e32 v54, s8, v52
	v_ashrrev_i32_e32 v53, 31, v52
	v_add_co_u32 v50, vcc_lo, v177, v50
	v_add_co_ci_u32_e32 v51, vcc_lo, v173, v51, vcc_lo
	s_delay_alu instid0(VALU_DEP_4)
	v_add_nc_u32_e32 v56, s8, v54
	v_add_co_u32 v48, vcc_lo, v177, v48
	v_ashrrev_i32_e32 v55, 31, v54
	v_add_co_ci_u32_e32 v49, vcc_lo, v173, v49, vcc_lo
	v_lshlrev_b64 v[52:53], 4, v[52:53]
	v_ashrrev_i32_e32 v57, 31, v56
	s_clause 0x1
	global_store_b128 v[50:51], v[44:47], off
	global_store_b128 v[48:49], v[40:43], off
	v_lshlrev_b64 v[40:41], 4, v[54:55]
	v_add_nc_u32_e32 v46, s8, v56
	v_add_co_u32 v42, vcc_lo, v177, v52
	v_lshlrev_b64 v[44:45], 4, v[56:57]
	v_add_co_ci_u32_e32 v43, vcc_lo, v173, v53, vcc_lo
	v_add_co_u32 v40, vcc_lo, v177, v40
	v_add_nc_u32_e32 v48, s8, v46
	v_add_co_ci_u32_e32 v41, vcc_lo, v173, v41, vcc_lo
	v_ashrrev_i32_e32 v47, 31, v46
	v_add_co_u32 v44, vcc_lo, v177, v44
	v_add_co_ci_u32_e32 v45, vcc_lo, v173, v45, vcc_lo
	v_ashrrev_i32_e32 v49, 31, v48
	global_store_b128 v[42:43], v[36:39], off
	v_lshlrev_b64 v[36:37], 4, v[46:47]
	s_clause 0x1
	global_store_b128 v[40:41], v[32:35], off
	global_store_b128 v[44:45], v[28:31], off
	v_add_nc_u32_e32 v30, s8, v48
	v_lshlrev_b64 v[28:29], 4, v[48:49]
	v_add_co_u32 v32, vcc_lo, v177, v36
	s_delay_alu instid0(VALU_DEP_3) | instskip(SKIP_1) | instid1(VALU_DEP_4)
	v_add_nc_u32_e32 v34, s8, v30
	v_add_co_ci_u32_e32 v33, vcc_lo, v173, v37, vcc_lo
	v_add_co_u32 v28, vcc_lo, v177, v28
	v_add_co_ci_u32_e32 v29, vcc_lo, v173, v29, vcc_lo
	s_delay_alu instid0(VALU_DEP_4)
	v_add_nc_u32_e32 v36, s8, v34
	v_ashrrev_i32_e32 v31, 31, v30
	s_clause 0x1
	global_store_b128 v[32:33], v[24:27], off
	global_store_b128 v[28:29], v[20:23], off
	v_ashrrev_i32_e32 v35, 31, v34
	v_add_nc_u32_e32 v22, s8, v36
	v_lshlrev_b64 v[24:25], 4, v[30:31]
	v_ashrrev_i32_e32 v37, 31, v36
	s_delay_alu instid0(VALU_DEP_4) | instskip(NEXT) | instid1(VALU_DEP_4)
	v_lshlrev_b64 v[20:21], 4, v[34:35]
	v_add_nc_u32_e32 v28, s8, v22
	v_ashrrev_i32_e32 v23, 31, v22
	v_add_co_u32 v24, vcc_lo, v177, v24
	v_lshlrev_b64 v[26:27], 4, v[36:37]
	s_delay_alu instid0(VALU_DEP_4)
	v_ashrrev_i32_e32 v29, 31, v28
	v_add_co_ci_u32_e32 v25, vcc_lo, v173, v25, vcc_lo
	v_add_co_u32 v20, vcc_lo, v177, v20
	v_lshlrev_b64 v[22:23], 4, v[22:23]
	v_add_co_ci_u32_e32 v21, vcc_lo, v173, v21, vcc_lo
	v_add_co_u32 v26, vcc_lo, v177, v26
	v_lshlrev_b64 v[28:29], 4, v[28:29]
	v_add_co_ci_u32_e32 v27, vcc_lo, v173, v27, vcc_lo
	v_add_co_u32 v22, vcc_lo, v177, v22
	v_add_co_ci_u32_e32 v23, vcc_lo, v173, v23, vcc_lo
	s_delay_alu instid0(VALU_DEP_4)
	v_add_co_u32 v28, vcc_lo, v177, v28
	v_add_co_ci_u32_e32 v29, vcc_lo, v173, v29, vcc_lo
	s_clause 0x4
	global_store_b128 v[24:25], v[16:19], off
	global_store_b128 v[20:21], v[12:15], off
	;; [unrolled: 1-line block ×5, first 2 shown]
.LBB66_717:
	s_nop 0
	s_sendmsg sendmsg(MSG_DEALLOC_VGPRS)
	s_endpgm
	.section	.rodata,"a",@progbits
	.p2align	6, 0x0
	.amdhsa_kernel _ZN9rocsolver6v33100L18getf2_small_kernelILi34E19rocblas_complex_numIdEiiPKPS3_EEvT1_T3_lS7_lPS7_llPT2_S7_S7_S9_l
		.amdhsa_group_segment_fixed_size 0
		.amdhsa_private_segment_fixed_size 152
		.amdhsa_kernarg_size 352
		.amdhsa_user_sgpr_count 14
		.amdhsa_user_sgpr_dispatch_ptr 0
		.amdhsa_user_sgpr_queue_ptr 0
		.amdhsa_user_sgpr_kernarg_segment_ptr 1
		.amdhsa_user_sgpr_dispatch_id 0
		.amdhsa_user_sgpr_private_segment_size 0
		.amdhsa_wavefront_size32 1
		.amdhsa_uses_dynamic_stack 0
		.amdhsa_enable_private_segment 1
		.amdhsa_system_sgpr_workgroup_id_x 1
		.amdhsa_system_sgpr_workgroup_id_y 1
		.amdhsa_system_sgpr_workgroup_id_z 0
		.amdhsa_system_sgpr_workgroup_info 0
		.amdhsa_system_vgpr_workitem_id 1
		.amdhsa_next_free_vgpr 256
		.amdhsa_next_free_sgpr 16
		.amdhsa_reserve_vcc 1
		.amdhsa_float_round_mode_32 0
		.amdhsa_float_round_mode_16_64 0
		.amdhsa_float_denorm_mode_32 3
		.amdhsa_float_denorm_mode_16_64 3
		.amdhsa_dx10_clamp 1
		.amdhsa_ieee_mode 1
		.amdhsa_fp16_overflow 0
		.amdhsa_workgroup_processor_mode 1
		.amdhsa_memory_ordered 1
		.amdhsa_forward_progress 0
		.amdhsa_shared_vgpr_count 0
		.amdhsa_exception_fp_ieee_invalid_op 0
		.amdhsa_exception_fp_denorm_src 0
		.amdhsa_exception_fp_ieee_div_zero 0
		.amdhsa_exception_fp_ieee_overflow 0
		.amdhsa_exception_fp_ieee_underflow 0
		.amdhsa_exception_fp_ieee_inexact 0
		.amdhsa_exception_int_div_zero 0
	.end_amdhsa_kernel
	.section	.text._ZN9rocsolver6v33100L18getf2_small_kernelILi34E19rocblas_complex_numIdEiiPKPS3_EEvT1_T3_lS7_lPS7_llPT2_S7_S7_S9_l,"axG",@progbits,_ZN9rocsolver6v33100L18getf2_small_kernelILi34E19rocblas_complex_numIdEiiPKPS3_EEvT1_T3_lS7_lPS7_llPT2_S7_S7_S9_l,comdat
.Lfunc_end66:
	.size	_ZN9rocsolver6v33100L18getf2_small_kernelILi34E19rocblas_complex_numIdEiiPKPS3_EEvT1_T3_lS7_lPS7_llPT2_S7_S7_S9_l, .Lfunc_end66-_ZN9rocsolver6v33100L18getf2_small_kernelILi34E19rocblas_complex_numIdEiiPKPS3_EEvT1_T3_lS7_lPS7_llPT2_S7_S7_S9_l
                                        ; -- End function
	.section	.AMDGPU.csdata,"",@progbits
; Kernel info:
; codeLenInByte = 87480
; NumSgprs: 18
; NumVgprs: 256
; ScratchSize: 152
; MemoryBound: 0
; FloatMode: 240
; IeeeMode: 1
; LDSByteSize: 0 bytes/workgroup (compile time only)
; SGPRBlocks: 2
; VGPRBlocks: 31
; NumSGPRsForWavesPerEU: 18
; NumVGPRsForWavesPerEU: 256
; Occupancy: 5
; WaveLimiterHint : 1
; COMPUTE_PGM_RSRC2:SCRATCH_EN: 1
; COMPUTE_PGM_RSRC2:USER_SGPR: 14
; COMPUTE_PGM_RSRC2:TRAP_HANDLER: 0
; COMPUTE_PGM_RSRC2:TGID_X_EN: 1
; COMPUTE_PGM_RSRC2:TGID_Y_EN: 1
; COMPUTE_PGM_RSRC2:TGID_Z_EN: 0
; COMPUTE_PGM_RSRC2:TIDIG_COMP_CNT: 1
	.section	.text._ZN9rocsolver6v33100L23getf2_npvt_small_kernelILi34E19rocblas_complex_numIdEiiPKPS3_EEvT1_T3_lS7_lPT2_S7_S7_,"axG",@progbits,_ZN9rocsolver6v33100L23getf2_npvt_small_kernelILi34E19rocblas_complex_numIdEiiPKPS3_EEvT1_T3_lS7_lPT2_S7_S7_,comdat
	.globl	_ZN9rocsolver6v33100L23getf2_npvt_small_kernelILi34E19rocblas_complex_numIdEiiPKPS3_EEvT1_T3_lS7_lPT2_S7_S7_ ; -- Begin function _ZN9rocsolver6v33100L23getf2_npvt_small_kernelILi34E19rocblas_complex_numIdEiiPKPS3_EEvT1_T3_lS7_lPT2_S7_S7_
	.p2align	8
	.type	_ZN9rocsolver6v33100L23getf2_npvt_small_kernelILi34E19rocblas_complex_numIdEiiPKPS3_EEvT1_T3_lS7_lPT2_S7_S7_,@function
_ZN9rocsolver6v33100L23getf2_npvt_small_kernelILi34E19rocblas_complex_numIdEiiPKPS3_EEvT1_T3_lS7_lPT2_S7_S7_: ; @_ZN9rocsolver6v33100L23getf2_npvt_small_kernelILi34E19rocblas_complex_numIdEiiPKPS3_EEvT1_T3_lS7_lPT2_S7_S7_
; %bb.0:
	s_clause 0x1
	s_load_b32 s2, s[0:1], 0x44
	s_load_b64 s[10:11], s[0:1], 0x30
	v_bfe_u32 v136, v0, 10, 10
	s_waitcnt lgkmcnt(0)
	s_lshr_b32 s8, s2, 16
	s_mov_b32 s2, exec_lo
	s_delay_alu instid0(VALU_DEP_1) | instskip(NEXT) | instid1(VALU_DEP_1)
	v_mad_u64_u32 v[201:202], null, s15, s8, v[136:137]
	v_cmpx_gt_i32_e64 s10, v201
	s_cbranch_execz .LBB67_311
; %bb.1:
	s_clause 0x1
	s_load_b128 s[4:7], s[0:1], 0x8
	s_load_b32 s2, s[0:1], 0x18
	v_ashrrev_i32_e32 v202, 31, v201
	v_and_b32_e32 v158, 0x3ff, v0
	v_lshlrev_b32_e32 v137, 4, v136
	s_mulk_i32 s8, 0x220
	v_mad_u32_u24 v160, 0x220, v136, 0
	v_lshlrev_b64 v[1:2], 3, v[201:202]
	v_lshlrev_b32_e32 v67, 4, v158
	v_add3_u32 v159, 0, s8, v137
	s_waitcnt lgkmcnt(0)
	s_delay_alu instid0(VALU_DEP_3) | instskip(NEXT) | instid1(VALU_DEP_4)
	v_add_co_u32 v1, vcc_lo, s4, v1
	v_add_co_ci_u32_e32 v2, vcc_lo, s5, v2, vcc_lo
	v_add3_u32 v3, s2, s2, v158
	s_lshl_b64 s[6:7], s[6:7], 4
	s_ashr_i32 s3, s2, 31
	global_load_b64 v[1:2], v[1:2], off
	s_lshl_b64 s[4:5], s[2:3], 4
	v_add_nc_u32_e32 v5, s2, v3
	v_ashrrev_i32_e32 v4, 31, v3
	v_cmp_ne_u32_e64 s3, 0, v158
	s_delay_alu instid0(VALU_DEP_3) | instskip(SKIP_1) | instid1(VALU_DEP_4)
	v_add_nc_u32_e32 v7, s2, v5
	v_ashrrev_i32_e32 v6, 31, v5
	v_lshlrev_b64 v[3:4], 4, v[3:4]
	s_delay_alu instid0(VALU_DEP_3) | instskip(SKIP_1) | instid1(VALU_DEP_4)
	v_add_nc_u32_e32 v9, s2, v7
	v_ashrrev_i32_e32 v8, 31, v7
	v_lshlrev_b64 v[5:6], 4, v[5:6]
	;; [unrolled: 4-line block ×30, first 2 shown]
	v_cmp_eq_u32_e64 s2, 0, v158
	s_delay_alu instid0(VALU_DEP_4) | instskip(NEXT) | instid1(VALU_DEP_4)
	v_ashrrev_i32_e32 v66, 31, v65
	v_lshlrev_b64 v[63:64], 4, v[63:64]
	s_waitcnt vmcnt(0)
	v_add_co_u32 v68, vcc_lo, v1, s6
	v_add_co_ci_u32_e32 v2, vcc_lo, s7, v2, vcc_lo
	v_lshlrev_b64 v[0:1], 4, v[65:66]
	s_delay_alu instid0(VALU_DEP_3) | instskip(NEXT) | instid1(VALU_DEP_3)
	v_add_co_u32 v223, vcc_lo, v68, v67
	v_add_co_ci_u32_e32 v224, vcc_lo, 0, v2, vcc_lo
	v_add_co_u32 v225, vcc_lo, v68, v3
	v_add_co_ci_u32_e32 v226, vcc_lo, v2, v4, vcc_lo
	;; [unrolled: 2-line block ×32, first 2 shown]
	v_add_co_u32 v0, vcc_lo, v68, v0
	s_clause 0xa
	global_load_b128 v[124:127], v[225:226], off
	global_load_b128 v[120:123], v[219:220], off
	global_load_b128 v[116:119], v[221:222], off
	global_load_b128 v[112:115], v[215:216], off
	global_load_b128 v[108:111], v[217:218], off
	global_load_b128 v[104:107], v[211:212], off
	global_load_b128 v[100:103], v[213:214], off
	global_load_b128 v[96:99], v[207:208], off
	global_load_b128 v[92:95], v[209:210], off
	global_load_b128 v[88:91], v[203:204], off
	global_load_b128 v[84:87], v[205:206], off
	v_add_co_ci_u32_e32 v1, vcc_lo, v2, v1, vcc_lo
	v_add_co_u32 v238, vcc_lo, v223, s4
	v_add_co_ci_u32_e32 v239, vcc_lo, s5, v224, vcc_lo
	s_clause 0xc
	scratch_store_b64 off, v[71:72], off offset:312
	scratch_store_b64 off, v[65:66], off offset:304
	;; [unrolled: 1-line block ×13, first 2 shown]
	s_clause 0xd
	global_load_b128 v[80:83], v[71:72], off
	global_load_b128 v[76:79], v[65:66], off
	global_load_b128 v[72:75], v[69:70], off
	global_load_b128 v[64:67], v[33:34], off
	global_load_b128 v[68:71], v[31:32], off
	global_load_b128 v[56:59], v[29:30], off
	global_load_b128 v[60:63], v[27:28], off
	global_load_b128 v[48:51], v[25:26], off
	global_load_b128 v[52:55], v[23:24], off
	global_load_b128 v[40:43], v[21:22], off
	global_load_b128 v[44:47], v[19:20], off
	global_load_b128 v[36:39], v[15:16], off
	global_load_b128 v[32:35], v[17:18], off
	global_load_b128 v[28:31], v[161:162], off
	s_clause 0x4
	scratch_store_b64 off, v[13:14], off offset:208
	scratch_store_b64 off, v[9:10], off offset:200
	;; [unrolled: 1-line block ×5, first 2 shown]
	s_clause 0x6
	global_load_b128 v[24:27], v[13:14], off
	global_load_b128 v[16:19], v[11:12], off
	;; [unrolled: 1-line block ×7, first 2 shown]
	s_clause 0x1
	scratch_store_b64 off, v[3:4], off offset:168
	scratch_store_b64 off, v[0:1], off offset:160
	s_clause 0x1
	global_load_b128 v[4:7], v[3:4], off
	global_load_b128 v[0:3], v[0:1], off
	s_and_saveexec_b32 s5, s2
	s_cbranch_execz .LBB67_8
; %bb.2:
	s_waitcnt vmcnt(3)
	ds_store_2addr_b64 v159, v[132:133], v[134:135] offset1:1
	s_waitcnt vmcnt(2)
	ds_store_2addr_b64 v160, v[128:129], v[130:131] offset0:2 offset1:3
	ds_store_2addr_b64 v160, v[124:125], v[126:127] offset0:4 offset1:5
	;; [unrolled: 1-line block ×31, first 2 shown]
	s_waitcnt vmcnt(1)
	ds_store_2addr_b64 v160, v[4:5], v[6:7] offset0:64 offset1:65
	s_waitcnt vmcnt(0)
	ds_store_2addr_b64 v160, v[0:1], v[2:3] offset0:66 offset1:67
	ds_load_2addr_b64 v[136:139], v159 offset1:1
	s_waitcnt lgkmcnt(0)
	v_cmp_neq_f64_e32 vcc_lo, 0, v[136:137]
	v_cmp_neq_f64_e64 s4, 0, v[138:139]
	s_delay_alu instid0(VALU_DEP_1) | instskip(NEXT) | instid1(SALU_CYCLE_1)
	s_or_b32 s4, vcc_lo, s4
	s_and_b32 exec_lo, exec_lo, s4
	s_cbranch_execz .LBB67_8
; %bb.3:
	v_cmp_gt_f64_e32 vcc_lo, 0, v[136:137]
	v_cmp_gt_f64_e64 s4, 0, v[138:139]
	v_xor_b32_e32 v140, 0x80000000, v137
	v_xor_b32_e32 v142, 0x80000000, v139
                                        ; implicit-def: $vgpr144_vgpr145
	s_delay_alu instid0(VALU_DEP_2) | instskip(NEXT) | instid1(VALU_DEP_2)
	v_cndmask_b32_e32 v141, v137, v140, vcc_lo
	v_cndmask_b32_e64 v143, v139, v142, s4
	v_cndmask_b32_e32 v140, v136, v136, vcc_lo
	v_cndmask_b32_e64 v142, v138, v138, s4
	s_mov_b32 s4, exec_lo
	s_delay_alu instid0(VALU_DEP_1)
	v_cmpx_ngt_f64_e32 v[140:141], v[142:143]
	s_xor_b32 s4, exec_lo, s4
                                        ; implicit-def: $vgpr140_vgpr141_vgpr142_vgpr143
	s_cbranch_execz .LBB67_5
; %bb.4:
	v_div_scale_f64 v[140:141], null, v[138:139], v[138:139], v[136:137]
	v_div_scale_f64 v[146:147], vcc_lo, v[136:137], v[138:139], v[136:137]
	s_delay_alu instid0(VALU_DEP_2) | instskip(SKIP_2) | instid1(VALU_DEP_1)
	v_rcp_f64_e32 v[142:143], v[140:141]
	s_waitcnt_depctr 0xfff
	v_fma_f64 v[144:145], -v[140:141], v[142:143], 1.0
	v_fma_f64 v[142:143], v[142:143], v[144:145], v[142:143]
	s_delay_alu instid0(VALU_DEP_1) | instskip(NEXT) | instid1(VALU_DEP_1)
	v_fma_f64 v[144:145], -v[140:141], v[142:143], 1.0
	v_fma_f64 v[142:143], v[142:143], v[144:145], v[142:143]
	s_delay_alu instid0(VALU_DEP_1) | instskip(NEXT) | instid1(VALU_DEP_1)
	v_mul_f64 v[144:145], v[146:147], v[142:143]
	v_fma_f64 v[140:141], -v[140:141], v[144:145], v[146:147]
	s_delay_alu instid0(VALU_DEP_1) | instskip(NEXT) | instid1(VALU_DEP_1)
	v_div_fmas_f64 v[140:141], v[140:141], v[142:143], v[144:145]
	v_div_fixup_f64 v[140:141], v[140:141], v[138:139], v[136:137]
	s_delay_alu instid0(VALU_DEP_1) | instskip(NEXT) | instid1(VALU_DEP_1)
	v_fma_f64 v[136:137], v[136:137], v[140:141], v[138:139]
	v_div_scale_f64 v[138:139], null, v[136:137], v[136:137], 1.0
	s_delay_alu instid0(VALU_DEP_1) | instskip(SKIP_2) | instid1(VALU_DEP_1)
	v_rcp_f64_e32 v[142:143], v[138:139]
	s_waitcnt_depctr 0xfff
	v_fma_f64 v[144:145], -v[138:139], v[142:143], 1.0
	v_fma_f64 v[142:143], v[142:143], v[144:145], v[142:143]
	s_delay_alu instid0(VALU_DEP_1) | instskip(NEXT) | instid1(VALU_DEP_1)
	v_fma_f64 v[144:145], -v[138:139], v[142:143], 1.0
	v_fma_f64 v[142:143], v[142:143], v[144:145], v[142:143]
	v_div_scale_f64 v[144:145], vcc_lo, 1.0, v[136:137], 1.0
	s_delay_alu instid0(VALU_DEP_1) | instskip(NEXT) | instid1(VALU_DEP_1)
	v_mul_f64 v[146:147], v[144:145], v[142:143]
	v_fma_f64 v[138:139], -v[138:139], v[146:147], v[144:145]
	s_delay_alu instid0(VALU_DEP_1) | instskip(NEXT) | instid1(VALU_DEP_1)
	v_div_fmas_f64 v[138:139], v[138:139], v[142:143], v[146:147]
	v_div_fixup_f64 v[142:143], v[138:139], v[136:137], 1.0
                                        ; implicit-def: $vgpr136_vgpr137
	s_delay_alu instid0(VALU_DEP_1)
	v_mul_f64 v[144:145], v[140:141], v[142:143]
	v_xor_b32_e32 v143, 0x80000000, v143
.LBB67_5:
	s_and_not1_saveexec_b32 s4, s4
	s_cbranch_execz .LBB67_7
; %bb.6:
	v_div_scale_f64 v[140:141], null, v[136:137], v[136:137], v[138:139]
	v_div_scale_f64 v[146:147], vcc_lo, v[138:139], v[136:137], v[138:139]
	s_delay_alu instid0(VALU_DEP_2) | instskip(SKIP_2) | instid1(VALU_DEP_1)
	v_rcp_f64_e32 v[142:143], v[140:141]
	s_waitcnt_depctr 0xfff
	v_fma_f64 v[144:145], -v[140:141], v[142:143], 1.0
	v_fma_f64 v[142:143], v[142:143], v[144:145], v[142:143]
	s_delay_alu instid0(VALU_DEP_1) | instskip(NEXT) | instid1(VALU_DEP_1)
	v_fma_f64 v[144:145], -v[140:141], v[142:143], 1.0
	v_fma_f64 v[142:143], v[142:143], v[144:145], v[142:143]
	s_delay_alu instid0(VALU_DEP_1) | instskip(NEXT) | instid1(VALU_DEP_1)
	v_mul_f64 v[144:145], v[146:147], v[142:143]
	v_fma_f64 v[140:141], -v[140:141], v[144:145], v[146:147]
	s_delay_alu instid0(VALU_DEP_1) | instskip(NEXT) | instid1(VALU_DEP_1)
	v_div_fmas_f64 v[140:141], v[140:141], v[142:143], v[144:145]
	v_div_fixup_f64 v[140:141], v[140:141], v[136:137], v[138:139]
	s_delay_alu instid0(VALU_DEP_1) | instskip(NEXT) | instid1(VALU_DEP_1)
	v_fma_f64 v[136:137], v[138:139], v[140:141], v[136:137]
	v_div_scale_f64 v[138:139], null, v[136:137], v[136:137], 1.0
	s_delay_alu instid0(VALU_DEP_1) | instskip(SKIP_2) | instid1(VALU_DEP_1)
	v_rcp_f64_e32 v[142:143], v[138:139]
	s_waitcnt_depctr 0xfff
	v_fma_f64 v[144:145], -v[138:139], v[142:143], 1.0
	v_fma_f64 v[142:143], v[142:143], v[144:145], v[142:143]
	s_delay_alu instid0(VALU_DEP_1) | instskip(NEXT) | instid1(VALU_DEP_1)
	v_fma_f64 v[144:145], -v[138:139], v[142:143], 1.0
	v_fma_f64 v[142:143], v[142:143], v[144:145], v[142:143]
	v_div_scale_f64 v[144:145], vcc_lo, 1.0, v[136:137], 1.0
	s_delay_alu instid0(VALU_DEP_1) | instskip(NEXT) | instid1(VALU_DEP_1)
	v_mul_f64 v[146:147], v[144:145], v[142:143]
	v_fma_f64 v[138:139], -v[138:139], v[146:147], v[144:145]
	s_delay_alu instid0(VALU_DEP_1) | instskip(NEXT) | instid1(VALU_DEP_1)
	v_div_fmas_f64 v[138:139], v[138:139], v[142:143], v[146:147]
	v_div_fixup_f64 v[144:145], v[138:139], v[136:137], 1.0
	s_delay_alu instid0(VALU_DEP_1)
	v_mul_f64 v[142:143], v[140:141], -v[144:145]
.LBB67_7:
	s_or_b32 exec_lo, exec_lo, s4
	ds_store_2addr_b64 v159, v[144:145], v[142:143] offset1:1
.LBB67_8:
	s_or_b32 exec_lo, exec_lo, s5
	s_waitcnt vmcnt(0) lgkmcnt(0)
	s_waitcnt_vscnt null, 0x0
	s_barrier
	buffer_gl0_inv
	ds_load_2addr_b64 v[136:139], v159 offset1:1
	s_waitcnt lgkmcnt(0)
	scratch_store_b128 off, v[136:139], off ; 16-byte Folded Spill
	s_and_saveexec_b32 s4, s3
	s_cbranch_execz .LBB67_10
; %bb.9:
	scratch_load_b128 v[138:141], off, off  ; 16-byte Folded Reload
	s_waitcnt vmcnt(0)
	v_mul_f64 v[136:137], v[140:141], v[134:135]
	v_mul_f64 v[134:135], v[138:139], v[134:135]
	s_delay_alu instid0(VALU_DEP_2) | instskip(NEXT) | instid1(VALU_DEP_2)
	v_fma_f64 v[136:137], v[138:139], v[132:133], -v[136:137]
	v_fma_f64 v[134:135], v[140:141], v[132:133], v[134:135]
	ds_load_2addr_b64 v[138:141], v160 offset0:2 offset1:3
	s_waitcnt lgkmcnt(0)
	v_mul_f64 v[132:133], v[140:141], v[134:135]
	s_delay_alu instid0(VALU_DEP_1) | instskip(SKIP_1) | instid1(VALU_DEP_2)
	v_fma_f64 v[132:133], v[138:139], v[136:137], -v[132:133]
	v_mul_f64 v[138:139], v[138:139], v[134:135]
	v_add_f64 v[128:129], v[128:129], -v[132:133]
	s_delay_alu instid0(VALU_DEP_2) | instskip(NEXT) | instid1(VALU_DEP_1)
	v_fma_f64 v[138:139], v[140:141], v[136:137], v[138:139]
	v_add_f64 v[130:131], v[130:131], -v[138:139]
	ds_load_2addr_b64 v[138:141], v160 offset0:4 offset1:5
	s_waitcnt lgkmcnt(0)
	v_mul_f64 v[132:133], v[140:141], v[134:135]
	s_delay_alu instid0(VALU_DEP_1) | instskip(SKIP_1) | instid1(VALU_DEP_2)
	v_fma_f64 v[132:133], v[138:139], v[136:137], -v[132:133]
	v_mul_f64 v[138:139], v[138:139], v[134:135]
	v_add_f64 v[124:125], v[124:125], -v[132:133]
	s_delay_alu instid0(VALU_DEP_2) | instskip(NEXT) | instid1(VALU_DEP_1)
	v_fma_f64 v[138:139], v[140:141], v[136:137], v[138:139]
	v_add_f64 v[126:127], v[126:127], -v[138:139]
	;; [unrolled: 10-line block ×32, first 2 shown]
	ds_load_2addr_b64 v[138:141], v160 offset0:66 offset1:67
	s_waitcnt lgkmcnt(0)
	v_mul_f64 v[132:133], v[140:141], v[134:135]
	s_delay_alu instid0(VALU_DEP_1) | instskip(SKIP_1) | instid1(VALU_DEP_2)
	v_fma_f64 v[132:133], v[138:139], v[136:137], -v[132:133]
	v_mul_f64 v[138:139], v[138:139], v[134:135]
	v_add_f64 v[0:1], v[0:1], -v[132:133]
	s_delay_alu instid0(VALU_DEP_2) | instskip(SKIP_1) | instid1(VALU_DEP_2)
	v_fma_f64 v[138:139], v[140:141], v[136:137], v[138:139]
	v_dual_mov_b32 v132, v136 :: v_dual_mov_b32 v133, v137
	v_add_f64 v[2:3], v[2:3], -v[138:139]
.LBB67_10:
	s_or_b32 exec_lo, exec_lo, s4
	s_delay_alu instid0(SALU_CYCLE_1)
	s_mov_b32 s4, exec_lo
	s_waitcnt_vscnt null, 0x0
	s_barrier
	buffer_gl0_inv
	v_cmpx_eq_u32_e32 1, v158
	s_cbranch_execz .LBB67_17
; %bb.11:
	ds_store_2addr_b64 v159, v[128:129], v[130:131] offset1:1
	ds_store_2addr_b64 v160, v[124:125], v[126:127] offset0:4 offset1:5
	ds_store_2addr_b64 v160, v[120:121], v[122:123] offset0:6 offset1:7
	;; [unrolled: 1-line block ×32, first 2 shown]
	ds_load_2addr_b64 v[136:139], v159 offset1:1
	s_waitcnt lgkmcnt(0)
	v_cmp_neq_f64_e32 vcc_lo, 0, v[136:137]
	v_cmp_neq_f64_e64 s3, 0, v[138:139]
	s_delay_alu instid0(VALU_DEP_1) | instskip(NEXT) | instid1(SALU_CYCLE_1)
	s_or_b32 s3, vcc_lo, s3
	s_and_b32 exec_lo, exec_lo, s3
	s_cbranch_execz .LBB67_17
; %bb.12:
	v_cmp_gt_f64_e32 vcc_lo, 0, v[136:137]
	v_cmp_gt_f64_e64 s3, 0, v[138:139]
	v_xor_b32_e32 v140, 0x80000000, v137
	v_xor_b32_e32 v142, 0x80000000, v139
                                        ; implicit-def: $vgpr144_vgpr145
	s_delay_alu instid0(VALU_DEP_2) | instskip(NEXT) | instid1(VALU_DEP_2)
	v_cndmask_b32_e32 v141, v137, v140, vcc_lo
	v_cndmask_b32_e64 v143, v139, v142, s3
	v_cndmask_b32_e32 v140, v136, v136, vcc_lo
	v_cndmask_b32_e64 v142, v138, v138, s3
	s_mov_b32 s3, exec_lo
	s_delay_alu instid0(VALU_DEP_1)
	v_cmpx_ngt_f64_e32 v[140:141], v[142:143]
	s_xor_b32 s3, exec_lo, s3
                                        ; implicit-def: $vgpr140_vgpr141_vgpr142_vgpr143
	s_cbranch_execz .LBB67_14
; %bb.13:
	v_div_scale_f64 v[140:141], null, v[138:139], v[138:139], v[136:137]
	v_div_scale_f64 v[146:147], vcc_lo, v[136:137], v[138:139], v[136:137]
	s_delay_alu instid0(VALU_DEP_2) | instskip(SKIP_2) | instid1(VALU_DEP_1)
	v_rcp_f64_e32 v[142:143], v[140:141]
	s_waitcnt_depctr 0xfff
	v_fma_f64 v[144:145], -v[140:141], v[142:143], 1.0
	v_fma_f64 v[142:143], v[142:143], v[144:145], v[142:143]
	s_delay_alu instid0(VALU_DEP_1) | instskip(NEXT) | instid1(VALU_DEP_1)
	v_fma_f64 v[144:145], -v[140:141], v[142:143], 1.0
	v_fma_f64 v[142:143], v[142:143], v[144:145], v[142:143]
	s_delay_alu instid0(VALU_DEP_1) | instskip(NEXT) | instid1(VALU_DEP_1)
	v_mul_f64 v[144:145], v[146:147], v[142:143]
	v_fma_f64 v[140:141], -v[140:141], v[144:145], v[146:147]
	s_delay_alu instid0(VALU_DEP_1) | instskip(NEXT) | instid1(VALU_DEP_1)
	v_div_fmas_f64 v[140:141], v[140:141], v[142:143], v[144:145]
	v_div_fixup_f64 v[140:141], v[140:141], v[138:139], v[136:137]
	s_delay_alu instid0(VALU_DEP_1) | instskip(NEXT) | instid1(VALU_DEP_1)
	v_fma_f64 v[136:137], v[136:137], v[140:141], v[138:139]
	v_div_scale_f64 v[138:139], null, v[136:137], v[136:137], 1.0
	s_delay_alu instid0(VALU_DEP_1) | instskip(SKIP_2) | instid1(VALU_DEP_1)
	v_rcp_f64_e32 v[142:143], v[138:139]
	s_waitcnt_depctr 0xfff
	v_fma_f64 v[144:145], -v[138:139], v[142:143], 1.0
	v_fma_f64 v[142:143], v[142:143], v[144:145], v[142:143]
	s_delay_alu instid0(VALU_DEP_1) | instskip(NEXT) | instid1(VALU_DEP_1)
	v_fma_f64 v[144:145], -v[138:139], v[142:143], 1.0
	v_fma_f64 v[142:143], v[142:143], v[144:145], v[142:143]
	v_div_scale_f64 v[144:145], vcc_lo, 1.0, v[136:137], 1.0
	s_delay_alu instid0(VALU_DEP_1) | instskip(NEXT) | instid1(VALU_DEP_1)
	v_mul_f64 v[146:147], v[144:145], v[142:143]
	v_fma_f64 v[138:139], -v[138:139], v[146:147], v[144:145]
	s_delay_alu instid0(VALU_DEP_1) | instskip(NEXT) | instid1(VALU_DEP_1)
	v_div_fmas_f64 v[138:139], v[138:139], v[142:143], v[146:147]
	v_div_fixup_f64 v[142:143], v[138:139], v[136:137], 1.0
                                        ; implicit-def: $vgpr136_vgpr137
	s_delay_alu instid0(VALU_DEP_1)
	v_mul_f64 v[144:145], v[140:141], v[142:143]
	v_xor_b32_e32 v143, 0x80000000, v143
.LBB67_14:
	s_and_not1_saveexec_b32 s3, s3
	s_cbranch_execz .LBB67_16
; %bb.15:
	v_div_scale_f64 v[140:141], null, v[136:137], v[136:137], v[138:139]
	v_div_scale_f64 v[146:147], vcc_lo, v[138:139], v[136:137], v[138:139]
	s_delay_alu instid0(VALU_DEP_2) | instskip(SKIP_2) | instid1(VALU_DEP_1)
	v_rcp_f64_e32 v[142:143], v[140:141]
	s_waitcnt_depctr 0xfff
	v_fma_f64 v[144:145], -v[140:141], v[142:143], 1.0
	v_fma_f64 v[142:143], v[142:143], v[144:145], v[142:143]
	s_delay_alu instid0(VALU_DEP_1) | instskip(NEXT) | instid1(VALU_DEP_1)
	v_fma_f64 v[144:145], -v[140:141], v[142:143], 1.0
	v_fma_f64 v[142:143], v[142:143], v[144:145], v[142:143]
	s_delay_alu instid0(VALU_DEP_1) | instskip(NEXT) | instid1(VALU_DEP_1)
	v_mul_f64 v[144:145], v[146:147], v[142:143]
	v_fma_f64 v[140:141], -v[140:141], v[144:145], v[146:147]
	s_delay_alu instid0(VALU_DEP_1) | instskip(NEXT) | instid1(VALU_DEP_1)
	v_div_fmas_f64 v[140:141], v[140:141], v[142:143], v[144:145]
	v_div_fixup_f64 v[140:141], v[140:141], v[136:137], v[138:139]
	s_delay_alu instid0(VALU_DEP_1) | instskip(NEXT) | instid1(VALU_DEP_1)
	v_fma_f64 v[136:137], v[138:139], v[140:141], v[136:137]
	v_div_scale_f64 v[138:139], null, v[136:137], v[136:137], 1.0
	s_delay_alu instid0(VALU_DEP_1) | instskip(SKIP_2) | instid1(VALU_DEP_1)
	v_rcp_f64_e32 v[142:143], v[138:139]
	s_waitcnt_depctr 0xfff
	v_fma_f64 v[144:145], -v[138:139], v[142:143], 1.0
	v_fma_f64 v[142:143], v[142:143], v[144:145], v[142:143]
	s_delay_alu instid0(VALU_DEP_1) | instskip(NEXT) | instid1(VALU_DEP_1)
	v_fma_f64 v[144:145], -v[138:139], v[142:143], 1.0
	v_fma_f64 v[142:143], v[142:143], v[144:145], v[142:143]
	v_div_scale_f64 v[144:145], vcc_lo, 1.0, v[136:137], 1.0
	s_delay_alu instid0(VALU_DEP_1) | instskip(NEXT) | instid1(VALU_DEP_1)
	v_mul_f64 v[146:147], v[144:145], v[142:143]
	v_fma_f64 v[138:139], -v[138:139], v[146:147], v[144:145]
	s_delay_alu instid0(VALU_DEP_1) | instskip(NEXT) | instid1(VALU_DEP_1)
	v_div_fmas_f64 v[138:139], v[138:139], v[142:143], v[146:147]
	v_div_fixup_f64 v[144:145], v[138:139], v[136:137], 1.0
	s_delay_alu instid0(VALU_DEP_1)
	v_mul_f64 v[142:143], v[140:141], -v[144:145]
.LBB67_16:
	s_or_b32 exec_lo, exec_lo, s3
	ds_store_2addr_b64 v159, v[144:145], v[142:143] offset1:1
.LBB67_17:
	s_or_b32 exec_lo, exec_lo, s4
	s_waitcnt lgkmcnt(0)
	s_barrier
	buffer_gl0_inv
	ds_load_2addr_b64 v[136:139], v159 offset1:1
	s_mov_b32 s3, exec_lo
	s_waitcnt lgkmcnt(0)
	scratch_store_b128 off, v[136:139], off offset:16 ; 16-byte Folded Spill
	v_cmpx_lt_u32_e32 1, v158
	s_cbranch_execz .LBB67_19
; %bb.18:
	scratch_load_b128 v[138:141], off, off offset:16 ; 16-byte Folded Reload
	s_waitcnt vmcnt(0)
	v_mul_f64 v[136:137], v[140:141], v[130:131]
	v_mul_f64 v[130:131], v[138:139], v[130:131]
	s_delay_alu instid0(VALU_DEP_2) | instskip(NEXT) | instid1(VALU_DEP_2)
	v_fma_f64 v[136:137], v[138:139], v[128:129], -v[136:137]
	v_fma_f64 v[130:131], v[140:141], v[128:129], v[130:131]
	ds_load_2addr_b64 v[138:141], v160 offset0:4 offset1:5
	s_waitcnt lgkmcnt(0)
	v_mul_f64 v[128:129], v[140:141], v[130:131]
	s_delay_alu instid0(VALU_DEP_1) | instskip(SKIP_1) | instid1(VALU_DEP_2)
	v_fma_f64 v[128:129], v[138:139], v[136:137], -v[128:129]
	v_mul_f64 v[138:139], v[138:139], v[130:131]
	v_add_f64 v[124:125], v[124:125], -v[128:129]
	s_delay_alu instid0(VALU_DEP_2) | instskip(NEXT) | instid1(VALU_DEP_1)
	v_fma_f64 v[138:139], v[140:141], v[136:137], v[138:139]
	v_add_f64 v[126:127], v[126:127], -v[138:139]
	ds_load_2addr_b64 v[138:141], v160 offset0:6 offset1:7
	s_waitcnt lgkmcnt(0)
	v_mul_f64 v[128:129], v[140:141], v[130:131]
	s_delay_alu instid0(VALU_DEP_1) | instskip(SKIP_1) | instid1(VALU_DEP_2)
	v_fma_f64 v[128:129], v[138:139], v[136:137], -v[128:129]
	v_mul_f64 v[138:139], v[138:139], v[130:131]
	v_add_f64 v[120:121], v[120:121], -v[128:129]
	s_delay_alu instid0(VALU_DEP_2) | instskip(NEXT) | instid1(VALU_DEP_1)
	v_fma_f64 v[138:139], v[140:141], v[136:137], v[138:139]
	v_add_f64 v[122:123], v[122:123], -v[138:139]
	;; [unrolled: 10-line block ×31, first 2 shown]
	ds_load_2addr_b64 v[138:141], v160 offset0:66 offset1:67
	s_waitcnt lgkmcnt(0)
	v_mul_f64 v[128:129], v[140:141], v[130:131]
	s_delay_alu instid0(VALU_DEP_1) | instskip(SKIP_1) | instid1(VALU_DEP_2)
	v_fma_f64 v[128:129], v[138:139], v[136:137], -v[128:129]
	v_mul_f64 v[138:139], v[138:139], v[130:131]
	v_add_f64 v[0:1], v[0:1], -v[128:129]
	s_delay_alu instid0(VALU_DEP_2) | instskip(SKIP_1) | instid1(VALU_DEP_2)
	v_fma_f64 v[138:139], v[140:141], v[136:137], v[138:139]
	v_dual_mov_b32 v128, v136 :: v_dual_mov_b32 v129, v137
	v_add_f64 v[2:3], v[2:3], -v[138:139]
.LBB67_19:
	s_or_b32 exec_lo, exec_lo, s3
	s_delay_alu instid0(SALU_CYCLE_1)
	s_mov_b32 s4, exec_lo
	s_waitcnt_vscnt null, 0x0
	s_barrier
	buffer_gl0_inv
	v_cmpx_eq_u32_e32 2, v158
	s_cbranch_execz .LBB67_26
; %bb.20:
	ds_store_2addr_b64 v159, v[124:125], v[126:127] offset1:1
	ds_store_2addr_b64 v160, v[120:121], v[122:123] offset0:6 offset1:7
	ds_store_2addr_b64 v160, v[116:117], v[118:119] offset0:8 offset1:9
	;; [unrolled: 1-line block ×31, first 2 shown]
	ds_load_2addr_b64 v[136:139], v159 offset1:1
	s_waitcnt lgkmcnt(0)
	v_cmp_neq_f64_e32 vcc_lo, 0, v[136:137]
	v_cmp_neq_f64_e64 s3, 0, v[138:139]
	s_delay_alu instid0(VALU_DEP_1) | instskip(NEXT) | instid1(SALU_CYCLE_1)
	s_or_b32 s3, vcc_lo, s3
	s_and_b32 exec_lo, exec_lo, s3
	s_cbranch_execz .LBB67_26
; %bb.21:
	v_cmp_gt_f64_e32 vcc_lo, 0, v[136:137]
	v_cmp_gt_f64_e64 s3, 0, v[138:139]
	v_xor_b32_e32 v140, 0x80000000, v137
	v_xor_b32_e32 v142, 0x80000000, v139
                                        ; implicit-def: $vgpr144_vgpr145
	s_delay_alu instid0(VALU_DEP_2) | instskip(NEXT) | instid1(VALU_DEP_2)
	v_cndmask_b32_e32 v141, v137, v140, vcc_lo
	v_cndmask_b32_e64 v143, v139, v142, s3
	v_cndmask_b32_e32 v140, v136, v136, vcc_lo
	v_cndmask_b32_e64 v142, v138, v138, s3
	s_mov_b32 s3, exec_lo
	s_delay_alu instid0(VALU_DEP_1)
	v_cmpx_ngt_f64_e32 v[140:141], v[142:143]
	s_xor_b32 s3, exec_lo, s3
                                        ; implicit-def: $vgpr140_vgpr141_vgpr142_vgpr143
	s_cbranch_execz .LBB67_23
; %bb.22:
	v_div_scale_f64 v[140:141], null, v[138:139], v[138:139], v[136:137]
	v_div_scale_f64 v[146:147], vcc_lo, v[136:137], v[138:139], v[136:137]
	s_delay_alu instid0(VALU_DEP_2) | instskip(SKIP_2) | instid1(VALU_DEP_1)
	v_rcp_f64_e32 v[142:143], v[140:141]
	s_waitcnt_depctr 0xfff
	v_fma_f64 v[144:145], -v[140:141], v[142:143], 1.0
	v_fma_f64 v[142:143], v[142:143], v[144:145], v[142:143]
	s_delay_alu instid0(VALU_DEP_1) | instskip(NEXT) | instid1(VALU_DEP_1)
	v_fma_f64 v[144:145], -v[140:141], v[142:143], 1.0
	v_fma_f64 v[142:143], v[142:143], v[144:145], v[142:143]
	s_delay_alu instid0(VALU_DEP_1) | instskip(NEXT) | instid1(VALU_DEP_1)
	v_mul_f64 v[144:145], v[146:147], v[142:143]
	v_fma_f64 v[140:141], -v[140:141], v[144:145], v[146:147]
	s_delay_alu instid0(VALU_DEP_1) | instskip(NEXT) | instid1(VALU_DEP_1)
	v_div_fmas_f64 v[140:141], v[140:141], v[142:143], v[144:145]
	v_div_fixup_f64 v[140:141], v[140:141], v[138:139], v[136:137]
	s_delay_alu instid0(VALU_DEP_1) | instskip(NEXT) | instid1(VALU_DEP_1)
	v_fma_f64 v[136:137], v[136:137], v[140:141], v[138:139]
	v_div_scale_f64 v[138:139], null, v[136:137], v[136:137], 1.0
	s_delay_alu instid0(VALU_DEP_1) | instskip(SKIP_2) | instid1(VALU_DEP_1)
	v_rcp_f64_e32 v[142:143], v[138:139]
	s_waitcnt_depctr 0xfff
	v_fma_f64 v[144:145], -v[138:139], v[142:143], 1.0
	v_fma_f64 v[142:143], v[142:143], v[144:145], v[142:143]
	s_delay_alu instid0(VALU_DEP_1) | instskip(NEXT) | instid1(VALU_DEP_1)
	v_fma_f64 v[144:145], -v[138:139], v[142:143], 1.0
	v_fma_f64 v[142:143], v[142:143], v[144:145], v[142:143]
	v_div_scale_f64 v[144:145], vcc_lo, 1.0, v[136:137], 1.0
	s_delay_alu instid0(VALU_DEP_1) | instskip(NEXT) | instid1(VALU_DEP_1)
	v_mul_f64 v[146:147], v[144:145], v[142:143]
	v_fma_f64 v[138:139], -v[138:139], v[146:147], v[144:145]
	s_delay_alu instid0(VALU_DEP_1) | instskip(NEXT) | instid1(VALU_DEP_1)
	v_div_fmas_f64 v[138:139], v[138:139], v[142:143], v[146:147]
	v_div_fixup_f64 v[142:143], v[138:139], v[136:137], 1.0
                                        ; implicit-def: $vgpr136_vgpr137
	s_delay_alu instid0(VALU_DEP_1)
	v_mul_f64 v[144:145], v[140:141], v[142:143]
	v_xor_b32_e32 v143, 0x80000000, v143
.LBB67_23:
	s_and_not1_saveexec_b32 s3, s3
	s_cbranch_execz .LBB67_25
; %bb.24:
	v_div_scale_f64 v[140:141], null, v[136:137], v[136:137], v[138:139]
	v_div_scale_f64 v[146:147], vcc_lo, v[138:139], v[136:137], v[138:139]
	s_delay_alu instid0(VALU_DEP_2) | instskip(SKIP_2) | instid1(VALU_DEP_1)
	v_rcp_f64_e32 v[142:143], v[140:141]
	s_waitcnt_depctr 0xfff
	v_fma_f64 v[144:145], -v[140:141], v[142:143], 1.0
	v_fma_f64 v[142:143], v[142:143], v[144:145], v[142:143]
	s_delay_alu instid0(VALU_DEP_1) | instskip(NEXT) | instid1(VALU_DEP_1)
	v_fma_f64 v[144:145], -v[140:141], v[142:143], 1.0
	v_fma_f64 v[142:143], v[142:143], v[144:145], v[142:143]
	s_delay_alu instid0(VALU_DEP_1) | instskip(NEXT) | instid1(VALU_DEP_1)
	v_mul_f64 v[144:145], v[146:147], v[142:143]
	v_fma_f64 v[140:141], -v[140:141], v[144:145], v[146:147]
	s_delay_alu instid0(VALU_DEP_1) | instskip(NEXT) | instid1(VALU_DEP_1)
	v_div_fmas_f64 v[140:141], v[140:141], v[142:143], v[144:145]
	v_div_fixup_f64 v[140:141], v[140:141], v[136:137], v[138:139]
	s_delay_alu instid0(VALU_DEP_1) | instskip(NEXT) | instid1(VALU_DEP_1)
	v_fma_f64 v[136:137], v[138:139], v[140:141], v[136:137]
	v_div_scale_f64 v[138:139], null, v[136:137], v[136:137], 1.0
	s_delay_alu instid0(VALU_DEP_1) | instskip(SKIP_2) | instid1(VALU_DEP_1)
	v_rcp_f64_e32 v[142:143], v[138:139]
	s_waitcnt_depctr 0xfff
	v_fma_f64 v[144:145], -v[138:139], v[142:143], 1.0
	v_fma_f64 v[142:143], v[142:143], v[144:145], v[142:143]
	s_delay_alu instid0(VALU_DEP_1) | instskip(NEXT) | instid1(VALU_DEP_1)
	v_fma_f64 v[144:145], -v[138:139], v[142:143], 1.0
	v_fma_f64 v[142:143], v[142:143], v[144:145], v[142:143]
	v_div_scale_f64 v[144:145], vcc_lo, 1.0, v[136:137], 1.0
	s_delay_alu instid0(VALU_DEP_1) | instskip(NEXT) | instid1(VALU_DEP_1)
	v_mul_f64 v[146:147], v[144:145], v[142:143]
	v_fma_f64 v[138:139], -v[138:139], v[146:147], v[144:145]
	s_delay_alu instid0(VALU_DEP_1) | instskip(NEXT) | instid1(VALU_DEP_1)
	v_div_fmas_f64 v[138:139], v[138:139], v[142:143], v[146:147]
	v_div_fixup_f64 v[144:145], v[138:139], v[136:137], 1.0
	s_delay_alu instid0(VALU_DEP_1)
	v_mul_f64 v[142:143], v[140:141], -v[144:145]
.LBB67_25:
	s_or_b32 exec_lo, exec_lo, s3
	ds_store_2addr_b64 v159, v[144:145], v[142:143] offset1:1
.LBB67_26:
	s_or_b32 exec_lo, exec_lo, s4
	s_waitcnt lgkmcnt(0)
	s_barrier
	buffer_gl0_inv
	ds_load_2addr_b64 v[136:139], v159 offset1:1
	s_mov_b32 s3, exec_lo
	s_waitcnt lgkmcnt(0)
	scratch_store_b128 off, v[136:139], off offset:32 ; 16-byte Folded Spill
	v_cmpx_lt_u32_e32 2, v158
	s_cbranch_execz .LBB67_28
; %bb.27:
	scratch_load_b128 v[138:141], off, off offset:32 ; 16-byte Folded Reload
	s_waitcnt vmcnt(0)
	v_mul_f64 v[136:137], v[140:141], v[126:127]
	v_mul_f64 v[126:127], v[138:139], v[126:127]
	s_delay_alu instid0(VALU_DEP_2) | instskip(NEXT) | instid1(VALU_DEP_2)
	v_fma_f64 v[136:137], v[138:139], v[124:125], -v[136:137]
	v_fma_f64 v[126:127], v[140:141], v[124:125], v[126:127]
	ds_load_2addr_b64 v[138:141], v160 offset0:6 offset1:7
	s_waitcnt lgkmcnt(0)
	v_mul_f64 v[124:125], v[140:141], v[126:127]
	s_delay_alu instid0(VALU_DEP_1) | instskip(SKIP_1) | instid1(VALU_DEP_2)
	v_fma_f64 v[124:125], v[138:139], v[136:137], -v[124:125]
	v_mul_f64 v[138:139], v[138:139], v[126:127]
	v_add_f64 v[120:121], v[120:121], -v[124:125]
	s_delay_alu instid0(VALU_DEP_2) | instskip(NEXT) | instid1(VALU_DEP_1)
	v_fma_f64 v[138:139], v[140:141], v[136:137], v[138:139]
	v_add_f64 v[122:123], v[122:123], -v[138:139]
	ds_load_2addr_b64 v[138:141], v160 offset0:8 offset1:9
	s_waitcnt lgkmcnt(0)
	v_mul_f64 v[124:125], v[140:141], v[126:127]
	s_delay_alu instid0(VALU_DEP_1) | instskip(SKIP_1) | instid1(VALU_DEP_2)
	v_fma_f64 v[124:125], v[138:139], v[136:137], -v[124:125]
	v_mul_f64 v[138:139], v[138:139], v[126:127]
	v_add_f64 v[116:117], v[116:117], -v[124:125]
	s_delay_alu instid0(VALU_DEP_2) | instskip(NEXT) | instid1(VALU_DEP_1)
	v_fma_f64 v[138:139], v[140:141], v[136:137], v[138:139]
	v_add_f64 v[118:119], v[118:119], -v[138:139]
	;; [unrolled: 10-line block ×30, first 2 shown]
	ds_load_2addr_b64 v[138:141], v160 offset0:66 offset1:67
	s_waitcnt lgkmcnt(0)
	v_mul_f64 v[124:125], v[140:141], v[126:127]
	s_delay_alu instid0(VALU_DEP_1) | instskip(SKIP_1) | instid1(VALU_DEP_2)
	v_fma_f64 v[124:125], v[138:139], v[136:137], -v[124:125]
	v_mul_f64 v[138:139], v[138:139], v[126:127]
	v_add_f64 v[0:1], v[0:1], -v[124:125]
	s_delay_alu instid0(VALU_DEP_2) | instskip(SKIP_1) | instid1(VALU_DEP_2)
	v_fma_f64 v[138:139], v[140:141], v[136:137], v[138:139]
	v_dual_mov_b32 v124, v136 :: v_dual_mov_b32 v125, v137
	v_add_f64 v[2:3], v[2:3], -v[138:139]
.LBB67_28:
	s_or_b32 exec_lo, exec_lo, s3
	s_delay_alu instid0(SALU_CYCLE_1)
	s_mov_b32 s4, exec_lo
	s_waitcnt_vscnt null, 0x0
	s_barrier
	buffer_gl0_inv
	v_cmpx_eq_u32_e32 3, v158
	s_cbranch_execz .LBB67_35
; %bb.29:
	ds_store_2addr_b64 v159, v[120:121], v[122:123] offset1:1
	ds_store_2addr_b64 v160, v[116:117], v[118:119] offset0:8 offset1:9
	ds_store_2addr_b64 v160, v[112:113], v[114:115] offset0:10 offset1:11
	;; [unrolled: 1-line block ×30, first 2 shown]
	ds_load_2addr_b64 v[136:139], v159 offset1:1
	s_waitcnt lgkmcnt(0)
	v_cmp_neq_f64_e32 vcc_lo, 0, v[136:137]
	v_cmp_neq_f64_e64 s3, 0, v[138:139]
	s_delay_alu instid0(VALU_DEP_1) | instskip(NEXT) | instid1(SALU_CYCLE_1)
	s_or_b32 s3, vcc_lo, s3
	s_and_b32 exec_lo, exec_lo, s3
	s_cbranch_execz .LBB67_35
; %bb.30:
	v_cmp_gt_f64_e32 vcc_lo, 0, v[136:137]
	v_cmp_gt_f64_e64 s3, 0, v[138:139]
	v_xor_b32_e32 v140, 0x80000000, v137
	v_xor_b32_e32 v142, 0x80000000, v139
                                        ; implicit-def: $vgpr144_vgpr145
	s_delay_alu instid0(VALU_DEP_2) | instskip(NEXT) | instid1(VALU_DEP_2)
	v_cndmask_b32_e32 v141, v137, v140, vcc_lo
	v_cndmask_b32_e64 v143, v139, v142, s3
	v_cndmask_b32_e32 v140, v136, v136, vcc_lo
	v_cndmask_b32_e64 v142, v138, v138, s3
	s_mov_b32 s3, exec_lo
	s_delay_alu instid0(VALU_DEP_1)
	v_cmpx_ngt_f64_e32 v[140:141], v[142:143]
	s_xor_b32 s3, exec_lo, s3
                                        ; implicit-def: $vgpr140_vgpr141_vgpr142_vgpr143
	s_cbranch_execz .LBB67_32
; %bb.31:
	v_div_scale_f64 v[140:141], null, v[138:139], v[138:139], v[136:137]
	v_div_scale_f64 v[146:147], vcc_lo, v[136:137], v[138:139], v[136:137]
	s_delay_alu instid0(VALU_DEP_2) | instskip(SKIP_2) | instid1(VALU_DEP_1)
	v_rcp_f64_e32 v[142:143], v[140:141]
	s_waitcnt_depctr 0xfff
	v_fma_f64 v[144:145], -v[140:141], v[142:143], 1.0
	v_fma_f64 v[142:143], v[142:143], v[144:145], v[142:143]
	s_delay_alu instid0(VALU_DEP_1) | instskip(NEXT) | instid1(VALU_DEP_1)
	v_fma_f64 v[144:145], -v[140:141], v[142:143], 1.0
	v_fma_f64 v[142:143], v[142:143], v[144:145], v[142:143]
	s_delay_alu instid0(VALU_DEP_1) | instskip(NEXT) | instid1(VALU_DEP_1)
	v_mul_f64 v[144:145], v[146:147], v[142:143]
	v_fma_f64 v[140:141], -v[140:141], v[144:145], v[146:147]
	s_delay_alu instid0(VALU_DEP_1) | instskip(NEXT) | instid1(VALU_DEP_1)
	v_div_fmas_f64 v[140:141], v[140:141], v[142:143], v[144:145]
	v_div_fixup_f64 v[140:141], v[140:141], v[138:139], v[136:137]
	s_delay_alu instid0(VALU_DEP_1) | instskip(NEXT) | instid1(VALU_DEP_1)
	v_fma_f64 v[136:137], v[136:137], v[140:141], v[138:139]
	v_div_scale_f64 v[138:139], null, v[136:137], v[136:137], 1.0
	s_delay_alu instid0(VALU_DEP_1) | instskip(SKIP_2) | instid1(VALU_DEP_1)
	v_rcp_f64_e32 v[142:143], v[138:139]
	s_waitcnt_depctr 0xfff
	v_fma_f64 v[144:145], -v[138:139], v[142:143], 1.0
	v_fma_f64 v[142:143], v[142:143], v[144:145], v[142:143]
	s_delay_alu instid0(VALU_DEP_1) | instskip(NEXT) | instid1(VALU_DEP_1)
	v_fma_f64 v[144:145], -v[138:139], v[142:143], 1.0
	v_fma_f64 v[142:143], v[142:143], v[144:145], v[142:143]
	v_div_scale_f64 v[144:145], vcc_lo, 1.0, v[136:137], 1.0
	s_delay_alu instid0(VALU_DEP_1) | instskip(NEXT) | instid1(VALU_DEP_1)
	v_mul_f64 v[146:147], v[144:145], v[142:143]
	v_fma_f64 v[138:139], -v[138:139], v[146:147], v[144:145]
	s_delay_alu instid0(VALU_DEP_1) | instskip(NEXT) | instid1(VALU_DEP_1)
	v_div_fmas_f64 v[138:139], v[138:139], v[142:143], v[146:147]
	v_div_fixup_f64 v[142:143], v[138:139], v[136:137], 1.0
                                        ; implicit-def: $vgpr136_vgpr137
	s_delay_alu instid0(VALU_DEP_1)
	v_mul_f64 v[144:145], v[140:141], v[142:143]
	v_xor_b32_e32 v143, 0x80000000, v143
.LBB67_32:
	s_and_not1_saveexec_b32 s3, s3
	s_cbranch_execz .LBB67_34
; %bb.33:
	v_div_scale_f64 v[140:141], null, v[136:137], v[136:137], v[138:139]
	v_div_scale_f64 v[146:147], vcc_lo, v[138:139], v[136:137], v[138:139]
	s_delay_alu instid0(VALU_DEP_2) | instskip(SKIP_2) | instid1(VALU_DEP_1)
	v_rcp_f64_e32 v[142:143], v[140:141]
	s_waitcnt_depctr 0xfff
	v_fma_f64 v[144:145], -v[140:141], v[142:143], 1.0
	v_fma_f64 v[142:143], v[142:143], v[144:145], v[142:143]
	s_delay_alu instid0(VALU_DEP_1) | instskip(NEXT) | instid1(VALU_DEP_1)
	v_fma_f64 v[144:145], -v[140:141], v[142:143], 1.0
	v_fma_f64 v[142:143], v[142:143], v[144:145], v[142:143]
	s_delay_alu instid0(VALU_DEP_1) | instskip(NEXT) | instid1(VALU_DEP_1)
	v_mul_f64 v[144:145], v[146:147], v[142:143]
	v_fma_f64 v[140:141], -v[140:141], v[144:145], v[146:147]
	s_delay_alu instid0(VALU_DEP_1) | instskip(NEXT) | instid1(VALU_DEP_1)
	v_div_fmas_f64 v[140:141], v[140:141], v[142:143], v[144:145]
	v_div_fixup_f64 v[140:141], v[140:141], v[136:137], v[138:139]
	s_delay_alu instid0(VALU_DEP_1) | instskip(NEXT) | instid1(VALU_DEP_1)
	v_fma_f64 v[136:137], v[138:139], v[140:141], v[136:137]
	v_div_scale_f64 v[138:139], null, v[136:137], v[136:137], 1.0
	s_delay_alu instid0(VALU_DEP_1) | instskip(SKIP_2) | instid1(VALU_DEP_1)
	v_rcp_f64_e32 v[142:143], v[138:139]
	s_waitcnt_depctr 0xfff
	v_fma_f64 v[144:145], -v[138:139], v[142:143], 1.0
	v_fma_f64 v[142:143], v[142:143], v[144:145], v[142:143]
	s_delay_alu instid0(VALU_DEP_1) | instskip(NEXT) | instid1(VALU_DEP_1)
	v_fma_f64 v[144:145], -v[138:139], v[142:143], 1.0
	v_fma_f64 v[142:143], v[142:143], v[144:145], v[142:143]
	v_div_scale_f64 v[144:145], vcc_lo, 1.0, v[136:137], 1.0
	s_delay_alu instid0(VALU_DEP_1) | instskip(NEXT) | instid1(VALU_DEP_1)
	v_mul_f64 v[146:147], v[144:145], v[142:143]
	v_fma_f64 v[138:139], -v[138:139], v[146:147], v[144:145]
	s_delay_alu instid0(VALU_DEP_1) | instskip(NEXT) | instid1(VALU_DEP_1)
	v_div_fmas_f64 v[138:139], v[138:139], v[142:143], v[146:147]
	v_div_fixup_f64 v[144:145], v[138:139], v[136:137], 1.0
	s_delay_alu instid0(VALU_DEP_1)
	v_mul_f64 v[142:143], v[140:141], -v[144:145]
.LBB67_34:
	s_or_b32 exec_lo, exec_lo, s3
	ds_store_2addr_b64 v159, v[144:145], v[142:143] offset1:1
.LBB67_35:
	s_or_b32 exec_lo, exec_lo, s4
	s_waitcnt lgkmcnt(0)
	s_barrier
	buffer_gl0_inv
	ds_load_2addr_b64 v[136:139], v159 offset1:1
	s_mov_b32 s3, exec_lo
	s_waitcnt lgkmcnt(0)
	scratch_store_b128 off, v[136:139], off offset:48 ; 16-byte Folded Spill
	v_cmpx_lt_u32_e32 3, v158
	s_cbranch_execz .LBB67_37
; %bb.36:
	scratch_load_b128 v[138:141], off, off offset:48 ; 16-byte Folded Reload
	s_waitcnt vmcnt(0)
	v_mul_f64 v[136:137], v[140:141], v[122:123]
	v_mul_f64 v[122:123], v[138:139], v[122:123]
	s_delay_alu instid0(VALU_DEP_2) | instskip(NEXT) | instid1(VALU_DEP_2)
	v_fma_f64 v[136:137], v[138:139], v[120:121], -v[136:137]
	v_fma_f64 v[122:123], v[140:141], v[120:121], v[122:123]
	ds_load_2addr_b64 v[138:141], v160 offset0:8 offset1:9
	s_waitcnt lgkmcnt(0)
	v_mul_f64 v[120:121], v[140:141], v[122:123]
	s_delay_alu instid0(VALU_DEP_1) | instskip(SKIP_1) | instid1(VALU_DEP_2)
	v_fma_f64 v[120:121], v[138:139], v[136:137], -v[120:121]
	v_mul_f64 v[138:139], v[138:139], v[122:123]
	v_add_f64 v[116:117], v[116:117], -v[120:121]
	s_delay_alu instid0(VALU_DEP_2) | instskip(NEXT) | instid1(VALU_DEP_1)
	v_fma_f64 v[138:139], v[140:141], v[136:137], v[138:139]
	v_add_f64 v[118:119], v[118:119], -v[138:139]
	ds_load_2addr_b64 v[138:141], v160 offset0:10 offset1:11
	s_waitcnt lgkmcnt(0)
	v_mul_f64 v[120:121], v[140:141], v[122:123]
	s_delay_alu instid0(VALU_DEP_1) | instskip(SKIP_1) | instid1(VALU_DEP_2)
	v_fma_f64 v[120:121], v[138:139], v[136:137], -v[120:121]
	v_mul_f64 v[138:139], v[138:139], v[122:123]
	v_add_f64 v[112:113], v[112:113], -v[120:121]
	s_delay_alu instid0(VALU_DEP_2) | instskip(NEXT) | instid1(VALU_DEP_1)
	v_fma_f64 v[138:139], v[140:141], v[136:137], v[138:139]
	v_add_f64 v[114:115], v[114:115], -v[138:139]
	;; [unrolled: 10-line block ×29, first 2 shown]
	ds_load_2addr_b64 v[138:141], v160 offset0:66 offset1:67
	s_waitcnt lgkmcnt(0)
	v_mul_f64 v[120:121], v[140:141], v[122:123]
	s_delay_alu instid0(VALU_DEP_1) | instskip(SKIP_1) | instid1(VALU_DEP_2)
	v_fma_f64 v[120:121], v[138:139], v[136:137], -v[120:121]
	v_mul_f64 v[138:139], v[138:139], v[122:123]
	v_add_f64 v[0:1], v[0:1], -v[120:121]
	s_delay_alu instid0(VALU_DEP_2) | instskip(SKIP_1) | instid1(VALU_DEP_2)
	v_fma_f64 v[138:139], v[140:141], v[136:137], v[138:139]
	v_dual_mov_b32 v120, v136 :: v_dual_mov_b32 v121, v137
	v_add_f64 v[2:3], v[2:3], -v[138:139]
.LBB67_37:
	s_or_b32 exec_lo, exec_lo, s3
	s_delay_alu instid0(SALU_CYCLE_1)
	s_mov_b32 s4, exec_lo
	s_waitcnt_vscnt null, 0x0
	s_barrier
	buffer_gl0_inv
	v_cmpx_eq_u32_e32 4, v158
	s_cbranch_execz .LBB67_44
; %bb.38:
	ds_store_2addr_b64 v159, v[116:117], v[118:119] offset1:1
	ds_store_2addr_b64 v160, v[112:113], v[114:115] offset0:10 offset1:11
	ds_store_2addr_b64 v160, v[108:109], v[110:111] offset0:12 offset1:13
	;; [unrolled: 1-line block ×29, first 2 shown]
	ds_load_2addr_b64 v[136:139], v159 offset1:1
	s_waitcnt lgkmcnt(0)
	v_cmp_neq_f64_e32 vcc_lo, 0, v[136:137]
	v_cmp_neq_f64_e64 s3, 0, v[138:139]
	s_delay_alu instid0(VALU_DEP_1) | instskip(NEXT) | instid1(SALU_CYCLE_1)
	s_or_b32 s3, vcc_lo, s3
	s_and_b32 exec_lo, exec_lo, s3
	s_cbranch_execz .LBB67_44
; %bb.39:
	v_cmp_gt_f64_e32 vcc_lo, 0, v[136:137]
	v_cmp_gt_f64_e64 s3, 0, v[138:139]
	v_xor_b32_e32 v140, 0x80000000, v137
	v_xor_b32_e32 v142, 0x80000000, v139
                                        ; implicit-def: $vgpr144_vgpr145
	s_delay_alu instid0(VALU_DEP_2) | instskip(NEXT) | instid1(VALU_DEP_2)
	v_cndmask_b32_e32 v141, v137, v140, vcc_lo
	v_cndmask_b32_e64 v143, v139, v142, s3
	v_cndmask_b32_e32 v140, v136, v136, vcc_lo
	v_cndmask_b32_e64 v142, v138, v138, s3
	s_mov_b32 s3, exec_lo
	s_delay_alu instid0(VALU_DEP_1)
	v_cmpx_ngt_f64_e32 v[140:141], v[142:143]
	s_xor_b32 s3, exec_lo, s3
                                        ; implicit-def: $vgpr140_vgpr141_vgpr142_vgpr143
	s_cbranch_execz .LBB67_41
; %bb.40:
	v_div_scale_f64 v[140:141], null, v[138:139], v[138:139], v[136:137]
	v_div_scale_f64 v[146:147], vcc_lo, v[136:137], v[138:139], v[136:137]
	s_delay_alu instid0(VALU_DEP_2) | instskip(SKIP_2) | instid1(VALU_DEP_1)
	v_rcp_f64_e32 v[142:143], v[140:141]
	s_waitcnt_depctr 0xfff
	v_fma_f64 v[144:145], -v[140:141], v[142:143], 1.0
	v_fma_f64 v[142:143], v[142:143], v[144:145], v[142:143]
	s_delay_alu instid0(VALU_DEP_1) | instskip(NEXT) | instid1(VALU_DEP_1)
	v_fma_f64 v[144:145], -v[140:141], v[142:143], 1.0
	v_fma_f64 v[142:143], v[142:143], v[144:145], v[142:143]
	s_delay_alu instid0(VALU_DEP_1) | instskip(NEXT) | instid1(VALU_DEP_1)
	v_mul_f64 v[144:145], v[146:147], v[142:143]
	v_fma_f64 v[140:141], -v[140:141], v[144:145], v[146:147]
	s_delay_alu instid0(VALU_DEP_1) | instskip(NEXT) | instid1(VALU_DEP_1)
	v_div_fmas_f64 v[140:141], v[140:141], v[142:143], v[144:145]
	v_div_fixup_f64 v[140:141], v[140:141], v[138:139], v[136:137]
	s_delay_alu instid0(VALU_DEP_1) | instskip(NEXT) | instid1(VALU_DEP_1)
	v_fma_f64 v[136:137], v[136:137], v[140:141], v[138:139]
	v_div_scale_f64 v[138:139], null, v[136:137], v[136:137], 1.0
	s_delay_alu instid0(VALU_DEP_1) | instskip(SKIP_2) | instid1(VALU_DEP_1)
	v_rcp_f64_e32 v[142:143], v[138:139]
	s_waitcnt_depctr 0xfff
	v_fma_f64 v[144:145], -v[138:139], v[142:143], 1.0
	v_fma_f64 v[142:143], v[142:143], v[144:145], v[142:143]
	s_delay_alu instid0(VALU_DEP_1) | instskip(NEXT) | instid1(VALU_DEP_1)
	v_fma_f64 v[144:145], -v[138:139], v[142:143], 1.0
	v_fma_f64 v[142:143], v[142:143], v[144:145], v[142:143]
	v_div_scale_f64 v[144:145], vcc_lo, 1.0, v[136:137], 1.0
	s_delay_alu instid0(VALU_DEP_1) | instskip(NEXT) | instid1(VALU_DEP_1)
	v_mul_f64 v[146:147], v[144:145], v[142:143]
	v_fma_f64 v[138:139], -v[138:139], v[146:147], v[144:145]
	s_delay_alu instid0(VALU_DEP_1) | instskip(NEXT) | instid1(VALU_DEP_1)
	v_div_fmas_f64 v[138:139], v[138:139], v[142:143], v[146:147]
	v_div_fixup_f64 v[142:143], v[138:139], v[136:137], 1.0
                                        ; implicit-def: $vgpr136_vgpr137
	s_delay_alu instid0(VALU_DEP_1)
	v_mul_f64 v[144:145], v[140:141], v[142:143]
	v_xor_b32_e32 v143, 0x80000000, v143
.LBB67_41:
	s_and_not1_saveexec_b32 s3, s3
	s_cbranch_execz .LBB67_43
; %bb.42:
	v_div_scale_f64 v[140:141], null, v[136:137], v[136:137], v[138:139]
	v_div_scale_f64 v[146:147], vcc_lo, v[138:139], v[136:137], v[138:139]
	s_delay_alu instid0(VALU_DEP_2) | instskip(SKIP_2) | instid1(VALU_DEP_1)
	v_rcp_f64_e32 v[142:143], v[140:141]
	s_waitcnt_depctr 0xfff
	v_fma_f64 v[144:145], -v[140:141], v[142:143], 1.0
	v_fma_f64 v[142:143], v[142:143], v[144:145], v[142:143]
	s_delay_alu instid0(VALU_DEP_1) | instskip(NEXT) | instid1(VALU_DEP_1)
	v_fma_f64 v[144:145], -v[140:141], v[142:143], 1.0
	v_fma_f64 v[142:143], v[142:143], v[144:145], v[142:143]
	s_delay_alu instid0(VALU_DEP_1) | instskip(NEXT) | instid1(VALU_DEP_1)
	v_mul_f64 v[144:145], v[146:147], v[142:143]
	v_fma_f64 v[140:141], -v[140:141], v[144:145], v[146:147]
	s_delay_alu instid0(VALU_DEP_1) | instskip(NEXT) | instid1(VALU_DEP_1)
	v_div_fmas_f64 v[140:141], v[140:141], v[142:143], v[144:145]
	v_div_fixup_f64 v[140:141], v[140:141], v[136:137], v[138:139]
	s_delay_alu instid0(VALU_DEP_1) | instskip(NEXT) | instid1(VALU_DEP_1)
	v_fma_f64 v[136:137], v[138:139], v[140:141], v[136:137]
	v_div_scale_f64 v[138:139], null, v[136:137], v[136:137], 1.0
	s_delay_alu instid0(VALU_DEP_1) | instskip(SKIP_2) | instid1(VALU_DEP_1)
	v_rcp_f64_e32 v[142:143], v[138:139]
	s_waitcnt_depctr 0xfff
	v_fma_f64 v[144:145], -v[138:139], v[142:143], 1.0
	v_fma_f64 v[142:143], v[142:143], v[144:145], v[142:143]
	s_delay_alu instid0(VALU_DEP_1) | instskip(NEXT) | instid1(VALU_DEP_1)
	v_fma_f64 v[144:145], -v[138:139], v[142:143], 1.0
	v_fma_f64 v[142:143], v[142:143], v[144:145], v[142:143]
	v_div_scale_f64 v[144:145], vcc_lo, 1.0, v[136:137], 1.0
	s_delay_alu instid0(VALU_DEP_1) | instskip(NEXT) | instid1(VALU_DEP_1)
	v_mul_f64 v[146:147], v[144:145], v[142:143]
	v_fma_f64 v[138:139], -v[138:139], v[146:147], v[144:145]
	s_delay_alu instid0(VALU_DEP_1) | instskip(NEXT) | instid1(VALU_DEP_1)
	v_div_fmas_f64 v[138:139], v[138:139], v[142:143], v[146:147]
	v_div_fixup_f64 v[144:145], v[138:139], v[136:137], 1.0
	s_delay_alu instid0(VALU_DEP_1)
	v_mul_f64 v[142:143], v[140:141], -v[144:145]
.LBB67_43:
	s_or_b32 exec_lo, exec_lo, s3
	ds_store_2addr_b64 v159, v[144:145], v[142:143] offset1:1
.LBB67_44:
	s_or_b32 exec_lo, exec_lo, s4
	s_waitcnt lgkmcnt(0)
	s_barrier
	buffer_gl0_inv
	ds_load_2addr_b64 v[136:139], v159 offset1:1
	s_mov_b32 s3, exec_lo
	s_waitcnt lgkmcnt(0)
	scratch_store_b128 off, v[136:139], off offset:64 ; 16-byte Folded Spill
	v_cmpx_lt_u32_e32 4, v158
	s_cbranch_execz .LBB67_46
; %bb.45:
	scratch_load_b128 v[138:141], off, off offset:64 ; 16-byte Folded Reload
	s_waitcnt vmcnt(0)
	v_mul_f64 v[136:137], v[140:141], v[118:119]
	v_mul_f64 v[118:119], v[138:139], v[118:119]
	s_delay_alu instid0(VALU_DEP_2) | instskip(NEXT) | instid1(VALU_DEP_2)
	v_fma_f64 v[136:137], v[138:139], v[116:117], -v[136:137]
	v_fma_f64 v[118:119], v[140:141], v[116:117], v[118:119]
	ds_load_2addr_b64 v[138:141], v160 offset0:10 offset1:11
	s_waitcnt lgkmcnt(0)
	v_mul_f64 v[116:117], v[140:141], v[118:119]
	s_delay_alu instid0(VALU_DEP_1) | instskip(SKIP_1) | instid1(VALU_DEP_2)
	v_fma_f64 v[116:117], v[138:139], v[136:137], -v[116:117]
	v_mul_f64 v[138:139], v[138:139], v[118:119]
	v_add_f64 v[112:113], v[112:113], -v[116:117]
	s_delay_alu instid0(VALU_DEP_2) | instskip(NEXT) | instid1(VALU_DEP_1)
	v_fma_f64 v[138:139], v[140:141], v[136:137], v[138:139]
	v_add_f64 v[114:115], v[114:115], -v[138:139]
	ds_load_2addr_b64 v[138:141], v160 offset0:12 offset1:13
	s_waitcnt lgkmcnt(0)
	v_mul_f64 v[116:117], v[140:141], v[118:119]
	s_delay_alu instid0(VALU_DEP_1) | instskip(SKIP_1) | instid1(VALU_DEP_2)
	v_fma_f64 v[116:117], v[138:139], v[136:137], -v[116:117]
	v_mul_f64 v[138:139], v[138:139], v[118:119]
	v_add_f64 v[108:109], v[108:109], -v[116:117]
	s_delay_alu instid0(VALU_DEP_2) | instskip(NEXT) | instid1(VALU_DEP_1)
	v_fma_f64 v[138:139], v[140:141], v[136:137], v[138:139]
	v_add_f64 v[110:111], v[110:111], -v[138:139]
	;; [unrolled: 10-line block ×28, first 2 shown]
	ds_load_2addr_b64 v[138:141], v160 offset0:66 offset1:67
	s_waitcnt lgkmcnt(0)
	v_mul_f64 v[116:117], v[140:141], v[118:119]
	s_delay_alu instid0(VALU_DEP_1) | instskip(SKIP_1) | instid1(VALU_DEP_2)
	v_fma_f64 v[116:117], v[138:139], v[136:137], -v[116:117]
	v_mul_f64 v[138:139], v[138:139], v[118:119]
	v_add_f64 v[0:1], v[0:1], -v[116:117]
	s_delay_alu instid0(VALU_DEP_2) | instskip(SKIP_1) | instid1(VALU_DEP_2)
	v_fma_f64 v[138:139], v[140:141], v[136:137], v[138:139]
	v_dual_mov_b32 v116, v136 :: v_dual_mov_b32 v117, v137
	v_add_f64 v[2:3], v[2:3], -v[138:139]
.LBB67_46:
	s_or_b32 exec_lo, exec_lo, s3
	s_delay_alu instid0(SALU_CYCLE_1)
	s_mov_b32 s4, exec_lo
	s_waitcnt_vscnt null, 0x0
	s_barrier
	buffer_gl0_inv
	v_cmpx_eq_u32_e32 5, v158
	s_cbranch_execz .LBB67_53
; %bb.47:
	ds_store_2addr_b64 v159, v[112:113], v[114:115] offset1:1
	ds_store_2addr_b64 v160, v[108:109], v[110:111] offset0:12 offset1:13
	ds_store_2addr_b64 v160, v[104:105], v[106:107] offset0:14 offset1:15
	;; [unrolled: 1-line block ×28, first 2 shown]
	ds_load_2addr_b64 v[136:139], v159 offset1:1
	s_waitcnt lgkmcnt(0)
	v_cmp_neq_f64_e32 vcc_lo, 0, v[136:137]
	v_cmp_neq_f64_e64 s3, 0, v[138:139]
	s_delay_alu instid0(VALU_DEP_1) | instskip(NEXT) | instid1(SALU_CYCLE_1)
	s_or_b32 s3, vcc_lo, s3
	s_and_b32 exec_lo, exec_lo, s3
	s_cbranch_execz .LBB67_53
; %bb.48:
	v_cmp_gt_f64_e32 vcc_lo, 0, v[136:137]
	v_cmp_gt_f64_e64 s3, 0, v[138:139]
	v_xor_b32_e32 v140, 0x80000000, v137
	v_xor_b32_e32 v142, 0x80000000, v139
                                        ; implicit-def: $vgpr144_vgpr145
	s_delay_alu instid0(VALU_DEP_2) | instskip(NEXT) | instid1(VALU_DEP_2)
	v_cndmask_b32_e32 v141, v137, v140, vcc_lo
	v_cndmask_b32_e64 v143, v139, v142, s3
	v_cndmask_b32_e32 v140, v136, v136, vcc_lo
	v_cndmask_b32_e64 v142, v138, v138, s3
	s_mov_b32 s3, exec_lo
	s_delay_alu instid0(VALU_DEP_1)
	v_cmpx_ngt_f64_e32 v[140:141], v[142:143]
	s_xor_b32 s3, exec_lo, s3
                                        ; implicit-def: $vgpr140_vgpr141_vgpr142_vgpr143
	s_cbranch_execz .LBB67_50
; %bb.49:
	v_div_scale_f64 v[140:141], null, v[138:139], v[138:139], v[136:137]
	v_div_scale_f64 v[146:147], vcc_lo, v[136:137], v[138:139], v[136:137]
	s_delay_alu instid0(VALU_DEP_2) | instskip(SKIP_2) | instid1(VALU_DEP_1)
	v_rcp_f64_e32 v[142:143], v[140:141]
	s_waitcnt_depctr 0xfff
	v_fma_f64 v[144:145], -v[140:141], v[142:143], 1.0
	v_fma_f64 v[142:143], v[142:143], v[144:145], v[142:143]
	s_delay_alu instid0(VALU_DEP_1) | instskip(NEXT) | instid1(VALU_DEP_1)
	v_fma_f64 v[144:145], -v[140:141], v[142:143], 1.0
	v_fma_f64 v[142:143], v[142:143], v[144:145], v[142:143]
	s_delay_alu instid0(VALU_DEP_1) | instskip(NEXT) | instid1(VALU_DEP_1)
	v_mul_f64 v[144:145], v[146:147], v[142:143]
	v_fma_f64 v[140:141], -v[140:141], v[144:145], v[146:147]
	s_delay_alu instid0(VALU_DEP_1) | instskip(NEXT) | instid1(VALU_DEP_1)
	v_div_fmas_f64 v[140:141], v[140:141], v[142:143], v[144:145]
	v_div_fixup_f64 v[140:141], v[140:141], v[138:139], v[136:137]
	s_delay_alu instid0(VALU_DEP_1) | instskip(NEXT) | instid1(VALU_DEP_1)
	v_fma_f64 v[136:137], v[136:137], v[140:141], v[138:139]
	v_div_scale_f64 v[138:139], null, v[136:137], v[136:137], 1.0
	s_delay_alu instid0(VALU_DEP_1) | instskip(SKIP_2) | instid1(VALU_DEP_1)
	v_rcp_f64_e32 v[142:143], v[138:139]
	s_waitcnt_depctr 0xfff
	v_fma_f64 v[144:145], -v[138:139], v[142:143], 1.0
	v_fma_f64 v[142:143], v[142:143], v[144:145], v[142:143]
	s_delay_alu instid0(VALU_DEP_1) | instskip(NEXT) | instid1(VALU_DEP_1)
	v_fma_f64 v[144:145], -v[138:139], v[142:143], 1.0
	v_fma_f64 v[142:143], v[142:143], v[144:145], v[142:143]
	v_div_scale_f64 v[144:145], vcc_lo, 1.0, v[136:137], 1.0
	s_delay_alu instid0(VALU_DEP_1) | instskip(NEXT) | instid1(VALU_DEP_1)
	v_mul_f64 v[146:147], v[144:145], v[142:143]
	v_fma_f64 v[138:139], -v[138:139], v[146:147], v[144:145]
	s_delay_alu instid0(VALU_DEP_1) | instskip(NEXT) | instid1(VALU_DEP_1)
	v_div_fmas_f64 v[138:139], v[138:139], v[142:143], v[146:147]
	v_div_fixup_f64 v[142:143], v[138:139], v[136:137], 1.0
                                        ; implicit-def: $vgpr136_vgpr137
	s_delay_alu instid0(VALU_DEP_1)
	v_mul_f64 v[144:145], v[140:141], v[142:143]
	v_xor_b32_e32 v143, 0x80000000, v143
.LBB67_50:
	s_and_not1_saveexec_b32 s3, s3
	s_cbranch_execz .LBB67_52
; %bb.51:
	v_div_scale_f64 v[140:141], null, v[136:137], v[136:137], v[138:139]
	v_div_scale_f64 v[146:147], vcc_lo, v[138:139], v[136:137], v[138:139]
	s_delay_alu instid0(VALU_DEP_2) | instskip(SKIP_2) | instid1(VALU_DEP_1)
	v_rcp_f64_e32 v[142:143], v[140:141]
	s_waitcnt_depctr 0xfff
	v_fma_f64 v[144:145], -v[140:141], v[142:143], 1.0
	v_fma_f64 v[142:143], v[142:143], v[144:145], v[142:143]
	s_delay_alu instid0(VALU_DEP_1) | instskip(NEXT) | instid1(VALU_DEP_1)
	v_fma_f64 v[144:145], -v[140:141], v[142:143], 1.0
	v_fma_f64 v[142:143], v[142:143], v[144:145], v[142:143]
	s_delay_alu instid0(VALU_DEP_1) | instskip(NEXT) | instid1(VALU_DEP_1)
	v_mul_f64 v[144:145], v[146:147], v[142:143]
	v_fma_f64 v[140:141], -v[140:141], v[144:145], v[146:147]
	s_delay_alu instid0(VALU_DEP_1) | instskip(NEXT) | instid1(VALU_DEP_1)
	v_div_fmas_f64 v[140:141], v[140:141], v[142:143], v[144:145]
	v_div_fixup_f64 v[140:141], v[140:141], v[136:137], v[138:139]
	s_delay_alu instid0(VALU_DEP_1) | instskip(NEXT) | instid1(VALU_DEP_1)
	v_fma_f64 v[136:137], v[138:139], v[140:141], v[136:137]
	v_div_scale_f64 v[138:139], null, v[136:137], v[136:137], 1.0
	s_delay_alu instid0(VALU_DEP_1) | instskip(SKIP_2) | instid1(VALU_DEP_1)
	v_rcp_f64_e32 v[142:143], v[138:139]
	s_waitcnt_depctr 0xfff
	v_fma_f64 v[144:145], -v[138:139], v[142:143], 1.0
	v_fma_f64 v[142:143], v[142:143], v[144:145], v[142:143]
	s_delay_alu instid0(VALU_DEP_1) | instskip(NEXT) | instid1(VALU_DEP_1)
	v_fma_f64 v[144:145], -v[138:139], v[142:143], 1.0
	v_fma_f64 v[142:143], v[142:143], v[144:145], v[142:143]
	v_div_scale_f64 v[144:145], vcc_lo, 1.0, v[136:137], 1.0
	s_delay_alu instid0(VALU_DEP_1) | instskip(NEXT) | instid1(VALU_DEP_1)
	v_mul_f64 v[146:147], v[144:145], v[142:143]
	v_fma_f64 v[138:139], -v[138:139], v[146:147], v[144:145]
	s_delay_alu instid0(VALU_DEP_1) | instskip(NEXT) | instid1(VALU_DEP_1)
	v_div_fmas_f64 v[138:139], v[138:139], v[142:143], v[146:147]
	v_div_fixup_f64 v[144:145], v[138:139], v[136:137], 1.0
	s_delay_alu instid0(VALU_DEP_1)
	v_mul_f64 v[142:143], v[140:141], -v[144:145]
.LBB67_52:
	s_or_b32 exec_lo, exec_lo, s3
	ds_store_2addr_b64 v159, v[144:145], v[142:143] offset1:1
.LBB67_53:
	s_or_b32 exec_lo, exec_lo, s4
	s_waitcnt lgkmcnt(0)
	s_barrier
	buffer_gl0_inv
	ds_load_2addr_b64 v[136:139], v159 offset1:1
	s_mov_b32 s3, exec_lo
	s_waitcnt lgkmcnt(0)
	scratch_store_b128 off, v[136:139], off offset:80 ; 16-byte Folded Spill
	v_cmpx_lt_u32_e32 5, v158
	s_cbranch_execz .LBB67_55
; %bb.54:
	scratch_load_b128 v[138:141], off, off offset:80 ; 16-byte Folded Reload
	s_waitcnt vmcnt(0)
	v_mul_f64 v[136:137], v[140:141], v[114:115]
	v_mul_f64 v[114:115], v[138:139], v[114:115]
	s_delay_alu instid0(VALU_DEP_2) | instskip(NEXT) | instid1(VALU_DEP_2)
	v_fma_f64 v[136:137], v[138:139], v[112:113], -v[136:137]
	v_fma_f64 v[114:115], v[140:141], v[112:113], v[114:115]
	ds_load_2addr_b64 v[138:141], v160 offset0:12 offset1:13
	s_waitcnt lgkmcnt(0)
	v_mul_f64 v[112:113], v[140:141], v[114:115]
	s_delay_alu instid0(VALU_DEP_1) | instskip(SKIP_1) | instid1(VALU_DEP_2)
	v_fma_f64 v[112:113], v[138:139], v[136:137], -v[112:113]
	v_mul_f64 v[138:139], v[138:139], v[114:115]
	v_add_f64 v[108:109], v[108:109], -v[112:113]
	s_delay_alu instid0(VALU_DEP_2) | instskip(NEXT) | instid1(VALU_DEP_1)
	v_fma_f64 v[138:139], v[140:141], v[136:137], v[138:139]
	v_add_f64 v[110:111], v[110:111], -v[138:139]
	ds_load_2addr_b64 v[138:141], v160 offset0:14 offset1:15
	s_waitcnt lgkmcnt(0)
	v_mul_f64 v[112:113], v[140:141], v[114:115]
	s_delay_alu instid0(VALU_DEP_1) | instskip(SKIP_1) | instid1(VALU_DEP_2)
	v_fma_f64 v[112:113], v[138:139], v[136:137], -v[112:113]
	v_mul_f64 v[138:139], v[138:139], v[114:115]
	v_add_f64 v[104:105], v[104:105], -v[112:113]
	s_delay_alu instid0(VALU_DEP_2) | instskip(NEXT) | instid1(VALU_DEP_1)
	v_fma_f64 v[138:139], v[140:141], v[136:137], v[138:139]
	v_add_f64 v[106:107], v[106:107], -v[138:139]
	;; [unrolled: 10-line block ×27, first 2 shown]
	ds_load_2addr_b64 v[138:141], v160 offset0:66 offset1:67
	s_waitcnt lgkmcnt(0)
	v_mul_f64 v[112:113], v[140:141], v[114:115]
	s_delay_alu instid0(VALU_DEP_1) | instskip(SKIP_1) | instid1(VALU_DEP_2)
	v_fma_f64 v[112:113], v[138:139], v[136:137], -v[112:113]
	v_mul_f64 v[138:139], v[138:139], v[114:115]
	v_add_f64 v[0:1], v[0:1], -v[112:113]
	s_delay_alu instid0(VALU_DEP_2) | instskip(SKIP_1) | instid1(VALU_DEP_2)
	v_fma_f64 v[138:139], v[140:141], v[136:137], v[138:139]
	v_dual_mov_b32 v112, v136 :: v_dual_mov_b32 v113, v137
	v_add_f64 v[2:3], v[2:3], -v[138:139]
.LBB67_55:
	s_or_b32 exec_lo, exec_lo, s3
	s_delay_alu instid0(SALU_CYCLE_1)
	s_mov_b32 s4, exec_lo
	s_waitcnt_vscnt null, 0x0
	s_barrier
	buffer_gl0_inv
	v_cmpx_eq_u32_e32 6, v158
	s_cbranch_execz .LBB67_62
; %bb.56:
	ds_store_2addr_b64 v159, v[108:109], v[110:111] offset1:1
	ds_store_2addr_b64 v160, v[104:105], v[106:107] offset0:14 offset1:15
	ds_store_2addr_b64 v160, v[100:101], v[102:103] offset0:16 offset1:17
	ds_store_2addr_b64 v160, v[96:97], v[98:99] offset0:18 offset1:19
	ds_store_2addr_b64 v160, v[92:93], v[94:95] offset0:20 offset1:21
	ds_store_2addr_b64 v160, v[88:89], v[90:91] offset0:22 offset1:23
	ds_store_2addr_b64 v160, v[84:85], v[86:87] offset0:24 offset1:25
	ds_store_2addr_b64 v160, v[80:81], v[82:83] offset0:26 offset1:27
	ds_store_2addr_b64 v160, v[76:77], v[78:79] offset0:28 offset1:29
	ds_store_2addr_b64 v160, v[72:73], v[74:75] offset0:30 offset1:31
	ds_store_2addr_b64 v160, v[68:69], v[70:71] offset0:32 offset1:33
	ds_store_2addr_b64 v160, v[64:65], v[66:67] offset0:34 offset1:35
	ds_store_2addr_b64 v160, v[60:61], v[62:63] offset0:36 offset1:37
	ds_store_2addr_b64 v160, v[56:57], v[58:59] offset0:38 offset1:39
	ds_store_2addr_b64 v160, v[52:53], v[54:55] offset0:40 offset1:41
	ds_store_2addr_b64 v160, v[48:49], v[50:51] offset0:42 offset1:43
	ds_store_2addr_b64 v160, v[44:45], v[46:47] offset0:44 offset1:45
	ds_store_2addr_b64 v160, v[40:41], v[42:43] offset0:46 offset1:47
	ds_store_2addr_b64 v160, v[36:37], v[38:39] offset0:48 offset1:49
	ds_store_2addr_b64 v160, v[32:33], v[34:35] offset0:50 offset1:51
	ds_store_2addr_b64 v160, v[28:29], v[30:31] offset0:52 offset1:53
	ds_store_2addr_b64 v160, v[24:25], v[26:27] offset0:54 offset1:55
	ds_store_2addr_b64 v160, v[20:21], v[22:23] offset0:56 offset1:57
	ds_store_2addr_b64 v160, v[16:17], v[18:19] offset0:58 offset1:59
	ds_store_2addr_b64 v160, v[12:13], v[14:15] offset0:60 offset1:61
	ds_store_2addr_b64 v160, v[8:9], v[10:11] offset0:62 offset1:63
	ds_store_2addr_b64 v160, v[4:5], v[6:7] offset0:64 offset1:65
	ds_store_2addr_b64 v160, v[0:1], v[2:3] offset0:66 offset1:67
	ds_load_2addr_b64 v[136:139], v159 offset1:1
	s_waitcnt lgkmcnt(0)
	v_cmp_neq_f64_e32 vcc_lo, 0, v[136:137]
	v_cmp_neq_f64_e64 s3, 0, v[138:139]
	s_delay_alu instid0(VALU_DEP_1) | instskip(NEXT) | instid1(SALU_CYCLE_1)
	s_or_b32 s3, vcc_lo, s3
	s_and_b32 exec_lo, exec_lo, s3
	s_cbranch_execz .LBB67_62
; %bb.57:
	v_cmp_gt_f64_e32 vcc_lo, 0, v[136:137]
	v_cmp_gt_f64_e64 s3, 0, v[138:139]
	v_xor_b32_e32 v140, 0x80000000, v137
	v_xor_b32_e32 v142, 0x80000000, v139
                                        ; implicit-def: $vgpr144_vgpr145
	s_delay_alu instid0(VALU_DEP_2) | instskip(NEXT) | instid1(VALU_DEP_2)
	v_cndmask_b32_e32 v141, v137, v140, vcc_lo
	v_cndmask_b32_e64 v143, v139, v142, s3
	v_cndmask_b32_e32 v140, v136, v136, vcc_lo
	v_cndmask_b32_e64 v142, v138, v138, s3
	s_mov_b32 s3, exec_lo
	s_delay_alu instid0(VALU_DEP_1)
	v_cmpx_ngt_f64_e32 v[140:141], v[142:143]
	s_xor_b32 s3, exec_lo, s3
                                        ; implicit-def: $vgpr140_vgpr141_vgpr142_vgpr143
	s_cbranch_execz .LBB67_59
; %bb.58:
	v_div_scale_f64 v[140:141], null, v[138:139], v[138:139], v[136:137]
	v_div_scale_f64 v[146:147], vcc_lo, v[136:137], v[138:139], v[136:137]
	s_delay_alu instid0(VALU_DEP_2) | instskip(SKIP_2) | instid1(VALU_DEP_1)
	v_rcp_f64_e32 v[142:143], v[140:141]
	s_waitcnt_depctr 0xfff
	v_fma_f64 v[144:145], -v[140:141], v[142:143], 1.0
	v_fma_f64 v[142:143], v[142:143], v[144:145], v[142:143]
	s_delay_alu instid0(VALU_DEP_1) | instskip(NEXT) | instid1(VALU_DEP_1)
	v_fma_f64 v[144:145], -v[140:141], v[142:143], 1.0
	v_fma_f64 v[142:143], v[142:143], v[144:145], v[142:143]
	s_delay_alu instid0(VALU_DEP_1) | instskip(NEXT) | instid1(VALU_DEP_1)
	v_mul_f64 v[144:145], v[146:147], v[142:143]
	v_fma_f64 v[140:141], -v[140:141], v[144:145], v[146:147]
	s_delay_alu instid0(VALU_DEP_1) | instskip(NEXT) | instid1(VALU_DEP_1)
	v_div_fmas_f64 v[140:141], v[140:141], v[142:143], v[144:145]
	v_div_fixup_f64 v[140:141], v[140:141], v[138:139], v[136:137]
	s_delay_alu instid0(VALU_DEP_1) | instskip(NEXT) | instid1(VALU_DEP_1)
	v_fma_f64 v[136:137], v[136:137], v[140:141], v[138:139]
	v_div_scale_f64 v[138:139], null, v[136:137], v[136:137], 1.0
	s_delay_alu instid0(VALU_DEP_1) | instskip(SKIP_2) | instid1(VALU_DEP_1)
	v_rcp_f64_e32 v[142:143], v[138:139]
	s_waitcnt_depctr 0xfff
	v_fma_f64 v[144:145], -v[138:139], v[142:143], 1.0
	v_fma_f64 v[142:143], v[142:143], v[144:145], v[142:143]
	s_delay_alu instid0(VALU_DEP_1) | instskip(NEXT) | instid1(VALU_DEP_1)
	v_fma_f64 v[144:145], -v[138:139], v[142:143], 1.0
	v_fma_f64 v[142:143], v[142:143], v[144:145], v[142:143]
	v_div_scale_f64 v[144:145], vcc_lo, 1.0, v[136:137], 1.0
	s_delay_alu instid0(VALU_DEP_1) | instskip(NEXT) | instid1(VALU_DEP_1)
	v_mul_f64 v[146:147], v[144:145], v[142:143]
	v_fma_f64 v[138:139], -v[138:139], v[146:147], v[144:145]
	s_delay_alu instid0(VALU_DEP_1) | instskip(NEXT) | instid1(VALU_DEP_1)
	v_div_fmas_f64 v[138:139], v[138:139], v[142:143], v[146:147]
	v_div_fixup_f64 v[142:143], v[138:139], v[136:137], 1.0
                                        ; implicit-def: $vgpr136_vgpr137
	s_delay_alu instid0(VALU_DEP_1)
	v_mul_f64 v[144:145], v[140:141], v[142:143]
	v_xor_b32_e32 v143, 0x80000000, v143
.LBB67_59:
	s_and_not1_saveexec_b32 s3, s3
	s_cbranch_execz .LBB67_61
; %bb.60:
	v_div_scale_f64 v[140:141], null, v[136:137], v[136:137], v[138:139]
	v_div_scale_f64 v[146:147], vcc_lo, v[138:139], v[136:137], v[138:139]
	s_delay_alu instid0(VALU_DEP_2) | instskip(SKIP_2) | instid1(VALU_DEP_1)
	v_rcp_f64_e32 v[142:143], v[140:141]
	s_waitcnt_depctr 0xfff
	v_fma_f64 v[144:145], -v[140:141], v[142:143], 1.0
	v_fma_f64 v[142:143], v[142:143], v[144:145], v[142:143]
	s_delay_alu instid0(VALU_DEP_1) | instskip(NEXT) | instid1(VALU_DEP_1)
	v_fma_f64 v[144:145], -v[140:141], v[142:143], 1.0
	v_fma_f64 v[142:143], v[142:143], v[144:145], v[142:143]
	s_delay_alu instid0(VALU_DEP_1) | instskip(NEXT) | instid1(VALU_DEP_1)
	v_mul_f64 v[144:145], v[146:147], v[142:143]
	v_fma_f64 v[140:141], -v[140:141], v[144:145], v[146:147]
	s_delay_alu instid0(VALU_DEP_1) | instskip(NEXT) | instid1(VALU_DEP_1)
	v_div_fmas_f64 v[140:141], v[140:141], v[142:143], v[144:145]
	v_div_fixup_f64 v[140:141], v[140:141], v[136:137], v[138:139]
	s_delay_alu instid0(VALU_DEP_1) | instskip(NEXT) | instid1(VALU_DEP_1)
	v_fma_f64 v[136:137], v[138:139], v[140:141], v[136:137]
	v_div_scale_f64 v[138:139], null, v[136:137], v[136:137], 1.0
	s_delay_alu instid0(VALU_DEP_1) | instskip(SKIP_2) | instid1(VALU_DEP_1)
	v_rcp_f64_e32 v[142:143], v[138:139]
	s_waitcnt_depctr 0xfff
	v_fma_f64 v[144:145], -v[138:139], v[142:143], 1.0
	v_fma_f64 v[142:143], v[142:143], v[144:145], v[142:143]
	s_delay_alu instid0(VALU_DEP_1) | instskip(NEXT) | instid1(VALU_DEP_1)
	v_fma_f64 v[144:145], -v[138:139], v[142:143], 1.0
	v_fma_f64 v[142:143], v[142:143], v[144:145], v[142:143]
	v_div_scale_f64 v[144:145], vcc_lo, 1.0, v[136:137], 1.0
	s_delay_alu instid0(VALU_DEP_1) | instskip(NEXT) | instid1(VALU_DEP_1)
	v_mul_f64 v[146:147], v[144:145], v[142:143]
	v_fma_f64 v[138:139], -v[138:139], v[146:147], v[144:145]
	s_delay_alu instid0(VALU_DEP_1) | instskip(NEXT) | instid1(VALU_DEP_1)
	v_div_fmas_f64 v[138:139], v[138:139], v[142:143], v[146:147]
	v_div_fixup_f64 v[144:145], v[138:139], v[136:137], 1.0
	s_delay_alu instid0(VALU_DEP_1)
	v_mul_f64 v[142:143], v[140:141], -v[144:145]
.LBB67_61:
	s_or_b32 exec_lo, exec_lo, s3
	ds_store_2addr_b64 v159, v[144:145], v[142:143] offset1:1
.LBB67_62:
	s_or_b32 exec_lo, exec_lo, s4
	s_waitcnt lgkmcnt(0)
	s_barrier
	buffer_gl0_inv
	ds_load_2addr_b64 v[136:139], v159 offset1:1
	s_mov_b32 s3, exec_lo
	s_waitcnt lgkmcnt(0)
	scratch_store_b128 off, v[136:139], off offset:96 ; 16-byte Folded Spill
	v_cmpx_lt_u32_e32 6, v158
	s_cbranch_execz .LBB67_64
; %bb.63:
	scratch_load_b128 v[138:141], off, off offset:96 ; 16-byte Folded Reload
	s_waitcnt vmcnt(0)
	v_mul_f64 v[136:137], v[140:141], v[110:111]
	v_mul_f64 v[110:111], v[138:139], v[110:111]
	s_delay_alu instid0(VALU_DEP_2) | instskip(NEXT) | instid1(VALU_DEP_2)
	v_fma_f64 v[136:137], v[138:139], v[108:109], -v[136:137]
	v_fma_f64 v[110:111], v[140:141], v[108:109], v[110:111]
	ds_load_2addr_b64 v[138:141], v160 offset0:14 offset1:15
	s_waitcnt lgkmcnt(0)
	v_mul_f64 v[108:109], v[140:141], v[110:111]
	s_delay_alu instid0(VALU_DEP_1) | instskip(SKIP_1) | instid1(VALU_DEP_2)
	v_fma_f64 v[108:109], v[138:139], v[136:137], -v[108:109]
	v_mul_f64 v[138:139], v[138:139], v[110:111]
	v_add_f64 v[104:105], v[104:105], -v[108:109]
	s_delay_alu instid0(VALU_DEP_2) | instskip(NEXT) | instid1(VALU_DEP_1)
	v_fma_f64 v[138:139], v[140:141], v[136:137], v[138:139]
	v_add_f64 v[106:107], v[106:107], -v[138:139]
	ds_load_2addr_b64 v[138:141], v160 offset0:16 offset1:17
	s_waitcnt lgkmcnt(0)
	v_mul_f64 v[108:109], v[140:141], v[110:111]
	s_delay_alu instid0(VALU_DEP_1) | instskip(SKIP_1) | instid1(VALU_DEP_2)
	v_fma_f64 v[108:109], v[138:139], v[136:137], -v[108:109]
	v_mul_f64 v[138:139], v[138:139], v[110:111]
	v_add_f64 v[100:101], v[100:101], -v[108:109]
	s_delay_alu instid0(VALU_DEP_2) | instskip(NEXT) | instid1(VALU_DEP_1)
	v_fma_f64 v[138:139], v[140:141], v[136:137], v[138:139]
	v_add_f64 v[102:103], v[102:103], -v[138:139]
	;; [unrolled: 10-line block ×26, first 2 shown]
	ds_load_2addr_b64 v[138:141], v160 offset0:66 offset1:67
	s_waitcnt lgkmcnt(0)
	v_mul_f64 v[108:109], v[140:141], v[110:111]
	s_delay_alu instid0(VALU_DEP_1) | instskip(SKIP_1) | instid1(VALU_DEP_2)
	v_fma_f64 v[108:109], v[138:139], v[136:137], -v[108:109]
	v_mul_f64 v[138:139], v[138:139], v[110:111]
	v_add_f64 v[0:1], v[0:1], -v[108:109]
	s_delay_alu instid0(VALU_DEP_2) | instskip(SKIP_1) | instid1(VALU_DEP_2)
	v_fma_f64 v[138:139], v[140:141], v[136:137], v[138:139]
	v_dual_mov_b32 v108, v136 :: v_dual_mov_b32 v109, v137
	v_add_f64 v[2:3], v[2:3], -v[138:139]
.LBB67_64:
	s_or_b32 exec_lo, exec_lo, s3
	s_delay_alu instid0(SALU_CYCLE_1)
	s_mov_b32 s4, exec_lo
	s_waitcnt_vscnt null, 0x0
	s_barrier
	buffer_gl0_inv
	v_cmpx_eq_u32_e32 7, v158
	s_cbranch_execz .LBB67_71
; %bb.65:
	ds_store_2addr_b64 v159, v[104:105], v[106:107] offset1:1
	ds_store_2addr_b64 v160, v[100:101], v[102:103] offset0:16 offset1:17
	ds_store_2addr_b64 v160, v[96:97], v[98:99] offset0:18 offset1:19
	;; [unrolled: 1-line block ×26, first 2 shown]
	ds_load_2addr_b64 v[136:139], v159 offset1:1
	s_waitcnt lgkmcnt(0)
	v_cmp_neq_f64_e32 vcc_lo, 0, v[136:137]
	v_cmp_neq_f64_e64 s3, 0, v[138:139]
	s_delay_alu instid0(VALU_DEP_1) | instskip(NEXT) | instid1(SALU_CYCLE_1)
	s_or_b32 s3, vcc_lo, s3
	s_and_b32 exec_lo, exec_lo, s3
	s_cbranch_execz .LBB67_71
; %bb.66:
	v_cmp_gt_f64_e32 vcc_lo, 0, v[136:137]
	v_cmp_gt_f64_e64 s3, 0, v[138:139]
	v_xor_b32_e32 v140, 0x80000000, v137
	v_xor_b32_e32 v142, 0x80000000, v139
                                        ; implicit-def: $vgpr144_vgpr145
	s_delay_alu instid0(VALU_DEP_2) | instskip(NEXT) | instid1(VALU_DEP_2)
	v_cndmask_b32_e32 v141, v137, v140, vcc_lo
	v_cndmask_b32_e64 v143, v139, v142, s3
	v_cndmask_b32_e32 v140, v136, v136, vcc_lo
	v_cndmask_b32_e64 v142, v138, v138, s3
	s_mov_b32 s3, exec_lo
	s_delay_alu instid0(VALU_DEP_1)
	v_cmpx_ngt_f64_e32 v[140:141], v[142:143]
	s_xor_b32 s3, exec_lo, s3
                                        ; implicit-def: $vgpr140_vgpr141_vgpr142_vgpr143
	s_cbranch_execz .LBB67_68
; %bb.67:
	v_div_scale_f64 v[140:141], null, v[138:139], v[138:139], v[136:137]
	v_div_scale_f64 v[146:147], vcc_lo, v[136:137], v[138:139], v[136:137]
	s_delay_alu instid0(VALU_DEP_2) | instskip(SKIP_2) | instid1(VALU_DEP_1)
	v_rcp_f64_e32 v[142:143], v[140:141]
	s_waitcnt_depctr 0xfff
	v_fma_f64 v[144:145], -v[140:141], v[142:143], 1.0
	v_fma_f64 v[142:143], v[142:143], v[144:145], v[142:143]
	s_delay_alu instid0(VALU_DEP_1) | instskip(NEXT) | instid1(VALU_DEP_1)
	v_fma_f64 v[144:145], -v[140:141], v[142:143], 1.0
	v_fma_f64 v[142:143], v[142:143], v[144:145], v[142:143]
	s_delay_alu instid0(VALU_DEP_1) | instskip(NEXT) | instid1(VALU_DEP_1)
	v_mul_f64 v[144:145], v[146:147], v[142:143]
	v_fma_f64 v[140:141], -v[140:141], v[144:145], v[146:147]
	s_delay_alu instid0(VALU_DEP_1) | instskip(NEXT) | instid1(VALU_DEP_1)
	v_div_fmas_f64 v[140:141], v[140:141], v[142:143], v[144:145]
	v_div_fixup_f64 v[140:141], v[140:141], v[138:139], v[136:137]
	s_delay_alu instid0(VALU_DEP_1) | instskip(NEXT) | instid1(VALU_DEP_1)
	v_fma_f64 v[136:137], v[136:137], v[140:141], v[138:139]
	v_div_scale_f64 v[138:139], null, v[136:137], v[136:137], 1.0
	s_delay_alu instid0(VALU_DEP_1) | instskip(SKIP_2) | instid1(VALU_DEP_1)
	v_rcp_f64_e32 v[142:143], v[138:139]
	s_waitcnt_depctr 0xfff
	v_fma_f64 v[144:145], -v[138:139], v[142:143], 1.0
	v_fma_f64 v[142:143], v[142:143], v[144:145], v[142:143]
	s_delay_alu instid0(VALU_DEP_1) | instskip(NEXT) | instid1(VALU_DEP_1)
	v_fma_f64 v[144:145], -v[138:139], v[142:143], 1.0
	v_fma_f64 v[142:143], v[142:143], v[144:145], v[142:143]
	v_div_scale_f64 v[144:145], vcc_lo, 1.0, v[136:137], 1.0
	s_delay_alu instid0(VALU_DEP_1) | instskip(NEXT) | instid1(VALU_DEP_1)
	v_mul_f64 v[146:147], v[144:145], v[142:143]
	v_fma_f64 v[138:139], -v[138:139], v[146:147], v[144:145]
	s_delay_alu instid0(VALU_DEP_1) | instskip(NEXT) | instid1(VALU_DEP_1)
	v_div_fmas_f64 v[138:139], v[138:139], v[142:143], v[146:147]
	v_div_fixup_f64 v[142:143], v[138:139], v[136:137], 1.0
                                        ; implicit-def: $vgpr136_vgpr137
	s_delay_alu instid0(VALU_DEP_1)
	v_mul_f64 v[144:145], v[140:141], v[142:143]
	v_xor_b32_e32 v143, 0x80000000, v143
.LBB67_68:
	s_and_not1_saveexec_b32 s3, s3
	s_cbranch_execz .LBB67_70
; %bb.69:
	v_div_scale_f64 v[140:141], null, v[136:137], v[136:137], v[138:139]
	v_div_scale_f64 v[146:147], vcc_lo, v[138:139], v[136:137], v[138:139]
	s_delay_alu instid0(VALU_DEP_2) | instskip(SKIP_2) | instid1(VALU_DEP_1)
	v_rcp_f64_e32 v[142:143], v[140:141]
	s_waitcnt_depctr 0xfff
	v_fma_f64 v[144:145], -v[140:141], v[142:143], 1.0
	v_fma_f64 v[142:143], v[142:143], v[144:145], v[142:143]
	s_delay_alu instid0(VALU_DEP_1) | instskip(NEXT) | instid1(VALU_DEP_1)
	v_fma_f64 v[144:145], -v[140:141], v[142:143], 1.0
	v_fma_f64 v[142:143], v[142:143], v[144:145], v[142:143]
	s_delay_alu instid0(VALU_DEP_1) | instskip(NEXT) | instid1(VALU_DEP_1)
	v_mul_f64 v[144:145], v[146:147], v[142:143]
	v_fma_f64 v[140:141], -v[140:141], v[144:145], v[146:147]
	s_delay_alu instid0(VALU_DEP_1) | instskip(NEXT) | instid1(VALU_DEP_1)
	v_div_fmas_f64 v[140:141], v[140:141], v[142:143], v[144:145]
	v_div_fixup_f64 v[140:141], v[140:141], v[136:137], v[138:139]
	s_delay_alu instid0(VALU_DEP_1) | instskip(NEXT) | instid1(VALU_DEP_1)
	v_fma_f64 v[136:137], v[138:139], v[140:141], v[136:137]
	v_div_scale_f64 v[138:139], null, v[136:137], v[136:137], 1.0
	s_delay_alu instid0(VALU_DEP_1) | instskip(SKIP_2) | instid1(VALU_DEP_1)
	v_rcp_f64_e32 v[142:143], v[138:139]
	s_waitcnt_depctr 0xfff
	v_fma_f64 v[144:145], -v[138:139], v[142:143], 1.0
	v_fma_f64 v[142:143], v[142:143], v[144:145], v[142:143]
	s_delay_alu instid0(VALU_DEP_1) | instskip(NEXT) | instid1(VALU_DEP_1)
	v_fma_f64 v[144:145], -v[138:139], v[142:143], 1.0
	v_fma_f64 v[142:143], v[142:143], v[144:145], v[142:143]
	v_div_scale_f64 v[144:145], vcc_lo, 1.0, v[136:137], 1.0
	s_delay_alu instid0(VALU_DEP_1) | instskip(NEXT) | instid1(VALU_DEP_1)
	v_mul_f64 v[146:147], v[144:145], v[142:143]
	v_fma_f64 v[138:139], -v[138:139], v[146:147], v[144:145]
	s_delay_alu instid0(VALU_DEP_1) | instskip(NEXT) | instid1(VALU_DEP_1)
	v_div_fmas_f64 v[138:139], v[138:139], v[142:143], v[146:147]
	v_div_fixup_f64 v[144:145], v[138:139], v[136:137], 1.0
	s_delay_alu instid0(VALU_DEP_1)
	v_mul_f64 v[142:143], v[140:141], -v[144:145]
.LBB67_70:
	s_or_b32 exec_lo, exec_lo, s3
	ds_store_2addr_b64 v159, v[144:145], v[142:143] offset1:1
.LBB67_71:
	s_or_b32 exec_lo, exec_lo, s4
	s_waitcnt lgkmcnt(0)
	s_barrier
	buffer_gl0_inv
	ds_load_2addr_b64 v[136:139], v159 offset1:1
	s_mov_b32 s3, exec_lo
	s_waitcnt lgkmcnt(0)
	scratch_store_b128 off, v[136:139], off offset:112 ; 16-byte Folded Spill
	v_cmpx_lt_u32_e32 7, v158
	s_cbranch_execz .LBB67_73
; %bb.72:
	scratch_load_b128 v[138:141], off, off offset:112 ; 16-byte Folded Reload
	s_waitcnt vmcnt(0)
	v_mul_f64 v[136:137], v[140:141], v[106:107]
	v_mul_f64 v[106:107], v[138:139], v[106:107]
	s_delay_alu instid0(VALU_DEP_2) | instskip(NEXT) | instid1(VALU_DEP_2)
	v_fma_f64 v[136:137], v[138:139], v[104:105], -v[136:137]
	v_fma_f64 v[106:107], v[140:141], v[104:105], v[106:107]
	ds_load_2addr_b64 v[138:141], v160 offset0:16 offset1:17
	s_waitcnt lgkmcnt(0)
	v_mul_f64 v[104:105], v[140:141], v[106:107]
	s_delay_alu instid0(VALU_DEP_1) | instskip(SKIP_1) | instid1(VALU_DEP_2)
	v_fma_f64 v[104:105], v[138:139], v[136:137], -v[104:105]
	v_mul_f64 v[138:139], v[138:139], v[106:107]
	v_add_f64 v[100:101], v[100:101], -v[104:105]
	s_delay_alu instid0(VALU_DEP_2) | instskip(NEXT) | instid1(VALU_DEP_1)
	v_fma_f64 v[138:139], v[140:141], v[136:137], v[138:139]
	v_add_f64 v[102:103], v[102:103], -v[138:139]
	ds_load_2addr_b64 v[138:141], v160 offset0:18 offset1:19
	s_waitcnt lgkmcnt(0)
	v_mul_f64 v[104:105], v[140:141], v[106:107]
	s_delay_alu instid0(VALU_DEP_1) | instskip(SKIP_1) | instid1(VALU_DEP_2)
	v_fma_f64 v[104:105], v[138:139], v[136:137], -v[104:105]
	v_mul_f64 v[138:139], v[138:139], v[106:107]
	v_add_f64 v[96:97], v[96:97], -v[104:105]
	s_delay_alu instid0(VALU_DEP_2) | instskip(NEXT) | instid1(VALU_DEP_1)
	v_fma_f64 v[138:139], v[140:141], v[136:137], v[138:139]
	v_add_f64 v[98:99], v[98:99], -v[138:139]
	;; [unrolled: 10-line block ×25, first 2 shown]
	ds_load_2addr_b64 v[138:141], v160 offset0:66 offset1:67
	s_waitcnt lgkmcnt(0)
	v_mul_f64 v[104:105], v[140:141], v[106:107]
	s_delay_alu instid0(VALU_DEP_1) | instskip(SKIP_1) | instid1(VALU_DEP_2)
	v_fma_f64 v[104:105], v[138:139], v[136:137], -v[104:105]
	v_mul_f64 v[138:139], v[138:139], v[106:107]
	v_add_f64 v[0:1], v[0:1], -v[104:105]
	s_delay_alu instid0(VALU_DEP_2) | instskip(SKIP_1) | instid1(VALU_DEP_2)
	v_fma_f64 v[138:139], v[140:141], v[136:137], v[138:139]
	v_dual_mov_b32 v104, v136 :: v_dual_mov_b32 v105, v137
	v_add_f64 v[2:3], v[2:3], -v[138:139]
.LBB67_73:
	s_or_b32 exec_lo, exec_lo, s3
	s_delay_alu instid0(SALU_CYCLE_1)
	s_mov_b32 s4, exec_lo
	s_waitcnt_vscnt null, 0x0
	s_barrier
	buffer_gl0_inv
	v_cmpx_eq_u32_e32 8, v158
	s_cbranch_execz .LBB67_80
; %bb.74:
	ds_store_2addr_b64 v159, v[100:101], v[102:103] offset1:1
	ds_store_2addr_b64 v160, v[96:97], v[98:99] offset0:18 offset1:19
	ds_store_2addr_b64 v160, v[92:93], v[94:95] offset0:20 offset1:21
	;; [unrolled: 1-line block ×25, first 2 shown]
	ds_load_2addr_b64 v[136:139], v159 offset1:1
	s_waitcnt lgkmcnt(0)
	v_cmp_neq_f64_e32 vcc_lo, 0, v[136:137]
	v_cmp_neq_f64_e64 s3, 0, v[138:139]
	s_delay_alu instid0(VALU_DEP_1) | instskip(NEXT) | instid1(SALU_CYCLE_1)
	s_or_b32 s3, vcc_lo, s3
	s_and_b32 exec_lo, exec_lo, s3
	s_cbranch_execz .LBB67_80
; %bb.75:
	v_cmp_gt_f64_e32 vcc_lo, 0, v[136:137]
	v_cmp_gt_f64_e64 s3, 0, v[138:139]
	v_xor_b32_e32 v140, 0x80000000, v137
	v_xor_b32_e32 v142, 0x80000000, v139
                                        ; implicit-def: $vgpr144_vgpr145
	s_delay_alu instid0(VALU_DEP_2) | instskip(NEXT) | instid1(VALU_DEP_2)
	v_cndmask_b32_e32 v141, v137, v140, vcc_lo
	v_cndmask_b32_e64 v143, v139, v142, s3
	v_cndmask_b32_e32 v140, v136, v136, vcc_lo
	v_cndmask_b32_e64 v142, v138, v138, s3
	s_mov_b32 s3, exec_lo
	s_delay_alu instid0(VALU_DEP_1)
	v_cmpx_ngt_f64_e32 v[140:141], v[142:143]
	s_xor_b32 s3, exec_lo, s3
                                        ; implicit-def: $vgpr140_vgpr141_vgpr142_vgpr143
	s_cbranch_execz .LBB67_77
; %bb.76:
	v_div_scale_f64 v[140:141], null, v[138:139], v[138:139], v[136:137]
	v_div_scale_f64 v[146:147], vcc_lo, v[136:137], v[138:139], v[136:137]
	s_delay_alu instid0(VALU_DEP_2) | instskip(SKIP_2) | instid1(VALU_DEP_1)
	v_rcp_f64_e32 v[142:143], v[140:141]
	s_waitcnt_depctr 0xfff
	v_fma_f64 v[144:145], -v[140:141], v[142:143], 1.0
	v_fma_f64 v[142:143], v[142:143], v[144:145], v[142:143]
	s_delay_alu instid0(VALU_DEP_1) | instskip(NEXT) | instid1(VALU_DEP_1)
	v_fma_f64 v[144:145], -v[140:141], v[142:143], 1.0
	v_fma_f64 v[142:143], v[142:143], v[144:145], v[142:143]
	s_delay_alu instid0(VALU_DEP_1) | instskip(NEXT) | instid1(VALU_DEP_1)
	v_mul_f64 v[144:145], v[146:147], v[142:143]
	v_fma_f64 v[140:141], -v[140:141], v[144:145], v[146:147]
	s_delay_alu instid0(VALU_DEP_1) | instskip(NEXT) | instid1(VALU_DEP_1)
	v_div_fmas_f64 v[140:141], v[140:141], v[142:143], v[144:145]
	v_div_fixup_f64 v[140:141], v[140:141], v[138:139], v[136:137]
	s_delay_alu instid0(VALU_DEP_1) | instskip(NEXT) | instid1(VALU_DEP_1)
	v_fma_f64 v[136:137], v[136:137], v[140:141], v[138:139]
	v_div_scale_f64 v[138:139], null, v[136:137], v[136:137], 1.0
	s_delay_alu instid0(VALU_DEP_1) | instskip(SKIP_2) | instid1(VALU_DEP_1)
	v_rcp_f64_e32 v[142:143], v[138:139]
	s_waitcnt_depctr 0xfff
	v_fma_f64 v[144:145], -v[138:139], v[142:143], 1.0
	v_fma_f64 v[142:143], v[142:143], v[144:145], v[142:143]
	s_delay_alu instid0(VALU_DEP_1) | instskip(NEXT) | instid1(VALU_DEP_1)
	v_fma_f64 v[144:145], -v[138:139], v[142:143], 1.0
	v_fma_f64 v[142:143], v[142:143], v[144:145], v[142:143]
	v_div_scale_f64 v[144:145], vcc_lo, 1.0, v[136:137], 1.0
	s_delay_alu instid0(VALU_DEP_1) | instskip(NEXT) | instid1(VALU_DEP_1)
	v_mul_f64 v[146:147], v[144:145], v[142:143]
	v_fma_f64 v[138:139], -v[138:139], v[146:147], v[144:145]
	s_delay_alu instid0(VALU_DEP_1) | instskip(NEXT) | instid1(VALU_DEP_1)
	v_div_fmas_f64 v[138:139], v[138:139], v[142:143], v[146:147]
	v_div_fixup_f64 v[142:143], v[138:139], v[136:137], 1.0
                                        ; implicit-def: $vgpr136_vgpr137
	s_delay_alu instid0(VALU_DEP_1)
	v_mul_f64 v[144:145], v[140:141], v[142:143]
	v_xor_b32_e32 v143, 0x80000000, v143
.LBB67_77:
	s_and_not1_saveexec_b32 s3, s3
	s_cbranch_execz .LBB67_79
; %bb.78:
	v_div_scale_f64 v[140:141], null, v[136:137], v[136:137], v[138:139]
	v_div_scale_f64 v[146:147], vcc_lo, v[138:139], v[136:137], v[138:139]
	s_delay_alu instid0(VALU_DEP_2) | instskip(SKIP_2) | instid1(VALU_DEP_1)
	v_rcp_f64_e32 v[142:143], v[140:141]
	s_waitcnt_depctr 0xfff
	v_fma_f64 v[144:145], -v[140:141], v[142:143], 1.0
	v_fma_f64 v[142:143], v[142:143], v[144:145], v[142:143]
	s_delay_alu instid0(VALU_DEP_1) | instskip(NEXT) | instid1(VALU_DEP_1)
	v_fma_f64 v[144:145], -v[140:141], v[142:143], 1.0
	v_fma_f64 v[142:143], v[142:143], v[144:145], v[142:143]
	s_delay_alu instid0(VALU_DEP_1) | instskip(NEXT) | instid1(VALU_DEP_1)
	v_mul_f64 v[144:145], v[146:147], v[142:143]
	v_fma_f64 v[140:141], -v[140:141], v[144:145], v[146:147]
	s_delay_alu instid0(VALU_DEP_1) | instskip(NEXT) | instid1(VALU_DEP_1)
	v_div_fmas_f64 v[140:141], v[140:141], v[142:143], v[144:145]
	v_div_fixup_f64 v[140:141], v[140:141], v[136:137], v[138:139]
	s_delay_alu instid0(VALU_DEP_1) | instskip(NEXT) | instid1(VALU_DEP_1)
	v_fma_f64 v[136:137], v[138:139], v[140:141], v[136:137]
	v_div_scale_f64 v[138:139], null, v[136:137], v[136:137], 1.0
	s_delay_alu instid0(VALU_DEP_1) | instskip(SKIP_2) | instid1(VALU_DEP_1)
	v_rcp_f64_e32 v[142:143], v[138:139]
	s_waitcnt_depctr 0xfff
	v_fma_f64 v[144:145], -v[138:139], v[142:143], 1.0
	v_fma_f64 v[142:143], v[142:143], v[144:145], v[142:143]
	s_delay_alu instid0(VALU_DEP_1) | instskip(NEXT) | instid1(VALU_DEP_1)
	v_fma_f64 v[144:145], -v[138:139], v[142:143], 1.0
	v_fma_f64 v[142:143], v[142:143], v[144:145], v[142:143]
	v_div_scale_f64 v[144:145], vcc_lo, 1.0, v[136:137], 1.0
	s_delay_alu instid0(VALU_DEP_1) | instskip(NEXT) | instid1(VALU_DEP_1)
	v_mul_f64 v[146:147], v[144:145], v[142:143]
	v_fma_f64 v[138:139], -v[138:139], v[146:147], v[144:145]
	s_delay_alu instid0(VALU_DEP_1) | instskip(NEXT) | instid1(VALU_DEP_1)
	v_div_fmas_f64 v[138:139], v[138:139], v[142:143], v[146:147]
	v_div_fixup_f64 v[144:145], v[138:139], v[136:137], 1.0
	s_delay_alu instid0(VALU_DEP_1)
	v_mul_f64 v[142:143], v[140:141], -v[144:145]
.LBB67_79:
	s_or_b32 exec_lo, exec_lo, s3
	ds_store_2addr_b64 v159, v[144:145], v[142:143] offset1:1
.LBB67_80:
	s_or_b32 exec_lo, exec_lo, s4
	s_waitcnt lgkmcnt(0)
	s_barrier
	buffer_gl0_inv
	ds_load_2addr_b64 v[136:139], v159 offset1:1
	s_mov_b32 s3, exec_lo
	s_waitcnt lgkmcnt(0)
	scratch_store_b128 off, v[136:139], off offset:128 ; 16-byte Folded Spill
	v_cmpx_lt_u32_e32 8, v158
	s_cbranch_execz .LBB67_82
; %bb.81:
	scratch_load_b128 v[138:141], off, off offset:128 ; 16-byte Folded Reload
	s_waitcnt vmcnt(0)
	v_mul_f64 v[136:137], v[140:141], v[102:103]
	v_mul_f64 v[102:103], v[138:139], v[102:103]
	s_delay_alu instid0(VALU_DEP_2) | instskip(NEXT) | instid1(VALU_DEP_2)
	v_fma_f64 v[136:137], v[138:139], v[100:101], -v[136:137]
	v_fma_f64 v[102:103], v[140:141], v[100:101], v[102:103]
	ds_load_2addr_b64 v[138:141], v160 offset0:18 offset1:19
	s_waitcnt lgkmcnt(0)
	v_mul_f64 v[100:101], v[140:141], v[102:103]
	s_delay_alu instid0(VALU_DEP_1) | instskip(SKIP_1) | instid1(VALU_DEP_2)
	v_fma_f64 v[100:101], v[138:139], v[136:137], -v[100:101]
	v_mul_f64 v[138:139], v[138:139], v[102:103]
	v_add_f64 v[96:97], v[96:97], -v[100:101]
	s_delay_alu instid0(VALU_DEP_2) | instskip(NEXT) | instid1(VALU_DEP_1)
	v_fma_f64 v[138:139], v[140:141], v[136:137], v[138:139]
	v_add_f64 v[98:99], v[98:99], -v[138:139]
	ds_load_2addr_b64 v[138:141], v160 offset0:20 offset1:21
	s_waitcnt lgkmcnt(0)
	v_mul_f64 v[100:101], v[140:141], v[102:103]
	s_delay_alu instid0(VALU_DEP_1) | instskip(SKIP_1) | instid1(VALU_DEP_2)
	v_fma_f64 v[100:101], v[138:139], v[136:137], -v[100:101]
	v_mul_f64 v[138:139], v[138:139], v[102:103]
	v_add_f64 v[92:93], v[92:93], -v[100:101]
	s_delay_alu instid0(VALU_DEP_2) | instskip(NEXT) | instid1(VALU_DEP_1)
	v_fma_f64 v[138:139], v[140:141], v[136:137], v[138:139]
	v_add_f64 v[94:95], v[94:95], -v[138:139]
	;; [unrolled: 10-line block ×24, first 2 shown]
	ds_load_2addr_b64 v[138:141], v160 offset0:66 offset1:67
	s_waitcnt lgkmcnt(0)
	v_mul_f64 v[100:101], v[140:141], v[102:103]
	s_delay_alu instid0(VALU_DEP_1) | instskip(SKIP_1) | instid1(VALU_DEP_2)
	v_fma_f64 v[100:101], v[138:139], v[136:137], -v[100:101]
	v_mul_f64 v[138:139], v[138:139], v[102:103]
	v_add_f64 v[0:1], v[0:1], -v[100:101]
	s_delay_alu instid0(VALU_DEP_2) | instskip(SKIP_1) | instid1(VALU_DEP_2)
	v_fma_f64 v[138:139], v[140:141], v[136:137], v[138:139]
	v_dual_mov_b32 v100, v136 :: v_dual_mov_b32 v101, v137
	v_add_f64 v[2:3], v[2:3], -v[138:139]
.LBB67_82:
	s_or_b32 exec_lo, exec_lo, s3
	s_delay_alu instid0(SALU_CYCLE_1)
	s_mov_b32 s4, exec_lo
	s_waitcnt_vscnt null, 0x0
	s_barrier
	buffer_gl0_inv
	v_cmpx_eq_u32_e32 9, v158
	s_cbranch_execz .LBB67_89
; %bb.83:
	ds_store_2addr_b64 v159, v[96:97], v[98:99] offset1:1
	ds_store_2addr_b64 v160, v[92:93], v[94:95] offset0:20 offset1:21
	ds_store_2addr_b64 v160, v[88:89], v[90:91] offset0:22 offset1:23
	;; [unrolled: 1-line block ×24, first 2 shown]
	ds_load_2addr_b64 v[136:139], v159 offset1:1
	s_waitcnt lgkmcnt(0)
	v_cmp_neq_f64_e32 vcc_lo, 0, v[136:137]
	v_cmp_neq_f64_e64 s3, 0, v[138:139]
	s_delay_alu instid0(VALU_DEP_1) | instskip(NEXT) | instid1(SALU_CYCLE_1)
	s_or_b32 s3, vcc_lo, s3
	s_and_b32 exec_lo, exec_lo, s3
	s_cbranch_execz .LBB67_89
; %bb.84:
	v_cmp_gt_f64_e32 vcc_lo, 0, v[136:137]
	v_cmp_gt_f64_e64 s3, 0, v[138:139]
	v_xor_b32_e32 v140, 0x80000000, v137
	v_xor_b32_e32 v142, 0x80000000, v139
                                        ; implicit-def: $vgpr144_vgpr145
	s_delay_alu instid0(VALU_DEP_2) | instskip(NEXT) | instid1(VALU_DEP_2)
	v_cndmask_b32_e32 v141, v137, v140, vcc_lo
	v_cndmask_b32_e64 v143, v139, v142, s3
	v_cndmask_b32_e32 v140, v136, v136, vcc_lo
	v_cndmask_b32_e64 v142, v138, v138, s3
	s_mov_b32 s3, exec_lo
	s_delay_alu instid0(VALU_DEP_1)
	v_cmpx_ngt_f64_e32 v[140:141], v[142:143]
	s_xor_b32 s3, exec_lo, s3
                                        ; implicit-def: $vgpr140_vgpr141_vgpr142_vgpr143
	s_cbranch_execz .LBB67_86
; %bb.85:
	v_div_scale_f64 v[140:141], null, v[138:139], v[138:139], v[136:137]
	v_div_scale_f64 v[146:147], vcc_lo, v[136:137], v[138:139], v[136:137]
	s_delay_alu instid0(VALU_DEP_2) | instskip(SKIP_2) | instid1(VALU_DEP_1)
	v_rcp_f64_e32 v[142:143], v[140:141]
	s_waitcnt_depctr 0xfff
	v_fma_f64 v[144:145], -v[140:141], v[142:143], 1.0
	v_fma_f64 v[142:143], v[142:143], v[144:145], v[142:143]
	s_delay_alu instid0(VALU_DEP_1) | instskip(NEXT) | instid1(VALU_DEP_1)
	v_fma_f64 v[144:145], -v[140:141], v[142:143], 1.0
	v_fma_f64 v[142:143], v[142:143], v[144:145], v[142:143]
	s_delay_alu instid0(VALU_DEP_1) | instskip(NEXT) | instid1(VALU_DEP_1)
	v_mul_f64 v[144:145], v[146:147], v[142:143]
	v_fma_f64 v[140:141], -v[140:141], v[144:145], v[146:147]
	s_delay_alu instid0(VALU_DEP_1) | instskip(NEXT) | instid1(VALU_DEP_1)
	v_div_fmas_f64 v[140:141], v[140:141], v[142:143], v[144:145]
	v_div_fixup_f64 v[140:141], v[140:141], v[138:139], v[136:137]
	s_delay_alu instid0(VALU_DEP_1) | instskip(NEXT) | instid1(VALU_DEP_1)
	v_fma_f64 v[136:137], v[136:137], v[140:141], v[138:139]
	v_div_scale_f64 v[138:139], null, v[136:137], v[136:137], 1.0
	s_delay_alu instid0(VALU_DEP_1) | instskip(SKIP_2) | instid1(VALU_DEP_1)
	v_rcp_f64_e32 v[142:143], v[138:139]
	s_waitcnt_depctr 0xfff
	v_fma_f64 v[144:145], -v[138:139], v[142:143], 1.0
	v_fma_f64 v[142:143], v[142:143], v[144:145], v[142:143]
	s_delay_alu instid0(VALU_DEP_1) | instskip(NEXT) | instid1(VALU_DEP_1)
	v_fma_f64 v[144:145], -v[138:139], v[142:143], 1.0
	v_fma_f64 v[142:143], v[142:143], v[144:145], v[142:143]
	v_div_scale_f64 v[144:145], vcc_lo, 1.0, v[136:137], 1.0
	s_delay_alu instid0(VALU_DEP_1) | instskip(NEXT) | instid1(VALU_DEP_1)
	v_mul_f64 v[146:147], v[144:145], v[142:143]
	v_fma_f64 v[138:139], -v[138:139], v[146:147], v[144:145]
	s_delay_alu instid0(VALU_DEP_1) | instskip(NEXT) | instid1(VALU_DEP_1)
	v_div_fmas_f64 v[138:139], v[138:139], v[142:143], v[146:147]
	v_div_fixup_f64 v[142:143], v[138:139], v[136:137], 1.0
                                        ; implicit-def: $vgpr136_vgpr137
	s_delay_alu instid0(VALU_DEP_1)
	v_mul_f64 v[144:145], v[140:141], v[142:143]
	v_xor_b32_e32 v143, 0x80000000, v143
.LBB67_86:
	s_and_not1_saveexec_b32 s3, s3
	s_cbranch_execz .LBB67_88
; %bb.87:
	v_div_scale_f64 v[140:141], null, v[136:137], v[136:137], v[138:139]
	v_div_scale_f64 v[146:147], vcc_lo, v[138:139], v[136:137], v[138:139]
	s_delay_alu instid0(VALU_DEP_2) | instskip(SKIP_2) | instid1(VALU_DEP_1)
	v_rcp_f64_e32 v[142:143], v[140:141]
	s_waitcnt_depctr 0xfff
	v_fma_f64 v[144:145], -v[140:141], v[142:143], 1.0
	v_fma_f64 v[142:143], v[142:143], v[144:145], v[142:143]
	s_delay_alu instid0(VALU_DEP_1) | instskip(NEXT) | instid1(VALU_DEP_1)
	v_fma_f64 v[144:145], -v[140:141], v[142:143], 1.0
	v_fma_f64 v[142:143], v[142:143], v[144:145], v[142:143]
	s_delay_alu instid0(VALU_DEP_1) | instskip(NEXT) | instid1(VALU_DEP_1)
	v_mul_f64 v[144:145], v[146:147], v[142:143]
	v_fma_f64 v[140:141], -v[140:141], v[144:145], v[146:147]
	s_delay_alu instid0(VALU_DEP_1) | instskip(NEXT) | instid1(VALU_DEP_1)
	v_div_fmas_f64 v[140:141], v[140:141], v[142:143], v[144:145]
	v_div_fixup_f64 v[140:141], v[140:141], v[136:137], v[138:139]
	s_delay_alu instid0(VALU_DEP_1) | instskip(NEXT) | instid1(VALU_DEP_1)
	v_fma_f64 v[136:137], v[138:139], v[140:141], v[136:137]
	v_div_scale_f64 v[138:139], null, v[136:137], v[136:137], 1.0
	s_delay_alu instid0(VALU_DEP_1) | instskip(SKIP_2) | instid1(VALU_DEP_1)
	v_rcp_f64_e32 v[142:143], v[138:139]
	s_waitcnt_depctr 0xfff
	v_fma_f64 v[144:145], -v[138:139], v[142:143], 1.0
	v_fma_f64 v[142:143], v[142:143], v[144:145], v[142:143]
	s_delay_alu instid0(VALU_DEP_1) | instskip(NEXT) | instid1(VALU_DEP_1)
	v_fma_f64 v[144:145], -v[138:139], v[142:143], 1.0
	v_fma_f64 v[142:143], v[142:143], v[144:145], v[142:143]
	v_div_scale_f64 v[144:145], vcc_lo, 1.0, v[136:137], 1.0
	s_delay_alu instid0(VALU_DEP_1) | instskip(NEXT) | instid1(VALU_DEP_1)
	v_mul_f64 v[146:147], v[144:145], v[142:143]
	v_fma_f64 v[138:139], -v[138:139], v[146:147], v[144:145]
	s_delay_alu instid0(VALU_DEP_1) | instskip(NEXT) | instid1(VALU_DEP_1)
	v_div_fmas_f64 v[138:139], v[138:139], v[142:143], v[146:147]
	v_div_fixup_f64 v[144:145], v[138:139], v[136:137], 1.0
	s_delay_alu instid0(VALU_DEP_1)
	v_mul_f64 v[142:143], v[140:141], -v[144:145]
.LBB67_88:
	s_or_b32 exec_lo, exec_lo, s3
	ds_store_2addr_b64 v159, v[144:145], v[142:143] offset1:1
.LBB67_89:
	s_or_b32 exec_lo, exec_lo, s4
	s_waitcnt lgkmcnt(0)
	s_barrier
	buffer_gl0_inv
	ds_load_2addr_b64 v[136:139], v159 offset1:1
	s_mov_b32 s3, exec_lo
	s_waitcnt lgkmcnt(0)
	scratch_store_b128 off, v[136:139], off offset:144 ; 16-byte Folded Spill
	v_cmpx_lt_u32_e32 9, v158
	s_cbranch_execz .LBB67_91
; %bb.90:
	scratch_load_b128 v[138:141], off, off offset:144 ; 16-byte Folded Reload
	s_waitcnt vmcnt(0)
	v_mul_f64 v[136:137], v[140:141], v[98:99]
	v_mul_f64 v[98:99], v[138:139], v[98:99]
	s_delay_alu instid0(VALU_DEP_2) | instskip(NEXT) | instid1(VALU_DEP_2)
	v_fma_f64 v[136:137], v[138:139], v[96:97], -v[136:137]
	v_fma_f64 v[98:99], v[140:141], v[96:97], v[98:99]
	ds_load_2addr_b64 v[138:141], v160 offset0:20 offset1:21
	s_waitcnt lgkmcnt(0)
	v_mul_f64 v[96:97], v[140:141], v[98:99]
	s_delay_alu instid0(VALU_DEP_1) | instskip(SKIP_1) | instid1(VALU_DEP_2)
	v_fma_f64 v[96:97], v[138:139], v[136:137], -v[96:97]
	v_mul_f64 v[138:139], v[138:139], v[98:99]
	v_add_f64 v[92:93], v[92:93], -v[96:97]
	s_delay_alu instid0(VALU_DEP_2) | instskip(NEXT) | instid1(VALU_DEP_1)
	v_fma_f64 v[138:139], v[140:141], v[136:137], v[138:139]
	v_add_f64 v[94:95], v[94:95], -v[138:139]
	ds_load_2addr_b64 v[138:141], v160 offset0:22 offset1:23
	s_waitcnt lgkmcnt(0)
	v_mul_f64 v[96:97], v[140:141], v[98:99]
	s_delay_alu instid0(VALU_DEP_1) | instskip(SKIP_1) | instid1(VALU_DEP_2)
	v_fma_f64 v[96:97], v[138:139], v[136:137], -v[96:97]
	v_mul_f64 v[138:139], v[138:139], v[98:99]
	v_add_f64 v[88:89], v[88:89], -v[96:97]
	s_delay_alu instid0(VALU_DEP_2) | instskip(NEXT) | instid1(VALU_DEP_1)
	v_fma_f64 v[138:139], v[140:141], v[136:137], v[138:139]
	v_add_f64 v[90:91], v[90:91], -v[138:139]
	;; [unrolled: 10-line block ×23, first 2 shown]
	ds_load_2addr_b64 v[138:141], v160 offset0:66 offset1:67
	s_waitcnt lgkmcnt(0)
	v_mul_f64 v[96:97], v[140:141], v[98:99]
	s_delay_alu instid0(VALU_DEP_1) | instskip(SKIP_1) | instid1(VALU_DEP_2)
	v_fma_f64 v[96:97], v[138:139], v[136:137], -v[96:97]
	v_mul_f64 v[138:139], v[138:139], v[98:99]
	v_add_f64 v[0:1], v[0:1], -v[96:97]
	s_delay_alu instid0(VALU_DEP_2) | instskip(SKIP_1) | instid1(VALU_DEP_2)
	v_fma_f64 v[138:139], v[140:141], v[136:137], v[138:139]
	v_dual_mov_b32 v96, v136 :: v_dual_mov_b32 v97, v137
	v_add_f64 v[2:3], v[2:3], -v[138:139]
.LBB67_91:
	s_or_b32 exec_lo, exec_lo, s3
	s_delay_alu instid0(SALU_CYCLE_1)
	s_mov_b32 s4, exec_lo
	s_waitcnt_vscnt null, 0x0
	s_barrier
	buffer_gl0_inv
	v_cmpx_eq_u32_e32 10, v158
	s_cbranch_execz .LBB67_98
; %bb.92:
	ds_store_2addr_b64 v159, v[92:93], v[94:95] offset1:1
	ds_store_2addr_b64 v160, v[88:89], v[90:91] offset0:22 offset1:23
	ds_store_2addr_b64 v160, v[84:85], v[86:87] offset0:24 offset1:25
	;; [unrolled: 1-line block ×23, first 2 shown]
	ds_load_2addr_b64 v[136:139], v159 offset1:1
	s_waitcnt lgkmcnt(0)
	v_cmp_neq_f64_e32 vcc_lo, 0, v[136:137]
	v_cmp_neq_f64_e64 s3, 0, v[138:139]
	s_delay_alu instid0(VALU_DEP_1) | instskip(NEXT) | instid1(SALU_CYCLE_1)
	s_or_b32 s3, vcc_lo, s3
	s_and_b32 exec_lo, exec_lo, s3
	s_cbranch_execz .LBB67_98
; %bb.93:
	v_cmp_gt_f64_e32 vcc_lo, 0, v[136:137]
	v_xor_b32_e32 v140, 0x80000000, v137
	v_xor_b32_e32 v142, 0x80000000, v139
	s_mov_b32 s3, exec_lo
                                        ; implicit-def: $vgpr144_vgpr145
	s_delay_alu instid0(VALU_DEP_2) | instskip(SKIP_4) | instid1(VALU_DEP_1)
	v_cndmask_b32_e32 v141, v137, v140, vcc_lo
	v_cndmask_b32_e32 v140, v136, v136, vcc_lo
	v_cmp_gt_f64_e32 vcc_lo, 0, v[138:139]
	v_cndmask_b32_e32 v143, v139, v142, vcc_lo
	v_cndmask_b32_e32 v142, v138, v138, vcc_lo
	v_cmpx_ngt_f64_e32 v[140:141], v[142:143]
	s_xor_b32 s3, exec_lo, s3
                                        ; implicit-def: $vgpr140_vgpr141_vgpr142_vgpr143
	s_cbranch_execz .LBB67_95
; %bb.94:
	v_div_scale_f64 v[140:141], null, v[138:139], v[138:139], v[136:137]
	v_div_scale_f64 v[146:147], vcc_lo, v[136:137], v[138:139], v[136:137]
	s_delay_alu instid0(VALU_DEP_2) | instskip(SKIP_2) | instid1(VALU_DEP_1)
	v_rcp_f64_e32 v[142:143], v[140:141]
	s_waitcnt_depctr 0xfff
	v_fma_f64 v[144:145], -v[140:141], v[142:143], 1.0
	v_fma_f64 v[142:143], v[142:143], v[144:145], v[142:143]
	s_delay_alu instid0(VALU_DEP_1) | instskip(NEXT) | instid1(VALU_DEP_1)
	v_fma_f64 v[144:145], -v[140:141], v[142:143], 1.0
	v_fma_f64 v[142:143], v[142:143], v[144:145], v[142:143]
	s_delay_alu instid0(VALU_DEP_1) | instskip(NEXT) | instid1(VALU_DEP_1)
	v_mul_f64 v[144:145], v[146:147], v[142:143]
	v_fma_f64 v[140:141], -v[140:141], v[144:145], v[146:147]
	s_delay_alu instid0(VALU_DEP_1) | instskip(NEXT) | instid1(VALU_DEP_1)
	v_div_fmas_f64 v[140:141], v[140:141], v[142:143], v[144:145]
	v_div_fixup_f64 v[140:141], v[140:141], v[138:139], v[136:137]
	s_delay_alu instid0(VALU_DEP_1) | instskip(NEXT) | instid1(VALU_DEP_1)
	v_fma_f64 v[136:137], v[136:137], v[140:141], v[138:139]
	v_div_scale_f64 v[138:139], null, v[136:137], v[136:137], 1.0
	s_delay_alu instid0(VALU_DEP_1) | instskip(SKIP_2) | instid1(VALU_DEP_1)
	v_rcp_f64_e32 v[142:143], v[138:139]
	s_waitcnt_depctr 0xfff
	v_fma_f64 v[144:145], -v[138:139], v[142:143], 1.0
	v_fma_f64 v[142:143], v[142:143], v[144:145], v[142:143]
	s_delay_alu instid0(VALU_DEP_1) | instskip(NEXT) | instid1(VALU_DEP_1)
	v_fma_f64 v[144:145], -v[138:139], v[142:143], 1.0
	v_fma_f64 v[142:143], v[142:143], v[144:145], v[142:143]
	v_div_scale_f64 v[144:145], vcc_lo, 1.0, v[136:137], 1.0
	s_delay_alu instid0(VALU_DEP_1) | instskip(NEXT) | instid1(VALU_DEP_1)
	v_mul_f64 v[146:147], v[144:145], v[142:143]
	v_fma_f64 v[138:139], -v[138:139], v[146:147], v[144:145]
	s_delay_alu instid0(VALU_DEP_1) | instskip(NEXT) | instid1(VALU_DEP_1)
	v_div_fmas_f64 v[138:139], v[138:139], v[142:143], v[146:147]
	v_div_fixup_f64 v[142:143], v[138:139], v[136:137], 1.0
                                        ; implicit-def: $vgpr136_vgpr137
	s_delay_alu instid0(VALU_DEP_1)
	v_mul_f64 v[144:145], v[140:141], v[142:143]
	v_xor_b32_e32 v143, 0x80000000, v143
.LBB67_95:
	s_and_not1_saveexec_b32 s3, s3
	s_cbranch_execz .LBB67_97
; %bb.96:
	v_div_scale_f64 v[140:141], null, v[136:137], v[136:137], v[138:139]
	v_div_scale_f64 v[146:147], vcc_lo, v[138:139], v[136:137], v[138:139]
	s_delay_alu instid0(VALU_DEP_2) | instskip(SKIP_2) | instid1(VALU_DEP_1)
	v_rcp_f64_e32 v[142:143], v[140:141]
	s_waitcnt_depctr 0xfff
	v_fma_f64 v[144:145], -v[140:141], v[142:143], 1.0
	v_fma_f64 v[142:143], v[142:143], v[144:145], v[142:143]
	s_delay_alu instid0(VALU_DEP_1) | instskip(NEXT) | instid1(VALU_DEP_1)
	v_fma_f64 v[144:145], -v[140:141], v[142:143], 1.0
	v_fma_f64 v[142:143], v[142:143], v[144:145], v[142:143]
	s_delay_alu instid0(VALU_DEP_1) | instskip(NEXT) | instid1(VALU_DEP_1)
	v_mul_f64 v[144:145], v[146:147], v[142:143]
	v_fma_f64 v[140:141], -v[140:141], v[144:145], v[146:147]
	s_delay_alu instid0(VALU_DEP_1) | instskip(NEXT) | instid1(VALU_DEP_1)
	v_div_fmas_f64 v[140:141], v[140:141], v[142:143], v[144:145]
	v_div_fixup_f64 v[140:141], v[140:141], v[136:137], v[138:139]
	s_delay_alu instid0(VALU_DEP_1) | instskip(NEXT) | instid1(VALU_DEP_1)
	v_fma_f64 v[136:137], v[138:139], v[140:141], v[136:137]
	v_div_scale_f64 v[138:139], null, v[136:137], v[136:137], 1.0
	s_delay_alu instid0(VALU_DEP_1) | instskip(SKIP_2) | instid1(VALU_DEP_1)
	v_rcp_f64_e32 v[142:143], v[138:139]
	s_waitcnt_depctr 0xfff
	v_fma_f64 v[144:145], -v[138:139], v[142:143], 1.0
	v_fma_f64 v[142:143], v[142:143], v[144:145], v[142:143]
	s_delay_alu instid0(VALU_DEP_1) | instskip(NEXT) | instid1(VALU_DEP_1)
	v_fma_f64 v[144:145], -v[138:139], v[142:143], 1.0
	v_fma_f64 v[142:143], v[142:143], v[144:145], v[142:143]
	v_div_scale_f64 v[144:145], vcc_lo, 1.0, v[136:137], 1.0
	s_delay_alu instid0(VALU_DEP_1) | instskip(NEXT) | instid1(VALU_DEP_1)
	v_mul_f64 v[146:147], v[144:145], v[142:143]
	v_fma_f64 v[138:139], -v[138:139], v[146:147], v[144:145]
	s_delay_alu instid0(VALU_DEP_1) | instskip(NEXT) | instid1(VALU_DEP_1)
	v_div_fmas_f64 v[138:139], v[138:139], v[142:143], v[146:147]
	v_div_fixup_f64 v[144:145], v[138:139], v[136:137], 1.0
	s_delay_alu instid0(VALU_DEP_1)
	v_mul_f64 v[142:143], v[140:141], -v[144:145]
.LBB67_97:
	s_or_b32 exec_lo, exec_lo, s3
	ds_store_2addr_b64 v159, v[144:145], v[142:143] offset1:1
.LBB67_98:
	s_or_b32 exec_lo, exec_lo, s4
	s_waitcnt lgkmcnt(0)
	s_barrier
	buffer_gl0_inv
	ds_load_2addr_b64 v[163:166], v159 offset1:1
	s_mov_b32 s3, exec_lo
	v_cmpx_lt_u32_e32 10, v158
	s_cbranch_execz .LBB67_100
; %bb.99:
	s_waitcnt lgkmcnt(0)
	v_mul_f64 v[136:137], v[165:166], v[94:95]
	v_mul_f64 v[94:95], v[163:164], v[94:95]
	ds_load_2addr_b64 v[138:141], v160 offset0:22 offset1:23
	v_fma_f64 v[136:137], v[163:164], v[92:93], -v[136:137]
	v_fma_f64 v[94:95], v[165:166], v[92:93], v[94:95]
	s_waitcnt lgkmcnt(0)
	s_delay_alu instid0(VALU_DEP_1) | instskip(NEXT) | instid1(VALU_DEP_1)
	v_mul_f64 v[92:93], v[140:141], v[94:95]
	v_fma_f64 v[92:93], v[138:139], v[136:137], -v[92:93]
	v_mul_f64 v[138:139], v[138:139], v[94:95]
	s_delay_alu instid0(VALU_DEP_2) | instskip(NEXT) | instid1(VALU_DEP_2)
	v_add_f64 v[88:89], v[88:89], -v[92:93]
	v_fma_f64 v[138:139], v[140:141], v[136:137], v[138:139]
	s_delay_alu instid0(VALU_DEP_1) | instskip(SKIP_3) | instid1(VALU_DEP_1)
	v_add_f64 v[90:91], v[90:91], -v[138:139]
	ds_load_2addr_b64 v[138:141], v160 offset0:24 offset1:25
	s_waitcnt lgkmcnt(0)
	v_mul_f64 v[92:93], v[140:141], v[94:95]
	v_fma_f64 v[92:93], v[138:139], v[136:137], -v[92:93]
	v_mul_f64 v[138:139], v[138:139], v[94:95]
	s_delay_alu instid0(VALU_DEP_2) | instskip(NEXT) | instid1(VALU_DEP_2)
	v_add_f64 v[84:85], v[84:85], -v[92:93]
	v_fma_f64 v[138:139], v[140:141], v[136:137], v[138:139]
	s_delay_alu instid0(VALU_DEP_1) | instskip(SKIP_3) | instid1(VALU_DEP_1)
	v_add_f64 v[86:87], v[86:87], -v[138:139]
	ds_load_2addr_b64 v[138:141], v160 offset0:26 offset1:27
	s_waitcnt lgkmcnt(0)
	;; [unrolled: 10-line block ×22, first 2 shown]
	v_mul_f64 v[92:93], v[140:141], v[94:95]
	v_fma_f64 v[92:93], v[138:139], v[136:137], -v[92:93]
	v_mul_f64 v[138:139], v[138:139], v[94:95]
	s_delay_alu instid0(VALU_DEP_2) | instskip(NEXT) | instid1(VALU_DEP_2)
	v_add_f64 v[0:1], v[0:1], -v[92:93]
	v_fma_f64 v[138:139], v[140:141], v[136:137], v[138:139]
	v_dual_mov_b32 v92, v136 :: v_dual_mov_b32 v93, v137
	s_delay_alu instid0(VALU_DEP_2)
	v_add_f64 v[2:3], v[2:3], -v[138:139]
.LBB67_100:
	s_or_b32 exec_lo, exec_lo, s3
	s_delay_alu instid0(SALU_CYCLE_1)
	s_mov_b32 s4, exec_lo
	s_waitcnt lgkmcnt(0)
	s_barrier
	buffer_gl0_inv
	v_cmpx_eq_u32_e32 11, v158
	s_cbranch_execz .LBB67_107
; %bb.101:
	ds_store_2addr_b64 v159, v[88:89], v[90:91] offset1:1
	ds_store_2addr_b64 v160, v[84:85], v[86:87] offset0:24 offset1:25
	ds_store_2addr_b64 v160, v[80:81], v[82:83] offset0:26 offset1:27
	;; [unrolled: 1-line block ×22, first 2 shown]
	ds_load_2addr_b64 v[136:139], v159 offset1:1
	s_waitcnt lgkmcnt(0)
	v_cmp_neq_f64_e32 vcc_lo, 0, v[136:137]
	v_cmp_neq_f64_e64 s3, 0, v[138:139]
	s_delay_alu instid0(VALU_DEP_1) | instskip(NEXT) | instid1(SALU_CYCLE_1)
	s_or_b32 s3, vcc_lo, s3
	s_and_b32 exec_lo, exec_lo, s3
	s_cbranch_execz .LBB67_107
; %bb.102:
	v_cmp_gt_f64_e32 vcc_lo, 0, v[136:137]
	v_xor_b32_e32 v140, 0x80000000, v137
	v_xor_b32_e32 v142, 0x80000000, v139
	s_mov_b32 s3, exec_lo
                                        ; implicit-def: $vgpr144_vgpr145
	s_delay_alu instid0(VALU_DEP_2) | instskip(SKIP_4) | instid1(VALU_DEP_1)
	v_cndmask_b32_e32 v141, v137, v140, vcc_lo
	v_cndmask_b32_e32 v140, v136, v136, vcc_lo
	v_cmp_gt_f64_e32 vcc_lo, 0, v[138:139]
	v_cndmask_b32_e32 v143, v139, v142, vcc_lo
	v_cndmask_b32_e32 v142, v138, v138, vcc_lo
	v_cmpx_ngt_f64_e32 v[140:141], v[142:143]
	s_xor_b32 s3, exec_lo, s3
                                        ; implicit-def: $vgpr140_vgpr141_vgpr142_vgpr143
	s_cbranch_execz .LBB67_104
; %bb.103:
	v_div_scale_f64 v[140:141], null, v[138:139], v[138:139], v[136:137]
	v_div_scale_f64 v[146:147], vcc_lo, v[136:137], v[138:139], v[136:137]
	s_delay_alu instid0(VALU_DEP_2) | instskip(SKIP_2) | instid1(VALU_DEP_1)
	v_rcp_f64_e32 v[142:143], v[140:141]
	s_waitcnt_depctr 0xfff
	v_fma_f64 v[144:145], -v[140:141], v[142:143], 1.0
	v_fma_f64 v[142:143], v[142:143], v[144:145], v[142:143]
	s_delay_alu instid0(VALU_DEP_1) | instskip(NEXT) | instid1(VALU_DEP_1)
	v_fma_f64 v[144:145], -v[140:141], v[142:143], 1.0
	v_fma_f64 v[142:143], v[142:143], v[144:145], v[142:143]
	s_delay_alu instid0(VALU_DEP_1) | instskip(NEXT) | instid1(VALU_DEP_1)
	v_mul_f64 v[144:145], v[146:147], v[142:143]
	v_fma_f64 v[140:141], -v[140:141], v[144:145], v[146:147]
	s_delay_alu instid0(VALU_DEP_1) | instskip(NEXT) | instid1(VALU_DEP_1)
	v_div_fmas_f64 v[140:141], v[140:141], v[142:143], v[144:145]
	v_div_fixup_f64 v[140:141], v[140:141], v[138:139], v[136:137]
	s_delay_alu instid0(VALU_DEP_1) | instskip(NEXT) | instid1(VALU_DEP_1)
	v_fma_f64 v[136:137], v[136:137], v[140:141], v[138:139]
	v_div_scale_f64 v[138:139], null, v[136:137], v[136:137], 1.0
	s_delay_alu instid0(VALU_DEP_1) | instskip(SKIP_2) | instid1(VALU_DEP_1)
	v_rcp_f64_e32 v[142:143], v[138:139]
	s_waitcnt_depctr 0xfff
	v_fma_f64 v[144:145], -v[138:139], v[142:143], 1.0
	v_fma_f64 v[142:143], v[142:143], v[144:145], v[142:143]
	s_delay_alu instid0(VALU_DEP_1) | instskip(NEXT) | instid1(VALU_DEP_1)
	v_fma_f64 v[144:145], -v[138:139], v[142:143], 1.0
	v_fma_f64 v[142:143], v[142:143], v[144:145], v[142:143]
	v_div_scale_f64 v[144:145], vcc_lo, 1.0, v[136:137], 1.0
	s_delay_alu instid0(VALU_DEP_1) | instskip(NEXT) | instid1(VALU_DEP_1)
	v_mul_f64 v[146:147], v[144:145], v[142:143]
	v_fma_f64 v[138:139], -v[138:139], v[146:147], v[144:145]
	s_delay_alu instid0(VALU_DEP_1) | instskip(NEXT) | instid1(VALU_DEP_1)
	v_div_fmas_f64 v[138:139], v[138:139], v[142:143], v[146:147]
	v_div_fixup_f64 v[142:143], v[138:139], v[136:137], 1.0
                                        ; implicit-def: $vgpr136_vgpr137
	s_delay_alu instid0(VALU_DEP_1)
	v_mul_f64 v[144:145], v[140:141], v[142:143]
	v_xor_b32_e32 v143, 0x80000000, v143
.LBB67_104:
	s_and_not1_saveexec_b32 s3, s3
	s_cbranch_execz .LBB67_106
; %bb.105:
	v_div_scale_f64 v[140:141], null, v[136:137], v[136:137], v[138:139]
	v_div_scale_f64 v[146:147], vcc_lo, v[138:139], v[136:137], v[138:139]
	s_delay_alu instid0(VALU_DEP_2) | instskip(SKIP_2) | instid1(VALU_DEP_1)
	v_rcp_f64_e32 v[142:143], v[140:141]
	s_waitcnt_depctr 0xfff
	v_fma_f64 v[144:145], -v[140:141], v[142:143], 1.0
	v_fma_f64 v[142:143], v[142:143], v[144:145], v[142:143]
	s_delay_alu instid0(VALU_DEP_1) | instskip(NEXT) | instid1(VALU_DEP_1)
	v_fma_f64 v[144:145], -v[140:141], v[142:143], 1.0
	v_fma_f64 v[142:143], v[142:143], v[144:145], v[142:143]
	s_delay_alu instid0(VALU_DEP_1) | instskip(NEXT) | instid1(VALU_DEP_1)
	v_mul_f64 v[144:145], v[146:147], v[142:143]
	v_fma_f64 v[140:141], -v[140:141], v[144:145], v[146:147]
	s_delay_alu instid0(VALU_DEP_1) | instskip(NEXT) | instid1(VALU_DEP_1)
	v_div_fmas_f64 v[140:141], v[140:141], v[142:143], v[144:145]
	v_div_fixup_f64 v[140:141], v[140:141], v[136:137], v[138:139]
	s_delay_alu instid0(VALU_DEP_1) | instskip(NEXT) | instid1(VALU_DEP_1)
	v_fma_f64 v[136:137], v[138:139], v[140:141], v[136:137]
	v_div_scale_f64 v[138:139], null, v[136:137], v[136:137], 1.0
	s_delay_alu instid0(VALU_DEP_1) | instskip(SKIP_2) | instid1(VALU_DEP_1)
	v_rcp_f64_e32 v[142:143], v[138:139]
	s_waitcnt_depctr 0xfff
	v_fma_f64 v[144:145], -v[138:139], v[142:143], 1.0
	v_fma_f64 v[142:143], v[142:143], v[144:145], v[142:143]
	s_delay_alu instid0(VALU_DEP_1) | instskip(NEXT) | instid1(VALU_DEP_1)
	v_fma_f64 v[144:145], -v[138:139], v[142:143], 1.0
	v_fma_f64 v[142:143], v[142:143], v[144:145], v[142:143]
	v_div_scale_f64 v[144:145], vcc_lo, 1.0, v[136:137], 1.0
	s_delay_alu instid0(VALU_DEP_1) | instskip(NEXT) | instid1(VALU_DEP_1)
	v_mul_f64 v[146:147], v[144:145], v[142:143]
	v_fma_f64 v[138:139], -v[138:139], v[146:147], v[144:145]
	s_delay_alu instid0(VALU_DEP_1) | instskip(NEXT) | instid1(VALU_DEP_1)
	v_div_fmas_f64 v[138:139], v[138:139], v[142:143], v[146:147]
	v_div_fixup_f64 v[144:145], v[138:139], v[136:137], 1.0
	s_delay_alu instid0(VALU_DEP_1)
	v_mul_f64 v[142:143], v[140:141], -v[144:145]
.LBB67_106:
	s_or_b32 exec_lo, exec_lo, s3
	ds_store_2addr_b64 v159, v[144:145], v[142:143] offset1:1
.LBB67_107:
	s_or_b32 exec_lo, exec_lo, s4
	s_waitcnt lgkmcnt(0)
	s_barrier
	buffer_gl0_inv
	ds_load_2addr_b64 v[167:170], v159 offset1:1
	s_mov_b32 s3, exec_lo
	v_cmpx_lt_u32_e32 11, v158
	s_cbranch_execz .LBB67_109
; %bb.108:
	s_waitcnt lgkmcnt(0)
	v_mul_f64 v[136:137], v[169:170], v[90:91]
	v_mul_f64 v[90:91], v[167:168], v[90:91]
	ds_load_2addr_b64 v[138:141], v160 offset0:24 offset1:25
	v_fma_f64 v[136:137], v[167:168], v[88:89], -v[136:137]
	v_fma_f64 v[90:91], v[169:170], v[88:89], v[90:91]
	s_waitcnt lgkmcnt(0)
	s_delay_alu instid0(VALU_DEP_1) | instskip(NEXT) | instid1(VALU_DEP_1)
	v_mul_f64 v[88:89], v[140:141], v[90:91]
	v_fma_f64 v[88:89], v[138:139], v[136:137], -v[88:89]
	v_mul_f64 v[138:139], v[138:139], v[90:91]
	s_delay_alu instid0(VALU_DEP_2) | instskip(NEXT) | instid1(VALU_DEP_2)
	v_add_f64 v[84:85], v[84:85], -v[88:89]
	v_fma_f64 v[138:139], v[140:141], v[136:137], v[138:139]
	s_delay_alu instid0(VALU_DEP_1) | instskip(SKIP_3) | instid1(VALU_DEP_1)
	v_add_f64 v[86:87], v[86:87], -v[138:139]
	ds_load_2addr_b64 v[138:141], v160 offset0:26 offset1:27
	s_waitcnt lgkmcnt(0)
	v_mul_f64 v[88:89], v[140:141], v[90:91]
	v_fma_f64 v[88:89], v[138:139], v[136:137], -v[88:89]
	v_mul_f64 v[138:139], v[138:139], v[90:91]
	s_delay_alu instid0(VALU_DEP_2) | instskip(NEXT) | instid1(VALU_DEP_2)
	v_add_f64 v[80:81], v[80:81], -v[88:89]
	v_fma_f64 v[138:139], v[140:141], v[136:137], v[138:139]
	s_delay_alu instid0(VALU_DEP_1) | instskip(SKIP_3) | instid1(VALU_DEP_1)
	v_add_f64 v[82:83], v[82:83], -v[138:139]
	ds_load_2addr_b64 v[138:141], v160 offset0:28 offset1:29
	s_waitcnt lgkmcnt(0)
	;; [unrolled: 10-line block ×21, first 2 shown]
	v_mul_f64 v[88:89], v[140:141], v[90:91]
	v_fma_f64 v[88:89], v[138:139], v[136:137], -v[88:89]
	v_mul_f64 v[138:139], v[138:139], v[90:91]
	s_delay_alu instid0(VALU_DEP_2) | instskip(NEXT) | instid1(VALU_DEP_2)
	v_add_f64 v[0:1], v[0:1], -v[88:89]
	v_fma_f64 v[138:139], v[140:141], v[136:137], v[138:139]
	v_dual_mov_b32 v88, v136 :: v_dual_mov_b32 v89, v137
	s_delay_alu instid0(VALU_DEP_2)
	v_add_f64 v[2:3], v[2:3], -v[138:139]
.LBB67_109:
	s_or_b32 exec_lo, exec_lo, s3
	s_delay_alu instid0(SALU_CYCLE_1)
	s_mov_b32 s4, exec_lo
	s_waitcnt lgkmcnt(0)
	s_barrier
	buffer_gl0_inv
	v_cmpx_eq_u32_e32 12, v158
	s_cbranch_execz .LBB67_116
; %bb.110:
	ds_store_2addr_b64 v159, v[84:85], v[86:87] offset1:1
	ds_store_2addr_b64 v160, v[80:81], v[82:83] offset0:26 offset1:27
	ds_store_2addr_b64 v160, v[76:77], v[78:79] offset0:28 offset1:29
	;; [unrolled: 1-line block ×21, first 2 shown]
	ds_load_2addr_b64 v[136:139], v159 offset1:1
	s_waitcnt lgkmcnt(0)
	v_cmp_neq_f64_e32 vcc_lo, 0, v[136:137]
	v_cmp_neq_f64_e64 s3, 0, v[138:139]
	s_delay_alu instid0(VALU_DEP_1) | instskip(NEXT) | instid1(SALU_CYCLE_1)
	s_or_b32 s3, vcc_lo, s3
	s_and_b32 exec_lo, exec_lo, s3
	s_cbranch_execz .LBB67_116
; %bb.111:
	v_cmp_gt_f64_e32 vcc_lo, 0, v[136:137]
	v_xor_b32_e32 v140, 0x80000000, v137
	v_xor_b32_e32 v142, 0x80000000, v139
	s_mov_b32 s3, exec_lo
                                        ; implicit-def: $vgpr144_vgpr145
	s_delay_alu instid0(VALU_DEP_2) | instskip(SKIP_4) | instid1(VALU_DEP_1)
	v_cndmask_b32_e32 v141, v137, v140, vcc_lo
	v_cndmask_b32_e32 v140, v136, v136, vcc_lo
	v_cmp_gt_f64_e32 vcc_lo, 0, v[138:139]
	v_cndmask_b32_e32 v143, v139, v142, vcc_lo
	v_cndmask_b32_e32 v142, v138, v138, vcc_lo
	v_cmpx_ngt_f64_e32 v[140:141], v[142:143]
	s_xor_b32 s3, exec_lo, s3
                                        ; implicit-def: $vgpr140_vgpr141_vgpr142_vgpr143
	s_cbranch_execz .LBB67_113
; %bb.112:
	v_div_scale_f64 v[140:141], null, v[138:139], v[138:139], v[136:137]
	v_div_scale_f64 v[146:147], vcc_lo, v[136:137], v[138:139], v[136:137]
	s_delay_alu instid0(VALU_DEP_2) | instskip(SKIP_2) | instid1(VALU_DEP_1)
	v_rcp_f64_e32 v[142:143], v[140:141]
	s_waitcnt_depctr 0xfff
	v_fma_f64 v[144:145], -v[140:141], v[142:143], 1.0
	v_fma_f64 v[142:143], v[142:143], v[144:145], v[142:143]
	s_delay_alu instid0(VALU_DEP_1) | instskip(NEXT) | instid1(VALU_DEP_1)
	v_fma_f64 v[144:145], -v[140:141], v[142:143], 1.0
	v_fma_f64 v[142:143], v[142:143], v[144:145], v[142:143]
	s_delay_alu instid0(VALU_DEP_1) | instskip(NEXT) | instid1(VALU_DEP_1)
	v_mul_f64 v[144:145], v[146:147], v[142:143]
	v_fma_f64 v[140:141], -v[140:141], v[144:145], v[146:147]
	s_delay_alu instid0(VALU_DEP_1) | instskip(NEXT) | instid1(VALU_DEP_1)
	v_div_fmas_f64 v[140:141], v[140:141], v[142:143], v[144:145]
	v_div_fixup_f64 v[140:141], v[140:141], v[138:139], v[136:137]
	s_delay_alu instid0(VALU_DEP_1) | instskip(NEXT) | instid1(VALU_DEP_1)
	v_fma_f64 v[136:137], v[136:137], v[140:141], v[138:139]
	v_div_scale_f64 v[138:139], null, v[136:137], v[136:137], 1.0
	s_delay_alu instid0(VALU_DEP_1) | instskip(SKIP_2) | instid1(VALU_DEP_1)
	v_rcp_f64_e32 v[142:143], v[138:139]
	s_waitcnt_depctr 0xfff
	v_fma_f64 v[144:145], -v[138:139], v[142:143], 1.0
	v_fma_f64 v[142:143], v[142:143], v[144:145], v[142:143]
	s_delay_alu instid0(VALU_DEP_1) | instskip(NEXT) | instid1(VALU_DEP_1)
	v_fma_f64 v[144:145], -v[138:139], v[142:143], 1.0
	v_fma_f64 v[142:143], v[142:143], v[144:145], v[142:143]
	v_div_scale_f64 v[144:145], vcc_lo, 1.0, v[136:137], 1.0
	s_delay_alu instid0(VALU_DEP_1) | instskip(NEXT) | instid1(VALU_DEP_1)
	v_mul_f64 v[146:147], v[144:145], v[142:143]
	v_fma_f64 v[138:139], -v[138:139], v[146:147], v[144:145]
	s_delay_alu instid0(VALU_DEP_1) | instskip(NEXT) | instid1(VALU_DEP_1)
	v_div_fmas_f64 v[138:139], v[138:139], v[142:143], v[146:147]
	v_div_fixup_f64 v[142:143], v[138:139], v[136:137], 1.0
                                        ; implicit-def: $vgpr136_vgpr137
	s_delay_alu instid0(VALU_DEP_1)
	v_mul_f64 v[144:145], v[140:141], v[142:143]
	v_xor_b32_e32 v143, 0x80000000, v143
.LBB67_113:
	s_and_not1_saveexec_b32 s3, s3
	s_cbranch_execz .LBB67_115
; %bb.114:
	v_div_scale_f64 v[140:141], null, v[136:137], v[136:137], v[138:139]
	v_div_scale_f64 v[146:147], vcc_lo, v[138:139], v[136:137], v[138:139]
	s_delay_alu instid0(VALU_DEP_2) | instskip(SKIP_2) | instid1(VALU_DEP_1)
	v_rcp_f64_e32 v[142:143], v[140:141]
	s_waitcnt_depctr 0xfff
	v_fma_f64 v[144:145], -v[140:141], v[142:143], 1.0
	v_fma_f64 v[142:143], v[142:143], v[144:145], v[142:143]
	s_delay_alu instid0(VALU_DEP_1) | instskip(NEXT) | instid1(VALU_DEP_1)
	v_fma_f64 v[144:145], -v[140:141], v[142:143], 1.0
	v_fma_f64 v[142:143], v[142:143], v[144:145], v[142:143]
	s_delay_alu instid0(VALU_DEP_1) | instskip(NEXT) | instid1(VALU_DEP_1)
	v_mul_f64 v[144:145], v[146:147], v[142:143]
	v_fma_f64 v[140:141], -v[140:141], v[144:145], v[146:147]
	s_delay_alu instid0(VALU_DEP_1) | instskip(NEXT) | instid1(VALU_DEP_1)
	v_div_fmas_f64 v[140:141], v[140:141], v[142:143], v[144:145]
	v_div_fixup_f64 v[140:141], v[140:141], v[136:137], v[138:139]
	s_delay_alu instid0(VALU_DEP_1) | instskip(NEXT) | instid1(VALU_DEP_1)
	v_fma_f64 v[136:137], v[138:139], v[140:141], v[136:137]
	v_div_scale_f64 v[138:139], null, v[136:137], v[136:137], 1.0
	s_delay_alu instid0(VALU_DEP_1) | instskip(SKIP_2) | instid1(VALU_DEP_1)
	v_rcp_f64_e32 v[142:143], v[138:139]
	s_waitcnt_depctr 0xfff
	v_fma_f64 v[144:145], -v[138:139], v[142:143], 1.0
	v_fma_f64 v[142:143], v[142:143], v[144:145], v[142:143]
	s_delay_alu instid0(VALU_DEP_1) | instskip(NEXT) | instid1(VALU_DEP_1)
	v_fma_f64 v[144:145], -v[138:139], v[142:143], 1.0
	v_fma_f64 v[142:143], v[142:143], v[144:145], v[142:143]
	v_div_scale_f64 v[144:145], vcc_lo, 1.0, v[136:137], 1.0
	s_delay_alu instid0(VALU_DEP_1) | instskip(NEXT) | instid1(VALU_DEP_1)
	v_mul_f64 v[146:147], v[144:145], v[142:143]
	v_fma_f64 v[138:139], -v[138:139], v[146:147], v[144:145]
	s_delay_alu instid0(VALU_DEP_1) | instskip(NEXT) | instid1(VALU_DEP_1)
	v_div_fmas_f64 v[138:139], v[138:139], v[142:143], v[146:147]
	v_div_fixup_f64 v[144:145], v[138:139], v[136:137], 1.0
	s_delay_alu instid0(VALU_DEP_1)
	v_mul_f64 v[142:143], v[140:141], -v[144:145]
.LBB67_115:
	s_or_b32 exec_lo, exec_lo, s3
	ds_store_2addr_b64 v159, v[144:145], v[142:143] offset1:1
.LBB67_116:
	s_or_b32 exec_lo, exec_lo, s4
	s_waitcnt lgkmcnt(0)
	s_barrier
	buffer_gl0_inv
	ds_load_2addr_b64 v[227:230], v159 offset1:1
	s_mov_b32 s3, exec_lo
	v_cmpx_lt_u32_e32 12, v158
	s_cbranch_execz .LBB67_118
; %bb.117:
	s_waitcnt lgkmcnt(0)
	v_mul_f64 v[136:137], v[229:230], v[86:87]
	v_mul_f64 v[86:87], v[227:228], v[86:87]
	ds_load_2addr_b64 v[138:141], v160 offset0:26 offset1:27
	v_fma_f64 v[136:137], v[227:228], v[84:85], -v[136:137]
	v_fma_f64 v[86:87], v[229:230], v[84:85], v[86:87]
	s_waitcnt lgkmcnt(0)
	s_delay_alu instid0(VALU_DEP_1) | instskip(NEXT) | instid1(VALU_DEP_1)
	v_mul_f64 v[84:85], v[140:141], v[86:87]
	v_fma_f64 v[84:85], v[138:139], v[136:137], -v[84:85]
	v_mul_f64 v[138:139], v[138:139], v[86:87]
	s_delay_alu instid0(VALU_DEP_2) | instskip(NEXT) | instid1(VALU_DEP_2)
	v_add_f64 v[80:81], v[80:81], -v[84:85]
	v_fma_f64 v[138:139], v[140:141], v[136:137], v[138:139]
	s_delay_alu instid0(VALU_DEP_1) | instskip(SKIP_3) | instid1(VALU_DEP_1)
	v_add_f64 v[82:83], v[82:83], -v[138:139]
	ds_load_2addr_b64 v[138:141], v160 offset0:28 offset1:29
	s_waitcnt lgkmcnt(0)
	v_mul_f64 v[84:85], v[140:141], v[86:87]
	v_fma_f64 v[84:85], v[138:139], v[136:137], -v[84:85]
	v_mul_f64 v[138:139], v[138:139], v[86:87]
	s_delay_alu instid0(VALU_DEP_2) | instskip(NEXT) | instid1(VALU_DEP_2)
	v_add_f64 v[76:77], v[76:77], -v[84:85]
	v_fma_f64 v[138:139], v[140:141], v[136:137], v[138:139]
	s_delay_alu instid0(VALU_DEP_1) | instskip(SKIP_3) | instid1(VALU_DEP_1)
	v_add_f64 v[78:79], v[78:79], -v[138:139]
	ds_load_2addr_b64 v[138:141], v160 offset0:30 offset1:31
	s_waitcnt lgkmcnt(0)
	;; [unrolled: 10-line block ×20, first 2 shown]
	v_mul_f64 v[84:85], v[140:141], v[86:87]
	v_fma_f64 v[84:85], v[138:139], v[136:137], -v[84:85]
	v_mul_f64 v[138:139], v[138:139], v[86:87]
	s_delay_alu instid0(VALU_DEP_2) | instskip(NEXT) | instid1(VALU_DEP_2)
	v_add_f64 v[0:1], v[0:1], -v[84:85]
	v_fma_f64 v[138:139], v[140:141], v[136:137], v[138:139]
	v_dual_mov_b32 v84, v136 :: v_dual_mov_b32 v85, v137
	s_delay_alu instid0(VALU_DEP_2)
	v_add_f64 v[2:3], v[2:3], -v[138:139]
.LBB67_118:
	s_or_b32 exec_lo, exec_lo, s3
	s_delay_alu instid0(SALU_CYCLE_1)
	s_mov_b32 s4, exec_lo
	s_waitcnt lgkmcnt(0)
	s_barrier
	buffer_gl0_inv
	v_cmpx_eq_u32_e32 13, v158
	s_cbranch_execz .LBB67_125
; %bb.119:
	ds_store_2addr_b64 v159, v[80:81], v[82:83] offset1:1
	ds_store_2addr_b64 v160, v[76:77], v[78:79] offset0:28 offset1:29
	ds_store_2addr_b64 v160, v[72:73], v[74:75] offset0:30 offset1:31
	;; [unrolled: 1-line block ×20, first 2 shown]
	ds_load_2addr_b64 v[136:139], v159 offset1:1
	s_waitcnt lgkmcnt(0)
	v_cmp_neq_f64_e32 vcc_lo, 0, v[136:137]
	v_cmp_neq_f64_e64 s3, 0, v[138:139]
	s_delay_alu instid0(VALU_DEP_1) | instskip(NEXT) | instid1(SALU_CYCLE_1)
	s_or_b32 s3, vcc_lo, s3
	s_and_b32 exec_lo, exec_lo, s3
	s_cbranch_execz .LBB67_125
; %bb.120:
	v_cmp_gt_f64_e32 vcc_lo, 0, v[136:137]
	v_xor_b32_e32 v140, 0x80000000, v137
	v_xor_b32_e32 v142, 0x80000000, v139
	s_mov_b32 s3, exec_lo
                                        ; implicit-def: $vgpr144_vgpr145
	s_delay_alu instid0(VALU_DEP_2) | instskip(SKIP_4) | instid1(VALU_DEP_1)
	v_cndmask_b32_e32 v141, v137, v140, vcc_lo
	v_cndmask_b32_e32 v140, v136, v136, vcc_lo
	v_cmp_gt_f64_e32 vcc_lo, 0, v[138:139]
	v_cndmask_b32_e32 v143, v139, v142, vcc_lo
	v_cndmask_b32_e32 v142, v138, v138, vcc_lo
	v_cmpx_ngt_f64_e32 v[140:141], v[142:143]
	s_xor_b32 s3, exec_lo, s3
                                        ; implicit-def: $vgpr140_vgpr141_vgpr142_vgpr143
	s_cbranch_execz .LBB67_122
; %bb.121:
	v_div_scale_f64 v[140:141], null, v[138:139], v[138:139], v[136:137]
	v_div_scale_f64 v[146:147], vcc_lo, v[136:137], v[138:139], v[136:137]
	s_delay_alu instid0(VALU_DEP_2) | instskip(SKIP_2) | instid1(VALU_DEP_1)
	v_rcp_f64_e32 v[142:143], v[140:141]
	s_waitcnt_depctr 0xfff
	v_fma_f64 v[144:145], -v[140:141], v[142:143], 1.0
	v_fma_f64 v[142:143], v[142:143], v[144:145], v[142:143]
	s_delay_alu instid0(VALU_DEP_1) | instskip(NEXT) | instid1(VALU_DEP_1)
	v_fma_f64 v[144:145], -v[140:141], v[142:143], 1.0
	v_fma_f64 v[142:143], v[142:143], v[144:145], v[142:143]
	s_delay_alu instid0(VALU_DEP_1) | instskip(NEXT) | instid1(VALU_DEP_1)
	v_mul_f64 v[144:145], v[146:147], v[142:143]
	v_fma_f64 v[140:141], -v[140:141], v[144:145], v[146:147]
	s_delay_alu instid0(VALU_DEP_1) | instskip(NEXT) | instid1(VALU_DEP_1)
	v_div_fmas_f64 v[140:141], v[140:141], v[142:143], v[144:145]
	v_div_fixup_f64 v[140:141], v[140:141], v[138:139], v[136:137]
	s_delay_alu instid0(VALU_DEP_1) | instskip(NEXT) | instid1(VALU_DEP_1)
	v_fma_f64 v[136:137], v[136:137], v[140:141], v[138:139]
	v_div_scale_f64 v[138:139], null, v[136:137], v[136:137], 1.0
	s_delay_alu instid0(VALU_DEP_1) | instskip(SKIP_2) | instid1(VALU_DEP_1)
	v_rcp_f64_e32 v[142:143], v[138:139]
	s_waitcnt_depctr 0xfff
	v_fma_f64 v[144:145], -v[138:139], v[142:143], 1.0
	v_fma_f64 v[142:143], v[142:143], v[144:145], v[142:143]
	s_delay_alu instid0(VALU_DEP_1) | instskip(NEXT) | instid1(VALU_DEP_1)
	v_fma_f64 v[144:145], -v[138:139], v[142:143], 1.0
	v_fma_f64 v[142:143], v[142:143], v[144:145], v[142:143]
	v_div_scale_f64 v[144:145], vcc_lo, 1.0, v[136:137], 1.0
	s_delay_alu instid0(VALU_DEP_1) | instskip(NEXT) | instid1(VALU_DEP_1)
	v_mul_f64 v[146:147], v[144:145], v[142:143]
	v_fma_f64 v[138:139], -v[138:139], v[146:147], v[144:145]
	s_delay_alu instid0(VALU_DEP_1) | instskip(NEXT) | instid1(VALU_DEP_1)
	v_div_fmas_f64 v[138:139], v[138:139], v[142:143], v[146:147]
	v_div_fixup_f64 v[142:143], v[138:139], v[136:137], 1.0
                                        ; implicit-def: $vgpr136_vgpr137
	s_delay_alu instid0(VALU_DEP_1)
	v_mul_f64 v[144:145], v[140:141], v[142:143]
	v_xor_b32_e32 v143, 0x80000000, v143
.LBB67_122:
	s_and_not1_saveexec_b32 s3, s3
	s_cbranch_execz .LBB67_124
; %bb.123:
	v_div_scale_f64 v[140:141], null, v[136:137], v[136:137], v[138:139]
	v_div_scale_f64 v[146:147], vcc_lo, v[138:139], v[136:137], v[138:139]
	s_delay_alu instid0(VALU_DEP_2) | instskip(SKIP_2) | instid1(VALU_DEP_1)
	v_rcp_f64_e32 v[142:143], v[140:141]
	s_waitcnt_depctr 0xfff
	v_fma_f64 v[144:145], -v[140:141], v[142:143], 1.0
	v_fma_f64 v[142:143], v[142:143], v[144:145], v[142:143]
	s_delay_alu instid0(VALU_DEP_1) | instskip(NEXT) | instid1(VALU_DEP_1)
	v_fma_f64 v[144:145], -v[140:141], v[142:143], 1.0
	v_fma_f64 v[142:143], v[142:143], v[144:145], v[142:143]
	s_delay_alu instid0(VALU_DEP_1) | instskip(NEXT) | instid1(VALU_DEP_1)
	v_mul_f64 v[144:145], v[146:147], v[142:143]
	v_fma_f64 v[140:141], -v[140:141], v[144:145], v[146:147]
	s_delay_alu instid0(VALU_DEP_1) | instskip(NEXT) | instid1(VALU_DEP_1)
	v_div_fmas_f64 v[140:141], v[140:141], v[142:143], v[144:145]
	v_div_fixup_f64 v[140:141], v[140:141], v[136:137], v[138:139]
	s_delay_alu instid0(VALU_DEP_1) | instskip(NEXT) | instid1(VALU_DEP_1)
	v_fma_f64 v[136:137], v[138:139], v[140:141], v[136:137]
	v_div_scale_f64 v[138:139], null, v[136:137], v[136:137], 1.0
	s_delay_alu instid0(VALU_DEP_1) | instskip(SKIP_2) | instid1(VALU_DEP_1)
	v_rcp_f64_e32 v[142:143], v[138:139]
	s_waitcnt_depctr 0xfff
	v_fma_f64 v[144:145], -v[138:139], v[142:143], 1.0
	v_fma_f64 v[142:143], v[142:143], v[144:145], v[142:143]
	s_delay_alu instid0(VALU_DEP_1) | instskip(NEXT) | instid1(VALU_DEP_1)
	v_fma_f64 v[144:145], -v[138:139], v[142:143], 1.0
	v_fma_f64 v[142:143], v[142:143], v[144:145], v[142:143]
	v_div_scale_f64 v[144:145], vcc_lo, 1.0, v[136:137], 1.0
	s_delay_alu instid0(VALU_DEP_1) | instskip(NEXT) | instid1(VALU_DEP_1)
	v_mul_f64 v[146:147], v[144:145], v[142:143]
	v_fma_f64 v[138:139], -v[138:139], v[146:147], v[144:145]
	s_delay_alu instid0(VALU_DEP_1) | instskip(NEXT) | instid1(VALU_DEP_1)
	v_div_fmas_f64 v[138:139], v[138:139], v[142:143], v[146:147]
	v_div_fixup_f64 v[144:145], v[138:139], v[136:137], 1.0
	s_delay_alu instid0(VALU_DEP_1)
	v_mul_f64 v[142:143], v[140:141], -v[144:145]
.LBB67_124:
	s_or_b32 exec_lo, exec_lo, s3
	ds_store_2addr_b64 v159, v[144:145], v[142:143] offset1:1
.LBB67_125:
	s_or_b32 exec_lo, exec_lo, s4
	s_waitcnt lgkmcnt(0)
	s_barrier
	buffer_gl0_inv
	ds_load_2addr_b64 v[231:234], v159 offset1:1
	s_mov_b32 s3, exec_lo
	v_cmpx_lt_u32_e32 13, v158
	s_cbranch_execz .LBB67_127
; %bb.126:
	s_waitcnt lgkmcnt(0)
	v_mul_f64 v[136:137], v[233:234], v[82:83]
	v_mul_f64 v[82:83], v[231:232], v[82:83]
	ds_load_2addr_b64 v[138:141], v160 offset0:28 offset1:29
	v_fma_f64 v[136:137], v[231:232], v[80:81], -v[136:137]
	v_fma_f64 v[82:83], v[233:234], v[80:81], v[82:83]
	s_waitcnt lgkmcnt(0)
	s_delay_alu instid0(VALU_DEP_1) | instskip(NEXT) | instid1(VALU_DEP_1)
	v_mul_f64 v[80:81], v[140:141], v[82:83]
	v_fma_f64 v[80:81], v[138:139], v[136:137], -v[80:81]
	v_mul_f64 v[138:139], v[138:139], v[82:83]
	s_delay_alu instid0(VALU_DEP_2) | instskip(NEXT) | instid1(VALU_DEP_2)
	v_add_f64 v[76:77], v[76:77], -v[80:81]
	v_fma_f64 v[138:139], v[140:141], v[136:137], v[138:139]
	s_delay_alu instid0(VALU_DEP_1) | instskip(SKIP_3) | instid1(VALU_DEP_1)
	v_add_f64 v[78:79], v[78:79], -v[138:139]
	ds_load_2addr_b64 v[138:141], v160 offset0:30 offset1:31
	s_waitcnt lgkmcnt(0)
	v_mul_f64 v[80:81], v[140:141], v[82:83]
	v_fma_f64 v[80:81], v[138:139], v[136:137], -v[80:81]
	v_mul_f64 v[138:139], v[138:139], v[82:83]
	s_delay_alu instid0(VALU_DEP_2) | instskip(NEXT) | instid1(VALU_DEP_2)
	v_add_f64 v[72:73], v[72:73], -v[80:81]
	v_fma_f64 v[138:139], v[140:141], v[136:137], v[138:139]
	s_delay_alu instid0(VALU_DEP_1) | instskip(SKIP_3) | instid1(VALU_DEP_1)
	v_add_f64 v[74:75], v[74:75], -v[138:139]
	ds_load_2addr_b64 v[138:141], v160 offset0:32 offset1:33
	s_waitcnt lgkmcnt(0)
	;; [unrolled: 10-line block ×19, first 2 shown]
	v_mul_f64 v[80:81], v[140:141], v[82:83]
	v_fma_f64 v[80:81], v[138:139], v[136:137], -v[80:81]
	v_mul_f64 v[138:139], v[138:139], v[82:83]
	s_delay_alu instid0(VALU_DEP_2) | instskip(NEXT) | instid1(VALU_DEP_2)
	v_add_f64 v[0:1], v[0:1], -v[80:81]
	v_fma_f64 v[138:139], v[140:141], v[136:137], v[138:139]
	v_dual_mov_b32 v80, v136 :: v_dual_mov_b32 v81, v137
	s_delay_alu instid0(VALU_DEP_2)
	v_add_f64 v[2:3], v[2:3], -v[138:139]
.LBB67_127:
	s_or_b32 exec_lo, exec_lo, s3
	s_delay_alu instid0(SALU_CYCLE_1)
	s_mov_b32 s4, exec_lo
	s_waitcnt lgkmcnt(0)
	s_barrier
	buffer_gl0_inv
	v_cmpx_eq_u32_e32 14, v158
	s_cbranch_execz .LBB67_134
; %bb.128:
	ds_store_2addr_b64 v159, v[76:77], v[78:79] offset1:1
	ds_store_2addr_b64 v160, v[72:73], v[74:75] offset0:30 offset1:31
	ds_store_2addr_b64 v160, v[68:69], v[70:71] offset0:32 offset1:33
	;; [unrolled: 1-line block ×19, first 2 shown]
	ds_load_2addr_b64 v[136:139], v159 offset1:1
	s_waitcnt lgkmcnt(0)
	v_cmp_neq_f64_e32 vcc_lo, 0, v[136:137]
	v_cmp_neq_f64_e64 s3, 0, v[138:139]
	s_delay_alu instid0(VALU_DEP_1) | instskip(NEXT) | instid1(SALU_CYCLE_1)
	s_or_b32 s3, vcc_lo, s3
	s_and_b32 exec_lo, exec_lo, s3
	s_cbranch_execz .LBB67_134
; %bb.129:
	v_cmp_gt_f64_e32 vcc_lo, 0, v[136:137]
	v_xor_b32_e32 v140, 0x80000000, v137
	v_xor_b32_e32 v142, 0x80000000, v139
	s_mov_b32 s3, exec_lo
                                        ; implicit-def: $vgpr144_vgpr145
	s_delay_alu instid0(VALU_DEP_2) | instskip(SKIP_4) | instid1(VALU_DEP_1)
	v_cndmask_b32_e32 v141, v137, v140, vcc_lo
	v_cndmask_b32_e32 v140, v136, v136, vcc_lo
	v_cmp_gt_f64_e32 vcc_lo, 0, v[138:139]
	v_cndmask_b32_e32 v143, v139, v142, vcc_lo
	v_cndmask_b32_e32 v142, v138, v138, vcc_lo
	v_cmpx_ngt_f64_e32 v[140:141], v[142:143]
	s_xor_b32 s3, exec_lo, s3
                                        ; implicit-def: $vgpr140_vgpr141_vgpr142_vgpr143
	s_cbranch_execz .LBB67_131
; %bb.130:
	v_div_scale_f64 v[140:141], null, v[138:139], v[138:139], v[136:137]
	v_div_scale_f64 v[146:147], vcc_lo, v[136:137], v[138:139], v[136:137]
	s_delay_alu instid0(VALU_DEP_2) | instskip(SKIP_2) | instid1(VALU_DEP_1)
	v_rcp_f64_e32 v[142:143], v[140:141]
	s_waitcnt_depctr 0xfff
	v_fma_f64 v[144:145], -v[140:141], v[142:143], 1.0
	v_fma_f64 v[142:143], v[142:143], v[144:145], v[142:143]
	s_delay_alu instid0(VALU_DEP_1) | instskip(NEXT) | instid1(VALU_DEP_1)
	v_fma_f64 v[144:145], -v[140:141], v[142:143], 1.0
	v_fma_f64 v[142:143], v[142:143], v[144:145], v[142:143]
	s_delay_alu instid0(VALU_DEP_1) | instskip(NEXT) | instid1(VALU_DEP_1)
	v_mul_f64 v[144:145], v[146:147], v[142:143]
	v_fma_f64 v[140:141], -v[140:141], v[144:145], v[146:147]
	s_delay_alu instid0(VALU_DEP_1) | instskip(NEXT) | instid1(VALU_DEP_1)
	v_div_fmas_f64 v[140:141], v[140:141], v[142:143], v[144:145]
	v_div_fixup_f64 v[140:141], v[140:141], v[138:139], v[136:137]
	s_delay_alu instid0(VALU_DEP_1) | instskip(NEXT) | instid1(VALU_DEP_1)
	v_fma_f64 v[136:137], v[136:137], v[140:141], v[138:139]
	v_div_scale_f64 v[138:139], null, v[136:137], v[136:137], 1.0
	s_delay_alu instid0(VALU_DEP_1) | instskip(SKIP_2) | instid1(VALU_DEP_1)
	v_rcp_f64_e32 v[142:143], v[138:139]
	s_waitcnt_depctr 0xfff
	v_fma_f64 v[144:145], -v[138:139], v[142:143], 1.0
	v_fma_f64 v[142:143], v[142:143], v[144:145], v[142:143]
	s_delay_alu instid0(VALU_DEP_1) | instskip(NEXT) | instid1(VALU_DEP_1)
	v_fma_f64 v[144:145], -v[138:139], v[142:143], 1.0
	v_fma_f64 v[142:143], v[142:143], v[144:145], v[142:143]
	v_div_scale_f64 v[144:145], vcc_lo, 1.0, v[136:137], 1.0
	s_delay_alu instid0(VALU_DEP_1) | instskip(NEXT) | instid1(VALU_DEP_1)
	v_mul_f64 v[146:147], v[144:145], v[142:143]
	v_fma_f64 v[138:139], -v[138:139], v[146:147], v[144:145]
	s_delay_alu instid0(VALU_DEP_1) | instskip(NEXT) | instid1(VALU_DEP_1)
	v_div_fmas_f64 v[138:139], v[138:139], v[142:143], v[146:147]
	v_div_fixup_f64 v[142:143], v[138:139], v[136:137], 1.0
                                        ; implicit-def: $vgpr136_vgpr137
	s_delay_alu instid0(VALU_DEP_1)
	v_mul_f64 v[144:145], v[140:141], v[142:143]
	v_xor_b32_e32 v143, 0x80000000, v143
.LBB67_131:
	s_and_not1_saveexec_b32 s3, s3
	s_cbranch_execz .LBB67_133
; %bb.132:
	v_div_scale_f64 v[140:141], null, v[136:137], v[136:137], v[138:139]
	v_div_scale_f64 v[146:147], vcc_lo, v[138:139], v[136:137], v[138:139]
	s_delay_alu instid0(VALU_DEP_2) | instskip(SKIP_2) | instid1(VALU_DEP_1)
	v_rcp_f64_e32 v[142:143], v[140:141]
	s_waitcnt_depctr 0xfff
	v_fma_f64 v[144:145], -v[140:141], v[142:143], 1.0
	v_fma_f64 v[142:143], v[142:143], v[144:145], v[142:143]
	s_delay_alu instid0(VALU_DEP_1) | instskip(NEXT) | instid1(VALU_DEP_1)
	v_fma_f64 v[144:145], -v[140:141], v[142:143], 1.0
	v_fma_f64 v[142:143], v[142:143], v[144:145], v[142:143]
	s_delay_alu instid0(VALU_DEP_1) | instskip(NEXT) | instid1(VALU_DEP_1)
	v_mul_f64 v[144:145], v[146:147], v[142:143]
	v_fma_f64 v[140:141], -v[140:141], v[144:145], v[146:147]
	s_delay_alu instid0(VALU_DEP_1) | instskip(NEXT) | instid1(VALU_DEP_1)
	v_div_fmas_f64 v[140:141], v[140:141], v[142:143], v[144:145]
	v_div_fixup_f64 v[140:141], v[140:141], v[136:137], v[138:139]
	s_delay_alu instid0(VALU_DEP_1) | instskip(NEXT) | instid1(VALU_DEP_1)
	v_fma_f64 v[136:137], v[138:139], v[140:141], v[136:137]
	v_div_scale_f64 v[138:139], null, v[136:137], v[136:137], 1.0
	s_delay_alu instid0(VALU_DEP_1) | instskip(SKIP_2) | instid1(VALU_DEP_1)
	v_rcp_f64_e32 v[142:143], v[138:139]
	s_waitcnt_depctr 0xfff
	v_fma_f64 v[144:145], -v[138:139], v[142:143], 1.0
	v_fma_f64 v[142:143], v[142:143], v[144:145], v[142:143]
	s_delay_alu instid0(VALU_DEP_1) | instskip(NEXT) | instid1(VALU_DEP_1)
	v_fma_f64 v[144:145], -v[138:139], v[142:143], 1.0
	v_fma_f64 v[142:143], v[142:143], v[144:145], v[142:143]
	v_div_scale_f64 v[144:145], vcc_lo, 1.0, v[136:137], 1.0
	s_delay_alu instid0(VALU_DEP_1) | instskip(NEXT) | instid1(VALU_DEP_1)
	v_mul_f64 v[146:147], v[144:145], v[142:143]
	v_fma_f64 v[138:139], -v[138:139], v[146:147], v[144:145]
	s_delay_alu instid0(VALU_DEP_1) | instskip(NEXT) | instid1(VALU_DEP_1)
	v_div_fmas_f64 v[138:139], v[138:139], v[142:143], v[146:147]
	v_div_fixup_f64 v[144:145], v[138:139], v[136:137], 1.0
	s_delay_alu instid0(VALU_DEP_1)
	v_mul_f64 v[142:143], v[140:141], -v[144:145]
.LBB67_133:
	s_or_b32 exec_lo, exec_lo, s3
	ds_store_2addr_b64 v159, v[144:145], v[142:143] offset1:1
.LBB67_134:
	s_or_b32 exec_lo, exec_lo, s4
	s_waitcnt lgkmcnt(0)
	s_barrier
	buffer_gl0_inv
	ds_load_2addr_b64 v[171:174], v159 offset1:1
	s_mov_b32 s3, exec_lo
	v_cmpx_lt_u32_e32 14, v158
	s_cbranch_execz .LBB67_136
; %bb.135:
	s_waitcnt lgkmcnt(0)
	v_mul_f64 v[136:137], v[173:174], v[78:79]
	v_mul_f64 v[78:79], v[171:172], v[78:79]
	ds_load_2addr_b64 v[138:141], v160 offset0:30 offset1:31
	v_fma_f64 v[136:137], v[171:172], v[76:77], -v[136:137]
	v_fma_f64 v[78:79], v[173:174], v[76:77], v[78:79]
	s_waitcnt lgkmcnt(0)
	s_delay_alu instid0(VALU_DEP_1) | instskip(NEXT) | instid1(VALU_DEP_1)
	v_mul_f64 v[76:77], v[140:141], v[78:79]
	v_fma_f64 v[76:77], v[138:139], v[136:137], -v[76:77]
	v_mul_f64 v[138:139], v[138:139], v[78:79]
	s_delay_alu instid0(VALU_DEP_2) | instskip(NEXT) | instid1(VALU_DEP_2)
	v_add_f64 v[72:73], v[72:73], -v[76:77]
	v_fma_f64 v[138:139], v[140:141], v[136:137], v[138:139]
	s_delay_alu instid0(VALU_DEP_1) | instskip(SKIP_3) | instid1(VALU_DEP_1)
	v_add_f64 v[74:75], v[74:75], -v[138:139]
	ds_load_2addr_b64 v[138:141], v160 offset0:32 offset1:33
	s_waitcnt lgkmcnt(0)
	v_mul_f64 v[76:77], v[140:141], v[78:79]
	v_fma_f64 v[76:77], v[138:139], v[136:137], -v[76:77]
	v_mul_f64 v[138:139], v[138:139], v[78:79]
	s_delay_alu instid0(VALU_DEP_2) | instskip(NEXT) | instid1(VALU_DEP_2)
	v_add_f64 v[68:69], v[68:69], -v[76:77]
	v_fma_f64 v[138:139], v[140:141], v[136:137], v[138:139]
	s_delay_alu instid0(VALU_DEP_1) | instskip(SKIP_3) | instid1(VALU_DEP_1)
	v_add_f64 v[70:71], v[70:71], -v[138:139]
	ds_load_2addr_b64 v[138:141], v160 offset0:34 offset1:35
	s_waitcnt lgkmcnt(0)
	;; [unrolled: 10-line block ×18, first 2 shown]
	v_mul_f64 v[76:77], v[140:141], v[78:79]
	v_fma_f64 v[76:77], v[138:139], v[136:137], -v[76:77]
	v_mul_f64 v[138:139], v[138:139], v[78:79]
	s_delay_alu instid0(VALU_DEP_2) | instskip(NEXT) | instid1(VALU_DEP_2)
	v_add_f64 v[0:1], v[0:1], -v[76:77]
	v_fma_f64 v[138:139], v[140:141], v[136:137], v[138:139]
	v_dual_mov_b32 v76, v136 :: v_dual_mov_b32 v77, v137
	s_delay_alu instid0(VALU_DEP_2)
	v_add_f64 v[2:3], v[2:3], -v[138:139]
.LBB67_136:
	s_or_b32 exec_lo, exec_lo, s3
	s_delay_alu instid0(SALU_CYCLE_1)
	s_mov_b32 s4, exec_lo
	s_waitcnt lgkmcnt(0)
	s_barrier
	buffer_gl0_inv
	v_cmpx_eq_u32_e32 15, v158
	s_cbranch_execz .LBB67_143
; %bb.137:
	ds_store_2addr_b64 v159, v[72:73], v[74:75] offset1:1
	ds_store_2addr_b64 v160, v[68:69], v[70:71] offset0:32 offset1:33
	ds_store_2addr_b64 v160, v[64:65], v[66:67] offset0:34 offset1:35
	;; [unrolled: 1-line block ×18, first 2 shown]
	ds_load_2addr_b64 v[136:139], v159 offset1:1
	s_waitcnt lgkmcnt(0)
	v_cmp_neq_f64_e32 vcc_lo, 0, v[136:137]
	v_cmp_neq_f64_e64 s3, 0, v[138:139]
	s_delay_alu instid0(VALU_DEP_1) | instskip(NEXT) | instid1(SALU_CYCLE_1)
	s_or_b32 s3, vcc_lo, s3
	s_and_b32 exec_lo, exec_lo, s3
	s_cbranch_execz .LBB67_143
; %bb.138:
	v_cmp_gt_f64_e32 vcc_lo, 0, v[136:137]
	v_xor_b32_e32 v140, 0x80000000, v137
	v_xor_b32_e32 v142, 0x80000000, v139
	s_mov_b32 s3, exec_lo
                                        ; implicit-def: $vgpr144_vgpr145
	s_delay_alu instid0(VALU_DEP_2) | instskip(SKIP_4) | instid1(VALU_DEP_1)
	v_cndmask_b32_e32 v141, v137, v140, vcc_lo
	v_cndmask_b32_e32 v140, v136, v136, vcc_lo
	v_cmp_gt_f64_e32 vcc_lo, 0, v[138:139]
	v_cndmask_b32_e32 v143, v139, v142, vcc_lo
	v_cndmask_b32_e32 v142, v138, v138, vcc_lo
	v_cmpx_ngt_f64_e32 v[140:141], v[142:143]
	s_xor_b32 s3, exec_lo, s3
                                        ; implicit-def: $vgpr140_vgpr141_vgpr142_vgpr143
	s_cbranch_execz .LBB67_140
; %bb.139:
	v_div_scale_f64 v[140:141], null, v[138:139], v[138:139], v[136:137]
	v_div_scale_f64 v[146:147], vcc_lo, v[136:137], v[138:139], v[136:137]
	s_delay_alu instid0(VALU_DEP_2) | instskip(SKIP_2) | instid1(VALU_DEP_1)
	v_rcp_f64_e32 v[142:143], v[140:141]
	s_waitcnt_depctr 0xfff
	v_fma_f64 v[144:145], -v[140:141], v[142:143], 1.0
	v_fma_f64 v[142:143], v[142:143], v[144:145], v[142:143]
	s_delay_alu instid0(VALU_DEP_1) | instskip(NEXT) | instid1(VALU_DEP_1)
	v_fma_f64 v[144:145], -v[140:141], v[142:143], 1.0
	v_fma_f64 v[142:143], v[142:143], v[144:145], v[142:143]
	s_delay_alu instid0(VALU_DEP_1) | instskip(NEXT) | instid1(VALU_DEP_1)
	v_mul_f64 v[144:145], v[146:147], v[142:143]
	v_fma_f64 v[140:141], -v[140:141], v[144:145], v[146:147]
	s_delay_alu instid0(VALU_DEP_1) | instskip(NEXT) | instid1(VALU_DEP_1)
	v_div_fmas_f64 v[140:141], v[140:141], v[142:143], v[144:145]
	v_div_fixup_f64 v[140:141], v[140:141], v[138:139], v[136:137]
	s_delay_alu instid0(VALU_DEP_1) | instskip(NEXT) | instid1(VALU_DEP_1)
	v_fma_f64 v[136:137], v[136:137], v[140:141], v[138:139]
	v_div_scale_f64 v[138:139], null, v[136:137], v[136:137], 1.0
	s_delay_alu instid0(VALU_DEP_1) | instskip(SKIP_2) | instid1(VALU_DEP_1)
	v_rcp_f64_e32 v[142:143], v[138:139]
	s_waitcnt_depctr 0xfff
	v_fma_f64 v[144:145], -v[138:139], v[142:143], 1.0
	v_fma_f64 v[142:143], v[142:143], v[144:145], v[142:143]
	s_delay_alu instid0(VALU_DEP_1) | instskip(NEXT) | instid1(VALU_DEP_1)
	v_fma_f64 v[144:145], -v[138:139], v[142:143], 1.0
	v_fma_f64 v[142:143], v[142:143], v[144:145], v[142:143]
	v_div_scale_f64 v[144:145], vcc_lo, 1.0, v[136:137], 1.0
	s_delay_alu instid0(VALU_DEP_1) | instskip(NEXT) | instid1(VALU_DEP_1)
	v_mul_f64 v[146:147], v[144:145], v[142:143]
	v_fma_f64 v[138:139], -v[138:139], v[146:147], v[144:145]
	s_delay_alu instid0(VALU_DEP_1) | instskip(NEXT) | instid1(VALU_DEP_1)
	v_div_fmas_f64 v[138:139], v[138:139], v[142:143], v[146:147]
	v_div_fixup_f64 v[142:143], v[138:139], v[136:137], 1.0
                                        ; implicit-def: $vgpr136_vgpr137
	s_delay_alu instid0(VALU_DEP_1)
	v_mul_f64 v[144:145], v[140:141], v[142:143]
	v_xor_b32_e32 v143, 0x80000000, v143
.LBB67_140:
	s_and_not1_saveexec_b32 s3, s3
	s_cbranch_execz .LBB67_142
; %bb.141:
	v_div_scale_f64 v[140:141], null, v[136:137], v[136:137], v[138:139]
	v_div_scale_f64 v[146:147], vcc_lo, v[138:139], v[136:137], v[138:139]
	s_delay_alu instid0(VALU_DEP_2) | instskip(SKIP_2) | instid1(VALU_DEP_1)
	v_rcp_f64_e32 v[142:143], v[140:141]
	s_waitcnt_depctr 0xfff
	v_fma_f64 v[144:145], -v[140:141], v[142:143], 1.0
	v_fma_f64 v[142:143], v[142:143], v[144:145], v[142:143]
	s_delay_alu instid0(VALU_DEP_1) | instskip(NEXT) | instid1(VALU_DEP_1)
	v_fma_f64 v[144:145], -v[140:141], v[142:143], 1.0
	v_fma_f64 v[142:143], v[142:143], v[144:145], v[142:143]
	s_delay_alu instid0(VALU_DEP_1) | instskip(NEXT) | instid1(VALU_DEP_1)
	v_mul_f64 v[144:145], v[146:147], v[142:143]
	v_fma_f64 v[140:141], -v[140:141], v[144:145], v[146:147]
	s_delay_alu instid0(VALU_DEP_1) | instskip(NEXT) | instid1(VALU_DEP_1)
	v_div_fmas_f64 v[140:141], v[140:141], v[142:143], v[144:145]
	v_div_fixup_f64 v[140:141], v[140:141], v[136:137], v[138:139]
	s_delay_alu instid0(VALU_DEP_1) | instskip(NEXT) | instid1(VALU_DEP_1)
	v_fma_f64 v[136:137], v[138:139], v[140:141], v[136:137]
	v_div_scale_f64 v[138:139], null, v[136:137], v[136:137], 1.0
	s_delay_alu instid0(VALU_DEP_1) | instskip(SKIP_2) | instid1(VALU_DEP_1)
	v_rcp_f64_e32 v[142:143], v[138:139]
	s_waitcnt_depctr 0xfff
	v_fma_f64 v[144:145], -v[138:139], v[142:143], 1.0
	v_fma_f64 v[142:143], v[142:143], v[144:145], v[142:143]
	s_delay_alu instid0(VALU_DEP_1) | instskip(NEXT) | instid1(VALU_DEP_1)
	v_fma_f64 v[144:145], -v[138:139], v[142:143], 1.0
	v_fma_f64 v[142:143], v[142:143], v[144:145], v[142:143]
	v_div_scale_f64 v[144:145], vcc_lo, 1.0, v[136:137], 1.0
	s_delay_alu instid0(VALU_DEP_1) | instskip(NEXT) | instid1(VALU_DEP_1)
	v_mul_f64 v[146:147], v[144:145], v[142:143]
	v_fma_f64 v[138:139], -v[138:139], v[146:147], v[144:145]
	s_delay_alu instid0(VALU_DEP_1) | instskip(NEXT) | instid1(VALU_DEP_1)
	v_div_fmas_f64 v[138:139], v[138:139], v[142:143], v[146:147]
	v_div_fixup_f64 v[144:145], v[138:139], v[136:137], 1.0
	s_delay_alu instid0(VALU_DEP_1)
	v_mul_f64 v[142:143], v[140:141], -v[144:145]
.LBB67_142:
	s_or_b32 exec_lo, exec_lo, s3
	ds_store_2addr_b64 v159, v[144:145], v[142:143] offset1:1
.LBB67_143:
	s_or_b32 exec_lo, exec_lo, s4
	s_waitcnt lgkmcnt(0)
	s_barrier
	buffer_gl0_inv
	ds_load_2addr_b64 v[175:178], v159 offset1:1
	s_mov_b32 s3, exec_lo
	v_cmpx_lt_u32_e32 15, v158
	s_cbranch_execz .LBB67_145
; %bb.144:
	s_waitcnt lgkmcnt(0)
	v_mul_f64 v[136:137], v[177:178], v[74:75]
	v_mul_f64 v[74:75], v[175:176], v[74:75]
	ds_load_2addr_b64 v[138:141], v160 offset0:32 offset1:33
	v_fma_f64 v[136:137], v[175:176], v[72:73], -v[136:137]
	v_fma_f64 v[74:75], v[177:178], v[72:73], v[74:75]
	s_waitcnt lgkmcnt(0)
	s_delay_alu instid0(VALU_DEP_1) | instskip(NEXT) | instid1(VALU_DEP_1)
	v_mul_f64 v[72:73], v[140:141], v[74:75]
	v_fma_f64 v[72:73], v[138:139], v[136:137], -v[72:73]
	v_mul_f64 v[138:139], v[138:139], v[74:75]
	s_delay_alu instid0(VALU_DEP_2) | instskip(NEXT) | instid1(VALU_DEP_2)
	v_add_f64 v[68:69], v[68:69], -v[72:73]
	v_fma_f64 v[138:139], v[140:141], v[136:137], v[138:139]
	s_delay_alu instid0(VALU_DEP_1) | instskip(SKIP_3) | instid1(VALU_DEP_1)
	v_add_f64 v[70:71], v[70:71], -v[138:139]
	ds_load_2addr_b64 v[138:141], v160 offset0:34 offset1:35
	s_waitcnt lgkmcnt(0)
	v_mul_f64 v[72:73], v[140:141], v[74:75]
	v_fma_f64 v[72:73], v[138:139], v[136:137], -v[72:73]
	v_mul_f64 v[138:139], v[138:139], v[74:75]
	s_delay_alu instid0(VALU_DEP_2) | instskip(NEXT) | instid1(VALU_DEP_2)
	v_add_f64 v[64:65], v[64:65], -v[72:73]
	v_fma_f64 v[138:139], v[140:141], v[136:137], v[138:139]
	s_delay_alu instid0(VALU_DEP_1) | instskip(SKIP_3) | instid1(VALU_DEP_1)
	v_add_f64 v[66:67], v[66:67], -v[138:139]
	ds_load_2addr_b64 v[138:141], v160 offset0:36 offset1:37
	s_waitcnt lgkmcnt(0)
	;; [unrolled: 10-line block ×17, first 2 shown]
	v_mul_f64 v[72:73], v[140:141], v[74:75]
	v_fma_f64 v[72:73], v[138:139], v[136:137], -v[72:73]
	v_mul_f64 v[138:139], v[138:139], v[74:75]
	s_delay_alu instid0(VALU_DEP_2) | instskip(NEXT) | instid1(VALU_DEP_2)
	v_add_f64 v[0:1], v[0:1], -v[72:73]
	v_fma_f64 v[138:139], v[140:141], v[136:137], v[138:139]
	v_dual_mov_b32 v72, v136 :: v_dual_mov_b32 v73, v137
	s_delay_alu instid0(VALU_DEP_2)
	v_add_f64 v[2:3], v[2:3], -v[138:139]
.LBB67_145:
	s_or_b32 exec_lo, exec_lo, s3
	s_delay_alu instid0(SALU_CYCLE_1)
	s_mov_b32 s4, exec_lo
	s_waitcnt lgkmcnt(0)
	s_barrier
	buffer_gl0_inv
	v_cmpx_eq_u32_e32 16, v158
	s_cbranch_execz .LBB67_152
; %bb.146:
	ds_store_2addr_b64 v159, v[68:69], v[70:71] offset1:1
	ds_store_2addr_b64 v160, v[64:65], v[66:67] offset0:34 offset1:35
	ds_store_2addr_b64 v160, v[60:61], v[62:63] offset0:36 offset1:37
	;; [unrolled: 1-line block ×17, first 2 shown]
	ds_load_2addr_b64 v[136:139], v159 offset1:1
	s_waitcnt lgkmcnt(0)
	v_cmp_neq_f64_e32 vcc_lo, 0, v[136:137]
	v_cmp_neq_f64_e64 s3, 0, v[138:139]
	s_delay_alu instid0(VALU_DEP_1) | instskip(NEXT) | instid1(SALU_CYCLE_1)
	s_or_b32 s3, vcc_lo, s3
	s_and_b32 exec_lo, exec_lo, s3
	s_cbranch_execz .LBB67_152
; %bb.147:
	v_cmp_gt_f64_e32 vcc_lo, 0, v[136:137]
	v_xor_b32_e32 v140, 0x80000000, v137
	v_xor_b32_e32 v142, 0x80000000, v139
	s_mov_b32 s3, exec_lo
                                        ; implicit-def: $vgpr144_vgpr145
	s_delay_alu instid0(VALU_DEP_2) | instskip(SKIP_4) | instid1(VALU_DEP_1)
	v_cndmask_b32_e32 v141, v137, v140, vcc_lo
	v_cndmask_b32_e32 v140, v136, v136, vcc_lo
	v_cmp_gt_f64_e32 vcc_lo, 0, v[138:139]
	v_cndmask_b32_e32 v143, v139, v142, vcc_lo
	v_cndmask_b32_e32 v142, v138, v138, vcc_lo
	v_cmpx_ngt_f64_e32 v[140:141], v[142:143]
	s_xor_b32 s3, exec_lo, s3
                                        ; implicit-def: $vgpr140_vgpr141_vgpr142_vgpr143
	s_cbranch_execz .LBB67_149
; %bb.148:
	v_div_scale_f64 v[140:141], null, v[138:139], v[138:139], v[136:137]
	v_div_scale_f64 v[146:147], vcc_lo, v[136:137], v[138:139], v[136:137]
	s_delay_alu instid0(VALU_DEP_2) | instskip(SKIP_2) | instid1(VALU_DEP_1)
	v_rcp_f64_e32 v[142:143], v[140:141]
	s_waitcnt_depctr 0xfff
	v_fma_f64 v[144:145], -v[140:141], v[142:143], 1.0
	v_fma_f64 v[142:143], v[142:143], v[144:145], v[142:143]
	s_delay_alu instid0(VALU_DEP_1) | instskip(NEXT) | instid1(VALU_DEP_1)
	v_fma_f64 v[144:145], -v[140:141], v[142:143], 1.0
	v_fma_f64 v[142:143], v[142:143], v[144:145], v[142:143]
	s_delay_alu instid0(VALU_DEP_1) | instskip(NEXT) | instid1(VALU_DEP_1)
	v_mul_f64 v[144:145], v[146:147], v[142:143]
	v_fma_f64 v[140:141], -v[140:141], v[144:145], v[146:147]
	s_delay_alu instid0(VALU_DEP_1) | instskip(NEXT) | instid1(VALU_DEP_1)
	v_div_fmas_f64 v[140:141], v[140:141], v[142:143], v[144:145]
	v_div_fixup_f64 v[140:141], v[140:141], v[138:139], v[136:137]
	s_delay_alu instid0(VALU_DEP_1) | instskip(NEXT) | instid1(VALU_DEP_1)
	v_fma_f64 v[136:137], v[136:137], v[140:141], v[138:139]
	v_div_scale_f64 v[138:139], null, v[136:137], v[136:137], 1.0
	s_delay_alu instid0(VALU_DEP_1) | instskip(SKIP_2) | instid1(VALU_DEP_1)
	v_rcp_f64_e32 v[142:143], v[138:139]
	s_waitcnt_depctr 0xfff
	v_fma_f64 v[144:145], -v[138:139], v[142:143], 1.0
	v_fma_f64 v[142:143], v[142:143], v[144:145], v[142:143]
	s_delay_alu instid0(VALU_DEP_1) | instskip(NEXT) | instid1(VALU_DEP_1)
	v_fma_f64 v[144:145], -v[138:139], v[142:143], 1.0
	v_fma_f64 v[142:143], v[142:143], v[144:145], v[142:143]
	v_div_scale_f64 v[144:145], vcc_lo, 1.0, v[136:137], 1.0
	s_delay_alu instid0(VALU_DEP_1) | instskip(NEXT) | instid1(VALU_DEP_1)
	v_mul_f64 v[146:147], v[144:145], v[142:143]
	v_fma_f64 v[138:139], -v[138:139], v[146:147], v[144:145]
	s_delay_alu instid0(VALU_DEP_1) | instskip(NEXT) | instid1(VALU_DEP_1)
	v_div_fmas_f64 v[138:139], v[138:139], v[142:143], v[146:147]
	v_div_fixup_f64 v[142:143], v[138:139], v[136:137], 1.0
                                        ; implicit-def: $vgpr136_vgpr137
	s_delay_alu instid0(VALU_DEP_1)
	v_mul_f64 v[144:145], v[140:141], v[142:143]
	v_xor_b32_e32 v143, 0x80000000, v143
.LBB67_149:
	s_and_not1_saveexec_b32 s3, s3
	s_cbranch_execz .LBB67_151
; %bb.150:
	v_div_scale_f64 v[140:141], null, v[136:137], v[136:137], v[138:139]
	v_div_scale_f64 v[146:147], vcc_lo, v[138:139], v[136:137], v[138:139]
	s_delay_alu instid0(VALU_DEP_2) | instskip(SKIP_2) | instid1(VALU_DEP_1)
	v_rcp_f64_e32 v[142:143], v[140:141]
	s_waitcnt_depctr 0xfff
	v_fma_f64 v[144:145], -v[140:141], v[142:143], 1.0
	v_fma_f64 v[142:143], v[142:143], v[144:145], v[142:143]
	s_delay_alu instid0(VALU_DEP_1) | instskip(NEXT) | instid1(VALU_DEP_1)
	v_fma_f64 v[144:145], -v[140:141], v[142:143], 1.0
	v_fma_f64 v[142:143], v[142:143], v[144:145], v[142:143]
	s_delay_alu instid0(VALU_DEP_1) | instskip(NEXT) | instid1(VALU_DEP_1)
	v_mul_f64 v[144:145], v[146:147], v[142:143]
	v_fma_f64 v[140:141], -v[140:141], v[144:145], v[146:147]
	s_delay_alu instid0(VALU_DEP_1) | instskip(NEXT) | instid1(VALU_DEP_1)
	v_div_fmas_f64 v[140:141], v[140:141], v[142:143], v[144:145]
	v_div_fixup_f64 v[140:141], v[140:141], v[136:137], v[138:139]
	s_delay_alu instid0(VALU_DEP_1) | instskip(NEXT) | instid1(VALU_DEP_1)
	v_fma_f64 v[136:137], v[138:139], v[140:141], v[136:137]
	v_div_scale_f64 v[138:139], null, v[136:137], v[136:137], 1.0
	s_delay_alu instid0(VALU_DEP_1) | instskip(SKIP_2) | instid1(VALU_DEP_1)
	v_rcp_f64_e32 v[142:143], v[138:139]
	s_waitcnt_depctr 0xfff
	v_fma_f64 v[144:145], -v[138:139], v[142:143], 1.0
	v_fma_f64 v[142:143], v[142:143], v[144:145], v[142:143]
	s_delay_alu instid0(VALU_DEP_1) | instskip(NEXT) | instid1(VALU_DEP_1)
	v_fma_f64 v[144:145], -v[138:139], v[142:143], 1.0
	v_fma_f64 v[142:143], v[142:143], v[144:145], v[142:143]
	v_div_scale_f64 v[144:145], vcc_lo, 1.0, v[136:137], 1.0
	s_delay_alu instid0(VALU_DEP_1) | instskip(NEXT) | instid1(VALU_DEP_1)
	v_mul_f64 v[146:147], v[144:145], v[142:143]
	v_fma_f64 v[138:139], -v[138:139], v[146:147], v[144:145]
	s_delay_alu instid0(VALU_DEP_1) | instskip(NEXT) | instid1(VALU_DEP_1)
	v_div_fmas_f64 v[138:139], v[138:139], v[142:143], v[146:147]
	v_div_fixup_f64 v[144:145], v[138:139], v[136:137], 1.0
	s_delay_alu instid0(VALU_DEP_1)
	v_mul_f64 v[142:143], v[140:141], -v[144:145]
.LBB67_151:
	s_or_b32 exec_lo, exec_lo, s3
	ds_store_2addr_b64 v159, v[144:145], v[142:143] offset1:1
.LBB67_152:
	s_or_b32 exec_lo, exec_lo, s4
	s_waitcnt lgkmcnt(0)
	s_barrier
	buffer_gl0_inv
	ds_load_2addr_b64 v[179:182], v159 offset1:1
	s_mov_b32 s3, exec_lo
	v_cmpx_lt_u32_e32 16, v158
	s_cbranch_execz .LBB67_154
; %bb.153:
	s_waitcnt lgkmcnt(0)
	v_mul_f64 v[136:137], v[181:182], v[70:71]
	v_mul_f64 v[70:71], v[179:180], v[70:71]
	ds_load_2addr_b64 v[138:141], v160 offset0:34 offset1:35
	v_fma_f64 v[136:137], v[179:180], v[68:69], -v[136:137]
	v_fma_f64 v[70:71], v[181:182], v[68:69], v[70:71]
	s_waitcnt lgkmcnt(0)
	s_delay_alu instid0(VALU_DEP_1) | instskip(NEXT) | instid1(VALU_DEP_1)
	v_mul_f64 v[68:69], v[140:141], v[70:71]
	v_fma_f64 v[68:69], v[138:139], v[136:137], -v[68:69]
	v_mul_f64 v[138:139], v[138:139], v[70:71]
	s_delay_alu instid0(VALU_DEP_2) | instskip(NEXT) | instid1(VALU_DEP_2)
	v_add_f64 v[64:65], v[64:65], -v[68:69]
	v_fma_f64 v[138:139], v[140:141], v[136:137], v[138:139]
	s_delay_alu instid0(VALU_DEP_1) | instskip(SKIP_3) | instid1(VALU_DEP_1)
	v_add_f64 v[66:67], v[66:67], -v[138:139]
	ds_load_2addr_b64 v[138:141], v160 offset0:36 offset1:37
	s_waitcnt lgkmcnt(0)
	v_mul_f64 v[68:69], v[140:141], v[70:71]
	v_fma_f64 v[68:69], v[138:139], v[136:137], -v[68:69]
	v_mul_f64 v[138:139], v[138:139], v[70:71]
	s_delay_alu instid0(VALU_DEP_2) | instskip(NEXT) | instid1(VALU_DEP_2)
	v_add_f64 v[60:61], v[60:61], -v[68:69]
	v_fma_f64 v[138:139], v[140:141], v[136:137], v[138:139]
	s_delay_alu instid0(VALU_DEP_1) | instskip(SKIP_3) | instid1(VALU_DEP_1)
	v_add_f64 v[62:63], v[62:63], -v[138:139]
	ds_load_2addr_b64 v[138:141], v160 offset0:38 offset1:39
	s_waitcnt lgkmcnt(0)
	;; [unrolled: 10-line block ×16, first 2 shown]
	v_mul_f64 v[68:69], v[140:141], v[70:71]
	v_fma_f64 v[68:69], v[138:139], v[136:137], -v[68:69]
	v_mul_f64 v[138:139], v[138:139], v[70:71]
	s_delay_alu instid0(VALU_DEP_2) | instskip(NEXT) | instid1(VALU_DEP_2)
	v_add_f64 v[0:1], v[0:1], -v[68:69]
	v_fma_f64 v[138:139], v[140:141], v[136:137], v[138:139]
	v_dual_mov_b32 v68, v136 :: v_dual_mov_b32 v69, v137
	s_delay_alu instid0(VALU_DEP_2)
	v_add_f64 v[2:3], v[2:3], -v[138:139]
.LBB67_154:
	s_or_b32 exec_lo, exec_lo, s3
	s_delay_alu instid0(SALU_CYCLE_1)
	s_mov_b32 s4, exec_lo
	s_waitcnt lgkmcnt(0)
	s_barrier
	buffer_gl0_inv
	v_cmpx_eq_u32_e32 17, v158
	s_cbranch_execz .LBB67_161
; %bb.155:
	ds_store_2addr_b64 v159, v[64:65], v[66:67] offset1:1
	ds_store_2addr_b64 v160, v[60:61], v[62:63] offset0:36 offset1:37
	ds_store_2addr_b64 v160, v[56:57], v[58:59] offset0:38 offset1:39
	;; [unrolled: 1-line block ×16, first 2 shown]
	ds_load_2addr_b64 v[136:139], v159 offset1:1
	s_waitcnt lgkmcnt(0)
	v_cmp_neq_f64_e32 vcc_lo, 0, v[136:137]
	v_cmp_neq_f64_e64 s3, 0, v[138:139]
	s_delay_alu instid0(VALU_DEP_1) | instskip(NEXT) | instid1(SALU_CYCLE_1)
	s_or_b32 s3, vcc_lo, s3
	s_and_b32 exec_lo, exec_lo, s3
	s_cbranch_execz .LBB67_161
; %bb.156:
	v_cmp_gt_f64_e32 vcc_lo, 0, v[136:137]
	v_xor_b32_e32 v140, 0x80000000, v137
	v_xor_b32_e32 v142, 0x80000000, v139
	s_mov_b32 s3, exec_lo
                                        ; implicit-def: $vgpr144_vgpr145
	s_delay_alu instid0(VALU_DEP_2) | instskip(SKIP_4) | instid1(VALU_DEP_1)
	v_cndmask_b32_e32 v141, v137, v140, vcc_lo
	v_cndmask_b32_e32 v140, v136, v136, vcc_lo
	v_cmp_gt_f64_e32 vcc_lo, 0, v[138:139]
	v_cndmask_b32_e32 v143, v139, v142, vcc_lo
	v_cndmask_b32_e32 v142, v138, v138, vcc_lo
	v_cmpx_ngt_f64_e32 v[140:141], v[142:143]
	s_xor_b32 s3, exec_lo, s3
                                        ; implicit-def: $vgpr140_vgpr141_vgpr142_vgpr143
	s_cbranch_execz .LBB67_158
; %bb.157:
	v_div_scale_f64 v[140:141], null, v[138:139], v[138:139], v[136:137]
	v_div_scale_f64 v[146:147], vcc_lo, v[136:137], v[138:139], v[136:137]
	s_delay_alu instid0(VALU_DEP_2) | instskip(SKIP_2) | instid1(VALU_DEP_1)
	v_rcp_f64_e32 v[142:143], v[140:141]
	s_waitcnt_depctr 0xfff
	v_fma_f64 v[144:145], -v[140:141], v[142:143], 1.0
	v_fma_f64 v[142:143], v[142:143], v[144:145], v[142:143]
	s_delay_alu instid0(VALU_DEP_1) | instskip(NEXT) | instid1(VALU_DEP_1)
	v_fma_f64 v[144:145], -v[140:141], v[142:143], 1.0
	v_fma_f64 v[142:143], v[142:143], v[144:145], v[142:143]
	s_delay_alu instid0(VALU_DEP_1) | instskip(NEXT) | instid1(VALU_DEP_1)
	v_mul_f64 v[144:145], v[146:147], v[142:143]
	v_fma_f64 v[140:141], -v[140:141], v[144:145], v[146:147]
	s_delay_alu instid0(VALU_DEP_1) | instskip(NEXT) | instid1(VALU_DEP_1)
	v_div_fmas_f64 v[140:141], v[140:141], v[142:143], v[144:145]
	v_div_fixup_f64 v[140:141], v[140:141], v[138:139], v[136:137]
	s_delay_alu instid0(VALU_DEP_1) | instskip(NEXT) | instid1(VALU_DEP_1)
	v_fma_f64 v[136:137], v[136:137], v[140:141], v[138:139]
	v_div_scale_f64 v[138:139], null, v[136:137], v[136:137], 1.0
	s_delay_alu instid0(VALU_DEP_1) | instskip(SKIP_2) | instid1(VALU_DEP_1)
	v_rcp_f64_e32 v[142:143], v[138:139]
	s_waitcnt_depctr 0xfff
	v_fma_f64 v[144:145], -v[138:139], v[142:143], 1.0
	v_fma_f64 v[142:143], v[142:143], v[144:145], v[142:143]
	s_delay_alu instid0(VALU_DEP_1) | instskip(NEXT) | instid1(VALU_DEP_1)
	v_fma_f64 v[144:145], -v[138:139], v[142:143], 1.0
	v_fma_f64 v[142:143], v[142:143], v[144:145], v[142:143]
	v_div_scale_f64 v[144:145], vcc_lo, 1.0, v[136:137], 1.0
	s_delay_alu instid0(VALU_DEP_1) | instskip(NEXT) | instid1(VALU_DEP_1)
	v_mul_f64 v[146:147], v[144:145], v[142:143]
	v_fma_f64 v[138:139], -v[138:139], v[146:147], v[144:145]
	s_delay_alu instid0(VALU_DEP_1) | instskip(NEXT) | instid1(VALU_DEP_1)
	v_div_fmas_f64 v[138:139], v[138:139], v[142:143], v[146:147]
	v_div_fixup_f64 v[142:143], v[138:139], v[136:137], 1.0
                                        ; implicit-def: $vgpr136_vgpr137
	s_delay_alu instid0(VALU_DEP_1)
	v_mul_f64 v[144:145], v[140:141], v[142:143]
	v_xor_b32_e32 v143, 0x80000000, v143
.LBB67_158:
	s_and_not1_saveexec_b32 s3, s3
	s_cbranch_execz .LBB67_160
; %bb.159:
	v_div_scale_f64 v[140:141], null, v[136:137], v[136:137], v[138:139]
	v_div_scale_f64 v[146:147], vcc_lo, v[138:139], v[136:137], v[138:139]
	s_delay_alu instid0(VALU_DEP_2) | instskip(SKIP_2) | instid1(VALU_DEP_1)
	v_rcp_f64_e32 v[142:143], v[140:141]
	s_waitcnt_depctr 0xfff
	v_fma_f64 v[144:145], -v[140:141], v[142:143], 1.0
	v_fma_f64 v[142:143], v[142:143], v[144:145], v[142:143]
	s_delay_alu instid0(VALU_DEP_1) | instskip(NEXT) | instid1(VALU_DEP_1)
	v_fma_f64 v[144:145], -v[140:141], v[142:143], 1.0
	v_fma_f64 v[142:143], v[142:143], v[144:145], v[142:143]
	s_delay_alu instid0(VALU_DEP_1) | instskip(NEXT) | instid1(VALU_DEP_1)
	v_mul_f64 v[144:145], v[146:147], v[142:143]
	v_fma_f64 v[140:141], -v[140:141], v[144:145], v[146:147]
	s_delay_alu instid0(VALU_DEP_1) | instskip(NEXT) | instid1(VALU_DEP_1)
	v_div_fmas_f64 v[140:141], v[140:141], v[142:143], v[144:145]
	v_div_fixup_f64 v[140:141], v[140:141], v[136:137], v[138:139]
	s_delay_alu instid0(VALU_DEP_1) | instskip(NEXT) | instid1(VALU_DEP_1)
	v_fma_f64 v[136:137], v[138:139], v[140:141], v[136:137]
	v_div_scale_f64 v[138:139], null, v[136:137], v[136:137], 1.0
	s_delay_alu instid0(VALU_DEP_1) | instskip(SKIP_2) | instid1(VALU_DEP_1)
	v_rcp_f64_e32 v[142:143], v[138:139]
	s_waitcnt_depctr 0xfff
	v_fma_f64 v[144:145], -v[138:139], v[142:143], 1.0
	v_fma_f64 v[142:143], v[142:143], v[144:145], v[142:143]
	s_delay_alu instid0(VALU_DEP_1) | instskip(NEXT) | instid1(VALU_DEP_1)
	v_fma_f64 v[144:145], -v[138:139], v[142:143], 1.0
	v_fma_f64 v[142:143], v[142:143], v[144:145], v[142:143]
	v_div_scale_f64 v[144:145], vcc_lo, 1.0, v[136:137], 1.0
	s_delay_alu instid0(VALU_DEP_1) | instskip(NEXT) | instid1(VALU_DEP_1)
	v_mul_f64 v[146:147], v[144:145], v[142:143]
	v_fma_f64 v[138:139], -v[138:139], v[146:147], v[144:145]
	s_delay_alu instid0(VALU_DEP_1) | instskip(NEXT) | instid1(VALU_DEP_1)
	v_div_fmas_f64 v[138:139], v[138:139], v[142:143], v[146:147]
	v_div_fixup_f64 v[144:145], v[138:139], v[136:137], 1.0
	s_delay_alu instid0(VALU_DEP_1)
	v_mul_f64 v[142:143], v[140:141], -v[144:145]
.LBB67_160:
	s_or_b32 exec_lo, exec_lo, s3
	ds_store_2addr_b64 v159, v[144:145], v[142:143] offset1:1
.LBB67_161:
	s_or_b32 exec_lo, exec_lo, s4
	s_waitcnt lgkmcnt(0)
	s_barrier
	buffer_gl0_inv
	ds_load_2addr_b64 v[183:186], v159 offset1:1
	s_mov_b32 s3, exec_lo
	v_cmpx_lt_u32_e32 17, v158
	s_cbranch_execz .LBB67_163
; %bb.162:
	s_waitcnt lgkmcnt(0)
	v_mul_f64 v[136:137], v[183:184], v[66:67]
	v_mul_f64 v[66:67], v[185:186], v[66:67]
	ds_load_2addr_b64 v[138:141], v160 offset0:36 offset1:37
	v_fma_f64 v[136:137], v[185:186], v[64:65], v[136:137]
	v_fma_f64 v[64:65], v[183:184], v[64:65], -v[66:67]
	s_waitcnt lgkmcnt(0)
	s_delay_alu instid0(VALU_DEP_2) | instskip(NEXT) | instid1(VALU_DEP_1)
	v_mul_f64 v[66:67], v[140:141], v[136:137]
	v_fma_f64 v[66:67], v[138:139], v[64:65], -v[66:67]
	v_mul_f64 v[138:139], v[138:139], v[136:137]
	s_delay_alu instid0(VALU_DEP_2) | instskip(NEXT) | instid1(VALU_DEP_2)
	v_add_f64 v[60:61], v[60:61], -v[66:67]
	v_fma_f64 v[138:139], v[140:141], v[64:65], v[138:139]
	s_delay_alu instid0(VALU_DEP_1) | instskip(SKIP_3) | instid1(VALU_DEP_1)
	v_add_f64 v[62:63], v[62:63], -v[138:139]
	ds_load_2addr_b64 v[138:141], v160 offset0:38 offset1:39
	s_waitcnt lgkmcnt(0)
	v_mul_f64 v[66:67], v[140:141], v[136:137]
	v_fma_f64 v[66:67], v[138:139], v[64:65], -v[66:67]
	v_mul_f64 v[138:139], v[138:139], v[136:137]
	s_delay_alu instid0(VALU_DEP_2) | instskip(NEXT) | instid1(VALU_DEP_2)
	v_add_f64 v[56:57], v[56:57], -v[66:67]
	v_fma_f64 v[138:139], v[140:141], v[64:65], v[138:139]
	s_delay_alu instid0(VALU_DEP_1) | instskip(SKIP_3) | instid1(VALU_DEP_1)
	v_add_f64 v[58:59], v[58:59], -v[138:139]
	ds_load_2addr_b64 v[138:141], v160 offset0:40 offset1:41
	s_waitcnt lgkmcnt(0)
	;; [unrolled: 10-line block ×15, first 2 shown]
	v_mul_f64 v[66:67], v[140:141], v[136:137]
	v_fma_f64 v[66:67], v[138:139], v[64:65], -v[66:67]
	v_mul_f64 v[138:139], v[138:139], v[136:137]
	s_delay_alu instid0(VALU_DEP_2) | instskip(NEXT) | instid1(VALU_DEP_2)
	v_add_f64 v[0:1], v[0:1], -v[66:67]
	v_fma_f64 v[138:139], v[140:141], v[64:65], v[138:139]
	v_dual_mov_b32 v66, v136 :: v_dual_mov_b32 v67, v137
	s_delay_alu instid0(VALU_DEP_2)
	v_add_f64 v[2:3], v[2:3], -v[138:139]
.LBB67_163:
	s_or_b32 exec_lo, exec_lo, s3
	s_delay_alu instid0(SALU_CYCLE_1)
	s_mov_b32 s4, exec_lo
	s_waitcnt lgkmcnt(0)
	s_barrier
	buffer_gl0_inv
	v_cmpx_eq_u32_e32 18, v158
	s_cbranch_execz .LBB67_170
; %bb.164:
	ds_store_2addr_b64 v159, v[60:61], v[62:63] offset1:1
	ds_store_2addr_b64 v160, v[56:57], v[58:59] offset0:38 offset1:39
	ds_store_2addr_b64 v160, v[52:53], v[54:55] offset0:40 offset1:41
	ds_store_2addr_b64 v160, v[48:49], v[50:51] offset0:42 offset1:43
	ds_store_2addr_b64 v160, v[44:45], v[46:47] offset0:44 offset1:45
	ds_store_2addr_b64 v160, v[40:41], v[42:43] offset0:46 offset1:47
	ds_store_2addr_b64 v160, v[36:37], v[38:39] offset0:48 offset1:49
	ds_store_2addr_b64 v160, v[32:33], v[34:35] offset0:50 offset1:51
	ds_store_2addr_b64 v160, v[28:29], v[30:31] offset0:52 offset1:53
	ds_store_2addr_b64 v160, v[24:25], v[26:27] offset0:54 offset1:55
	ds_store_2addr_b64 v160, v[20:21], v[22:23] offset0:56 offset1:57
	ds_store_2addr_b64 v160, v[16:17], v[18:19] offset0:58 offset1:59
	ds_store_2addr_b64 v160, v[12:13], v[14:15] offset0:60 offset1:61
	ds_store_2addr_b64 v160, v[8:9], v[10:11] offset0:62 offset1:63
	ds_store_2addr_b64 v160, v[4:5], v[6:7] offset0:64 offset1:65
	ds_store_2addr_b64 v160, v[0:1], v[2:3] offset0:66 offset1:67
	ds_load_2addr_b64 v[136:139], v159 offset1:1
	s_waitcnt lgkmcnt(0)
	v_cmp_neq_f64_e32 vcc_lo, 0, v[136:137]
	v_cmp_neq_f64_e64 s3, 0, v[138:139]
	s_delay_alu instid0(VALU_DEP_1) | instskip(NEXT) | instid1(SALU_CYCLE_1)
	s_or_b32 s3, vcc_lo, s3
	s_and_b32 exec_lo, exec_lo, s3
	s_cbranch_execz .LBB67_170
; %bb.165:
	v_cmp_gt_f64_e32 vcc_lo, 0, v[136:137]
	v_xor_b32_e32 v140, 0x80000000, v137
	v_xor_b32_e32 v142, 0x80000000, v139
	s_mov_b32 s3, exec_lo
                                        ; implicit-def: $vgpr144_vgpr145
	s_delay_alu instid0(VALU_DEP_2) | instskip(SKIP_4) | instid1(VALU_DEP_1)
	v_cndmask_b32_e32 v141, v137, v140, vcc_lo
	v_cndmask_b32_e32 v140, v136, v136, vcc_lo
	v_cmp_gt_f64_e32 vcc_lo, 0, v[138:139]
	v_cndmask_b32_e32 v143, v139, v142, vcc_lo
	v_cndmask_b32_e32 v142, v138, v138, vcc_lo
	v_cmpx_ngt_f64_e32 v[140:141], v[142:143]
	s_xor_b32 s3, exec_lo, s3
                                        ; implicit-def: $vgpr140_vgpr141_vgpr142_vgpr143
	s_cbranch_execz .LBB67_167
; %bb.166:
	v_div_scale_f64 v[140:141], null, v[138:139], v[138:139], v[136:137]
	v_div_scale_f64 v[146:147], vcc_lo, v[136:137], v[138:139], v[136:137]
	s_delay_alu instid0(VALU_DEP_2) | instskip(SKIP_2) | instid1(VALU_DEP_1)
	v_rcp_f64_e32 v[142:143], v[140:141]
	s_waitcnt_depctr 0xfff
	v_fma_f64 v[144:145], -v[140:141], v[142:143], 1.0
	v_fma_f64 v[142:143], v[142:143], v[144:145], v[142:143]
	s_delay_alu instid0(VALU_DEP_1) | instskip(NEXT) | instid1(VALU_DEP_1)
	v_fma_f64 v[144:145], -v[140:141], v[142:143], 1.0
	v_fma_f64 v[142:143], v[142:143], v[144:145], v[142:143]
	s_delay_alu instid0(VALU_DEP_1) | instskip(NEXT) | instid1(VALU_DEP_1)
	v_mul_f64 v[144:145], v[146:147], v[142:143]
	v_fma_f64 v[140:141], -v[140:141], v[144:145], v[146:147]
	s_delay_alu instid0(VALU_DEP_1) | instskip(NEXT) | instid1(VALU_DEP_1)
	v_div_fmas_f64 v[140:141], v[140:141], v[142:143], v[144:145]
	v_div_fixup_f64 v[140:141], v[140:141], v[138:139], v[136:137]
	s_delay_alu instid0(VALU_DEP_1) | instskip(NEXT) | instid1(VALU_DEP_1)
	v_fma_f64 v[136:137], v[136:137], v[140:141], v[138:139]
	v_div_scale_f64 v[138:139], null, v[136:137], v[136:137], 1.0
	s_delay_alu instid0(VALU_DEP_1) | instskip(SKIP_2) | instid1(VALU_DEP_1)
	v_rcp_f64_e32 v[142:143], v[138:139]
	s_waitcnt_depctr 0xfff
	v_fma_f64 v[144:145], -v[138:139], v[142:143], 1.0
	v_fma_f64 v[142:143], v[142:143], v[144:145], v[142:143]
	s_delay_alu instid0(VALU_DEP_1) | instskip(NEXT) | instid1(VALU_DEP_1)
	v_fma_f64 v[144:145], -v[138:139], v[142:143], 1.0
	v_fma_f64 v[142:143], v[142:143], v[144:145], v[142:143]
	v_div_scale_f64 v[144:145], vcc_lo, 1.0, v[136:137], 1.0
	s_delay_alu instid0(VALU_DEP_1) | instskip(NEXT) | instid1(VALU_DEP_1)
	v_mul_f64 v[146:147], v[144:145], v[142:143]
	v_fma_f64 v[138:139], -v[138:139], v[146:147], v[144:145]
	s_delay_alu instid0(VALU_DEP_1) | instskip(NEXT) | instid1(VALU_DEP_1)
	v_div_fmas_f64 v[138:139], v[138:139], v[142:143], v[146:147]
	v_div_fixup_f64 v[142:143], v[138:139], v[136:137], 1.0
                                        ; implicit-def: $vgpr136_vgpr137
	s_delay_alu instid0(VALU_DEP_1)
	v_mul_f64 v[144:145], v[140:141], v[142:143]
	v_xor_b32_e32 v143, 0x80000000, v143
.LBB67_167:
	s_and_not1_saveexec_b32 s3, s3
	s_cbranch_execz .LBB67_169
; %bb.168:
	v_div_scale_f64 v[140:141], null, v[136:137], v[136:137], v[138:139]
	v_div_scale_f64 v[146:147], vcc_lo, v[138:139], v[136:137], v[138:139]
	s_delay_alu instid0(VALU_DEP_2) | instskip(SKIP_2) | instid1(VALU_DEP_1)
	v_rcp_f64_e32 v[142:143], v[140:141]
	s_waitcnt_depctr 0xfff
	v_fma_f64 v[144:145], -v[140:141], v[142:143], 1.0
	v_fma_f64 v[142:143], v[142:143], v[144:145], v[142:143]
	s_delay_alu instid0(VALU_DEP_1) | instskip(NEXT) | instid1(VALU_DEP_1)
	v_fma_f64 v[144:145], -v[140:141], v[142:143], 1.0
	v_fma_f64 v[142:143], v[142:143], v[144:145], v[142:143]
	s_delay_alu instid0(VALU_DEP_1) | instskip(NEXT) | instid1(VALU_DEP_1)
	v_mul_f64 v[144:145], v[146:147], v[142:143]
	v_fma_f64 v[140:141], -v[140:141], v[144:145], v[146:147]
	s_delay_alu instid0(VALU_DEP_1) | instskip(NEXT) | instid1(VALU_DEP_1)
	v_div_fmas_f64 v[140:141], v[140:141], v[142:143], v[144:145]
	v_div_fixup_f64 v[140:141], v[140:141], v[136:137], v[138:139]
	s_delay_alu instid0(VALU_DEP_1) | instskip(NEXT) | instid1(VALU_DEP_1)
	v_fma_f64 v[136:137], v[138:139], v[140:141], v[136:137]
	v_div_scale_f64 v[138:139], null, v[136:137], v[136:137], 1.0
	s_delay_alu instid0(VALU_DEP_1) | instskip(SKIP_2) | instid1(VALU_DEP_1)
	v_rcp_f64_e32 v[142:143], v[138:139]
	s_waitcnt_depctr 0xfff
	v_fma_f64 v[144:145], -v[138:139], v[142:143], 1.0
	v_fma_f64 v[142:143], v[142:143], v[144:145], v[142:143]
	s_delay_alu instid0(VALU_DEP_1) | instskip(NEXT) | instid1(VALU_DEP_1)
	v_fma_f64 v[144:145], -v[138:139], v[142:143], 1.0
	v_fma_f64 v[142:143], v[142:143], v[144:145], v[142:143]
	v_div_scale_f64 v[144:145], vcc_lo, 1.0, v[136:137], 1.0
	s_delay_alu instid0(VALU_DEP_1) | instskip(NEXT) | instid1(VALU_DEP_1)
	v_mul_f64 v[146:147], v[144:145], v[142:143]
	v_fma_f64 v[138:139], -v[138:139], v[146:147], v[144:145]
	s_delay_alu instid0(VALU_DEP_1) | instskip(NEXT) | instid1(VALU_DEP_1)
	v_div_fmas_f64 v[138:139], v[138:139], v[142:143], v[146:147]
	v_div_fixup_f64 v[144:145], v[138:139], v[136:137], 1.0
	s_delay_alu instid0(VALU_DEP_1)
	v_mul_f64 v[142:143], v[140:141], -v[144:145]
.LBB67_169:
	s_or_b32 exec_lo, exec_lo, s3
	ds_store_2addr_b64 v159, v[144:145], v[142:143] offset1:1
.LBB67_170:
	s_or_b32 exec_lo, exec_lo, s4
	s_waitcnt lgkmcnt(0)
	s_barrier
	buffer_gl0_inv
	ds_load_2addr_b64 v[187:190], v159 offset1:1
	s_mov_b32 s3, exec_lo
	v_cmpx_lt_u32_e32 18, v158
	s_cbranch_execz .LBB67_172
; %bb.171:
	s_waitcnt lgkmcnt(0)
	v_mul_f64 v[136:137], v[187:188], v[62:63]
	v_mul_f64 v[62:63], v[189:190], v[62:63]
	ds_load_2addr_b64 v[138:141], v160 offset0:38 offset1:39
	v_fma_f64 v[136:137], v[189:190], v[60:61], v[136:137]
	v_fma_f64 v[60:61], v[187:188], v[60:61], -v[62:63]
	s_waitcnt lgkmcnt(0)
	s_delay_alu instid0(VALU_DEP_2) | instskip(NEXT) | instid1(VALU_DEP_1)
	v_mul_f64 v[62:63], v[140:141], v[136:137]
	v_fma_f64 v[62:63], v[138:139], v[60:61], -v[62:63]
	v_mul_f64 v[138:139], v[138:139], v[136:137]
	s_delay_alu instid0(VALU_DEP_2) | instskip(NEXT) | instid1(VALU_DEP_2)
	v_add_f64 v[56:57], v[56:57], -v[62:63]
	v_fma_f64 v[138:139], v[140:141], v[60:61], v[138:139]
	s_delay_alu instid0(VALU_DEP_1) | instskip(SKIP_3) | instid1(VALU_DEP_1)
	v_add_f64 v[58:59], v[58:59], -v[138:139]
	ds_load_2addr_b64 v[138:141], v160 offset0:40 offset1:41
	s_waitcnt lgkmcnt(0)
	v_mul_f64 v[62:63], v[140:141], v[136:137]
	v_fma_f64 v[62:63], v[138:139], v[60:61], -v[62:63]
	v_mul_f64 v[138:139], v[138:139], v[136:137]
	s_delay_alu instid0(VALU_DEP_2) | instskip(NEXT) | instid1(VALU_DEP_2)
	v_add_f64 v[52:53], v[52:53], -v[62:63]
	v_fma_f64 v[138:139], v[140:141], v[60:61], v[138:139]
	s_delay_alu instid0(VALU_DEP_1) | instskip(SKIP_3) | instid1(VALU_DEP_1)
	v_add_f64 v[54:55], v[54:55], -v[138:139]
	ds_load_2addr_b64 v[138:141], v160 offset0:42 offset1:43
	s_waitcnt lgkmcnt(0)
	;; [unrolled: 10-line block ×14, first 2 shown]
	v_mul_f64 v[62:63], v[140:141], v[136:137]
	v_fma_f64 v[62:63], v[138:139], v[60:61], -v[62:63]
	v_mul_f64 v[138:139], v[138:139], v[136:137]
	s_delay_alu instid0(VALU_DEP_2) | instskip(NEXT) | instid1(VALU_DEP_2)
	v_add_f64 v[0:1], v[0:1], -v[62:63]
	v_fma_f64 v[138:139], v[140:141], v[60:61], v[138:139]
	v_dual_mov_b32 v62, v136 :: v_dual_mov_b32 v63, v137
	s_delay_alu instid0(VALU_DEP_2)
	v_add_f64 v[2:3], v[2:3], -v[138:139]
.LBB67_172:
	s_or_b32 exec_lo, exec_lo, s3
	s_delay_alu instid0(SALU_CYCLE_1)
	s_mov_b32 s4, exec_lo
	s_waitcnt lgkmcnt(0)
	s_barrier
	buffer_gl0_inv
	v_cmpx_eq_u32_e32 19, v158
	s_cbranch_execz .LBB67_179
; %bb.173:
	ds_store_2addr_b64 v159, v[56:57], v[58:59] offset1:1
	ds_store_2addr_b64 v160, v[52:53], v[54:55] offset0:40 offset1:41
	ds_store_2addr_b64 v160, v[48:49], v[50:51] offset0:42 offset1:43
	;; [unrolled: 1-line block ×14, first 2 shown]
	ds_load_2addr_b64 v[136:139], v159 offset1:1
	s_waitcnt lgkmcnt(0)
	v_cmp_neq_f64_e32 vcc_lo, 0, v[136:137]
	v_cmp_neq_f64_e64 s3, 0, v[138:139]
	s_delay_alu instid0(VALU_DEP_1) | instskip(NEXT) | instid1(SALU_CYCLE_1)
	s_or_b32 s3, vcc_lo, s3
	s_and_b32 exec_lo, exec_lo, s3
	s_cbranch_execz .LBB67_179
; %bb.174:
	v_cmp_gt_f64_e32 vcc_lo, 0, v[136:137]
	v_xor_b32_e32 v140, 0x80000000, v137
	v_xor_b32_e32 v142, 0x80000000, v139
	s_mov_b32 s3, exec_lo
                                        ; implicit-def: $vgpr144_vgpr145
	s_delay_alu instid0(VALU_DEP_2) | instskip(SKIP_4) | instid1(VALU_DEP_1)
	v_cndmask_b32_e32 v141, v137, v140, vcc_lo
	v_cndmask_b32_e32 v140, v136, v136, vcc_lo
	v_cmp_gt_f64_e32 vcc_lo, 0, v[138:139]
	v_cndmask_b32_e32 v143, v139, v142, vcc_lo
	v_cndmask_b32_e32 v142, v138, v138, vcc_lo
	v_cmpx_ngt_f64_e32 v[140:141], v[142:143]
	s_xor_b32 s3, exec_lo, s3
                                        ; implicit-def: $vgpr140_vgpr141_vgpr142_vgpr143
	s_cbranch_execz .LBB67_176
; %bb.175:
	v_div_scale_f64 v[140:141], null, v[138:139], v[138:139], v[136:137]
	v_div_scale_f64 v[146:147], vcc_lo, v[136:137], v[138:139], v[136:137]
	s_delay_alu instid0(VALU_DEP_2) | instskip(SKIP_2) | instid1(VALU_DEP_1)
	v_rcp_f64_e32 v[142:143], v[140:141]
	s_waitcnt_depctr 0xfff
	v_fma_f64 v[144:145], -v[140:141], v[142:143], 1.0
	v_fma_f64 v[142:143], v[142:143], v[144:145], v[142:143]
	s_delay_alu instid0(VALU_DEP_1) | instskip(NEXT) | instid1(VALU_DEP_1)
	v_fma_f64 v[144:145], -v[140:141], v[142:143], 1.0
	v_fma_f64 v[142:143], v[142:143], v[144:145], v[142:143]
	s_delay_alu instid0(VALU_DEP_1) | instskip(NEXT) | instid1(VALU_DEP_1)
	v_mul_f64 v[144:145], v[146:147], v[142:143]
	v_fma_f64 v[140:141], -v[140:141], v[144:145], v[146:147]
	s_delay_alu instid0(VALU_DEP_1) | instskip(NEXT) | instid1(VALU_DEP_1)
	v_div_fmas_f64 v[140:141], v[140:141], v[142:143], v[144:145]
	v_div_fixup_f64 v[140:141], v[140:141], v[138:139], v[136:137]
	s_delay_alu instid0(VALU_DEP_1) | instskip(NEXT) | instid1(VALU_DEP_1)
	v_fma_f64 v[136:137], v[136:137], v[140:141], v[138:139]
	v_div_scale_f64 v[138:139], null, v[136:137], v[136:137], 1.0
	s_delay_alu instid0(VALU_DEP_1) | instskip(SKIP_2) | instid1(VALU_DEP_1)
	v_rcp_f64_e32 v[142:143], v[138:139]
	s_waitcnt_depctr 0xfff
	v_fma_f64 v[144:145], -v[138:139], v[142:143], 1.0
	v_fma_f64 v[142:143], v[142:143], v[144:145], v[142:143]
	s_delay_alu instid0(VALU_DEP_1) | instskip(NEXT) | instid1(VALU_DEP_1)
	v_fma_f64 v[144:145], -v[138:139], v[142:143], 1.0
	v_fma_f64 v[142:143], v[142:143], v[144:145], v[142:143]
	v_div_scale_f64 v[144:145], vcc_lo, 1.0, v[136:137], 1.0
	s_delay_alu instid0(VALU_DEP_1) | instskip(NEXT) | instid1(VALU_DEP_1)
	v_mul_f64 v[146:147], v[144:145], v[142:143]
	v_fma_f64 v[138:139], -v[138:139], v[146:147], v[144:145]
	s_delay_alu instid0(VALU_DEP_1) | instskip(NEXT) | instid1(VALU_DEP_1)
	v_div_fmas_f64 v[138:139], v[138:139], v[142:143], v[146:147]
	v_div_fixup_f64 v[142:143], v[138:139], v[136:137], 1.0
                                        ; implicit-def: $vgpr136_vgpr137
	s_delay_alu instid0(VALU_DEP_1)
	v_mul_f64 v[144:145], v[140:141], v[142:143]
	v_xor_b32_e32 v143, 0x80000000, v143
.LBB67_176:
	s_and_not1_saveexec_b32 s3, s3
	s_cbranch_execz .LBB67_178
; %bb.177:
	v_div_scale_f64 v[140:141], null, v[136:137], v[136:137], v[138:139]
	v_div_scale_f64 v[146:147], vcc_lo, v[138:139], v[136:137], v[138:139]
	s_delay_alu instid0(VALU_DEP_2) | instskip(SKIP_2) | instid1(VALU_DEP_1)
	v_rcp_f64_e32 v[142:143], v[140:141]
	s_waitcnt_depctr 0xfff
	v_fma_f64 v[144:145], -v[140:141], v[142:143], 1.0
	v_fma_f64 v[142:143], v[142:143], v[144:145], v[142:143]
	s_delay_alu instid0(VALU_DEP_1) | instskip(NEXT) | instid1(VALU_DEP_1)
	v_fma_f64 v[144:145], -v[140:141], v[142:143], 1.0
	v_fma_f64 v[142:143], v[142:143], v[144:145], v[142:143]
	s_delay_alu instid0(VALU_DEP_1) | instskip(NEXT) | instid1(VALU_DEP_1)
	v_mul_f64 v[144:145], v[146:147], v[142:143]
	v_fma_f64 v[140:141], -v[140:141], v[144:145], v[146:147]
	s_delay_alu instid0(VALU_DEP_1) | instskip(NEXT) | instid1(VALU_DEP_1)
	v_div_fmas_f64 v[140:141], v[140:141], v[142:143], v[144:145]
	v_div_fixup_f64 v[140:141], v[140:141], v[136:137], v[138:139]
	s_delay_alu instid0(VALU_DEP_1) | instskip(NEXT) | instid1(VALU_DEP_1)
	v_fma_f64 v[136:137], v[138:139], v[140:141], v[136:137]
	v_div_scale_f64 v[138:139], null, v[136:137], v[136:137], 1.0
	s_delay_alu instid0(VALU_DEP_1) | instskip(SKIP_2) | instid1(VALU_DEP_1)
	v_rcp_f64_e32 v[142:143], v[138:139]
	s_waitcnt_depctr 0xfff
	v_fma_f64 v[144:145], -v[138:139], v[142:143], 1.0
	v_fma_f64 v[142:143], v[142:143], v[144:145], v[142:143]
	s_delay_alu instid0(VALU_DEP_1) | instskip(NEXT) | instid1(VALU_DEP_1)
	v_fma_f64 v[144:145], -v[138:139], v[142:143], 1.0
	v_fma_f64 v[142:143], v[142:143], v[144:145], v[142:143]
	v_div_scale_f64 v[144:145], vcc_lo, 1.0, v[136:137], 1.0
	s_delay_alu instid0(VALU_DEP_1) | instskip(NEXT) | instid1(VALU_DEP_1)
	v_mul_f64 v[146:147], v[144:145], v[142:143]
	v_fma_f64 v[138:139], -v[138:139], v[146:147], v[144:145]
	s_delay_alu instid0(VALU_DEP_1) | instskip(NEXT) | instid1(VALU_DEP_1)
	v_div_fmas_f64 v[138:139], v[138:139], v[142:143], v[146:147]
	v_div_fixup_f64 v[144:145], v[138:139], v[136:137], 1.0
	s_delay_alu instid0(VALU_DEP_1)
	v_mul_f64 v[142:143], v[140:141], -v[144:145]
.LBB67_178:
	s_or_b32 exec_lo, exec_lo, s3
	ds_store_2addr_b64 v159, v[144:145], v[142:143] offset1:1
.LBB67_179:
	s_or_b32 exec_lo, exec_lo, s4
	s_waitcnt lgkmcnt(0)
	s_barrier
	buffer_gl0_inv
	ds_load_2addr_b64 v[191:194], v159 offset1:1
	s_mov_b32 s3, exec_lo
	v_cmpx_lt_u32_e32 19, v158
	s_cbranch_execz .LBB67_181
; %bb.180:
	s_waitcnt lgkmcnt(0)
	v_mul_f64 v[136:137], v[191:192], v[58:59]
	v_mul_f64 v[58:59], v[193:194], v[58:59]
	ds_load_2addr_b64 v[138:141], v160 offset0:40 offset1:41
	v_fma_f64 v[136:137], v[193:194], v[56:57], v[136:137]
	v_fma_f64 v[56:57], v[191:192], v[56:57], -v[58:59]
	s_waitcnt lgkmcnt(0)
	s_delay_alu instid0(VALU_DEP_2) | instskip(NEXT) | instid1(VALU_DEP_1)
	v_mul_f64 v[58:59], v[140:141], v[136:137]
	v_fma_f64 v[58:59], v[138:139], v[56:57], -v[58:59]
	v_mul_f64 v[138:139], v[138:139], v[136:137]
	s_delay_alu instid0(VALU_DEP_2) | instskip(NEXT) | instid1(VALU_DEP_2)
	v_add_f64 v[52:53], v[52:53], -v[58:59]
	v_fma_f64 v[138:139], v[140:141], v[56:57], v[138:139]
	s_delay_alu instid0(VALU_DEP_1) | instskip(SKIP_3) | instid1(VALU_DEP_1)
	v_add_f64 v[54:55], v[54:55], -v[138:139]
	ds_load_2addr_b64 v[138:141], v160 offset0:42 offset1:43
	s_waitcnt lgkmcnt(0)
	v_mul_f64 v[58:59], v[140:141], v[136:137]
	v_fma_f64 v[58:59], v[138:139], v[56:57], -v[58:59]
	v_mul_f64 v[138:139], v[138:139], v[136:137]
	s_delay_alu instid0(VALU_DEP_2) | instskip(NEXT) | instid1(VALU_DEP_2)
	v_add_f64 v[48:49], v[48:49], -v[58:59]
	v_fma_f64 v[138:139], v[140:141], v[56:57], v[138:139]
	s_delay_alu instid0(VALU_DEP_1) | instskip(SKIP_3) | instid1(VALU_DEP_1)
	v_add_f64 v[50:51], v[50:51], -v[138:139]
	ds_load_2addr_b64 v[138:141], v160 offset0:44 offset1:45
	s_waitcnt lgkmcnt(0)
	;; [unrolled: 10-line block ×13, first 2 shown]
	v_mul_f64 v[58:59], v[140:141], v[136:137]
	v_fma_f64 v[58:59], v[138:139], v[56:57], -v[58:59]
	v_mul_f64 v[138:139], v[138:139], v[136:137]
	s_delay_alu instid0(VALU_DEP_2) | instskip(NEXT) | instid1(VALU_DEP_2)
	v_add_f64 v[0:1], v[0:1], -v[58:59]
	v_fma_f64 v[138:139], v[140:141], v[56:57], v[138:139]
	v_dual_mov_b32 v58, v136 :: v_dual_mov_b32 v59, v137
	s_delay_alu instid0(VALU_DEP_2)
	v_add_f64 v[2:3], v[2:3], -v[138:139]
.LBB67_181:
	s_or_b32 exec_lo, exec_lo, s3
	s_delay_alu instid0(SALU_CYCLE_1)
	s_mov_b32 s4, exec_lo
	s_waitcnt lgkmcnt(0)
	s_barrier
	buffer_gl0_inv
	v_cmpx_eq_u32_e32 20, v158
	s_cbranch_execz .LBB67_188
; %bb.182:
	ds_store_2addr_b64 v159, v[52:53], v[54:55] offset1:1
	ds_store_2addr_b64 v160, v[48:49], v[50:51] offset0:42 offset1:43
	ds_store_2addr_b64 v160, v[44:45], v[46:47] offset0:44 offset1:45
	ds_store_2addr_b64 v160, v[40:41], v[42:43] offset0:46 offset1:47
	ds_store_2addr_b64 v160, v[36:37], v[38:39] offset0:48 offset1:49
	ds_store_2addr_b64 v160, v[32:33], v[34:35] offset0:50 offset1:51
	ds_store_2addr_b64 v160, v[28:29], v[30:31] offset0:52 offset1:53
	ds_store_2addr_b64 v160, v[24:25], v[26:27] offset0:54 offset1:55
	ds_store_2addr_b64 v160, v[20:21], v[22:23] offset0:56 offset1:57
	ds_store_2addr_b64 v160, v[16:17], v[18:19] offset0:58 offset1:59
	ds_store_2addr_b64 v160, v[12:13], v[14:15] offset0:60 offset1:61
	ds_store_2addr_b64 v160, v[8:9], v[10:11] offset0:62 offset1:63
	ds_store_2addr_b64 v160, v[4:5], v[6:7] offset0:64 offset1:65
	ds_store_2addr_b64 v160, v[0:1], v[2:3] offset0:66 offset1:67
	ds_load_2addr_b64 v[136:139], v159 offset1:1
	s_waitcnt lgkmcnt(0)
	v_cmp_neq_f64_e32 vcc_lo, 0, v[136:137]
	v_cmp_neq_f64_e64 s3, 0, v[138:139]
	s_delay_alu instid0(VALU_DEP_1) | instskip(NEXT) | instid1(SALU_CYCLE_1)
	s_or_b32 s3, vcc_lo, s3
	s_and_b32 exec_lo, exec_lo, s3
	s_cbranch_execz .LBB67_188
; %bb.183:
	v_cmp_gt_f64_e32 vcc_lo, 0, v[136:137]
	v_xor_b32_e32 v140, 0x80000000, v137
	v_xor_b32_e32 v142, 0x80000000, v139
	s_mov_b32 s3, exec_lo
                                        ; implicit-def: $vgpr144_vgpr145
	s_delay_alu instid0(VALU_DEP_2) | instskip(SKIP_4) | instid1(VALU_DEP_1)
	v_cndmask_b32_e32 v141, v137, v140, vcc_lo
	v_cndmask_b32_e32 v140, v136, v136, vcc_lo
	v_cmp_gt_f64_e32 vcc_lo, 0, v[138:139]
	v_cndmask_b32_e32 v143, v139, v142, vcc_lo
	v_cndmask_b32_e32 v142, v138, v138, vcc_lo
	v_cmpx_ngt_f64_e32 v[140:141], v[142:143]
	s_xor_b32 s3, exec_lo, s3
                                        ; implicit-def: $vgpr140_vgpr141_vgpr142_vgpr143
	s_cbranch_execz .LBB67_185
; %bb.184:
	v_div_scale_f64 v[140:141], null, v[138:139], v[138:139], v[136:137]
	v_div_scale_f64 v[146:147], vcc_lo, v[136:137], v[138:139], v[136:137]
	s_delay_alu instid0(VALU_DEP_2) | instskip(SKIP_2) | instid1(VALU_DEP_1)
	v_rcp_f64_e32 v[142:143], v[140:141]
	s_waitcnt_depctr 0xfff
	v_fma_f64 v[144:145], -v[140:141], v[142:143], 1.0
	v_fma_f64 v[142:143], v[142:143], v[144:145], v[142:143]
	s_delay_alu instid0(VALU_DEP_1) | instskip(NEXT) | instid1(VALU_DEP_1)
	v_fma_f64 v[144:145], -v[140:141], v[142:143], 1.0
	v_fma_f64 v[142:143], v[142:143], v[144:145], v[142:143]
	s_delay_alu instid0(VALU_DEP_1) | instskip(NEXT) | instid1(VALU_DEP_1)
	v_mul_f64 v[144:145], v[146:147], v[142:143]
	v_fma_f64 v[140:141], -v[140:141], v[144:145], v[146:147]
	s_delay_alu instid0(VALU_DEP_1) | instskip(NEXT) | instid1(VALU_DEP_1)
	v_div_fmas_f64 v[140:141], v[140:141], v[142:143], v[144:145]
	v_div_fixup_f64 v[140:141], v[140:141], v[138:139], v[136:137]
	s_delay_alu instid0(VALU_DEP_1) | instskip(NEXT) | instid1(VALU_DEP_1)
	v_fma_f64 v[136:137], v[136:137], v[140:141], v[138:139]
	v_div_scale_f64 v[138:139], null, v[136:137], v[136:137], 1.0
	s_delay_alu instid0(VALU_DEP_1) | instskip(SKIP_2) | instid1(VALU_DEP_1)
	v_rcp_f64_e32 v[142:143], v[138:139]
	s_waitcnt_depctr 0xfff
	v_fma_f64 v[144:145], -v[138:139], v[142:143], 1.0
	v_fma_f64 v[142:143], v[142:143], v[144:145], v[142:143]
	s_delay_alu instid0(VALU_DEP_1) | instskip(NEXT) | instid1(VALU_DEP_1)
	v_fma_f64 v[144:145], -v[138:139], v[142:143], 1.0
	v_fma_f64 v[142:143], v[142:143], v[144:145], v[142:143]
	v_div_scale_f64 v[144:145], vcc_lo, 1.0, v[136:137], 1.0
	s_delay_alu instid0(VALU_DEP_1) | instskip(NEXT) | instid1(VALU_DEP_1)
	v_mul_f64 v[146:147], v[144:145], v[142:143]
	v_fma_f64 v[138:139], -v[138:139], v[146:147], v[144:145]
	s_delay_alu instid0(VALU_DEP_1) | instskip(NEXT) | instid1(VALU_DEP_1)
	v_div_fmas_f64 v[138:139], v[138:139], v[142:143], v[146:147]
	v_div_fixup_f64 v[142:143], v[138:139], v[136:137], 1.0
                                        ; implicit-def: $vgpr136_vgpr137
	s_delay_alu instid0(VALU_DEP_1)
	v_mul_f64 v[144:145], v[140:141], v[142:143]
	v_xor_b32_e32 v143, 0x80000000, v143
.LBB67_185:
	s_and_not1_saveexec_b32 s3, s3
	s_cbranch_execz .LBB67_187
; %bb.186:
	v_div_scale_f64 v[140:141], null, v[136:137], v[136:137], v[138:139]
	v_div_scale_f64 v[146:147], vcc_lo, v[138:139], v[136:137], v[138:139]
	s_delay_alu instid0(VALU_DEP_2) | instskip(SKIP_2) | instid1(VALU_DEP_1)
	v_rcp_f64_e32 v[142:143], v[140:141]
	s_waitcnt_depctr 0xfff
	v_fma_f64 v[144:145], -v[140:141], v[142:143], 1.0
	v_fma_f64 v[142:143], v[142:143], v[144:145], v[142:143]
	s_delay_alu instid0(VALU_DEP_1) | instskip(NEXT) | instid1(VALU_DEP_1)
	v_fma_f64 v[144:145], -v[140:141], v[142:143], 1.0
	v_fma_f64 v[142:143], v[142:143], v[144:145], v[142:143]
	s_delay_alu instid0(VALU_DEP_1) | instskip(NEXT) | instid1(VALU_DEP_1)
	v_mul_f64 v[144:145], v[146:147], v[142:143]
	v_fma_f64 v[140:141], -v[140:141], v[144:145], v[146:147]
	s_delay_alu instid0(VALU_DEP_1) | instskip(NEXT) | instid1(VALU_DEP_1)
	v_div_fmas_f64 v[140:141], v[140:141], v[142:143], v[144:145]
	v_div_fixup_f64 v[140:141], v[140:141], v[136:137], v[138:139]
	s_delay_alu instid0(VALU_DEP_1) | instskip(NEXT) | instid1(VALU_DEP_1)
	v_fma_f64 v[136:137], v[138:139], v[140:141], v[136:137]
	v_div_scale_f64 v[138:139], null, v[136:137], v[136:137], 1.0
	s_delay_alu instid0(VALU_DEP_1) | instskip(SKIP_2) | instid1(VALU_DEP_1)
	v_rcp_f64_e32 v[142:143], v[138:139]
	s_waitcnt_depctr 0xfff
	v_fma_f64 v[144:145], -v[138:139], v[142:143], 1.0
	v_fma_f64 v[142:143], v[142:143], v[144:145], v[142:143]
	s_delay_alu instid0(VALU_DEP_1) | instskip(NEXT) | instid1(VALU_DEP_1)
	v_fma_f64 v[144:145], -v[138:139], v[142:143], 1.0
	v_fma_f64 v[142:143], v[142:143], v[144:145], v[142:143]
	v_div_scale_f64 v[144:145], vcc_lo, 1.0, v[136:137], 1.0
	s_delay_alu instid0(VALU_DEP_1) | instskip(NEXT) | instid1(VALU_DEP_1)
	v_mul_f64 v[146:147], v[144:145], v[142:143]
	v_fma_f64 v[138:139], -v[138:139], v[146:147], v[144:145]
	s_delay_alu instid0(VALU_DEP_1) | instskip(NEXT) | instid1(VALU_DEP_1)
	v_div_fmas_f64 v[138:139], v[138:139], v[142:143], v[146:147]
	v_div_fixup_f64 v[144:145], v[138:139], v[136:137], 1.0
	s_delay_alu instid0(VALU_DEP_1)
	v_mul_f64 v[142:143], v[140:141], -v[144:145]
.LBB67_187:
	s_or_b32 exec_lo, exec_lo, s3
	ds_store_2addr_b64 v159, v[144:145], v[142:143] offset1:1
.LBB67_188:
	s_or_b32 exec_lo, exec_lo, s4
	s_waitcnt lgkmcnt(0)
	s_barrier
	buffer_gl0_inv
	ds_load_2addr_b64 v[195:198], v159 offset1:1
	s_mov_b32 s3, exec_lo
	v_cmpx_lt_u32_e32 20, v158
	s_cbranch_execz .LBB67_190
; %bb.189:
	s_waitcnt lgkmcnt(0)
	v_mul_f64 v[136:137], v[195:196], v[54:55]
	v_mul_f64 v[54:55], v[197:198], v[54:55]
	ds_load_2addr_b64 v[138:141], v160 offset0:42 offset1:43
	v_fma_f64 v[136:137], v[197:198], v[52:53], v[136:137]
	v_fma_f64 v[52:53], v[195:196], v[52:53], -v[54:55]
	s_waitcnt lgkmcnt(0)
	s_delay_alu instid0(VALU_DEP_2) | instskip(NEXT) | instid1(VALU_DEP_1)
	v_mul_f64 v[54:55], v[140:141], v[136:137]
	v_fma_f64 v[54:55], v[138:139], v[52:53], -v[54:55]
	v_mul_f64 v[138:139], v[138:139], v[136:137]
	s_delay_alu instid0(VALU_DEP_2) | instskip(NEXT) | instid1(VALU_DEP_2)
	v_add_f64 v[48:49], v[48:49], -v[54:55]
	v_fma_f64 v[138:139], v[140:141], v[52:53], v[138:139]
	s_delay_alu instid0(VALU_DEP_1) | instskip(SKIP_3) | instid1(VALU_DEP_1)
	v_add_f64 v[50:51], v[50:51], -v[138:139]
	ds_load_2addr_b64 v[138:141], v160 offset0:44 offset1:45
	s_waitcnt lgkmcnt(0)
	v_mul_f64 v[54:55], v[140:141], v[136:137]
	v_fma_f64 v[54:55], v[138:139], v[52:53], -v[54:55]
	v_mul_f64 v[138:139], v[138:139], v[136:137]
	s_delay_alu instid0(VALU_DEP_2) | instskip(NEXT) | instid1(VALU_DEP_2)
	v_add_f64 v[44:45], v[44:45], -v[54:55]
	v_fma_f64 v[138:139], v[140:141], v[52:53], v[138:139]
	s_delay_alu instid0(VALU_DEP_1) | instskip(SKIP_3) | instid1(VALU_DEP_1)
	v_add_f64 v[46:47], v[46:47], -v[138:139]
	ds_load_2addr_b64 v[138:141], v160 offset0:46 offset1:47
	s_waitcnt lgkmcnt(0)
	;; [unrolled: 10-line block ×12, first 2 shown]
	v_mul_f64 v[54:55], v[140:141], v[136:137]
	v_fma_f64 v[54:55], v[138:139], v[52:53], -v[54:55]
	v_mul_f64 v[138:139], v[138:139], v[136:137]
	s_delay_alu instid0(VALU_DEP_2) | instskip(NEXT) | instid1(VALU_DEP_2)
	v_add_f64 v[0:1], v[0:1], -v[54:55]
	v_fma_f64 v[138:139], v[140:141], v[52:53], v[138:139]
	v_dual_mov_b32 v54, v136 :: v_dual_mov_b32 v55, v137
	s_delay_alu instid0(VALU_DEP_2)
	v_add_f64 v[2:3], v[2:3], -v[138:139]
.LBB67_190:
	s_or_b32 exec_lo, exec_lo, s3
	s_delay_alu instid0(SALU_CYCLE_1)
	s_mov_b32 s4, exec_lo
	s_waitcnt lgkmcnt(0)
	s_barrier
	buffer_gl0_inv
	v_cmpx_eq_u32_e32 21, v158
	s_cbranch_execz .LBB67_197
; %bb.191:
	ds_store_2addr_b64 v159, v[48:49], v[50:51] offset1:1
	ds_store_2addr_b64 v160, v[44:45], v[46:47] offset0:44 offset1:45
	ds_store_2addr_b64 v160, v[40:41], v[42:43] offset0:46 offset1:47
	;; [unrolled: 1-line block ×12, first 2 shown]
	ds_load_2addr_b64 v[136:139], v159 offset1:1
	s_waitcnt lgkmcnt(0)
	v_cmp_neq_f64_e32 vcc_lo, 0, v[136:137]
	v_cmp_neq_f64_e64 s3, 0, v[138:139]
	s_delay_alu instid0(VALU_DEP_1) | instskip(NEXT) | instid1(SALU_CYCLE_1)
	s_or_b32 s3, vcc_lo, s3
	s_and_b32 exec_lo, exec_lo, s3
	s_cbranch_execz .LBB67_197
; %bb.192:
	v_cmp_gt_f64_e32 vcc_lo, 0, v[136:137]
	v_xor_b32_e32 v140, 0x80000000, v137
	v_xor_b32_e32 v142, 0x80000000, v139
	s_mov_b32 s3, exec_lo
                                        ; implicit-def: $vgpr144_vgpr145
	s_delay_alu instid0(VALU_DEP_2) | instskip(SKIP_4) | instid1(VALU_DEP_1)
	v_cndmask_b32_e32 v141, v137, v140, vcc_lo
	v_cndmask_b32_e32 v140, v136, v136, vcc_lo
	v_cmp_gt_f64_e32 vcc_lo, 0, v[138:139]
	v_cndmask_b32_e32 v143, v139, v142, vcc_lo
	v_cndmask_b32_e32 v142, v138, v138, vcc_lo
	v_cmpx_ngt_f64_e32 v[140:141], v[142:143]
	s_xor_b32 s3, exec_lo, s3
                                        ; implicit-def: $vgpr140_vgpr141_vgpr142_vgpr143
	s_cbranch_execz .LBB67_194
; %bb.193:
	v_div_scale_f64 v[140:141], null, v[138:139], v[138:139], v[136:137]
	v_div_scale_f64 v[146:147], vcc_lo, v[136:137], v[138:139], v[136:137]
	s_delay_alu instid0(VALU_DEP_2) | instskip(SKIP_2) | instid1(VALU_DEP_1)
	v_rcp_f64_e32 v[142:143], v[140:141]
	s_waitcnt_depctr 0xfff
	v_fma_f64 v[144:145], -v[140:141], v[142:143], 1.0
	v_fma_f64 v[142:143], v[142:143], v[144:145], v[142:143]
	s_delay_alu instid0(VALU_DEP_1) | instskip(NEXT) | instid1(VALU_DEP_1)
	v_fma_f64 v[144:145], -v[140:141], v[142:143], 1.0
	v_fma_f64 v[142:143], v[142:143], v[144:145], v[142:143]
	s_delay_alu instid0(VALU_DEP_1) | instskip(NEXT) | instid1(VALU_DEP_1)
	v_mul_f64 v[144:145], v[146:147], v[142:143]
	v_fma_f64 v[140:141], -v[140:141], v[144:145], v[146:147]
	s_delay_alu instid0(VALU_DEP_1) | instskip(NEXT) | instid1(VALU_DEP_1)
	v_div_fmas_f64 v[140:141], v[140:141], v[142:143], v[144:145]
	v_div_fixup_f64 v[140:141], v[140:141], v[138:139], v[136:137]
	s_delay_alu instid0(VALU_DEP_1) | instskip(NEXT) | instid1(VALU_DEP_1)
	v_fma_f64 v[136:137], v[136:137], v[140:141], v[138:139]
	v_div_scale_f64 v[138:139], null, v[136:137], v[136:137], 1.0
	s_delay_alu instid0(VALU_DEP_1) | instskip(SKIP_2) | instid1(VALU_DEP_1)
	v_rcp_f64_e32 v[142:143], v[138:139]
	s_waitcnt_depctr 0xfff
	v_fma_f64 v[144:145], -v[138:139], v[142:143], 1.0
	v_fma_f64 v[142:143], v[142:143], v[144:145], v[142:143]
	s_delay_alu instid0(VALU_DEP_1) | instskip(NEXT) | instid1(VALU_DEP_1)
	v_fma_f64 v[144:145], -v[138:139], v[142:143], 1.0
	v_fma_f64 v[142:143], v[142:143], v[144:145], v[142:143]
	v_div_scale_f64 v[144:145], vcc_lo, 1.0, v[136:137], 1.0
	s_delay_alu instid0(VALU_DEP_1) | instskip(NEXT) | instid1(VALU_DEP_1)
	v_mul_f64 v[146:147], v[144:145], v[142:143]
	v_fma_f64 v[138:139], -v[138:139], v[146:147], v[144:145]
	s_delay_alu instid0(VALU_DEP_1) | instskip(NEXT) | instid1(VALU_DEP_1)
	v_div_fmas_f64 v[138:139], v[138:139], v[142:143], v[146:147]
	v_div_fixup_f64 v[142:143], v[138:139], v[136:137], 1.0
                                        ; implicit-def: $vgpr136_vgpr137
	s_delay_alu instid0(VALU_DEP_1)
	v_mul_f64 v[144:145], v[140:141], v[142:143]
	v_xor_b32_e32 v143, 0x80000000, v143
.LBB67_194:
	s_and_not1_saveexec_b32 s3, s3
	s_cbranch_execz .LBB67_196
; %bb.195:
	v_div_scale_f64 v[140:141], null, v[136:137], v[136:137], v[138:139]
	v_div_scale_f64 v[146:147], vcc_lo, v[138:139], v[136:137], v[138:139]
	s_delay_alu instid0(VALU_DEP_2) | instskip(SKIP_2) | instid1(VALU_DEP_1)
	v_rcp_f64_e32 v[142:143], v[140:141]
	s_waitcnt_depctr 0xfff
	v_fma_f64 v[144:145], -v[140:141], v[142:143], 1.0
	v_fma_f64 v[142:143], v[142:143], v[144:145], v[142:143]
	s_delay_alu instid0(VALU_DEP_1) | instskip(NEXT) | instid1(VALU_DEP_1)
	v_fma_f64 v[144:145], -v[140:141], v[142:143], 1.0
	v_fma_f64 v[142:143], v[142:143], v[144:145], v[142:143]
	s_delay_alu instid0(VALU_DEP_1) | instskip(NEXT) | instid1(VALU_DEP_1)
	v_mul_f64 v[144:145], v[146:147], v[142:143]
	v_fma_f64 v[140:141], -v[140:141], v[144:145], v[146:147]
	s_delay_alu instid0(VALU_DEP_1) | instskip(NEXT) | instid1(VALU_DEP_1)
	v_div_fmas_f64 v[140:141], v[140:141], v[142:143], v[144:145]
	v_div_fixup_f64 v[140:141], v[140:141], v[136:137], v[138:139]
	s_delay_alu instid0(VALU_DEP_1) | instskip(NEXT) | instid1(VALU_DEP_1)
	v_fma_f64 v[136:137], v[138:139], v[140:141], v[136:137]
	v_div_scale_f64 v[138:139], null, v[136:137], v[136:137], 1.0
	s_delay_alu instid0(VALU_DEP_1) | instskip(SKIP_2) | instid1(VALU_DEP_1)
	v_rcp_f64_e32 v[142:143], v[138:139]
	s_waitcnt_depctr 0xfff
	v_fma_f64 v[144:145], -v[138:139], v[142:143], 1.0
	v_fma_f64 v[142:143], v[142:143], v[144:145], v[142:143]
	s_delay_alu instid0(VALU_DEP_1) | instskip(NEXT) | instid1(VALU_DEP_1)
	v_fma_f64 v[144:145], -v[138:139], v[142:143], 1.0
	v_fma_f64 v[142:143], v[142:143], v[144:145], v[142:143]
	v_div_scale_f64 v[144:145], vcc_lo, 1.0, v[136:137], 1.0
	s_delay_alu instid0(VALU_DEP_1) | instskip(NEXT) | instid1(VALU_DEP_1)
	v_mul_f64 v[146:147], v[144:145], v[142:143]
	v_fma_f64 v[138:139], -v[138:139], v[146:147], v[144:145]
	s_delay_alu instid0(VALU_DEP_1) | instskip(NEXT) | instid1(VALU_DEP_1)
	v_div_fmas_f64 v[138:139], v[138:139], v[142:143], v[146:147]
	v_div_fixup_f64 v[144:145], v[138:139], v[136:137], 1.0
	s_delay_alu instid0(VALU_DEP_1)
	v_mul_f64 v[142:143], v[140:141], -v[144:145]
.LBB67_196:
	s_or_b32 exec_lo, exec_lo, s3
	ds_store_2addr_b64 v159, v[144:145], v[142:143] offset1:1
.LBB67_197:
	s_or_b32 exec_lo, exec_lo, s4
	s_waitcnt lgkmcnt(0)
	s_barrier
	buffer_gl0_inv
	ds_load_2addr_b64 v[136:139], v159 offset1:1
	s_mov_b32 s3, exec_lo
	s_waitcnt lgkmcnt(0)
	scratch_store_b128 off, v[136:139], off offset:320 ; 16-byte Folded Spill
	v_cmpx_lt_u32_e32 21, v158
	s_cbranch_execz .LBB67_199
; %bb.198:
	scratch_load_b128 v[142:145], off, off offset:320 ; 16-byte Folded Reload
	s_waitcnt vmcnt(0)
	v_mul_f64 v[136:137], v[142:143], v[50:51]
	v_mul_f64 v[50:51], v[144:145], v[50:51]
	s_delay_alu instid0(VALU_DEP_2) | instskip(SKIP_4) | instid1(VALU_DEP_1)
	v_fma_f64 v[140:141], v[144:145], v[48:49], v[136:137]
	ds_load_2addr_b64 v[136:139], v160 offset0:44 offset1:45
	v_fma_f64 v[48:49], v[142:143], v[48:49], -v[50:51]
	s_waitcnt lgkmcnt(0)
	v_mul_f64 v[50:51], v[138:139], v[140:141]
	v_fma_f64 v[50:51], v[136:137], v[48:49], -v[50:51]
	v_mul_f64 v[136:137], v[136:137], v[140:141]
	s_delay_alu instid0(VALU_DEP_2) | instskip(NEXT) | instid1(VALU_DEP_2)
	v_add_f64 v[44:45], v[44:45], -v[50:51]
	v_fma_f64 v[136:137], v[138:139], v[48:49], v[136:137]
	s_delay_alu instid0(VALU_DEP_1) | instskip(SKIP_3) | instid1(VALU_DEP_1)
	v_add_f64 v[46:47], v[46:47], -v[136:137]
	ds_load_2addr_b64 v[136:139], v160 offset0:46 offset1:47
	s_waitcnt lgkmcnt(0)
	v_mul_f64 v[50:51], v[138:139], v[140:141]
	v_fma_f64 v[50:51], v[136:137], v[48:49], -v[50:51]
	v_mul_f64 v[136:137], v[136:137], v[140:141]
	s_delay_alu instid0(VALU_DEP_2) | instskip(NEXT) | instid1(VALU_DEP_2)
	v_add_f64 v[40:41], v[40:41], -v[50:51]
	v_fma_f64 v[136:137], v[138:139], v[48:49], v[136:137]
	s_delay_alu instid0(VALU_DEP_1) | instskip(SKIP_3) | instid1(VALU_DEP_1)
	v_add_f64 v[42:43], v[42:43], -v[136:137]
	ds_load_2addr_b64 v[136:139], v160 offset0:48 offset1:49
	;; [unrolled: 10-line block ×11, first 2 shown]
	s_waitcnt lgkmcnt(0)
	v_mul_f64 v[50:51], v[138:139], v[140:141]
	v_fma_f64 v[50:51], v[136:137], v[48:49], -v[50:51]
	v_mul_f64 v[136:137], v[136:137], v[140:141]
	s_delay_alu instid0(VALU_DEP_2) | instskip(NEXT) | instid1(VALU_DEP_2)
	v_add_f64 v[0:1], v[0:1], -v[50:51]
	v_fma_f64 v[136:137], v[138:139], v[48:49], v[136:137]
	v_dual_mov_b32 v50, v140 :: v_dual_mov_b32 v51, v141
	s_delay_alu instid0(VALU_DEP_2)
	v_add_f64 v[2:3], v[2:3], -v[136:137]
.LBB67_199:
	s_or_b32 exec_lo, exec_lo, s3
	s_delay_alu instid0(SALU_CYCLE_1)
	s_mov_b32 s4, exec_lo
	s_waitcnt_vscnt null, 0x0
	s_barrier
	buffer_gl0_inv
	v_cmpx_eq_u32_e32 22, v158
	s_cbranch_execz .LBB67_206
; %bb.200:
	ds_store_2addr_b64 v159, v[44:45], v[46:47] offset1:1
	ds_store_2addr_b64 v160, v[40:41], v[42:43] offset0:46 offset1:47
	ds_store_2addr_b64 v160, v[36:37], v[38:39] offset0:48 offset1:49
	;; [unrolled: 1-line block ×11, first 2 shown]
	ds_load_2addr_b64 v[136:139], v159 offset1:1
	s_waitcnt lgkmcnt(0)
	v_cmp_neq_f64_e32 vcc_lo, 0, v[136:137]
	v_cmp_neq_f64_e64 s3, 0, v[138:139]
	s_delay_alu instid0(VALU_DEP_1) | instskip(NEXT) | instid1(SALU_CYCLE_1)
	s_or_b32 s3, vcc_lo, s3
	s_and_b32 exec_lo, exec_lo, s3
	s_cbranch_execz .LBB67_206
; %bb.201:
	v_cmp_gt_f64_e32 vcc_lo, 0, v[136:137]
	v_xor_b32_e32 v140, 0x80000000, v137
	v_xor_b32_e32 v142, 0x80000000, v139
	s_mov_b32 s3, exec_lo
                                        ; implicit-def: $vgpr144_vgpr145
	s_delay_alu instid0(VALU_DEP_2) | instskip(SKIP_4) | instid1(VALU_DEP_1)
	v_cndmask_b32_e32 v141, v137, v140, vcc_lo
	v_cndmask_b32_e32 v140, v136, v136, vcc_lo
	v_cmp_gt_f64_e32 vcc_lo, 0, v[138:139]
	v_cndmask_b32_e32 v143, v139, v142, vcc_lo
	v_cndmask_b32_e32 v142, v138, v138, vcc_lo
	v_cmpx_ngt_f64_e32 v[140:141], v[142:143]
	s_xor_b32 s3, exec_lo, s3
                                        ; implicit-def: $vgpr140_vgpr141_vgpr142_vgpr143
	s_cbranch_execz .LBB67_203
; %bb.202:
	v_div_scale_f64 v[140:141], null, v[138:139], v[138:139], v[136:137]
	v_div_scale_f64 v[146:147], vcc_lo, v[136:137], v[138:139], v[136:137]
	s_delay_alu instid0(VALU_DEP_2) | instskip(SKIP_2) | instid1(VALU_DEP_1)
	v_rcp_f64_e32 v[142:143], v[140:141]
	s_waitcnt_depctr 0xfff
	v_fma_f64 v[144:145], -v[140:141], v[142:143], 1.0
	v_fma_f64 v[142:143], v[142:143], v[144:145], v[142:143]
	s_delay_alu instid0(VALU_DEP_1) | instskip(NEXT) | instid1(VALU_DEP_1)
	v_fma_f64 v[144:145], -v[140:141], v[142:143], 1.0
	v_fma_f64 v[142:143], v[142:143], v[144:145], v[142:143]
	s_delay_alu instid0(VALU_DEP_1) | instskip(NEXT) | instid1(VALU_DEP_1)
	v_mul_f64 v[144:145], v[146:147], v[142:143]
	v_fma_f64 v[140:141], -v[140:141], v[144:145], v[146:147]
	s_delay_alu instid0(VALU_DEP_1) | instskip(NEXT) | instid1(VALU_DEP_1)
	v_div_fmas_f64 v[140:141], v[140:141], v[142:143], v[144:145]
	v_div_fixup_f64 v[140:141], v[140:141], v[138:139], v[136:137]
	s_delay_alu instid0(VALU_DEP_1) | instskip(NEXT) | instid1(VALU_DEP_1)
	v_fma_f64 v[136:137], v[136:137], v[140:141], v[138:139]
	v_div_scale_f64 v[138:139], null, v[136:137], v[136:137], 1.0
	s_delay_alu instid0(VALU_DEP_1) | instskip(SKIP_2) | instid1(VALU_DEP_1)
	v_rcp_f64_e32 v[142:143], v[138:139]
	s_waitcnt_depctr 0xfff
	v_fma_f64 v[144:145], -v[138:139], v[142:143], 1.0
	v_fma_f64 v[142:143], v[142:143], v[144:145], v[142:143]
	s_delay_alu instid0(VALU_DEP_1) | instskip(NEXT) | instid1(VALU_DEP_1)
	v_fma_f64 v[144:145], -v[138:139], v[142:143], 1.0
	v_fma_f64 v[142:143], v[142:143], v[144:145], v[142:143]
	v_div_scale_f64 v[144:145], vcc_lo, 1.0, v[136:137], 1.0
	s_delay_alu instid0(VALU_DEP_1) | instskip(NEXT) | instid1(VALU_DEP_1)
	v_mul_f64 v[146:147], v[144:145], v[142:143]
	v_fma_f64 v[138:139], -v[138:139], v[146:147], v[144:145]
	s_delay_alu instid0(VALU_DEP_1) | instskip(NEXT) | instid1(VALU_DEP_1)
	v_div_fmas_f64 v[138:139], v[138:139], v[142:143], v[146:147]
	v_div_fixup_f64 v[142:143], v[138:139], v[136:137], 1.0
                                        ; implicit-def: $vgpr136_vgpr137
	s_delay_alu instid0(VALU_DEP_1)
	v_mul_f64 v[144:145], v[140:141], v[142:143]
	v_xor_b32_e32 v143, 0x80000000, v143
.LBB67_203:
	s_and_not1_saveexec_b32 s3, s3
	s_cbranch_execz .LBB67_205
; %bb.204:
	v_div_scale_f64 v[140:141], null, v[136:137], v[136:137], v[138:139]
	v_div_scale_f64 v[146:147], vcc_lo, v[138:139], v[136:137], v[138:139]
	s_delay_alu instid0(VALU_DEP_2) | instskip(SKIP_2) | instid1(VALU_DEP_1)
	v_rcp_f64_e32 v[142:143], v[140:141]
	s_waitcnt_depctr 0xfff
	v_fma_f64 v[144:145], -v[140:141], v[142:143], 1.0
	v_fma_f64 v[142:143], v[142:143], v[144:145], v[142:143]
	s_delay_alu instid0(VALU_DEP_1) | instskip(NEXT) | instid1(VALU_DEP_1)
	v_fma_f64 v[144:145], -v[140:141], v[142:143], 1.0
	v_fma_f64 v[142:143], v[142:143], v[144:145], v[142:143]
	s_delay_alu instid0(VALU_DEP_1) | instskip(NEXT) | instid1(VALU_DEP_1)
	v_mul_f64 v[144:145], v[146:147], v[142:143]
	v_fma_f64 v[140:141], -v[140:141], v[144:145], v[146:147]
	s_delay_alu instid0(VALU_DEP_1) | instskip(NEXT) | instid1(VALU_DEP_1)
	v_div_fmas_f64 v[140:141], v[140:141], v[142:143], v[144:145]
	v_div_fixup_f64 v[140:141], v[140:141], v[136:137], v[138:139]
	s_delay_alu instid0(VALU_DEP_1) | instskip(NEXT) | instid1(VALU_DEP_1)
	v_fma_f64 v[136:137], v[138:139], v[140:141], v[136:137]
	v_div_scale_f64 v[138:139], null, v[136:137], v[136:137], 1.0
	s_delay_alu instid0(VALU_DEP_1) | instskip(SKIP_2) | instid1(VALU_DEP_1)
	v_rcp_f64_e32 v[142:143], v[138:139]
	s_waitcnt_depctr 0xfff
	v_fma_f64 v[144:145], -v[138:139], v[142:143], 1.0
	v_fma_f64 v[142:143], v[142:143], v[144:145], v[142:143]
	s_delay_alu instid0(VALU_DEP_1) | instskip(NEXT) | instid1(VALU_DEP_1)
	v_fma_f64 v[144:145], -v[138:139], v[142:143], 1.0
	v_fma_f64 v[142:143], v[142:143], v[144:145], v[142:143]
	v_div_scale_f64 v[144:145], vcc_lo, 1.0, v[136:137], 1.0
	s_delay_alu instid0(VALU_DEP_1) | instskip(NEXT) | instid1(VALU_DEP_1)
	v_mul_f64 v[146:147], v[144:145], v[142:143]
	v_fma_f64 v[138:139], -v[138:139], v[146:147], v[144:145]
	s_delay_alu instid0(VALU_DEP_1) | instskip(NEXT) | instid1(VALU_DEP_1)
	v_div_fmas_f64 v[138:139], v[138:139], v[142:143], v[146:147]
	v_div_fixup_f64 v[144:145], v[138:139], v[136:137], 1.0
	s_delay_alu instid0(VALU_DEP_1)
	v_mul_f64 v[142:143], v[140:141], -v[144:145]
.LBB67_205:
	s_or_b32 exec_lo, exec_lo, s3
	ds_store_2addr_b64 v159, v[144:145], v[142:143] offset1:1
.LBB67_206:
	s_or_b32 exec_lo, exec_lo, s4
	s_waitcnt lgkmcnt(0)
	s_barrier
	buffer_gl0_inv
	ds_load_2addr_b64 v[136:139], v159 offset1:1
	s_mov_b32 s3, exec_lo
	s_waitcnt lgkmcnt(0)
	scratch_store_b128 off, v[136:139], off offset:336 ; 16-byte Folded Spill
	v_cmpx_lt_u32_e32 22, v158
	s_cbranch_execz .LBB67_208
; %bb.207:
	scratch_load_b128 v[142:145], off, off offset:336 ; 16-byte Folded Reload
	s_waitcnt vmcnt(0)
	v_mul_f64 v[136:137], v[142:143], v[46:47]
	v_mul_f64 v[46:47], v[144:145], v[46:47]
	s_delay_alu instid0(VALU_DEP_2) | instskip(SKIP_4) | instid1(VALU_DEP_1)
	v_fma_f64 v[140:141], v[144:145], v[44:45], v[136:137]
	ds_load_2addr_b64 v[136:139], v160 offset0:46 offset1:47
	v_fma_f64 v[44:45], v[142:143], v[44:45], -v[46:47]
	s_waitcnt lgkmcnt(0)
	v_mul_f64 v[46:47], v[138:139], v[140:141]
	v_fma_f64 v[46:47], v[136:137], v[44:45], -v[46:47]
	v_mul_f64 v[136:137], v[136:137], v[140:141]
	s_delay_alu instid0(VALU_DEP_2) | instskip(NEXT) | instid1(VALU_DEP_2)
	v_add_f64 v[40:41], v[40:41], -v[46:47]
	v_fma_f64 v[136:137], v[138:139], v[44:45], v[136:137]
	s_delay_alu instid0(VALU_DEP_1) | instskip(SKIP_3) | instid1(VALU_DEP_1)
	v_add_f64 v[42:43], v[42:43], -v[136:137]
	ds_load_2addr_b64 v[136:139], v160 offset0:48 offset1:49
	s_waitcnt lgkmcnt(0)
	v_mul_f64 v[46:47], v[138:139], v[140:141]
	v_fma_f64 v[46:47], v[136:137], v[44:45], -v[46:47]
	v_mul_f64 v[136:137], v[136:137], v[140:141]
	s_delay_alu instid0(VALU_DEP_2) | instskip(NEXT) | instid1(VALU_DEP_2)
	v_add_f64 v[36:37], v[36:37], -v[46:47]
	v_fma_f64 v[136:137], v[138:139], v[44:45], v[136:137]
	s_delay_alu instid0(VALU_DEP_1) | instskip(SKIP_3) | instid1(VALU_DEP_1)
	v_add_f64 v[38:39], v[38:39], -v[136:137]
	ds_load_2addr_b64 v[136:139], v160 offset0:50 offset1:51
	;; [unrolled: 10-line block ×10, first 2 shown]
	s_waitcnt lgkmcnt(0)
	v_mul_f64 v[46:47], v[138:139], v[140:141]
	v_fma_f64 v[46:47], v[136:137], v[44:45], -v[46:47]
	v_mul_f64 v[136:137], v[136:137], v[140:141]
	s_delay_alu instid0(VALU_DEP_2) | instskip(NEXT) | instid1(VALU_DEP_2)
	v_add_f64 v[0:1], v[0:1], -v[46:47]
	v_fma_f64 v[136:137], v[138:139], v[44:45], v[136:137]
	v_dual_mov_b32 v46, v140 :: v_dual_mov_b32 v47, v141
	s_delay_alu instid0(VALU_DEP_2)
	v_add_f64 v[2:3], v[2:3], -v[136:137]
.LBB67_208:
	s_or_b32 exec_lo, exec_lo, s3
	s_delay_alu instid0(SALU_CYCLE_1)
	s_mov_b32 s4, exec_lo
	s_waitcnt_vscnt null, 0x0
	s_barrier
	buffer_gl0_inv
	v_cmpx_eq_u32_e32 23, v158
	s_cbranch_execz .LBB67_215
; %bb.209:
	ds_store_2addr_b64 v159, v[40:41], v[42:43] offset1:1
	ds_store_2addr_b64 v160, v[36:37], v[38:39] offset0:48 offset1:49
	ds_store_2addr_b64 v160, v[32:33], v[34:35] offset0:50 offset1:51
	;; [unrolled: 1-line block ×10, first 2 shown]
	ds_load_2addr_b64 v[136:139], v159 offset1:1
	s_waitcnt lgkmcnt(0)
	v_cmp_neq_f64_e32 vcc_lo, 0, v[136:137]
	v_cmp_neq_f64_e64 s3, 0, v[138:139]
	s_delay_alu instid0(VALU_DEP_1) | instskip(NEXT) | instid1(SALU_CYCLE_1)
	s_or_b32 s3, vcc_lo, s3
	s_and_b32 exec_lo, exec_lo, s3
	s_cbranch_execz .LBB67_215
; %bb.210:
	v_cmp_gt_f64_e32 vcc_lo, 0, v[136:137]
	v_xor_b32_e32 v140, 0x80000000, v137
	v_xor_b32_e32 v142, 0x80000000, v139
	s_mov_b32 s3, exec_lo
                                        ; implicit-def: $vgpr144_vgpr145
	s_delay_alu instid0(VALU_DEP_2) | instskip(SKIP_4) | instid1(VALU_DEP_1)
	v_cndmask_b32_e32 v141, v137, v140, vcc_lo
	v_cndmask_b32_e32 v140, v136, v136, vcc_lo
	v_cmp_gt_f64_e32 vcc_lo, 0, v[138:139]
	v_cndmask_b32_e32 v143, v139, v142, vcc_lo
	v_cndmask_b32_e32 v142, v138, v138, vcc_lo
	v_cmpx_ngt_f64_e32 v[140:141], v[142:143]
	s_xor_b32 s3, exec_lo, s3
                                        ; implicit-def: $vgpr140_vgpr141_vgpr142_vgpr143
	s_cbranch_execz .LBB67_212
; %bb.211:
	v_div_scale_f64 v[140:141], null, v[138:139], v[138:139], v[136:137]
	v_div_scale_f64 v[146:147], vcc_lo, v[136:137], v[138:139], v[136:137]
	s_delay_alu instid0(VALU_DEP_2) | instskip(SKIP_2) | instid1(VALU_DEP_1)
	v_rcp_f64_e32 v[142:143], v[140:141]
	s_waitcnt_depctr 0xfff
	v_fma_f64 v[144:145], -v[140:141], v[142:143], 1.0
	v_fma_f64 v[142:143], v[142:143], v[144:145], v[142:143]
	s_delay_alu instid0(VALU_DEP_1) | instskip(NEXT) | instid1(VALU_DEP_1)
	v_fma_f64 v[144:145], -v[140:141], v[142:143], 1.0
	v_fma_f64 v[142:143], v[142:143], v[144:145], v[142:143]
	s_delay_alu instid0(VALU_DEP_1) | instskip(NEXT) | instid1(VALU_DEP_1)
	v_mul_f64 v[144:145], v[146:147], v[142:143]
	v_fma_f64 v[140:141], -v[140:141], v[144:145], v[146:147]
	s_delay_alu instid0(VALU_DEP_1) | instskip(NEXT) | instid1(VALU_DEP_1)
	v_div_fmas_f64 v[140:141], v[140:141], v[142:143], v[144:145]
	v_div_fixup_f64 v[140:141], v[140:141], v[138:139], v[136:137]
	s_delay_alu instid0(VALU_DEP_1) | instskip(NEXT) | instid1(VALU_DEP_1)
	v_fma_f64 v[136:137], v[136:137], v[140:141], v[138:139]
	v_div_scale_f64 v[138:139], null, v[136:137], v[136:137], 1.0
	s_delay_alu instid0(VALU_DEP_1) | instskip(SKIP_2) | instid1(VALU_DEP_1)
	v_rcp_f64_e32 v[142:143], v[138:139]
	s_waitcnt_depctr 0xfff
	v_fma_f64 v[144:145], -v[138:139], v[142:143], 1.0
	v_fma_f64 v[142:143], v[142:143], v[144:145], v[142:143]
	s_delay_alu instid0(VALU_DEP_1) | instskip(NEXT) | instid1(VALU_DEP_1)
	v_fma_f64 v[144:145], -v[138:139], v[142:143], 1.0
	v_fma_f64 v[142:143], v[142:143], v[144:145], v[142:143]
	v_div_scale_f64 v[144:145], vcc_lo, 1.0, v[136:137], 1.0
	s_delay_alu instid0(VALU_DEP_1) | instskip(NEXT) | instid1(VALU_DEP_1)
	v_mul_f64 v[146:147], v[144:145], v[142:143]
	v_fma_f64 v[138:139], -v[138:139], v[146:147], v[144:145]
	s_delay_alu instid0(VALU_DEP_1) | instskip(NEXT) | instid1(VALU_DEP_1)
	v_div_fmas_f64 v[138:139], v[138:139], v[142:143], v[146:147]
	v_div_fixup_f64 v[142:143], v[138:139], v[136:137], 1.0
                                        ; implicit-def: $vgpr136_vgpr137
	s_delay_alu instid0(VALU_DEP_1)
	v_mul_f64 v[144:145], v[140:141], v[142:143]
	v_xor_b32_e32 v143, 0x80000000, v143
.LBB67_212:
	s_and_not1_saveexec_b32 s3, s3
	s_cbranch_execz .LBB67_214
; %bb.213:
	v_div_scale_f64 v[140:141], null, v[136:137], v[136:137], v[138:139]
	v_div_scale_f64 v[146:147], vcc_lo, v[138:139], v[136:137], v[138:139]
	s_delay_alu instid0(VALU_DEP_2) | instskip(SKIP_2) | instid1(VALU_DEP_1)
	v_rcp_f64_e32 v[142:143], v[140:141]
	s_waitcnt_depctr 0xfff
	v_fma_f64 v[144:145], -v[140:141], v[142:143], 1.0
	v_fma_f64 v[142:143], v[142:143], v[144:145], v[142:143]
	s_delay_alu instid0(VALU_DEP_1) | instskip(NEXT) | instid1(VALU_DEP_1)
	v_fma_f64 v[144:145], -v[140:141], v[142:143], 1.0
	v_fma_f64 v[142:143], v[142:143], v[144:145], v[142:143]
	s_delay_alu instid0(VALU_DEP_1) | instskip(NEXT) | instid1(VALU_DEP_1)
	v_mul_f64 v[144:145], v[146:147], v[142:143]
	v_fma_f64 v[140:141], -v[140:141], v[144:145], v[146:147]
	s_delay_alu instid0(VALU_DEP_1) | instskip(NEXT) | instid1(VALU_DEP_1)
	v_div_fmas_f64 v[140:141], v[140:141], v[142:143], v[144:145]
	v_div_fixup_f64 v[140:141], v[140:141], v[136:137], v[138:139]
	s_delay_alu instid0(VALU_DEP_1) | instskip(NEXT) | instid1(VALU_DEP_1)
	v_fma_f64 v[136:137], v[138:139], v[140:141], v[136:137]
	v_div_scale_f64 v[138:139], null, v[136:137], v[136:137], 1.0
	s_delay_alu instid0(VALU_DEP_1) | instskip(SKIP_2) | instid1(VALU_DEP_1)
	v_rcp_f64_e32 v[142:143], v[138:139]
	s_waitcnt_depctr 0xfff
	v_fma_f64 v[144:145], -v[138:139], v[142:143], 1.0
	v_fma_f64 v[142:143], v[142:143], v[144:145], v[142:143]
	s_delay_alu instid0(VALU_DEP_1) | instskip(NEXT) | instid1(VALU_DEP_1)
	v_fma_f64 v[144:145], -v[138:139], v[142:143], 1.0
	v_fma_f64 v[142:143], v[142:143], v[144:145], v[142:143]
	v_div_scale_f64 v[144:145], vcc_lo, 1.0, v[136:137], 1.0
	s_delay_alu instid0(VALU_DEP_1) | instskip(NEXT) | instid1(VALU_DEP_1)
	v_mul_f64 v[146:147], v[144:145], v[142:143]
	v_fma_f64 v[138:139], -v[138:139], v[146:147], v[144:145]
	s_delay_alu instid0(VALU_DEP_1) | instskip(NEXT) | instid1(VALU_DEP_1)
	v_div_fmas_f64 v[138:139], v[138:139], v[142:143], v[146:147]
	v_div_fixup_f64 v[144:145], v[138:139], v[136:137], 1.0
	s_delay_alu instid0(VALU_DEP_1)
	v_mul_f64 v[142:143], v[140:141], -v[144:145]
.LBB67_214:
	s_or_b32 exec_lo, exec_lo, s3
	ds_store_2addr_b64 v159, v[144:145], v[142:143] offset1:1
.LBB67_215:
	s_or_b32 exec_lo, exec_lo, s4
	s_waitcnt lgkmcnt(0)
	s_barrier
	buffer_gl0_inv
	ds_load_2addr_b64 v[136:139], v159 offset1:1
	s_mov_b32 s3, exec_lo
	s_waitcnt lgkmcnt(0)
	scratch_store_b128 off, v[136:139], off offset:352 ; 16-byte Folded Spill
	v_cmpx_lt_u32_e32 23, v158
	s_cbranch_execz .LBB67_217
; %bb.216:
	scratch_load_b128 v[142:145], off, off offset:352 ; 16-byte Folded Reload
	s_waitcnt vmcnt(0)
	v_mul_f64 v[136:137], v[142:143], v[42:43]
	v_mul_f64 v[42:43], v[144:145], v[42:43]
	s_delay_alu instid0(VALU_DEP_2) | instskip(SKIP_4) | instid1(VALU_DEP_1)
	v_fma_f64 v[140:141], v[144:145], v[40:41], v[136:137]
	ds_load_2addr_b64 v[136:139], v160 offset0:48 offset1:49
	v_fma_f64 v[40:41], v[142:143], v[40:41], -v[42:43]
	s_waitcnt lgkmcnt(0)
	v_mul_f64 v[42:43], v[138:139], v[140:141]
	v_fma_f64 v[42:43], v[136:137], v[40:41], -v[42:43]
	v_mul_f64 v[136:137], v[136:137], v[140:141]
	s_delay_alu instid0(VALU_DEP_2) | instskip(NEXT) | instid1(VALU_DEP_2)
	v_add_f64 v[36:37], v[36:37], -v[42:43]
	v_fma_f64 v[136:137], v[138:139], v[40:41], v[136:137]
	s_delay_alu instid0(VALU_DEP_1) | instskip(SKIP_3) | instid1(VALU_DEP_1)
	v_add_f64 v[38:39], v[38:39], -v[136:137]
	ds_load_2addr_b64 v[136:139], v160 offset0:50 offset1:51
	s_waitcnt lgkmcnt(0)
	v_mul_f64 v[42:43], v[138:139], v[140:141]
	v_fma_f64 v[42:43], v[136:137], v[40:41], -v[42:43]
	v_mul_f64 v[136:137], v[136:137], v[140:141]
	s_delay_alu instid0(VALU_DEP_2) | instskip(NEXT) | instid1(VALU_DEP_2)
	v_add_f64 v[32:33], v[32:33], -v[42:43]
	v_fma_f64 v[136:137], v[138:139], v[40:41], v[136:137]
	s_delay_alu instid0(VALU_DEP_1) | instskip(SKIP_3) | instid1(VALU_DEP_1)
	v_add_f64 v[34:35], v[34:35], -v[136:137]
	ds_load_2addr_b64 v[136:139], v160 offset0:52 offset1:53
	;; [unrolled: 10-line block ×9, first 2 shown]
	s_waitcnt lgkmcnt(0)
	v_mul_f64 v[42:43], v[138:139], v[140:141]
	v_fma_f64 v[42:43], v[136:137], v[40:41], -v[42:43]
	v_mul_f64 v[136:137], v[136:137], v[140:141]
	s_delay_alu instid0(VALU_DEP_2) | instskip(NEXT) | instid1(VALU_DEP_2)
	v_add_f64 v[0:1], v[0:1], -v[42:43]
	v_fma_f64 v[136:137], v[138:139], v[40:41], v[136:137]
	v_dual_mov_b32 v42, v140 :: v_dual_mov_b32 v43, v141
	s_delay_alu instid0(VALU_DEP_2)
	v_add_f64 v[2:3], v[2:3], -v[136:137]
.LBB67_217:
	s_or_b32 exec_lo, exec_lo, s3
	s_delay_alu instid0(SALU_CYCLE_1)
	s_mov_b32 s4, exec_lo
	s_waitcnt_vscnt null, 0x0
	s_barrier
	buffer_gl0_inv
	v_cmpx_eq_u32_e32 24, v158
	s_cbranch_execz .LBB67_224
; %bb.218:
	ds_store_2addr_b64 v159, v[36:37], v[38:39] offset1:1
	ds_store_2addr_b64 v160, v[32:33], v[34:35] offset0:50 offset1:51
	ds_store_2addr_b64 v160, v[28:29], v[30:31] offset0:52 offset1:53
	;; [unrolled: 1-line block ×9, first 2 shown]
	ds_load_2addr_b64 v[136:139], v159 offset1:1
	s_waitcnt lgkmcnt(0)
	v_cmp_neq_f64_e32 vcc_lo, 0, v[136:137]
	v_cmp_neq_f64_e64 s3, 0, v[138:139]
	s_delay_alu instid0(VALU_DEP_1) | instskip(NEXT) | instid1(SALU_CYCLE_1)
	s_or_b32 s3, vcc_lo, s3
	s_and_b32 exec_lo, exec_lo, s3
	s_cbranch_execz .LBB67_224
; %bb.219:
	v_cmp_gt_f64_e32 vcc_lo, 0, v[136:137]
	v_xor_b32_e32 v140, 0x80000000, v137
	v_xor_b32_e32 v142, 0x80000000, v139
	s_mov_b32 s3, exec_lo
                                        ; implicit-def: $vgpr144_vgpr145
	s_delay_alu instid0(VALU_DEP_2) | instskip(SKIP_4) | instid1(VALU_DEP_1)
	v_cndmask_b32_e32 v141, v137, v140, vcc_lo
	v_cndmask_b32_e32 v140, v136, v136, vcc_lo
	v_cmp_gt_f64_e32 vcc_lo, 0, v[138:139]
	v_cndmask_b32_e32 v143, v139, v142, vcc_lo
	v_cndmask_b32_e32 v142, v138, v138, vcc_lo
	v_cmpx_ngt_f64_e32 v[140:141], v[142:143]
	s_xor_b32 s3, exec_lo, s3
                                        ; implicit-def: $vgpr140_vgpr141_vgpr142_vgpr143
	s_cbranch_execz .LBB67_221
; %bb.220:
	v_div_scale_f64 v[140:141], null, v[138:139], v[138:139], v[136:137]
	v_div_scale_f64 v[146:147], vcc_lo, v[136:137], v[138:139], v[136:137]
	s_delay_alu instid0(VALU_DEP_2) | instskip(SKIP_2) | instid1(VALU_DEP_1)
	v_rcp_f64_e32 v[142:143], v[140:141]
	s_waitcnt_depctr 0xfff
	v_fma_f64 v[144:145], -v[140:141], v[142:143], 1.0
	v_fma_f64 v[142:143], v[142:143], v[144:145], v[142:143]
	s_delay_alu instid0(VALU_DEP_1) | instskip(NEXT) | instid1(VALU_DEP_1)
	v_fma_f64 v[144:145], -v[140:141], v[142:143], 1.0
	v_fma_f64 v[142:143], v[142:143], v[144:145], v[142:143]
	s_delay_alu instid0(VALU_DEP_1) | instskip(NEXT) | instid1(VALU_DEP_1)
	v_mul_f64 v[144:145], v[146:147], v[142:143]
	v_fma_f64 v[140:141], -v[140:141], v[144:145], v[146:147]
	s_delay_alu instid0(VALU_DEP_1) | instskip(NEXT) | instid1(VALU_DEP_1)
	v_div_fmas_f64 v[140:141], v[140:141], v[142:143], v[144:145]
	v_div_fixup_f64 v[140:141], v[140:141], v[138:139], v[136:137]
	s_delay_alu instid0(VALU_DEP_1) | instskip(NEXT) | instid1(VALU_DEP_1)
	v_fma_f64 v[136:137], v[136:137], v[140:141], v[138:139]
	v_div_scale_f64 v[138:139], null, v[136:137], v[136:137], 1.0
	s_delay_alu instid0(VALU_DEP_1) | instskip(SKIP_2) | instid1(VALU_DEP_1)
	v_rcp_f64_e32 v[142:143], v[138:139]
	s_waitcnt_depctr 0xfff
	v_fma_f64 v[144:145], -v[138:139], v[142:143], 1.0
	v_fma_f64 v[142:143], v[142:143], v[144:145], v[142:143]
	s_delay_alu instid0(VALU_DEP_1) | instskip(NEXT) | instid1(VALU_DEP_1)
	v_fma_f64 v[144:145], -v[138:139], v[142:143], 1.0
	v_fma_f64 v[142:143], v[142:143], v[144:145], v[142:143]
	v_div_scale_f64 v[144:145], vcc_lo, 1.0, v[136:137], 1.0
	s_delay_alu instid0(VALU_DEP_1) | instskip(NEXT) | instid1(VALU_DEP_1)
	v_mul_f64 v[146:147], v[144:145], v[142:143]
	v_fma_f64 v[138:139], -v[138:139], v[146:147], v[144:145]
	s_delay_alu instid0(VALU_DEP_1) | instskip(NEXT) | instid1(VALU_DEP_1)
	v_div_fmas_f64 v[138:139], v[138:139], v[142:143], v[146:147]
	v_div_fixup_f64 v[142:143], v[138:139], v[136:137], 1.0
                                        ; implicit-def: $vgpr136_vgpr137
	s_delay_alu instid0(VALU_DEP_1)
	v_mul_f64 v[144:145], v[140:141], v[142:143]
	v_xor_b32_e32 v143, 0x80000000, v143
.LBB67_221:
	s_and_not1_saveexec_b32 s3, s3
	s_cbranch_execz .LBB67_223
; %bb.222:
	v_div_scale_f64 v[140:141], null, v[136:137], v[136:137], v[138:139]
	v_div_scale_f64 v[146:147], vcc_lo, v[138:139], v[136:137], v[138:139]
	s_delay_alu instid0(VALU_DEP_2) | instskip(SKIP_2) | instid1(VALU_DEP_1)
	v_rcp_f64_e32 v[142:143], v[140:141]
	s_waitcnt_depctr 0xfff
	v_fma_f64 v[144:145], -v[140:141], v[142:143], 1.0
	v_fma_f64 v[142:143], v[142:143], v[144:145], v[142:143]
	s_delay_alu instid0(VALU_DEP_1) | instskip(NEXT) | instid1(VALU_DEP_1)
	v_fma_f64 v[144:145], -v[140:141], v[142:143], 1.0
	v_fma_f64 v[142:143], v[142:143], v[144:145], v[142:143]
	s_delay_alu instid0(VALU_DEP_1) | instskip(NEXT) | instid1(VALU_DEP_1)
	v_mul_f64 v[144:145], v[146:147], v[142:143]
	v_fma_f64 v[140:141], -v[140:141], v[144:145], v[146:147]
	s_delay_alu instid0(VALU_DEP_1) | instskip(NEXT) | instid1(VALU_DEP_1)
	v_div_fmas_f64 v[140:141], v[140:141], v[142:143], v[144:145]
	v_div_fixup_f64 v[140:141], v[140:141], v[136:137], v[138:139]
	s_delay_alu instid0(VALU_DEP_1) | instskip(NEXT) | instid1(VALU_DEP_1)
	v_fma_f64 v[136:137], v[138:139], v[140:141], v[136:137]
	v_div_scale_f64 v[138:139], null, v[136:137], v[136:137], 1.0
	s_delay_alu instid0(VALU_DEP_1) | instskip(SKIP_2) | instid1(VALU_DEP_1)
	v_rcp_f64_e32 v[142:143], v[138:139]
	s_waitcnt_depctr 0xfff
	v_fma_f64 v[144:145], -v[138:139], v[142:143], 1.0
	v_fma_f64 v[142:143], v[142:143], v[144:145], v[142:143]
	s_delay_alu instid0(VALU_DEP_1) | instskip(NEXT) | instid1(VALU_DEP_1)
	v_fma_f64 v[144:145], -v[138:139], v[142:143], 1.0
	v_fma_f64 v[142:143], v[142:143], v[144:145], v[142:143]
	v_div_scale_f64 v[144:145], vcc_lo, 1.0, v[136:137], 1.0
	s_delay_alu instid0(VALU_DEP_1) | instskip(NEXT) | instid1(VALU_DEP_1)
	v_mul_f64 v[146:147], v[144:145], v[142:143]
	v_fma_f64 v[138:139], -v[138:139], v[146:147], v[144:145]
	s_delay_alu instid0(VALU_DEP_1) | instskip(NEXT) | instid1(VALU_DEP_1)
	v_div_fmas_f64 v[138:139], v[138:139], v[142:143], v[146:147]
	v_div_fixup_f64 v[144:145], v[138:139], v[136:137], 1.0
	s_delay_alu instid0(VALU_DEP_1)
	v_mul_f64 v[142:143], v[140:141], -v[144:145]
.LBB67_223:
	s_or_b32 exec_lo, exec_lo, s3
	ds_store_2addr_b64 v159, v[144:145], v[142:143] offset1:1
.LBB67_224:
	s_or_b32 exec_lo, exec_lo, s4
	s_waitcnt lgkmcnt(0)
	s_barrier
	buffer_gl0_inv
	ds_load_2addr_b64 v[136:139], v159 offset1:1
	s_mov_b32 s3, exec_lo
	s_waitcnt lgkmcnt(0)
	scratch_store_b128 off, v[136:139], off offset:368 ; 16-byte Folded Spill
	v_cmpx_lt_u32_e32 24, v158
	s_cbranch_execz .LBB67_226
; %bb.225:
	scratch_load_b128 v[142:145], off, off offset:368 ; 16-byte Folded Reload
	s_waitcnt vmcnt(0)
	v_mul_f64 v[136:137], v[142:143], v[38:39]
	v_mul_f64 v[38:39], v[144:145], v[38:39]
	s_delay_alu instid0(VALU_DEP_2) | instskip(SKIP_4) | instid1(VALU_DEP_1)
	v_fma_f64 v[140:141], v[144:145], v[36:37], v[136:137]
	ds_load_2addr_b64 v[136:139], v160 offset0:50 offset1:51
	v_fma_f64 v[36:37], v[142:143], v[36:37], -v[38:39]
	s_waitcnt lgkmcnt(0)
	v_mul_f64 v[38:39], v[138:139], v[140:141]
	v_fma_f64 v[38:39], v[136:137], v[36:37], -v[38:39]
	v_mul_f64 v[136:137], v[136:137], v[140:141]
	s_delay_alu instid0(VALU_DEP_2) | instskip(NEXT) | instid1(VALU_DEP_2)
	v_add_f64 v[32:33], v[32:33], -v[38:39]
	v_fma_f64 v[136:137], v[138:139], v[36:37], v[136:137]
	s_delay_alu instid0(VALU_DEP_1) | instskip(SKIP_3) | instid1(VALU_DEP_1)
	v_add_f64 v[34:35], v[34:35], -v[136:137]
	ds_load_2addr_b64 v[136:139], v160 offset0:52 offset1:53
	s_waitcnt lgkmcnt(0)
	v_mul_f64 v[38:39], v[138:139], v[140:141]
	v_fma_f64 v[38:39], v[136:137], v[36:37], -v[38:39]
	v_mul_f64 v[136:137], v[136:137], v[140:141]
	s_delay_alu instid0(VALU_DEP_2) | instskip(NEXT) | instid1(VALU_DEP_2)
	v_add_f64 v[28:29], v[28:29], -v[38:39]
	v_fma_f64 v[136:137], v[138:139], v[36:37], v[136:137]
	s_delay_alu instid0(VALU_DEP_1) | instskip(SKIP_3) | instid1(VALU_DEP_1)
	v_add_f64 v[30:31], v[30:31], -v[136:137]
	ds_load_2addr_b64 v[136:139], v160 offset0:54 offset1:55
	;; [unrolled: 10-line block ×8, first 2 shown]
	s_waitcnt lgkmcnt(0)
	v_mul_f64 v[38:39], v[138:139], v[140:141]
	v_fma_f64 v[38:39], v[136:137], v[36:37], -v[38:39]
	v_mul_f64 v[136:137], v[136:137], v[140:141]
	s_delay_alu instid0(VALU_DEP_2) | instskip(NEXT) | instid1(VALU_DEP_2)
	v_add_f64 v[0:1], v[0:1], -v[38:39]
	v_fma_f64 v[136:137], v[138:139], v[36:37], v[136:137]
	v_dual_mov_b32 v38, v140 :: v_dual_mov_b32 v39, v141
	s_delay_alu instid0(VALU_DEP_2)
	v_add_f64 v[2:3], v[2:3], -v[136:137]
.LBB67_226:
	s_or_b32 exec_lo, exec_lo, s3
	s_delay_alu instid0(SALU_CYCLE_1)
	s_mov_b32 s4, exec_lo
	s_waitcnt_vscnt null, 0x0
	s_barrier
	buffer_gl0_inv
	v_cmpx_eq_u32_e32 25, v158
	s_cbranch_execz .LBB67_233
; %bb.227:
	ds_store_2addr_b64 v159, v[32:33], v[34:35] offset1:1
	ds_store_2addr_b64 v160, v[28:29], v[30:31] offset0:52 offset1:53
	ds_store_2addr_b64 v160, v[24:25], v[26:27] offset0:54 offset1:55
	;; [unrolled: 1-line block ×8, first 2 shown]
	ds_load_2addr_b64 v[136:139], v159 offset1:1
	s_waitcnt lgkmcnt(0)
	v_cmp_neq_f64_e32 vcc_lo, 0, v[136:137]
	v_cmp_neq_f64_e64 s3, 0, v[138:139]
	s_delay_alu instid0(VALU_DEP_1) | instskip(NEXT) | instid1(SALU_CYCLE_1)
	s_or_b32 s3, vcc_lo, s3
	s_and_b32 exec_lo, exec_lo, s3
	s_cbranch_execz .LBB67_233
; %bb.228:
	v_cmp_gt_f64_e32 vcc_lo, 0, v[136:137]
	v_xor_b32_e32 v140, 0x80000000, v137
	v_xor_b32_e32 v142, 0x80000000, v139
	s_mov_b32 s3, exec_lo
                                        ; implicit-def: $vgpr144_vgpr145
	s_delay_alu instid0(VALU_DEP_2) | instskip(SKIP_4) | instid1(VALU_DEP_1)
	v_cndmask_b32_e32 v141, v137, v140, vcc_lo
	v_cndmask_b32_e32 v140, v136, v136, vcc_lo
	v_cmp_gt_f64_e32 vcc_lo, 0, v[138:139]
	v_cndmask_b32_e32 v143, v139, v142, vcc_lo
	v_cndmask_b32_e32 v142, v138, v138, vcc_lo
	v_cmpx_ngt_f64_e32 v[140:141], v[142:143]
	s_xor_b32 s3, exec_lo, s3
                                        ; implicit-def: $vgpr140_vgpr141_vgpr142_vgpr143
	s_cbranch_execz .LBB67_230
; %bb.229:
	v_div_scale_f64 v[140:141], null, v[138:139], v[138:139], v[136:137]
	v_div_scale_f64 v[146:147], vcc_lo, v[136:137], v[138:139], v[136:137]
	s_delay_alu instid0(VALU_DEP_2) | instskip(SKIP_2) | instid1(VALU_DEP_1)
	v_rcp_f64_e32 v[142:143], v[140:141]
	s_waitcnt_depctr 0xfff
	v_fma_f64 v[144:145], -v[140:141], v[142:143], 1.0
	v_fma_f64 v[142:143], v[142:143], v[144:145], v[142:143]
	s_delay_alu instid0(VALU_DEP_1) | instskip(NEXT) | instid1(VALU_DEP_1)
	v_fma_f64 v[144:145], -v[140:141], v[142:143], 1.0
	v_fma_f64 v[142:143], v[142:143], v[144:145], v[142:143]
	s_delay_alu instid0(VALU_DEP_1) | instskip(NEXT) | instid1(VALU_DEP_1)
	v_mul_f64 v[144:145], v[146:147], v[142:143]
	v_fma_f64 v[140:141], -v[140:141], v[144:145], v[146:147]
	s_delay_alu instid0(VALU_DEP_1) | instskip(NEXT) | instid1(VALU_DEP_1)
	v_div_fmas_f64 v[140:141], v[140:141], v[142:143], v[144:145]
	v_div_fixup_f64 v[140:141], v[140:141], v[138:139], v[136:137]
	s_delay_alu instid0(VALU_DEP_1) | instskip(NEXT) | instid1(VALU_DEP_1)
	v_fma_f64 v[136:137], v[136:137], v[140:141], v[138:139]
	v_div_scale_f64 v[138:139], null, v[136:137], v[136:137], 1.0
	s_delay_alu instid0(VALU_DEP_1) | instskip(SKIP_2) | instid1(VALU_DEP_1)
	v_rcp_f64_e32 v[142:143], v[138:139]
	s_waitcnt_depctr 0xfff
	v_fma_f64 v[144:145], -v[138:139], v[142:143], 1.0
	v_fma_f64 v[142:143], v[142:143], v[144:145], v[142:143]
	s_delay_alu instid0(VALU_DEP_1) | instskip(NEXT) | instid1(VALU_DEP_1)
	v_fma_f64 v[144:145], -v[138:139], v[142:143], 1.0
	v_fma_f64 v[142:143], v[142:143], v[144:145], v[142:143]
	v_div_scale_f64 v[144:145], vcc_lo, 1.0, v[136:137], 1.0
	s_delay_alu instid0(VALU_DEP_1) | instskip(NEXT) | instid1(VALU_DEP_1)
	v_mul_f64 v[146:147], v[144:145], v[142:143]
	v_fma_f64 v[138:139], -v[138:139], v[146:147], v[144:145]
	s_delay_alu instid0(VALU_DEP_1) | instskip(NEXT) | instid1(VALU_DEP_1)
	v_div_fmas_f64 v[138:139], v[138:139], v[142:143], v[146:147]
	v_div_fixup_f64 v[142:143], v[138:139], v[136:137], 1.0
                                        ; implicit-def: $vgpr136_vgpr137
	s_delay_alu instid0(VALU_DEP_1)
	v_mul_f64 v[144:145], v[140:141], v[142:143]
	v_xor_b32_e32 v143, 0x80000000, v143
.LBB67_230:
	s_and_not1_saveexec_b32 s3, s3
	s_cbranch_execz .LBB67_232
; %bb.231:
	v_div_scale_f64 v[140:141], null, v[136:137], v[136:137], v[138:139]
	v_div_scale_f64 v[146:147], vcc_lo, v[138:139], v[136:137], v[138:139]
	s_delay_alu instid0(VALU_DEP_2) | instskip(SKIP_2) | instid1(VALU_DEP_1)
	v_rcp_f64_e32 v[142:143], v[140:141]
	s_waitcnt_depctr 0xfff
	v_fma_f64 v[144:145], -v[140:141], v[142:143], 1.0
	v_fma_f64 v[142:143], v[142:143], v[144:145], v[142:143]
	s_delay_alu instid0(VALU_DEP_1) | instskip(NEXT) | instid1(VALU_DEP_1)
	v_fma_f64 v[144:145], -v[140:141], v[142:143], 1.0
	v_fma_f64 v[142:143], v[142:143], v[144:145], v[142:143]
	s_delay_alu instid0(VALU_DEP_1) | instskip(NEXT) | instid1(VALU_DEP_1)
	v_mul_f64 v[144:145], v[146:147], v[142:143]
	v_fma_f64 v[140:141], -v[140:141], v[144:145], v[146:147]
	s_delay_alu instid0(VALU_DEP_1) | instskip(NEXT) | instid1(VALU_DEP_1)
	v_div_fmas_f64 v[140:141], v[140:141], v[142:143], v[144:145]
	v_div_fixup_f64 v[140:141], v[140:141], v[136:137], v[138:139]
	s_delay_alu instid0(VALU_DEP_1) | instskip(NEXT) | instid1(VALU_DEP_1)
	v_fma_f64 v[136:137], v[138:139], v[140:141], v[136:137]
	v_div_scale_f64 v[138:139], null, v[136:137], v[136:137], 1.0
	s_delay_alu instid0(VALU_DEP_1) | instskip(SKIP_2) | instid1(VALU_DEP_1)
	v_rcp_f64_e32 v[142:143], v[138:139]
	s_waitcnt_depctr 0xfff
	v_fma_f64 v[144:145], -v[138:139], v[142:143], 1.0
	v_fma_f64 v[142:143], v[142:143], v[144:145], v[142:143]
	s_delay_alu instid0(VALU_DEP_1) | instskip(NEXT) | instid1(VALU_DEP_1)
	v_fma_f64 v[144:145], -v[138:139], v[142:143], 1.0
	v_fma_f64 v[142:143], v[142:143], v[144:145], v[142:143]
	v_div_scale_f64 v[144:145], vcc_lo, 1.0, v[136:137], 1.0
	s_delay_alu instid0(VALU_DEP_1) | instskip(NEXT) | instid1(VALU_DEP_1)
	v_mul_f64 v[146:147], v[144:145], v[142:143]
	v_fma_f64 v[138:139], -v[138:139], v[146:147], v[144:145]
	s_delay_alu instid0(VALU_DEP_1) | instskip(NEXT) | instid1(VALU_DEP_1)
	v_div_fmas_f64 v[138:139], v[138:139], v[142:143], v[146:147]
	v_div_fixup_f64 v[144:145], v[138:139], v[136:137], 1.0
	s_delay_alu instid0(VALU_DEP_1)
	v_mul_f64 v[142:143], v[140:141], -v[144:145]
.LBB67_232:
	s_or_b32 exec_lo, exec_lo, s3
	ds_store_2addr_b64 v159, v[144:145], v[142:143] offset1:1
.LBB67_233:
	s_or_b32 exec_lo, exec_lo, s4
	s_waitcnt lgkmcnt(0)
	s_barrier
	buffer_gl0_inv
	ds_load_2addr_b64 v[136:139], v159 offset1:1
	s_mov_b32 s3, exec_lo
	s_waitcnt lgkmcnt(0)
	scratch_store_b128 off, v[136:139], off offset:384 ; 16-byte Folded Spill
	v_cmpx_lt_u32_e32 25, v158
	s_cbranch_execz .LBB67_235
; %bb.234:
	scratch_load_b128 v[142:145], off, off offset:384 ; 16-byte Folded Reload
	s_waitcnt vmcnt(0)
	v_mul_f64 v[136:137], v[142:143], v[34:35]
	v_mul_f64 v[34:35], v[144:145], v[34:35]
	s_delay_alu instid0(VALU_DEP_2) | instskip(SKIP_4) | instid1(VALU_DEP_1)
	v_fma_f64 v[140:141], v[144:145], v[32:33], v[136:137]
	ds_load_2addr_b64 v[136:139], v160 offset0:52 offset1:53
	v_fma_f64 v[32:33], v[142:143], v[32:33], -v[34:35]
	s_waitcnt lgkmcnt(0)
	v_mul_f64 v[34:35], v[138:139], v[140:141]
	v_fma_f64 v[34:35], v[136:137], v[32:33], -v[34:35]
	v_mul_f64 v[136:137], v[136:137], v[140:141]
	s_delay_alu instid0(VALU_DEP_2) | instskip(NEXT) | instid1(VALU_DEP_2)
	v_add_f64 v[28:29], v[28:29], -v[34:35]
	v_fma_f64 v[136:137], v[138:139], v[32:33], v[136:137]
	s_delay_alu instid0(VALU_DEP_1) | instskip(SKIP_3) | instid1(VALU_DEP_1)
	v_add_f64 v[30:31], v[30:31], -v[136:137]
	ds_load_2addr_b64 v[136:139], v160 offset0:54 offset1:55
	s_waitcnt lgkmcnt(0)
	v_mul_f64 v[34:35], v[138:139], v[140:141]
	v_fma_f64 v[34:35], v[136:137], v[32:33], -v[34:35]
	v_mul_f64 v[136:137], v[136:137], v[140:141]
	s_delay_alu instid0(VALU_DEP_2) | instskip(NEXT) | instid1(VALU_DEP_2)
	v_add_f64 v[24:25], v[24:25], -v[34:35]
	v_fma_f64 v[136:137], v[138:139], v[32:33], v[136:137]
	s_delay_alu instid0(VALU_DEP_1) | instskip(SKIP_3) | instid1(VALU_DEP_1)
	v_add_f64 v[26:27], v[26:27], -v[136:137]
	ds_load_2addr_b64 v[136:139], v160 offset0:56 offset1:57
	s_waitcnt lgkmcnt(0)
	v_mul_f64 v[34:35], v[138:139], v[140:141]
	v_fma_f64 v[34:35], v[136:137], v[32:33], -v[34:35]
	v_mul_f64 v[136:137], v[136:137], v[140:141]
	s_delay_alu instid0(VALU_DEP_2) | instskip(NEXT) | instid1(VALU_DEP_2)
	v_add_f64 v[20:21], v[20:21], -v[34:35]
	v_fma_f64 v[136:137], v[138:139], v[32:33], v[136:137]
	s_delay_alu instid0(VALU_DEP_1) | instskip(SKIP_3) | instid1(VALU_DEP_1)
	v_add_f64 v[22:23], v[22:23], -v[136:137]
	ds_load_2addr_b64 v[136:139], v160 offset0:58 offset1:59
	s_waitcnt lgkmcnt(0)
	v_mul_f64 v[34:35], v[138:139], v[140:141]
	v_fma_f64 v[34:35], v[136:137], v[32:33], -v[34:35]
	v_mul_f64 v[136:137], v[136:137], v[140:141]
	s_delay_alu instid0(VALU_DEP_2) | instskip(NEXT) | instid1(VALU_DEP_2)
	v_add_f64 v[16:17], v[16:17], -v[34:35]
	v_fma_f64 v[136:137], v[138:139], v[32:33], v[136:137]
	s_delay_alu instid0(VALU_DEP_1) | instskip(SKIP_3) | instid1(VALU_DEP_1)
	v_add_f64 v[18:19], v[18:19], -v[136:137]
	ds_load_2addr_b64 v[136:139], v160 offset0:60 offset1:61
	s_waitcnt lgkmcnt(0)
	v_mul_f64 v[34:35], v[138:139], v[140:141]
	v_fma_f64 v[34:35], v[136:137], v[32:33], -v[34:35]
	v_mul_f64 v[136:137], v[136:137], v[140:141]
	s_delay_alu instid0(VALU_DEP_2) | instskip(NEXT) | instid1(VALU_DEP_2)
	v_add_f64 v[12:13], v[12:13], -v[34:35]
	v_fma_f64 v[136:137], v[138:139], v[32:33], v[136:137]
	s_delay_alu instid0(VALU_DEP_1) | instskip(SKIP_3) | instid1(VALU_DEP_1)
	v_add_f64 v[14:15], v[14:15], -v[136:137]
	ds_load_2addr_b64 v[136:139], v160 offset0:62 offset1:63
	s_waitcnt lgkmcnt(0)
	v_mul_f64 v[34:35], v[138:139], v[140:141]
	v_fma_f64 v[34:35], v[136:137], v[32:33], -v[34:35]
	v_mul_f64 v[136:137], v[136:137], v[140:141]
	s_delay_alu instid0(VALU_DEP_2) | instskip(NEXT) | instid1(VALU_DEP_2)
	v_add_f64 v[8:9], v[8:9], -v[34:35]
	v_fma_f64 v[136:137], v[138:139], v[32:33], v[136:137]
	s_delay_alu instid0(VALU_DEP_1) | instskip(SKIP_3) | instid1(VALU_DEP_1)
	v_add_f64 v[10:11], v[10:11], -v[136:137]
	ds_load_2addr_b64 v[136:139], v160 offset0:64 offset1:65
	s_waitcnt lgkmcnt(0)
	v_mul_f64 v[34:35], v[138:139], v[140:141]
	v_fma_f64 v[34:35], v[136:137], v[32:33], -v[34:35]
	v_mul_f64 v[136:137], v[136:137], v[140:141]
	s_delay_alu instid0(VALU_DEP_2) | instskip(NEXT) | instid1(VALU_DEP_2)
	v_add_f64 v[4:5], v[4:5], -v[34:35]
	v_fma_f64 v[136:137], v[138:139], v[32:33], v[136:137]
	s_delay_alu instid0(VALU_DEP_1) | instskip(SKIP_3) | instid1(VALU_DEP_1)
	v_add_f64 v[6:7], v[6:7], -v[136:137]
	ds_load_2addr_b64 v[136:139], v160 offset0:66 offset1:67
	s_waitcnt lgkmcnt(0)
	v_mul_f64 v[34:35], v[138:139], v[140:141]
	v_fma_f64 v[34:35], v[136:137], v[32:33], -v[34:35]
	v_mul_f64 v[136:137], v[136:137], v[140:141]
	s_delay_alu instid0(VALU_DEP_2) | instskip(NEXT) | instid1(VALU_DEP_2)
	v_add_f64 v[0:1], v[0:1], -v[34:35]
	v_fma_f64 v[136:137], v[138:139], v[32:33], v[136:137]
	v_dual_mov_b32 v34, v140 :: v_dual_mov_b32 v35, v141
	s_delay_alu instid0(VALU_DEP_2)
	v_add_f64 v[2:3], v[2:3], -v[136:137]
.LBB67_235:
	s_or_b32 exec_lo, exec_lo, s3
	s_delay_alu instid0(SALU_CYCLE_1)
	s_mov_b32 s4, exec_lo
	s_waitcnt_vscnt null, 0x0
	s_barrier
	buffer_gl0_inv
	v_cmpx_eq_u32_e32 26, v158
	s_cbranch_execz .LBB67_242
; %bb.236:
	ds_store_2addr_b64 v159, v[28:29], v[30:31] offset1:1
	ds_store_2addr_b64 v160, v[24:25], v[26:27] offset0:54 offset1:55
	ds_store_2addr_b64 v160, v[20:21], v[22:23] offset0:56 offset1:57
	;; [unrolled: 1-line block ×7, first 2 shown]
	ds_load_2addr_b64 v[136:139], v159 offset1:1
	s_waitcnt lgkmcnt(0)
	v_cmp_neq_f64_e32 vcc_lo, 0, v[136:137]
	v_cmp_neq_f64_e64 s3, 0, v[138:139]
	s_delay_alu instid0(VALU_DEP_1) | instskip(NEXT) | instid1(SALU_CYCLE_1)
	s_or_b32 s3, vcc_lo, s3
	s_and_b32 exec_lo, exec_lo, s3
	s_cbranch_execz .LBB67_242
; %bb.237:
	v_cmp_gt_f64_e32 vcc_lo, 0, v[136:137]
	v_xor_b32_e32 v140, 0x80000000, v137
	v_xor_b32_e32 v142, 0x80000000, v139
	s_mov_b32 s3, exec_lo
                                        ; implicit-def: $vgpr144_vgpr145
	s_delay_alu instid0(VALU_DEP_2) | instskip(SKIP_4) | instid1(VALU_DEP_1)
	v_cndmask_b32_e32 v141, v137, v140, vcc_lo
	v_cndmask_b32_e32 v140, v136, v136, vcc_lo
	v_cmp_gt_f64_e32 vcc_lo, 0, v[138:139]
	v_cndmask_b32_e32 v143, v139, v142, vcc_lo
	v_cndmask_b32_e32 v142, v138, v138, vcc_lo
	v_cmpx_ngt_f64_e32 v[140:141], v[142:143]
	s_xor_b32 s3, exec_lo, s3
                                        ; implicit-def: $vgpr140_vgpr141_vgpr142_vgpr143
	s_cbranch_execz .LBB67_239
; %bb.238:
	v_div_scale_f64 v[140:141], null, v[138:139], v[138:139], v[136:137]
	v_div_scale_f64 v[146:147], vcc_lo, v[136:137], v[138:139], v[136:137]
	s_delay_alu instid0(VALU_DEP_2) | instskip(SKIP_2) | instid1(VALU_DEP_1)
	v_rcp_f64_e32 v[142:143], v[140:141]
	s_waitcnt_depctr 0xfff
	v_fma_f64 v[144:145], -v[140:141], v[142:143], 1.0
	v_fma_f64 v[142:143], v[142:143], v[144:145], v[142:143]
	s_delay_alu instid0(VALU_DEP_1) | instskip(NEXT) | instid1(VALU_DEP_1)
	v_fma_f64 v[144:145], -v[140:141], v[142:143], 1.0
	v_fma_f64 v[142:143], v[142:143], v[144:145], v[142:143]
	s_delay_alu instid0(VALU_DEP_1) | instskip(NEXT) | instid1(VALU_DEP_1)
	v_mul_f64 v[144:145], v[146:147], v[142:143]
	v_fma_f64 v[140:141], -v[140:141], v[144:145], v[146:147]
	s_delay_alu instid0(VALU_DEP_1) | instskip(NEXT) | instid1(VALU_DEP_1)
	v_div_fmas_f64 v[140:141], v[140:141], v[142:143], v[144:145]
	v_div_fixup_f64 v[140:141], v[140:141], v[138:139], v[136:137]
	s_delay_alu instid0(VALU_DEP_1) | instskip(NEXT) | instid1(VALU_DEP_1)
	v_fma_f64 v[136:137], v[136:137], v[140:141], v[138:139]
	v_div_scale_f64 v[138:139], null, v[136:137], v[136:137], 1.0
	s_delay_alu instid0(VALU_DEP_1) | instskip(SKIP_2) | instid1(VALU_DEP_1)
	v_rcp_f64_e32 v[142:143], v[138:139]
	s_waitcnt_depctr 0xfff
	v_fma_f64 v[144:145], -v[138:139], v[142:143], 1.0
	v_fma_f64 v[142:143], v[142:143], v[144:145], v[142:143]
	s_delay_alu instid0(VALU_DEP_1) | instskip(NEXT) | instid1(VALU_DEP_1)
	v_fma_f64 v[144:145], -v[138:139], v[142:143], 1.0
	v_fma_f64 v[142:143], v[142:143], v[144:145], v[142:143]
	v_div_scale_f64 v[144:145], vcc_lo, 1.0, v[136:137], 1.0
	s_delay_alu instid0(VALU_DEP_1) | instskip(NEXT) | instid1(VALU_DEP_1)
	v_mul_f64 v[146:147], v[144:145], v[142:143]
	v_fma_f64 v[138:139], -v[138:139], v[146:147], v[144:145]
	s_delay_alu instid0(VALU_DEP_1) | instskip(NEXT) | instid1(VALU_DEP_1)
	v_div_fmas_f64 v[138:139], v[138:139], v[142:143], v[146:147]
	v_div_fixup_f64 v[142:143], v[138:139], v[136:137], 1.0
                                        ; implicit-def: $vgpr136_vgpr137
	s_delay_alu instid0(VALU_DEP_1)
	v_mul_f64 v[144:145], v[140:141], v[142:143]
	v_xor_b32_e32 v143, 0x80000000, v143
.LBB67_239:
	s_and_not1_saveexec_b32 s3, s3
	s_cbranch_execz .LBB67_241
; %bb.240:
	v_div_scale_f64 v[140:141], null, v[136:137], v[136:137], v[138:139]
	v_div_scale_f64 v[146:147], vcc_lo, v[138:139], v[136:137], v[138:139]
	s_delay_alu instid0(VALU_DEP_2) | instskip(SKIP_2) | instid1(VALU_DEP_1)
	v_rcp_f64_e32 v[142:143], v[140:141]
	s_waitcnt_depctr 0xfff
	v_fma_f64 v[144:145], -v[140:141], v[142:143], 1.0
	v_fma_f64 v[142:143], v[142:143], v[144:145], v[142:143]
	s_delay_alu instid0(VALU_DEP_1) | instskip(NEXT) | instid1(VALU_DEP_1)
	v_fma_f64 v[144:145], -v[140:141], v[142:143], 1.0
	v_fma_f64 v[142:143], v[142:143], v[144:145], v[142:143]
	s_delay_alu instid0(VALU_DEP_1) | instskip(NEXT) | instid1(VALU_DEP_1)
	v_mul_f64 v[144:145], v[146:147], v[142:143]
	v_fma_f64 v[140:141], -v[140:141], v[144:145], v[146:147]
	s_delay_alu instid0(VALU_DEP_1) | instskip(NEXT) | instid1(VALU_DEP_1)
	v_div_fmas_f64 v[140:141], v[140:141], v[142:143], v[144:145]
	v_div_fixup_f64 v[140:141], v[140:141], v[136:137], v[138:139]
	s_delay_alu instid0(VALU_DEP_1) | instskip(NEXT) | instid1(VALU_DEP_1)
	v_fma_f64 v[136:137], v[138:139], v[140:141], v[136:137]
	v_div_scale_f64 v[138:139], null, v[136:137], v[136:137], 1.0
	s_delay_alu instid0(VALU_DEP_1) | instskip(SKIP_2) | instid1(VALU_DEP_1)
	v_rcp_f64_e32 v[142:143], v[138:139]
	s_waitcnt_depctr 0xfff
	v_fma_f64 v[144:145], -v[138:139], v[142:143], 1.0
	v_fma_f64 v[142:143], v[142:143], v[144:145], v[142:143]
	s_delay_alu instid0(VALU_DEP_1) | instskip(NEXT) | instid1(VALU_DEP_1)
	v_fma_f64 v[144:145], -v[138:139], v[142:143], 1.0
	v_fma_f64 v[142:143], v[142:143], v[144:145], v[142:143]
	v_div_scale_f64 v[144:145], vcc_lo, 1.0, v[136:137], 1.0
	s_delay_alu instid0(VALU_DEP_1) | instskip(NEXT) | instid1(VALU_DEP_1)
	v_mul_f64 v[146:147], v[144:145], v[142:143]
	v_fma_f64 v[138:139], -v[138:139], v[146:147], v[144:145]
	s_delay_alu instid0(VALU_DEP_1) | instskip(NEXT) | instid1(VALU_DEP_1)
	v_div_fmas_f64 v[138:139], v[138:139], v[142:143], v[146:147]
	v_div_fixup_f64 v[144:145], v[138:139], v[136:137], 1.0
	s_delay_alu instid0(VALU_DEP_1)
	v_mul_f64 v[142:143], v[140:141], -v[144:145]
.LBB67_241:
	s_or_b32 exec_lo, exec_lo, s3
	ds_store_2addr_b64 v159, v[144:145], v[142:143] offset1:1
.LBB67_242:
	s_or_b32 exec_lo, exec_lo, s4
	s_waitcnt lgkmcnt(0)
	s_barrier
	buffer_gl0_inv
	ds_load_2addr_b64 v[240:243], v159 offset1:1
	s_mov_b32 s3, exec_lo
	v_cmpx_lt_u32_e32 26, v158
	s_cbranch_execz .LBB67_244
; %bb.243:
	s_waitcnt lgkmcnt(0)
	v_mul_f64 v[136:137], v[240:241], v[30:31]
	v_mul_f64 v[30:31], v[242:243], v[30:31]
	s_delay_alu instid0(VALU_DEP_2) | instskip(SKIP_4) | instid1(VALU_DEP_1)
	v_fma_f64 v[140:141], v[242:243], v[28:29], v[136:137]
	ds_load_2addr_b64 v[136:139], v160 offset0:54 offset1:55
	v_fma_f64 v[28:29], v[240:241], v[28:29], -v[30:31]
	s_waitcnt lgkmcnt(0)
	v_mul_f64 v[30:31], v[138:139], v[140:141]
	v_fma_f64 v[30:31], v[136:137], v[28:29], -v[30:31]
	v_mul_f64 v[136:137], v[136:137], v[140:141]
	s_delay_alu instid0(VALU_DEP_2) | instskip(NEXT) | instid1(VALU_DEP_2)
	v_add_f64 v[24:25], v[24:25], -v[30:31]
	v_fma_f64 v[136:137], v[138:139], v[28:29], v[136:137]
	s_delay_alu instid0(VALU_DEP_1) | instskip(SKIP_3) | instid1(VALU_DEP_1)
	v_add_f64 v[26:27], v[26:27], -v[136:137]
	ds_load_2addr_b64 v[136:139], v160 offset0:56 offset1:57
	s_waitcnt lgkmcnt(0)
	v_mul_f64 v[30:31], v[138:139], v[140:141]
	v_fma_f64 v[30:31], v[136:137], v[28:29], -v[30:31]
	v_mul_f64 v[136:137], v[136:137], v[140:141]
	s_delay_alu instid0(VALU_DEP_2) | instskip(NEXT) | instid1(VALU_DEP_2)
	v_add_f64 v[20:21], v[20:21], -v[30:31]
	v_fma_f64 v[136:137], v[138:139], v[28:29], v[136:137]
	s_delay_alu instid0(VALU_DEP_1) | instskip(SKIP_3) | instid1(VALU_DEP_1)
	v_add_f64 v[22:23], v[22:23], -v[136:137]
	ds_load_2addr_b64 v[136:139], v160 offset0:58 offset1:59
	;; [unrolled: 10-line block ×6, first 2 shown]
	s_waitcnt lgkmcnt(0)
	v_mul_f64 v[30:31], v[138:139], v[140:141]
	v_fma_f64 v[30:31], v[136:137], v[28:29], -v[30:31]
	v_mul_f64 v[136:137], v[136:137], v[140:141]
	s_delay_alu instid0(VALU_DEP_2) | instskip(NEXT) | instid1(VALU_DEP_2)
	v_add_f64 v[0:1], v[0:1], -v[30:31]
	v_fma_f64 v[136:137], v[138:139], v[28:29], v[136:137]
	v_dual_mov_b32 v30, v140 :: v_dual_mov_b32 v31, v141
	s_delay_alu instid0(VALU_DEP_2)
	v_add_f64 v[2:3], v[2:3], -v[136:137]
.LBB67_244:
	s_or_b32 exec_lo, exec_lo, s3
	s_delay_alu instid0(SALU_CYCLE_1)
	s_mov_b32 s4, exec_lo
	s_waitcnt lgkmcnt(0)
	s_barrier
	buffer_gl0_inv
	v_cmpx_eq_u32_e32 27, v158
	s_cbranch_execz .LBB67_251
; %bb.245:
	ds_store_2addr_b64 v159, v[24:25], v[26:27] offset1:1
	ds_store_2addr_b64 v160, v[20:21], v[22:23] offset0:56 offset1:57
	ds_store_2addr_b64 v160, v[16:17], v[18:19] offset0:58 offset1:59
	;; [unrolled: 1-line block ×6, first 2 shown]
	ds_load_2addr_b64 v[136:139], v159 offset1:1
	s_waitcnt lgkmcnt(0)
	v_cmp_neq_f64_e32 vcc_lo, 0, v[136:137]
	v_cmp_neq_f64_e64 s3, 0, v[138:139]
	s_delay_alu instid0(VALU_DEP_1) | instskip(NEXT) | instid1(SALU_CYCLE_1)
	s_or_b32 s3, vcc_lo, s3
	s_and_b32 exec_lo, exec_lo, s3
	s_cbranch_execz .LBB67_251
; %bb.246:
	v_cmp_gt_f64_e32 vcc_lo, 0, v[136:137]
	v_xor_b32_e32 v140, 0x80000000, v137
	v_xor_b32_e32 v142, 0x80000000, v139
	s_mov_b32 s3, exec_lo
                                        ; implicit-def: $vgpr144_vgpr145
	s_delay_alu instid0(VALU_DEP_2) | instskip(SKIP_4) | instid1(VALU_DEP_1)
	v_cndmask_b32_e32 v141, v137, v140, vcc_lo
	v_cndmask_b32_e32 v140, v136, v136, vcc_lo
	v_cmp_gt_f64_e32 vcc_lo, 0, v[138:139]
	v_cndmask_b32_e32 v143, v139, v142, vcc_lo
	v_cndmask_b32_e32 v142, v138, v138, vcc_lo
	v_cmpx_ngt_f64_e32 v[140:141], v[142:143]
	s_xor_b32 s3, exec_lo, s3
                                        ; implicit-def: $vgpr140_vgpr141_vgpr142_vgpr143
	s_cbranch_execz .LBB67_248
; %bb.247:
	v_div_scale_f64 v[140:141], null, v[138:139], v[138:139], v[136:137]
	v_div_scale_f64 v[146:147], vcc_lo, v[136:137], v[138:139], v[136:137]
	s_delay_alu instid0(VALU_DEP_2) | instskip(SKIP_2) | instid1(VALU_DEP_1)
	v_rcp_f64_e32 v[142:143], v[140:141]
	s_waitcnt_depctr 0xfff
	v_fma_f64 v[144:145], -v[140:141], v[142:143], 1.0
	v_fma_f64 v[142:143], v[142:143], v[144:145], v[142:143]
	s_delay_alu instid0(VALU_DEP_1) | instskip(NEXT) | instid1(VALU_DEP_1)
	v_fma_f64 v[144:145], -v[140:141], v[142:143], 1.0
	v_fma_f64 v[142:143], v[142:143], v[144:145], v[142:143]
	s_delay_alu instid0(VALU_DEP_1) | instskip(NEXT) | instid1(VALU_DEP_1)
	v_mul_f64 v[144:145], v[146:147], v[142:143]
	v_fma_f64 v[140:141], -v[140:141], v[144:145], v[146:147]
	s_delay_alu instid0(VALU_DEP_1) | instskip(NEXT) | instid1(VALU_DEP_1)
	v_div_fmas_f64 v[140:141], v[140:141], v[142:143], v[144:145]
	v_div_fixup_f64 v[140:141], v[140:141], v[138:139], v[136:137]
	s_delay_alu instid0(VALU_DEP_1) | instskip(NEXT) | instid1(VALU_DEP_1)
	v_fma_f64 v[136:137], v[136:137], v[140:141], v[138:139]
	v_div_scale_f64 v[138:139], null, v[136:137], v[136:137], 1.0
	s_delay_alu instid0(VALU_DEP_1) | instskip(SKIP_2) | instid1(VALU_DEP_1)
	v_rcp_f64_e32 v[142:143], v[138:139]
	s_waitcnt_depctr 0xfff
	v_fma_f64 v[144:145], -v[138:139], v[142:143], 1.0
	v_fma_f64 v[142:143], v[142:143], v[144:145], v[142:143]
	s_delay_alu instid0(VALU_DEP_1) | instskip(NEXT) | instid1(VALU_DEP_1)
	v_fma_f64 v[144:145], -v[138:139], v[142:143], 1.0
	v_fma_f64 v[142:143], v[142:143], v[144:145], v[142:143]
	v_div_scale_f64 v[144:145], vcc_lo, 1.0, v[136:137], 1.0
	s_delay_alu instid0(VALU_DEP_1) | instskip(NEXT) | instid1(VALU_DEP_1)
	v_mul_f64 v[146:147], v[144:145], v[142:143]
	v_fma_f64 v[138:139], -v[138:139], v[146:147], v[144:145]
	s_delay_alu instid0(VALU_DEP_1) | instskip(NEXT) | instid1(VALU_DEP_1)
	v_div_fmas_f64 v[138:139], v[138:139], v[142:143], v[146:147]
	v_div_fixup_f64 v[142:143], v[138:139], v[136:137], 1.0
                                        ; implicit-def: $vgpr136_vgpr137
	s_delay_alu instid0(VALU_DEP_1)
	v_mul_f64 v[144:145], v[140:141], v[142:143]
	v_xor_b32_e32 v143, 0x80000000, v143
.LBB67_248:
	s_and_not1_saveexec_b32 s3, s3
	s_cbranch_execz .LBB67_250
; %bb.249:
	v_div_scale_f64 v[140:141], null, v[136:137], v[136:137], v[138:139]
	v_div_scale_f64 v[146:147], vcc_lo, v[138:139], v[136:137], v[138:139]
	s_delay_alu instid0(VALU_DEP_2) | instskip(SKIP_2) | instid1(VALU_DEP_1)
	v_rcp_f64_e32 v[142:143], v[140:141]
	s_waitcnt_depctr 0xfff
	v_fma_f64 v[144:145], -v[140:141], v[142:143], 1.0
	v_fma_f64 v[142:143], v[142:143], v[144:145], v[142:143]
	s_delay_alu instid0(VALU_DEP_1) | instskip(NEXT) | instid1(VALU_DEP_1)
	v_fma_f64 v[144:145], -v[140:141], v[142:143], 1.0
	v_fma_f64 v[142:143], v[142:143], v[144:145], v[142:143]
	s_delay_alu instid0(VALU_DEP_1) | instskip(NEXT) | instid1(VALU_DEP_1)
	v_mul_f64 v[144:145], v[146:147], v[142:143]
	v_fma_f64 v[140:141], -v[140:141], v[144:145], v[146:147]
	s_delay_alu instid0(VALU_DEP_1) | instskip(NEXT) | instid1(VALU_DEP_1)
	v_div_fmas_f64 v[140:141], v[140:141], v[142:143], v[144:145]
	v_div_fixup_f64 v[140:141], v[140:141], v[136:137], v[138:139]
	s_delay_alu instid0(VALU_DEP_1) | instskip(NEXT) | instid1(VALU_DEP_1)
	v_fma_f64 v[136:137], v[138:139], v[140:141], v[136:137]
	v_div_scale_f64 v[138:139], null, v[136:137], v[136:137], 1.0
	s_delay_alu instid0(VALU_DEP_1) | instskip(SKIP_2) | instid1(VALU_DEP_1)
	v_rcp_f64_e32 v[142:143], v[138:139]
	s_waitcnt_depctr 0xfff
	v_fma_f64 v[144:145], -v[138:139], v[142:143], 1.0
	v_fma_f64 v[142:143], v[142:143], v[144:145], v[142:143]
	s_delay_alu instid0(VALU_DEP_1) | instskip(NEXT) | instid1(VALU_DEP_1)
	v_fma_f64 v[144:145], -v[138:139], v[142:143], 1.0
	v_fma_f64 v[142:143], v[142:143], v[144:145], v[142:143]
	v_div_scale_f64 v[144:145], vcc_lo, 1.0, v[136:137], 1.0
	s_delay_alu instid0(VALU_DEP_1) | instskip(NEXT) | instid1(VALU_DEP_1)
	v_mul_f64 v[146:147], v[144:145], v[142:143]
	v_fma_f64 v[138:139], -v[138:139], v[146:147], v[144:145]
	s_delay_alu instid0(VALU_DEP_1) | instskip(NEXT) | instid1(VALU_DEP_1)
	v_div_fmas_f64 v[138:139], v[138:139], v[142:143], v[146:147]
	v_div_fixup_f64 v[144:145], v[138:139], v[136:137], 1.0
	s_delay_alu instid0(VALU_DEP_1)
	v_mul_f64 v[142:143], v[140:141], -v[144:145]
.LBB67_250:
	s_or_b32 exec_lo, exec_lo, s3
	ds_store_2addr_b64 v159, v[144:145], v[142:143] offset1:1
.LBB67_251:
	s_or_b32 exec_lo, exec_lo, s4
	s_waitcnt lgkmcnt(0)
	s_barrier
	buffer_gl0_inv
	ds_load_2addr_b64 v[244:247], v159 offset1:1
	s_mov_b32 s3, exec_lo
	v_cmpx_lt_u32_e32 27, v158
	s_cbranch_execz .LBB67_253
; %bb.252:
	s_waitcnt lgkmcnt(0)
	v_mul_f64 v[136:137], v[244:245], v[26:27]
	v_mul_f64 v[26:27], v[246:247], v[26:27]
	s_delay_alu instid0(VALU_DEP_2) | instskip(SKIP_4) | instid1(VALU_DEP_1)
	v_fma_f64 v[140:141], v[246:247], v[24:25], v[136:137]
	ds_load_2addr_b64 v[136:139], v160 offset0:56 offset1:57
	v_fma_f64 v[24:25], v[244:245], v[24:25], -v[26:27]
	s_waitcnt lgkmcnt(0)
	v_mul_f64 v[26:27], v[138:139], v[140:141]
	v_fma_f64 v[26:27], v[136:137], v[24:25], -v[26:27]
	v_mul_f64 v[136:137], v[136:137], v[140:141]
	s_delay_alu instid0(VALU_DEP_2) | instskip(NEXT) | instid1(VALU_DEP_2)
	v_add_f64 v[20:21], v[20:21], -v[26:27]
	v_fma_f64 v[136:137], v[138:139], v[24:25], v[136:137]
	s_delay_alu instid0(VALU_DEP_1) | instskip(SKIP_3) | instid1(VALU_DEP_1)
	v_add_f64 v[22:23], v[22:23], -v[136:137]
	ds_load_2addr_b64 v[136:139], v160 offset0:58 offset1:59
	s_waitcnt lgkmcnt(0)
	v_mul_f64 v[26:27], v[138:139], v[140:141]
	v_fma_f64 v[26:27], v[136:137], v[24:25], -v[26:27]
	v_mul_f64 v[136:137], v[136:137], v[140:141]
	s_delay_alu instid0(VALU_DEP_2) | instskip(NEXT) | instid1(VALU_DEP_2)
	v_add_f64 v[16:17], v[16:17], -v[26:27]
	v_fma_f64 v[136:137], v[138:139], v[24:25], v[136:137]
	s_delay_alu instid0(VALU_DEP_1) | instskip(SKIP_3) | instid1(VALU_DEP_1)
	v_add_f64 v[18:19], v[18:19], -v[136:137]
	ds_load_2addr_b64 v[136:139], v160 offset0:60 offset1:61
	;; [unrolled: 10-line block ×5, first 2 shown]
	s_waitcnt lgkmcnt(0)
	v_mul_f64 v[26:27], v[138:139], v[140:141]
	v_fma_f64 v[26:27], v[136:137], v[24:25], -v[26:27]
	v_mul_f64 v[136:137], v[136:137], v[140:141]
	s_delay_alu instid0(VALU_DEP_2) | instskip(NEXT) | instid1(VALU_DEP_2)
	v_add_f64 v[0:1], v[0:1], -v[26:27]
	v_fma_f64 v[136:137], v[138:139], v[24:25], v[136:137]
	v_dual_mov_b32 v26, v140 :: v_dual_mov_b32 v27, v141
	s_delay_alu instid0(VALU_DEP_2)
	v_add_f64 v[2:3], v[2:3], -v[136:137]
.LBB67_253:
	s_or_b32 exec_lo, exec_lo, s3
	s_delay_alu instid0(SALU_CYCLE_1)
	s_mov_b32 s4, exec_lo
	s_waitcnt lgkmcnt(0)
	s_barrier
	buffer_gl0_inv
	v_cmpx_eq_u32_e32 28, v158
	s_cbranch_execz .LBB67_260
; %bb.254:
	ds_store_2addr_b64 v159, v[20:21], v[22:23] offset1:1
	ds_store_2addr_b64 v160, v[16:17], v[18:19] offset0:58 offset1:59
	ds_store_2addr_b64 v160, v[12:13], v[14:15] offset0:60 offset1:61
	;; [unrolled: 1-line block ×5, first 2 shown]
	ds_load_2addr_b64 v[136:139], v159 offset1:1
	s_waitcnt lgkmcnt(0)
	v_cmp_neq_f64_e32 vcc_lo, 0, v[136:137]
	v_cmp_neq_f64_e64 s3, 0, v[138:139]
	s_delay_alu instid0(VALU_DEP_1) | instskip(NEXT) | instid1(SALU_CYCLE_1)
	s_or_b32 s3, vcc_lo, s3
	s_and_b32 exec_lo, exec_lo, s3
	s_cbranch_execz .LBB67_260
; %bb.255:
	v_cmp_gt_f64_e32 vcc_lo, 0, v[136:137]
	v_xor_b32_e32 v140, 0x80000000, v137
	v_xor_b32_e32 v142, 0x80000000, v139
	s_mov_b32 s3, exec_lo
                                        ; implicit-def: $vgpr144_vgpr145
	s_delay_alu instid0(VALU_DEP_2) | instskip(SKIP_4) | instid1(VALU_DEP_1)
	v_cndmask_b32_e32 v141, v137, v140, vcc_lo
	v_cndmask_b32_e32 v140, v136, v136, vcc_lo
	v_cmp_gt_f64_e32 vcc_lo, 0, v[138:139]
	v_cndmask_b32_e32 v143, v139, v142, vcc_lo
	v_cndmask_b32_e32 v142, v138, v138, vcc_lo
	v_cmpx_ngt_f64_e32 v[140:141], v[142:143]
	s_xor_b32 s3, exec_lo, s3
                                        ; implicit-def: $vgpr140_vgpr141_vgpr142_vgpr143
	s_cbranch_execz .LBB67_257
; %bb.256:
	v_div_scale_f64 v[140:141], null, v[138:139], v[138:139], v[136:137]
	v_div_scale_f64 v[146:147], vcc_lo, v[136:137], v[138:139], v[136:137]
	s_delay_alu instid0(VALU_DEP_2) | instskip(SKIP_2) | instid1(VALU_DEP_1)
	v_rcp_f64_e32 v[142:143], v[140:141]
	s_waitcnt_depctr 0xfff
	v_fma_f64 v[144:145], -v[140:141], v[142:143], 1.0
	v_fma_f64 v[142:143], v[142:143], v[144:145], v[142:143]
	s_delay_alu instid0(VALU_DEP_1) | instskip(NEXT) | instid1(VALU_DEP_1)
	v_fma_f64 v[144:145], -v[140:141], v[142:143], 1.0
	v_fma_f64 v[142:143], v[142:143], v[144:145], v[142:143]
	s_delay_alu instid0(VALU_DEP_1) | instskip(NEXT) | instid1(VALU_DEP_1)
	v_mul_f64 v[144:145], v[146:147], v[142:143]
	v_fma_f64 v[140:141], -v[140:141], v[144:145], v[146:147]
	s_delay_alu instid0(VALU_DEP_1) | instskip(NEXT) | instid1(VALU_DEP_1)
	v_div_fmas_f64 v[140:141], v[140:141], v[142:143], v[144:145]
	v_div_fixup_f64 v[140:141], v[140:141], v[138:139], v[136:137]
	s_delay_alu instid0(VALU_DEP_1) | instskip(NEXT) | instid1(VALU_DEP_1)
	v_fma_f64 v[136:137], v[136:137], v[140:141], v[138:139]
	v_div_scale_f64 v[138:139], null, v[136:137], v[136:137], 1.0
	s_delay_alu instid0(VALU_DEP_1) | instskip(SKIP_2) | instid1(VALU_DEP_1)
	v_rcp_f64_e32 v[142:143], v[138:139]
	s_waitcnt_depctr 0xfff
	v_fma_f64 v[144:145], -v[138:139], v[142:143], 1.0
	v_fma_f64 v[142:143], v[142:143], v[144:145], v[142:143]
	s_delay_alu instid0(VALU_DEP_1) | instskip(NEXT) | instid1(VALU_DEP_1)
	v_fma_f64 v[144:145], -v[138:139], v[142:143], 1.0
	v_fma_f64 v[142:143], v[142:143], v[144:145], v[142:143]
	v_div_scale_f64 v[144:145], vcc_lo, 1.0, v[136:137], 1.0
	s_delay_alu instid0(VALU_DEP_1) | instskip(NEXT) | instid1(VALU_DEP_1)
	v_mul_f64 v[146:147], v[144:145], v[142:143]
	v_fma_f64 v[138:139], -v[138:139], v[146:147], v[144:145]
	s_delay_alu instid0(VALU_DEP_1) | instskip(NEXT) | instid1(VALU_DEP_1)
	v_div_fmas_f64 v[138:139], v[138:139], v[142:143], v[146:147]
	v_div_fixup_f64 v[142:143], v[138:139], v[136:137], 1.0
                                        ; implicit-def: $vgpr136_vgpr137
	s_delay_alu instid0(VALU_DEP_1)
	v_mul_f64 v[144:145], v[140:141], v[142:143]
	v_xor_b32_e32 v143, 0x80000000, v143
.LBB67_257:
	s_and_not1_saveexec_b32 s3, s3
	s_cbranch_execz .LBB67_259
; %bb.258:
	v_div_scale_f64 v[140:141], null, v[136:137], v[136:137], v[138:139]
	v_div_scale_f64 v[146:147], vcc_lo, v[138:139], v[136:137], v[138:139]
	s_delay_alu instid0(VALU_DEP_2) | instskip(SKIP_2) | instid1(VALU_DEP_1)
	v_rcp_f64_e32 v[142:143], v[140:141]
	s_waitcnt_depctr 0xfff
	v_fma_f64 v[144:145], -v[140:141], v[142:143], 1.0
	v_fma_f64 v[142:143], v[142:143], v[144:145], v[142:143]
	s_delay_alu instid0(VALU_DEP_1) | instskip(NEXT) | instid1(VALU_DEP_1)
	v_fma_f64 v[144:145], -v[140:141], v[142:143], 1.0
	v_fma_f64 v[142:143], v[142:143], v[144:145], v[142:143]
	s_delay_alu instid0(VALU_DEP_1) | instskip(NEXT) | instid1(VALU_DEP_1)
	v_mul_f64 v[144:145], v[146:147], v[142:143]
	v_fma_f64 v[140:141], -v[140:141], v[144:145], v[146:147]
	s_delay_alu instid0(VALU_DEP_1) | instskip(NEXT) | instid1(VALU_DEP_1)
	v_div_fmas_f64 v[140:141], v[140:141], v[142:143], v[144:145]
	v_div_fixup_f64 v[140:141], v[140:141], v[136:137], v[138:139]
	s_delay_alu instid0(VALU_DEP_1) | instskip(NEXT) | instid1(VALU_DEP_1)
	v_fma_f64 v[136:137], v[138:139], v[140:141], v[136:137]
	v_div_scale_f64 v[138:139], null, v[136:137], v[136:137], 1.0
	s_delay_alu instid0(VALU_DEP_1) | instskip(SKIP_2) | instid1(VALU_DEP_1)
	v_rcp_f64_e32 v[142:143], v[138:139]
	s_waitcnt_depctr 0xfff
	v_fma_f64 v[144:145], -v[138:139], v[142:143], 1.0
	v_fma_f64 v[142:143], v[142:143], v[144:145], v[142:143]
	s_delay_alu instid0(VALU_DEP_1) | instskip(NEXT) | instid1(VALU_DEP_1)
	v_fma_f64 v[144:145], -v[138:139], v[142:143], 1.0
	v_fma_f64 v[142:143], v[142:143], v[144:145], v[142:143]
	v_div_scale_f64 v[144:145], vcc_lo, 1.0, v[136:137], 1.0
	s_delay_alu instid0(VALU_DEP_1) | instskip(NEXT) | instid1(VALU_DEP_1)
	v_mul_f64 v[146:147], v[144:145], v[142:143]
	v_fma_f64 v[138:139], -v[138:139], v[146:147], v[144:145]
	s_delay_alu instid0(VALU_DEP_1) | instskip(NEXT) | instid1(VALU_DEP_1)
	v_div_fmas_f64 v[138:139], v[138:139], v[142:143], v[146:147]
	v_div_fixup_f64 v[144:145], v[138:139], v[136:137], 1.0
	s_delay_alu instid0(VALU_DEP_1)
	v_mul_f64 v[142:143], v[140:141], -v[144:145]
.LBB67_259:
	s_or_b32 exec_lo, exec_lo, s3
	ds_store_2addr_b64 v159, v[144:145], v[142:143] offset1:1
.LBB67_260:
	s_or_b32 exec_lo, exec_lo, s4
	s_waitcnt lgkmcnt(0)
	s_barrier
	buffer_gl0_inv
	ds_load_2addr_b64 v[248:251], v159 offset1:1
	s_mov_b32 s3, exec_lo
	v_cmpx_lt_u32_e32 28, v158
	s_cbranch_execz .LBB67_262
; %bb.261:
	s_waitcnt lgkmcnt(0)
	v_mul_f64 v[136:137], v[248:249], v[22:23]
	v_mul_f64 v[22:23], v[250:251], v[22:23]
	s_delay_alu instid0(VALU_DEP_2) | instskip(SKIP_4) | instid1(VALU_DEP_1)
	v_fma_f64 v[140:141], v[250:251], v[20:21], v[136:137]
	ds_load_2addr_b64 v[136:139], v160 offset0:58 offset1:59
	v_fma_f64 v[20:21], v[248:249], v[20:21], -v[22:23]
	s_waitcnt lgkmcnt(0)
	v_mul_f64 v[22:23], v[138:139], v[140:141]
	v_fma_f64 v[22:23], v[136:137], v[20:21], -v[22:23]
	v_mul_f64 v[136:137], v[136:137], v[140:141]
	s_delay_alu instid0(VALU_DEP_2) | instskip(NEXT) | instid1(VALU_DEP_2)
	v_add_f64 v[16:17], v[16:17], -v[22:23]
	v_fma_f64 v[136:137], v[138:139], v[20:21], v[136:137]
	s_delay_alu instid0(VALU_DEP_1) | instskip(SKIP_3) | instid1(VALU_DEP_1)
	v_add_f64 v[18:19], v[18:19], -v[136:137]
	ds_load_2addr_b64 v[136:139], v160 offset0:60 offset1:61
	s_waitcnt lgkmcnt(0)
	v_mul_f64 v[22:23], v[138:139], v[140:141]
	v_fma_f64 v[22:23], v[136:137], v[20:21], -v[22:23]
	v_mul_f64 v[136:137], v[136:137], v[140:141]
	s_delay_alu instid0(VALU_DEP_2) | instskip(NEXT) | instid1(VALU_DEP_2)
	v_add_f64 v[12:13], v[12:13], -v[22:23]
	v_fma_f64 v[136:137], v[138:139], v[20:21], v[136:137]
	s_delay_alu instid0(VALU_DEP_1) | instskip(SKIP_3) | instid1(VALU_DEP_1)
	v_add_f64 v[14:15], v[14:15], -v[136:137]
	ds_load_2addr_b64 v[136:139], v160 offset0:62 offset1:63
	;; [unrolled: 10-line block ×4, first 2 shown]
	s_waitcnt lgkmcnt(0)
	v_mul_f64 v[22:23], v[138:139], v[140:141]
	v_fma_f64 v[22:23], v[136:137], v[20:21], -v[22:23]
	v_mul_f64 v[136:137], v[136:137], v[140:141]
	s_delay_alu instid0(VALU_DEP_2) | instskip(NEXT) | instid1(VALU_DEP_2)
	v_add_f64 v[0:1], v[0:1], -v[22:23]
	v_fma_f64 v[136:137], v[138:139], v[20:21], v[136:137]
	v_dual_mov_b32 v22, v140 :: v_dual_mov_b32 v23, v141
	s_delay_alu instid0(VALU_DEP_2)
	v_add_f64 v[2:3], v[2:3], -v[136:137]
.LBB67_262:
	s_or_b32 exec_lo, exec_lo, s3
	s_delay_alu instid0(SALU_CYCLE_1)
	s_mov_b32 s4, exec_lo
	s_waitcnt lgkmcnt(0)
	s_barrier
	buffer_gl0_inv
	v_cmpx_eq_u32_e32 29, v158
	s_cbranch_execz .LBB67_269
; %bb.263:
	ds_store_2addr_b64 v159, v[16:17], v[18:19] offset1:1
	ds_store_2addr_b64 v160, v[12:13], v[14:15] offset0:60 offset1:61
	ds_store_2addr_b64 v160, v[8:9], v[10:11] offset0:62 offset1:63
	;; [unrolled: 1-line block ×4, first 2 shown]
	ds_load_2addr_b64 v[136:139], v159 offset1:1
	s_waitcnt lgkmcnt(0)
	v_cmp_neq_f64_e32 vcc_lo, 0, v[136:137]
	v_cmp_neq_f64_e64 s3, 0, v[138:139]
	s_delay_alu instid0(VALU_DEP_1) | instskip(NEXT) | instid1(SALU_CYCLE_1)
	s_or_b32 s3, vcc_lo, s3
	s_and_b32 exec_lo, exec_lo, s3
	s_cbranch_execz .LBB67_269
; %bb.264:
	v_cmp_gt_f64_e32 vcc_lo, 0, v[136:137]
	v_xor_b32_e32 v140, 0x80000000, v137
	v_xor_b32_e32 v142, 0x80000000, v139
	s_mov_b32 s3, exec_lo
                                        ; implicit-def: $vgpr144_vgpr145
	s_delay_alu instid0(VALU_DEP_2) | instskip(SKIP_4) | instid1(VALU_DEP_1)
	v_cndmask_b32_e32 v141, v137, v140, vcc_lo
	v_cndmask_b32_e32 v140, v136, v136, vcc_lo
	v_cmp_gt_f64_e32 vcc_lo, 0, v[138:139]
	v_cndmask_b32_e32 v143, v139, v142, vcc_lo
	v_cndmask_b32_e32 v142, v138, v138, vcc_lo
	v_cmpx_ngt_f64_e32 v[140:141], v[142:143]
	s_xor_b32 s3, exec_lo, s3
                                        ; implicit-def: $vgpr140_vgpr141_vgpr142_vgpr143
	s_cbranch_execz .LBB67_266
; %bb.265:
	v_div_scale_f64 v[140:141], null, v[138:139], v[138:139], v[136:137]
	v_div_scale_f64 v[146:147], vcc_lo, v[136:137], v[138:139], v[136:137]
	s_delay_alu instid0(VALU_DEP_2) | instskip(SKIP_2) | instid1(VALU_DEP_1)
	v_rcp_f64_e32 v[142:143], v[140:141]
	s_waitcnt_depctr 0xfff
	v_fma_f64 v[144:145], -v[140:141], v[142:143], 1.0
	v_fma_f64 v[142:143], v[142:143], v[144:145], v[142:143]
	s_delay_alu instid0(VALU_DEP_1) | instskip(NEXT) | instid1(VALU_DEP_1)
	v_fma_f64 v[144:145], -v[140:141], v[142:143], 1.0
	v_fma_f64 v[142:143], v[142:143], v[144:145], v[142:143]
	s_delay_alu instid0(VALU_DEP_1) | instskip(NEXT) | instid1(VALU_DEP_1)
	v_mul_f64 v[144:145], v[146:147], v[142:143]
	v_fma_f64 v[140:141], -v[140:141], v[144:145], v[146:147]
	s_delay_alu instid0(VALU_DEP_1) | instskip(NEXT) | instid1(VALU_DEP_1)
	v_div_fmas_f64 v[140:141], v[140:141], v[142:143], v[144:145]
	v_div_fixup_f64 v[140:141], v[140:141], v[138:139], v[136:137]
	s_delay_alu instid0(VALU_DEP_1) | instskip(NEXT) | instid1(VALU_DEP_1)
	v_fma_f64 v[136:137], v[136:137], v[140:141], v[138:139]
	v_div_scale_f64 v[138:139], null, v[136:137], v[136:137], 1.0
	s_delay_alu instid0(VALU_DEP_1) | instskip(SKIP_2) | instid1(VALU_DEP_1)
	v_rcp_f64_e32 v[142:143], v[138:139]
	s_waitcnt_depctr 0xfff
	v_fma_f64 v[144:145], -v[138:139], v[142:143], 1.0
	v_fma_f64 v[142:143], v[142:143], v[144:145], v[142:143]
	s_delay_alu instid0(VALU_DEP_1) | instskip(NEXT) | instid1(VALU_DEP_1)
	v_fma_f64 v[144:145], -v[138:139], v[142:143], 1.0
	v_fma_f64 v[142:143], v[142:143], v[144:145], v[142:143]
	v_div_scale_f64 v[144:145], vcc_lo, 1.0, v[136:137], 1.0
	s_delay_alu instid0(VALU_DEP_1) | instskip(NEXT) | instid1(VALU_DEP_1)
	v_mul_f64 v[146:147], v[144:145], v[142:143]
	v_fma_f64 v[138:139], -v[138:139], v[146:147], v[144:145]
	s_delay_alu instid0(VALU_DEP_1) | instskip(NEXT) | instid1(VALU_DEP_1)
	v_div_fmas_f64 v[138:139], v[138:139], v[142:143], v[146:147]
	v_div_fixup_f64 v[142:143], v[138:139], v[136:137], 1.0
                                        ; implicit-def: $vgpr136_vgpr137
	s_delay_alu instid0(VALU_DEP_1)
	v_mul_f64 v[144:145], v[140:141], v[142:143]
	v_xor_b32_e32 v143, 0x80000000, v143
.LBB67_266:
	s_and_not1_saveexec_b32 s3, s3
	s_cbranch_execz .LBB67_268
; %bb.267:
	v_div_scale_f64 v[140:141], null, v[136:137], v[136:137], v[138:139]
	v_div_scale_f64 v[146:147], vcc_lo, v[138:139], v[136:137], v[138:139]
	s_delay_alu instid0(VALU_DEP_2) | instskip(SKIP_2) | instid1(VALU_DEP_1)
	v_rcp_f64_e32 v[142:143], v[140:141]
	s_waitcnt_depctr 0xfff
	v_fma_f64 v[144:145], -v[140:141], v[142:143], 1.0
	v_fma_f64 v[142:143], v[142:143], v[144:145], v[142:143]
	s_delay_alu instid0(VALU_DEP_1) | instskip(NEXT) | instid1(VALU_DEP_1)
	v_fma_f64 v[144:145], -v[140:141], v[142:143], 1.0
	v_fma_f64 v[142:143], v[142:143], v[144:145], v[142:143]
	s_delay_alu instid0(VALU_DEP_1) | instskip(NEXT) | instid1(VALU_DEP_1)
	v_mul_f64 v[144:145], v[146:147], v[142:143]
	v_fma_f64 v[140:141], -v[140:141], v[144:145], v[146:147]
	s_delay_alu instid0(VALU_DEP_1) | instskip(NEXT) | instid1(VALU_DEP_1)
	v_div_fmas_f64 v[140:141], v[140:141], v[142:143], v[144:145]
	v_div_fixup_f64 v[140:141], v[140:141], v[136:137], v[138:139]
	s_delay_alu instid0(VALU_DEP_1) | instskip(NEXT) | instid1(VALU_DEP_1)
	v_fma_f64 v[136:137], v[138:139], v[140:141], v[136:137]
	v_div_scale_f64 v[138:139], null, v[136:137], v[136:137], 1.0
	s_delay_alu instid0(VALU_DEP_1) | instskip(SKIP_2) | instid1(VALU_DEP_1)
	v_rcp_f64_e32 v[142:143], v[138:139]
	s_waitcnt_depctr 0xfff
	v_fma_f64 v[144:145], -v[138:139], v[142:143], 1.0
	v_fma_f64 v[142:143], v[142:143], v[144:145], v[142:143]
	s_delay_alu instid0(VALU_DEP_1) | instskip(NEXT) | instid1(VALU_DEP_1)
	v_fma_f64 v[144:145], -v[138:139], v[142:143], 1.0
	v_fma_f64 v[142:143], v[142:143], v[144:145], v[142:143]
	v_div_scale_f64 v[144:145], vcc_lo, 1.0, v[136:137], 1.0
	s_delay_alu instid0(VALU_DEP_1) | instskip(NEXT) | instid1(VALU_DEP_1)
	v_mul_f64 v[146:147], v[144:145], v[142:143]
	v_fma_f64 v[138:139], -v[138:139], v[146:147], v[144:145]
	s_delay_alu instid0(VALU_DEP_1) | instskip(NEXT) | instid1(VALU_DEP_1)
	v_div_fmas_f64 v[138:139], v[138:139], v[142:143], v[146:147]
	v_div_fixup_f64 v[144:145], v[138:139], v[136:137], 1.0
	s_delay_alu instid0(VALU_DEP_1)
	v_mul_f64 v[142:143], v[140:141], -v[144:145]
.LBB67_268:
	s_or_b32 exec_lo, exec_lo, s3
	ds_store_2addr_b64 v159, v[144:145], v[142:143] offset1:1
.LBB67_269:
	s_or_b32 exec_lo, exec_lo, s4
	s_waitcnt lgkmcnt(0)
	s_barrier
	buffer_gl0_inv
	ds_load_2addr_b64 v[252:255], v159 offset1:1
	s_mov_b32 s3, exec_lo
	v_cmpx_lt_u32_e32 29, v158
	s_cbranch_execz .LBB67_271
; %bb.270:
	s_waitcnt lgkmcnt(0)
	v_mul_f64 v[136:137], v[252:253], v[18:19]
	v_mul_f64 v[18:19], v[254:255], v[18:19]
	s_delay_alu instid0(VALU_DEP_2) | instskip(SKIP_4) | instid1(VALU_DEP_1)
	v_fma_f64 v[140:141], v[254:255], v[16:17], v[136:137]
	ds_load_2addr_b64 v[136:139], v160 offset0:60 offset1:61
	v_fma_f64 v[16:17], v[252:253], v[16:17], -v[18:19]
	s_waitcnt lgkmcnt(0)
	v_mul_f64 v[18:19], v[138:139], v[140:141]
	v_fma_f64 v[18:19], v[136:137], v[16:17], -v[18:19]
	v_mul_f64 v[136:137], v[136:137], v[140:141]
	s_delay_alu instid0(VALU_DEP_2) | instskip(NEXT) | instid1(VALU_DEP_2)
	v_add_f64 v[12:13], v[12:13], -v[18:19]
	v_fma_f64 v[136:137], v[138:139], v[16:17], v[136:137]
	s_delay_alu instid0(VALU_DEP_1) | instskip(SKIP_3) | instid1(VALU_DEP_1)
	v_add_f64 v[14:15], v[14:15], -v[136:137]
	ds_load_2addr_b64 v[136:139], v160 offset0:62 offset1:63
	s_waitcnt lgkmcnt(0)
	v_mul_f64 v[18:19], v[138:139], v[140:141]
	v_fma_f64 v[18:19], v[136:137], v[16:17], -v[18:19]
	v_mul_f64 v[136:137], v[136:137], v[140:141]
	s_delay_alu instid0(VALU_DEP_2) | instskip(NEXT) | instid1(VALU_DEP_2)
	v_add_f64 v[8:9], v[8:9], -v[18:19]
	v_fma_f64 v[136:137], v[138:139], v[16:17], v[136:137]
	s_delay_alu instid0(VALU_DEP_1) | instskip(SKIP_3) | instid1(VALU_DEP_1)
	v_add_f64 v[10:11], v[10:11], -v[136:137]
	ds_load_2addr_b64 v[136:139], v160 offset0:64 offset1:65
	;; [unrolled: 10-line block ×3, first 2 shown]
	s_waitcnt lgkmcnt(0)
	v_mul_f64 v[18:19], v[138:139], v[140:141]
	v_fma_f64 v[18:19], v[136:137], v[16:17], -v[18:19]
	v_mul_f64 v[136:137], v[136:137], v[140:141]
	s_delay_alu instid0(VALU_DEP_2) | instskip(NEXT) | instid1(VALU_DEP_2)
	v_add_f64 v[0:1], v[0:1], -v[18:19]
	v_fma_f64 v[136:137], v[138:139], v[16:17], v[136:137]
	v_dual_mov_b32 v18, v140 :: v_dual_mov_b32 v19, v141
	s_delay_alu instid0(VALU_DEP_2)
	v_add_f64 v[2:3], v[2:3], -v[136:137]
.LBB67_271:
	s_or_b32 exec_lo, exec_lo, s3
	s_delay_alu instid0(SALU_CYCLE_1)
	s_mov_b32 s4, exec_lo
	s_waitcnt lgkmcnt(0)
	s_barrier
	buffer_gl0_inv
	v_cmpx_eq_u32_e32 30, v158
	s_cbranch_execz .LBB67_278
; %bb.272:
	ds_store_2addr_b64 v159, v[12:13], v[14:15] offset1:1
	ds_store_2addr_b64 v160, v[8:9], v[10:11] offset0:62 offset1:63
	ds_store_2addr_b64 v160, v[4:5], v[6:7] offset0:64 offset1:65
	;; [unrolled: 1-line block ×3, first 2 shown]
	ds_load_2addr_b64 v[136:139], v159 offset1:1
	s_waitcnt lgkmcnt(0)
	v_cmp_neq_f64_e32 vcc_lo, 0, v[136:137]
	v_cmp_neq_f64_e64 s3, 0, v[138:139]
	s_delay_alu instid0(VALU_DEP_1) | instskip(NEXT) | instid1(SALU_CYCLE_1)
	s_or_b32 s3, vcc_lo, s3
	s_and_b32 exec_lo, exec_lo, s3
	s_cbranch_execz .LBB67_278
; %bb.273:
	v_cmp_gt_f64_e32 vcc_lo, 0, v[136:137]
	v_xor_b32_e32 v140, 0x80000000, v137
	v_xor_b32_e32 v142, 0x80000000, v139
	s_mov_b32 s3, exec_lo
                                        ; implicit-def: $vgpr144_vgpr145
	s_delay_alu instid0(VALU_DEP_2) | instskip(SKIP_4) | instid1(VALU_DEP_1)
	v_cndmask_b32_e32 v141, v137, v140, vcc_lo
	v_cndmask_b32_e32 v140, v136, v136, vcc_lo
	v_cmp_gt_f64_e32 vcc_lo, 0, v[138:139]
	v_cndmask_b32_e32 v143, v139, v142, vcc_lo
	v_cndmask_b32_e32 v142, v138, v138, vcc_lo
	v_cmpx_ngt_f64_e32 v[140:141], v[142:143]
	s_xor_b32 s3, exec_lo, s3
                                        ; implicit-def: $vgpr140_vgpr141_vgpr142_vgpr143
	s_cbranch_execz .LBB67_275
; %bb.274:
	v_div_scale_f64 v[140:141], null, v[138:139], v[138:139], v[136:137]
	v_div_scale_f64 v[146:147], vcc_lo, v[136:137], v[138:139], v[136:137]
	s_delay_alu instid0(VALU_DEP_2) | instskip(SKIP_2) | instid1(VALU_DEP_1)
	v_rcp_f64_e32 v[142:143], v[140:141]
	s_waitcnt_depctr 0xfff
	v_fma_f64 v[144:145], -v[140:141], v[142:143], 1.0
	v_fma_f64 v[142:143], v[142:143], v[144:145], v[142:143]
	s_delay_alu instid0(VALU_DEP_1) | instskip(NEXT) | instid1(VALU_DEP_1)
	v_fma_f64 v[144:145], -v[140:141], v[142:143], 1.0
	v_fma_f64 v[142:143], v[142:143], v[144:145], v[142:143]
	s_delay_alu instid0(VALU_DEP_1) | instskip(NEXT) | instid1(VALU_DEP_1)
	v_mul_f64 v[144:145], v[146:147], v[142:143]
	v_fma_f64 v[140:141], -v[140:141], v[144:145], v[146:147]
	s_delay_alu instid0(VALU_DEP_1) | instskip(NEXT) | instid1(VALU_DEP_1)
	v_div_fmas_f64 v[140:141], v[140:141], v[142:143], v[144:145]
	v_div_fixup_f64 v[140:141], v[140:141], v[138:139], v[136:137]
	s_delay_alu instid0(VALU_DEP_1) | instskip(NEXT) | instid1(VALU_DEP_1)
	v_fma_f64 v[136:137], v[136:137], v[140:141], v[138:139]
	v_div_scale_f64 v[138:139], null, v[136:137], v[136:137], 1.0
	s_delay_alu instid0(VALU_DEP_1) | instskip(SKIP_2) | instid1(VALU_DEP_1)
	v_rcp_f64_e32 v[142:143], v[138:139]
	s_waitcnt_depctr 0xfff
	v_fma_f64 v[144:145], -v[138:139], v[142:143], 1.0
	v_fma_f64 v[142:143], v[142:143], v[144:145], v[142:143]
	s_delay_alu instid0(VALU_DEP_1) | instskip(NEXT) | instid1(VALU_DEP_1)
	v_fma_f64 v[144:145], -v[138:139], v[142:143], 1.0
	v_fma_f64 v[142:143], v[142:143], v[144:145], v[142:143]
	v_div_scale_f64 v[144:145], vcc_lo, 1.0, v[136:137], 1.0
	s_delay_alu instid0(VALU_DEP_1) | instskip(NEXT) | instid1(VALU_DEP_1)
	v_mul_f64 v[146:147], v[144:145], v[142:143]
	v_fma_f64 v[138:139], -v[138:139], v[146:147], v[144:145]
	s_delay_alu instid0(VALU_DEP_1) | instskip(NEXT) | instid1(VALU_DEP_1)
	v_div_fmas_f64 v[138:139], v[138:139], v[142:143], v[146:147]
	v_div_fixup_f64 v[142:143], v[138:139], v[136:137], 1.0
                                        ; implicit-def: $vgpr136_vgpr137
	s_delay_alu instid0(VALU_DEP_1)
	v_mul_f64 v[144:145], v[140:141], v[142:143]
	v_xor_b32_e32 v143, 0x80000000, v143
.LBB67_275:
	s_and_not1_saveexec_b32 s3, s3
	s_cbranch_execz .LBB67_277
; %bb.276:
	v_div_scale_f64 v[140:141], null, v[136:137], v[136:137], v[138:139]
	v_div_scale_f64 v[146:147], vcc_lo, v[138:139], v[136:137], v[138:139]
	s_delay_alu instid0(VALU_DEP_2) | instskip(SKIP_2) | instid1(VALU_DEP_1)
	v_rcp_f64_e32 v[142:143], v[140:141]
	s_waitcnt_depctr 0xfff
	v_fma_f64 v[144:145], -v[140:141], v[142:143], 1.0
	v_fma_f64 v[142:143], v[142:143], v[144:145], v[142:143]
	s_delay_alu instid0(VALU_DEP_1) | instskip(NEXT) | instid1(VALU_DEP_1)
	v_fma_f64 v[144:145], -v[140:141], v[142:143], 1.0
	v_fma_f64 v[142:143], v[142:143], v[144:145], v[142:143]
	s_delay_alu instid0(VALU_DEP_1) | instskip(NEXT) | instid1(VALU_DEP_1)
	v_mul_f64 v[144:145], v[146:147], v[142:143]
	v_fma_f64 v[140:141], -v[140:141], v[144:145], v[146:147]
	s_delay_alu instid0(VALU_DEP_1) | instskip(NEXT) | instid1(VALU_DEP_1)
	v_div_fmas_f64 v[140:141], v[140:141], v[142:143], v[144:145]
	v_div_fixup_f64 v[140:141], v[140:141], v[136:137], v[138:139]
	s_delay_alu instid0(VALU_DEP_1) | instskip(NEXT) | instid1(VALU_DEP_1)
	v_fma_f64 v[136:137], v[138:139], v[140:141], v[136:137]
	v_div_scale_f64 v[138:139], null, v[136:137], v[136:137], 1.0
	s_delay_alu instid0(VALU_DEP_1) | instskip(SKIP_2) | instid1(VALU_DEP_1)
	v_rcp_f64_e32 v[142:143], v[138:139]
	s_waitcnt_depctr 0xfff
	v_fma_f64 v[144:145], -v[138:139], v[142:143], 1.0
	v_fma_f64 v[142:143], v[142:143], v[144:145], v[142:143]
	s_delay_alu instid0(VALU_DEP_1) | instskip(NEXT) | instid1(VALU_DEP_1)
	v_fma_f64 v[144:145], -v[138:139], v[142:143], 1.0
	v_fma_f64 v[142:143], v[142:143], v[144:145], v[142:143]
	v_div_scale_f64 v[144:145], vcc_lo, 1.0, v[136:137], 1.0
	s_delay_alu instid0(VALU_DEP_1) | instskip(NEXT) | instid1(VALU_DEP_1)
	v_mul_f64 v[146:147], v[144:145], v[142:143]
	v_fma_f64 v[138:139], -v[138:139], v[146:147], v[144:145]
	s_delay_alu instid0(VALU_DEP_1) | instskip(NEXT) | instid1(VALU_DEP_1)
	v_div_fmas_f64 v[138:139], v[138:139], v[142:143], v[146:147]
	v_div_fixup_f64 v[144:145], v[138:139], v[136:137], 1.0
	s_delay_alu instid0(VALU_DEP_1)
	v_mul_f64 v[142:143], v[140:141], -v[144:145]
.LBB67_277:
	s_or_b32 exec_lo, exec_lo, s3
	ds_store_2addr_b64 v159, v[144:145], v[142:143] offset1:1
.LBB67_278:
	s_or_b32 exec_lo, exec_lo, s4
	s_waitcnt lgkmcnt(0)
	s_barrier
	buffer_gl0_inv
	ds_load_2addr_b64 v[136:139], v159 offset1:1
	s_mov_b32 s3, exec_lo
	v_cmpx_lt_u32_e32 30, v158
	s_cbranch_execz .LBB67_280
; %bb.279:
	s_waitcnt lgkmcnt(0)
	v_mul_f64 v[140:141], v[136:137], v[14:15]
	v_mul_f64 v[14:15], v[138:139], v[14:15]
	s_delay_alu instid0(VALU_DEP_2) | instskip(SKIP_4) | instid1(VALU_DEP_1)
	v_fma_f64 v[144:145], v[138:139], v[12:13], v[140:141]
	ds_load_2addr_b64 v[140:143], v160 offset0:62 offset1:63
	v_fma_f64 v[12:13], v[136:137], v[12:13], -v[14:15]
	s_waitcnt lgkmcnt(0)
	v_mul_f64 v[14:15], v[142:143], v[144:145]
	v_fma_f64 v[14:15], v[140:141], v[12:13], -v[14:15]
	v_mul_f64 v[140:141], v[140:141], v[144:145]
	s_delay_alu instid0(VALU_DEP_2) | instskip(NEXT) | instid1(VALU_DEP_2)
	v_add_f64 v[8:9], v[8:9], -v[14:15]
	v_fma_f64 v[140:141], v[142:143], v[12:13], v[140:141]
	s_delay_alu instid0(VALU_DEP_1) | instskip(SKIP_3) | instid1(VALU_DEP_1)
	v_add_f64 v[10:11], v[10:11], -v[140:141]
	ds_load_2addr_b64 v[140:143], v160 offset0:64 offset1:65
	s_waitcnt lgkmcnt(0)
	v_mul_f64 v[14:15], v[142:143], v[144:145]
	v_fma_f64 v[14:15], v[140:141], v[12:13], -v[14:15]
	v_mul_f64 v[140:141], v[140:141], v[144:145]
	s_delay_alu instid0(VALU_DEP_2) | instskip(NEXT) | instid1(VALU_DEP_2)
	v_add_f64 v[4:5], v[4:5], -v[14:15]
	v_fma_f64 v[140:141], v[142:143], v[12:13], v[140:141]
	s_delay_alu instid0(VALU_DEP_1) | instskip(SKIP_3) | instid1(VALU_DEP_1)
	v_add_f64 v[6:7], v[6:7], -v[140:141]
	ds_load_2addr_b64 v[140:143], v160 offset0:66 offset1:67
	s_waitcnt lgkmcnt(0)
	v_mul_f64 v[14:15], v[142:143], v[144:145]
	v_fma_f64 v[14:15], v[140:141], v[12:13], -v[14:15]
	v_mul_f64 v[140:141], v[140:141], v[144:145]
	s_delay_alu instid0(VALU_DEP_2) | instskip(NEXT) | instid1(VALU_DEP_2)
	v_add_f64 v[0:1], v[0:1], -v[14:15]
	v_fma_f64 v[140:141], v[142:143], v[12:13], v[140:141]
	v_dual_mov_b32 v14, v144 :: v_dual_mov_b32 v15, v145
	s_delay_alu instid0(VALU_DEP_2)
	v_add_f64 v[2:3], v[2:3], -v[140:141]
.LBB67_280:
	s_or_b32 exec_lo, exec_lo, s3
	s_delay_alu instid0(SALU_CYCLE_1)
	s_mov_b32 s4, exec_lo
	s_waitcnt lgkmcnt(0)
	s_barrier
	buffer_gl0_inv
	v_cmpx_eq_u32_e32 31, v158
	s_cbranch_execz .LBB67_287
; %bb.281:
	ds_store_2addr_b64 v159, v[8:9], v[10:11] offset1:1
	ds_store_2addr_b64 v160, v[4:5], v[6:7] offset0:64 offset1:65
	ds_store_2addr_b64 v160, v[0:1], v[2:3] offset0:66 offset1:67
	ds_load_2addr_b64 v[140:143], v159 offset1:1
	s_waitcnt lgkmcnt(0)
	v_cmp_neq_f64_e32 vcc_lo, 0, v[140:141]
	v_cmp_neq_f64_e64 s3, 0, v[142:143]
	s_delay_alu instid0(VALU_DEP_1) | instskip(NEXT) | instid1(SALU_CYCLE_1)
	s_or_b32 s3, vcc_lo, s3
	s_and_b32 exec_lo, exec_lo, s3
	s_cbranch_execz .LBB67_287
; %bb.282:
	v_cmp_gt_f64_e32 vcc_lo, 0, v[140:141]
	v_xor_b32_e32 v144, 0x80000000, v141
	v_xor_b32_e32 v146, 0x80000000, v143
	s_mov_b32 s3, exec_lo
                                        ; implicit-def: $vgpr148_vgpr149
	s_delay_alu instid0(VALU_DEP_2) | instskip(SKIP_4) | instid1(VALU_DEP_1)
	v_cndmask_b32_e32 v145, v141, v144, vcc_lo
	v_cndmask_b32_e32 v144, v140, v140, vcc_lo
	v_cmp_gt_f64_e32 vcc_lo, 0, v[142:143]
	v_cndmask_b32_e32 v147, v143, v146, vcc_lo
	v_cndmask_b32_e32 v146, v142, v142, vcc_lo
	v_cmpx_ngt_f64_e32 v[144:145], v[146:147]
	s_xor_b32 s3, exec_lo, s3
                                        ; implicit-def: $vgpr144_vgpr145_vgpr146_vgpr147
	s_cbranch_execz .LBB67_284
; %bb.283:
	v_div_scale_f64 v[144:145], null, v[142:143], v[142:143], v[140:141]
	v_div_scale_f64 v[150:151], vcc_lo, v[140:141], v[142:143], v[140:141]
	s_delay_alu instid0(VALU_DEP_2) | instskip(SKIP_2) | instid1(VALU_DEP_1)
	v_rcp_f64_e32 v[146:147], v[144:145]
	s_waitcnt_depctr 0xfff
	v_fma_f64 v[148:149], -v[144:145], v[146:147], 1.0
	v_fma_f64 v[146:147], v[146:147], v[148:149], v[146:147]
	s_delay_alu instid0(VALU_DEP_1) | instskip(NEXT) | instid1(VALU_DEP_1)
	v_fma_f64 v[148:149], -v[144:145], v[146:147], 1.0
	v_fma_f64 v[146:147], v[146:147], v[148:149], v[146:147]
	s_delay_alu instid0(VALU_DEP_1) | instskip(NEXT) | instid1(VALU_DEP_1)
	v_mul_f64 v[148:149], v[150:151], v[146:147]
	v_fma_f64 v[144:145], -v[144:145], v[148:149], v[150:151]
	s_delay_alu instid0(VALU_DEP_1) | instskip(NEXT) | instid1(VALU_DEP_1)
	v_div_fmas_f64 v[144:145], v[144:145], v[146:147], v[148:149]
	v_div_fixup_f64 v[144:145], v[144:145], v[142:143], v[140:141]
	s_delay_alu instid0(VALU_DEP_1) | instskip(NEXT) | instid1(VALU_DEP_1)
	v_fma_f64 v[140:141], v[140:141], v[144:145], v[142:143]
	v_div_scale_f64 v[142:143], null, v[140:141], v[140:141], 1.0
	s_delay_alu instid0(VALU_DEP_1) | instskip(SKIP_2) | instid1(VALU_DEP_1)
	v_rcp_f64_e32 v[146:147], v[142:143]
	s_waitcnt_depctr 0xfff
	v_fma_f64 v[148:149], -v[142:143], v[146:147], 1.0
	v_fma_f64 v[146:147], v[146:147], v[148:149], v[146:147]
	s_delay_alu instid0(VALU_DEP_1) | instskip(NEXT) | instid1(VALU_DEP_1)
	v_fma_f64 v[148:149], -v[142:143], v[146:147], 1.0
	v_fma_f64 v[146:147], v[146:147], v[148:149], v[146:147]
	v_div_scale_f64 v[148:149], vcc_lo, 1.0, v[140:141], 1.0
	s_delay_alu instid0(VALU_DEP_1) | instskip(NEXT) | instid1(VALU_DEP_1)
	v_mul_f64 v[150:151], v[148:149], v[146:147]
	v_fma_f64 v[142:143], -v[142:143], v[150:151], v[148:149]
	s_delay_alu instid0(VALU_DEP_1) | instskip(NEXT) | instid1(VALU_DEP_1)
	v_div_fmas_f64 v[142:143], v[142:143], v[146:147], v[150:151]
	v_div_fixup_f64 v[146:147], v[142:143], v[140:141], 1.0
                                        ; implicit-def: $vgpr140_vgpr141
	s_delay_alu instid0(VALU_DEP_1)
	v_mul_f64 v[148:149], v[144:145], v[146:147]
	v_xor_b32_e32 v147, 0x80000000, v147
.LBB67_284:
	s_and_not1_saveexec_b32 s3, s3
	s_cbranch_execz .LBB67_286
; %bb.285:
	v_div_scale_f64 v[144:145], null, v[140:141], v[140:141], v[142:143]
	v_div_scale_f64 v[150:151], vcc_lo, v[142:143], v[140:141], v[142:143]
	s_delay_alu instid0(VALU_DEP_2) | instskip(SKIP_2) | instid1(VALU_DEP_1)
	v_rcp_f64_e32 v[146:147], v[144:145]
	s_waitcnt_depctr 0xfff
	v_fma_f64 v[148:149], -v[144:145], v[146:147], 1.0
	v_fma_f64 v[146:147], v[146:147], v[148:149], v[146:147]
	s_delay_alu instid0(VALU_DEP_1) | instskip(NEXT) | instid1(VALU_DEP_1)
	v_fma_f64 v[148:149], -v[144:145], v[146:147], 1.0
	v_fma_f64 v[146:147], v[146:147], v[148:149], v[146:147]
	s_delay_alu instid0(VALU_DEP_1) | instskip(NEXT) | instid1(VALU_DEP_1)
	v_mul_f64 v[148:149], v[150:151], v[146:147]
	v_fma_f64 v[144:145], -v[144:145], v[148:149], v[150:151]
	s_delay_alu instid0(VALU_DEP_1) | instskip(NEXT) | instid1(VALU_DEP_1)
	v_div_fmas_f64 v[144:145], v[144:145], v[146:147], v[148:149]
	v_div_fixup_f64 v[144:145], v[144:145], v[140:141], v[142:143]
	s_delay_alu instid0(VALU_DEP_1) | instskip(NEXT) | instid1(VALU_DEP_1)
	v_fma_f64 v[140:141], v[142:143], v[144:145], v[140:141]
	v_div_scale_f64 v[142:143], null, v[140:141], v[140:141], 1.0
	s_delay_alu instid0(VALU_DEP_1) | instskip(SKIP_2) | instid1(VALU_DEP_1)
	v_rcp_f64_e32 v[146:147], v[142:143]
	s_waitcnt_depctr 0xfff
	v_fma_f64 v[148:149], -v[142:143], v[146:147], 1.0
	v_fma_f64 v[146:147], v[146:147], v[148:149], v[146:147]
	s_delay_alu instid0(VALU_DEP_1) | instskip(NEXT) | instid1(VALU_DEP_1)
	v_fma_f64 v[148:149], -v[142:143], v[146:147], 1.0
	v_fma_f64 v[146:147], v[146:147], v[148:149], v[146:147]
	v_div_scale_f64 v[148:149], vcc_lo, 1.0, v[140:141], 1.0
	s_delay_alu instid0(VALU_DEP_1) | instskip(NEXT) | instid1(VALU_DEP_1)
	v_mul_f64 v[150:151], v[148:149], v[146:147]
	v_fma_f64 v[142:143], -v[142:143], v[150:151], v[148:149]
	s_delay_alu instid0(VALU_DEP_1) | instskip(NEXT) | instid1(VALU_DEP_1)
	v_div_fmas_f64 v[142:143], v[142:143], v[146:147], v[150:151]
	v_div_fixup_f64 v[148:149], v[142:143], v[140:141], 1.0
	s_delay_alu instid0(VALU_DEP_1)
	v_mul_f64 v[146:147], v[144:145], -v[148:149]
.LBB67_286:
	s_or_b32 exec_lo, exec_lo, s3
	ds_store_2addr_b64 v159, v[148:149], v[146:147] offset1:1
.LBB67_287:
	s_or_b32 exec_lo, exec_lo, s4
	s_waitcnt lgkmcnt(0)
	s_barrier
	buffer_gl0_inv
	ds_load_2addr_b64 v[140:143], v159 offset1:1
	s_mov_b32 s3, exec_lo
	v_cmpx_lt_u32_e32 31, v158
	s_cbranch_execz .LBB67_289
; %bb.288:
	s_waitcnt lgkmcnt(0)
	v_mul_f64 v[144:145], v[140:141], v[10:11]
	v_mul_f64 v[10:11], v[142:143], v[10:11]
	s_delay_alu instid0(VALU_DEP_2) | instskip(SKIP_4) | instid1(VALU_DEP_1)
	v_fma_f64 v[148:149], v[142:143], v[8:9], v[144:145]
	ds_load_2addr_b64 v[144:147], v160 offset0:64 offset1:65
	v_fma_f64 v[8:9], v[140:141], v[8:9], -v[10:11]
	s_waitcnt lgkmcnt(0)
	v_mul_f64 v[10:11], v[146:147], v[148:149]
	v_fma_f64 v[10:11], v[144:145], v[8:9], -v[10:11]
	v_mul_f64 v[144:145], v[144:145], v[148:149]
	s_delay_alu instid0(VALU_DEP_2) | instskip(NEXT) | instid1(VALU_DEP_2)
	v_add_f64 v[4:5], v[4:5], -v[10:11]
	v_fma_f64 v[144:145], v[146:147], v[8:9], v[144:145]
	s_delay_alu instid0(VALU_DEP_1) | instskip(SKIP_3) | instid1(VALU_DEP_1)
	v_add_f64 v[6:7], v[6:7], -v[144:145]
	ds_load_2addr_b64 v[144:147], v160 offset0:66 offset1:67
	s_waitcnt lgkmcnt(0)
	v_mul_f64 v[10:11], v[146:147], v[148:149]
	v_fma_f64 v[10:11], v[144:145], v[8:9], -v[10:11]
	v_mul_f64 v[144:145], v[144:145], v[148:149]
	s_delay_alu instid0(VALU_DEP_2) | instskip(NEXT) | instid1(VALU_DEP_2)
	v_add_f64 v[0:1], v[0:1], -v[10:11]
	v_fma_f64 v[144:145], v[146:147], v[8:9], v[144:145]
	v_dual_mov_b32 v10, v148 :: v_dual_mov_b32 v11, v149
	s_delay_alu instid0(VALU_DEP_2)
	v_add_f64 v[2:3], v[2:3], -v[144:145]
.LBB67_289:
	s_or_b32 exec_lo, exec_lo, s3
	s_delay_alu instid0(SALU_CYCLE_1)
	s_mov_b32 s4, exec_lo
	s_waitcnt lgkmcnt(0)
	s_barrier
	buffer_gl0_inv
	v_cmpx_eq_u32_e32 32, v158
	s_cbranch_execz .LBB67_296
; %bb.290:
	ds_store_2addr_b64 v159, v[4:5], v[6:7] offset1:1
	ds_store_2addr_b64 v160, v[0:1], v[2:3] offset0:66 offset1:67
	ds_load_2addr_b64 v[144:147], v159 offset1:1
	s_waitcnt lgkmcnt(0)
	v_cmp_neq_f64_e32 vcc_lo, 0, v[144:145]
	v_cmp_neq_f64_e64 s3, 0, v[146:147]
	s_delay_alu instid0(VALU_DEP_1) | instskip(NEXT) | instid1(SALU_CYCLE_1)
	s_or_b32 s3, vcc_lo, s3
	s_and_b32 exec_lo, exec_lo, s3
	s_cbranch_execz .LBB67_296
; %bb.291:
	v_cmp_gt_f64_e32 vcc_lo, 0, v[144:145]
	v_xor_b32_e32 v148, 0x80000000, v145
	v_xor_b32_e32 v150, 0x80000000, v147
	s_mov_b32 s3, exec_lo
                                        ; implicit-def: $vgpr156_vgpr157
	s_delay_alu instid0(VALU_DEP_2) | instskip(SKIP_4) | instid1(VALU_DEP_1)
	v_cndmask_b32_e32 v149, v145, v148, vcc_lo
	v_cndmask_b32_e32 v148, v144, v144, vcc_lo
	v_cmp_gt_f64_e32 vcc_lo, 0, v[146:147]
	v_cndmask_b32_e32 v151, v147, v150, vcc_lo
	v_cndmask_b32_e32 v150, v146, v146, vcc_lo
	v_cmpx_ngt_f64_e32 v[148:149], v[150:151]
	s_xor_b32 s3, exec_lo, s3
                                        ; implicit-def: $vgpr148_vgpr149_vgpr150_vgpr151
	s_cbranch_execz .LBB67_293
; %bb.292:
	v_div_scale_f64 v[148:149], null, v[146:147], v[146:147], v[144:145]
	v_dual_mov_b32 v152, v161 :: v_dual_mov_b32 v153, v162
	v_div_scale_f64 v[161:162], vcc_lo, v[144:145], v[146:147], v[144:145]
	s_delay_alu instid0(VALU_DEP_3) | instskip(SKIP_2) | instid1(VALU_DEP_1)
	v_rcp_f64_e32 v[150:151], v[148:149]
	s_waitcnt_depctr 0xfff
	v_fma_f64 v[156:157], -v[148:149], v[150:151], 1.0
	v_fma_f64 v[150:151], v[150:151], v[156:157], v[150:151]
	s_delay_alu instid0(VALU_DEP_1) | instskip(NEXT) | instid1(VALU_DEP_1)
	v_fma_f64 v[156:157], -v[148:149], v[150:151], 1.0
	v_fma_f64 v[150:151], v[150:151], v[156:157], v[150:151]
	s_delay_alu instid0(VALU_DEP_1) | instskip(NEXT) | instid1(VALU_DEP_1)
	v_mul_f64 v[156:157], v[161:162], v[150:151]
	v_fma_f64 v[148:149], -v[148:149], v[156:157], v[161:162]
	s_delay_alu instid0(VALU_DEP_1) | instskip(NEXT) | instid1(VALU_DEP_1)
	v_div_fmas_f64 v[148:149], v[148:149], v[150:151], v[156:157]
	v_div_fixup_f64 v[148:149], v[148:149], v[146:147], v[144:145]
	s_delay_alu instid0(VALU_DEP_1) | instskip(NEXT) | instid1(VALU_DEP_1)
	v_fma_f64 v[144:145], v[144:145], v[148:149], v[146:147]
	v_div_scale_f64 v[146:147], null, v[144:145], v[144:145], 1.0
	s_delay_alu instid0(VALU_DEP_1) | instskip(SKIP_2) | instid1(VALU_DEP_1)
	v_rcp_f64_e32 v[150:151], v[146:147]
	s_waitcnt_depctr 0xfff
	v_fma_f64 v[156:157], -v[146:147], v[150:151], 1.0
	v_fma_f64 v[150:151], v[150:151], v[156:157], v[150:151]
	s_delay_alu instid0(VALU_DEP_1) | instskip(NEXT) | instid1(VALU_DEP_1)
	v_fma_f64 v[156:157], -v[146:147], v[150:151], 1.0
	v_fma_f64 v[150:151], v[150:151], v[156:157], v[150:151]
	v_div_scale_f64 v[156:157], vcc_lo, 1.0, v[144:145], 1.0
	s_delay_alu instid0(VALU_DEP_1) | instskip(NEXT) | instid1(VALU_DEP_1)
	v_mul_f64 v[161:162], v[156:157], v[150:151]
	v_fma_f64 v[146:147], -v[146:147], v[161:162], v[156:157]
	s_delay_alu instid0(VALU_DEP_1) | instskip(SKIP_1) | instid1(VALU_DEP_2)
	v_div_fmas_f64 v[146:147], v[146:147], v[150:151], v[161:162]
	v_dual_mov_b32 v162, v153 :: v_dual_mov_b32 v161, v152
	v_div_fixup_f64 v[150:151], v[146:147], v[144:145], 1.0
                                        ; implicit-def: $vgpr144_vgpr145
	s_delay_alu instid0(VALU_DEP_1)
	v_mul_f64 v[156:157], v[148:149], v[150:151]
	v_xor_b32_e32 v151, 0x80000000, v151
.LBB67_293:
	s_and_not1_saveexec_b32 s3, s3
	s_cbranch_execz .LBB67_295
; %bb.294:
	v_div_scale_f64 v[148:149], null, v[144:145], v[144:145], v[146:147]
	v_dual_mov_b32 v152, v161 :: v_dual_mov_b32 v153, v162
	v_div_scale_f64 v[161:162], vcc_lo, v[146:147], v[144:145], v[146:147]
	s_delay_alu instid0(VALU_DEP_3) | instskip(SKIP_2) | instid1(VALU_DEP_1)
	v_rcp_f64_e32 v[150:151], v[148:149]
	s_waitcnt_depctr 0xfff
	v_fma_f64 v[156:157], -v[148:149], v[150:151], 1.0
	v_fma_f64 v[150:151], v[150:151], v[156:157], v[150:151]
	s_delay_alu instid0(VALU_DEP_1) | instskip(NEXT) | instid1(VALU_DEP_1)
	v_fma_f64 v[156:157], -v[148:149], v[150:151], 1.0
	v_fma_f64 v[150:151], v[150:151], v[156:157], v[150:151]
	s_delay_alu instid0(VALU_DEP_1) | instskip(NEXT) | instid1(VALU_DEP_1)
	v_mul_f64 v[156:157], v[161:162], v[150:151]
	v_fma_f64 v[148:149], -v[148:149], v[156:157], v[161:162]
	s_delay_alu instid0(VALU_DEP_1) | instskip(NEXT) | instid1(VALU_DEP_1)
	v_div_fmas_f64 v[148:149], v[148:149], v[150:151], v[156:157]
	v_div_fixup_f64 v[148:149], v[148:149], v[144:145], v[146:147]
	s_delay_alu instid0(VALU_DEP_1) | instskip(NEXT) | instid1(VALU_DEP_1)
	v_fma_f64 v[144:145], v[146:147], v[148:149], v[144:145]
	v_div_scale_f64 v[146:147], null, v[144:145], v[144:145], 1.0
	s_delay_alu instid0(VALU_DEP_1) | instskip(SKIP_2) | instid1(VALU_DEP_1)
	v_rcp_f64_e32 v[150:151], v[146:147]
	s_waitcnt_depctr 0xfff
	v_fma_f64 v[156:157], -v[146:147], v[150:151], 1.0
	v_fma_f64 v[150:151], v[150:151], v[156:157], v[150:151]
	s_delay_alu instid0(VALU_DEP_1) | instskip(NEXT) | instid1(VALU_DEP_1)
	v_fma_f64 v[156:157], -v[146:147], v[150:151], 1.0
	v_fma_f64 v[150:151], v[150:151], v[156:157], v[150:151]
	v_div_scale_f64 v[156:157], vcc_lo, 1.0, v[144:145], 1.0
	s_delay_alu instid0(VALU_DEP_1) | instskip(NEXT) | instid1(VALU_DEP_1)
	v_mul_f64 v[161:162], v[156:157], v[150:151]
	v_fma_f64 v[146:147], -v[146:147], v[161:162], v[156:157]
	s_delay_alu instid0(VALU_DEP_1) | instskip(SKIP_1) | instid1(VALU_DEP_2)
	v_div_fmas_f64 v[146:147], v[146:147], v[150:151], v[161:162]
	v_dual_mov_b32 v162, v153 :: v_dual_mov_b32 v161, v152
	v_div_fixup_f64 v[156:157], v[146:147], v[144:145], 1.0
	s_delay_alu instid0(VALU_DEP_1)
	v_mul_f64 v[150:151], v[148:149], -v[156:157]
.LBB67_295:
	s_or_b32 exec_lo, exec_lo, s3
	ds_store_2addr_b64 v159, v[156:157], v[150:151] offset1:1
.LBB67_296:
	s_or_b32 exec_lo, exec_lo, s4
	s_waitcnt lgkmcnt(0)
	s_barrier
	buffer_gl0_inv
	ds_load_2addr_b64 v[144:147], v159 offset1:1
	s_mov_b32 s3, exec_lo
	v_cmpx_lt_u32_e32 32, v158
	s_cbranch_execz .LBB67_298
; %bb.297:
	s_waitcnt lgkmcnt(0)
	v_mul_f64 v[148:149], v[144:145], v[6:7]
	v_mul_f64 v[6:7], v[146:147], v[6:7]
	s_delay_alu instid0(VALU_DEP_2) | instskip(SKIP_4) | instid1(VALU_DEP_1)
	v_fma_f64 v[156:157], v[146:147], v[4:5], v[148:149]
	ds_load_2addr_b64 v[148:151], v160 offset0:66 offset1:67
	v_fma_f64 v[4:5], v[144:145], v[4:5], -v[6:7]
	s_waitcnt lgkmcnt(0)
	v_mul_f64 v[6:7], v[150:151], v[156:157]
	v_fma_f64 v[6:7], v[148:149], v[4:5], -v[6:7]
	v_mul_f64 v[148:149], v[148:149], v[156:157]
	s_delay_alu instid0(VALU_DEP_2) | instskip(NEXT) | instid1(VALU_DEP_2)
	v_add_f64 v[0:1], v[0:1], -v[6:7]
	v_fma_f64 v[148:149], v[150:151], v[4:5], v[148:149]
	v_dual_mov_b32 v6, v156 :: v_dual_mov_b32 v7, v157
	s_delay_alu instid0(VALU_DEP_2)
	v_add_f64 v[2:3], v[2:3], -v[148:149]
.LBB67_298:
	s_or_b32 exec_lo, exec_lo, s3
	s_delay_alu instid0(SALU_CYCLE_1)
	s_mov_b32 s4, exec_lo
	s_waitcnt lgkmcnt(0)
	s_barrier
	buffer_gl0_inv
	v_cmpx_eq_u32_e32 33, v158
	s_cbranch_execz .LBB67_305
; %bb.299:
	v_cmp_neq_f64_e32 vcc_lo, 0, v[0:1]
	v_cmp_neq_f64_e64 s3, 0, v[2:3]
	ds_store_2addr_b64 v159, v[0:1], v[2:3] offset1:1
	s_or_b32 s3, vcc_lo, s3
	s_delay_alu instid0(SALU_CYCLE_1)
	s_and_b32 exec_lo, exec_lo, s3
	s_cbranch_execz .LBB67_305
; %bb.300:
	v_cmp_gt_f64_e32 vcc_lo, 0, v[0:1]
	v_xor_b32_e32 v148, 0x80000000, v1
	v_xor_b32_e32 v150, 0x80000000, v3
	s_mov_b32 s3, exec_lo
                                        ; implicit-def: $vgpr156_vgpr157
	s_delay_alu instid0(VALU_DEP_2) | instskip(SKIP_4) | instid1(VALU_DEP_1)
	v_cndmask_b32_e32 v149, v1, v148, vcc_lo
	v_cndmask_b32_e32 v148, v0, v0, vcc_lo
	v_cmp_gt_f64_e32 vcc_lo, 0, v[2:3]
	v_cndmask_b32_e32 v151, v3, v150, vcc_lo
	v_cndmask_b32_e32 v150, v2, v2, vcc_lo
	v_cmpx_ngt_f64_e32 v[148:149], v[150:151]
	s_xor_b32 s3, exec_lo, s3
                                        ; implicit-def: $vgpr148_vgpr149_vgpr150_vgpr151
	s_cbranch_execz .LBB67_302
; %bb.301:
	v_div_scale_f64 v[148:149], null, v[2:3], v[2:3], v[0:1]
	v_dual_mov_b32 v155, v131 :: v_dual_mov_b32 v154, v130
	v_dual_mov_b32 v153, v129 :: v_dual_mov_b32 v152, v128
	;; [unrolled: 1-line block ×18, first 2 shown]
	v_rcp_f64_e32 v[150:151], v[148:149]
	v_dual_mov_b32 v209, v206 :: v_dual_mov_b32 v208, v205
	v_dual_mov_b32 v207, v204 :: v_dual_mov_b32 v206, v203
	;; [unrolled: 1-line block ×3, first 2 shown]
	v_mov_b32_e32 v201, v198
	v_dual_mov_b32 v200, v197 :: v_dual_mov_b32 v199, v196
	v_dual_mov_b32 v198, v195 :: v_dual_mov_b32 v197, v194
	;; [unrolled: 1-line block ×12, first 2 shown]
	v_mov_b32_e32 v176, v161
	v_div_scale_f64 v[160:161], vcc_lo, v[0:1], v[2:3], v[0:1]
	v_dual_mov_b32 v233, v170 :: v_dual_mov_b32 v232, v169
	v_dual_mov_b32 v231, v168 :: v_dual_mov_b32 v230, v167
	v_mov_b32_e32 v169, v166
	s_delay_alu instid0(TRANS32_DEP_1) | instskip(SKIP_2) | instid1(VALU_DEP_3)
	v_fma_f64 v[156:157], -v[148:149], v[150:151], 1.0
	v_dual_mov_b32 v168, v165 :: v_dual_mov_b32 v167, v164
	v_mov_b32_e32 v166, v163
	v_fma_f64 v[150:151], v[150:151], v[156:157], v[150:151]
	s_delay_alu instid0(VALU_DEP_1) | instskip(NEXT) | instid1(VALU_DEP_1)
	v_fma_f64 v[156:157], -v[148:149], v[150:151], 1.0
	v_fma_f64 v[150:151], v[150:151], v[156:157], v[150:151]
	s_delay_alu instid0(VALU_DEP_1) | instskip(NEXT) | instid1(VALU_DEP_1)
	v_mul_f64 v[156:157], v[160:161], v[150:151]
	v_fma_f64 v[148:149], -v[148:149], v[156:157], v[160:161]
	s_delay_alu instid0(VALU_DEP_1) | instskip(NEXT) | instid1(VALU_DEP_1)
	v_div_fmas_f64 v[148:149], v[148:149], v[150:151], v[156:157]
	v_div_fixup_f64 v[148:149], v[148:149], v[2:3], v[0:1]
	s_delay_alu instid0(VALU_DEP_1) | instskip(NEXT) | instid1(VALU_DEP_1)
	v_fma_f64 v[150:151], v[0:1], v[148:149], v[2:3]
	v_div_scale_f64 v[156:157], null, v[150:151], v[150:151], 1.0
	s_delay_alu instid0(VALU_DEP_1) | instskip(SKIP_2) | instid1(VALU_DEP_1)
	v_rcp_f64_e32 v[160:161], v[156:157]
	s_waitcnt_depctr 0xfff
	v_fma_f64 v[162:163], -v[156:157], v[160:161], 1.0
	v_fma_f64 v[160:161], v[160:161], v[162:163], v[160:161]
	s_delay_alu instid0(VALU_DEP_1) | instskip(NEXT) | instid1(VALU_DEP_1)
	v_fma_f64 v[162:163], -v[156:157], v[160:161], 1.0
	v_fma_f64 v[160:161], v[160:161], v[162:163], v[160:161]
	v_div_scale_f64 v[162:163], vcc_lo, 1.0, v[150:151], 1.0
	s_delay_alu instid0(VALU_DEP_1) | instskip(NEXT) | instid1(VALU_DEP_1)
	v_mul_f64 v[164:165], v[162:163], v[160:161]
	v_fma_f64 v[156:157], -v[156:157], v[164:165], v[162:163]
	s_delay_alu instid0(VALU_DEP_1)
	v_div_fmas_f64 v[156:157], v[156:157], v[160:161], v[164:165]
	v_dual_mov_b32 v161, v176 :: v_dual_mov_b32 v162, v177
	v_mov_b32_e32 v175, v178
	v_dual_mov_b32 v176, v179 :: v_dual_mov_b32 v177, v180
	v_dual_mov_b32 v178, v181 :: v_dual_mov_b32 v179, v182
	;; [unrolled: 1-line block ×10, first 2 shown]
	v_mov_b32_e32 v167, v230
	v_dual_mov_b32 v169, v232 :: v_dual_mov_b32 v192, v195
	v_dual_mov_b32 v193, v196 :: v_dual_mov_b32 v194, v197
	;; [unrolled: 1-line block ×3, first 2 shown]
	v_mov_b32_e32 v170, v233
	v_dual_mov_b32 v196, v199 :: v_dual_mov_b32 v197, v200
	v_dual_mov_b32 v198, v201 :: v_dual_mov_b32 v201, v204
	;; [unrolled: 1-line block ×3, first 2 shown]
	v_mov_b32_e32 v204, v207
	v_div_fixup_f64 v[150:151], v[156:157], v[150:151], 1.0
	v_dual_mov_b32 v205, v208 :: v_dual_mov_b32 v206, v209
	v_dual_mov_b32 v207, v210 :: v_dual_mov_b32 v208, v211
	;; [unrolled: 1-line block ×19, first 2 shown]
	v_mul_f64 v[156:157], v[148:149], v[150:151]
	v_xor_b32_e32 v151, 0x80000000, v151
.LBB67_302:
	s_and_not1_saveexec_b32 s3, s3
	s_cbranch_execz .LBB67_304
; %bb.303:
	v_div_scale_f64 v[148:149], null, v[0:1], v[0:1], v[2:3]
	v_dual_mov_b32 v155, v131 :: v_dual_mov_b32 v154, v130
	v_dual_mov_b32 v153, v129 :: v_dual_mov_b32 v152, v128
	v_dual_mov_b32 v128, v132 :: v_dual_mov_b32 v129, v133
	v_dual_mov_b32 v130, v134 :: v_dual_mov_b32 v131, v135
	v_dual_mov_b32 v132, v231 :: v_dual_mov_b32 v133, v232
	v_dual_mov_b32 v134, v233 :: v_dual_mov_b32 v135, v234
	v_dual_mov_b32 v237, v230 :: v_dual_mov_b32 v236, v229
	v_dual_mov_b32 v235, v228 :: v_dual_mov_b32 v234, v227
	v_dual_mov_b32 v229, v226 :: v_dual_mov_b32 v228, v225
	v_dual_mov_b32 v227, v224 :: v_dual_mov_b32 v226, v223
	v_dual_mov_b32 v225, v222 :: v_dual_mov_b32 v224, v221
	v_dual_mov_b32 v223, v220 :: v_dual_mov_b32 v222, v219
	v_dual_mov_b32 v221, v218 :: v_dual_mov_b32 v220, v217
	v_dual_mov_b32 v219, v216 :: v_dual_mov_b32 v218, v215
	v_dual_mov_b32 v217, v214 :: v_dual_mov_b32 v216, v213
	v_dual_mov_b32 v215, v212 :: v_dual_mov_b32 v214, v211
	v_dual_mov_b32 v213, v210 :: v_dual_mov_b32 v212, v209
	v_dual_mov_b32 v211, v208 :: v_dual_mov_b32 v210, v207
	v_rcp_f64_e32 v[150:151], v[148:149]
	v_dual_mov_b32 v209, v206 :: v_dual_mov_b32 v208, v205
	v_dual_mov_b32 v207, v204 :: v_dual_mov_b32 v206, v203
	v_dual_mov_b32 v205, v202 :: v_dual_mov_b32 v204, v201
	v_mov_b32_e32 v201, v198
	v_dual_mov_b32 v200, v197 :: v_dual_mov_b32 v199, v196
	v_dual_mov_b32 v198, v195 :: v_dual_mov_b32 v197, v194
	;; [unrolled: 1-line block ×12, first 2 shown]
	v_mov_b32_e32 v176, v161
	v_div_scale_f64 v[160:161], vcc_lo, v[2:3], v[0:1], v[2:3]
	v_dual_mov_b32 v233, v170 :: v_dual_mov_b32 v232, v169
	v_dual_mov_b32 v231, v168 :: v_dual_mov_b32 v230, v167
	v_mov_b32_e32 v169, v166
	s_delay_alu instid0(TRANS32_DEP_1) | instskip(SKIP_2) | instid1(VALU_DEP_3)
	v_fma_f64 v[156:157], -v[148:149], v[150:151], 1.0
	v_dual_mov_b32 v168, v165 :: v_dual_mov_b32 v167, v164
	v_mov_b32_e32 v166, v163
	v_fma_f64 v[150:151], v[150:151], v[156:157], v[150:151]
	s_delay_alu instid0(VALU_DEP_1) | instskip(NEXT) | instid1(VALU_DEP_1)
	v_fma_f64 v[156:157], -v[148:149], v[150:151], 1.0
	v_fma_f64 v[150:151], v[150:151], v[156:157], v[150:151]
	s_delay_alu instid0(VALU_DEP_1) | instskip(NEXT) | instid1(VALU_DEP_1)
	v_mul_f64 v[156:157], v[160:161], v[150:151]
	v_fma_f64 v[148:149], -v[148:149], v[156:157], v[160:161]
	s_delay_alu instid0(VALU_DEP_1) | instskip(NEXT) | instid1(VALU_DEP_1)
	v_div_fmas_f64 v[148:149], v[148:149], v[150:151], v[156:157]
	v_div_fixup_f64 v[148:149], v[148:149], v[0:1], v[2:3]
	s_delay_alu instid0(VALU_DEP_1) | instskip(NEXT) | instid1(VALU_DEP_1)
	v_fma_f64 v[150:151], v[2:3], v[148:149], v[0:1]
	v_div_scale_f64 v[156:157], null, v[150:151], v[150:151], 1.0
	s_delay_alu instid0(VALU_DEP_1) | instskip(SKIP_2) | instid1(VALU_DEP_1)
	v_rcp_f64_e32 v[160:161], v[156:157]
	s_waitcnt_depctr 0xfff
	v_fma_f64 v[162:163], -v[156:157], v[160:161], 1.0
	v_fma_f64 v[160:161], v[160:161], v[162:163], v[160:161]
	s_delay_alu instid0(VALU_DEP_1) | instskip(NEXT) | instid1(VALU_DEP_1)
	v_fma_f64 v[162:163], -v[156:157], v[160:161], 1.0
	v_fma_f64 v[160:161], v[160:161], v[162:163], v[160:161]
	v_div_scale_f64 v[162:163], vcc_lo, 1.0, v[150:151], 1.0
	s_delay_alu instid0(VALU_DEP_1) | instskip(NEXT) | instid1(VALU_DEP_1)
	v_mul_f64 v[164:165], v[162:163], v[160:161]
	v_fma_f64 v[156:157], -v[156:157], v[164:165], v[162:163]
	s_delay_alu instid0(VALU_DEP_1)
	v_div_fmas_f64 v[156:157], v[156:157], v[160:161], v[164:165]
	v_dual_mov_b32 v161, v176 :: v_dual_mov_b32 v162, v177
	v_mov_b32_e32 v175, v178
	v_dual_mov_b32 v176, v179 :: v_dual_mov_b32 v177, v180
	v_dual_mov_b32 v178, v181 :: v_dual_mov_b32 v179, v182
	;; [unrolled: 1-line block ×10, first 2 shown]
	v_mov_b32_e32 v167, v230
	v_dual_mov_b32 v169, v232 :: v_dual_mov_b32 v192, v195
	v_dual_mov_b32 v193, v196 :: v_dual_mov_b32 v194, v197
	;; [unrolled: 1-line block ×3, first 2 shown]
	v_mov_b32_e32 v170, v233
	v_dual_mov_b32 v196, v199 :: v_dual_mov_b32 v197, v200
	v_dual_mov_b32 v198, v201 :: v_dual_mov_b32 v201, v204
	;; [unrolled: 1-line block ×3, first 2 shown]
	v_mov_b32_e32 v204, v207
	v_div_fixup_f64 v[156:157], v[156:157], v[150:151], 1.0
	v_dual_mov_b32 v205, v208 :: v_dual_mov_b32 v206, v209
	v_dual_mov_b32 v207, v210 :: v_dual_mov_b32 v208, v211
	;; [unrolled: 1-line block ×19, first 2 shown]
	v_mul_f64 v[150:151], v[148:149], -v[156:157]
.LBB67_304:
	s_or_b32 exec_lo, exec_lo, s3
	ds_store_2addr_b64 v159, v[156:157], v[150:151] offset1:1
.LBB67_305:
	s_or_b32 exec_lo, exec_lo, s4
	s_waitcnt lgkmcnt(0)
	s_barrier
	buffer_gl0_inv
	ds_load_2addr_b64 v[148:151], v159 offset1:1
	s_mov_b32 s3, exec_lo
	v_cmpx_lt_u32_e32 33, v158
	s_cbranch_execz .LBB67_307
; %bb.306:
	s_waitcnt lgkmcnt(0)
	v_mul_f64 v[156:157], v[150:151], v[2:3]
	v_mul_f64 v[2:3], v[148:149], v[2:3]
	s_delay_alu instid0(VALU_DEP_2) | instskip(NEXT) | instid1(VALU_DEP_2)
	v_fma_f64 v[156:157], v[148:149], v[0:1], -v[156:157]
	v_fma_f64 v[2:3], v[150:151], v[0:1], v[2:3]
	s_delay_alu instid0(VALU_DEP_2)
	v_dual_mov_b32 v0, v156 :: v_dual_mov_b32 v1, v157
.LBB67_307:
	s_or_b32 exec_lo, exec_lo, s3
	s_waitcnt lgkmcnt(0)
	s_barrier
	buffer_gl0_inv
	s_and_saveexec_b32 s12, s2
	s_cbranch_execz .LBB67_310
; %bb.308:
	scratch_load_b128 v[156:159], off, off  ; 16-byte Folded Reload
	v_lshlrev_b64 v[152:153], 2, v[201:202]
	v_dual_mov_b32 v202, v135 :: v_dual_mov_b32 v201, v134
	v_dual_mov_b32 v200, v133 :: v_dual_mov_b32 v199, v132
	;; [unrolled: 1-line block ×6, first 2 shown]
	scratch_load_b128 v[227:230], off, off offset:128 ; 16-byte Folded Reload
	s_load_b64 s[14:15], s[0:1], 0x28
	s_waitcnt vmcnt(1)
	v_cmp_eq_f64_e32 vcc_lo, 0, v[156:157]
	v_cmp_eq_f64_e64 s2, 0, v[158:159]
	scratch_load_b128 v[156:159], off, off offset:16 ; 16-byte Folded Reload
	s_and_b32 s2, vcc_lo, s2
	s_waitcnt vmcnt(0)
	v_cmp_neq_f64_e64 s3, 0, v[156:157]
	v_cmp_neq_f64_e64 s4, 0, v[158:159]
	scratch_load_b128 v[156:159], off, off offset:32 ; 16-byte Folded Reload
	s_or_b32 s3, s3, s4
	s_delay_alu instid0(SALU_CYCLE_1)
	s_or_b32 vcc_lo, s3, s2
	s_waitcnt vmcnt(0)
	v_cmp_eq_f64_e64 s5, 0, v[156:157]
	v_cmp_eq_f64_e64 s6, 0, v[158:159]
	scratch_load_b128 v[156:159], off, off offset:48 ; 16-byte Folded Reload
	s_and_b32 s4, s5, s6
	s_waitcnt lgkmcnt(0)
	v_add_co_u32 v152, s6, s14, v152
	s_delay_alu instid0(VALU_DEP_1)
	v_add_co_ci_u32_e64 v153, s6, s15, v153, s6
	v_cmp_eq_f64_e64 s6, 0, v[229:230]
	s_waitcnt vmcnt(0)
	v_cmp_eq_f64_e64 s7, 0, v[156:157]
	v_cmp_eq_f64_e64 s8, 0, v[158:159]
	scratch_load_b128 v[156:159], off, off offset:64 ; 16-byte Folded Reload
	s_waitcnt vmcnt(0)
	v_cmp_eq_f64_e64 s9, 0, v[156:157]
	v_cmp_eq_f64_e64 s10, 0, v[158:159]
	scratch_load_b128 v[157:160], off, off offset:80 ; 16-byte Folded Reload
	v_cndmask_b32_e64 v156, 0, 1, s2
	s_delay_alu instid0(VALU_DEP_1) | instskip(NEXT) | instid1(VALU_DEP_1)
	v_cndmask_b32_e32 v156, 2, v156, vcc_lo
	v_cmp_eq_u32_e32 vcc_lo, 0, v156
	s_and_b32 s0, s4, vcc_lo
	s_and_b32 s4, s7, s8
	v_cndmask_b32_e64 v156, v156, 3, s0
	s_delay_alu instid0(VALU_DEP_1) | instskip(NEXT) | instid1(VALU_DEP_1)
	v_cmp_eq_u32_e64 s1, 0, v156
	s_and_b32 s1, s4, s1
	s_delay_alu instid0(SALU_CYCLE_1) | instskip(NEXT) | instid1(VALU_DEP_1)
	v_cndmask_b32_e64 v156, v156, 4, s1
	v_cmp_eq_u32_e64 s5, 0, v156
	s_and_b32 s7, s9, s10
	s_delay_alu instid0(VALU_DEP_1) | instid1(SALU_CYCLE_1)
	s_and_b32 s5, s7, s5
	s_waitcnt vmcnt(0)
	v_cmp_eq_f64_e64 s2, 0, v[157:158]
	v_cmp_eq_f64_e64 s3, 0, v[159:160]
	scratch_load_b128 v[157:160], off, off offset:96 ; 16-byte Folded Reload
	s_and_b32 s2, s2, s3
	s_waitcnt vmcnt(0)
	v_cmp_eq_f64_e32 vcc_lo, 0, v[157:158]
	v_cmp_eq_f64_e64 s0, 0, v[159:160]
	scratch_load_b128 v[157:160], off, off offset:112 ; 16-byte Folded Reload
	s_and_b32 s0, vcc_lo, s0
	s_waitcnt vmcnt(0)
	v_cmp_eq_f64_e64 s1, 0, v[157:158]
	v_cndmask_b32_e64 v157, v156, 5, s5
	v_cmp_eq_f64_e64 s5, 0, v[227:228]
	v_dual_mov_b32 v230, v170 :: v_dual_mov_b32 v227, v167
	v_dual_mov_b32 v229, v169 :: v_dual_mov_b32 v228, v168
	;; [unrolled: 1-line block ×4, first 2 shown]
	scratch_load_b128 v[163:166], off, off offset:144 ; 16-byte Folded Reload
	v_cmp_eq_u32_e64 s7, 0, v157
	v_cmp_eq_f64_e64 s4, 0, v[159:160]
	global_load_b32 v156, v[152:153], off
	s_and_b32 s2, s2, s7
	s_delay_alu instid0(SALU_CYCLE_1) | instskip(NEXT) | instid1(VALU_DEP_1)
	v_cndmask_b32_e64 v157, v157, 6, s2
	v_cmp_eq_u32_e64 s7, 0, v157
	s_delay_alu instid0(VALU_DEP_1) | instskip(NEXT) | instid1(SALU_CYCLE_1)
	s_and_b32 s0, s0, s7
	v_cndmask_b32_e64 v157, v157, 7, s0
	v_cmp_eq_f64_e64 s0, 0, v[169:170]
	s_delay_alu instid0(VALU_DEP_2)
	v_cmp_eq_u32_e64 s7, 0, v157
	s_and_b32 s5, s5, s6
	v_cmp_eq_f64_e64 s6, 0, v[233:234]
	s_and_b32 s1, s1, s4
	v_cmp_eq_f64_e64 s4, 0, v[229:230]
	s_and_b32 s1, s1, s7
	s_delay_alu instid0(SALU_CYCLE_1) | instskip(SKIP_1) | instid1(VALU_DEP_2)
	v_cndmask_b32_e64 v157, v157, 8, s1
	v_cmp_eq_f64_e64 s1, 0, v[227:228]
	v_cmp_eq_u32_e64 s7, 0, v157
	s_delay_alu instid0(VALU_DEP_1) | instskip(NEXT) | instid1(SALU_CYCLE_1)
	s_and_b32 s5, s5, s7
	v_cndmask_b32_e64 v157, v157, 9, s5
	v_cmp_eq_f64_e64 s5, 0, v[231:232]
	s_delay_alu instid0(VALU_DEP_2) | instskip(SKIP_2) | instid1(VALU_DEP_3)
	v_cmp_eq_u32_e64 s7, 0, v157
	s_and_b32 s1, s1, s4
	v_cmp_eq_f64_e64 s4, 0, v[177:178]
	s_and_b32 s5, s5, s6
	v_cmp_eq_f64_e64 s6, 0, v[181:182]
	s_waitcnt vmcnt(1)
	v_cmp_eq_f64_e64 s2, 0, v[163:164]
	v_cmp_eq_f64_e64 s3, 0, v[165:166]
	scratch_load_b128 v[163:166], off, off offset:320 ; 16-byte Folded Reload
	s_and_b32 s2, s2, s3
	v_cmp_eq_f64_e64 s3, 0, v[134:135]
	s_and_b32 s2, s2, s7
	s_delay_alu instid0(SALU_CYCLE_1)
	v_cndmask_b32_e64 v157, v157, 10, s2
	v_cmp_eq_f64_e64 s2, 0, v[132:133]
	v_dual_mov_b32 v132, v199 :: v_dual_mov_b32 v133, v200
	v_mov_b32_e32 v135, v202
	v_cmp_eq_f64_e32 vcc_lo, 0, v[167:168]
	v_cmp_eq_u32_e64 s7, 0, v157
	v_mov_b32_e32 v134, v201
	s_and_b32 s2, s2, s3
	v_cmp_eq_f64_e64 s3, 0, v[185:186]
	s_and_b32 s0, vcc_lo, s0
	v_cmp_eq_f64_e32 vcc_lo, 0, v[171:172]
	s_and_b32 s0, s0, s7
	s_delay_alu instid0(SALU_CYCLE_1) | instskip(SKIP_1) | instid1(VALU_DEP_2)
	v_cndmask_b32_e64 v157, v157, 11, s0
	v_cmp_eq_f64_e64 s0, 0, v[173:174]
	v_cmp_eq_u32_e64 s7, 0, v157
	s_delay_alu instid0(VALU_DEP_1) | instskip(NEXT) | instid1(SALU_CYCLE_1)
	s_and_b32 s1, s1, s7
	v_cndmask_b32_e64 v157, v157, 12, s1
	v_cmp_eq_f64_e64 s1, 0, v[175:176]
	s_delay_alu instid0(VALU_DEP_2) | instskip(NEXT) | instid1(VALU_DEP_1)
	v_cmp_eq_u32_e64 s7, 0, v157
	s_and_b32 s5, s5, s7
	s_delay_alu instid0(SALU_CYCLE_1) | instskip(SKIP_1) | instid1(VALU_DEP_2)
	v_cndmask_b32_e64 v157, v157, 13, s5
	v_cmp_eq_f64_e64 s5, 0, v[179:180]
	v_cmp_eq_u32_e64 s7, 0, v157
	s_delay_alu instid0(VALU_DEP_1) | instskip(NEXT) | instid1(SALU_CYCLE_1)
	s_and_b32 s2, s2, s7
	v_cndmask_b32_e64 v157, v157, 14, s2
	v_cmp_eq_f64_e64 s2, 0, v[183:184]
	s_and_b32 s0, vcc_lo, s0
	v_cmp_eq_f64_e32 vcc_lo, 0, v[187:188]
	s_delay_alu instid0(VALU_DEP_3) | instskip(NEXT) | instid1(VALU_DEP_1)
	v_cmp_eq_u32_e64 s7, 0, v157
	s_and_b32 s0, s0, s7
	s_delay_alu instid0(SALU_CYCLE_1) | instskip(SKIP_3) | instid1(VALU_DEP_3)
	v_cndmask_b32_e64 v157, v157, 15, s0
	v_cmp_eq_f64_e64 s0, 0, v[189:190]
	s_and_b32 s1, s1, s4
	v_cmp_eq_f64_e64 s4, 0, v[193:194]
	v_cmp_eq_u32_e64 s7, 0, v157
	s_delay_alu instid0(VALU_DEP_1) | instskip(NEXT) | instid1(SALU_CYCLE_1)
	s_and_b32 s1, s1, s7
	v_cndmask_b32_e64 v157, v157, 16, s1
	v_cmp_eq_f64_e64 s1, 0, v[191:192]
	s_and_b32 s5, s5, s6
	v_cmp_eq_f64_e64 s6, 0, v[197:198]
	s_delay_alu instid0(VALU_DEP_3) | instskip(NEXT) | instid1(VALU_DEP_1)
	v_cmp_eq_u32_e64 s7, 0, v157
	s_and_b32 s5, s5, s7
	s_delay_alu instid0(SALU_CYCLE_1) | instskip(SKIP_2) | instid1(VALU_DEP_2)
	v_cndmask_b32_e64 v157, v157, 17, s5
	v_cmp_eq_f64_e64 s5, 0, v[195:196]
	s_and_b32 s2, s2, s3
	v_cmp_eq_u32_e64 s7, 0, v157
	s_delay_alu instid0(VALU_DEP_1) | instskip(NEXT) | instid1(SALU_CYCLE_1)
	s_and_b32 s2, s2, s7
	v_cndmask_b32_e64 v157, v157, 18, s2
	s_and_b32 s0, vcc_lo, s0
	s_delay_alu instid0(VALU_DEP_1) | instskip(NEXT) | instid1(VALU_DEP_1)
	v_cmp_eq_u32_e64 s7, 0, v157
	s_and_b32 s0, s0, s7
	s_delay_alu instid0(SALU_CYCLE_1) | instskip(SKIP_1) | instid1(VALU_DEP_1)
	v_cndmask_b32_e64 v157, v157, 19, s0
	s_and_b32 s1, s1, s4
	v_cmp_eq_u32_e64 s7, 0, v157
	s_delay_alu instid0(VALU_DEP_1) | instskip(NEXT) | instid1(SALU_CYCLE_1)
	s_and_b32 s1, s1, s7
	v_cndmask_b32_e64 v157, v157, 20, s1
	s_and_b32 s5, s5, s6
	s_delay_alu instid0(VALU_DEP_1) | instskip(NEXT) | instid1(VALU_DEP_1)
	v_cmp_eq_u32_e64 s7, 0, v157
	s_and_b32 s5, s5, s7
	s_delay_alu instid0(SALU_CYCLE_1) | instskip(NEXT) | instid1(VALU_DEP_1)
	v_cndmask_b32_e64 v157, v157, 21, s5
	v_cmp_eq_u32_e64 s7, 0, v157
	s_waitcnt vmcnt(0)
	v_cmp_eq_f64_e64 s2, 0, v[163:164]
	v_cmp_eq_f64_e64 s3, 0, v[165:166]
	scratch_load_b128 v[163:166], off, off offset:336 ; 16-byte Folded Reload
	s_and_b32 s2, s2, s3
	s_delay_alu instid0(SALU_CYCLE_1) | instskip(NEXT) | instid1(SALU_CYCLE_1)
	s_and_b32 s2, s2, s7
	v_cndmask_b32_e64 v157, v157, 22, s2
	s_delay_alu instid0(VALU_DEP_1)
	v_cmp_eq_u32_e64 s7, 0, v157
	s_waitcnt vmcnt(0)
	v_cmp_eq_f64_e32 vcc_lo, 0, v[163:164]
	v_cmp_eq_f64_e64 s0, 0, v[165:166]
	scratch_load_b128 v[163:166], off, off offset:352 ; 16-byte Folded Reload
	s_and_b32 s0, vcc_lo, s0
	v_cmp_eq_f64_e32 vcc_lo, 0, v[240:241]
	s_and_b32 s0, s0, s7
	s_delay_alu instid0(SALU_CYCLE_1) | instskip(SKIP_1) | instid1(VALU_DEP_2)
	v_cndmask_b32_e64 v157, v157, 23, s0
	v_cmp_eq_f64_e64 s0, 0, v[242:243]
	v_cmp_eq_u32_e64 s7, 0, v157
	s_delay_alu instid0(VALU_DEP_2)
	s_and_b32 s0, vcc_lo, s0
	v_cmp_eq_f64_e32 vcc_lo, 0, v[136:137]
	s_waitcnt vmcnt(0)
	v_cmp_eq_f64_e64 s1, 0, v[163:164]
	v_cmp_eq_f64_e64 s4, 0, v[165:166]
	scratch_load_b128 v[163:166], off, off offset:368 ; 16-byte Folded Reload
	s_and_b32 s1, s1, s4
	v_cmp_eq_f64_e64 s4, 0, v[246:247]
	s_and_b32 s1, s1, s7
	s_delay_alu instid0(SALU_CYCLE_1) | instskip(SKIP_1) | instid1(VALU_DEP_2)
	v_cndmask_b32_e64 v157, v157, 24, s1
	v_cmp_eq_f64_e64 s1, 0, v[244:245]
	v_cmp_eq_u32_e64 s7, 0, v157
	s_delay_alu instid0(VALU_DEP_2)
	s_and_b32 s1, s1, s4
	v_cmp_eq_f64_e64 s4, 0, v[142:143]
	s_waitcnt vmcnt(0)
	v_cmp_eq_f64_e64 s5, 0, v[163:164]
	v_cmp_eq_f64_e64 s6, 0, v[165:166]
	scratch_load_b128 v[163:166], off, off offset:384 ; 16-byte Folded Reload
	s_and_b32 s5, s5, s6
	v_cmp_eq_f64_e64 s6, 0, v[250:251]
	s_and_b32 s5, s5, s7
	s_delay_alu instid0(SALU_CYCLE_1) | instskip(SKIP_1) | instid1(VALU_DEP_2)
	v_cndmask_b32_e64 v157, v157, 25, s5
	v_cmp_eq_f64_e64 s5, 0, v[248:249]
	v_cmp_eq_u32_e64 s7, 0, v157
	s_delay_alu instid0(VALU_DEP_2) | instskip(SKIP_4) | instid1(VALU_DEP_1)
	s_and_b32 s5, s5, s6
	v_cmp_eq_f64_e64 s6, 0, v[146:147]
	s_waitcnt vmcnt(0)
	v_cmp_eq_f64_e64 s2, 0, v[163:164]
	v_cmp_eq_f64_e64 s3, 0, v[165:166]
	s_and_b32 s2, s2, s3
	v_cmp_eq_f64_e64 s3, 0, v[254:255]
	s_and_b32 s2, s2, s7
	s_delay_alu instid0(SALU_CYCLE_1) | instskip(SKIP_1) | instid1(VALU_DEP_2)
	v_cndmask_b32_e64 v157, v157, 26, s2
	v_cmp_eq_f64_e64 s2, 0, v[252:253]
	v_cmp_eq_u32_e64 s7, 0, v157
	s_delay_alu instid0(VALU_DEP_1) | instskip(NEXT) | instid1(SALU_CYCLE_1)
	s_and_b32 s0, s0, s7
	v_cndmask_b32_e64 v157, v157, 27, s0
	v_cmp_eq_f64_e64 s0, 0, v[138:139]
	s_delay_alu instid0(VALU_DEP_2) | instskip(NEXT) | instid1(VALU_DEP_1)
	v_cmp_eq_u32_e64 s7, 0, v157
	s_and_b32 s1, s1, s7
	s_delay_alu instid0(SALU_CYCLE_1) | instskip(SKIP_1) | instid1(VALU_DEP_2)
	v_cndmask_b32_e64 v136, v157, 28, s1
	v_cmp_eq_f64_e64 s1, 0, v[140:141]
	v_cmp_eq_u32_e64 s7, 0, v136
	s_delay_alu instid0(VALU_DEP_1) | instskip(NEXT) | instid1(SALU_CYCLE_1)
	s_and_b32 s5, s5, s7
	v_cndmask_b32_e64 v136, v136, 29, s5
	v_cmp_eq_f64_e64 s5, 0, v[144:145]
	s_and_b32 s2, s2, s3
	v_cmp_eq_f64_e64 s3, 0, v[150:151]
	s_delay_alu instid0(VALU_DEP_3) | instskip(NEXT) | instid1(VALU_DEP_1)
	v_cmp_eq_u32_e64 s7, 0, v136
	s_and_b32 s2, s2, s7
	s_delay_alu instid0(SALU_CYCLE_1) | instskip(SKIP_2) | instid1(VALU_DEP_2)
	v_cndmask_b32_e64 v136, v136, 30, s2
	v_cmp_eq_f64_e64 s2, 0, v[148:149]
	s_and_b32 s0, vcc_lo, s0
	v_cmp_eq_u32_e64 s7, 0, v136
	s_delay_alu instid0(VALU_DEP_1) | instskip(NEXT) | instid1(SALU_CYCLE_1)
	s_and_b32 s0, s0, s7
	v_cndmask_b32_e64 v136, v136, 31, s0
	s_and_b32 s0, s1, s4
	s_delay_alu instid0(VALU_DEP_1) | instskip(SKIP_1) | instid1(SALU_CYCLE_1)
	v_cmp_eq_u32_e32 vcc_lo, 0, v136
	s_and_b32 s0, s0, vcc_lo
	v_cndmask_b32_e64 v136, v136, 32, s0
	s_and_b32 s0, s5, s6
	s_delay_alu instid0(VALU_DEP_1) | instskip(SKIP_1) | instid1(SALU_CYCLE_1)
	v_cmp_eq_u32_e32 vcc_lo, 0, v136
	s_and_b32 s0, s0, vcc_lo
	v_cndmask_b32_e64 v136, v136, 33, s0
	s_and_b32 s0, s2, s3
	s_delay_alu instid0(VALU_DEP_1) | instskip(SKIP_3) | instid1(VALU_DEP_1)
	v_cmp_eq_u32_e32 vcc_lo, 0, v136
	s_and_b32 s0, s0, vcc_lo
	v_cmp_eq_u32_e32 vcc_lo, 0, v156
	v_cndmask_b32_e64 v136, v136, 34, s0
	v_cmp_ne_u32_e64 s0, 0, v136
	s_delay_alu instid0(VALU_DEP_1) | instskip(NEXT) | instid1(SALU_CYCLE_1)
	s_and_b32 s0, vcc_lo, s0
	s_and_b32 exec_lo, exec_lo, s0
	s_cbranch_execz .LBB67_310
; %bb.309:
	v_add_nc_u32_e32 v136, s11, v136
	global_store_b32 v[152:153], v136, off
.LBB67_310:
	s_or_b32 exec_lo, exec_lo, s12
	s_clause 0xc
	global_store_b128 v[223:224], v[132:135], off
	global_store_b128 v[238:239], v[128:131], off
	;; [unrolled: 1-line block ×13, first 2 shown]
	scratch_load_b64 v[84:85], off, off offset:312 ; 8-byte Folded Reload
	s_waitcnt vmcnt(0)
	global_store_b128 v[84:85], v[80:83], off
	scratch_load_b64 v[80:81], off, off offset:304 ; 8-byte Folded Reload
	s_waitcnt vmcnt(0)
	global_store_b128 v[80:81], v[76:79], off
	;; [unrolled: 3-line block ×12, first 2 shown]
	scratch_load_b64 v[36:37], off, off offset:216 ; 8-byte Folded Reload
	s_waitcnt vmcnt(0)
	s_clause 0x1
	global_store_b128 v[36:37], v[32:35], off
	global_store_b128 v[161:162], v[28:31], off
	scratch_load_b64 v[28:29], off, off offset:208 ; 8-byte Folded Reload
	s_waitcnt vmcnt(0)
	global_store_b128 v[28:29], v[24:27], off
	scratch_load_b64 v[24:25], off, off offset:200 ; 8-byte Folded Reload
	s_waitcnt vmcnt(0)
	global_store_b128 v[24:25], v[20:23], off
	scratch_load_b64 v[20:21], off, off offset:192 ; 8-byte Folded Reload
	s_waitcnt vmcnt(0)
	global_store_b128 v[20:21], v[16:19], off
	scratch_load_b64 v[16:17], off, off offset:184 ; 8-byte Folded Reload
	s_waitcnt vmcnt(0)
	global_store_b128 v[16:17], v[12:15], off
	scratch_load_b64 v[12:13], off, off offset:176 ; 8-byte Folded Reload
	s_waitcnt vmcnt(0)
	global_store_b128 v[12:13], v[8:11], off
	scratch_load_b64 v[8:9], off, off offset:168 ; 8-byte Folded Reload
	s_waitcnt vmcnt(0)
	global_store_b128 v[8:9], v[4:7], off
	scratch_load_b64 v[4:5], off, off offset:160 ; 8-byte Folded Reload
	s_waitcnt vmcnt(0)
	global_store_b128 v[4:5], v[0:3], off
.LBB67_311:
	s_nop 0
	s_sendmsg sendmsg(MSG_DEALLOC_VGPRS)
	s_endpgm
	.section	.rodata,"a",@progbits
	.p2align	6, 0x0
	.amdhsa_kernel _ZN9rocsolver6v33100L23getf2_npvt_small_kernelILi34E19rocblas_complex_numIdEiiPKPS3_EEvT1_T3_lS7_lPT2_S7_S7_
		.amdhsa_group_segment_fixed_size 0
		.amdhsa_private_segment_fixed_size 404
		.amdhsa_kernarg_size 312
		.amdhsa_user_sgpr_count 14
		.amdhsa_user_sgpr_dispatch_ptr 0
		.amdhsa_user_sgpr_queue_ptr 0
		.amdhsa_user_sgpr_kernarg_segment_ptr 1
		.amdhsa_user_sgpr_dispatch_id 0
		.amdhsa_user_sgpr_private_segment_size 0
		.amdhsa_wavefront_size32 1
		.amdhsa_uses_dynamic_stack 0
		.amdhsa_enable_private_segment 1
		.amdhsa_system_sgpr_workgroup_id_x 1
		.amdhsa_system_sgpr_workgroup_id_y 1
		.amdhsa_system_sgpr_workgroup_id_z 0
		.amdhsa_system_sgpr_workgroup_info 0
		.amdhsa_system_vgpr_workitem_id 1
		.amdhsa_next_free_vgpr 256
		.amdhsa_next_free_sgpr 16
		.amdhsa_reserve_vcc 1
		.amdhsa_float_round_mode_32 0
		.amdhsa_float_round_mode_16_64 0
		.amdhsa_float_denorm_mode_32 3
		.amdhsa_float_denorm_mode_16_64 3
		.amdhsa_dx10_clamp 1
		.amdhsa_ieee_mode 1
		.amdhsa_fp16_overflow 0
		.amdhsa_workgroup_processor_mode 1
		.amdhsa_memory_ordered 1
		.amdhsa_forward_progress 0
		.amdhsa_shared_vgpr_count 0
		.amdhsa_exception_fp_ieee_invalid_op 0
		.amdhsa_exception_fp_denorm_src 0
		.amdhsa_exception_fp_ieee_div_zero 0
		.amdhsa_exception_fp_ieee_overflow 0
		.amdhsa_exception_fp_ieee_underflow 0
		.amdhsa_exception_fp_ieee_inexact 0
		.amdhsa_exception_int_div_zero 0
	.end_amdhsa_kernel
	.section	.text._ZN9rocsolver6v33100L23getf2_npvt_small_kernelILi34E19rocblas_complex_numIdEiiPKPS3_EEvT1_T3_lS7_lPT2_S7_S7_,"axG",@progbits,_ZN9rocsolver6v33100L23getf2_npvt_small_kernelILi34E19rocblas_complex_numIdEiiPKPS3_EEvT1_T3_lS7_lPT2_S7_S7_,comdat
.Lfunc_end67:
	.size	_ZN9rocsolver6v33100L23getf2_npvt_small_kernelILi34E19rocblas_complex_numIdEiiPKPS3_EEvT1_T3_lS7_lPT2_S7_S7_, .Lfunc_end67-_ZN9rocsolver6v33100L23getf2_npvt_small_kernelILi34E19rocblas_complex_numIdEiiPKPS3_EEvT1_T3_lS7_lPT2_S7_S7_
                                        ; -- End function
	.section	.AMDGPU.csdata,"",@progbits
; Kernel info:
; codeLenInByte = 73044
; NumSgprs: 18
; NumVgprs: 256
; ScratchSize: 404
; MemoryBound: 1
; FloatMode: 240
; IeeeMode: 1
; LDSByteSize: 0 bytes/workgroup (compile time only)
; SGPRBlocks: 2
; VGPRBlocks: 31
; NumSGPRsForWavesPerEU: 18
; NumVGPRsForWavesPerEU: 256
; Occupancy: 5
; WaveLimiterHint : 1
; COMPUTE_PGM_RSRC2:SCRATCH_EN: 1
; COMPUTE_PGM_RSRC2:USER_SGPR: 14
; COMPUTE_PGM_RSRC2:TRAP_HANDLER: 0
; COMPUTE_PGM_RSRC2:TGID_X_EN: 1
; COMPUTE_PGM_RSRC2:TGID_Y_EN: 1
; COMPUTE_PGM_RSRC2:TGID_Z_EN: 0
; COMPUTE_PGM_RSRC2:TIDIG_COMP_CNT: 1
	.section	.text._ZN9rocsolver6v33100L18getf2_small_kernelILi35E19rocblas_complex_numIdEiiPKPS3_EEvT1_T3_lS7_lPS7_llPT2_S7_S7_S9_l,"axG",@progbits,_ZN9rocsolver6v33100L18getf2_small_kernelILi35E19rocblas_complex_numIdEiiPKPS3_EEvT1_T3_lS7_lPS7_llPT2_S7_S7_S9_l,comdat
	.globl	_ZN9rocsolver6v33100L18getf2_small_kernelILi35E19rocblas_complex_numIdEiiPKPS3_EEvT1_T3_lS7_lPS7_llPT2_S7_S7_S9_l ; -- Begin function _ZN9rocsolver6v33100L18getf2_small_kernelILi35E19rocblas_complex_numIdEiiPKPS3_EEvT1_T3_lS7_lPS7_llPT2_S7_S7_S9_l
	.p2align	8
	.type	_ZN9rocsolver6v33100L18getf2_small_kernelILi35E19rocblas_complex_numIdEiiPKPS3_EEvT1_T3_lS7_lPS7_llPT2_S7_S7_S9_l,@function
_ZN9rocsolver6v33100L18getf2_small_kernelILi35E19rocblas_complex_numIdEiiPKPS3_EEvT1_T3_lS7_lPS7_llPT2_S7_S7_S9_l: ; @_ZN9rocsolver6v33100L18getf2_small_kernelILi35E19rocblas_complex_numIdEiiPKPS3_EEvT1_T3_lS7_lPS7_llPT2_S7_S7_S9_l
; %bb.0:
	s_clause 0x1
	s_load_b32 s2, s[0:1], 0x6c
	s_load_b64 s[12:13], s[0:1], 0x48
	v_bfe_u32 v140, v0, 10, 10
	s_waitcnt lgkmcnt(0)
	s_lshr_b32 s2, s2, 16
	s_delay_alu instid0(VALU_DEP_1) | instid1(SALU_CYCLE_1)
	v_mad_u64_u32 v[144:145], null, s15, s2, v[140:141]
	s_mov_b32 s2, exec_lo
	s_delay_alu instid0(VALU_DEP_1)
	v_cmpx_gt_i32_e64 s12, v144
	s_cbranch_execz .LBB68_738
; %bb.1:
	s_clause 0x1
	s_load_b128 s[4:7], s[0:1], 0x8
	s_load_b128 s[8:11], s[0:1], 0x50
	v_ashrrev_i32_e32 v145, 31, v144
	v_mov_b32_e32 v146, 0
	v_mov_b32_e32 v147, 0
	s_delay_alu instid0(VALU_DEP_3) | instskip(SKIP_1) | instid1(VALU_DEP_1)
	v_lshlrev_b64 v[1:2], 3, v[144:145]
	s_waitcnt lgkmcnt(0)
	v_add_co_u32 v1, vcc_lo, s4, v1
	s_delay_alu instid0(VALU_DEP_2)
	v_add_co_ci_u32_e32 v2, vcc_lo, s5, v2, vcc_lo
	s_cmp_eq_u64 s[8:9], 0
	s_cselect_b32 s4, -1, 0
	global_load_b64 v[1:2], v[1:2], off
	s_and_b32 vcc_lo, exec_lo, s4
	s_cbranch_vccnz .LBB68_3
; %bb.2:
	v_mul_lo_u32 v5, v145, s10
	v_mul_lo_u32 v6, v144, s11
	v_mad_u64_u32 v[3:4], null, v144, s10, 0
	s_delay_alu instid0(VALU_DEP_1) | instskip(NEXT) | instid1(VALU_DEP_1)
	v_add3_u32 v4, v4, v6, v5
	v_lshlrev_b64 v[3:4], 2, v[3:4]
	s_delay_alu instid0(VALU_DEP_1) | instskip(NEXT) | instid1(VALU_DEP_2)
	v_add_co_u32 v146, vcc_lo, s8, v3
	v_add_co_ci_u32_e32 v147, vcc_lo, s9, v4, vcc_lo
.LBB68_3:
	s_clause 0x1
	s_load_b32 s8, s[0:1], 0x18
	s_load_b32 s5, s[0:1], 0x0
	v_and_b32_e32 v154, 0x3ff, v0
	s_lshl_b64 s[2:3], s[6:7], 4
	s_waitcnt vmcnt(0)
	v_add_co_u32 v151, vcc_lo, v1, s2
	s_delay_alu instid0(VALU_DEP_2) | instskip(SKIP_1) | instid1(VALU_DEP_2)
	v_lshlrev_b32_e32 v141, 4, v154
	v_add_co_ci_u32_e32 v152, vcc_lo, s3, v2, vcc_lo
	v_add_co_u32 v2, vcc_lo, v151, v141
	s_delay_alu instid0(VALU_DEP_2)
	v_add_co_ci_u32_e32 v3, vcc_lo, 0, v152, vcc_lo
	s_waitcnt lgkmcnt(0)
	v_add3_u32 v0, s8, s8, v154
	s_ashr_i32 s9, s8, 31
	s_max_i32 s2, s5, 35
	s_lshl_b64 s[10:11], s[8:9], 4
	s_cmp_lt_i32 s5, 2
	v_add_nc_u32_e32 v4, s8, v0
	v_add_co_u32 v6, vcc_lo, v2, s10
	v_ashrrev_i32_e32 v1, 31, v0
	v_add_co_ci_u32_e32 v7, vcc_lo, s11, v3, vcc_lo
	s_delay_alu instid0(VALU_DEP_4) | instskip(SKIP_1) | instid1(VALU_DEP_4)
	v_ashrrev_i32_e32 v5, 31, v4
	v_add_nc_u32_e32 v8, s8, v4
	v_lshlrev_b64 v[0:1], 4, v[0:1]
	s_clause 0x1
	global_load_b128 v[52:55], v[2:3], off
	global_load_b128 v[48:51], v[6:7], off
	v_lshlrev_b64 v[2:3], 4, v[4:5]
	v_ashrrev_i32_e32 v9, 31, v8
	v_add_nc_u32_e32 v4, s8, v8
	v_add_co_u32 v0, vcc_lo, v151, v0
	v_add_co_ci_u32_e32 v1, vcc_lo, v152, v1, vcc_lo
	s_delay_alu instid0(VALU_DEP_4) | instskip(NEXT) | instid1(VALU_DEP_4)
	v_lshlrev_b64 v[6:7], 4, v[8:9]
	v_add_nc_u32_e32 v8, s8, v4
	v_ashrrev_i32_e32 v5, 31, v4
	v_add_co_u32 v2, vcc_lo, v151, v2
	v_add_co_ci_u32_e32 v3, vcc_lo, v152, v3, vcc_lo
	s_delay_alu instid0(VALU_DEP_4) | instskip(NEXT) | instid1(VALU_DEP_4)
	v_add_nc_u32_e32 v10, s8, v8
	v_lshlrev_b64 v[4:5], 4, v[4:5]
	v_ashrrev_i32_e32 v9, 31, v8
	s_clause 0x1
	global_load_b128 v[128:131], v[0:1], off
	global_load_b128 v[112:115], v[2:3], off
	v_add_co_u32 v0, vcc_lo, v151, v6
	v_ashrrev_i32_e32 v11, 31, v10
	v_add_nc_u32_e32 v6, s8, v10
	v_add_co_ci_u32_e32 v1, vcc_lo, v152, v7, vcc_lo
	v_lshlrev_b64 v[2:3], 4, v[8:9]
	v_add_co_u32 v4, vcc_lo, v151, v4
	v_lshlrev_b64 v[8:9], 4, v[10:11]
	v_add_nc_u32_e32 v10, s8, v6
	v_add_co_ci_u32_e32 v5, vcc_lo, v152, v5, vcc_lo
	v_ashrrev_i32_e32 v7, 31, v6
	s_clause 0x1
	global_load_b128 v[116:119], v[0:1], off
	global_load_b128 v[96:99], v[4:5], off
	v_add_co_u32 v0, vcc_lo, v151, v2
	v_ashrrev_i32_e32 v11, 31, v10
	v_add_nc_u32_e32 v4, s8, v10
	v_add_co_ci_u32_e32 v1, vcc_lo, v152, v3, vcc_lo
	v_lshlrev_b64 v[2:3], 4, v[6:7]
	v_add_co_u32 v6, vcc_lo, v151, v8
	v_add_co_ci_u32_e32 v7, vcc_lo, v152, v9, vcc_lo
	v_lshlrev_b64 v[8:9], 4, v[10:11]
	v_add_nc_u32_e32 v10, s8, v4
	v_ashrrev_i32_e32 v5, 31, v4
	v_add_co_u32 v2, vcc_lo, v151, v2
	v_add_co_ci_u32_e32 v3, vcc_lo, v152, v3, vcc_lo
	s_delay_alu instid0(VALU_DEP_4) | instskip(SKIP_3) | instid1(VALU_DEP_4)
	v_add_nc_u32_e32 v12, s8, v10
	v_ashrrev_i32_e32 v11, 31, v10
	v_lshlrev_b64 v[4:5], 4, v[4:5]
	v_add_co_u32 v8, vcc_lo, v151, v8
	v_add_nc_u32_e32 v14, s8, v12
	v_ashrrev_i32_e32 v13, 31, v12
	v_lshlrev_b64 v[10:11], 4, v[10:11]
	v_add_co_ci_u32_e32 v9, vcc_lo, v152, v9, vcc_lo
	s_delay_alu instid0(VALU_DEP_4) | instskip(SKIP_3) | instid1(VALU_DEP_4)
	v_add_nc_u32_e32 v16, s8, v14
	v_ashrrev_i32_e32 v15, 31, v14
	v_add_co_u32 v4, vcc_lo, v151, v4
	v_lshlrev_b64 v[12:13], 4, v[12:13]
	v_add_nc_u32_e32 v18, s8, v16
	v_ashrrev_i32_e32 v17, 31, v16
	v_add_co_ci_u32_e32 v5, vcc_lo, v152, v5, vcc_lo
	v_add_co_u32 v10, vcc_lo, v151, v10
	s_delay_alu instid0(VALU_DEP_4) | instskip(SKIP_3) | instid1(VALU_DEP_4)
	v_add_nc_u32_e32 v20, s8, v18
	v_lshlrev_b64 v[14:15], 4, v[14:15]
	v_ashrrev_i32_e32 v19, 31, v18
	v_add_co_ci_u32_e32 v11, vcc_lo, v152, v11, vcc_lo
	v_add_nc_u32_e32 v22, s8, v20
	v_add_co_u32 v12, vcc_lo, v151, v12
	v_lshlrev_b64 v[16:17], 4, v[16:17]
	v_ashrrev_i32_e32 v21, 31, v20
	s_delay_alu instid0(VALU_DEP_4) | instskip(SKIP_2) | instid1(VALU_DEP_3)
	v_add_nc_u32_e32 v24, s8, v22
	v_add_co_ci_u32_e32 v13, vcc_lo, v152, v13, vcc_lo
	v_add_co_u32 v14, vcc_lo, v151, v14
	v_add_nc_u32_e32 v26, s8, v24
	v_lshlrev_b64 v[18:19], 4, v[18:19]
	v_ashrrev_i32_e32 v23, 31, v22
	v_add_co_ci_u32_e32 v15, vcc_lo, v152, v15, vcc_lo
	s_delay_alu instid0(VALU_DEP_4) | instskip(SKIP_3) | instid1(VALU_DEP_4)
	v_add_nc_u32_e32 v28, s8, v26
	v_add_co_u32 v16, vcc_lo, v151, v16
	v_lshlrev_b64 v[20:21], 4, v[20:21]
	v_ashrrev_i32_e32 v25, 31, v24
	v_add_nc_u32_e32 v30, s8, v28
	v_add_co_ci_u32_e32 v17, vcc_lo, v152, v17, vcc_lo
	v_add_co_u32 v18, vcc_lo, v151, v18
	s_delay_alu instid0(VALU_DEP_3) | instskip(SKIP_3) | instid1(VALU_DEP_4)
	v_add_nc_u32_e32 v32, s8, v30
	v_lshlrev_b64 v[22:23], 4, v[22:23]
	v_ashrrev_i32_e32 v27, 31, v26
	v_add_co_ci_u32_e32 v19, vcc_lo, v152, v19, vcc_lo
	v_add_nc_u32_e32 v34, s8, v32
	v_add_co_u32 v20, vcc_lo, v151, v20
	v_lshlrev_b64 v[24:25], 4, v[24:25]
	v_ashrrev_i32_e32 v29, 31, v28
	v_add_co_ci_u32_e32 v21, vcc_lo, v152, v21, vcc_lo
	v_add_nc_u32_e32 v36, s8, v34
	v_add_co_u32 v22, vcc_lo, v151, v22
	v_lshlrev_b64 v[26:27], 4, v[26:27]
	v_ashrrev_i32_e32 v31, 31, v30
	v_add_co_ci_u32_e32 v23, vcc_lo, v152, v23, vcc_lo
	v_add_co_u32 v24, vcc_lo, v151, v24
	v_lshlrev_b64 v[28:29], 4, v[28:29]
	v_ashrrev_i32_e32 v33, 31, v32
	v_add_nc_u32_e32 v38, s8, v36
	v_add_co_ci_u32_e32 v25, vcc_lo, v152, v25, vcc_lo
	v_add_co_u32 v26, vcc_lo, v151, v26
	v_lshlrev_b64 v[30:31], 4, v[30:31]
	v_ashrrev_i32_e32 v35, 31, v34
	v_add_co_ci_u32_e32 v27, vcc_lo, v152, v27, vcc_lo
	v_add_co_u32 v28, vcc_lo, v151, v28
	v_lshlrev_b64 v[32:33], 4, v[32:33]
	v_add_nc_u32_e32 v40, s8, v38
	v_ashrrev_i32_e32 v37, 31, v36
	v_add_co_ci_u32_e32 v29, vcc_lo, v152, v29, vcc_lo
	v_add_co_u32 v30, vcc_lo, v151, v30
	v_lshlrev_b64 v[34:35], 4, v[34:35]
	v_ashrrev_i32_e32 v39, 31, v38
	v_add_co_ci_u32_e32 v31, vcc_lo, v152, v31, vcc_lo
	v_add_nc_u32_e32 v42, s8, v40
	v_add_co_u32 v32, vcc_lo, v151, v32
	v_lshlrev_b64 v[36:37], 4, v[36:37]
	v_ashrrev_i32_e32 v41, 31, v40
	v_add_co_ci_u32_e32 v33, vcc_lo, v152, v33, vcc_lo
	v_add_co_u32 v34, vcc_lo, v151, v34
	v_lshlrev_b64 v[38:39], 4, v[38:39]
	v_add_nc_u32_e32 v44, s8, v42
	v_add_co_ci_u32_e32 v35, vcc_lo, v152, v35, vcc_lo
	v_add_co_u32 v36, vcc_lo, v151, v36
	v_lshlrev_b64 v[40:41], 4, v[40:41]
	v_ashrrev_i32_e32 v43, 31, v42
	v_add_co_ci_u32_e32 v37, vcc_lo, v152, v37, vcc_lo
	v_add_co_u32 v38, vcc_lo, v151, v38
	v_ashrrev_i32_e32 v45, 31, v44
	v_add_nc_u32_e32 v46, s8, v44
	v_add_co_ci_u32_e32 v39, vcc_lo, v152, v39, vcc_lo
	v_lshlrev_b64 v[42:43], 4, v[42:43]
	v_add_co_u32 v142, vcc_lo, v151, v40
	v_add_co_ci_u32_e32 v143, vcc_lo, v152, v41, vcc_lo
	v_lshlrev_b64 v[40:41], 4, v[44:45]
	v_ashrrev_i32_e32 v47, 31, v46
	v_add_nc_u32_e32 v44, s8, v46
	v_add_co_u32 v148, vcc_lo, v151, v42
	v_add_co_ci_u32_e32 v149, vcc_lo, v152, v43, vcc_lo
	s_delay_alu instid0(VALU_DEP_4) | instskip(NEXT) | instid1(VALU_DEP_4)
	v_lshlrev_b64 v[42:43], 4, v[46:47]
	v_ashrrev_i32_e32 v45, 31, v44
	v_add_nc_u32_e32 v46, s8, v44
	v_add_co_u32 v155, vcc_lo, v151, v40
	v_add_co_ci_u32_e32 v156, vcc_lo, v152, v41, vcc_lo
	s_delay_alu instid0(VALU_DEP_4) | instskip(NEXT) | instid1(VALU_DEP_4)
	;; [unrolled: 6-line block ×4, first 2 shown]
	v_lshlrev_b64 v[40:41], 4, v[44:45]
	v_add_nc_u32_e32 v44, s8, v46
	v_ashrrev_i32_e32 v47, 31, v46
	v_add_co_u32 v161, vcc_lo, v151, v42
	v_add_co_ci_u32_e32 v162, vcc_lo, v152, v43, vcc_lo
	s_delay_alu instid0(VALU_DEP_4) | instskip(NEXT) | instid1(VALU_DEP_4)
	v_ashrrev_i32_e32 v45, 31, v44
	v_lshlrev_b64 v[42:43], 4, v[46:47]
	v_add_co_u32 v163, vcc_lo, v151, v40
	v_add_co_ci_u32_e32 v164, vcc_lo, v152, v41, vcc_lo
	s_delay_alu instid0(VALU_DEP_4) | instskip(NEXT) | instid1(VALU_DEP_4)
	v_lshlrev_b64 v[40:41], 4, v[44:45]
	v_add_co_u32 v165, vcc_lo, v151, v42
	v_add_co_ci_u32_e32 v166, vcc_lo, v152, v43, vcc_lo
	s_delay_alu instid0(VALU_DEP_3) | instskip(NEXT) | instid1(VALU_DEP_4)
	v_add_co_u32 v167, vcc_lo, v151, v40
	v_add_co_ci_u32_e32 v168, vcc_lo, v152, v41, vcc_lo
	s_clause 0x1c
	global_load_b128 v[136:139], v[0:1], off
	global_load_b128 v[132:135], v[6:7], off
	global_load_b128 v[124:127], v[2:3], off
	global_load_b128 v[120:123], v[8:9], off
	global_load_b128 v[108:111], v[4:5], off
	global_load_b128 v[104:107], v[10:11], off
	global_load_b128 v[100:103], v[12:13], off
	global_load_b128 v[92:95], v[14:15], off
	global_load_b128 v[88:91], v[16:17], off
	global_load_b128 v[84:87], v[18:19], off
	global_load_b128 v[80:83], v[20:21], off
	global_load_b128 v[76:79], v[22:23], off
	global_load_b128 v[72:75], v[24:25], off
	global_load_b128 v[68:71], v[26:27], off
	global_load_b128 v[64:67], v[28:29], off
	global_load_b128 v[60:63], v[30:31], off
	global_load_b128 v[56:59], v[32:33], off
	global_load_b128 v[44:47], v[34:35], off
	global_load_b128 v[40:43], v[36:37], off
	global_load_b128 v[36:39], v[38:39], off
	global_load_b128 v[32:35], v[142:143], off
	global_load_b128 v[28:31], v[148:149], off
	global_load_b128 v[24:27], v[155:156], off
	global_load_b128 v[20:23], v[157:158], off
	global_load_b128 v[16:19], v[159:160], off
	global_load_b128 v[12:15], v[161:162], off
	global_load_b128 v[8:11], v[163:164], off
	global_load_b128 v[4:7], v[165:166], off
	global_load_b128 v[0:3], v[167:168], off
	v_mul_lo_u32 v148, s2, v140
	s_delay_alu instid0(VALU_DEP_1) | instskip(SKIP_1) | instid1(VALU_DEP_2)
	v_lshl_add_u32 v150, v148, 4, 0
	v_dual_mov_b32 v148, 0 :: v_dual_lshlrev_b32 v155, 4, v148
	v_add_nc_u32_e32 v140, v150, v141
	s_waitcnt vmcnt(34)
	ds_store_2addr_b64 v140, v[52:53], v[54:55] offset1:1
	s_waitcnt vmcnt(0) lgkmcnt(0)
	s_barrier
	buffer_gl0_inv
	ds_load_2addr_b64 v[140:143], v150 offset1:1
	s_cbranch_scc1 .LBB68_6
; %bb.4:
	v_add3_u32 v149, v155, 0, 16
	v_mov_b32_e32 v148, 0
	s_mov_b32 s6, 1
	s_set_inst_prefetch_distance 0x1
	.p2align	6
.LBB68_5:                               ; =>This Inner Loop Header: Depth=1
	ds_load_2addr_b64 v[156:159], v149 offset1:1
	s_waitcnt lgkmcnt(1)
	v_cmp_gt_f64_e32 vcc_lo, 0, v[140:141]
	v_xor_b32_e32 v153, 0x80000000, v141
	v_cmp_gt_f64_e64 s2, 0, v[142:143]
	v_xor_b32_e32 v160, 0x80000000, v143
	v_add_nc_u32_e32 v149, 16, v149
	s_waitcnt lgkmcnt(0)
	v_cmp_gt_f64_e64 s3, 0, v[156:157]
	v_mov_b32_e32 v164, v156
	v_dual_mov_b32 v166, v158 :: v_dual_cndmask_b32 v161, v141, v153
	v_xor_b32_e32 v153, 0x80000000, v157
	v_cndmask_b32_e64 v163, v143, v160, s2
	v_xor_b32_e32 v160, 0x80000000, v159
	v_cndmask_b32_e64 v162, v142, v142, s2
	s_delay_alu instid0(VALU_DEP_4) | instskip(SKIP_1) | instid1(VALU_DEP_1)
	v_cndmask_b32_e64 v165, v157, v153, s3
	v_cmp_gt_f64_e64 s3, 0, v[158:159]
	v_cndmask_b32_e64 v167, v159, v160, s3
	v_cndmask_b32_e32 v160, v140, v140, vcc_lo
	s_delay_alu instid0(VALU_DEP_2) | instskip(NEXT) | instid1(VALU_DEP_2)
	v_add_f64 v[164:165], v[164:165], v[166:167]
	v_add_f64 v[160:161], v[160:161], v[162:163]
	s_delay_alu instid0(VALU_DEP_1)
	v_cmp_lt_f64_e32 vcc_lo, v[160:161], v[164:165]
	v_cndmask_b32_e32 v143, v143, v159, vcc_lo
	v_dual_cndmask_b32 v141, v141, v157 :: v_dual_cndmask_b32 v140, v140, v156
	v_cndmask_b32_e32 v142, v142, v158, vcc_lo
	v_cndmask_b32_e64 v148, v148, s6, vcc_lo
	s_add_i32 s6, s6, 1
	s_delay_alu instid0(SALU_CYCLE_1)
	s_cmp_eq_u32 s5, s6
	s_cbranch_scc0 .LBB68_5
.LBB68_6:
	s_set_inst_prefetch_distance 0x2
	s_waitcnt lgkmcnt(0)
	v_cmp_neq_f64_e32 vcc_lo, 0, v[140:141]
	v_cmp_neq_f64_e64 s2, 0, v[142:143]
	v_mov_b32_e32 v153, 1
	v_mov_b32_e32 v157, 1
	s_delay_alu instid0(VALU_DEP_3) | instskip(NEXT) | instid1(SALU_CYCLE_1)
	s_or_b32 s2, vcc_lo, s2
	s_and_saveexec_b32 s3, s2
	s_cbranch_execz .LBB68_12
; %bb.7:
	v_cmp_gt_f64_e32 vcc_lo, 0, v[140:141]
	v_cmp_gt_f64_e64 s2, 0, v[142:143]
	v_xor_b32_e32 v149, 0x80000000, v141
	v_xor_b32_e32 v153, 0x80000000, v143
                                        ; implicit-def: $sgpr6
                                        ; implicit-def: $sgpr7
	s_delay_alu instid0(VALU_DEP_2) | instskip(NEXT) | instid1(VALU_DEP_2)
	v_dual_cndmask_b32 v157, v141, v149 :: v_dual_cndmask_b32 v156, v140, v140
	v_cndmask_b32_e64 v159, v143, v153, s2
	v_cndmask_b32_e64 v158, v142, v142, s2
	s_mov_b32 s2, exec_lo
	s_delay_alu instid0(VALU_DEP_1)
	v_cmpx_ngt_f64_e32 v[156:157], v[158:159]
	s_xor_b32 s2, exec_lo, s2
	s_cbranch_execz .LBB68_9
; %bb.8:
	v_div_scale_f64 v[156:157], null, v[142:143], v[142:143], v[140:141]
	v_div_scale_f64 v[162:163], vcc_lo, v[140:141], v[142:143], v[140:141]
	s_mov_b32 s7, 2
	s_mov_b32 s6, 0
	s_delay_alu instid0(VALU_DEP_2) | instskip(SKIP_2) | instid1(VALU_DEP_1)
	v_rcp_f64_e32 v[158:159], v[156:157]
	s_waitcnt_depctr 0xfff
	v_fma_f64 v[160:161], -v[156:157], v[158:159], 1.0
	v_fma_f64 v[158:159], v[158:159], v[160:161], v[158:159]
	s_delay_alu instid0(VALU_DEP_1) | instskip(NEXT) | instid1(VALU_DEP_1)
	v_fma_f64 v[160:161], -v[156:157], v[158:159], 1.0
	v_fma_f64 v[158:159], v[158:159], v[160:161], v[158:159]
	s_delay_alu instid0(VALU_DEP_1) | instskip(NEXT) | instid1(VALU_DEP_1)
	v_mul_f64 v[160:161], v[162:163], v[158:159]
	v_fma_f64 v[156:157], -v[156:157], v[160:161], v[162:163]
	s_delay_alu instid0(VALU_DEP_1) | instskip(NEXT) | instid1(VALU_DEP_1)
	v_div_fmas_f64 v[156:157], v[156:157], v[158:159], v[160:161]
	v_div_fixup_f64 v[156:157], v[156:157], v[142:143], v[140:141]
	s_delay_alu instid0(VALU_DEP_1) | instskip(NEXT) | instid1(VALU_DEP_1)
	v_fma_f64 v[140:141], v[140:141], v[156:157], v[142:143]
	v_div_scale_f64 v[142:143], null, v[140:141], v[140:141], 1.0
	s_delay_alu instid0(VALU_DEP_1) | instskip(SKIP_2) | instid1(VALU_DEP_1)
	v_rcp_f64_e32 v[158:159], v[142:143]
	s_waitcnt_depctr 0xfff
	v_fma_f64 v[160:161], -v[142:143], v[158:159], 1.0
	v_fma_f64 v[158:159], v[158:159], v[160:161], v[158:159]
	s_delay_alu instid0(VALU_DEP_1) | instskip(NEXT) | instid1(VALU_DEP_1)
	v_fma_f64 v[160:161], -v[142:143], v[158:159], 1.0
	v_fma_f64 v[158:159], v[158:159], v[160:161], v[158:159]
	v_div_scale_f64 v[160:161], vcc_lo, 1.0, v[140:141], 1.0
	s_delay_alu instid0(VALU_DEP_1) | instskip(NEXT) | instid1(VALU_DEP_1)
	v_mul_f64 v[162:163], v[160:161], v[158:159]
	v_fma_f64 v[142:143], -v[142:143], v[162:163], v[160:161]
	s_delay_alu instid0(VALU_DEP_1) | instskip(NEXT) | instid1(VALU_DEP_1)
	v_div_fmas_f64 v[142:143], v[142:143], v[158:159], v[162:163]
	v_div_fixup_f64 v[142:143], v[142:143], v[140:141], 1.0
	s_delay_alu instid0(VALU_DEP_1)
	v_mul_f64 v[140:141], v[156:157], v[142:143]
	v_xor_b32_e32 v143, 0x80000000, v143
.LBB68_9:
	s_or_saveexec_b32 s2, s2
	v_mov_b32_e32 v157, s6
	v_mov_b32_e32 v153, s7
	s_xor_b32 exec_lo, exec_lo, s2
	s_cbranch_execz .LBB68_11
; %bb.10:
	s_delay_alu instid0(VALU_DEP_4) | instskip(SKIP_2) | instid1(VALU_DEP_3)
	v_div_scale_f64 v[156:157], null, v[140:141], v[140:141], v[142:143]
	v_div_scale_f64 v[162:163], vcc_lo, v[142:143], v[140:141], v[142:143]
	v_mov_b32_e32 v153, 2
	v_rcp_f64_e32 v[158:159], v[156:157]
	s_waitcnt_depctr 0xfff
	v_fma_f64 v[160:161], -v[156:157], v[158:159], 1.0
	s_delay_alu instid0(VALU_DEP_1) | instskip(NEXT) | instid1(VALU_DEP_1)
	v_fma_f64 v[158:159], v[158:159], v[160:161], v[158:159]
	v_fma_f64 v[160:161], -v[156:157], v[158:159], 1.0
	s_delay_alu instid0(VALU_DEP_1) | instskip(NEXT) | instid1(VALU_DEP_1)
	v_fma_f64 v[158:159], v[158:159], v[160:161], v[158:159]
	v_mul_f64 v[160:161], v[162:163], v[158:159]
	s_delay_alu instid0(VALU_DEP_1) | instskip(NEXT) | instid1(VALU_DEP_1)
	v_fma_f64 v[156:157], -v[156:157], v[160:161], v[162:163]
	v_div_fmas_f64 v[156:157], v[156:157], v[158:159], v[160:161]
	s_delay_alu instid0(VALU_DEP_1) | instskip(NEXT) | instid1(VALU_DEP_1)
	v_div_fixup_f64 v[156:157], v[156:157], v[140:141], v[142:143]
	v_fma_f64 v[140:141], v[142:143], v[156:157], v[140:141]
	s_delay_alu instid0(VALU_DEP_1) | instskip(NEXT) | instid1(VALU_DEP_1)
	v_div_scale_f64 v[142:143], null, v[140:141], v[140:141], 1.0
	v_rcp_f64_e32 v[158:159], v[142:143]
	s_waitcnt_depctr 0xfff
	v_fma_f64 v[160:161], -v[142:143], v[158:159], 1.0
	s_delay_alu instid0(VALU_DEP_1) | instskip(NEXT) | instid1(VALU_DEP_1)
	v_fma_f64 v[158:159], v[158:159], v[160:161], v[158:159]
	v_fma_f64 v[160:161], -v[142:143], v[158:159], 1.0
	s_delay_alu instid0(VALU_DEP_1) | instskip(SKIP_1) | instid1(VALU_DEP_1)
	v_fma_f64 v[158:159], v[158:159], v[160:161], v[158:159]
	v_div_scale_f64 v[160:161], vcc_lo, 1.0, v[140:141], 1.0
	v_mul_f64 v[162:163], v[160:161], v[158:159]
	s_delay_alu instid0(VALU_DEP_1) | instskip(NEXT) | instid1(VALU_DEP_1)
	v_fma_f64 v[142:143], -v[142:143], v[162:163], v[160:161]
	v_div_fmas_f64 v[142:143], v[142:143], v[158:159], v[162:163]
	s_delay_alu instid0(VALU_DEP_1) | instskip(NEXT) | instid1(VALU_DEP_1)
	v_div_fixup_f64 v[140:141], v[142:143], v[140:141], 1.0
	v_mul_f64 v[142:143], v[156:157], -v[140:141]
	v_mov_b32_e32 v157, 0
.LBB68_11:
	s_or_b32 exec_lo, exec_lo, s2
.LBB68_12:
	s_delay_alu instid0(SALU_CYCLE_1) | instskip(NEXT) | instid1(SALU_CYCLE_1)
	s_or_b32 exec_lo, exec_lo, s3
	s_mov_b32 s2, exec_lo
	v_cmpx_ne_u32_e64 v154, v148
	s_xor_b32 s2, exec_lo, s2
	s_cbranch_execz .LBB68_18
; %bb.13:
	s_mov_b32 s3, exec_lo
	v_cmpx_eq_u32_e32 0, v154
	s_cbranch_execz .LBB68_17
; %bb.14:
	v_cmp_ne_u32_e32 vcc_lo, 0, v148
	s_xor_b32 s6, s4, -1
	s_delay_alu instid0(SALU_CYCLE_1) | instskip(NEXT) | instid1(SALU_CYCLE_1)
	s_and_b32 s7, s6, vcc_lo
	s_and_saveexec_b32 s6, s7
	s_cbranch_execz .LBB68_16
; %bb.15:
	v_ashrrev_i32_e32 v149, 31, v148
	s_delay_alu instid0(VALU_DEP_1) | instskip(NEXT) | instid1(VALU_DEP_1)
	v_lshlrev_b64 v[158:159], 2, v[148:149]
	v_add_co_u32 v158, vcc_lo, v146, v158
	s_delay_alu instid0(VALU_DEP_2)
	v_add_co_ci_u32_e32 v159, vcc_lo, v147, v159, vcc_lo
	s_clause 0x1
	flat_load_b32 v149, v[158:159]
	flat_load_b32 v154, v[146:147]
	s_waitcnt vmcnt(1) lgkmcnt(1)
	flat_store_b32 v[146:147], v149
	s_waitcnt vmcnt(0) lgkmcnt(1)
	flat_store_b32 v[158:159], v154
.LBB68_16:
	s_or_b32 exec_lo, exec_lo, s6
	v_mov_b32_e32 v154, v148
.LBB68_17:
	s_or_b32 exec_lo, exec_lo, s3
.LBB68_18:
	s_or_saveexec_b32 s2, s2
	s_delay_alu instid0(VALU_DEP_1)
	v_mov_b32_e32 v156, v154
	s_xor_b32 exec_lo, exec_lo, s2
	s_cbranch_execz .LBB68_20
; %bb.19:
	v_mov_b32_e32 v156, 0
	ds_store_2addr_b64 v150, v[48:49], v[50:51] offset0:2 offset1:3
	ds_store_2addr_b64 v150, v[128:129], v[130:131] offset0:4 offset1:5
	;; [unrolled: 1-line block ×34, first 2 shown]
.LBB68_20:
	s_or_b32 exec_lo, exec_lo, s2
	s_delay_alu instid0(SALU_CYCLE_1)
	s_mov_b32 s2, exec_lo
	s_waitcnt lgkmcnt(0)
	s_waitcnt_vscnt null, 0x0
	s_barrier
	buffer_gl0_inv
	v_cmpx_lt_i32_e32 0, v156
	s_cbranch_execz .LBB68_22
; %bb.21:
	v_mul_f64 v[148:149], v[142:143], v[54:55]
	v_mul_f64 v[54:55], v[140:141], v[54:55]
	s_delay_alu instid0(VALU_DEP_2) | instskip(NEXT) | instid1(VALU_DEP_2)
	v_fma_f64 v[148:149], v[140:141], v[52:53], -v[148:149]
	v_fma_f64 v[54:55], v[142:143], v[52:53], v[54:55]
	ds_load_2addr_b64 v[140:143], v150 offset0:2 offset1:3
	s_waitcnt lgkmcnt(0)
	v_mul_f64 v[52:53], v[142:143], v[54:55]
	s_delay_alu instid0(VALU_DEP_1) | instskip(SKIP_1) | instid1(VALU_DEP_2)
	v_fma_f64 v[52:53], v[140:141], v[148:149], -v[52:53]
	v_mul_f64 v[140:141], v[140:141], v[54:55]
	v_add_f64 v[48:49], v[48:49], -v[52:53]
	s_delay_alu instid0(VALU_DEP_2) | instskip(NEXT) | instid1(VALU_DEP_1)
	v_fma_f64 v[140:141], v[142:143], v[148:149], v[140:141]
	v_add_f64 v[50:51], v[50:51], -v[140:141]
	ds_load_2addr_b64 v[140:143], v150 offset0:4 offset1:5
	s_waitcnt lgkmcnt(0)
	v_mul_f64 v[52:53], v[142:143], v[54:55]
	s_delay_alu instid0(VALU_DEP_1) | instskip(SKIP_1) | instid1(VALU_DEP_2)
	v_fma_f64 v[52:53], v[140:141], v[148:149], -v[52:53]
	v_mul_f64 v[140:141], v[140:141], v[54:55]
	v_add_f64 v[128:129], v[128:129], -v[52:53]
	s_delay_alu instid0(VALU_DEP_2) | instskip(NEXT) | instid1(VALU_DEP_1)
	v_fma_f64 v[140:141], v[142:143], v[148:149], v[140:141]
	v_add_f64 v[130:131], v[130:131], -v[140:141]
	;; [unrolled: 10-line block ×33, first 2 shown]
	ds_load_2addr_b64 v[140:143], v150 offset0:68 offset1:69
	s_waitcnt lgkmcnt(0)
	v_mul_f64 v[52:53], v[142:143], v[54:55]
	s_delay_alu instid0(VALU_DEP_1) | instskip(SKIP_1) | instid1(VALU_DEP_2)
	v_fma_f64 v[52:53], v[140:141], v[148:149], -v[52:53]
	v_mul_f64 v[140:141], v[140:141], v[54:55]
	v_add_f64 v[0:1], v[0:1], -v[52:53]
	s_delay_alu instid0(VALU_DEP_2) | instskip(SKIP_1) | instid1(VALU_DEP_2)
	v_fma_f64 v[140:141], v[142:143], v[148:149], v[140:141]
	v_dual_mov_b32 v52, v148 :: v_dual_mov_b32 v53, v149
	v_add_f64 v[2:3], v[2:3], -v[140:141]
.LBB68_22:
	s_or_b32 exec_lo, exec_lo, s2
	v_lshl_add_u32 v140, v156, 4, v150
	s_barrier
	buffer_gl0_inv
	v_mov_b32_e32 v148, 1
	ds_store_2addr_b64 v140, v[48:49], v[50:51] offset1:1
	s_waitcnt lgkmcnt(0)
	s_barrier
	buffer_gl0_inv
	ds_load_2addr_b64 v[140:143], v150 offset0:2 offset1:3
	s_cmp_lt_i32 s5, 3
	s_cbranch_scc1 .LBB68_25
; %bb.23:
	v_add3_u32 v149, v155, 0, 32
	v_mov_b32_e32 v148, 1
	s_mov_b32 s6, 2
	s_set_inst_prefetch_distance 0x1
	.p2align	6
.LBB68_24:                              ; =>This Inner Loop Header: Depth=1
	ds_load_2addr_b64 v[158:161], v149 offset1:1
	s_waitcnt lgkmcnt(1)
	v_cmp_gt_f64_e32 vcc_lo, 0, v[140:141]
	v_xor_b32_e32 v162, 0x80000000, v141
	v_cmp_gt_f64_e64 s2, 0, v[142:143]
	v_xor_b32_e32 v164, 0x80000000, v143
	v_add_nc_u32_e32 v149, 16, v149
	s_waitcnt lgkmcnt(0)
	v_cmp_gt_f64_e64 s3, 0, v[158:159]
	v_mov_b32_e32 v166, v158
	v_dual_mov_b32 v168, v160 :: v_dual_cndmask_b32 v163, v141, v162
	v_xor_b32_e32 v162, 0x80000000, v159
	v_cndmask_b32_e64 v165, v143, v164, s2
	v_xor_b32_e32 v164, 0x80000000, v161
	s_delay_alu instid0(VALU_DEP_3) | instskip(SKIP_2) | instid1(VALU_DEP_2)
	v_cndmask_b32_e64 v167, v159, v162, s3
	v_cmp_gt_f64_e64 s3, 0, v[160:161]
	v_cndmask_b32_e32 v162, v140, v140, vcc_lo
	v_cndmask_b32_e64 v169, v161, v164, s3
	v_cndmask_b32_e64 v164, v142, v142, s2
	s_delay_alu instid0(VALU_DEP_2) | instskip(NEXT) | instid1(VALU_DEP_2)
	v_add_f64 v[166:167], v[166:167], v[168:169]
	v_add_f64 v[162:163], v[162:163], v[164:165]
	s_delay_alu instid0(VALU_DEP_1)
	v_cmp_lt_f64_e32 vcc_lo, v[162:163], v[166:167]
	v_cndmask_b32_e32 v143, v143, v161, vcc_lo
	v_dual_cndmask_b32 v141, v141, v159 :: v_dual_cndmask_b32 v140, v140, v158
	v_cndmask_b32_e32 v142, v142, v160, vcc_lo
	v_cndmask_b32_e64 v148, v148, s6, vcc_lo
	s_add_i32 s6, s6, 1
	s_delay_alu instid0(SALU_CYCLE_1)
	s_cmp_lg_u32 s5, s6
	s_cbranch_scc1 .LBB68_24
.LBB68_25:
	s_set_inst_prefetch_distance 0x2
	s_waitcnt lgkmcnt(0)
	v_cmp_neq_f64_e32 vcc_lo, 0, v[140:141]
	v_cmp_neq_f64_e64 s2, 0, v[142:143]
	s_delay_alu instid0(VALU_DEP_1) | instskip(NEXT) | instid1(SALU_CYCLE_1)
	s_or_b32 s2, vcc_lo, s2
	s_and_saveexec_b32 s3, s2
	s_cbranch_execz .LBB68_31
; %bb.26:
	v_cmp_gt_f64_e32 vcc_lo, 0, v[140:141]
	v_cmp_gt_f64_e64 s2, 0, v[142:143]
	v_xor_b32_e32 v149, 0x80000000, v141
	v_xor_b32_e32 v153, 0x80000000, v143
	s_delay_alu instid0(VALU_DEP_2) | instskip(NEXT) | instid1(VALU_DEP_2)
	v_dual_cndmask_b32 v159, v141, v149 :: v_dual_cndmask_b32 v158, v140, v140
	v_cndmask_b32_e64 v161, v143, v153, s2
	v_cndmask_b32_e64 v160, v142, v142, s2
	s_mov_b32 s2, exec_lo
	s_delay_alu instid0(VALU_DEP_1)
	v_cmpx_ngt_f64_e32 v[158:159], v[160:161]
	s_xor_b32 s2, exec_lo, s2
	s_cbranch_execz .LBB68_28
; %bb.27:
	v_div_scale_f64 v[158:159], null, v[142:143], v[142:143], v[140:141]
	v_div_scale_f64 v[164:165], vcc_lo, v[140:141], v[142:143], v[140:141]
	s_delay_alu instid0(VALU_DEP_2) | instskip(SKIP_2) | instid1(VALU_DEP_1)
	v_rcp_f64_e32 v[160:161], v[158:159]
	s_waitcnt_depctr 0xfff
	v_fma_f64 v[162:163], -v[158:159], v[160:161], 1.0
	v_fma_f64 v[160:161], v[160:161], v[162:163], v[160:161]
	s_delay_alu instid0(VALU_DEP_1) | instskip(NEXT) | instid1(VALU_DEP_1)
	v_fma_f64 v[162:163], -v[158:159], v[160:161], 1.0
	v_fma_f64 v[160:161], v[160:161], v[162:163], v[160:161]
	s_delay_alu instid0(VALU_DEP_1) | instskip(NEXT) | instid1(VALU_DEP_1)
	v_mul_f64 v[162:163], v[164:165], v[160:161]
	v_fma_f64 v[158:159], -v[158:159], v[162:163], v[164:165]
	s_delay_alu instid0(VALU_DEP_1) | instskip(NEXT) | instid1(VALU_DEP_1)
	v_div_fmas_f64 v[158:159], v[158:159], v[160:161], v[162:163]
	v_div_fixup_f64 v[158:159], v[158:159], v[142:143], v[140:141]
	s_delay_alu instid0(VALU_DEP_1) | instskip(NEXT) | instid1(VALU_DEP_1)
	v_fma_f64 v[140:141], v[140:141], v[158:159], v[142:143]
	v_div_scale_f64 v[142:143], null, v[140:141], v[140:141], 1.0
	s_delay_alu instid0(VALU_DEP_1) | instskip(SKIP_2) | instid1(VALU_DEP_1)
	v_rcp_f64_e32 v[160:161], v[142:143]
	s_waitcnt_depctr 0xfff
	v_fma_f64 v[162:163], -v[142:143], v[160:161], 1.0
	v_fma_f64 v[160:161], v[160:161], v[162:163], v[160:161]
	s_delay_alu instid0(VALU_DEP_1) | instskip(NEXT) | instid1(VALU_DEP_1)
	v_fma_f64 v[162:163], -v[142:143], v[160:161], 1.0
	v_fma_f64 v[160:161], v[160:161], v[162:163], v[160:161]
	v_div_scale_f64 v[162:163], vcc_lo, 1.0, v[140:141], 1.0
	s_delay_alu instid0(VALU_DEP_1) | instskip(NEXT) | instid1(VALU_DEP_1)
	v_mul_f64 v[164:165], v[162:163], v[160:161]
	v_fma_f64 v[142:143], -v[142:143], v[164:165], v[162:163]
	s_delay_alu instid0(VALU_DEP_1) | instskip(NEXT) | instid1(VALU_DEP_1)
	v_div_fmas_f64 v[142:143], v[142:143], v[160:161], v[164:165]
	v_div_fixup_f64 v[142:143], v[142:143], v[140:141], 1.0
	s_delay_alu instid0(VALU_DEP_1)
	v_mul_f64 v[140:141], v[158:159], v[142:143]
	v_xor_b32_e32 v143, 0x80000000, v143
.LBB68_28:
	s_and_not1_saveexec_b32 s2, s2
	s_cbranch_execz .LBB68_30
; %bb.29:
	s_delay_alu instid0(VALU_DEP_1) | instskip(SKIP_1) | instid1(VALU_DEP_2)
	v_div_scale_f64 v[158:159], null, v[140:141], v[140:141], v[142:143]
	v_div_scale_f64 v[164:165], vcc_lo, v[142:143], v[140:141], v[142:143]
	v_rcp_f64_e32 v[160:161], v[158:159]
	s_waitcnt_depctr 0xfff
	v_fma_f64 v[162:163], -v[158:159], v[160:161], 1.0
	s_delay_alu instid0(VALU_DEP_1) | instskip(NEXT) | instid1(VALU_DEP_1)
	v_fma_f64 v[160:161], v[160:161], v[162:163], v[160:161]
	v_fma_f64 v[162:163], -v[158:159], v[160:161], 1.0
	s_delay_alu instid0(VALU_DEP_1) | instskip(NEXT) | instid1(VALU_DEP_1)
	v_fma_f64 v[160:161], v[160:161], v[162:163], v[160:161]
	v_mul_f64 v[162:163], v[164:165], v[160:161]
	s_delay_alu instid0(VALU_DEP_1) | instskip(NEXT) | instid1(VALU_DEP_1)
	v_fma_f64 v[158:159], -v[158:159], v[162:163], v[164:165]
	v_div_fmas_f64 v[158:159], v[158:159], v[160:161], v[162:163]
	s_delay_alu instid0(VALU_DEP_1) | instskip(NEXT) | instid1(VALU_DEP_1)
	v_div_fixup_f64 v[158:159], v[158:159], v[140:141], v[142:143]
	v_fma_f64 v[140:141], v[142:143], v[158:159], v[140:141]
	s_delay_alu instid0(VALU_DEP_1) | instskip(NEXT) | instid1(VALU_DEP_1)
	v_div_scale_f64 v[142:143], null, v[140:141], v[140:141], 1.0
	v_rcp_f64_e32 v[160:161], v[142:143]
	s_waitcnt_depctr 0xfff
	v_fma_f64 v[162:163], -v[142:143], v[160:161], 1.0
	s_delay_alu instid0(VALU_DEP_1) | instskip(NEXT) | instid1(VALU_DEP_1)
	v_fma_f64 v[160:161], v[160:161], v[162:163], v[160:161]
	v_fma_f64 v[162:163], -v[142:143], v[160:161], 1.0
	s_delay_alu instid0(VALU_DEP_1) | instskip(SKIP_1) | instid1(VALU_DEP_1)
	v_fma_f64 v[160:161], v[160:161], v[162:163], v[160:161]
	v_div_scale_f64 v[162:163], vcc_lo, 1.0, v[140:141], 1.0
	v_mul_f64 v[164:165], v[162:163], v[160:161]
	s_delay_alu instid0(VALU_DEP_1) | instskip(NEXT) | instid1(VALU_DEP_1)
	v_fma_f64 v[142:143], -v[142:143], v[164:165], v[162:163]
	v_div_fmas_f64 v[142:143], v[142:143], v[160:161], v[164:165]
	s_delay_alu instid0(VALU_DEP_1) | instskip(NEXT) | instid1(VALU_DEP_1)
	v_div_fixup_f64 v[140:141], v[142:143], v[140:141], 1.0
	v_mul_f64 v[142:143], v[158:159], -v[140:141]
.LBB68_30:
	s_or_b32 exec_lo, exec_lo, s2
	v_mov_b32_e32 v153, v157
.LBB68_31:
	s_or_b32 exec_lo, exec_lo, s3
	s_delay_alu instid0(SALU_CYCLE_1)
	s_mov_b32 s2, exec_lo
	v_cmpx_ne_u32_e64 v156, v148
	s_xor_b32 s2, exec_lo, s2
	s_cbranch_execz .LBB68_37
; %bb.32:
	s_mov_b32 s3, exec_lo
	v_cmpx_eq_u32_e32 1, v156
	s_cbranch_execz .LBB68_36
; %bb.33:
	v_cmp_ne_u32_e32 vcc_lo, 1, v148
	s_xor_b32 s6, s4, -1
	s_delay_alu instid0(SALU_CYCLE_1) | instskip(NEXT) | instid1(SALU_CYCLE_1)
	s_and_b32 s7, s6, vcc_lo
	s_and_saveexec_b32 s6, s7
	s_cbranch_execz .LBB68_35
; %bb.34:
	v_ashrrev_i32_e32 v149, 31, v148
	s_delay_alu instid0(VALU_DEP_1) | instskip(NEXT) | instid1(VALU_DEP_1)
	v_lshlrev_b64 v[156:157], 2, v[148:149]
	v_add_co_u32 v156, vcc_lo, v146, v156
	s_delay_alu instid0(VALU_DEP_2)
	v_add_co_ci_u32_e32 v157, vcc_lo, v147, v157, vcc_lo
	s_clause 0x1
	flat_load_b32 v149, v[156:157]
	flat_load_b32 v154, v[146:147] offset:4
	s_waitcnt vmcnt(1) lgkmcnt(1)
	flat_store_b32 v[146:147], v149 offset:4
	s_waitcnt vmcnt(0) lgkmcnt(1)
	flat_store_b32 v[156:157], v154
.LBB68_35:
	s_or_b32 exec_lo, exec_lo, s6
	v_mov_b32_e32 v156, v148
	v_mov_b32_e32 v154, v148
.LBB68_36:
	s_or_b32 exec_lo, exec_lo, s3
.LBB68_37:
	s_and_not1_saveexec_b32 s2, s2
	s_cbranch_execz .LBB68_39
; %bb.38:
	v_mov_b32_e32 v156, 1
	ds_store_2addr_b64 v150, v[128:129], v[130:131] offset0:4 offset1:5
	ds_store_2addr_b64 v150, v[112:113], v[114:115] offset0:6 offset1:7
	;; [unrolled: 1-line block ×33, first 2 shown]
.LBB68_39:
	s_or_b32 exec_lo, exec_lo, s2
	s_delay_alu instid0(SALU_CYCLE_1)
	s_mov_b32 s2, exec_lo
	s_waitcnt lgkmcnt(0)
	s_waitcnt_vscnt null, 0x0
	s_barrier
	buffer_gl0_inv
	v_cmpx_lt_i32_e32 1, v156
	s_cbranch_execz .LBB68_41
; %bb.40:
	v_mul_f64 v[148:149], v[142:143], v[50:51]
	v_mul_f64 v[50:51], v[140:141], v[50:51]
	s_delay_alu instid0(VALU_DEP_2) | instskip(NEXT) | instid1(VALU_DEP_2)
	v_fma_f64 v[148:149], v[140:141], v[48:49], -v[148:149]
	v_fma_f64 v[50:51], v[142:143], v[48:49], v[50:51]
	ds_load_2addr_b64 v[140:143], v150 offset0:4 offset1:5
	s_waitcnt lgkmcnt(0)
	v_mul_f64 v[48:49], v[142:143], v[50:51]
	s_delay_alu instid0(VALU_DEP_1) | instskip(SKIP_1) | instid1(VALU_DEP_2)
	v_fma_f64 v[48:49], v[140:141], v[148:149], -v[48:49]
	v_mul_f64 v[140:141], v[140:141], v[50:51]
	v_add_f64 v[128:129], v[128:129], -v[48:49]
	s_delay_alu instid0(VALU_DEP_2) | instskip(NEXT) | instid1(VALU_DEP_1)
	v_fma_f64 v[140:141], v[142:143], v[148:149], v[140:141]
	v_add_f64 v[130:131], v[130:131], -v[140:141]
	ds_load_2addr_b64 v[140:143], v150 offset0:6 offset1:7
	s_waitcnt lgkmcnt(0)
	v_mul_f64 v[48:49], v[142:143], v[50:51]
	s_delay_alu instid0(VALU_DEP_1) | instskip(SKIP_1) | instid1(VALU_DEP_2)
	v_fma_f64 v[48:49], v[140:141], v[148:149], -v[48:49]
	v_mul_f64 v[140:141], v[140:141], v[50:51]
	v_add_f64 v[112:113], v[112:113], -v[48:49]
	s_delay_alu instid0(VALU_DEP_2) | instskip(NEXT) | instid1(VALU_DEP_1)
	v_fma_f64 v[140:141], v[142:143], v[148:149], v[140:141]
	v_add_f64 v[114:115], v[114:115], -v[140:141]
	;; [unrolled: 10-line block ×32, first 2 shown]
	ds_load_2addr_b64 v[140:143], v150 offset0:68 offset1:69
	s_waitcnt lgkmcnt(0)
	v_mul_f64 v[48:49], v[142:143], v[50:51]
	s_delay_alu instid0(VALU_DEP_1) | instskip(SKIP_1) | instid1(VALU_DEP_2)
	v_fma_f64 v[48:49], v[140:141], v[148:149], -v[48:49]
	v_mul_f64 v[140:141], v[140:141], v[50:51]
	v_add_f64 v[0:1], v[0:1], -v[48:49]
	s_delay_alu instid0(VALU_DEP_2) | instskip(SKIP_1) | instid1(VALU_DEP_2)
	v_fma_f64 v[140:141], v[142:143], v[148:149], v[140:141]
	v_dual_mov_b32 v48, v148 :: v_dual_mov_b32 v49, v149
	v_add_f64 v[2:3], v[2:3], -v[140:141]
.LBB68_41:
	s_or_b32 exec_lo, exec_lo, s2
	v_lshl_add_u32 v140, v156, 4, v150
	s_barrier
	buffer_gl0_inv
	v_mov_b32_e32 v148, 2
	ds_store_2addr_b64 v140, v[128:129], v[130:131] offset1:1
	s_waitcnt lgkmcnt(0)
	s_barrier
	buffer_gl0_inv
	ds_load_2addr_b64 v[140:143], v150 offset0:4 offset1:5
	s_cmp_lt_i32 s5, 4
	s_cbranch_scc1 .LBB68_44
; %bb.42:
	v_add3_u32 v149, v155, 0, 48
	v_mov_b32_e32 v148, 2
	s_mov_b32 s6, 3
	s_set_inst_prefetch_distance 0x1
	.p2align	6
.LBB68_43:                              ; =>This Inner Loop Header: Depth=1
	ds_load_2addr_b64 v[157:160], v149 offset1:1
	s_waitcnt lgkmcnt(1)
	v_cmp_gt_f64_e32 vcc_lo, 0, v[140:141]
	v_xor_b32_e32 v161, 0x80000000, v141
	v_cmp_gt_f64_e64 s2, 0, v[142:143]
	v_xor_b32_e32 v163, 0x80000000, v143
	v_add_nc_u32_e32 v149, 16, v149
	s_waitcnt lgkmcnt(0)
	v_cmp_gt_f64_e64 s3, 0, v[157:158]
	v_mov_b32_e32 v165, v157
	v_dual_mov_b32 v167, v159 :: v_dual_cndmask_b32 v162, v141, v161
	v_xor_b32_e32 v161, 0x80000000, v158
	v_cndmask_b32_e64 v164, v143, v163, s2
	v_xor_b32_e32 v163, 0x80000000, v160
	s_delay_alu instid0(VALU_DEP_3) | instskip(SKIP_2) | instid1(VALU_DEP_2)
	v_cndmask_b32_e64 v166, v158, v161, s3
	v_cmp_gt_f64_e64 s3, 0, v[159:160]
	v_cndmask_b32_e32 v161, v140, v140, vcc_lo
	v_cndmask_b32_e64 v168, v160, v163, s3
	v_cndmask_b32_e64 v163, v142, v142, s2
	s_delay_alu instid0(VALU_DEP_2) | instskip(NEXT) | instid1(VALU_DEP_2)
	v_add_f64 v[165:166], v[165:166], v[167:168]
	v_add_f64 v[161:162], v[161:162], v[163:164]
	s_delay_alu instid0(VALU_DEP_1) | instskip(SKIP_4) | instid1(SALU_CYCLE_1)
	v_cmp_lt_f64_e32 vcc_lo, v[161:162], v[165:166]
	v_dual_cndmask_b32 v142, v142, v159 :: v_dual_cndmask_b32 v141, v141, v158
	v_dual_cndmask_b32 v140, v140, v157 :: v_dual_cndmask_b32 v143, v143, v160
	v_cndmask_b32_e64 v148, v148, s6, vcc_lo
	s_add_i32 s6, s6, 1
	s_cmp_lg_u32 s5, s6
	s_cbranch_scc1 .LBB68_43
.LBB68_44:
	s_set_inst_prefetch_distance 0x2
	s_waitcnt lgkmcnt(0)
	v_cmp_eq_f64_e32 vcc_lo, 0, v[140:141]
	v_cmp_eq_f64_e64 s2, 0, v[142:143]
	s_delay_alu instid0(VALU_DEP_1) | instskip(NEXT) | instid1(SALU_CYCLE_1)
	s_and_b32 s2, vcc_lo, s2
	s_and_saveexec_b32 s3, s2
	s_delay_alu instid0(SALU_CYCLE_1)
	s_xor_b32 s2, exec_lo, s3
; %bb.45:
	v_cmp_ne_u32_e32 vcc_lo, 0, v153
	v_cndmask_b32_e32 v153, 3, v153, vcc_lo
; %bb.46:
	s_and_not1_saveexec_b32 s3, s2
	s_cbranch_execz .LBB68_52
; %bb.47:
	v_cmp_gt_f64_e32 vcc_lo, 0, v[140:141]
	v_cmp_gt_f64_e64 s2, 0, v[142:143]
	v_xor_b32_e32 v149, 0x80000000, v141
	v_xor_b32_e32 v157, 0x80000000, v143
	s_delay_alu instid0(VALU_DEP_2) | instskip(NEXT) | instid1(VALU_DEP_2)
	v_cndmask_b32_e32 v158, v141, v149, vcc_lo
	v_cndmask_b32_e64 v160, v143, v157, s2
	v_cndmask_b32_e32 v157, v140, v140, vcc_lo
	v_cndmask_b32_e64 v159, v142, v142, s2
	s_mov_b32 s2, exec_lo
	s_delay_alu instid0(VALU_DEP_1)
	v_cmpx_ngt_f64_e32 v[157:158], v[159:160]
	s_xor_b32 s2, exec_lo, s2
	s_cbranch_execz .LBB68_49
; %bb.48:
	v_div_scale_f64 v[157:158], null, v[142:143], v[142:143], v[140:141]
	v_div_scale_f64 v[163:164], vcc_lo, v[140:141], v[142:143], v[140:141]
	s_delay_alu instid0(VALU_DEP_2) | instskip(SKIP_2) | instid1(VALU_DEP_1)
	v_rcp_f64_e32 v[159:160], v[157:158]
	s_waitcnt_depctr 0xfff
	v_fma_f64 v[161:162], -v[157:158], v[159:160], 1.0
	v_fma_f64 v[159:160], v[159:160], v[161:162], v[159:160]
	s_delay_alu instid0(VALU_DEP_1) | instskip(NEXT) | instid1(VALU_DEP_1)
	v_fma_f64 v[161:162], -v[157:158], v[159:160], 1.0
	v_fma_f64 v[159:160], v[159:160], v[161:162], v[159:160]
	s_delay_alu instid0(VALU_DEP_1) | instskip(NEXT) | instid1(VALU_DEP_1)
	v_mul_f64 v[161:162], v[163:164], v[159:160]
	v_fma_f64 v[157:158], -v[157:158], v[161:162], v[163:164]
	s_delay_alu instid0(VALU_DEP_1) | instskip(NEXT) | instid1(VALU_DEP_1)
	v_div_fmas_f64 v[157:158], v[157:158], v[159:160], v[161:162]
	v_div_fixup_f64 v[157:158], v[157:158], v[142:143], v[140:141]
	s_delay_alu instid0(VALU_DEP_1) | instskip(NEXT) | instid1(VALU_DEP_1)
	v_fma_f64 v[140:141], v[140:141], v[157:158], v[142:143]
	v_div_scale_f64 v[142:143], null, v[140:141], v[140:141], 1.0
	s_delay_alu instid0(VALU_DEP_1) | instskip(SKIP_2) | instid1(VALU_DEP_1)
	v_rcp_f64_e32 v[159:160], v[142:143]
	s_waitcnt_depctr 0xfff
	v_fma_f64 v[161:162], -v[142:143], v[159:160], 1.0
	v_fma_f64 v[159:160], v[159:160], v[161:162], v[159:160]
	s_delay_alu instid0(VALU_DEP_1) | instskip(NEXT) | instid1(VALU_DEP_1)
	v_fma_f64 v[161:162], -v[142:143], v[159:160], 1.0
	v_fma_f64 v[159:160], v[159:160], v[161:162], v[159:160]
	v_div_scale_f64 v[161:162], vcc_lo, 1.0, v[140:141], 1.0
	s_delay_alu instid0(VALU_DEP_1) | instskip(NEXT) | instid1(VALU_DEP_1)
	v_mul_f64 v[163:164], v[161:162], v[159:160]
	v_fma_f64 v[142:143], -v[142:143], v[163:164], v[161:162]
	s_delay_alu instid0(VALU_DEP_1) | instskip(NEXT) | instid1(VALU_DEP_1)
	v_div_fmas_f64 v[142:143], v[142:143], v[159:160], v[163:164]
	v_div_fixup_f64 v[142:143], v[142:143], v[140:141], 1.0
	s_delay_alu instid0(VALU_DEP_1)
	v_mul_f64 v[140:141], v[157:158], v[142:143]
	v_xor_b32_e32 v143, 0x80000000, v143
.LBB68_49:
	s_and_not1_saveexec_b32 s2, s2
	s_cbranch_execz .LBB68_51
; %bb.50:
	s_delay_alu instid0(VALU_DEP_1) | instskip(SKIP_1) | instid1(VALU_DEP_2)
	v_div_scale_f64 v[157:158], null, v[140:141], v[140:141], v[142:143]
	v_div_scale_f64 v[163:164], vcc_lo, v[142:143], v[140:141], v[142:143]
	v_rcp_f64_e32 v[159:160], v[157:158]
	s_waitcnt_depctr 0xfff
	v_fma_f64 v[161:162], -v[157:158], v[159:160], 1.0
	s_delay_alu instid0(VALU_DEP_1) | instskip(NEXT) | instid1(VALU_DEP_1)
	v_fma_f64 v[159:160], v[159:160], v[161:162], v[159:160]
	v_fma_f64 v[161:162], -v[157:158], v[159:160], 1.0
	s_delay_alu instid0(VALU_DEP_1) | instskip(NEXT) | instid1(VALU_DEP_1)
	v_fma_f64 v[159:160], v[159:160], v[161:162], v[159:160]
	v_mul_f64 v[161:162], v[163:164], v[159:160]
	s_delay_alu instid0(VALU_DEP_1) | instskip(NEXT) | instid1(VALU_DEP_1)
	v_fma_f64 v[157:158], -v[157:158], v[161:162], v[163:164]
	v_div_fmas_f64 v[157:158], v[157:158], v[159:160], v[161:162]
	s_delay_alu instid0(VALU_DEP_1) | instskip(NEXT) | instid1(VALU_DEP_1)
	v_div_fixup_f64 v[157:158], v[157:158], v[140:141], v[142:143]
	v_fma_f64 v[140:141], v[142:143], v[157:158], v[140:141]
	s_delay_alu instid0(VALU_DEP_1) | instskip(NEXT) | instid1(VALU_DEP_1)
	v_div_scale_f64 v[142:143], null, v[140:141], v[140:141], 1.0
	v_rcp_f64_e32 v[159:160], v[142:143]
	s_waitcnt_depctr 0xfff
	v_fma_f64 v[161:162], -v[142:143], v[159:160], 1.0
	s_delay_alu instid0(VALU_DEP_1) | instskip(NEXT) | instid1(VALU_DEP_1)
	v_fma_f64 v[159:160], v[159:160], v[161:162], v[159:160]
	v_fma_f64 v[161:162], -v[142:143], v[159:160], 1.0
	s_delay_alu instid0(VALU_DEP_1) | instskip(SKIP_1) | instid1(VALU_DEP_1)
	v_fma_f64 v[159:160], v[159:160], v[161:162], v[159:160]
	v_div_scale_f64 v[161:162], vcc_lo, 1.0, v[140:141], 1.0
	v_mul_f64 v[163:164], v[161:162], v[159:160]
	s_delay_alu instid0(VALU_DEP_1) | instskip(NEXT) | instid1(VALU_DEP_1)
	v_fma_f64 v[142:143], -v[142:143], v[163:164], v[161:162]
	v_div_fmas_f64 v[142:143], v[142:143], v[159:160], v[163:164]
	s_delay_alu instid0(VALU_DEP_1) | instskip(NEXT) | instid1(VALU_DEP_1)
	v_div_fixup_f64 v[140:141], v[142:143], v[140:141], 1.0
	v_mul_f64 v[142:143], v[157:158], -v[140:141]
.LBB68_51:
	s_or_b32 exec_lo, exec_lo, s2
.LBB68_52:
	s_delay_alu instid0(SALU_CYCLE_1) | instskip(NEXT) | instid1(SALU_CYCLE_1)
	s_or_b32 exec_lo, exec_lo, s3
	s_mov_b32 s2, exec_lo
	v_cmpx_ne_u32_e64 v156, v148
	s_xor_b32 s2, exec_lo, s2
	s_cbranch_execz .LBB68_58
; %bb.53:
	s_mov_b32 s3, exec_lo
	v_cmpx_eq_u32_e32 2, v156
	s_cbranch_execz .LBB68_57
; %bb.54:
	v_cmp_ne_u32_e32 vcc_lo, 2, v148
	s_xor_b32 s6, s4, -1
	s_delay_alu instid0(SALU_CYCLE_1) | instskip(NEXT) | instid1(SALU_CYCLE_1)
	s_and_b32 s7, s6, vcc_lo
	s_and_saveexec_b32 s6, s7
	s_cbranch_execz .LBB68_56
; %bb.55:
	v_ashrrev_i32_e32 v149, 31, v148
	s_delay_alu instid0(VALU_DEP_1) | instskip(NEXT) | instid1(VALU_DEP_1)
	v_lshlrev_b64 v[156:157], 2, v[148:149]
	v_add_co_u32 v156, vcc_lo, v146, v156
	s_delay_alu instid0(VALU_DEP_2)
	v_add_co_ci_u32_e32 v157, vcc_lo, v147, v157, vcc_lo
	s_clause 0x1
	flat_load_b32 v149, v[156:157]
	flat_load_b32 v154, v[146:147] offset:8
	s_waitcnt vmcnt(1) lgkmcnt(1)
	flat_store_b32 v[146:147], v149 offset:8
	s_waitcnt vmcnt(0) lgkmcnt(1)
	flat_store_b32 v[156:157], v154
.LBB68_56:
	s_or_b32 exec_lo, exec_lo, s6
	v_mov_b32_e32 v156, v148
	v_mov_b32_e32 v154, v148
.LBB68_57:
	s_or_b32 exec_lo, exec_lo, s3
.LBB68_58:
	s_and_not1_saveexec_b32 s2, s2
	s_cbranch_execz .LBB68_60
; %bb.59:
	v_mov_b32_e32 v156, 2
	ds_store_2addr_b64 v150, v[112:113], v[114:115] offset0:6 offset1:7
	ds_store_2addr_b64 v150, v[116:117], v[118:119] offset0:8 offset1:9
	;; [unrolled: 1-line block ×32, first 2 shown]
.LBB68_60:
	s_or_b32 exec_lo, exec_lo, s2
	s_delay_alu instid0(SALU_CYCLE_1)
	s_mov_b32 s2, exec_lo
	s_waitcnt lgkmcnt(0)
	s_waitcnt_vscnt null, 0x0
	s_barrier
	buffer_gl0_inv
	v_cmpx_lt_i32_e32 2, v156
	s_cbranch_execz .LBB68_62
; %bb.61:
	v_mul_f64 v[148:149], v[142:143], v[130:131]
	v_mul_f64 v[130:131], v[140:141], v[130:131]
	s_delay_alu instid0(VALU_DEP_2) | instskip(NEXT) | instid1(VALU_DEP_2)
	v_fma_f64 v[148:149], v[140:141], v[128:129], -v[148:149]
	v_fma_f64 v[130:131], v[142:143], v[128:129], v[130:131]
	ds_load_2addr_b64 v[140:143], v150 offset0:6 offset1:7
	s_waitcnt lgkmcnt(0)
	v_mul_f64 v[128:129], v[142:143], v[130:131]
	s_delay_alu instid0(VALU_DEP_1) | instskip(SKIP_1) | instid1(VALU_DEP_2)
	v_fma_f64 v[128:129], v[140:141], v[148:149], -v[128:129]
	v_mul_f64 v[140:141], v[140:141], v[130:131]
	v_add_f64 v[112:113], v[112:113], -v[128:129]
	s_delay_alu instid0(VALU_DEP_2) | instskip(NEXT) | instid1(VALU_DEP_1)
	v_fma_f64 v[140:141], v[142:143], v[148:149], v[140:141]
	v_add_f64 v[114:115], v[114:115], -v[140:141]
	ds_load_2addr_b64 v[140:143], v150 offset0:8 offset1:9
	s_waitcnt lgkmcnt(0)
	v_mul_f64 v[128:129], v[142:143], v[130:131]
	s_delay_alu instid0(VALU_DEP_1) | instskip(SKIP_1) | instid1(VALU_DEP_2)
	v_fma_f64 v[128:129], v[140:141], v[148:149], -v[128:129]
	v_mul_f64 v[140:141], v[140:141], v[130:131]
	v_add_f64 v[116:117], v[116:117], -v[128:129]
	s_delay_alu instid0(VALU_DEP_2) | instskip(NEXT) | instid1(VALU_DEP_1)
	v_fma_f64 v[140:141], v[142:143], v[148:149], v[140:141]
	v_add_f64 v[118:119], v[118:119], -v[140:141]
	ds_load_2addr_b64 v[140:143], v150 offset0:10 offset1:11
	s_waitcnt lgkmcnt(0)
	v_mul_f64 v[128:129], v[142:143], v[130:131]
	s_delay_alu instid0(VALU_DEP_1) | instskip(SKIP_1) | instid1(VALU_DEP_2)
	v_fma_f64 v[128:129], v[140:141], v[148:149], -v[128:129]
	v_mul_f64 v[140:141], v[140:141], v[130:131]
	v_add_f64 v[96:97], v[96:97], -v[128:129]
	s_delay_alu instid0(VALU_DEP_2) | instskip(NEXT) | instid1(VALU_DEP_1)
	v_fma_f64 v[140:141], v[142:143], v[148:149], v[140:141]
	v_add_f64 v[98:99], v[98:99], -v[140:141]
	ds_load_2addr_b64 v[140:143], v150 offset0:12 offset1:13
	s_waitcnt lgkmcnt(0)
	v_mul_f64 v[128:129], v[142:143], v[130:131]
	s_delay_alu instid0(VALU_DEP_1) | instskip(SKIP_1) | instid1(VALU_DEP_2)
	v_fma_f64 v[128:129], v[140:141], v[148:149], -v[128:129]
	v_mul_f64 v[140:141], v[140:141], v[130:131]
	v_add_f64 v[136:137], v[136:137], -v[128:129]
	s_delay_alu instid0(VALU_DEP_2) | instskip(NEXT) | instid1(VALU_DEP_1)
	v_fma_f64 v[140:141], v[142:143], v[148:149], v[140:141]
	v_add_f64 v[138:139], v[138:139], -v[140:141]
	ds_load_2addr_b64 v[140:143], v150 offset0:14 offset1:15
	s_waitcnt lgkmcnt(0)
	v_mul_f64 v[128:129], v[142:143], v[130:131]
	s_delay_alu instid0(VALU_DEP_1) | instskip(SKIP_1) | instid1(VALU_DEP_2)
	v_fma_f64 v[128:129], v[140:141], v[148:149], -v[128:129]
	v_mul_f64 v[140:141], v[140:141], v[130:131]
	v_add_f64 v[132:133], v[132:133], -v[128:129]
	s_delay_alu instid0(VALU_DEP_2) | instskip(NEXT) | instid1(VALU_DEP_1)
	v_fma_f64 v[140:141], v[142:143], v[148:149], v[140:141]
	v_add_f64 v[134:135], v[134:135], -v[140:141]
	ds_load_2addr_b64 v[140:143], v150 offset0:16 offset1:17
	s_waitcnt lgkmcnt(0)
	v_mul_f64 v[128:129], v[142:143], v[130:131]
	s_delay_alu instid0(VALU_DEP_1) | instskip(SKIP_1) | instid1(VALU_DEP_2)
	v_fma_f64 v[128:129], v[140:141], v[148:149], -v[128:129]
	v_mul_f64 v[140:141], v[140:141], v[130:131]
	v_add_f64 v[124:125], v[124:125], -v[128:129]
	s_delay_alu instid0(VALU_DEP_2) | instskip(NEXT) | instid1(VALU_DEP_1)
	v_fma_f64 v[140:141], v[142:143], v[148:149], v[140:141]
	v_add_f64 v[126:127], v[126:127], -v[140:141]
	ds_load_2addr_b64 v[140:143], v150 offset0:18 offset1:19
	s_waitcnt lgkmcnt(0)
	v_mul_f64 v[128:129], v[142:143], v[130:131]
	s_delay_alu instid0(VALU_DEP_1) | instskip(SKIP_1) | instid1(VALU_DEP_2)
	v_fma_f64 v[128:129], v[140:141], v[148:149], -v[128:129]
	v_mul_f64 v[140:141], v[140:141], v[130:131]
	v_add_f64 v[120:121], v[120:121], -v[128:129]
	s_delay_alu instid0(VALU_DEP_2) | instskip(NEXT) | instid1(VALU_DEP_1)
	v_fma_f64 v[140:141], v[142:143], v[148:149], v[140:141]
	v_add_f64 v[122:123], v[122:123], -v[140:141]
	ds_load_2addr_b64 v[140:143], v150 offset0:20 offset1:21
	s_waitcnt lgkmcnt(0)
	v_mul_f64 v[128:129], v[142:143], v[130:131]
	s_delay_alu instid0(VALU_DEP_1) | instskip(SKIP_1) | instid1(VALU_DEP_2)
	v_fma_f64 v[128:129], v[140:141], v[148:149], -v[128:129]
	v_mul_f64 v[140:141], v[140:141], v[130:131]
	v_add_f64 v[108:109], v[108:109], -v[128:129]
	s_delay_alu instid0(VALU_DEP_2) | instskip(NEXT) | instid1(VALU_DEP_1)
	v_fma_f64 v[140:141], v[142:143], v[148:149], v[140:141]
	v_add_f64 v[110:111], v[110:111], -v[140:141]
	ds_load_2addr_b64 v[140:143], v150 offset0:22 offset1:23
	s_waitcnt lgkmcnt(0)
	v_mul_f64 v[128:129], v[142:143], v[130:131]
	s_delay_alu instid0(VALU_DEP_1) | instskip(SKIP_1) | instid1(VALU_DEP_2)
	v_fma_f64 v[128:129], v[140:141], v[148:149], -v[128:129]
	v_mul_f64 v[140:141], v[140:141], v[130:131]
	v_add_f64 v[104:105], v[104:105], -v[128:129]
	s_delay_alu instid0(VALU_DEP_2) | instskip(NEXT) | instid1(VALU_DEP_1)
	v_fma_f64 v[140:141], v[142:143], v[148:149], v[140:141]
	v_add_f64 v[106:107], v[106:107], -v[140:141]
	ds_load_2addr_b64 v[140:143], v150 offset0:24 offset1:25
	s_waitcnt lgkmcnt(0)
	v_mul_f64 v[128:129], v[142:143], v[130:131]
	s_delay_alu instid0(VALU_DEP_1) | instskip(SKIP_1) | instid1(VALU_DEP_2)
	v_fma_f64 v[128:129], v[140:141], v[148:149], -v[128:129]
	v_mul_f64 v[140:141], v[140:141], v[130:131]
	v_add_f64 v[100:101], v[100:101], -v[128:129]
	s_delay_alu instid0(VALU_DEP_2) | instskip(NEXT) | instid1(VALU_DEP_1)
	v_fma_f64 v[140:141], v[142:143], v[148:149], v[140:141]
	v_add_f64 v[102:103], v[102:103], -v[140:141]
	ds_load_2addr_b64 v[140:143], v150 offset0:26 offset1:27
	s_waitcnt lgkmcnt(0)
	v_mul_f64 v[128:129], v[142:143], v[130:131]
	s_delay_alu instid0(VALU_DEP_1) | instskip(SKIP_1) | instid1(VALU_DEP_2)
	v_fma_f64 v[128:129], v[140:141], v[148:149], -v[128:129]
	v_mul_f64 v[140:141], v[140:141], v[130:131]
	v_add_f64 v[92:93], v[92:93], -v[128:129]
	s_delay_alu instid0(VALU_DEP_2) | instskip(NEXT) | instid1(VALU_DEP_1)
	v_fma_f64 v[140:141], v[142:143], v[148:149], v[140:141]
	v_add_f64 v[94:95], v[94:95], -v[140:141]
	ds_load_2addr_b64 v[140:143], v150 offset0:28 offset1:29
	s_waitcnt lgkmcnt(0)
	v_mul_f64 v[128:129], v[142:143], v[130:131]
	s_delay_alu instid0(VALU_DEP_1) | instskip(SKIP_1) | instid1(VALU_DEP_2)
	v_fma_f64 v[128:129], v[140:141], v[148:149], -v[128:129]
	v_mul_f64 v[140:141], v[140:141], v[130:131]
	v_add_f64 v[88:89], v[88:89], -v[128:129]
	s_delay_alu instid0(VALU_DEP_2) | instskip(NEXT) | instid1(VALU_DEP_1)
	v_fma_f64 v[140:141], v[142:143], v[148:149], v[140:141]
	v_add_f64 v[90:91], v[90:91], -v[140:141]
	ds_load_2addr_b64 v[140:143], v150 offset0:30 offset1:31
	s_waitcnt lgkmcnt(0)
	v_mul_f64 v[128:129], v[142:143], v[130:131]
	s_delay_alu instid0(VALU_DEP_1) | instskip(SKIP_1) | instid1(VALU_DEP_2)
	v_fma_f64 v[128:129], v[140:141], v[148:149], -v[128:129]
	v_mul_f64 v[140:141], v[140:141], v[130:131]
	v_add_f64 v[84:85], v[84:85], -v[128:129]
	s_delay_alu instid0(VALU_DEP_2) | instskip(NEXT) | instid1(VALU_DEP_1)
	v_fma_f64 v[140:141], v[142:143], v[148:149], v[140:141]
	v_add_f64 v[86:87], v[86:87], -v[140:141]
	ds_load_2addr_b64 v[140:143], v150 offset0:32 offset1:33
	s_waitcnt lgkmcnt(0)
	v_mul_f64 v[128:129], v[142:143], v[130:131]
	s_delay_alu instid0(VALU_DEP_1) | instskip(SKIP_1) | instid1(VALU_DEP_2)
	v_fma_f64 v[128:129], v[140:141], v[148:149], -v[128:129]
	v_mul_f64 v[140:141], v[140:141], v[130:131]
	v_add_f64 v[80:81], v[80:81], -v[128:129]
	s_delay_alu instid0(VALU_DEP_2) | instskip(NEXT) | instid1(VALU_DEP_1)
	v_fma_f64 v[140:141], v[142:143], v[148:149], v[140:141]
	v_add_f64 v[82:83], v[82:83], -v[140:141]
	ds_load_2addr_b64 v[140:143], v150 offset0:34 offset1:35
	s_waitcnt lgkmcnt(0)
	v_mul_f64 v[128:129], v[142:143], v[130:131]
	s_delay_alu instid0(VALU_DEP_1) | instskip(SKIP_1) | instid1(VALU_DEP_2)
	v_fma_f64 v[128:129], v[140:141], v[148:149], -v[128:129]
	v_mul_f64 v[140:141], v[140:141], v[130:131]
	v_add_f64 v[76:77], v[76:77], -v[128:129]
	s_delay_alu instid0(VALU_DEP_2) | instskip(NEXT) | instid1(VALU_DEP_1)
	v_fma_f64 v[140:141], v[142:143], v[148:149], v[140:141]
	v_add_f64 v[78:79], v[78:79], -v[140:141]
	ds_load_2addr_b64 v[140:143], v150 offset0:36 offset1:37
	s_waitcnt lgkmcnt(0)
	v_mul_f64 v[128:129], v[142:143], v[130:131]
	s_delay_alu instid0(VALU_DEP_1) | instskip(SKIP_1) | instid1(VALU_DEP_2)
	v_fma_f64 v[128:129], v[140:141], v[148:149], -v[128:129]
	v_mul_f64 v[140:141], v[140:141], v[130:131]
	v_add_f64 v[72:73], v[72:73], -v[128:129]
	s_delay_alu instid0(VALU_DEP_2) | instskip(NEXT) | instid1(VALU_DEP_1)
	v_fma_f64 v[140:141], v[142:143], v[148:149], v[140:141]
	v_add_f64 v[74:75], v[74:75], -v[140:141]
	ds_load_2addr_b64 v[140:143], v150 offset0:38 offset1:39
	s_waitcnt lgkmcnt(0)
	v_mul_f64 v[128:129], v[142:143], v[130:131]
	s_delay_alu instid0(VALU_DEP_1) | instskip(SKIP_1) | instid1(VALU_DEP_2)
	v_fma_f64 v[128:129], v[140:141], v[148:149], -v[128:129]
	v_mul_f64 v[140:141], v[140:141], v[130:131]
	v_add_f64 v[68:69], v[68:69], -v[128:129]
	s_delay_alu instid0(VALU_DEP_2) | instskip(NEXT) | instid1(VALU_DEP_1)
	v_fma_f64 v[140:141], v[142:143], v[148:149], v[140:141]
	v_add_f64 v[70:71], v[70:71], -v[140:141]
	ds_load_2addr_b64 v[140:143], v150 offset0:40 offset1:41
	s_waitcnt lgkmcnt(0)
	v_mul_f64 v[128:129], v[142:143], v[130:131]
	s_delay_alu instid0(VALU_DEP_1) | instskip(SKIP_1) | instid1(VALU_DEP_2)
	v_fma_f64 v[128:129], v[140:141], v[148:149], -v[128:129]
	v_mul_f64 v[140:141], v[140:141], v[130:131]
	v_add_f64 v[64:65], v[64:65], -v[128:129]
	s_delay_alu instid0(VALU_DEP_2) | instskip(NEXT) | instid1(VALU_DEP_1)
	v_fma_f64 v[140:141], v[142:143], v[148:149], v[140:141]
	v_add_f64 v[66:67], v[66:67], -v[140:141]
	ds_load_2addr_b64 v[140:143], v150 offset0:42 offset1:43
	s_waitcnt lgkmcnt(0)
	v_mul_f64 v[128:129], v[142:143], v[130:131]
	s_delay_alu instid0(VALU_DEP_1) | instskip(SKIP_1) | instid1(VALU_DEP_2)
	v_fma_f64 v[128:129], v[140:141], v[148:149], -v[128:129]
	v_mul_f64 v[140:141], v[140:141], v[130:131]
	v_add_f64 v[60:61], v[60:61], -v[128:129]
	s_delay_alu instid0(VALU_DEP_2) | instskip(NEXT) | instid1(VALU_DEP_1)
	v_fma_f64 v[140:141], v[142:143], v[148:149], v[140:141]
	v_add_f64 v[62:63], v[62:63], -v[140:141]
	ds_load_2addr_b64 v[140:143], v150 offset0:44 offset1:45
	s_waitcnt lgkmcnt(0)
	v_mul_f64 v[128:129], v[142:143], v[130:131]
	s_delay_alu instid0(VALU_DEP_1) | instskip(SKIP_1) | instid1(VALU_DEP_2)
	v_fma_f64 v[128:129], v[140:141], v[148:149], -v[128:129]
	v_mul_f64 v[140:141], v[140:141], v[130:131]
	v_add_f64 v[56:57], v[56:57], -v[128:129]
	s_delay_alu instid0(VALU_DEP_2) | instskip(NEXT) | instid1(VALU_DEP_1)
	v_fma_f64 v[140:141], v[142:143], v[148:149], v[140:141]
	v_add_f64 v[58:59], v[58:59], -v[140:141]
	ds_load_2addr_b64 v[140:143], v150 offset0:46 offset1:47
	s_waitcnt lgkmcnt(0)
	v_mul_f64 v[128:129], v[142:143], v[130:131]
	s_delay_alu instid0(VALU_DEP_1) | instskip(SKIP_1) | instid1(VALU_DEP_2)
	v_fma_f64 v[128:129], v[140:141], v[148:149], -v[128:129]
	v_mul_f64 v[140:141], v[140:141], v[130:131]
	v_add_f64 v[44:45], v[44:45], -v[128:129]
	s_delay_alu instid0(VALU_DEP_2) | instskip(NEXT) | instid1(VALU_DEP_1)
	v_fma_f64 v[140:141], v[142:143], v[148:149], v[140:141]
	v_add_f64 v[46:47], v[46:47], -v[140:141]
	ds_load_2addr_b64 v[140:143], v150 offset0:48 offset1:49
	s_waitcnt lgkmcnt(0)
	v_mul_f64 v[128:129], v[142:143], v[130:131]
	s_delay_alu instid0(VALU_DEP_1) | instskip(SKIP_1) | instid1(VALU_DEP_2)
	v_fma_f64 v[128:129], v[140:141], v[148:149], -v[128:129]
	v_mul_f64 v[140:141], v[140:141], v[130:131]
	v_add_f64 v[40:41], v[40:41], -v[128:129]
	s_delay_alu instid0(VALU_DEP_2) | instskip(NEXT) | instid1(VALU_DEP_1)
	v_fma_f64 v[140:141], v[142:143], v[148:149], v[140:141]
	v_add_f64 v[42:43], v[42:43], -v[140:141]
	ds_load_2addr_b64 v[140:143], v150 offset0:50 offset1:51
	s_waitcnt lgkmcnt(0)
	v_mul_f64 v[128:129], v[142:143], v[130:131]
	s_delay_alu instid0(VALU_DEP_1) | instskip(SKIP_1) | instid1(VALU_DEP_2)
	v_fma_f64 v[128:129], v[140:141], v[148:149], -v[128:129]
	v_mul_f64 v[140:141], v[140:141], v[130:131]
	v_add_f64 v[36:37], v[36:37], -v[128:129]
	s_delay_alu instid0(VALU_DEP_2) | instskip(NEXT) | instid1(VALU_DEP_1)
	v_fma_f64 v[140:141], v[142:143], v[148:149], v[140:141]
	v_add_f64 v[38:39], v[38:39], -v[140:141]
	ds_load_2addr_b64 v[140:143], v150 offset0:52 offset1:53
	s_waitcnt lgkmcnt(0)
	v_mul_f64 v[128:129], v[142:143], v[130:131]
	s_delay_alu instid0(VALU_DEP_1) | instskip(SKIP_1) | instid1(VALU_DEP_2)
	v_fma_f64 v[128:129], v[140:141], v[148:149], -v[128:129]
	v_mul_f64 v[140:141], v[140:141], v[130:131]
	v_add_f64 v[32:33], v[32:33], -v[128:129]
	s_delay_alu instid0(VALU_DEP_2) | instskip(NEXT) | instid1(VALU_DEP_1)
	v_fma_f64 v[140:141], v[142:143], v[148:149], v[140:141]
	v_add_f64 v[34:35], v[34:35], -v[140:141]
	ds_load_2addr_b64 v[140:143], v150 offset0:54 offset1:55
	s_waitcnt lgkmcnt(0)
	v_mul_f64 v[128:129], v[142:143], v[130:131]
	s_delay_alu instid0(VALU_DEP_1) | instskip(SKIP_1) | instid1(VALU_DEP_2)
	v_fma_f64 v[128:129], v[140:141], v[148:149], -v[128:129]
	v_mul_f64 v[140:141], v[140:141], v[130:131]
	v_add_f64 v[28:29], v[28:29], -v[128:129]
	s_delay_alu instid0(VALU_DEP_2) | instskip(NEXT) | instid1(VALU_DEP_1)
	v_fma_f64 v[140:141], v[142:143], v[148:149], v[140:141]
	v_add_f64 v[30:31], v[30:31], -v[140:141]
	ds_load_2addr_b64 v[140:143], v150 offset0:56 offset1:57
	s_waitcnt lgkmcnt(0)
	v_mul_f64 v[128:129], v[142:143], v[130:131]
	s_delay_alu instid0(VALU_DEP_1) | instskip(SKIP_1) | instid1(VALU_DEP_2)
	v_fma_f64 v[128:129], v[140:141], v[148:149], -v[128:129]
	v_mul_f64 v[140:141], v[140:141], v[130:131]
	v_add_f64 v[24:25], v[24:25], -v[128:129]
	s_delay_alu instid0(VALU_DEP_2) | instskip(NEXT) | instid1(VALU_DEP_1)
	v_fma_f64 v[140:141], v[142:143], v[148:149], v[140:141]
	v_add_f64 v[26:27], v[26:27], -v[140:141]
	ds_load_2addr_b64 v[140:143], v150 offset0:58 offset1:59
	s_waitcnt lgkmcnt(0)
	v_mul_f64 v[128:129], v[142:143], v[130:131]
	s_delay_alu instid0(VALU_DEP_1) | instskip(SKIP_1) | instid1(VALU_DEP_2)
	v_fma_f64 v[128:129], v[140:141], v[148:149], -v[128:129]
	v_mul_f64 v[140:141], v[140:141], v[130:131]
	v_add_f64 v[20:21], v[20:21], -v[128:129]
	s_delay_alu instid0(VALU_DEP_2) | instskip(NEXT) | instid1(VALU_DEP_1)
	v_fma_f64 v[140:141], v[142:143], v[148:149], v[140:141]
	v_add_f64 v[22:23], v[22:23], -v[140:141]
	ds_load_2addr_b64 v[140:143], v150 offset0:60 offset1:61
	s_waitcnt lgkmcnt(0)
	v_mul_f64 v[128:129], v[142:143], v[130:131]
	s_delay_alu instid0(VALU_DEP_1) | instskip(SKIP_1) | instid1(VALU_DEP_2)
	v_fma_f64 v[128:129], v[140:141], v[148:149], -v[128:129]
	v_mul_f64 v[140:141], v[140:141], v[130:131]
	v_add_f64 v[16:17], v[16:17], -v[128:129]
	s_delay_alu instid0(VALU_DEP_2) | instskip(NEXT) | instid1(VALU_DEP_1)
	v_fma_f64 v[140:141], v[142:143], v[148:149], v[140:141]
	v_add_f64 v[18:19], v[18:19], -v[140:141]
	ds_load_2addr_b64 v[140:143], v150 offset0:62 offset1:63
	s_waitcnt lgkmcnt(0)
	v_mul_f64 v[128:129], v[142:143], v[130:131]
	s_delay_alu instid0(VALU_DEP_1) | instskip(SKIP_1) | instid1(VALU_DEP_2)
	v_fma_f64 v[128:129], v[140:141], v[148:149], -v[128:129]
	v_mul_f64 v[140:141], v[140:141], v[130:131]
	v_add_f64 v[12:13], v[12:13], -v[128:129]
	s_delay_alu instid0(VALU_DEP_2) | instskip(NEXT) | instid1(VALU_DEP_1)
	v_fma_f64 v[140:141], v[142:143], v[148:149], v[140:141]
	v_add_f64 v[14:15], v[14:15], -v[140:141]
	ds_load_2addr_b64 v[140:143], v150 offset0:64 offset1:65
	s_waitcnt lgkmcnt(0)
	v_mul_f64 v[128:129], v[142:143], v[130:131]
	s_delay_alu instid0(VALU_DEP_1) | instskip(SKIP_1) | instid1(VALU_DEP_2)
	v_fma_f64 v[128:129], v[140:141], v[148:149], -v[128:129]
	v_mul_f64 v[140:141], v[140:141], v[130:131]
	v_add_f64 v[8:9], v[8:9], -v[128:129]
	s_delay_alu instid0(VALU_DEP_2) | instskip(NEXT) | instid1(VALU_DEP_1)
	v_fma_f64 v[140:141], v[142:143], v[148:149], v[140:141]
	v_add_f64 v[10:11], v[10:11], -v[140:141]
	ds_load_2addr_b64 v[140:143], v150 offset0:66 offset1:67
	s_waitcnt lgkmcnt(0)
	v_mul_f64 v[128:129], v[142:143], v[130:131]
	s_delay_alu instid0(VALU_DEP_1) | instskip(SKIP_1) | instid1(VALU_DEP_2)
	v_fma_f64 v[128:129], v[140:141], v[148:149], -v[128:129]
	v_mul_f64 v[140:141], v[140:141], v[130:131]
	v_add_f64 v[4:5], v[4:5], -v[128:129]
	s_delay_alu instid0(VALU_DEP_2) | instskip(NEXT) | instid1(VALU_DEP_1)
	v_fma_f64 v[140:141], v[142:143], v[148:149], v[140:141]
	v_add_f64 v[6:7], v[6:7], -v[140:141]
	ds_load_2addr_b64 v[140:143], v150 offset0:68 offset1:69
	s_waitcnt lgkmcnt(0)
	v_mul_f64 v[128:129], v[142:143], v[130:131]
	s_delay_alu instid0(VALU_DEP_1) | instskip(SKIP_1) | instid1(VALU_DEP_2)
	v_fma_f64 v[128:129], v[140:141], v[148:149], -v[128:129]
	v_mul_f64 v[140:141], v[140:141], v[130:131]
	v_add_f64 v[0:1], v[0:1], -v[128:129]
	s_delay_alu instid0(VALU_DEP_2) | instskip(SKIP_1) | instid1(VALU_DEP_2)
	v_fma_f64 v[140:141], v[142:143], v[148:149], v[140:141]
	v_dual_mov_b32 v128, v148 :: v_dual_mov_b32 v129, v149
	v_add_f64 v[2:3], v[2:3], -v[140:141]
.LBB68_62:
	s_or_b32 exec_lo, exec_lo, s2
	v_lshl_add_u32 v140, v156, 4, v150
	s_barrier
	buffer_gl0_inv
	v_mov_b32_e32 v148, 3
	ds_store_2addr_b64 v140, v[112:113], v[114:115] offset1:1
	s_waitcnt lgkmcnt(0)
	s_barrier
	buffer_gl0_inv
	ds_load_2addr_b64 v[140:143], v150 offset0:6 offset1:7
	s_cmp_lt_i32 s5, 5
	s_mov_b32 s6, 4
	s_cbranch_scc1 .LBB68_65
; %bb.63:
	v_add3_u32 v149, v155, 0, 64
	v_mov_b32_e32 v148, 3
	s_set_inst_prefetch_distance 0x1
	.p2align	6
.LBB68_64:                              ; =>This Inner Loop Header: Depth=1
	ds_load_2addr_b64 v[157:160], v149 offset1:1
	s_waitcnt lgkmcnt(1)
	v_cmp_gt_f64_e32 vcc_lo, 0, v[140:141]
	v_xor_b32_e32 v161, 0x80000000, v141
	v_cmp_gt_f64_e64 s2, 0, v[142:143]
	v_xor_b32_e32 v163, 0x80000000, v143
	v_add_nc_u32_e32 v149, 16, v149
	s_waitcnt lgkmcnt(0)
	v_cmp_gt_f64_e64 s3, 0, v[157:158]
	v_mov_b32_e32 v165, v157
	v_dual_mov_b32 v167, v159 :: v_dual_cndmask_b32 v162, v141, v161
	v_xor_b32_e32 v161, 0x80000000, v158
	v_cndmask_b32_e64 v164, v143, v163, s2
	v_xor_b32_e32 v163, 0x80000000, v160
	s_delay_alu instid0(VALU_DEP_3) | instskip(SKIP_2) | instid1(VALU_DEP_2)
	v_cndmask_b32_e64 v166, v158, v161, s3
	v_cmp_gt_f64_e64 s3, 0, v[159:160]
	v_cndmask_b32_e32 v161, v140, v140, vcc_lo
	v_cndmask_b32_e64 v168, v160, v163, s3
	v_cndmask_b32_e64 v163, v142, v142, s2
	s_delay_alu instid0(VALU_DEP_2) | instskip(NEXT) | instid1(VALU_DEP_2)
	v_add_f64 v[165:166], v[165:166], v[167:168]
	v_add_f64 v[161:162], v[161:162], v[163:164]
	s_delay_alu instid0(VALU_DEP_1) | instskip(SKIP_4) | instid1(SALU_CYCLE_1)
	v_cmp_lt_f64_e32 vcc_lo, v[161:162], v[165:166]
	v_dual_cndmask_b32 v142, v142, v159 :: v_dual_cndmask_b32 v141, v141, v158
	v_dual_cndmask_b32 v140, v140, v157 :: v_dual_cndmask_b32 v143, v143, v160
	v_cndmask_b32_e64 v148, v148, s6, vcc_lo
	s_add_i32 s6, s6, 1
	s_cmp_lg_u32 s5, s6
	s_cbranch_scc1 .LBB68_64
.LBB68_65:
	s_set_inst_prefetch_distance 0x2
	s_waitcnt lgkmcnt(0)
	v_cmp_eq_f64_e32 vcc_lo, 0, v[140:141]
	v_cmp_eq_f64_e64 s2, 0, v[142:143]
	s_delay_alu instid0(VALU_DEP_1) | instskip(NEXT) | instid1(SALU_CYCLE_1)
	s_and_b32 s2, vcc_lo, s2
	s_and_saveexec_b32 s3, s2
	s_delay_alu instid0(SALU_CYCLE_1)
	s_xor_b32 s2, exec_lo, s3
; %bb.66:
	v_cmp_ne_u32_e32 vcc_lo, 0, v153
	v_cndmask_b32_e32 v153, 4, v153, vcc_lo
; %bb.67:
	s_and_not1_saveexec_b32 s3, s2
	s_cbranch_execz .LBB68_73
; %bb.68:
	v_cmp_gt_f64_e32 vcc_lo, 0, v[140:141]
	v_cmp_gt_f64_e64 s2, 0, v[142:143]
	v_xor_b32_e32 v149, 0x80000000, v141
	v_xor_b32_e32 v157, 0x80000000, v143
	s_delay_alu instid0(VALU_DEP_2) | instskip(NEXT) | instid1(VALU_DEP_2)
	v_cndmask_b32_e32 v158, v141, v149, vcc_lo
	v_cndmask_b32_e64 v160, v143, v157, s2
	v_cndmask_b32_e32 v157, v140, v140, vcc_lo
	v_cndmask_b32_e64 v159, v142, v142, s2
	s_mov_b32 s2, exec_lo
	s_delay_alu instid0(VALU_DEP_1)
	v_cmpx_ngt_f64_e32 v[157:158], v[159:160]
	s_xor_b32 s2, exec_lo, s2
	s_cbranch_execz .LBB68_70
; %bb.69:
	v_div_scale_f64 v[157:158], null, v[142:143], v[142:143], v[140:141]
	v_div_scale_f64 v[163:164], vcc_lo, v[140:141], v[142:143], v[140:141]
	s_delay_alu instid0(VALU_DEP_2) | instskip(SKIP_2) | instid1(VALU_DEP_1)
	v_rcp_f64_e32 v[159:160], v[157:158]
	s_waitcnt_depctr 0xfff
	v_fma_f64 v[161:162], -v[157:158], v[159:160], 1.0
	v_fma_f64 v[159:160], v[159:160], v[161:162], v[159:160]
	s_delay_alu instid0(VALU_DEP_1) | instskip(NEXT) | instid1(VALU_DEP_1)
	v_fma_f64 v[161:162], -v[157:158], v[159:160], 1.0
	v_fma_f64 v[159:160], v[159:160], v[161:162], v[159:160]
	s_delay_alu instid0(VALU_DEP_1) | instskip(NEXT) | instid1(VALU_DEP_1)
	v_mul_f64 v[161:162], v[163:164], v[159:160]
	v_fma_f64 v[157:158], -v[157:158], v[161:162], v[163:164]
	s_delay_alu instid0(VALU_DEP_1) | instskip(NEXT) | instid1(VALU_DEP_1)
	v_div_fmas_f64 v[157:158], v[157:158], v[159:160], v[161:162]
	v_div_fixup_f64 v[157:158], v[157:158], v[142:143], v[140:141]
	s_delay_alu instid0(VALU_DEP_1) | instskip(NEXT) | instid1(VALU_DEP_1)
	v_fma_f64 v[140:141], v[140:141], v[157:158], v[142:143]
	v_div_scale_f64 v[142:143], null, v[140:141], v[140:141], 1.0
	s_delay_alu instid0(VALU_DEP_1) | instskip(SKIP_2) | instid1(VALU_DEP_1)
	v_rcp_f64_e32 v[159:160], v[142:143]
	s_waitcnt_depctr 0xfff
	v_fma_f64 v[161:162], -v[142:143], v[159:160], 1.0
	v_fma_f64 v[159:160], v[159:160], v[161:162], v[159:160]
	s_delay_alu instid0(VALU_DEP_1) | instskip(NEXT) | instid1(VALU_DEP_1)
	v_fma_f64 v[161:162], -v[142:143], v[159:160], 1.0
	v_fma_f64 v[159:160], v[159:160], v[161:162], v[159:160]
	v_div_scale_f64 v[161:162], vcc_lo, 1.0, v[140:141], 1.0
	s_delay_alu instid0(VALU_DEP_1) | instskip(NEXT) | instid1(VALU_DEP_1)
	v_mul_f64 v[163:164], v[161:162], v[159:160]
	v_fma_f64 v[142:143], -v[142:143], v[163:164], v[161:162]
	s_delay_alu instid0(VALU_DEP_1) | instskip(NEXT) | instid1(VALU_DEP_1)
	v_div_fmas_f64 v[142:143], v[142:143], v[159:160], v[163:164]
	v_div_fixup_f64 v[142:143], v[142:143], v[140:141], 1.0
	s_delay_alu instid0(VALU_DEP_1)
	v_mul_f64 v[140:141], v[157:158], v[142:143]
	v_xor_b32_e32 v143, 0x80000000, v143
.LBB68_70:
	s_and_not1_saveexec_b32 s2, s2
	s_cbranch_execz .LBB68_72
; %bb.71:
	s_delay_alu instid0(VALU_DEP_1) | instskip(SKIP_1) | instid1(VALU_DEP_2)
	v_div_scale_f64 v[157:158], null, v[140:141], v[140:141], v[142:143]
	v_div_scale_f64 v[163:164], vcc_lo, v[142:143], v[140:141], v[142:143]
	v_rcp_f64_e32 v[159:160], v[157:158]
	s_waitcnt_depctr 0xfff
	v_fma_f64 v[161:162], -v[157:158], v[159:160], 1.0
	s_delay_alu instid0(VALU_DEP_1) | instskip(NEXT) | instid1(VALU_DEP_1)
	v_fma_f64 v[159:160], v[159:160], v[161:162], v[159:160]
	v_fma_f64 v[161:162], -v[157:158], v[159:160], 1.0
	s_delay_alu instid0(VALU_DEP_1) | instskip(NEXT) | instid1(VALU_DEP_1)
	v_fma_f64 v[159:160], v[159:160], v[161:162], v[159:160]
	v_mul_f64 v[161:162], v[163:164], v[159:160]
	s_delay_alu instid0(VALU_DEP_1) | instskip(NEXT) | instid1(VALU_DEP_1)
	v_fma_f64 v[157:158], -v[157:158], v[161:162], v[163:164]
	v_div_fmas_f64 v[157:158], v[157:158], v[159:160], v[161:162]
	s_delay_alu instid0(VALU_DEP_1) | instskip(NEXT) | instid1(VALU_DEP_1)
	v_div_fixup_f64 v[157:158], v[157:158], v[140:141], v[142:143]
	v_fma_f64 v[140:141], v[142:143], v[157:158], v[140:141]
	s_delay_alu instid0(VALU_DEP_1) | instskip(NEXT) | instid1(VALU_DEP_1)
	v_div_scale_f64 v[142:143], null, v[140:141], v[140:141], 1.0
	v_rcp_f64_e32 v[159:160], v[142:143]
	s_waitcnt_depctr 0xfff
	v_fma_f64 v[161:162], -v[142:143], v[159:160], 1.0
	s_delay_alu instid0(VALU_DEP_1) | instskip(NEXT) | instid1(VALU_DEP_1)
	v_fma_f64 v[159:160], v[159:160], v[161:162], v[159:160]
	v_fma_f64 v[161:162], -v[142:143], v[159:160], 1.0
	s_delay_alu instid0(VALU_DEP_1) | instskip(SKIP_1) | instid1(VALU_DEP_1)
	v_fma_f64 v[159:160], v[159:160], v[161:162], v[159:160]
	v_div_scale_f64 v[161:162], vcc_lo, 1.0, v[140:141], 1.0
	v_mul_f64 v[163:164], v[161:162], v[159:160]
	s_delay_alu instid0(VALU_DEP_1) | instskip(NEXT) | instid1(VALU_DEP_1)
	v_fma_f64 v[142:143], -v[142:143], v[163:164], v[161:162]
	v_div_fmas_f64 v[142:143], v[142:143], v[159:160], v[163:164]
	s_delay_alu instid0(VALU_DEP_1) | instskip(NEXT) | instid1(VALU_DEP_1)
	v_div_fixup_f64 v[140:141], v[142:143], v[140:141], 1.0
	v_mul_f64 v[142:143], v[157:158], -v[140:141]
.LBB68_72:
	s_or_b32 exec_lo, exec_lo, s2
.LBB68_73:
	s_delay_alu instid0(SALU_CYCLE_1) | instskip(NEXT) | instid1(SALU_CYCLE_1)
	s_or_b32 exec_lo, exec_lo, s3
	s_mov_b32 s2, exec_lo
	v_cmpx_ne_u32_e64 v156, v148
	s_xor_b32 s2, exec_lo, s2
	s_cbranch_execz .LBB68_79
; %bb.74:
	s_mov_b32 s3, exec_lo
	v_cmpx_eq_u32_e32 3, v156
	s_cbranch_execz .LBB68_78
; %bb.75:
	v_cmp_ne_u32_e32 vcc_lo, 3, v148
	s_xor_b32 s6, s4, -1
	s_delay_alu instid0(SALU_CYCLE_1) | instskip(NEXT) | instid1(SALU_CYCLE_1)
	s_and_b32 s7, s6, vcc_lo
	s_and_saveexec_b32 s6, s7
	s_cbranch_execz .LBB68_77
; %bb.76:
	v_ashrrev_i32_e32 v149, 31, v148
	s_delay_alu instid0(VALU_DEP_1) | instskip(NEXT) | instid1(VALU_DEP_1)
	v_lshlrev_b64 v[156:157], 2, v[148:149]
	v_add_co_u32 v156, vcc_lo, v146, v156
	s_delay_alu instid0(VALU_DEP_2)
	v_add_co_ci_u32_e32 v157, vcc_lo, v147, v157, vcc_lo
	s_clause 0x1
	flat_load_b32 v149, v[156:157]
	flat_load_b32 v154, v[146:147] offset:12
	s_waitcnt vmcnt(1) lgkmcnt(1)
	flat_store_b32 v[146:147], v149 offset:12
	s_waitcnt vmcnt(0) lgkmcnt(1)
	flat_store_b32 v[156:157], v154
.LBB68_77:
	s_or_b32 exec_lo, exec_lo, s6
	v_mov_b32_e32 v156, v148
	v_mov_b32_e32 v154, v148
.LBB68_78:
	s_or_b32 exec_lo, exec_lo, s3
.LBB68_79:
	s_and_not1_saveexec_b32 s2, s2
	s_cbranch_execz .LBB68_81
; %bb.80:
	v_mov_b32_e32 v156, 3
	ds_store_2addr_b64 v150, v[116:117], v[118:119] offset0:8 offset1:9
	ds_store_2addr_b64 v150, v[96:97], v[98:99] offset0:10 offset1:11
	;; [unrolled: 1-line block ×31, first 2 shown]
.LBB68_81:
	s_or_b32 exec_lo, exec_lo, s2
	s_delay_alu instid0(SALU_CYCLE_1)
	s_mov_b32 s2, exec_lo
	s_waitcnt lgkmcnt(0)
	s_waitcnt_vscnt null, 0x0
	s_barrier
	buffer_gl0_inv
	v_cmpx_lt_i32_e32 3, v156
	s_cbranch_execz .LBB68_83
; %bb.82:
	v_mul_f64 v[148:149], v[142:143], v[114:115]
	v_mul_f64 v[114:115], v[140:141], v[114:115]
	s_delay_alu instid0(VALU_DEP_2) | instskip(NEXT) | instid1(VALU_DEP_2)
	v_fma_f64 v[148:149], v[140:141], v[112:113], -v[148:149]
	v_fma_f64 v[114:115], v[142:143], v[112:113], v[114:115]
	ds_load_2addr_b64 v[140:143], v150 offset0:8 offset1:9
	s_waitcnt lgkmcnt(0)
	v_mul_f64 v[112:113], v[142:143], v[114:115]
	s_delay_alu instid0(VALU_DEP_1) | instskip(SKIP_1) | instid1(VALU_DEP_2)
	v_fma_f64 v[112:113], v[140:141], v[148:149], -v[112:113]
	v_mul_f64 v[140:141], v[140:141], v[114:115]
	v_add_f64 v[116:117], v[116:117], -v[112:113]
	s_delay_alu instid0(VALU_DEP_2) | instskip(NEXT) | instid1(VALU_DEP_1)
	v_fma_f64 v[140:141], v[142:143], v[148:149], v[140:141]
	v_add_f64 v[118:119], v[118:119], -v[140:141]
	ds_load_2addr_b64 v[140:143], v150 offset0:10 offset1:11
	s_waitcnt lgkmcnt(0)
	v_mul_f64 v[112:113], v[142:143], v[114:115]
	s_delay_alu instid0(VALU_DEP_1) | instskip(SKIP_1) | instid1(VALU_DEP_2)
	v_fma_f64 v[112:113], v[140:141], v[148:149], -v[112:113]
	v_mul_f64 v[140:141], v[140:141], v[114:115]
	v_add_f64 v[96:97], v[96:97], -v[112:113]
	s_delay_alu instid0(VALU_DEP_2) | instskip(NEXT) | instid1(VALU_DEP_1)
	v_fma_f64 v[140:141], v[142:143], v[148:149], v[140:141]
	v_add_f64 v[98:99], v[98:99], -v[140:141]
	;; [unrolled: 10-line block ×30, first 2 shown]
	ds_load_2addr_b64 v[140:143], v150 offset0:68 offset1:69
	s_waitcnt lgkmcnt(0)
	v_mul_f64 v[112:113], v[142:143], v[114:115]
	s_delay_alu instid0(VALU_DEP_1) | instskip(SKIP_1) | instid1(VALU_DEP_2)
	v_fma_f64 v[112:113], v[140:141], v[148:149], -v[112:113]
	v_mul_f64 v[140:141], v[140:141], v[114:115]
	v_add_f64 v[0:1], v[0:1], -v[112:113]
	s_delay_alu instid0(VALU_DEP_2) | instskip(SKIP_1) | instid1(VALU_DEP_2)
	v_fma_f64 v[140:141], v[142:143], v[148:149], v[140:141]
	v_dual_mov_b32 v112, v148 :: v_dual_mov_b32 v113, v149
	v_add_f64 v[2:3], v[2:3], -v[140:141]
.LBB68_83:
	s_or_b32 exec_lo, exec_lo, s2
	v_lshl_add_u32 v140, v156, 4, v150
	s_barrier
	buffer_gl0_inv
	v_mov_b32_e32 v148, 4
	ds_store_2addr_b64 v140, v[116:117], v[118:119] offset1:1
	s_waitcnt lgkmcnt(0)
	s_barrier
	buffer_gl0_inv
	ds_load_2addr_b64 v[140:143], v150 offset0:8 offset1:9
	s_cmp_lt_i32 s5, 6
	s_cbranch_scc1 .LBB68_86
; %bb.84:
	v_add3_u32 v149, v155, 0, 0x50
	v_mov_b32_e32 v148, 4
	s_mov_b32 s6, 5
	s_set_inst_prefetch_distance 0x1
	.p2align	6
.LBB68_85:                              ; =>This Inner Loop Header: Depth=1
	ds_load_2addr_b64 v[157:160], v149 offset1:1
	s_waitcnt lgkmcnt(1)
	v_cmp_gt_f64_e32 vcc_lo, 0, v[140:141]
	v_xor_b32_e32 v161, 0x80000000, v141
	v_cmp_gt_f64_e64 s2, 0, v[142:143]
	v_xor_b32_e32 v163, 0x80000000, v143
	v_add_nc_u32_e32 v149, 16, v149
	s_waitcnt lgkmcnt(0)
	v_cmp_gt_f64_e64 s3, 0, v[157:158]
	v_mov_b32_e32 v165, v157
	v_dual_mov_b32 v167, v159 :: v_dual_cndmask_b32 v162, v141, v161
	v_xor_b32_e32 v161, 0x80000000, v158
	v_cndmask_b32_e64 v164, v143, v163, s2
	v_xor_b32_e32 v163, 0x80000000, v160
	s_delay_alu instid0(VALU_DEP_3) | instskip(SKIP_2) | instid1(VALU_DEP_2)
	v_cndmask_b32_e64 v166, v158, v161, s3
	v_cmp_gt_f64_e64 s3, 0, v[159:160]
	v_cndmask_b32_e32 v161, v140, v140, vcc_lo
	v_cndmask_b32_e64 v168, v160, v163, s3
	v_cndmask_b32_e64 v163, v142, v142, s2
	s_delay_alu instid0(VALU_DEP_2) | instskip(NEXT) | instid1(VALU_DEP_2)
	v_add_f64 v[165:166], v[165:166], v[167:168]
	v_add_f64 v[161:162], v[161:162], v[163:164]
	s_delay_alu instid0(VALU_DEP_1) | instskip(SKIP_4) | instid1(SALU_CYCLE_1)
	v_cmp_lt_f64_e32 vcc_lo, v[161:162], v[165:166]
	v_dual_cndmask_b32 v142, v142, v159 :: v_dual_cndmask_b32 v141, v141, v158
	v_dual_cndmask_b32 v140, v140, v157 :: v_dual_cndmask_b32 v143, v143, v160
	v_cndmask_b32_e64 v148, v148, s6, vcc_lo
	s_add_i32 s6, s6, 1
	s_cmp_lg_u32 s5, s6
	s_cbranch_scc1 .LBB68_85
.LBB68_86:
	s_set_inst_prefetch_distance 0x2
	s_waitcnt lgkmcnt(0)
	v_cmp_eq_f64_e32 vcc_lo, 0, v[140:141]
	v_cmp_eq_f64_e64 s2, 0, v[142:143]
	s_delay_alu instid0(VALU_DEP_1) | instskip(NEXT) | instid1(SALU_CYCLE_1)
	s_and_b32 s2, vcc_lo, s2
	s_and_saveexec_b32 s3, s2
	s_delay_alu instid0(SALU_CYCLE_1)
	s_xor_b32 s2, exec_lo, s3
; %bb.87:
	v_cmp_ne_u32_e32 vcc_lo, 0, v153
	v_cndmask_b32_e32 v153, 5, v153, vcc_lo
; %bb.88:
	s_and_not1_saveexec_b32 s3, s2
	s_cbranch_execz .LBB68_94
; %bb.89:
	v_cmp_gt_f64_e32 vcc_lo, 0, v[140:141]
	v_cmp_gt_f64_e64 s2, 0, v[142:143]
	v_xor_b32_e32 v149, 0x80000000, v141
	v_xor_b32_e32 v157, 0x80000000, v143
	s_delay_alu instid0(VALU_DEP_2) | instskip(NEXT) | instid1(VALU_DEP_2)
	v_cndmask_b32_e32 v158, v141, v149, vcc_lo
	v_cndmask_b32_e64 v160, v143, v157, s2
	v_cndmask_b32_e32 v157, v140, v140, vcc_lo
	v_cndmask_b32_e64 v159, v142, v142, s2
	s_mov_b32 s2, exec_lo
	s_delay_alu instid0(VALU_DEP_1)
	v_cmpx_ngt_f64_e32 v[157:158], v[159:160]
	s_xor_b32 s2, exec_lo, s2
	s_cbranch_execz .LBB68_91
; %bb.90:
	v_div_scale_f64 v[157:158], null, v[142:143], v[142:143], v[140:141]
	v_div_scale_f64 v[163:164], vcc_lo, v[140:141], v[142:143], v[140:141]
	s_delay_alu instid0(VALU_DEP_2) | instskip(SKIP_2) | instid1(VALU_DEP_1)
	v_rcp_f64_e32 v[159:160], v[157:158]
	s_waitcnt_depctr 0xfff
	v_fma_f64 v[161:162], -v[157:158], v[159:160], 1.0
	v_fma_f64 v[159:160], v[159:160], v[161:162], v[159:160]
	s_delay_alu instid0(VALU_DEP_1) | instskip(NEXT) | instid1(VALU_DEP_1)
	v_fma_f64 v[161:162], -v[157:158], v[159:160], 1.0
	v_fma_f64 v[159:160], v[159:160], v[161:162], v[159:160]
	s_delay_alu instid0(VALU_DEP_1) | instskip(NEXT) | instid1(VALU_DEP_1)
	v_mul_f64 v[161:162], v[163:164], v[159:160]
	v_fma_f64 v[157:158], -v[157:158], v[161:162], v[163:164]
	s_delay_alu instid0(VALU_DEP_1) | instskip(NEXT) | instid1(VALU_DEP_1)
	v_div_fmas_f64 v[157:158], v[157:158], v[159:160], v[161:162]
	v_div_fixup_f64 v[157:158], v[157:158], v[142:143], v[140:141]
	s_delay_alu instid0(VALU_DEP_1) | instskip(NEXT) | instid1(VALU_DEP_1)
	v_fma_f64 v[140:141], v[140:141], v[157:158], v[142:143]
	v_div_scale_f64 v[142:143], null, v[140:141], v[140:141], 1.0
	s_delay_alu instid0(VALU_DEP_1) | instskip(SKIP_2) | instid1(VALU_DEP_1)
	v_rcp_f64_e32 v[159:160], v[142:143]
	s_waitcnt_depctr 0xfff
	v_fma_f64 v[161:162], -v[142:143], v[159:160], 1.0
	v_fma_f64 v[159:160], v[159:160], v[161:162], v[159:160]
	s_delay_alu instid0(VALU_DEP_1) | instskip(NEXT) | instid1(VALU_DEP_1)
	v_fma_f64 v[161:162], -v[142:143], v[159:160], 1.0
	v_fma_f64 v[159:160], v[159:160], v[161:162], v[159:160]
	v_div_scale_f64 v[161:162], vcc_lo, 1.0, v[140:141], 1.0
	s_delay_alu instid0(VALU_DEP_1) | instskip(NEXT) | instid1(VALU_DEP_1)
	v_mul_f64 v[163:164], v[161:162], v[159:160]
	v_fma_f64 v[142:143], -v[142:143], v[163:164], v[161:162]
	s_delay_alu instid0(VALU_DEP_1) | instskip(NEXT) | instid1(VALU_DEP_1)
	v_div_fmas_f64 v[142:143], v[142:143], v[159:160], v[163:164]
	v_div_fixup_f64 v[142:143], v[142:143], v[140:141], 1.0
	s_delay_alu instid0(VALU_DEP_1)
	v_mul_f64 v[140:141], v[157:158], v[142:143]
	v_xor_b32_e32 v143, 0x80000000, v143
.LBB68_91:
	s_and_not1_saveexec_b32 s2, s2
	s_cbranch_execz .LBB68_93
; %bb.92:
	s_delay_alu instid0(VALU_DEP_1) | instskip(SKIP_1) | instid1(VALU_DEP_2)
	v_div_scale_f64 v[157:158], null, v[140:141], v[140:141], v[142:143]
	v_div_scale_f64 v[163:164], vcc_lo, v[142:143], v[140:141], v[142:143]
	v_rcp_f64_e32 v[159:160], v[157:158]
	s_waitcnt_depctr 0xfff
	v_fma_f64 v[161:162], -v[157:158], v[159:160], 1.0
	s_delay_alu instid0(VALU_DEP_1) | instskip(NEXT) | instid1(VALU_DEP_1)
	v_fma_f64 v[159:160], v[159:160], v[161:162], v[159:160]
	v_fma_f64 v[161:162], -v[157:158], v[159:160], 1.0
	s_delay_alu instid0(VALU_DEP_1) | instskip(NEXT) | instid1(VALU_DEP_1)
	v_fma_f64 v[159:160], v[159:160], v[161:162], v[159:160]
	v_mul_f64 v[161:162], v[163:164], v[159:160]
	s_delay_alu instid0(VALU_DEP_1) | instskip(NEXT) | instid1(VALU_DEP_1)
	v_fma_f64 v[157:158], -v[157:158], v[161:162], v[163:164]
	v_div_fmas_f64 v[157:158], v[157:158], v[159:160], v[161:162]
	s_delay_alu instid0(VALU_DEP_1) | instskip(NEXT) | instid1(VALU_DEP_1)
	v_div_fixup_f64 v[157:158], v[157:158], v[140:141], v[142:143]
	v_fma_f64 v[140:141], v[142:143], v[157:158], v[140:141]
	s_delay_alu instid0(VALU_DEP_1) | instskip(NEXT) | instid1(VALU_DEP_1)
	v_div_scale_f64 v[142:143], null, v[140:141], v[140:141], 1.0
	v_rcp_f64_e32 v[159:160], v[142:143]
	s_waitcnt_depctr 0xfff
	v_fma_f64 v[161:162], -v[142:143], v[159:160], 1.0
	s_delay_alu instid0(VALU_DEP_1) | instskip(NEXT) | instid1(VALU_DEP_1)
	v_fma_f64 v[159:160], v[159:160], v[161:162], v[159:160]
	v_fma_f64 v[161:162], -v[142:143], v[159:160], 1.0
	s_delay_alu instid0(VALU_DEP_1) | instskip(SKIP_1) | instid1(VALU_DEP_1)
	v_fma_f64 v[159:160], v[159:160], v[161:162], v[159:160]
	v_div_scale_f64 v[161:162], vcc_lo, 1.0, v[140:141], 1.0
	v_mul_f64 v[163:164], v[161:162], v[159:160]
	s_delay_alu instid0(VALU_DEP_1) | instskip(NEXT) | instid1(VALU_DEP_1)
	v_fma_f64 v[142:143], -v[142:143], v[163:164], v[161:162]
	v_div_fmas_f64 v[142:143], v[142:143], v[159:160], v[163:164]
	s_delay_alu instid0(VALU_DEP_1) | instskip(NEXT) | instid1(VALU_DEP_1)
	v_div_fixup_f64 v[140:141], v[142:143], v[140:141], 1.0
	v_mul_f64 v[142:143], v[157:158], -v[140:141]
.LBB68_93:
	s_or_b32 exec_lo, exec_lo, s2
.LBB68_94:
	s_delay_alu instid0(SALU_CYCLE_1) | instskip(NEXT) | instid1(SALU_CYCLE_1)
	s_or_b32 exec_lo, exec_lo, s3
	s_mov_b32 s2, exec_lo
	v_cmpx_ne_u32_e64 v156, v148
	s_xor_b32 s2, exec_lo, s2
	s_cbranch_execz .LBB68_100
; %bb.95:
	s_mov_b32 s3, exec_lo
	v_cmpx_eq_u32_e32 4, v156
	s_cbranch_execz .LBB68_99
; %bb.96:
	v_cmp_ne_u32_e32 vcc_lo, 4, v148
	s_xor_b32 s6, s4, -1
	s_delay_alu instid0(SALU_CYCLE_1) | instskip(NEXT) | instid1(SALU_CYCLE_1)
	s_and_b32 s7, s6, vcc_lo
	s_and_saveexec_b32 s6, s7
	s_cbranch_execz .LBB68_98
; %bb.97:
	v_ashrrev_i32_e32 v149, 31, v148
	s_delay_alu instid0(VALU_DEP_1) | instskip(NEXT) | instid1(VALU_DEP_1)
	v_lshlrev_b64 v[156:157], 2, v[148:149]
	v_add_co_u32 v156, vcc_lo, v146, v156
	s_delay_alu instid0(VALU_DEP_2)
	v_add_co_ci_u32_e32 v157, vcc_lo, v147, v157, vcc_lo
	s_clause 0x1
	flat_load_b32 v149, v[156:157]
	flat_load_b32 v154, v[146:147] offset:16
	s_waitcnt vmcnt(1) lgkmcnt(1)
	flat_store_b32 v[146:147], v149 offset:16
	s_waitcnt vmcnt(0) lgkmcnt(1)
	flat_store_b32 v[156:157], v154
.LBB68_98:
	s_or_b32 exec_lo, exec_lo, s6
	v_mov_b32_e32 v156, v148
	v_mov_b32_e32 v154, v148
.LBB68_99:
	s_or_b32 exec_lo, exec_lo, s3
.LBB68_100:
	s_and_not1_saveexec_b32 s2, s2
	s_cbranch_execz .LBB68_102
; %bb.101:
	v_mov_b32_e32 v156, 4
	ds_store_2addr_b64 v150, v[96:97], v[98:99] offset0:10 offset1:11
	ds_store_2addr_b64 v150, v[136:137], v[138:139] offset0:12 offset1:13
	;; [unrolled: 1-line block ×30, first 2 shown]
.LBB68_102:
	s_or_b32 exec_lo, exec_lo, s2
	s_delay_alu instid0(SALU_CYCLE_1)
	s_mov_b32 s2, exec_lo
	s_waitcnt lgkmcnt(0)
	s_waitcnt_vscnt null, 0x0
	s_barrier
	buffer_gl0_inv
	v_cmpx_lt_i32_e32 4, v156
	s_cbranch_execz .LBB68_104
; %bb.103:
	v_mul_f64 v[148:149], v[142:143], v[118:119]
	v_mul_f64 v[118:119], v[140:141], v[118:119]
	s_delay_alu instid0(VALU_DEP_2) | instskip(NEXT) | instid1(VALU_DEP_2)
	v_fma_f64 v[148:149], v[140:141], v[116:117], -v[148:149]
	v_fma_f64 v[118:119], v[142:143], v[116:117], v[118:119]
	ds_load_2addr_b64 v[140:143], v150 offset0:10 offset1:11
	s_waitcnt lgkmcnt(0)
	v_mul_f64 v[116:117], v[142:143], v[118:119]
	s_delay_alu instid0(VALU_DEP_1) | instskip(SKIP_1) | instid1(VALU_DEP_2)
	v_fma_f64 v[116:117], v[140:141], v[148:149], -v[116:117]
	v_mul_f64 v[140:141], v[140:141], v[118:119]
	v_add_f64 v[96:97], v[96:97], -v[116:117]
	s_delay_alu instid0(VALU_DEP_2) | instskip(NEXT) | instid1(VALU_DEP_1)
	v_fma_f64 v[140:141], v[142:143], v[148:149], v[140:141]
	v_add_f64 v[98:99], v[98:99], -v[140:141]
	ds_load_2addr_b64 v[140:143], v150 offset0:12 offset1:13
	s_waitcnt lgkmcnt(0)
	v_mul_f64 v[116:117], v[142:143], v[118:119]
	s_delay_alu instid0(VALU_DEP_1) | instskip(SKIP_1) | instid1(VALU_DEP_2)
	v_fma_f64 v[116:117], v[140:141], v[148:149], -v[116:117]
	v_mul_f64 v[140:141], v[140:141], v[118:119]
	v_add_f64 v[136:137], v[136:137], -v[116:117]
	s_delay_alu instid0(VALU_DEP_2) | instskip(NEXT) | instid1(VALU_DEP_1)
	v_fma_f64 v[140:141], v[142:143], v[148:149], v[140:141]
	v_add_f64 v[138:139], v[138:139], -v[140:141]
	;; [unrolled: 10-line block ×29, first 2 shown]
	ds_load_2addr_b64 v[140:143], v150 offset0:68 offset1:69
	s_waitcnt lgkmcnt(0)
	v_mul_f64 v[116:117], v[142:143], v[118:119]
	s_delay_alu instid0(VALU_DEP_1) | instskip(SKIP_1) | instid1(VALU_DEP_2)
	v_fma_f64 v[116:117], v[140:141], v[148:149], -v[116:117]
	v_mul_f64 v[140:141], v[140:141], v[118:119]
	v_add_f64 v[0:1], v[0:1], -v[116:117]
	s_delay_alu instid0(VALU_DEP_2) | instskip(SKIP_1) | instid1(VALU_DEP_2)
	v_fma_f64 v[140:141], v[142:143], v[148:149], v[140:141]
	v_dual_mov_b32 v116, v148 :: v_dual_mov_b32 v117, v149
	v_add_f64 v[2:3], v[2:3], -v[140:141]
.LBB68_104:
	s_or_b32 exec_lo, exec_lo, s2
	v_lshl_add_u32 v140, v156, 4, v150
	s_barrier
	buffer_gl0_inv
	v_mov_b32_e32 v148, 5
	ds_store_2addr_b64 v140, v[96:97], v[98:99] offset1:1
	s_waitcnt lgkmcnt(0)
	s_barrier
	buffer_gl0_inv
	ds_load_2addr_b64 v[140:143], v150 offset0:10 offset1:11
	s_cmp_lt_i32 s5, 7
	s_cbranch_scc1 .LBB68_107
; %bb.105:
	v_add3_u32 v149, v155, 0, 0x60
	v_mov_b32_e32 v148, 5
	s_mov_b32 s6, 6
	s_set_inst_prefetch_distance 0x1
	.p2align	6
.LBB68_106:                             ; =>This Inner Loop Header: Depth=1
	ds_load_2addr_b64 v[157:160], v149 offset1:1
	s_waitcnt lgkmcnt(1)
	v_cmp_gt_f64_e32 vcc_lo, 0, v[140:141]
	v_xor_b32_e32 v161, 0x80000000, v141
	v_cmp_gt_f64_e64 s2, 0, v[142:143]
	v_xor_b32_e32 v163, 0x80000000, v143
	v_add_nc_u32_e32 v149, 16, v149
	s_waitcnt lgkmcnt(0)
	v_cmp_gt_f64_e64 s3, 0, v[157:158]
	v_mov_b32_e32 v165, v157
	v_dual_mov_b32 v167, v159 :: v_dual_cndmask_b32 v162, v141, v161
	v_xor_b32_e32 v161, 0x80000000, v158
	v_cndmask_b32_e64 v164, v143, v163, s2
	v_xor_b32_e32 v163, 0x80000000, v160
	s_delay_alu instid0(VALU_DEP_3) | instskip(SKIP_2) | instid1(VALU_DEP_2)
	v_cndmask_b32_e64 v166, v158, v161, s3
	v_cmp_gt_f64_e64 s3, 0, v[159:160]
	v_cndmask_b32_e32 v161, v140, v140, vcc_lo
	v_cndmask_b32_e64 v168, v160, v163, s3
	v_cndmask_b32_e64 v163, v142, v142, s2
	s_delay_alu instid0(VALU_DEP_2) | instskip(NEXT) | instid1(VALU_DEP_2)
	v_add_f64 v[165:166], v[165:166], v[167:168]
	v_add_f64 v[161:162], v[161:162], v[163:164]
	s_delay_alu instid0(VALU_DEP_1) | instskip(SKIP_4) | instid1(SALU_CYCLE_1)
	v_cmp_lt_f64_e32 vcc_lo, v[161:162], v[165:166]
	v_dual_cndmask_b32 v142, v142, v159 :: v_dual_cndmask_b32 v141, v141, v158
	v_dual_cndmask_b32 v140, v140, v157 :: v_dual_cndmask_b32 v143, v143, v160
	v_cndmask_b32_e64 v148, v148, s6, vcc_lo
	s_add_i32 s6, s6, 1
	s_cmp_lg_u32 s5, s6
	s_cbranch_scc1 .LBB68_106
.LBB68_107:
	s_set_inst_prefetch_distance 0x2
	s_waitcnt lgkmcnt(0)
	v_cmp_eq_f64_e32 vcc_lo, 0, v[140:141]
	v_cmp_eq_f64_e64 s2, 0, v[142:143]
	s_delay_alu instid0(VALU_DEP_1) | instskip(NEXT) | instid1(SALU_CYCLE_1)
	s_and_b32 s2, vcc_lo, s2
	s_and_saveexec_b32 s3, s2
	s_delay_alu instid0(SALU_CYCLE_1)
	s_xor_b32 s2, exec_lo, s3
; %bb.108:
	v_cmp_ne_u32_e32 vcc_lo, 0, v153
	v_cndmask_b32_e32 v153, 6, v153, vcc_lo
; %bb.109:
	s_and_not1_saveexec_b32 s3, s2
	s_cbranch_execz .LBB68_115
; %bb.110:
	v_cmp_gt_f64_e32 vcc_lo, 0, v[140:141]
	v_cmp_gt_f64_e64 s2, 0, v[142:143]
	v_xor_b32_e32 v149, 0x80000000, v141
	v_xor_b32_e32 v157, 0x80000000, v143
	s_delay_alu instid0(VALU_DEP_2) | instskip(NEXT) | instid1(VALU_DEP_2)
	v_cndmask_b32_e32 v158, v141, v149, vcc_lo
	v_cndmask_b32_e64 v160, v143, v157, s2
	v_cndmask_b32_e32 v157, v140, v140, vcc_lo
	v_cndmask_b32_e64 v159, v142, v142, s2
	s_mov_b32 s2, exec_lo
	s_delay_alu instid0(VALU_DEP_1)
	v_cmpx_ngt_f64_e32 v[157:158], v[159:160]
	s_xor_b32 s2, exec_lo, s2
	s_cbranch_execz .LBB68_112
; %bb.111:
	v_div_scale_f64 v[157:158], null, v[142:143], v[142:143], v[140:141]
	v_div_scale_f64 v[163:164], vcc_lo, v[140:141], v[142:143], v[140:141]
	s_delay_alu instid0(VALU_DEP_2) | instskip(SKIP_2) | instid1(VALU_DEP_1)
	v_rcp_f64_e32 v[159:160], v[157:158]
	s_waitcnt_depctr 0xfff
	v_fma_f64 v[161:162], -v[157:158], v[159:160], 1.0
	v_fma_f64 v[159:160], v[159:160], v[161:162], v[159:160]
	s_delay_alu instid0(VALU_DEP_1) | instskip(NEXT) | instid1(VALU_DEP_1)
	v_fma_f64 v[161:162], -v[157:158], v[159:160], 1.0
	v_fma_f64 v[159:160], v[159:160], v[161:162], v[159:160]
	s_delay_alu instid0(VALU_DEP_1) | instskip(NEXT) | instid1(VALU_DEP_1)
	v_mul_f64 v[161:162], v[163:164], v[159:160]
	v_fma_f64 v[157:158], -v[157:158], v[161:162], v[163:164]
	s_delay_alu instid0(VALU_DEP_1) | instskip(NEXT) | instid1(VALU_DEP_1)
	v_div_fmas_f64 v[157:158], v[157:158], v[159:160], v[161:162]
	v_div_fixup_f64 v[157:158], v[157:158], v[142:143], v[140:141]
	s_delay_alu instid0(VALU_DEP_1) | instskip(NEXT) | instid1(VALU_DEP_1)
	v_fma_f64 v[140:141], v[140:141], v[157:158], v[142:143]
	v_div_scale_f64 v[142:143], null, v[140:141], v[140:141], 1.0
	s_delay_alu instid0(VALU_DEP_1) | instskip(SKIP_2) | instid1(VALU_DEP_1)
	v_rcp_f64_e32 v[159:160], v[142:143]
	s_waitcnt_depctr 0xfff
	v_fma_f64 v[161:162], -v[142:143], v[159:160], 1.0
	v_fma_f64 v[159:160], v[159:160], v[161:162], v[159:160]
	s_delay_alu instid0(VALU_DEP_1) | instskip(NEXT) | instid1(VALU_DEP_1)
	v_fma_f64 v[161:162], -v[142:143], v[159:160], 1.0
	v_fma_f64 v[159:160], v[159:160], v[161:162], v[159:160]
	v_div_scale_f64 v[161:162], vcc_lo, 1.0, v[140:141], 1.0
	s_delay_alu instid0(VALU_DEP_1) | instskip(NEXT) | instid1(VALU_DEP_1)
	v_mul_f64 v[163:164], v[161:162], v[159:160]
	v_fma_f64 v[142:143], -v[142:143], v[163:164], v[161:162]
	s_delay_alu instid0(VALU_DEP_1) | instskip(NEXT) | instid1(VALU_DEP_1)
	v_div_fmas_f64 v[142:143], v[142:143], v[159:160], v[163:164]
	v_div_fixup_f64 v[142:143], v[142:143], v[140:141], 1.0
	s_delay_alu instid0(VALU_DEP_1)
	v_mul_f64 v[140:141], v[157:158], v[142:143]
	v_xor_b32_e32 v143, 0x80000000, v143
.LBB68_112:
	s_and_not1_saveexec_b32 s2, s2
	s_cbranch_execz .LBB68_114
; %bb.113:
	s_delay_alu instid0(VALU_DEP_1) | instskip(SKIP_1) | instid1(VALU_DEP_2)
	v_div_scale_f64 v[157:158], null, v[140:141], v[140:141], v[142:143]
	v_div_scale_f64 v[163:164], vcc_lo, v[142:143], v[140:141], v[142:143]
	v_rcp_f64_e32 v[159:160], v[157:158]
	s_waitcnt_depctr 0xfff
	v_fma_f64 v[161:162], -v[157:158], v[159:160], 1.0
	s_delay_alu instid0(VALU_DEP_1) | instskip(NEXT) | instid1(VALU_DEP_1)
	v_fma_f64 v[159:160], v[159:160], v[161:162], v[159:160]
	v_fma_f64 v[161:162], -v[157:158], v[159:160], 1.0
	s_delay_alu instid0(VALU_DEP_1) | instskip(NEXT) | instid1(VALU_DEP_1)
	v_fma_f64 v[159:160], v[159:160], v[161:162], v[159:160]
	v_mul_f64 v[161:162], v[163:164], v[159:160]
	s_delay_alu instid0(VALU_DEP_1) | instskip(NEXT) | instid1(VALU_DEP_1)
	v_fma_f64 v[157:158], -v[157:158], v[161:162], v[163:164]
	v_div_fmas_f64 v[157:158], v[157:158], v[159:160], v[161:162]
	s_delay_alu instid0(VALU_DEP_1) | instskip(NEXT) | instid1(VALU_DEP_1)
	v_div_fixup_f64 v[157:158], v[157:158], v[140:141], v[142:143]
	v_fma_f64 v[140:141], v[142:143], v[157:158], v[140:141]
	s_delay_alu instid0(VALU_DEP_1) | instskip(NEXT) | instid1(VALU_DEP_1)
	v_div_scale_f64 v[142:143], null, v[140:141], v[140:141], 1.0
	v_rcp_f64_e32 v[159:160], v[142:143]
	s_waitcnt_depctr 0xfff
	v_fma_f64 v[161:162], -v[142:143], v[159:160], 1.0
	s_delay_alu instid0(VALU_DEP_1) | instskip(NEXT) | instid1(VALU_DEP_1)
	v_fma_f64 v[159:160], v[159:160], v[161:162], v[159:160]
	v_fma_f64 v[161:162], -v[142:143], v[159:160], 1.0
	s_delay_alu instid0(VALU_DEP_1) | instskip(SKIP_1) | instid1(VALU_DEP_1)
	v_fma_f64 v[159:160], v[159:160], v[161:162], v[159:160]
	v_div_scale_f64 v[161:162], vcc_lo, 1.0, v[140:141], 1.0
	v_mul_f64 v[163:164], v[161:162], v[159:160]
	s_delay_alu instid0(VALU_DEP_1) | instskip(NEXT) | instid1(VALU_DEP_1)
	v_fma_f64 v[142:143], -v[142:143], v[163:164], v[161:162]
	v_div_fmas_f64 v[142:143], v[142:143], v[159:160], v[163:164]
	s_delay_alu instid0(VALU_DEP_1) | instskip(NEXT) | instid1(VALU_DEP_1)
	v_div_fixup_f64 v[140:141], v[142:143], v[140:141], 1.0
	v_mul_f64 v[142:143], v[157:158], -v[140:141]
.LBB68_114:
	s_or_b32 exec_lo, exec_lo, s2
.LBB68_115:
	s_delay_alu instid0(SALU_CYCLE_1) | instskip(NEXT) | instid1(SALU_CYCLE_1)
	s_or_b32 exec_lo, exec_lo, s3
	s_mov_b32 s2, exec_lo
	v_cmpx_ne_u32_e64 v156, v148
	s_xor_b32 s2, exec_lo, s2
	s_cbranch_execz .LBB68_121
; %bb.116:
	s_mov_b32 s3, exec_lo
	v_cmpx_eq_u32_e32 5, v156
	s_cbranch_execz .LBB68_120
; %bb.117:
	v_cmp_ne_u32_e32 vcc_lo, 5, v148
	s_xor_b32 s6, s4, -1
	s_delay_alu instid0(SALU_CYCLE_1) | instskip(NEXT) | instid1(SALU_CYCLE_1)
	s_and_b32 s7, s6, vcc_lo
	s_and_saveexec_b32 s6, s7
	s_cbranch_execz .LBB68_119
; %bb.118:
	v_ashrrev_i32_e32 v149, 31, v148
	s_delay_alu instid0(VALU_DEP_1) | instskip(NEXT) | instid1(VALU_DEP_1)
	v_lshlrev_b64 v[156:157], 2, v[148:149]
	v_add_co_u32 v156, vcc_lo, v146, v156
	s_delay_alu instid0(VALU_DEP_2)
	v_add_co_ci_u32_e32 v157, vcc_lo, v147, v157, vcc_lo
	s_clause 0x1
	flat_load_b32 v149, v[156:157]
	flat_load_b32 v154, v[146:147] offset:20
	s_waitcnt vmcnt(1) lgkmcnt(1)
	flat_store_b32 v[146:147], v149 offset:20
	s_waitcnt vmcnt(0) lgkmcnt(1)
	flat_store_b32 v[156:157], v154
.LBB68_119:
	s_or_b32 exec_lo, exec_lo, s6
	v_mov_b32_e32 v156, v148
	v_mov_b32_e32 v154, v148
.LBB68_120:
	s_or_b32 exec_lo, exec_lo, s3
.LBB68_121:
	s_and_not1_saveexec_b32 s2, s2
	s_cbranch_execz .LBB68_123
; %bb.122:
	v_mov_b32_e32 v156, 5
	ds_store_2addr_b64 v150, v[136:137], v[138:139] offset0:12 offset1:13
	ds_store_2addr_b64 v150, v[132:133], v[134:135] offset0:14 offset1:15
	;; [unrolled: 1-line block ×29, first 2 shown]
.LBB68_123:
	s_or_b32 exec_lo, exec_lo, s2
	s_delay_alu instid0(SALU_CYCLE_1)
	s_mov_b32 s2, exec_lo
	s_waitcnt lgkmcnt(0)
	s_waitcnt_vscnt null, 0x0
	s_barrier
	buffer_gl0_inv
	v_cmpx_lt_i32_e32 5, v156
	s_cbranch_execz .LBB68_125
; %bb.124:
	v_mul_f64 v[148:149], v[142:143], v[98:99]
	v_mul_f64 v[98:99], v[140:141], v[98:99]
	s_delay_alu instid0(VALU_DEP_2) | instskip(NEXT) | instid1(VALU_DEP_2)
	v_fma_f64 v[148:149], v[140:141], v[96:97], -v[148:149]
	v_fma_f64 v[98:99], v[142:143], v[96:97], v[98:99]
	ds_load_2addr_b64 v[140:143], v150 offset0:12 offset1:13
	s_waitcnt lgkmcnt(0)
	v_mul_f64 v[96:97], v[142:143], v[98:99]
	s_delay_alu instid0(VALU_DEP_1) | instskip(SKIP_1) | instid1(VALU_DEP_2)
	v_fma_f64 v[96:97], v[140:141], v[148:149], -v[96:97]
	v_mul_f64 v[140:141], v[140:141], v[98:99]
	v_add_f64 v[136:137], v[136:137], -v[96:97]
	s_delay_alu instid0(VALU_DEP_2) | instskip(NEXT) | instid1(VALU_DEP_1)
	v_fma_f64 v[140:141], v[142:143], v[148:149], v[140:141]
	v_add_f64 v[138:139], v[138:139], -v[140:141]
	ds_load_2addr_b64 v[140:143], v150 offset0:14 offset1:15
	s_waitcnt lgkmcnt(0)
	v_mul_f64 v[96:97], v[142:143], v[98:99]
	s_delay_alu instid0(VALU_DEP_1) | instskip(SKIP_1) | instid1(VALU_DEP_2)
	v_fma_f64 v[96:97], v[140:141], v[148:149], -v[96:97]
	v_mul_f64 v[140:141], v[140:141], v[98:99]
	v_add_f64 v[132:133], v[132:133], -v[96:97]
	s_delay_alu instid0(VALU_DEP_2) | instskip(NEXT) | instid1(VALU_DEP_1)
	v_fma_f64 v[140:141], v[142:143], v[148:149], v[140:141]
	v_add_f64 v[134:135], v[134:135], -v[140:141]
	;; [unrolled: 10-line block ×28, first 2 shown]
	ds_load_2addr_b64 v[140:143], v150 offset0:68 offset1:69
	s_waitcnt lgkmcnt(0)
	v_mul_f64 v[96:97], v[142:143], v[98:99]
	s_delay_alu instid0(VALU_DEP_1) | instskip(SKIP_1) | instid1(VALU_DEP_2)
	v_fma_f64 v[96:97], v[140:141], v[148:149], -v[96:97]
	v_mul_f64 v[140:141], v[140:141], v[98:99]
	v_add_f64 v[0:1], v[0:1], -v[96:97]
	s_delay_alu instid0(VALU_DEP_2) | instskip(SKIP_1) | instid1(VALU_DEP_2)
	v_fma_f64 v[140:141], v[142:143], v[148:149], v[140:141]
	v_dual_mov_b32 v96, v148 :: v_dual_mov_b32 v97, v149
	v_add_f64 v[2:3], v[2:3], -v[140:141]
.LBB68_125:
	s_or_b32 exec_lo, exec_lo, s2
	v_lshl_add_u32 v140, v156, 4, v150
	s_barrier
	buffer_gl0_inv
	v_mov_b32_e32 v148, 6
	ds_store_2addr_b64 v140, v[136:137], v[138:139] offset1:1
	s_waitcnt lgkmcnt(0)
	s_barrier
	buffer_gl0_inv
	ds_load_2addr_b64 v[140:143], v150 offset0:12 offset1:13
	s_cmp_lt_i32 s5, 8
	s_cbranch_scc1 .LBB68_128
; %bb.126:
	v_add3_u32 v149, v155, 0, 0x70
	v_mov_b32_e32 v148, 6
	s_mov_b32 s6, 7
	s_set_inst_prefetch_distance 0x1
	.p2align	6
.LBB68_127:                             ; =>This Inner Loop Header: Depth=1
	ds_load_2addr_b64 v[157:160], v149 offset1:1
	s_waitcnt lgkmcnt(1)
	v_cmp_gt_f64_e32 vcc_lo, 0, v[140:141]
	v_xor_b32_e32 v161, 0x80000000, v141
	v_cmp_gt_f64_e64 s2, 0, v[142:143]
	v_xor_b32_e32 v163, 0x80000000, v143
	v_add_nc_u32_e32 v149, 16, v149
	s_waitcnt lgkmcnt(0)
	v_cmp_gt_f64_e64 s3, 0, v[157:158]
	v_mov_b32_e32 v165, v157
	v_dual_mov_b32 v167, v159 :: v_dual_cndmask_b32 v162, v141, v161
	v_xor_b32_e32 v161, 0x80000000, v158
	v_cndmask_b32_e64 v164, v143, v163, s2
	v_xor_b32_e32 v163, 0x80000000, v160
	s_delay_alu instid0(VALU_DEP_3) | instskip(SKIP_2) | instid1(VALU_DEP_2)
	v_cndmask_b32_e64 v166, v158, v161, s3
	v_cmp_gt_f64_e64 s3, 0, v[159:160]
	v_cndmask_b32_e32 v161, v140, v140, vcc_lo
	v_cndmask_b32_e64 v168, v160, v163, s3
	v_cndmask_b32_e64 v163, v142, v142, s2
	s_delay_alu instid0(VALU_DEP_2) | instskip(NEXT) | instid1(VALU_DEP_2)
	v_add_f64 v[165:166], v[165:166], v[167:168]
	v_add_f64 v[161:162], v[161:162], v[163:164]
	s_delay_alu instid0(VALU_DEP_1) | instskip(SKIP_4) | instid1(SALU_CYCLE_1)
	v_cmp_lt_f64_e32 vcc_lo, v[161:162], v[165:166]
	v_dual_cndmask_b32 v142, v142, v159 :: v_dual_cndmask_b32 v141, v141, v158
	v_dual_cndmask_b32 v140, v140, v157 :: v_dual_cndmask_b32 v143, v143, v160
	v_cndmask_b32_e64 v148, v148, s6, vcc_lo
	s_add_i32 s6, s6, 1
	s_cmp_lg_u32 s5, s6
	s_cbranch_scc1 .LBB68_127
.LBB68_128:
	s_set_inst_prefetch_distance 0x2
	s_waitcnt lgkmcnt(0)
	v_cmp_eq_f64_e32 vcc_lo, 0, v[140:141]
	v_cmp_eq_f64_e64 s2, 0, v[142:143]
	s_delay_alu instid0(VALU_DEP_1) | instskip(NEXT) | instid1(SALU_CYCLE_1)
	s_and_b32 s2, vcc_lo, s2
	s_and_saveexec_b32 s3, s2
	s_delay_alu instid0(SALU_CYCLE_1)
	s_xor_b32 s2, exec_lo, s3
; %bb.129:
	v_cmp_ne_u32_e32 vcc_lo, 0, v153
	v_cndmask_b32_e32 v153, 7, v153, vcc_lo
; %bb.130:
	s_and_not1_saveexec_b32 s3, s2
	s_cbranch_execz .LBB68_136
; %bb.131:
	v_cmp_gt_f64_e32 vcc_lo, 0, v[140:141]
	v_cmp_gt_f64_e64 s2, 0, v[142:143]
	v_xor_b32_e32 v149, 0x80000000, v141
	v_xor_b32_e32 v157, 0x80000000, v143
	s_delay_alu instid0(VALU_DEP_2) | instskip(NEXT) | instid1(VALU_DEP_2)
	v_cndmask_b32_e32 v158, v141, v149, vcc_lo
	v_cndmask_b32_e64 v160, v143, v157, s2
	v_cndmask_b32_e32 v157, v140, v140, vcc_lo
	v_cndmask_b32_e64 v159, v142, v142, s2
	s_mov_b32 s2, exec_lo
	s_delay_alu instid0(VALU_DEP_1)
	v_cmpx_ngt_f64_e32 v[157:158], v[159:160]
	s_xor_b32 s2, exec_lo, s2
	s_cbranch_execz .LBB68_133
; %bb.132:
	v_div_scale_f64 v[157:158], null, v[142:143], v[142:143], v[140:141]
	v_div_scale_f64 v[163:164], vcc_lo, v[140:141], v[142:143], v[140:141]
	s_delay_alu instid0(VALU_DEP_2) | instskip(SKIP_2) | instid1(VALU_DEP_1)
	v_rcp_f64_e32 v[159:160], v[157:158]
	s_waitcnt_depctr 0xfff
	v_fma_f64 v[161:162], -v[157:158], v[159:160], 1.0
	v_fma_f64 v[159:160], v[159:160], v[161:162], v[159:160]
	s_delay_alu instid0(VALU_DEP_1) | instskip(NEXT) | instid1(VALU_DEP_1)
	v_fma_f64 v[161:162], -v[157:158], v[159:160], 1.0
	v_fma_f64 v[159:160], v[159:160], v[161:162], v[159:160]
	s_delay_alu instid0(VALU_DEP_1) | instskip(NEXT) | instid1(VALU_DEP_1)
	v_mul_f64 v[161:162], v[163:164], v[159:160]
	v_fma_f64 v[157:158], -v[157:158], v[161:162], v[163:164]
	s_delay_alu instid0(VALU_DEP_1) | instskip(NEXT) | instid1(VALU_DEP_1)
	v_div_fmas_f64 v[157:158], v[157:158], v[159:160], v[161:162]
	v_div_fixup_f64 v[157:158], v[157:158], v[142:143], v[140:141]
	s_delay_alu instid0(VALU_DEP_1) | instskip(NEXT) | instid1(VALU_DEP_1)
	v_fma_f64 v[140:141], v[140:141], v[157:158], v[142:143]
	v_div_scale_f64 v[142:143], null, v[140:141], v[140:141], 1.0
	s_delay_alu instid0(VALU_DEP_1) | instskip(SKIP_2) | instid1(VALU_DEP_1)
	v_rcp_f64_e32 v[159:160], v[142:143]
	s_waitcnt_depctr 0xfff
	v_fma_f64 v[161:162], -v[142:143], v[159:160], 1.0
	v_fma_f64 v[159:160], v[159:160], v[161:162], v[159:160]
	s_delay_alu instid0(VALU_DEP_1) | instskip(NEXT) | instid1(VALU_DEP_1)
	v_fma_f64 v[161:162], -v[142:143], v[159:160], 1.0
	v_fma_f64 v[159:160], v[159:160], v[161:162], v[159:160]
	v_div_scale_f64 v[161:162], vcc_lo, 1.0, v[140:141], 1.0
	s_delay_alu instid0(VALU_DEP_1) | instskip(NEXT) | instid1(VALU_DEP_1)
	v_mul_f64 v[163:164], v[161:162], v[159:160]
	v_fma_f64 v[142:143], -v[142:143], v[163:164], v[161:162]
	s_delay_alu instid0(VALU_DEP_1) | instskip(NEXT) | instid1(VALU_DEP_1)
	v_div_fmas_f64 v[142:143], v[142:143], v[159:160], v[163:164]
	v_div_fixup_f64 v[142:143], v[142:143], v[140:141], 1.0
	s_delay_alu instid0(VALU_DEP_1)
	v_mul_f64 v[140:141], v[157:158], v[142:143]
	v_xor_b32_e32 v143, 0x80000000, v143
.LBB68_133:
	s_and_not1_saveexec_b32 s2, s2
	s_cbranch_execz .LBB68_135
; %bb.134:
	s_delay_alu instid0(VALU_DEP_1) | instskip(SKIP_1) | instid1(VALU_DEP_2)
	v_div_scale_f64 v[157:158], null, v[140:141], v[140:141], v[142:143]
	v_div_scale_f64 v[163:164], vcc_lo, v[142:143], v[140:141], v[142:143]
	v_rcp_f64_e32 v[159:160], v[157:158]
	s_waitcnt_depctr 0xfff
	v_fma_f64 v[161:162], -v[157:158], v[159:160], 1.0
	s_delay_alu instid0(VALU_DEP_1) | instskip(NEXT) | instid1(VALU_DEP_1)
	v_fma_f64 v[159:160], v[159:160], v[161:162], v[159:160]
	v_fma_f64 v[161:162], -v[157:158], v[159:160], 1.0
	s_delay_alu instid0(VALU_DEP_1) | instskip(NEXT) | instid1(VALU_DEP_1)
	v_fma_f64 v[159:160], v[159:160], v[161:162], v[159:160]
	v_mul_f64 v[161:162], v[163:164], v[159:160]
	s_delay_alu instid0(VALU_DEP_1) | instskip(NEXT) | instid1(VALU_DEP_1)
	v_fma_f64 v[157:158], -v[157:158], v[161:162], v[163:164]
	v_div_fmas_f64 v[157:158], v[157:158], v[159:160], v[161:162]
	s_delay_alu instid0(VALU_DEP_1) | instskip(NEXT) | instid1(VALU_DEP_1)
	v_div_fixup_f64 v[157:158], v[157:158], v[140:141], v[142:143]
	v_fma_f64 v[140:141], v[142:143], v[157:158], v[140:141]
	s_delay_alu instid0(VALU_DEP_1) | instskip(NEXT) | instid1(VALU_DEP_1)
	v_div_scale_f64 v[142:143], null, v[140:141], v[140:141], 1.0
	v_rcp_f64_e32 v[159:160], v[142:143]
	s_waitcnt_depctr 0xfff
	v_fma_f64 v[161:162], -v[142:143], v[159:160], 1.0
	s_delay_alu instid0(VALU_DEP_1) | instskip(NEXT) | instid1(VALU_DEP_1)
	v_fma_f64 v[159:160], v[159:160], v[161:162], v[159:160]
	v_fma_f64 v[161:162], -v[142:143], v[159:160], 1.0
	s_delay_alu instid0(VALU_DEP_1) | instskip(SKIP_1) | instid1(VALU_DEP_1)
	v_fma_f64 v[159:160], v[159:160], v[161:162], v[159:160]
	v_div_scale_f64 v[161:162], vcc_lo, 1.0, v[140:141], 1.0
	v_mul_f64 v[163:164], v[161:162], v[159:160]
	s_delay_alu instid0(VALU_DEP_1) | instskip(NEXT) | instid1(VALU_DEP_1)
	v_fma_f64 v[142:143], -v[142:143], v[163:164], v[161:162]
	v_div_fmas_f64 v[142:143], v[142:143], v[159:160], v[163:164]
	s_delay_alu instid0(VALU_DEP_1) | instskip(NEXT) | instid1(VALU_DEP_1)
	v_div_fixup_f64 v[140:141], v[142:143], v[140:141], 1.0
	v_mul_f64 v[142:143], v[157:158], -v[140:141]
.LBB68_135:
	s_or_b32 exec_lo, exec_lo, s2
.LBB68_136:
	s_delay_alu instid0(SALU_CYCLE_1) | instskip(NEXT) | instid1(SALU_CYCLE_1)
	s_or_b32 exec_lo, exec_lo, s3
	s_mov_b32 s2, exec_lo
	v_cmpx_ne_u32_e64 v156, v148
	s_xor_b32 s2, exec_lo, s2
	s_cbranch_execz .LBB68_142
; %bb.137:
	s_mov_b32 s3, exec_lo
	v_cmpx_eq_u32_e32 6, v156
	s_cbranch_execz .LBB68_141
; %bb.138:
	v_cmp_ne_u32_e32 vcc_lo, 6, v148
	s_xor_b32 s6, s4, -1
	s_delay_alu instid0(SALU_CYCLE_1) | instskip(NEXT) | instid1(SALU_CYCLE_1)
	s_and_b32 s7, s6, vcc_lo
	s_and_saveexec_b32 s6, s7
	s_cbranch_execz .LBB68_140
; %bb.139:
	v_ashrrev_i32_e32 v149, 31, v148
	s_delay_alu instid0(VALU_DEP_1) | instskip(NEXT) | instid1(VALU_DEP_1)
	v_lshlrev_b64 v[156:157], 2, v[148:149]
	v_add_co_u32 v156, vcc_lo, v146, v156
	s_delay_alu instid0(VALU_DEP_2)
	v_add_co_ci_u32_e32 v157, vcc_lo, v147, v157, vcc_lo
	s_clause 0x1
	flat_load_b32 v149, v[156:157]
	flat_load_b32 v154, v[146:147] offset:24
	s_waitcnt vmcnt(1) lgkmcnt(1)
	flat_store_b32 v[146:147], v149 offset:24
	s_waitcnt vmcnt(0) lgkmcnt(1)
	flat_store_b32 v[156:157], v154
.LBB68_140:
	s_or_b32 exec_lo, exec_lo, s6
	v_mov_b32_e32 v156, v148
	v_mov_b32_e32 v154, v148
.LBB68_141:
	s_or_b32 exec_lo, exec_lo, s3
.LBB68_142:
	s_and_not1_saveexec_b32 s2, s2
	s_cbranch_execz .LBB68_144
; %bb.143:
	v_mov_b32_e32 v156, 6
	ds_store_2addr_b64 v150, v[132:133], v[134:135] offset0:14 offset1:15
	ds_store_2addr_b64 v150, v[124:125], v[126:127] offset0:16 offset1:17
	;; [unrolled: 1-line block ×28, first 2 shown]
.LBB68_144:
	s_or_b32 exec_lo, exec_lo, s2
	s_delay_alu instid0(SALU_CYCLE_1)
	s_mov_b32 s2, exec_lo
	s_waitcnt lgkmcnt(0)
	s_waitcnt_vscnt null, 0x0
	s_barrier
	buffer_gl0_inv
	v_cmpx_lt_i32_e32 6, v156
	s_cbranch_execz .LBB68_146
; %bb.145:
	v_mul_f64 v[148:149], v[142:143], v[138:139]
	v_mul_f64 v[138:139], v[140:141], v[138:139]
	s_delay_alu instid0(VALU_DEP_2) | instskip(NEXT) | instid1(VALU_DEP_2)
	v_fma_f64 v[148:149], v[140:141], v[136:137], -v[148:149]
	v_fma_f64 v[138:139], v[142:143], v[136:137], v[138:139]
	ds_load_2addr_b64 v[140:143], v150 offset0:14 offset1:15
	s_waitcnt lgkmcnt(0)
	v_mul_f64 v[136:137], v[142:143], v[138:139]
	s_delay_alu instid0(VALU_DEP_1) | instskip(SKIP_1) | instid1(VALU_DEP_2)
	v_fma_f64 v[136:137], v[140:141], v[148:149], -v[136:137]
	v_mul_f64 v[140:141], v[140:141], v[138:139]
	v_add_f64 v[132:133], v[132:133], -v[136:137]
	s_delay_alu instid0(VALU_DEP_2) | instskip(NEXT) | instid1(VALU_DEP_1)
	v_fma_f64 v[140:141], v[142:143], v[148:149], v[140:141]
	v_add_f64 v[134:135], v[134:135], -v[140:141]
	ds_load_2addr_b64 v[140:143], v150 offset0:16 offset1:17
	s_waitcnt lgkmcnt(0)
	v_mul_f64 v[136:137], v[142:143], v[138:139]
	s_delay_alu instid0(VALU_DEP_1) | instskip(SKIP_1) | instid1(VALU_DEP_2)
	v_fma_f64 v[136:137], v[140:141], v[148:149], -v[136:137]
	v_mul_f64 v[140:141], v[140:141], v[138:139]
	v_add_f64 v[124:125], v[124:125], -v[136:137]
	s_delay_alu instid0(VALU_DEP_2) | instskip(NEXT) | instid1(VALU_DEP_1)
	v_fma_f64 v[140:141], v[142:143], v[148:149], v[140:141]
	v_add_f64 v[126:127], v[126:127], -v[140:141]
	;; [unrolled: 10-line block ×27, first 2 shown]
	ds_load_2addr_b64 v[140:143], v150 offset0:68 offset1:69
	s_waitcnt lgkmcnt(0)
	v_mul_f64 v[136:137], v[142:143], v[138:139]
	s_delay_alu instid0(VALU_DEP_1) | instskip(SKIP_1) | instid1(VALU_DEP_2)
	v_fma_f64 v[136:137], v[140:141], v[148:149], -v[136:137]
	v_mul_f64 v[140:141], v[140:141], v[138:139]
	v_add_f64 v[0:1], v[0:1], -v[136:137]
	s_delay_alu instid0(VALU_DEP_2) | instskip(SKIP_1) | instid1(VALU_DEP_2)
	v_fma_f64 v[140:141], v[142:143], v[148:149], v[140:141]
	v_dual_mov_b32 v136, v148 :: v_dual_mov_b32 v137, v149
	v_add_f64 v[2:3], v[2:3], -v[140:141]
.LBB68_146:
	s_or_b32 exec_lo, exec_lo, s2
	v_lshl_add_u32 v140, v156, 4, v150
	s_barrier
	buffer_gl0_inv
	v_mov_b32_e32 v148, 7
	ds_store_2addr_b64 v140, v[132:133], v[134:135] offset1:1
	s_waitcnt lgkmcnt(0)
	s_barrier
	buffer_gl0_inv
	ds_load_2addr_b64 v[140:143], v150 offset0:14 offset1:15
	s_cmp_lt_i32 s5, 9
	s_cbranch_scc1 .LBB68_149
; %bb.147:
	v_add3_u32 v149, v155, 0, 0x80
	v_mov_b32_e32 v148, 7
	s_mov_b32 s6, 8
	s_set_inst_prefetch_distance 0x1
	.p2align	6
.LBB68_148:                             ; =>This Inner Loop Header: Depth=1
	ds_load_2addr_b64 v[157:160], v149 offset1:1
	s_waitcnt lgkmcnt(1)
	v_cmp_gt_f64_e32 vcc_lo, 0, v[140:141]
	v_xor_b32_e32 v161, 0x80000000, v141
	v_cmp_gt_f64_e64 s2, 0, v[142:143]
	v_xor_b32_e32 v163, 0x80000000, v143
	v_add_nc_u32_e32 v149, 16, v149
	s_waitcnt lgkmcnt(0)
	v_cmp_gt_f64_e64 s3, 0, v[157:158]
	v_mov_b32_e32 v165, v157
	v_dual_mov_b32 v167, v159 :: v_dual_cndmask_b32 v162, v141, v161
	v_xor_b32_e32 v161, 0x80000000, v158
	v_cndmask_b32_e64 v164, v143, v163, s2
	v_xor_b32_e32 v163, 0x80000000, v160
	s_delay_alu instid0(VALU_DEP_3) | instskip(SKIP_2) | instid1(VALU_DEP_2)
	v_cndmask_b32_e64 v166, v158, v161, s3
	v_cmp_gt_f64_e64 s3, 0, v[159:160]
	v_cndmask_b32_e32 v161, v140, v140, vcc_lo
	v_cndmask_b32_e64 v168, v160, v163, s3
	v_cndmask_b32_e64 v163, v142, v142, s2
	s_delay_alu instid0(VALU_DEP_2) | instskip(NEXT) | instid1(VALU_DEP_2)
	v_add_f64 v[165:166], v[165:166], v[167:168]
	v_add_f64 v[161:162], v[161:162], v[163:164]
	s_delay_alu instid0(VALU_DEP_1) | instskip(SKIP_4) | instid1(SALU_CYCLE_1)
	v_cmp_lt_f64_e32 vcc_lo, v[161:162], v[165:166]
	v_dual_cndmask_b32 v142, v142, v159 :: v_dual_cndmask_b32 v141, v141, v158
	v_dual_cndmask_b32 v140, v140, v157 :: v_dual_cndmask_b32 v143, v143, v160
	v_cndmask_b32_e64 v148, v148, s6, vcc_lo
	s_add_i32 s6, s6, 1
	s_cmp_lg_u32 s5, s6
	s_cbranch_scc1 .LBB68_148
.LBB68_149:
	s_set_inst_prefetch_distance 0x2
	s_waitcnt lgkmcnt(0)
	v_cmp_eq_f64_e32 vcc_lo, 0, v[140:141]
	v_cmp_eq_f64_e64 s2, 0, v[142:143]
	s_delay_alu instid0(VALU_DEP_1) | instskip(NEXT) | instid1(SALU_CYCLE_1)
	s_and_b32 s2, vcc_lo, s2
	s_and_saveexec_b32 s3, s2
	s_delay_alu instid0(SALU_CYCLE_1)
	s_xor_b32 s2, exec_lo, s3
; %bb.150:
	v_cmp_ne_u32_e32 vcc_lo, 0, v153
	v_cndmask_b32_e32 v153, 8, v153, vcc_lo
; %bb.151:
	s_and_not1_saveexec_b32 s3, s2
	s_cbranch_execz .LBB68_157
; %bb.152:
	v_cmp_gt_f64_e32 vcc_lo, 0, v[140:141]
	v_cmp_gt_f64_e64 s2, 0, v[142:143]
	v_xor_b32_e32 v149, 0x80000000, v141
	v_xor_b32_e32 v157, 0x80000000, v143
	s_delay_alu instid0(VALU_DEP_2) | instskip(NEXT) | instid1(VALU_DEP_2)
	v_cndmask_b32_e32 v158, v141, v149, vcc_lo
	v_cndmask_b32_e64 v160, v143, v157, s2
	v_cndmask_b32_e32 v157, v140, v140, vcc_lo
	v_cndmask_b32_e64 v159, v142, v142, s2
	s_mov_b32 s2, exec_lo
	s_delay_alu instid0(VALU_DEP_1)
	v_cmpx_ngt_f64_e32 v[157:158], v[159:160]
	s_xor_b32 s2, exec_lo, s2
	s_cbranch_execz .LBB68_154
; %bb.153:
	v_div_scale_f64 v[157:158], null, v[142:143], v[142:143], v[140:141]
	v_div_scale_f64 v[163:164], vcc_lo, v[140:141], v[142:143], v[140:141]
	s_delay_alu instid0(VALU_DEP_2) | instskip(SKIP_2) | instid1(VALU_DEP_1)
	v_rcp_f64_e32 v[159:160], v[157:158]
	s_waitcnt_depctr 0xfff
	v_fma_f64 v[161:162], -v[157:158], v[159:160], 1.0
	v_fma_f64 v[159:160], v[159:160], v[161:162], v[159:160]
	s_delay_alu instid0(VALU_DEP_1) | instskip(NEXT) | instid1(VALU_DEP_1)
	v_fma_f64 v[161:162], -v[157:158], v[159:160], 1.0
	v_fma_f64 v[159:160], v[159:160], v[161:162], v[159:160]
	s_delay_alu instid0(VALU_DEP_1) | instskip(NEXT) | instid1(VALU_DEP_1)
	v_mul_f64 v[161:162], v[163:164], v[159:160]
	v_fma_f64 v[157:158], -v[157:158], v[161:162], v[163:164]
	s_delay_alu instid0(VALU_DEP_1) | instskip(NEXT) | instid1(VALU_DEP_1)
	v_div_fmas_f64 v[157:158], v[157:158], v[159:160], v[161:162]
	v_div_fixup_f64 v[157:158], v[157:158], v[142:143], v[140:141]
	s_delay_alu instid0(VALU_DEP_1) | instskip(NEXT) | instid1(VALU_DEP_1)
	v_fma_f64 v[140:141], v[140:141], v[157:158], v[142:143]
	v_div_scale_f64 v[142:143], null, v[140:141], v[140:141], 1.0
	s_delay_alu instid0(VALU_DEP_1) | instskip(SKIP_2) | instid1(VALU_DEP_1)
	v_rcp_f64_e32 v[159:160], v[142:143]
	s_waitcnt_depctr 0xfff
	v_fma_f64 v[161:162], -v[142:143], v[159:160], 1.0
	v_fma_f64 v[159:160], v[159:160], v[161:162], v[159:160]
	s_delay_alu instid0(VALU_DEP_1) | instskip(NEXT) | instid1(VALU_DEP_1)
	v_fma_f64 v[161:162], -v[142:143], v[159:160], 1.0
	v_fma_f64 v[159:160], v[159:160], v[161:162], v[159:160]
	v_div_scale_f64 v[161:162], vcc_lo, 1.0, v[140:141], 1.0
	s_delay_alu instid0(VALU_DEP_1) | instskip(NEXT) | instid1(VALU_DEP_1)
	v_mul_f64 v[163:164], v[161:162], v[159:160]
	v_fma_f64 v[142:143], -v[142:143], v[163:164], v[161:162]
	s_delay_alu instid0(VALU_DEP_1) | instskip(NEXT) | instid1(VALU_DEP_1)
	v_div_fmas_f64 v[142:143], v[142:143], v[159:160], v[163:164]
	v_div_fixup_f64 v[142:143], v[142:143], v[140:141], 1.0
	s_delay_alu instid0(VALU_DEP_1)
	v_mul_f64 v[140:141], v[157:158], v[142:143]
	v_xor_b32_e32 v143, 0x80000000, v143
.LBB68_154:
	s_and_not1_saveexec_b32 s2, s2
	s_cbranch_execz .LBB68_156
; %bb.155:
	s_delay_alu instid0(VALU_DEP_1) | instskip(SKIP_1) | instid1(VALU_DEP_2)
	v_div_scale_f64 v[157:158], null, v[140:141], v[140:141], v[142:143]
	v_div_scale_f64 v[163:164], vcc_lo, v[142:143], v[140:141], v[142:143]
	v_rcp_f64_e32 v[159:160], v[157:158]
	s_waitcnt_depctr 0xfff
	v_fma_f64 v[161:162], -v[157:158], v[159:160], 1.0
	s_delay_alu instid0(VALU_DEP_1) | instskip(NEXT) | instid1(VALU_DEP_1)
	v_fma_f64 v[159:160], v[159:160], v[161:162], v[159:160]
	v_fma_f64 v[161:162], -v[157:158], v[159:160], 1.0
	s_delay_alu instid0(VALU_DEP_1) | instskip(NEXT) | instid1(VALU_DEP_1)
	v_fma_f64 v[159:160], v[159:160], v[161:162], v[159:160]
	v_mul_f64 v[161:162], v[163:164], v[159:160]
	s_delay_alu instid0(VALU_DEP_1) | instskip(NEXT) | instid1(VALU_DEP_1)
	v_fma_f64 v[157:158], -v[157:158], v[161:162], v[163:164]
	v_div_fmas_f64 v[157:158], v[157:158], v[159:160], v[161:162]
	s_delay_alu instid0(VALU_DEP_1) | instskip(NEXT) | instid1(VALU_DEP_1)
	v_div_fixup_f64 v[157:158], v[157:158], v[140:141], v[142:143]
	v_fma_f64 v[140:141], v[142:143], v[157:158], v[140:141]
	s_delay_alu instid0(VALU_DEP_1) | instskip(NEXT) | instid1(VALU_DEP_1)
	v_div_scale_f64 v[142:143], null, v[140:141], v[140:141], 1.0
	v_rcp_f64_e32 v[159:160], v[142:143]
	s_waitcnt_depctr 0xfff
	v_fma_f64 v[161:162], -v[142:143], v[159:160], 1.0
	s_delay_alu instid0(VALU_DEP_1) | instskip(NEXT) | instid1(VALU_DEP_1)
	v_fma_f64 v[159:160], v[159:160], v[161:162], v[159:160]
	v_fma_f64 v[161:162], -v[142:143], v[159:160], 1.0
	s_delay_alu instid0(VALU_DEP_1) | instskip(SKIP_1) | instid1(VALU_DEP_1)
	v_fma_f64 v[159:160], v[159:160], v[161:162], v[159:160]
	v_div_scale_f64 v[161:162], vcc_lo, 1.0, v[140:141], 1.0
	v_mul_f64 v[163:164], v[161:162], v[159:160]
	s_delay_alu instid0(VALU_DEP_1) | instskip(NEXT) | instid1(VALU_DEP_1)
	v_fma_f64 v[142:143], -v[142:143], v[163:164], v[161:162]
	v_div_fmas_f64 v[142:143], v[142:143], v[159:160], v[163:164]
	s_delay_alu instid0(VALU_DEP_1) | instskip(NEXT) | instid1(VALU_DEP_1)
	v_div_fixup_f64 v[140:141], v[142:143], v[140:141], 1.0
	v_mul_f64 v[142:143], v[157:158], -v[140:141]
.LBB68_156:
	s_or_b32 exec_lo, exec_lo, s2
.LBB68_157:
	s_delay_alu instid0(SALU_CYCLE_1) | instskip(NEXT) | instid1(SALU_CYCLE_1)
	s_or_b32 exec_lo, exec_lo, s3
	s_mov_b32 s2, exec_lo
	v_cmpx_ne_u32_e64 v156, v148
	s_xor_b32 s2, exec_lo, s2
	s_cbranch_execz .LBB68_163
; %bb.158:
	s_mov_b32 s3, exec_lo
	v_cmpx_eq_u32_e32 7, v156
	s_cbranch_execz .LBB68_162
; %bb.159:
	v_cmp_ne_u32_e32 vcc_lo, 7, v148
	s_xor_b32 s6, s4, -1
	s_delay_alu instid0(SALU_CYCLE_1) | instskip(NEXT) | instid1(SALU_CYCLE_1)
	s_and_b32 s7, s6, vcc_lo
	s_and_saveexec_b32 s6, s7
	s_cbranch_execz .LBB68_161
; %bb.160:
	v_ashrrev_i32_e32 v149, 31, v148
	s_delay_alu instid0(VALU_DEP_1) | instskip(NEXT) | instid1(VALU_DEP_1)
	v_lshlrev_b64 v[156:157], 2, v[148:149]
	v_add_co_u32 v156, vcc_lo, v146, v156
	s_delay_alu instid0(VALU_DEP_2)
	v_add_co_ci_u32_e32 v157, vcc_lo, v147, v157, vcc_lo
	s_clause 0x1
	flat_load_b32 v149, v[156:157]
	flat_load_b32 v154, v[146:147] offset:28
	s_waitcnt vmcnt(1) lgkmcnt(1)
	flat_store_b32 v[146:147], v149 offset:28
	s_waitcnt vmcnt(0) lgkmcnt(1)
	flat_store_b32 v[156:157], v154
.LBB68_161:
	s_or_b32 exec_lo, exec_lo, s6
	v_mov_b32_e32 v156, v148
	v_mov_b32_e32 v154, v148
.LBB68_162:
	s_or_b32 exec_lo, exec_lo, s3
.LBB68_163:
	s_and_not1_saveexec_b32 s2, s2
	s_cbranch_execz .LBB68_165
; %bb.164:
	v_mov_b32_e32 v156, 7
	ds_store_2addr_b64 v150, v[124:125], v[126:127] offset0:16 offset1:17
	ds_store_2addr_b64 v150, v[120:121], v[122:123] offset0:18 offset1:19
	;; [unrolled: 1-line block ×27, first 2 shown]
.LBB68_165:
	s_or_b32 exec_lo, exec_lo, s2
	s_delay_alu instid0(SALU_CYCLE_1)
	s_mov_b32 s2, exec_lo
	s_waitcnt lgkmcnt(0)
	s_waitcnt_vscnt null, 0x0
	s_barrier
	buffer_gl0_inv
	v_cmpx_lt_i32_e32 7, v156
	s_cbranch_execz .LBB68_167
; %bb.166:
	v_mul_f64 v[148:149], v[142:143], v[134:135]
	v_mul_f64 v[134:135], v[140:141], v[134:135]
	s_delay_alu instid0(VALU_DEP_2) | instskip(NEXT) | instid1(VALU_DEP_2)
	v_fma_f64 v[148:149], v[140:141], v[132:133], -v[148:149]
	v_fma_f64 v[134:135], v[142:143], v[132:133], v[134:135]
	ds_load_2addr_b64 v[140:143], v150 offset0:16 offset1:17
	s_waitcnt lgkmcnt(0)
	v_mul_f64 v[132:133], v[142:143], v[134:135]
	s_delay_alu instid0(VALU_DEP_1) | instskip(SKIP_1) | instid1(VALU_DEP_2)
	v_fma_f64 v[132:133], v[140:141], v[148:149], -v[132:133]
	v_mul_f64 v[140:141], v[140:141], v[134:135]
	v_add_f64 v[124:125], v[124:125], -v[132:133]
	s_delay_alu instid0(VALU_DEP_2) | instskip(NEXT) | instid1(VALU_DEP_1)
	v_fma_f64 v[140:141], v[142:143], v[148:149], v[140:141]
	v_add_f64 v[126:127], v[126:127], -v[140:141]
	ds_load_2addr_b64 v[140:143], v150 offset0:18 offset1:19
	s_waitcnt lgkmcnt(0)
	v_mul_f64 v[132:133], v[142:143], v[134:135]
	s_delay_alu instid0(VALU_DEP_1) | instskip(SKIP_1) | instid1(VALU_DEP_2)
	v_fma_f64 v[132:133], v[140:141], v[148:149], -v[132:133]
	v_mul_f64 v[140:141], v[140:141], v[134:135]
	v_add_f64 v[120:121], v[120:121], -v[132:133]
	s_delay_alu instid0(VALU_DEP_2) | instskip(NEXT) | instid1(VALU_DEP_1)
	v_fma_f64 v[140:141], v[142:143], v[148:149], v[140:141]
	v_add_f64 v[122:123], v[122:123], -v[140:141]
	;; [unrolled: 10-line block ×26, first 2 shown]
	ds_load_2addr_b64 v[140:143], v150 offset0:68 offset1:69
	s_waitcnt lgkmcnt(0)
	v_mul_f64 v[132:133], v[142:143], v[134:135]
	s_delay_alu instid0(VALU_DEP_1) | instskip(SKIP_1) | instid1(VALU_DEP_2)
	v_fma_f64 v[132:133], v[140:141], v[148:149], -v[132:133]
	v_mul_f64 v[140:141], v[140:141], v[134:135]
	v_add_f64 v[0:1], v[0:1], -v[132:133]
	s_delay_alu instid0(VALU_DEP_2) | instskip(SKIP_1) | instid1(VALU_DEP_2)
	v_fma_f64 v[140:141], v[142:143], v[148:149], v[140:141]
	v_dual_mov_b32 v132, v148 :: v_dual_mov_b32 v133, v149
	v_add_f64 v[2:3], v[2:3], -v[140:141]
.LBB68_167:
	s_or_b32 exec_lo, exec_lo, s2
	v_lshl_add_u32 v140, v156, 4, v150
	s_barrier
	buffer_gl0_inv
	v_mov_b32_e32 v148, 8
	ds_store_2addr_b64 v140, v[124:125], v[126:127] offset1:1
	s_waitcnt lgkmcnt(0)
	s_barrier
	buffer_gl0_inv
	ds_load_2addr_b64 v[140:143], v150 offset0:16 offset1:17
	s_cmp_lt_i32 s5, 10
	s_cbranch_scc1 .LBB68_170
; %bb.168:
	v_add3_u32 v149, v155, 0, 0x90
	v_mov_b32_e32 v148, 8
	s_mov_b32 s6, 9
	s_set_inst_prefetch_distance 0x1
	.p2align	6
.LBB68_169:                             ; =>This Inner Loop Header: Depth=1
	ds_load_2addr_b64 v[157:160], v149 offset1:1
	s_waitcnt lgkmcnt(1)
	v_cmp_gt_f64_e32 vcc_lo, 0, v[140:141]
	v_xor_b32_e32 v161, 0x80000000, v141
	v_cmp_gt_f64_e64 s2, 0, v[142:143]
	v_xor_b32_e32 v163, 0x80000000, v143
	v_add_nc_u32_e32 v149, 16, v149
	s_waitcnt lgkmcnt(0)
	v_cmp_gt_f64_e64 s3, 0, v[157:158]
	v_mov_b32_e32 v165, v157
	v_dual_mov_b32 v167, v159 :: v_dual_cndmask_b32 v162, v141, v161
	v_xor_b32_e32 v161, 0x80000000, v158
	v_cndmask_b32_e64 v164, v143, v163, s2
	v_xor_b32_e32 v163, 0x80000000, v160
	s_delay_alu instid0(VALU_DEP_3) | instskip(SKIP_2) | instid1(VALU_DEP_2)
	v_cndmask_b32_e64 v166, v158, v161, s3
	v_cmp_gt_f64_e64 s3, 0, v[159:160]
	v_cndmask_b32_e32 v161, v140, v140, vcc_lo
	v_cndmask_b32_e64 v168, v160, v163, s3
	v_cndmask_b32_e64 v163, v142, v142, s2
	s_delay_alu instid0(VALU_DEP_2) | instskip(NEXT) | instid1(VALU_DEP_2)
	v_add_f64 v[165:166], v[165:166], v[167:168]
	v_add_f64 v[161:162], v[161:162], v[163:164]
	s_delay_alu instid0(VALU_DEP_1) | instskip(SKIP_4) | instid1(SALU_CYCLE_1)
	v_cmp_lt_f64_e32 vcc_lo, v[161:162], v[165:166]
	v_dual_cndmask_b32 v142, v142, v159 :: v_dual_cndmask_b32 v141, v141, v158
	v_dual_cndmask_b32 v140, v140, v157 :: v_dual_cndmask_b32 v143, v143, v160
	v_cndmask_b32_e64 v148, v148, s6, vcc_lo
	s_add_i32 s6, s6, 1
	s_cmp_lg_u32 s5, s6
	s_cbranch_scc1 .LBB68_169
.LBB68_170:
	s_set_inst_prefetch_distance 0x2
	s_waitcnt lgkmcnt(0)
	v_cmp_eq_f64_e32 vcc_lo, 0, v[140:141]
	v_cmp_eq_f64_e64 s2, 0, v[142:143]
	s_delay_alu instid0(VALU_DEP_1) | instskip(NEXT) | instid1(SALU_CYCLE_1)
	s_and_b32 s2, vcc_lo, s2
	s_and_saveexec_b32 s3, s2
	s_delay_alu instid0(SALU_CYCLE_1)
	s_xor_b32 s2, exec_lo, s3
; %bb.171:
	v_cmp_ne_u32_e32 vcc_lo, 0, v153
	v_cndmask_b32_e32 v153, 9, v153, vcc_lo
; %bb.172:
	s_and_not1_saveexec_b32 s3, s2
	s_cbranch_execz .LBB68_178
; %bb.173:
	v_cmp_gt_f64_e32 vcc_lo, 0, v[140:141]
	v_cmp_gt_f64_e64 s2, 0, v[142:143]
	v_xor_b32_e32 v149, 0x80000000, v141
	v_xor_b32_e32 v157, 0x80000000, v143
	s_delay_alu instid0(VALU_DEP_2) | instskip(NEXT) | instid1(VALU_DEP_2)
	v_cndmask_b32_e32 v158, v141, v149, vcc_lo
	v_cndmask_b32_e64 v160, v143, v157, s2
	v_cndmask_b32_e32 v157, v140, v140, vcc_lo
	v_cndmask_b32_e64 v159, v142, v142, s2
	s_mov_b32 s2, exec_lo
	s_delay_alu instid0(VALU_DEP_1)
	v_cmpx_ngt_f64_e32 v[157:158], v[159:160]
	s_xor_b32 s2, exec_lo, s2
	s_cbranch_execz .LBB68_175
; %bb.174:
	v_div_scale_f64 v[157:158], null, v[142:143], v[142:143], v[140:141]
	v_div_scale_f64 v[163:164], vcc_lo, v[140:141], v[142:143], v[140:141]
	s_delay_alu instid0(VALU_DEP_2) | instskip(SKIP_2) | instid1(VALU_DEP_1)
	v_rcp_f64_e32 v[159:160], v[157:158]
	s_waitcnt_depctr 0xfff
	v_fma_f64 v[161:162], -v[157:158], v[159:160], 1.0
	v_fma_f64 v[159:160], v[159:160], v[161:162], v[159:160]
	s_delay_alu instid0(VALU_DEP_1) | instskip(NEXT) | instid1(VALU_DEP_1)
	v_fma_f64 v[161:162], -v[157:158], v[159:160], 1.0
	v_fma_f64 v[159:160], v[159:160], v[161:162], v[159:160]
	s_delay_alu instid0(VALU_DEP_1) | instskip(NEXT) | instid1(VALU_DEP_1)
	v_mul_f64 v[161:162], v[163:164], v[159:160]
	v_fma_f64 v[157:158], -v[157:158], v[161:162], v[163:164]
	s_delay_alu instid0(VALU_DEP_1) | instskip(NEXT) | instid1(VALU_DEP_1)
	v_div_fmas_f64 v[157:158], v[157:158], v[159:160], v[161:162]
	v_div_fixup_f64 v[157:158], v[157:158], v[142:143], v[140:141]
	s_delay_alu instid0(VALU_DEP_1) | instskip(NEXT) | instid1(VALU_DEP_1)
	v_fma_f64 v[140:141], v[140:141], v[157:158], v[142:143]
	v_div_scale_f64 v[142:143], null, v[140:141], v[140:141], 1.0
	s_delay_alu instid0(VALU_DEP_1) | instskip(SKIP_2) | instid1(VALU_DEP_1)
	v_rcp_f64_e32 v[159:160], v[142:143]
	s_waitcnt_depctr 0xfff
	v_fma_f64 v[161:162], -v[142:143], v[159:160], 1.0
	v_fma_f64 v[159:160], v[159:160], v[161:162], v[159:160]
	s_delay_alu instid0(VALU_DEP_1) | instskip(NEXT) | instid1(VALU_DEP_1)
	v_fma_f64 v[161:162], -v[142:143], v[159:160], 1.0
	v_fma_f64 v[159:160], v[159:160], v[161:162], v[159:160]
	v_div_scale_f64 v[161:162], vcc_lo, 1.0, v[140:141], 1.0
	s_delay_alu instid0(VALU_DEP_1) | instskip(NEXT) | instid1(VALU_DEP_1)
	v_mul_f64 v[163:164], v[161:162], v[159:160]
	v_fma_f64 v[142:143], -v[142:143], v[163:164], v[161:162]
	s_delay_alu instid0(VALU_DEP_1) | instskip(NEXT) | instid1(VALU_DEP_1)
	v_div_fmas_f64 v[142:143], v[142:143], v[159:160], v[163:164]
	v_div_fixup_f64 v[142:143], v[142:143], v[140:141], 1.0
	s_delay_alu instid0(VALU_DEP_1)
	v_mul_f64 v[140:141], v[157:158], v[142:143]
	v_xor_b32_e32 v143, 0x80000000, v143
.LBB68_175:
	s_and_not1_saveexec_b32 s2, s2
	s_cbranch_execz .LBB68_177
; %bb.176:
	s_delay_alu instid0(VALU_DEP_1) | instskip(SKIP_1) | instid1(VALU_DEP_2)
	v_div_scale_f64 v[157:158], null, v[140:141], v[140:141], v[142:143]
	v_div_scale_f64 v[163:164], vcc_lo, v[142:143], v[140:141], v[142:143]
	v_rcp_f64_e32 v[159:160], v[157:158]
	s_waitcnt_depctr 0xfff
	v_fma_f64 v[161:162], -v[157:158], v[159:160], 1.0
	s_delay_alu instid0(VALU_DEP_1) | instskip(NEXT) | instid1(VALU_DEP_1)
	v_fma_f64 v[159:160], v[159:160], v[161:162], v[159:160]
	v_fma_f64 v[161:162], -v[157:158], v[159:160], 1.0
	s_delay_alu instid0(VALU_DEP_1) | instskip(NEXT) | instid1(VALU_DEP_1)
	v_fma_f64 v[159:160], v[159:160], v[161:162], v[159:160]
	v_mul_f64 v[161:162], v[163:164], v[159:160]
	s_delay_alu instid0(VALU_DEP_1) | instskip(NEXT) | instid1(VALU_DEP_1)
	v_fma_f64 v[157:158], -v[157:158], v[161:162], v[163:164]
	v_div_fmas_f64 v[157:158], v[157:158], v[159:160], v[161:162]
	s_delay_alu instid0(VALU_DEP_1) | instskip(NEXT) | instid1(VALU_DEP_1)
	v_div_fixup_f64 v[157:158], v[157:158], v[140:141], v[142:143]
	v_fma_f64 v[140:141], v[142:143], v[157:158], v[140:141]
	s_delay_alu instid0(VALU_DEP_1) | instskip(NEXT) | instid1(VALU_DEP_1)
	v_div_scale_f64 v[142:143], null, v[140:141], v[140:141], 1.0
	v_rcp_f64_e32 v[159:160], v[142:143]
	s_waitcnt_depctr 0xfff
	v_fma_f64 v[161:162], -v[142:143], v[159:160], 1.0
	s_delay_alu instid0(VALU_DEP_1) | instskip(NEXT) | instid1(VALU_DEP_1)
	v_fma_f64 v[159:160], v[159:160], v[161:162], v[159:160]
	v_fma_f64 v[161:162], -v[142:143], v[159:160], 1.0
	s_delay_alu instid0(VALU_DEP_1) | instskip(SKIP_1) | instid1(VALU_DEP_1)
	v_fma_f64 v[159:160], v[159:160], v[161:162], v[159:160]
	v_div_scale_f64 v[161:162], vcc_lo, 1.0, v[140:141], 1.0
	v_mul_f64 v[163:164], v[161:162], v[159:160]
	s_delay_alu instid0(VALU_DEP_1) | instskip(NEXT) | instid1(VALU_DEP_1)
	v_fma_f64 v[142:143], -v[142:143], v[163:164], v[161:162]
	v_div_fmas_f64 v[142:143], v[142:143], v[159:160], v[163:164]
	s_delay_alu instid0(VALU_DEP_1) | instskip(NEXT) | instid1(VALU_DEP_1)
	v_div_fixup_f64 v[140:141], v[142:143], v[140:141], 1.0
	v_mul_f64 v[142:143], v[157:158], -v[140:141]
.LBB68_177:
	s_or_b32 exec_lo, exec_lo, s2
.LBB68_178:
	s_delay_alu instid0(SALU_CYCLE_1) | instskip(NEXT) | instid1(SALU_CYCLE_1)
	s_or_b32 exec_lo, exec_lo, s3
	s_mov_b32 s2, exec_lo
	v_cmpx_ne_u32_e64 v156, v148
	s_xor_b32 s2, exec_lo, s2
	s_cbranch_execz .LBB68_184
; %bb.179:
	s_mov_b32 s3, exec_lo
	v_cmpx_eq_u32_e32 8, v156
	s_cbranch_execz .LBB68_183
; %bb.180:
	v_cmp_ne_u32_e32 vcc_lo, 8, v148
	s_xor_b32 s6, s4, -1
	s_delay_alu instid0(SALU_CYCLE_1) | instskip(NEXT) | instid1(SALU_CYCLE_1)
	s_and_b32 s7, s6, vcc_lo
	s_and_saveexec_b32 s6, s7
	s_cbranch_execz .LBB68_182
; %bb.181:
	v_ashrrev_i32_e32 v149, 31, v148
	s_delay_alu instid0(VALU_DEP_1) | instskip(NEXT) | instid1(VALU_DEP_1)
	v_lshlrev_b64 v[156:157], 2, v[148:149]
	v_add_co_u32 v156, vcc_lo, v146, v156
	s_delay_alu instid0(VALU_DEP_2)
	v_add_co_ci_u32_e32 v157, vcc_lo, v147, v157, vcc_lo
	s_clause 0x1
	flat_load_b32 v149, v[156:157]
	flat_load_b32 v154, v[146:147] offset:32
	s_waitcnt vmcnt(1) lgkmcnt(1)
	flat_store_b32 v[146:147], v149 offset:32
	s_waitcnt vmcnt(0) lgkmcnt(1)
	flat_store_b32 v[156:157], v154
.LBB68_182:
	s_or_b32 exec_lo, exec_lo, s6
	v_mov_b32_e32 v156, v148
	v_mov_b32_e32 v154, v148
.LBB68_183:
	s_or_b32 exec_lo, exec_lo, s3
.LBB68_184:
	s_and_not1_saveexec_b32 s2, s2
	s_cbranch_execz .LBB68_186
; %bb.185:
	v_mov_b32_e32 v156, 8
	ds_store_2addr_b64 v150, v[120:121], v[122:123] offset0:18 offset1:19
	ds_store_2addr_b64 v150, v[108:109], v[110:111] offset0:20 offset1:21
	;; [unrolled: 1-line block ×26, first 2 shown]
.LBB68_186:
	s_or_b32 exec_lo, exec_lo, s2
	s_delay_alu instid0(SALU_CYCLE_1)
	s_mov_b32 s2, exec_lo
	s_waitcnt lgkmcnt(0)
	s_waitcnt_vscnt null, 0x0
	s_barrier
	buffer_gl0_inv
	v_cmpx_lt_i32_e32 8, v156
	s_cbranch_execz .LBB68_188
; %bb.187:
	v_mul_f64 v[148:149], v[142:143], v[126:127]
	v_mul_f64 v[126:127], v[140:141], v[126:127]
	s_delay_alu instid0(VALU_DEP_2) | instskip(NEXT) | instid1(VALU_DEP_2)
	v_fma_f64 v[148:149], v[140:141], v[124:125], -v[148:149]
	v_fma_f64 v[126:127], v[142:143], v[124:125], v[126:127]
	ds_load_2addr_b64 v[140:143], v150 offset0:18 offset1:19
	s_waitcnt lgkmcnt(0)
	v_mul_f64 v[124:125], v[142:143], v[126:127]
	s_delay_alu instid0(VALU_DEP_1) | instskip(SKIP_1) | instid1(VALU_DEP_2)
	v_fma_f64 v[124:125], v[140:141], v[148:149], -v[124:125]
	v_mul_f64 v[140:141], v[140:141], v[126:127]
	v_add_f64 v[120:121], v[120:121], -v[124:125]
	s_delay_alu instid0(VALU_DEP_2) | instskip(NEXT) | instid1(VALU_DEP_1)
	v_fma_f64 v[140:141], v[142:143], v[148:149], v[140:141]
	v_add_f64 v[122:123], v[122:123], -v[140:141]
	ds_load_2addr_b64 v[140:143], v150 offset0:20 offset1:21
	s_waitcnt lgkmcnt(0)
	v_mul_f64 v[124:125], v[142:143], v[126:127]
	s_delay_alu instid0(VALU_DEP_1) | instskip(SKIP_1) | instid1(VALU_DEP_2)
	v_fma_f64 v[124:125], v[140:141], v[148:149], -v[124:125]
	v_mul_f64 v[140:141], v[140:141], v[126:127]
	v_add_f64 v[108:109], v[108:109], -v[124:125]
	s_delay_alu instid0(VALU_DEP_2) | instskip(NEXT) | instid1(VALU_DEP_1)
	v_fma_f64 v[140:141], v[142:143], v[148:149], v[140:141]
	v_add_f64 v[110:111], v[110:111], -v[140:141]
	;; [unrolled: 10-line block ×25, first 2 shown]
	ds_load_2addr_b64 v[140:143], v150 offset0:68 offset1:69
	s_waitcnt lgkmcnt(0)
	v_mul_f64 v[124:125], v[142:143], v[126:127]
	s_delay_alu instid0(VALU_DEP_1) | instskip(SKIP_1) | instid1(VALU_DEP_2)
	v_fma_f64 v[124:125], v[140:141], v[148:149], -v[124:125]
	v_mul_f64 v[140:141], v[140:141], v[126:127]
	v_add_f64 v[0:1], v[0:1], -v[124:125]
	s_delay_alu instid0(VALU_DEP_2) | instskip(SKIP_1) | instid1(VALU_DEP_2)
	v_fma_f64 v[140:141], v[142:143], v[148:149], v[140:141]
	v_dual_mov_b32 v124, v148 :: v_dual_mov_b32 v125, v149
	v_add_f64 v[2:3], v[2:3], -v[140:141]
.LBB68_188:
	s_or_b32 exec_lo, exec_lo, s2
	v_lshl_add_u32 v140, v156, 4, v150
	s_barrier
	buffer_gl0_inv
	v_mov_b32_e32 v148, 9
	ds_store_2addr_b64 v140, v[120:121], v[122:123] offset1:1
	s_waitcnt lgkmcnt(0)
	s_barrier
	buffer_gl0_inv
	ds_load_2addr_b64 v[140:143], v150 offset0:18 offset1:19
	s_cmp_lt_i32 s5, 11
	s_cbranch_scc1 .LBB68_191
; %bb.189:
	v_add3_u32 v149, v155, 0, 0xa0
	v_mov_b32_e32 v148, 9
	s_mov_b32 s6, 10
	s_set_inst_prefetch_distance 0x1
	.p2align	6
.LBB68_190:                             ; =>This Inner Loop Header: Depth=1
	ds_load_2addr_b64 v[157:160], v149 offset1:1
	s_waitcnt lgkmcnt(1)
	v_cmp_gt_f64_e32 vcc_lo, 0, v[140:141]
	v_xor_b32_e32 v161, 0x80000000, v141
	v_cmp_gt_f64_e64 s2, 0, v[142:143]
	v_xor_b32_e32 v163, 0x80000000, v143
	v_add_nc_u32_e32 v149, 16, v149
	s_waitcnt lgkmcnt(0)
	v_cmp_gt_f64_e64 s3, 0, v[157:158]
	v_mov_b32_e32 v165, v157
	v_dual_mov_b32 v167, v159 :: v_dual_cndmask_b32 v162, v141, v161
	v_xor_b32_e32 v161, 0x80000000, v158
	v_cndmask_b32_e64 v164, v143, v163, s2
	v_xor_b32_e32 v163, 0x80000000, v160
	s_delay_alu instid0(VALU_DEP_3) | instskip(SKIP_2) | instid1(VALU_DEP_2)
	v_cndmask_b32_e64 v166, v158, v161, s3
	v_cmp_gt_f64_e64 s3, 0, v[159:160]
	v_cndmask_b32_e32 v161, v140, v140, vcc_lo
	v_cndmask_b32_e64 v168, v160, v163, s3
	v_cndmask_b32_e64 v163, v142, v142, s2
	s_delay_alu instid0(VALU_DEP_2) | instskip(NEXT) | instid1(VALU_DEP_2)
	v_add_f64 v[165:166], v[165:166], v[167:168]
	v_add_f64 v[161:162], v[161:162], v[163:164]
	s_delay_alu instid0(VALU_DEP_1) | instskip(SKIP_4) | instid1(SALU_CYCLE_1)
	v_cmp_lt_f64_e32 vcc_lo, v[161:162], v[165:166]
	v_dual_cndmask_b32 v142, v142, v159 :: v_dual_cndmask_b32 v141, v141, v158
	v_dual_cndmask_b32 v140, v140, v157 :: v_dual_cndmask_b32 v143, v143, v160
	v_cndmask_b32_e64 v148, v148, s6, vcc_lo
	s_add_i32 s6, s6, 1
	s_cmp_lg_u32 s5, s6
	s_cbranch_scc1 .LBB68_190
.LBB68_191:
	s_set_inst_prefetch_distance 0x2
	s_waitcnt lgkmcnt(0)
	v_cmp_eq_f64_e32 vcc_lo, 0, v[140:141]
	v_cmp_eq_f64_e64 s2, 0, v[142:143]
	s_delay_alu instid0(VALU_DEP_1) | instskip(NEXT) | instid1(SALU_CYCLE_1)
	s_and_b32 s2, vcc_lo, s2
	s_and_saveexec_b32 s3, s2
	s_delay_alu instid0(SALU_CYCLE_1)
	s_xor_b32 s2, exec_lo, s3
; %bb.192:
	v_cmp_ne_u32_e32 vcc_lo, 0, v153
	v_cndmask_b32_e32 v153, 10, v153, vcc_lo
; %bb.193:
	s_and_not1_saveexec_b32 s3, s2
	s_cbranch_execz .LBB68_199
; %bb.194:
	v_cmp_gt_f64_e32 vcc_lo, 0, v[140:141]
	v_cmp_gt_f64_e64 s2, 0, v[142:143]
	v_xor_b32_e32 v149, 0x80000000, v141
	v_xor_b32_e32 v157, 0x80000000, v143
	s_delay_alu instid0(VALU_DEP_2) | instskip(NEXT) | instid1(VALU_DEP_2)
	v_cndmask_b32_e32 v158, v141, v149, vcc_lo
	v_cndmask_b32_e64 v160, v143, v157, s2
	v_cndmask_b32_e32 v157, v140, v140, vcc_lo
	v_cndmask_b32_e64 v159, v142, v142, s2
	s_mov_b32 s2, exec_lo
	s_delay_alu instid0(VALU_DEP_1)
	v_cmpx_ngt_f64_e32 v[157:158], v[159:160]
	s_xor_b32 s2, exec_lo, s2
	s_cbranch_execz .LBB68_196
; %bb.195:
	v_div_scale_f64 v[157:158], null, v[142:143], v[142:143], v[140:141]
	v_div_scale_f64 v[163:164], vcc_lo, v[140:141], v[142:143], v[140:141]
	s_delay_alu instid0(VALU_DEP_2) | instskip(SKIP_2) | instid1(VALU_DEP_1)
	v_rcp_f64_e32 v[159:160], v[157:158]
	s_waitcnt_depctr 0xfff
	v_fma_f64 v[161:162], -v[157:158], v[159:160], 1.0
	v_fma_f64 v[159:160], v[159:160], v[161:162], v[159:160]
	s_delay_alu instid0(VALU_DEP_1) | instskip(NEXT) | instid1(VALU_DEP_1)
	v_fma_f64 v[161:162], -v[157:158], v[159:160], 1.0
	v_fma_f64 v[159:160], v[159:160], v[161:162], v[159:160]
	s_delay_alu instid0(VALU_DEP_1) | instskip(NEXT) | instid1(VALU_DEP_1)
	v_mul_f64 v[161:162], v[163:164], v[159:160]
	v_fma_f64 v[157:158], -v[157:158], v[161:162], v[163:164]
	s_delay_alu instid0(VALU_DEP_1) | instskip(NEXT) | instid1(VALU_DEP_1)
	v_div_fmas_f64 v[157:158], v[157:158], v[159:160], v[161:162]
	v_div_fixup_f64 v[157:158], v[157:158], v[142:143], v[140:141]
	s_delay_alu instid0(VALU_DEP_1) | instskip(NEXT) | instid1(VALU_DEP_1)
	v_fma_f64 v[140:141], v[140:141], v[157:158], v[142:143]
	v_div_scale_f64 v[142:143], null, v[140:141], v[140:141], 1.0
	s_delay_alu instid0(VALU_DEP_1) | instskip(SKIP_2) | instid1(VALU_DEP_1)
	v_rcp_f64_e32 v[159:160], v[142:143]
	s_waitcnt_depctr 0xfff
	v_fma_f64 v[161:162], -v[142:143], v[159:160], 1.0
	v_fma_f64 v[159:160], v[159:160], v[161:162], v[159:160]
	s_delay_alu instid0(VALU_DEP_1) | instskip(NEXT) | instid1(VALU_DEP_1)
	v_fma_f64 v[161:162], -v[142:143], v[159:160], 1.0
	v_fma_f64 v[159:160], v[159:160], v[161:162], v[159:160]
	v_div_scale_f64 v[161:162], vcc_lo, 1.0, v[140:141], 1.0
	s_delay_alu instid0(VALU_DEP_1) | instskip(NEXT) | instid1(VALU_DEP_1)
	v_mul_f64 v[163:164], v[161:162], v[159:160]
	v_fma_f64 v[142:143], -v[142:143], v[163:164], v[161:162]
	s_delay_alu instid0(VALU_DEP_1) | instskip(NEXT) | instid1(VALU_DEP_1)
	v_div_fmas_f64 v[142:143], v[142:143], v[159:160], v[163:164]
	v_div_fixup_f64 v[142:143], v[142:143], v[140:141], 1.0
	s_delay_alu instid0(VALU_DEP_1)
	v_mul_f64 v[140:141], v[157:158], v[142:143]
	v_xor_b32_e32 v143, 0x80000000, v143
.LBB68_196:
	s_and_not1_saveexec_b32 s2, s2
	s_cbranch_execz .LBB68_198
; %bb.197:
	s_delay_alu instid0(VALU_DEP_1) | instskip(SKIP_1) | instid1(VALU_DEP_2)
	v_div_scale_f64 v[157:158], null, v[140:141], v[140:141], v[142:143]
	v_div_scale_f64 v[163:164], vcc_lo, v[142:143], v[140:141], v[142:143]
	v_rcp_f64_e32 v[159:160], v[157:158]
	s_waitcnt_depctr 0xfff
	v_fma_f64 v[161:162], -v[157:158], v[159:160], 1.0
	s_delay_alu instid0(VALU_DEP_1) | instskip(NEXT) | instid1(VALU_DEP_1)
	v_fma_f64 v[159:160], v[159:160], v[161:162], v[159:160]
	v_fma_f64 v[161:162], -v[157:158], v[159:160], 1.0
	s_delay_alu instid0(VALU_DEP_1) | instskip(NEXT) | instid1(VALU_DEP_1)
	v_fma_f64 v[159:160], v[159:160], v[161:162], v[159:160]
	v_mul_f64 v[161:162], v[163:164], v[159:160]
	s_delay_alu instid0(VALU_DEP_1) | instskip(NEXT) | instid1(VALU_DEP_1)
	v_fma_f64 v[157:158], -v[157:158], v[161:162], v[163:164]
	v_div_fmas_f64 v[157:158], v[157:158], v[159:160], v[161:162]
	s_delay_alu instid0(VALU_DEP_1) | instskip(NEXT) | instid1(VALU_DEP_1)
	v_div_fixup_f64 v[157:158], v[157:158], v[140:141], v[142:143]
	v_fma_f64 v[140:141], v[142:143], v[157:158], v[140:141]
	s_delay_alu instid0(VALU_DEP_1) | instskip(NEXT) | instid1(VALU_DEP_1)
	v_div_scale_f64 v[142:143], null, v[140:141], v[140:141], 1.0
	v_rcp_f64_e32 v[159:160], v[142:143]
	s_waitcnt_depctr 0xfff
	v_fma_f64 v[161:162], -v[142:143], v[159:160], 1.0
	s_delay_alu instid0(VALU_DEP_1) | instskip(NEXT) | instid1(VALU_DEP_1)
	v_fma_f64 v[159:160], v[159:160], v[161:162], v[159:160]
	v_fma_f64 v[161:162], -v[142:143], v[159:160], 1.0
	s_delay_alu instid0(VALU_DEP_1) | instskip(SKIP_1) | instid1(VALU_DEP_1)
	v_fma_f64 v[159:160], v[159:160], v[161:162], v[159:160]
	v_div_scale_f64 v[161:162], vcc_lo, 1.0, v[140:141], 1.0
	v_mul_f64 v[163:164], v[161:162], v[159:160]
	s_delay_alu instid0(VALU_DEP_1) | instskip(NEXT) | instid1(VALU_DEP_1)
	v_fma_f64 v[142:143], -v[142:143], v[163:164], v[161:162]
	v_div_fmas_f64 v[142:143], v[142:143], v[159:160], v[163:164]
	s_delay_alu instid0(VALU_DEP_1) | instskip(NEXT) | instid1(VALU_DEP_1)
	v_div_fixup_f64 v[140:141], v[142:143], v[140:141], 1.0
	v_mul_f64 v[142:143], v[157:158], -v[140:141]
.LBB68_198:
	s_or_b32 exec_lo, exec_lo, s2
.LBB68_199:
	s_delay_alu instid0(SALU_CYCLE_1) | instskip(NEXT) | instid1(SALU_CYCLE_1)
	s_or_b32 exec_lo, exec_lo, s3
	s_mov_b32 s2, exec_lo
	v_cmpx_ne_u32_e64 v156, v148
	s_xor_b32 s2, exec_lo, s2
	s_cbranch_execz .LBB68_205
; %bb.200:
	s_mov_b32 s3, exec_lo
	v_cmpx_eq_u32_e32 9, v156
	s_cbranch_execz .LBB68_204
; %bb.201:
	v_cmp_ne_u32_e32 vcc_lo, 9, v148
	s_xor_b32 s6, s4, -1
	s_delay_alu instid0(SALU_CYCLE_1) | instskip(NEXT) | instid1(SALU_CYCLE_1)
	s_and_b32 s7, s6, vcc_lo
	s_and_saveexec_b32 s6, s7
	s_cbranch_execz .LBB68_203
; %bb.202:
	v_ashrrev_i32_e32 v149, 31, v148
	s_delay_alu instid0(VALU_DEP_1) | instskip(NEXT) | instid1(VALU_DEP_1)
	v_lshlrev_b64 v[156:157], 2, v[148:149]
	v_add_co_u32 v156, vcc_lo, v146, v156
	s_delay_alu instid0(VALU_DEP_2)
	v_add_co_ci_u32_e32 v157, vcc_lo, v147, v157, vcc_lo
	s_clause 0x1
	flat_load_b32 v149, v[156:157]
	flat_load_b32 v154, v[146:147] offset:36
	s_waitcnt vmcnt(1) lgkmcnt(1)
	flat_store_b32 v[146:147], v149 offset:36
	s_waitcnt vmcnt(0) lgkmcnt(1)
	flat_store_b32 v[156:157], v154
.LBB68_203:
	s_or_b32 exec_lo, exec_lo, s6
	v_mov_b32_e32 v156, v148
	v_mov_b32_e32 v154, v148
.LBB68_204:
	s_or_b32 exec_lo, exec_lo, s3
.LBB68_205:
	s_and_not1_saveexec_b32 s2, s2
	s_cbranch_execz .LBB68_207
; %bb.206:
	v_mov_b32_e32 v156, 9
	ds_store_2addr_b64 v150, v[108:109], v[110:111] offset0:20 offset1:21
	ds_store_2addr_b64 v150, v[104:105], v[106:107] offset0:22 offset1:23
	;; [unrolled: 1-line block ×25, first 2 shown]
.LBB68_207:
	s_or_b32 exec_lo, exec_lo, s2
	s_delay_alu instid0(SALU_CYCLE_1)
	s_mov_b32 s2, exec_lo
	s_waitcnt lgkmcnt(0)
	s_waitcnt_vscnt null, 0x0
	s_barrier
	buffer_gl0_inv
	v_cmpx_lt_i32_e32 9, v156
	s_cbranch_execz .LBB68_209
; %bb.208:
	v_mul_f64 v[148:149], v[142:143], v[122:123]
	v_mul_f64 v[122:123], v[140:141], v[122:123]
	s_delay_alu instid0(VALU_DEP_2) | instskip(NEXT) | instid1(VALU_DEP_2)
	v_fma_f64 v[148:149], v[140:141], v[120:121], -v[148:149]
	v_fma_f64 v[122:123], v[142:143], v[120:121], v[122:123]
	ds_load_2addr_b64 v[140:143], v150 offset0:20 offset1:21
	s_waitcnt lgkmcnt(0)
	v_mul_f64 v[120:121], v[142:143], v[122:123]
	s_delay_alu instid0(VALU_DEP_1) | instskip(SKIP_1) | instid1(VALU_DEP_2)
	v_fma_f64 v[120:121], v[140:141], v[148:149], -v[120:121]
	v_mul_f64 v[140:141], v[140:141], v[122:123]
	v_add_f64 v[108:109], v[108:109], -v[120:121]
	s_delay_alu instid0(VALU_DEP_2) | instskip(NEXT) | instid1(VALU_DEP_1)
	v_fma_f64 v[140:141], v[142:143], v[148:149], v[140:141]
	v_add_f64 v[110:111], v[110:111], -v[140:141]
	ds_load_2addr_b64 v[140:143], v150 offset0:22 offset1:23
	s_waitcnt lgkmcnt(0)
	v_mul_f64 v[120:121], v[142:143], v[122:123]
	s_delay_alu instid0(VALU_DEP_1) | instskip(SKIP_1) | instid1(VALU_DEP_2)
	v_fma_f64 v[120:121], v[140:141], v[148:149], -v[120:121]
	v_mul_f64 v[140:141], v[140:141], v[122:123]
	v_add_f64 v[104:105], v[104:105], -v[120:121]
	s_delay_alu instid0(VALU_DEP_2) | instskip(NEXT) | instid1(VALU_DEP_1)
	v_fma_f64 v[140:141], v[142:143], v[148:149], v[140:141]
	v_add_f64 v[106:107], v[106:107], -v[140:141]
	;; [unrolled: 10-line block ×24, first 2 shown]
	ds_load_2addr_b64 v[140:143], v150 offset0:68 offset1:69
	s_waitcnt lgkmcnt(0)
	v_mul_f64 v[120:121], v[142:143], v[122:123]
	s_delay_alu instid0(VALU_DEP_1) | instskip(SKIP_1) | instid1(VALU_DEP_2)
	v_fma_f64 v[120:121], v[140:141], v[148:149], -v[120:121]
	v_mul_f64 v[140:141], v[140:141], v[122:123]
	v_add_f64 v[0:1], v[0:1], -v[120:121]
	s_delay_alu instid0(VALU_DEP_2) | instskip(SKIP_1) | instid1(VALU_DEP_2)
	v_fma_f64 v[140:141], v[142:143], v[148:149], v[140:141]
	v_dual_mov_b32 v120, v148 :: v_dual_mov_b32 v121, v149
	v_add_f64 v[2:3], v[2:3], -v[140:141]
.LBB68_209:
	s_or_b32 exec_lo, exec_lo, s2
	v_lshl_add_u32 v140, v156, 4, v150
	s_barrier
	buffer_gl0_inv
	v_mov_b32_e32 v148, 10
	ds_store_2addr_b64 v140, v[108:109], v[110:111] offset1:1
	s_waitcnt lgkmcnt(0)
	s_barrier
	buffer_gl0_inv
	ds_load_2addr_b64 v[140:143], v150 offset0:20 offset1:21
	s_cmp_lt_i32 s5, 12
	s_cbranch_scc1 .LBB68_212
; %bb.210:
	v_add3_u32 v149, v155, 0, 0xb0
	v_mov_b32_e32 v148, 10
	s_mov_b32 s6, 11
	s_set_inst_prefetch_distance 0x1
	.p2align	6
.LBB68_211:                             ; =>This Inner Loop Header: Depth=1
	ds_load_2addr_b64 v[157:160], v149 offset1:1
	s_waitcnt lgkmcnt(1)
	v_cmp_gt_f64_e32 vcc_lo, 0, v[140:141]
	v_xor_b32_e32 v161, 0x80000000, v141
	v_cmp_gt_f64_e64 s2, 0, v[142:143]
	v_xor_b32_e32 v163, 0x80000000, v143
	v_add_nc_u32_e32 v149, 16, v149
	s_waitcnt lgkmcnt(0)
	v_cmp_gt_f64_e64 s3, 0, v[157:158]
	v_mov_b32_e32 v165, v157
	v_dual_mov_b32 v167, v159 :: v_dual_cndmask_b32 v162, v141, v161
	v_xor_b32_e32 v161, 0x80000000, v158
	v_cndmask_b32_e64 v164, v143, v163, s2
	v_xor_b32_e32 v163, 0x80000000, v160
	s_delay_alu instid0(VALU_DEP_3) | instskip(SKIP_2) | instid1(VALU_DEP_2)
	v_cndmask_b32_e64 v166, v158, v161, s3
	v_cmp_gt_f64_e64 s3, 0, v[159:160]
	v_cndmask_b32_e32 v161, v140, v140, vcc_lo
	v_cndmask_b32_e64 v168, v160, v163, s3
	v_cndmask_b32_e64 v163, v142, v142, s2
	s_delay_alu instid0(VALU_DEP_2) | instskip(NEXT) | instid1(VALU_DEP_2)
	v_add_f64 v[165:166], v[165:166], v[167:168]
	v_add_f64 v[161:162], v[161:162], v[163:164]
	s_delay_alu instid0(VALU_DEP_1) | instskip(SKIP_4) | instid1(SALU_CYCLE_1)
	v_cmp_lt_f64_e32 vcc_lo, v[161:162], v[165:166]
	v_dual_cndmask_b32 v142, v142, v159 :: v_dual_cndmask_b32 v141, v141, v158
	v_dual_cndmask_b32 v140, v140, v157 :: v_dual_cndmask_b32 v143, v143, v160
	v_cndmask_b32_e64 v148, v148, s6, vcc_lo
	s_add_i32 s6, s6, 1
	s_cmp_lg_u32 s5, s6
	s_cbranch_scc1 .LBB68_211
.LBB68_212:
	s_set_inst_prefetch_distance 0x2
	s_waitcnt lgkmcnt(0)
	v_cmp_eq_f64_e32 vcc_lo, 0, v[140:141]
	v_cmp_eq_f64_e64 s2, 0, v[142:143]
	s_delay_alu instid0(VALU_DEP_1) | instskip(NEXT) | instid1(SALU_CYCLE_1)
	s_and_b32 s2, vcc_lo, s2
	s_and_saveexec_b32 s3, s2
	s_delay_alu instid0(SALU_CYCLE_1)
	s_xor_b32 s2, exec_lo, s3
; %bb.213:
	v_cmp_ne_u32_e32 vcc_lo, 0, v153
	v_cndmask_b32_e32 v153, 11, v153, vcc_lo
; %bb.214:
	s_and_not1_saveexec_b32 s3, s2
	s_cbranch_execz .LBB68_220
; %bb.215:
	v_cmp_gt_f64_e32 vcc_lo, 0, v[140:141]
	v_cmp_gt_f64_e64 s2, 0, v[142:143]
	v_xor_b32_e32 v149, 0x80000000, v141
	v_xor_b32_e32 v157, 0x80000000, v143
	s_delay_alu instid0(VALU_DEP_2) | instskip(NEXT) | instid1(VALU_DEP_2)
	v_cndmask_b32_e32 v158, v141, v149, vcc_lo
	v_cndmask_b32_e64 v160, v143, v157, s2
	v_cndmask_b32_e32 v157, v140, v140, vcc_lo
	v_cndmask_b32_e64 v159, v142, v142, s2
	s_mov_b32 s2, exec_lo
	s_delay_alu instid0(VALU_DEP_1)
	v_cmpx_ngt_f64_e32 v[157:158], v[159:160]
	s_xor_b32 s2, exec_lo, s2
	s_cbranch_execz .LBB68_217
; %bb.216:
	v_div_scale_f64 v[157:158], null, v[142:143], v[142:143], v[140:141]
	v_div_scale_f64 v[163:164], vcc_lo, v[140:141], v[142:143], v[140:141]
	s_delay_alu instid0(VALU_DEP_2) | instskip(SKIP_2) | instid1(VALU_DEP_1)
	v_rcp_f64_e32 v[159:160], v[157:158]
	s_waitcnt_depctr 0xfff
	v_fma_f64 v[161:162], -v[157:158], v[159:160], 1.0
	v_fma_f64 v[159:160], v[159:160], v[161:162], v[159:160]
	s_delay_alu instid0(VALU_DEP_1) | instskip(NEXT) | instid1(VALU_DEP_1)
	v_fma_f64 v[161:162], -v[157:158], v[159:160], 1.0
	v_fma_f64 v[159:160], v[159:160], v[161:162], v[159:160]
	s_delay_alu instid0(VALU_DEP_1) | instskip(NEXT) | instid1(VALU_DEP_1)
	v_mul_f64 v[161:162], v[163:164], v[159:160]
	v_fma_f64 v[157:158], -v[157:158], v[161:162], v[163:164]
	s_delay_alu instid0(VALU_DEP_1) | instskip(NEXT) | instid1(VALU_DEP_1)
	v_div_fmas_f64 v[157:158], v[157:158], v[159:160], v[161:162]
	v_div_fixup_f64 v[157:158], v[157:158], v[142:143], v[140:141]
	s_delay_alu instid0(VALU_DEP_1) | instskip(NEXT) | instid1(VALU_DEP_1)
	v_fma_f64 v[140:141], v[140:141], v[157:158], v[142:143]
	v_div_scale_f64 v[142:143], null, v[140:141], v[140:141], 1.0
	s_delay_alu instid0(VALU_DEP_1) | instskip(SKIP_2) | instid1(VALU_DEP_1)
	v_rcp_f64_e32 v[159:160], v[142:143]
	s_waitcnt_depctr 0xfff
	v_fma_f64 v[161:162], -v[142:143], v[159:160], 1.0
	v_fma_f64 v[159:160], v[159:160], v[161:162], v[159:160]
	s_delay_alu instid0(VALU_DEP_1) | instskip(NEXT) | instid1(VALU_DEP_1)
	v_fma_f64 v[161:162], -v[142:143], v[159:160], 1.0
	v_fma_f64 v[159:160], v[159:160], v[161:162], v[159:160]
	v_div_scale_f64 v[161:162], vcc_lo, 1.0, v[140:141], 1.0
	s_delay_alu instid0(VALU_DEP_1) | instskip(NEXT) | instid1(VALU_DEP_1)
	v_mul_f64 v[163:164], v[161:162], v[159:160]
	v_fma_f64 v[142:143], -v[142:143], v[163:164], v[161:162]
	s_delay_alu instid0(VALU_DEP_1) | instskip(NEXT) | instid1(VALU_DEP_1)
	v_div_fmas_f64 v[142:143], v[142:143], v[159:160], v[163:164]
	v_div_fixup_f64 v[142:143], v[142:143], v[140:141], 1.0
	s_delay_alu instid0(VALU_DEP_1)
	v_mul_f64 v[140:141], v[157:158], v[142:143]
	v_xor_b32_e32 v143, 0x80000000, v143
.LBB68_217:
	s_and_not1_saveexec_b32 s2, s2
	s_cbranch_execz .LBB68_219
; %bb.218:
	s_delay_alu instid0(VALU_DEP_1) | instskip(SKIP_1) | instid1(VALU_DEP_2)
	v_div_scale_f64 v[157:158], null, v[140:141], v[140:141], v[142:143]
	v_div_scale_f64 v[163:164], vcc_lo, v[142:143], v[140:141], v[142:143]
	v_rcp_f64_e32 v[159:160], v[157:158]
	s_waitcnt_depctr 0xfff
	v_fma_f64 v[161:162], -v[157:158], v[159:160], 1.0
	s_delay_alu instid0(VALU_DEP_1) | instskip(NEXT) | instid1(VALU_DEP_1)
	v_fma_f64 v[159:160], v[159:160], v[161:162], v[159:160]
	v_fma_f64 v[161:162], -v[157:158], v[159:160], 1.0
	s_delay_alu instid0(VALU_DEP_1) | instskip(NEXT) | instid1(VALU_DEP_1)
	v_fma_f64 v[159:160], v[159:160], v[161:162], v[159:160]
	v_mul_f64 v[161:162], v[163:164], v[159:160]
	s_delay_alu instid0(VALU_DEP_1) | instskip(NEXT) | instid1(VALU_DEP_1)
	v_fma_f64 v[157:158], -v[157:158], v[161:162], v[163:164]
	v_div_fmas_f64 v[157:158], v[157:158], v[159:160], v[161:162]
	s_delay_alu instid0(VALU_DEP_1) | instskip(NEXT) | instid1(VALU_DEP_1)
	v_div_fixup_f64 v[157:158], v[157:158], v[140:141], v[142:143]
	v_fma_f64 v[140:141], v[142:143], v[157:158], v[140:141]
	s_delay_alu instid0(VALU_DEP_1) | instskip(NEXT) | instid1(VALU_DEP_1)
	v_div_scale_f64 v[142:143], null, v[140:141], v[140:141], 1.0
	v_rcp_f64_e32 v[159:160], v[142:143]
	s_waitcnt_depctr 0xfff
	v_fma_f64 v[161:162], -v[142:143], v[159:160], 1.0
	s_delay_alu instid0(VALU_DEP_1) | instskip(NEXT) | instid1(VALU_DEP_1)
	v_fma_f64 v[159:160], v[159:160], v[161:162], v[159:160]
	v_fma_f64 v[161:162], -v[142:143], v[159:160], 1.0
	s_delay_alu instid0(VALU_DEP_1) | instskip(SKIP_1) | instid1(VALU_DEP_1)
	v_fma_f64 v[159:160], v[159:160], v[161:162], v[159:160]
	v_div_scale_f64 v[161:162], vcc_lo, 1.0, v[140:141], 1.0
	v_mul_f64 v[163:164], v[161:162], v[159:160]
	s_delay_alu instid0(VALU_DEP_1) | instskip(NEXT) | instid1(VALU_DEP_1)
	v_fma_f64 v[142:143], -v[142:143], v[163:164], v[161:162]
	v_div_fmas_f64 v[142:143], v[142:143], v[159:160], v[163:164]
	s_delay_alu instid0(VALU_DEP_1) | instskip(NEXT) | instid1(VALU_DEP_1)
	v_div_fixup_f64 v[140:141], v[142:143], v[140:141], 1.0
	v_mul_f64 v[142:143], v[157:158], -v[140:141]
.LBB68_219:
	s_or_b32 exec_lo, exec_lo, s2
.LBB68_220:
	s_delay_alu instid0(SALU_CYCLE_1) | instskip(NEXT) | instid1(SALU_CYCLE_1)
	s_or_b32 exec_lo, exec_lo, s3
	s_mov_b32 s2, exec_lo
	v_cmpx_ne_u32_e64 v156, v148
	s_xor_b32 s2, exec_lo, s2
	s_cbranch_execz .LBB68_226
; %bb.221:
	s_mov_b32 s3, exec_lo
	v_cmpx_eq_u32_e32 10, v156
	s_cbranch_execz .LBB68_225
; %bb.222:
	v_cmp_ne_u32_e32 vcc_lo, 10, v148
	s_xor_b32 s6, s4, -1
	s_delay_alu instid0(SALU_CYCLE_1) | instskip(NEXT) | instid1(SALU_CYCLE_1)
	s_and_b32 s7, s6, vcc_lo
	s_and_saveexec_b32 s6, s7
	s_cbranch_execz .LBB68_224
; %bb.223:
	v_ashrrev_i32_e32 v149, 31, v148
	s_delay_alu instid0(VALU_DEP_1) | instskip(NEXT) | instid1(VALU_DEP_1)
	v_lshlrev_b64 v[156:157], 2, v[148:149]
	v_add_co_u32 v156, vcc_lo, v146, v156
	s_delay_alu instid0(VALU_DEP_2)
	v_add_co_ci_u32_e32 v157, vcc_lo, v147, v157, vcc_lo
	s_clause 0x1
	flat_load_b32 v149, v[156:157]
	flat_load_b32 v154, v[146:147] offset:40
	s_waitcnt vmcnt(1) lgkmcnt(1)
	flat_store_b32 v[146:147], v149 offset:40
	s_waitcnt vmcnt(0) lgkmcnt(1)
	flat_store_b32 v[156:157], v154
.LBB68_224:
	s_or_b32 exec_lo, exec_lo, s6
	v_mov_b32_e32 v156, v148
	v_mov_b32_e32 v154, v148
.LBB68_225:
	s_or_b32 exec_lo, exec_lo, s3
.LBB68_226:
	s_and_not1_saveexec_b32 s2, s2
	s_cbranch_execz .LBB68_228
; %bb.227:
	v_mov_b32_e32 v156, 10
	ds_store_2addr_b64 v150, v[104:105], v[106:107] offset0:22 offset1:23
	ds_store_2addr_b64 v150, v[100:101], v[102:103] offset0:24 offset1:25
	;; [unrolled: 1-line block ×24, first 2 shown]
.LBB68_228:
	s_or_b32 exec_lo, exec_lo, s2
	s_delay_alu instid0(SALU_CYCLE_1)
	s_mov_b32 s2, exec_lo
	s_waitcnt lgkmcnt(0)
	s_waitcnt_vscnt null, 0x0
	s_barrier
	buffer_gl0_inv
	v_cmpx_lt_i32_e32 10, v156
	s_cbranch_execz .LBB68_230
; %bb.229:
	v_mul_f64 v[148:149], v[142:143], v[110:111]
	v_mul_f64 v[110:111], v[140:141], v[110:111]
	s_delay_alu instid0(VALU_DEP_2) | instskip(NEXT) | instid1(VALU_DEP_2)
	v_fma_f64 v[148:149], v[140:141], v[108:109], -v[148:149]
	v_fma_f64 v[110:111], v[142:143], v[108:109], v[110:111]
	ds_load_2addr_b64 v[140:143], v150 offset0:22 offset1:23
	s_waitcnt lgkmcnt(0)
	v_mul_f64 v[108:109], v[142:143], v[110:111]
	s_delay_alu instid0(VALU_DEP_1) | instskip(SKIP_1) | instid1(VALU_DEP_2)
	v_fma_f64 v[108:109], v[140:141], v[148:149], -v[108:109]
	v_mul_f64 v[140:141], v[140:141], v[110:111]
	v_add_f64 v[104:105], v[104:105], -v[108:109]
	s_delay_alu instid0(VALU_DEP_2) | instskip(NEXT) | instid1(VALU_DEP_1)
	v_fma_f64 v[140:141], v[142:143], v[148:149], v[140:141]
	v_add_f64 v[106:107], v[106:107], -v[140:141]
	ds_load_2addr_b64 v[140:143], v150 offset0:24 offset1:25
	s_waitcnt lgkmcnt(0)
	v_mul_f64 v[108:109], v[142:143], v[110:111]
	s_delay_alu instid0(VALU_DEP_1) | instskip(SKIP_1) | instid1(VALU_DEP_2)
	v_fma_f64 v[108:109], v[140:141], v[148:149], -v[108:109]
	v_mul_f64 v[140:141], v[140:141], v[110:111]
	v_add_f64 v[100:101], v[100:101], -v[108:109]
	s_delay_alu instid0(VALU_DEP_2) | instskip(NEXT) | instid1(VALU_DEP_1)
	v_fma_f64 v[140:141], v[142:143], v[148:149], v[140:141]
	v_add_f64 v[102:103], v[102:103], -v[140:141]
	;; [unrolled: 10-line block ×23, first 2 shown]
	ds_load_2addr_b64 v[140:143], v150 offset0:68 offset1:69
	s_waitcnt lgkmcnt(0)
	v_mul_f64 v[108:109], v[142:143], v[110:111]
	s_delay_alu instid0(VALU_DEP_1) | instskip(SKIP_1) | instid1(VALU_DEP_2)
	v_fma_f64 v[108:109], v[140:141], v[148:149], -v[108:109]
	v_mul_f64 v[140:141], v[140:141], v[110:111]
	v_add_f64 v[0:1], v[0:1], -v[108:109]
	s_delay_alu instid0(VALU_DEP_2) | instskip(SKIP_1) | instid1(VALU_DEP_2)
	v_fma_f64 v[140:141], v[142:143], v[148:149], v[140:141]
	v_dual_mov_b32 v108, v148 :: v_dual_mov_b32 v109, v149
	v_add_f64 v[2:3], v[2:3], -v[140:141]
.LBB68_230:
	s_or_b32 exec_lo, exec_lo, s2
	v_lshl_add_u32 v140, v156, 4, v150
	s_barrier
	buffer_gl0_inv
	v_mov_b32_e32 v148, 11
	ds_store_2addr_b64 v140, v[104:105], v[106:107] offset1:1
	s_waitcnt lgkmcnt(0)
	s_barrier
	buffer_gl0_inv
	ds_load_2addr_b64 v[140:143], v150 offset0:22 offset1:23
	s_cmp_lt_i32 s5, 13
	s_cbranch_scc1 .LBB68_233
; %bb.231:
	v_add3_u32 v149, v155, 0, 0xc0
	v_mov_b32_e32 v148, 11
	s_mov_b32 s6, 12
	s_set_inst_prefetch_distance 0x1
	.p2align	6
.LBB68_232:                             ; =>This Inner Loop Header: Depth=1
	ds_load_2addr_b64 v[157:160], v149 offset1:1
	s_waitcnt lgkmcnt(1)
	v_cmp_gt_f64_e32 vcc_lo, 0, v[140:141]
	v_xor_b32_e32 v161, 0x80000000, v141
	v_cmp_gt_f64_e64 s2, 0, v[142:143]
	v_xor_b32_e32 v163, 0x80000000, v143
	v_add_nc_u32_e32 v149, 16, v149
	s_waitcnt lgkmcnt(0)
	v_cmp_gt_f64_e64 s3, 0, v[157:158]
	v_mov_b32_e32 v165, v157
	v_dual_mov_b32 v167, v159 :: v_dual_cndmask_b32 v162, v141, v161
	v_xor_b32_e32 v161, 0x80000000, v158
	v_cndmask_b32_e64 v164, v143, v163, s2
	v_xor_b32_e32 v163, 0x80000000, v160
	s_delay_alu instid0(VALU_DEP_3) | instskip(SKIP_2) | instid1(VALU_DEP_2)
	v_cndmask_b32_e64 v166, v158, v161, s3
	v_cmp_gt_f64_e64 s3, 0, v[159:160]
	v_cndmask_b32_e32 v161, v140, v140, vcc_lo
	v_cndmask_b32_e64 v168, v160, v163, s3
	v_cndmask_b32_e64 v163, v142, v142, s2
	s_delay_alu instid0(VALU_DEP_2) | instskip(NEXT) | instid1(VALU_DEP_2)
	v_add_f64 v[165:166], v[165:166], v[167:168]
	v_add_f64 v[161:162], v[161:162], v[163:164]
	s_delay_alu instid0(VALU_DEP_1) | instskip(SKIP_4) | instid1(SALU_CYCLE_1)
	v_cmp_lt_f64_e32 vcc_lo, v[161:162], v[165:166]
	v_dual_cndmask_b32 v142, v142, v159 :: v_dual_cndmask_b32 v141, v141, v158
	v_dual_cndmask_b32 v140, v140, v157 :: v_dual_cndmask_b32 v143, v143, v160
	v_cndmask_b32_e64 v148, v148, s6, vcc_lo
	s_add_i32 s6, s6, 1
	s_cmp_lg_u32 s5, s6
	s_cbranch_scc1 .LBB68_232
.LBB68_233:
	s_set_inst_prefetch_distance 0x2
	s_waitcnt lgkmcnt(0)
	v_cmp_eq_f64_e32 vcc_lo, 0, v[140:141]
	v_cmp_eq_f64_e64 s2, 0, v[142:143]
	s_delay_alu instid0(VALU_DEP_1) | instskip(NEXT) | instid1(SALU_CYCLE_1)
	s_and_b32 s2, vcc_lo, s2
	s_and_saveexec_b32 s3, s2
	s_delay_alu instid0(SALU_CYCLE_1)
	s_xor_b32 s2, exec_lo, s3
; %bb.234:
	v_cmp_ne_u32_e32 vcc_lo, 0, v153
	v_cndmask_b32_e32 v153, 12, v153, vcc_lo
; %bb.235:
	s_and_not1_saveexec_b32 s3, s2
	s_cbranch_execz .LBB68_241
; %bb.236:
	v_cmp_gt_f64_e32 vcc_lo, 0, v[140:141]
	v_cmp_gt_f64_e64 s2, 0, v[142:143]
	v_xor_b32_e32 v149, 0x80000000, v141
	v_xor_b32_e32 v157, 0x80000000, v143
	s_delay_alu instid0(VALU_DEP_2) | instskip(NEXT) | instid1(VALU_DEP_2)
	v_cndmask_b32_e32 v158, v141, v149, vcc_lo
	v_cndmask_b32_e64 v160, v143, v157, s2
	v_cndmask_b32_e32 v157, v140, v140, vcc_lo
	v_cndmask_b32_e64 v159, v142, v142, s2
	s_mov_b32 s2, exec_lo
	s_delay_alu instid0(VALU_DEP_1)
	v_cmpx_ngt_f64_e32 v[157:158], v[159:160]
	s_xor_b32 s2, exec_lo, s2
	s_cbranch_execz .LBB68_238
; %bb.237:
	v_div_scale_f64 v[157:158], null, v[142:143], v[142:143], v[140:141]
	v_div_scale_f64 v[163:164], vcc_lo, v[140:141], v[142:143], v[140:141]
	s_delay_alu instid0(VALU_DEP_2) | instskip(SKIP_2) | instid1(VALU_DEP_1)
	v_rcp_f64_e32 v[159:160], v[157:158]
	s_waitcnt_depctr 0xfff
	v_fma_f64 v[161:162], -v[157:158], v[159:160], 1.0
	v_fma_f64 v[159:160], v[159:160], v[161:162], v[159:160]
	s_delay_alu instid0(VALU_DEP_1) | instskip(NEXT) | instid1(VALU_DEP_1)
	v_fma_f64 v[161:162], -v[157:158], v[159:160], 1.0
	v_fma_f64 v[159:160], v[159:160], v[161:162], v[159:160]
	s_delay_alu instid0(VALU_DEP_1) | instskip(NEXT) | instid1(VALU_DEP_1)
	v_mul_f64 v[161:162], v[163:164], v[159:160]
	v_fma_f64 v[157:158], -v[157:158], v[161:162], v[163:164]
	s_delay_alu instid0(VALU_DEP_1) | instskip(NEXT) | instid1(VALU_DEP_1)
	v_div_fmas_f64 v[157:158], v[157:158], v[159:160], v[161:162]
	v_div_fixup_f64 v[157:158], v[157:158], v[142:143], v[140:141]
	s_delay_alu instid0(VALU_DEP_1) | instskip(NEXT) | instid1(VALU_DEP_1)
	v_fma_f64 v[140:141], v[140:141], v[157:158], v[142:143]
	v_div_scale_f64 v[142:143], null, v[140:141], v[140:141], 1.0
	s_delay_alu instid0(VALU_DEP_1) | instskip(SKIP_2) | instid1(VALU_DEP_1)
	v_rcp_f64_e32 v[159:160], v[142:143]
	s_waitcnt_depctr 0xfff
	v_fma_f64 v[161:162], -v[142:143], v[159:160], 1.0
	v_fma_f64 v[159:160], v[159:160], v[161:162], v[159:160]
	s_delay_alu instid0(VALU_DEP_1) | instskip(NEXT) | instid1(VALU_DEP_1)
	v_fma_f64 v[161:162], -v[142:143], v[159:160], 1.0
	v_fma_f64 v[159:160], v[159:160], v[161:162], v[159:160]
	v_div_scale_f64 v[161:162], vcc_lo, 1.0, v[140:141], 1.0
	s_delay_alu instid0(VALU_DEP_1) | instskip(NEXT) | instid1(VALU_DEP_1)
	v_mul_f64 v[163:164], v[161:162], v[159:160]
	v_fma_f64 v[142:143], -v[142:143], v[163:164], v[161:162]
	s_delay_alu instid0(VALU_DEP_1) | instskip(NEXT) | instid1(VALU_DEP_1)
	v_div_fmas_f64 v[142:143], v[142:143], v[159:160], v[163:164]
	v_div_fixup_f64 v[142:143], v[142:143], v[140:141], 1.0
	s_delay_alu instid0(VALU_DEP_1)
	v_mul_f64 v[140:141], v[157:158], v[142:143]
	v_xor_b32_e32 v143, 0x80000000, v143
.LBB68_238:
	s_and_not1_saveexec_b32 s2, s2
	s_cbranch_execz .LBB68_240
; %bb.239:
	s_delay_alu instid0(VALU_DEP_1) | instskip(SKIP_1) | instid1(VALU_DEP_2)
	v_div_scale_f64 v[157:158], null, v[140:141], v[140:141], v[142:143]
	v_div_scale_f64 v[163:164], vcc_lo, v[142:143], v[140:141], v[142:143]
	v_rcp_f64_e32 v[159:160], v[157:158]
	s_waitcnt_depctr 0xfff
	v_fma_f64 v[161:162], -v[157:158], v[159:160], 1.0
	s_delay_alu instid0(VALU_DEP_1) | instskip(NEXT) | instid1(VALU_DEP_1)
	v_fma_f64 v[159:160], v[159:160], v[161:162], v[159:160]
	v_fma_f64 v[161:162], -v[157:158], v[159:160], 1.0
	s_delay_alu instid0(VALU_DEP_1) | instskip(NEXT) | instid1(VALU_DEP_1)
	v_fma_f64 v[159:160], v[159:160], v[161:162], v[159:160]
	v_mul_f64 v[161:162], v[163:164], v[159:160]
	s_delay_alu instid0(VALU_DEP_1) | instskip(NEXT) | instid1(VALU_DEP_1)
	v_fma_f64 v[157:158], -v[157:158], v[161:162], v[163:164]
	v_div_fmas_f64 v[157:158], v[157:158], v[159:160], v[161:162]
	s_delay_alu instid0(VALU_DEP_1) | instskip(NEXT) | instid1(VALU_DEP_1)
	v_div_fixup_f64 v[157:158], v[157:158], v[140:141], v[142:143]
	v_fma_f64 v[140:141], v[142:143], v[157:158], v[140:141]
	s_delay_alu instid0(VALU_DEP_1) | instskip(NEXT) | instid1(VALU_DEP_1)
	v_div_scale_f64 v[142:143], null, v[140:141], v[140:141], 1.0
	v_rcp_f64_e32 v[159:160], v[142:143]
	s_waitcnt_depctr 0xfff
	v_fma_f64 v[161:162], -v[142:143], v[159:160], 1.0
	s_delay_alu instid0(VALU_DEP_1) | instskip(NEXT) | instid1(VALU_DEP_1)
	v_fma_f64 v[159:160], v[159:160], v[161:162], v[159:160]
	v_fma_f64 v[161:162], -v[142:143], v[159:160], 1.0
	s_delay_alu instid0(VALU_DEP_1) | instskip(SKIP_1) | instid1(VALU_DEP_1)
	v_fma_f64 v[159:160], v[159:160], v[161:162], v[159:160]
	v_div_scale_f64 v[161:162], vcc_lo, 1.0, v[140:141], 1.0
	v_mul_f64 v[163:164], v[161:162], v[159:160]
	s_delay_alu instid0(VALU_DEP_1) | instskip(NEXT) | instid1(VALU_DEP_1)
	v_fma_f64 v[142:143], -v[142:143], v[163:164], v[161:162]
	v_div_fmas_f64 v[142:143], v[142:143], v[159:160], v[163:164]
	s_delay_alu instid0(VALU_DEP_1) | instskip(NEXT) | instid1(VALU_DEP_1)
	v_div_fixup_f64 v[140:141], v[142:143], v[140:141], 1.0
	v_mul_f64 v[142:143], v[157:158], -v[140:141]
.LBB68_240:
	s_or_b32 exec_lo, exec_lo, s2
.LBB68_241:
	s_delay_alu instid0(SALU_CYCLE_1) | instskip(NEXT) | instid1(SALU_CYCLE_1)
	s_or_b32 exec_lo, exec_lo, s3
	s_mov_b32 s2, exec_lo
	v_cmpx_ne_u32_e64 v156, v148
	s_xor_b32 s2, exec_lo, s2
	s_cbranch_execz .LBB68_247
; %bb.242:
	s_mov_b32 s3, exec_lo
	v_cmpx_eq_u32_e32 11, v156
	s_cbranch_execz .LBB68_246
; %bb.243:
	v_cmp_ne_u32_e32 vcc_lo, 11, v148
	s_xor_b32 s6, s4, -1
	s_delay_alu instid0(SALU_CYCLE_1) | instskip(NEXT) | instid1(SALU_CYCLE_1)
	s_and_b32 s7, s6, vcc_lo
	s_and_saveexec_b32 s6, s7
	s_cbranch_execz .LBB68_245
; %bb.244:
	v_ashrrev_i32_e32 v149, 31, v148
	s_delay_alu instid0(VALU_DEP_1) | instskip(NEXT) | instid1(VALU_DEP_1)
	v_lshlrev_b64 v[156:157], 2, v[148:149]
	v_add_co_u32 v156, vcc_lo, v146, v156
	s_delay_alu instid0(VALU_DEP_2)
	v_add_co_ci_u32_e32 v157, vcc_lo, v147, v157, vcc_lo
	s_clause 0x1
	flat_load_b32 v149, v[156:157]
	flat_load_b32 v154, v[146:147] offset:44
	s_waitcnt vmcnt(1) lgkmcnt(1)
	flat_store_b32 v[146:147], v149 offset:44
	s_waitcnt vmcnt(0) lgkmcnt(1)
	flat_store_b32 v[156:157], v154
.LBB68_245:
	s_or_b32 exec_lo, exec_lo, s6
	v_mov_b32_e32 v156, v148
	v_mov_b32_e32 v154, v148
.LBB68_246:
	s_or_b32 exec_lo, exec_lo, s3
.LBB68_247:
	s_and_not1_saveexec_b32 s2, s2
	s_cbranch_execz .LBB68_249
; %bb.248:
	v_mov_b32_e32 v156, 11
	ds_store_2addr_b64 v150, v[100:101], v[102:103] offset0:24 offset1:25
	ds_store_2addr_b64 v150, v[92:93], v[94:95] offset0:26 offset1:27
	;; [unrolled: 1-line block ×23, first 2 shown]
.LBB68_249:
	s_or_b32 exec_lo, exec_lo, s2
	s_delay_alu instid0(SALU_CYCLE_1)
	s_mov_b32 s2, exec_lo
	s_waitcnt lgkmcnt(0)
	s_waitcnt_vscnt null, 0x0
	s_barrier
	buffer_gl0_inv
	v_cmpx_lt_i32_e32 11, v156
	s_cbranch_execz .LBB68_251
; %bb.250:
	v_mul_f64 v[148:149], v[142:143], v[106:107]
	v_mul_f64 v[106:107], v[140:141], v[106:107]
	s_delay_alu instid0(VALU_DEP_2) | instskip(NEXT) | instid1(VALU_DEP_2)
	v_fma_f64 v[148:149], v[140:141], v[104:105], -v[148:149]
	v_fma_f64 v[106:107], v[142:143], v[104:105], v[106:107]
	ds_load_2addr_b64 v[140:143], v150 offset0:24 offset1:25
	s_waitcnt lgkmcnt(0)
	v_mul_f64 v[104:105], v[142:143], v[106:107]
	s_delay_alu instid0(VALU_DEP_1) | instskip(SKIP_1) | instid1(VALU_DEP_2)
	v_fma_f64 v[104:105], v[140:141], v[148:149], -v[104:105]
	v_mul_f64 v[140:141], v[140:141], v[106:107]
	v_add_f64 v[100:101], v[100:101], -v[104:105]
	s_delay_alu instid0(VALU_DEP_2) | instskip(NEXT) | instid1(VALU_DEP_1)
	v_fma_f64 v[140:141], v[142:143], v[148:149], v[140:141]
	v_add_f64 v[102:103], v[102:103], -v[140:141]
	ds_load_2addr_b64 v[140:143], v150 offset0:26 offset1:27
	s_waitcnt lgkmcnt(0)
	v_mul_f64 v[104:105], v[142:143], v[106:107]
	s_delay_alu instid0(VALU_DEP_1) | instskip(SKIP_1) | instid1(VALU_DEP_2)
	v_fma_f64 v[104:105], v[140:141], v[148:149], -v[104:105]
	v_mul_f64 v[140:141], v[140:141], v[106:107]
	v_add_f64 v[92:93], v[92:93], -v[104:105]
	s_delay_alu instid0(VALU_DEP_2) | instskip(NEXT) | instid1(VALU_DEP_1)
	v_fma_f64 v[140:141], v[142:143], v[148:149], v[140:141]
	v_add_f64 v[94:95], v[94:95], -v[140:141]
	;; [unrolled: 10-line block ×22, first 2 shown]
	ds_load_2addr_b64 v[140:143], v150 offset0:68 offset1:69
	s_waitcnt lgkmcnt(0)
	v_mul_f64 v[104:105], v[142:143], v[106:107]
	s_delay_alu instid0(VALU_DEP_1) | instskip(SKIP_1) | instid1(VALU_DEP_2)
	v_fma_f64 v[104:105], v[140:141], v[148:149], -v[104:105]
	v_mul_f64 v[140:141], v[140:141], v[106:107]
	v_add_f64 v[0:1], v[0:1], -v[104:105]
	s_delay_alu instid0(VALU_DEP_2) | instskip(SKIP_1) | instid1(VALU_DEP_2)
	v_fma_f64 v[140:141], v[142:143], v[148:149], v[140:141]
	v_dual_mov_b32 v104, v148 :: v_dual_mov_b32 v105, v149
	v_add_f64 v[2:3], v[2:3], -v[140:141]
.LBB68_251:
	s_or_b32 exec_lo, exec_lo, s2
	v_lshl_add_u32 v140, v156, 4, v150
	s_barrier
	buffer_gl0_inv
	v_mov_b32_e32 v148, 12
	ds_store_2addr_b64 v140, v[100:101], v[102:103] offset1:1
	s_waitcnt lgkmcnt(0)
	s_barrier
	buffer_gl0_inv
	ds_load_2addr_b64 v[140:143], v150 offset0:24 offset1:25
	s_cmp_lt_i32 s5, 14
	s_cbranch_scc1 .LBB68_254
; %bb.252:
	v_add3_u32 v149, v155, 0, 0xd0
	v_mov_b32_e32 v148, 12
	s_mov_b32 s6, 13
	s_set_inst_prefetch_distance 0x1
	.p2align	6
.LBB68_253:                             ; =>This Inner Loop Header: Depth=1
	ds_load_2addr_b64 v[157:160], v149 offset1:1
	s_waitcnt lgkmcnt(1)
	v_cmp_gt_f64_e32 vcc_lo, 0, v[140:141]
	v_xor_b32_e32 v161, 0x80000000, v141
	v_cmp_gt_f64_e64 s2, 0, v[142:143]
	v_xor_b32_e32 v163, 0x80000000, v143
	v_add_nc_u32_e32 v149, 16, v149
	s_waitcnt lgkmcnt(0)
	v_cmp_gt_f64_e64 s3, 0, v[157:158]
	v_mov_b32_e32 v165, v157
	v_dual_mov_b32 v167, v159 :: v_dual_cndmask_b32 v162, v141, v161
	v_xor_b32_e32 v161, 0x80000000, v158
	v_cndmask_b32_e64 v164, v143, v163, s2
	v_xor_b32_e32 v163, 0x80000000, v160
	s_delay_alu instid0(VALU_DEP_3) | instskip(SKIP_2) | instid1(VALU_DEP_2)
	v_cndmask_b32_e64 v166, v158, v161, s3
	v_cmp_gt_f64_e64 s3, 0, v[159:160]
	v_cndmask_b32_e32 v161, v140, v140, vcc_lo
	v_cndmask_b32_e64 v168, v160, v163, s3
	v_cndmask_b32_e64 v163, v142, v142, s2
	s_delay_alu instid0(VALU_DEP_2) | instskip(NEXT) | instid1(VALU_DEP_2)
	v_add_f64 v[165:166], v[165:166], v[167:168]
	v_add_f64 v[161:162], v[161:162], v[163:164]
	s_delay_alu instid0(VALU_DEP_1) | instskip(SKIP_4) | instid1(SALU_CYCLE_1)
	v_cmp_lt_f64_e32 vcc_lo, v[161:162], v[165:166]
	v_dual_cndmask_b32 v142, v142, v159 :: v_dual_cndmask_b32 v141, v141, v158
	v_dual_cndmask_b32 v140, v140, v157 :: v_dual_cndmask_b32 v143, v143, v160
	v_cndmask_b32_e64 v148, v148, s6, vcc_lo
	s_add_i32 s6, s6, 1
	s_cmp_lg_u32 s5, s6
	s_cbranch_scc1 .LBB68_253
.LBB68_254:
	s_set_inst_prefetch_distance 0x2
	s_waitcnt lgkmcnt(0)
	v_cmp_eq_f64_e32 vcc_lo, 0, v[140:141]
	v_cmp_eq_f64_e64 s2, 0, v[142:143]
	s_delay_alu instid0(VALU_DEP_1) | instskip(NEXT) | instid1(SALU_CYCLE_1)
	s_and_b32 s2, vcc_lo, s2
	s_and_saveexec_b32 s3, s2
	s_delay_alu instid0(SALU_CYCLE_1)
	s_xor_b32 s2, exec_lo, s3
; %bb.255:
	v_cmp_ne_u32_e32 vcc_lo, 0, v153
	v_cndmask_b32_e32 v153, 13, v153, vcc_lo
; %bb.256:
	s_and_not1_saveexec_b32 s3, s2
	s_cbranch_execz .LBB68_262
; %bb.257:
	v_cmp_gt_f64_e32 vcc_lo, 0, v[140:141]
	v_cmp_gt_f64_e64 s2, 0, v[142:143]
	v_xor_b32_e32 v149, 0x80000000, v141
	v_xor_b32_e32 v157, 0x80000000, v143
	s_delay_alu instid0(VALU_DEP_2) | instskip(NEXT) | instid1(VALU_DEP_2)
	v_cndmask_b32_e32 v158, v141, v149, vcc_lo
	v_cndmask_b32_e64 v160, v143, v157, s2
	v_cndmask_b32_e32 v157, v140, v140, vcc_lo
	v_cndmask_b32_e64 v159, v142, v142, s2
	s_mov_b32 s2, exec_lo
	s_delay_alu instid0(VALU_DEP_1)
	v_cmpx_ngt_f64_e32 v[157:158], v[159:160]
	s_xor_b32 s2, exec_lo, s2
	s_cbranch_execz .LBB68_259
; %bb.258:
	v_div_scale_f64 v[157:158], null, v[142:143], v[142:143], v[140:141]
	v_div_scale_f64 v[163:164], vcc_lo, v[140:141], v[142:143], v[140:141]
	s_delay_alu instid0(VALU_DEP_2) | instskip(SKIP_2) | instid1(VALU_DEP_1)
	v_rcp_f64_e32 v[159:160], v[157:158]
	s_waitcnt_depctr 0xfff
	v_fma_f64 v[161:162], -v[157:158], v[159:160], 1.0
	v_fma_f64 v[159:160], v[159:160], v[161:162], v[159:160]
	s_delay_alu instid0(VALU_DEP_1) | instskip(NEXT) | instid1(VALU_DEP_1)
	v_fma_f64 v[161:162], -v[157:158], v[159:160], 1.0
	v_fma_f64 v[159:160], v[159:160], v[161:162], v[159:160]
	s_delay_alu instid0(VALU_DEP_1) | instskip(NEXT) | instid1(VALU_DEP_1)
	v_mul_f64 v[161:162], v[163:164], v[159:160]
	v_fma_f64 v[157:158], -v[157:158], v[161:162], v[163:164]
	s_delay_alu instid0(VALU_DEP_1) | instskip(NEXT) | instid1(VALU_DEP_1)
	v_div_fmas_f64 v[157:158], v[157:158], v[159:160], v[161:162]
	v_div_fixup_f64 v[157:158], v[157:158], v[142:143], v[140:141]
	s_delay_alu instid0(VALU_DEP_1) | instskip(NEXT) | instid1(VALU_DEP_1)
	v_fma_f64 v[140:141], v[140:141], v[157:158], v[142:143]
	v_div_scale_f64 v[142:143], null, v[140:141], v[140:141], 1.0
	s_delay_alu instid0(VALU_DEP_1) | instskip(SKIP_2) | instid1(VALU_DEP_1)
	v_rcp_f64_e32 v[159:160], v[142:143]
	s_waitcnt_depctr 0xfff
	v_fma_f64 v[161:162], -v[142:143], v[159:160], 1.0
	v_fma_f64 v[159:160], v[159:160], v[161:162], v[159:160]
	s_delay_alu instid0(VALU_DEP_1) | instskip(NEXT) | instid1(VALU_DEP_1)
	v_fma_f64 v[161:162], -v[142:143], v[159:160], 1.0
	v_fma_f64 v[159:160], v[159:160], v[161:162], v[159:160]
	v_div_scale_f64 v[161:162], vcc_lo, 1.0, v[140:141], 1.0
	s_delay_alu instid0(VALU_DEP_1) | instskip(NEXT) | instid1(VALU_DEP_1)
	v_mul_f64 v[163:164], v[161:162], v[159:160]
	v_fma_f64 v[142:143], -v[142:143], v[163:164], v[161:162]
	s_delay_alu instid0(VALU_DEP_1) | instskip(NEXT) | instid1(VALU_DEP_1)
	v_div_fmas_f64 v[142:143], v[142:143], v[159:160], v[163:164]
	v_div_fixup_f64 v[142:143], v[142:143], v[140:141], 1.0
	s_delay_alu instid0(VALU_DEP_1)
	v_mul_f64 v[140:141], v[157:158], v[142:143]
	v_xor_b32_e32 v143, 0x80000000, v143
.LBB68_259:
	s_and_not1_saveexec_b32 s2, s2
	s_cbranch_execz .LBB68_261
; %bb.260:
	s_delay_alu instid0(VALU_DEP_1) | instskip(SKIP_1) | instid1(VALU_DEP_2)
	v_div_scale_f64 v[157:158], null, v[140:141], v[140:141], v[142:143]
	v_div_scale_f64 v[163:164], vcc_lo, v[142:143], v[140:141], v[142:143]
	v_rcp_f64_e32 v[159:160], v[157:158]
	s_waitcnt_depctr 0xfff
	v_fma_f64 v[161:162], -v[157:158], v[159:160], 1.0
	s_delay_alu instid0(VALU_DEP_1) | instskip(NEXT) | instid1(VALU_DEP_1)
	v_fma_f64 v[159:160], v[159:160], v[161:162], v[159:160]
	v_fma_f64 v[161:162], -v[157:158], v[159:160], 1.0
	s_delay_alu instid0(VALU_DEP_1) | instskip(NEXT) | instid1(VALU_DEP_1)
	v_fma_f64 v[159:160], v[159:160], v[161:162], v[159:160]
	v_mul_f64 v[161:162], v[163:164], v[159:160]
	s_delay_alu instid0(VALU_DEP_1) | instskip(NEXT) | instid1(VALU_DEP_1)
	v_fma_f64 v[157:158], -v[157:158], v[161:162], v[163:164]
	v_div_fmas_f64 v[157:158], v[157:158], v[159:160], v[161:162]
	s_delay_alu instid0(VALU_DEP_1) | instskip(NEXT) | instid1(VALU_DEP_1)
	v_div_fixup_f64 v[157:158], v[157:158], v[140:141], v[142:143]
	v_fma_f64 v[140:141], v[142:143], v[157:158], v[140:141]
	s_delay_alu instid0(VALU_DEP_1) | instskip(NEXT) | instid1(VALU_DEP_1)
	v_div_scale_f64 v[142:143], null, v[140:141], v[140:141], 1.0
	v_rcp_f64_e32 v[159:160], v[142:143]
	s_waitcnt_depctr 0xfff
	v_fma_f64 v[161:162], -v[142:143], v[159:160], 1.0
	s_delay_alu instid0(VALU_DEP_1) | instskip(NEXT) | instid1(VALU_DEP_1)
	v_fma_f64 v[159:160], v[159:160], v[161:162], v[159:160]
	v_fma_f64 v[161:162], -v[142:143], v[159:160], 1.0
	s_delay_alu instid0(VALU_DEP_1) | instskip(SKIP_1) | instid1(VALU_DEP_1)
	v_fma_f64 v[159:160], v[159:160], v[161:162], v[159:160]
	v_div_scale_f64 v[161:162], vcc_lo, 1.0, v[140:141], 1.0
	v_mul_f64 v[163:164], v[161:162], v[159:160]
	s_delay_alu instid0(VALU_DEP_1) | instskip(NEXT) | instid1(VALU_DEP_1)
	v_fma_f64 v[142:143], -v[142:143], v[163:164], v[161:162]
	v_div_fmas_f64 v[142:143], v[142:143], v[159:160], v[163:164]
	s_delay_alu instid0(VALU_DEP_1) | instskip(NEXT) | instid1(VALU_DEP_1)
	v_div_fixup_f64 v[140:141], v[142:143], v[140:141], 1.0
	v_mul_f64 v[142:143], v[157:158], -v[140:141]
.LBB68_261:
	s_or_b32 exec_lo, exec_lo, s2
.LBB68_262:
	s_delay_alu instid0(SALU_CYCLE_1) | instskip(NEXT) | instid1(SALU_CYCLE_1)
	s_or_b32 exec_lo, exec_lo, s3
	s_mov_b32 s2, exec_lo
	v_cmpx_ne_u32_e64 v156, v148
	s_xor_b32 s2, exec_lo, s2
	s_cbranch_execz .LBB68_268
; %bb.263:
	s_mov_b32 s3, exec_lo
	v_cmpx_eq_u32_e32 12, v156
	s_cbranch_execz .LBB68_267
; %bb.264:
	v_cmp_ne_u32_e32 vcc_lo, 12, v148
	s_xor_b32 s6, s4, -1
	s_delay_alu instid0(SALU_CYCLE_1) | instskip(NEXT) | instid1(SALU_CYCLE_1)
	s_and_b32 s7, s6, vcc_lo
	s_and_saveexec_b32 s6, s7
	s_cbranch_execz .LBB68_266
; %bb.265:
	v_ashrrev_i32_e32 v149, 31, v148
	s_delay_alu instid0(VALU_DEP_1) | instskip(NEXT) | instid1(VALU_DEP_1)
	v_lshlrev_b64 v[156:157], 2, v[148:149]
	v_add_co_u32 v156, vcc_lo, v146, v156
	s_delay_alu instid0(VALU_DEP_2)
	v_add_co_ci_u32_e32 v157, vcc_lo, v147, v157, vcc_lo
	s_clause 0x1
	flat_load_b32 v149, v[156:157]
	flat_load_b32 v154, v[146:147] offset:48
	s_waitcnt vmcnt(1) lgkmcnt(1)
	flat_store_b32 v[146:147], v149 offset:48
	s_waitcnt vmcnt(0) lgkmcnt(1)
	flat_store_b32 v[156:157], v154
.LBB68_266:
	s_or_b32 exec_lo, exec_lo, s6
	v_mov_b32_e32 v156, v148
	v_mov_b32_e32 v154, v148
.LBB68_267:
	s_or_b32 exec_lo, exec_lo, s3
.LBB68_268:
	s_and_not1_saveexec_b32 s2, s2
	s_cbranch_execz .LBB68_270
; %bb.269:
	v_mov_b32_e32 v156, 12
	ds_store_2addr_b64 v150, v[92:93], v[94:95] offset0:26 offset1:27
	ds_store_2addr_b64 v150, v[88:89], v[90:91] offset0:28 offset1:29
	ds_store_2addr_b64 v150, v[84:85], v[86:87] offset0:30 offset1:31
	ds_store_2addr_b64 v150, v[80:81], v[82:83] offset0:32 offset1:33
	ds_store_2addr_b64 v150, v[76:77], v[78:79] offset0:34 offset1:35
	ds_store_2addr_b64 v150, v[72:73], v[74:75] offset0:36 offset1:37
	ds_store_2addr_b64 v150, v[68:69], v[70:71] offset0:38 offset1:39
	ds_store_2addr_b64 v150, v[64:65], v[66:67] offset0:40 offset1:41
	ds_store_2addr_b64 v150, v[60:61], v[62:63] offset0:42 offset1:43
	ds_store_2addr_b64 v150, v[56:57], v[58:59] offset0:44 offset1:45
	ds_store_2addr_b64 v150, v[44:45], v[46:47] offset0:46 offset1:47
	ds_store_2addr_b64 v150, v[40:41], v[42:43] offset0:48 offset1:49
	ds_store_2addr_b64 v150, v[36:37], v[38:39] offset0:50 offset1:51
	ds_store_2addr_b64 v150, v[32:33], v[34:35] offset0:52 offset1:53
	ds_store_2addr_b64 v150, v[28:29], v[30:31] offset0:54 offset1:55
	ds_store_2addr_b64 v150, v[24:25], v[26:27] offset0:56 offset1:57
	ds_store_2addr_b64 v150, v[20:21], v[22:23] offset0:58 offset1:59
	ds_store_2addr_b64 v150, v[16:17], v[18:19] offset0:60 offset1:61
	ds_store_2addr_b64 v150, v[12:13], v[14:15] offset0:62 offset1:63
	ds_store_2addr_b64 v150, v[8:9], v[10:11] offset0:64 offset1:65
	ds_store_2addr_b64 v150, v[4:5], v[6:7] offset0:66 offset1:67
	ds_store_2addr_b64 v150, v[0:1], v[2:3] offset0:68 offset1:69
.LBB68_270:
	s_or_b32 exec_lo, exec_lo, s2
	s_delay_alu instid0(SALU_CYCLE_1)
	s_mov_b32 s2, exec_lo
	s_waitcnt lgkmcnt(0)
	s_waitcnt_vscnt null, 0x0
	s_barrier
	buffer_gl0_inv
	v_cmpx_lt_i32_e32 12, v156
	s_cbranch_execz .LBB68_272
; %bb.271:
	v_mul_f64 v[148:149], v[142:143], v[102:103]
	v_mul_f64 v[102:103], v[140:141], v[102:103]
	s_delay_alu instid0(VALU_DEP_2) | instskip(NEXT) | instid1(VALU_DEP_2)
	v_fma_f64 v[148:149], v[140:141], v[100:101], -v[148:149]
	v_fma_f64 v[102:103], v[142:143], v[100:101], v[102:103]
	ds_load_2addr_b64 v[140:143], v150 offset0:26 offset1:27
	s_waitcnt lgkmcnt(0)
	v_mul_f64 v[100:101], v[142:143], v[102:103]
	s_delay_alu instid0(VALU_DEP_1) | instskip(SKIP_1) | instid1(VALU_DEP_2)
	v_fma_f64 v[100:101], v[140:141], v[148:149], -v[100:101]
	v_mul_f64 v[140:141], v[140:141], v[102:103]
	v_add_f64 v[92:93], v[92:93], -v[100:101]
	s_delay_alu instid0(VALU_DEP_2) | instskip(NEXT) | instid1(VALU_DEP_1)
	v_fma_f64 v[140:141], v[142:143], v[148:149], v[140:141]
	v_add_f64 v[94:95], v[94:95], -v[140:141]
	ds_load_2addr_b64 v[140:143], v150 offset0:28 offset1:29
	s_waitcnt lgkmcnt(0)
	v_mul_f64 v[100:101], v[142:143], v[102:103]
	s_delay_alu instid0(VALU_DEP_1) | instskip(SKIP_1) | instid1(VALU_DEP_2)
	v_fma_f64 v[100:101], v[140:141], v[148:149], -v[100:101]
	v_mul_f64 v[140:141], v[140:141], v[102:103]
	v_add_f64 v[88:89], v[88:89], -v[100:101]
	s_delay_alu instid0(VALU_DEP_2) | instskip(NEXT) | instid1(VALU_DEP_1)
	v_fma_f64 v[140:141], v[142:143], v[148:149], v[140:141]
	v_add_f64 v[90:91], v[90:91], -v[140:141]
	;; [unrolled: 10-line block ×21, first 2 shown]
	ds_load_2addr_b64 v[140:143], v150 offset0:68 offset1:69
	s_waitcnt lgkmcnt(0)
	v_mul_f64 v[100:101], v[142:143], v[102:103]
	s_delay_alu instid0(VALU_DEP_1) | instskip(SKIP_1) | instid1(VALU_DEP_2)
	v_fma_f64 v[100:101], v[140:141], v[148:149], -v[100:101]
	v_mul_f64 v[140:141], v[140:141], v[102:103]
	v_add_f64 v[0:1], v[0:1], -v[100:101]
	s_delay_alu instid0(VALU_DEP_2) | instskip(SKIP_1) | instid1(VALU_DEP_2)
	v_fma_f64 v[140:141], v[142:143], v[148:149], v[140:141]
	v_dual_mov_b32 v100, v148 :: v_dual_mov_b32 v101, v149
	v_add_f64 v[2:3], v[2:3], -v[140:141]
.LBB68_272:
	s_or_b32 exec_lo, exec_lo, s2
	v_lshl_add_u32 v140, v156, 4, v150
	s_barrier
	buffer_gl0_inv
	v_mov_b32_e32 v148, 13
	ds_store_2addr_b64 v140, v[92:93], v[94:95] offset1:1
	s_waitcnt lgkmcnt(0)
	s_barrier
	buffer_gl0_inv
	ds_load_2addr_b64 v[140:143], v150 offset0:26 offset1:27
	s_cmp_lt_i32 s5, 15
	s_cbranch_scc1 .LBB68_275
; %bb.273:
	v_add3_u32 v149, v155, 0, 0xe0
	v_mov_b32_e32 v148, 13
	s_mov_b32 s6, 14
	s_set_inst_prefetch_distance 0x1
	.p2align	6
.LBB68_274:                             ; =>This Inner Loop Header: Depth=1
	ds_load_2addr_b64 v[157:160], v149 offset1:1
	s_waitcnt lgkmcnt(1)
	v_cmp_gt_f64_e32 vcc_lo, 0, v[140:141]
	v_xor_b32_e32 v161, 0x80000000, v141
	v_cmp_gt_f64_e64 s2, 0, v[142:143]
	v_xor_b32_e32 v163, 0x80000000, v143
	v_add_nc_u32_e32 v149, 16, v149
	s_waitcnt lgkmcnt(0)
	v_cmp_gt_f64_e64 s3, 0, v[157:158]
	v_mov_b32_e32 v165, v157
	v_dual_mov_b32 v167, v159 :: v_dual_cndmask_b32 v162, v141, v161
	v_xor_b32_e32 v161, 0x80000000, v158
	v_cndmask_b32_e64 v164, v143, v163, s2
	v_xor_b32_e32 v163, 0x80000000, v160
	s_delay_alu instid0(VALU_DEP_3) | instskip(SKIP_2) | instid1(VALU_DEP_2)
	v_cndmask_b32_e64 v166, v158, v161, s3
	v_cmp_gt_f64_e64 s3, 0, v[159:160]
	v_cndmask_b32_e32 v161, v140, v140, vcc_lo
	v_cndmask_b32_e64 v168, v160, v163, s3
	v_cndmask_b32_e64 v163, v142, v142, s2
	s_delay_alu instid0(VALU_DEP_2) | instskip(NEXT) | instid1(VALU_DEP_2)
	v_add_f64 v[165:166], v[165:166], v[167:168]
	v_add_f64 v[161:162], v[161:162], v[163:164]
	s_delay_alu instid0(VALU_DEP_1) | instskip(SKIP_4) | instid1(SALU_CYCLE_1)
	v_cmp_lt_f64_e32 vcc_lo, v[161:162], v[165:166]
	v_dual_cndmask_b32 v142, v142, v159 :: v_dual_cndmask_b32 v141, v141, v158
	v_dual_cndmask_b32 v140, v140, v157 :: v_dual_cndmask_b32 v143, v143, v160
	v_cndmask_b32_e64 v148, v148, s6, vcc_lo
	s_add_i32 s6, s6, 1
	s_cmp_lg_u32 s5, s6
	s_cbranch_scc1 .LBB68_274
.LBB68_275:
	s_set_inst_prefetch_distance 0x2
	s_waitcnt lgkmcnt(0)
	v_cmp_eq_f64_e32 vcc_lo, 0, v[140:141]
	v_cmp_eq_f64_e64 s2, 0, v[142:143]
	s_delay_alu instid0(VALU_DEP_1) | instskip(NEXT) | instid1(SALU_CYCLE_1)
	s_and_b32 s2, vcc_lo, s2
	s_and_saveexec_b32 s3, s2
	s_delay_alu instid0(SALU_CYCLE_1)
	s_xor_b32 s2, exec_lo, s3
; %bb.276:
	v_cmp_ne_u32_e32 vcc_lo, 0, v153
	v_cndmask_b32_e32 v153, 14, v153, vcc_lo
; %bb.277:
	s_and_not1_saveexec_b32 s3, s2
	s_cbranch_execz .LBB68_283
; %bb.278:
	v_cmp_gt_f64_e32 vcc_lo, 0, v[140:141]
	v_cmp_gt_f64_e64 s2, 0, v[142:143]
	v_xor_b32_e32 v149, 0x80000000, v141
	v_xor_b32_e32 v157, 0x80000000, v143
	s_delay_alu instid0(VALU_DEP_2) | instskip(NEXT) | instid1(VALU_DEP_2)
	v_cndmask_b32_e32 v158, v141, v149, vcc_lo
	v_cndmask_b32_e64 v160, v143, v157, s2
	v_cndmask_b32_e32 v157, v140, v140, vcc_lo
	v_cndmask_b32_e64 v159, v142, v142, s2
	s_mov_b32 s2, exec_lo
	s_delay_alu instid0(VALU_DEP_1)
	v_cmpx_ngt_f64_e32 v[157:158], v[159:160]
	s_xor_b32 s2, exec_lo, s2
	s_cbranch_execz .LBB68_280
; %bb.279:
	v_div_scale_f64 v[157:158], null, v[142:143], v[142:143], v[140:141]
	v_div_scale_f64 v[163:164], vcc_lo, v[140:141], v[142:143], v[140:141]
	s_delay_alu instid0(VALU_DEP_2) | instskip(SKIP_2) | instid1(VALU_DEP_1)
	v_rcp_f64_e32 v[159:160], v[157:158]
	s_waitcnt_depctr 0xfff
	v_fma_f64 v[161:162], -v[157:158], v[159:160], 1.0
	v_fma_f64 v[159:160], v[159:160], v[161:162], v[159:160]
	s_delay_alu instid0(VALU_DEP_1) | instskip(NEXT) | instid1(VALU_DEP_1)
	v_fma_f64 v[161:162], -v[157:158], v[159:160], 1.0
	v_fma_f64 v[159:160], v[159:160], v[161:162], v[159:160]
	s_delay_alu instid0(VALU_DEP_1) | instskip(NEXT) | instid1(VALU_DEP_1)
	v_mul_f64 v[161:162], v[163:164], v[159:160]
	v_fma_f64 v[157:158], -v[157:158], v[161:162], v[163:164]
	s_delay_alu instid0(VALU_DEP_1) | instskip(NEXT) | instid1(VALU_DEP_1)
	v_div_fmas_f64 v[157:158], v[157:158], v[159:160], v[161:162]
	v_div_fixup_f64 v[157:158], v[157:158], v[142:143], v[140:141]
	s_delay_alu instid0(VALU_DEP_1) | instskip(NEXT) | instid1(VALU_DEP_1)
	v_fma_f64 v[140:141], v[140:141], v[157:158], v[142:143]
	v_div_scale_f64 v[142:143], null, v[140:141], v[140:141], 1.0
	s_delay_alu instid0(VALU_DEP_1) | instskip(SKIP_2) | instid1(VALU_DEP_1)
	v_rcp_f64_e32 v[159:160], v[142:143]
	s_waitcnt_depctr 0xfff
	v_fma_f64 v[161:162], -v[142:143], v[159:160], 1.0
	v_fma_f64 v[159:160], v[159:160], v[161:162], v[159:160]
	s_delay_alu instid0(VALU_DEP_1) | instskip(NEXT) | instid1(VALU_DEP_1)
	v_fma_f64 v[161:162], -v[142:143], v[159:160], 1.0
	v_fma_f64 v[159:160], v[159:160], v[161:162], v[159:160]
	v_div_scale_f64 v[161:162], vcc_lo, 1.0, v[140:141], 1.0
	s_delay_alu instid0(VALU_DEP_1) | instskip(NEXT) | instid1(VALU_DEP_1)
	v_mul_f64 v[163:164], v[161:162], v[159:160]
	v_fma_f64 v[142:143], -v[142:143], v[163:164], v[161:162]
	s_delay_alu instid0(VALU_DEP_1) | instskip(NEXT) | instid1(VALU_DEP_1)
	v_div_fmas_f64 v[142:143], v[142:143], v[159:160], v[163:164]
	v_div_fixup_f64 v[142:143], v[142:143], v[140:141], 1.0
	s_delay_alu instid0(VALU_DEP_1)
	v_mul_f64 v[140:141], v[157:158], v[142:143]
	v_xor_b32_e32 v143, 0x80000000, v143
.LBB68_280:
	s_and_not1_saveexec_b32 s2, s2
	s_cbranch_execz .LBB68_282
; %bb.281:
	s_delay_alu instid0(VALU_DEP_1) | instskip(SKIP_1) | instid1(VALU_DEP_2)
	v_div_scale_f64 v[157:158], null, v[140:141], v[140:141], v[142:143]
	v_div_scale_f64 v[163:164], vcc_lo, v[142:143], v[140:141], v[142:143]
	v_rcp_f64_e32 v[159:160], v[157:158]
	s_waitcnt_depctr 0xfff
	v_fma_f64 v[161:162], -v[157:158], v[159:160], 1.0
	s_delay_alu instid0(VALU_DEP_1) | instskip(NEXT) | instid1(VALU_DEP_1)
	v_fma_f64 v[159:160], v[159:160], v[161:162], v[159:160]
	v_fma_f64 v[161:162], -v[157:158], v[159:160], 1.0
	s_delay_alu instid0(VALU_DEP_1) | instskip(NEXT) | instid1(VALU_DEP_1)
	v_fma_f64 v[159:160], v[159:160], v[161:162], v[159:160]
	v_mul_f64 v[161:162], v[163:164], v[159:160]
	s_delay_alu instid0(VALU_DEP_1) | instskip(NEXT) | instid1(VALU_DEP_1)
	v_fma_f64 v[157:158], -v[157:158], v[161:162], v[163:164]
	v_div_fmas_f64 v[157:158], v[157:158], v[159:160], v[161:162]
	s_delay_alu instid0(VALU_DEP_1) | instskip(NEXT) | instid1(VALU_DEP_1)
	v_div_fixup_f64 v[157:158], v[157:158], v[140:141], v[142:143]
	v_fma_f64 v[140:141], v[142:143], v[157:158], v[140:141]
	s_delay_alu instid0(VALU_DEP_1) | instskip(NEXT) | instid1(VALU_DEP_1)
	v_div_scale_f64 v[142:143], null, v[140:141], v[140:141], 1.0
	v_rcp_f64_e32 v[159:160], v[142:143]
	s_waitcnt_depctr 0xfff
	v_fma_f64 v[161:162], -v[142:143], v[159:160], 1.0
	s_delay_alu instid0(VALU_DEP_1) | instskip(NEXT) | instid1(VALU_DEP_1)
	v_fma_f64 v[159:160], v[159:160], v[161:162], v[159:160]
	v_fma_f64 v[161:162], -v[142:143], v[159:160], 1.0
	s_delay_alu instid0(VALU_DEP_1) | instskip(SKIP_1) | instid1(VALU_DEP_1)
	v_fma_f64 v[159:160], v[159:160], v[161:162], v[159:160]
	v_div_scale_f64 v[161:162], vcc_lo, 1.0, v[140:141], 1.0
	v_mul_f64 v[163:164], v[161:162], v[159:160]
	s_delay_alu instid0(VALU_DEP_1) | instskip(NEXT) | instid1(VALU_DEP_1)
	v_fma_f64 v[142:143], -v[142:143], v[163:164], v[161:162]
	v_div_fmas_f64 v[142:143], v[142:143], v[159:160], v[163:164]
	s_delay_alu instid0(VALU_DEP_1) | instskip(NEXT) | instid1(VALU_DEP_1)
	v_div_fixup_f64 v[140:141], v[142:143], v[140:141], 1.0
	v_mul_f64 v[142:143], v[157:158], -v[140:141]
.LBB68_282:
	s_or_b32 exec_lo, exec_lo, s2
.LBB68_283:
	s_delay_alu instid0(SALU_CYCLE_1) | instskip(NEXT) | instid1(SALU_CYCLE_1)
	s_or_b32 exec_lo, exec_lo, s3
	s_mov_b32 s2, exec_lo
	v_cmpx_ne_u32_e64 v156, v148
	s_xor_b32 s2, exec_lo, s2
	s_cbranch_execz .LBB68_289
; %bb.284:
	s_mov_b32 s3, exec_lo
	v_cmpx_eq_u32_e32 13, v156
	s_cbranch_execz .LBB68_288
; %bb.285:
	v_cmp_ne_u32_e32 vcc_lo, 13, v148
	s_xor_b32 s6, s4, -1
	s_delay_alu instid0(SALU_CYCLE_1) | instskip(NEXT) | instid1(SALU_CYCLE_1)
	s_and_b32 s7, s6, vcc_lo
	s_and_saveexec_b32 s6, s7
	s_cbranch_execz .LBB68_287
; %bb.286:
	v_ashrrev_i32_e32 v149, 31, v148
	s_delay_alu instid0(VALU_DEP_1) | instskip(NEXT) | instid1(VALU_DEP_1)
	v_lshlrev_b64 v[156:157], 2, v[148:149]
	v_add_co_u32 v156, vcc_lo, v146, v156
	s_delay_alu instid0(VALU_DEP_2)
	v_add_co_ci_u32_e32 v157, vcc_lo, v147, v157, vcc_lo
	s_clause 0x1
	flat_load_b32 v149, v[156:157]
	flat_load_b32 v154, v[146:147] offset:52
	s_waitcnt vmcnt(1) lgkmcnt(1)
	flat_store_b32 v[146:147], v149 offset:52
	s_waitcnt vmcnt(0) lgkmcnt(1)
	flat_store_b32 v[156:157], v154
.LBB68_287:
	s_or_b32 exec_lo, exec_lo, s6
	v_mov_b32_e32 v156, v148
	v_mov_b32_e32 v154, v148
.LBB68_288:
	s_or_b32 exec_lo, exec_lo, s3
.LBB68_289:
	s_and_not1_saveexec_b32 s2, s2
	s_cbranch_execz .LBB68_291
; %bb.290:
	v_mov_b32_e32 v156, 13
	ds_store_2addr_b64 v150, v[88:89], v[90:91] offset0:28 offset1:29
	ds_store_2addr_b64 v150, v[84:85], v[86:87] offset0:30 offset1:31
	ds_store_2addr_b64 v150, v[80:81], v[82:83] offset0:32 offset1:33
	ds_store_2addr_b64 v150, v[76:77], v[78:79] offset0:34 offset1:35
	ds_store_2addr_b64 v150, v[72:73], v[74:75] offset0:36 offset1:37
	ds_store_2addr_b64 v150, v[68:69], v[70:71] offset0:38 offset1:39
	ds_store_2addr_b64 v150, v[64:65], v[66:67] offset0:40 offset1:41
	ds_store_2addr_b64 v150, v[60:61], v[62:63] offset0:42 offset1:43
	ds_store_2addr_b64 v150, v[56:57], v[58:59] offset0:44 offset1:45
	ds_store_2addr_b64 v150, v[44:45], v[46:47] offset0:46 offset1:47
	ds_store_2addr_b64 v150, v[40:41], v[42:43] offset0:48 offset1:49
	ds_store_2addr_b64 v150, v[36:37], v[38:39] offset0:50 offset1:51
	ds_store_2addr_b64 v150, v[32:33], v[34:35] offset0:52 offset1:53
	ds_store_2addr_b64 v150, v[28:29], v[30:31] offset0:54 offset1:55
	ds_store_2addr_b64 v150, v[24:25], v[26:27] offset0:56 offset1:57
	ds_store_2addr_b64 v150, v[20:21], v[22:23] offset0:58 offset1:59
	ds_store_2addr_b64 v150, v[16:17], v[18:19] offset0:60 offset1:61
	ds_store_2addr_b64 v150, v[12:13], v[14:15] offset0:62 offset1:63
	ds_store_2addr_b64 v150, v[8:9], v[10:11] offset0:64 offset1:65
	ds_store_2addr_b64 v150, v[4:5], v[6:7] offset0:66 offset1:67
	ds_store_2addr_b64 v150, v[0:1], v[2:3] offset0:68 offset1:69
.LBB68_291:
	s_or_b32 exec_lo, exec_lo, s2
	s_delay_alu instid0(SALU_CYCLE_1)
	s_mov_b32 s2, exec_lo
	s_waitcnt lgkmcnt(0)
	s_waitcnt_vscnt null, 0x0
	s_barrier
	buffer_gl0_inv
	v_cmpx_lt_i32_e32 13, v156
	s_cbranch_execz .LBB68_293
; %bb.292:
	v_mul_f64 v[148:149], v[142:143], v[94:95]
	v_mul_f64 v[94:95], v[140:141], v[94:95]
	s_delay_alu instid0(VALU_DEP_2) | instskip(NEXT) | instid1(VALU_DEP_2)
	v_fma_f64 v[148:149], v[140:141], v[92:93], -v[148:149]
	v_fma_f64 v[94:95], v[142:143], v[92:93], v[94:95]
	ds_load_2addr_b64 v[140:143], v150 offset0:28 offset1:29
	s_waitcnt lgkmcnt(0)
	v_mul_f64 v[92:93], v[142:143], v[94:95]
	s_delay_alu instid0(VALU_DEP_1) | instskip(SKIP_1) | instid1(VALU_DEP_2)
	v_fma_f64 v[92:93], v[140:141], v[148:149], -v[92:93]
	v_mul_f64 v[140:141], v[140:141], v[94:95]
	v_add_f64 v[88:89], v[88:89], -v[92:93]
	s_delay_alu instid0(VALU_DEP_2) | instskip(NEXT) | instid1(VALU_DEP_1)
	v_fma_f64 v[140:141], v[142:143], v[148:149], v[140:141]
	v_add_f64 v[90:91], v[90:91], -v[140:141]
	ds_load_2addr_b64 v[140:143], v150 offset0:30 offset1:31
	s_waitcnt lgkmcnt(0)
	v_mul_f64 v[92:93], v[142:143], v[94:95]
	s_delay_alu instid0(VALU_DEP_1) | instskip(SKIP_1) | instid1(VALU_DEP_2)
	v_fma_f64 v[92:93], v[140:141], v[148:149], -v[92:93]
	v_mul_f64 v[140:141], v[140:141], v[94:95]
	v_add_f64 v[84:85], v[84:85], -v[92:93]
	s_delay_alu instid0(VALU_DEP_2) | instskip(NEXT) | instid1(VALU_DEP_1)
	v_fma_f64 v[140:141], v[142:143], v[148:149], v[140:141]
	v_add_f64 v[86:87], v[86:87], -v[140:141]
	;; [unrolled: 10-line block ×20, first 2 shown]
	ds_load_2addr_b64 v[140:143], v150 offset0:68 offset1:69
	s_waitcnt lgkmcnt(0)
	v_mul_f64 v[92:93], v[142:143], v[94:95]
	s_delay_alu instid0(VALU_DEP_1) | instskip(SKIP_1) | instid1(VALU_DEP_2)
	v_fma_f64 v[92:93], v[140:141], v[148:149], -v[92:93]
	v_mul_f64 v[140:141], v[140:141], v[94:95]
	v_add_f64 v[0:1], v[0:1], -v[92:93]
	s_delay_alu instid0(VALU_DEP_2) | instskip(SKIP_1) | instid1(VALU_DEP_2)
	v_fma_f64 v[140:141], v[142:143], v[148:149], v[140:141]
	v_dual_mov_b32 v92, v148 :: v_dual_mov_b32 v93, v149
	v_add_f64 v[2:3], v[2:3], -v[140:141]
.LBB68_293:
	s_or_b32 exec_lo, exec_lo, s2
	v_lshl_add_u32 v140, v156, 4, v150
	s_barrier
	buffer_gl0_inv
	v_mov_b32_e32 v148, 14
	ds_store_2addr_b64 v140, v[88:89], v[90:91] offset1:1
	s_waitcnt lgkmcnt(0)
	s_barrier
	buffer_gl0_inv
	ds_load_2addr_b64 v[140:143], v150 offset0:28 offset1:29
	s_cmp_lt_i32 s5, 16
	s_cbranch_scc1 .LBB68_296
; %bb.294:
	v_add3_u32 v149, v155, 0, 0xf0
	v_mov_b32_e32 v148, 14
	s_mov_b32 s6, 15
	s_set_inst_prefetch_distance 0x1
	.p2align	6
.LBB68_295:                             ; =>This Inner Loop Header: Depth=1
	ds_load_2addr_b64 v[157:160], v149 offset1:1
	s_waitcnt lgkmcnt(1)
	v_cmp_gt_f64_e32 vcc_lo, 0, v[140:141]
	v_xor_b32_e32 v161, 0x80000000, v141
	v_cmp_gt_f64_e64 s2, 0, v[142:143]
	v_xor_b32_e32 v163, 0x80000000, v143
	v_add_nc_u32_e32 v149, 16, v149
	s_waitcnt lgkmcnt(0)
	v_cmp_gt_f64_e64 s3, 0, v[157:158]
	v_mov_b32_e32 v165, v157
	v_dual_mov_b32 v167, v159 :: v_dual_cndmask_b32 v162, v141, v161
	v_xor_b32_e32 v161, 0x80000000, v158
	v_cndmask_b32_e64 v164, v143, v163, s2
	v_xor_b32_e32 v163, 0x80000000, v160
	s_delay_alu instid0(VALU_DEP_3) | instskip(SKIP_2) | instid1(VALU_DEP_2)
	v_cndmask_b32_e64 v166, v158, v161, s3
	v_cmp_gt_f64_e64 s3, 0, v[159:160]
	v_cndmask_b32_e32 v161, v140, v140, vcc_lo
	v_cndmask_b32_e64 v168, v160, v163, s3
	v_cndmask_b32_e64 v163, v142, v142, s2
	s_delay_alu instid0(VALU_DEP_2) | instskip(NEXT) | instid1(VALU_DEP_2)
	v_add_f64 v[165:166], v[165:166], v[167:168]
	v_add_f64 v[161:162], v[161:162], v[163:164]
	s_delay_alu instid0(VALU_DEP_1) | instskip(SKIP_4) | instid1(SALU_CYCLE_1)
	v_cmp_lt_f64_e32 vcc_lo, v[161:162], v[165:166]
	v_dual_cndmask_b32 v142, v142, v159 :: v_dual_cndmask_b32 v141, v141, v158
	v_dual_cndmask_b32 v140, v140, v157 :: v_dual_cndmask_b32 v143, v143, v160
	v_cndmask_b32_e64 v148, v148, s6, vcc_lo
	s_add_i32 s6, s6, 1
	s_cmp_lg_u32 s5, s6
	s_cbranch_scc1 .LBB68_295
.LBB68_296:
	s_set_inst_prefetch_distance 0x2
	s_waitcnt lgkmcnt(0)
	v_cmp_eq_f64_e32 vcc_lo, 0, v[140:141]
	v_cmp_eq_f64_e64 s2, 0, v[142:143]
	s_delay_alu instid0(VALU_DEP_1) | instskip(NEXT) | instid1(SALU_CYCLE_1)
	s_and_b32 s2, vcc_lo, s2
	s_and_saveexec_b32 s3, s2
	s_delay_alu instid0(SALU_CYCLE_1)
	s_xor_b32 s2, exec_lo, s3
; %bb.297:
	v_cmp_ne_u32_e32 vcc_lo, 0, v153
	v_cndmask_b32_e32 v153, 15, v153, vcc_lo
; %bb.298:
	s_and_not1_saveexec_b32 s3, s2
	s_cbranch_execz .LBB68_304
; %bb.299:
	v_cmp_gt_f64_e32 vcc_lo, 0, v[140:141]
	v_cmp_gt_f64_e64 s2, 0, v[142:143]
	v_xor_b32_e32 v149, 0x80000000, v141
	v_xor_b32_e32 v157, 0x80000000, v143
	s_delay_alu instid0(VALU_DEP_2) | instskip(NEXT) | instid1(VALU_DEP_2)
	v_cndmask_b32_e32 v158, v141, v149, vcc_lo
	v_cndmask_b32_e64 v160, v143, v157, s2
	v_cndmask_b32_e32 v157, v140, v140, vcc_lo
	v_cndmask_b32_e64 v159, v142, v142, s2
	s_mov_b32 s2, exec_lo
	s_delay_alu instid0(VALU_DEP_1)
	v_cmpx_ngt_f64_e32 v[157:158], v[159:160]
	s_xor_b32 s2, exec_lo, s2
	s_cbranch_execz .LBB68_301
; %bb.300:
	v_div_scale_f64 v[157:158], null, v[142:143], v[142:143], v[140:141]
	v_div_scale_f64 v[163:164], vcc_lo, v[140:141], v[142:143], v[140:141]
	s_delay_alu instid0(VALU_DEP_2) | instskip(SKIP_2) | instid1(VALU_DEP_1)
	v_rcp_f64_e32 v[159:160], v[157:158]
	s_waitcnt_depctr 0xfff
	v_fma_f64 v[161:162], -v[157:158], v[159:160], 1.0
	v_fma_f64 v[159:160], v[159:160], v[161:162], v[159:160]
	s_delay_alu instid0(VALU_DEP_1) | instskip(NEXT) | instid1(VALU_DEP_1)
	v_fma_f64 v[161:162], -v[157:158], v[159:160], 1.0
	v_fma_f64 v[159:160], v[159:160], v[161:162], v[159:160]
	s_delay_alu instid0(VALU_DEP_1) | instskip(NEXT) | instid1(VALU_DEP_1)
	v_mul_f64 v[161:162], v[163:164], v[159:160]
	v_fma_f64 v[157:158], -v[157:158], v[161:162], v[163:164]
	s_delay_alu instid0(VALU_DEP_1) | instskip(NEXT) | instid1(VALU_DEP_1)
	v_div_fmas_f64 v[157:158], v[157:158], v[159:160], v[161:162]
	v_div_fixup_f64 v[157:158], v[157:158], v[142:143], v[140:141]
	s_delay_alu instid0(VALU_DEP_1) | instskip(NEXT) | instid1(VALU_DEP_1)
	v_fma_f64 v[140:141], v[140:141], v[157:158], v[142:143]
	v_div_scale_f64 v[142:143], null, v[140:141], v[140:141], 1.0
	s_delay_alu instid0(VALU_DEP_1) | instskip(SKIP_2) | instid1(VALU_DEP_1)
	v_rcp_f64_e32 v[159:160], v[142:143]
	s_waitcnt_depctr 0xfff
	v_fma_f64 v[161:162], -v[142:143], v[159:160], 1.0
	v_fma_f64 v[159:160], v[159:160], v[161:162], v[159:160]
	s_delay_alu instid0(VALU_DEP_1) | instskip(NEXT) | instid1(VALU_DEP_1)
	v_fma_f64 v[161:162], -v[142:143], v[159:160], 1.0
	v_fma_f64 v[159:160], v[159:160], v[161:162], v[159:160]
	v_div_scale_f64 v[161:162], vcc_lo, 1.0, v[140:141], 1.0
	s_delay_alu instid0(VALU_DEP_1) | instskip(NEXT) | instid1(VALU_DEP_1)
	v_mul_f64 v[163:164], v[161:162], v[159:160]
	v_fma_f64 v[142:143], -v[142:143], v[163:164], v[161:162]
	s_delay_alu instid0(VALU_DEP_1) | instskip(NEXT) | instid1(VALU_DEP_1)
	v_div_fmas_f64 v[142:143], v[142:143], v[159:160], v[163:164]
	v_div_fixup_f64 v[142:143], v[142:143], v[140:141], 1.0
	s_delay_alu instid0(VALU_DEP_1)
	v_mul_f64 v[140:141], v[157:158], v[142:143]
	v_xor_b32_e32 v143, 0x80000000, v143
.LBB68_301:
	s_and_not1_saveexec_b32 s2, s2
	s_cbranch_execz .LBB68_303
; %bb.302:
	s_delay_alu instid0(VALU_DEP_1) | instskip(SKIP_1) | instid1(VALU_DEP_2)
	v_div_scale_f64 v[157:158], null, v[140:141], v[140:141], v[142:143]
	v_div_scale_f64 v[163:164], vcc_lo, v[142:143], v[140:141], v[142:143]
	v_rcp_f64_e32 v[159:160], v[157:158]
	s_waitcnt_depctr 0xfff
	v_fma_f64 v[161:162], -v[157:158], v[159:160], 1.0
	s_delay_alu instid0(VALU_DEP_1) | instskip(NEXT) | instid1(VALU_DEP_1)
	v_fma_f64 v[159:160], v[159:160], v[161:162], v[159:160]
	v_fma_f64 v[161:162], -v[157:158], v[159:160], 1.0
	s_delay_alu instid0(VALU_DEP_1) | instskip(NEXT) | instid1(VALU_DEP_1)
	v_fma_f64 v[159:160], v[159:160], v[161:162], v[159:160]
	v_mul_f64 v[161:162], v[163:164], v[159:160]
	s_delay_alu instid0(VALU_DEP_1) | instskip(NEXT) | instid1(VALU_DEP_1)
	v_fma_f64 v[157:158], -v[157:158], v[161:162], v[163:164]
	v_div_fmas_f64 v[157:158], v[157:158], v[159:160], v[161:162]
	s_delay_alu instid0(VALU_DEP_1) | instskip(NEXT) | instid1(VALU_DEP_1)
	v_div_fixup_f64 v[157:158], v[157:158], v[140:141], v[142:143]
	v_fma_f64 v[140:141], v[142:143], v[157:158], v[140:141]
	s_delay_alu instid0(VALU_DEP_1) | instskip(NEXT) | instid1(VALU_DEP_1)
	v_div_scale_f64 v[142:143], null, v[140:141], v[140:141], 1.0
	v_rcp_f64_e32 v[159:160], v[142:143]
	s_waitcnt_depctr 0xfff
	v_fma_f64 v[161:162], -v[142:143], v[159:160], 1.0
	s_delay_alu instid0(VALU_DEP_1) | instskip(NEXT) | instid1(VALU_DEP_1)
	v_fma_f64 v[159:160], v[159:160], v[161:162], v[159:160]
	v_fma_f64 v[161:162], -v[142:143], v[159:160], 1.0
	s_delay_alu instid0(VALU_DEP_1) | instskip(SKIP_1) | instid1(VALU_DEP_1)
	v_fma_f64 v[159:160], v[159:160], v[161:162], v[159:160]
	v_div_scale_f64 v[161:162], vcc_lo, 1.0, v[140:141], 1.0
	v_mul_f64 v[163:164], v[161:162], v[159:160]
	s_delay_alu instid0(VALU_DEP_1) | instskip(NEXT) | instid1(VALU_DEP_1)
	v_fma_f64 v[142:143], -v[142:143], v[163:164], v[161:162]
	v_div_fmas_f64 v[142:143], v[142:143], v[159:160], v[163:164]
	s_delay_alu instid0(VALU_DEP_1) | instskip(NEXT) | instid1(VALU_DEP_1)
	v_div_fixup_f64 v[140:141], v[142:143], v[140:141], 1.0
	v_mul_f64 v[142:143], v[157:158], -v[140:141]
.LBB68_303:
	s_or_b32 exec_lo, exec_lo, s2
.LBB68_304:
	s_delay_alu instid0(SALU_CYCLE_1) | instskip(NEXT) | instid1(SALU_CYCLE_1)
	s_or_b32 exec_lo, exec_lo, s3
	s_mov_b32 s2, exec_lo
	v_cmpx_ne_u32_e64 v156, v148
	s_xor_b32 s2, exec_lo, s2
	s_cbranch_execz .LBB68_310
; %bb.305:
	s_mov_b32 s3, exec_lo
	v_cmpx_eq_u32_e32 14, v156
	s_cbranch_execz .LBB68_309
; %bb.306:
	v_cmp_ne_u32_e32 vcc_lo, 14, v148
	s_xor_b32 s6, s4, -1
	s_delay_alu instid0(SALU_CYCLE_1) | instskip(NEXT) | instid1(SALU_CYCLE_1)
	s_and_b32 s7, s6, vcc_lo
	s_and_saveexec_b32 s6, s7
	s_cbranch_execz .LBB68_308
; %bb.307:
	v_ashrrev_i32_e32 v149, 31, v148
	s_delay_alu instid0(VALU_DEP_1) | instskip(NEXT) | instid1(VALU_DEP_1)
	v_lshlrev_b64 v[156:157], 2, v[148:149]
	v_add_co_u32 v156, vcc_lo, v146, v156
	s_delay_alu instid0(VALU_DEP_2)
	v_add_co_ci_u32_e32 v157, vcc_lo, v147, v157, vcc_lo
	s_clause 0x1
	flat_load_b32 v149, v[156:157]
	flat_load_b32 v154, v[146:147] offset:56
	s_waitcnt vmcnt(1) lgkmcnt(1)
	flat_store_b32 v[146:147], v149 offset:56
	s_waitcnt vmcnt(0) lgkmcnt(1)
	flat_store_b32 v[156:157], v154
.LBB68_308:
	s_or_b32 exec_lo, exec_lo, s6
	v_mov_b32_e32 v156, v148
	v_mov_b32_e32 v154, v148
.LBB68_309:
	s_or_b32 exec_lo, exec_lo, s3
.LBB68_310:
	s_and_not1_saveexec_b32 s2, s2
	s_cbranch_execz .LBB68_312
; %bb.311:
	v_mov_b32_e32 v156, 14
	ds_store_2addr_b64 v150, v[84:85], v[86:87] offset0:30 offset1:31
	ds_store_2addr_b64 v150, v[80:81], v[82:83] offset0:32 offset1:33
	ds_store_2addr_b64 v150, v[76:77], v[78:79] offset0:34 offset1:35
	ds_store_2addr_b64 v150, v[72:73], v[74:75] offset0:36 offset1:37
	ds_store_2addr_b64 v150, v[68:69], v[70:71] offset0:38 offset1:39
	ds_store_2addr_b64 v150, v[64:65], v[66:67] offset0:40 offset1:41
	ds_store_2addr_b64 v150, v[60:61], v[62:63] offset0:42 offset1:43
	ds_store_2addr_b64 v150, v[56:57], v[58:59] offset0:44 offset1:45
	ds_store_2addr_b64 v150, v[44:45], v[46:47] offset0:46 offset1:47
	ds_store_2addr_b64 v150, v[40:41], v[42:43] offset0:48 offset1:49
	ds_store_2addr_b64 v150, v[36:37], v[38:39] offset0:50 offset1:51
	ds_store_2addr_b64 v150, v[32:33], v[34:35] offset0:52 offset1:53
	ds_store_2addr_b64 v150, v[28:29], v[30:31] offset0:54 offset1:55
	ds_store_2addr_b64 v150, v[24:25], v[26:27] offset0:56 offset1:57
	ds_store_2addr_b64 v150, v[20:21], v[22:23] offset0:58 offset1:59
	ds_store_2addr_b64 v150, v[16:17], v[18:19] offset0:60 offset1:61
	ds_store_2addr_b64 v150, v[12:13], v[14:15] offset0:62 offset1:63
	ds_store_2addr_b64 v150, v[8:9], v[10:11] offset0:64 offset1:65
	ds_store_2addr_b64 v150, v[4:5], v[6:7] offset0:66 offset1:67
	ds_store_2addr_b64 v150, v[0:1], v[2:3] offset0:68 offset1:69
.LBB68_312:
	s_or_b32 exec_lo, exec_lo, s2
	s_delay_alu instid0(SALU_CYCLE_1)
	s_mov_b32 s2, exec_lo
	s_waitcnt lgkmcnt(0)
	s_waitcnt_vscnt null, 0x0
	s_barrier
	buffer_gl0_inv
	v_cmpx_lt_i32_e32 14, v156
	s_cbranch_execz .LBB68_314
; %bb.313:
	v_mul_f64 v[148:149], v[142:143], v[90:91]
	v_mul_f64 v[90:91], v[140:141], v[90:91]
	s_delay_alu instid0(VALU_DEP_2) | instskip(NEXT) | instid1(VALU_DEP_2)
	v_fma_f64 v[148:149], v[140:141], v[88:89], -v[148:149]
	v_fma_f64 v[90:91], v[142:143], v[88:89], v[90:91]
	ds_load_2addr_b64 v[140:143], v150 offset0:30 offset1:31
	s_waitcnt lgkmcnt(0)
	v_mul_f64 v[88:89], v[142:143], v[90:91]
	s_delay_alu instid0(VALU_DEP_1) | instskip(SKIP_1) | instid1(VALU_DEP_2)
	v_fma_f64 v[88:89], v[140:141], v[148:149], -v[88:89]
	v_mul_f64 v[140:141], v[140:141], v[90:91]
	v_add_f64 v[84:85], v[84:85], -v[88:89]
	s_delay_alu instid0(VALU_DEP_2) | instskip(NEXT) | instid1(VALU_DEP_1)
	v_fma_f64 v[140:141], v[142:143], v[148:149], v[140:141]
	v_add_f64 v[86:87], v[86:87], -v[140:141]
	ds_load_2addr_b64 v[140:143], v150 offset0:32 offset1:33
	s_waitcnt lgkmcnt(0)
	v_mul_f64 v[88:89], v[142:143], v[90:91]
	s_delay_alu instid0(VALU_DEP_1) | instskip(SKIP_1) | instid1(VALU_DEP_2)
	v_fma_f64 v[88:89], v[140:141], v[148:149], -v[88:89]
	v_mul_f64 v[140:141], v[140:141], v[90:91]
	v_add_f64 v[80:81], v[80:81], -v[88:89]
	s_delay_alu instid0(VALU_DEP_2) | instskip(NEXT) | instid1(VALU_DEP_1)
	v_fma_f64 v[140:141], v[142:143], v[148:149], v[140:141]
	v_add_f64 v[82:83], v[82:83], -v[140:141]
	;; [unrolled: 10-line block ×19, first 2 shown]
	ds_load_2addr_b64 v[140:143], v150 offset0:68 offset1:69
	s_waitcnt lgkmcnt(0)
	v_mul_f64 v[88:89], v[142:143], v[90:91]
	s_delay_alu instid0(VALU_DEP_1) | instskip(SKIP_1) | instid1(VALU_DEP_2)
	v_fma_f64 v[88:89], v[140:141], v[148:149], -v[88:89]
	v_mul_f64 v[140:141], v[140:141], v[90:91]
	v_add_f64 v[0:1], v[0:1], -v[88:89]
	s_delay_alu instid0(VALU_DEP_2) | instskip(SKIP_1) | instid1(VALU_DEP_2)
	v_fma_f64 v[140:141], v[142:143], v[148:149], v[140:141]
	v_dual_mov_b32 v88, v148 :: v_dual_mov_b32 v89, v149
	v_add_f64 v[2:3], v[2:3], -v[140:141]
.LBB68_314:
	s_or_b32 exec_lo, exec_lo, s2
	v_lshl_add_u32 v140, v156, 4, v150
	s_barrier
	buffer_gl0_inv
	v_mov_b32_e32 v148, 15
	ds_store_2addr_b64 v140, v[84:85], v[86:87] offset1:1
	s_waitcnt lgkmcnt(0)
	s_barrier
	buffer_gl0_inv
	ds_load_2addr_b64 v[140:143], v150 offset0:30 offset1:31
	s_cmp_lt_i32 s5, 17
	s_cbranch_scc1 .LBB68_317
; %bb.315:
	v_add3_u32 v149, v155, 0, 0x100
	v_mov_b32_e32 v148, 15
	s_mov_b32 s6, 16
	s_set_inst_prefetch_distance 0x1
	.p2align	6
.LBB68_316:                             ; =>This Inner Loop Header: Depth=1
	ds_load_2addr_b64 v[157:160], v149 offset1:1
	s_waitcnt lgkmcnt(1)
	v_cmp_gt_f64_e32 vcc_lo, 0, v[140:141]
	v_xor_b32_e32 v161, 0x80000000, v141
	v_cmp_gt_f64_e64 s2, 0, v[142:143]
	v_xor_b32_e32 v163, 0x80000000, v143
	v_add_nc_u32_e32 v149, 16, v149
	s_waitcnt lgkmcnt(0)
	v_cmp_gt_f64_e64 s3, 0, v[157:158]
	v_mov_b32_e32 v165, v157
	v_dual_mov_b32 v167, v159 :: v_dual_cndmask_b32 v162, v141, v161
	v_xor_b32_e32 v161, 0x80000000, v158
	v_cndmask_b32_e64 v164, v143, v163, s2
	v_xor_b32_e32 v163, 0x80000000, v160
	s_delay_alu instid0(VALU_DEP_3) | instskip(SKIP_2) | instid1(VALU_DEP_2)
	v_cndmask_b32_e64 v166, v158, v161, s3
	v_cmp_gt_f64_e64 s3, 0, v[159:160]
	v_cndmask_b32_e32 v161, v140, v140, vcc_lo
	v_cndmask_b32_e64 v168, v160, v163, s3
	v_cndmask_b32_e64 v163, v142, v142, s2
	s_delay_alu instid0(VALU_DEP_2) | instskip(NEXT) | instid1(VALU_DEP_2)
	v_add_f64 v[165:166], v[165:166], v[167:168]
	v_add_f64 v[161:162], v[161:162], v[163:164]
	s_delay_alu instid0(VALU_DEP_1) | instskip(SKIP_4) | instid1(SALU_CYCLE_1)
	v_cmp_lt_f64_e32 vcc_lo, v[161:162], v[165:166]
	v_dual_cndmask_b32 v142, v142, v159 :: v_dual_cndmask_b32 v141, v141, v158
	v_dual_cndmask_b32 v140, v140, v157 :: v_dual_cndmask_b32 v143, v143, v160
	v_cndmask_b32_e64 v148, v148, s6, vcc_lo
	s_add_i32 s6, s6, 1
	s_cmp_lg_u32 s5, s6
	s_cbranch_scc1 .LBB68_316
.LBB68_317:
	s_set_inst_prefetch_distance 0x2
	s_waitcnt lgkmcnt(0)
	v_cmp_eq_f64_e32 vcc_lo, 0, v[140:141]
	v_cmp_eq_f64_e64 s2, 0, v[142:143]
	s_delay_alu instid0(VALU_DEP_1) | instskip(NEXT) | instid1(SALU_CYCLE_1)
	s_and_b32 s2, vcc_lo, s2
	s_and_saveexec_b32 s3, s2
	s_delay_alu instid0(SALU_CYCLE_1)
	s_xor_b32 s2, exec_lo, s3
; %bb.318:
	v_cmp_ne_u32_e32 vcc_lo, 0, v153
	v_cndmask_b32_e32 v153, 16, v153, vcc_lo
; %bb.319:
	s_and_not1_saveexec_b32 s3, s2
	s_cbranch_execz .LBB68_325
; %bb.320:
	v_cmp_gt_f64_e32 vcc_lo, 0, v[140:141]
	v_cmp_gt_f64_e64 s2, 0, v[142:143]
	v_xor_b32_e32 v149, 0x80000000, v141
	v_xor_b32_e32 v157, 0x80000000, v143
	s_delay_alu instid0(VALU_DEP_2) | instskip(NEXT) | instid1(VALU_DEP_2)
	v_cndmask_b32_e32 v158, v141, v149, vcc_lo
	v_cndmask_b32_e64 v160, v143, v157, s2
	v_cndmask_b32_e32 v157, v140, v140, vcc_lo
	v_cndmask_b32_e64 v159, v142, v142, s2
	s_mov_b32 s2, exec_lo
	s_delay_alu instid0(VALU_DEP_1)
	v_cmpx_ngt_f64_e32 v[157:158], v[159:160]
	s_xor_b32 s2, exec_lo, s2
	s_cbranch_execz .LBB68_322
; %bb.321:
	v_div_scale_f64 v[157:158], null, v[142:143], v[142:143], v[140:141]
	v_div_scale_f64 v[163:164], vcc_lo, v[140:141], v[142:143], v[140:141]
	s_delay_alu instid0(VALU_DEP_2) | instskip(SKIP_2) | instid1(VALU_DEP_1)
	v_rcp_f64_e32 v[159:160], v[157:158]
	s_waitcnt_depctr 0xfff
	v_fma_f64 v[161:162], -v[157:158], v[159:160], 1.0
	v_fma_f64 v[159:160], v[159:160], v[161:162], v[159:160]
	s_delay_alu instid0(VALU_DEP_1) | instskip(NEXT) | instid1(VALU_DEP_1)
	v_fma_f64 v[161:162], -v[157:158], v[159:160], 1.0
	v_fma_f64 v[159:160], v[159:160], v[161:162], v[159:160]
	s_delay_alu instid0(VALU_DEP_1) | instskip(NEXT) | instid1(VALU_DEP_1)
	v_mul_f64 v[161:162], v[163:164], v[159:160]
	v_fma_f64 v[157:158], -v[157:158], v[161:162], v[163:164]
	s_delay_alu instid0(VALU_DEP_1) | instskip(NEXT) | instid1(VALU_DEP_1)
	v_div_fmas_f64 v[157:158], v[157:158], v[159:160], v[161:162]
	v_div_fixup_f64 v[157:158], v[157:158], v[142:143], v[140:141]
	s_delay_alu instid0(VALU_DEP_1) | instskip(NEXT) | instid1(VALU_DEP_1)
	v_fma_f64 v[140:141], v[140:141], v[157:158], v[142:143]
	v_div_scale_f64 v[142:143], null, v[140:141], v[140:141], 1.0
	s_delay_alu instid0(VALU_DEP_1) | instskip(SKIP_2) | instid1(VALU_DEP_1)
	v_rcp_f64_e32 v[159:160], v[142:143]
	s_waitcnt_depctr 0xfff
	v_fma_f64 v[161:162], -v[142:143], v[159:160], 1.0
	v_fma_f64 v[159:160], v[159:160], v[161:162], v[159:160]
	s_delay_alu instid0(VALU_DEP_1) | instskip(NEXT) | instid1(VALU_DEP_1)
	v_fma_f64 v[161:162], -v[142:143], v[159:160], 1.0
	v_fma_f64 v[159:160], v[159:160], v[161:162], v[159:160]
	v_div_scale_f64 v[161:162], vcc_lo, 1.0, v[140:141], 1.0
	s_delay_alu instid0(VALU_DEP_1) | instskip(NEXT) | instid1(VALU_DEP_1)
	v_mul_f64 v[163:164], v[161:162], v[159:160]
	v_fma_f64 v[142:143], -v[142:143], v[163:164], v[161:162]
	s_delay_alu instid0(VALU_DEP_1) | instskip(NEXT) | instid1(VALU_DEP_1)
	v_div_fmas_f64 v[142:143], v[142:143], v[159:160], v[163:164]
	v_div_fixup_f64 v[142:143], v[142:143], v[140:141], 1.0
	s_delay_alu instid0(VALU_DEP_1)
	v_mul_f64 v[140:141], v[157:158], v[142:143]
	v_xor_b32_e32 v143, 0x80000000, v143
.LBB68_322:
	s_and_not1_saveexec_b32 s2, s2
	s_cbranch_execz .LBB68_324
; %bb.323:
	s_delay_alu instid0(VALU_DEP_1) | instskip(SKIP_1) | instid1(VALU_DEP_2)
	v_div_scale_f64 v[157:158], null, v[140:141], v[140:141], v[142:143]
	v_div_scale_f64 v[163:164], vcc_lo, v[142:143], v[140:141], v[142:143]
	v_rcp_f64_e32 v[159:160], v[157:158]
	s_waitcnt_depctr 0xfff
	v_fma_f64 v[161:162], -v[157:158], v[159:160], 1.0
	s_delay_alu instid0(VALU_DEP_1) | instskip(NEXT) | instid1(VALU_DEP_1)
	v_fma_f64 v[159:160], v[159:160], v[161:162], v[159:160]
	v_fma_f64 v[161:162], -v[157:158], v[159:160], 1.0
	s_delay_alu instid0(VALU_DEP_1) | instskip(NEXT) | instid1(VALU_DEP_1)
	v_fma_f64 v[159:160], v[159:160], v[161:162], v[159:160]
	v_mul_f64 v[161:162], v[163:164], v[159:160]
	s_delay_alu instid0(VALU_DEP_1) | instskip(NEXT) | instid1(VALU_DEP_1)
	v_fma_f64 v[157:158], -v[157:158], v[161:162], v[163:164]
	v_div_fmas_f64 v[157:158], v[157:158], v[159:160], v[161:162]
	s_delay_alu instid0(VALU_DEP_1) | instskip(NEXT) | instid1(VALU_DEP_1)
	v_div_fixup_f64 v[157:158], v[157:158], v[140:141], v[142:143]
	v_fma_f64 v[140:141], v[142:143], v[157:158], v[140:141]
	s_delay_alu instid0(VALU_DEP_1) | instskip(NEXT) | instid1(VALU_DEP_1)
	v_div_scale_f64 v[142:143], null, v[140:141], v[140:141], 1.0
	v_rcp_f64_e32 v[159:160], v[142:143]
	s_waitcnt_depctr 0xfff
	v_fma_f64 v[161:162], -v[142:143], v[159:160], 1.0
	s_delay_alu instid0(VALU_DEP_1) | instskip(NEXT) | instid1(VALU_DEP_1)
	v_fma_f64 v[159:160], v[159:160], v[161:162], v[159:160]
	v_fma_f64 v[161:162], -v[142:143], v[159:160], 1.0
	s_delay_alu instid0(VALU_DEP_1) | instskip(SKIP_1) | instid1(VALU_DEP_1)
	v_fma_f64 v[159:160], v[159:160], v[161:162], v[159:160]
	v_div_scale_f64 v[161:162], vcc_lo, 1.0, v[140:141], 1.0
	v_mul_f64 v[163:164], v[161:162], v[159:160]
	s_delay_alu instid0(VALU_DEP_1) | instskip(NEXT) | instid1(VALU_DEP_1)
	v_fma_f64 v[142:143], -v[142:143], v[163:164], v[161:162]
	v_div_fmas_f64 v[142:143], v[142:143], v[159:160], v[163:164]
	s_delay_alu instid0(VALU_DEP_1) | instskip(NEXT) | instid1(VALU_DEP_1)
	v_div_fixup_f64 v[140:141], v[142:143], v[140:141], 1.0
	v_mul_f64 v[142:143], v[157:158], -v[140:141]
.LBB68_324:
	s_or_b32 exec_lo, exec_lo, s2
.LBB68_325:
	s_delay_alu instid0(SALU_CYCLE_1) | instskip(NEXT) | instid1(SALU_CYCLE_1)
	s_or_b32 exec_lo, exec_lo, s3
	s_mov_b32 s2, exec_lo
	v_cmpx_ne_u32_e64 v156, v148
	s_xor_b32 s2, exec_lo, s2
	s_cbranch_execz .LBB68_331
; %bb.326:
	s_mov_b32 s3, exec_lo
	v_cmpx_eq_u32_e32 15, v156
	s_cbranch_execz .LBB68_330
; %bb.327:
	v_cmp_ne_u32_e32 vcc_lo, 15, v148
	s_xor_b32 s6, s4, -1
	s_delay_alu instid0(SALU_CYCLE_1) | instskip(NEXT) | instid1(SALU_CYCLE_1)
	s_and_b32 s7, s6, vcc_lo
	s_and_saveexec_b32 s6, s7
	s_cbranch_execz .LBB68_329
; %bb.328:
	v_ashrrev_i32_e32 v149, 31, v148
	s_delay_alu instid0(VALU_DEP_1) | instskip(NEXT) | instid1(VALU_DEP_1)
	v_lshlrev_b64 v[156:157], 2, v[148:149]
	v_add_co_u32 v156, vcc_lo, v146, v156
	s_delay_alu instid0(VALU_DEP_2)
	v_add_co_ci_u32_e32 v157, vcc_lo, v147, v157, vcc_lo
	s_clause 0x1
	flat_load_b32 v149, v[156:157]
	flat_load_b32 v154, v[146:147] offset:60
	s_waitcnt vmcnt(1) lgkmcnt(1)
	flat_store_b32 v[146:147], v149 offset:60
	s_waitcnt vmcnt(0) lgkmcnt(1)
	flat_store_b32 v[156:157], v154
.LBB68_329:
	s_or_b32 exec_lo, exec_lo, s6
	v_mov_b32_e32 v156, v148
	v_mov_b32_e32 v154, v148
.LBB68_330:
	s_or_b32 exec_lo, exec_lo, s3
.LBB68_331:
	s_and_not1_saveexec_b32 s2, s2
	s_cbranch_execz .LBB68_333
; %bb.332:
	v_mov_b32_e32 v156, 15
	ds_store_2addr_b64 v150, v[80:81], v[82:83] offset0:32 offset1:33
	ds_store_2addr_b64 v150, v[76:77], v[78:79] offset0:34 offset1:35
	;; [unrolled: 1-line block ×19, first 2 shown]
.LBB68_333:
	s_or_b32 exec_lo, exec_lo, s2
	s_delay_alu instid0(SALU_CYCLE_1)
	s_mov_b32 s2, exec_lo
	s_waitcnt lgkmcnt(0)
	s_waitcnt_vscnt null, 0x0
	s_barrier
	buffer_gl0_inv
	v_cmpx_lt_i32_e32 15, v156
	s_cbranch_execz .LBB68_335
; %bb.334:
	v_mul_f64 v[148:149], v[142:143], v[86:87]
	v_mul_f64 v[86:87], v[140:141], v[86:87]
	s_delay_alu instid0(VALU_DEP_2) | instskip(NEXT) | instid1(VALU_DEP_2)
	v_fma_f64 v[148:149], v[140:141], v[84:85], -v[148:149]
	v_fma_f64 v[86:87], v[142:143], v[84:85], v[86:87]
	ds_load_2addr_b64 v[140:143], v150 offset0:32 offset1:33
	s_waitcnt lgkmcnt(0)
	v_mul_f64 v[84:85], v[142:143], v[86:87]
	s_delay_alu instid0(VALU_DEP_1) | instskip(SKIP_1) | instid1(VALU_DEP_2)
	v_fma_f64 v[84:85], v[140:141], v[148:149], -v[84:85]
	v_mul_f64 v[140:141], v[140:141], v[86:87]
	v_add_f64 v[80:81], v[80:81], -v[84:85]
	s_delay_alu instid0(VALU_DEP_2) | instskip(NEXT) | instid1(VALU_DEP_1)
	v_fma_f64 v[140:141], v[142:143], v[148:149], v[140:141]
	v_add_f64 v[82:83], v[82:83], -v[140:141]
	ds_load_2addr_b64 v[140:143], v150 offset0:34 offset1:35
	s_waitcnt lgkmcnt(0)
	v_mul_f64 v[84:85], v[142:143], v[86:87]
	s_delay_alu instid0(VALU_DEP_1) | instskip(SKIP_1) | instid1(VALU_DEP_2)
	v_fma_f64 v[84:85], v[140:141], v[148:149], -v[84:85]
	v_mul_f64 v[140:141], v[140:141], v[86:87]
	v_add_f64 v[76:77], v[76:77], -v[84:85]
	s_delay_alu instid0(VALU_DEP_2) | instskip(NEXT) | instid1(VALU_DEP_1)
	v_fma_f64 v[140:141], v[142:143], v[148:149], v[140:141]
	v_add_f64 v[78:79], v[78:79], -v[140:141]
	;; [unrolled: 10-line block ×18, first 2 shown]
	ds_load_2addr_b64 v[140:143], v150 offset0:68 offset1:69
	s_waitcnt lgkmcnt(0)
	v_mul_f64 v[84:85], v[142:143], v[86:87]
	s_delay_alu instid0(VALU_DEP_1) | instskip(SKIP_1) | instid1(VALU_DEP_2)
	v_fma_f64 v[84:85], v[140:141], v[148:149], -v[84:85]
	v_mul_f64 v[140:141], v[140:141], v[86:87]
	v_add_f64 v[0:1], v[0:1], -v[84:85]
	s_delay_alu instid0(VALU_DEP_2) | instskip(SKIP_1) | instid1(VALU_DEP_2)
	v_fma_f64 v[140:141], v[142:143], v[148:149], v[140:141]
	v_dual_mov_b32 v84, v148 :: v_dual_mov_b32 v85, v149
	v_add_f64 v[2:3], v[2:3], -v[140:141]
.LBB68_335:
	s_or_b32 exec_lo, exec_lo, s2
	v_lshl_add_u32 v140, v156, 4, v150
	s_barrier
	buffer_gl0_inv
	v_mov_b32_e32 v148, 16
	ds_store_2addr_b64 v140, v[80:81], v[82:83] offset1:1
	s_waitcnt lgkmcnt(0)
	s_barrier
	buffer_gl0_inv
	ds_load_2addr_b64 v[140:143], v150 offset0:32 offset1:33
	s_cmp_lt_i32 s5, 18
	s_cbranch_scc1 .LBB68_338
; %bb.336:
	v_add3_u32 v149, v155, 0, 0x110
	v_mov_b32_e32 v148, 16
	s_mov_b32 s6, 17
	s_set_inst_prefetch_distance 0x1
	.p2align	6
.LBB68_337:                             ; =>This Inner Loop Header: Depth=1
	ds_load_2addr_b64 v[157:160], v149 offset1:1
	s_waitcnt lgkmcnt(1)
	v_cmp_gt_f64_e32 vcc_lo, 0, v[140:141]
	v_xor_b32_e32 v161, 0x80000000, v141
	v_cmp_gt_f64_e64 s2, 0, v[142:143]
	v_xor_b32_e32 v163, 0x80000000, v143
	v_add_nc_u32_e32 v149, 16, v149
	s_waitcnt lgkmcnt(0)
	v_cmp_gt_f64_e64 s3, 0, v[157:158]
	v_mov_b32_e32 v165, v157
	v_dual_mov_b32 v167, v159 :: v_dual_cndmask_b32 v162, v141, v161
	v_xor_b32_e32 v161, 0x80000000, v158
	v_cndmask_b32_e64 v164, v143, v163, s2
	v_xor_b32_e32 v163, 0x80000000, v160
	s_delay_alu instid0(VALU_DEP_3) | instskip(SKIP_2) | instid1(VALU_DEP_2)
	v_cndmask_b32_e64 v166, v158, v161, s3
	v_cmp_gt_f64_e64 s3, 0, v[159:160]
	v_cndmask_b32_e32 v161, v140, v140, vcc_lo
	v_cndmask_b32_e64 v168, v160, v163, s3
	v_cndmask_b32_e64 v163, v142, v142, s2
	s_delay_alu instid0(VALU_DEP_2) | instskip(NEXT) | instid1(VALU_DEP_2)
	v_add_f64 v[165:166], v[165:166], v[167:168]
	v_add_f64 v[161:162], v[161:162], v[163:164]
	s_delay_alu instid0(VALU_DEP_1) | instskip(SKIP_4) | instid1(SALU_CYCLE_1)
	v_cmp_lt_f64_e32 vcc_lo, v[161:162], v[165:166]
	v_dual_cndmask_b32 v142, v142, v159 :: v_dual_cndmask_b32 v141, v141, v158
	v_dual_cndmask_b32 v140, v140, v157 :: v_dual_cndmask_b32 v143, v143, v160
	v_cndmask_b32_e64 v148, v148, s6, vcc_lo
	s_add_i32 s6, s6, 1
	s_cmp_lg_u32 s5, s6
	s_cbranch_scc1 .LBB68_337
.LBB68_338:
	s_set_inst_prefetch_distance 0x2
	s_waitcnt lgkmcnt(0)
	v_cmp_eq_f64_e32 vcc_lo, 0, v[140:141]
	v_cmp_eq_f64_e64 s2, 0, v[142:143]
	s_delay_alu instid0(VALU_DEP_1) | instskip(NEXT) | instid1(SALU_CYCLE_1)
	s_and_b32 s2, vcc_lo, s2
	s_and_saveexec_b32 s3, s2
	s_delay_alu instid0(SALU_CYCLE_1)
	s_xor_b32 s2, exec_lo, s3
; %bb.339:
	v_cmp_ne_u32_e32 vcc_lo, 0, v153
	v_cndmask_b32_e32 v153, 17, v153, vcc_lo
; %bb.340:
	s_and_not1_saveexec_b32 s3, s2
	s_cbranch_execz .LBB68_346
; %bb.341:
	v_cmp_gt_f64_e32 vcc_lo, 0, v[140:141]
	v_cmp_gt_f64_e64 s2, 0, v[142:143]
	v_xor_b32_e32 v149, 0x80000000, v141
	v_xor_b32_e32 v157, 0x80000000, v143
	s_delay_alu instid0(VALU_DEP_2) | instskip(NEXT) | instid1(VALU_DEP_2)
	v_cndmask_b32_e32 v158, v141, v149, vcc_lo
	v_cndmask_b32_e64 v160, v143, v157, s2
	v_cndmask_b32_e32 v157, v140, v140, vcc_lo
	v_cndmask_b32_e64 v159, v142, v142, s2
	s_mov_b32 s2, exec_lo
	s_delay_alu instid0(VALU_DEP_1)
	v_cmpx_ngt_f64_e32 v[157:158], v[159:160]
	s_xor_b32 s2, exec_lo, s2
	s_cbranch_execz .LBB68_343
; %bb.342:
	v_div_scale_f64 v[157:158], null, v[142:143], v[142:143], v[140:141]
	v_div_scale_f64 v[163:164], vcc_lo, v[140:141], v[142:143], v[140:141]
	s_delay_alu instid0(VALU_DEP_2) | instskip(SKIP_2) | instid1(VALU_DEP_1)
	v_rcp_f64_e32 v[159:160], v[157:158]
	s_waitcnt_depctr 0xfff
	v_fma_f64 v[161:162], -v[157:158], v[159:160], 1.0
	v_fma_f64 v[159:160], v[159:160], v[161:162], v[159:160]
	s_delay_alu instid0(VALU_DEP_1) | instskip(NEXT) | instid1(VALU_DEP_1)
	v_fma_f64 v[161:162], -v[157:158], v[159:160], 1.0
	v_fma_f64 v[159:160], v[159:160], v[161:162], v[159:160]
	s_delay_alu instid0(VALU_DEP_1) | instskip(NEXT) | instid1(VALU_DEP_1)
	v_mul_f64 v[161:162], v[163:164], v[159:160]
	v_fma_f64 v[157:158], -v[157:158], v[161:162], v[163:164]
	s_delay_alu instid0(VALU_DEP_1) | instskip(NEXT) | instid1(VALU_DEP_1)
	v_div_fmas_f64 v[157:158], v[157:158], v[159:160], v[161:162]
	v_div_fixup_f64 v[157:158], v[157:158], v[142:143], v[140:141]
	s_delay_alu instid0(VALU_DEP_1) | instskip(NEXT) | instid1(VALU_DEP_1)
	v_fma_f64 v[140:141], v[140:141], v[157:158], v[142:143]
	v_div_scale_f64 v[142:143], null, v[140:141], v[140:141], 1.0
	s_delay_alu instid0(VALU_DEP_1) | instskip(SKIP_2) | instid1(VALU_DEP_1)
	v_rcp_f64_e32 v[159:160], v[142:143]
	s_waitcnt_depctr 0xfff
	v_fma_f64 v[161:162], -v[142:143], v[159:160], 1.0
	v_fma_f64 v[159:160], v[159:160], v[161:162], v[159:160]
	s_delay_alu instid0(VALU_DEP_1) | instskip(NEXT) | instid1(VALU_DEP_1)
	v_fma_f64 v[161:162], -v[142:143], v[159:160], 1.0
	v_fma_f64 v[159:160], v[159:160], v[161:162], v[159:160]
	v_div_scale_f64 v[161:162], vcc_lo, 1.0, v[140:141], 1.0
	s_delay_alu instid0(VALU_DEP_1) | instskip(NEXT) | instid1(VALU_DEP_1)
	v_mul_f64 v[163:164], v[161:162], v[159:160]
	v_fma_f64 v[142:143], -v[142:143], v[163:164], v[161:162]
	s_delay_alu instid0(VALU_DEP_1) | instskip(NEXT) | instid1(VALU_DEP_1)
	v_div_fmas_f64 v[142:143], v[142:143], v[159:160], v[163:164]
	v_div_fixup_f64 v[142:143], v[142:143], v[140:141], 1.0
	s_delay_alu instid0(VALU_DEP_1)
	v_mul_f64 v[140:141], v[157:158], v[142:143]
	v_xor_b32_e32 v143, 0x80000000, v143
.LBB68_343:
	s_and_not1_saveexec_b32 s2, s2
	s_cbranch_execz .LBB68_345
; %bb.344:
	s_delay_alu instid0(VALU_DEP_1) | instskip(SKIP_1) | instid1(VALU_DEP_2)
	v_div_scale_f64 v[157:158], null, v[140:141], v[140:141], v[142:143]
	v_div_scale_f64 v[163:164], vcc_lo, v[142:143], v[140:141], v[142:143]
	v_rcp_f64_e32 v[159:160], v[157:158]
	s_waitcnt_depctr 0xfff
	v_fma_f64 v[161:162], -v[157:158], v[159:160], 1.0
	s_delay_alu instid0(VALU_DEP_1) | instskip(NEXT) | instid1(VALU_DEP_1)
	v_fma_f64 v[159:160], v[159:160], v[161:162], v[159:160]
	v_fma_f64 v[161:162], -v[157:158], v[159:160], 1.0
	s_delay_alu instid0(VALU_DEP_1) | instskip(NEXT) | instid1(VALU_DEP_1)
	v_fma_f64 v[159:160], v[159:160], v[161:162], v[159:160]
	v_mul_f64 v[161:162], v[163:164], v[159:160]
	s_delay_alu instid0(VALU_DEP_1) | instskip(NEXT) | instid1(VALU_DEP_1)
	v_fma_f64 v[157:158], -v[157:158], v[161:162], v[163:164]
	v_div_fmas_f64 v[157:158], v[157:158], v[159:160], v[161:162]
	s_delay_alu instid0(VALU_DEP_1) | instskip(NEXT) | instid1(VALU_DEP_1)
	v_div_fixup_f64 v[157:158], v[157:158], v[140:141], v[142:143]
	v_fma_f64 v[140:141], v[142:143], v[157:158], v[140:141]
	s_delay_alu instid0(VALU_DEP_1) | instskip(NEXT) | instid1(VALU_DEP_1)
	v_div_scale_f64 v[142:143], null, v[140:141], v[140:141], 1.0
	v_rcp_f64_e32 v[159:160], v[142:143]
	s_waitcnt_depctr 0xfff
	v_fma_f64 v[161:162], -v[142:143], v[159:160], 1.0
	s_delay_alu instid0(VALU_DEP_1) | instskip(NEXT) | instid1(VALU_DEP_1)
	v_fma_f64 v[159:160], v[159:160], v[161:162], v[159:160]
	v_fma_f64 v[161:162], -v[142:143], v[159:160], 1.0
	s_delay_alu instid0(VALU_DEP_1) | instskip(SKIP_1) | instid1(VALU_DEP_1)
	v_fma_f64 v[159:160], v[159:160], v[161:162], v[159:160]
	v_div_scale_f64 v[161:162], vcc_lo, 1.0, v[140:141], 1.0
	v_mul_f64 v[163:164], v[161:162], v[159:160]
	s_delay_alu instid0(VALU_DEP_1) | instskip(NEXT) | instid1(VALU_DEP_1)
	v_fma_f64 v[142:143], -v[142:143], v[163:164], v[161:162]
	v_div_fmas_f64 v[142:143], v[142:143], v[159:160], v[163:164]
	s_delay_alu instid0(VALU_DEP_1) | instskip(NEXT) | instid1(VALU_DEP_1)
	v_div_fixup_f64 v[140:141], v[142:143], v[140:141], 1.0
	v_mul_f64 v[142:143], v[157:158], -v[140:141]
.LBB68_345:
	s_or_b32 exec_lo, exec_lo, s2
.LBB68_346:
	s_delay_alu instid0(SALU_CYCLE_1) | instskip(NEXT) | instid1(SALU_CYCLE_1)
	s_or_b32 exec_lo, exec_lo, s3
	s_mov_b32 s2, exec_lo
	v_cmpx_ne_u32_e64 v156, v148
	s_xor_b32 s2, exec_lo, s2
	s_cbranch_execz .LBB68_352
; %bb.347:
	s_mov_b32 s3, exec_lo
	v_cmpx_eq_u32_e32 16, v156
	s_cbranch_execz .LBB68_351
; %bb.348:
	v_cmp_ne_u32_e32 vcc_lo, 16, v148
	s_xor_b32 s6, s4, -1
	s_delay_alu instid0(SALU_CYCLE_1) | instskip(NEXT) | instid1(SALU_CYCLE_1)
	s_and_b32 s7, s6, vcc_lo
	s_and_saveexec_b32 s6, s7
	s_cbranch_execz .LBB68_350
; %bb.349:
	v_ashrrev_i32_e32 v149, 31, v148
	s_delay_alu instid0(VALU_DEP_1) | instskip(NEXT) | instid1(VALU_DEP_1)
	v_lshlrev_b64 v[156:157], 2, v[148:149]
	v_add_co_u32 v156, vcc_lo, v146, v156
	s_delay_alu instid0(VALU_DEP_2)
	v_add_co_ci_u32_e32 v157, vcc_lo, v147, v157, vcc_lo
	s_clause 0x1
	flat_load_b32 v149, v[156:157]
	flat_load_b32 v154, v[146:147] offset:64
	s_waitcnt vmcnt(1) lgkmcnt(1)
	flat_store_b32 v[146:147], v149 offset:64
	s_waitcnt vmcnt(0) lgkmcnt(1)
	flat_store_b32 v[156:157], v154
.LBB68_350:
	s_or_b32 exec_lo, exec_lo, s6
	v_mov_b32_e32 v156, v148
	v_mov_b32_e32 v154, v148
.LBB68_351:
	s_or_b32 exec_lo, exec_lo, s3
.LBB68_352:
	s_and_not1_saveexec_b32 s2, s2
	s_cbranch_execz .LBB68_354
; %bb.353:
	v_mov_b32_e32 v156, 16
	ds_store_2addr_b64 v150, v[76:77], v[78:79] offset0:34 offset1:35
	ds_store_2addr_b64 v150, v[72:73], v[74:75] offset0:36 offset1:37
	;; [unrolled: 1-line block ×18, first 2 shown]
.LBB68_354:
	s_or_b32 exec_lo, exec_lo, s2
	s_delay_alu instid0(SALU_CYCLE_1)
	s_mov_b32 s2, exec_lo
	s_waitcnt lgkmcnt(0)
	s_waitcnt_vscnt null, 0x0
	s_barrier
	buffer_gl0_inv
	v_cmpx_lt_i32_e32 16, v156
	s_cbranch_execz .LBB68_356
; %bb.355:
	v_mul_f64 v[148:149], v[142:143], v[82:83]
	v_mul_f64 v[82:83], v[140:141], v[82:83]
	s_delay_alu instid0(VALU_DEP_2) | instskip(NEXT) | instid1(VALU_DEP_2)
	v_fma_f64 v[148:149], v[140:141], v[80:81], -v[148:149]
	v_fma_f64 v[82:83], v[142:143], v[80:81], v[82:83]
	ds_load_2addr_b64 v[140:143], v150 offset0:34 offset1:35
	s_waitcnt lgkmcnt(0)
	v_mul_f64 v[80:81], v[142:143], v[82:83]
	s_delay_alu instid0(VALU_DEP_1) | instskip(SKIP_1) | instid1(VALU_DEP_2)
	v_fma_f64 v[80:81], v[140:141], v[148:149], -v[80:81]
	v_mul_f64 v[140:141], v[140:141], v[82:83]
	v_add_f64 v[76:77], v[76:77], -v[80:81]
	s_delay_alu instid0(VALU_DEP_2) | instskip(NEXT) | instid1(VALU_DEP_1)
	v_fma_f64 v[140:141], v[142:143], v[148:149], v[140:141]
	v_add_f64 v[78:79], v[78:79], -v[140:141]
	ds_load_2addr_b64 v[140:143], v150 offset0:36 offset1:37
	s_waitcnt lgkmcnt(0)
	v_mul_f64 v[80:81], v[142:143], v[82:83]
	s_delay_alu instid0(VALU_DEP_1) | instskip(SKIP_1) | instid1(VALU_DEP_2)
	v_fma_f64 v[80:81], v[140:141], v[148:149], -v[80:81]
	v_mul_f64 v[140:141], v[140:141], v[82:83]
	v_add_f64 v[72:73], v[72:73], -v[80:81]
	s_delay_alu instid0(VALU_DEP_2) | instskip(NEXT) | instid1(VALU_DEP_1)
	v_fma_f64 v[140:141], v[142:143], v[148:149], v[140:141]
	v_add_f64 v[74:75], v[74:75], -v[140:141]
	;; [unrolled: 10-line block ×17, first 2 shown]
	ds_load_2addr_b64 v[140:143], v150 offset0:68 offset1:69
	s_waitcnt lgkmcnt(0)
	v_mul_f64 v[80:81], v[142:143], v[82:83]
	s_delay_alu instid0(VALU_DEP_1) | instskip(SKIP_1) | instid1(VALU_DEP_2)
	v_fma_f64 v[80:81], v[140:141], v[148:149], -v[80:81]
	v_mul_f64 v[140:141], v[140:141], v[82:83]
	v_add_f64 v[0:1], v[0:1], -v[80:81]
	s_delay_alu instid0(VALU_DEP_2) | instskip(SKIP_1) | instid1(VALU_DEP_2)
	v_fma_f64 v[140:141], v[142:143], v[148:149], v[140:141]
	v_dual_mov_b32 v80, v148 :: v_dual_mov_b32 v81, v149
	v_add_f64 v[2:3], v[2:3], -v[140:141]
.LBB68_356:
	s_or_b32 exec_lo, exec_lo, s2
	v_lshl_add_u32 v140, v156, 4, v150
	s_barrier
	buffer_gl0_inv
	v_mov_b32_e32 v148, 17
	ds_store_2addr_b64 v140, v[76:77], v[78:79] offset1:1
	s_waitcnt lgkmcnt(0)
	s_barrier
	buffer_gl0_inv
	ds_load_2addr_b64 v[140:143], v150 offset0:34 offset1:35
	s_cmp_lt_i32 s5, 19
	s_cbranch_scc1 .LBB68_359
; %bb.357:
	v_add3_u32 v149, v155, 0, 0x120
	v_mov_b32_e32 v148, 17
	s_mov_b32 s6, 18
	s_set_inst_prefetch_distance 0x1
	.p2align	6
.LBB68_358:                             ; =>This Inner Loop Header: Depth=1
	ds_load_2addr_b64 v[157:160], v149 offset1:1
	s_waitcnt lgkmcnt(1)
	v_cmp_gt_f64_e32 vcc_lo, 0, v[140:141]
	v_xor_b32_e32 v161, 0x80000000, v141
	v_cmp_gt_f64_e64 s2, 0, v[142:143]
	v_xor_b32_e32 v163, 0x80000000, v143
	v_add_nc_u32_e32 v149, 16, v149
	s_waitcnt lgkmcnt(0)
	v_cmp_gt_f64_e64 s3, 0, v[157:158]
	v_mov_b32_e32 v165, v157
	v_dual_mov_b32 v167, v159 :: v_dual_cndmask_b32 v162, v141, v161
	v_xor_b32_e32 v161, 0x80000000, v158
	v_cndmask_b32_e64 v164, v143, v163, s2
	v_xor_b32_e32 v163, 0x80000000, v160
	s_delay_alu instid0(VALU_DEP_3) | instskip(SKIP_2) | instid1(VALU_DEP_2)
	v_cndmask_b32_e64 v166, v158, v161, s3
	v_cmp_gt_f64_e64 s3, 0, v[159:160]
	v_cndmask_b32_e32 v161, v140, v140, vcc_lo
	v_cndmask_b32_e64 v168, v160, v163, s3
	v_cndmask_b32_e64 v163, v142, v142, s2
	s_delay_alu instid0(VALU_DEP_2) | instskip(NEXT) | instid1(VALU_DEP_2)
	v_add_f64 v[165:166], v[165:166], v[167:168]
	v_add_f64 v[161:162], v[161:162], v[163:164]
	s_delay_alu instid0(VALU_DEP_1) | instskip(SKIP_4) | instid1(SALU_CYCLE_1)
	v_cmp_lt_f64_e32 vcc_lo, v[161:162], v[165:166]
	v_dual_cndmask_b32 v142, v142, v159 :: v_dual_cndmask_b32 v141, v141, v158
	v_dual_cndmask_b32 v140, v140, v157 :: v_dual_cndmask_b32 v143, v143, v160
	v_cndmask_b32_e64 v148, v148, s6, vcc_lo
	s_add_i32 s6, s6, 1
	s_cmp_lg_u32 s5, s6
	s_cbranch_scc1 .LBB68_358
.LBB68_359:
	s_set_inst_prefetch_distance 0x2
	s_waitcnt lgkmcnt(0)
	v_cmp_eq_f64_e32 vcc_lo, 0, v[140:141]
	v_cmp_eq_f64_e64 s2, 0, v[142:143]
	s_delay_alu instid0(VALU_DEP_1) | instskip(NEXT) | instid1(SALU_CYCLE_1)
	s_and_b32 s2, vcc_lo, s2
	s_and_saveexec_b32 s3, s2
	s_delay_alu instid0(SALU_CYCLE_1)
	s_xor_b32 s2, exec_lo, s3
; %bb.360:
	v_cmp_ne_u32_e32 vcc_lo, 0, v153
	v_cndmask_b32_e32 v153, 18, v153, vcc_lo
; %bb.361:
	s_and_not1_saveexec_b32 s3, s2
	s_cbranch_execz .LBB68_367
; %bb.362:
	v_cmp_gt_f64_e32 vcc_lo, 0, v[140:141]
	v_cmp_gt_f64_e64 s2, 0, v[142:143]
	v_xor_b32_e32 v149, 0x80000000, v141
	v_xor_b32_e32 v157, 0x80000000, v143
	s_delay_alu instid0(VALU_DEP_2) | instskip(NEXT) | instid1(VALU_DEP_2)
	v_cndmask_b32_e32 v158, v141, v149, vcc_lo
	v_cndmask_b32_e64 v160, v143, v157, s2
	v_cndmask_b32_e32 v157, v140, v140, vcc_lo
	v_cndmask_b32_e64 v159, v142, v142, s2
	s_mov_b32 s2, exec_lo
	s_delay_alu instid0(VALU_DEP_1)
	v_cmpx_ngt_f64_e32 v[157:158], v[159:160]
	s_xor_b32 s2, exec_lo, s2
	s_cbranch_execz .LBB68_364
; %bb.363:
	v_div_scale_f64 v[157:158], null, v[142:143], v[142:143], v[140:141]
	v_div_scale_f64 v[163:164], vcc_lo, v[140:141], v[142:143], v[140:141]
	s_delay_alu instid0(VALU_DEP_2) | instskip(SKIP_2) | instid1(VALU_DEP_1)
	v_rcp_f64_e32 v[159:160], v[157:158]
	s_waitcnt_depctr 0xfff
	v_fma_f64 v[161:162], -v[157:158], v[159:160], 1.0
	v_fma_f64 v[159:160], v[159:160], v[161:162], v[159:160]
	s_delay_alu instid0(VALU_DEP_1) | instskip(NEXT) | instid1(VALU_DEP_1)
	v_fma_f64 v[161:162], -v[157:158], v[159:160], 1.0
	v_fma_f64 v[159:160], v[159:160], v[161:162], v[159:160]
	s_delay_alu instid0(VALU_DEP_1) | instskip(NEXT) | instid1(VALU_DEP_1)
	v_mul_f64 v[161:162], v[163:164], v[159:160]
	v_fma_f64 v[157:158], -v[157:158], v[161:162], v[163:164]
	s_delay_alu instid0(VALU_DEP_1) | instskip(NEXT) | instid1(VALU_DEP_1)
	v_div_fmas_f64 v[157:158], v[157:158], v[159:160], v[161:162]
	v_div_fixup_f64 v[157:158], v[157:158], v[142:143], v[140:141]
	s_delay_alu instid0(VALU_DEP_1) | instskip(NEXT) | instid1(VALU_DEP_1)
	v_fma_f64 v[140:141], v[140:141], v[157:158], v[142:143]
	v_div_scale_f64 v[142:143], null, v[140:141], v[140:141], 1.0
	s_delay_alu instid0(VALU_DEP_1) | instskip(SKIP_2) | instid1(VALU_DEP_1)
	v_rcp_f64_e32 v[159:160], v[142:143]
	s_waitcnt_depctr 0xfff
	v_fma_f64 v[161:162], -v[142:143], v[159:160], 1.0
	v_fma_f64 v[159:160], v[159:160], v[161:162], v[159:160]
	s_delay_alu instid0(VALU_DEP_1) | instskip(NEXT) | instid1(VALU_DEP_1)
	v_fma_f64 v[161:162], -v[142:143], v[159:160], 1.0
	v_fma_f64 v[159:160], v[159:160], v[161:162], v[159:160]
	v_div_scale_f64 v[161:162], vcc_lo, 1.0, v[140:141], 1.0
	s_delay_alu instid0(VALU_DEP_1) | instskip(NEXT) | instid1(VALU_DEP_1)
	v_mul_f64 v[163:164], v[161:162], v[159:160]
	v_fma_f64 v[142:143], -v[142:143], v[163:164], v[161:162]
	s_delay_alu instid0(VALU_DEP_1) | instskip(NEXT) | instid1(VALU_DEP_1)
	v_div_fmas_f64 v[142:143], v[142:143], v[159:160], v[163:164]
	v_div_fixup_f64 v[142:143], v[142:143], v[140:141], 1.0
	s_delay_alu instid0(VALU_DEP_1)
	v_mul_f64 v[140:141], v[157:158], v[142:143]
	v_xor_b32_e32 v143, 0x80000000, v143
.LBB68_364:
	s_and_not1_saveexec_b32 s2, s2
	s_cbranch_execz .LBB68_366
; %bb.365:
	s_delay_alu instid0(VALU_DEP_1) | instskip(SKIP_1) | instid1(VALU_DEP_2)
	v_div_scale_f64 v[157:158], null, v[140:141], v[140:141], v[142:143]
	v_div_scale_f64 v[163:164], vcc_lo, v[142:143], v[140:141], v[142:143]
	v_rcp_f64_e32 v[159:160], v[157:158]
	s_waitcnt_depctr 0xfff
	v_fma_f64 v[161:162], -v[157:158], v[159:160], 1.0
	s_delay_alu instid0(VALU_DEP_1) | instskip(NEXT) | instid1(VALU_DEP_1)
	v_fma_f64 v[159:160], v[159:160], v[161:162], v[159:160]
	v_fma_f64 v[161:162], -v[157:158], v[159:160], 1.0
	s_delay_alu instid0(VALU_DEP_1) | instskip(NEXT) | instid1(VALU_DEP_1)
	v_fma_f64 v[159:160], v[159:160], v[161:162], v[159:160]
	v_mul_f64 v[161:162], v[163:164], v[159:160]
	s_delay_alu instid0(VALU_DEP_1) | instskip(NEXT) | instid1(VALU_DEP_1)
	v_fma_f64 v[157:158], -v[157:158], v[161:162], v[163:164]
	v_div_fmas_f64 v[157:158], v[157:158], v[159:160], v[161:162]
	s_delay_alu instid0(VALU_DEP_1) | instskip(NEXT) | instid1(VALU_DEP_1)
	v_div_fixup_f64 v[157:158], v[157:158], v[140:141], v[142:143]
	v_fma_f64 v[140:141], v[142:143], v[157:158], v[140:141]
	s_delay_alu instid0(VALU_DEP_1) | instskip(NEXT) | instid1(VALU_DEP_1)
	v_div_scale_f64 v[142:143], null, v[140:141], v[140:141], 1.0
	v_rcp_f64_e32 v[159:160], v[142:143]
	s_waitcnt_depctr 0xfff
	v_fma_f64 v[161:162], -v[142:143], v[159:160], 1.0
	s_delay_alu instid0(VALU_DEP_1) | instskip(NEXT) | instid1(VALU_DEP_1)
	v_fma_f64 v[159:160], v[159:160], v[161:162], v[159:160]
	v_fma_f64 v[161:162], -v[142:143], v[159:160], 1.0
	s_delay_alu instid0(VALU_DEP_1) | instskip(SKIP_1) | instid1(VALU_DEP_1)
	v_fma_f64 v[159:160], v[159:160], v[161:162], v[159:160]
	v_div_scale_f64 v[161:162], vcc_lo, 1.0, v[140:141], 1.0
	v_mul_f64 v[163:164], v[161:162], v[159:160]
	s_delay_alu instid0(VALU_DEP_1) | instskip(NEXT) | instid1(VALU_DEP_1)
	v_fma_f64 v[142:143], -v[142:143], v[163:164], v[161:162]
	v_div_fmas_f64 v[142:143], v[142:143], v[159:160], v[163:164]
	s_delay_alu instid0(VALU_DEP_1) | instskip(NEXT) | instid1(VALU_DEP_1)
	v_div_fixup_f64 v[140:141], v[142:143], v[140:141], 1.0
	v_mul_f64 v[142:143], v[157:158], -v[140:141]
.LBB68_366:
	s_or_b32 exec_lo, exec_lo, s2
.LBB68_367:
	s_delay_alu instid0(SALU_CYCLE_1) | instskip(NEXT) | instid1(SALU_CYCLE_1)
	s_or_b32 exec_lo, exec_lo, s3
	s_mov_b32 s2, exec_lo
	v_cmpx_ne_u32_e64 v156, v148
	s_xor_b32 s2, exec_lo, s2
	s_cbranch_execz .LBB68_373
; %bb.368:
	s_mov_b32 s3, exec_lo
	v_cmpx_eq_u32_e32 17, v156
	s_cbranch_execz .LBB68_372
; %bb.369:
	v_cmp_ne_u32_e32 vcc_lo, 17, v148
	s_xor_b32 s6, s4, -1
	s_delay_alu instid0(SALU_CYCLE_1) | instskip(NEXT) | instid1(SALU_CYCLE_1)
	s_and_b32 s7, s6, vcc_lo
	s_and_saveexec_b32 s6, s7
	s_cbranch_execz .LBB68_371
; %bb.370:
	v_ashrrev_i32_e32 v149, 31, v148
	s_delay_alu instid0(VALU_DEP_1) | instskip(NEXT) | instid1(VALU_DEP_1)
	v_lshlrev_b64 v[156:157], 2, v[148:149]
	v_add_co_u32 v156, vcc_lo, v146, v156
	s_delay_alu instid0(VALU_DEP_2)
	v_add_co_ci_u32_e32 v157, vcc_lo, v147, v157, vcc_lo
	s_clause 0x1
	flat_load_b32 v149, v[156:157]
	flat_load_b32 v154, v[146:147] offset:68
	s_waitcnt vmcnt(1) lgkmcnt(1)
	flat_store_b32 v[146:147], v149 offset:68
	s_waitcnt vmcnt(0) lgkmcnt(1)
	flat_store_b32 v[156:157], v154
.LBB68_371:
	s_or_b32 exec_lo, exec_lo, s6
	v_mov_b32_e32 v156, v148
	v_mov_b32_e32 v154, v148
.LBB68_372:
	s_or_b32 exec_lo, exec_lo, s3
.LBB68_373:
	s_and_not1_saveexec_b32 s2, s2
	s_cbranch_execz .LBB68_375
; %bb.374:
	v_mov_b32_e32 v156, 17
	ds_store_2addr_b64 v150, v[72:73], v[74:75] offset0:36 offset1:37
	ds_store_2addr_b64 v150, v[68:69], v[70:71] offset0:38 offset1:39
	;; [unrolled: 1-line block ×17, first 2 shown]
.LBB68_375:
	s_or_b32 exec_lo, exec_lo, s2
	s_delay_alu instid0(SALU_CYCLE_1)
	s_mov_b32 s2, exec_lo
	s_waitcnt lgkmcnt(0)
	s_waitcnt_vscnt null, 0x0
	s_barrier
	buffer_gl0_inv
	v_cmpx_lt_i32_e32 17, v156
	s_cbranch_execz .LBB68_377
; %bb.376:
	v_mul_f64 v[148:149], v[142:143], v[78:79]
	v_mul_f64 v[78:79], v[140:141], v[78:79]
	s_delay_alu instid0(VALU_DEP_2) | instskip(NEXT) | instid1(VALU_DEP_2)
	v_fma_f64 v[148:149], v[140:141], v[76:77], -v[148:149]
	v_fma_f64 v[78:79], v[142:143], v[76:77], v[78:79]
	ds_load_2addr_b64 v[140:143], v150 offset0:36 offset1:37
	s_waitcnt lgkmcnt(0)
	v_mul_f64 v[76:77], v[142:143], v[78:79]
	s_delay_alu instid0(VALU_DEP_1) | instskip(SKIP_1) | instid1(VALU_DEP_2)
	v_fma_f64 v[76:77], v[140:141], v[148:149], -v[76:77]
	v_mul_f64 v[140:141], v[140:141], v[78:79]
	v_add_f64 v[72:73], v[72:73], -v[76:77]
	s_delay_alu instid0(VALU_DEP_2) | instskip(NEXT) | instid1(VALU_DEP_1)
	v_fma_f64 v[140:141], v[142:143], v[148:149], v[140:141]
	v_add_f64 v[74:75], v[74:75], -v[140:141]
	ds_load_2addr_b64 v[140:143], v150 offset0:38 offset1:39
	s_waitcnt lgkmcnt(0)
	v_mul_f64 v[76:77], v[142:143], v[78:79]
	s_delay_alu instid0(VALU_DEP_1) | instskip(SKIP_1) | instid1(VALU_DEP_2)
	v_fma_f64 v[76:77], v[140:141], v[148:149], -v[76:77]
	v_mul_f64 v[140:141], v[140:141], v[78:79]
	v_add_f64 v[68:69], v[68:69], -v[76:77]
	s_delay_alu instid0(VALU_DEP_2) | instskip(NEXT) | instid1(VALU_DEP_1)
	v_fma_f64 v[140:141], v[142:143], v[148:149], v[140:141]
	v_add_f64 v[70:71], v[70:71], -v[140:141]
	;; [unrolled: 10-line block ×16, first 2 shown]
	ds_load_2addr_b64 v[140:143], v150 offset0:68 offset1:69
	s_waitcnt lgkmcnt(0)
	v_mul_f64 v[76:77], v[142:143], v[78:79]
	s_delay_alu instid0(VALU_DEP_1) | instskip(SKIP_1) | instid1(VALU_DEP_2)
	v_fma_f64 v[76:77], v[140:141], v[148:149], -v[76:77]
	v_mul_f64 v[140:141], v[140:141], v[78:79]
	v_add_f64 v[0:1], v[0:1], -v[76:77]
	s_delay_alu instid0(VALU_DEP_2) | instskip(SKIP_1) | instid1(VALU_DEP_2)
	v_fma_f64 v[140:141], v[142:143], v[148:149], v[140:141]
	v_dual_mov_b32 v76, v148 :: v_dual_mov_b32 v77, v149
	v_add_f64 v[2:3], v[2:3], -v[140:141]
.LBB68_377:
	s_or_b32 exec_lo, exec_lo, s2
	v_lshl_add_u32 v140, v156, 4, v150
	s_barrier
	buffer_gl0_inv
	v_mov_b32_e32 v148, 18
	ds_store_2addr_b64 v140, v[72:73], v[74:75] offset1:1
	s_waitcnt lgkmcnt(0)
	s_barrier
	buffer_gl0_inv
	ds_load_2addr_b64 v[140:143], v150 offset0:36 offset1:37
	s_cmp_lt_i32 s5, 20
	s_cbranch_scc1 .LBB68_380
; %bb.378:
	v_add3_u32 v149, v155, 0, 0x130
	v_mov_b32_e32 v148, 18
	s_mov_b32 s6, 19
	s_set_inst_prefetch_distance 0x1
	.p2align	6
.LBB68_379:                             ; =>This Inner Loop Header: Depth=1
	ds_load_2addr_b64 v[157:160], v149 offset1:1
	s_waitcnt lgkmcnt(1)
	v_cmp_gt_f64_e32 vcc_lo, 0, v[140:141]
	v_xor_b32_e32 v161, 0x80000000, v141
	v_cmp_gt_f64_e64 s2, 0, v[142:143]
	v_xor_b32_e32 v163, 0x80000000, v143
	v_add_nc_u32_e32 v149, 16, v149
	s_waitcnt lgkmcnt(0)
	v_cmp_gt_f64_e64 s3, 0, v[157:158]
	v_mov_b32_e32 v165, v157
	v_dual_mov_b32 v167, v159 :: v_dual_cndmask_b32 v162, v141, v161
	v_xor_b32_e32 v161, 0x80000000, v158
	v_cndmask_b32_e64 v164, v143, v163, s2
	v_xor_b32_e32 v163, 0x80000000, v160
	s_delay_alu instid0(VALU_DEP_3) | instskip(SKIP_2) | instid1(VALU_DEP_2)
	v_cndmask_b32_e64 v166, v158, v161, s3
	v_cmp_gt_f64_e64 s3, 0, v[159:160]
	v_cndmask_b32_e32 v161, v140, v140, vcc_lo
	v_cndmask_b32_e64 v168, v160, v163, s3
	v_cndmask_b32_e64 v163, v142, v142, s2
	s_delay_alu instid0(VALU_DEP_2) | instskip(NEXT) | instid1(VALU_DEP_2)
	v_add_f64 v[165:166], v[165:166], v[167:168]
	v_add_f64 v[161:162], v[161:162], v[163:164]
	s_delay_alu instid0(VALU_DEP_1) | instskip(SKIP_4) | instid1(SALU_CYCLE_1)
	v_cmp_lt_f64_e32 vcc_lo, v[161:162], v[165:166]
	v_dual_cndmask_b32 v142, v142, v159 :: v_dual_cndmask_b32 v141, v141, v158
	v_dual_cndmask_b32 v140, v140, v157 :: v_dual_cndmask_b32 v143, v143, v160
	v_cndmask_b32_e64 v148, v148, s6, vcc_lo
	s_add_i32 s6, s6, 1
	s_cmp_lg_u32 s5, s6
	s_cbranch_scc1 .LBB68_379
.LBB68_380:
	s_set_inst_prefetch_distance 0x2
	s_waitcnt lgkmcnt(0)
	v_cmp_eq_f64_e32 vcc_lo, 0, v[140:141]
	v_cmp_eq_f64_e64 s2, 0, v[142:143]
	s_delay_alu instid0(VALU_DEP_1) | instskip(NEXT) | instid1(SALU_CYCLE_1)
	s_and_b32 s2, vcc_lo, s2
	s_and_saveexec_b32 s3, s2
	s_delay_alu instid0(SALU_CYCLE_1)
	s_xor_b32 s2, exec_lo, s3
; %bb.381:
	v_cmp_ne_u32_e32 vcc_lo, 0, v153
	v_cndmask_b32_e32 v153, 19, v153, vcc_lo
; %bb.382:
	s_and_not1_saveexec_b32 s3, s2
	s_cbranch_execz .LBB68_388
; %bb.383:
	v_cmp_gt_f64_e32 vcc_lo, 0, v[140:141]
	v_cmp_gt_f64_e64 s2, 0, v[142:143]
	v_xor_b32_e32 v149, 0x80000000, v141
	v_xor_b32_e32 v157, 0x80000000, v143
	s_delay_alu instid0(VALU_DEP_2) | instskip(NEXT) | instid1(VALU_DEP_2)
	v_cndmask_b32_e32 v158, v141, v149, vcc_lo
	v_cndmask_b32_e64 v160, v143, v157, s2
	v_cndmask_b32_e32 v157, v140, v140, vcc_lo
	v_cndmask_b32_e64 v159, v142, v142, s2
	s_mov_b32 s2, exec_lo
	s_delay_alu instid0(VALU_DEP_1)
	v_cmpx_ngt_f64_e32 v[157:158], v[159:160]
	s_xor_b32 s2, exec_lo, s2
	s_cbranch_execz .LBB68_385
; %bb.384:
	v_div_scale_f64 v[157:158], null, v[142:143], v[142:143], v[140:141]
	v_div_scale_f64 v[163:164], vcc_lo, v[140:141], v[142:143], v[140:141]
	s_delay_alu instid0(VALU_DEP_2) | instskip(SKIP_2) | instid1(VALU_DEP_1)
	v_rcp_f64_e32 v[159:160], v[157:158]
	s_waitcnt_depctr 0xfff
	v_fma_f64 v[161:162], -v[157:158], v[159:160], 1.0
	v_fma_f64 v[159:160], v[159:160], v[161:162], v[159:160]
	s_delay_alu instid0(VALU_DEP_1) | instskip(NEXT) | instid1(VALU_DEP_1)
	v_fma_f64 v[161:162], -v[157:158], v[159:160], 1.0
	v_fma_f64 v[159:160], v[159:160], v[161:162], v[159:160]
	s_delay_alu instid0(VALU_DEP_1) | instskip(NEXT) | instid1(VALU_DEP_1)
	v_mul_f64 v[161:162], v[163:164], v[159:160]
	v_fma_f64 v[157:158], -v[157:158], v[161:162], v[163:164]
	s_delay_alu instid0(VALU_DEP_1) | instskip(NEXT) | instid1(VALU_DEP_1)
	v_div_fmas_f64 v[157:158], v[157:158], v[159:160], v[161:162]
	v_div_fixup_f64 v[157:158], v[157:158], v[142:143], v[140:141]
	s_delay_alu instid0(VALU_DEP_1) | instskip(NEXT) | instid1(VALU_DEP_1)
	v_fma_f64 v[140:141], v[140:141], v[157:158], v[142:143]
	v_div_scale_f64 v[142:143], null, v[140:141], v[140:141], 1.0
	s_delay_alu instid0(VALU_DEP_1) | instskip(SKIP_2) | instid1(VALU_DEP_1)
	v_rcp_f64_e32 v[159:160], v[142:143]
	s_waitcnt_depctr 0xfff
	v_fma_f64 v[161:162], -v[142:143], v[159:160], 1.0
	v_fma_f64 v[159:160], v[159:160], v[161:162], v[159:160]
	s_delay_alu instid0(VALU_DEP_1) | instskip(NEXT) | instid1(VALU_DEP_1)
	v_fma_f64 v[161:162], -v[142:143], v[159:160], 1.0
	v_fma_f64 v[159:160], v[159:160], v[161:162], v[159:160]
	v_div_scale_f64 v[161:162], vcc_lo, 1.0, v[140:141], 1.0
	s_delay_alu instid0(VALU_DEP_1) | instskip(NEXT) | instid1(VALU_DEP_1)
	v_mul_f64 v[163:164], v[161:162], v[159:160]
	v_fma_f64 v[142:143], -v[142:143], v[163:164], v[161:162]
	s_delay_alu instid0(VALU_DEP_1) | instskip(NEXT) | instid1(VALU_DEP_1)
	v_div_fmas_f64 v[142:143], v[142:143], v[159:160], v[163:164]
	v_div_fixup_f64 v[142:143], v[142:143], v[140:141], 1.0
	s_delay_alu instid0(VALU_DEP_1)
	v_mul_f64 v[140:141], v[157:158], v[142:143]
	v_xor_b32_e32 v143, 0x80000000, v143
.LBB68_385:
	s_and_not1_saveexec_b32 s2, s2
	s_cbranch_execz .LBB68_387
; %bb.386:
	s_delay_alu instid0(VALU_DEP_1) | instskip(SKIP_1) | instid1(VALU_DEP_2)
	v_div_scale_f64 v[157:158], null, v[140:141], v[140:141], v[142:143]
	v_div_scale_f64 v[163:164], vcc_lo, v[142:143], v[140:141], v[142:143]
	v_rcp_f64_e32 v[159:160], v[157:158]
	s_waitcnt_depctr 0xfff
	v_fma_f64 v[161:162], -v[157:158], v[159:160], 1.0
	s_delay_alu instid0(VALU_DEP_1) | instskip(NEXT) | instid1(VALU_DEP_1)
	v_fma_f64 v[159:160], v[159:160], v[161:162], v[159:160]
	v_fma_f64 v[161:162], -v[157:158], v[159:160], 1.0
	s_delay_alu instid0(VALU_DEP_1) | instskip(NEXT) | instid1(VALU_DEP_1)
	v_fma_f64 v[159:160], v[159:160], v[161:162], v[159:160]
	v_mul_f64 v[161:162], v[163:164], v[159:160]
	s_delay_alu instid0(VALU_DEP_1) | instskip(NEXT) | instid1(VALU_DEP_1)
	v_fma_f64 v[157:158], -v[157:158], v[161:162], v[163:164]
	v_div_fmas_f64 v[157:158], v[157:158], v[159:160], v[161:162]
	s_delay_alu instid0(VALU_DEP_1) | instskip(NEXT) | instid1(VALU_DEP_1)
	v_div_fixup_f64 v[157:158], v[157:158], v[140:141], v[142:143]
	v_fma_f64 v[140:141], v[142:143], v[157:158], v[140:141]
	s_delay_alu instid0(VALU_DEP_1) | instskip(NEXT) | instid1(VALU_DEP_1)
	v_div_scale_f64 v[142:143], null, v[140:141], v[140:141], 1.0
	v_rcp_f64_e32 v[159:160], v[142:143]
	s_waitcnt_depctr 0xfff
	v_fma_f64 v[161:162], -v[142:143], v[159:160], 1.0
	s_delay_alu instid0(VALU_DEP_1) | instskip(NEXT) | instid1(VALU_DEP_1)
	v_fma_f64 v[159:160], v[159:160], v[161:162], v[159:160]
	v_fma_f64 v[161:162], -v[142:143], v[159:160], 1.0
	s_delay_alu instid0(VALU_DEP_1) | instskip(SKIP_1) | instid1(VALU_DEP_1)
	v_fma_f64 v[159:160], v[159:160], v[161:162], v[159:160]
	v_div_scale_f64 v[161:162], vcc_lo, 1.0, v[140:141], 1.0
	v_mul_f64 v[163:164], v[161:162], v[159:160]
	s_delay_alu instid0(VALU_DEP_1) | instskip(NEXT) | instid1(VALU_DEP_1)
	v_fma_f64 v[142:143], -v[142:143], v[163:164], v[161:162]
	v_div_fmas_f64 v[142:143], v[142:143], v[159:160], v[163:164]
	s_delay_alu instid0(VALU_DEP_1) | instskip(NEXT) | instid1(VALU_DEP_1)
	v_div_fixup_f64 v[140:141], v[142:143], v[140:141], 1.0
	v_mul_f64 v[142:143], v[157:158], -v[140:141]
.LBB68_387:
	s_or_b32 exec_lo, exec_lo, s2
.LBB68_388:
	s_delay_alu instid0(SALU_CYCLE_1) | instskip(NEXT) | instid1(SALU_CYCLE_1)
	s_or_b32 exec_lo, exec_lo, s3
	s_mov_b32 s2, exec_lo
	v_cmpx_ne_u32_e64 v156, v148
	s_xor_b32 s2, exec_lo, s2
	s_cbranch_execz .LBB68_394
; %bb.389:
	s_mov_b32 s3, exec_lo
	v_cmpx_eq_u32_e32 18, v156
	s_cbranch_execz .LBB68_393
; %bb.390:
	v_cmp_ne_u32_e32 vcc_lo, 18, v148
	s_xor_b32 s6, s4, -1
	s_delay_alu instid0(SALU_CYCLE_1) | instskip(NEXT) | instid1(SALU_CYCLE_1)
	s_and_b32 s7, s6, vcc_lo
	s_and_saveexec_b32 s6, s7
	s_cbranch_execz .LBB68_392
; %bb.391:
	v_ashrrev_i32_e32 v149, 31, v148
	s_delay_alu instid0(VALU_DEP_1) | instskip(NEXT) | instid1(VALU_DEP_1)
	v_lshlrev_b64 v[156:157], 2, v[148:149]
	v_add_co_u32 v156, vcc_lo, v146, v156
	s_delay_alu instid0(VALU_DEP_2)
	v_add_co_ci_u32_e32 v157, vcc_lo, v147, v157, vcc_lo
	s_clause 0x1
	flat_load_b32 v149, v[156:157]
	flat_load_b32 v154, v[146:147] offset:72
	s_waitcnt vmcnt(1) lgkmcnt(1)
	flat_store_b32 v[146:147], v149 offset:72
	s_waitcnt vmcnt(0) lgkmcnt(1)
	flat_store_b32 v[156:157], v154
.LBB68_392:
	s_or_b32 exec_lo, exec_lo, s6
	v_mov_b32_e32 v156, v148
	v_mov_b32_e32 v154, v148
.LBB68_393:
	s_or_b32 exec_lo, exec_lo, s3
.LBB68_394:
	s_and_not1_saveexec_b32 s2, s2
	s_cbranch_execz .LBB68_396
; %bb.395:
	v_mov_b32_e32 v156, 18
	ds_store_2addr_b64 v150, v[68:69], v[70:71] offset0:38 offset1:39
	ds_store_2addr_b64 v150, v[64:65], v[66:67] offset0:40 offset1:41
	;; [unrolled: 1-line block ×16, first 2 shown]
.LBB68_396:
	s_or_b32 exec_lo, exec_lo, s2
	s_delay_alu instid0(SALU_CYCLE_1)
	s_mov_b32 s2, exec_lo
	s_waitcnt lgkmcnt(0)
	s_waitcnt_vscnt null, 0x0
	s_barrier
	buffer_gl0_inv
	v_cmpx_lt_i32_e32 18, v156
	s_cbranch_execz .LBB68_398
; %bb.397:
	v_mul_f64 v[148:149], v[140:141], v[74:75]
	v_mul_f64 v[74:75], v[142:143], v[74:75]
	s_delay_alu instid0(VALU_DEP_2) | instskip(NEXT) | instid1(VALU_DEP_2)
	v_fma_f64 v[148:149], v[142:143], v[72:73], v[148:149]
	v_fma_f64 v[72:73], v[140:141], v[72:73], -v[74:75]
	ds_load_2addr_b64 v[140:143], v150 offset0:38 offset1:39
	s_waitcnt lgkmcnt(0)
	v_mul_f64 v[74:75], v[142:143], v[148:149]
	s_delay_alu instid0(VALU_DEP_1) | instskip(SKIP_1) | instid1(VALU_DEP_2)
	v_fma_f64 v[74:75], v[140:141], v[72:73], -v[74:75]
	v_mul_f64 v[140:141], v[140:141], v[148:149]
	v_add_f64 v[68:69], v[68:69], -v[74:75]
	s_delay_alu instid0(VALU_DEP_2) | instskip(NEXT) | instid1(VALU_DEP_1)
	v_fma_f64 v[140:141], v[142:143], v[72:73], v[140:141]
	v_add_f64 v[70:71], v[70:71], -v[140:141]
	ds_load_2addr_b64 v[140:143], v150 offset0:40 offset1:41
	s_waitcnt lgkmcnt(0)
	v_mul_f64 v[74:75], v[142:143], v[148:149]
	s_delay_alu instid0(VALU_DEP_1) | instskip(SKIP_1) | instid1(VALU_DEP_2)
	v_fma_f64 v[74:75], v[140:141], v[72:73], -v[74:75]
	v_mul_f64 v[140:141], v[140:141], v[148:149]
	v_add_f64 v[64:65], v[64:65], -v[74:75]
	s_delay_alu instid0(VALU_DEP_2) | instskip(NEXT) | instid1(VALU_DEP_1)
	v_fma_f64 v[140:141], v[142:143], v[72:73], v[140:141]
	v_add_f64 v[66:67], v[66:67], -v[140:141]
	;; [unrolled: 10-line block ×15, first 2 shown]
	ds_load_2addr_b64 v[140:143], v150 offset0:68 offset1:69
	s_waitcnt lgkmcnt(0)
	v_mul_f64 v[74:75], v[142:143], v[148:149]
	s_delay_alu instid0(VALU_DEP_1) | instskip(SKIP_1) | instid1(VALU_DEP_2)
	v_fma_f64 v[74:75], v[140:141], v[72:73], -v[74:75]
	v_mul_f64 v[140:141], v[140:141], v[148:149]
	v_add_f64 v[0:1], v[0:1], -v[74:75]
	s_delay_alu instid0(VALU_DEP_2) | instskip(SKIP_1) | instid1(VALU_DEP_2)
	v_fma_f64 v[140:141], v[142:143], v[72:73], v[140:141]
	v_dual_mov_b32 v74, v148 :: v_dual_mov_b32 v75, v149
	v_add_f64 v[2:3], v[2:3], -v[140:141]
.LBB68_398:
	s_or_b32 exec_lo, exec_lo, s2
	v_lshl_add_u32 v140, v156, 4, v150
	s_barrier
	buffer_gl0_inv
	v_mov_b32_e32 v148, 19
	ds_store_2addr_b64 v140, v[68:69], v[70:71] offset1:1
	s_waitcnt lgkmcnt(0)
	s_barrier
	buffer_gl0_inv
	ds_load_2addr_b64 v[140:143], v150 offset0:38 offset1:39
	s_cmp_lt_i32 s5, 21
	s_cbranch_scc1 .LBB68_401
; %bb.399:
	v_add3_u32 v149, v155, 0, 0x140
	v_mov_b32_e32 v148, 19
	s_mov_b32 s6, 20
	s_set_inst_prefetch_distance 0x1
	.p2align	6
.LBB68_400:                             ; =>This Inner Loop Header: Depth=1
	ds_load_2addr_b64 v[157:160], v149 offset1:1
	s_waitcnt lgkmcnt(1)
	v_cmp_gt_f64_e32 vcc_lo, 0, v[140:141]
	v_xor_b32_e32 v161, 0x80000000, v141
	v_cmp_gt_f64_e64 s2, 0, v[142:143]
	v_xor_b32_e32 v163, 0x80000000, v143
	v_add_nc_u32_e32 v149, 16, v149
	s_waitcnt lgkmcnt(0)
	v_cmp_gt_f64_e64 s3, 0, v[157:158]
	v_mov_b32_e32 v165, v157
	v_dual_mov_b32 v167, v159 :: v_dual_cndmask_b32 v162, v141, v161
	v_xor_b32_e32 v161, 0x80000000, v158
	v_cndmask_b32_e64 v164, v143, v163, s2
	v_xor_b32_e32 v163, 0x80000000, v160
	s_delay_alu instid0(VALU_DEP_3) | instskip(SKIP_2) | instid1(VALU_DEP_2)
	v_cndmask_b32_e64 v166, v158, v161, s3
	v_cmp_gt_f64_e64 s3, 0, v[159:160]
	v_cndmask_b32_e32 v161, v140, v140, vcc_lo
	v_cndmask_b32_e64 v168, v160, v163, s3
	v_cndmask_b32_e64 v163, v142, v142, s2
	s_delay_alu instid0(VALU_DEP_2) | instskip(NEXT) | instid1(VALU_DEP_2)
	v_add_f64 v[165:166], v[165:166], v[167:168]
	v_add_f64 v[161:162], v[161:162], v[163:164]
	s_delay_alu instid0(VALU_DEP_1) | instskip(SKIP_4) | instid1(SALU_CYCLE_1)
	v_cmp_lt_f64_e32 vcc_lo, v[161:162], v[165:166]
	v_dual_cndmask_b32 v142, v142, v159 :: v_dual_cndmask_b32 v141, v141, v158
	v_dual_cndmask_b32 v140, v140, v157 :: v_dual_cndmask_b32 v143, v143, v160
	v_cndmask_b32_e64 v148, v148, s6, vcc_lo
	s_add_i32 s6, s6, 1
	s_cmp_lg_u32 s5, s6
	s_cbranch_scc1 .LBB68_400
.LBB68_401:
	s_set_inst_prefetch_distance 0x2
	s_waitcnt lgkmcnt(0)
	v_cmp_eq_f64_e32 vcc_lo, 0, v[140:141]
	v_cmp_eq_f64_e64 s2, 0, v[142:143]
	s_delay_alu instid0(VALU_DEP_1) | instskip(NEXT) | instid1(SALU_CYCLE_1)
	s_and_b32 s2, vcc_lo, s2
	s_and_saveexec_b32 s3, s2
	s_delay_alu instid0(SALU_CYCLE_1)
	s_xor_b32 s2, exec_lo, s3
; %bb.402:
	v_cmp_ne_u32_e32 vcc_lo, 0, v153
	v_cndmask_b32_e32 v153, 20, v153, vcc_lo
; %bb.403:
	s_and_not1_saveexec_b32 s3, s2
	s_cbranch_execz .LBB68_409
; %bb.404:
	v_cmp_gt_f64_e32 vcc_lo, 0, v[140:141]
	v_cmp_gt_f64_e64 s2, 0, v[142:143]
	v_xor_b32_e32 v149, 0x80000000, v141
	v_xor_b32_e32 v157, 0x80000000, v143
	s_delay_alu instid0(VALU_DEP_2) | instskip(NEXT) | instid1(VALU_DEP_2)
	v_cndmask_b32_e32 v158, v141, v149, vcc_lo
	v_cndmask_b32_e64 v160, v143, v157, s2
	v_cndmask_b32_e32 v157, v140, v140, vcc_lo
	v_cndmask_b32_e64 v159, v142, v142, s2
	s_mov_b32 s2, exec_lo
	s_delay_alu instid0(VALU_DEP_1)
	v_cmpx_ngt_f64_e32 v[157:158], v[159:160]
	s_xor_b32 s2, exec_lo, s2
	s_cbranch_execz .LBB68_406
; %bb.405:
	v_div_scale_f64 v[157:158], null, v[142:143], v[142:143], v[140:141]
	v_div_scale_f64 v[163:164], vcc_lo, v[140:141], v[142:143], v[140:141]
	s_delay_alu instid0(VALU_DEP_2) | instskip(SKIP_2) | instid1(VALU_DEP_1)
	v_rcp_f64_e32 v[159:160], v[157:158]
	s_waitcnt_depctr 0xfff
	v_fma_f64 v[161:162], -v[157:158], v[159:160], 1.0
	v_fma_f64 v[159:160], v[159:160], v[161:162], v[159:160]
	s_delay_alu instid0(VALU_DEP_1) | instskip(NEXT) | instid1(VALU_DEP_1)
	v_fma_f64 v[161:162], -v[157:158], v[159:160], 1.0
	v_fma_f64 v[159:160], v[159:160], v[161:162], v[159:160]
	s_delay_alu instid0(VALU_DEP_1) | instskip(NEXT) | instid1(VALU_DEP_1)
	v_mul_f64 v[161:162], v[163:164], v[159:160]
	v_fma_f64 v[157:158], -v[157:158], v[161:162], v[163:164]
	s_delay_alu instid0(VALU_DEP_1) | instskip(NEXT) | instid1(VALU_DEP_1)
	v_div_fmas_f64 v[157:158], v[157:158], v[159:160], v[161:162]
	v_div_fixup_f64 v[157:158], v[157:158], v[142:143], v[140:141]
	s_delay_alu instid0(VALU_DEP_1) | instskip(NEXT) | instid1(VALU_DEP_1)
	v_fma_f64 v[140:141], v[140:141], v[157:158], v[142:143]
	v_div_scale_f64 v[142:143], null, v[140:141], v[140:141], 1.0
	s_delay_alu instid0(VALU_DEP_1) | instskip(SKIP_2) | instid1(VALU_DEP_1)
	v_rcp_f64_e32 v[159:160], v[142:143]
	s_waitcnt_depctr 0xfff
	v_fma_f64 v[161:162], -v[142:143], v[159:160], 1.0
	v_fma_f64 v[159:160], v[159:160], v[161:162], v[159:160]
	s_delay_alu instid0(VALU_DEP_1) | instskip(NEXT) | instid1(VALU_DEP_1)
	v_fma_f64 v[161:162], -v[142:143], v[159:160], 1.0
	v_fma_f64 v[159:160], v[159:160], v[161:162], v[159:160]
	v_div_scale_f64 v[161:162], vcc_lo, 1.0, v[140:141], 1.0
	s_delay_alu instid0(VALU_DEP_1) | instskip(NEXT) | instid1(VALU_DEP_1)
	v_mul_f64 v[163:164], v[161:162], v[159:160]
	v_fma_f64 v[142:143], -v[142:143], v[163:164], v[161:162]
	s_delay_alu instid0(VALU_DEP_1) | instskip(NEXT) | instid1(VALU_DEP_1)
	v_div_fmas_f64 v[142:143], v[142:143], v[159:160], v[163:164]
	v_div_fixup_f64 v[142:143], v[142:143], v[140:141], 1.0
	s_delay_alu instid0(VALU_DEP_1)
	v_mul_f64 v[140:141], v[157:158], v[142:143]
	v_xor_b32_e32 v143, 0x80000000, v143
.LBB68_406:
	s_and_not1_saveexec_b32 s2, s2
	s_cbranch_execz .LBB68_408
; %bb.407:
	s_delay_alu instid0(VALU_DEP_1) | instskip(SKIP_1) | instid1(VALU_DEP_2)
	v_div_scale_f64 v[157:158], null, v[140:141], v[140:141], v[142:143]
	v_div_scale_f64 v[163:164], vcc_lo, v[142:143], v[140:141], v[142:143]
	v_rcp_f64_e32 v[159:160], v[157:158]
	s_waitcnt_depctr 0xfff
	v_fma_f64 v[161:162], -v[157:158], v[159:160], 1.0
	s_delay_alu instid0(VALU_DEP_1) | instskip(NEXT) | instid1(VALU_DEP_1)
	v_fma_f64 v[159:160], v[159:160], v[161:162], v[159:160]
	v_fma_f64 v[161:162], -v[157:158], v[159:160], 1.0
	s_delay_alu instid0(VALU_DEP_1) | instskip(NEXT) | instid1(VALU_DEP_1)
	v_fma_f64 v[159:160], v[159:160], v[161:162], v[159:160]
	v_mul_f64 v[161:162], v[163:164], v[159:160]
	s_delay_alu instid0(VALU_DEP_1) | instskip(NEXT) | instid1(VALU_DEP_1)
	v_fma_f64 v[157:158], -v[157:158], v[161:162], v[163:164]
	v_div_fmas_f64 v[157:158], v[157:158], v[159:160], v[161:162]
	s_delay_alu instid0(VALU_DEP_1) | instskip(NEXT) | instid1(VALU_DEP_1)
	v_div_fixup_f64 v[157:158], v[157:158], v[140:141], v[142:143]
	v_fma_f64 v[140:141], v[142:143], v[157:158], v[140:141]
	s_delay_alu instid0(VALU_DEP_1) | instskip(NEXT) | instid1(VALU_DEP_1)
	v_div_scale_f64 v[142:143], null, v[140:141], v[140:141], 1.0
	v_rcp_f64_e32 v[159:160], v[142:143]
	s_waitcnt_depctr 0xfff
	v_fma_f64 v[161:162], -v[142:143], v[159:160], 1.0
	s_delay_alu instid0(VALU_DEP_1) | instskip(NEXT) | instid1(VALU_DEP_1)
	v_fma_f64 v[159:160], v[159:160], v[161:162], v[159:160]
	v_fma_f64 v[161:162], -v[142:143], v[159:160], 1.0
	s_delay_alu instid0(VALU_DEP_1) | instskip(SKIP_1) | instid1(VALU_DEP_1)
	v_fma_f64 v[159:160], v[159:160], v[161:162], v[159:160]
	v_div_scale_f64 v[161:162], vcc_lo, 1.0, v[140:141], 1.0
	v_mul_f64 v[163:164], v[161:162], v[159:160]
	s_delay_alu instid0(VALU_DEP_1) | instskip(NEXT) | instid1(VALU_DEP_1)
	v_fma_f64 v[142:143], -v[142:143], v[163:164], v[161:162]
	v_div_fmas_f64 v[142:143], v[142:143], v[159:160], v[163:164]
	s_delay_alu instid0(VALU_DEP_1) | instskip(NEXT) | instid1(VALU_DEP_1)
	v_div_fixup_f64 v[140:141], v[142:143], v[140:141], 1.0
	v_mul_f64 v[142:143], v[157:158], -v[140:141]
.LBB68_408:
	s_or_b32 exec_lo, exec_lo, s2
.LBB68_409:
	s_delay_alu instid0(SALU_CYCLE_1) | instskip(NEXT) | instid1(SALU_CYCLE_1)
	s_or_b32 exec_lo, exec_lo, s3
	s_mov_b32 s2, exec_lo
	v_cmpx_ne_u32_e64 v156, v148
	s_xor_b32 s2, exec_lo, s2
	s_cbranch_execz .LBB68_415
; %bb.410:
	s_mov_b32 s3, exec_lo
	v_cmpx_eq_u32_e32 19, v156
	s_cbranch_execz .LBB68_414
; %bb.411:
	v_cmp_ne_u32_e32 vcc_lo, 19, v148
	s_xor_b32 s6, s4, -1
	s_delay_alu instid0(SALU_CYCLE_1) | instskip(NEXT) | instid1(SALU_CYCLE_1)
	s_and_b32 s7, s6, vcc_lo
	s_and_saveexec_b32 s6, s7
	s_cbranch_execz .LBB68_413
; %bb.412:
	v_ashrrev_i32_e32 v149, 31, v148
	s_delay_alu instid0(VALU_DEP_1) | instskip(NEXT) | instid1(VALU_DEP_1)
	v_lshlrev_b64 v[156:157], 2, v[148:149]
	v_add_co_u32 v156, vcc_lo, v146, v156
	s_delay_alu instid0(VALU_DEP_2)
	v_add_co_ci_u32_e32 v157, vcc_lo, v147, v157, vcc_lo
	s_clause 0x1
	flat_load_b32 v149, v[156:157]
	flat_load_b32 v154, v[146:147] offset:76
	s_waitcnt vmcnt(1) lgkmcnt(1)
	flat_store_b32 v[146:147], v149 offset:76
	s_waitcnt vmcnt(0) lgkmcnt(1)
	flat_store_b32 v[156:157], v154
.LBB68_413:
	s_or_b32 exec_lo, exec_lo, s6
	v_mov_b32_e32 v156, v148
	v_mov_b32_e32 v154, v148
.LBB68_414:
	s_or_b32 exec_lo, exec_lo, s3
.LBB68_415:
	s_and_not1_saveexec_b32 s2, s2
	s_cbranch_execz .LBB68_417
; %bb.416:
	v_mov_b32_e32 v156, 19
	ds_store_2addr_b64 v150, v[64:65], v[66:67] offset0:40 offset1:41
	ds_store_2addr_b64 v150, v[60:61], v[62:63] offset0:42 offset1:43
	;; [unrolled: 1-line block ×15, first 2 shown]
.LBB68_417:
	s_or_b32 exec_lo, exec_lo, s2
	s_delay_alu instid0(SALU_CYCLE_1)
	s_mov_b32 s2, exec_lo
	s_waitcnt lgkmcnt(0)
	s_waitcnt_vscnt null, 0x0
	s_barrier
	buffer_gl0_inv
	v_cmpx_lt_i32_e32 19, v156
	s_cbranch_execz .LBB68_419
; %bb.418:
	v_mul_f64 v[148:149], v[140:141], v[70:71]
	v_mul_f64 v[70:71], v[142:143], v[70:71]
	s_delay_alu instid0(VALU_DEP_2) | instskip(NEXT) | instid1(VALU_DEP_2)
	v_fma_f64 v[148:149], v[142:143], v[68:69], v[148:149]
	v_fma_f64 v[68:69], v[140:141], v[68:69], -v[70:71]
	ds_load_2addr_b64 v[140:143], v150 offset0:40 offset1:41
	s_waitcnt lgkmcnt(0)
	v_mul_f64 v[70:71], v[142:143], v[148:149]
	s_delay_alu instid0(VALU_DEP_1) | instskip(SKIP_1) | instid1(VALU_DEP_2)
	v_fma_f64 v[70:71], v[140:141], v[68:69], -v[70:71]
	v_mul_f64 v[140:141], v[140:141], v[148:149]
	v_add_f64 v[64:65], v[64:65], -v[70:71]
	s_delay_alu instid0(VALU_DEP_2) | instskip(NEXT) | instid1(VALU_DEP_1)
	v_fma_f64 v[140:141], v[142:143], v[68:69], v[140:141]
	v_add_f64 v[66:67], v[66:67], -v[140:141]
	ds_load_2addr_b64 v[140:143], v150 offset0:42 offset1:43
	s_waitcnt lgkmcnt(0)
	v_mul_f64 v[70:71], v[142:143], v[148:149]
	s_delay_alu instid0(VALU_DEP_1) | instskip(SKIP_1) | instid1(VALU_DEP_2)
	v_fma_f64 v[70:71], v[140:141], v[68:69], -v[70:71]
	v_mul_f64 v[140:141], v[140:141], v[148:149]
	v_add_f64 v[60:61], v[60:61], -v[70:71]
	s_delay_alu instid0(VALU_DEP_2) | instskip(NEXT) | instid1(VALU_DEP_1)
	v_fma_f64 v[140:141], v[142:143], v[68:69], v[140:141]
	v_add_f64 v[62:63], v[62:63], -v[140:141]
	;; [unrolled: 10-line block ×14, first 2 shown]
	ds_load_2addr_b64 v[140:143], v150 offset0:68 offset1:69
	s_waitcnt lgkmcnt(0)
	v_mul_f64 v[70:71], v[142:143], v[148:149]
	s_delay_alu instid0(VALU_DEP_1) | instskip(SKIP_1) | instid1(VALU_DEP_2)
	v_fma_f64 v[70:71], v[140:141], v[68:69], -v[70:71]
	v_mul_f64 v[140:141], v[140:141], v[148:149]
	v_add_f64 v[0:1], v[0:1], -v[70:71]
	s_delay_alu instid0(VALU_DEP_2) | instskip(SKIP_1) | instid1(VALU_DEP_2)
	v_fma_f64 v[140:141], v[142:143], v[68:69], v[140:141]
	v_dual_mov_b32 v70, v148 :: v_dual_mov_b32 v71, v149
	v_add_f64 v[2:3], v[2:3], -v[140:141]
.LBB68_419:
	s_or_b32 exec_lo, exec_lo, s2
	v_lshl_add_u32 v140, v156, 4, v150
	s_barrier
	buffer_gl0_inv
	v_mov_b32_e32 v148, 20
	ds_store_2addr_b64 v140, v[64:65], v[66:67] offset1:1
	s_waitcnt lgkmcnt(0)
	s_barrier
	buffer_gl0_inv
	ds_load_2addr_b64 v[140:143], v150 offset0:40 offset1:41
	s_cmp_lt_i32 s5, 22
	s_cbranch_scc1 .LBB68_422
; %bb.420:
	v_add3_u32 v149, v155, 0, 0x150
	v_mov_b32_e32 v148, 20
	s_mov_b32 s6, 21
	s_set_inst_prefetch_distance 0x1
	.p2align	6
.LBB68_421:                             ; =>This Inner Loop Header: Depth=1
	ds_load_2addr_b64 v[157:160], v149 offset1:1
	s_waitcnt lgkmcnt(1)
	v_cmp_gt_f64_e32 vcc_lo, 0, v[140:141]
	v_xor_b32_e32 v161, 0x80000000, v141
	v_cmp_gt_f64_e64 s2, 0, v[142:143]
	v_xor_b32_e32 v163, 0x80000000, v143
	v_add_nc_u32_e32 v149, 16, v149
	s_waitcnt lgkmcnt(0)
	v_cmp_gt_f64_e64 s3, 0, v[157:158]
	v_mov_b32_e32 v165, v157
	v_dual_mov_b32 v167, v159 :: v_dual_cndmask_b32 v162, v141, v161
	v_xor_b32_e32 v161, 0x80000000, v158
	v_cndmask_b32_e64 v164, v143, v163, s2
	v_xor_b32_e32 v163, 0x80000000, v160
	s_delay_alu instid0(VALU_DEP_3) | instskip(SKIP_2) | instid1(VALU_DEP_2)
	v_cndmask_b32_e64 v166, v158, v161, s3
	v_cmp_gt_f64_e64 s3, 0, v[159:160]
	v_cndmask_b32_e32 v161, v140, v140, vcc_lo
	v_cndmask_b32_e64 v168, v160, v163, s3
	v_cndmask_b32_e64 v163, v142, v142, s2
	s_delay_alu instid0(VALU_DEP_2) | instskip(NEXT) | instid1(VALU_DEP_2)
	v_add_f64 v[165:166], v[165:166], v[167:168]
	v_add_f64 v[161:162], v[161:162], v[163:164]
	s_delay_alu instid0(VALU_DEP_1) | instskip(SKIP_4) | instid1(SALU_CYCLE_1)
	v_cmp_lt_f64_e32 vcc_lo, v[161:162], v[165:166]
	v_dual_cndmask_b32 v142, v142, v159 :: v_dual_cndmask_b32 v141, v141, v158
	v_dual_cndmask_b32 v140, v140, v157 :: v_dual_cndmask_b32 v143, v143, v160
	v_cndmask_b32_e64 v148, v148, s6, vcc_lo
	s_add_i32 s6, s6, 1
	s_cmp_lg_u32 s5, s6
	s_cbranch_scc1 .LBB68_421
.LBB68_422:
	s_set_inst_prefetch_distance 0x2
	s_waitcnt lgkmcnt(0)
	v_cmp_eq_f64_e32 vcc_lo, 0, v[140:141]
	v_cmp_eq_f64_e64 s2, 0, v[142:143]
	s_delay_alu instid0(VALU_DEP_1) | instskip(NEXT) | instid1(SALU_CYCLE_1)
	s_and_b32 s2, vcc_lo, s2
	s_and_saveexec_b32 s3, s2
	s_delay_alu instid0(SALU_CYCLE_1)
	s_xor_b32 s2, exec_lo, s3
; %bb.423:
	v_cmp_ne_u32_e32 vcc_lo, 0, v153
	v_cndmask_b32_e32 v153, 21, v153, vcc_lo
; %bb.424:
	s_and_not1_saveexec_b32 s3, s2
	s_cbranch_execz .LBB68_430
; %bb.425:
	v_cmp_gt_f64_e32 vcc_lo, 0, v[140:141]
	v_cmp_gt_f64_e64 s2, 0, v[142:143]
	v_xor_b32_e32 v149, 0x80000000, v141
	v_xor_b32_e32 v157, 0x80000000, v143
	s_delay_alu instid0(VALU_DEP_2) | instskip(NEXT) | instid1(VALU_DEP_2)
	v_cndmask_b32_e32 v158, v141, v149, vcc_lo
	v_cndmask_b32_e64 v160, v143, v157, s2
	v_cndmask_b32_e32 v157, v140, v140, vcc_lo
	v_cndmask_b32_e64 v159, v142, v142, s2
	s_mov_b32 s2, exec_lo
	s_delay_alu instid0(VALU_DEP_1)
	v_cmpx_ngt_f64_e32 v[157:158], v[159:160]
	s_xor_b32 s2, exec_lo, s2
	s_cbranch_execz .LBB68_427
; %bb.426:
	v_div_scale_f64 v[157:158], null, v[142:143], v[142:143], v[140:141]
	v_div_scale_f64 v[163:164], vcc_lo, v[140:141], v[142:143], v[140:141]
	s_delay_alu instid0(VALU_DEP_2) | instskip(SKIP_2) | instid1(VALU_DEP_1)
	v_rcp_f64_e32 v[159:160], v[157:158]
	s_waitcnt_depctr 0xfff
	v_fma_f64 v[161:162], -v[157:158], v[159:160], 1.0
	v_fma_f64 v[159:160], v[159:160], v[161:162], v[159:160]
	s_delay_alu instid0(VALU_DEP_1) | instskip(NEXT) | instid1(VALU_DEP_1)
	v_fma_f64 v[161:162], -v[157:158], v[159:160], 1.0
	v_fma_f64 v[159:160], v[159:160], v[161:162], v[159:160]
	s_delay_alu instid0(VALU_DEP_1) | instskip(NEXT) | instid1(VALU_DEP_1)
	v_mul_f64 v[161:162], v[163:164], v[159:160]
	v_fma_f64 v[157:158], -v[157:158], v[161:162], v[163:164]
	s_delay_alu instid0(VALU_DEP_1) | instskip(NEXT) | instid1(VALU_DEP_1)
	v_div_fmas_f64 v[157:158], v[157:158], v[159:160], v[161:162]
	v_div_fixup_f64 v[157:158], v[157:158], v[142:143], v[140:141]
	s_delay_alu instid0(VALU_DEP_1) | instskip(NEXT) | instid1(VALU_DEP_1)
	v_fma_f64 v[140:141], v[140:141], v[157:158], v[142:143]
	v_div_scale_f64 v[142:143], null, v[140:141], v[140:141], 1.0
	s_delay_alu instid0(VALU_DEP_1) | instskip(SKIP_2) | instid1(VALU_DEP_1)
	v_rcp_f64_e32 v[159:160], v[142:143]
	s_waitcnt_depctr 0xfff
	v_fma_f64 v[161:162], -v[142:143], v[159:160], 1.0
	v_fma_f64 v[159:160], v[159:160], v[161:162], v[159:160]
	s_delay_alu instid0(VALU_DEP_1) | instskip(NEXT) | instid1(VALU_DEP_1)
	v_fma_f64 v[161:162], -v[142:143], v[159:160], 1.0
	v_fma_f64 v[159:160], v[159:160], v[161:162], v[159:160]
	v_div_scale_f64 v[161:162], vcc_lo, 1.0, v[140:141], 1.0
	s_delay_alu instid0(VALU_DEP_1) | instskip(NEXT) | instid1(VALU_DEP_1)
	v_mul_f64 v[163:164], v[161:162], v[159:160]
	v_fma_f64 v[142:143], -v[142:143], v[163:164], v[161:162]
	s_delay_alu instid0(VALU_DEP_1) | instskip(NEXT) | instid1(VALU_DEP_1)
	v_div_fmas_f64 v[142:143], v[142:143], v[159:160], v[163:164]
	v_div_fixup_f64 v[142:143], v[142:143], v[140:141], 1.0
	s_delay_alu instid0(VALU_DEP_1)
	v_mul_f64 v[140:141], v[157:158], v[142:143]
	v_xor_b32_e32 v143, 0x80000000, v143
.LBB68_427:
	s_and_not1_saveexec_b32 s2, s2
	s_cbranch_execz .LBB68_429
; %bb.428:
	s_delay_alu instid0(VALU_DEP_1) | instskip(SKIP_1) | instid1(VALU_DEP_2)
	v_div_scale_f64 v[157:158], null, v[140:141], v[140:141], v[142:143]
	v_div_scale_f64 v[163:164], vcc_lo, v[142:143], v[140:141], v[142:143]
	v_rcp_f64_e32 v[159:160], v[157:158]
	s_waitcnt_depctr 0xfff
	v_fma_f64 v[161:162], -v[157:158], v[159:160], 1.0
	s_delay_alu instid0(VALU_DEP_1) | instskip(NEXT) | instid1(VALU_DEP_1)
	v_fma_f64 v[159:160], v[159:160], v[161:162], v[159:160]
	v_fma_f64 v[161:162], -v[157:158], v[159:160], 1.0
	s_delay_alu instid0(VALU_DEP_1) | instskip(NEXT) | instid1(VALU_DEP_1)
	v_fma_f64 v[159:160], v[159:160], v[161:162], v[159:160]
	v_mul_f64 v[161:162], v[163:164], v[159:160]
	s_delay_alu instid0(VALU_DEP_1) | instskip(NEXT) | instid1(VALU_DEP_1)
	v_fma_f64 v[157:158], -v[157:158], v[161:162], v[163:164]
	v_div_fmas_f64 v[157:158], v[157:158], v[159:160], v[161:162]
	s_delay_alu instid0(VALU_DEP_1) | instskip(NEXT) | instid1(VALU_DEP_1)
	v_div_fixup_f64 v[157:158], v[157:158], v[140:141], v[142:143]
	v_fma_f64 v[140:141], v[142:143], v[157:158], v[140:141]
	s_delay_alu instid0(VALU_DEP_1) | instskip(NEXT) | instid1(VALU_DEP_1)
	v_div_scale_f64 v[142:143], null, v[140:141], v[140:141], 1.0
	v_rcp_f64_e32 v[159:160], v[142:143]
	s_waitcnt_depctr 0xfff
	v_fma_f64 v[161:162], -v[142:143], v[159:160], 1.0
	s_delay_alu instid0(VALU_DEP_1) | instskip(NEXT) | instid1(VALU_DEP_1)
	v_fma_f64 v[159:160], v[159:160], v[161:162], v[159:160]
	v_fma_f64 v[161:162], -v[142:143], v[159:160], 1.0
	s_delay_alu instid0(VALU_DEP_1) | instskip(SKIP_1) | instid1(VALU_DEP_1)
	v_fma_f64 v[159:160], v[159:160], v[161:162], v[159:160]
	v_div_scale_f64 v[161:162], vcc_lo, 1.0, v[140:141], 1.0
	v_mul_f64 v[163:164], v[161:162], v[159:160]
	s_delay_alu instid0(VALU_DEP_1) | instskip(NEXT) | instid1(VALU_DEP_1)
	v_fma_f64 v[142:143], -v[142:143], v[163:164], v[161:162]
	v_div_fmas_f64 v[142:143], v[142:143], v[159:160], v[163:164]
	s_delay_alu instid0(VALU_DEP_1) | instskip(NEXT) | instid1(VALU_DEP_1)
	v_div_fixup_f64 v[140:141], v[142:143], v[140:141], 1.0
	v_mul_f64 v[142:143], v[157:158], -v[140:141]
.LBB68_429:
	s_or_b32 exec_lo, exec_lo, s2
.LBB68_430:
	s_delay_alu instid0(SALU_CYCLE_1) | instskip(NEXT) | instid1(SALU_CYCLE_1)
	s_or_b32 exec_lo, exec_lo, s3
	s_mov_b32 s2, exec_lo
	v_cmpx_ne_u32_e64 v156, v148
	s_xor_b32 s2, exec_lo, s2
	s_cbranch_execz .LBB68_436
; %bb.431:
	s_mov_b32 s3, exec_lo
	v_cmpx_eq_u32_e32 20, v156
	s_cbranch_execz .LBB68_435
; %bb.432:
	v_cmp_ne_u32_e32 vcc_lo, 20, v148
	s_xor_b32 s6, s4, -1
	s_delay_alu instid0(SALU_CYCLE_1) | instskip(NEXT) | instid1(SALU_CYCLE_1)
	s_and_b32 s7, s6, vcc_lo
	s_and_saveexec_b32 s6, s7
	s_cbranch_execz .LBB68_434
; %bb.433:
	v_ashrrev_i32_e32 v149, 31, v148
	s_delay_alu instid0(VALU_DEP_1) | instskip(NEXT) | instid1(VALU_DEP_1)
	v_lshlrev_b64 v[156:157], 2, v[148:149]
	v_add_co_u32 v156, vcc_lo, v146, v156
	s_delay_alu instid0(VALU_DEP_2)
	v_add_co_ci_u32_e32 v157, vcc_lo, v147, v157, vcc_lo
	s_clause 0x1
	flat_load_b32 v149, v[156:157]
	flat_load_b32 v154, v[146:147] offset:80
	s_waitcnt vmcnt(1) lgkmcnt(1)
	flat_store_b32 v[146:147], v149 offset:80
	s_waitcnt vmcnt(0) lgkmcnt(1)
	flat_store_b32 v[156:157], v154
.LBB68_434:
	s_or_b32 exec_lo, exec_lo, s6
	v_mov_b32_e32 v156, v148
	v_mov_b32_e32 v154, v148
.LBB68_435:
	s_or_b32 exec_lo, exec_lo, s3
.LBB68_436:
	s_and_not1_saveexec_b32 s2, s2
	s_cbranch_execz .LBB68_438
; %bb.437:
	v_mov_b32_e32 v156, 20
	ds_store_2addr_b64 v150, v[60:61], v[62:63] offset0:42 offset1:43
	ds_store_2addr_b64 v150, v[56:57], v[58:59] offset0:44 offset1:45
	;; [unrolled: 1-line block ×14, first 2 shown]
.LBB68_438:
	s_or_b32 exec_lo, exec_lo, s2
	s_delay_alu instid0(SALU_CYCLE_1)
	s_mov_b32 s2, exec_lo
	s_waitcnt lgkmcnt(0)
	s_waitcnt_vscnt null, 0x0
	s_barrier
	buffer_gl0_inv
	v_cmpx_lt_i32_e32 20, v156
	s_cbranch_execz .LBB68_440
; %bb.439:
	v_mul_f64 v[148:149], v[140:141], v[66:67]
	v_mul_f64 v[66:67], v[142:143], v[66:67]
	s_delay_alu instid0(VALU_DEP_2) | instskip(NEXT) | instid1(VALU_DEP_2)
	v_fma_f64 v[148:149], v[142:143], v[64:65], v[148:149]
	v_fma_f64 v[64:65], v[140:141], v[64:65], -v[66:67]
	ds_load_2addr_b64 v[140:143], v150 offset0:42 offset1:43
	s_waitcnt lgkmcnt(0)
	v_mul_f64 v[66:67], v[142:143], v[148:149]
	s_delay_alu instid0(VALU_DEP_1) | instskip(SKIP_1) | instid1(VALU_DEP_2)
	v_fma_f64 v[66:67], v[140:141], v[64:65], -v[66:67]
	v_mul_f64 v[140:141], v[140:141], v[148:149]
	v_add_f64 v[60:61], v[60:61], -v[66:67]
	s_delay_alu instid0(VALU_DEP_2) | instskip(NEXT) | instid1(VALU_DEP_1)
	v_fma_f64 v[140:141], v[142:143], v[64:65], v[140:141]
	v_add_f64 v[62:63], v[62:63], -v[140:141]
	ds_load_2addr_b64 v[140:143], v150 offset0:44 offset1:45
	s_waitcnt lgkmcnt(0)
	v_mul_f64 v[66:67], v[142:143], v[148:149]
	s_delay_alu instid0(VALU_DEP_1) | instskip(SKIP_1) | instid1(VALU_DEP_2)
	v_fma_f64 v[66:67], v[140:141], v[64:65], -v[66:67]
	v_mul_f64 v[140:141], v[140:141], v[148:149]
	v_add_f64 v[56:57], v[56:57], -v[66:67]
	s_delay_alu instid0(VALU_DEP_2) | instskip(NEXT) | instid1(VALU_DEP_1)
	v_fma_f64 v[140:141], v[142:143], v[64:65], v[140:141]
	v_add_f64 v[58:59], v[58:59], -v[140:141]
	ds_load_2addr_b64 v[140:143], v150 offset0:46 offset1:47
	s_waitcnt lgkmcnt(0)
	v_mul_f64 v[66:67], v[142:143], v[148:149]
	s_delay_alu instid0(VALU_DEP_1) | instskip(SKIP_1) | instid1(VALU_DEP_2)
	v_fma_f64 v[66:67], v[140:141], v[64:65], -v[66:67]
	v_mul_f64 v[140:141], v[140:141], v[148:149]
	v_add_f64 v[44:45], v[44:45], -v[66:67]
	s_delay_alu instid0(VALU_DEP_2) | instskip(NEXT) | instid1(VALU_DEP_1)
	v_fma_f64 v[140:141], v[142:143], v[64:65], v[140:141]
	v_add_f64 v[46:47], v[46:47], -v[140:141]
	ds_load_2addr_b64 v[140:143], v150 offset0:48 offset1:49
	s_waitcnt lgkmcnt(0)
	v_mul_f64 v[66:67], v[142:143], v[148:149]
	s_delay_alu instid0(VALU_DEP_1) | instskip(SKIP_1) | instid1(VALU_DEP_2)
	v_fma_f64 v[66:67], v[140:141], v[64:65], -v[66:67]
	v_mul_f64 v[140:141], v[140:141], v[148:149]
	v_add_f64 v[40:41], v[40:41], -v[66:67]
	s_delay_alu instid0(VALU_DEP_2) | instskip(NEXT) | instid1(VALU_DEP_1)
	v_fma_f64 v[140:141], v[142:143], v[64:65], v[140:141]
	v_add_f64 v[42:43], v[42:43], -v[140:141]
	ds_load_2addr_b64 v[140:143], v150 offset0:50 offset1:51
	s_waitcnt lgkmcnt(0)
	v_mul_f64 v[66:67], v[142:143], v[148:149]
	s_delay_alu instid0(VALU_DEP_1) | instskip(SKIP_1) | instid1(VALU_DEP_2)
	v_fma_f64 v[66:67], v[140:141], v[64:65], -v[66:67]
	v_mul_f64 v[140:141], v[140:141], v[148:149]
	v_add_f64 v[36:37], v[36:37], -v[66:67]
	s_delay_alu instid0(VALU_DEP_2) | instskip(NEXT) | instid1(VALU_DEP_1)
	v_fma_f64 v[140:141], v[142:143], v[64:65], v[140:141]
	v_add_f64 v[38:39], v[38:39], -v[140:141]
	ds_load_2addr_b64 v[140:143], v150 offset0:52 offset1:53
	s_waitcnt lgkmcnt(0)
	v_mul_f64 v[66:67], v[142:143], v[148:149]
	s_delay_alu instid0(VALU_DEP_1) | instskip(SKIP_1) | instid1(VALU_DEP_2)
	v_fma_f64 v[66:67], v[140:141], v[64:65], -v[66:67]
	v_mul_f64 v[140:141], v[140:141], v[148:149]
	v_add_f64 v[32:33], v[32:33], -v[66:67]
	s_delay_alu instid0(VALU_DEP_2) | instskip(NEXT) | instid1(VALU_DEP_1)
	v_fma_f64 v[140:141], v[142:143], v[64:65], v[140:141]
	v_add_f64 v[34:35], v[34:35], -v[140:141]
	ds_load_2addr_b64 v[140:143], v150 offset0:54 offset1:55
	s_waitcnt lgkmcnt(0)
	v_mul_f64 v[66:67], v[142:143], v[148:149]
	s_delay_alu instid0(VALU_DEP_1) | instskip(SKIP_1) | instid1(VALU_DEP_2)
	v_fma_f64 v[66:67], v[140:141], v[64:65], -v[66:67]
	v_mul_f64 v[140:141], v[140:141], v[148:149]
	v_add_f64 v[28:29], v[28:29], -v[66:67]
	s_delay_alu instid0(VALU_DEP_2) | instskip(NEXT) | instid1(VALU_DEP_1)
	v_fma_f64 v[140:141], v[142:143], v[64:65], v[140:141]
	v_add_f64 v[30:31], v[30:31], -v[140:141]
	ds_load_2addr_b64 v[140:143], v150 offset0:56 offset1:57
	s_waitcnt lgkmcnt(0)
	v_mul_f64 v[66:67], v[142:143], v[148:149]
	s_delay_alu instid0(VALU_DEP_1) | instskip(SKIP_1) | instid1(VALU_DEP_2)
	v_fma_f64 v[66:67], v[140:141], v[64:65], -v[66:67]
	v_mul_f64 v[140:141], v[140:141], v[148:149]
	v_add_f64 v[24:25], v[24:25], -v[66:67]
	s_delay_alu instid0(VALU_DEP_2) | instskip(NEXT) | instid1(VALU_DEP_1)
	v_fma_f64 v[140:141], v[142:143], v[64:65], v[140:141]
	v_add_f64 v[26:27], v[26:27], -v[140:141]
	ds_load_2addr_b64 v[140:143], v150 offset0:58 offset1:59
	s_waitcnt lgkmcnt(0)
	v_mul_f64 v[66:67], v[142:143], v[148:149]
	s_delay_alu instid0(VALU_DEP_1) | instskip(SKIP_1) | instid1(VALU_DEP_2)
	v_fma_f64 v[66:67], v[140:141], v[64:65], -v[66:67]
	v_mul_f64 v[140:141], v[140:141], v[148:149]
	v_add_f64 v[20:21], v[20:21], -v[66:67]
	s_delay_alu instid0(VALU_DEP_2) | instskip(NEXT) | instid1(VALU_DEP_1)
	v_fma_f64 v[140:141], v[142:143], v[64:65], v[140:141]
	v_add_f64 v[22:23], v[22:23], -v[140:141]
	ds_load_2addr_b64 v[140:143], v150 offset0:60 offset1:61
	s_waitcnt lgkmcnt(0)
	v_mul_f64 v[66:67], v[142:143], v[148:149]
	s_delay_alu instid0(VALU_DEP_1) | instskip(SKIP_1) | instid1(VALU_DEP_2)
	v_fma_f64 v[66:67], v[140:141], v[64:65], -v[66:67]
	v_mul_f64 v[140:141], v[140:141], v[148:149]
	v_add_f64 v[16:17], v[16:17], -v[66:67]
	s_delay_alu instid0(VALU_DEP_2) | instskip(NEXT) | instid1(VALU_DEP_1)
	v_fma_f64 v[140:141], v[142:143], v[64:65], v[140:141]
	v_add_f64 v[18:19], v[18:19], -v[140:141]
	ds_load_2addr_b64 v[140:143], v150 offset0:62 offset1:63
	s_waitcnt lgkmcnt(0)
	v_mul_f64 v[66:67], v[142:143], v[148:149]
	s_delay_alu instid0(VALU_DEP_1) | instskip(SKIP_1) | instid1(VALU_DEP_2)
	v_fma_f64 v[66:67], v[140:141], v[64:65], -v[66:67]
	v_mul_f64 v[140:141], v[140:141], v[148:149]
	v_add_f64 v[12:13], v[12:13], -v[66:67]
	s_delay_alu instid0(VALU_DEP_2) | instskip(NEXT) | instid1(VALU_DEP_1)
	v_fma_f64 v[140:141], v[142:143], v[64:65], v[140:141]
	v_add_f64 v[14:15], v[14:15], -v[140:141]
	ds_load_2addr_b64 v[140:143], v150 offset0:64 offset1:65
	s_waitcnt lgkmcnt(0)
	v_mul_f64 v[66:67], v[142:143], v[148:149]
	s_delay_alu instid0(VALU_DEP_1) | instskip(SKIP_1) | instid1(VALU_DEP_2)
	v_fma_f64 v[66:67], v[140:141], v[64:65], -v[66:67]
	v_mul_f64 v[140:141], v[140:141], v[148:149]
	v_add_f64 v[8:9], v[8:9], -v[66:67]
	s_delay_alu instid0(VALU_DEP_2) | instskip(NEXT) | instid1(VALU_DEP_1)
	v_fma_f64 v[140:141], v[142:143], v[64:65], v[140:141]
	v_add_f64 v[10:11], v[10:11], -v[140:141]
	ds_load_2addr_b64 v[140:143], v150 offset0:66 offset1:67
	s_waitcnt lgkmcnt(0)
	v_mul_f64 v[66:67], v[142:143], v[148:149]
	s_delay_alu instid0(VALU_DEP_1) | instskip(SKIP_1) | instid1(VALU_DEP_2)
	v_fma_f64 v[66:67], v[140:141], v[64:65], -v[66:67]
	v_mul_f64 v[140:141], v[140:141], v[148:149]
	v_add_f64 v[4:5], v[4:5], -v[66:67]
	s_delay_alu instid0(VALU_DEP_2) | instskip(NEXT) | instid1(VALU_DEP_1)
	v_fma_f64 v[140:141], v[142:143], v[64:65], v[140:141]
	v_add_f64 v[6:7], v[6:7], -v[140:141]
	ds_load_2addr_b64 v[140:143], v150 offset0:68 offset1:69
	s_waitcnt lgkmcnt(0)
	v_mul_f64 v[66:67], v[142:143], v[148:149]
	s_delay_alu instid0(VALU_DEP_1) | instskip(SKIP_1) | instid1(VALU_DEP_2)
	v_fma_f64 v[66:67], v[140:141], v[64:65], -v[66:67]
	v_mul_f64 v[140:141], v[140:141], v[148:149]
	v_add_f64 v[0:1], v[0:1], -v[66:67]
	s_delay_alu instid0(VALU_DEP_2) | instskip(SKIP_1) | instid1(VALU_DEP_2)
	v_fma_f64 v[140:141], v[142:143], v[64:65], v[140:141]
	v_dual_mov_b32 v66, v148 :: v_dual_mov_b32 v67, v149
	v_add_f64 v[2:3], v[2:3], -v[140:141]
.LBB68_440:
	s_or_b32 exec_lo, exec_lo, s2
	v_lshl_add_u32 v140, v156, 4, v150
	s_barrier
	buffer_gl0_inv
	v_mov_b32_e32 v148, 21
	ds_store_2addr_b64 v140, v[60:61], v[62:63] offset1:1
	s_waitcnt lgkmcnt(0)
	s_barrier
	buffer_gl0_inv
	ds_load_2addr_b64 v[140:143], v150 offset0:42 offset1:43
	s_cmp_lt_i32 s5, 23
	s_cbranch_scc1 .LBB68_443
; %bb.441:
	v_add3_u32 v149, v155, 0, 0x160
	v_mov_b32_e32 v148, 21
	s_mov_b32 s6, 22
	s_set_inst_prefetch_distance 0x1
	.p2align	6
.LBB68_442:                             ; =>This Inner Loop Header: Depth=1
	ds_load_2addr_b64 v[157:160], v149 offset1:1
	s_waitcnt lgkmcnt(1)
	v_cmp_gt_f64_e32 vcc_lo, 0, v[140:141]
	v_xor_b32_e32 v161, 0x80000000, v141
	v_cmp_gt_f64_e64 s2, 0, v[142:143]
	v_xor_b32_e32 v163, 0x80000000, v143
	v_add_nc_u32_e32 v149, 16, v149
	s_waitcnt lgkmcnt(0)
	v_cmp_gt_f64_e64 s3, 0, v[157:158]
	v_mov_b32_e32 v165, v157
	v_dual_mov_b32 v167, v159 :: v_dual_cndmask_b32 v162, v141, v161
	v_xor_b32_e32 v161, 0x80000000, v158
	v_cndmask_b32_e64 v164, v143, v163, s2
	v_xor_b32_e32 v163, 0x80000000, v160
	s_delay_alu instid0(VALU_DEP_3) | instskip(SKIP_2) | instid1(VALU_DEP_2)
	v_cndmask_b32_e64 v166, v158, v161, s3
	v_cmp_gt_f64_e64 s3, 0, v[159:160]
	v_cndmask_b32_e32 v161, v140, v140, vcc_lo
	v_cndmask_b32_e64 v168, v160, v163, s3
	v_cndmask_b32_e64 v163, v142, v142, s2
	s_delay_alu instid0(VALU_DEP_2) | instskip(NEXT) | instid1(VALU_DEP_2)
	v_add_f64 v[165:166], v[165:166], v[167:168]
	v_add_f64 v[161:162], v[161:162], v[163:164]
	s_delay_alu instid0(VALU_DEP_1) | instskip(SKIP_4) | instid1(SALU_CYCLE_1)
	v_cmp_lt_f64_e32 vcc_lo, v[161:162], v[165:166]
	v_dual_cndmask_b32 v142, v142, v159 :: v_dual_cndmask_b32 v141, v141, v158
	v_dual_cndmask_b32 v140, v140, v157 :: v_dual_cndmask_b32 v143, v143, v160
	v_cndmask_b32_e64 v148, v148, s6, vcc_lo
	s_add_i32 s6, s6, 1
	s_cmp_lg_u32 s5, s6
	s_cbranch_scc1 .LBB68_442
.LBB68_443:
	s_set_inst_prefetch_distance 0x2
	s_waitcnt lgkmcnt(0)
	v_cmp_eq_f64_e32 vcc_lo, 0, v[140:141]
	v_cmp_eq_f64_e64 s2, 0, v[142:143]
	s_delay_alu instid0(VALU_DEP_1) | instskip(NEXT) | instid1(SALU_CYCLE_1)
	s_and_b32 s2, vcc_lo, s2
	s_and_saveexec_b32 s3, s2
	s_delay_alu instid0(SALU_CYCLE_1)
	s_xor_b32 s2, exec_lo, s3
; %bb.444:
	v_cmp_ne_u32_e32 vcc_lo, 0, v153
	v_cndmask_b32_e32 v153, 22, v153, vcc_lo
; %bb.445:
	s_and_not1_saveexec_b32 s3, s2
	s_cbranch_execz .LBB68_451
; %bb.446:
	v_cmp_gt_f64_e32 vcc_lo, 0, v[140:141]
	v_cmp_gt_f64_e64 s2, 0, v[142:143]
	v_xor_b32_e32 v149, 0x80000000, v141
	v_xor_b32_e32 v157, 0x80000000, v143
	s_delay_alu instid0(VALU_DEP_2) | instskip(NEXT) | instid1(VALU_DEP_2)
	v_cndmask_b32_e32 v158, v141, v149, vcc_lo
	v_cndmask_b32_e64 v160, v143, v157, s2
	v_cndmask_b32_e32 v157, v140, v140, vcc_lo
	v_cndmask_b32_e64 v159, v142, v142, s2
	s_mov_b32 s2, exec_lo
	s_delay_alu instid0(VALU_DEP_1)
	v_cmpx_ngt_f64_e32 v[157:158], v[159:160]
	s_xor_b32 s2, exec_lo, s2
	s_cbranch_execz .LBB68_448
; %bb.447:
	v_div_scale_f64 v[157:158], null, v[142:143], v[142:143], v[140:141]
	v_div_scale_f64 v[163:164], vcc_lo, v[140:141], v[142:143], v[140:141]
	s_delay_alu instid0(VALU_DEP_2) | instskip(SKIP_2) | instid1(VALU_DEP_1)
	v_rcp_f64_e32 v[159:160], v[157:158]
	s_waitcnt_depctr 0xfff
	v_fma_f64 v[161:162], -v[157:158], v[159:160], 1.0
	v_fma_f64 v[159:160], v[159:160], v[161:162], v[159:160]
	s_delay_alu instid0(VALU_DEP_1) | instskip(NEXT) | instid1(VALU_DEP_1)
	v_fma_f64 v[161:162], -v[157:158], v[159:160], 1.0
	v_fma_f64 v[159:160], v[159:160], v[161:162], v[159:160]
	s_delay_alu instid0(VALU_DEP_1) | instskip(NEXT) | instid1(VALU_DEP_1)
	v_mul_f64 v[161:162], v[163:164], v[159:160]
	v_fma_f64 v[157:158], -v[157:158], v[161:162], v[163:164]
	s_delay_alu instid0(VALU_DEP_1) | instskip(NEXT) | instid1(VALU_DEP_1)
	v_div_fmas_f64 v[157:158], v[157:158], v[159:160], v[161:162]
	v_div_fixup_f64 v[157:158], v[157:158], v[142:143], v[140:141]
	s_delay_alu instid0(VALU_DEP_1) | instskip(NEXT) | instid1(VALU_DEP_1)
	v_fma_f64 v[140:141], v[140:141], v[157:158], v[142:143]
	v_div_scale_f64 v[142:143], null, v[140:141], v[140:141], 1.0
	s_delay_alu instid0(VALU_DEP_1) | instskip(SKIP_2) | instid1(VALU_DEP_1)
	v_rcp_f64_e32 v[159:160], v[142:143]
	s_waitcnt_depctr 0xfff
	v_fma_f64 v[161:162], -v[142:143], v[159:160], 1.0
	v_fma_f64 v[159:160], v[159:160], v[161:162], v[159:160]
	s_delay_alu instid0(VALU_DEP_1) | instskip(NEXT) | instid1(VALU_DEP_1)
	v_fma_f64 v[161:162], -v[142:143], v[159:160], 1.0
	v_fma_f64 v[159:160], v[159:160], v[161:162], v[159:160]
	v_div_scale_f64 v[161:162], vcc_lo, 1.0, v[140:141], 1.0
	s_delay_alu instid0(VALU_DEP_1) | instskip(NEXT) | instid1(VALU_DEP_1)
	v_mul_f64 v[163:164], v[161:162], v[159:160]
	v_fma_f64 v[142:143], -v[142:143], v[163:164], v[161:162]
	s_delay_alu instid0(VALU_DEP_1) | instskip(NEXT) | instid1(VALU_DEP_1)
	v_div_fmas_f64 v[142:143], v[142:143], v[159:160], v[163:164]
	v_div_fixup_f64 v[142:143], v[142:143], v[140:141], 1.0
	s_delay_alu instid0(VALU_DEP_1)
	v_mul_f64 v[140:141], v[157:158], v[142:143]
	v_xor_b32_e32 v143, 0x80000000, v143
.LBB68_448:
	s_and_not1_saveexec_b32 s2, s2
	s_cbranch_execz .LBB68_450
; %bb.449:
	s_delay_alu instid0(VALU_DEP_1) | instskip(SKIP_1) | instid1(VALU_DEP_2)
	v_div_scale_f64 v[157:158], null, v[140:141], v[140:141], v[142:143]
	v_div_scale_f64 v[163:164], vcc_lo, v[142:143], v[140:141], v[142:143]
	v_rcp_f64_e32 v[159:160], v[157:158]
	s_waitcnt_depctr 0xfff
	v_fma_f64 v[161:162], -v[157:158], v[159:160], 1.0
	s_delay_alu instid0(VALU_DEP_1) | instskip(NEXT) | instid1(VALU_DEP_1)
	v_fma_f64 v[159:160], v[159:160], v[161:162], v[159:160]
	v_fma_f64 v[161:162], -v[157:158], v[159:160], 1.0
	s_delay_alu instid0(VALU_DEP_1) | instskip(NEXT) | instid1(VALU_DEP_1)
	v_fma_f64 v[159:160], v[159:160], v[161:162], v[159:160]
	v_mul_f64 v[161:162], v[163:164], v[159:160]
	s_delay_alu instid0(VALU_DEP_1) | instskip(NEXT) | instid1(VALU_DEP_1)
	v_fma_f64 v[157:158], -v[157:158], v[161:162], v[163:164]
	v_div_fmas_f64 v[157:158], v[157:158], v[159:160], v[161:162]
	s_delay_alu instid0(VALU_DEP_1) | instskip(NEXT) | instid1(VALU_DEP_1)
	v_div_fixup_f64 v[157:158], v[157:158], v[140:141], v[142:143]
	v_fma_f64 v[140:141], v[142:143], v[157:158], v[140:141]
	s_delay_alu instid0(VALU_DEP_1) | instskip(NEXT) | instid1(VALU_DEP_1)
	v_div_scale_f64 v[142:143], null, v[140:141], v[140:141], 1.0
	v_rcp_f64_e32 v[159:160], v[142:143]
	s_waitcnt_depctr 0xfff
	v_fma_f64 v[161:162], -v[142:143], v[159:160], 1.0
	s_delay_alu instid0(VALU_DEP_1) | instskip(NEXT) | instid1(VALU_DEP_1)
	v_fma_f64 v[159:160], v[159:160], v[161:162], v[159:160]
	v_fma_f64 v[161:162], -v[142:143], v[159:160], 1.0
	s_delay_alu instid0(VALU_DEP_1) | instskip(SKIP_1) | instid1(VALU_DEP_1)
	v_fma_f64 v[159:160], v[159:160], v[161:162], v[159:160]
	v_div_scale_f64 v[161:162], vcc_lo, 1.0, v[140:141], 1.0
	v_mul_f64 v[163:164], v[161:162], v[159:160]
	s_delay_alu instid0(VALU_DEP_1) | instskip(NEXT) | instid1(VALU_DEP_1)
	v_fma_f64 v[142:143], -v[142:143], v[163:164], v[161:162]
	v_div_fmas_f64 v[142:143], v[142:143], v[159:160], v[163:164]
	s_delay_alu instid0(VALU_DEP_1) | instskip(NEXT) | instid1(VALU_DEP_1)
	v_div_fixup_f64 v[140:141], v[142:143], v[140:141], 1.0
	v_mul_f64 v[142:143], v[157:158], -v[140:141]
.LBB68_450:
	s_or_b32 exec_lo, exec_lo, s2
.LBB68_451:
	s_delay_alu instid0(SALU_CYCLE_1) | instskip(NEXT) | instid1(SALU_CYCLE_1)
	s_or_b32 exec_lo, exec_lo, s3
	s_mov_b32 s2, exec_lo
	v_cmpx_ne_u32_e64 v156, v148
	s_xor_b32 s2, exec_lo, s2
	s_cbranch_execz .LBB68_457
; %bb.452:
	s_mov_b32 s3, exec_lo
	v_cmpx_eq_u32_e32 21, v156
	s_cbranch_execz .LBB68_456
; %bb.453:
	v_cmp_ne_u32_e32 vcc_lo, 21, v148
	s_xor_b32 s6, s4, -1
	s_delay_alu instid0(SALU_CYCLE_1) | instskip(NEXT) | instid1(SALU_CYCLE_1)
	s_and_b32 s7, s6, vcc_lo
	s_and_saveexec_b32 s6, s7
	s_cbranch_execz .LBB68_455
; %bb.454:
	v_ashrrev_i32_e32 v149, 31, v148
	s_delay_alu instid0(VALU_DEP_1) | instskip(NEXT) | instid1(VALU_DEP_1)
	v_lshlrev_b64 v[156:157], 2, v[148:149]
	v_add_co_u32 v156, vcc_lo, v146, v156
	s_delay_alu instid0(VALU_DEP_2)
	v_add_co_ci_u32_e32 v157, vcc_lo, v147, v157, vcc_lo
	s_clause 0x1
	flat_load_b32 v149, v[156:157]
	flat_load_b32 v154, v[146:147] offset:84
	s_waitcnt vmcnt(1) lgkmcnt(1)
	flat_store_b32 v[146:147], v149 offset:84
	s_waitcnt vmcnt(0) lgkmcnt(1)
	flat_store_b32 v[156:157], v154
.LBB68_455:
	s_or_b32 exec_lo, exec_lo, s6
	v_mov_b32_e32 v156, v148
	v_mov_b32_e32 v154, v148
.LBB68_456:
	s_or_b32 exec_lo, exec_lo, s3
.LBB68_457:
	s_and_not1_saveexec_b32 s2, s2
	s_cbranch_execz .LBB68_459
; %bb.458:
	v_mov_b32_e32 v156, 21
	ds_store_2addr_b64 v150, v[56:57], v[58:59] offset0:44 offset1:45
	ds_store_2addr_b64 v150, v[44:45], v[46:47] offset0:46 offset1:47
	;; [unrolled: 1-line block ×13, first 2 shown]
.LBB68_459:
	s_or_b32 exec_lo, exec_lo, s2
	s_delay_alu instid0(SALU_CYCLE_1)
	s_mov_b32 s2, exec_lo
	s_waitcnt lgkmcnt(0)
	s_waitcnt_vscnt null, 0x0
	s_barrier
	buffer_gl0_inv
	v_cmpx_lt_i32_e32 21, v156
	s_cbranch_execz .LBB68_461
; %bb.460:
	v_mul_f64 v[148:149], v[140:141], v[62:63]
	v_mul_f64 v[62:63], v[142:143], v[62:63]
	s_delay_alu instid0(VALU_DEP_2) | instskip(NEXT) | instid1(VALU_DEP_2)
	v_fma_f64 v[148:149], v[142:143], v[60:61], v[148:149]
	v_fma_f64 v[60:61], v[140:141], v[60:61], -v[62:63]
	ds_load_2addr_b64 v[140:143], v150 offset0:44 offset1:45
	s_waitcnt lgkmcnt(0)
	v_mul_f64 v[62:63], v[142:143], v[148:149]
	s_delay_alu instid0(VALU_DEP_1) | instskip(SKIP_1) | instid1(VALU_DEP_2)
	v_fma_f64 v[62:63], v[140:141], v[60:61], -v[62:63]
	v_mul_f64 v[140:141], v[140:141], v[148:149]
	v_add_f64 v[56:57], v[56:57], -v[62:63]
	s_delay_alu instid0(VALU_DEP_2) | instskip(NEXT) | instid1(VALU_DEP_1)
	v_fma_f64 v[140:141], v[142:143], v[60:61], v[140:141]
	v_add_f64 v[58:59], v[58:59], -v[140:141]
	ds_load_2addr_b64 v[140:143], v150 offset0:46 offset1:47
	s_waitcnt lgkmcnt(0)
	v_mul_f64 v[62:63], v[142:143], v[148:149]
	s_delay_alu instid0(VALU_DEP_1) | instskip(SKIP_1) | instid1(VALU_DEP_2)
	v_fma_f64 v[62:63], v[140:141], v[60:61], -v[62:63]
	v_mul_f64 v[140:141], v[140:141], v[148:149]
	v_add_f64 v[44:45], v[44:45], -v[62:63]
	s_delay_alu instid0(VALU_DEP_2) | instskip(NEXT) | instid1(VALU_DEP_1)
	v_fma_f64 v[140:141], v[142:143], v[60:61], v[140:141]
	v_add_f64 v[46:47], v[46:47], -v[140:141]
	;; [unrolled: 10-line block ×12, first 2 shown]
	ds_load_2addr_b64 v[140:143], v150 offset0:68 offset1:69
	s_waitcnt lgkmcnt(0)
	v_mul_f64 v[62:63], v[142:143], v[148:149]
	s_delay_alu instid0(VALU_DEP_1) | instskip(SKIP_1) | instid1(VALU_DEP_2)
	v_fma_f64 v[62:63], v[140:141], v[60:61], -v[62:63]
	v_mul_f64 v[140:141], v[140:141], v[148:149]
	v_add_f64 v[0:1], v[0:1], -v[62:63]
	s_delay_alu instid0(VALU_DEP_2) | instskip(SKIP_1) | instid1(VALU_DEP_2)
	v_fma_f64 v[140:141], v[142:143], v[60:61], v[140:141]
	v_dual_mov_b32 v62, v148 :: v_dual_mov_b32 v63, v149
	v_add_f64 v[2:3], v[2:3], -v[140:141]
.LBB68_461:
	s_or_b32 exec_lo, exec_lo, s2
	v_lshl_add_u32 v140, v156, 4, v150
	s_barrier
	buffer_gl0_inv
	v_mov_b32_e32 v148, 22
	ds_store_2addr_b64 v140, v[56:57], v[58:59] offset1:1
	s_waitcnt lgkmcnt(0)
	s_barrier
	buffer_gl0_inv
	ds_load_2addr_b64 v[140:143], v150 offset0:44 offset1:45
	s_cmp_lt_i32 s5, 24
	s_cbranch_scc1 .LBB68_464
; %bb.462:
	v_add3_u32 v149, v155, 0, 0x170
	v_mov_b32_e32 v148, 22
	s_mov_b32 s6, 23
	s_set_inst_prefetch_distance 0x1
	.p2align	6
.LBB68_463:                             ; =>This Inner Loop Header: Depth=1
	ds_load_2addr_b64 v[157:160], v149 offset1:1
	s_waitcnt lgkmcnt(1)
	v_cmp_gt_f64_e32 vcc_lo, 0, v[140:141]
	v_xor_b32_e32 v161, 0x80000000, v141
	v_cmp_gt_f64_e64 s2, 0, v[142:143]
	v_xor_b32_e32 v163, 0x80000000, v143
	v_add_nc_u32_e32 v149, 16, v149
	s_waitcnt lgkmcnt(0)
	v_cmp_gt_f64_e64 s3, 0, v[157:158]
	v_mov_b32_e32 v165, v157
	v_dual_mov_b32 v167, v159 :: v_dual_cndmask_b32 v162, v141, v161
	v_xor_b32_e32 v161, 0x80000000, v158
	v_cndmask_b32_e64 v164, v143, v163, s2
	v_xor_b32_e32 v163, 0x80000000, v160
	s_delay_alu instid0(VALU_DEP_3) | instskip(SKIP_2) | instid1(VALU_DEP_2)
	v_cndmask_b32_e64 v166, v158, v161, s3
	v_cmp_gt_f64_e64 s3, 0, v[159:160]
	v_cndmask_b32_e32 v161, v140, v140, vcc_lo
	v_cndmask_b32_e64 v168, v160, v163, s3
	v_cndmask_b32_e64 v163, v142, v142, s2
	s_delay_alu instid0(VALU_DEP_2) | instskip(NEXT) | instid1(VALU_DEP_2)
	v_add_f64 v[165:166], v[165:166], v[167:168]
	v_add_f64 v[161:162], v[161:162], v[163:164]
	s_delay_alu instid0(VALU_DEP_1) | instskip(SKIP_4) | instid1(SALU_CYCLE_1)
	v_cmp_lt_f64_e32 vcc_lo, v[161:162], v[165:166]
	v_dual_cndmask_b32 v142, v142, v159 :: v_dual_cndmask_b32 v141, v141, v158
	v_dual_cndmask_b32 v140, v140, v157 :: v_dual_cndmask_b32 v143, v143, v160
	v_cndmask_b32_e64 v148, v148, s6, vcc_lo
	s_add_i32 s6, s6, 1
	s_cmp_lg_u32 s5, s6
	s_cbranch_scc1 .LBB68_463
.LBB68_464:
	s_set_inst_prefetch_distance 0x2
	s_waitcnt lgkmcnt(0)
	v_cmp_eq_f64_e32 vcc_lo, 0, v[140:141]
	v_cmp_eq_f64_e64 s2, 0, v[142:143]
	s_delay_alu instid0(VALU_DEP_1) | instskip(NEXT) | instid1(SALU_CYCLE_1)
	s_and_b32 s2, vcc_lo, s2
	s_and_saveexec_b32 s3, s2
	s_delay_alu instid0(SALU_CYCLE_1)
	s_xor_b32 s2, exec_lo, s3
; %bb.465:
	v_cmp_ne_u32_e32 vcc_lo, 0, v153
	v_cndmask_b32_e32 v153, 23, v153, vcc_lo
; %bb.466:
	s_and_not1_saveexec_b32 s3, s2
	s_cbranch_execz .LBB68_472
; %bb.467:
	v_cmp_gt_f64_e32 vcc_lo, 0, v[140:141]
	v_cmp_gt_f64_e64 s2, 0, v[142:143]
	v_xor_b32_e32 v149, 0x80000000, v141
	v_xor_b32_e32 v157, 0x80000000, v143
	s_delay_alu instid0(VALU_DEP_2) | instskip(NEXT) | instid1(VALU_DEP_2)
	v_cndmask_b32_e32 v158, v141, v149, vcc_lo
	v_cndmask_b32_e64 v160, v143, v157, s2
	v_cndmask_b32_e32 v157, v140, v140, vcc_lo
	v_cndmask_b32_e64 v159, v142, v142, s2
	s_mov_b32 s2, exec_lo
	s_delay_alu instid0(VALU_DEP_1)
	v_cmpx_ngt_f64_e32 v[157:158], v[159:160]
	s_xor_b32 s2, exec_lo, s2
	s_cbranch_execz .LBB68_469
; %bb.468:
	v_div_scale_f64 v[157:158], null, v[142:143], v[142:143], v[140:141]
	v_div_scale_f64 v[163:164], vcc_lo, v[140:141], v[142:143], v[140:141]
	s_delay_alu instid0(VALU_DEP_2) | instskip(SKIP_2) | instid1(VALU_DEP_1)
	v_rcp_f64_e32 v[159:160], v[157:158]
	s_waitcnt_depctr 0xfff
	v_fma_f64 v[161:162], -v[157:158], v[159:160], 1.0
	v_fma_f64 v[159:160], v[159:160], v[161:162], v[159:160]
	s_delay_alu instid0(VALU_DEP_1) | instskip(NEXT) | instid1(VALU_DEP_1)
	v_fma_f64 v[161:162], -v[157:158], v[159:160], 1.0
	v_fma_f64 v[159:160], v[159:160], v[161:162], v[159:160]
	s_delay_alu instid0(VALU_DEP_1) | instskip(NEXT) | instid1(VALU_DEP_1)
	v_mul_f64 v[161:162], v[163:164], v[159:160]
	v_fma_f64 v[157:158], -v[157:158], v[161:162], v[163:164]
	s_delay_alu instid0(VALU_DEP_1) | instskip(NEXT) | instid1(VALU_DEP_1)
	v_div_fmas_f64 v[157:158], v[157:158], v[159:160], v[161:162]
	v_div_fixup_f64 v[157:158], v[157:158], v[142:143], v[140:141]
	s_delay_alu instid0(VALU_DEP_1) | instskip(NEXT) | instid1(VALU_DEP_1)
	v_fma_f64 v[140:141], v[140:141], v[157:158], v[142:143]
	v_div_scale_f64 v[142:143], null, v[140:141], v[140:141], 1.0
	s_delay_alu instid0(VALU_DEP_1) | instskip(SKIP_2) | instid1(VALU_DEP_1)
	v_rcp_f64_e32 v[159:160], v[142:143]
	s_waitcnt_depctr 0xfff
	v_fma_f64 v[161:162], -v[142:143], v[159:160], 1.0
	v_fma_f64 v[159:160], v[159:160], v[161:162], v[159:160]
	s_delay_alu instid0(VALU_DEP_1) | instskip(NEXT) | instid1(VALU_DEP_1)
	v_fma_f64 v[161:162], -v[142:143], v[159:160], 1.0
	v_fma_f64 v[159:160], v[159:160], v[161:162], v[159:160]
	v_div_scale_f64 v[161:162], vcc_lo, 1.0, v[140:141], 1.0
	s_delay_alu instid0(VALU_DEP_1) | instskip(NEXT) | instid1(VALU_DEP_1)
	v_mul_f64 v[163:164], v[161:162], v[159:160]
	v_fma_f64 v[142:143], -v[142:143], v[163:164], v[161:162]
	s_delay_alu instid0(VALU_DEP_1) | instskip(NEXT) | instid1(VALU_DEP_1)
	v_div_fmas_f64 v[142:143], v[142:143], v[159:160], v[163:164]
	v_div_fixup_f64 v[142:143], v[142:143], v[140:141], 1.0
	s_delay_alu instid0(VALU_DEP_1)
	v_mul_f64 v[140:141], v[157:158], v[142:143]
	v_xor_b32_e32 v143, 0x80000000, v143
.LBB68_469:
	s_and_not1_saveexec_b32 s2, s2
	s_cbranch_execz .LBB68_471
; %bb.470:
	s_delay_alu instid0(VALU_DEP_1) | instskip(SKIP_1) | instid1(VALU_DEP_2)
	v_div_scale_f64 v[157:158], null, v[140:141], v[140:141], v[142:143]
	v_div_scale_f64 v[163:164], vcc_lo, v[142:143], v[140:141], v[142:143]
	v_rcp_f64_e32 v[159:160], v[157:158]
	s_waitcnt_depctr 0xfff
	v_fma_f64 v[161:162], -v[157:158], v[159:160], 1.0
	s_delay_alu instid0(VALU_DEP_1) | instskip(NEXT) | instid1(VALU_DEP_1)
	v_fma_f64 v[159:160], v[159:160], v[161:162], v[159:160]
	v_fma_f64 v[161:162], -v[157:158], v[159:160], 1.0
	s_delay_alu instid0(VALU_DEP_1) | instskip(NEXT) | instid1(VALU_DEP_1)
	v_fma_f64 v[159:160], v[159:160], v[161:162], v[159:160]
	v_mul_f64 v[161:162], v[163:164], v[159:160]
	s_delay_alu instid0(VALU_DEP_1) | instskip(NEXT) | instid1(VALU_DEP_1)
	v_fma_f64 v[157:158], -v[157:158], v[161:162], v[163:164]
	v_div_fmas_f64 v[157:158], v[157:158], v[159:160], v[161:162]
	s_delay_alu instid0(VALU_DEP_1) | instskip(NEXT) | instid1(VALU_DEP_1)
	v_div_fixup_f64 v[157:158], v[157:158], v[140:141], v[142:143]
	v_fma_f64 v[140:141], v[142:143], v[157:158], v[140:141]
	s_delay_alu instid0(VALU_DEP_1) | instskip(NEXT) | instid1(VALU_DEP_1)
	v_div_scale_f64 v[142:143], null, v[140:141], v[140:141], 1.0
	v_rcp_f64_e32 v[159:160], v[142:143]
	s_waitcnt_depctr 0xfff
	v_fma_f64 v[161:162], -v[142:143], v[159:160], 1.0
	s_delay_alu instid0(VALU_DEP_1) | instskip(NEXT) | instid1(VALU_DEP_1)
	v_fma_f64 v[159:160], v[159:160], v[161:162], v[159:160]
	v_fma_f64 v[161:162], -v[142:143], v[159:160], 1.0
	s_delay_alu instid0(VALU_DEP_1) | instskip(SKIP_1) | instid1(VALU_DEP_1)
	v_fma_f64 v[159:160], v[159:160], v[161:162], v[159:160]
	v_div_scale_f64 v[161:162], vcc_lo, 1.0, v[140:141], 1.0
	v_mul_f64 v[163:164], v[161:162], v[159:160]
	s_delay_alu instid0(VALU_DEP_1) | instskip(NEXT) | instid1(VALU_DEP_1)
	v_fma_f64 v[142:143], -v[142:143], v[163:164], v[161:162]
	v_div_fmas_f64 v[142:143], v[142:143], v[159:160], v[163:164]
	s_delay_alu instid0(VALU_DEP_1) | instskip(NEXT) | instid1(VALU_DEP_1)
	v_div_fixup_f64 v[140:141], v[142:143], v[140:141], 1.0
	v_mul_f64 v[142:143], v[157:158], -v[140:141]
.LBB68_471:
	s_or_b32 exec_lo, exec_lo, s2
.LBB68_472:
	s_delay_alu instid0(SALU_CYCLE_1) | instskip(NEXT) | instid1(SALU_CYCLE_1)
	s_or_b32 exec_lo, exec_lo, s3
	s_mov_b32 s2, exec_lo
	v_cmpx_ne_u32_e64 v156, v148
	s_xor_b32 s2, exec_lo, s2
	s_cbranch_execz .LBB68_478
; %bb.473:
	s_mov_b32 s3, exec_lo
	v_cmpx_eq_u32_e32 22, v156
	s_cbranch_execz .LBB68_477
; %bb.474:
	v_cmp_ne_u32_e32 vcc_lo, 22, v148
	s_xor_b32 s6, s4, -1
	s_delay_alu instid0(SALU_CYCLE_1) | instskip(NEXT) | instid1(SALU_CYCLE_1)
	s_and_b32 s7, s6, vcc_lo
	s_and_saveexec_b32 s6, s7
	s_cbranch_execz .LBB68_476
; %bb.475:
	v_ashrrev_i32_e32 v149, 31, v148
	s_delay_alu instid0(VALU_DEP_1) | instskip(NEXT) | instid1(VALU_DEP_1)
	v_lshlrev_b64 v[156:157], 2, v[148:149]
	v_add_co_u32 v156, vcc_lo, v146, v156
	s_delay_alu instid0(VALU_DEP_2)
	v_add_co_ci_u32_e32 v157, vcc_lo, v147, v157, vcc_lo
	s_clause 0x1
	flat_load_b32 v149, v[156:157]
	flat_load_b32 v154, v[146:147] offset:88
	s_waitcnt vmcnt(1) lgkmcnt(1)
	flat_store_b32 v[146:147], v149 offset:88
	s_waitcnt vmcnt(0) lgkmcnt(1)
	flat_store_b32 v[156:157], v154
.LBB68_476:
	s_or_b32 exec_lo, exec_lo, s6
	v_mov_b32_e32 v156, v148
	v_mov_b32_e32 v154, v148
.LBB68_477:
	s_or_b32 exec_lo, exec_lo, s3
.LBB68_478:
	s_and_not1_saveexec_b32 s2, s2
	s_cbranch_execz .LBB68_480
; %bb.479:
	v_mov_b32_e32 v156, 22
	ds_store_2addr_b64 v150, v[44:45], v[46:47] offset0:46 offset1:47
	ds_store_2addr_b64 v150, v[40:41], v[42:43] offset0:48 offset1:49
	;; [unrolled: 1-line block ×12, first 2 shown]
.LBB68_480:
	s_or_b32 exec_lo, exec_lo, s2
	s_delay_alu instid0(SALU_CYCLE_1)
	s_mov_b32 s2, exec_lo
	s_waitcnt lgkmcnt(0)
	s_waitcnt_vscnt null, 0x0
	s_barrier
	buffer_gl0_inv
	v_cmpx_lt_i32_e32 22, v156
	s_cbranch_execz .LBB68_482
; %bb.481:
	v_mul_f64 v[148:149], v[140:141], v[58:59]
	v_mul_f64 v[58:59], v[142:143], v[58:59]
	ds_load_2addr_b64 v[157:160], v150 offset0:46 offset1:47
	ds_load_2addr_b64 v[161:164], v150 offset0:48 offset1:49
	;; [unrolled: 1-line block ×12, first 2 shown]
	v_fma_f64 v[142:143], v[142:143], v[56:57], v[148:149]
	v_fma_f64 v[56:57], v[140:141], v[56:57], -v[58:59]
	s_waitcnt lgkmcnt(11)
	s_delay_alu instid0(VALU_DEP_2)
	v_mul_f64 v[58:59], v[159:160], v[142:143]
	v_mul_f64 v[140:141], v[157:158], v[142:143]
	s_waitcnt lgkmcnt(10)
	v_mul_f64 v[148:149], v[163:164], v[142:143]
	v_mul_f64 v[205:206], v[161:162], v[142:143]
	s_waitcnt lgkmcnt(9)
	;; [unrolled: 3-line block ×11, first 2 shown]
	v_mul_f64 v[243:244], v[203:204], v[142:143]
	v_mul_f64 v[245:246], v[201:202], v[142:143]
	v_fma_f64 v[58:59], v[157:158], v[56:57], -v[58:59]
	v_fma_f64 v[140:141], v[159:160], v[56:57], v[140:141]
	v_fma_f64 v[148:149], v[161:162], v[56:57], -v[148:149]
	v_fma_f64 v[157:158], v[163:164], v[56:57], v[205:206]
	;; [unrolled: 2-line block ×12, first 2 shown]
	v_add_f64 v[44:45], v[44:45], -v[58:59]
	v_add_f64 v[46:47], v[46:47], -v[140:141]
	;; [unrolled: 1-line block ×24, first 2 shown]
	v_dual_mov_b32 v58, v142 :: v_dual_mov_b32 v59, v143
.LBB68_482:
	s_or_b32 exec_lo, exec_lo, s2
	v_lshl_add_u32 v140, v156, 4, v150
	s_barrier
	buffer_gl0_inv
	v_mov_b32_e32 v148, 23
	ds_store_2addr_b64 v140, v[44:45], v[46:47] offset1:1
	s_waitcnt lgkmcnt(0)
	s_barrier
	buffer_gl0_inv
	ds_load_2addr_b64 v[140:143], v150 offset0:46 offset1:47
	s_cmp_lt_i32 s5, 25
	s_cbranch_scc1 .LBB68_485
; %bb.483:
	v_add3_u32 v149, v155, 0, 0x180
	v_mov_b32_e32 v148, 23
	s_mov_b32 s6, 24
	s_set_inst_prefetch_distance 0x1
	.p2align	6
.LBB68_484:                             ; =>This Inner Loop Header: Depth=1
	ds_load_2addr_b64 v[157:160], v149 offset1:1
	s_waitcnt lgkmcnt(1)
	v_cmp_gt_f64_e32 vcc_lo, 0, v[140:141]
	v_xor_b32_e32 v161, 0x80000000, v141
	v_cmp_gt_f64_e64 s2, 0, v[142:143]
	v_xor_b32_e32 v163, 0x80000000, v143
	v_add_nc_u32_e32 v149, 16, v149
	s_waitcnt lgkmcnt(0)
	v_cmp_gt_f64_e64 s3, 0, v[157:158]
	v_mov_b32_e32 v165, v157
	v_dual_mov_b32 v167, v159 :: v_dual_cndmask_b32 v162, v141, v161
	v_xor_b32_e32 v161, 0x80000000, v158
	v_cndmask_b32_e64 v164, v143, v163, s2
	v_xor_b32_e32 v163, 0x80000000, v160
	s_delay_alu instid0(VALU_DEP_3) | instskip(SKIP_2) | instid1(VALU_DEP_2)
	v_cndmask_b32_e64 v166, v158, v161, s3
	v_cmp_gt_f64_e64 s3, 0, v[159:160]
	v_cndmask_b32_e32 v161, v140, v140, vcc_lo
	v_cndmask_b32_e64 v168, v160, v163, s3
	v_cndmask_b32_e64 v163, v142, v142, s2
	s_delay_alu instid0(VALU_DEP_2) | instskip(NEXT) | instid1(VALU_DEP_2)
	v_add_f64 v[165:166], v[165:166], v[167:168]
	v_add_f64 v[161:162], v[161:162], v[163:164]
	s_delay_alu instid0(VALU_DEP_1) | instskip(SKIP_4) | instid1(SALU_CYCLE_1)
	v_cmp_lt_f64_e32 vcc_lo, v[161:162], v[165:166]
	v_dual_cndmask_b32 v142, v142, v159 :: v_dual_cndmask_b32 v141, v141, v158
	v_dual_cndmask_b32 v140, v140, v157 :: v_dual_cndmask_b32 v143, v143, v160
	v_cndmask_b32_e64 v148, v148, s6, vcc_lo
	s_add_i32 s6, s6, 1
	s_cmp_lg_u32 s5, s6
	s_cbranch_scc1 .LBB68_484
.LBB68_485:
	s_set_inst_prefetch_distance 0x2
	s_waitcnt lgkmcnt(0)
	v_cmp_eq_f64_e32 vcc_lo, 0, v[140:141]
	v_cmp_eq_f64_e64 s2, 0, v[142:143]
	s_delay_alu instid0(VALU_DEP_1) | instskip(NEXT) | instid1(SALU_CYCLE_1)
	s_and_b32 s2, vcc_lo, s2
	s_and_saveexec_b32 s3, s2
	s_delay_alu instid0(SALU_CYCLE_1)
	s_xor_b32 s2, exec_lo, s3
; %bb.486:
	v_cmp_ne_u32_e32 vcc_lo, 0, v153
	v_cndmask_b32_e32 v153, 24, v153, vcc_lo
; %bb.487:
	s_and_not1_saveexec_b32 s3, s2
	s_cbranch_execz .LBB68_493
; %bb.488:
	v_cmp_gt_f64_e32 vcc_lo, 0, v[140:141]
	v_cmp_gt_f64_e64 s2, 0, v[142:143]
	v_xor_b32_e32 v149, 0x80000000, v141
	v_xor_b32_e32 v157, 0x80000000, v143
	s_delay_alu instid0(VALU_DEP_2) | instskip(NEXT) | instid1(VALU_DEP_2)
	v_cndmask_b32_e32 v158, v141, v149, vcc_lo
	v_cndmask_b32_e64 v160, v143, v157, s2
	v_cndmask_b32_e32 v157, v140, v140, vcc_lo
	v_cndmask_b32_e64 v159, v142, v142, s2
	s_mov_b32 s2, exec_lo
	s_delay_alu instid0(VALU_DEP_1)
	v_cmpx_ngt_f64_e32 v[157:158], v[159:160]
	s_xor_b32 s2, exec_lo, s2
	s_cbranch_execz .LBB68_490
; %bb.489:
	v_div_scale_f64 v[157:158], null, v[142:143], v[142:143], v[140:141]
	v_div_scale_f64 v[163:164], vcc_lo, v[140:141], v[142:143], v[140:141]
	s_delay_alu instid0(VALU_DEP_2) | instskip(SKIP_2) | instid1(VALU_DEP_1)
	v_rcp_f64_e32 v[159:160], v[157:158]
	s_waitcnt_depctr 0xfff
	v_fma_f64 v[161:162], -v[157:158], v[159:160], 1.0
	v_fma_f64 v[159:160], v[159:160], v[161:162], v[159:160]
	s_delay_alu instid0(VALU_DEP_1) | instskip(NEXT) | instid1(VALU_DEP_1)
	v_fma_f64 v[161:162], -v[157:158], v[159:160], 1.0
	v_fma_f64 v[159:160], v[159:160], v[161:162], v[159:160]
	s_delay_alu instid0(VALU_DEP_1) | instskip(NEXT) | instid1(VALU_DEP_1)
	v_mul_f64 v[161:162], v[163:164], v[159:160]
	v_fma_f64 v[157:158], -v[157:158], v[161:162], v[163:164]
	s_delay_alu instid0(VALU_DEP_1) | instskip(NEXT) | instid1(VALU_DEP_1)
	v_div_fmas_f64 v[157:158], v[157:158], v[159:160], v[161:162]
	v_div_fixup_f64 v[157:158], v[157:158], v[142:143], v[140:141]
	s_delay_alu instid0(VALU_DEP_1) | instskip(NEXT) | instid1(VALU_DEP_1)
	v_fma_f64 v[140:141], v[140:141], v[157:158], v[142:143]
	v_div_scale_f64 v[142:143], null, v[140:141], v[140:141], 1.0
	s_delay_alu instid0(VALU_DEP_1) | instskip(SKIP_2) | instid1(VALU_DEP_1)
	v_rcp_f64_e32 v[159:160], v[142:143]
	s_waitcnt_depctr 0xfff
	v_fma_f64 v[161:162], -v[142:143], v[159:160], 1.0
	v_fma_f64 v[159:160], v[159:160], v[161:162], v[159:160]
	s_delay_alu instid0(VALU_DEP_1) | instskip(NEXT) | instid1(VALU_DEP_1)
	v_fma_f64 v[161:162], -v[142:143], v[159:160], 1.0
	v_fma_f64 v[159:160], v[159:160], v[161:162], v[159:160]
	v_div_scale_f64 v[161:162], vcc_lo, 1.0, v[140:141], 1.0
	s_delay_alu instid0(VALU_DEP_1) | instskip(NEXT) | instid1(VALU_DEP_1)
	v_mul_f64 v[163:164], v[161:162], v[159:160]
	v_fma_f64 v[142:143], -v[142:143], v[163:164], v[161:162]
	s_delay_alu instid0(VALU_DEP_1) | instskip(NEXT) | instid1(VALU_DEP_1)
	v_div_fmas_f64 v[142:143], v[142:143], v[159:160], v[163:164]
	v_div_fixup_f64 v[142:143], v[142:143], v[140:141], 1.0
	s_delay_alu instid0(VALU_DEP_1)
	v_mul_f64 v[140:141], v[157:158], v[142:143]
	v_xor_b32_e32 v143, 0x80000000, v143
.LBB68_490:
	s_and_not1_saveexec_b32 s2, s2
	s_cbranch_execz .LBB68_492
; %bb.491:
	s_delay_alu instid0(VALU_DEP_1) | instskip(SKIP_1) | instid1(VALU_DEP_2)
	v_div_scale_f64 v[157:158], null, v[140:141], v[140:141], v[142:143]
	v_div_scale_f64 v[163:164], vcc_lo, v[142:143], v[140:141], v[142:143]
	v_rcp_f64_e32 v[159:160], v[157:158]
	s_waitcnt_depctr 0xfff
	v_fma_f64 v[161:162], -v[157:158], v[159:160], 1.0
	s_delay_alu instid0(VALU_DEP_1) | instskip(NEXT) | instid1(VALU_DEP_1)
	v_fma_f64 v[159:160], v[159:160], v[161:162], v[159:160]
	v_fma_f64 v[161:162], -v[157:158], v[159:160], 1.0
	s_delay_alu instid0(VALU_DEP_1) | instskip(NEXT) | instid1(VALU_DEP_1)
	v_fma_f64 v[159:160], v[159:160], v[161:162], v[159:160]
	v_mul_f64 v[161:162], v[163:164], v[159:160]
	s_delay_alu instid0(VALU_DEP_1) | instskip(NEXT) | instid1(VALU_DEP_1)
	v_fma_f64 v[157:158], -v[157:158], v[161:162], v[163:164]
	v_div_fmas_f64 v[157:158], v[157:158], v[159:160], v[161:162]
	s_delay_alu instid0(VALU_DEP_1) | instskip(NEXT) | instid1(VALU_DEP_1)
	v_div_fixup_f64 v[157:158], v[157:158], v[140:141], v[142:143]
	v_fma_f64 v[140:141], v[142:143], v[157:158], v[140:141]
	s_delay_alu instid0(VALU_DEP_1) | instskip(NEXT) | instid1(VALU_DEP_1)
	v_div_scale_f64 v[142:143], null, v[140:141], v[140:141], 1.0
	v_rcp_f64_e32 v[159:160], v[142:143]
	s_waitcnt_depctr 0xfff
	v_fma_f64 v[161:162], -v[142:143], v[159:160], 1.0
	s_delay_alu instid0(VALU_DEP_1) | instskip(NEXT) | instid1(VALU_DEP_1)
	v_fma_f64 v[159:160], v[159:160], v[161:162], v[159:160]
	v_fma_f64 v[161:162], -v[142:143], v[159:160], 1.0
	s_delay_alu instid0(VALU_DEP_1) | instskip(SKIP_1) | instid1(VALU_DEP_1)
	v_fma_f64 v[159:160], v[159:160], v[161:162], v[159:160]
	v_div_scale_f64 v[161:162], vcc_lo, 1.0, v[140:141], 1.0
	v_mul_f64 v[163:164], v[161:162], v[159:160]
	s_delay_alu instid0(VALU_DEP_1) | instskip(NEXT) | instid1(VALU_DEP_1)
	v_fma_f64 v[142:143], -v[142:143], v[163:164], v[161:162]
	v_div_fmas_f64 v[142:143], v[142:143], v[159:160], v[163:164]
	s_delay_alu instid0(VALU_DEP_1) | instskip(NEXT) | instid1(VALU_DEP_1)
	v_div_fixup_f64 v[140:141], v[142:143], v[140:141], 1.0
	v_mul_f64 v[142:143], v[157:158], -v[140:141]
.LBB68_492:
	s_or_b32 exec_lo, exec_lo, s2
.LBB68_493:
	s_delay_alu instid0(SALU_CYCLE_1) | instskip(NEXT) | instid1(SALU_CYCLE_1)
	s_or_b32 exec_lo, exec_lo, s3
	s_mov_b32 s2, exec_lo
	v_cmpx_ne_u32_e64 v156, v148
	s_xor_b32 s2, exec_lo, s2
	s_cbranch_execz .LBB68_499
; %bb.494:
	s_mov_b32 s3, exec_lo
	v_cmpx_eq_u32_e32 23, v156
	s_cbranch_execz .LBB68_498
; %bb.495:
	v_cmp_ne_u32_e32 vcc_lo, 23, v148
	s_xor_b32 s6, s4, -1
	s_delay_alu instid0(SALU_CYCLE_1) | instskip(NEXT) | instid1(SALU_CYCLE_1)
	s_and_b32 s7, s6, vcc_lo
	s_and_saveexec_b32 s6, s7
	s_cbranch_execz .LBB68_497
; %bb.496:
	v_ashrrev_i32_e32 v149, 31, v148
	s_delay_alu instid0(VALU_DEP_1) | instskip(NEXT) | instid1(VALU_DEP_1)
	v_lshlrev_b64 v[156:157], 2, v[148:149]
	v_add_co_u32 v156, vcc_lo, v146, v156
	s_delay_alu instid0(VALU_DEP_2)
	v_add_co_ci_u32_e32 v157, vcc_lo, v147, v157, vcc_lo
	s_clause 0x1
	flat_load_b32 v149, v[156:157]
	flat_load_b32 v154, v[146:147] offset:92
	s_waitcnt vmcnt(1) lgkmcnt(1)
	flat_store_b32 v[146:147], v149 offset:92
	s_waitcnt vmcnt(0) lgkmcnt(1)
	flat_store_b32 v[156:157], v154
.LBB68_497:
	s_or_b32 exec_lo, exec_lo, s6
	v_mov_b32_e32 v156, v148
	v_mov_b32_e32 v154, v148
.LBB68_498:
	s_or_b32 exec_lo, exec_lo, s3
.LBB68_499:
	s_and_not1_saveexec_b32 s2, s2
	s_cbranch_execz .LBB68_501
; %bb.500:
	v_mov_b32_e32 v156, 23
	ds_store_2addr_b64 v150, v[40:41], v[42:43] offset0:48 offset1:49
	ds_store_2addr_b64 v150, v[36:37], v[38:39] offset0:50 offset1:51
	;; [unrolled: 1-line block ×11, first 2 shown]
.LBB68_501:
	s_or_b32 exec_lo, exec_lo, s2
	s_delay_alu instid0(SALU_CYCLE_1)
	s_mov_b32 s2, exec_lo
	s_waitcnt lgkmcnt(0)
	s_waitcnt_vscnt null, 0x0
	s_barrier
	buffer_gl0_inv
	v_cmpx_lt_i32_e32 23, v156
	s_cbranch_execz .LBB68_503
; %bb.502:
	v_mul_f64 v[148:149], v[140:141], v[46:47]
	v_mul_f64 v[46:47], v[142:143], v[46:47]
	ds_load_2addr_b64 v[157:160], v150 offset0:48 offset1:49
	ds_load_2addr_b64 v[161:164], v150 offset0:50 offset1:51
	;; [unrolled: 1-line block ×11, first 2 shown]
	v_fma_f64 v[142:143], v[142:143], v[44:45], v[148:149]
	v_fma_f64 v[44:45], v[140:141], v[44:45], -v[46:47]
	s_waitcnt lgkmcnt(10)
	s_delay_alu instid0(VALU_DEP_2)
	v_mul_f64 v[46:47], v[159:160], v[142:143]
	v_mul_f64 v[140:141], v[157:158], v[142:143]
	s_waitcnt lgkmcnt(9)
	v_mul_f64 v[148:149], v[163:164], v[142:143]
	v_mul_f64 v[201:202], v[161:162], v[142:143]
	s_waitcnt lgkmcnt(8)
	v_mul_f64 v[203:204], v[167:168], v[142:143]
	v_mul_f64 v[205:206], v[165:166], v[142:143]
	s_waitcnt lgkmcnt(7)
	v_mul_f64 v[207:208], v[171:172], v[142:143]
	v_mul_f64 v[209:210], v[169:170], v[142:143]
	s_waitcnt lgkmcnt(6)
	v_mul_f64 v[211:212], v[175:176], v[142:143]
	v_mul_f64 v[213:214], v[173:174], v[142:143]
	s_waitcnt lgkmcnt(5)
	v_mul_f64 v[215:216], v[179:180], v[142:143]
	v_mul_f64 v[217:218], v[177:178], v[142:143]
	s_waitcnt lgkmcnt(4)
	v_mul_f64 v[219:220], v[183:184], v[142:143]
	v_mul_f64 v[221:222], v[181:182], v[142:143]
	s_waitcnt lgkmcnt(3)
	v_mul_f64 v[223:224], v[187:188], v[142:143]
	v_mul_f64 v[225:226], v[185:186], v[142:143]
	s_waitcnt lgkmcnt(2)
	v_mul_f64 v[227:228], v[191:192], v[142:143]
	v_mul_f64 v[229:230], v[189:190], v[142:143]
	s_waitcnt lgkmcnt(1)
	v_mul_f64 v[231:232], v[195:196], v[142:143]
	v_mul_f64 v[233:234], v[193:194], v[142:143]
	s_waitcnt lgkmcnt(0)
	v_mul_f64 v[235:236], v[199:200], v[142:143]
	v_mul_f64 v[237:238], v[197:198], v[142:143]
	v_fma_f64 v[46:47], v[157:158], v[44:45], -v[46:47]
	v_fma_f64 v[140:141], v[159:160], v[44:45], v[140:141]
	v_fma_f64 v[148:149], v[161:162], v[44:45], -v[148:149]
	v_fma_f64 v[157:158], v[163:164], v[44:45], v[201:202]
	;; [unrolled: 2-line block ×11, first 2 shown]
	v_add_f64 v[40:41], v[40:41], -v[46:47]
	v_add_f64 v[42:43], v[42:43], -v[140:141]
	;; [unrolled: 1-line block ×22, first 2 shown]
	v_dual_mov_b32 v46, v142 :: v_dual_mov_b32 v47, v143
.LBB68_503:
	s_or_b32 exec_lo, exec_lo, s2
	v_lshl_add_u32 v140, v156, 4, v150
	s_barrier
	buffer_gl0_inv
	v_mov_b32_e32 v148, 24
	ds_store_2addr_b64 v140, v[40:41], v[42:43] offset1:1
	s_waitcnt lgkmcnt(0)
	s_barrier
	buffer_gl0_inv
	ds_load_2addr_b64 v[140:143], v150 offset0:48 offset1:49
	s_cmp_lt_i32 s5, 26
	s_cbranch_scc1 .LBB68_506
; %bb.504:
	v_add3_u32 v149, v155, 0, 0x190
	v_mov_b32_e32 v148, 24
	s_mov_b32 s6, 25
	s_set_inst_prefetch_distance 0x1
	.p2align	6
.LBB68_505:                             ; =>This Inner Loop Header: Depth=1
	ds_load_2addr_b64 v[157:160], v149 offset1:1
	s_waitcnt lgkmcnt(1)
	v_cmp_gt_f64_e32 vcc_lo, 0, v[140:141]
	v_xor_b32_e32 v161, 0x80000000, v141
	v_cmp_gt_f64_e64 s2, 0, v[142:143]
	v_xor_b32_e32 v163, 0x80000000, v143
	v_add_nc_u32_e32 v149, 16, v149
	s_waitcnt lgkmcnt(0)
	v_cmp_gt_f64_e64 s3, 0, v[157:158]
	v_mov_b32_e32 v165, v157
	v_dual_mov_b32 v167, v159 :: v_dual_cndmask_b32 v162, v141, v161
	v_xor_b32_e32 v161, 0x80000000, v158
	v_cndmask_b32_e64 v164, v143, v163, s2
	v_xor_b32_e32 v163, 0x80000000, v160
	s_delay_alu instid0(VALU_DEP_3) | instskip(SKIP_2) | instid1(VALU_DEP_2)
	v_cndmask_b32_e64 v166, v158, v161, s3
	v_cmp_gt_f64_e64 s3, 0, v[159:160]
	v_cndmask_b32_e32 v161, v140, v140, vcc_lo
	v_cndmask_b32_e64 v168, v160, v163, s3
	v_cndmask_b32_e64 v163, v142, v142, s2
	s_delay_alu instid0(VALU_DEP_2) | instskip(NEXT) | instid1(VALU_DEP_2)
	v_add_f64 v[165:166], v[165:166], v[167:168]
	v_add_f64 v[161:162], v[161:162], v[163:164]
	s_delay_alu instid0(VALU_DEP_1) | instskip(SKIP_4) | instid1(SALU_CYCLE_1)
	v_cmp_lt_f64_e32 vcc_lo, v[161:162], v[165:166]
	v_dual_cndmask_b32 v142, v142, v159 :: v_dual_cndmask_b32 v141, v141, v158
	v_dual_cndmask_b32 v140, v140, v157 :: v_dual_cndmask_b32 v143, v143, v160
	v_cndmask_b32_e64 v148, v148, s6, vcc_lo
	s_add_i32 s6, s6, 1
	s_cmp_lg_u32 s5, s6
	s_cbranch_scc1 .LBB68_505
.LBB68_506:
	s_set_inst_prefetch_distance 0x2
	s_waitcnt lgkmcnt(0)
	v_cmp_eq_f64_e32 vcc_lo, 0, v[140:141]
	v_cmp_eq_f64_e64 s2, 0, v[142:143]
	s_delay_alu instid0(VALU_DEP_1) | instskip(NEXT) | instid1(SALU_CYCLE_1)
	s_and_b32 s2, vcc_lo, s2
	s_and_saveexec_b32 s3, s2
	s_delay_alu instid0(SALU_CYCLE_1)
	s_xor_b32 s2, exec_lo, s3
; %bb.507:
	v_cmp_ne_u32_e32 vcc_lo, 0, v153
	v_cndmask_b32_e32 v153, 25, v153, vcc_lo
; %bb.508:
	s_and_not1_saveexec_b32 s3, s2
	s_cbranch_execz .LBB68_514
; %bb.509:
	v_cmp_gt_f64_e32 vcc_lo, 0, v[140:141]
	v_cmp_gt_f64_e64 s2, 0, v[142:143]
	v_xor_b32_e32 v149, 0x80000000, v141
	v_xor_b32_e32 v157, 0x80000000, v143
	s_delay_alu instid0(VALU_DEP_2) | instskip(NEXT) | instid1(VALU_DEP_2)
	v_cndmask_b32_e32 v158, v141, v149, vcc_lo
	v_cndmask_b32_e64 v160, v143, v157, s2
	v_cndmask_b32_e32 v157, v140, v140, vcc_lo
	v_cndmask_b32_e64 v159, v142, v142, s2
	s_mov_b32 s2, exec_lo
	s_delay_alu instid0(VALU_DEP_1)
	v_cmpx_ngt_f64_e32 v[157:158], v[159:160]
	s_xor_b32 s2, exec_lo, s2
	s_cbranch_execz .LBB68_511
; %bb.510:
	v_div_scale_f64 v[157:158], null, v[142:143], v[142:143], v[140:141]
	v_div_scale_f64 v[163:164], vcc_lo, v[140:141], v[142:143], v[140:141]
	s_delay_alu instid0(VALU_DEP_2) | instskip(SKIP_2) | instid1(VALU_DEP_1)
	v_rcp_f64_e32 v[159:160], v[157:158]
	s_waitcnt_depctr 0xfff
	v_fma_f64 v[161:162], -v[157:158], v[159:160], 1.0
	v_fma_f64 v[159:160], v[159:160], v[161:162], v[159:160]
	s_delay_alu instid0(VALU_DEP_1) | instskip(NEXT) | instid1(VALU_DEP_1)
	v_fma_f64 v[161:162], -v[157:158], v[159:160], 1.0
	v_fma_f64 v[159:160], v[159:160], v[161:162], v[159:160]
	s_delay_alu instid0(VALU_DEP_1) | instskip(NEXT) | instid1(VALU_DEP_1)
	v_mul_f64 v[161:162], v[163:164], v[159:160]
	v_fma_f64 v[157:158], -v[157:158], v[161:162], v[163:164]
	s_delay_alu instid0(VALU_DEP_1) | instskip(NEXT) | instid1(VALU_DEP_1)
	v_div_fmas_f64 v[157:158], v[157:158], v[159:160], v[161:162]
	v_div_fixup_f64 v[157:158], v[157:158], v[142:143], v[140:141]
	s_delay_alu instid0(VALU_DEP_1) | instskip(NEXT) | instid1(VALU_DEP_1)
	v_fma_f64 v[140:141], v[140:141], v[157:158], v[142:143]
	v_div_scale_f64 v[142:143], null, v[140:141], v[140:141], 1.0
	s_delay_alu instid0(VALU_DEP_1) | instskip(SKIP_2) | instid1(VALU_DEP_1)
	v_rcp_f64_e32 v[159:160], v[142:143]
	s_waitcnt_depctr 0xfff
	v_fma_f64 v[161:162], -v[142:143], v[159:160], 1.0
	v_fma_f64 v[159:160], v[159:160], v[161:162], v[159:160]
	s_delay_alu instid0(VALU_DEP_1) | instskip(NEXT) | instid1(VALU_DEP_1)
	v_fma_f64 v[161:162], -v[142:143], v[159:160], 1.0
	v_fma_f64 v[159:160], v[159:160], v[161:162], v[159:160]
	v_div_scale_f64 v[161:162], vcc_lo, 1.0, v[140:141], 1.0
	s_delay_alu instid0(VALU_DEP_1) | instskip(NEXT) | instid1(VALU_DEP_1)
	v_mul_f64 v[163:164], v[161:162], v[159:160]
	v_fma_f64 v[142:143], -v[142:143], v[163:164], v[161:162]
	s_delay_alu instid0(VALU_DEP_1) | instskip(NEXT) | instid1(VALU_DEP_1)
	v_div_fmas_f64 v[142:143], v[142:143], v[159:160], v[163:164]
	v_div_fixup_f64 v[142:143], v[142:143], v[140:141], 1.0
	s_delay_alu instid0(VALU_DEP_1)
	v_mul_f64 v[140:141], v[157:158], v[142:143]
	v_xor_b32_e32 v143, 0x80000000, v143
.LBB68_511:
	s_and_not1_saveexec_b32 s2, s2
	s_cbranch_execz .LBB68_513
; %bb.512:
	s_delay_alu instid0(VALU_DEP_1) | instskip(SKIP_1) | instid1(VALU_DEP_2)
	v_div_scale_f64 v[157:158], null, v[140:141], v[140:141], v[142:143]
	v_div_scale_f64 v[163:164], vcc_lo, v[142:143], v[140:141], v[142:143]
	v_rcp_f64_e32 v[159:160], v[157:158]
	s_waitcnt_depctr 0xfff
	v_fma_f64 v[161:162], -v[157:158], v[159:160], 1.0
	s_delay_alu instid0(VALU_DEP_1) | instskip(NEXT) | instid1(VALU_DEP_1)
	v_fma_f64 v[159:160], v[159:160], v[161:162], v[159:160]
	v_fma_f64 v[161:162], -v[157:158], v[159:160], 1.0
	s_delay_alu instid0(VALU_DEP_1) | instskip(NEXT) | instid1(VALU_DEP_1)
	v_fma_f64 v[159:160], v[159:160], v[161:162], v[159:160]
	v_mul_f64 v[161:162], v[163:164], v[159:160]
	s_delay_alu instid0(VALU_DEP_1) | instskip(NEXT) | instid1(VALU_DEP_1)
	v_fma_f64 v[157:158], -v[157:158], v[161:162], v[163:164]
	v_div_fmas_f64 v[157:158], v[157:158], v[159:160], v[161:162]
	s_delay_alu instid0(VALU_DEP_1) | instskip(NEXT) | instid1(VALU_DEP_1)
	v_div_fixup_f64 v[157:158], v[157:158], v[140:141], v[142:143]
	v_fma_f64 v[140:141], v[142:143], v[157:158], v[140:141]
	s_delay_alu instid0(VALU_DEP_1) | instskip(NEXT) | instid1(VALU_DEP_1)
	v_div_scale_f64 v[142:143], null, v[140:141], v[140:141], 1.0
	v_rcp_f64_e32 v[159:160], v[142:143]
	s_waitcnt_depctr 0xfff
	v_fma_f64 v[161:162], -v[142:143], v[159:160], 1.0
	s_delay_alu instid0(VALU_DEP_1) | instskip(NEXT) | instid1(VALU_DEP_1)
	v_fma_f64 v[159:160], v[159:160], v[161:162], v[159:160]
	v_fma_f64 v[161:162], -v[142:143], v[159:160], 1.0
	s_delay_alu instid0(VALU_DEP_1) | instskip(SKIP_1) | instid1(VALU_DEP_1)
	v_fma_f64 v[159:160], v[159:160], v[161:162], v[159:160]
	v_div_scale_f64 v[161:162], vcc_lo, 1.0, v[140:141], 1.0
	v_mul_f64 v[163:164], v[161:162], v[159:160]
	s_delay_alu instid0(VALU_DEP_1) | instskip(NEXT) | instid1(VALU_DEP_1)
	v_fma_f64 v[142:143], -v[142:143], v[163:164], v[161:162]
	v_div_fmas_f64 v[142:143], v[142:143], v[159:160], v[163:164]
	s_delay_alu instid0(VALU_DEP_1) | instskip(NEXT) | instid1(VALU_DEP_1)
	v_div_fixup_f64 v[140:141], v[142:143], v[140:141], 1.0
	v_mul_f64 v[142:143], v[157:158], -v[140:141]
.LBB68_513:
	s_or_b32 exec_lo, exec_lo, s2
.LBB68_514:
	s_delay_alu instid0(SALU_CYCLE_1) | instskip(NEXT) | instid1(SALU_CYCLE_1)
	s_or_b32 exec_lo, exec_lo, s3
	s_mov_b32 s2, exec_lo
	v_cmpx_ne_u32_e64 v156, v148
	s_xor_b32 s2, exec_lo, s2
	s_cbranch_execz .LBB68_520
; %bb.515:
	s_mov_b32 s3, exec_lo
	v_cmpx_eq_u32_e32 24, v156
	s_cbranch_execz .LBB68_519
; %bb.516:
	v_cmp_ne_u32_e32 vcc_lo, 24, v148
	s_xor_b32 s6, s4, -1
	s_delay_alu instid0(SALU_CYCLE_1) | instskip(NEXT) | instid1(SALU_CYCLE_1)
	s_and_b32 s7, s6, vcc_lo
	s_and_saveexec_b32 s6, s7
	s_cbranch_execz .LBB68_518
; %bb.517:
	v_ashrrev_i32_e32 v149, 31, v148
	s_delay_alu instid0(VALU_DEP_1) | instskip(NEXT) | instid1(VALU_DEP_1)
	v_lshlrev_b64 v[156:157], 2, v[148:149]
	v_add_co_u32 v156, vcc_lo, v146, v156
	s_delay_alu instid0(VALU_DEP_2)
	v_add_co_ci_u32_e32 v157, vcc_lo, v147, v157, vcc_lo
	s_clause 0x1
	flat_load_b32 v149, v[156:157]
	flat_load_b32 v154, v[146:147] offset:96
	s_waitcnt vmcnt(1) lgkmcnt(1)
	flat_store_b32 v[146:147], v149 offset:96
	s_waitcnt vmcnt(0) lgkmcnt(1)
	flat_store_b32 v[156:157], v154
.LBB68_518:
	s_or_b32 exec_lo, exec_lo, s6
	v_mov_b32_e32 v156, v148
	v_mov_b32_e32 v154, v148
.LBB68_519:
	s_or_b32 exec_lo, exec_lo, s3
.LBB68_520:
	s_and_not1_saveexec_b32 s2, s2
	s_cbranch_execz .LBB68_522
; %bb.521:
	v_mov_b32_e32 v156, 24
	ds_store_2addr_b64 v150, v[36:37], v[38:39] offset0:50 offset1:51
	ds_store_2addr_b64 v150, v[32:33], v[34:35] offset0:52 offset1:53
	;; [unrolled: 1-line block ×10, first 2 shown]
.LBB68_522:
	s_or_b32 exec_lo, exec_lo, s2
	s_delay_alu instid0(SALU_CYCLE_1)
	s_mov_b32 s2, exec_lo
	s_waitcnt lgkmcnt(0)
	s_waitcnt_vscnt null, 0x0
	s_barrier
	buffer_gl0_inv
	v_cmpx_lt_i32_e32 24, v156
	s_cbranch_execz .LBB68_524
; %bb.523:
	v_mul_f64 v[148:149], v[140:141], v[42:43]
	v_mul_f64 v[42:43], v[142:143], v[42:43]
	ds_load_2addr_b64 v[157:160], v150 offset0:50 offset1:51
	ds_load_2addr_b64 v[161:164], v150 offset0:52 offset1:53
	;; [unrolled: 1-line block ×10, first 2 shown]
	v_fma_f64 v[142:143], v[142:143], v[40:41], v[148:149]
	v_fma_f64 v[40:41], v[140:141], v[40:41], -v[42:43]
	s_waitcnt lgkmcnt(9)
	s_delay_alu instid0(VALU_DEP_2)
	v_mul_f64 v[42:43], v[159:160], v[142:143]
	v_mul_f64 v[140:141], v[157:158], v[142:143]
	s_waitcnt lgkmcnt(8)
	v_mul_f64 v[148:149], v[163:164], v[142:143]
	v_mul_f64 v[197:198], v[161:162], v[142:143]
	s_waitcnt lgkmcnt(7)
	;; [unrolled: 3-line block ×9, first 2 shown]
	v_mul_f64 v[227:228], v[195:196], v[142:143]
	v_mul_f64 v[229:230], v[193:194], v[142:143]
	v_fma_f64 v[42:43], v[157:158], v[40:41], -v[42:43]
	v_fma_f64 v[140:141], v[159:160], v[40:41], v[140:141]
	v_fma_f64 v[148:149], v[161:162], v[40:41], -v[148:149]
	v_fma_f64 v[157:158], v[163:164], v[40:41], v[197:198]
	v_fma_f64 v[159:160], v[165:166], v[40:41], -v[199:200]
	v_fma_f64 v[161:162], v[167:168], v[40:41], v[201:202]
	v_fma_f64 v[163:164], v[169:170], v[40:41], -v[203:204]
	v_fma_f64 v[165:166], v[171:172], v[40:41], v[205:206]
	v_fma_f64 v[167:168], v[173:174], v[40:41], -v[207:208]
	v_fma_f64 v[169:170], v[175:176], v[40:41], v[209:210]
	v_fma_f64 v[171:172], v[177:178], v[40:41], -v[211:212]
	v_fma_f64 v[173:174], v[179:180], v[40:41], v[213:214]
	v_fma_f64 v[175:176], v[181:182], v[40:41], -v[215:216]
	v_fma_f64 v[177:178], v[183:184], v[40:41], v[217:218]
	v_fma_f64 v[179:180], v[185:186], v[40:41], -v[219:220]
	v_fma_f64 v[181:182], v[187:188], v[40:41], v[221:222]
	v_fma_f64 v[183:184], v[189:190], v[40:41], -v[223:224]
	v_fma_f64 v[185:186], v[191:192], v[40:41], v[225:226]
	v_fma_f64 v[187:188], v[193:194], v[40:41], -v[227:228]
	v_fma_f64 v[189:190], v[195:196], v[40:41], v[229:230]
	v_add_f64 v[36:37], v[36:37], -v[42:43]
	v_add_f64 v[38:39], v[38:39], -v[140:141]
	;; [unrolled: 1-line block ×20, first 2 shown]
	v_dual_mov_b32 v42, v142 :: v_dual_mov_b32 v43, v143
.LBB68_524:
	s_or_b32 exec_lo, exec_lo, s2
	v_lshl_add_u32 v140, v156, 4, v150
	s_barrier
	buffer_gl0_inv
	v_mov_b32_e32 v148, 25
	ds_store_2addr_b64 v140, v[36:37], v[38:39] offset1:1
	s_waitcnt lgkmcnt(0)
	s_barrier
	buffer_gl0_inv
	ds_load_2addr_b64 v[140:143], v150 offset0:50 offset1:51
	s_cmp_lt_i32 s5, 27
	s_cbranch_scc1 .LBB68_527
; %bb.525:
	v_add3_u32 v149, v155, 0, 0x1a0
	v_mov_b32_e32 v148, 25
	s_mov_b32 s6, 26
	s_set_inst_prefetch_distance 0x1
	.p2align	6
.LBB68_526:                             ; =>This Inner Loop Header: Depth=1
	ds_load_2addr_b64 v[157:160], v149 offset1:1
	s_waitcnt lgkmcnt(1)
	v_cmp_gt_f64_e32 vcc_lo, 0, v[140:141]
	v_xor_b32_e32 v161, 0x80000000, v141
	v_cmp_gt_f64_e64 s2, 0, v[142:143]
	v_xor_b32_e32 v163, 0x80000000, v143
	v_add_nc_u32_e32 v149, 16, v149
	s_waitcnt lgkmcnt(0)
	v_cmp_gt_f64_e64 s3, 0, v[157:158]
	v_mov_b32_e32 v165, v157
	v_dual_mov_b32 v167, v159 :: v_dual_cndmask_b32 v162, v141, v161
	v_xor_b32_e32 v161, 0x80000000, v158
	v_cndmask_b32_e64 v164, v143, v163, s2
	v_xor_b32_e32 v163, 0x80000000, v160
	s_delay_alu instid0(VALU_DEP_3) | instskip(SKIP_2) | instid1(VALU_DEP_2)
	v_cndmask_b32_e64 v166, v158, v161, s3
	v_cmp_gt_f64_e64 s3, 0, v[159:160]
	v_cndmask_b32_e32 v161, v140, v140, vcc_lo
	v_cndmask_b32_e64 v168, v160, v163, s3
	v_cndmask_b32_e64 v163, v142, v142, s2
	s_delay_alu instid0(VALU_DEP_2) | instskip(NEXT) | instid1(VALU_DEP_2)
	v_add_f64 v[165:166], v[165:166], v[167:168]
	v_add_f64 v[161:162], v[161:162], v[163:164]
	s_delay_alu instid0(VALU_DEP_1) | instskip(SKIP_4) | instid1(SALU_CYCLE_1)
	v_cmp_lt_f64_e32 vcc_lo, v[161:162], v[165:166]
	v_dual_cndmask_b32 v142, v142, v159 :: v_dual_cndmask_b32 v141, v141, v158
	v_dual_cndmask_b32 v140, v140, v157 :: v_dual_cndmask_b32 v143, v143, v160
	v_cndmask_b32_e64 v148, v148, s6, vcc_lo
	s_add_i32 s6, s6, 1
	s_cmp_lg_u32 s5, s6
	s_cbranch_scc1 .LBB68_526
.LBB68_527:
	s_set_inst_prefetch_distance 0x2
	s_waitcnt lgkmcnt(0)
	v_cmp_eq_f64_e32 vcc_lo, 0, v[140:141]
	v_cmp_eq_f64_e64 s2, 0, v[142:143]
	s_delay_alu instid0(VALU_DEP_1) | instskip(NEXT) | instid1(SALU_CYCLE_1)
	s_and_b32 s2, vcc_lo, s2
	s_and_saveexec_b32 s3, s2
	s_delay_alu instid0(SALU_CYCLE_1)
	s_xor_b32 s2, exec_lo, s3
; %bb.528:
	v_cmp_ne_u32_e32 vcc_lo, 0, v153
	v_cndmask_b32_e32 v153, 26, v153, vcc_lo
; %bb.529:
	s_and_not1_saveexec_b32 s3, s2
	s_cbranch_execz .LBB68_535
; %bb.530:
	v_cmp_gt_f64_e32 vcc_lo, 0, v[140:141]
	v_cmp_gt_f64_e64 s2, 0, v[142:143]
	v_xor_b32_e32 v149, 0x80000000, v141
	v_xor_b32_e32 v157, 0x80000000, v143
	s_delay_alu instid0(VALU_DEP_2) | instskip(NEXT) | instid1(VALU_DEP_2)
	v_cndmask_b32_e32 v158, v141, v149, vcc_lo
	v_cndmask_b32_e64 v160, v143, v157, s2
	v_cndmask_b32_e32 v157, v140, v140, vcc_lo
	v_cndmask_b32_e64 v159, v142, v142, s2
	s_mov_b32 s2, exec_lo
	s_delay_alu instid0(VALU_DEP_1)
	v_cmpx_ngt_f64_e32 v[157:158], v[159:160]
	s_xor_b32 s2, exec_lo, s2
	s_cbranch_execz .LBB68_532
; %bb.531:
	v_div_scale_f64 v[157:158], null, v[142:143], v[142:143], v[140:141]
	v_div_scale_f64 v[163:164], vcc_lo, v[140:141], v[142:143], v[140:141]
	s_delay_alu instid0(VALU_DEP_2) | instskip(SKIP_2) | instid1(VALU_DEP_1)
	v_rcp_f64_e32 v[159:160], v[157:158]
	s_waitcnt_depctr 0xfff
	v_fma_f64 v[161:162], -v[157:158], v[159:160], 1.0
	v_fma_f64 v[159:160], v[159:160], v[161:162], v[159:160]
	s_delay_alu instid0(VALU_DEP_1) | instskip(NEXT) | instid1(VALU_DEP_1)
	v_fma_f64 v[161:162], -v[157:158], v[159:160], 1.0
	v_fma_f64 v[159:160], v[159:160], v[161:162], v[159:160]
	s_delay_alu instid0(VALU_DEP_1) | instskip(NEXT) | instid1(VALU_DEP_1)
	v_mul_f64 v[161:162], v[163:164], v[159:160]
	v_fma_f64 v[157:158], -v[157:158], v[161:162], v[163:164]
	s_delay_alu instid0(VALU_DEP_1) | instskip(NEXT) | instid1(VALU_DEP_1)
	v_div_fmas_f64 v[157:158], v[157:158], v[159:160], v[161:162]
	v_div_fixup_f64 v[157:158], v[157:158], v[142:143], v[140:141]
	s_delay_alu instid0(VALU_DEP_1) | instskip(NEXT) | instid1(VALU_DEP_1)
	v_fma_f64 v[140:141], v[140:141], v[157:158], v[142:143]
	v_div_scale_f64 v[142:143], null, v[140:141], v[140:141], 1.0
	s_delay_alu instid0(VALU_DEP_1) | instskip(SKIP_2) | instid1(VALU_DEP_1)
	v_rcp_f64_e32 v[159:160], v[142:143]
	s_waitcnt_depctr 0xfff
	v_fma_f64 v[161:162], -v[142:143], v[159:160], 1.0
	v_fma_f64 v[159:160], v[159:160], v[161:162], v[159:160]
	s_delay_alu instid0(VALU_DEP_1) | instskip(NEXT) | instid1(VALU_DEP_1)
	v_fma_f64 v[161:162], -v[142:143], v[159:160], 1.0
	v_fma_f64 v[159:160], v[159:160], v[161:162], v[159:160]
	v_div_scale_f64 v[161:162], vcc_lo, 1.0, v[140:141], 1.0
	s_delay_alu instid0(VALU_DEP_1) | instskip(NEXT) | instid1(VALU_DEP_1)
	v_mul_f64 v[163:164], v[161:162], v[159:160]
	v_fma_f64 v[142:143], -v[142:143], v[163:164], v[161:162]
	s_delay_alu instid0(VALU_DEP_1) | instskip(NEXT) | instid1(VALU_DEP_1)
	v_div_fmas_f64 v[142:143], v[142:143], v[159:160], v[163:164]
	v_div_fixup_f64 v[142:143], v[142:143], v[140:141], 1.0
	s_delay_alu instid0(VALU_DEP_1)
	v_mul_f64 v[140:141], v[157:158], v[142:143]
	v_xor_b32_e32 v143, 0x80000000, v143
.LBB68_532:
	s_and_not1_saveexec_b32 s2, s2
	s_cbranch_execz .LBB68_534
; %bb.533:
	s_delay_alu instid0(VALU_DEP_1) | instskip(SKIP_1) | instid1(VALU_DEP_2)
	v_div_scale_f64 v[157:158], null, v[140:141], v[140:141], v[142:143]
	v_div_scale_f64 v[163:164], vcc_lo, v[142:143], v[140:141], v[142:143]
	v_rcp_f64_e32 v[159:160], v[157:158]
	s_waitcnt_depctr 0xfff
	v_fma_f64 v[161:162], -v[157:158], v[159:160], 1.0
	s_delay_alu instid0(VALU_DEP_1) | instskip(NEXT) | instid1(VALU_DEP_1)
	v_fma_f64 v[159:160], v[159:160], v[161:162], v[159:160]
	v_fma_f64 v[161:162], -v[157:158], v[159:160], 1.0
	s_delay_alu instid0(VALU_DEP_1) | instskip(NEXT) | instid1(VALU_DEP_1)
	v_fma_f64 v[159:160], v[159:160], v[161:162], v[159:160]
	v_mul_f64 v[161:162], v[163:164], v[159:160]
	s_delay_alu instid0(VALU_DEP_1) | instskip(NEXT) | instid1(VALU_DEP_1)
	v_fma_f64 v[157:158], -v[157:158], v[161:162], v[163:164]
	v_div_fmas_f64 v[157:158], v[157:158], v[159:160], v[161:162]
	s_delay_alu instid0(VALU_DEP_1) | instskip(NEXT) | instid1(VALU_DEP_1)
	v_div_fixup_f64 v[157:158], v[157:158], v[140:141], v[142:143]
	v_fma_f64 v[140:141], v[142:143], v[157:158], v[140:141]
	s_delay_alu instid0(VALU_DEP_1) | instskip(NEXT) | instid1(VALU_DEP_1)
	v_div_scale_f64 v[142:143], null, v[140:141], v[140:141], 1.0
	v_rcp_f64_e32 v[159:160], v[142:143]
	s_waitcnt_depctr 0xfff
	v_fma_f64 v[161:162], -v[142:143], v[159:160], 1.0
	s_delay_alu instid0(VALU_DEP_1) | instskip(NEXT) | instid1(VALU_DEP_1)
	v_fma_f64 v[159:160], v[159:160], v[161:162], v[159:160]
	v_fma_f64 v[161:162], -v[142:143], v[159:160], 1.0
	s_delay_alu instid0(VALU_DEP_1) | instskip(SKIP_1) | instid1(VALU_DEP_1)
	v_fma_f64 v[159:160], v[159:160], v[161:162], v[159:160]
	v_div_scale_f64 v[161:162], vcc_lo, 1.0, v[140:141], 1.0
	v_mul_f64 v[163:164], v[161:162], v[159:160]
	s_delay_alu instid0(VALU_DEP_1) | instskip(NEXT) | instid1(VALU_DEP_1)
	v_fma_f64 v[142:143], -v[142:143], v[163:164], v[161:162]
	v_div_fmas_f64 v[142:143], v[142:143], v[159:160], v[163:164]
	s_delay_alu instid0(VALU_DEP_1) | instskip(NEXT) | instid1(VALU_DEP_1)
	v_div_fixup_f64 v[140:141], v[142:143], v[140:141], 1.0
	v_mul_f64 v[142:143], v[157:158], -v[140:141]
.LBB68_534:
	s_or_b32 exec_lo, exec_lo, s2
.LBB68_535:
	s_delay_alu instid0(SALU_CYCLE_1) | instskip(NEXT) | instid1(SALU_CYCLE_1)
	s_or_b32 exec_lo, exec_lo, s3
	s_mov_b32 s2, exec_lo
	v_cmpx_ne_u32_e64 v156, v148
	s_xor_b32 s2, exec_lo, s2
	s_cbranch_execz .LBB68_541
; %bb.536:
	s_mov_b32 s3, exec_lo
	v_cmpx_eq_u32_e32 25, v156
	s_cbranch_execz .LBB68_540
; %bb.537:
	v_cmp_ne_u32_e32 vcc_lo, 25, v148
	s_xor_b32 s6, s4, -1
	s_delay_alu instid0(SALU_CYCLE_1) | instskip(NEXT) | instid1(SALU_CYCLE_1)
	s_and_b32 s7, s6, vcc_lo
	s_and_saveexec_b32 s6, s7
	s_cbranch_execz .LBB68_539
; %bb.538:
	v_ashrrev_i32_e32 v149, 31, v148
	s_delay_alu instid0(VALU_DEP_1) | instskip(NEXT) | instid1(VALU_DEP_1)
	v_lshlrev_b64 v[156:157], 2, v[148:149]
	v_add_co_u32 v156, vcc_lo, v146, v156
	s_delay_alu instid0(VALU_DEP_2)
	v_add_co_ci_u32_e32 v157, vcc_lo, v147, v157, vcc_lo
	s_clause 0x1
	flat_load_b32 v149, v[156:157]
	flat_load_b32 v154, v[146:147] offset:100
	s_waitcnt vmcnt(1) lgkmcnt(1)
	flat_store_b32 v[146:147], v149 offset:100
	s_waitcnt vmcnt(0) lgkmcnt(1)
	flat_store_b32 v[156:157], v154
.LBB68_539:
	s_or_b32 exec_lo, exec_lo, s6
	v_mov_b32_e32 v156, v148
	v_mov_b32_e32 v154, v148
.LBB68_540:
	s_or_b32 exec_lo, exec_lo, s3
.LBB68_541:
	s_and_not1_saveexec_b32 s2, s2
	s_cbranch_execz .LBB68_543
; %bb.542:
	v_mov_b32_e32 v156, 25
	ds_store_2addr_b64 v150, v[32:33], v[34:35] offset0:52 offset1:53
	ds_store_2addr_b64 v150, v[28:29], v[30:31] offset0:54 offset1:55
	ds_store_2addr_b64 v150, v[24:25], v[26:27] offset0:56 offset1:57
	ds_store_2addr_b64 v150, v[20:21], v[22:23] offset0:58 offset1:59
	ds_store_2addr_b64 v150, v[16:17], v[18:19] offset0:60 offset1:61
	ds_store_2addr_b64 v150, v[12:13], v[14:15] offset0:62 offset1:63
	ds_store_2addr_b64 v150, v[8:9], v[10:11] offset0:64 offset1:65
	ds_store_2addr_b64 v150, v[4:5], v[6:7] offset0:66 offset1:67
	ds_store_2addr_b64 v150, v[0:1], v[2:3] offset0:68 offset1:69
.LBB68_543:
	s_or_b32 exec_lo, exec_lo, s2
	s_delay_alu instid0(SALU_CYCLE_1)
	s_mov_b32 s2, exec_lo
	s_waitcnt lgkmcnt(0)
	s_waitcnt_vscnt null, 0x0
	s_barrier
	buffer_gl0_inv
	v_cmpx_lt_i32_e32 25, v156
	s_cbranch_execz .LBB68_545
; %bb.544:
	v_mul_f64 v[148:149], v[140:141], v[38:39]
	v_mul_f64 v[38:39], v[142:143], v[38:39]
	ds_load_2addr_b64 v[157:160], v150 offset0:52 offset1:53
	ds_load_2addr_b64 v[161:164], v150 offset0:54 offset1:55
	;; [unrolled: 1-line block ×9, first 2 shown]
	v_fma_f64 v[142:143], v[142:143], v[36:37], v[148:149]
	v_fma_f64 v[36:37], v[140:141], v[36:37], -v[38:39]
	s_waitcnt lgkmcnt(8)
	s_delay_alu instid0(VALU_DEP_2)
	v_mul_f64 v[38:39], v[159:160], v[142:143]
	v_mul_f64 v[140:141], v[157:158], v[142:143]
	s_waitcnt lgkmcnt(7)
	v_mul_f64 v[148:149], v[163:164], v[142:143]
	v_mul_f64 v[193:194], v[161:162], v[142:143]
	s_waitcnt lgkmcnt(6)
	;; [unrolled: 3-line block ×8, first 2 shown]
	v_mul_f64 v[219:220], v[191:192], v[142:143]
	v_mul_f64 v[221:222], v[189:190], v[142:143]
	v_fma_f64 v[38:39], v[157:158], v[36:37], -v[38:39]
	v_fma_f64 v[140:141], v[159:160], v[36:37], v[140:141]
	v_fma_f64 v[148:149], v[161:162], v[36:37], -v[148:149]
	v_fma_f64 v[157:158], v[163:164], v[36:37], v[193:194]
	;; [unrolled: 2-line block ×9, first 2 shown]
	v_add_f64 v[32:33], v[32:33], -v[38:39]
	v_add_f64 v[34:35], v[34:35], -v[140:141]
	;; [unrolled: 1-line block ×18, first 2 shown]
	v_dual_mov_b32 v38, v142 :: v_dual_mov_b32 v39, v143
.LBB68_545:
	s_or_b32 exec_lo, exec_lo, s2
	v_lshl_add_u32 v140, v156, 4, v150
	s_barrier
	buffer_gl0_inv
	v_mov_b32_e32 v148, 26
	ds_store_2addr_b64 v140, v[32:33], v[34:35] offset1:1
	s_waitcnt lgkmcnt(0)
	s_barrier
	buffer_gl0_inv
	ds_load_2addr_b64 v[140:143], v150 offset0:52 offset1:53
	s_cmp_lt_i32 s5, 28
	s_cbranch_scc1 .LBB68_548
; %bb.546:
	v_add3_u32 v149, v155, 0, 0x1b0
	v_mov_b32_e32 v148, 26
	s_mov_b32 s6, 27
	s_set_inst_prefetch_distance 0x1
	.p2align	6
.LBB68_547:                             ; =>This Inner Loop Header: Depth=1
	ds_load_2addr_b64 v[157:160], v149 offset1:1
	s_waitcnt lgkmcnt(1)
	v_cmp_gt_f64_e32 vcc_lo, 0, v[140:141]
	v_xor_b32_e32 v161, 0x80000000, v141
	v_cmp_gt_f64_e64 s2, 0, v[142:143]
	v_xor_b32_e32 v163, 0x80000000, v143
	v_add_nc_u32_e32 v149, 16, v149
	s_waitcnt lgkmcnt(0)
	v_cmp_gt_f64_e64 s3, 0, v[157:158]
	v_mov_b32_e32 v165, v157
	v_dual_mov_b32 v167, v159 :: v_dual_cndmask_b32 v162, v141, v161
	v_xor_b32_e32 v161, 0x80000000, v158
	v_cndmask_b32_e64 v164, v143, v163, s2
	v_xor_b32_e32 v163, 0x80000000, v160
	s_delay_alu instid0(VALU_DEP_3) | instskip(SKIP_2) | instid1(VALU_DEP_2)
	v_cndmask_b32_e64 v166, v158, v161, s3
	v_cmp_gt_f64_e64 s3, 0, v[159:160]
	v_cndmask_b32_e32 v161, v140, v140, vcc_lo
	v_cndmask_b32_e64 v168, v160, v163, s3
	v_cndmask_b32_e64 v163, v142, v142, s2
	s_delay_alu instid0(VALU_DEP_2) | instskip(NEXT) | instid1(VALU_DEP_2)
	v_add_f64 v[165:166], v[165:166], v[167:168]
	v_add_f64 v[161:162], v[161:162], v[163:164]
	s_delay_alu instid0(VALU_DEP_1) | instskip(SKIP_4) | instid1(SALU_CYCLE_1)
	v_cmp_lt_f64_e32 vcc_lo, v[161:162], v[165:166]
	v_dual_cndmask_b32 v142, v142, v159 :: v_dual_cndmask_b32 v141, v141, v158
	v_dual_cndmask_b32 v140, v140, v157 :: v_dual_cndmask_b32 v143, v143, v160
	v_cndmask_b32_e64 v148, v148, s6, vcc_lo
	s_add_i32 s6, s6, 1
	s_cmp_lg_u32 s5, s6
	s_cbranch_scc1 .LBB68_547
.LBB68_548:
	s_set_inst_prefetch_distance 0x2
	s_waitcnt lgkmcnt(0)
	v_cmp_eq_f64_e32 vcc_lo, 0, v[140:141]
	v_cmp_eq_f64_e64 s2, 0, v[142:143]
	s_delay_alu instid0(VALU_DEP_1) | instskip(NEXT) | instid1(SALU_CYCLE_1)
	s_and_b32 s2, vcc_lo, s2
	s_and_saveexec_b32 s3, s2
	s_delay_alu instid0(SALU_CYCLE_1)
	s_xor_b32 s2, exec_lo, s3
; %bb.549:
	v_cmp_ne_u32_e32 vcc_lo, 0, v153
	v_cndmask_b32_e32 v153, 27, v153, vcc_lo
; %bb.550:
	s_and_not1_saveexec_b32 s3, s2
	s_cbranch_execz .LBB68_556
; %bb.551:
	v_cmp_gt_f64_e32 vcc_lo, 0, v[140:141]
	v_cmp_gt_f64_e64 s2, 0, v[142:143]
	v_xor_b32_e32 v149, 0x80000000, v141
	v_xor_b32_e32 v157, 0x80000000, v143
	s_delay_alu instid0(VALU_DEP_2) | instskip(NEXT) | instid1(VALU_DEP_2)
	v_cndmask_b32_e32 v158, v141, v149, vcc_lo
	v_cndmask_b32_e64 v160, v143, v157, s2
	v_cndmask_b32_e32 v157, v140, v140, vcc_lo
	v_cndmask_b32_e64 v159, v142, v142, s2
	s_mov_b32 s2, exec_lo
	s_delay_alu instid0(VALU_DEP_1)
	v_cmpx_ngt_f64_e32 v[157:158], v[159:160]
	s_xor_b32 s2, exec_lo, s2
	s_cbranch_execz .LBB68_553
; %bb.552:
	v_div_scale_f64 v[157:158], null, v[142:143], v[142:143], v[140:141]
	v_div_scale_f64 v[163:164], vcc_lo, v[140:141], v[142:143], v[140:141]
	s_delay_alu instid0(VALU_DEP_2) | instskip(SKIP_2) | instid1(VALU_DEP_1)
	v_rcp_f64_e32 v[159:160], v[157:158]
	s_waitcnt_depctr 0xfff
	v_fma_f64 v[161:162], -v[157:158], v[159:160], 1.0
	v_fma_f64 v[159:160], v[159:160], v[161:162], v[159:160]
	s_delay_alu instid0(VALU_DEP_1) | instskip(NEXT) | instid1(VALU_DEP_1)
	v_fma_f64 v[161:162], -v[157:158], v[159:160], 1.0
	v_fma_f64 v[159:160], v[159:160], v[161:162], v[159:160]
	s_delay_alu instid0(VALU_DEP_1) | instskip(NEXT) | instid1(VALU_DEP_1)
	v_mul_f64 v[161:162], v[163:164], v[159:160]
	v_fma_f64 v[157:158], -v[157:158], v[161:162], v[163:164]
	s_delay_alu instid0(VALU_DEP_1) | instskip(NEXT) | instid1(VALU_DEP_1)
	v_div_fmas_f64 v[157:158], v[157:158], v[159:160], v[161:162]
	v_div_fixup_f64 v[157:158], v[157:158], v[142:143], v[140:141]
	s_delay_alu instid0(VALU_DEP_1) | instskip(NEXT) | instid1(VALU_DEP_1)
	v_fma_f64 v[140:141], v[140:141], v[157:158], v[142:143]
	v_div_scale_f64 v[142:143], null, v[140:141], v[140:141], 1.0
	s_delay_alu instid0(VALU_DEP_1) | instskip(SKIP_2) | instid1(VALU_DEP_1)
	v_rcp_f64_e32 v[159:160], v[142:143]
	s_waitcnt_depctr 0xfff
	v_fma_f64 v[161:162], -v[142:143], v[159:160], 1.0
	v_fma_f64 v[159:160], v[159:160], v[161:162], v[159:160]
	s_delay_alu instid0(VALU_DEP_1) | instskip(NEXT) | instid1(VALU_DEP_1)
	v_fma_f64 v[161:162], -v[142:143], v[159:160], 1.0
	v_fma_f64 v[159:160], v[159:160], v[161:162], v[159:160]
	v_div_scale_f64 v[161:162], vcc_lo, 1.0, v[140:141], 1.0
	s_delay_alu instid0(VALU_DEP_1) | instskip(NEXT) | instid1(VALU_DEP_1)
	v_mul_f64 v[163:164], v[161:162], v[159:160]
	v_fma_f64 v[142:143], -v[142:143], v[163:164], v[161:162]
	s_delay_alu instid0(VALU_DEP_1) | instskip(NEXT) | instid1(VALU_DEP_1)
	v_div_fmas_f64 v[142:143], v[142:143], v[159:160], v[163:164]
	v_div_fixup_f64 v[142:143], v[142:143], v[140:141], 1.0
	s_delay_alu instid0(VALU_DEP_1)
	v_mul_f64 v[140:141], v[157:158], v[142:143]
	v_xor_b32_e32 v143, 0x80000000, v143
.LBB68_553:
	s_and_not1_saveexec_b32 s2, s2
	s_cbranch_execz .LBB68_555
; %bb.554:
	s_delay_alu instid0(VALU_DEP_1) | instskip(SKIP_1) | instid1(VALU_DEP_2)
	v_div_scale_f64 v[157:158], null, v[140:141], v[140:141], v[142:143]
	v_div_scale_f64 v[163:164], vcc_lo, v[142:143], v[140:141], v[142:143]
	v_rcp_f64_e32 v[159:160], v[157:158]
	s_waitcnt_depctr 0xfff
	v_fma_f64 v[161:162], -v[157:158], v[159:160], 1.0
	s_delay_alu instid0(VALU_DEP_1) | instskip(NEXT) | instid1(VALU_DEP_1)
	v_fma_f64 v[159:160], v[159:160], v[161:162], v[159:160]
	v_fma_f64 v[161:162], -v[157:158], v[159:160], 1.0
	s_delay_alu instid0(VALU_DEP_1) | instskip(NEXT) | instid1(VALU_DEP_1)
	v_fma_f64 v[159:160], v[159:160], v[161:162], v[159:160]
	v_mul_f64 v[161:162], v[163:164], v[159:160]
	s_delay_alu instid0(VALU_DEP_1) | instskip(NEXT) | instid1(VALU_DEP_1)
	v_fma_f64 v[157:158], -v[157:158], v[161:162], v[163:164]
	v_div_fmas_f64 v[157:158], v[157:158], v[159:160], v[161:162]
	s_delay_alu instid0(VALU_DEP_1) | instskip(NEXT) | instid1(VALU_DEP_1)
	v_div_fixup_f64 v[157:158], v[157:158], v[140:141], v[142:143]
	v_fma_f64 v[140:141], v[142:143], v[157:158], v[140:141]
	s_delay_alu instid0(VALU_DEP_1) | instskip(NEXT) | instid1(VALU_DEP_1)
	v_div_scale_f64 v[142:143], null, v[140:141], v[140:141], 1.0
	v_rcp_f64_e32 v[159:160], v[142:143]
	s_waitcnt_depctr 0xfff
	v_fma_f64 v[161:162], -v[142:143], v[159:160], 1.0
	s_delay_alu instid0(VALU_DEP_1) | instskip(NEXT) | instid1(VALU_DEP_1)
	v_fma_f64 v[159:160], v[159:160], v[161:162], v[159:160]
	v_fma_f64 v[161:162], -v[142:143], v[159:160], 1.0
	s_delay_alu instid0(VALU_DEP_1) | instskip(SKIP_1) | instid1(VALU_DEP_1)
	v_fma_f64 v[159:160], v[159:160], v[161:162], v[159:160]
	v_div_scale_f64 v[161:162], vcc_lo, 1.0, v[140:141], 1.0
	v_mul_f64 v[163:164], v[161:162], v[159:160]
	s_delay_alu instid0(VALU_DEP_1) | instskip(NEXT) | instid1(VALU_DEP_1)
	v_fma_f64 v[142:143], -v[142:143], v[163:164], v[161:162]
	v_div_fmas_f64 v[142:143], v[142:143], v[159:160], v[163:164]
	s_delay_alu instid0(VALU_DEP_1) | instskip(NEXT) | instid1(VALU_DEP_1)
	v_div_fixup_f64 v[140:141], v[142:143], v[140:141], 1.0
	v_mul_f64 v[142:143], v[157:158], -v[140:141]
.LBB68_555:
	s_or_b32 exec_lo, exec_lo, s2
.LBB68_556:
	s_delay_alu instid0(SALU_CYCLE_1) | instskip(NEXT) | instid1(SALU_CYCLE_1)
	s_or_b32 exec_lo, exec_lo, s3
	s_mov_b32 s2, exec_lo
	v_cmpx_ne_u32_e64 v156, v148
	s_xor_b32 s2, exec_lo, s2
	s_cbranch_execz .LBB68_562
; %bb.557:
	s_mov_b32 s3, exec_lo
	v_cmpx_eq_u32_e32 26, v156
	s_cbranch_execz .LBB68_561
; %bb.558:
	v_cmp_ne_u32_e32 vcc_lo, 26, v148
	s_xor_b32 s6, s4, -1
	s_delay_alu instid0(SALU_CYCLE_1) | instskip(NEXT) | instid1(SALU_CYCLE_1)
	s_and_b32 s7, s6, vcc_lo
	s_and_saveexec_b32 s6, s7
	s_cbranch_execz .LBB68_560
; %bb.559:
	v_ashrrev_i32_e32 v149, 31, v148
	s_delay_alu instid0(VALU_DEP_1) | instskip(NEXT) | instid1(VALU_DEP_1)
	v_lshlrev_b64 v[156:157], 2, v[148:149]
	v_add_co_u32 v156, vcc_lo, v146, v156
	s_delay_alu instid0(VALU_DEP_2)
	v_add_co_ci_u32_e32 v157, vcc_lo, v147, v157, vcc_lo
	s_clause 0x1
	flat_load_b32 v149, v[156:157]
	flat_load_b32 v154, v[146:147] offset:104
	s_waitcnt vmcnt(1) lgkmcnt(1)
	flat_store_b32 v[146:147], v149 offset:104
	s_waitcnt vmcnt(0) lgkmcnt(1)
	flat_store_b32 v[156:157], v154
.LBB68_560:
	s_or_b32 exec_lo, exec_lo, s6
	v_mov_b32_e32 v156, v148
	v_mov_b32_e32 v154, v148
.LBB68_561:
	s_or_b32 exec_lo, exec_lo, s3
.LBB68_562:
	s_and_not1_saveexec_b32 s2, s2
	s_cbranch_execz .LBB68_564
; %bb.563:
	v_mov_b32_e32 v156, 26
	ds_store_2addr_b64 v150, v[28:29], v[30:31] offset0:54 offset1:55
	ds_store_2addr_b64 v150, v[24:25], v[26:27] offset0:56 offset1:57
	ds_store_2addr_b64 v150, v[20:21], v[22:23] offset0:58 offset1:59
	ds_store_2addr_b64 v150, v[16:17], v[18:19] offset0:60 offset1:61
	ds_store_2addr_b64 v150, v[12:13], v[14:15] offset0:62 offset1:63
	ds_store_2addr_b64 v150, v[8:9], v[10:11] offset0:64 offset1:65
	ds_store_2addr_b64 v150, v[4:5], v[6:7] offset0:66 offset1:67
	ds_store_2addr_b64 v150, v[0:1], v[2:3] offset0:68 offset1:69
.LBB68_564:
	s_or_b32 exec_lo, exec_lo, s2
	s_delay_alu instid0(SALU_CYCLE_1)
	s_mov_b32 s2, exec_lo
	s_waitcnt lgkmcnt(0)
	s_waitcnt_vscnt null, 0x0
	s_barrier
	buffer_gl0_inv
	v_cmpx_lt_i32_e32 26, v156
	s_cbranch_execz .LBB68_566
; %bb.565:
	v_mul_f64 v[148:149], v[140:141], v[34:35]
	v_mul_f64 v[34:35], v[142:143], v[34:35]
	ds_load_2addr_b64 v[157:160], v150 offset0:54 offset1:55
	ds_load_2addr_b64 v[161:164], v150 offset0:56 offset1:57
	;; [unrolled: 1-line block ×8, first 2 shown]
	v_fma_f64 v[142:143], v[142:143], v[32:33], v[148:149]
	v_fma_f64 v[32:33], v[140:141], v[32:33], -v[34:35]
	s_waitcnt lgkmcnt(7)
	s_delay_alu instid0(VALU_DEP_2)
	v_mul_f64 v[34:35], v[159:160], v[142:143]
	v_mul_f64 v[140:141], v[157:158], v[142:143]
	s_waitcnt lgkmcnt(6)
	v_mul_f64 v[148:149], v[163:164], v[142:143]
	v_mul_f64 v[189:190], v[161:162], v[142:143]
	s_waitcnt lgkmcnt(5)
	;; [unrolled: 3-line block ×7, first 2 shown]
	v_mul_f64 v[211:212], v[187:188], v[142:143]
	v_mul_f64 v[213:214], v[185:186], v[142:143]
	v_fma_f64 v[34:35], v[157:158], v[32:33], -v[34:35]
	v_fma_f64 v[140:141], v[159:160], v[32:33], v[140:141]
	v_fma_f64 v[148:149], v[161:162], v[32:33], -v[148:149]
	v_fma_f64 v[157:158], v[163:164], v[32:33], v[189:190]
	;; [unrolled: 2-line block ×8, first 2 shown]
	v_add_f64 v[28:29], v[28:29], -v[34:35]
	v_add_f64 v[30:31], v[30:31], -v[140:141]
	;; [unrolled: 1-line block ×16, first 2 shown]
	v_dual_mov_b32 v34, v142 :: v_dual_mov_b32 v35, v143
.LBB68_566:
	s_or_b32 exec_lo, exec_lo, s2
	v_lshl_add_u32 v140, v156, 4, v150
	s_barrier
	buffer_gl0_inv
	v_mov_b32_e32 v148, 27
	ds_store_2addr_b64 v140, v[28:29], v[30:31] offset1:1
	s_waitcnt lgkmcnt(0)
	s_barrier
	buffer_gl0_inv
	ds_load_2addr_b64 v[140:143], v150 offset0:54 offset1:55
	s_cmp_lt_i32 s5, 29
	s_cbranch_scc1 .LBB68_569
; %bb.567:
	v_add3_u32 v149, v155, 0, 0x1c0
	v_mov_b32_e32 v148, 27
	s_mov_b32 s6, 28
	s_set_inst_prefetch_distance 0x1
	.p2align	6
.LBB68_568:                             ; =>This Inner Loop Header: Depth=1
	ds_load_2addr_b64 v[157:160], v149 offset1:1
	s_waitcnt lgkmcnt(1)
	v_cmp_gt_f64_e32 vcc_lo, 0, v[140:141]
	v_xor_b32_e32 v161, 0x80000000, v141
	v_cmp_gt_f64_e64 s2, 0, v[142:143]
	v_xor_b32_e32 v163, 0x80000000, v143
	v_add_nc_u32_e32 v149, 16, v149
	s_waitcnt lgkmcnt(0)
	v_cmp_gt_f64_e64 s3, 0, v[157:158]
	v_mov_b32_e32 v165, v157
	v_dual_mov_b32 v167, v159 :: v_dual_cndmask_b32 v162, v141, v161
	v_xor_b32_e32 v161, 0x80000000, v158
	v_cndmask_b32_e64 v164, v143, v163, s2
	v_xor_b32_e32 v163, 0x80000000, v160
	s_delay_alu instid0(VALU_DEP_3) | instskip(SKIP_2) | instid1(VALU_DEP_2)
	v_cndmask_b32_e64 v166, v158, v161, s3
	v_cmp_gt_f64_e64 s3, 0, v[159:160]
	v_cndmask_b32_e32 v161, v140, v140, vcc_lo
	v_cndmask_b32_e64 v168, v160, v163, s3
	v_cndmask_b32_e64 v163, v142, v142, s2
	s_delay_alu instid0(VALU_DEP_2) | instskip(NEXT) | instid1(VALU_DEP_2)
	v_add_f64 v[165:166], v[165:166], v[167:168]
	v_add_f64 v[161:162], v[161:162], v[163:164]
	s_delay_alu instid0(VALU_DEP_1) | instskip(SKIP_4) | instid1(SALU_CYCLE_1)
	v_cmp_lt_f64_e32 vcc_lo, v[161:162], v[165:166]
	v_dual_cndmask_b32 v142, v142, v159 :: v_dual_cndmask_b32 v141, v141, v158
	v_dual_cndmask_b32 v140, v140, v157 :: v_dual_cndmask_b32 v143, v143, v160
	v_cndmask_b32_e64 v148, v148, s6, vcc_lo
	s_add_i32 s6, s6, 1
	s_cmp_lg_u32 s5, s6
	s_cbranch_scc1 .LBB68_568
.LBB68_569:
	s_set_inst_prefetch_distance 0x2
	s_waitcnt lgkmcnt(0)
	v_cmp_eq_f64_e32 vcc_lo, 0, v[140:141]
	v_cmp_eq_f64_e64 s2, 0, v[142:143]
	s_delay_alu instid0(VALU_DEP_1) | instskip(NEXT) | instid1(SALU_CYCLE_1)
	s_and_b32 s2, vcc_lo, s2
	s_and_saveexec_b32 s3, s2
	s_delay_alu instid0(SALU_CYCLE_1)
	s_xor_b32 s2, exec_lo, s3
; %bb.570:
	v_cmp_ne_u32_e32 vcc_lo, 0, v153
	v_cndmask_b32_e32 v153, 28, v153, vcc_lo
; %bb.571:
	s_and_not1_saveexec_b32 s3, s2
	s_cbranch_execz .LBB68_577
; %bb.572:
	v_cmp_gt_f64_e32 vcc_lo, 0, v[140:141]
	v_cmp_gt_f64_e64 s2, 0, v[142:143]
	v_xor_b32_e32 v149, 0x80000000, v141
	v_xor_b32_e32 v157, 0x80000000, v143
	s_delay_alu instid0(VALU_DEP_2) | instskip(NEXT) | instid1(VALU_DEP_2)
	v_cndmask_b32_e32 v158, v141, v149, vcc_lo
	v_cndmask_b32_e64 v160, v143, v157, s2
	v_cndmask_b32_e32 v157, v140, v140, vcc_lo
	v_cndmask_b32_e64 v159, v142, v142, s2
	s_mov_b32 s2, exec_lo
	s_delay_alu instid0(VALU_DEP_1)
	v_cmpx_ngt_f64_e32 v[157:158], v[159:160]
	s_xor_b32 s2, exec_lo, s2
	s_cbranch_execz .LBB68_574
; %bb.573:
	v_div_scale_f64 v[157:158], null, v[142:143], v[142:143], v[140:141]
	v_div_scale_f64 v[163:164], vcc_lo, v[140:141], v[142:143], v[140:141]
	s_delay_alu instid0(VALU_DEP_2) | instskip(SKIP_2) | instid1(VALU_DEP_1)
	v_rcp_f64_e32 v[159:160], v[157:158]
	s_waitcnt_depctr 0xfff
	v_fma_f64 v[161:162], -v[157:158], v[159:160], 1.0
	v_fma_f64 v[159:160], v[159:160], v[161:162], v[159:160]
	s_delay_alu instid0(VALU_DEP_1) | instskip(NEXT) | instid1(VALU_DEP_1)
	v_fma_f64 v[161:162], -v[157:158], v[159:160], 1.0
	v_fma_f64 v[159:160], v[159:160], v[161:162], v[159:160]
	s_delay_alu instid0(VALU_DEP_1) | instskip(NEXT) | instid1(VALU_DEP_1)
	v_mul_f64 v[161:162], v[163:164], v[159:160]
	v_fma_f64 v[157:158], -v[157:158], v[161:162], v[163:164]
	s_delay_alu instid0(VALU_DEP_1) | instskip(NEXT) | instid1(VALU_DEP_1)
	v_div_fmas_f64 v[157:158], v[157:158], v[159:160], v[161:162]
	v_div_fixup_f64 v[157:158], v[157:158], v[142:143], v[140:141]
	s_delay_alu instid0(VALU_DEP_1) | instskip(NEXT) | instid1(VALU_DEP_1)
	v_fma_f64 v[140:141], v[140:141], v[157:158], v[142:143]
	v_div_scale_f64 v[142:143], null, v[140:141], v[140:141], 1.0
	s_delay_alu instid0(VALU_DEP_1) | instskip(SKIP_2) | instid1(VALU_DEP_1)
	v_rcp_f64_e32 v[159:160], v[142:143]
	s_waitcnt_depctr 0xfff
	v_fma_f64 v[161:162], -v[142:143], v[159:160], 1.0
	v_fma_f64 v[159:160], v[159:160], v[161:162], v[159:160]
	s_delay_alu instid0(VALU_DEP_1) | instskip(NEXT) | instid1(VALU_DEP_1)
	v_fma_f64 v[161:162], -v[142:143], v[159:160], 1.0
	v_fma_f64 v[159:160], v[159:160], v[161:162], v[159:160]
	v_div_scale_f64 v[161:162], vcc_lo, 1.0, v[140:141], 1.0
	s_delay_alu instid0(VALU_DEP_1) | instskip(NEXT) | instid1(VALU_DEP_1)
	v_mul_f64 v[163:164], v[161:162], v[159:160]
	v_fma_f64 v[142:143], -v[142:143], v[163:164], v[161:162]
	s_delay_alu instid0(VALU_DEP_1) | instskip(NEXT) | instid1(VALU_DEP_1)
	v_div_fmas_f64 v[142:143], v[142:143], v[159:160], v[163:164]
	v_div_fixup_f64 v[142:143], v[142:143], v[140:141], 1.0
	s_delay_alu instid0(VALU_DEP_1)
	v_mul_f64 v[140:141], v[157:158], v[142:143]
	v_xor_b32_e32 v143, 0x80000000, v143
.LBB68_574:
	s_and_not1_saveexec_b32 s2, s2
	s_cbranch_execz .LBB68_576
; %bb.575:
	s_delay_alu instid0(VALU_DEP_1) | instskip(SKIP_1) | instid1(VALU_DEP_2)
	v_div_scale_f64 v[157:158], null, v[140:141], v[140:141], v[142:143]
	v_div_scale_f64 v[163:164], vcc_lo, v[142:143], v[140:141], v[142:143]
	v_rcp_f64_e32 v[159:160], v[157:158]
	s_waitcnt_depctr 0xfff
	v_fma_f64 v[161:162], -v[157:158], v[159:160], 1.0
	s_delay_alu instid0(VALU_DEP_1) | instskip(NEXT) | instid1(VALU_DEP_1)
	v_fma_f64 v[159:160], v[159:160], v[161:162], v[159:160]
	v_fma_f64 v[161:162], -v[157:158], v[159:160], 1.0
	s_delay_alu instid0(VALU_DEP_1) | instskip(NEXT) | instid1(VALU_DEP_1)
	v_fma_f64 v[159:160], v[159:160], v[161:162], v[159:160]
	v_mul_f64 v[161:162], v[163:164], v[159:160]
	s_delay_alu instid0(VALU_DEP_1) | instskip(NEXT) | instid1(VALU_DEP_1)
	v_fma_f64 v[157:158], -v[157:158], v[161:162], v[163:164]
	v_div_fmas_f64 v[157:158], v[157:158], v[159:160], v[161:162]
	s_delay_alu instid0(VALU_DEP_1) | instskip(NEXT) | instid1(VALU_DEP_1)
	v_div_fixup_f64 v[157:158], v[157:158], v[140:141], v[142:143]
	v_fma_f64 v[140:141], v[142:143], v[157:158], v[140:141]
	s_delay_alu instid0(VALU_DEP_1) | instskip(NEXT) | instid1(VALU_DEP_1)
	v_div_scale_f64 v[142:143], null, v[140:141], v[140:141], 1.0
	v_rcp_f64_e32 v[159:160], v[142:143]
	s_waitcnt_depctr 0xfff
	v_fma_f64 v[161:162], -v[142:143], v[159:160], 1.0
	s_delay_alu instid0(VALU_DEP_1) | instskip(NEXT) | instid1(VALU_DEP_1)
	v_fma_f64 v[159:160], v[159:160], v[161:162], v[159:160]
	v_fma_f64 v[161:162], -v[142:143], v[159:160], 1.0
	s_delay_alu instid0(VALU_DEP_1) | instskip(SKIP_1) | instid1(VALU_DEP_1)
	v_fma_f64 v[159:160], v[159:160], v[161:162], v[159:160]
	v_div_scale_f64 v[161:162], vcc_lo, 1.0, v[140:141], 1.0
	v_mul_f64 v[163:164], v[161:162], v[159:160]
	s_delay_alu instid0(VALU_DEP_1) | instskip(NEXT) | instid1(VALU_DEP_1)
	v_fma_f64 v[142:143], -v[142:143], v[163:164], v[161:162]
	v_div_fmas_f64 v[142:143], v[142:143], v[159:160], v[163:164]
	s_delay_alu instid0(VALU_DEP_1) | instskip(NEXT) | instid1(VALU_DEP_1)
	v_div_fixup_f64 v[140:141], v[142:143], v[140:141], 1.0
	v_mul_f64 v[142:143], v[157:158], -v[140:141]
.LBB68_576:
	s_or_b32 exec_lo, exec_lo, s2
.LBB68_577:
	s_delay_alu instid0(SALU_CYCLE_1) | instskip(NEXT) | instid1(SALU_CYCLE_1)
	s_or_b32 exec_lo, exec_lo, s3
	s_mov_b32 s2, exec_lo
	v_cmpx_ne_u32_e64 v156, v148
	s_xor_b32 s2, exec_lo, s2
	s_cbranch_execz .LBB68_583
; %bb.578:
	s_mov_b32 s3, exec_lo
	v_cmpx_eq_u32_e32 27, v156
	s_cbranch_execz .LBB68_582
; %bb.579:
	v_cmp_ne_u32_e32 vcc_lo, 27, v148
	s_xor_b32 s6, s4, -1
	s_delay_alu instid0(SALU_CYCLE_1) | instskip(NEXT) | instid1(SALU_CYCLE_1)
	s_and_b32 s7, s6, vcc_lo
	s_and_saveexec_b32 s6, s7
	s_cbranch_execz .LBB68_581
; %bb.580:
	v_ashrrev_i32_e32 v149, 31, v148
	s_delay_alu instid0(VALU_DEP_1) | instskip(NEXT) | instid1(VALU_DEP_1)
	v_lshlrev_b64 v[156:157], 2, v[148:149]
	v_add_co_u32 v156, vcc_lo, v146, v156
	s_delay_alu instid0(VALU_DEP_2)
	v_add_co_ci_u32_e32 v157, vcc_lo, v147, v157, vcc_lo
	s_clause 0x1
	flat_load_b32 v149, v[156:157]
	flat_load_b32 v154, v[146:147] offset:108
	s_waitcnt vmcnt(1) lgkmcnt(1)
	flat_store_b32 v[146:147], v149 offset:108
	s_waitcnt vmcnt(0) lgkmcnt(1)
	flat_store_b32 v[156:157], v154
.LBB68_581:
	s_or_b32 exec_lo, exec_lo, s6
	v_mov_b32_e32 v156, v148
	v_mov_b32_e32 v154, v148
.LBB68_582:
	s_or_b32 exec_lo, exec_lo, s3
.LBB68_583:
	s_and_not1_saveexec_b32 s2, s2
	s_cbranch_execz .LBB68_585
; %bb.584:
	v_mov_b32_e32 v156, 27
	ds_store_2addr_b64 v150, v[24:25], v[26:27] offset0:56 offset1:57
	ds_store_2addr_b64 v150, v[20:21], v[22:23] offset0:58 offset1:59
	;; [unrolled: 1-line block ×7, first 2 shown]
.LBB68_585:
	s_or_b32 exec_lo, exec_lo, s2
	s_delay_alu instid0(SALU_CYCLE_1)
	s_mov_b32 s2, exec_lo
	s_waitcnt lgkmcnt(0)
	s_waitcnt_vscnt null, 0x0
	s_barrier
	buffer_gl0_inv
	v_cmpx_lt_i32_e32 27, v156
	s_cbranch_execz .LBB68_587
; %bb.586:
	v_mul_f64 v[148:149], v[140:141], v[30:31]
	v_mul_f64 v[30:31], v[142:143], v[30:31]
	ds_load_2addr_b64 v[157:160], v150 offset0:56 offset1:57
	ds_load_2addr_b64 v[161:164], v150 offset0:58 offset1:59
	;; [unrolled: 1-line block ×7, first 2 shown]
	v_fma_f64 v[142:143], v[142:143], v[28:29], v[148:149]
	v_fma_f64 v[28:29], v[140:141], v[28:29], -v[30:31]
	s_waitcnt lgkmcnt(6)
	s_delay_alu instid0(VALU_DEP_2)
	v_mul_f64 v[30:31], v[159:160], v[142:143]
	v_mul_f64 v[140:141], v[157:158], v[142:143]
	s_waitcnt lgkmcnt(5)
	v_mul_f64 v[148:149], v[163:164], v[142:143]
	v_mul_f64 v[185:186], v[161:162], v[142:143]
	s_waitcnt lgkmcnt(4)
	;; [unrolled: 3-line block ×6, first 2 shown]
	v_mul_f64 v[203:204], v[183:184], v[142:143]
	v_mul_f64 v[205:206], v[181:182], v[142:143]
	v_fma_f64 v[30:31], v[157:158], v[28:29], -v[30:31]
	v_fma_f64 v[140:141], v[159:160], v[28:29], v[140:141]
	v_fma_f64 v[148:149], v[161:162], v[28:29], -v[148:149]
	v_fma_f64 v[157:158], v[163:164], v[28:29], v[185:186]
	;; [unrolled: 2-line block ×7, first 2 shown]
	v_add_f64 v[24:25], v[24:25], -v[30:31]
	v_add_f64 v[26:27], v[26:27], -v[140:141]
	;; [unrolled: 1-line block ×14, first 2 shown]
	v_dual_mov_b32 v30, v142 :: v_dual_mov_b32 v31, v143
.LBB68_587:
	s_or_b32 exec_lo, exec_lo, s2
	v_lshl_add_u32 v140, v156, 4, v150
	s_barrier
	buffer_gl0_inv
	v_mov_b32_e32 v148, 28
	ds_store_2addr_b64 v140, v[24:25], v[26:27] offset1:1
	s_waitcnt lgkmcnt(0)
	s_barrier
	buffer_gl0_inv
	ds_load_2addr_b64 v[140:143], v150 offset0:56 offset1:57
	s_cmp_lt_i32 s5, 30
	s_cbranch_scc1 .LBB68_590
; %bb.588:
	v_add3_u32 v149, v155, 0, 0x1d0
	v_mov_b32_e32 v148, 28
	s_mov_b32 s6, 29
	s_set_inst_prefetch_distance 0x1
	.p2align	6
.LBB68_589:                             ; =>This Inner Loop Header: Depth=1
	ds_load_2addr_b64 v[157:160], v149 offset1:1
	s_waitcnt lgkmcnt(1)
	v_cmp_gt_f64_e32 vcc_lo, 0, v[140:141]
	v_xor_b32_e32 v161, 0x80000000, v141
	v_cmp_gt_f64_e64 s2, 0, v[142:143]
	v_xor_b32_e32 v163, 0x80000000, v143
	v_add_nc_u32_e32 v149, 16, v149
	s_waitcnt lgkmcnt(0)
	v_cmp_gt_f64_e64 s3, 0, v[157:158]
	v_mov_b32_e32 v165, v157
	v_dual_mov_b32 v167, v159 :: v_dual_cndmask_b32 v162, v141, v161
	v_xor_b32_e32 v161, 0x80000000, v158
	v_cndmask_b32_e64 v164, v143, v163, s2
	v_xor_b32_e32 v163, 0x80000000, v160
	s_delay_alu instid0(VALU_DEP_3) | instskip(SKIP_2) | instid1(VALU_DEP_2)
	v_cndmask_b32_e64 v166, v158, v161, s3
	v_cmp_gt_f64_e64 s3, 0, v[159:160]
	v_cndmask_b32_e32 v161, v140, v140, vcc_lo
	v_cndmask_b32_e64 v168, v160, v163, s3
	v_cndmask_b32_e64 v163, v142, v142, s2
	s_delay_alu instid0(VALU_DEP_2) | instskip(NEXT) | instid1(VALU_DEP_2)
	v_add_f64 v[165:166], v[165:166], v[167:168]
	v_add_f64 v[161:162], v[161:162], v[163:164]
	s_delay_alu instid0(VALU_DEP_1) | instskip(SKIP_4) | instid1(SALU_CYCLE_1)
	v_cmp_lt_f64_e32 vcc_lo, v[161:162], v[165:166]
	v_dual_cndmask_b32 v142, v142, v159 :: v_dual_cndmask_b32 v141, v141, v158
	v_dual_cndmask_b32 v140, v140, v157 :: v_dual_cndmask_b32 v143, v143, v160
	v_cndmask_b32_e64 v148, v148, s6, vcc_lo
	s_add_i32 s6, s6, 1
	s_cmp_lg_u32 s5, s6
	s_cbranch_scc1 .LBB68_589
.LBB68_590:
	s_set_inst_prefetch_distance 0x2
	s_waitcnt lgkmcnt(0)
	v_cmp_eq_f64_e32 vcc_lo, 0, v[140:141]
	v_cmp_eq_f64_e64 s2, 0, v[142:143]
	s_delay_alu instid0(VALU_DEP_1) | instskip(NEXT) | instid1(SALU_CYCLE_1)
	s_and_b32 s2, vcc_lo, s2
	s_and_saveexec_b32 s3, s2
	s_delay_alu instid0(SALU_CYCLE_1)
	s_xor_b32 s2, exec_lo, s3
; %bb.591:
	v_cmp_ne_u32_e32 vcc_lo, 0, v153
	v_cndmask_b32_e32 v153, 29, v153, vcc_lo
; %bb.592:
	s_and_not1_saveexec_b32 s3, s2
	s_cbranch_execz .LBB68_598
; %bb.593:
	v_cmp_gt_f64_e32 vcc_lo, 0, v[140:141]
	v_cmp_gt_f64_e64 s2, 0, v[142:143]
	v_xor_b32_e32 v149, 0x80000000, v141
	v_xor_b32_e32 v157, 0x80000000, v143
	s_delay_alu instid0(VALU_DEP_2) | instskip(NEXT) | instid1(VALU_DEP_2)
	v_cndmask_b32_e32 v158, v141, v149, vcc_lo
	v_cndmask_b32_e64 v160, v143, v157, s2
	v_cndmask_b32_e32 v157, v140, v140, vcc_lo
	v_cndmask_b32_e64 v159, v142, v142, s2
	s_mov_b32 s2, exec_lo
	s_delay_alu instid0(VALU_DEP_1)
	v_cmpx_ngt_f64_e32 v[157:158], v[159:160]
	s_xor_b32 s2, exec_lo, s2
	s_cbranch_execz .LBB68_595
; %bb.594:
	v_div_scale_f64 v[157:158], null, v[142:143], v[142:143], v[140:141]
	v_div_scale_f64 v[163:164], vcc_lo, v[140:141], v[142:143], v[140:141]
	s_delay_alu instid0(VALU_DEP_2) | instskip(SKIP_2) | instid1(VALU_DEP_1)
	v_rcp_f64_e32 v[159:160], v[157:158]
	s_waitcnt_depctr 0xfff
	v_fma_f64 v[161:162], -v[157:158], v[159:160], 1.0
	v_fma_f64 v[159:160], v[159:160], v[161:162], v[159:160]
	s_delay_alu instid0(VALU_DEP_1) | instskip(NEXT) | instid1(VALU_DEP_1)
	v_fma_f64 v[161:162], -v[157:158], v[159:160], 1.0
	v_fma_f64 v[159:160], v[159:160], v[161:162], v[159:160]
	s_delay_alu instid0(VALU_DEP_1) | instskip(NEXT) | instid1(VALU_DEP_1)
	v_mul_f64 v[161:162], v[163:164], v[159:160]
	v_fma_f64 v[157:158], -v[157:158], v[161:162], v[163:164]
	s_delay_alu instid0(VALU_DEP_1) | instskip(NEXT) | instid1(VALU_DEP_1)
	v_div_fmas_f64 v[157:158], v[157:158], v[159:160], v[161:162]
	v_div_fixup_f64 v[157:158], v[157:158], v[142:143], v[140:141]
	s_delay_alu instid0(VALU_DEP_1) | instskip(NEXT) | instid1(VALU_DEP_1)
	v_fma_f64 v[140:141], v[140:141], v[157:158], v[142:143]
	v_div_scale_f64 v[142:143], null, v[140:141], v[140:141], 1.0
	s_delay_alu instid0(VALU_DEP_1) | instskip(SKIP_2) | instid1(VALU_DEP_1)
	v_rcp_f64_e32 v[159:160], v[142:143]
	s_waitcnt_depctr 0xfff
	v_fma_f64 v[161:162], -v[142:143], v[159:160], 1.0
	v_fma_f64 v[159:160], v[159:160], v[161:162], v[159:160]
	s_delay_alu instid0(VALU_DEP_1) | instskip(NEXT) | instid1(VALU_DEP_1)
	v_fma_f64 v[161:162], -v[142:143], v[159:160], 1.0
	v_fma_f64 v[159:160], v[159:160], v[161:162], v[159:160]
	v_div_scale_f64 v[161:162], vcc_lo, 1.0, v[140:141], 1.0
	s_delay_alu instid0(VALU_DEP_1) | instskip(NEXT) | instid1(VALU_DEP_1)
	v_mul_f64 v[163:164], v[161:162], v[159:160]
	v_fma_f64 v[142:143], -v[142:143], v[163:164], v[161:162]
	s_delay_alu instid0(VALU_DEP_1) | instskip(NEXT) | instid1(VALU_DEP_1)
	v_div_fmas_f64 v[142:143], v[142:143], v[159:160], v[163:164]
	v_div_fixup_f64 v[142:143], v[142:143], v[140:141], 1.0
	s_delay_alu instid0(VALU_DEP_1)
	v_mul_f64 v[140:141], v[157:158], v[142:143]
	v_xor_b32_e32 v143, 0x80000000, v143
.LBB68_595:
	s_and_not1_saveexec_b32 s2, s2
	s_cbranch_execz .LBB68_597
; %bb.596:
	s_delay_alu instid0(VALU_DEP_1) | instskip(SKIP_1) | instid1(VALU_DEP_2)
	v_div_scale_f64 v[157:158], null, v[140:141], v[140:141], v[142:143]
	v_div_scale_f64 v[163:164], vcc_lo, v[142:143], v[140:141], v[142:143]
	v_rcp_f64_e32 v[159:160], v[157:158]
	s_waitcnt_depctr 0xfff
	v_fma_f64 v[161:162], -v[157:158], v[159:160], 1.0
	s_delay_alu instid0(VALU_DEP_1) | instskip(NEXT) | instid1(VALU_DEP_1)
	v_fma_f64 v[159:160], v[159:160], v[161:162], v[159:160]
	v_fma_f64 v[161:162], -v[157:158], v[159:160], 1.0
	s_delay_alu instid0(VALU_DEP_1) | instskip(NEXT) | instid1(VALU_DEP_1)
	v_fma_f64 v[159:160], v[159:160], v[161:162], v[159:160]
	v_mul_f64 v[161:162], v[163:164], v[159:160]
	s_delay_alu instid0(VALU_DEP_1) | instskip(NEXT) | instid1(VALU_DEP_1)
	v_fma_f64 v[157:158], -v[157:158], v[161:162], v[163:164]
	v_div_fmas_f64 v[157:158], v[157:158], v[159:160], v[161:162]
	s_delay_alu instid0(VALU_DEP_1) | instskip(NEXT) | instid1(VALU_DEP_1)
	v_div_fixup_f64 v[157:158], v[157:158], v[140:141], v[142:143]
	v_fma_f64 v[140:141], v[142:143], v[157:158], v[140:141]
	s_delay_alu instid0(VALU_DEP_1) | instskip(NEXT) | instid1(VALU_DEP_1)
	v_div_scale_f64 v[142:143], null, v[140:141], v[140:141], 1.0
	v_rcp_f64_e32 v[159:160], v[142:143]
	s_waitcnt_depctr 0xfff
	v_fma_f64 v[161:162], -v[142:143], v[159:160], 1.0
	s_delay_alu instid0(VALU_DEP_1) | instskip(NEXT) | instid1(VALU_DEP_1)
	v_fma_f64 v[159:160], v[159:160], v[161:162], v[159:160]
	v_fma_f64 v[161:162], -v[142:143], v[159:160], 1.0
	s_delay_alu instid0(VALU_DEP_1) | instskip(SKIP_1) | instid1(VALU_DEP_1)
	v_fma_f64 v[159:160], v[159:160], v[161:162], v[159:160]
	v_div_scale_f64 v[161:162], vcc_lo, 1.0, v[140:141], 1.0
	v_mul_f64 v[163:164], v[161:162], v[159:160]
	s_delay_alu instid0(VALU_DEP_1) | instskip(NEXT) | instid1(VALU_DEP_1)
	v_fma_f64 v[142:143], -v[142:143], v[163:164], v[161:162]
	v_div_fmas_f64 v[142:143], v[142:143], v[159:160], v[163:164]
	s_delay_alu instid0(VALU_DEP_1) | instskip(NEXT) | instid1(VALU_DEP_1)
	v_div_fixup_f64 v[140:141], v[142:143], v[140:141], 1.0
	v_mul_f64 v[142:143], v[157:158], -v[140:141]
.LBB68_597:
	s_or_b32 exec_lo, exec_lo, s2
.LBB68_598:
	s_delay_alu instid0(SALU_CYCLE_1) | instskip(NEXT) | instid1(SALU_CYCLE_1)
	s_or_b32 exec_lo, exec_lo, s3
	s_mov_b32 s2, exec_lo
	v_cmpx_ne_u32_e64 v156, v148
	s_xor_b32 s2, exec_lo, s2
	s_cbranch_execz .LBB68_604
; %bb.599:
	s_mov_b32 s3, exec_lo
	v_cmpx_eq_u32_e32 28, v156
	s_cbranch_execz .LBB68_603
; %bb.600:
	v_cmp_ne_u32_e32 vcc_lo, 28, v148
	s_xor_b32 s6, s4, -1
	s_delay_alu instid0(SALU_CYCLE_1) | instskip(NEXT) | instid1(SALU_CYCLE_1)
	s_and_b32 s7, s6, vcc_lo
	s_and_saveexec_b32 s6, s7
	s_cbranch_execz .LBB68_602
; %bb.601:
	v_ashrrev_i32_e32 v149, 31, v148
	s_delay_alu instid0(VALU_DEP_1) | instskip(NEXT) | instid1(VALU_DEP_1)
	v_lshlrev_b64 v[156:157], 2, v[148:149]
	v_add_co_u32 v156, vcc_lo, v146, v156
	s_delay_alu instid0(VALU_DEP_2)
	v_add_co_ci_u32_e32 v157, vcc_lo, v147, v157, vcc_lo
	s_clause 0x1
	flat_load_b32 v149, v[156:157]
	flat_load_b32 v154, v[146:147] offset:112
	s_waitcnt vmcnt(1) lgkmcnt(1)
	flat_store_b32 v[146:147], v149 offset:112
	s_waitcnt vmcnt(0) lgkmcnt(1)
	flat_store_b32 v[156:157], v154
.LBB68_602:
	s_or_b32 exec_lo, exec_lo, s6
	v_mov_b32_e32 v156, v148
	v_mov_b32_e32 v154, v148
.LBB68_603:
	s_or_b32 exec_lo, exec_lo, s3
.LBB68_604:
	s_and_not1_saveexec_b32 s2, s2
	s_cbranch_execz .LBB68_606
; %bb.605:
	v_mov_b32_e32 v156, 28
	ds_store_2addr_b64 v150, v[20:21], v[22:23] offset0:58 offset1:59
	ds_store_2addr_b64 v150, v[16:17], v[18:19] offset0:60 offset1:61
	;; [unrolled: 1-line block ×6, first 2 shown]
.LBB68_606:
	s_or_b32 exec_lo, exec_lo, s2
	s_delay_alu instid0(SALU_CYCLE_1)
	s_mov_b32 s2, exec_lo
	s_waitcnt lgkmcnt(0)
	s_waitcnt_vscnt null, 0x0
	s_barrier
	buffer_gl0_inv
	v_cmpx_lt_i32_e32 28, v156
	s_cbranch_execz .LBB68_608
; %bb.607:
	v_mul_f64 v[148:149], v[140:141], v[26:27]
	v_mul_f64 v[26:27], v[142:143], v[26:27]
	ds_load_2addr_b64 v[157:160], v150 offset0:58 offset1:59
	ds_load_2addr_b64 v[161:164], v150 offset0:60 offset1:61
	;; [unrolled: 1-line block ×6, first 2 shown]
	v_fma_f64 v[142:143], v[142:143], v[24:25], v[148:149]
	v_fma_f64 v[24:25], v[140:141], v[24:25], -v[26:27]
	s_waitcnt lgkmcnt(5)
	s_delay_alu instid0(VALU_DEP_2)
	v_mul_f64 v[26:27], v[159:160], v[142:143]
	v_mul_f64 v[140:141], v[157:158], v[142:143]
	s_waitcnt lgkmcnt(4)
	v_mul_f64 v[148:149], v[163:164], v[142:143]
	v_mul_f64 v[181:182], v[161:162], v[142:143]
	s_waitcnt lgkmcnt(3)
	;; [unrolled: 3-line block ×5, first 2 shown]
	v_mul_f64 v[195:196], v[179:180], v[142:143]
	v_mul_f64 v[197:198], v[177:178], v[142:143]
	v_fma_f64 v[26:27], v[157:158], v[24:25], -v[26:27]
	v_fma_f64 v[140:141], v[159:160], v[24:25], v[140:141]
	v_fma_f64 v[148:149], v[161:162], v[24:25], -v[148:149]
	v_fma_f64 v[157:158], v[163:164], v[24:25], v[181:182]
	;; [unrolled: 2-line block ×6, first 2 shown]
	v_add_f64 v[20:21], v[20:21], -v[26:27]
	v_add_f64 v[22:23], v[22:23], -v[140:141]
	;; [unrolled: 1-line block ×12, first 2 shown]
	v_dual_mov_b32 v26, v142 :: v_dual_mov_b32 v27, v143
.LBB68_608:
	s_or_b32 exec_lo, exec_lo, s2
	v_lshl_add_u32 v140, v156, 4, v150
	s_barrier
	buffer_gl0_inv
	v_mov_b32_e32 v148, 29
	ds_store_2addr_b64 v140, v[20:21], v[22:23] offset1:1
	s_waitcnt lgkmcnt(0)
	s_barrier
	buffer_gl0_inv
	ds_load_2addr_b64 v[140:143], v150 offset0:58 offset1:59
	s_cmp_lt_i32 s5, 31
	s_cbranch_scc1 .LBB68_611
; %bb.609:
	v_add3_u32 v149, v155, 0, 0x1e0
	v_mov_b32_e32 v148, 29
	s_mov_b32 s6, 30
	s_set_inst_prefetch_distance 0x1
	.p2align	6
.LBB68_610:                             ; =>This Inner Loop Header: Depth=1
	ds_load_2addr_b64 v[157:160], v149 offset1:1
	s_waitcnt lgkmcnt(1)
	v_cmp_gt_f64_e32 vcc_lo, 0, v[140:141]
	v_xor_b32_e32 v161, 0x80000000, v141
	v_cmp_gt_f64_e64 s2, 0, v[142:143]
	v_xor_b32_e32 v163, 0x80000000, v143
	v_add_nc_u32_e32 v149, 16, v149
	s_waitcnt lgkmcnt(0)
	v_cmp_gt_f64_e64 s3, 0, v[157:158]
	v_mov_b32_e32 v165, v157
	v_dual_mov_b32 v167, v159 :: v_dual_cndmask_b32 v162, v141, v161
	v_xor_b32_e32 v161, 0x80000000, v158
	v_cndmask_b32_e64 v164, v143, v163, s2
	v_xor_b32_e32 v163, 0x80000000, v160
	s_delay_alu instid0(VALU_DEP_3) | instskip(SKIP_2) | instid1(VALU_DEP_2)
	v_cndmask_b32_e64 v166, v158, v161, s3
	v_cmp_gt_f64_e64 s3, 0, v[159:160]
	v_cndmask_b32_e32 v161, v140, v140, vcc_lo
	v_cndmask_b32_e64 v168, v160, v163, s3
	v_cndmask_b32_e64 v163, v142, v142, s2
	s_delay_alu instid0(VALU_DEP_2) | instskip(NEXT) | instid1(VALU_DEP_2)
	v_add_f64 v[165:166], v[165:166], v[167:168]
	v_add_f64 v[161:162], v[161:162], v[163:164]
	s_delay_alu instid0(VALU_DEP_1) | instskip(SKIP_4) | instid1(SALU_CYCLE_1)
	v_cmp_lt_f64_e32 vcc_lo, v[161:162], v[165:166]
	v_dual_cndmask_b32 v142, v142, v159 :: v_dual_cndmask_b32 v141, v141, v158
	v_dual_cndmask_b32 v140, v140, v157 :: v_dual_cndmask_b32 v143, v143, v160
	v_cndmask_b32_e64 v148, v148, s6, vcc_lo
	s_add_i32 s6, s6, 1
	s_cmp_lg_u32 s5, s6
	s_cbranch_scc1 .LBB68_610
.LBB68_611:
	s_set_inst_prefetch_distance 0x2
	s_waitcnt lgkmcnt(0)
	v_cmp_eq_f64_e32 vcc_lo, 0, v[140:141]
	v_cmp_eq_f64_e64 s2, 0, v[142:143]
	s_delay_alu instid0(VALU_DEP_1) | instskip(NEXT) | instid1(SALU_CYCLE_1)
	s_and_b32 s2, vcc_lo, s2
	s_and_saveexec_b32 s3, s2
	s_delay_alu instid0(SALU_CYCLE_1)
	s_xor_b32 s2, exec_lo, s3
; %bb.612:
	v_cmp_ne_u32_e32 vcc_lo, 0, v153
	v_cndmask_b32_e32 v153, 30, v153, vcc_lo
; %bb.613:
	s_and_not1_saveexec_b32 s3, s2
	s_cbranch_execz .LBB68_619
; %bb.614:
	v_cmp_gt_f64_e32 vcc_lo, 0, v[140:141]
	v_cmp_gt_f64_e64 s2, 0, v[142:143]
	v_xor_b32_e32 v149, 0x80000000, v141
	v_xor_b32_e32 v157, 0x80000000, v143
	s_delay_alu instid0(VALU_DEP_2) | instskip(NEXT) | instid1(VALU_DEP_2)
	v_cndmask_b32_e32 v158, v141, v149, vcc_lo
	v_cndmask_b32_e64 v160, v143, v157, s2
	v_cndmask_b32_e32 v157, v140, v140, vcc_lo
	v_cndmask_b32_e64 v159, v142, v142, s2
	s_mov_b32 s2, exec_lo
	s_delay_alu instid0(VALU_DEP_1)
	v_cmpx_ngt_f64_e32 v[157:158], v[159:160]
	s_xor_b32 s2, exec_lo, s2
	s_cbranch_execz .LBB68_616
; %bb.615:
	v_div_scale_f64 v[157:158], null, v[142:143], v[142:143], v[140:141]
	v_div_scale_f64 v[163:164], vcc_lo, v[140:141], v[142:143], v[140:141]
	s_delay_alu instid0(VALU_DEP_2) | instskip(SKIP_2) | instid1(VALU_DEP_1)
	v_rcp_f64_e32 v[159:160], v[157:158]
	s_waitcnt_depctr 0xfff
	v_fma_f64 v[161:162], -v[157:158], v[159:160], 1.0
	v_fma_f64 v[159:160], v[159:160], v[161:162], v[159:160]
	s_delay_alu instid0(VALU_DEP_1) | instskip(NEXT) | instid1(VALU_DEP_1)
	v_fma_f64 v[161:162], -v[157:158], v[159:160], 1.0
	v_fma_f64 v[159:160], v[159:160], v[161:162], v[159:160]
	s_delay_alu instid0(VALU_DEP_1) | instskip(NEXT) | instid1(VALU_DEP_1)
	v_mul_f64 v[161:162], v[163:164], v[159:160]
	v_fma_f64 v[157:158], -v[157:158], v[161:162], v[163:164]
	s_delay_alu instid0(VALU_DEP_1) | instskip(NEXT) | instid1(VALU_DEP_1)
	v_div_fmas_f64 v[157:158], v[157:158], v[159:160], v[161:162]
	v_div_fixup_f64 v[157:158], v[157:158], v[142:143], v[140:141]
	s_delay_alu instid0(VALU_DEP_1) | instskip(NEXT) | instid1(VALU_DEP_1)
	v_fma_f64 v[140:141], v[140:141], v[157:158], v[142:143]
	v_div_scale_f64 v[142:143], null, v[140:141], v[140:141], 1.0
	s_delay_alu instid0(VALU_DEP_1) | instskip(SKIP_2) | instid1(VALU_DEP_1)
	v_rcp_f64_e32 v[159:160], v[142:143]
	s_waitcnt_depctr 0xfff
	v_fma_f64 v[161:162], -v[142:143], v[159:160], 1.0
	v_fma_f64 v[159:160], v[159:160], v[161:162], v[159:160]
	s_delay_alu instid0(VALU_DEP_1) | instskip(NEXT) | instid1(VALU_DEP_1)
	v_fma_f64 v[161:162], -v[142:143], v[159:160], 1.0
	v_fma_f64 v[159:160], v[159:160], v[161:162], v[159:160]
	v_div_scale_f64 v[161:162], vcc_lo, 1.0, v[140:141], 1.0
	s_delay_alu instid0(VALU_DEP_1) | instskip(NEXT) | instid1(VALU_DEP_1)
	v_mul_f64 v[163:164], v[161:162], v[159:160]
	v_fma_f64 v[142:143], -v[142:143], v[163:164], v[161:162]
	s_delay_alu instid0(VALU_DEP_1) | instskip(NEXT) | instid1(VALU_DEP_1)
	v_div_fmas_f64 v[142:143], v[142:143], v[159:160], v[163:164]
	v_div_fixup_f64 v[142:143], v[142:143], v[140:141], 1.0
	s_delay_alu instid0(VALU_DEP_1)
	v_mul_f64 v[140:141], v[157:158], v[142:143]
	v_xor_b32_e32 v143, 0x80000000, v143
.LBB68_616:
	s_and_not1_saveexec_b32 s2, s2
	s_cbranch_execz .LBB68_618
; %bb.617:
	s_delay_alu instid0(VALU_DEP_1) | instskip(SKIP_1) | instid1(VALU_DEP_2)
	v_div_scale_f64 v[157:158], null, v[140:141], v[140:141], v[142:143]
	v_div_scale_f64 v[163:164], vcc_lo, v[142:143], v[140:141], v[142:143]
	v_rcp_f64_e32 v[159:160], v[157:158]
	s_waitcnt_depctr 0xfff
	v_fma_f64 v[161:162], -v[157:158], v[159:160], 1.0
	s_delay_alu instid0(VALU_DEP_1) | instskip(NEXT) | instid1(VALU_DEP_1)
	v_fma_f64 v[159:160], v[159:160], v[161:162], v[159:160]
	v_fma_f64 v[161:162], -v[157:158], v[159:160], 1.0
	s_delay_alu instid0(VALU_DEP_1) | instskip(NEXT) | instid1(VALU_DEP_1)
	v_fma_f64 v[159:160], v[159:160], v[161:162], v[159:160]
	v_mul_f64 v[161:162], v[163:164], v[159:160]
	s_delay_alu instid0(VALU_DEP_1) | instskip(NEXT) | instid1(VALU_DEP_1)
	v_fma_f64 v[157:158], -v[157:158], v[161:162], v[163:164]
	v_div_fmas_f64 v[157:158], v[157:158], v[159:160], v[161:162]
	s_delay_alu instid0(VALU_DEP_1) | instskip(NEXT) | instid1(VALU_DEP_1)
	v_div_fixup_f64 v[157:158], v[157:158], v[140:141], v[142:143]
	v_fma_f64 v[140:141], v[142:143], v[157:158], v[140:141]
	s_delay_alu instid0(VALU_DEP_1) | instskip(NEXT) | instid1(VALU_DEP_1)
	v_div_scale_f64 v[142:143], null, v[140:141], v[140:141], 1.0
	v_rcp_f64_e32 v[159:160], v[142:143]
	s_waitcnt_depctr 0xfff
	v_fma_f64 v[161:162], -v[142:143], v[159:160], 1.0
	s_delay_alu instid0(VALU_DEP_1) | instskip(NEXT) | instid1(VALU_DEP_1)
	v_fma_f64 v[159:160], v[159:160], v[161:162], v[159:160]
	v_fma_f64 v[161:162], -v[142:143], v[159:160], 1.0
	s_delay_alu instid0(VALU_DEP_1) | instskip(SKIP_1) | instid1(VALU_DEP_1)
	v_fma_f64 v[159:160], v[159:160], v[161:162], v[159:160]
	v_div_scale_f64 v[161:162], vcc_lo, 1.0, v[140:141], 1.0
	v_mul_f64 v[163:164], v[161:162], v[159:160]
	s_delay_alu instid0(VALU_DEP_1) | instskip(NEXT) | instid1(VALU_DEP_1)
	v_fma_f64 v[142:143], -v[142:143], v[163:164], v[161:162]
	v_div_fmas_f64 v[142:143], v[142:143], v[159:160], v[163:164]
	s_delay_alu instid0(VALU_DEP_1) | instskip(NEXT) | instid1(VALU_DEP_1)
	v_div_fixup_f64 v[140:141], v[142:143], v[140:141], 1.0
	v_mul_f64 v[142:143], v[157:158], -v[140:141]
.LBB68_618:
	s_or_b32 exec_lo, exec_lo, s2
.LBB68_619:
	s_delay_alu instid0(SALU_CYCLE_1) | instskip(NEXT) | instid1(SALU_CYCLE_1)
	s_or_b32 exec_lo, exec_lo, s3
	s_mov_b32 s2, exec_lo
	v_cmpx_ne_u32_e64 v156, v148
	s_xor_b32 s2, exec_lo, s2
	s_cbranch_execz .LBB68_625
; %bb.620:
	s_mov_b32 s3, exec_lo
	v_cmpx_eq_u32_e32 29, v156
	s_cbranch_execz .LBB68_624
; %bb.621:
	v_cmp_ne_u32_e32 vcc_lo, 29, v148
	s_xor_b32 s6, s4, -1
	s_delay_alu instid0(SALU_CYCLE_1) | instskip(NEXT) | instid1(SALU_CYCLE_1)
	s_and_b32 s7, s6, vcc_lo
	s_and_saveexec_b32 s6, s7
	s_cbranch_execz .LBB68_623
; %bb.622:
	v_ashrrev_i32_e32 v149, 31, v148
	s_delay_alu instid0(VALU_DEP_1) | instskip(NEXT) | instid1(VALU_DEP_1)
	v_lshlrev_b64 v[156:157], 2, v[148:149]
	v_add_co_u32 v156, vcc_lo, v146, v156
	s_delay_alu instid0(VALU_DEP_2)
	v_add_co_ci_u32_e32 v157, vcc_lo, v147, v157, vcc_lo
	s_clause 0x1
	flat_load_b32 v149, v[156:157]
	flat_load_b32 v154, v[146:147] offset:116
	s_waitcnt vmcnt(1) lgkmcnt(1)
	flat_store_b32 v[146:147], v149 offset:116
	s_waitcnt vmcnt(0) lgkmcnt(1)
	flat_store_b32 v[156:157], v154
.LBB68_623:
	s_or_b32 exec_lo, exec_lo, s6
	v_mov_b32_e32 v156, v148
	v_mov_b32_e32 v154, v148
.LBB68_624:
	s_or_b32 exec_lo, exec_lo, s3
.LBB68_625:
	s_and_not1_saveexec_b32 s2, s2
	s_cbranch_execz .LBB68_627
; %bb.626:
	v_mov_b32_e32 v156, 29
	ds_store_2addr_b64 v150, v[16:17], v[18:19] offset0:60 offset1:61
	ds_store_2addr_b64 v150, v[12:13], v[14:15] offset0:62 offset1:63
	;; [unrolled: 1-line block ×5, first 2 shown]
.LBB68_627:
	s_or_b32 exec_lo, exec_lo, s2
	s_delay_alu instid0(SALU_CYCLE_1)
	s_mov_b32 s2, exec_lo
	s_waitcnt lgkmcnt(0)
	s_waitcnt_vscnt null, 0x0
	s_barrier
	buffer_gl0_inv
	v_cmpx_lt_i32_e32 29, v156
	s_cbranch_execz .LBB68_629
; %bb.628:
	v_mul_f64 v[148:149], v[140:141], v[22:23]
	v_mul_f64 v[22:23], v[142:143], v[22:23]
	ds_load_2addr_b64 v[157:160], v150 offset0:60 offset1:61
	ds_load_2addr_b64 v[161:164], v150 offset0:62 offset1:63
	;; [unrolled: 1-line block ×5, first 2 shown]
	v_fma_f64 v[142:143], v[142:143], v[20:21], v[148:149]
	v_fma_f64 v[20:21], v[140:141], v[20:21], -v[22:23]
	s_waitcnt lgkmcnt(4)
	s_delay_alu instid0(VALU_DEP_2)
	v_mul_f64 v[22:23], v[159:160], v[142:143]
	v_mul_f64 v[140:141], v[157:158], v[142:143]
	s_waitcnt lgkmcnt(3)
	v_mul_f64 v[148:149], v[163:164], v[142:143]
	v_mul_f64 v[177:178], v[161:162], v[142:143]
	s_waitcnt lgkmcnt(2)
	;; [unrolled: 3-line block ×4, first 2 shown]
	v_mul_f64 v[187:188], v[175:176], v[142:143]
	v_mul_f64 v[189:190], v[173:174], v[142:143]
	v_fma_f64 v[22:23], v[157:158], v[20:21], -v[22:23]
	v_fma_f64 v[140:141], v[159:160], v[20:21], v[140:141]
	v_fma_f64 v[148:149], v[161:162], v[20:21], -v[148:149]
	v_fma_f64 v[157:158], v[163:164], v[20:21], v[177:178]
	;; [unrolled: 2-line block ×5, first 2 shown]
	v_add_f64 v[16:17], v[16:17], -v[22:23]
	v_add_f64 v[18:19], v[18:19], -v[140:141]
	;; [unrolled: 1-line block ×10, first 2 shown]
	v_dual_mov_b32 v22, v142 :: v_dual_mov_b32 v23, v143
.LBB68_629:
	s_or_b32 exec_lo, exec_lo, s2
	v_lshl_add_u32 v140, v156, 4, v150
	s_barrier
	buffer_gl0_inv
	v_mov_b32_e32 v148, 30
	ds_store_2addr_b64 v140, v[16:17], v[18:19] offset1:1
	s_waitcnt lgkmcnt(0)
	s_barrier
	buffer_gl0_inv
	ds_load_2addr_b64 v[140:143], v150 offset0:60 offset1:61
	s_cmp_lt_i32 s5, 32
	s_cbranch_scc1 .LBB68_632
; %bb.630:
	v_add3_u32 v149, v155, 0, 0x1f0
	v_mov_b32_e32 v148, 30
	s_mov_b32 s6, 31
	s_set_inst_prefetch_distance 0x1
	.p2align	6
.LBB68_631:                             ; =>This Inner Loop Header: Depth=1
	ds_load_2addr_b64 v[157:160], v149 offset1:1
	s_waitcnt lgkmcnt(1)
	v_cmp_gt_f64_e32 vcc_lo, 0, v[140:141]
	v_xor_b32_e32 v161, 0x80000000, v141
	v_cmp_gt_f64_e64 s2, 0, v[142:143]
	v_xor_b32_e32 v163, 0x80000000, v143
	v_add_nc_u32_e32 v149, 16, v149
	s_waitcnt lgkmcnt(0)
	v_cmp_gt_f64_e64 s3, 0, v[157:158]
	v_mov_b32_e32 v165, v157
	v_dual_mov_b32 v167, v159 :: v_dual_cndmask_b32 v162, v141, v161
	v_xor_b32_e32 v161, 0x80000000, v158
	v_cndmask_b32_e64 v164, v143, v163, s2
	v_xor_b32_e32 v163, 0x80000000, v160
	s_delay_alu instid0(VALU_DEP_3) | instskip(SKIP_2) | instid1(VALU_DEP_2)
	v_cndmask_b32_e64 v166, v158, v161, s3
	v_cmp_gt_f64_e64 s3, 0, v[159:160]
	v_cndmask_b32_e32 v161, v140, v140, vcc_lo
	v_cndmask_b32_e64 v168, v160, v163, s3
	v_cndmask_b32_e64 v163, v142, v142, s2
	s_delay_alu instid0(VALU_DEP_2) | instskip(NEXT) | instid1(VALU_DEP_2)
	v_add_f64 v[165:166], v[165:166], v[167:168]
	v_add_f64 v[161:162], v[161:162], v[163:164]
	s_delay_alu instid0(VALU_DEP_1) | instskip(SKIP_4) | instid1(SALU_CYCLE_1)
	v_cmp_lt_f64_e32 vcc_lo, v[161:162], v[165:166]
	v_dual_cndmask_b32 v142, v142, v159 :: v_dual_cndmask_b32 v141, v141, v158
	v_dual_cndmask_b32 v140, v140, v157 :: v_dual_cndmask_b32 v143, v143, v160
	v_cndmask_b32_e64 v148, v148, s6, vcc_lo
	s_add_i32 s6, s6, 1
	s_cmp_lg_u32 s5, s6
	s_cbranch_scc1 .LBB68_631
.LBB68_632:
	s_set_inst_prefetch_distance 0x2
	s_waitcnt lgkmcnt(0)
	v_cmp_eq_f64_e32 vcc_lo, 0, v[140:141]
	v_cmp_eq_f64_e64 s2, 0, v[142:143]
	s_delay_alu instid0(VALU_DEP_1) | instskip(NEXT) | instid1(SALU_CYCLE_1)
	s_and_b32 s2, vcc_lo, s2
	s_and_saveexec_b32 s3, s2
	s_delay_alu instid0(SALU_CYCLE_1)
	s_xor_b32 s2, exec_lo, s3
; %bb.633:
	v_cmp_ne_u32_e32 vcc_lo, 0, v153
	v_cndmask_b32_e32 v153, 31, v153, vcc_lo
; %bb.634:
	s_and_not1_saveexec_b32 s3, s2
	s_cbranch_execz .LBB68_640
; %bb.635:
	v_cmp_gt_f64_e32 vcc_lo, 0, v[140:141]
	v_cmp_gt_f64_e64 s2, 0, v[142:143]
	v_xor_b32_e32 v149, 0x80000000, v141
	v_xor_b32_e32 v157, 0x80000000, v143
	s_delay_alu instid0(VALU_DEP_2) | instskip(NEXT) | instid1(VALU_DEP_2)
	v_cndmask_b32_e32 v158, v141, v149, vcc_lo
	v_cndmask_b32_e64 v160, v143, v157, s2
	v_cndmask_b32_e32 v157, v140, v140, vcc_lo
	v_cndmask_b32_e64 v159, v142, v142, s2
	s_mov_b32 s2, exec_lo
	s_delay_alu instid0(VALU_DEP_1)
	v_cmpx_ngt_f64_e32 v[157:158], v[159:160]
	s_xor_b32 s2, exec_lo, s2
	s_cbranch_execz .LBB68_637
; %bb.636:
	v_div_scale_f64 v[157:158], null, v[142:143], v[142:143], v[140:141]
	v_div_scale_f64 v[163:164], vcc_lo, v[140:141], v[142:143], v[140:141]
	s_delay_alu instid0(VALU_DEP_2) | instskip(SKIP_2) | instid1(VALU_DEP_1)
	v_rcp_f64_e32 v[159:160], v[157:158]
	s_waitcnt_depctr 0xfff
	v_fma_f64 v[161:162], -v[157:158], v[159:160], 1.0
	v_fma_f64 v[159:160], v[159:160], v[161:162], v[159:160]
	s_delay_alu instid0(VALU_DEP_1) | instskip(NEXT) | instid1(VALU_DEP_1)
	v_fma_f64 v[161:162], -v[157:158], v[159:160], 1.0
	v_fma_f64 v[159:160], v[159:160], v[161:162], v[159:160]
	s_delay_alu instid0(VALU_DEP_1) | instskip(NEXT) | instid1(VALU_DEP_1)
	v_mul_f64 v[161:162], v[163:164], v[159:160]
	v_fma_f64 v[157:158], -v[157:158], v[161:162], v[163:164]
	s_delay_alu instid0(VALU_DEP_1) | instskip(NEXT) | instid1(VALU_DEP_1)
	v_div_fmas_f64 v[157:158], v[157:158], v[159:160], v[161:162]
	v_div_fixup_f64 v[157:158], v[157:158], v[142:143], v[140:141]
	s_delay_alu instid0(VALU_DEP_1) | instskip(NEXT) | instid1(VALU_DEP_1)
	v_fma_f64 v[140:141], v[140:141], v[157:158], v[142:143]
	v_div_scale_f64 v[142:143], null, v[140:141], v[140:141], 1.0
	s_delay_alu instid0(VALU_DEP_1) | instskip(SKIP_2) | instid1(VALU_DEP_1)
	v_rcp_f64_e32 v[159:160], v[142:143]
	s_waitcnt_depctr 0xfff
	v_fma_f64 v[161:162], -v[142:143], v[159:160], 1.0
	v_fma_f64 v[159:160], v[159:160], v[161:162], v[159:160]
	s_delay_alu instid0(VALU_DEP_1) | instskip(NEXT) | instid1(VALU_DEP_1)
	v_fma_f64 v[161:162], -v[142:143], v[159:160], 1.0
	v_fma_f64 v[159:160], v[159:160], v[161:162], v[159:160]
	v_div_scale_f64 v[161:162], vcc_lo, 1.0, v[140:141], 1.0
	s_delay_alu instid0(VALU_DEP_1) | instskip(NEXT) | instid1(VALU_DEP_1)
	v_mul_f64 v[163:164], v[161:162], v[159:160]
	v_fma_f64 v[142:143], -v[142:143], v[163:164], v[161:162]
	s_delay_alu instid0(VALU_DEP_1) | instskip(NEXT) | instid1(VALU_DEP_1)
	v_div_fmas_f64 v[142:143], v[142:143], v[159:160], v[163:164]
	v_div_fixup_f64 v[142:143], v[142:143], v[140:141], 1.0
	s_delay_alu instid0(VALU_DEP_1)
	v_mul_f64 v[140:141], v[157:158], v[142:143]
	v_xor_b32_e32 v143, 0x80000000, v143
.LBB68_637:
	s_and_not1_saveexec_b32 s2, s2
	s_cbranch_execz .LBB68_639
; %bb.638:
	s_delay_alu instid0(VALU_DEP_1) | instskip(SKIP_1) | instid1(VALU_DEP_2)
	v_div_scale_f64 v[157:158], null, v[140:141], v[140:141], v[142:143]
	v_div_scale_f64 v[163:164], vcc_lo, v[142:143], v[140:141], v[142:143]
	v_rcp_f64_e32 v[159:160], v[157:158]
	s_waitcnt_depctr 0xfff
	v_fma_f64 v[161:162], -v[157:158], v[159:160], 1.0
	s_delay_alu instid0(VALU_DEP_1) | instskip(NEXT) | instid1(VALU_DEP_1)
	v_fma_f64 v[159:160], v[159:160], v[161:162], v[159:160]
	v_fma_f64 v[161:162], -v[157:158], v[159:160], 1.0
	s_delay_alu instid0(VALU_DEP_1) | instskip(NEXT) | instid1(VALU_DEP_1)
	v_fma_f64 v[159:160], v[159:160], v[161:162], v[159:160]
	v_mul_f64 v[161:162], v[163:164], v[159:160]
	s_delay_alu instid0(VALU_DEP_1) | instskip(NEXT) | instid1(VALU_DEP_1)
	v_fma_f64 v[157:158], -v[157:158], v[161:162], v[163:164]
	v_div_fmas_f64 v[157:158], v[157:158], v[159:160], v[161:162]
	s_delay_alu instid0(VALU_DEP_1) | instskip(NEXT) | instid1(VALU_DEP_1)
	v_div_fixup_f64 v[157:158], v[157:158], v[140:141], v[142:143]
	v_fma_f64 v[140:141], v[142:143], v[157:158], v[140:141]
	s_delay_alu instid0(VALU_DEP_1) | instskip(NEXT) | instid1(VALU_DEP_1)
	v_div_scale_f64 v[142:143], null, v[140:141], v[140:141], 1.0
	v_rcp_f64_e32 v[159:160], v[142:143]
	s_waitcnt_depctr 0xfff
	v_fma_f64 v[161:162], -v[142:143], v[159:160], 1.0
	s_delay_alu instid0(VALU_DEP_1) | instskip(NEXT) | instid1(VALU_DEP_1)
	v_fma_f64 v[159:160], v[159:160], v[161:162], v[159:160]
	v_fma_f64 v[161:162], -v[142:143], v[159:160], 1.0
	s_delay_alu instid0(VALU_DEP_1) | instskip(SKIP_1) | instid1(VALU_DEP_1)
	v_fma_f64 v[159:160], v[159:160], v[161:162], v[159:160]
	v_div_scale_f64 v[161:162], vcc_lo, 1.0, v[140:141], 1.0
	v_mul_f64 v[163:164], v[161:162], v[159:160]
	s_delay_alu instid0(VALU_DEP_1) | instskip(NEXT) | instid1(VALU_DEP_1)
	v_fma_f64 v[142:143], -v[142:143], v[163:164], v[161:162]
	v_div_fmas_f64 v[142:143], v[142:143], v[159:160], v[163:164]
	s_delay_alu instid0(VALU_DEP_1) | instskip(NEXT) | instid1(VALU_DEP_1)
	v_div_fixup_f64 v[140:141], v[142:143], v[140:141], 1.0
	v_mul_f64 v[142:143], v[157:158], -v[140:141]
.LBB68_639:
	s_or_b32 exec_lo, exec_lo, s2
.LBB68_640:
	s_delay_alu instid0(SALU_CYCLE_1) | instskip(NEXT) | instid1(SALU_CYCLE_1)
	s_or_b32 exec_lo, exec_lo, s3
	s_mov_b32 s2, exec_lo
	v_cmpx_ne_u32_e64 v156, v148
	s_xor_b32 s2, exec_lo, s2
	s_cbranch_execz .LBB68_646
; %bb.641:
	s_mov_b32 s3, exec_lo
	v_cmpx_eq_u32_e32 30, v156
	s_cbranch_execz .LBB68_645
; %bb.642:
	v_cmp_ne_u32_e32 vcc_lo, 30, v148
	s_xor_b32 s6, s4, -1
	s_delay_alu instid0(SALU_CYCLE_1) | instskip(NEXT) | instid1(SALU_CYCLE_1)
	s_and_b32 s7, s6, vcc_lo
	s_and_saveexec_b32 s6, s7
	s_cbranch_execz .LBB68_644
; %bb.643:
	v_ashrrev_i32_e32 v149, 31, v148
	s_delay_alu instid0(VALU_DEP_1) | instskip(NEXT) | instid1(VALU_DEP_1)
	v_lshlrev_b64 v[156:157], 2, v[148:149]
	v_add_co_u32 v156, vcc_lo, v146, v156
	s_delay_alu instid0(VALU_DEP_2)
	v_add_co_ci_u32_e32 v157, vcc_lo, v147, v157, vcc_lo
	s_clause 0x1
	flat_load_b32 v149, v[156:157]
	flat_load_b32 v154, v[146:147] offset:120
	s_waitcnt vmcnt(1) lgkmcnt(1)
	flat_store_b32 v[146:147], v149 offset:120
	s_waitcnt vmcnt(0) lgkmcnt(1)
	flat_store_b32 v[156:157], v154
.LBB68_644:
	s_or_b32 exec_lo, exec_lo, s6
	v_mov_b32_e32 v156, v148
	v_mov_b32_e32 v154, v148
.LBB68_645:
	s_or_b32 exec_lo, exec_lo, s3
.LBB68_646:
	s_and_not1_saveexec_b32 s2, s2
	s_cbranch_execz .LBB68_648
; %bb.647:
	v_mov_b32_e32 v156, 30
	ds_store_2addr_b64 v150, v[12:13], v[14:15] offset0:62 offset1:63
	ds_store_2addr_b64 v150, v[8:9], v[10:11] offset0:64 offset1:65
	;; [unrolled: 1-line block ×4, first 2 shown]
.LBB68_648:
	s_or_b32 exec_lo, exec_lo, s2
	s_delay_alu instid0(SALU_CYCLE_1)
	s_mov_b32 s2, exec_lo
	s_waitcnt lgkmcnt(0)
	s_waitcnt_vscnt null, 0x0
	s_barrier
	buffer_gl0_inv
	v_cmpx_lt_i32_e32 30, v156
	s_cbranch_execz .LBB68_650
; %bb.649:
	v_mul_f64 v[148:149], v[140:141], v[18:19]
	v_mul_f64 v[18:19], v[142:143], v[18:19]
	ds_load_2addr_b64 v[157:160], v150 offset0:62 offset1:63
	ds_load_2addr_b64 v[161:164], v150 offset0:64 offset1:65
	;; [unrolled: 1-line block ×4, first 2 shown]
	v_fma_f64 v[142:143], v[142:143], v[16:17], v[148:149]
	v_fma_f64 v[16:17], v[140:141], v[16:17], -v[18:19]
	s_waitcnt lgkmcnt(3)
	s_delay_alu instid0(VALU_DEP_2)
	v_mul_f64 v[18:19], v[159:160], v[142:143]
	v_mul_f64 v[140:141], v[157:158], v[142:143]
	s_waitcnt lgkmcnt(2)
	v_mul_f64 v[148:149], v[163:164], v[142:143]
	v_mul_f64 v[173:174], v[161:162], v[142:143]
	s_waitcnt lgkmcnt(1)
	;; [unrolled: 3-line block ×3, first 2 shown]
	v_mul_f64 v[179:180], v[171:172], v[142:143]
	v_mul_f64 v[181:182], v[169:170], v[142:143]
	v_fma_f64 v[18:19], v[157:158], v[16:17], -v[18:19]
	v_fma_f64 v[140:141], v[159:160], v[16:17], v[140:141]
	v_fma_f64 v[148:149], v[161:162], v[16:17], -v[148:149]
	v_fma_f64 v[157:158], v[163:164], v[16:17], v[173:174]
	;; [unrolled: 2-line block ×4, first 2 shown]
	v_add_f64 v[12:13], v[12:13], -v[18:19]
	v_add_f64 v[14:15], v[14:15], -v[140:141]
	;; [unrolled: 1-line block ×8, first 2 shown]
	v_dual_mov_b32 v18, v142 :: v_dual_mov_b32 v19, v143
.LBB68_650:
	s_or_b32 exec_lo, exec_lo, s2
	v_lshl_add_u32 v140, v156, 4, v150
	s_barrier
	buffer_gl0_inv
	v_mov_b32_e32 v148, 31
	ds_store_2addr_b64 v140, v[12:13], v[14:15] offset1:1
	s_waitcnt lgkmcnt(0)
	s_barrier
	buffer_gl0_inv
	ds_load_2addr_b64 v[140:143], v150 offset0:62 offset1:63
	s_cmp_lt_i32 s5, 33
	s_cbranch_scc1 .LBB68_653
; %bb.651:
	v_add3_u32 v149, v155, 0, 0x200
	v_mov_b32_e32 v148, 31
	s_mov_b32 s6, 32
	s_set_inst_prefetch_distance 0x1
	.p2align	6
.LBB68_652:                             ; =>This Inner Loop Header: Depth=1
	ds_load_2addr_b64 v[157:160], v149 offset1:1
	s_waitcnt lgkmcnt(1)
	v_cmp_gt_f64_e32 vcc_lo, 0, v[140:141]
	v_xor_b32_e32 v161, 0x80000000, v141
	v_cmp_gt_f64_e64 s2, 0, v[142:143]
	v_xor_b32_e32 v163, 0x80000000, v143
	v_add_nc_u32_e32 v149, 16, v149
	s_waitcnt lgkmcnt(0)
	v_cmp_gt_f64_e64 s3, 0, v[157:158]
	v_mov_b32_e32 v165, v157
	v_dual_mov_b32 v167, v159 :: v_dual_cndmask_b32 v162, v141, v161
	v_xor_b32_e32 v161, 0x80000000, v158
	v_cndmask_b32_e64 v164, v143, v163, s2
	v_xor_b32_e32 v163, 0x80000000, v160
	s_delay_alu instid0(VALU_DEP_3) | instskip(SKIP_2) | instid1(VALU_DEP_2)
	v_cndmask_b32_e64 v166, v158, v161, s3
	v_cmp_gt_f64_e64 s3, 0, v[159:160]
	v_cndmask_b32_e32 v161, v140, v140, vcc_lo
	v_cndmask_b32_e64 v168, v160, v163, s3
	v_cndmask_b32_e64 v163, v142, v142, s2
	s_delay_alu instid0(VALU_DEP_2) | instskip(NEXT) | instid1(VALU_DEP_2)
	v_add_f64 v[165:166], v[165:166], v[167:168]
	v_add_f64 v[161:162], v[161:162], v[163:164]
	s_delay_alu instid0(VALU_DEP_1) | instskip(SKIP_4) | instid1(SALU_CYCLE_1)
	v_cmp_lt_f64_e32 vcc_lo, v[161:162], v[165:166]
	v_dual_cndmask_b32 v142, v142, v159 :: v_dual_cndmask_b32 v141, v141, v158
	v_dual_cndmask_b32 v140, v140, v157 :: v_dual_cndmask_b32 v143, v143, v160
	v_cndmask_b32_e64 v148, v148, s6, vcc_lo
	s_add_i32 s6, s6, 1
	s_cmp_lg_u32 s5, s6
	s_cbranch_scc1 .LBB68_652
.LBB68_653:
	s_set_inst_prefetch_distance 0x2
	s_waitcnt lgkmcnt(0)
	v_cmp_eq_f64_e32 vcc_lo, 0, v[140:141]
	v_cmp_eq_f64_e64 s2, 0, v[142:143]
	s_delay_alu instid0(VALU_DEP_1) | instskip(NEXT) | instid1(SALU_CYCLE_1)
	s_and_b32 s2, vcc_lo, s2
	s_and_saveexec_b32 s3, s2
	s_delay_alu instid0(SALU_CYCLE_1)
	s_xor_b32 s2, exec_lo, s3
; %bb.654:
	v_cmp_ne_u32_e32 vcc_lo, 0, v153
	v_cndmask_b32_e32 v153, 32, v153, vcc_lo
; %bb.655:
	s_and_not1_saveexec_b32 s3, s2
	s_cbranch_execz .LBB68_661
; %bb.656:
	v_cmp_gt_f64_e32 vcc_lo, 0, v[140:141]
	v_cmp_gt_f64_e64 s2, 0, v[142:143]
	v_xor_b32_e32 v149, 0x80000000, v141
	v_xor_b32_e32 v157, 0x80000000, v143
	s_delay_alu instid0(VALU_DEP_2) | instskip(NEXT) | instid1(VALU_DEP_2)
	v_cndmask_b32_e32 v158, v141, v149, vcc_lo
	v_cndmask_b32_e64 v160, v143, v157, s2
	v_cndmask_b32_e32 v157, v140, v140, vcc_lo
	v_cndmask_b32_e64 v159, v142, v142, s2
	s_mov_b32 s2, exec_lo
	s_delay_alu instid0(VALU_DEP_1)
	v_cmpx_ngt_f64_e32 v[157:158], v[159:160]
	s_xor_b32 s2, exec_lo, s2
	s_cbranch_execz .LBB68_658
; %bb.657:
	v_div_scale_f64 v[157:158], null, v[142:143], v[142:143], v[140:141]
	v_div_scale_f64 v[163:164], vcc_lo, v[140:141], v[142:143], v[140:141]
	s_delay_alu instid0(VALU_DEP_2) | instskip(SKIP_2) | instid1(VALU_DEP_1)
	v_rcp_f64_e32 v[159:160], v[157:158]
	s_waitcnt_depctr 0xfff
	v_fma_f64 v[161:162], -v[157:158], v[159:160], 1.0
	v_fma_f64 v[159:160], v[159:160], v[161:162], v[159:160]
	s_delay_alu instid0(VALU_DEP_1) | instskip(NEXT) | instid1(VALU_DEP_1)
	v_fma_f64 v[161:162], -v[157:158], v[159:160], 1.0
	v_fma_f64 v[159:160], v[159:160], v[161:162], v[159:160]
	s_delay_alu instid0(VALU_DEP_1) | instskip(NEXT) | instid1(VALU_DEP_1)
	v_mul_f64 v[161:162], v[163:164], v[159:160]
	v_fma_f64 v[157:158], -v[157:158], v[161:162], v[163:164]
	s_delay_alu instid0(VALU_DEP_1) | instskip(NEXT) | instid1(VALU_DEP_1)
	v_div_fmas_f64 v[157:158], v[157:158], v[159:160], v[161:162]
	v_div_fixup_f64 v[157:158], v[157:158], v[142:143], v[140:141]
	s_delay_alu instid0(VALU_DEP_1) | instskip(NEXT) | instid1(VALU_DEP_1)
	v_fma_f64 v[140:141], v[140:141], v[157:158], v[142:143]
	v_div_scale_f64 v[142:143], null, v[140:141], v[140:141], 1.0
	s_delay_alu instid0(VALU_DEP_1) | instskip(SKIP_2) | instid1(VALU_DEP_1)
	v_rcp_f64_e32 v[159:160], v[142:143]
	s_waitcnt_depctr 0xfff
	v_fma_f64 v[161:162], -v[142:143], v[159:160], 1.0
	v_fma_f64 v[159:160], v[159:160], v[161:162], v[159:160]
	s_delay_alu instid0(VALU_DEP_1) | instskip(NEXT) | instid1(VALU_DEP_1)
	v_fma_f64 v[161:162], -v[142:143], v[159:160], 1.0
	v_fma_f64 v[159:160], v[159:160], v[161:162], v[159:160]
	v_div_scale_f64 v[161:162], vcc_lo, 1.0, v[140:141], 1.0
	s_delay_alu instid0(VALU_DEP_1) | instskip(NEXT) | instid1(VALU_DEP_1)
	v_mul_f64 v[163:164], v[161:162], v[159:160]
	v_fma_f64 v[142:143], -v[142:143], v[163:164], v[161:162]
	s_delay_alu instid0(VALU_DEP_1) | instskip(NEXT) | instid1(VALU_DEP_1)
	v_div_fmas_f64 v[142:143], v[142:143], v[159:160], v[163:164]
	v_div_fixup_f64 v[142:143], v[142:143], v[140:141], 1.0
	s_delay_alu instid0(VALU_DEP_1)
	v_mul_f64 v[140:141], v[157:158], v[142:143]
	v_xor_b32_e32 v143, 0x80000000, v143
.LBB68_658:
	s_and_not1_saveexec_b32 s2, s2
	s_cbranch_execz .LBB68_660
; %bb.659:
	s_delay_alu instid0(VALU_DEP_1) | instskip(SKIP_1) | instid1(VALU_DEP_2)
	v_div_scale_f64 v[157:158], null, v[140:141], v[140:141], v[142:143]
	v_div_scale_f64 v[163:164], vcc_lo, v[142:143], v[140:141], v[142:143]
	v_rcp_f64_e32 v[159:160], v[157:158]
	s_waitcnt_depctr 0xfff
	v_fma_f64 v[161:162], -v[157:158], v[159:160], 1.0
	s_delay_alu instid0(VALU_DEP_1) | instskip(NEXT) | instid1(VALU_DEP_1)
	v_fma_f64 v[159:160], v[159:160], v[161:162], v[159:160]
	v_fma_f64 v[161:162], -v[157:158], v[159:160], 1.0
	s_delay_alu instid0(VALU_DEP_1) | instskip(NEXT) | instid1(VALU_DEP_1)
	v_fma_f64 v[159:160], v[159:160], v[161:162], v[159:160]
	v_mul_f64 v[161:162], v[163:164], v[159:160]
	s_delay_alu instid0(VALU_DEP_1) | instskip(NEXT) | instid1(VALU_DEP_1)
	v_fma_f64 v[157:158], -v[157:158], v[161:162], v[163:164]
	v_div_fmas_f64 v[157:158], v[157:158], v[159:160], v[161:162]
	s_delay_alu instid0(VALU_DEP_1) | instskip(NEXT) | instid1(VALU_DEP_1)
	v_div_fixup_f64 v[157:158], v[157:158], v[140:141], v[142:143]
	v_fma_f64 v[140:141], v[142:143], v[157:158], v[140:141]
	s_delay_alu instid0(VALU_DEP_1) | instskip(NEXT) | instid1(VALU_DEP_1)
	v_div_scale_f64 v[142:143], null, v[140:141], v[140:141], 1.0
	v_rcp_f64_e32 v[159:160], v[142:143]
	s_waitcnt_depctr 0xfff
	v_fma_f64 v[161:162], -v[142:143], v[159:160], 1.0
	s_delay_alu instid0(VALU_DEP_1) | instskip(NEXT) | instid1(VALU_DEP_1)
	v_fma_f64 v[159:160], v[159:160], v[161:162], v[159:160]
	v_fma_f64 v[161:162], -v[142:143], v[159:160], 1.0
	s_delay_alu instid0(VALU_DEP_1) | instskip(SKIP_1) | instid1(VALU_DEP_1)
	v_fma_f64 v[159:160], v[159:160], v[161:162], v[159:160]
	v_div_scale_f64 v[161:162], vcc_lo, 1.0, v[140:141], 1.0
	v_mul_f64 v[163:164], v[161:162], v[159:160]
	s_delay_alu instid0(VALU_DEP_1) | instskip(NEXT) | instid1(VALU_DEP_1)
	v_fma_f64 v[142:143], -v[142:143], v[163:164], v[161:162]
	v_div_fmas_f64 v[142:143], v[142:143], v[159:160], v[163:164]
	s_delay_alu instid0(VALU_DEP_1) | instskip(NEXT) | instid1(VALU_DEP_1)
	v_div_fixup_f64 v[140:141], v[142:143], v[140:141], 1.0
	v_mul_f64 v[142:143], v[157:158], -v[140:141]
.LBB68_660:
	s_or_b32 exec_lo, exec_lo, s2
.LBB68_661:
	s_delay_alu instid0(SALU_CYCLE_1) | instskip(NEXT) | instid1(SALU_CYCLE_1)
	s_or_b32 exec_lo, exec_lo, s3
	s_mov_b32 s2, exec_lo
	v_cmpx_ne_u32_e64 v156, v148
	s_xor_b32 s2, exec_lo, s2
	s_cbranch_execz .LBB68_667
; %bb.662:
	s_mov_b32 s3, exec_lo
	v_cmpx_eq_u32_e32 31, v156
	s_cbranch_execz .LBB68_666
; %bb.663:
	v_cmp_ne_u32_e32 vcc_lo, 31, v148
	s_xor_b32 s6, s4, -1
	s_delay_alu instid0(SALU_CYCLE_1) | instskip(NEXT) | instid1(SALU_CYCLE_1)
	s_and_b32 s7, s6, vcc_lo
	s_and_saveexec_b32 s6, s7
	s_cbranch_execz .LBB68_665
; %bb.664:
	v_ashrrev_i32_e32 v149, 31, v148
	s_delay_alu instid0(VALU_DEP_1) | instskip(NEXT) | instid1(VALU_DEP_1)
	v_lshlrev_b64 v[156:157], 2, v[148:149]
	v_add_co_u32 v156, vcc_lo, v146, v156
	s_delay_alu instid0(VALU_DEP_2)
	v_add_co_ci_u32_e32 v157, vcc_lo, v147, v157, vcc_lo
	s_clause 0x1
	flat_load_b32 v149, v[156:157]
	flat_load_b32 v154, v[146:147] offset:124
	s_waitcnt vmcnt(1) lgkmcnt(1)
	flat_store_b32 v[146:147], v149 offset:124
	s_waitcnt vmcnt(0) lgkmcnt(1)
	flat_store_b32 v[156:157], v154
.LBB68_665:
	s_or_b32 exec_lo, exec_lo, s6
	v_mov_b32_e32 v156, v148
	v_mov_b32_e32 v154, v148
.LBB68_666:
	s_or_b32 exec_lo, exec_lo, s3
.LBB68_667:
	s_and_not1_saveexec_b32 s2, s2
	s_cbranch_execz .LBB68_669
; %bb.668:
	v_mov_b32_e32 v156, 31
	ds_store_2addr_b64 v150, v[8:9], v[10:11] offset0:64 offset1:65
	ds_store_2addr_b64 v150, v[4:5], v[6:7] offset0:66 offset1:67
	;; [unrolled: 1-line block ×3, first 2 shown]
.LBB68_669:
	s_or_b32 exec_lo, exec_lo, s2
	s_delay_alu instid0(SALU_CYCLE_1)
	s_mov_b32 s2, exec_lo
	s_waitcnt lgkmcnt(0)
	s_waitcnt_vscnt null, 0x0
	s_barrier
	buffer_gl0_inv
	v_cmpx_lt_i32_e32 31, v156
	s_cbranch_execz .LBB68_671
; %bb.670:
	v_mul_f64 v[148:149], v[140:141], v[14:15]
	v_mul_f64 v[14:15], v[142:143], v[14:15]
	ds_load_2addr_b64 v[157:160], v150 offset0:64 offset1:65
	ds_load_2addr_b64 v[161:164], v150 offset0:66 offset1:67
	;; [unrolled: 1-line block ×3, first 2 shown]
	v_fma_f64 v[142:143], v[142:143], v[12:13], v[148:149]
	v_fma_f64 v[12:13], v[140:141], v[12:13], -v[14:15]
	s_waitcnt lgkmcnt(2)
	s_delay_alu instid0(VALU_DEP_2)
	v_mul_f64 v[14:15], v[159:160], v[142:143]
	v_mul_f64 v[140:141], v[157:158], v[142:143]
	s_waitcnt lgkmcnt(1)
	v_mul_f64 v[148:149], v[163:164], v[142:143]
	v_mul_f64 v[169:170], v[161:162], v[142:143]
	s_waitcnt lgkmcnt(0)
	v_mul_f64 v[171:172], v[167:168], v[142:143]
	v_mul_f64 v[173:174], v[165:166], v[142:143]
	v_fma_f64 v[14:15], v[157:158], v[12:13], -v[14:15]
	v_fma_f64 v[140:141], v[159:160], v[12:13], v[140:141]
	v_fma_f64 v[148:149], v[161:162], v[12:13], -v[148:149]
	v_fma_f64 v[157:158], v[163:164], v[12:13], v[169:170]
	;; [unrolled: 2-line block ×3, first 2 shown]
	v_add_f64 v[8:9], v[8:9], -v[14:15]
	v_add_f64 v[10:11], v[10:11], -v[140:141]
	;; [unrolled: 1-line block ×6, first 2 shown]
	v_dual_mov_b32 v14, v142 :: v_dual_mov_b32 v15, v143
.LBB68_671:
	s_or_b32 exec_lo, exec_lo, s2
	v_lshl_add_u32 v140, v156, 4, v150
	s_barrier
	buffer_gl0_inv
	v_mov_b32_e32 v148, 32
	ds_store_2addr_b64 v140, v[8:9], v[10:11] offset1:1
	s_waitcnt lgkmcnt(0)
	s_barrier
	buffer_gl0_inv
	ds_load_2addr_b64 v[140:143], v150 offset0:64 offset1:65
	s_cmp_lt_i32 s5, 34
	s_cbranch_scc1 .LBB68_674
; %bb.672:
	v_add3_u32 v149, v155, 0, 0x210
	v_mov_b32_e32 v148, 32
	s_mov_b32 s6, 33
	s_set_inst_prefetch_distance 0x1
	.p2align	6
.LBB68_673:                             ; =>This Inner Loop Header: Depth=1
	ds_load_2addr_b64 v[157:160], v149 offset1:1
	s_waitcnt lgkmcnt(1)
	v_cmp_gt_f64_e32 vcc_lo, 0, v[140:141]
	v_xor_b32_e32 v161, 0x80000000, v141
	v_cmp_gt_f64_e64 s2, 0, v[142:143]
	v_xor_b32_e32 v163, 0x80000000, v143
	v_add_nc_u32_e32 v149, 16, v149
	s_waitcnt lgkmcnt(0)
	v_cmp_gt_f64_e64 s3, 0, v[157:158]
	v_mov_b32_e32 v165, v157
	v_dual_mov_b32 v167, v159 :: v_dual_cndmask_b32 v162, v141, v161
	v_xor_b32_e32 v161, 0x80000000, v158
	v_cndmask_b32_e64 v164, v143, v163, s2
	v_xor_b32_e32 v163, 0x80000000, v160
	s_delay_alu instid0(VALU_DEP_3) | instskip(SKIP_2) | instid1(VALU_DEP_2)
	v_cndmask_b32_e64 v166, v158, v161, s3
	v_cmp_gt_f64_e64 s3, 0, v[159:160]
	v_cndmask_b32_e32 v161, v140, v140, vcc_lo
	v_cndmask_b32_e64 v168, v160, v163, s3
	v_cndmask_b32_e64 v163, v142, v142, s2
	s_delay_alu instid0(VALU_DEP_2) | instskip(NEXT) | instid1(VALU_DEP_2)
	v_add_f64 v[165:166], v[165:166], v[167:168]
	v_add_f64 v[161:162], v[161:162], v[163:164]
	s_delay_alu instid0(VALU_DEP_1) | instskip(SKIP_4) | instid1(SALU_CYCLE_1)
	v_cmp_lt_f64_e32 vcc_lo, v[161:162], v[165:166]
	v_dual_cndmask_b32 v142, v142, v159 :: v_dual_cndmask_b32 v141, v141, v158
	v_dual_cndmask_b32 v140, v140, v157 :: v_dual_cndmask_b32 v143, v143, v160
	v_cndmask_b32_e64 v148, v148, s6, vcc_lo
	s_add_i32 s6, s6, 1
	s_cmp_lg_u32 s5, s6
	s_cbranch_scc1 .LBB68_673
.LBB68_674:
	s_set_inst_prefetch_distance 0x2
	s_waitcnt lgkmcnt(0)
	v_cmp_eq_f64_e32 vcc_lo, 0, v[140:141]
	v_cmp_eq_f64_e64 s2, 0, v[142:143]
	s_delay_alu instid0(VALU_DEP_1) | instskip(NEXT) | instid1(SALU_CYCLE_1)
	s_and_b32 s2, vcc_lo, s2
	s_and_saveexec_b32 s3, s2
	s_delay_alu instid0(SALU_CYCLE_1)
	s_xor_b32 s2, exec_lo, s3
; %bb.675:
	v_cmp_ne_u32_e32 vcc_lo, 0, v153
	v_cndmask_b32_e32 v153, 33, v153, vcc_lo
; %bb.676:
	s_and_not1_saveexec_b32 s3, s2
	s_cbranch_execz .LBB68_682
; %bb.677:
	v_cmp_gt_f64_e32 vcc_lo, 0, v[140:141]
	v_cmp_gt_f64_e64 s2, 0, v[142:143]
	v_xor_b32_e32 v149, 0x80000000, v141
	v_xor_b32_e32 v157, 0x80000000, v143
	s_delay_alu instid0(VALU_DEP_2) | instskip(NEXT) | instid1(VALU_DEP_2)
	v_cndmask_b32_e32 v158, v141, v149, vcc_lo
	v_cndmask_b32_e64 v160, v143, v157, s2
	v_cndmask_b32_e32 v157, v140, v140, vcc_lo
	v_cndmask_b32_e64 v159, v142, v142, s2
	s_mov_b32 s2, exec_lo
	s_delay_alu instid0(VALU_DEP_1)
	v_cmpx_ngt_f64_e32 v[157:158], v[159:160]
	s_xor_b32 s2, exec_lo, s2
	s_cbranch_execz .LBB68_679
; %bb.678:
	v_div_scale_f64 v[157:158], null, v[142:143], v[142:143], v[140:141]
	v_div_scale_f64 v[163:164], vcc_lo, v[140:141], v[142:143], v[140:141]
	s_delay_alu instid0(VALU_DEP_2) | instskip(SKIP_2) | instid1(VALU_DEP_1)
	v_rcp_f64_e32 v[159:160], v[157:158]
	s_waitcnt_depctr 0xfff
	v_fma_f64 v[161:162], -v[157:158], v[159:160], 1.0
	v_fma_f64 v[159:160], v[159:160], v[161:162], v[159:160]
	s_delay_alu instid0(VALU_DEP_1) | instskip(NEXT) | instid1(VALU_DEP_1)
	v_fma_f64 v[161:162], -v[157:158], v[159:160], 1.0
	v_fma_f64 v[159:160], v[159:160], v[161:162], v[159:160]
	s_delay_alu instid0(VALU_DEP_1) | instskip(NEXT) | instid1(VALU_DEP_1)
	v_mul_f64 v[161:162], v[163:164], v[159:160]
	v_fma_f64 v[157:158], -v[157:158], v[161:162], v[163:164]
	s_delay_alu instid0(VALU_DEP_1) | instskip(NEXT) | instid1(VALU_DEP_1)
	v_div_fmas_f64 v[157:158], v[157:158], v[159:160], v[161:162]
	v_div_fixup_f64 v[157:158], v[157:158], v[142:143], v[140:141]
	s_delay_alu instid0(VALU_DEP_1) | instskip(NEXT) | instid1(VALU_DEP_1)
	v_fma_f64 v[140:141], v[140:141], v[157:158], v[142:143]
	v_div_scale_f64 v[142:143], null, v[140:141], v[140:141], 1.0
	s_delay_alu instid0(VALU_DEP_1) | instskip(SKIP_2) | instid1(VALU_DEP_1)
	v_rcp_f64_e32 v[159:160], v[142:143]
	s_waitcnt_depctr 0xfff
	v_fma_f64 v[161:162], -v[142:143], v[159:160], 1.0
	v_fma_f64 v[159:160], v[159:160], v[161:162], v[159:160]
	s_delay_alu instid0(VALU_DEP_1) | instskip(NEXT) | instid1(VALU_DEP_1)
	v_fma_f64 v[161:162], -v[142:143], v[159:160], 1.0
	v_fma_f64 v[159:160], v[159:160], v[161:162], v[159:160]
	v_div_scale_f64 v[161:162], vcc_lo, 1.0, v[140:141], 1.0
	s_delay_alu instid0(VALU_DEP_1) | instskip(NEXT) | instid1(VALU_DEP_1)
	v_mul_f64 v[163:164], v[161:162], v[159:160]
	v_fma_f64 v[142:143], -v[142:143], v[163:164], v[161:162]
	s_delay_alu instid0(VALU_DEP_1) | instskip(NEXT) | instid1(VALU_DEP_1)
	v_div_fmas_f64 v[142:143], v[142:143], v[159:160], v[163:164]
	v_div_fixup_f64 v[142:143], v[142:143], v[140:141], 1.0
	s_delay_alu instid0(VALU_DEP_1)
	v_mul_f64 v[140:141], v[157:158], v[142:143]
	v_xor_b32_e32 v143, 0x80000000, v143
.LBB68_679:
	s_and_not1_saveexec_b32 s2, s2
	s_cbranch_execz .LBB68_681
; %bb.680:
	s_delay_alu instid0(VALU_DEP_1) | instskip(SKIP_1) | instid1(VALU_DEP_2)
	v_div_scale_f64 v[157:158], null, v[140:141], v[140:141], v[142:143]
	v_div_scale_f64 v[163:164], vcc_lo, v[142:143], v[140:141], v[142:143]
	v_rcp_f64_e32 v[159:160], v[157:158]
	s_waitcnt_depctr 0xfff
	v_fma_f64 v[161:162], -v[157:158], v[159:160], 1.0
	s_delay_alu instid0(VALU_DEP_1) | instskip(NEXT) | instid1(VALU_DEP_1)
	v_fma_f64 v[159:160], v[159:160], v[161:162], v[159:160]
	v_fma_f64 v[161:162], -v[157:158], v[159:160], 1.0
	s_delay_alu instid0(VALU_DEP_1) | instskip(NEXT) | instid1(VALU_DEP_1)
	v_fma_f64 v[159:160], v[159:160], v[161:162], v[159:160]
	v_mul_f64 v[161:162], v[163:164], v[159:160]
	s_delay_alu instid0(VALU_DEP_1) | instskip(NEXT) | instid1(VALU_DEP_1)
	v_fma_f64 v[157:158], -v[157:158], v[161:162], v[163:164]
	v_div_fmas_f64 v[157:158], v[157:158], v[159:160], v[161:162]
	s_delay_alu instid0(VALU_DEP_1) | instskip(NEXT) | instid1(VALU_DEP_1)
	v_div_fixup_f64 v[157:158], v[157:158], v[140:141], v[142:143]
	v_fma_f64 v[140:141], v[142:143], v[157:158], v[140:141]
	s_delay_alu instid0(VALU_DEP_1) | instskip(NEXT) | instid1(VALU_DEP_1)
	v_div_scale_f64 v[142:143], null, v[140:141], v[140:141], 1.0
	v_rcp_f64_e32 v[159:160], v[142:143]
	s_waitcnt_depctr 0xfff
	v_fma_f64 v[161:162], -v[142:143], v[159:160], 1.0
	s_delay_alu instid0(VALU_DEP_1) | instskip(NEXT) | instid1(VALU_DEP_1)
	v_fma_f64 v[159:160], v[159:160], v[161:162], v[159:160]
	v_fma_f64 v[161:162], -v[142:143], v[159:160], 1.0
	s_delay_alu instid0(VALU_DEP_1) | instskip(SKIP_1) | instid1(VALU_DEP_1)
	v_fma_f64 v[159:160], v[159:160], v[161:162], v[159:160]
	v_div_scale_f64 v[161:162], vcc_lo, 1.0, v[140:141], 1.0
	v_mul_f64 v[163:164], v[161:162], v[159:160]
	s_delay_alu instid0(VALU_DEP_1) | instskip(NEXT) | instid1(VALU_DEP_1)
	v_fma_f64 v[142:143], -v[142:143], v[163:164], v[161:162]
	v_div_fmas_f64 v[142:143], v[142:143], v[159:160], v[163:164]
	s_delay_alu instid0(VALU_DEP_1) | instskip(NEXT) | instid1(VALU_DEP_1)
	v_div_fixup_f64 v[140:141], v[142:143], v[140:141], 1.0
	v_mul_f64 v[142:143], v[157:158], -v[140:141]
.LBB68_681:
	s_or_b32 exec_lo, exec_lo, s2
.LBB68_682:
	s_delay_alu instid0(SALU_CYCLE_1) | instskip(NEXT) | instid1(SALU_CYCLE_1)
	s_or_b32 exec_lo, exec_lo, s3
	s_mov_b32 s2, exec_lo
	v_cmpx_ne_u32_e64 v156, v148
	s_xor_b32 s2, exec_lo, s2
	s_cbranch_execz .LBB68_688
; %bb.683:
	s_mov_b32 s3, exec_lo
	v_cmpx_eq_u32_e32 32, v156
	s_cbranch_execz .LBB68_687
; %bb.684:
	v_cmp_ne_u32_e32 vcc_lo, 32, v148
	s_xor_b32 s6, s4, -1
	s_delay_alu instid0(SALU_CYCLE_1) | instskip(NEXT) | instid1(SALU_CYCLE_1)
	s_and_b32 s7, s6, vcc_lo
	s_and_saveexec_b32 s6, s7
	s_cbranch_execz .LBB68_686
; %bb.685:
	v_ashrrev_i32_e32 v149, 31, v148
	s_delay_alu instid0(VALU_DEP_1) | instskip(NEXT) | instid1(VALU_DEP_1)
	v_lshlrev_b64 v[156:157], 2, v[148:149]
	v_add_co_u32 v156, vcc_lo, v146, v156
	s_delay_alu instid0(VALU_DEP_2)
	v_add_co_ci_u32_e32 v157, vcc_lo, v147, v157, vcc_lo
	s_clause 0x1
	flat_load_b32 v149, v[156:157]
	flat_load_b32 v154, v[146:147] offset:128
	s_waitcnt vmcnt(1) lgkmcnt(1)
	flat_store_b32 v[146:147], v149 offset:128
	s_waitcnt vmcnt(0) lgkmcnt(1)
	flat_store_b32 v[156:157], v154
.LBB68_686:
	s_or_b32 exec_lo, exec_lo, s6
	v_mov_b32_e32 v156, v148
	v_mov_b32_e32 v154, v148
.LBB68_687:
	s_or_b32 exec_lo, exec_lo, s3
.LBB68_688:
	s_and_not1_saveexec_b32 s2, s2
	s_cbranch_execz .LBB68_690
; %bb.689:
	v_mov_b32_e32 v156, 32
	ds_store_2addr_b64 v150, v[4:5], v[6:7] offset0:66 offset1:67
	ds_store_2addr_b64 v150, v[0:1], v[2:3] offset0:68 offset1:69
.LBB68_690:
	s_or_b32 exec_lo, exec_lo, s2
	s_delay_alu instid0(SALU_CYCLE_1)
	s_mov_b32 s2, exec_lo
	s_waitcnt lgkmcnt(0)
	s_waitcnt_vscnt null, 0x0
	s_barrier
	buffer_gl0_inv
	v_cmpx_lt_i32_e32 32, v156
	s_cbranch_execz .LBB68_692
; %bb.691:
	v_mul_f64 v[148:149], v[140:141], v[10:11]
	v_mul_f64 v[10:11], v[142:143], v[10:11]
	ds_load_2addr_b64 v[157:160], v150 offset0:66 offset1:67
	ds_load_2addr_b64 v[161:164], v150 offset0:68 offset1:69
	v_fma_f64 v[142:143], v[142:143], v[8:9], v[148:149]
	v_fma_f64 v[8:9], v[140:141], v[8:9], -v[10:11]
	s_waitcnt lgkmcnt(1)
	s_delay_alu instid0(VALU_DEP_2) | instskip(SKIP_4) | instid1(VALU_DEP_4)
	v_mul_f64 v[10:11], v[159:160], v[142:143]
	v_mul_f64 v[140:141], v[157:158], v[142:143]
	s_waitcnt lgkmcnt(0)
	v_mul_f64 v[148:149], v[163:164], v[142:143]
	v_mul_f64 v[165:166], v[161:162], v[142:143]
	v_fma_f64 v[10:11], v[157:158], v[8:9], -v[10:11]
	s_delay_alu instid0(VALU_DEP_4) | instskip(NEXT) | instid1(VALU_DEP_4)
	v_fma_f64 v[140:141], v[159:160], v[8:9], v[140:141]
	v_fma_f64 v[148:149], v[161:162], v[8:9], -v[148:149]
	s_delay_alu instid0(VALU_DEP_4) | instskip(NEXT) | instid1(VALU_DEP_4)
	v_fma_f64 v[157:158], v[163:164], v[8:9], v[165:166]
	v_add_f64 v[4:5], v[4:5], -v[10:11]
	s_delay_alu instid0(VALU_DEP_4) | instskip(NEXT) | instid1(VALU_DEP_4)
	v_add_f64 v[6:7], v[6:7], -v[140:141]
	v_add_f64 v[0:1], v[0:1], -v[148:149]
	s_delay_alu instid0(VALU_DEP_4)
	v_add_f64 v[2:3], v[2:3], -v[157:158]
	v_dual_mov_b32 v10, v142 :: v_dual_mov_b32 v11, v143
.LBB68_692:
	s_or_b32 exec_lo, exec_lo, s2
	v_lshl_add_u32 v140, v156, 4, v150
	s_barrier
	buffer_gl0_inv
	v_mov_b32_e32 v148, 33
	ds_store_2addr_b64 v140, v[4:5], v[6:7] offset1:1
	s_waitcnt lgkmcnt(0)
	s_barrier
	buffer_gl0_inv
	ds_load_2addr_b64 v[140:143], v150 offset0:66 offset1:67
	s_cmp_lt_i32 s5, 35
	s_cbranch_scc1 .LBB68_695
; %bb.693:
	v_add3_u32 v149, v155, 0, 0x220
	v_mov_b32_e32 v148, 33
	s_mov_b32 s6, 34
	s_set_inst_prefetch_distance 0x1
	.p2align	6
.LBB68_694:                             ; =>This Inner Loop Header: Depth=1
	ds_load_2addr_b64 v[157:160], v149 offset1:1
	s_waitcnt lgkmcnt(1)
	v_cmp_gt_f64_e32 vcc_lo, 0, v[140:141]
	v_xor_b32_e32 v161, 0x80000000, v141
	v_cmp_gt_f64_e64 s2, 0, v[142:143]
	v_xor_b32_e32 v163, 0x80000000, v143
	v_add_nc_u32_e32 v149, 16, v149
	s_waitcnt lgkmcnt(0)
	v_cmp_gt_f64_e64 s3, 0, v[157:158]
	v_mov_b32_e32 v165, v157
	v_dual_mov_b32 v167, v159 :: v_dual_cndmask_b32 v162, v141, v161
	v_xor_b32_e32 v161, 0x80000000, v158
	v_cndmask_b32_e64 v164, v143, v163, s2
	v_xor_b32_e32 v163, 0x80000000, v160
	s_delay_alu instid0(VALU_DEP_3) | instskip(SKIP_2) | instid1(VALU_DEP_2)
	v_cndmask_b32_e64 v166, v158, v161, s3
	v_cmp_gt_f64_e64 s3, 0, v[159:160]
	v_cndmask_b32_e32 v161, v140, v140, vcc_lo
	v_cndmask_b32_e64 v168, v160, v163, s3
	v_cndmask_b32_e64 v163, v142, v142, s2
	s_delay_alu instid0(VALU_DEP_2) | instskip(NEXT) | instid1(VALU_DEP_2)
	v_add_f64 v[165:166], v[165:166], v[167:168]
	v_add_f64 v[161:162], v[161:162], v[163:164]
	s_delay_alu instid0(VALU_DEP_1) | instskip(SKIP_4) | instid1(SALU_CYCLE_1)
	v_cmp_lt_f64_e32 vcc_lo, v[161:162], v[165:166]
	v_dual_cndmask_b32 v142, v142, v159 :: v_dual_cndmask_b32 v141, v141, v158
	v_dual_cndmask_b32 v140, v140, v157 :: v_dual_cndmask_b32 v143, v143, v160
	v_cndmask_b32_e64 v148, v148, s6, vcc_lo
	s_add_i32 s6, s6, 1
	s_cmp_lg_u32 s5, s6
	s_cbranch_scc1 .LBB68_694
.LBB68_695:
	s_set_inst_prefetch_distance 0x2
	s_waitcnt lgkmcnt(0)
	v_cmp_eq_f64_e32 vcc_lo, 0, v[140:141]
	v_cmp_eq_f64_e64 s2, 0, v[142:143]
	s_delay_alu instid0(VALU_DEP_1) | instskip(NEXT) | instid1(SALU_CYCLE_1)
	s_and_b32 s2, vcc_lo, s2
	s_and_saveexec_b32 s3, s2
	s_delay_alu instid0(SALU_CYCLE_1)
	s_xor_b32 s2, exec_lo, s3
; %bb.696:
	v_cmp_ne_u32_e32 vcc_lo, 0, v153
	v_cndmask_b32_e32 v153, 34, v153, vcc_lo
; %bb.697:
	s_and_not1_saveexec_b32 s3, s2
	s_cbranch_execz .LBB68_703
; %bb.698:
	v_cmp_gt_f64_e32 vcc_lo, 0, v[140:141]
	v_cmp_gt_f64_e64 s2, 0, v[142:143]
	v_xor_b32_e32 v149, 0x80000000, v141
	v_xor_b32_e32 v157, 0x80000000, v143
	s_delay_alu instid0(VALU_DEP_2) | instskip(NEXT) | instid1(VALU_DEP_2)
	v_cndmask_b32_e32 v158, v141, v149, vcc_lo
	v_cndmask_b32_e64 v160, v143, v157, s2
	v_cndmask_b32_e32 v157, v140, v140, vcc_lo
	v_cndmask_b32_e64 v159, v142, v142, s2
	s_mov_b32 s2, exec_lo
	s_delay_alu instid0(VALU_DEP_1)
	v_cmpx_ngt_f64_e32 v[157:158], v[159:160]
	s_xor_b32 s2, exec_lo, s2
	s_cbranch_execz .LBB68_700
; %bb.699:
	v_div_scale_f64 v[157:158], null, v[142:143], v[142:143], v[140:141]
	v_div_scale_f64 v[163:164], vcc_lo, v[140:141], v[142:143], v[140:141]
	s_delay_alu instid0(VALU_DEP_2) | instskip(SKIP_2) | instid1(VALU_DEP_1)
	v_rcp_f64_e32 v[159:160], v[157:158]
	s_waitcnt_depctr 0xfff
	v_fma_f64 v[161:162], -v[157:158], v[159:160], 1.0
	v_fma_f64 v[159:160], v[159:160], v[161:162], v[159:160]
	s_delay_alu instid0(VALU_DEP_1) | instskip(NEXT) | instid1(VALU_DEP_1)
	v_fma_f64 v[161:162], -v[157:158], v[159:160], 1.0
	v_fma_f64 v[159:160], v[159:160], v[161:162], v[159:160]
	s_delay_alu instid0(VALU_DEP_1) | instskip(NEXT) | instid1(VALU_DEP_1)
	v_mul_f64 v[161:162], v[163:164], v[159:160]
	v_fma_f64 v[157:158], -v[157:158], v[161:162], v[163:164]
	s_delay_alu instid0(VALU_DEP_1) | instskip(NEXT) | instid1(VALU_DEP_1)
	v_div_fmas_f64 v[157:158], v[157:158], v[159:160], v[161:162]
	v_div_fixup_f64 v[157:158], v[157:158], v[142:143], v[140:141]
	s_delay_alu instid0(VALU_DEP_1) | instskip(NEXT) | instid1(VALU_DEP_1)
	v_fma_f64 v[140:141], v[140:141], v[157:158], v[142:143]
	v_div_scale_f64 v[142:143], null, v[140:141], v[140:141], 1.0
	s_delay_alu instid0(VALU_DEP_1) | instskip(SKIP_2) | instid1(VALU_DEP_1)
	v_rcp_f64_e32 v[159:160], v[142:143]
	s_waitcnt_depctr 0xfff
	v_fma_f64 v[161:162], -v[142:143], v[159:160], 1.0
	v_fma_f64 v[159:160], v[159:160], v[161:162], v[159:160]
	s_delay_alu instid0(VALU_DEP_1) | instskip(NEXT) | instid1(VALU_DEP_1)
	v_fma_f64 v[161:162], -v[142:143], v[159:160], 1.0
	v_fma_f64 v[159:160], v[159:160], v[161:162], v[159:160]
	v_div_scale_f64 v[161:162], vcc_lo, 1.0, v[140:141], 1.0
	s_delay_alu instid0(VALU_DEP_1) | instskip(NEXT) | instid1(VALU_DEP_1)
	v_mul_f64 v[163:164], v[161:162], v[159:160]
	v_fma_f64 v[142:143], -v[142:143], v[163:164], v[161:162]
	s_delay_alu instid0(VALU_DEP_1) | instskip(NEXT) | instid1(VALU_DEP_1)
	v_div_fmas_f64 v[142:143], v[142:143], v[159:160], v[163:164]
	v_div_fixup_f64 v[142:143], v[142:143], v[140:141], 1.0
	s_delay_alu instid0(VALU_DEP_1)
	v_mul_f64 v[140:141], v[157:158], v[142:143]
	v_xor_b32_e32 v143, 0x80000000, v143
.LBB68_700:
	s_and_not1_saveexec_b32 s2, s2
	s_cbranch_execz .LBB68_702
; %bb.701:
	s_delay_alu instid0(VALU_DEP_1) | instskip(SKIP_1) | instid1(VALU_DEP_2)
	v_div_scale_f64 v[157:158], null, v[140:141], v[140:141], v[142:143]
	v_div_scale_f64 v[163:164], vcc_lo, v[142:143], v[140:141], v[142:143]
	v_rcp_f64_e32 v[159:160], v[157:158]
	s_waitcnt_depctr 0xfff
	v_fma_f64 v[161:162], -v[157:158], v[159:160], 1.0
	s_delay_alu instid0(VALU_DEP_1) | instskip(NEXT) | instid1(VALU_DEP_1)
	v_fma_f64 v[159:160], v[159:160], v[161:162], v[159:160]
	v_fma_f64 v[161:162], -v[157:158], v[159:160], 1.0
	s_delay_alu instid0(VALU_DEP_1) | instskip(NEXT) | instid1(VALU_DEP_1)
	v_fma_f64 v[159:160], v[159:160], v[161:162], v[159:160]
	v_mul_f64 v[161:162], v[163:164], v[159:160]
	s_delay_alu instid0(VALU_DEP_1) | instskip(NEXT) | instid1(VALU_DEP_1)
	v_fma_f64 v[157:158], -v[157:158], v[161:162], v[163:164]
	v_div_fmas_f64 v[157:158], v[157:158], v[159:160], v[161:162]
	s_delay_alu instid0(VALU_DEP_1) | instskip(NEXT) | instid1(VALU_DEP_1)
	v_div_fixup_f64 v[157:158], v[157:158], v[140:141], v[142:143]
	v_fma_f64 v[140:141], v[142:143], v[157:158], v[140:141]
	s_delay_alu instid0(VALU_DEP_1) | instskip(NEXT) | instid1(VALU_DEP_1)
	v_div_scale_f64 v[142:143], null, v[140:141], v[140:141], 1.0
	v_rcp_f64_e32 v[159:160], v[142:143]
	s_waitcnt_depctr 0xfff
	v_fma_f64 v[161:162], -v[142:143], v[159:160], 1.0
	s_delay_alu instid0(VALU_DEP_1) | instskip(NEXT) | instid1(VALU_DEP_1)
	v_fma_f64 v[159:160], v[159:160], v[161:162], v[159:160]
	v_fma_f64 v[161:162], -v[142:143], v[159:160], 1.0
	s_delay_alu instid0(VALU_DEP_1) | instskip(SKIP_1) | instid1(VALU_DEP_1)
	v_fma_f64 v[159:160], v[159:160], v[161:162], v[159:160]
	v_div_scale_f64 v[161:162], vcc_lo, 1.0, v[140:141], 1.0
	v_mul_f64 v[163:164], v[161:162], v[159:160]
	s_delay_alu instid0(VALU_DEP_1) | instskip(NEXT) | instid1(VALU_DEP_1)
	v_fma_f64 v[142:143], -v[142:143], v[163:164], v[161:162]
	v_div_fmas_f64 v[142:143], v[142:143], v[159:160], v[163:164]
	s_delay_alu instid0(VALU_DEP_1) | instskip(NEXT) | instid1(VALU_DEP_1)
	v_div_fixup_f64 v[140:141], v[142:143], v[140:141], 1.0
	v_mul_f64 v[142:143], v[157:158], -v[140:141]
.LBB68_702:
	s_or_b32 exec_lo, exec_lo, s2
.LBB68_703:
	s_delay_alu instid0(SALU_CYCLE_1) | instskip(NEXT) | instid1(SALU_CYCLE_1)
	s_or_b32 exec_lo, exec_lo, s3
	s_mov_b32 s2, exec_lo
	v_cmpx_ne_u32_e64 v156, v148
	s_xor_b32 s2, exec_lo, s2
	s_cbranch_execz .LBB68_709
; %bb.704:
	s_mov_b32 s3, exec_lo
	v_cmpx_eq_u32_e32 33, v156
	s_cbranch_execz .LBB68_708
; %bb.705:
	v_cmp_ne_u32_e32 vcc_lo, 33, v148
	s_xor_b32 s6, s4, -1
	s_delay_alu instid0(SALU_CYCLE_1) | instskip(NEXT) | instid1(SALU_CYCLE_1)
	s_and_b32 s7, s6, vcc_lo
	s_and_saveexec_b32 s6, s7
	s_cbranch_execz .LBB68_707
; %bb.706:
	v_ashrrev_i32_e32 v149, 31, v148
	s_delay_alu instid0(VALU_DEP_1) | instskip(NEXT) | instid1(VALU_DEP_1)
	v_lshlrev_b64 v[156:157], 2, v[148:149]
	v_add_co_u32 v156, vcc_lo, v146, v156
	s_delay_alu instid0(VALU_DEP_2)
	v_add_co_ci_u32_e32 v157, vcc_lo, v147, v157, vcc_lo
	s_clause 0x1
	flat_load_b32 v149, v[156:157]
	flat_load_b32 v154, v[146:147] offset:132
	s_waitcnt vmcnt(1) lgkmcnt(1)
	flat_store_b32 v[146:147], v149 offset:132
	s_waitcnt vmcnt(0) lgkmcnt(1)
	flat_store_b32 v[156:157], v154
.LBB68_707:
	s_or_b32 exec_lo, exec_lo, s6
	v_mov_b32_e32 v156, v148
	v_mov_b32_e32 v154, v148
.LBB68_708:
	s_or_b32 exec_lo, exec_lo, s3
.LBB68_709:
	s_and_not1_saveexec_b32 s2, s2
	s_cbranch_execz .LBB68_711
; %bb.710:
	v_mov_b32_e32 v156, 33
	ds_store_2addr_b64 v150, v[0:1], v[2:3] offset0:68 offset1:69
.LBB68_711:
	s_or_b32 exec_lo, exec_lo, s2
	s_delay_alu instid0(SALU_CYCLE_1)
	s_mov_b32 s2, exec_lo
	s_waitcnt lgkmcnt(0)
	s_waitcnt_vscnt null, 0x0
	s_barrier
	buffer_gl0_inv
	v_cmpx_lt_i32_e32 33, v156
	s_cbranch_execz .LBB68_713
; %bb.712:
	v_mul_f64 v[148:149], v[140:141], v[6:7]
	v_mul_f64 v[6:7], v[142:143], v[6:7]
	ds_load_2addr_b64 v[157:160], v150 offset0:68 offset1:69
	v_fma_f64 v[142:143], v[142:143], v[4:5], v[148:149]
	v_fma_f64 v[4:5], v[140:141], v[4:5], -v[6:7]
	s_waitcnt lgkmcnt(0)
	s_delay_alu instid0(VALU_DEP_2) | instskip(SKIP_1) | instid1(VALU_DEP_2)
	v_mul_f64 v[6:7], v[159:160], v[142:143]
	v_mul_f64 v[140:141], v[157:158], v[142:143]
	v_fma_f64 v[6:7], v[157:158], v[4:5], -v[6:7]
	s_delay_alu instid0(VALU_DEP_2) | instskip(NEXT) | instid1(VALU_DEP_2)
	v_fma_f64 v[140:141], v[159:160], v[4:5], v[140:141]
	v_add_f64 v[0:1], v[0:1], -v[6:7]
	s_delay_alu instid0(VALU_DEP_2)
	v_add_f64 v[2:3], v[2:3], -v[140:141]
	v_dual_mov_b32 v6, v142 :: v_dual_mov_b32 v7, v143
.LBB68_713:
	s_or_b32 exec_lo, exec_lo, s2
	v_lshl_add_u32 v140, v156, 4, v150
	s_barrier
	buffer_gl0_inv
	v_mov_b32_e32 v148, 34
	ds_store_2addr_b64 v140, v[0:1], v[2:3] offset1:1
	s_waitcnt lgkmcnt(0)
	s_barrier
	buffer_gl0_inv
	ds_load_2addr_b64 v[140:143], v150 offset0:68 offset1:69
	s_cmp_lt_i32 s5, 36
	s_cbranch_scc1 .LBB68_716
; %bb.714:
	v_add3_u32 v149, v155, 0, 0x230
	v_mov_b32_e32 v148, 34
	s_mov_b32 s6, 35
	s_set_inst_prefetch_distance 0x1
	.p2align	6
.LBB68_715:                             ; =>This Inner Loop Header: Depth=1
	ds_load_2addr_b64 v[157:160], v149 offset1:1
	s_waitcnt lgkmcnt(1)
	v_cmp_gt_f64_e32 vcc_lo, 0, v[140:141]
	v_xor_b32_e32 v150, 0x80000000, v141
	v_cmp_gt_f64_e64 s2, 0, v[142:143]
	v_xor_b32_e32 v155, 0x80000000, v143
	v_add_nc_u32_e32 v149, 16, v149
	s_waitcnt lgkmcnt(0)
	v_cmp_gt_f64_e64 s3, 0, v[157:158]
	v_mov_b32_e32 v165, v157
	v_dual_mov_b32 v167, v159 :: v_dual_cndmask_b32 v162, v141, v150
	v_xor_b32_e32 v150, 0x80000000, v158
	v_cndmask_b32_e64 v164, v143, v155, s2
	v_xor_b32_e32 v155, 0x80000000, v160
	v_cndmask_b32_e32 v161, v140, v140, vcc_lo
	v_cndmask_b32_e64 v163, v142, v142, s2
	s_delay_alu instid0(VALU_DEP_1) | instskip(SKIP_2) | instid1(VALU_DEP_1)
	v_add_f64 v[161:162], v[161:162], v[163:164]
	v_cndmask_b32_e64 v166, v158, v150, s3
	v_cmp_gt_f64_e64 s3, 0, v[159:160]
	v_cndmask_b32_e64 v168, v160, v155, s3
	s_delay_alu instid0(VALU_DEP_1) | instskip(NEXT) | instid1(VALU_DEP_1)
	v_add_f64 v[165:166], v[165:166], v[167:168]
	v_cmp_lt_f64_e32 vcc_lo, v[161:162], v[165:166]
	v_dual_cndmask_b32 v142, v142, v159 :: v_dual_cndmask_b32 v141, v141, v158
	v_dual_cndmask_b32 v140, v140, v157 :: v_dual_cndmask_b32 v143, v143, v160
	v_cndmask_b32_e64 v148, v148, s6, vcc_lo
	s_add_i32 s6, s6, 1
	s_delay_alu instid0(SALU_CYCLE_1)
	s_cmp_lg_u32 s5, s6
	s_cbranch_scc1 .LBB68_715
.LBB68_716:
	s_set_inst_prefetch_distance 0x2
	s_waitcnt lgkmcnt(0)
	v_cmp_eq_f64_e32 vcc_lo, 0, v[140:141]
	v_cmp_eq_f64_e64 s2, 0, v[142:143]
	s_delay_alu instid0(VALU_DEP_1) | instskip(NEXT) | instid1(SALU_CYCLE_1)
	s_and_b32 s2, vcc_lo, s2
	s_and_saveexec_b32 s3, s2
	s_delay_alu instid0(SALU_CYCLE_1)
	s_xor_b32 s2, exec_lo, s3
; %bb.717:
	v_cmp_ne_u32_e32 vcc_lo, 0, v153
	v_cndmask_b32_e32 v153, 35, v153, vcc_lo
; %bb.718:
	s_and_not1_saveexec_b32 s3, s2
	s_cbranch_execz .LBB68_724
; %bb.719:
	v_cmp_gt_f64_e32 vcc_lo, 0, v[140:141]
	v_cmp_gt_f64_e64 s2, 0, v[142:143]
	v_xor_b32_e32 v149, 0x80000000, v141
	v_xor_b32_e32 v155, 0x80000000, v143
	s_delay_alu instid0(VALU_DEP_2) | instskip(NEXT) | instid1(VALU_DEP_2)
	v_dual_cndmask_b32 v150, v141, v149 :: v_dual_cndmask_b32 v149, v140, v140
	v_cndmask_b32_e64 v158, v143, v155, s2
	v_cndmask_b32_e64 v157, v142, v142, s2
	s_mov_b32 s2, exec_lo
	s_delay_alu instid0(VALU_DEP_1)
	v_cmpx_ngt_f64_e32 v[149:150], v[157:158]
	s_xor_b32 s2, exec_lo, s2
	s_cbranch_execz .LBB68_721
; %bb.720:
	v_div_scale_f64 v[149:150], null, v[142:143], v[142:143], v[140:141]
	v_div_scale_f64 v[161:162], vcc_lo, v[140:141], v[142:143], v[140:141]
	s_delay_alu instid0(VALU_DEP_2) | instskip(SKIP_2) | instid1(VALU_DEP_1)
	v_rcp_f64_e32 v[157:158], v[149:150]
	s_waitcnt_depctr 0xfff
	v_fma_f64 v[159:160], -v[149:150], v[157:158], 1.0
	v_fma_f64 v[157:158], v[157:158], v[159:160], v[157:158]
	s_delay_alu instid0(VALU_DEP_1) | instskip(NEXT) | instid1(VALU_DEP_1)
	v_fma_f64 v[159:160], -v[149:150], v[157:158], 1.0
	v_fma_f64 v[157:158], v[157:158], v[159:160], v[157:158]
	s_delay_alu instid0(VALU_DEP_1) | instskip(NEXT) | instid1(VALU_DEP_1)
	v_mul_f64 v[159:160], v[161:162], v[157:158]
	v_fma_f64 v[149:150], -v[149:150], v[159:160], v[161:162]
	s_delay_alu instid0(VALU_DEP_1) | instskip(NEXT) | instid1(VALU_DEP_1)
	v_div_fmas_f64 v[149:150], v[149:150], v[157:158], v[159:160]
	v_div_fixup_f64 v[149:150], v[149:150], v[142:143], v[140:141]
	s_delay_alu instid0(VALU_DEP_1) | instskip(NEXT) | instid1(VALU_DEP_1)
	v_fma_f64 v[140:141], v[140:141], v[149:150], v[142:143]
	v_div_scale_f64 v[142:143], null, v[140:141], v[140:141], 1.0
	s_delay_alu instid0(VALU_DEP_1) | instskip(SKIP_2) | instid1(VALU_DEP_1)
	v_rcp_f64_e32 v[157:158], v[142:143]
	s_waitcnt_depctr 0xfff
	v_fma_f64 v[159:160], -v[142:143], v[157:158], 1.0
	v_fma_f64 v[157:158], v[157:158], v[159:160], v[157:158]
	s_delay_alu instid0(VALU_DEP_1) | instskip(NEXT) | instid1(VALU_DEP_1)
	v_fma_f64 v[159:160], -v[142:143], v[157:158], 1.0
	v_fma_f64 v[157:158], v[157:158], v[159:160], v[157:158]
	v_div_scale_f64 v[159:160], vcc_lo, 1.0, v[140:141], 1.0
	s_delay_alu instid0(VALU_DEP_1) | instskip(NEXT) | instid1(VALU_DEP_1)
	v_mul_f64 v[161:162], v[159:160], v[157:158]
	v_fma_f64 v[142:143], -v[142:143], v[161:162], v[159:160]
	s_delay_alu instid0(VALU_DEP_1) | instskip(NEXT) | instid1(VALU_DEP_1)
	v_div_fmas_f64 v[142:143], v[142:143], v[157:158], v[161:162]
	v_div_fixup_f64 v[142:143], v[142:143], v[140:141], 1.0
	s_delay_alu instid0(VALU_DEP_1)
	v_mul_f64 v[140:141], v[149:150], v[142:143]
	v_xor_b32_e32 v143, 0x80000000, v143
.LBB68_721:
	s_and_not1_saveexec_b32 s2, s2
	s_cbranch_execz .LBB68_723
; %bb.722:
	s_delay_alu instid0(VALU_DEP_1) | instskip(SKIP_1) | instid1(VALU_DEP_2)
	v_div_scale_f64 v[149:150], null, v[140:141], v[140:141], v[142:143]
	v_div_scale_f64 v[161:162], vcc_lo, v[142:143], v[140:141], v[142:143]
	v_rcp_f64_e32 v[157:158], v[149:150]
	s_waitcnt_depctr 0xfff
	v_fma_f64 v[159:160], -v[149:150], v[157:158], 1.0
	s_delay_alu instid0(VALU_DEP_1) | instskip(NEXT) | instid1(VALU_DEP_1)
	v_fma_f64 v[157:158], v[157:158], v[159:160], v[157:158]
	v_fma_f64 v[159:160], -v[149:150], v[157:158], 1.0
	s_delay_alu instid0(VALU_DEP_1) | instskip(NEXT) | instid1(VALU_DEP_1)
	v_fma_f64 v[157:158], v[157:158], v[159:160], v[157:158]
	v_mul_f64 v[159:160], v[161:162], v[157:158]
	s_delay_alu instid0(VALU_DEP_1) | instskip(NEXT) | instid1(VALU_DEP_1)
	v_fma_f64 v[149:150], -v[149:150], v[159:160], v[161:162]
	v_div_fmas_f64 v[149:150], v[149:150], v[157:158], v[159:160]
	s_delay_alu instid0(VALU_DEP_1) | instskip(NEXT) | instid1(VALU_DEP_1)
	v_div_fixup_f64 v[149:150], v[149:150], v[140:141], v[142:143]
	v_fma_f64 v[140:141], v[142:143], v[149:150], v[140:141]
	s_delay_alu instid0(VALU_DEP_1) | instskip(NEXT) | instid1(VALU_DEP_1)
	v_div_scale_f64 v[142:143], null, v[140:141], v[140:141], 1.0
	v_rcp_f64_e32 v[157:158], v[142:143]
	s_waitcnt_depctr 0xfff
	v_fma_f64 v[159:160], -v[142:143], v[157:158], 1.0
	s_delay_alu instid0(VALU_DEP_1) | instskip(NEXT) | instid1(VALU_DEP_1)
	v_fma_f64 v[157:158], v[157:158], v[159:160], v[157:158]
	v_fma_f64 v[159:160], -v[142:143], v[157:158], 1.0
	s_delay_alu instid0(VALU_DEP_1) | instskip(SKIP_1) | instid1(VALU_DEP_1)
	v_fma_f64 v[157:158], v[157:158], v[159:160], v[157:158]
	v_div_scale_f64 v[159:160], vcc_lo, 1.0, v[140:141], 1.0
	v_mul_f64 v[161:162], v[159:160], v[157:158]
	s_delay_alu instid0(VALU_DEP_1) | instskip(NEXT) | instid1(VALU_DEP_1)
	v_fma_f64 v[142:143], -v[142:143], v[161:162], v[159:160]
	v_div_fmas_f64 v[142:143], v[142:143], v[157:158], v[161:162]
	s_delay_alu instid0(VALU_DEP_1) | instskip(NEXT) | instid1(VALU_DEP_1)
	v_div_fixup_f64 v[140:141], v[142:143], v[140:141], 1.0
	v_mul_f64 v[142:143], v[149:150], -v[140:141]
.LBB68_723:
	s_or_b32 exec_lo, exec_lo, s2
.LBB68_724:
	s_delay_alu instid0(SALU_CYCLE_1)
	s_or_b32 exec_lo, exec_lo, s3
	v_mov_b32_e32 v149, 34
	s_mov_b32 s2, exec_lo
	v_cmpx_ne_u32_e64 v156, v148
	s_cbranch_execz .LBB68_730
; %bb.725:
	s_mov_b32 s3, exec_lo
	v_cmpx_eq_u32_e32 34, v156
	s_cbranch_execz .LBB68_729
; %bb.726:
	v_cmp_ne_u32_e32 vcc_lo, 34, v148
	s_xor_b32 s4, s4, -1
	s_delay_alu instid0(SALU_CYCLE_1) | instskip(NEXT) | instid1(SALU_CYCLE_1)
	s_and_b32 s5, s4, vcc_lo
	s_and_saveexec_b32 s4, s5
	s_cbranch_execz .LBB68_728
; %bb.727:
	v_ashrrev_i32_e32 v149, 31, v148
	s_delay_alu instid0(VALU_DEP_1) | instskip(NEXT) | instid1(VALU_DEP_1)
	v_lshlrev_b64 v[149:150], 2, v[148:149]
	v_add_co_u32 v149, vcc_lo, v146, v149
	s_delay_alu instid0(VALU_DEP_2)
	v_add_co_ci_u32_e32 v150, vcc_lo, v147, v150, vcc_lo
	s_clause 0x1
	flat_load_b32 v154, v[149:150]
	flat_load_b32 v155, v[146:147] offset:136
	s_waitcnt vmcnt(1) lgkmcnt(1)
	flat_store_b32 v[146:147], v154 offset:136
	s_waitcnt vmcnt(0) lgkmcnt(1)
	flat_store_b32 v[149:150], v155
.LBB68_728:
	s_or_b32 exec_lo, exec_lo, s4
	v_mov_b32_e32 v156, v148
	v_mov_b32_e32 v154, v148
.LBB68_729:
	s_or_b32 exec_lo, exec_lo, s3
	s_delay_alu instid0(VALU_DEP_2)
	v_mov_b32_e32 v149, v156
.LBB68_730:
	s_or_b32 exec_lo, exec_lo, s2
	s_delay_alu instid0(SALU_CYCLE_1)
	s_mov_b32 s2, exec_lo
	s_waitcnt lgkmcnt(0)
	s_waitcnt_vscnt null, 0x0
	s_barrier
	buffer_gl0_inv
	v_cmpx_lt_i32_e32 34, v149
; %bb.731:
	v_mul_f64 v[146:147], v[142:143], v[2:3]
	v_mul_f64 v[2:3], v[140:141], v[2:3]
	s_delay_alu instid0(VALU_DEP_2) | instskip(NEXT) | instid1(VALU_DEP_2)
	v_fma_f64 v[140:141], v[140:141], v[0:1], -v[146:147]
	v_fma_f64 v[2:3], v[142:143], v[0:1], v[2:3]
	s_delay_alu instid0(VALU_DEP_2)
	v_dual_mov_b32 v0, v140 :: v_dual_mov_b32 v1, v141
; %bb.732:
	s_or_b32 exec_lo, exec_lo, s2
	s_load_b256 s[0:7], s[0:1], 0x28
	v_ashrrev_i32_e32 v150, 31, v149
	s_mov_b32 s9, exec_lo
	s_waitcnt lgkmcnt(0)
	s_barrier
	buffer_gl0_inv
	v_cmpx_gt_i32_e32 35, v149
	s_cbranch_execz .LBB68_734
; %bb.733:
	v_mul_lo_u32 v142, v145, s4
	v_mul_lo_u32 v143, v144, s5
	v_mad_u64_u32 v[140:141], null, v144, s4, 0
	s_lshl_b64 s[2:3], s[2:3], 2
	s_delay_alu instid0(SALU_CYCLE_1) | instskip(SKIP_1) | instid1(VALU_DEP_1)
	s_add_u32 s0, s2, s0
	s_addc_u32 s1, s3, s1
	v_add3_u32 v141, v141, v143, v142
	v_lshlrev_b64 v[142:143], 2, v[149:150]
	s_delay_alu instid0(VALU_DEP_2) | instskip(NEXT) | instid1(VALU_DEP_1)
	v_lshlrev_b64 v[140:141], 2, v[140:141]
	v_add_co_u32 v140, vcc_lo, s0, v140
	s_delay_alu instid0(VALU_DEP_2) | instskip(NEXT) | instid1(VALU_DEP_2)
	v_add_co_ci_u32_e32 v141, vcc_lo, s1, v141, vcc_lo
	v_add_co_u32 v140, vcc_lo, v140, v142
	s_delay_alu instid0(VALU_DEP_2)
	v_add_co_ci_u32_e32 v141, vcc_lo, v141, v143, vcc_lo
	v_add3_u32 v142, v154, s13, 1
	global_store_b32 v[140:141], v142, off
.LBB68_734:
	s_or_b32 exec_lo, exec_lo, s9
	s_delay_alu instid0(SALU_CYCLE_1)
	s_mov_b32 s1, exec_lo
	v_cmpx_eq_u32_e32 0, v149
	s_cbranch_execz .LBB68_737
; %bb.735:
	v_lshlrev_b64 v[140:141], 2, v[144:145]
	v_cmp_lt_i32_e64 s0, 0, v153
	s_delay_alu instid0(VALU_DEP_2) | instskip(NEXT) | instid1(VALU_DEP_3)
	v_add_co_u32 v140, vcc_lo, s6, v140
	v_add_co_ci_u32_e32 v141, vcc_lo, s7, v141, vcc_lo
	global_load_b32 v142, v[140:141], off
	s_waitcnt vmcnt(0)
	v_cmp_eq_u32_e32 vcc_lo, 0, v142
	s_and_b32 s0, vcc_lo, s0
	s_delay_alu instid0(SALU_CYCLE_1)
	s_and_b32 exec_lo, exec_lo, s0
	s_cbranch_execz .LBB68_737
; %bb.736:
	v_add_nc_u32_e32 v142, s13, v153
	global_store_b32 v[140:141], v142, off
.LBB68_737:
	s_or_b32 exec_lo, exec_lo, s1
	v_add3_u32 v140, s8, s8, v149
	v_lshlrev_b64 v[142:143], 4, v[149:150]
	s_delay_alu instid0(VALU_DEP_2) | instskip(SKIP_1) | instid1(VALU_DEP_3)
	v_ashrrev_i32_e32 v141, 31, v140
	v_add_nc_u32_e32 v144, s8, v140
	v_add_co_u32 v142, vcc_lo, v151, v142
	s_delay_alu instid0(VALU_DEP_4) | instskip(NEXT) | instid1(VALU_DEP_4)
	v_add_co_ci_u32_e32 v143, vcc_lo, v152, v143, vcc_lo
	v_lshlrev_b64 v[140:141], 4, v[140:141]
	s_delay_alu instid0(VALU_DEP_3) | instskip(NEXT) | instid1(VALU_DEP_3)
	v_add_co_u32 v148, vcc_lo, v142, s10
	v_add_co_ci_u32_e32 v149, vcc_lo, s11, v143, vcc_lo
	v_add_nc_u32_e32 v146, s8, v144
	s_delay_alu instid0(VALU_DEP_4) | instskip(SKIP_2) | instid1(VALU_DEP_4)
	v_add_co_u32 v140, vcc_lo, v151, v140
	v_add_co_ci_u32_e32 v141, vcc_lo, v152, v141, vcc_lo
	v_ashrrev_i32_e32 v145, 31, v144
	v_ashrrev_i32_e32 v147, 31, v146
	s_clause 0x2
	global_store_b128 v[142:143], v[52:55], off
	global_store_b128 v[148:149], v[48:51], off
	;; [unrolled: 1-line block ×3, first 2 shown]
	v_add_nc_u32_e32 v50, s8, v146
	v_lshlrev_b64 v[52:53], 4, v[144:145]
	v_lshlrev_b64 v[48:49], 4, v[146:147]
	s_delay_alu instid0(VALU_DEP_3) | instskip(SKIP_1) | instid1(VALU_DEP_4)
	v_add_nc_u32_e32 v54, s8, v50
	v_ashrrev_i32_e32 v51, 31, v50
	v_add_co_u32 v52, vcc_lo, v151, v52
	v_add_co_ci_u32_e32 v53, vcc_lo, v152, v53, vcc_lo
	s_delay_alu instid0(VALU_DEP_4)
	v_add_nc_u32_e32 v128, s8, v54
	v_add_co_u32 v48, vcc_lo, v151, v48
	v_ashrrev_i32_e32 v55, 31, v54
	v_add_co_ci_u32_e32 v49, vcc_lo, v152, v49, vcc_lo
	v_lshlrev_b64 v[50:51], 4, v[50:51]
	v_ashrrev_i32_e32 v129, 31, v128
	s_clause 0x1
	global_store_b128 v[52:53], v[112:115], off
	global_store_b128 v[48:49], v[116:119], off
	v_lshlrev_b64 v[48:49], 4, v[54:55]
	v_add_nc_u32_e32 v54, s8, v128
	v_add_co_u32 v50, vcc_lo, v151, v50
	v_lshlrev_b64 v[52:53], 4, v[128:129]
	v_add_co_ci_u32_e32 v51, vcc_lo, v152, v51, vcc_lo
	v_add_co_u32 v48, vcc_lo, v151, v48
	v_add_co_ci_u32_e32 v49, vcc_lo, v152, v49, vcc_lo
	s_delay_alu instid0(VALU_DEP_4)
	v_add_co_u32 v52, vcc_lo, v151, v52
	v_add_nc_u32_e32 v112, s8, v54
	v_add_co_ci_u32_e32 v53, vcc_lo, v152, v53, vcc_lo
	v_ashrrev_i32_e32 v55, 31, v54
	global_store_b128 v[50:51], v[96:99], off
	v_ashrrev_i32_e32 v113, 31, v112
	s_clause 0x1
	global_store_b128 v[48:49], v[136:139], off
	global_store_b128 v[52:53], v[132:135], off
	v_add_nc_u32_e32 v52, s8, v112
	v_lshlrev_b64 v[50:51], 4, v[54:55]
	v_lshlrev_b64 v[48:49], 4, v[112:113]
	s_delay_alu instid0(VALU_DEP_3) | instskip(SKIP_1) | instid1(VALU_DEP_4)
	v_add_nc_u32_e32 v54, s8, v52
	v_ashrrev_i32_e32 v53, 31, v52
	v_add_co_u32 v50, vcc_lo, v151, v50
	v_add_co_ci_u32_e32 v51, vcc_lo, v152, v51, vcc_lo
	s_delay_alu instid0(VALU_DEP_4)
	v_add_nc_u32_e32 v96, s8, v54
	v_add_co_u32 v48, vcc_lo, v151, v48
	v_ashrrev_i32_e32 v55, 31, v54
	v_lshlrev_b64 v[52:53], 4, v[52:53]
	v_add_co_ci_u32_e32 v49, vcc_lo, v152, v49, vcc_lo
	v_ashrrev_i32_e32 v97, 31, v96
	s_clause 0x1
	global_store_b128 v[50:51], v[124:127], off
	global_store_b128 v[48:49], v[120:123], off
	v_lshlrev_b64 v[48:49], 4, v[54:55]
	v_add_co_u32 v50, vcc_lo, v151, v52
	v_add_co_ci_u32_e32 v51, vcc_lo, v152, v53, vcc_lo
	v_lshlrev_b64 v[52:53], 4, v[96:97]
	v_add_nc_u32_e32 v54, s8, v96
	v_add_co_u32 v48, vcc_lo, v151, v48
	v_add_co_ci_u32_e32 v49, vcc_lo, v152, v49, vcc_lo
	s_delay_alu instid0(VALU_DEP_4) | instskip(NEXT) | instid1(VALU_DEP_4)
	v_add_co_u32 v52, vcc_lo, v151, v52
	v_add_nc_u32_e32 v96, s8, v54
	v_add_co_ci_u32_e32 v53, vcc_lo, v152, v53, vcc_lo
	v_ashrrev_i32_e32 v55, 31, v54
	global_store_b128 v[50:51], v[108:111], off
	v_ashrrev_i32_e32 v97, 31, v96
	s_clause 0x1
	global_store_b128 v[48:49], v[104:107], off
	global_store_b128 v[52:53], v[100:103], off
	v_add_nc_u32_e32 v52, s8, v96
	v_lshlrev_b64 v[50:51], 4, v[54:55]
	v_lshlrev_b64 v[48:49], 4, v[96:97]
	s_delay_alu instid0(VALU_DEP_3) | instskip(SKIP_1) | instid1(VALU_DEP_4)
	v_add_nc_u32_e32 v54, s8, v52
	v_ashrrev_i32_e32 v53, 31, v52
	v_add_co_u32 v50, vcc_lo, v151, v50
	v_add_co_ci_u32_e32 v51, vcc_lo, v152, v51, vcc_lo
	s_delay_alu instid0(VALU_DEP_4)
	v_add_nc_u32_e32 v96, s8, v54
	v_add_co_u32 v48, vcc_lo, v151, v48
	v_ashrrev_i32_e32 v55, 31, v54
	v_lshlrev_b64 v[52:53], 4, v[52:53]
	v_add_co_ci_u32_e32 v49, vcc_lo, v152, v49, vcc_lo
	v_ashrrev_i32_e32 v97, 31, v96
	s_clause 0x1
	global_store_b128 v[50:51], v[92:95], off
	global_store_b128 v[48:49], v[88:91], off
	v_lshlrev_b64 v[48:49], 4, v[54:55]
	v_add_co_u32 v50, vcc_lo, v151, v52
	v_add_co_ci_u32_e32 v51, vcc_lo, v152, v53, vcc_lo
	v_lshlrev_b64 v[52:53], 4, v[96:97]
	v_add_nc_u32_e32 v54, s8, v96
	v_add_co_u32 v48, vcc_lo, v151, v48
	v_add_co_ci_u32_e32 v49, vcc_lo, v152, v49, vcc_lo
	s_delay_alu instid0(VALU_DEP_4) | instskip(NEXT) | instid1(VALU_DEP_4)
	;; [unrolled: 35-line block ×3, first 2 shown]
	v_add_co_u32 v52, vcc_lo, v151, v52
	v_add_nc_u32_e32 v68, s8, v54
	v_add_co_ci_u32_e32 v53, vcc_lo, v152, v53, vcc_lo
	v_ashrrev_i32_e32 v55, 31, v54
	global_store_b128 v[50:51], v[64:67], off
	v_ashrrev_i32_e32 v69, 31, v68
	s_clause 0x1
	global_store_b128 v[48:49], v[60:63], off
	global_store_b128 v[52:53], v[56:59], off
	v_add_nc_u32_e32 v52, s8, v68
	v_lshlrev_b64 v[50:51], 4, v[54:55]
	v_lshlrev_b64 v[48:49], 4, v[68:69]
	s_delay_alu instid0(VALU_DEP_3) | instskip(SKIP_1) | instid1(VALU_DEP_4)
	v_add_nc_u32_e32 v54, s8, v52
	v_ashrrev_i32_e32 v53, 31, v52
	v_add_co_u32 v50, vcc_lo, v151, v50
	v_add_co_ci_u32_e32 v51, vcc_lo, v152, v51, vcc_lo
	s_delay_alu instid0(VALU_DEP_4)
	v_add_nc_u32_e32 v56, s8, v54
	v_add_co_u32 v48, vcc_lo, v151, v48
	v_ashrrev_i32_e32 v55, 31, v54
	v_add_co_ci_u32_e32 v49, vcc_lo, v152, v49, vcc_lo
	v_lshlrev_b64 v[52:53], 4, v[52:53]
	v_ashrrev_i32_e32 v57, 31, v56
	s_clause 0x1
	global_store_b128 v[50:51], v[44:47], off
	global_store_b128 v[48:49], v[40:43], off
	v_lshlrev_b64 v[40:41], 4, v[54:55]
	v_add_nc_u32_e32 v46, s8, v56
	v_add_co_u32 v42, vcc_lo, v151, v52
	v_lshlrev_b64 v[44:45], 4, v[56:57]
	v_add_co_ci_u32_e32 v43, vcc_lo, v152, v53, vcc_lo
	v_add_co_u32 v40, vcc_lo, v151, v40
	v_add_nc_u32_e32 v48, s8, v46
	v_add_co_ci_u32_e32 v41, vcc_lo, v152, v41, vcc_lo
	v_ashrrev_i32_e32 v47, 31, v46
	v_add_co_u32 v44, vcc_lo, v151, v44
	v_add_co_ci_u32_e32 v45, vcc_lo, v152, v45, vcc_lo
	v_ashrrev_i32_e32 v49, 31, v48
	global_store_b128 v[42:43], v[36:39], off
	v_lshlrev_b64 v[36:37], 4, v[46:47]
	s_clause 0x1
	global_store_b128 v[40:41], v[32:35], off
	global_store_b128 v[44:45], v[28:31], off
	v_add_nc_u32_e32 v30, s8, v48
	v_lshlrev_b64 v[28:29], 4, v[48:49]
	v_add_co_u32 v32, vcc_lo, v151, v36
	s_delay_alu instid0(VALU_DEP_3) | instskip(SKIP_1) | instid1(VALU_DEP_4)
	v_add_nc_u32_e32 v34, s8, v30
	v_add_co_ci_u32_e32 v33, vcc_lo, v152, v37, vcc_lo
	v_add_co_u32 v28, vcc_lo, v151, v28
	v_add_co_ci_u32_e32 v29, vcc_lo, v152, v29, vcc_lo
	s_delay_alu instid0(VALU_DEP_4)
	v_add_nc_u32_e32 v36, s8, v34
	v_ashrrev_i32_e32 v31, 31, v30
	s_clause 0x1
	global_store_b128 v[32:33], v[24:27], off
	global_store_b128 v[28:29], v[20:23], off
	v_ashrrev_i32_e32 v35, 31, v34
	v_add_nc_u32_e32 v22, s8, v36
	v_lshlrev_b64 v[24:25], 4, v[30:31]
	v_ashrrev_i32_e32 v37, 31, v36
	s_delay_alu instid0(VALU_DEP_4) | instskip(NEXT) | instid1(VALU_DEP_4)
	v_lshlrev_b64 v[20:21], 4, v[34:35]
	v_add_nc_u32_e32 v28, s8, v22
	v_ashrrev_i32_e32 v23, 31, v22
	v_add_co_u32 v24, vcc_lo, v151, v24
	v_lshlrev_b64 v[26:27], 4, v[36:37]
	s_delay_alu instid0(VALU_DEP_4)
	v_ashrrev_i32_e32 v29, 31, v28
	v_add_co_ci_u32_e32 v25, vcc_lo, v152, v25, vcc_lo
	v_add_co_u32 v20, vcc_lo, v151, v20
	v_lshlrev_b64 v[22:23], 4, v[22:23]
	v_add_co_ci_u32_e32 v21, vcc_lo, v152, v21, vcc_lo
	v_add_co_u32 v26, vcc_lo, v151, v26
	v_lshlrev_b64 v[28:29], 4, v[28:29]
	v_add_co_ci_u32_e32 v27, vcc_lo, v152, v27, vcc_lo
	v_add_co_u32 v22, vcc_lo, v151, v22
	v_add_co_ci_u32_e32 v23, vcc_lo, v152, v23, vcc_lo
	s_delay_alu instid0(VALU_DEP_4)
	v_add_co_u32 v28, vcc_lo, v151, v28
	v_add_co_ci_u32_e32 v29, vcc_lo, v152, v29, vcc_lo
	s_clause 0x4
	global_store_b128 v[24:25], v[16:19], off
	global_store_b128 v[20:21], v[12:15], off
	;; [unrolled: 1-line block ×5, first 2 shown]
.LBB68_738:
	s_nop 0
	s_sendmsg sendmsg(MSG_DEALLOC_VGPRS)
	s_endpgm
	.section	.rodata,"a",@progbits
	.p2align	6, 0x0
	.amdhsa_kernel _ZN9rocsolver6v33100L18getf2_small_kernelILi35E19rocblas_complex_numIdEiiPKPS3_EEvT1_T3_lS7_lPS7_llPT2_S7_S7_S9_l
		.amdhsa_group_segment_fixed_size 0
		.amdhsa_private_segment_fixed_size 0
		.amdhsa_kernarg_size 352
		.amdhsa_user_sgpr_count 14
		.amdhsa_user_sgpr_dispatch_ptr 0
		.amdhsa_user_sgpr_queue_ptr 0
		.amdhsa_user_sgpr_kernarg_segment_ptr 1
		.amdhsa_user_sgpr_dispatch_id 0
		.amdhsa_user_sgpr_private_segment_size 0
		.amdhsa_wavefront_size32 1
		.amdhsa_uses_dynamic_stack 0
		.amdhsa_enable_private_segment 0
		.amdhsa_system_sgpr_workgroup_id_x 1
		.amdhsa_system_sgpr_workgroup_id_y 1
		.amdhsa_system_sgpr_workgroup_id_z 0
		.amdhsa_system_sgpr_workgroup_info 0
		.amdhsa_system_vgpr_workitem_id 1
		.amdhsa_next_free_vgpr 247
		.amdhsa_next_free_sgpr 16
		.amdhsa_reserve_vcc 1
		.amdhsa_float_round_mode_32 0
		.amdhsa_float_round_mode_16_64 0
		.amdhsa_float_denorm_mode_32 3
		.amdhsa_float_denorm_mode_16_64 3
		.amdhsa_dx10_clamp 1
		.amdhsa_ieee_mode 1
		.amdhsa_fp16_overflow 0
		.amdhsa_workgroup_processor_mode 1
		.amdhsa_memory_ordered 1
		.amdhsa_forward_progress 0
		.amdhsa_shared_vgpr_count 0
		.amdhsa_exception_fp_ieee_invalid_op 0
		.amdhsa_exception_fp_denorm_src 0
		.amdhsa_exception_fp_ieee_div_zero 0
		.amdhsa_exception_fp_ieee_overflow 0
		.amdhsa_exception_fp_ieee_underflow 0
		.amdhsa_exception_fp_ieee_inexact 0
		.amdhsa_exception_int_div_zero 0
	.end_amdhsa_kernel
	.section	.text._ZN9rocsolver6v33100L18getf2_small_kernelILi35E19rocblas_complex_numIdEiiPKPS3_EEvT1_T3_lS7_lPS7_llPT2_S7_S7_S9_l,"axG",@progbits,_ZN9rocsolver6v33100L18getf2_small_kernelILi35E19rocblas_complex_numIdEiiPKPS3_EEvT1_T3_lS7_lPS7_llPT2_S7_S7_S9_l,comdat
.Lfunc_end68:
	.size	_ZN9rocsolver6v33100L18getf2_small_kernelILi35E19rocblas_complex_numIdEiiPKPS3_EEvT1_T3_lS7_lPS7_llPT2_S7_S7_S9_l, .Lfunc_end68-_ZN9rocsolver6v33100L18getf2_small_kernelILi35E19rocblas_complex_numIdEiiPKPS3_EEvT1_T3_lS7_lPS7_llPT2_S7_S7_S9_l
                                        ; -- End function
	.section	.AMDGPU.csdata,"",@progbits
; Kernel info:
; codeLenInByte = 88344
; NumSgprs: 18
; NumVgprs: 247
; ScratchSize: 0
; MemoryBound: 0
; FloatMode: 240
; IeeeMode: 1
; LDSByteSize: 0 bytes/workgroup (compile time only)
; SGPRBlocks: 2
; VGPRBlocks: 30
; NumSGPRsForWavesPerEU: 18
; NumVGPRsForWavesPerEU: 247
; Occupancy: 5
; WaveLimiterHint : 1
; COMPUTE_PGM_RSRC2:SCRATCH_EN: 0
; COMPUTE_PGM_RSRC2:USER_SGPR: 14
; COMPUTE_PGM_RSRC2:TRAP_HANDLER: 0
; COMPUTE_PGM_RSRC2:TGID_X_EN: 1
; COMPUTE_PGM_RSRC2:TGID_Y_EN: 1
; COMPUTE_PGM_RSRC2:TGID_Z_EN: 0
; COMPUTE_PGM_RSRC2:TIDIG_COMP_CNT: 1
	.section	.text._ZN9rocsolver6v33100L23getf2_npvt_small_kernelILi35E19rocblas_complex_numIdEiiPKPS3_EEvT1_T3_lS7_lPT2_S7_S7_,"axG",@progbits,_ZN9rocsolver6v33100L23getf2_npvt_small_kernelILi35E19rocblas_complex_numIdEiiPKPS3_EEvT1_T3_lS7_lPT2_S7_S7_,comdat
	.globl	_ZN9rocsolver6v33100L23getf2_npvt_small_kernelILi35E19rocblas_complex_numIdEiiPKPS3_EEvT1_T3_lS7_lPT2_S7_S7_ ; -- Begin function _ZN9rocsolver6v33100L23getf2_npvt_small_kernelILi35E19rocblas_complex_numIdEiiPKPS3_EEvT1_T3_lS7_lPT2_S7_S7_
	.p2align	8
	.type	_ZN9rocsolver6v33100L23getf2_npvt_small_kernelILi35E19rocblas_complex_numIdEiiPKPS3_EEvT1_T3_lS7_lPT2_S7_S7_,@function
_ZN9rocsolver6v33100L23getf2_npvt_small_kernelILi35E19rocblas_complex_numIdEiiPKPS3_EEvT1_T3_lS7_lPT2_S7_S7_: ; @_ZN9rocsolver6v33100L23getf2_npvt_small_kernelILi35E19rocblas_complex_numIdEiiPKPS3_EEvT1_T3_lS7_lPT2_S7_S7_
; %bb.0:
	s_clause 0x1
	s_load_b32 s2, s[0:1], 0x44
	s_load_b64 s[10:11], s[0:1], 0x30
	v_bfe_u32 v140, v0, 10, 10
	s_waitcnt lgkmcnt(0)
	s_lshr_b32 s8, s2, 16
	s_mov_b32 s2, exec_lo
	s_delay_alu instid0(VALU_DEP_1) | instskip(NEXT) | instid1(VALU_DEP_1)
	v_mad_u64_u32 v[164:165], null, s15, s8, v[140:141]
	v_cmpx_gt_i32_e64 s10, v164
	s_cbranch_execz .LBB69_320
; %bb.1:
	s_clause 0x1
	s_load_b128 s[4:7], s[0:1], 0x8
	s_load_b32 s2, s[0:1], 0x18
	v_ashrrev_i32_e32 v165, 31, v164
	v_and_b32_e32 v170, 0x3ff, v0
	v_lshlrev_b32_e32 v141, 4, v140
	s_mulk_i32 s8, 0x230
	v_mad_u32_u24 v172, 0x230, v140, 0
	v_lshlrev_b64 v[1:2], 3, v[164:165]
	v_lshlrev_b32_e32 v69, 4, v170
	v_add3_u32 v171, 0, s8, v141
	s_waitcnt lgkmcnt(0)
	s_delay_alu instid0(VALU_DEP_3) | instskip(NEXT) | instid1(VALU_DEP_4)
	v_add_co_u32 v1, vcc_lo, s4, v1
	v_add_co_ci_u32_e32 v2, vcc_lo, s5, v2, vcc_lo
	v_add3_u32 v3, s2, s2, v170
	s_lshl_b64 s[6:7], s[6:7], 4
	s_ashr_i32 s3, s2, 31
	global_load_b64 v[1:2], v[1:2], off
	s_lshl_b64 s[4:5], s[2:3], 4
	v_add_nc_u32_e32 v5, s2, v3
	v_ashrrev_i32_e32 v4, 31, v3
	v_cmp_ne_u32_e64 s3, 0, v170
	s_delay_alu instid0(VALU_DEP_3) | instskip(SKIP_1) | instid1(VALU_DEP_4)
	v_add_nc_u32_e32 v7, s2, v5
	v_ashrrev_i32_e32 v6, 31, v5
	v_lshlrev_b64 v[3:4], 4, v[3:4]
	s_delay_alu instid0(VALU_DEP_3) | instskip(SKIP_1) | instid1(VALU_DEP_4)
	v_add_nc_u32_e32 v9, s2, v7
	v_ashrrev_i32_e32 v8, 31, v7
	v_lshlrev_b64 v[5:6], 4, v[5:6]
	s_delay_alu instid0(VALU_DEP_3) | instskip(SKIP_1) | instid1(VALU_DEP_4)
	v_add_nc_u32_e32 v11, s2, v9
	v_ashrrev_i32_e32 v10, 31, v9
	v_lshlrev_b64 v[7:8], 4, v[7:8]
	s_delay_alu instid0(VALU_DEP_3) | instskip(SKIP_1) | instid1(VALU_DEP_4)
	v_add_nc_u32_e32 v13, s2, v11
	v_ashrrev_i32_e32 v12, 31, v11
	v_lshlrev_b64 v[9:10], 4, v[9:10]
	s_delay_alu instid0(VALU_DEP_3) | instskip(SKIP_1) | instid1(VALU_DEP_4)
	v_add_nc_u32_e32 v15, s2, v13
	v_ashrrev_i32_e32 v14, 31, v13
	v_lshlrev_b64 v[11:12], 4, v[11:12]
	s_delay_alu instid0(VALU_DEP_3) | instskip(SKIP_1) | instid1(VALU_DEP_4)
	v_add_nc_u32_e32 v17, s2, v15
	v_ashrrev_i32_e32 v16, 31, v15
	v_lshlrev_b64 v[13:14], 4, v[13:14]
	s_delay_alu instid0(VALU_DEP_3) | instskip(SKIP_1) | instid1(VALU_DEP_4)
	v_add_nc_u32_e32 v19, s2, v17
	v_ashrrev_i32_e32 v18, 31, v17
	v_lshlrev_b64 v[15:16], 4, v[15:16]
	s_delay_alu instid0(VALU_DEP_3) | instskip(SKIP_1) | instid1(VALU_DEP_4)
	v_add_nc_u32_e32 v21, s2, v19
	v_ashrrev_i32_e32 v20, 31, v19
	v_lshlrev_b64 v[17:18], 4, v[17:18]
	s_delay_alu instid0(VALU_DEP_3) | instskip(SKIP_1) | instid1(VALU_DEP_4)
	v_add_nc_u32_e32 v23, s2, v21
	v_ashrrev_i32_e32 v22, 31, v21
	v_lshlrev_b64 v[19:20], 4, v[19:20]
	s_delay_alu instid0(VALU_DEP_3) | instskip(SKIP_1) | instid1(VALU_DEP_4)
	v_add_nc_u32_e32 v25, s2, v23
	v_ashrrev_i32_e32 v24, 31, v23
	v_lshlrev_b64 v[21:22], 4, v[21:22]
	s_delay_alu instid0(VALU_DEP_3) | instskip(SKIP_1) | instid1(VALU_DEP_4)
	v_add_nc_u32_e32 v27, s2, v25
	v_ashrrev_i32_e32 v26, 31, v25
	v_lshlrev_b64 v[23:24], 4, v[23:24]
	s_delay_alu instid0(VALU_DEP_3) | instskip(SKIP_1) | instid1(VALU_DEP_4)
	v_add_nc_u32_e32 v29, s2, v27
	v_ashrrev_i32_e32 v28, 31, v27
	v_lshlrev_b64 v[25:26], 4, v[25:26]
	s_delay_alu instid0(VALU_DEP_3) | instskip(SKIP_1) | instid1(VALU_DEP_4)
	v_add_nc_u32_e32 v31, s2, v29
	v_ashrrev_i32_e32 v30, 31, v29
	v_lshlrev_b64 v[27:28], 4, v[27:28]
	s_delay_alu instid0(VALU_DEP_3) | instskip(SKIP_1) | instid1(VALU_DEP_4)
	v_add_nc_u32_e32 v33, s2, v31
	v_ashrrev_i32_e32 v32, 31, v31
	v_lshlrev_b64 v[29:30], 4, v[29:30]
	s_delay_alu instid0(VALU_DEP_3) | instskip(SKIP_1) | instid1(VALU_DEP_4)
	v_add_nc_u32_e32 v35, s2, v33
	v_ashrrev_i32_e32 v34, 31, v33
	v_lshlrev_b64 v[31:32], 4, v[31:32]
	s_delay_alu instid0(VALU_DEP_3) | instskip(SKIP_1) | instid1(VALU_DEP_4)
	v_add_nc_u32_e32 v37, s2, v35
	v_ashrrev_i32_e32 v36, 31, v35
	v_lshlrev_b64 v[33:34], 4, v[33:34]
	s_delay_alu instid0(VALU_DEP_3) | instskip(SKIP_1) | instid1(VALU_DEP_4)
	v_add_nc_u32_e32 v39, s2, v37
	v_ashrrev_i32_e32 v38, 31, v37
	v_lshlrev_b64 v[35:36], 4, v[35:36]
	s_delay_alu instid0(VALU_DEP_3) | instskip(SKIP_1) | instid1(VALU_DEP_4)
	v_add_nc_u32_e32 v41, s2, v39
	v_ashrrev_i32_e32 v40, 31, v39
	v_lshlrev_b64 v[37:38], 4, v[37:38]
	s_delay_alu instid0(VALU_DEP_3) | instskip(SKIP_1) | instid1(VALU_DEP_4)
	v_add_nc_u32_e32 v43, s2, v41
	v_ashrrev_i32_e32 v42, 31, v41
	v_lshlrev_b64 v[39:40], 4, v[39:40]
	s_delay_alu instid0(VALU_DEP_3) | instskip(SKIP_1) | instid1(VALU_DEP_4)
	v_add_nc_u32_e32 v45, s2, v43
	v_ashrrev_i32_e32 v44, 31, v43
	v_lshlrev_b64 v[41:42], 4, v[41:42]
	s_delay_alu instid0(VALU_DEP_3) | instskip(SKIP_1) | instid1(VALU_DEP_4)
	v_add_nc_u32_e32 v47, s2, v45
	v_ashrrev_i32_e32 v46, 31, v45
	v_lshlrev_b64 v[43:44], 4, v[43:44]
	s_delay_alu instid0(VALU_DEP_3) | instskip(SKIP_1) | instid1(VALU_DEP_4)
	v_add_nc_u32_e32 v49, s2, v47
	v_ashrrev_i32_e32 v48, 31, v47
	v_lshlrev_b64 v[45:46], 4, v[45:46]
	s_delay_alu instid0(VALU_DEP_3) | instskip(SKIP_1) | instid1(VALU_DEP_4)
	v_add_nc_u32_e32 v51, s2, v49
	v_ashrrev_i32_e32 v50, 31, v49
	v_lshlrev_b64 v[47:48], 4, v[47:48]
	s_delay_alu instid0(VALU_DEP_3) | instskip(SKIP_1) | instid1(VALU_DEP_4)
	v_add_nc_u32_e32 v53, s2, v51
	v_ashrrev_i32_e32 v52, 31, v51
	v_lshlrev_b64 v[49:50], 4, v[49:50]
	s_delay_alu instid0(VALU_DEP_3) | instskip(SKIP_1) | instid1(VALU_DEP_4)
	v_add_nc_u32_e32 v55, s2, v53
	v_ashrrev_i32_e32 v54, 31, v53
	v_lshlrev_b64 v[51:52], 4, v[51:52]
	s_delay_alu instid0(VALU_DEP_3) | instskip(SKIP_1) | instid1(VALU_DEP_4)
	v_add_nc_u32_e32 v57, s2, v55
	v_ashrrev_i32_e32 v56, 31, v55
	v_lshlrev_b64 v[53:54], 4, v[53:54]
	s_delay_alu instid0(VALU_DEP_3) | instskip(SKIP_1) | instid1(VALU_DEP_4)
	v_add_nc_u32_e32 v59, s2, v57
	v_ashrrev_i32_e32 v58, 31, v57
	v_lshlrev_b64 v[55:56], 4, v[55:56]
	s_delay_alu instid0(VALU_DEP_3) | instskip(SKIP_1) | instid1(VALU_DEP_4)
	v_add_nc_u32_e32 v61, s2, v59
	v_ashrrev_i32_e32 v60, 31, v59
	v_lshlrev_b64 v[57:58], 4, v[57:58]
	s_delay_alu instid0(VALU_DEP_3) | instskip(SKIP_1) | instid1(VALU_DEP_4)
	v_add_nc_u32_e32 v63, s2, v61
	v_ashrrev_i32_e32 v62, 31, v61
	v_lshlrev_b64 v[59:60], 4, v[59:60]
	s_delay_alu instid0(VALU_DEP_3) | instskip(SKIP_1) | instid1(VALU_DEP_4)
	v_add_nc_u32_e32 v65, s2, v63
	v_ashrrev_i32_e32 v64, 31, v63
	v_lshlrev_b64 v[61:62], 4, v[61:62]
	s_delay_alu instid0(VALU_DEP_3) | instskip(SKIP_1) | instid1(VALU_DEP_4)
	v_add_nc_u32_e32 v67, s2, v65
	v_ashrrev_i32_e32 v66, 31, v65
	v_lshlrev_b64 v[63:64], 4, v[63:64]
	v_cmp_eq_u32_e64 s2, 0, v170
	s_delay_alu instid0(VALU_DEP_4) | instskip(NEXT) | instid1(VALU_DEP_4)
	v_ashrrev_i32_e32 v68, 31, v67
	v_lshlrev_b64 v[65:66], 4, v[65:66]
	s_waitcnt vmcnt(0)
	v_add_co_u32 v70, vcc_lo, v1, s6
	v_add_co_ci_u32_e32 v2, vcc_lo, s7, v2, vcc_lo
	v_lshlrev_b64 v[0:1], 4, v[67:68]
	s_delay_alu instid0(VALU_DEP_3) | instskip(NEXT) | instid1(VALU_DEP_3)
	v_add_co_u32 v207, vcc_lo, v70, v69
	v_add_co_ci_u32_e32 v208, vcc_lo, 0, v2, vcc_lo
	v_add_co_u32 v212, vcc_lo, v70, v3
	v_add_co_ci_u32_e32 v213, vcc_lo, v2, v4, vcc_lo
	;; [unrolled: 2-line block ×32, first 2 shown]
	v_add_co_u32 v177, vcc_lo, v70, v65
	s_clause 0xe
	global_load_b128 v[128:131], v[212:213], off
	global_load_b128 v[124:127], v[203:204], off
	;; [unrolled: 1-line block ×15, first 2 shown]
	v_add_co_ci_u32_e32 v178, vcc_lo, v2, v66, vcc_lo
	v_add_co_u32 v173, vcc_lo, v70, v0
	v_add_co_ci_u32_e32 v174, vcc_lo, v2, v1, vcc_lo
	v_add_co_u32 v214, vcc_lo, v207, s4
	v_add_co_ci_u32_e32 v215, vcc_lo, s5, v208, vcc_lo
	s_clause 0xe
	scratch_store_b64 off, v[31:32], off offset:112
	scratch_store_b64 off, v[29:30], off offset:104
	;; [unrolled: 1-line block ×14, first 2 shown]
	scratch_store_b64 off, v[3:4], off
	s_clause 0x13
	global_load_b128 v[68:71], v[31:32], off
	global_load_b128 v[64:67], v[29:30], off
	;; [unrolled: 1-line block ×20, first 2 shown]
	s_and_saveexec_b32 s5, s2
	s_cbranch_execz .LBB69_8
; %bb.2:
	s_waitcnt vmcnt(2)
	ds_store_2addr_b64 v171, v[136:137], v[138:139] offset1:1
	s_waitcnt vmcnt(1)
	ds_store_2addr_b64 v172, v[132:133], v[134:135] offset0:2 offset1:3
	ds_store_2addr_b64 v172, v[128:129], v[130:131] offset0:4 offset1:5
	;; [unrolled: 1-line block ×33, first 2 shown]
	s_waitcnt vmcnt(0)
	ds_store_2addr_b64 v172, v[0:1], v[2:3] offset0:68 offset1:69
	ds_load_2addr_b64 v[140:143], v171 offset1:1
	s_waitcnt lgkmcnt(0)
	v_cmp_neq_f64_e32 vcc_lo, 0, v[140:141]
	v_cmp_neq_f64_e64 s4, 0, v[142:143]
	s_delay_alu instid0(VALU_DEP_1) | instskip(NEXT) | instid1(SALU_CYCLE_1)
	s_or_b32 s4, vcc_lo, s4
	s_and_b32 exec_lo, exec_lo, s4
	s_cbranch_execz .LBB69_8
; %bb.3:
	v_cmp_gt_f64_e32 vcc_lo, 0, v[140:141]
	v_cmp_gt_f64_e64 s4, 0, v[142:143]
	v_xor_b32_e32 v144, 0x80000000, v141
	v_xor_b32_e32 v146, 0x80000000, v143
                                        ; implicit-def: $vgpr148_vgpr149
	s_delay_alu instid0(VALU_DEP_2) | instskip(NEXT) | instid1(VALU_DEP_2)
	v_cndmask_b32_e32 v145, v141, v144, vcc_lo
	v_cndmask_b32_e64 v147, v143, v146, s4
	v_cndmask_b32_e32 v144, v140, v140, vcc_lo
	v_cndmask_b32_e64 v146, v142, v142, s4
	s_mov_b32 s4, exec_lo
	s_delay_alu instid0(VALU_DEP_1)
	v_cmpx_ngt_f64_e32 v[144:145], v[146:147]
	s_xor_b32 s4, exec_lo, s4
                                        ; implicit-def: $vgpr144_vgpr145_vgpr146_vgpr147
	s_cbranch_execz .LBB69_5
; %bb.4:
	v_div_scale_f64 v[144:145], null, v[142:143], v[142:143], v[140:141]
	v_div_scale_f64 v[150:151], vcc_lo, v[140:141], v[142:143], v[140:141]
	s_delay_alu instid0(VALU_DEP_2) | instskip(SKIP_2) | instid1(VALU_DEP_1)
	v_rcp_f64_e32 v[146:147], v[144:145]
	s_waitcnt_depctr 0xfff
	v_fma_f64 v[148:149], -v[144:145], v[146:147], 1.0
	v_fma_f64 v[146:147], v[146:147], v[148:149], v[146:147]
	s_delay_alu instid0(VALU_DEP_1) | instskip(NEXT) | instid1(VALU_DEP_1)
	v_fma_f64 v[148:149], -v[144:145], v[146:147], 1.0
	v_fma_f64 v[146:147], v[146:147], v[148:149], v[146:147]
	s_delay_alu instid0(VALU_DEP_1) | instskip(NEXT) | instid1(VALU_DEP_1)
	v_mul_f64 v[148:149], v[150:151], v[146:147]
	v_fma_f64 v[144:145], -v[144:145], v[148:149], v[150:151]
	s_delay_alu instid0(VALU_DEP_1) | instskip(NEXT) | instid1(VALU_DEP_1)
	v_div_fmas_f64 v[144:145], v[144:145], v[146:147], v[148:149]
	v_div_fixup_f64 v[144:145], v[144:145], v[142:143], v[140:141]
	s_delay_alu instid0(VALU_DEP_1) | instskip(NEXT) | instid1(VALU_DEP_1)
	v_fma_f64 v[140:141], v[140:141], v[144:145], v[142:143]
	v_div_scale_f64 v[142:143], null, v[140:141], v[140:141], 1.0
	s_delay_alu instid0(VALU_DEP_1) | instskip(SKIP_2) | instid1(VALU_DEP_1)
	v_rcp_f64_e32 v[146:147], v[142:143]
	s_waitcnt_depctr 0xfff
	v_fma_f64 v[148:149], -v[142:143], v[146:147], 1.0
	v_fma_f64 v[146:147], v[146:147], v[148:149], v[146:147]
	s_delay_alu instid0(VALU_DEP_1) | instskip(NEXT) | instid1(VALU_DEP_1)
	v_fma_f64 v[148:149], -v[142:143], v[146:147], 1.0
	v_fma_f64 v[146:147], v[146:147], v[148:149], v[146:147]
	v_div_scale_f64 v[148:149], vcc_lo, 1.0, v[140:141], 1.0
	s_delay_alu instid0(VALU_DEP_1) | instskip(NEXT) | instid1(VALU_DEP_1)
	v_mul_f64 v[150:151], v[148:149], v[146:147]
	v_fma_f64 v[142:143], -v[142:143], v[150:151], v[148:149]
	s_delay_alu instid0(VALU_DEP_1) | instskip(NEXT) | instid1(VALU_DEP_1)
	v_div_fmas_f64 v[142:143], v[142:143], v[146:147], v[150:151]
	v_div_fixup_f64 v[146:147], v[142:143], v[140:141], 1.0
                                        ; implicit-def: $vgpr140_vgpr141
	s_delay_alu instid0(VALU_DEP_1)
	v_mul_f64 v[148:149], v[144:145], v[146:147]
	v_xor_b32_e32 v147, 0x80000000, v147
.LBB69_5:
	s_and_not1_saveexec_b32 s4, s4
	s_cbranch_execz .LBB69_7
; %bb.6:
	v_div_scale_f64 v[144:145], null, v[140:141], v[140:141], v[142:143]
	v_div_scale_f64 v[150:151], vcc_lo, v[142:143], v[140:141], v[142:143]
	s_delay_alu instid0(VALU_DEP_2) | instskip(SKIP_2) | instid1(VALU_DEP_1)
	v_rcp_f64_e32 v[146:147], v[144:145]
	s_waitcnt_depctr 0xfff
	v_fma_f64 v[148:149], -v[144:145], v[146:147], 1.0
	v_fma_f64 v[146:147], v[146:147], v[148:149], v[146:147]
	s_delay_alu instid0(VALU_DEP_1) | instskip(NEXT) | instid1(VALU_DEP_1)
	v_fma_f64 v[148:149], -v[144:145], v[146:147], 1.0
	v_fma_f64 v[146:147], v[146:147], v[148:149], v[146:147]
	s_delay_alu instid0(VALU_DEP_1) | instskip(NEXT) | instid1(VALU_DEP_1)
	v_mul_f64 v[148:149], v[150:151], v[146:147]
	v_fma_f64 v[144:145], -v[144:145], v[148:149], v[150:151]
	s_delay_alu instid0(VALU_DEP_1) | instskip(NEXT) | instid1(VALU_DEP_1)
	v_div_fmas_f64 v[144:145], v[144:145], v[146:147], v[148:149]
	v_div_fixup_f64 v[144:145], v[144:145], v[140:141], v[142:143]
	s_delay_alu instid0(VALU_DEP_1) | instskip(NEXT) | instid1(VALU_DEP_1)
	v_fma_f64 v[140:141], v[142:143], v[144:145], v[140:141]
	v_div_scale_f64 v[142:143], null, v[140:141], v[140:141], 1.0
	s_delay_alu instid0(VALU_DEP_1) | instskip(SKIP_2) | instid1(VALU_DEP_1)
	v_rcp_f64_e32 v[146:147], v[142:143]
	s_waitcnt_depctr 0xfff
	v_fma_f64 v[148:149], -v[142:143], v[146:147], 1.0
	v_fma_f64 v[146:147], v[146:147], v[148:149], v[146:147]
	s_delay_alu instid0(VALU_DEP_1) | instskip(NEXT) | instid1(VALU_DEP_1)
	v_fma_f64 v[148:149], -v[142:143], v[146:147], 1.0
	v_fma_f64 v[146:147], v[146:147], v[148:149], v[146:147]
	v_div_scale_f64 v[148:149], vcc_lo, 1.0, v[140:141], 1.0
	s_delay_alu instid0(VALU_DEP_1) | instskip(NEXT) | instid1(VALU_DEP_1)
	v_mul_f64 v[150:151], v[148:149], v[146:147]
	v_fma_f64 v[142:143], -v[142:143], v[150:151], v[148:149]
	s_delay_alu instid0(VALU_DEP_1) | instskip(NEXT) | instid1(VALU_DEP_1)
	v_div_fmas_f64 v[142:143], v[142:143], v[146:147], v[150:151]
	v_div_fixup_f64 v[148:149], v[142:143], v[140:141], 1.0
	s_delay_alu instid0(VALU_DEP_1)
	v_mul_f64 v[146:147], v[144:145], -v[148:149]
.LBB69_7:
	s_or_b32 exec_lo, exec_lo, s4
	ds_store_2addr_b64 v171, v[148:149], v[146:147] offset1:1
.LBB69_8:
	s_or_b32 exec_lo, exec_lo, s5
	s_waitcnt vmcnt(0) lgkmcnt(0)
	s_waitcnt_vscnt null, 0x0
	s_barrier
	buffer_gl0_inv
	ds_load_2addr_b64 v[140:143], v171 offset1:1
	s_waitcnt lgkmcnt(0)
	scratch_store_b128 off, v[140:143], off offset:120 ; 16-byte Folded Spill
	s_and_saveexec_b32 s4, s3
	s_cbranch_execz .LBB69_10
; %bb.9:
	scratch_load_b128 v[142:145], off, off offset:120 ; 16-byte Folded Reload
	s_waitcnt vmcnt(0)
	v_mul_f64 v[140:141], v[144:145], v[138:139]
	v_mul_f64 v[138:139], v[142:143], v[138:139]
	s_delay_alu instid0(VALU_DEP_2) | instskip(NEXT) | instid1(VALU_DEP_2)
	v_fma_f64 v[140:141], v[142:143], v[136:137], -v[140:141]
	v_fma_f64 v[138:139], v[144:145], v[136:137], v[138:139]
	ds_load_2addr_b64 v[142:145], v172 offset0:2 offset1:3
	s_waitcnt lgkmcnt(0)
	v_mul_f64 v[136:137], v[144:145], v[138:139]
	s_delay_alu instid0(VALU_DEP_1) | instskip(SKIP_1) | instid1(VALU_DEP_2)
	v_fma_f64 v[136:137], v[142:143], v[140:141], -v[136:137]
	v_mul_f64 v[142:143], v[142:143], v[138:139]
	v_add_f64 v[132:133], v[132:133], -v[136:137]
	s_delay_alu instid0(VALU_DEP_2) | instskip(NEXT) | instid1(VALU_DEP_1)
	v_fma_f64 v[142:143], v[144:145], v[140:141], v[142:143]
	v_add_f64 v[134:135], v[134:135], -v[142:143]
	ds_load_2addr_b64 v[142:145], v172 offset0:4 offset1:5
	s_waitcnt lgkmcnt(0)
	v_mul_f64 v[136:137], v[144:145], v[138:139]
	s_delay_alu instid0(VALU_DEP_1) | instskip(SKIP_1) | instid1(VALU_DEP_2)
	v_fma_f64 v[136:137], v[142:143], v[140:141], -v[136:137]
	v_mul_f64 v[142:143], v[142:143], v[138:139]
	v_add_f64 v[128:129], v[128:129], -v[136:137]
	s_delay_alu instid0(VALU_DEP_2) | instskip(NEXT) | instid1(VALU_DEP_1)
	v_fma_f64 v[142:143], v[144:145], v[140:141], v[142:143]
	v_add_f64 v[130:131], v[130:131], -v[142:143]
	;; [unrolled: 10-line block ×33, first 2 shown]
	ds_load_2addr_b64 v[142:145], v172 offset0:68 offset1:69
	s_waitcnt lgkmcnt(0)
	v_mul_f64 v[136:137], v[144:145], v[138:139]
	s_delay_alu instid0(VALU_DEP_1) | instskip(SKIP_1) | instid1(VALU_DEP_2)
	v_fma_f64 v[136:137], v[142:143], v[140:141], -v[136:137]
	v_mul_f64 v[142:143], v[142:143], v[138:139]
	v_add_f64 v[0:1], v[0:1], -v[136:137]
	s_delay_alu instid0(VALU_DEP_2) | instskip(SKIP_1) | instid1(VALU_DEP_2)
	v_fma_f64 v[142:143], v[144:145], v[140:141], v[142:143]
	v_dual_mov_b32 v136, v140 :: v_dual_mov_b32 v137, v141
	v_add_f64 v[2:3], v[2:3], -v[142:143]
.LBB69_10:
	s_or_b32 exec_lo, exec_lo, s4
	s_delay_alu instid0(SALU_CYCLE_1)
	s_mov_b32 s4, exec_lo
	s_waitcnt_vscnt null, 0x0
	s_barrier
	buffer_gl0_inv
	v_cmpx_eq_u32_e32 1, v170
	s_cbranch_execz .LBB69_17
; %bb.11:
	ds_store_2addr_b64 v171, v[132:133], v[134:135] offset1:1
	ds_store_2addr_b64 v172, v[128:129], v[130:131] offset0:4 offset1:5
	ds_store_2addr_b64 v172, v[124:125], v[126:127] offset0:6 offset1:7
	;; [unrolled: 1-line block ×33, first 2 shown]
	ds_load_2addr_b64 v[140:143], v171 offset1:1
	s_waitcnt lgkmcnt(0)
	v_cmp_neq_f64_e32 vcc_lo, 0, v[140:141]
	v_cmp_neq_f64_e64 s3, 0, v[142:143]
	s_delay_alu instid0(VALU_DEP_1) | instskip(NEXT) | instid1(SALU_CYCLE_1)
	s_or_b32 s3, vcc_lo, s3
	s_and_b32 exec_lo, exec_lo, s3
	s_cbranch_execz .LBB69_17
; %bb.12:
	v_cmp_gt_f64_e32 vcc_lo, 0, v[140:141]
	v_cmp_gt_f64_e64 s3, 0, v[142:143]
	v_xor_b32_e32 v144, 0x80000000, v141
	v_xor_b32_e32 v146, 0x80000000, v143
                                        ; implicit-def: $vgpr148_vgpr149
	s_delay_alu instid0(VALU_DEP_2) | instskip(NEXT) | instid1(VALU_DEP_2)
	v_cndmask_b32_e32 v145, v141, v144, vcc_lo
	v_cndmask_b32_e64 v147, v143, v146, s3
	v_cndmask_b32_e32 v144, v140, v140, vcc_lo
	v_cndmask_b32_e64 v146, v142, v142, s3
	s_mov_b32 s3, exec_lo
	s_delay_alu instid0(VALU_DEP_1)
	v_cmpx_ngt_f64_e32 v[144:145], v[146:147]
	s_xor_b32 s3, exec_lo, s3
                                        ; implicit-def: $vgpr144_vgpr145_vgpr146_vgpr147
	s_cbranch_execz .LBB69_14
; %bb.13:
	v_div_scale_f64 v[144:145], null, v[142:143], v[142:143], v[140:141]
	v_div_scale_f64 v[150:151], vcc_lo, v[140:141], v[142:143], v[140:141]
	s_delay_alu instid0(VALU_DEP_2) | instskip(SKIP_2) | instid1(VALU_DEP_1)
	v_rcp_f64_e32 v[146:147], v[144:145]
	s_waitcnt_depctr 0xfff
	v_fma_f64 v[148:149], -v[144:145], v[146:147], 1.0
	v_fma_f64 v[146:147], v[146:147], v[148:149], v[146:147]
	s_delay_alu instid0(VALU_DEP_1) | instskip(NEXT) | instid1(VALU_DEP_1)
	v_fma_f64 v[148:149], -v[144:145], v[146:147], 1.0
	v_fma_f64 v[146:147], v[146:147], v[148:149], v[146:147]
	s_delay_alu instid0(VALU_DEP_1) | instskip(NEXT) | instid1(VALU_DEP_1)
	v_mul_f64 v[148:149], v[150:151], v[146:147]
	v_fma_f64 v[144:145], -v[144:145], v[148:149], v[150:151]
	s_delay_alu instid0(VALU_DEP_1) | instskip(NEXT) | instid1(VALU_DEP_1)
	v_div_fmas_f64 v[144:145], v[144:145], v[146:147], v[148:149]
	v_div_fixup_f64 v[144:145], v[144:145], v[142:143], v[140:141]
	s_delay_alu instid0(VALU_DEP_1) | instskip(NEXT) | instid1(VALU_DEP_1)
	v_fma_f64 v[140:141], v[140:141], v[144:145], v[142:143]
	v_div_scale_f64 v[142:143], null, v[140:141], v[140:141], 1.0
	s_delay_alu instid0(VALU_DEP_1) | instskip(SKIP_2) | instid1(VALU_DEP_1)
	v_rcp_f64_e32 v[146:147], v[142:143]
	s_waitcnt_depctr 0xfff
	v_fma_f64 v[148:149], -v[142:143], v[146:147], 1.0
	v_fma_f64 v[146:147], v[146:147], v[148:149], v[146:147]
	s_delay_alu instid0(VALU_DEP_1) | instskip(NEXT) | instid1(VALU_DEP_1)
	v_fma_f64 v[148:149], -v[142:143], v[146:147], 1.0
	v_fma_f64 v[146:147], v[146:147], v[148:149], v[146:147]
	v_div_scale_f64 v[148:149], vcc_lo, 1.0, v[140:141], 1.0
	s_delay_alu instid0(VALU_DEP_1) | instskip(NEXT) | instid1(VALU_DEP_1)
	v_mul_f64 v[150:151], v[148:149], v[146:147]
	v_fma_f64 v[142:143], -v[142:143], v[150:151], v[148:149]
	s_delay_alu instid0(VALU_DEP_1) | instskip(NEXT) | instid1(VALU_DEP_1)
	v_div_fmas_f64 v[142:143], v[142:143], v[146:147], v[150:151]
	v_div_fixup_f64 v[146:147], v[142:143], v[140:141], 1.0
                                        ; implicit-def: $vgpr140_vgpr141
	s_delay_alu instid0(VALU_DEP_1)
	v_mul_f64 v[148:149], v[144:145], v[146:147]
	v_xor_b32_e32 v147, 0x80000000, v147
.LBB69_14:
	s_and_not1_saveexec_b32 s3, s3
	s_cbranch_execz .LBB69_16
; %bb.15:
	v_div_scale_f64 v[144:145], null, v[140:141], v[140:141], v[142:143]
	v_div_scale_f64 v[150:151], vcc_lo, v[142:143], v[140:141], v[142:143]
	s_delay_alu instid0(VALU_DEP_2) | instskip(SKIP_2) | instid1(VALU_DEP_1)
	v_rcp_f64_e32 v[146:147], v[144:145]
	s_waitcnt_depctr 0xfff
	v_fma_f64 v[148:149], -v[144:145], v[146:147], 1.0
	v_fma_f64 v[146:147], v[146:147], v[148:149], v[146:147]
	s_delay_alu instid0(VALU_DEP_1) | instskip(NEXT) | instid1(VALU_DEP_1)
	v_fma_f64 v[148:149], -v[144:145], v[146:147], 1.0
	v_fma_f64 v[146:147], v[146:147], v[148:149], v[146:147]
	s_delay_alu instid0(VALU_DEP_1) | instskip(NEXT) | instid1(VALU_DEP_1)
	v_mul_f64 v[148:149], v[150:151], v[146:147]
	v_fma_f64 v[144:145], -v[144:145], v[148:149], v[150:151]
	s_delay_alu instid0(VALU_DEP_1) | instskip(NEXT) | instid1(VALU_DEP_1)
	v_div_fmas_f64 v[144:145], v[144:145], v[146:147], v[148:149]
	v_div_fixup_f64 v[144:145], v[144:145], v[140:141], v[142:143]
	s_delay_alu instid0(VALU_DEP_1) | instskip(NEXT) | instid1(VALU_DEP_1)
	v_fma_f64 v[140:141], v[142:143], v[144:145], v[140:141]
	v_div_scale_f64 v[142:143], null, v[140:141], v[140:141], 1.0
	s_delay_alu instid0(VALU_DEP_1) | instskip(SKIP_2) | instid1(VALU_DEP_1)
	v_rcp_f64_e32 v[146:147], v[142:143]
	s_waitcnt_depctr 0xfff
	v_fma_f64 v[148:149], -v[142:143], v[146:147], 1.0
	v_fma_f64 v[146:147], v[146:147], v[148:149], v[146:147]
	s_delay_alu instid0(VALU_DEP_1) | instskip(NEXT) | instid1(VALU_DEP_1)
	v_fma_f64 v[148:149], -v[142:143], v[146:147], 1.0
	v_fma_f64 v[146:147], v[146:147], v[148:149], v[146:147]
	v_div_scale_f64 v[148:149], vcc_lo, 1.0, v[140:141], 1.0
	s_delay_alu instid0(VALU_DEP_1) | instskip(NEXT) | instid1(VALU_DEP_1)
	v_mul_f64 v[150:151], v[148:149], v[146:147]
	v_fma_f64 v[142:143], -v[142:143], v[150:151], v[148:149]
	s_delay_alu instid0(VALU_DEP_1) | instskip(NEXT) | instid1(VALU_DEP_1)
	v_div_fmas_f64 v[142:143], v[142:143], v[146:147], v[150:151]
	v_div_fixup_f64 v[148:149], v[142:143], v[140:141], 1.0
	s_delay_alu instid0(VALU_DEP_1)
	v_mul_f64 v[146:147], v[144:145], -v[148:149]
.LBB69_16:
	s_or_b32 exec_lo, exec_lo, s3
	ds_store_2addr_b64 v171, v[148:149], v[146:147] offset1:1
.LBB69_17:
	s_or_b32 exec_lo, exec_lo, s4
	s_waitcnt lgkmcnt(0)
	s_barrier
	buffer_gl0_inv
	ds_load_2addr_b64 v[140:143], v171 offset1:1
	s_mov_b32 s3, exec_lo
	s_waitcnt lgkmcnt(0)
	scratch_store_b128 off, v[140:143], off offset:136 ; 16-byte Folded Spill
	v_cmpx_lt_u32_e32 1, v170
	s_cbranch_execz .LBB69_19
; %bb.18:
	scratch_load_b128 v[142:145], off, off offset:136 ; 16-byte Folded Reload
	s_waitcnt vmcnt(0)
	v_mul_f64 v[140:141], v[144:145], v[134:135]
	v_mul_f64 v[134:135], v[142:143], v[134:135]
	s_delay_alu instid0(VALU_DEP_2) | instskip(NEXT) | instid1(VALU_DEP_2)
	v_fma_f64 v[140:141], v[142:143], v[132:133], -v[140:141]
	v_fma_f64 v[134:135], v[144:145], v[132:133], v[134:135]
	ds_load_2addr_b64 v[142:145], v172 offset0:4 offset1:5
	s_waitcnt lgkmcnt(0)
	v_mul_f64 v[132:133], v[144:145], v[134:135]
	s_delay_alu instid0(VALU_DEP_1) | instskip(SKIP_1) | instid1(VALU_DEP_2)
	v_fma_f64 v[132:133], v[142:143], v[140:141], -v[132:133]
	v_mul_f64 v[142:143], v[142:143], v[134:135]
	v_add_f64 v[128:129], v[128:129], -v[132:133]
	s_delay_alu instid0(VALU_DEP_2) | instskip(NEXT) | instid1(VALU_DEP_1)
	v_fma_f64 v[142:143], v[144:145], v[140:141], v[142:143]
	v_add_f64 v[130:131], v[130:131], -v[142:143]
	ds_load_2addr_b64 v[142:145], v172 offset0:6 offset1:7
	s_waitcnt lgkmcnt(0)
	v_mul_f64 v[132:133], v[144:145], v[134:135]
	s_delay_alu instid0(VALU_DEP_1) | instskip(SKIP_1) | instid1(VALU_DEP_2)
	v_fma_f64 v[132:133], v[142:143], v[140:141], -v[132:133]
	v_mul_f64 v[142:143], v[142:143], v[134:135]
	v_add_f64 v[124:125], v[124:125], -v[132:133]
	s_delay_alu instid0(VALU_DEP_2) | instskip(NEXT) | instid1(VALU_DEP_1)
	v_fma_f64 v[142:143], v[144:145], v[140:141], v[142:143]
	v_add_f64 v[126:127], v[126:127], -v[142:143]
	;; [unrolled: 10-line block ×32, first 2 shown]
	ds_load_2addr_b64 v[142:145], v172 offset0:68 offset1:69
	s_waitcnt lgkmcnt(0)
	v_mul_f64 v[132:133], v[144:145], v[134:135]
	s_delay_alu instid0(VALU_DEP_1) | instskip(SKIP_1) | instid1(VALU_DEP_2)
	v_fma_f64 v[132:133], v[142:143], v[140:141], -v[132:133]
	v_mul_f64 v[142:143], v[142:143], v[134:135]
	v_add_f64 v[0:1], v[0:1], -v[132:133]
	s_delay_alu instid0(VALU_DEP_2) | instskip(SKIP_1) | instid1(VALU_DEP_2)
	v_fma_f64 v[142:143], v[144:145], v[140:141], v[142:143]
	v_dual_mov_b32 v132, v140 :: v_dual_mov_b32 v133, v141
	v_add_f64 v[2:3], v[2:3], -v[142:143]
.LBB69_19:
	s_or_b32 exec_lo, exec_lo, s3
	s_delay_alu instid0(SALU_CYCLE_1)
	s_mov_b32 s4, exec_lo
	s_waitcnt_vscnt null, 0x0
	s_barrier
	buffer_gl0_inv
	v_cmpx_eq_u32_e32 2, v170
	s_cbranch_execz .LBB69_26
; %bb.20:
	ds_store_2addr_b64 v171, v[128:129], v[130:131] offset1:1
	ds_store_2addr_b64 v172, v[124:125], v[126:127] offset0:6 offset1:7
	ds_store_2addr_b64 v172, v[120:121], v[122:123] offset0:8 offset1:9
	;; [unrolled: 1-line block ×32, first 2 shown]
	ds_load_2addr_b64 v[140:143], v171 offset1:1
	s_waitcnt lgkmcnt(0)
	v_cmp_neq_f64_e32 vcc_lo, 0, v[140:141]
	v_cmp_neq_f64_e64 s3, 0, v[142:143]
	s_delay_alu instid0(VALU_DEP_1) | instskip(NEXT) | instid1(SALU_CYCLE_1)
	s_or_b32 s3, vcc_lo, s3
	s_and_b32 exec_lo, exec_lo, s3
	s_cbranch_execz .LBB69_26
; %bb.21:
	v_cmp_gt_f64_e32 vcc_lo, 0, v[140:141]
	v_cmp_gt_f64_e64 s3, 0, v[142:143]
	v_xor_b32_e32 v144, 0x80000000, v141
	v_xor_b32_e32 v146, 0x80000000, v143
                                        ; implicit-def: $vgpr148_vgpr149
	s_delay_alu instid0(VALU_DEP_2) | instskip(NEXT) | instid1(VALU_DEP_2)
	v_cndmask_b32_e32 v145, v141, v144, vcc_lo
	v_cndmask_b32_e64 v147, v143, v146, s3
	v_cndmask_b32_e32 v144, v140, v140, vcc_lo
	v_cndmask_b32_e64 v146, v142, v142, s3
	s_mov_b32 s3, exec_lo
	s_delay_alu instid0(VALU_DEP_1)
	v_cmpx_ngt_f64_e32 v[144:145], v[146:147]
	s_xor_b32 s3, exec_lo, s3
                                        ; implicit-def: $vgpr144_vgpr145_vgpr146_vgpr147
	s_cbranch_execz .LBB69_23
; %bb.22:
	v_div_scale_f64 v[144:145], null, v[142:143], v[142:143], v[140:141]
	v_div_scale_f64 v[150:151], vcc_lo, v[140:141], v[142:143], v[140:141]
	s_delay_alu instid0(VALU_DEP_2) | instskip(SKIP_2) | instid1(VALU_DEP_1)
	v_rcp_f64_e32 v[146:147], v[144:145]
	s_waitcnt_depctr 0xfff
	v_fma_f64 v[148:149], -v[144:145], v[146:147], 1.0
	v_fma_f64 v[146:147], v[146:147], v[148:149], v[146:147]
	s_delay_alu instid0(VALU_DEP_1) | instskip(NEXT) | instid1(VALU_DEP_1)
	v_fma_f64 v[148:149], -v[144:145], v[146:147], 1.0
	v_fma_f64 v[146:147], v[146:147], v[148:149], v[146:147]
	s_delay_alu instid0(VALU_DEP_1) | instskip(NEXT) | instid1(VALU_DEP_1)
	v_mul_f64 v[148:149], v[150:151], v[146:147]
	v_fma_f64 v[144:145], -v[144:145], v[148:149], v[150:151]
	s_delay_alu instid0(VALU_DEP_1) | instskip(NEXT) | instid1(VALU_DEP_1)
	v_div_fmas_f64 v[144:145], v[144:145], v[146:147], v[148:149]
	v_div_fixup_f64 v[144:145], v[144:145], v[142:143], v[140:141]
	s_delay_alu instid0(VALU_DEP_1) | instskip(NEXT) | instid1(VALU_DEP_1)
	v_fma_f64 v[140:141], v[140:141], v[144:145], v[142:143]
	v_div_scale_f64 v[142:143], null, v[140:141], v[140:141], 1.0
	s_delay_alu instid0(VALU_DEP_1) | instskip(SKIP_2) | instid1(VALU_DEP_1)
	v_rcp_f64_e32 v[146:147], v[142:143]
	s_waitcnt_depctr 0xfff
	v_fma_f64 v[148:149], -v[142:143], v[146:147], 1.0
	v_fma_f64 v[146:147], v[146:147], v[148:149], v[146:147]
	s_delay_alu instid0(VALU_DEP_1) | instskip(NEXT) | instid1(VALU_DEP_1)
	v_fma_f64 v[148:149], -v[142:143], v[146:147], 1.0
	v_fma_f64 v[146:147], v[146:147], v[148:149], v[146:147]
	v_div_scale_f64 v[148:149], vcc_lo, 1.0, v[140:141], 1.0
	s_delay_alu instid0(VALU_DEP_1) | instskip(NEXT) | instid1(VALU_DEP_1)
	v_mul_f64 v[150:151], v[148:149], v[146:147]
	v_fma_f64 v[142:143], -v[142:143], v[150:151], v[148:149]
	s_delay_alu instid0(VALU_DEP_1) | instskip(NEXT) | instid1(VALU_DEP_1)
	v_div_fmas_f64 v[142:143], v[142:143], v[146:147], v[150:151]
	v_div_fixup_f64 v[146:147], v[142:143], v[140:141], 1.0
                                        ; implicit-def: $vgpr140_vgpr141
	s_delay_alu instid0(VALU_DEP_1)
	v_mul_f64 v[148:149], v[144:145], v[146:147]
	v_xor_b32_e32 v147, 0x80000000, v147
.LBB69_23:
	s_and_not1_saveexec_b32 s3, s3
	s_cbranch_execz .LBB69_25
; %bb.24:
	v_div_scale_f64 v[144:145], null, v[140:141], v[140:141], v[142:143]
	v_div_scale_f64 v[150:151], vcc_lo, v[142:143], v[140:141], v[142:143]
	s_delay_alu instid0(VALU_DEP_2) | instskip(SKIP_2) | instid1(VALU_DEP_1)
	v_rcp_f64_e32 v[146:147], v[144:145]
	s_waitcnt_depctr 0xfff
	v_fma_f64 v[148:149], -v[144:145], v[146:147], 1.0
	v_fma_f64 v[146:147], v[146:147], v[148:149], v[146:147]
	s_delay_alu instid0(VALU_DEP_1) | instskip(NEXT) | instid1(VALU_DEP_1)
	v_fma_f64 v[148:149], -v[144:145], v[146:147], 1.0
	v_fma_f64 v[146:147], v[146:147], v[148:149], v[146:147]
	s_delay_alu instid0(VALU_DEP_1) | instskip(NEXT) | instid1(VALU_DEP_1)
	v_mul_f64 v[148:149], v[150:151], v[146:147]
	v_fma_f64 v[144:145], -v[144:145], v[148:149], v[150:151]
	s_delay_alu instid0(VALU_DEP_1) | instskip(NEXT) | instid1(VALU_DEP_1)
	v_div_fmas_f64 v[144:145], v[144:145], v[146:147], v[148:149]
	v_div_fixup_f64 v[144:145], v[144:145], v[140:141], v[142:143]
	s_delay_alu instid0(VALU_DEP_1) | instskip(NEXT) | instid1(VALU_DEP_1)
	v_fma_f64 v[140:141], v[142:143], v[144:145], v[140:141]
	v_div_scale_f64 v[142:143], null, v[140:141], v[140:141], 1.0
	s_delay_alu instid0(VALU_DEP_1) | instskip(SKIP_2) | instid1(VALU_DEP_1)
	v_rcp_f64_e32 v[146:147], v[142:143]
	s_waitcnt_depctr 0xfff
	v_fma_f64 v[148:149], -v[142:143], v[146:147], 1.0
	v_fma_f64 v[146:147], v[146:147], v[148:149], v[146:147]
	s_delay_alu instid0(VALU_DEP_1) | instskip(NEXT) | instid1(VALU_DEP_1)
	v_fma_f64 v[148:149], -v[142:143], v[146:147], 1.0
	v_fma_f64 v[146:147], v[146:147], v[148:149], v[146:147]
	v_div_scale_f64 v[148:149], vcc_lo, 1.0, v[140:141], 1.0
	s_delay_alu instid0(VALU_DEP_1) | instskip(NEXT) | instid1(VALU_DEP_1)
	v_mul_f64 v[150:151], v[148:149], v[146:147]
	v_fma_f64 v[142:143], -v[142:143], v[150:151], v[148:149]
	s_delay_alu instid0(VALU_DEP_1) | instskip(NEXT) | instid1(VALU_DEP_1)
	v_div_fmas_f64 v[142:143], v[142:143], v[146:147], v[150:151]
	v_div_fixup_f64 v[148:149], v[142:143], v[140:141], 1.0
	s_delay_alu instid0(VALU_DEP_1)
	v_mul_f64 v[146:147], v[144:145], -v[148:149]
.LBB69_25:
	s_or_b32 exec_lo, exec_lo, s3
	ds_store_2addr_b64 v171, v[148:149], v[146:147] offset1:1
.LBB69_26:
	s_or_b32 exec_lo, exec_lo, s4
	s_waitcnt lgkmcnt(0)
	s_barrier
	buffer_gl0_inv
	ds_load_2addr_b64 v[140:143], v171 offset1:1
	s_mov_b32 s3, exec_lo
	s_waitcnt lgkmcnt(0)
	scratch_store_b128 off, v[140:143], off offset:152 ; 16-byte Folded Spill
	v_cmpx_lt_u32_e32 2, v170
	s_cbranch_execz .LBB69_28
; %bb.27:
	scratch_load_b128 v[142:145], off, off offset:152 ; 16-byte Folded Reload
	s_waitcnt vmcnt(0)
	v_mul_f64 v[140:141], v[144:145], v[130:131]
	v_mul_f64 v[130:131], v[142:143], v[130:131]
	s_delay_alu instid0(VALU_DEP_2) | instskip(NEXT) | instid1(VALU_DEP_2)
	v_fma_f64 v[140:141], v[142:143], v[128:129], -v[140:141]
	v_fma_f64 v[130:131], v[144:145], v[128:129], v[130:131]
	ds_load_2addr_b64 v[142:145], v172 offset0:6 offset1:7
	s_waitcnt lgkmcnt(0)
	v_mul_f64 v[128:129], v[144:145], v[130:131]
	s_delay_alu instid0(VALU_DEP_1) | instskip(SKIP_1) | instid1(VALU_DEP_2)
	v_fma_f64 v[128:129], v[142:143], v[140:141], -v[128:129]
	v_mul_f64 v[142:143], v[142:143], v[130:131]
	v_add_f64 v[124:125], v[124:125], -v[128:129]
	s_delay_alu instid0(VALU_DEP_2) | instskip(NEXT) | instid1(VALU_DEP_1)
	v_fma_f64 v[142:143], v[144:145], v[140:141], v[142:143]
	v_add_f64 v[126:127], v[126:127], -v[142:143]
	ds_load_2addr_b64 v[142:145], v172 offset0:8 offset1:9
	s_waitcnt lgkmcnt(0)
	v_mul_f64 v[128:129], v[144:145], v[130:131]
	s_delay_alu instid0(VALU_DEP_1) | instskip(SKIP_1) | instid1(VALU_DEP_2)
	v_fma_f64 v[128:129], v[142:143], v[140:141], -v[128:129]
	v_mul_f64 v[142:143], v[142:143], v[130:131]
	v_add_f64 v[120:121], v[120:121], -v[128:129]
	s_delay_alu instid0(VALU_DEP_2) | instskip(NEXT) | instid1(VALU_DEP_1)
	v_fma_f64 v[142:143], v[144:145], v[140:141], v[142:143]
	v_add_f64 v[122:123], v[122:123], -v[142:143]
	;; [unrolled: 10-line block ×31, first 2 shown]
	ds_load_2addr_b64 v[142:145], v172 offset0:68 offset1:69
	s_waitcnt lgkmcnt(0)
	v_mul_f64 v[128:129], v[144:145], v[130:131]
	s_delay_alu instid0(VALU_DEP_1) | instskip(SKIP_1) | instid1(VALU_DEP_2)
	v_fma_f64 v[128:129], v[142:143], v[140:141], -v[128:129]
	v_mul_f64 v[142:143], v[142:143], v[130:131]
	v_add_f64 v[0:1], v[0:1], -v[128:129]
	s_delay_alu instid0(VALU_DEP_2) | instskip(SKIP_1) | instid1(VALU_DEP_2)
	v_fma_f64 v[142:143], v[144:145], v[140:141], v[142:143]
	v_dual_mov_b32 v128, v140 :: v_dual_mov_b32 v129, v141
	v_add_f64 v[2:3], v[2:3], -v[142:143]
.LBB69_28:
	s_or_b32 exec_lo, exec_lo, s3
	s_delay_alu instid0(SALU_CYCLE_1)
	s_mov_b32 s4, exec_lo
	s_waitcnt_vscnt null, 0x0
	s_barrier
	buffer_gl0_inv
	v_cmpx_eq_u32_e32 3, v170
	s_cbranch_execz .LBB69_35
; %bb.29:
	ds_store_2addr_b64 v171, v[124:125], v[126:127] offset1:1
	ds_store_2addr_b64 v172, v[120:121], v[122:123] offset0:8 offset1:9
	ds_store_2addr_b64 v172, v[116:117], v[118:119] offset0:10 offset1:11
	;; [unrolled: 1-line block ×31, first 2 shown]
	ds_load_2addr_b64 v[140:143], v171 offset1:1
	s_waitcnt lgkmcnt(0)
	v_cmp_neq_f64_e32 vcc_lo, 0, v[140:141]
	v_cmp_neq_f64_e64 s3, 0, v[142:143]
	s_delay_alu instid0(VALU_DEP_1) | instskip(NEXT) | instid1(SALU_CYCLE_1)
	s_or_b32 s3, vcc_lo, s3
	s_and_b32 exec_lo, exec_lo, s3
	s_cbranch_execz .LBB69_35
; %bb.30:
	v_cmp_gt_f64_e32 vcc_lo, 0, v[140:141]
	v_cmp_gt_f64_e64 s3, 0, v[142:143]
	v_xor_b32_e32 v144, 0x80000000, v141
	v_xor_b32_e32 v146, 0x80000000, v143
                                        ; implicit-def: $vgpr148_vgpr149
	s_delay_alu instid0(VALU_DEP_2) | instskip(NEXT) | instid1(VALU_DEP_2)
	v_cndmask_b32_e32 v145, v141, v144, vcc_lo
	v_cndmask_b32_e64 v147, v143, v146, s3
	v_cndmask_b32_e32 v144, v140, v140, vcc_lo
	v_cndmask_b32_e64 v146, v142, v142, s3
	s_mov_b32 s3, exec_lo
	s_delay_alu instid0(VALU_DEP_1)
	v_cmpx_ngt_f64_e32 v[144:145], v[146:147]
	s_xor_b32 s3, exec_lo, s3
                                        ; implicit-def: $vgpr144_vgpr145_vgpr146_vgpr147
	s_cbranch_execz .LBB69_32
; %bb.31:
	v_div_scale_f64 v[144:145], null, v[142:143], v[142:143], v[140:141]
	v_div_scale_f64 v[150:151], vcc_lo, v[140:141], v[142:143], v[140:141]
	s_delay_alu instid0(VALU_DEP_2) | instskip(SKIP_2) | instid1(VALU_DEP_1)
	v_rcp_f64_e32 v[146:147], v[144:145]
	s_waitcnt_depctr 0xfff
	v_fma_f64 v[148:149], -v[144:145], v[146:147], 1.0
	v_fma_f64 v[146:147], v[146:147], v[148:149], v[146:147]
	s_delay_alu instid0(VALU_DEP_1) | instskip(NEXT) | instid1(VALU_DEP_1)
	v_fma_f64 v[148:149], -v[144:145], v[146:147], 1.0
	v_fma_f64 v[146:147], v[146:147], v[148:149], v[146:147]
	s_delay_alu instid0(VALU_DEP_1) | instskip(NEXT) | instid1(VALU_DEP_1)
	v_mul_f64 v[148:149], v[150:151], v[146:147]
	v_fma_f64 v[144:145], -v[144:145], v[148:149], v[150:151]
	s_delay_alu instid0(VALU_DEP_1) | instskip(NEXT) | instid1(VALU_DEP_1)
	v_div_fmas_f64 v[144:145], v[144:145], v[146:147], v[148:149]
	v_div_fixup_f64 v[144:145], v[144:145], v[142:143], v[140:141]
	s_delay_alu instid0(VALU_DEP_1) | instskip(NEXT) | instid1(VALU_DEP_1)
	v_fma_f64 v[140:141], v[140:141], v[144:145], v[142:143]
	v_div_scale_f64 v[142:143], null, v[140:141], v[140:141], 1.0
	s_delay_alu instid0(VALU_DEP_1) | instskip(SKIP_2) | instid1(VALU_DEP_1)
	v_rcp_f64_e32 v[146:147], v[142:143]
	s_waitcnt_depctr 0xfff
	v_fma_f64 v[148:149], -v[142:143], v[146:147], 1.0
	v_fma_f64 v[146:147], v[146:147], v[148:149], v[146:147]
	s_delay_alu instid0(VALU_DEP_1) | instskip(NEXT) | instid1(VALU_DEP_1)
	v_fma_f64 v[148:149], -v[142:143], v[146:147], 1.0
	v_fma_f64 v[146:147], v[146:147], v[148:149], v[146:147]
	v_div_scale_f64 v[148:149], vcc_lo, 1.0, v[140:141], 1.0
	s_delay_alu instid0(VALU_DEP_1) | instskip(NEXT) | instid1(VALU_DEP_1)
	v_mul_f64 v[150:151], v[148:149], v[146:147]
	v_fma_f64 v[142:143], -v[142:143], v[150:151], v[148:149]
	s_delay_alu instid0(VALU_DEP_1) | instskip(NEXT) | instid1(VALU_DEP_1)
	v_div_fmas_f64 v[142:143], v[142:143], v[146:147], v[150:151]
	v_div_fixup_f64 v[146:147], v[142:143], v[140:141], 1.0
                                        ; implicit-def: $vgpr140_vgpr141
	s_delay_alu instid0(VALU_DEP_1)
	v_mul_f64 v[148:149], v[144:145], v[146:147]
	v_xor_b32_e32 v147, 0x80000000, v147
.LBB69_32:
	s_and_not1_saveexec_b32 s3, s3
	s_cbranch_execz .LBB69_34
; %bb.33:
	v_div_scale_f64 v[144:145], null, v[140:141], v[140:141], v[142:143]
	v_div_scale_f64 v[150:151], vcc_lo, v[142:143], v[140:141], v[142:143]
	s_delay_alu instid0(VALU_DEP_2) | instskip(SKIP_2) | instid1(VALU_DEP_1)
	v_rcp_f64_e32 v[146:147], v[144:145]
	s_waitcnt_depctr 0xfff
	v_fma_f64 v[148:149], -v[144:145], v[146:147], 1.0
	v_fma_f64 v[146:147], v[146:147], v[148:149], v[146:147]
	s_delay_alu instid0(VALU_DEP_1) | instskip(NEXT) | instid1(VALU_DEP_1)
	v_fma_f64 v[148:149], -v[144:145], v[146:147], 1.0
	v_fma_f64 v[146:147], v[146:147], v[148:149], v[146:147]
	s_delay_alu instid0(VALU_DEP_1) | instskip(NEXT) | instid1(VALU_DEP_1)
	v_mul_f64 v[148:149], v[150:151], v[146:147]
	v_fma_f64 v[144:145], -v[144:145], v[148:149], v[150:151]
	s_delay_alu instid0(VALU_DEP_1) | instskip(NEXT) | instid1(VALU_DEP_1)
	v_div_fmas_f64 v[144:145], v[144:145], v[146:147], v[148:149]
	v_div_fixup_f64 v[144:145], v[144:145], v[140:141], v[142:143]
	s_delay_alu instid0(VALU_DEP_1) | instskip(NEXT) | instid1(VALU_DEP_1)
	v_fma_f64 v[140:141], v[142:143], v[144:145], v[140:141]
	v_div_scale_f64 v[142:143], null, v[140:141], v[140:141], 1.0
	s_delay_alu instid0(VALU_DEP_1) | instskip(SKIP_2) | instid1(VALU_DEP_1)
	v_rcp_f64_e32 v[146:147], v[142:143]
	s_waitcnt_depctr 0xfff
	v_fma_f64 v[148:149], -v[142:143], v[146:147], 1.0
	v_fma_f64 v[146:147], v[146:147], v[148:149], v[146:147]
	s_delay_alu instid0(VALU_DEP_1) | instskip(NEXT) | instid1(VALU_DEP_1)
	v_fma_f64 v[148:149], -v[142:143], v[146:147], 1.0
	v_fma_f64 v[146:147], v[146:147], v[148:149], v[146:147]
	v_div_scale_f64 v[148:149], vcc_lo, 1.0, v[140:141], 1.0
	s_delay_alu instid0(VALU_DEP_1) | instskip(NEXT) | instid1(VALU_DEP_1)
	v_mul_f64 v[150:151], v[148:149], v[146:147]
	v_fma_f64 v[142:143], -v[142:143], v[150:151], v[148:149]
	s_delay_alu instid0(VALU_DEP_1) | instskip(NEXT) | instid1(VALU_DEP_1)
	v_div_fmas_f64 v[142:143], v[142:143], v[146:147], v[150:151]
	v_div_fixup_f64 v[148:149], v[142:143], v[140:141], 1.0
	s_delay_alu instid0(VALU_DEP_1)
	v_mul_f64 v[146:147], v[144:145], -v[148:149]
.LBB69_34:
	s_or_b32 exec_lo, exec_lo, s3
	ds_store_2addr_b64 v171, v[148:149], v[146:147] offset1:1
.LBB69_35:
	s_or_b32 exec_lo, exec_lo, s4
	s_waitcnt lgkmcnt(0)
	s_barrier
	buffer_gl0_inv
	ds_load_2addr_b64 v[140:143], v171 offset1:1
	s_mov_b32 s3, exec_lo
	s_waitcnt lgkmcnt(0)
	scratch_store_b128 off, v[140:143], off offset:168 ; 16-byte Folded Spill
	v_cmpx_lt_u32_e32 3, v170
	s_cbranch_execz .LBB69_37
; %bb.36:
	scratch_load_b128 v[142:145], off, off offset:168 ; 16-byte Folded Reload
	s_waitcnt vmcnt(0)
	v_mul_f64 v[140:141], v[144:145], v[126:127]
	v_mul_f64 v[126:127], v[142:143], v[126:127]
	s_delay_alu instid0(VALU_DEP_2) | instskip(NEXT) | instid1(VALU_DEP_2)
	v_fma_f64 v[140:141], v[142:143], v[124:125], -v[140:141]
	v_fma_f64 v[126:127], v[144:145], v[124:125], v[126:127]
	ds_load_2addr_b64 v[142:145], v172 offset0:8 offset1:9
	s_waitcnt lgkmcnt(0)
	v_mul_f64 v[124:125], v[144:145], v[126:127]
	s_delay_alu instid0(VALU_DEP_1) | instskip(SKIP_1) | instid1(VALU_DEP_2)
	v_fma_f64 v[124:125], v[142:143], v[140:141], -v[124:125]
	v_mul_f64 v[142:143], v[142:143], v[126:127]
	v_add_f64 v[120:121], v[120:121], -v[124:125]
	s_delay_alu instid0(VALU_DEP_2) | instskip(NEXT) | instid1(VALU_DEP_1)
	v_fma_f64 v[142:143], v[144:145], v[140:141], v[142:143]
	v_add_f64 v[122:123], v[122:123], -v[142:143]
	ds_load_2addr_b64 v[142:145], v172 offset0:10 offset1:11
	s_waitcnt lgkmcnt(0)
	v_mul_f64 v[124:125], v[144:145], v[126:127]
	s_delay_alu instid0(VALU_DEP_1) | instskip(SKIP_1) | instid1(VALU_DEP_2)
	v_fma_f64 v[124:125], v[142:143], v[140:141], -v[124:125]
	v_mul_f64 v[142:143], v[142:143], v[126:127]
	v_add_f64 v[116:117], v[116:117], -v[124:125]
	s_delay_alu instid0(VALU_DEP_2) | instskip(NEXT) | instid1(VALU_DEP_1)
	v_fma_f64 v[142:143], v[144:145], v[140:141], v[142:143]
	v_add_f64 v[118:119], v[118:119], -v[142:143]
	;; [unrolled: 10-line block ×30, first 2 shown]
	ds_load_2addr_b64 v[142:145], v172 offset0:68 offset1:69
	s_waitcnt lgkmcnt(0)
	v_mul_f64 v[124:125], v[144:145], v[126:127]
	s_delay_alu instid0(VALU_DEP_1) | instskip(SKIP_1) | instid1(VALU_DEP_2)
	v_fma_f64 v[124:125], v[142:143], v[140:141], -v[124:125]
	v_mul_f64 v[142:143], v[142:143], v[126:127]
	v_add_f64 v[0:1], v[0:1], -v[124:125]
	s_delay_alu instid0(VALU_DEP_2) | instskip(SKIP_1) | instid1(VALU_DEP_2)
	v_fma_f64 v[142:143], v[144:145], v[140:141], v[142:143]
	v_dual_mov_b32 v124, v140 :: v_dual_mov_b32 v125, v141
	v_add_f64 v[2:3], v[2:3], -v[142:143]
.LBB69_37:
	s_or_b32 exec_lo, exec_lo, s3
	s_delay_alu instid0(SALU_CYCLE_1)
	s_mov_b32 s4, exec_lo
	s_waitcnt_vscnt null, 0x0
	s_barrier
	buffer_gl0_inv
	v_cmpx_eq_u32_e32 4, v170
	s_cbranch_execz .LBB69_44
; %bb.38:
	ds_store_2addr_b64 v171, v[120:121], v[122:123] offset1:1
	ds_store_2addr_b64 v172, v[116:117], v[118:119] offset0:10 offset1:11
	ds_store_2addr_b64 v172, v[112:113], v[114:115] offset0:12 offset1:13
	;; [unrolled: 1-line block ×30, first 2 shown]
	ds_load_2addr_b64 v[140:143], v171 offset1:1
	s_waitcnt lgkmcnt(0)
	v_cmp_neq_f64_e32 vcc_lo, 0, v[140:141]
	v_cmp_neq_f64_e64 s3, 0, v[142:143]
	s_delay_alu instid0(VALU_DEP_1) | instskip(NEXT) | instid1(SALU_CYCLE_1)
	s_or_b32 s3, vcc_lo, s3
	s_and_b32 exec_lo, exec_lo, s3
	s_cbranch_execz .LBB69_44
; %bb.39:
	v_cmp_gt_f64_e32 vcc_lo, 0, v[140:141]
	v_cmp_gt_f64_e64 s3, 0, v[142:143]
	v_xor_b32_e32 v144, 0x80000000, v141
	v_xor_b32_e32 v146, 0x80000000, v143
                                        ; implicit-def: $vgpr148_vgpr149
	s_delay_alu instid0(VALU_DEP_2) | instskip(NEXT) | instid1(VALU_DEP_2)
	v_cndmask_b32_e32 v145, v141, v144, vcc_lo
	v_cndmask_b32_e64 v147, v143, v146, s3
	v_cndmask_b32_e32 v144, v140, v140, vcc_lo
	v_cndmask_b32_e64 v146, v142, v142, s3
	s_mov_b32 s3, exec_lo
	s_delay_alu instid0(VALU_DEP_1)
	v_cmpx_ngt_f64_e32 v[144:145], v[146:147]
	s_xor_b32 s3, exec_lo, s3
                                        ; implicit-def: $vgpr144_vgpr145_vgpr146_vgpr147
	s_cbranch_execz .LBB69_41
; %bb.40:
	v_div_scale_f64 v[144:145], null, v[142:143], v[142:143], v[140:141]
	v_div_scale_f64 v[150:151], vcc_lo, v[140:141], v[142:143], v[140:141]
	s_delay_alu instid0(VALU_DEP_2) | instskip(SKIP_2) | instid1(VALU_DEP_1)
	v_rcp_f64_e32 v[146:147], v[144:145]
	s_waitcnt_depctr 0xfff
	v_fma_f64 v[148:149], -v[144:145], v[146:147], 1.0
	v_fma_f64 v[146:147], v[146:147], v[148:149], v[146:147]
	s_delay_alu instid0(VALU_DEP_1) | instskip(NEXT) | instid1(VALU_DEP_1)
	v_fma_f64 v[148:149], -v[144:145], v[146:147], 1.0
	v_fma_f64 v[146:147], v[146:147], v[148:149], v[146:147]
	s_delay_alu instid0(VALU_DEP_1) | instskip(NEXT) | instid1(VALU_DEP_1)
	v_mul_f64 v[148:149], v[150:151], v[146:147]
	v_fma_f64 v[144:145], -v[144:145], v[148:149], v[150:151]
	s_delay_alu instid0(VALU_DEP_1) | instskip(NEXT) | instid1(VALU_DEP_1)
	v_div_fmas_f64 v[144:145], v[144:145], v[146:147], v[148:149]
	v_div_fixup_f64 v[144:145], v[144:145], v[142:143], v[140:141]
	s_delay_alu instid0(VALU_DEP_1) | instskip(NEXT) | instid1(VALU_DEP_1)
	v_fma_f64 v[140:141], v[140:141], v[144:145], v[142:143]
	v_div_scale_f64 v[142:143], null, v[140:141], v[140:141], 1.0
	s_delay_alu instid0(VALU_DEP_1) | instskip(SKIP_2) | instid1(VALU_DEP_1)
	v_rcp_f64_e32 v[146:147], v[142:143]
	s_waitcnt_depctr 0xfff
	v_fma_f64 v[148:149], -v[142:143], v[146:147], 1.0
	v_fma_f64 v[146:147], v[146:147], v[148:149], v[146:147]
	s_delay_alu instid0(VALU_DEP_1) | instskip(NEXT) | instid1(VALU_DEP_1)
	v_fma_f64 v[148:149], -v[142:143], v[146:147], 1.0
	v_fma_f64 v[146:147], v[146:147], v[148:149], v[146:147]
	v_div_scale_f64 v[148:149], vcc_lo, 1.0, v[140:141], 1.0
	s_delay_alu instid0(VALU_DEP_1) | instskip(NEXT) | instid1(VALU_DEP_1)
	v_mul_f64 v[150:151], v[148:149], v[146:147]
	v_fma_f64 v[142:143], -v[142:143], v[150:151], v[148:149]
	s_delay_alu instid0(VALU_DEP_1) | instskip(NEXT) | instid1(VALU_DEP_1)
	v_div_fmas_f64 v[142:143], v[142:143], v[146:147], v[150:151]
	v_div_fixup_f64 v[146:147], v[142:143], v[140:141], 1.0
                                        ; implicit-def: $vgpr140_vgpr141
	s_delay_alu instid0(VALU_DEP_1)
	v_mul_f64 v[148:149], v[144:145], v[146:147]
	v_xor_b32_e32 v147, 0x80000000, v147
.LBB69_41:
	s_and_not1_saveexec_b32 s3, s3
	s_cbranch_execz .LBB69_43
; %bb.42:
	v_div_scale_f64 v[144:145], null, v[140:141], v[140:141], v[142:143]
	v_div_scale_f64 v[150:151], vcc_lo, v[142:143], v[140:141], v[142:143]
	s_delay_alu instid0(VALU_DEP_2) | instskip(SKIP_2) | instid1(VALU_DEP_1)
	v_rcp_f64_e32 v[146:147], v[144:145]
	s_waitcnt_depctr 0xfff
	v_fma_f64 v[148:149], -v[144:145], v[146:147], 1.0
	v_fma_f64 v[146:147], v[146:147], v[148:149], v[146:147]
	s_delay_alu instid0(VALU_DEP_1) | instskip(NEXT) | instid1(VALU_DEP_1)
	v_fma_f64 v[148:149], -v[144:145], v[146:147], 1.0
	v_fma_f64 v[146:147], v[146:147], v[148:149], v[146:147]
	s_delay_alu instid0(VALU_DEP_1) | instskip(NEXT) | instid1(VALU_DEP_1)
	v_mul_f64 v[148:149], v[150:151], v[146:147]
	v_fma_f64 v[144:145], -v[144:145], v[148:149], v[150:151]
	s_delay_alu instid0(VALU_DEP_1) | instskip(NEXT) | instid1(VALU_DEP_1)
	v_div_fmas_f64 v[144:145], v[144:145], v[146:147], v[148:149]
	v_div_fixup_f64 v[144:145], v[144:145], v[140:141], v[142:143]
	s_delay_alu instid0(VALU_DEP_1) | instskip(NEXT) | instid1(VALU_DEP_1)
	v_fma_f64 v[140:141], v[142:143], v[144:145], v[140:141]
	v_div_scale_f64 v[142:143], null, v[140:141], v[140:141], 1.0
	s_delay_alu instid0(VALU_DEP_1) | instskip(SKIP_2) | instid1(VALU_DEP_1)
	v_rcp_f64_e32 v[146:147], v[142:143]
	s_waitcnt_depctr 0xfff
	v_fma_f64 v[148:149], -v[142:143], v[146:147], 1.0
	v_fma_f64 v[146:147], v[146:147], v[148:149], v[146:147]
	s_delay_alu instid0(VALU_DEP_1) | instskip(NEXT) | instid1(VALU_DEP_1)
	v_fma_f64 v[148:149], -v[142:143], v[146:147], 1.0
	v_fma_f64 v[146:147], v[146:147], v[148:149], v[146:147]
	v_div_scale_f64 v[148:149], vcc_lo, 1.0, v[140:141], 1.0
	s_delay_alu instid0(VALU_DEP_1) | instskip(NEXT) | instid1(VALU_DEP_1)
	v_mul_f64 v[150:151], v[148:149], v[146:147]
	v_fma_f64 v[142:143], -v[142:143], v[150:151], v[148:149]
	s_delay_alu instid0(VALU_DEP_1) | instskip(NEXT) | instid1(VALU_DEP_1)
	v_div_fmas_f64 v[142:143], v[142:143], v[146:147], v[150:151]
	v_div_fixup_f64 v[148:149], v[142:143], v[140:141], 1.0
	s_delay_alu instid0(VALU_DEP_1)
	v_mul_f64 v[146:147], v[144:145], -v[148:149]
.LBB69_43:
	s_or_b32 exec_lo, exec_lo, s3
	ds_store_2addr_b64 v171, v[148:149], v[146:147] offset1:1
.LBB69_44:
	s_or_b32 exec_lo, exec_lo, s4
	s_waitcnt lgkmcnt(0)
	s_barrier
	buffer_gl0_inv
	ds_load_2addr_b64 v[140:143], v171 offset1:1
	s_mov_b32 s3, exec_lo
	s_waitcnt lgkmcnt(0)
	scratch_store_b128 off, v[140:143], off offset:184 ; 16-byte Folded Spill
	v_cmpx_lt_u32_e32 4, v170
	s_cbranch_execz .LBB69_46
; %bb.45:
	scratch_load_b128 v[142:145], off, off offset:184 ; 16-byte Folded Reload
	s_waitcnt vmcnt(0)
	v_mul_f64 v[140:141], v[144:145], v[122:123]
	v_mul_f64 v[122:123], v[142:143], v[122:123]
	s_delay_alu instid0(VALU_DEP_2) | instskip(NEXT) | instid1(VALU_DEP_2)
	v_fma_f64 v[140:141], v[142:143], v[120:121], -v[140:141]
	v_fma_f64 v[122:123], v[144:145], v[120:121], v[122:123]
	ds_load_2addr_b64 v[142:145], v172 offset0:10 offset1:11
	s_waitcnt lgkmcnt(0)
	v_mul_f64 v[120:121], v[144:145], v[122:123]
	s_delay_alu instid0(VALU_DEP_1) | instskip(SKIP_1) | instid1(VALU_DEP_2)
	v_fma_f64 v[120:121], v[142:143], v[140:141], -v[120:121]
	v_mul_f64 v[142:143], v[142:143], v[122:123]
	v_add_f64 v[116:117], v[116:117], -v[120:121]
	s_delay_alu instid0(VALU_DEP_2) | instskip(NEXT) | instid1(VALU_DEP_1)
	v_fma_f64 v[142:143], v[144:145], v[140:141], v[142:143]
	v_add_f64 v[118:119], v[118:119], -v[142:143]
	ds_load_2addr_b64 v[142:145], v172 offset0:12 offset1:13
	s_waitcnt lgkmcnt(0)
	v_mul_f64 v[120:121], v[144:145], v[122:123]
	s_delay_alu instid0(VALU_DEP_1) | instskip(SKIP_1) | instid1(VALU_DEP_2)
	v_fma_f64 v[120:121], v[142:143], v[140:141], -v[120:121]
	v_mul_f64 v[142:143], v[142:143], v[122:123]
	v_add_f64 v[112:113], v[112:113], -v[120:121]
	s_delay_alu instid0(VALU_DEP_2) | instskip(NEXT) | instid1(VALU_DEP_1)
	v_fma_f64 v[142:143], v[144:145], v[140:141], v[142:143]
	v_add_f64 v[114:115], v[114:115], -v[142:143]
	;; [unrolled: 10-line block ×29, first 2 shown]
	ds_load_2addr_b64 v[142:145], v172 offset0:68 offset1:69
	s_waitcnt lgkmcnt(0)
	v_mul_f64 v[120:121], v[144:145], v[122:123]
	s_delay_alu instid0(VALU_DEP_1) | instskip(SKIP_1) | instid1(VALU_DEP_2)
	v_fma_f64 v[120:121], v[142:143], v[140:141], -v[120:121]
	v_mul_f64 v[142:143], v[142:143], v[122:123]
	v_add_f64 v[0:1], v[0:1], -v[120:121]
	s_delay_alu instid0(VALU_DEP_2) | instskip(SKIP_1) | instid1(VALU_DEP_2)
	v_fma_f64 v[142:143], v[144:145], v[140:141], v[142:143]
	v_dual_mov_b32 v120, v140 :: v_dual_mov_b32 v121, v141
	v_add_f64 v[2:3], v[2:3], -v[142:143]
.LBB69_46:
	s_or_b32 exec_lo, exec_lo, s3
	s_delay_alu instid0(SALU_CYCLE_1)
	s_mov_b32 s4, exec_lo
	s_waitcnt_vscnt null, 0x0
	s_barrier
	buffer_gl0_inv
	v_cmpx_eq_u32_e32 5, v170
	s_cbranch_execz .LBB69_53
; %bb.47:
	ds_store_2addr_b64 v171, v[116:117], v[118:119] offset1:1
	ds_store_2addr_b64 v172, v[112:113], v[114:115] offset0:12 offset1:13
	ds_store_2addr_b64 v172, v[108:109], v[110:111] offset0:14 offset1:15
	;; [unrolled: 1-line block ×29, first 2 shown]
	ds_load_2addr_b64 v[140:143], v171 offset1:1
	s_waitcnt lgkmcnt(0)
	v_cmp_neq_f64_e32 vcc_lo, 0, v[140:141]
	v_cmp_neq_f64_e64 s3, 0, v[142:143]
	s_delay_alu instid0(VALU_DEP_1) | instskip(NEXT) | instid1(SALU_CYCLE_1)
	s_or_b32 s3, vcc_lo, s3
	s_and_b32 exec_lo, exec_lo, s3
	s_cbranch_execz .LBB69_53
; %bb.48:
	v_cmp_gt_f64_e32 vcc_lo, 0, v[140:141]
	v_cmp_gt_f64_e64 s3, 0, v[142:143]
	v_xor_b32_e32 v144, 0x80000000, v141
	v_xor_b32_e32 v146, 0x80000000, v143
                                        ; implicit-def: $vgpr148_vgpr149
	s_delay_alu instid0(VALU_DEP_2) | instskip(NEXT) | instid1(VALU_DEP_2)
	v_cndmask_b32_e32 v145, v141, v144, vcc_lo
	v_cndmask_b32_e64 v147, v143, v146, s3
	v_cndmask_b32_e32 v144, v140, v140, vcc_lo
	v_cndmask_b32_e64 v146, v142, v142, s3
	s_mov_b32 s3, exec_lo
	s_delay_alu instid0(VALU_DEP_1)
	v_cmpx_ngt_f64_e32 v[144:145], v[146:147]
	s_xor_b32 s3, exec_lo, s3
                                        ; implicit-def: $vgpr144_vgpr145_vgpr146_vgpr147
	s_cbranch_execz .LBB69_50
; %bb.49:
	v_div_scale_f64 v[144:145], null, v[142:143], v[142:143], v[140:141]
	v_div_scale_f64 v[150:151], vcc_lo, v[140:141], v[142:143], v[140:141]
	s_delay_alu instid0(VALU_DEP_2) | instskip(SKIP_2) | instid1(VALU_DEP_1)
	v_rcp_f64_e32 v[146:147], v[144:145]
	s_waitcnt_depctr 0xfff
	v_fma_f64 v[148:149], -v[144:145], v[146:147], 1.0
	v_fma_f64 v[146:147], v[146:147], v[148:149], v[146:147]
	s_delay_alu instid0(VALU_DEP_1) | instskip(NEXT) | instid1(VALU_DEP_1)
	v_fma_f64 v[148:149], -v[144:145], v[146:147], 1.0
	v_fma_f64 v[146:147], v[146:147], v[148:149], v[146:147]
	s_delay_alu instid0(VALU_DEP_1) | instskip(NEXT) | instid1(VALU_DEP_1)
	v_mul_f64 v[148:149], v[150:151], v[146:147]
	v_fma_f64 v[144:145], -v[144:145], v[148:149], v[150:151]
	s_delay_alu instid0(VALU_DEP_1) | instskip(NEXT) | instid1(VALU_DEP_1)
	v_div_fmas_f64 v[144:145], v[144:145], v[146:147], v[148:149]
	v_div_fixup_f64 v[144:145], v[144:145], v[142:143], v[140:141]
	s_delay_alu instid0(VALU_DEP_1) | instskip(NEXT) | instid1(VALU_DEP_1)
	v_fma_f64 v[140:141], v[140:141], v[144:145], v[142:143]
	v_div_scale_f64 v[142:143], null, v[140:141], v[140:141], 1.0
	s_delay_alu instid0(VALU_DEP_1) | instskip(SKIP_2) | instid1(VALU_DEP_1)
	v_rcp_f64_e32 v[146:147], v[142:143]
	s_waitcnt_depctr 0xfff
	v_fma_f64 v[148:149], -v[142:143], v[146:147], 1.0
	v_fma_f64 v[146:147], v[146:147], v[148:149], v[146:147]
	s_delay_alu instid0(VALU_DEP_1) | instskip(NEXT) | instid1(VALU_DEP_1)
	v_fma_f64 v[148:149], -v[142:143], v[146:147], 1.0
	v_fma_f64 v[146:147], v[146:147], v[148:149], v[146:147]
	v_div_scale_f64 v[148:149], vcc_lo, 1.0, v[140:141], 1.0
	s_delay_alu instid0(VALU_DEP_1) | instskip(NEXT) | instid1(VALU_DEP_1)
	v_mul_f64 v[150:151], v[148:149], v[146:147]
	v_fma_f64 v[142:143], -v[142:143], v[150:151], v[148:149]
	s_delay_alu instid0(VALU_DEP_1) | instskip(NEXT) | instid1(VALU_DEP_1)
	v_div_fmas_f64 v[142:143], v[142:143], v[146:147], v[150:151]
	v_div_fixup_f64 v[146:147], v[142:143], v[140:141], 1.0
                                        ; implicit-def: $vgpr140_vgpr141
	s_delay_alu instid0(VALU_DEP_1)
	v_mul_f64 v[148:149], v[144:145], v[146:147]
	v_xor_b32_e32 v147, 0x80000000, v147
.LBB69_50:
	s_and_not1_saveexec_b32 s3, s3
	s_cbranch_execz .LBB69_52
; %bb.51:
	v_div_scale_f64 v[144:145], null, v[140:141], v[140:141], v[142:143]
	v_div_scale_f64 v[150:151], vcc_lo, v[142:143], v[140:141], v[142:143]
	s_delay_alu instid0(VALU_DEP_2) | instskip(SKIP_2) | instid1(VALU_DEP_1)
	v_rcp_f64_e32 v[146:147], v[144:145]
	s_waitcnt_depctr 0xfff
	v_fma_f64 v[148:149], -v[144:145], v[146:147], 1.0
	v_fma_f64 v[146:147], v[146:147], v[148:149], v[146:147]
	s_delay_alu instid0(VALU_DEP_1) | instskip(NEXT) | instid1(VALU_DEP_1)
	v_fma_f64 v[148:149], -v[144:145], v[146:147], 1.0
	v_fma_f64 v[146:147], v[146:147], v[148:149], v[146:147]
	s_delay_alu instid0(VALU_DEP_1) | instskip(NEXT) | instid1(VALU_DEP_1)
	v_mul_f64 v[148:149], v[150:151], v[146:147]
	v_fma_f64 v[144:145], -v[144:145], v[148:149], v[150:151]
	s_delay_alu instid0(VALU_DEP_1) | instskip(NEXT) | instid1(VALU_DEP_1)
	v_div_fmas_f64 v[144:145], v[144:145], v[146:147], v[148:149]
	v_div_fixup_f64 v[144:145], v[144:145], v[140:141], v[142:143]
	s_delay_alu instid0(VALU_DEP_1) | instskip(NEXT) | instid1(VALU_DEP_1)
	v_fma_f64 v[140:141], v[142:143], v[144:145], v[140:141]
	v_div_scale_f64 v[142:143], null, v[140:141], v[140:141], 1.0
	s_delay_alu instid0(VALU_DEP_1) | instskip(SKIP_2) | instid1(VALU_DEP_1)
	v_rcp_f64_e32 v[146:147], v[142:143]
	s_waitcnt_depctr 0xfff
	v_fma_f64 v[148:149], -v[142:143], v[146:147], 1.0
	v_fma_f64 v[146:147], v[146:147], v[148:149], v[146:147]
	s_delay_alu instid0(VALU_DEP_1) | instskip(NEXT) | instid1(VALU_DEP_1)
	v_fma_f64 v[148:149], -v[142:143], v[146:147], 1.0
	v_fma_f64 v[146:147], v[146:147], v[148:149], v[146:147]
	v_div_scale_f64 v[148:149], vcc_lo, 1.0, v[140:141], 1.0
	s_delay_alu instid0(VALU_DEP_1) | instskip(NEXT) | instid1(VALU_DEP_1)
	v_mul_f64 v[150:151], v[148:149], v[146:147]
	v_fma_f64 v[142:143], -v[142:143], v[150:151], v[148:149]
	s_delay_alu instid0(VALU_DEP_1) | instskip(NEXT) | instid1(VALU_DEP_1)
	v_div_fmas_f64 v[142:143], v[142:143], v[146:147], v[150:151]
	v_div_fixup_f64 v[148:149], v[142:143], v[140:141], 1.0
	s_delay_alu instid0(VALU_DEP_1)
	v_mul_f64 v[146:147], v[144:145], -v[148:149]
.LBB69_52:
	s_or_b32 exec_lo, exec_lo, s3
	ds_store_2addr_b64 v171, v[148:149], v[146:147] offset1:1
.LBB69_53:
	s_or_b32 exec_lo, exec_lo, s4
	s_waitcnt lgkmcnt(0)
	s_barrier
	buffer_gl0_inv
	ds_load_2addr_b64 v[140:143], v171 offset1:1
	s_mov_b32 s3, exec_lo
	s_waitcnt lgkmcnt(0)
	scratch_store_b128 off, v[140:143], off offset:200 ; 16-byte Folded Spill
	v_cmpx_lt_u32_e32 5, v170
	s_cbranch_execz .LBB69_55
; %bb.54:
	scratch_load_b128 v[142:145], off, off offset:200 ; 16-byte Folded Reload
	s_waitcnt vmcnt(0)
	v_mul_f64 v[140:141], v[144:145], v[118:119]
	v_mul_f64 v[118:119], v[142:143], v[118:119]
	s_delay_alu instid0(VALU_DEP_2) | instskip(NEXT) | instid1(VALU_DEP_2)
	v_fma_f64 v[140:141], v[142:143], v[116:117], -v[140:141]
	v_fma_f64 v[118:119], v[144:145], v[116:117], v[118:119]
	ds_load_2addr_b64 v[142:145], v172 offset0:12 offset1:13
	s_waitcnt lgkmcnt(0)
	v_mul_f64 v[116:117], v[144:145], v[118:119]
	s_delay_alu instid0(VALU_DEP_1) | instskip(SKIP_1) | instid1(VALU_DEP_2)
	v_fma_f64 v[116:117], v[142:143], v[140:141], -v[116:117]
	v_mul_f64 v[142:143], v[142:143], v[118:119]
	v_add_f64 v[112:113], v[112:113], -v[116:117]
	s_delay_alu instid0(VALU_DEP_2) | instskip(NEXT) | instid1(VALU_DEP_1)
	v_fma_f64 v[142:143], v[144:145], v[140:141], v[142:143]
	v_add_f64 v[114:115], v[114:115], -v[142:143]
	ds_load_2addr_b64 v[142:145], v172 offset0:14 offset1:15
	s_waitcnt lgkmcnt(0)
	v_mul_f64 v[116:117], v[144:145], v[118:119]
	s_delay_alu instid0(VALU_DEP_1) | instskip(SKIP_1) | instid1(VALU_DEP_2)
	v_fma_f64 v[116:117], v[142:143], v[140:141], -v[116:117]
	v_mul_f64 v[142:143], v[142:143], v[118:119]
	v_add_f64 v[108:109], v[108:109], -v[116:117]
	s_delay_alu instid0(VALU_DEP_2) | instskip(NEXT) | instid1(VALU_DEP_1)
	v_fma_f64 v[142:143], v[144:145], v[140:141], v[142:143]
	v_add_f64 v[110:111], v[110:111], -v[142:143]
	;; [unrolled: 10-line block ×28, first 2 shown]
	ds_load_2addr_b64 v[142:145], v172 offset0:68 offset1:69
	s_waitcnt lgkmcnt(0)
	v_mul_f64 v[116:117], v[144:145], v[118:119]
	s_delay_alu instid0(VALU_DEP_1) | instskip(SKIP_1) | instid1(VALU_DEP_2)
	v_fma_f64 v[116:117], v[142:143], v[140:141], -v[116:117]
	v_mul_f64 v[142:143], v[142:143], v[118:119]
	v_add_f64 v[0:1], v[0:1], -v[116:117]
	s_delay_alu instid0(VALU_DEP_2) | instskip(SKIP_1) | instid1(VALU_DEP_2)
	v_fma_f64 v[142:143], v[144:145], v[140:141], v[142:143]
	v_dual_mov_b32 v116, v140 :: v_dual_mov_b32 v117, v141
	v_add_f64 v[2:3], v[2:3], -v[142:143]
.LBB69_55:
	s_or_b32 exec_lo, exec_lo, s3
	s_delay_alu instid0(SALU_CYCLE_1)
	s_mov_b32 s4, exec_lo
	s_waitcnt_vscnt null, 0x0
	s_barrier
	buffer_gl0_inv
	v_cmpx_eq_u32_e32 6, v170
	s_cbranch_execz .LBB69_62
; %bb.56:
	ds_store_2addr_b64 v171, v[112:113], v[114:115] offset1:1
	ds_store_2addr_b64 v172, v[108:109], v[110:111] offset0:14 offset1:15
	ds_store_2addr_b64 v172, v[104:105], v[106:107] offset0:16 offset1:17
	;; [unrolled: 1-line block ×28, first 2 shown]
	ds_load_2addr_b64 v[140:143], v171 offset1:1
	s_waitcnt lgkmcnt(0)
	v_cmp_neq_f64_e32 vcc_lo, 0, v[140:141]
	v_cmp_neq_f64_e64 s3, 0, v[142:143]
	s_delay_alu instid0(VALU_DEP_1) | instskip(NEXT) | instid1(SALU_CYCLE_1)
	s_or_b32 s3, vcc_lo, s3
	s_and_b32 exec_lo, exec_lo, s3
	s_cbranch_execz .LBB69_62
; %bb.57:
	v_cmp_gt_f64_e32 vcc_lo, 0, v[140:141]
	v_cmp_gt_f64_e64 s3, 0, v[142:143]
	v_xor_b32_e32 v144, 0x80000000, v141
	v_xor_b32_e32 v146, 0x80000000, v143
                                        ; implicit-def: $vgpr148_vgpr149
	s_delay_alu instid0(VALU_DEP_2) | instskip(NEXT) | instid1(VALU_DEP_2)
	v_cndmask_b32_e32 v145, v141, v144, vcc_lo
	v_cndmask_b32_e64 v147, v143, v146, s3
	v_cndmask_b32_e32 v144, v140, v140, vcc_lo
	v_cndmask_b32_e64 v146, v142, v142, s3
	s_mov_b32 s3, exec_lo
	s_delay_alu instid0(VALU_DEP_1)
	v_cmpx_ngt_f64_e32 v[144:145], v[146:147]
	s_xor_b32 s3, exec_lo, s3
                                        ; implicit-def: $vgpr144_vgpr145_vgpr146_vgpr147
	s_cbranch_execz .LBB69_59
; %bb.58:
	v_div_scale_f64 v[144:145], null, v[142:143], v[142:143], v[140:141]
	v_div_scale_f64 v[150:151], vcc_lo, v[140:141], v[142:143], v[140:141]
	s_delay_alu instid0(VALU_DEP_2) | instskip(SKIP_2) | instid1(VALU_DEP_1)
	v_rcp_f64_e32 v[146:147], v[144:145]
	s_waitcnt_depctr 0xfff
	v_fma_f64 v[148:149], -v[144:145], v[146:147], 1.0
	v_fma_f64 v[146:147], v[146:147], v[148:149], v[146:147]
	s_delay_alu instid0(VALU_DEP_1) | instskip(NEXT) | instid1(VALU_DEP_1)
	v_fma_f64 v[148:149], -v[144:145], v[146:147], 1.0
	v_fma_f64 v[146:147], v[146:147], v[148:149], v[146:147]
	s_delay_alu instid0(VALU_DEP_1) | instskip(NEXT) | instid1(VALU_DEP_1)
	v_mul_f64 v[148:149], v[150:151], v[146:147]
	v_fma_f64 v[144:145], -v[144:145], v[148:149], v[150:151]
	s_delay_alu instid0(VALU_DEP_1) | instskip(NEXT) | instid1(VALU_DEP_1)
	v_div_fmas_f64 v[144:145], v[144:145], v[146:147], v[148:149]
	v_div_fixup_f64 v[144:145], v[144:145], v[142:143], v[140:141]
	s_delay_alu instid0(VALU_DEP_1) | instskip(NEXT) | instid1(VALU_DEP_1)
	v_fma_f64 v[140:141], v[140:141], v[144:145], v[142:143]
	v_div_scale_f64 v[142:143], null, v[140:141], v[140:141], 1.0
	s_delay_alu instid0(VALU_DEP_1) | instskip(SKIP_2) | instid1(VALU_DEP_1)
	v_rcp_f64_e32 v[146:147], v[142:143]
	s_waitcnt_depctr 0xfff
	v_fma_f64 v[148:149], -v[142:143], v[146:147], 1.0
	v_fma_f64 v[146:147], v[146:147], v[148:149], v[146:147]
	s_delay_alu instid0(VALU_DEP_1) | instskip(NEXT) | instid1(VALU_DEP_1)
	v_fma_f64 v[148:149], -v[142:143], v[146:147], 1.0
	v_fma_f64 v[146:147], v[146:147], v[148:149], v[146:147]
	v_div_scale_f64 v[148:149], vcc_lo, 1.0, v[140:141], 1.0
	s_delay_alu instid0(VALU_DEP_1) | instskip(NEXT) | instid1(VALU_DEP_1)
	v_mul_f64 v[150:151], v[148:149], v[146:147]
	v_fma_f64 v[142:143], -v[142:143], v[150:151], v[148:149]
	s_delay_alu instid0(VALU_DEP_1) | instskip(NEXT) | instid1(VALU_DEP_1)
	v_div_fmas_f64 v[142:143], v[142:143], v[146:147], v[150:151]
	v_div_fixup_f64 v[146:147], v[142:143], v[140:141], 1.0
                                        ; implicit-def: $vgpr140_vgpr141
	s_delay_alu instid0(VALU_DEP_1)
	v_mul_f64 v[148:149], v[144:145], v[146:147]
	v_xor_b32_e32 v147, 0x80000000, v147
.LBB69_59:
	s_and_not1_saveexec_b32 s3, s3
	s_cbranch_execz .LBB69_61
; %bb.60:
	v_div_scale_f64 v[144:145], null, v[140:141], v[140:141], v[142:143]
	v_div_scale_f64 v[150:151], vcc_lo, v[142:143], v[140:141], v[142:143]
	s_delay_alu instid0(VALU_DEP_2) | instskip(SKIP_2) | instid1(VALU_DEP_1)
	v_rcp_f64_e32 v[146:147], v[144:145]
	s_waitcnt_depctr 0xfff
	v_fma_f64 v[148:149], -v[144:145], v[146:147], 1.0
	v_fma_f64 v[146:147], v[146:147], v[148:149], v[146:147]
	s_delay_alu instid0(VALU_DEP_1) | instskip(NEXT) | instid1(VALU_DEP_1)
	v_fma_f64 v[148:149], -v[144:145], v[146:147], 1.0
	v_fma_f64 v[146:147], v[146:147], v[148:149], v[146:147]
	s_delay_alu instid0(VALU_DEP_1) | instskip(NEXT) | instid1(VALU_DEP_1)
	v_mul_f64 v[148:149], v[150:151], v[146:147]
	v_fma_f64 v[144:145], -v[144:145], v[148:149], v[150:151]
	s_delay_alu instid0(VALU_DEP_1) | instskip(NEXT) | instid1(VALU_DEP_1)
	v_div_fmas_f64 v[144:145], v[144:145], v[146:147], v[148:149]
	v_div_fixup_f64 v[144:145], v[144:145], v[140:141], v[142:143]
	s_delay_alu instid0(VALU_DEP_1) | instskip(NEXT) | instid1(VALU_DEP_1)
	v_fma_f64 v[140:141], v[142:143], v[144:145], v[140:141]
	v_div_scale_f64 v[142:143], null, v[140:141], v[140:141], 1.0
	s_delay_alu instid0(VALU_DEP_1) | instskip(SKIP_2) | instid1(VALU_DEP_1)
	v_rcp_f64_e32 v[146:147], v[142:143]
	s_waitcnt_depctr 0xfff
	v_fma_f64 v[148:149], -v[142:143], v[146:147], 1.0
	v_fma_f64 v[146:147], v[146:147], v[148:149], v[146:147]
	s_delay_alu instid0(VALU_DEP_1) | instskip(NEXT) | instid1(VALU_DEP_1)
	v_fma_f64 v[148:149], -v[142:143], v[146:147], 1.0
	v_fma_f64 v[146:147], v[146:147], v[148:149], v[146:147]
	v_div_scale_f64 v[148:149], vcc_lo, 1.0, v[140:141], 1.0
	s_delay_alu instid0(VALU_DEP_1) | instskip(NEXT) | instid1(VALU_DEP_1)
	v_mul_f64 v[150:151], v[148:149], v[146:147]
	v_fma_f64 v[142:143], -v[142:143], v[150:151], v[148:149]
	s_delay_alu instid0(VALU_DEP_1) | instskip(NEXT) | instid1(VALU_DEP_1)
	v_div_fmas_f64 v[142:143], v[142:143], v[146:147], v[150:151]
	v_div_fixup_f64 v[148:149], v[142:143], v[140:141], 1.0
	s_delay_alu instid0(VALU_DEP_1)
	v_mul_f64 v[146:147], v[144:145], -v[148:149]
.LBB69_61:
	s_or_b32 exec_lo, exec_lo, s3
	ds_store_2addr_b64 v171, v[148:149], v[146:147] offset1:1
.LBB69_62:
	s_or_b32 exec_lo, exec_lo, s4
	s_waitcnt lgkmcnt(0)
	s_barrier
	buffer_gl0_inv
	ds_load_2addr_b64 v[140:143], v171 offset1:1
	s_mov_b32 s3, exec_lo
	s_waitcnt lgkmcnt(0)
	scratch_store_b128 off, v[140:143], off offset:216 ; 16-byte Folded Spill
	v_cmpx_lt_u32_e32 6, v170
	s_cbranch_execz .LBB69_64
; %bb.63:
	scratch_load_b128 v[142:145], off, off offset:216 ; 16-byte Folded Reload
	s_waitcnt vmcnt(0)
	v_mul_f64 v[140:141], v[144:145], v[114:115]
	v_mul_f64 v[114:115], v[142:143], v[114:115]
	s_delay_alu instid0(VALU_DEP_2) | instskip(NEXT) | instid1(VALU_DEP_2)
	v_fma_f64 v[140:141], v[142:143], v[112:113], -v[140:141]
	v_fma_f64 v[114:115], v[144:145], v[112:113], v[114:115]
	ds_load_2addr_b64 v[142:145], v172 offset0:14 offset1:15
	s_waitcnt lgkmcnt(0)
	v_mul_f64 v[112:113], v[144:145], v[114:115]
	s_delay_alu instid0(VALU_DEP_1) | instskip(SKIP_1) | instid1(VALU_DEP_2)
	v_fma_f64 v[112:113], v[142:143], v[140:141], -v[112:113]
	v_mul_f64 v[142:143], v[142:143], v[114:115]
	v_add_f64 v[108:109], v[108:109], -v[112:113]
	s_delay_alu instid0(VALU_DEP_2) | instskip(NEXT) | instid1(VALU_DEP_1)
	v_fma_f64 v[142:143], v[144:145], v[140:141], v[142:143]
	v_add_f64 v[110:111], v[110:111], -v[142:143]
	ds_load_2addr_b64 v[142:145], v172 offset0:16 offset1:17
	s_waitcnt lgkmcnt(0)
	v_mul_f64 v[112:113], v[144:145], v[114:115]
	s_delay_alu instid0(VALU_DEP_1) | instskip(SKIP_1) | instid1(VALU_DEP_2)
	v_fma_f64 v[112:113], v[142:143], v[140:141], -v[112:113]
	v_mul_f64 v[142:143], v[142:143], v[114:115]
	v_add_f64 v[104:105], v[104:105], -v[112:113]
	s_delay_alu instid0(VALU_DEP_2) | instskip(NEXT) | instid1(VALU_DEP_1)
	v_fma_f64 v[142:143], v[144:145], v[140:141], v[142:143]
	v_add_f64 v[106:107], v[106:107], -v[142:143]
	ds_load_2addr_b64 v[142:145], v172 offset0:18 offset1:19
	s_waitcnt lgkmcnt(0)
	v_mul_f64 v[112:113], v[144:145], v[114:115]
	s_delay_alu instid0(VALU_DEP_1) | instskip(SKIP_1) | instid1(VALU_DEP_2)
	v_fma_f64 v[112:113], v[142:143], v[140:141], -v[112:113]
	v_mul_f64 v[142:143], v[142:143], v[114:115]
	v_add_f64 v[100:101], v[100:101], -v[112:113]
	s_delay_alu instid0(VALU_DEP_2) | instskip(NEXT) | instid1(VALU_DEP_1)
	v_fma_f64 v[142:143], v[144:145], v[140:141], v[142:143]
	v_add_f64 v[102:103], v[102:103], -v[142:143]
	ds_load_2addr_b64 v[142:145], v172 offset0:20 offset1:21
	s_waitcnt lgkmcnt(0)
	v_mul_f64 v[112:113], v[144:145], v[114:115]
	s_delay_alu instid0(VALU_DEP_1) | instskip(SKIP_1) | instid1(VALU_DEP_2)
	v_fma_f64 v[112:113], v[142:143], v[140:141], -v[112:113]
	v_mul_f64 v[142:143], v[142:143], v[114:115]
	v_add_f64 v[96:97], v[96:97], -v[112:113]
	s_delay_alu instid0(VALU_DEP_2) | instskip(NEXT) | instid1(VALU_DEP_1)
	v_fma_f64 v[142:143], v[144:145], v[140:141], v[142:143]
	v_add_f64 v[98:99], v[98:99], -v[142:143]
	ds_load_2addr_b64 v[142:145], v172 offset0:22 offset1:23
	s_waitcnt lgkmcnt(0)
	v_mul_f64 v[112:113], v[144:145], v[114:115]
	s_delay_alu instid0(VALU_DEP_1) | instskip(SKIP_1) | instid1(VALU_DEP_2)
	v_fma_f64 v[112:113], v[142:143], v[140:141], -v[112:113]
	v_mul_f64 v[142:143], v[142:143], v[114:115]
	v_add_f64 v[92:93], v[92:93], -v[112:113]
	s_delay_alu instid0(VALU_DEP_2) | instskip(NEXT) | instid1(VALU_DEP_1)
	v_fma_f64 v[142:143], v[144:145], v[140:141], v[142:143]
	v_add_f64 v[94:95], v[94:95], -v[142:143]
	ds_load_2addr_b64 v[142:145], v172 offset0:24 offset1:25
	s_waitcnt lgkmcnt(0)
	v_mul_f64 v[112:113], v[144:145], v[114:115]
	s_delay_alu instid0(VALU_DEP_1) | instskip(SKIP_1) | instid1(VALU_DEP_2)
	v_fma_f64 v[112:113], v[142:143], v[140:141], -v[112:113]
	v_mul_f64 v[142:143], v[142:143], v[114:115]
	v_add_f64 v[88:89], v[88:89], -v[112:113]
	s_delay_alu instid0(VALU_DEP_2) | instskip(NEXT) | instid1(VALU_DEP_1)
	v_fma_f64 v[142:143], v[144:145], v[140:141], v[142:143]
	v_add_f64 v[90:91], v[90:91], -v[142:143]
	ds_load_2addr_b64 v[142:145], v172 offset0:26 offset1:27
	s_waitcnt lgkmcnt(0)
	v_mul_f64 v[112:113], v[144:145], v[114:115]
	s_delay_alu instid0(VALU_DEP_1) | instskip(SKIP_1) | instid1(VALU_DEP_2)
	v_fma_f64 v[112:113], v[142:143], v[140:141], -v[112:113]
	v_mul_f64 v[142:143], v[142:143], v[114:115]
	v_add_f64 v[84:85], v[84:85], -v[112:113]
	s_delay_alu instid0(VALU_DEP_2) | instskip(NEXT) | instid1(VALU_DEP_1)
	v_fma_f64 v[142:143], v[144:145], v[140:141], v[142:143]
	v_add_f64 v[86:87], v[86:87], -v[142:143]
	ds_load_2addr_b64 v[142:145], v172 offset0:28 offset1:29
	s_waitcnt lgkmcnt(0)
	v_mul_f64 v[112:113], v[144:145], v[114:115]
	s_delay_alu instid0(VALU_DEP_1) | instskip(SKIP_1) | instid1(VALU_DEP_2)
	v_fma_f64 v[112:113], v[142:143], v[140:141], -v[112:113]
	v_mul_f64 v[142:143], v[142:143], v[114:115]
	v_add_f64 v[80:81], v[80:81], -v[112:113]
	s_delay_alu instid0(VALU_DEP_2) | instskip(NEXT) | instid1(VALU_DEP_1)
	v_fma_f64 v[142:143], v[144:145], v[140:141], v[142:143]
	v_add_f64 v[82:83], v[82:83], -v[142:143]
	ds_load_2addr_b64 v[142:145], v172 offset0:30 offset1:31
	s_waitcnt lgkmcnt(0)
	v_mul_f64 v[112:113], v[144:145], v[114:115]
	s_delay_alu instid0(VALU_DEP_1) | instskip(SKIP_1) | instid1(VALU_DEP_2)
	v_fma_f64 v[112:113], v[142:143], v[140:141], -v[112:113]
	v_mul_f64 v[142:143], v[142:143], v[114:115]
	v_add_f64 v[76:77], v[76:77], -v[112:113]
	s_delay_alu instid0(VALU_DEP_2) | instskip(NEXT) | instid1(VALU_DEP_1)
	v_fma_f64 v[142:143], v[144:145], v[140:141], v[142:143]
	v_add_f64 v[78:79], v[78:79], -v[142:143]
	ds_load_2addr_b64 v[142:145], v172 offset0:32 offset1:33
	s_waitcnt lgkmcnt(0)
	v_mul_f64 v[112:113], v[144:145], v[114:115]
	s_delay_alu instid0(VALU_DEP_1) | instskip(SKIP_1) | instid1(VALU_DEP_2)
	v_fma_f64 v[112:113], v[142:143], v[140:141], -v[112:113]
	v_mul_f64 v[142:143], v[142:143], v[114:115]
	v_add_f64 v[72:73], v[72:73], -v[112:113]
	s_delay_alu instid0(VALU_DEP_2) | instskip(NEXT) | instid1(VALU_DEP_1)
	v_fma_f64 v[142:143], v[144:145], v[140:141], v[142:143]
	v_add_f64 v[74:75], v[74:75], -v[142:143]
	ds_load_2addr_b64 v[142:145], v172 offset0:34 offset1:35
	s_waitcnt lgkmcnt(0)
	v_mul_f64 v[112:113], v[144:145], v[114:115]
	s_delay_alu instid0(VALU_DEP_1) | instskip(SKIP_1) | instid1(VALU_DEP_2)
	v_fma_f64 v[112:113], v[142:143], v[140:141], -v[112:113]
	v_mul_f64 v[142:143], v[142:143], v[114:115]
	v_add_f64 v[68:69], v[68:69], -v[112:113]
	s_delay_alu instid0(VALU_DEP_2) | instskip(NEXT) | instid1(VALU_DEP_1)
	v_fma_f64 v[142:143], v[144:145], v[140:141], v[142:143]
	v_add_f64 v[70:71], v[70:71], -v[142:143]
	ds_load_2addr_b64 v[142:145], v172 offset0:36 offset1:37
	s_waitcnt lgkmcnt(0)
	v_mul_f64 v[112:113], v[144:145], v[114:115]
	s_delay_alu instid0(VALU_DEP_1) | instskip(SKIP_1) | instid1(VALU_DEP_2)
	v_fma_f64 v[112:113], v[142:143], v[140:141], -v[112:113]
	v_mul_f64 v[142:143], v[142:143], v[114:115]
	v_add_f64 v[64:65], v[64:65], -v[112:113]
	s_delay_alu instid0(VALU_DEP_2) | instskip(NEXT) | instid1(VALU_DEP_1)
	v_fma_f64 v[142:143], v[144:145], v[140:141], v[142:143]
	v_add_f64 v[66:67], v[66:67], -v[142:143]
	ds_load_2addr_b64 v[142:145], v172 offset0:38 offset1:39
	s_waitcnt lgkmcnt(0)
	v_mul_f64 v[112:113], v[144:145], v[114:115]
	s_delay_alu instid0(VALU_DEP_1) | instskip(SKIP_1) | instid1(VALU_DEP_2)
	v_fma_f64 v[112:113], v[142:143], v[140:141], -v[112:113]
	v_mul_f64 v[142:143], v[142:143], v[114:115]
	v_add_f64 v[60:61], v[60:61], -v[112:113]
	s_delay_alu instid0(VALU_DEP_2) | instskip(NEXT) | instid1(VALU_DEP_1)
	v_fma_f64 v[142:143], v[144:145], v[140:141], v[142:143]
	v_add_f64 v[62:63], v[62:63], -v[142:143]
	ds_load_2addr_b64 v[142:145], v172 offset0:40 offset1:41
	s_waitcnt lgkmcnt(0)
	v_mul_f64 v[112:113], v[144:145], v[114:115]
	s_delay_alu instid0(VALU_DEP_1) | instskip(SKIP_1) | instid1(VALU_DEP_2)
	v_fma_f64 v[112:113], v[142:143], v[140:141], -v[112:113]
	v_mul_f64 v[142:143], v[142:143], v[114:115]
	v_add_f64 v[56:57], v[56:57], -v[112:113]
	s_delay_alu instid0(VALU_DEP_2) | instskip(NEXT) | instid1(VALU_DEP_1)
	v_fma_f64 v[142:143], v[144:145], v[140:141], v[142:143]
	v_add_f64 v[58:59], v[58:59], -v[142:143]
	ds_load_2addr_b64 v[142:145], v172 offset0:42 offset1:43
	s_waitcnt lgkmcnt(0)
	v_mul_f64 v[112:113], v[144:145], v[114:115]
	s_delay_alu instid0(VALU_DEP_1) | instskip(SKIP_1) | instid1(VALU_DEP_2)
	v_fma_f64 v[112:113], v[142:143], v[140:141], -v[112:113]
	v_mul_f64 v[142:143], v[142:143], v[114:115]
	v_add_f64 v[52:53], v[52:53], -v[112:113]
	s_delay_alu instid0(VALU_DEP_2) | instskip(NEXT) | instid1(VALU_DEP_1)
	v_fma_f64 v[142:143], v[144:145], v[140:141], v[142:143]
	v_add_f64 v[54:55], v[54:55], -v[142:143]
	ds_load_2addr_b64 v[142:145], v172 offset0:44 offset1:45
	s_waitcnt lgkmcnt(0)
	v_mul_f64 v[112:113], v[144:145], v[114:115]
	s_delay_alu instid0(VALU_DEP_1) | instskip(SKIP_1) | instid1(VALU_DEP_2)
	v_fma_f64 v[112:113], v[142:143], v[140:141], -v[112:113]
	v_mul_f64 v[142:143], v[142:143], v[114:115]
	v_add_f64 v[48:49], v[48:49], -v[112:113]
	s_delay_alu instid0(VALU_DEP_2) | instskip(NEXT) | instid1(VALU_DEP_1)
	v_fma_f64 v[142:143], v[144:145], v[140:141], v[142:143]
	v_add_f64 v[50:51], v[50:51], -v[142:143]
	ds_load_2addr_b64 v[142:145], v172 offset0:46 offset1:47
	s_waitcnt lgkmcnt(0)
	v_mul_f64 v[112:113], v[144:145], v[114:115]
	s_delay_alu instid0(VALU_DEP_1) | instskip(SKIP_1) | instid1(VALU_DEP_2)
	v_fma_f64 v[112:113], v[142:143], v[140:141], -v[112:113]
	v_mul_f64 v[142:143], v[142:143], v[114:115]
	v_add_f64 v[44:45], v[44:45], -v[112:113]
	s_delay_alu instid0(VALU_DEP_2) | instskip(NEXT) | instid1(VALU_DEP_1)
	v_fma_f64 v[142:143], v[144:145], v[140:141], v[142:143]
	v_add_f64 v[46:47], v[46:47], -v[142:143]
	ds_load_2addr_b64 v[142:145], v172 offset0:48 offset1:49
	s_waitcnt lgkmcnt(0)
	v_mul_f64 v[112:113], v[144:145], v[114:115]
	s_delay_alu instid0(VALU_DEP_1) | instskip(SKIP_1) | instid1(VALU_DEP_2)
	v_fma_f64 v[112:113], v[142:143], v[140:141], -v[112:113]
	v_mul_f64 v[142:143], v[142:143], v[114:115]
	v_add_f64 v[40:41], v[40:41], -v[112:113]
	s_delay_alu instid0(VALU_DEP_2) | instskip(NEXT) | instid1(VALU_DEP_1)
	v_fma_f64 v[142:143], v[144:145], v[140:141], v[142:143]
	v_add_f64 v[42:43], v[42:43], -v[142:143]
	ds_load_2addr_b64 v[142:145], v172 offset0:50 offset1:51
	s_waitcnt lgkmcnt(0)
	v_mul_f64 v[112:113], v[144:145], v[114:115]
	s_delay_alu instid0(VALU_DEP_1) | instskip(SKIP_1) | instid1(VALU_DEP_2)
	v_fma_f64 v[112:113], v[142:143], v[140:141], -v[112:113]
	v_mul_f64 v[142:143], v[142:143], v[114:115]
	v_add_f64 v[36:37], v[36:37], -v[112:113]
	s_delay_alu instid0(VALU_DEP_2) | instskip(NEXT) | instid1(VALU_DEP_1)
	v_fma_f64 v[142:143], v[144:145], v[140:141], v[142:143]
	v_add_f64 v[38:39], v[38:39], -v[142:143]
	ds_load_2addr_b64 v[142:145], v172 offset0:52 offset1:53
	s_waitcnt lgkmcnt(0)
	v_mul_f64 v[112:113], v[144:145], v[114:115]
	s_delay_alu instid0(VALU_DEP_1) | instskip(SKIP_1) | instid1(VALU_DEP_2)
	v_fma_f64 v[112:113], v[142:143], v[140:141], -v[112:113]
	v_mul_f64 v[142:143], v[142:143], v[114:115]
	v_add_f64 v[32:33], v[32:33], -v[112:113]
	s_delay_alu instid0(VALU_DEP_2) | instskip(NEXT) | instid1(VALU_DEP_1)
	v_fma_f64 v[142:143], v[144:145], v[140:141], v[142:143]
	v_add_f64 v[34:35], v[34:35], -v[142:143]
	ds_load_2addr_b64 v[142:145], v172 offset0:54 offset1:55
	s_waitcnt lgkmcnt(0)
	v_mul_f64 v[112:113], v[144:145], v[114:115]
	s_delay_alu instid0(VALU_DEP_1) | instskip(SKIP_1) | instid1(VALU_DEP_2)
	v_fma_f64 v[112:113], v[142:143], v[140:141], -v[112:113]
	v_mul_f64 v[142:143], v[142:143], v[114:115]
	v_add_f64 v[28:29], v[28:29], -v[112:113]
	s_delay_alu instid0(VALU_DEP_2) | instskip(NEXT) | instid1(VALU_DEP_1)
	v_fma_f64 v[142:143], v[144:145], v[140:141], v[142:143]
	v_add_f64 v[30:31], v[30:31], -v[142:143]
	ds_load_2addr_b64 v[142:145], v172 offset0:56 offset1:57
	s_waitcnt lgkmcnt(0)
	v_mul_f64 v[112:113], v[144:145], v[114:115]
	s_delay_alu instid0(VALU_DEP_1) | instskip(SKIP_1) | instid1(VALU_DEP_2)
	v_fma_f64 v[112:113], v[142:143], v[140:141], -v[112:113]
	v_mul_f64 v[142:143], v[142:143], v[114:115]
	v_add_f64 v[24:25], v[24:25], -v[112:113]
	s_delay_alu instid0(VALU_DEP_2) | instskip(NEXT) | instid1(VALU_DEP_1)
	v_fma_f64 v[142:143], v[144:145], v[140:141], v[142:143]
	v_add_f64 v[26:27], v[26:27], -v[142:143]
	ds_load_2addr_b64 v[142:145], v172 offset0:58 offset1:59
	s_waitcnt lgkmcnt(0)
	v_mul_f64 v[112:113], v[144:145], v[114:115]
	s_delay_alu instid0(VALU_DEP_1) | instskip(SKIP_1) | instid1(VALU_DEP_2)
	v_fma_f64 v[112:113], v[142:143], v[140:141], -v[112:113]
	v_mul_f64 v[142:143], v[142:143], v[114:115]
	v_add_f64 v[20:21], v[20:21], -v[112:113]
	s_delay_alu instid0(VALU_DEP_2) | instskip(NEXT) | instid1(VALU_DEP_1)
	v_fma_f64 v[142:143], v[144:145], v[140:141], v[142:143]
	v_add_f64 v[22:23], v[22:23], -v[142:143]
	ds_load_2addr_b64 v[142:145], v172 offset0:60 offset1:61
	s_waitcnt lgkmcnt(0)
	v_mul_f64 v[112:113], v[144:145], v[114:115]
	s_delay_alu instid0(VALU_DEP_1) | instskip(SKIP_1) | instid1(VALU_DEP_2)
	v_fma_f64 v[112:113], v[142:143], v[140:141], -v[112:113]
	v_mul_f64 v[142:143], v[142:143], v[114:115]
	v_add_f64 v[16:17], v[16:17], -v[112:113]
	s_delay_alu instid0(VALU_DEP_2) | instskip(NEXT) | instid1(VALU_DEP_1)
	v_fma_f64 v[142:143], v[144:145], v[140:141], v[142:143]
	v_add_f64 v[18:19], v[18:19], -v[142:143]
	ds_load_2addr_b64 v[142:145], v172 offset0:62 offset1:63
	s_waitcnt lgkmcnt(0)
	v_mul_f64 v[112:113], v[144:145], v[114:115]
	s_delay_alu instid0(VALU_DEP_1) | instskip(SKIP_1) | instid1(VALU_DEP_2)
	v_fma_f64 v[112:113], v[142:143], v[140:141], -v[112:113]
	v_mul_f64 v[142:143], v[142:143], v[114:115]
	v_add_f64 v[12:13], v[12:13], -v[112:113]
	s_delay_alu instid0(VALU_DEP_2) | instskip(NEXT) | instid1(VALU_DEP_1)
	v_fma_f64 v[142:143], v[144:145], v[140:141], v[142:143]
	v_add_f64 v[14:15], v[14:15], -v[142:143]
	ds_load_2addr_b64 v[142:145], v172 offset0:64 offset1:65
	s_waitcnt lgkmcnt(0)
	v_mul_f64 v[112:113], v[144:145], v[114:115]
	s_delay_alu instid0(VALU_DEP_1) | instskip(SKIP_1) | instid1(VALU_DEP_2)
	v_fma_f64 v[112:113], v[142:143], v[140:141], -v[112:113]
	v_mul_f64 v[142:143], v[142:143], v[114:115]
	v_add_f64 v[8:9], v[8:9], -v[112:113]
	s_delay_alu instid0(VALU_DEP_2) | instskip(NEXT) | instid1(VALU_DEP_1)
	v_fma_f64 v[142:143], v[144:145], v[140:141], v[142:143]
	v_add_f64 v[10:11], v[10:11], -v[142:143]
	ds_load_2addr_b64 v[142:145], v172 offset0:66 offset1:67
	s_waitcnt lgkmcnt(0)
	v_mul_f64 v[112:113], v[144:145], v[114:115]
	s_delay_alu instid0(VALU_DEP_1) | instskip(SKIP_1) | instid1(VALU_DEP_2)
	v_fma_f64 v[112:113], v[142:143], v[140:141], -v[112:113]
	v_mul_f64 v[142:143], v[142:143], v[114:115]
	v_add_f64 v[4:5], v[4:5], -v[112:113]
	s_delay_alu instid0(VALU_DEP_2) | instskip(NEXT) | instid1(VALU_DEP_1)
	v_fma_f64 v[142:143], v[144:145], v[140:141], v[142:143]
	v_add_f64 v[6:7], v[6:7], -v[142:143]
	ds_load_2addr_b64 v[142:145], v172 offset0:68 offset1:69
	s_waitcnt lgkmcnt(0)
	v_mul_f64 v[112:113], v[144:145], v[114:115]
	s_delay_alu instid0(VALU_DEP_1) | instskip(SKIP_1) | instid1(VALU_DEP_2)
	v_fma_f64 v[112:113], v[142:143], v[140:141], -v[112:113]
	v_mul_f64 v[142:143], v[142:143], v[114:115]
	v_add_f64 v[0:1], v[0:1], -v[112:113]
	s_delay_alu instid0(VALU_DEP_2) | instskip(SKIP_1) | instid1(VALU_DEP_2)
	v_fma_f64 v[142:143], v[144:145], v[140:141], v[142:143]
	v_dual_mov_b32 v112, v140 :: v_dual_mov_b32 v113, v141
	v_add_f64 v[2:3], v[2:3], -v[142:143]
.LBB69_64:
	s_or_b32 exec_lo, exec_lo, s3
	s_delay_alu instid0(SALU_CYCLE_1)
	s_mov_b32 s4, exec_lo
	s_waitcnt_vscnt null, 0x0
	s_barrier
	buffer_gl0_inv
	v_cmpx_eq_u32_e32 7, v170
	s_cbranch_execz .LBB69_71
; %bb.65:
	ds_store_2addr_b64 v171, v[108:109], v[110:111] offset1:1
	ds_store_2addr_b64 v172, v[104:105], v[106:107] offset0:16 offset1:17
	ds_store_2addr_b64 v172, v[100:101], v[102:103] offset0:18 offset1:19
	;; [unrolled: 1-line block ×27, first 2 shown]
	ds_load_2addr_b64 v[140:143], v171 offset1:1
	s_waitcnt lgkmcnt(0)
	v_cmp_neq_f64_e32 vcc_lo, 0, v[140:141]
	v_cmp_neq_f64_e64 s3, 0, v[142:143]
	s_delay_alu instid0(VALU_DEP_1) | instskip(NEXT) | instid1(SALU_CYCLE_1)
	s_or_b32 s3, vcc_lo, s3
	s_and_b32 exec_lo, exec_lo, s3
	s_cbranch_execz .LBB69_71
; %bb.66:
	v_cmp_gt_f64_e32 vcc_lo, 0, v[140:141]
	v_cmp_gt_f64_e64 s3, 0, v[142:143]
	v_xor_b32_e32 v144, 0x80000000, v141
	v_xor_b32_e32 v146, 0x80000000, v143
                                        ; implicit-def: $vgpr148_vgpr149
	s_delay_alu instid0(VALU_DEP_2) | instskip(NEXT) | instid1(VALU_DEP_2)
	v_cndmask_b32_e32 v145, v141, v144, vcc_lo
	v_cndmask_b32_e64 v147, v143, v146, s3
	v_cndmask_b32_e32 v144, v140, v140, vcc_lo
	v_cndmask_b32_e64 v146, v142, v142, s3
	s_mov_b32 s3, exec_lo
	s_delay_alu instid0(VALU_DEP_1)
	v_cmpx_ngt_f64_e32 v[144:145], v[146:147]
	s_xor_b32 s3, exec_lo, s3
                                        ; implicit-def: $vgpr144_vgpr145_vgpr146_vgpr147
	s_cbranch_execz .LBB69_68
; %bb.67:
	v_div_scale_f64 v[144:145], null, v[142:143], v[142:143], v[140:141]
	v_div_scale_f64 v[150:151], vcc_lo, v[140:141], v[142:143], v[140:141]
	s_delay_alu instid0(VALU_DEP_2) | instskip(SKIP_2) | instid1(VALU_DEP_1)
	v_rcp_f64_e32 v[146:147], v[144:145]
	s_waitcnt_depctr 0xfff
	v_fma_f64 v[148:149], -v[144:145], v[146:147], 1.0
	v_fma_f64 v[146:147], v[146:147], v[148:149], v[146:147]
	s_delay_alu instid0(VALU_DEP_1) | instskip(NEXT) | instid1(VALU_DEP_1)
	v_fma_f64 v[148:149], -v[144:145], v[146:147], 1.0
	v_fma_f64 v[146:147], v[146:147], v[148:149], v[146:147]
	s_delay_alu instid0(VALU_DEP_1) | instskip(NEXT) | instid1(VALU_DEP_1)
	v_mul_f64 v[148:149], v[150:151], v[146:147]
	v_fma_f64 v[144:145], -v[144:145], v[148:149], v[150:151]
	s_delay_alu instid0(VALU_DEP_1) | instskip(NEXT) | instid1(VALU_DEP_1)
	v_div_fmas_f64 v[144:145], v[144:145], v[146:147], v[148:149]
	v_div_fixup_f64 v[144:145], v[144:145], v[142:143], v[140:141]
	s_delay_alu instid0(VALU_DEP_1) | instskip(NEXT) | instid1(VALU_DEP_1)
	v_fma_f64 v[140:141], v[140:141], v[144:145], v[142:143]
	v_div_scale_f64 v[142:143], null, v[140:141], v[140:141], 1.0
	s_delay_alu instid0(VALU_DEP_1) | instskip(SKIP_2) | instid1(VALU_DEP_1)
	v_rcp_f64_e32 v[146:147], v[142:143]
	s_waitcnt_depctr 0xfff
	v_fma_f64 v[148:149], -v[142:143], v[146:147], 1.0
	v_fma_f64 v[146:147], v[146:147], v[148:149], v[146:147]
	s_delay_alu instid0(VALU_DEP_1) | instskip(NEXT) | instid1(VALU_DEP_1)
	v_fma_f64 v[148:149], -v[142:143], v[146:147], 1.0
	v_fma_f64 v[146:147], v[146:147], v[148:149], v[146:147]
	v_div_scale_f64 v[148:149], vcc_lo, 1.0, v[140:141], 1.0
	s_delay_alu instid0(VALU_DEP_1) | instskip(NEXT) | instid1(VALU_DEP_1)
	v_mul_f64 v[150:151], v[148:149], v[146:147]
	v_fma_f64 v[142:143], -v[142:143], v[150:151], v[148:149]
	s_delay_alu instid0(VALU_DEP_1) | instskip(NEXT) | instid1(VALU_DEP_1)
	v_div_fmas_f64 v[142:143], v[142:143], v[146:147], v[150:151]
	v_div_fixup_f64 v[146:147], v[142:143], v[140:141], 1.0
                                        ; implicit-def: $vgpr140_vgpr141
	s_delay_alu instid0(VALU_DEP_1)
	v_mul_f64 v[148:149], v[144:145], v[146:147]
	v_xor_b32_e32 v147, 0x80000000, v147
.LBB69_68:
	s_and_not1_saveexec_b32 s3, s3
	s_cbranch_execz .LBB69_70
; %bb.69:
	v_div_scale_f64 v[144:145], null, v[140:141], v[140:141], v[142:143]
	v_div_scale_f64 v[150:151], vcc_lo, v[142:143], v[140:141], v[142:143]
	s_delay_alu instid0(VALU_DEP_2) | instskip(SKIP_2) | instid1(VALU_DEP_1)
	v_rcp_f64_e32 v[146:147], v[144:145]
	s_waitcnt_depctr 0xfff
	v_fma_f64 v[148:149], -v[144:145], v[146:147], 1.0
	v_fma_f64 v[146:147], v[146:147], v[148:149], v[146:147]
	s_delay_alu instid0(VALU_DEP_1) | instskip(NEXT) | instid1(VALU_DEP_1)
	v_fma_f64 v[148:149], -v[144:145], v[146:147], 1.0
	v_fma_f64 v[146:147], v[146:147], v[148:149], v[146:147]
	s_delay_alu instid0(VALU_DEP_1) | instskip(NEXT) | instid1(VALU_DEP_1)
	v_mul_f64 v[148:149], v[150:151], v[146:147]
	v_fma_f64 v[144:145], -v[144:145], v[148:149], v[150:151]
	s_delay_alu instid0(VALU_DEP_1) | instskip(NEXT) | instid1(VALU_DEP_1)
	v_div_fmas_f64 v[144:145], v[144:145], v[146:147], v[148:149]
	v_div_fixup_f64 v[144:145], v[144:145], v[140:141], v[142:143]
	s_delay_alu instid0(VALU_DEP_1) | instskip(NEXT) | instid1(VALU_DEP_1)
	v_fma_f64 v[140:141], v[142:143], v[144:145], v[140:141]
	v_div_scale_f64 v[142:143], null, v[140:141], v[140:141], 1.0
	s_delay_alu instid0(VALU_DEP_1) | instskip(SKIP_2) | instid1(VALU_DEP_1)
	v_rcp_f64_e32 v[146:147], v[142:143]
	s_waitcnt_depctr 0xfff
	v_fma_f64 v[148:149], -v[142:143], v[146:147], 1.0
	v_fma_f64 v[146:147], v[146:147], v[148:149], v[146:147]
	s_delay_alu instid0(VALU_DEP_1) | instskip(NEXT) | instid1(VALU_DEP_1)
	v_fma_f64 v[148:149], -v[142:143], v[146:147], 1.0
	v_fma_f64 v[146:147], v[146:147], v[148:149], v[146:147]
	v_div_scale_f64 v[148:149], vcc_lo, 1.0, v[140:141], 1.0
	s_delay_alu instid0(VALU_DEP_1) | instskip(NEXT) | instid1(VALU_DEP_1)
	v_mul_f64 v[150:151], v[148:149], v[146:147]
	v_fma_f64 v[142:143], -v[142:143], v[150:151], v[148:149]
	s_delay_alu instid0(VALU_DEP_1) | instskip(NEXT) | instid1(VALU_DEP_1)
	v_div_fmas_f64 v[142:143], v[142:143], v[146:147], v[150:151]
	v_div_fixup_f64 v[148:149], v[142:143], v[140:141], 1.0
	s_delay_alu instid0(VALU_DEP_1)
	v_mul_f64 v[146:147], v[144:145], -v[148:149]
.LBB69_70:
	s_or_b32 exec_lo, exec_lo, s3
	ds_store_2addr_b64 v171, v[148:149], v[146:147] offset1:1
.LBB69_71:
	s_or_b32 exec_lo, exec_lo, s4
	s_waitcnt lgkmcnt(0)
	s_barrier
	buffer_gl0_inv
	ds_load_2addr_b64 v[140:143], v171 offset1:1
	s_mov_b32 s3, exec_lo
	s_waitcnt lgkmcnt(0)
	scratch_store_b128 off, v[140:143], off offset:232 ; 16-byte Folded Spill
	v_cmpx_lt_u32_e32 7, v170
	s_cbranch_execz .LBB69_73
; %bb.72:
	scratch_load_b128 v[142:145], off, off offset:232 ; 16-byte Folded Reload
	s_waitcnt vmcnt(0)
	v_mul_f64 v[140:141], v[144:145], v[110:111]
	v_mul_f64 v[110:111], v[142:143], v[110:111]
	s_delay_alu instid0(VALU_DEP_2) | instskip(NEXT) | instid1(VALU_DEP_2)
	v_fma_f64 v[140:141], v[142:143], v[108:109], -v[140:141]
	v_fma_f64 v[110:111], v[144:145], v[108:109], v[110:111]
	ds_load_2addr_b64 v[142:145], v172 offset0:16 offset1:17
	s_waitcnt lgkmcnt(0)
	v_mul_f64 v[108:109], v[144:145], v[110:111]
	s_delay_alu instid0(VALU_DEP_1) | instskip(SKIP_1) | instid1(VALU_DEP_2)
	v_fma_f64 v[108:109], v[142:143], v[140:141], -v[108:109]
	v_mul_f64 v[142:143], v[142:143], v[110:111]
	v_add_f64 v[104:105], v[104:105], -v[108:109]
	s_delay_alu instid0(VALU_DEP_2) | instskip(NEXT) | instid1(VALU_DEP_1)
	v_fma_f64 v[142:143], v[144:145], v[140:141], v[142:143]
	v_add_f64 v[106:107], v[106:107], -v[142:143]
	ds_load_2addr_b64 v[142:145], v172 offset0:18 offset1:19
	s_waitcnt lgkmcnt(0)
	v_mul_f64 v[108:109], v[144:145], v[110:111]
	s_delay_alu instid0(VALU_DEP_1) | instskip(SKIP_1) | instid1(VALU_DEP_2)
	v_fma_f64 v[108:109], v[142:143], v[140:141], -v[108:109]
	v_mul_f64 v[142:143], v[142:143], v[110:111]
	v_add_f64 v[100:101], v[100:101], -v[108:109]
	s_delay_alu instid0(VALU_DEP_2) | instskip(NEXT) | instid1(VALU_DEP_1)
	v_fma_f64 v[142:143], v[144:145], v[140:141], v[142:143]
	v_add_f64 v[102:103], v[102:103], -v[142:143]
	;; [unrolled: 10-line block ×26, first 2 shown]
	ds_load_2addr_b64 v[142:145], v172 offset0:68 offset1:69
	s_waitcnt lgkmcnt(0)
	v_mul_f64 v[108:109], v[144:145], v[110:111]
	s_delay_alu instid0(VALU_DEP_1) | instskip(SKIP_1) | instid1(VALU_DEP_2)
	v_fma_f64 v[108:109], v[142:143], v[140:141], -v[108:109]
	v_mul_f64 v[142:143], v[142:143], v[110:111]
	v_add_f64 v[0:1], v[0:1], -v[108:109]
	s_delay_alu instid0(VALU_DEP_2) | instskip(SKIP_1) | instid1(VALU_DEP_2)
	v_fma_f64 v[142:143], v[144:145], v[140:141], v[142:143]
	v_dual_mov_b32 v108, v140 :: v_dual_mov_b32 v109, v141
	v_add_f64 v[2:3], v[2:3], -v[142:143]
.LBB69_73:
	s_or_b32 exec_lo, exec_lo, s3
	s_delay_alu instid0(SALU_CYCLE_1)
	s_mov_b32 s4, exec_lo
	s_waitcnt_vscnt null, 0x0
	s_barrier
	buffer_gl0_inv
	v_cmpx_eq_u32_e32 8, v170
	s_cbranch_execz .LBB69_80
; %bb.74:
	ds_store_2addr_b64 v171, v[104:105], v[106:107] offset1:1
	ds_store_2addr_b64 v172, v[100:101], v[102:103] offset0:18 offset1:19
	ds_store_2addr_b64 v172, v[96:97], v[98:99] offset0:20 offset1:21
	;; [unrolled: 1-line block ×26, first 2 shown]
	ds_load_2addr_b64 v[140:143], v171 offset1:1
	s_waitcnt lgkmcnt(0)
	v_cmp_neq_f64_e32 vcc_lo, 0, v[140:141]
	v_cmp_neq_f64_e64 s3, 0, v[142:143]
	s_delay_alu instid0(VALU_DEP_1) | instskip(NEXT) | instid1(SALU_CYCLE_1)
	s_or_b32 s3, vcc_lo, s3
	s_and_b32 exec_lo, exec_lo, s3
	s_cbranch_execz .LBB69_80
; %bb.75:
	v_cmp_gt_f64_e32 vcc_lo, 0, v[140:141]
	v_cmp_gt_f64_e64 s3, 0, v[142:143]
	v_xor_b32_e32 v144, 0x80000000, v141
	v_xor_b32_e32 v146, 0x80000000, v143
                                        ; implicit-def: $vgpr148_vgpr149
	s_delay_alu instid0(VALU_DEP_2) | instskip(NEXT) | instid1(VALU_DEP_2)
	v_cndmask_b32_e32 v145, v141, v144, vcc_lo
	v_cndmask_b32_e64 v147, v143, v146, s3
	v_cndmask_b32_e32 v144, v140, v140, vcc_lo
	v_cndmask_b32_e64 v146, v142, v142, s3
	s_mov_b32 s3, exec_lo
	s_delay_alu instid0(VALU_DEP_1)
	v_cmpx_ngt_f64_e32 v[144:145], v[146:147]
	s_xor_b32 s3, exec_lo, s3
                                        ; implicit-def: $vgpr144_vgpr145_vgpr146_vgpr147
	s_cbranch_execz .LBB69_77
; %bb.76:
	v_div_scale_f64 v[144:145], null, v[142:143], v[142:143], v[140:141]
	v_div_scale_f64 v[150:151], vcc_lo, v[140:141], v[142:143], v[140:141]
	s_delay_alu instid0(VALU_DEP_2) | instskip(SKIP_2) | instid1(VALU_DEP_1)
	v_rcp_f64_e32 v[146:147], v[144:145]
	s_waitcnt_depctr 0xfff
	v_fma_f64 v[148:149], -v[144:145], v[146:147], 1.0
	v_fma_f64 v[146:147], v[146:147], v[148:149], v[146:147]
	s_delay_alu instid0(VALU_DEP_1) | instskip(NEXT) | instid1(VALU_DEP_1)
	v_fma_f64 v[148:149], -v[144:145], v[146:147], 1.0
	v_fma_f64 v[146:147], v[146:147], v[148:149], v[146:147]
	s_delay_alu instid0(VALU_DEP_1) | instskip(NEXT) | instid1(VALU_DEP_1)
	v_mul_f64 v[148:149], v[150:151], v[146:147]
	v_fma_f64 v[144:145], -v[144:145], v[148:149], v[150:151]
	s_delay_alu instid0(VALU_DEP_1) | instskip(NEXT) | instid1(VALU_DEP_1)
	v_div_fmas_f64 v[144:145], v[144:145], v[146:147], v[148:149]
	v_div_fixup_f64 v[144:145], v[144:145], v[142:143], v[140:141]
	s_delay_alu instid0(VALU_DEP_1) | instskip(NEXT) | instid1(VALU_DEP_1)
	v_fma_f64 v[140:141], v[140:141], v[144:145], v[142:143]
	v_div_scale_f64 v[142:143], null, v[140:141], v[140:141], 1.0
	s_delay_alu instid0(VALU_DEP_1) | instskip(SKIP_2) | instid1(VALU_DEP_1)
	v_rcp_f64_e32 v[146:147], v[142:143]
	s_waitcnt_depctr 0xfff
	v_fma_f64 v[148:149], -v[142:143], v[146:147], 1.0
	v_fma_f64 v[146:147], v[146:147], v[148:149], v[146:147]
	s_delay_alu instid0(VALU_DEP_1) | instskip(NEXT) | instid1(VALU_DEP_1)
	v_fma_f64 v[148:149], -v[142:143], v[146:147], 1.0
	v_fma_f64 v[146:147], v[146:147], v[148:149], v[146:147]
	v_div_scale_f64 v[148:149], vcc_lo, 1.0, v[140:141], 1.0
	s_delay_alu instid0(VALU_DEP_1) | instskip(NEXT) | instid1(VALU_DEP_1)
	v_mul_f64 v[150:151], v[148:149], v[146:147]
	v_fma_f64 v[142:143], -v[142:143], v[150:151], v[148:149]
	s_delay_alu instid0(VALU_DEP_1) | instskip(NEXT) | instid1(VALU_DEP_1)
	v_div_fmas_f64 v[142:143], v[142:143], v[146:147], v[150:151]
	v_div_fixup_f64 v[146:147], v[142:143], v[140:141], 1.0
                                        ; implicit-def: $vgpr140_vgpr141
	s_delay_alu instid0(VALU_DEP_1)
	v_mul_f64 v[148:149], v[144:145], v[146:147]
	v_xor_b32_e32 v147, 0x80000000, v147
.LBB69_77:
	s_and_not1_saveexec_b32 s3, s3
	s_cbranch_execz .LBB69_79
; %bb.78:
	v_div_scale_f64 v[144:145], null, v[140:141], v[140:141], v[142:143]
	v_div_scale_f64 v[150:151], vcc_lo, v[142:143], v[140:141], v[142:143]
	s_delay_alu instid0(VALU_DEP_2) | instskip(SKIP_2) | instid1(VALU_DEP_1)
	v_rcp_f64_e32 v[146:147], v[144:145]
	s_waitcnt_depctr 0xfff
	v_fma_f64 v[148:149], -v[144:145], v[146:147], 1.0
	v_fma_f64 v[146:147], v[146:147], v[148:149], v[146:147]
	s_delay_alu instid0(VALU_DEP_1) | instskip(NEXT) | instid1(VALU_DEP_1)
	v_fma_f64 v[148:149], -v[144:145], v[146:147], 1.0
	v_fma_f64 v[146:147], v[146:147], v[148:149], v[146:147]
	s_delay_alu instid0(VALU_DEP_1) | instskip(NEXT) | instid1(VALU_DEP_1)
	v_mul_f64 v[148:149], v[150:151], v[146:147]
	v_fma_f64 v[144:145], -v[144:145], v[148:149], v[150:151]
	s_delay_alu instid0(VALU_DEP_1) | instskip(NEXT) | instid1(VALU_DEP_1)
	v_div_fmas_f64 v[144:145], v[144:145], v[146:147], v[148:149]
	v_div_fixup_f64 v[144:145], v[144:145], v[140:141], v[142:143]
	s_delay_alu instid0(VALU_DEP_1) | instskip(NEXT) | instid1(VALU_DEP_1)
	v_fma_f64 v[140:141], v[142:143], v[144:145], v[140:141]
	v_div_scale_f64 v[142:143], null, v[140:141], v[140:141], 1.0
	s_delay_alu instid0(VALU_DEP_1) | instskip(SKIP_2) | instid1(VALU_DEP_1)
	v_rcp_f64_e32 v[146:147], v[142:143]
	s_waitcnt_depctr 0xfff
	v_fma_f64 v[148:149], -v[142:143], v[146:147], 1.0
	v_fma_f64 v[146:147], v[146:147], v[148:149], v[146:147]
	s_delay_alu instid0(VALU_DEP_1) | instskip(NEXT) | instid1(VALU_DEP_1)
	v_fma_f64 v[148:149], -v[142:143], v[146:147], 1.0
	v_fma_f64 v[146:147], v[146:147], v[148:149], v[146:147]
	v_div_scale_f64 v[148:149], vcc_lo, 1.0, v[140:141], 1.0
	s_delay_alu instid0(VALU_DEP_1) | instskip(NEXT) | instid1(VALU_DEP_1)
	v_mul_f64 v[150:151], v[148:149], v[146:147]
	v_fma_f64 v[142:143], -v[142:143], v[150:151], v[148:149]
	s_delay_alu instid0(VALU_DEP_1) | instskip(NEXT) | instid1(VALU_DEP_1)
	v_div_fmas_f64 v[142:143], v[142:143], v[146:147], v[150:151]
	v_div_fixup_f64 v[148:149], v[142:143], v[140:141], 1.0
	s_delay_alu instid0(VALU_DEP_1)
	v_mul_f64 v[146:147], v[144:145], -v[148:149]
.LBB69_79:
	s_or_b32 exec_lo, exec_lo, s3
	ds_store_2addr_b64 v171, v[148:149], v[146:147] offset1:1
.LBB69_80:
	s_or_b32 exec_lo, exec_lo, s4
	s_waitcnt lgkmcnt(0)
	s_barrier
	buffer_gl0_inv
	ds_load_2addr_b64 v[140:143], v171 offset1:1
	s_mov_b32 s3, exec_lo
	s_waitcnt lgkmcnt(0)
	scratch_store_b128 off, v[140:143], off offset:248 ; 16-byte Folded Spill
	v_cmpx_lt_u32_e32 8, v170
	s_cbranch_execz .LBB69_82
; %bb.81:
	scratch_load_b128 v[142:145], off, off offset:248 ; 16-byte Folded Reload
	s_waitcnt vmcnt(0)
	v_mul_f64 v[140:141], v[144:145], v[106:107]
	v_mul_f64 v[106:107], v[142:143], v[106:107]
	s_delay_alu instid0(VALU_DEP_2) | instskip(NEXT) | instid1(VALU_DEP_2)
	v_fma_f64 v[140:141], v[142:143], v[104:105], -v[140:141]
	v_fma_f64 v[106:107], v[144:145], v[104:105], v[106:107]
	ds_load_2addr_b64 v[142:145], v172 offset0:18 offset1:19
	s_waitcnt lgkmcnt(0)
	v_mul_f64 v[104:105], v[144:145], v[106:107]
	s_delay_alu instid0(VALU_DEP_1) | instskip(SKIP_1) | instid1(VALU_DEP_2)
	v_fma_f64 v[104:105], v[142:143], v[140:141], -v[104:105]
	v_mul_f64 v[142:143], v[142:143], v[106:107]
	v_add_f64 v[100:101], v[100:101], -v[104:105]
	s_delay_alu instid0(VALU_DEP_2) | instskip(NEXT) | instid1(VALU_DEP_1)
	v_fma_f64 v[142:143], v[144:145], v[140:141], v[142:143]
	v_add_f64 v[102:103], v[102:103], -v[142:143]
	ds_load_2addr_b64 v[142:145], v172 offset0:20 offset1:21
	s_waitcnt lgkmcnt(0)
	v_mul_f64 v[104:105], v[144:145], v[106:107]
	s_delay_alu instid0(VALU_DEP_1) | instskip(SKIP_1) | instid1(VALU_DEP_2)
	v_fma_f64 v[104:105], v[142:143], v[140:141], -v[104:105]
	v_mul_f64 v[142:143], v[142:143], v[106:107]
	v_add_f64 v[96:97], v[96:97], -v[104:105]
	s_delay_alu instid0(VALU_DEP_2) | instskip(NEXT) | instid1(VALU_DEP_1)
	v_fma_f64 v[142:143], v[144:145], v[140:141], v[142:143]
	v_add_f64 v[98:99], v[98:99], -v[142:143]
	;; [unrolled: 10-line block ×25, first 2 shown]
	ds_load_2addr_b64 v[142:145], v172 offset0:68 offset1:69
	s_waitcnt lgkmcnt(0)
	v_mul_f64 v[104:105], v[144:145], v[106:107]
	s_delay_alu instid0(VALU_DEP_1) | instskip(SKIP_1) | instid1(VALU_DEP_2)
	v_fma_f64 v[104:105], v[142:143], v[140:141], -v[104:105]
	v_mul_f64 v[142:143], v[142:143], v[106:107]
	v_add_f64 v[0:1], v[0:1], -v[104:105]
	s_delay_alu instid0(VALU_DEP_2) | instskip(SKIP_1) | instid1(VALU_DEP_2)
	v_fma_f64 v[142:143], v[144:145], v[140:141], v[142:143]
	v_dual_mov_b32 v104, v140 :: v_dual_mov_b32 v105, v141
	v_add_f64 v[2:3], v[2:3], -v[142:143]
.LBB69_82:
	s_or_b32 exec_lo, exec_lo, s3
	s_delay_alu instid0(SALU_CYCLE_1)
	s_mov_b32 s4, exec_lo
	s_waitcnt_vscnt null, 0x0
	s_barrier
	buffer_gl0_inv
	v_cmpx_eq_u32_e32 9, v170
	s_cbranch_execz .LBB69_89
; %bb.83:
	ds_store_2addr_b64 v171, v[100:101], v[102:103] offset1:1
	ds_store_2addr_b64 v172, v[96:97], v[98:99] offset0:20 offset1:21
	ds_store_2addr_b64 v172, v[92:93], v[94:95] offset0:22 offset1:23
	;; [unrolled: 1-line block ×25, first 2 shown]
	ds_load_2addr_b64 v[140:143], v171 offset1:1
	s_waitcnt lgkmcnt(0)
	v_cmp_neq_f64_e32 vcc_lo, 0, v[140:141]
	v_cmp_neq_f64_e64 s3, 0, v[142:143]
	s_delay_alu instid0(VALU_DEP_1) | instskip(NEXT) | instid1(SALU_CYCLE_1)
	s_or_b32 s3, vcc_lo, s3
	s_and_b32 exec_lo, exec_lo, s3
	s_cbranch_execz .LBB69_89
; %bb.84:
	v_cmp_gt_f64_e32 vcc_lo, 0, v[140:141]
	v_xor_b32_e32 v144, 0x80000000, v141
	v_xor_b32_e32 v146, 0x80000000, v143
	s_mov_b32 s3, exec_lo
                                        ; implicit-def: $vgpr148_vgpr149
	s_delay_alu instid0(VALU_DEP_2) | instskip(SKIP_4) | instid1(VALU_DEP_1)
	v_cndmask_b32_e32 v145, v141, v144, vcc_lo
	v_cndmask_b32_e32 v144, v140, v140, vcc_lo
	v_cmp_gt_f64_e32 vcc_lo, 0, v[142:143]
	v_cndmask_b32_e32 v147, v143, v146, vcc_lo
	v_cndmask_b32_e32 v146, v142, v142, vcc_lo
	v_cmpx_ngt_f64_e32 v[144:145], v[146:147]
	s_xor_b32 s3, exec_lo, s3
                                        ; implicit-def: $vgpr144_vgpr145_vgpr146_vgpr147
	s_cbranch_execz .LBB69_86
; %bb.85:
	v_div_scale_f64 v[144:145], null, v[142:143], v[142:143], v[140:141]
	v_div_scale_f64 v[150:151], vcc_lo, v[140:141], v[142:143], v[140:141]
	s_delay_alu instid0(VALU_DEP_2) | instskip(SKIP_2) | instid1(VALU_DEP_1)
	v_rcp_f64_e32 v[146:147], v[144:145]
	s_waitcnt_depctr 0xfff
	v_fma_f64 v[148:149], -v[144:145], v[146:147], 1.0
	v_fma_f64 v[146:147], v[146:147], v[148:149], v[146:147]
	s_delay_alu instid0(VALU_DEP_1) | instskip(NEXT) | instid1(VALU_DEP_1)
	v_fma_f64 v[148:149], -v[144:145], v[146:147], 1.0
	v_fma_f64 v[146:147], v[146:147], v[148:149], v[146:147]
	s_delay_alu instid0(VALU_DEP_1) | instskip(NEXT) | instid1(VALU_DEP_1)
	v_mul_f64 v[148:149], v[150:151], v[146:147]
	v_fma_f64 v[144:145], -v[144:145], v[148:149], v[150:151]
	s_delay_alu instid0(VALU_DEP_1) | instskip(NEXT) | instid1(VALU_DEP_1)
	v_div_fmas_f64 v[144:145], v[144:145], v[146:147], v[148:149]
	v_div_fixup_f64 v[144:145], v[144:145], v[142:143], v[140:141]
	s_delay_alu instid0(VALU_DEP_1) | instskip(NEXT) | instid1(VALU_DEP_1)
	v_fma_f64 v[140:141], v[140:141], v[144:145], v[142:143]
	v_div_scale_f64 v[142:143], null, v[140:141], v[140:141], 1.0
	s_delay_alu instid0(VALU_DEP_1) | instskip(SKIP_2) | instid1(VALU_DEP_1)
	v_rcp_f64_e32 v[146:147], v[142:143]
	s_waitcnt_depctr 0xfff
	v_fma_f64 v[148:149], -v[142:143], v[146:147], 1.0
	v_fma_f64 v[146:147], v[146:147], v[148:149], v[146:147]
	s_delay_alu instid0(VALU_DEP_1) | instskip(NEXT) | instid1(VALU_DEP_1)
	v_fma_f64 v[148:149], -v[142:143], v[146:147], 1.0
	v_fma_f64 v[146:147], v[146:147], v[148:149], v[146:147]
	v_div_scale_f64 v[148:149], vcc_lo, 1.0, v[140:141], 1.0
	s_delay_alu instid0(VALU_DEP_1) | instskip(NEXT) | instid1(VALU_DEP_1)
	v_mul_f64 v[150:151], v[148:149], v[146:147]
	v_fma_f64 v[142:143], -v[142:143], v[150:151], v[148:149]
	s_delay_alu instid0(VALU_DEP_1) | instskip(NEXT) | instid1(VALU_DEP_1)
	v_div_fmas_f64 v[142:143], v[142:143], v[146:147], v[150:151]
	v_div_fixup_f64 v[146:147], v[142:143], v[140:141], 1.0
                                        ; implicit-def: $vgpr140_vgpr141
	s_delay_alu instid0(VALU_DEP_1)
	v_mul_f64 v[148:149], v[144:145], v[146:147]
	v_xor_b32_e32 v147, 0x80000000, v147
.LBB69_86:
	s_and_not1_saveexec_b32 s3, s3
	s_cbranch_execz .LBB69_88
; %bb.87:
	v_div_scale_f64 v[144:145], null, v[140:141], v[140:141], v[142:143]
	v_div_scale_f64 v[150:151], vcc_lo, v[142:143], v[140:141], v[142:143]
	s_delay_alu instid0(VALU_DEP_2) | instskip(SKIP_2) | instid1(VALU_DEP_1)
	v_rcp_f64_e32 v[146:147], v[144:145]
	s_waitcnt_depctr 0xfff
	v_fma_f64 v[148:149], -v[144:145], v[146:147], 1.0
	v_fma_f64 v[146:147], v[146:147], v[148:149], v[146:147]
	s_delay_alu instid0(VALU_DEP_1) | instskip(NEXT) | instid1(VALU_DEP_1)
	v_fma_f64 v[148:149], -v[144:145], v[146:147], 1.0
	v_fma_f64 v[146:147], v[146:147], v[148:149], v[146:147]
	s_delay_alu instid0(VALU_DEP_1) | instskip(NEXT) | instid1(VALU_DEP_1)
	v_mul_f64 v[148:149], v[150:151], v[146:147]
	v_fma_f64 v[144:145], -v[144:145], v[148:149], v[150:151]
	s_delay_alu instid0(VALU_DEP_1) | instskip(NEXT) | instid1(VALU_DEP_1)
	v_div_fmas_f64 v[144:145], v[144:145], v[146:147], v[148:149]
	v_div_fixup_f64 v[144:145], v[144:145], v[140:141], v[142:143]
	s_delay_alu instid0(VALU_DEP_1) | instskip(NEXT) | instid1(VALU_DEP_1)
	v_fma_f64 v[140:141], v[142:143], v[144:145], v[140:141]
	v_div_scale_f64 v[142:143], null, v[140:141], v[140:141], 1.0
	s_delay_alu instid0(VALU_DEP_1) | instskip(SKIP_2) | instid1(VALU_DEP_1)
	v_rcp_f64_e32 v[146:147], v[142:143]
	s_waitcnt_depctr 0xfff
	v_fma_f64 v[148:149], -v[142:143], v[146:147], 1.0
	v_fma_f64 v[146:147], v[146:147], v[148:149], v[146:147]
	s_delay_alu instid0(VALU_DEP_1) | instskip(NEXT) | instid1(VALU_DEP_1)
	v_fma_f64 v[148:149], -v[142:143], v[146:147], 1.0
	v_fma_f64 v[146:147], v[146:147], v[148:149], v[146:147]
	v_div_scale_f64 v[148:149], vcc_lo, 1.0, v[140:141], 1.0
	s_delay_alu instid0(VALU_DEP_1) | instskip(NEXT) | instid1(VALU_DEP_1)
	v_mul_f64 v[150:151], v[148:149], v[146:147]
	v_fma_f64 v[142:143], -v[142:143], v[150:151], v[148:149]
	s_delay_alu instid0(VALU_DEP_1) | instskip(NEXT) | instid1(VALU_DEP_1)
	v_div_fmas_f64 v[142:143], v[142:143], v[146:147], v[150:151]
	v_div_fixup_f64 v[148:149], v[142:143], v[140:141], 1.0
	s_delay_alu instid0(VALU_DEP_1)
	v_mul_f64 v[146:147], v[144:145], -v[148:149]
.LBB69_88:
	s_or_b32 exec_lo, exec_lo, s3
	ds_store_2addr_b64 v171, v[148:149], v[146:147] offset1:1
.LBB69_89:
	s_or_b32 exec_lo, exec_lo, s4
	s_waitcnt lgkmcnt(0)
	s_barrier
	buffer_gl0_inv
	ds_load_2addr_b64 v[140:143], v171 offset1:1
	s_mov_b32 s3, exec_lo
	s_waitcnt lgkmcnt(0)
	scratch_store_b128 off, v[140:143], off offset:264 ; 16-byte Folded Spill
	v_cmpx_lt_u32_e32 9, v170
	s_cbranch_execz .LBB69_91
; %bb.90:
	scratch_load_b128 v[142:145], off, off offset:264 ; 16-byte Folded Reload
	s_waitcnt vmcnt(0)
	v_mul_f64 v[140:141], v[144:145], v[102:103]
	v_mul_f64 v[102:103], v[142:143], v[102:103]
	s_delay_alu instid0(VALU_DEP_2) | instskip(NEXT) | instid1(VALU_DEP_2)
	v_fma_f64 v[140:141], v[142:143], v[100:101], -v[140:141]
	v_fma_f64 v[102:103], v[144:145], v[100:101], v[102:103]
	ds_load_2addr_b64 v[142:145], v172 offset0:20 offset1:21
	s_waitcnt lgkmcnt(0)
	v_mul_f64 v[100:101], v[144:145], v[102:103]
	s_delay_alu instid0(VALU_DEP_1) | instskip(SKIP_1) | instid1(VALU_DEP_2)
	v_fma_f64 v[100:101], v[142:143], v[140:141], -v[100:101]
	v_mul_f64 v[142:143], v[142:143], v[102:103]
	v_add_f64 v[96:97], v[96:97], -v[100:101]
	s_delay_alu instid0(VALU_DEP_2) | instskip(NEXT) | instid1(VALU_DEP_1)
	v_fma_f64 v[142:143], v[144:145], v[140:141], v[142:143]
	v_add_f64 v[98:99], v[98:99], -v[142:143]
	ds_load_2addr_b64 v[142:145], v172 offset0:22 offset1:23
	s_waitcnt lgkmcnt(0)
	v_mul_f64 v[100:101], v[144:145], v[102:103]
	s_delay_alu instid0(VALU_DEP_1) | instskip(SKIP_1) | instid1(VALU_DEP_2)
	v_fma_f64 v[100:101], v[142:143], v[140:141], -v[100:101]
	v_mul_f64 v[142:143], v[142:143], v[102:103]
	v_add_f64 v[92:93], v[92:93], -v[100:101]
	s_delay_alu instid0(VALU_DEP_2) | instskip(NEXT) | instid1(VALU_DEP_1)
	v_fma_f64 v[142:143], v[144:145], v[140:141], v[142:143]
	v_add_f64 v[94:95], v[94:95], -v[142:143]
	;; [unrolled: 10-line block ×24, first 2 shown]
	ds_load_2addr_b64 v[142:145], v172 offset0:68 offset1:69
	s_waitcnt lgkmcnt(0)
	v_mul_f64 v[100:101], v[144:145], v[102:103]
	s_delay_alu instid0(VALU_DEP_1) | instskip(SKIP_1) | instid1(VALU_DEP_2)
	v_fma_f64 v[100:101], v[142:143], v[140:141], -v[100:101]
	v_mul_f64 v[142:143], v[142:143], v[102:103]
	v_add_f64 v[0:1], v[0:1], -v[100:101]
	s_delay_alu instid0(VALU_DEP_2) | instskip(SKIP_1) | instid1(VALU_DEP_2)
	v_fma_f64 v[142:143], v[144:145], v[140:141], v[142:143]
	v_dual_mov_b32 v100, v140 :: v_dual_mov_b32 v101, v141
	v_add_f64 v[2:3], v[2:3], -v[142:143]
.LBB69_91:
	s_or_b32 exec_lo, exec_lo, s3
	s_delay_alu instid0(SALU_CYCLE_1)
	s_mov_b32 s4, exec_lo
	s_waitcnt_vscnt null, 0x0
	s_barrier
	buffer_gl0_inv
	v_cmpx_eq_u32_e32 10, v170
	s_cbranch_execz .LBB69_98
; %bb.92:
	ds_store_2addr_b64 v171, v[96:97], v[98:99] offset1:1
	ds_store_2addr_b64 v172, v[92:93], v[94:95] offset0:22 offset1:23
	ds_store_2addr_b64 v172, v[88:89], v[90:91] offset0:24 offset1:25
	;; [unrolled: 1-line block ×24, first 2 shown]
	ds_load_2addr_b64 v[140:143], v171 offset1:1
	s_waitcnt lgkmcnt(0)
	v_cmp_neq_f64_e32 vcc_lo, 0, v[140:141]
	v_cmp_neq_f64_e64 s3, 0, v[142:143]
	s_delay_alu instid0(VALU_DEP_1) | instskip(NEXT) | instid1(SALU_CYCLE_1)
	s_or_b32 s3, vcc_lo, s3
	s_and_b32 exec_lo, exec_lo, s3
	s_cbranch_execz .LBB69_98
; %bb.93:
	v_cmp_gt_f64_e32 vcc_lo, 0, v[140:141]
	v_xor_b32_e32 v144, 0x80000000, v141
	v_xor_b32_e32 v146, 0x80000000, v143
	s_mov_b32 s3, exec_lo
                                        ; implicit-def: $vgpr148_vgpr149
	s_delay_alu instid0(VALU_DEP_2) | instskip(SKIP_4) | instid1(VALU_DEP_1)
	v_cndmask_b32_e32 v145, v141, v144, vcc_lo
	v_cndmask_b32_e32 v144, v140, v140, vcc_lo
	v_cmp_gt_f64_e32 vcc_lo, 0, v[142:143]
	v_cndmask_b32_e32 v147, v143, v146, vcc_lo
	v_cndmask_b32_e32 v146, v142, v142, vcc_lo
	v_cmpx_ngt_f64_e32 v[144:145], v[146:147]
	s_xor_b32 s3, exec_lo, s3
                                        ; implicit-def: $vgpr144_vgpr145_vgpr146_vgpr147
	s_cbranch_execz .LBB69_95
; %bb.94:
	v_div_scale_f64 v[144:145], null, v[142:143], v[142:143], v[140:141]
	v_div_scale_f64 v[150:151], vcc_lo, v[140:141], v[142:143], v[140:141]
	s_delay_alu instid0(VALU_DEP_2) | instskip(SKIP_2) | instid1(VALU_DEP_1)
	v_rcp_f64_e32 v[146:147], v[144:145]
	s_waitcnt_depctr 0xfff
	v_fma_f64 v[148:149], -v[144:145], v[146:147], 1.0
	v_fma_f64 v[146:147], v[146:147], v[148:149], v[146:147]
	s_delay_alu instid0(VALU_DEP_1) | instskip(NEXT) | instid1(VALU_DEP_1)
	v_fma_f64 v[148:149], -v[144:145], v[146:147], 1.0
	v_fma_f64 v[146:147], v[146:147], v[148:149], v[146:147]
	s_delay_alu instid0(VALU_DEP_1) | instskip(NEXT) | instid1(VALU_DEP_1)
	v_mul_f64 v[148:149], v[150:151], v[146:147]
	v_fma_f64 v[144:145], -v[144:145], v[148:149], v[150:151]
	s_delay_alu instid0(VALU_DEP_1) | instskip(NEXT) | instid1(VALU_DEP_1)
	v_div_fmas_f64 v[144:145], v[144:145], v[146:147], v[148:149]
	v_div_fixup_f64 v[144:145], v[144:145], v[142:143], v[140:141]
	s_delay_alu instid0(VALU_DEP_1) | instskip(NEXT) | instid1(VALU_DEP_1)
	v_fma_f64 v[140:141], v[140:141], v[144:145], v[142:143]
	v_div_scale_f64 v[142:143], null, v[140:141], v[140:141], 1.0
	s_delay_alu instid0(VALU_DEP_1) | instskip(SKIP_2) | instid1(VALU_DEP_1)
	v_rcp_f64_e32 v[146:147], v[142:143]
	s_waitcnt_depctr 0xfff
	v_fma_f64 v[148:149], -v[142:143], v[146:147], 1.0
	v_fma_f64 v[146:147], v[146:147], v[148:149], v[146:147]
	s_delay_alu instid0(VALU_DEP_1) | instskip(NEXT) | instid1(VALU_DEP_1)
	v_fma_f64 v[148:149], -v[142:143], v[146:147], 1.0
	v_fma_f64 v[146:147], v[146:147], v[148:149], v[146:147]
	v_div_scale_f64 v[148:149], vcc_lo, 1.0, v[140:141], 1.0
	s_delay_alu instid0(VALU_DEP_1) | instskip(NEXT) | instid1(VALU_DEP_1)
	v_mul_f64 v[150:151], v[148:149], v[146:147]
	v_fma_f64 v[142:143], -v[142:143], v[150:151], v[148:149]
	s_delay_alu instid0(VALU_DEP_1) | instskip(NEXT) | instid1(VALU_DEP_1)
	v_div_fmas_f64 v[142:143], v[142:143], v[146:147], v[150:151]
	v_div_fixup_f64 v[146:147], v[142:143], v[140:141], 1.0
                                        ; implicit-def: $vgpr140_vgpr141
	s_delay_alu instid0(VALU_DEP_1)
	v_mul_f64 v[148:149], v[144:145], v[146:147]
	v_xor_b32_e32 v147, 0x80000000, v147
.LBB69_95:
	s_and_not1_saveexec_b32 s3, s3
	s_cbranch_execz .LBB69_97
; %bb.96:
	v_div_scale_f64 v[144:145], null, v[140:141], v[140:141], v[142:143]
	v_div_scale_f64 v[150:151], vcc_lo, v[142:143], v[140:141], v[142:143]
	s_delay_alu instid0(VALU_DEP_2) | instskip(SKIP_2) | instid1(VALU_DEP_1)
	v_rcp_f64_e32 v[146:147], v[144:145]
	s_waitcnt_depctr 0xfff
	v_fma_f64 v[148:149], -v[144:145], v[146:147], 1.0
	v_fma_f64 v[146:147], v[146:147], v[148:149], v[146:147]
	s_delay_alu instid0(VALU_DEP_1) | instskip(NEXT) | instid1(VALU_DEP_1)
	v_fma_f64 v[148:149], -v[144:145], v[146:147], 1.0
	v_fma_f64 v[146:147], v[146:147], v[148:149], v[146:147]
	s_delay_alu instid0(VALU_DEP_1) | instskip(NEXT) | instid1(VALU_DEP_1)
	v_mul_f64 v[148:149], v[150:151], v[146:147]
	v_fma_f64 v[144:145], -v[144:145], v[148:149], v[150:151]
	s_delay_alu instid0(VALU_DEP_1) | instskip(NEXT) | instid1(VALU_DEP_1)
	v_div_fmas_f64 v[144:145], v[144:145], v[146:147], v[148:149]
	v_div_fixup_f64 v[144:145], v[144:145], v[140:141], v[142:143]
	s_delay_alu instid0(VALU_DEP_1) | instskip(NEXT) | instid1(VALU_DEP_1)
	v_fma_f64 v[140:141], v[142:143], v[144:145], v[140:141]
	v_div_scale_f64 v[142:143], null, v[140:141], v[140:141], 1.0
	s_delay_alu instid0(VALU_DEP_1) | instskip(SKIP_2) | instid1(VALU_DEP_1)
	v_rcp_f64_e32 v[146:147], v[142:143]
	s_waitcnt_depctr 0xfff
	v_fma_f64 v[148:149], -v[142:143], v[146:147], 1.0
	v_fma_f64 v[146:147], v[146:147], v[148:149], v[146:147]
	s_delay_alu instid0(VALU_DEP_1) | instskip(NEXT) | instid1(VALU_DEP_1)
	v_fma_f64 v[148:149], -v[142:143], v[146:147], 1.0
	v_fma_f64 v[146:147], v[146:147], v[148:149], v[146:147]
	v_div_scale_f64 v[148:149], vcc_lo, 1.0, v[140:141], 1.0
	s_delay_alu instid0(VALU_DEP_1) | instskip(NEXT) | instid1(VALU_DEP_1)
	v_mul_f64 v[150:151], v[148:149], v[146:147]
	v_fma_f64 v[142:143], -v[142:143], v[150:151], v[148:149]
	s_delay_alu instid0(VALU_DEP_1) | instskip(NEXT) | instid1(VALU_DEP_1)
	v_div_fmas_f64 v[142:143], v[142:143], v[146:147], v[150:151]
	v_div_fixup_f64 v[148:149], v[142:143], v[140:141], 1.0
	s_delay_alu instid0(VALU_DEP_1)
	v_mul_f64 v[146:147], v[144:145], -v[148:149]
.LBB69_97:
	s_or_b32 exec_lo, exec_lo, s3
	ds_store_2addr_b64 v171, v[148:149], v[146:147] offset1:1
.LBB69_98:
	s_or_b32 exec_lo, exec_lo, s4
	s_waitcnt lgkmcnt(0)
	s_barrier
	buffer_gl0_inv
	ds_load_2addr_b64 v[140:143], v171 offset1:1
	s_mov_b32 s3, exec_lo
	s_waitcnt lgkmcnt(0)
	scratch_store_b128 off, v[140:143], off offset:280 ; 16-byte Folded Spill
	v_cmpx_lt_u32_e32 10, v170
	s_cbranch_execz .LBB69_100
; %bb.99:
	scratch_load_b128 v[142:145], off, off offset:280 ; 16-byte Folded Reload
	s_waitcnt vmcnt(0)
	v_mul_f64 v[140:141], v[144:145], v[98:99]
	v_mul_f64 v[98:99], v[142:143], v[98:99]
	s_delay_alu instid0(VALU_DEP_2) | instskip(NEXT) | instid1(VALU_DEP_2)
	v_fma_f64 v[140:141], v[142:143], v[96:97], -v[140:141]
	v_fma_f64 v[98:99], v[144:145], v[96:97], v[98:99]
	ds_load_2addr_b64 v[142:145], v172 offset0:22 offset1:23
	s_waitcnt lgkmcnt(0)
	v_mul_f64 v[96:97], v[144:145], v[98:99]
	s_delay_alu instid0(VALU_DEP_1) | instskip(SKIP_1) | instid1(VALU_DEP_2)
	v_fma_f64 v[96:97], v[142:143], v[140:141], -v[96:97]
	v_mul_f64 v[142:143], v[142:143], v[98:99]
	v_add_f64 v[92:93], v[92:93], -v[96:97]
	s_delay_alu instid0(VALU_DEP_2) | instskip(NEXT) | instid1(VALU_DEP_1)
	v_fma_f64 v[142:143], v[144:145], v[140:141], v[142:143]
	v_add_f64 v[94:95], v[94:95], -v[142:143]
	ds_load_2addr_b64 v[142:145], v172 offset0:24 offset1:25
	s_waitcnt lgkmcnt(0)
	v_mul_f64 v[96:97], v[144:145], v[98:99]
	s_delay_alu instid0(VALU_DEP_1) | instskip(SKIP_1) | instid1(VALU_DEP_2)
	v_fma_f64 v[96:97], v[142:143], v[140:141], -v[96:97]
	v_mul_f64 v[142:143], v[142:143], v[98:99]
	v_add_f64 v[88:89], v[88:89], -v[96:97]
	s_delay_alu instid0(VALU_DEP_2) | instskip(NEXT) | instid1(VALU_DEP_1)
	v_fma_f64 v[142:143], v[144:145], v[140:141], v[142:143]
	v_add_f64 v[90:91], v[90:91], -v[142:143]
	;; [unrolled: 10-line block ×23, first 2 shown]
	ds_load_2addr_b64 v[142:145], v172 offset0:68 offset1:69
	s_waitcnt lgkmcnt(0)
	v_mul_f64 v[96:97], v[144:145], v[98:99]
	s_delay_alu instid0(VALU_DEP_1) | instskip(SKIP_1) | instid1(VALU_DEP_2)
	v_fma_f64 v[96:97], v[142:143], v[140:141], -v[96:97]
	v_mul_f64 v[142:143], v[142:143], v[98:99]
	v_add_f64 v[0:1], v[0:1], -v[96:97]
	s_delay_alu instid0(VALU_DEP_2) | instskip(SKIP_1) | instid1(VALU_DEP_2)
	v_fma_f64 v[142:143], v[144:145], v[140:141], v[142:143]
	v_dual_mov_b32 v96, v140 :: v_dual_mov_b32 v97, v141
	v_add_f64 v[2:3], v[2:3], -v[142:143]
.LBB69_100:
	s_or_b32 exec_lo, exec_lo, s3
	s_delay_alu instid0(SALU_CYCLE_1)
	s_mov_b32 s4, exec_lo
	s_waitcnt_vscnt null, 0x0
	s_barrier
	buffer_gl0_inv
	v_cmpx_eq_u32_e32 11, v170
	s_cbranch_execz .LBB69_107
; %bb.101:
	ds_store_2addr_b64 v171, v[92:93], v[94:95] offset1:1
	ds_store_2addr_b64 v172, v[88:89], v[90:91] offset0:24 offset1:25
	ds_store_2addr_b64 v172, v[84:85], v[86:87] offset0:26 offset1:27
	;; [unrolled: 1-line block ×23, first 2 shown]
	ds_load_2addr_b64 v[140:143], v171 offset1:1
	s_waitcnt lgkmcnt(0)
	v_cmp_neq_f64_e32 vcc_lo, 0, v[140:141]
	v_cmp_neq_f64_e64 s3, 0, v[142:143]
	s_delay_alu instid0(VALU_DEP_1) | instskip(NEXT) | instid1(SALU_CYCLE_1)
	s_or_b32 s3, vcc_lo, s3
	s_and_b32 exec_lo, exec_lo, s3
	s_cbranch_execz .LBB69_107
; %bb.102:
	v_cmp_gt_f64_e32 vcc_lo, 0, v[140:141]
	v_xor_b32_e32 v144, 0x80000000, v141
	v_xor_b32_e32 v146, 0x80000000, v143
	s_mov_b32 s3, exec_lo
                                        ; implicit-def: $vgpr148_vgpr149
	s_delay_alu instid0(VALU_DEP_2) | instskip(SKIP_4) | instid1(VALU_DEP_1)
	v_cndmask_b32_e32 v145, v141, v144, vcc_lo
	v_cndmask_b32_e32 v144, v140, v140, vcc_lo
	v_cmp_gt_f64_e32 vcc_lo, 0, v[142:143]
	v_cndmask_b32_e32 v147, v143, v146, vcc_lo
	v_cndmask_b32_e32 v146, v142, v142, vcc_lo
	v_cmpx_ngt_f64_e32 v[144:145], v[146:147]
	s_xor_b32 s3, exec_lo, s3
                                        ; implicit-def: $vgpr144_vgpr145_vgpr146_vgpr147
	s_cbranch_execz .LBB69_104
; %bb.103:
	v_div_scale_f64 v[144:145], null, v[142:143], v[142:143], v[140:141]
	v_div_scale_f64 v[150:151], vcc_lo, v[140:141], v[142:143], v[140:141]
	s_delay_alu instid0(VALU_DEP_2) | instskip(SKIP_2) | instid1(VALU_DEP_1)
	v_rcp_f64_e32 v[146:147], v[144:145]
	s_waitcnt_depctr 0xfff
	v_fma_f64 v[148:149], -v[144:145], v[146:147], 1.0
	v_fma_f64 v[146:147], v[146:147], v[148:149], v[146:147]
	s_delay_alu instid0(VALU_DEP_1) | instskip(NEXT) | instid1(VALU_DEP_1)
	v_fma_f64 v[148:149], -v[144:145], v[146:147], 1.0
	v_fma_f64 v[146:147], v[146:147], v[148:149], v[146:147]
	s_delay_alu instid0(VALU_DEP_1) | instskip(NEXT) | instid1(VALU_DEP_1)
	v_mul_f64 v[148:149], v[150:151], v[146:147]
	v_fma_f64 v[144:145], -v[144:145], v[148:149], v[150:151]
	s_delay_alu instid0(VALU_DEP_1) | instskip(NEXT) | instid1(VALU_DEP_1)
	v_div_fmas_f64 v[144:145], v[144:145], v[146:147], v[148:149]
	v_div_fixup_f64 v[144:145], v[144:145], v[142:143], v[140:141]
	s_delay_alu instid0(VALU_DEP_1) | instskip(NEXT) | instid1(VALU_DEP_1)
	v_fma_f64 v[140:141], v[140:141], v[144:145], v[142:143]
	v_div_scale_f64 v[142:143], null, v[140:141], v[140:141], 1.0
	s_delay_alu instid0(VALU_DEP_1) | instskip(SKIP_2) | instid1(VALU_DEP_1)
	v_rcp_f64_e32 v[146:147], v[142:143]
	s_waitcnt_depctr 0xfff
	v_fma_f64 v[148:149], -v[142:143], v[146:147], 1.0
	v_fma_f64 v[146:147], v[146:147], v[148:149], v[146:147]
	s_delay_alu instid0(VALU_DEP_1) | instskip(NEXT) | instid1(VALU_DEP_1)
	v_fma_f64 v[148:149], -v[142:143], v[146:147], 1.0
	v_fma_f64 v[146:147], v[146:147], v[148:149], v[146:147]
	v_div_scale_f64 v[148:149], vcc_lo, 1.0, v[140:141], 1.0
	s_delay_alu instid0(VALU_DEP_1) | instskip(NEXT) | instid1(VALU_DEP_1)
	v_mul_f64 v[150:151], v[148:149], v[146:147]
	v_fma_f64 v[142:143], -v[142:143], v[150:151], v[148:149]
	s_delay_alu instid0(VALU_DEP_1) | instskip(NEXT) | instid1(VALU_DEP_1)
	v_div_fmas_f64 v[142:143], v[142:143], v[146:147], v[150:151]
	v_div_fixup_f64 v[146:147], v[142:143], v[140:141], 1.0
                                        ; implicit-def: $vgpr140_vgpr141
	s_delay_alu instid0(VALU_DEP_1)
	v_mul_f64 v[148:149], v[144:145], v[146:147]
	v_xor_b32_e32 v147, 0x80000000, v147
.LBB69_104:
	s_and_not1_saveexec_b32 s3, s3
	s_cbranch_execz .LBB69_106
; %bb.105:
	v_div_scale_f64 v[144:145], null, v[140:141], v[140:141], v[142:143]
	v_div_scale_f64 v[150:151], vcc_lo, v[142:143], v[140:141], v[142:143]
	s_delay_alu instid0(VALU_DEP_2) | instskip(SKIP_2) | instid1(VALU_DEP_1)
	v_rcp_f64_e32 v[146:147], v[144:145]
	s_waitcnt_depctr 0xfff
	v_fma_f64 v[148:149], -v[144:145], v[146:147], 1.0
	v_fma_f64 v[146:147], v[146:147], v[148:149], v[146:147]
	s_delay_alu instid0(VALU_DEP_1) | instskip(NEXT) | instid1(VALU_DEP_1)
	v_fma_f64 v[148:149], -v[144:145], v[146:147], 1.0
	v_fma_f64 v[146:147], v[146:147], v[148:149], v[146:147]
	s_delay_alu instid0(VALU_DEP_1) | instskip(NEXT) | instid1(VALU_DEP_1)
	v_mul_f64 v[148:149], v[150:151], v[146:147]
	v_fma_f64 v[144:145], -v[144:145], v[148:149], v[150:151]
	s_delay_alu instid0(VALU_DEP_1) | instskip(NEXT) | instid1(VALU_DEP_1)
	v_div_fmas_f64 v[144:145], v[144:145], v[146:147], v[148:149]
	v_div_fixup_f64 v[144:145], v[144:145], v[140:141], v[142:143]
	s_delay_alu instid0(VALU_DEP_1) | instskip(NEXT) | instid1(VALU_DEP_1)
	v_fma_f64 v[140:141], v[142:143], v[144:145], v[140:141]
	v_div_scale_f64 v[142:143], null, v[140:141], v[140:141], 1.0
	s_delay_alu instid0(VALU_DEP_1) | instskip(SKIP_2) | instid1(VALU_DEP_1)
	v_rcp_f64_e32 v[146:147], v[142:143]
	s_waitcnt_depctr 0xfff
	v_fma_f64 v[148:149], -v[142:143], v[146:147], 1.0
	v_fma_f64 v[146:147], v[146:147], v[148:149], v[146:147]
	s_delay_alu instid0(VALU_DEP_1) | instskip(NEXT) | instid1(VALU_DEP_1)
	v_fma_f64 v[148:149], -v[142:143], v[146:147], 1.0
	v_fma_f64 v[146:147], v[146:147], v[148:149], v[146:147]
	v_div_scale_f64 v[148:149], vcc_lo, 1.0, v[140:141], 1.0
	s_delay_alu instid0(VALU_DEP_1) | instskip(NEXT) | instid1(VALU_DEP_1)
	v_mul_f64 v[150:151], v[148:149], v[146:147]
	v_fma_f64 v[142:143], -v[142:143], v[150:151], v[148:149]
	s_delay_alu instid0(VALU_DEP_1) | instskip(NEXT) | instid1(VALU_DEP_1)
	v_div_fmas_f64 v[142:143], v[142:143], v[146:147], v[150:151]
	v_div_fixup_f64 v[148:149], v[142:143], v[140:141], 1.0
	s_delay_alu instid0(VALU_DEP_1)
	v_mul_f64 v[146:147], v[144:145], -v[148:149]
.LBB69_106:
	s_or_b32 exec_lo, exec_lo, s3
	ds_store_2addr_b64 v171, v[148:149], v[146:147] offset1:1
.LBB69_107:
	s_or_b32 exec_lo, exec_lo, s4
	s_waitcnt lgkmcnt(0)
	s_barrier
	buffer_gl0_inv
	ds_load_2addr_b64 v[140:143], v171 offset1:1
	s_mov_b32 s3, exec_lo
	s_waitcnt lgkmcnt(0)
	scratch_store_b128 off, v[140:143], off offset:296 ; 16-byte Folded Spill
	v_cmpx_lt_u32_e32 11, v170
	s_cbranch_execz .LBB69_109
; %bb.108:
	scratch_load_b128 v[142:145], off, off offset:296 ; 16-byte Folded Reload
	s_waitcnt vmcnt(0)
	v_mul_f64 v[140:141], v[144:145], v[94:95]
	v_mul_f64 v[94:95], v[142:143], v[94:95]
	s_delay_alu instid0(VALU_DEP_2) | instskip(NEXT) | instid1(VALU_DEP_2)
	v_fma_f64 v[140:141], v[142:143], v[92:93], -v[140:141]
	v_fma_f64 v[94:95], v[144:145], v[92:93], v[94:95]
	ds_load_2addr_b64 v[142:145], v172 offset0:24 offset1:25
	s_waitcnt lgkmcnt(0)
	v_mul_f64 v[92:93], v[144:145], v[94:95]
	s_delay_alu instid0(VALU_DEP_1) | instskip(SKIP_1) | instid1(VALU_DEP_2)
	v_fma_f64 v[92:93], v[142:143], v[140:141], -v[92:93]
	v_mul_f64 v[142:143], v[142:143], v[94:95]
	v_add_f64 v[88:89], v[88:89], -v[92:93]
	s_delay_alu instid0(VALU_DEP_2) | instskip(NEXT) | instid1(VALU_DEP_1)
	v_fma_f64 v[142:143], v[144:145], v[140:141], v[142:143]
	v_add_f64 v[90:91], v[90:91], -v[142:143]
	ds_load_2addr_b64 v[142:145], v172 offset0:26 offset1:27
	s_waitcnt lgkmcnt(0)
	v_mul_f64 v[92:93], v[144:145], v[94:95]
	s_delay_alu instid0(VALU_DEP_1) | instskip(SKIP_1) | instid1(VALU_DEP_2)
	v_fma_f64 v[92:93], v[142:143], v[140:141], -v[92:93]
	v_mul_f64 v[142:143], v[142:143], v[94:95]
	v_add_f64 v[84:85], v[84:85], -v[92:93]
	s_delay_alu instid0(VALU_DEP_2) | instskip(NEXT) | instid1(VALU_DEP_1)
	v_fma_f64 v[142:143], v[144:145], v[140:141], v[142:143]
	v_add_f64 v[86:87], v[86:87], -v[142:143]
	;; [unrolled: 10-line block ×22, first 2 shown]
	ds_load_2addr_b64 v[142:145], v172 offset0:68 offset1:69
	s_waitcnt lgkmcnt(0)
	v_mul_f64 v[92:93], v[144:145], v[94:95]
	s_delay_alu instid0(VALU_DEP_1) | instskip(SKIP_1) | instid1(VALU_DEP_2)
	v_fma_f64 v[92:93], v[142:143], v[140:141], -v[92:93]
	v_mul_f64 v[142:143], v[142:143], v[94:95]
	v_add_f64 v[0:1], v[0:1], -v[92:93]
	s_delay_alu instid0(VALU_DEP_2) | instskip(SKIP_1) | instid1(VALU_DEP_2)
	v_fma_f64 v[142:143], v[144:145], v[140:141], v[142:143]
	v_dual_mov_b32 v92, v140 :: v_dual_mov_b32 v93, v141
	v_add_f64 v[2:3], v[2:3], -v[142:143]
.LBB69_109:
	s_or_b32 exec_lo, exec_lo, s3
	s_delay_alu instid0(SALU_CYCLE_1)
	s_mov_b32 s4, exec_lo
	s_waitcnt_vscnt null, 0x0
	s_barrier
	buffer_gl0_inv
	v_cmpx_eq_u32_e32 12, v170
	s_cbranch_execz .LBB69_116
; %bb.110:
	ds_store_2addr_b64 v171, v[88:89], v[90:91] offset1:1
	ds_store_2addr_b64 v172, v[84:85], v[86:87] offset0:26 offset1:27
	ds_store_2addr_b64 v172, v[80:81], v[82:83] offset0:28 offset1:29
	;; [unrolled: 1-line block ×22, first 2 shown]
	ds_load_2addr_b64 v[140:143], v171 offset1:1
	s_waitcnt lgkmcnt(0)
	v_cmp_neq_f64_e32 vcc_lo, 0, v[140:141]
	v_cmp_neq_f64_e64 s3, 0, v[142:143]
	s_delay_alu instid0(VALU_DEP_1) | instskip(NEXT) | instid1(SALU_CYCLE_1)
	s_or_b32 s3, vcc_lo, s3
	s_and_b32 exec_lo, exec_lo, s3
	s_cbranch_execz .LBB69_116
; %bb.111:
	v_cmp_gt_f64_e32 vcc_lo, 0, v[140:141]
	v_xor_b32_e32 v144, 0x80000000, v141
	v_xor_b32_e32 v146, 0x80000000, v143
	s_mov_b32 s3, exec_lo
                                        ; implicit-def: $vgpr148_vgpr149
	s_delay_alu instid0(VALU_DEP_2) | instskip(SKIP_4) | instid1(VALU_DEP_1)
	v_cndmask_b32_e32 v145, v141, v144, vcc_lo
	v_cndmask_b32_e32 v144, v140, v140, vcc_lo
	v_cmp_gt_f64_e32 vcc_lo, 0, v[142:143]
	v_cndmask_b32_e32 v147, v143, v146, vcc_lo
	v_cndmask_b32_e32 v146, v142, v142, vcc_lo
	v_cmpx_ngt_f64_e32 v[144:145], v[146:147]
	s_xor_b32 s3, exec_lo, s3
                                        ; implicit-def: $vgpr144_vgpr145_vgpr146_vgpr147
	s_cbranch_execz .LBB69_113
; %bb.112:
	v_div_scale_f64 v[144:145], null, v[142:143], v[142:143], v[140:141]
	v_div_scale_f64 v[150:151], vcc_lo, v[140:141], v[142:143], v[140:141]
	s_delay_alu instid0(VALU_DEP_2) | instskip(SKIP_2) | instid1(VALU_DEP_1)
	v_rcp_f64_e32 v[146:147], v[144:145]
	s_waitcnt_depctr 0xfff
	v_fma_f64 v[148:149], -v[144:145], v[146:147], 1.0
	v_fma_f64 v[146:147], v[146:147], v[148:149], v[146:147]
	s_delay_alu instid0(VALU_DEP_1) | instskip(NEXT) | instid1(VALU_DEP_1)
	v_fma_f64 v[148:149], -v[144:145], v[146:147], 1.0
	v_fma_f64 v[146:147], v[146:147], v[148:149], v[146:147]
	s_delay_alu instid0(VALU_DEP_1) | instskip(NEXT) | instid1(VALU_DEP_1)
	v_mul_f64 v[148:149], v[150:151], v[146:147]
	v_fma_f64 v[144:145], -v[144:145], v[148:149], v[150:151]
	s_delay_alu instid0(VALU_DEP_1) | instskip(NEXT) | instid1(VALU_DEP_1)
	v_div_fmas_f64 v[144:145], v[144:145], v[146:147], v[148:149]
	v_div_fixup_f64 v[144:145], v[144:145], v[142:143], v[140:141]
	s_delay_alu instid0(VALU_DEP_1) | instskip(NEXT) | instid1(VALU_DEP_1)
	v_fma_f64 v[140:141], v[140:141], v[144:145], v[142:143]
	v_div_scale_f64 v[142:143], null, v[140:141], v[140:141], 1.0
	s_delay_alu instid0(VALU_DEP_1) | instskip(SKIP_2) | instid1(VALU_DEP_1)
	v_rcp_f64_e32 v[146:147], v[142:143]
	s_waitcnt_depctr 0xfff
	v_fma_f64 v[148:149], -v[142:143], v[146:147], 1.0
	v_fma_f64 v[146:147], v[146:147], v[148:149], v[146:147]
	s_delay_alu instid0(VALU_DEP_1) | instskip(NEXT) | instid1(VALU_DEP_1)
	v_fma_f64 v[148:149], -v[142:143], v[146:147], 1.0
	v_fma_f64 v[146:147], v[146:147], v[148:149], v[146:147]
	v_div_scale_f64 v[148:149], vcc_lo, 1.0, v[140:141], 1.0
	s_delay_alu instid0(VALU_DEP_1) | instskip(NEXT) | instid1(VALU_DEP_1)
	v_mul_f64 v[150:151], v[148:149], v[146:147]
	v_fma_f64 v[142:143], -v[142:143], v[150:151], v[148:149]
	s_delay_alu instid0(VALU_DEP_1) | instskip(NEXT) | instid1(VALU_DEP_1)
	v_div_fmas_f64 v[142:143], v[142:143], v[146:147], v[150:151]
	v_div_fixup_f64 v[146:147], v[142:143], v[140:141], 1.0
                                        ; implicit-def: $vgpr140_vgpr141
	s_delay_alu instid0(VALU_DEP_1)
	v_mul_f64 v[148:149], v[144:145], v[146:147]
	v_xor_b32_e32 v147, 0x80000000, v147
.LBB69_113:
	s_and_not1_saveexec_b32 s3, s3
	s_cbranch_execz .LBB69_115
; %bb.114:
	v_div_scale_f64 v[144:145], null, v[140:141], v[140:141], v[142:143]
	v_div_scale_f64 v[150:151], vcc_lo, v[142:143], v[140:141], v[142:143]
	s_delay_alu instid0(VALU_DEP_2) | instskip(SKIP_2) | instid1(VALU_DEP_1)
	v_rcp_f64_e32 v[146:147], v[144:145]
	s_waitcnt_depctr 0xfff
	v_fma_f64 v[148:149], -v[144:145], v[146:147], 1.0
	v_fma_f64 v[146:147], v[146:147], v[148:149], v[146:147]
	s_delay_alu instid0(VALU_DEP_1) | instskip(NEXT) | instid1(VALU_DEP_1)
	v_fma_f64 v[148:149], -v[144:145], v[146:147], 1.0
	v_fma_f64 v[146:147], v[146:147], v[148:149], v[146:147]
	s_delay_alu instid0(VALU_DEP_1) | instskip(NEXT) | instid1(VALU_DEP_1)
	v_mul_f64 v[148:149], v[150:151], v[146:147]
	v_fma_f64 v[144:145], -v[144:145], v[148:149], v[150:151]
	s_delay_alu instid0(VALU_DEP_1) | instskip(NEXT) | instid1(VALU_DEP_1)
	v_div_fmas_f64 v[144:145], v[144:145], v[146:147], v[148:149]
	v_div_fixup_f64 v[144:145], v[144:145], v[140:141], v[142:143]
	s_delay_alu instid0(VALU_DEP_1) | instskip(NEXT) | instid1(VALU_DEP_1)
	v_fma_f64 v[140:141], v[142:143], v[144:145], v[140:141]
	v_div_scale_f64 v[142:143], null, v[140:141], v[140:141], 1.0
	s_delay_alu instid0(VALU_DEP_1) | instskip(SKIP_2) | instid1(VALU_DEP_1)
	v_rcp_f64_e32 v[146:147], v[142:143]
	s_waitcnt_depctr 0xfff
	v_fma_f64 v[148:149], -v[142:143], v[146:147], 1.0
	v_fma_f64 v[146:147], v[146:147], v[148:149], v[146:147]
	s_delay_alu instid0(VALU_DEP_1) | instskip(NEXT) | instid1(VALU_DEP_1)
	v_fma_f64 v[148:149], -v[142:143], v[146:147], 1.0
	v_fma_f64 v[146:147], v[146:147], v[148:149], v[146:147]
	v_div_scale_f64 v[148:149], vcc_lo, 1.0, v[140:141], 1.0
	s_delay_alu instid0(VALU_DEP_1) | instskip(NEXT) | instid1(VALU_DEP_1)
	v_mul_f64 v[150:151], v[148:149], v[146:147]
	v_fma_f64 v[142:143], -v[142:143], v[150:151], v[148:149]
	s_delay_alu instid0(VALU_DEP_1) | instskip(NEXT) | instid1(VALU_DEP_1)
	v_div_fmas_f64 v[142:143], v[142:143], v[146:147], v[150:151]
	v_div_fixup_f64 v[148:149], v[142:143], v[140:141], 1.0
	s_delay_alu instid0(VALU_DEP_1)
	v_mul_f64 v[146:147], v[144:145], -v[148:149]
.LBB69_115:
	s_or_b32 exec_lo, exec_lo, s3
	ds_store_2addr_b64 v171, v[148:149], v[146:147] offset1:1
.LBB69_116:
	s_or_b32 exec_lo, exec_lo, s4
	s_waitcnt lgkmcnt(0)
	s_barrier
	buffer_gl0_inv
	ds_load_2addr_b64 v[140:143], v171 offset1:1
	s_mov_b32 s3, exec_lo
	s_waitcnt lgkmcnt(0)
	scratch_store_b128 off, v[140:143], off offset:312 ; 16-byte Folded Spill
	v_cmpx_lt_u32_e32 12, v170
	s_cbranch_execz .LBB69_118
; %bb.117:
	scratch_load_b128 v[142:145], off, off offset:312 ; 16-byte Folded Reload
	s_waitcnt vmcnt(0)
	v_mul_f64 v[140:141], v[144:145], v[90:91]
	v_mul_f64 v[90:91], v[142:143], v[90:91]
	s_delay_alu instid0(VALU_DEP_2) | instskip(NEXT) | instid1(VALU_DEP_2)
	v_fma_f64 v[140:141], v[142:143], v[88:89], -v[140:141]
	v_fma_f64 v[90:91], v[144:145], v[88:89], v[90:91]
	ds_load_2addr_b64 v[142:145], v172 offset0:26 offset1:27
	s_waitcnt lgkmcnt(0)
	v_mul_f64 v[88:89], v[144:145], v[90:91]
	s_delay_alu instid0(VALU_DEP_1) | instskip(SKIP_1) | instid1(VALU_DEP_2)
	v_fma_f64 v[88:89], v[142:143], v[140:141], -v[88:89]
	v_mul_f64 v[142:143], v[142:143], v[90:91]
	v_add_f64 v[84:85], v[84:85], -v[88:89]
	s_delay_alu instid0(VALU_DEP_2) | instskip(NEXT) | instid1(VALU_DEP_1)
	v_fma_f64 v[142:143], v[144:145], v[140:141], v[142:143]
	v_add_f64 v[86:87], v[86:87], -v[142:143]
	ds_load_2addr_b64 v[142:145], v172 offset0:28 offset1:29
	s_waitcnt lgkmcnt(0)
	v_mul_f64 v[88:89], v[144:145], v[90:91]
	s_delay_alu instid0(VALU_DEP_1) | instskip(SKIP_1) | instid1(VALU_DEP_2)
	v_fma_f64 v[88:89], v[142:143], v[140:141], -v[88:89]
	v_mul_f64 v[142:143], v[142:143], v[90:91]
	v_add_f64 v[80:81], v[80:81], -v[88:89]
	s_delay_alu instid0(VALU_DEP_2) | instskip(NEXT) | instid1(VALU_DEP_1)
	v_fma_f64 v[142:143], v[144:145], v[140:141], v[142:143]
	v_add_f64 v[82:83], v[82:83], -v[142:143]
	;; [unrolled: 10-line block ×21, first 2 shown]
	ds_load_2addr_b64 v[142:145], v172 offset0:68 offset1:69
	s_waitcnt lgkmcnt(0)
	v_mul_f64 v[88:89], v[144:145], v[90:91]
	s_delay_alu instid0(VALU_DEP_1) | instskip(SKIP_1) | instid1(VALU_DEP_2)
	v_fma_f64 v[88:89], v[142:143], v[140:141], -v[88:89]
	v_mul_f64 v[142:143], v[142:143], v[90:91]
	v_add_f64 v[0:1], v[0:1], -v[88:89]
	s_delay_alu instid0(VALU_DEP_2) | instskip(SKIP_1) | instid1(VALU_DEP_2)
	v_fma_f64 v[142:143], v[144:145], v[140:141], v[142:143]
	v_dual_mov_b32 v88, v140 :: v_dual_mov_b32 v89, v141
	v_add_f64 v[2:3], v[2:3], -v[142:143]
.LBB69_118:
	s_or_b32 exec_lo, exec_lo, s3
	s_delay_alu instid0(SALU_CYCLE_1)
	s_mov_b32 s4, exec_lo
	s_waitcnt_vscnt null, 0x0
	s_barrier
	buffer_gl0_inv
	v_cmpx_eq_u32_e32 13, v170
	s_cbranch_execz .LBB69_125
; %bb.119:
	ds_store_2addr_b64 v171, v[84:85], v[86:87] offset1:1
	ds_store_2addr_b64 v172, v[80:81], v[82:83] offset0:28 offset1:29
	ds_store_2addr_b64 v172, v[76:77], v[78:79] offset0:30 offset1:31
	;; [unrolled: 1-line block ×21, first 2 shown]
	ds_load_2addr_b64 v[140:143], v171 offset1:1
	s_waitcnt lgkmcnt(0)
	v_cmp_neq_f64_e32 vcc_lo, 0, v[140:141]
	v_cmp_neq_f64_e64 s3, 0, v[142:143]
	s_delay_alu instid0(VALU_DEP_1) | instskip(NEXT) | instid1(SALU_CYCLE_1)
	s_or_b32 s3, vcc_lo, s3
	s_and_b32 exec_lo, exec_lo, s3
	s_cbranch_execz .LBB69_125
; %bb.120:
	v_cmp_gt_f64_e32 vcc_lo, 0, v[140:141]
	v_xor_b32_e32 v144, 0x80000000, v141
	v_xor_b32_e32 v146, 0x80000000, v143
	s_mov_b32 s3, exec_lo
                                        ; implicit-def: $vgpr148_vgpr149
	s_delay_alu instid0(VALU_DEP_2) | instskip(SKIP_4) | instid1(VALU_DEP_1)
	v_cndmask_b32_e32 v145, v141, v144, vcc_lo
	v_cndmask_b32_e32 v144, v140, v140, vcc_lo
	v_cmp_gt_f64_e32 vcc_lo, 0, v[142:143]
	v_cndmask_b32_e32 v147, v143, v146, vcc_lo
	v_cndmask_b32_e32 v146, v142, v142, vcc_lo
	v_cmpx_ngt_f64_e32 v[144:145], v[146:147]
	s_xor_b32 s3, exec_lo, s3
                                        ; implicit-def: $vgpr144_vgpr145_vgpr146_vgpr147
	s_cbranch_execz .LBB69_122
; %bb.121:
	v_div_scale_f64 v[144:145], null, v[142:143], v[142:143], v[140:141]
	v_div_scale_f64 v[150:151], vcc_lo, v[140:141], v[142:143], v[140:141]
	s_delay_alu instid0(VALU_DEP_2) | instskip(SKIP_2) | instid1(VALU_DEP_1)
	v_rcp_f64_e32 v[146:147], v[144:145]
	s_waitcnt_depctr 0xfff
	v_fma_f64 v[148:149], -v[144:145], v[146:147], 1.0
	v_fma_f64 v[146:147], v[146:147], v[148:149], v[146:147]
	s_delay_alu instid0(VALU_DEP_1) | instskip(NEXT) | instid1(VALU_DEP_1)
	v_fma_f64 v[148:149], -v[144:145], v[146:147], 1.0
	v_fma_f64 v[146:147], v[146:147], v[148:149], v[146:147]
	s_delay_alu instid0(VALU_DEP_1) | instskip(NEXT) | instid1(VALU_DEP_1)
	v_mul_f64 v[148:149], v[150:151], v[146:147]
	v_fma_f64 v[144:145], -v[144:145], v[148:149], v[150:151]
	s_delay_alu instid0(VALU_DEP_1) | instskip(NEXT) | instid1(VALU_DEP_1)
	v_div_fmas_f64 v[144:145], v[144:145], v[146:147], v[148:149]
	v_div_fixup_f64 v[144:145], v[144:145], v[142:143], v[140:141]
	s_delay_alu instid0(VALU_DEP_1) | instskip(NEXT) | instid1(VALU_DEP_1)
	v_fma_f64 v[140:141], v[140:141], v[144:145], v[142:143]
	v_div_scale_f64 v[142:143], null, v[140:141], v[140:141], 1.0
	s_delay_alu instid0(VALU_DEP_1) | instskip(SKIP_2) | instid1(VALU_DEP_1)
	v_rcp_f64_e32 v[146:147], v[142:143]
	s_waitcnt_depctr 0xfff
	v_fma_f64 v[148:149], -v[142:143], v[146:147], 1.0
	v_fma_f64 v[146:147], v[146:147], v[148:149], v[146:147]
	s_delay_alu instid0(VALU_DEP_1) | instskip(NEXT) | instid1(VALU_DEP_1)
	v_fma_f64 v[148:149], -v[142:143], v[146:147], 1.0
	v_fma_f64 v[146:147], v[146:147], v[148:149], v[146:147]
	v_div_scale_f64 v[148:149], vcc_lo, 1.0, v[140:141], 1.0
	s_delay_alu instid0(VALU_DEP_1) | instskip(NEXT) | instid1(VALU_DEP_1)
	v_mul_f64 v[150:151], v[148:149], v[146:147]
	v_fma_f64 v[142:143], -v[142:143], v[150:151], v[148:149]
	s_delay_alu instid0(VALU_DEP_1) | instskip(NEXT) | instid1(VALU_DEP_1)
	v_div_fmas_f64 v[142:143], v[142:143], v[146:147], v[150:151]
	v_div_fixup_f64 v[146:147], v[142:143], v[140:141], 1.0
                                        ; implicit-def: $vgpr140_vgpr141
	s_delay_alu instid0(VALU_DEP_1)
	v_mul_f64 v[148:149], v[144:145], v[146:147]
	v_xor_b32_e32 v147, 0x80000000, v147
.LBB69_122:
	s_and_not1_saveexec_b32 s3, s3
	s_cbranch_execz .LBB69_124
; %bb.123:
	v_div_scale_f64 v[144:145], null, v[140:141], v[140:141], v[142:143]
	v_div_scale_f64 v[150:151], vcc_lo, v[142:143], v[140:141], v[142:143]
	s_delay_alu instid0(VALU_DEP_2) | instskip(SKIP_2) | instid1(VALU_DEP_1)
	v_rcp_f64_e32 v[146:147], v[144:145]
	s_waitcnt_depctr 0xfff
	v_fma_f64 v[148:149], -v[144:145], v[146:147], 1.0
	v_fma_f64 v[146:147], v[146:147], v[148:149], v[146:147]
	s_delay_alu instid0(VALU_DEP_1) | instskip(NEXT) | instid1(VALU_DEP_1)
	v_fma_f64 v[148:149], -v[144:145], v[146:147], 1.0
	v_fma_f64 v[146:147], v[146:147], v[148:149], v[146:147]
	s_delay_alu instid0(VALU_DEP_1) | instskip(NEXT) | instid1(VALU_DEP_1)
	v_mul_f64 v[148:149], v[150:151], v[146:147]
	v_fma_f64 v[144:145], -v[144:145], v[148:149], v[150:151]
	s_delay_alu instid0(VALU_DEP_1) | instskip(NEXT) | instid1(VALU_DEP_1)
	v_div_fmas_f64 v[144:145], v[144:145], v[146:147], v[148:149]
	v_div_fixup_f64 v[144:145], v[144:145], v[140:141], v[142:143]
	s_delay_alu instid0(VALU_DEP_1) | instskip(NEXT) | instid1(VALU_DEP_1)
	v_fma_f64 v[140:141], v[142:143], v[144:145], v[140:141]
	v_div_scale_f64 v[142:143], null, v[140:141], v[140:141], 1.0
	s_delay_alu instid0(VALU_DEP_1) | instskip(SKIP_2) | instid1(VALU_DEP_1)
	v_rcp_f64_e32 v[146:147], v[142:143]
	s_waitcnt_depctr 0xfff
	v_fma_f64 v[148:149], -v[142:143], v[146:147], 1.0
	v_fma_f64 v[146:147], v[146:147], v[148:149], v[146:147]
	s_delay_alu instid0(VALU_DEP_1) | instskip(NEXT) | instid1(VALU_DEP_1)
	v_fma_f64 v[148:149], -v[142:143], v[146:147], 1.0
	v_fma_f64 v[146:147], v[146:147], v[148:149], v[146:147]
	v_div_scale_f64 v[148:149], vcc_lo, 1.0, v[140:141], 1.0
	s_delay_alu instid0(VALU_DEP_1) | instskip(NEXT) | instid1(VALU_DEP_1)
	v_mul_f64 v[150:151], v[148:149], v[146:147]
	v_fma_f64 v[142:143], -v[142:143], v[150:151], v[148:149]
	s_delay_alu instid0(VALU_DEP_1) | instskip(NEXT) | instid1(VALU_DEP_1)
	v_div_fmas_f64 v[142:143], v[142:143], v[146:147], v[150:151]
	v_div_fixup_f64 v[148:149], v[142:143], v[140:141], 1.0
	s_delay_alu instid0(VALU_DEP_1)
	v_mul_f64 v[146:147], v[144:145], -v[148:149]
.LBB69_124:
	s_or_b32 exec_lo, exec_lo, s3
	ds_store_2addr_b64 v171, v[148:149], v[146:147] offset1:1
.LBB69_125:
	s_or_b32 exec_lo, exec_lo, s4
	s_waitcnt lgkmcnt(0)
	s_barrier
	buffer_gl0_inv
	ds_load_2addr_b64 v[140:143], v171 offset1:1
	s_mov_b32 s3, exec_lo
	s_waitcnt lgkmcnt(0)
	scratch_store_b128 off, v[140:143], off offset:328 ; 16-byte Folded Spill
	v_cmpx_lt_u32_e32 13, v170
	s_cbranch_execz .LBB69_127
; %bb.126:
	scratch_load_b128 v[142:145], off, off offset:328 ; 16-byte Folded Reload
	s_waitcnt vmcnt(0)
	v_mul_f64 v[140:141], v[144:145], v[86:87]
	v_mul_f64 v[86:87], v[142:143], v[86:87]
	s_delay_alu instid0(VALU_DEP_2) | instskip(NEXT) | instid1(VALU_DEP_2)
	v_fma_f64 v[140:141], v[142:143], v[84:85], -v[140:141]
	v_fma_f64 v[86:87], v[144:145], v[84:85], v[86:87]
	ds_load_2addr_b64 v[142:145], v172 offset0:28 offset1:29
	s_waitcnt lgkmcnt(0)
	v_mul_f64 v[84:85], v[144:145], v[86:87]
	s_delay_alu instid0(VALU_DEP_1) | instskip(SKIP_1) | instid1(VALU_DEP_2)
	v_fma_f64 v[84:85], v[142:143], v[140:141], -v[84:85]
	v_mul_f64 v[142:143], v[142:143], v[86:87]
	v_add_f64 v[80:81], v[80:81], -v[84:85]
	s_delay_alu instid0(VALU_DEP_2) | instskip(NEXT) | instid1(VALU_DEP_1)
	v_fma_f64 v[142:143], v[144:145], v[140:141], v[142:143]
	v_add_f64 v[82:83], v[82:83], -v[142:143]
	ds_load_2addr_b64 v[142:145], v172 offset0:30 offset1:31
	s_waitcnt lgkmcnt(0)
	v_mul_f64 v[84:85], v[144:145], v[86:87]
	s_delay_alu instid0(VALU_DEP_1) | instskip(SKIP_1) | instid1(VALU_DEP_2)
	v_fma_f64 v[84:85], v[142:143], v[140:141], -v[84:85]
	v_mul_f64 v[142:143], v[142:143], v[86:87]
	v_add_f64 v[76:77], v[76:77], -v[84:85]
	s_delay_alu instid0(VALU_DEP_2) | instskip(NEXT) | instid1(VALU_DEP_1)
	v_fma_f64 v[142:143], v[144:145], v[140:141], v[142:143]
	v_add_f64 v[78:79], v[78:79], -v[142:143]
	;; [unrolled: 10-line block ×20, first 2 shown]
	ds_load_2addr_b64 v[142:145], v172 offset0:68 offset1:69
	s_waitcnt lgkmcnt(0)
	v_mul_f64 v[84:85], v[144:145], v[86:87]
	s_delay_alu instid0(VALU_DEP_1) | instskip(SKIP_1) | instid1(VALU_DEP_2)
	v_fma_f64 v[84:85], v[142:143], v[140:141], -v[84:85]
	v_mul_f64 v[142:143], v[142:143], v[86:87]
	v_add_f64 v[0:1], v[0:1], -v[84:85]
	s_delay_alu instid0(VALU_DEP_2) | instskip(SKIP_1) | instid1(VALU_DEP_2)
	v_fma_f64 v[142:143], v[144:145], v[140:141], v[142:143]
	v_dual_mov_b32 v84, v140 :: v_dual_mov_b32 v85, v141
	v_add_f64 v[2:3], v[2:3], -v[142:143]
.LBB69_127:
	s_or_b32 exec_lo, exec_lo, s3
	s_delay_alu instid0(SALU_CYCLE_1)
	s_mov_b32 s4, exec_lo
	s_waitcnt_vscnt null, 0x0
	s_barrier
	buffer_gl0_inv
	v_cmpx_eq_u32_e32 14, v170
	s_cbranch_execz .LBB69_134
; %bb.128:
	ds_store_2addr_b64 v171, v[80:81], v[82:83] offset1:1
	ds_store_2addr_b64 v172, v[76:77], v[78:79] offset0:30 offset1:31
	ds_store_2addr_b64 v172, v[72:73], v[74:75] offset0:32 offset1:33
	;; [unrolled: 1-line block ×20, first 2 shown]
	ds_load_2addr_b64 v[140:143], v171 offset1:1
	s_waitcnt lgkmcnt(0)
	v_cmp_neq_f64_e32 vcc_lo, 0, v[140:141]
	v_cmp_neq_f64_e64 s3, 0, v[142:143]
	s_delay_alu instid0(VALU_DEP_1) | instskip(NEXT) | instid1(SALU_CYCLE_1)
	s_or_b32 s3, vcc_lo, s3
	s_and_b32 exec_lo, exec_lo, s3
	s_cbranch_execz .LBB69_134
; %bb.129:
	v_cmp_gt_f64_e32 vcc_lo, 0, v[140:141]
	v_xor_b32_e32 v144, 0x80000000, v141
	v_xor_b32_e32 v146, 0x80000000, v143
	s_mov_b32 s3, exec_lo
                                        ; implicit-def: $vgpr148_vgpr149
	s_delay_alu instid0(VALU_DEP_2) | instskip(SKIP_4) | instid1(VALU_DEP_1)
	v_cndmask_b32_e32 v145, v141, v144, vcc_lo
	v_cndmask_b32_e32 v144, v140, v140, vcc_lo
	v_cmp_gt_f64_e32 vcc_lo, 0, v[142:143]
	v_cndmask_b32_e32 v147, v143, v146, vcc_lo
	v_cndmask_b32_e32 v146, v142, v142, vcc_lo
	v_cmpx_ngt_f64_e32 v[144:145], v[146:147]
	s_xor_b32 s3, exec_lo, s3
                                        ; implicit-def: $vgpr144_vgpr145_vgpr146_vgpr147
	s_cbranch_execz .LBB69_131
; %bb.130:
	v_div_scale_f64 v[144:145], null, v[142:143], v[142:143], v[140:141]
	v_div_scale_f64 v[150:151], vcc_lo, v[140:141], v[142:143], v[140:141]
	s_delay_alu instid0(VALU_DEP_2) | instskip(SKIP_2) | instid1(VALU_DEP_1)
	v_rcp_f64_e32 v[146:147], v[144:145]
	s_waitcnt_depctr 0xfff
	v_fma_f64 v[148:149], -v[144:145], v[146:147], 1.0
	v_fma_f64 v[146:147], v[146:147], v[148:149], v[146:147]
	s_delay_alu instid0(VALU_DEP_1) | instskip(NEXT) | instid1(VALU_DEP_1)
	v_fma_f64 v[148:149], -v[144:145], v[146:147], 1.0
	v_fma_f64 v[146:147], v[146:147], v[148:149], v[146:147]
	s_delay_alu instid0(VALU_DEP_1) | instskip(NEXT) | instid1(VALU_DEP_1)
	v_mul_f64 v[148:149], v[150:151], v[146:147]
	v_fma_f64 v[144:145], -v[144:145], v[148:149], v[150:151]
	s_delay_alu instid0(VALU_DEP_1) | instskip(NEXT) | instid1(VALU_DEP_1)
	v_div_fmas_f64 v[144:145], v[144:145], v[146:147], v[148:149]
	v_div_fixup_f64 v[144:145], v[144:145], v[142:143], v[140:141]
	s_delay_alu instid0(VALU_DEP_1) | instskip(NEXT) | instid1(VALU_DEP_1)
	v_fma_f64 v[140:141], v[140:141], v[144:145], v[142:143]
	v_div_scale_f64 v[142:143], null, v[140:141], v[140:141], 1.0
	s_delay_alu instid0(VALU_DEP_1) | instskip(SKIP_2) | instid1(VALU_DEP_1)
	v_rcp_f64_e32 v[146:147], v[142:143]
	s_waitcnt_depctr 0xfff
	v_fma_f64 v[148:149], -v[142:143], v[146:147], 1.0
	v_fma_f64 v[146:147], v[146:147], v[148:149], v[146:147]
	s_delay_alu instid0(VALU_DEP_1) | instskip(NEXT) | instid1(VALU_DEP_1)
	v_fma_f64 v[148:149], -v[142:143], v[146:147], 1.0
	v_fma_f64 v[146:147], v[146:147], v[148:149], v[146:147]
	v_div_scale_f64 v[148:149], vcc_lo, 1.0, v[140:141], 1.0
	s_delay_alu instid0(VALU_DEP_1) | instskip(NEXT) | instid1(VALU_DEP_1)
	v_mul_f64 v[150:151], v[148:149], v[146:147]
	v_fma_f64 v[142:143], -v[142:143], v[150:151], v[148:149]
	s_delay_alu instid0(VALU_DEP_1) | instskip(NEXT) | instid1(VALU_DEP_1)
	v_div_fmas_f64 v[142:143], v[142:143], v[146:147], v[150:151]
	v_div_fixup_f64 v[146:147], v[142:143], v[140:141], 1.0
                                        ; implicit-def: $vgpr140_vgpr141
	s_delay_alu instid0(VALU_DEP_1)
	v_mul_f64 v[148:149], v[144:145], v[146:147]
	v_xor_b32_e32 v147, 0x80000000, v147
.LBB69_131:
	s_and_not1_saveexec_b32 s3, s3
	s_cbranch_execz .LBB69_133
; %bb.132:
	v_div_scale_f64 v[144:145], null, v[140:141], v[140:141], v[142:143]
	v_div_scale_f64 v[150:151], vcc_lo, v[142:143], v[140:141], v[142:143]
	s_delay_alu instid0(VALU_DEP_2) | instskip(SKIP_2) | instid1(VALU_DEP_1)
	v_rcp_f64_e32 v[146:147], v[144:145]
	s_waitcnt_depctr 0xfff
	v_fma_f64 v[148:149], -v[144:145], v[146:147], 1.0
	v_fma_f64 v[146:147], v[146:147], v[148:149], v[146:147]
	s_delay_alu instid0(VALU_DEP_1) | instskip(NEXT) | instid1(VALU_DEP_1)
	v_fma_f64 v[148:149], -v[144:145], v[146:147], 1.0
	v_fma_f64 v[146:147], v[146:147], v[148:149], v[146:147]
	s_delay_alu instid0(VALU_DEP_1) | instskip(NEXT) | instid1(VALU_DEP_1)
	v_mul_f64 v[148:149], v[150:151], v[146:147]
	v_fma_f64 v[144:145], -v[144:145], v[148:149], v[150:151]
	s_delay_alu instid0(VALU_DEP_1) | instskip(NEXT) | instid1(VALU_DEP_1)
	v_div_fmas_f64 v[144:145], v[144:145], v[146:147], v[148:149]
	v_div_fixup_f64 v[144:145], v[144:145], v[140:141], v[142:143]
	s_delay_alu instid0(VALU_DEP_1) | instskip(NEXT) | instid1(VALU_DEP_1)
	v_fma_f64 v[140:141], v[142:143], v[144:145], v[140:141]
	v_div_scale_f64 v[142:143], null, v[140:141], v[140:141], 1.0
	s_delay_alu instid0(VALU_DEP_1) | instskip(SKIP_2) | instid1(VALU_DEP_1)
	v_rcp_f64_e32 v[146:147], v[142:143]
	s_waitcnt_depctr 0xfff
	v_fma_f64 v[148:149], -v[142:143], v[146:147], 1.0
	v_fma_f64 v[146:147], v[146:147], v[148:149], v[146:147]
	s_delay_alu instid0(VALU_DEP_1) | instskip(NEXT) | instid1(VALU_DEP_1)
	v_fma_f64 v[148:149], -v[142:143], v[146:147], 1.0
	v_fma_f64 v[146:147], v[146:147], v[148:149], v[146:147]
	v_div_scale_f64 v[148:149], vcc_lo, 1.0, v[140:141], 1.0
	s_delay_alu instid0(VALU_DEP_1) | instskip(NEXT) | instid1(VALU_DEP_1)
	v_mul_f64 v[150:151], v[148:149], v[146:147]
	v_fma_f64 v[142:143], -v[142:143], v[150:151], v[148:149]
	s_delay_alu instid0(VALU_DEP_1) | instskip(NEXT) | instid1(VALU_DEP_1)
	v_div_fmas_f64 v[142:143], v[142:143], v[146:147], v[150:151]
	v_div_fixup_f64 v[148:149], v[142:143], v[140:141], 1.0
	s_delay_alu instid0(VALU_DEP_1)
	v_mul_f64 v[146:147], v[144:145], -v[148:149]
.LBB69_133:
	s_or_b32 exec_lo, exec_lo, s3
	ds_store_2addr_b64 v171, v[148:149], v[146:147] offset1:1
.LBB69_134:
	s_or_b32 exec_lo, exec_lo, s4
	s_waitcnt lgkmcnt(0)
	s_barrier
	buffer_gl0_inv
	ds_load_2addr_b64 v[140:143], v171 offset1:1
	s_mov_b32 s3, exec_lo
	s_waitcnt lgkmcnt(0)
	scratch_store_b128 off, v[140:143], off offset:344 ; 16-byte Folded Spill
	v_cmpx_lt_u32_e32 14, v170
	s_cbranch_execz .LBB69_136
; %bb.135:
	scratch_load_b128 v[142:145], off, off offset:344 ; 16-byte Folded Reload
	s_waitcnt vmcnt(0)
	v_mul_f64 v[140:141], v[144:145], v[82:83]
	v_mul_f64 v[82:83], v[142:143], v[82:83]
	s_delay_alu instid0(VALU_DEP_2) | instskip(NEXT) | instid1(VALU_DEP_2)
	v_fma_f64 v[140:141], v[142:143], v[80:81], -v[140:141]
	v_fma_f64 v[82:83], v[144:145], v[80:81], v[82:83]
	ds_load_2addr_b64 v[142:145], v172 offset0:30 offset1:31
	s_waitcnt lgkmcnt(0)
	v_mul_f64 v[80:81], v[144:145], v[82:83]
	s_delay_alu instid0(VALU_DEP_1) | instskip(SKIP_1) | instid1(VALU_DEP_2)
	v_fma_f64 v[80:81], v[142:143], v[140:141], -v[80:81]
	v_mul_f64 v[142:143], v[142:143], v[82:83]
	v_add_f64 v[76:77], v[76:77], -v[80:81]
	s_delay_alu instid0(VALU_DEP_2) | instskip(NEXT) | instid1(VALU_DEP_1)
	v_fma_f64 v[142:143], v[144:145], v[140:141], v[142:143]
	v_add_f64 v[78:79], v[78:79], -v[142:143]
	ds_load_2addr_b64 v[142:145], v172 offset0:32 offset1:33
	s_waitcnt lgkmcnt(0)
	v_mul_f64 v[80:81], v[144:145], v[82:83]
	s_delay_alu instid0(VALU_DEP_1) | instskip(SKIP_1) | instid1(VALU_DEP_2)
	v_fma_f64 v[80:81], v[142:143], v[140:141], -v[80:81]
	v_mul_f64 v[142:143], v[142:143], v[82:83]
	v_add_f64 v[72:73], v[72:73], -v[80:81]
	s_delay_alu instid0(VALU_DEP_2) | instskip(NEXT) | instid1(VALU_DEP_1)
	v_fma_f64 v[142:143], v[144:145], v[140:141], v[142:143]
	v_add_f64 v[74:75], v[74:75], -v[142:143]
	ds_load_2addr_b64 v[142:145], v172 offset0:34 offset1:35
	s_waitcnt lgkmcnt(0)
	v_mul_f64 v[80:81], v[144:145], v[82:83]
	s_delay_alu instid0(VALU_DEP_1) | instskip(SKIP_1) | instid1(VALU_DEP_2)
	v_fma_f64 v[80:81], v[142:143], v[140:141], -v[80:81]
	v_mul_f64 v[142:143], v[142:143], v[82:83]
	v_add_f64 v[68:69], v[68:69], -v[80:81]
	s_delay_alu instid0(VALU_DEP_2) | instskip(NEXT) | instid1(VALU_DEP_1)
	v_fma_f64 v[142:143], v[144:145], v[140:141], v[142:143]
	v_add_f64 v[70:71], v[70:71], -v[142:143]
	ds_load_2addr_b64 v[142:145], v172 offset0:36 offset1:37
	s_waitcnt lgkmcnt(0)
	v_mul_f64 v[80:81], v[144:145], v[82:83]
	s_delay_alu instid0(VALU_DEP_1) | instskip(SKIP_1) | instid1(VALU_DEP_2)
	v_fma_f64 v[80:81], v[142:143], v[140:141], -v[80:81]
	v_mul_f64 v[142:143], v[142:143], v[82:83]
	v_add_f64 v[64:65], v[64:65], -v[80:81]
	s_delay_alu instid0(VALU_DEP_2) | instskip(NEXT) | instid1(VALU_DEP_1)
	v_fma_f64 v[142:143], v[144:145], v[140:141], v[142:143]
	v_add_f64 v[66:67], v[66:67], -v[142:143]
	ds_load_2addr_b64 v[142:145], v172 offset0:38 offset1:39
	s_waitcnt lgkmcnt(0)
	v_mul_f64 v[80:81], v[144:145], v[82:83]
	s_delay_alu instid0(VALU_DEP_1) | instskip(SKIP_1) | instid1(VALU_DEP_2)
	v_fma_f64 v[80:81], v[142:143], v[140:141], -v[80:81]
	v_mul_f64 v[142:143], v[142:143], v[82:83]
	v_add_f64 v[60:61], v[60:61], -v[80:81]
	s_delay_alu instid0(VALU_DEP_2) | instskip(NEXT) | instid1(VALU_DEP_1)
	v_fma_f64 v[142:143], v[144:145], v[140:141], v[142:143]
	v_add_f64 v[62:63], v[62:63], -v[142:143]
	ds_load_2addr_b64 v[142:145], v172 offset0:40 offset1:41
	s_waitcnt lgkmcnt(0)
	v_mul_f64 v[80:81], v[144:145], v[82:83]
	s_delay_alu instid0(VALU_DEP_1) | instskip(SKIP_1) | instid1(VALU_DEP_2)
	v_fma_f64 v[80:81], v[142:143], v[140:141], -v[80:81]
	v_mul_f64 v[142:143], v[142:143], v[82:83]
	v_add_f64 v[56:57], v[56:57], -v[80:81]
	s_delay_alu instid0(VALU_DEP_2) | instskip(NEXT) | instid1(VALU_DEP_1)
	v_fma_f64 v[142:143], v[144:145], v[140:141], v[142:143]
	v_add_f64 v[58:59], v[58:59], -v[142:143]
	ds_load_2addr_b64 v[142:145], v172 offset0:42 offset1:43
	s_waitcnt lgkmcnt(0)
	v_mul_f64 v[80:81], v[144:145], v[82:83]
	s_delay_alu instid0(VALU_DEP_1) | instskip(SKIP_1) | instid1(VALU_DEP_2)
	v_fma_f64 v[80:81], v[142:143], v[140:141], -v[80:81]
	v_mul_f64 v[142:143], v[142:143], v[82:83]
	v_add_f64 v[52:53], v[52:53], -v[80:81]
	s_delay_alu instid0(VALU_DEP_2) | instskip(NEXT) | instid1(VALU_DEP_1)
	v_fma_f64 v[142:143], v[144:145], v[140:141], v[142:143]
	v_add_f64 v[54:55], v[54:55], -v[142:143]
	ds_load_2addr_b64 v[142:145], v172 offset0:44 offset1:45
	s_waitcnt lgkmcnt(0)
	v_mul_f64 v[80:81], v[144:145], v[82:83]
	s_delay_alu instid0(VALU_DEP_1) | instskip(SKIP_1) | instid1(VALU_DEP_2)
	v_fma_f64 v[80:81], v[142:143], v[140:141], -v[80:81]
	v_mul_f64 v[142:143], v[142:143], v[82:83]
	v_add_f64 v[48:49], v[48:49], -v[80:81]
	s_delay_alu instid0(VALU_DEP_2) | instskip(NEXT) | instid1(VALU_DEP_1)
	v_fma_f64 v[142:143], v[144:145], v[140:141], v[142:143]
	v_add_f64 v[50:51], v[50:51], -v[142:143]
	ds_load_2addr_b64 v[142:145], v172 offset0:46 offset1:47
	s_waitcnt lgkmcnt(0)
	v_mul_f64 v[80:81], v[144:145], v[82:83]
	s_delay_alu instid0(VALU_DEP_1) | instskip(SKIP_1) | instid1(VALU_DEP_2)
	v_fma_f64 v[80:81], v[142:143], v[140:141], -v[80:81]
	v_mul_f64 v[142:143], v[142:143], v[82:83]
	v_add_f64 v[44:45], v[44:45], -v[80:81]
	s_delay_alu instid0(VALU_DEP_2) | instskip(NEXT) | instid1(VALU_DEP_1)
	v_fma_f64 v[142:143], v[144:145], v[140:141], v[142:143]
	v_add_f64 v[46:47], v[46:47], -v[142:143]
	ds_load_2addr_b64 v[142:145], v172 offset0:48 offset1:49
	s_waitcnt lgkmcnt(0)
	v_mul_f64 v[80:81], v[144:145], v[82:83]
	s_delay_alu instid0(VALU_DEP_1) | instskip(SKIP_1) | instid1(VALU_DEP_2)
	v_fma_f64 v[80:81], v[142:143], v[140:141], -v[80:81]
	v_mul_f64 v[142:143], v[142:143], v[82:83]
	v_add_f64 v[40:41], v[40:41], -v[80:81]
	s_delay_alu instid0(VALU_DEP_2) | instskip(NEXT) | instid1(VALU_DEP_1)
	v_fma_f64 v[142:143], v[144:145], v[140:141], v[142:143]
	v_add_f64 v[42:43], v[42:43], -v[142:143]
	ds_load_2addr_b64 v[142:145], v172 offset0:50 offset1:51
	s_waitcnt lgkmcnt(0)
	v_mul_f64 v[80:81], v[144:145], v[82:83]
	s_delay_alu instid0(VALU_DEP_1) | instskip(SKIP_1) | instid1(VALU_DEP_2)
	v_fma_f64 v[80:81], v[142:143], v[140:141], -v[80:81]
	v_mul_f64 v[142:143], v[142:143], v[82:83]
	v_add_f64 v[36:37], v[36:37], -v[80:81]
	s_delay_alu instid0(VALU_DEP_2) | instskip(NEXT) | instid1(VALU_DEP_1)
	v_fma_f64 v[142:143], v[144:145], v[140:141], v[142:143]
	v_add_f64 v[38:39], v[38:39], -v[142:143]
	ds_load_2addr_b64 v[142:145], v172 offset0:52 offset1:53
	s_waitcnt lgkmcnt(0)
	v_mul_f64 v[80:81], v[144:145], v[82:83]
	s_delay_alu instid0(VALU_DEP_1) | instskip(SKIP_1) | instid1(VALU_DEP_2)
	v_fma_f64 v[80:81], v[142:143], v[140:141], -v[80:81]
	v_mul_f64 v[142:143], v[142:143], v[82:83]
	v_add_f64 v[32:33], v[32:33], -v[80:81]
	s_delay_alu instid0(VALU_DEP_2) | instskip(NEXT) | instid1(VALU_DEP_1)
	v_fma_f64 v[142:143], v[144:145], v[140:141], v[142:143]
	v_add_f64 v[34:35], v[34:35], -v[142:143]
	ds_load_2addr_b64 v[142:145], v172 offset0:54 offset1:55
	s_waitcnt lgkmcnt(0)
	v_mul_f64 v[80:81], v[144:145], v[82:83]
	s_delay_alu instid0(VALU_DEP_1) | instskip(SKIP_1) | instid1(VALU_DEP_2)
	v_fma_f64 v[80:81], v[142:143], v[140:141], -v[80:81]
	v_mul_f64 v[142:143], v[142:143], v[82:83]
	v_add_f64 v[28:29], v[28:29], -v[80:81]
	s_delay_alu instid0(VALU_DEP_2) | instskip(NEXT) | instid1(VALU_DEP_1)
	v_fma_f64 v[142:143], v[144:145], v[140:141], v[142:143]
	v_add_f64 v[30:31], v[30:31], -v[142:143]
	ds_load_2addr_b64 v[142:145], v172 offset0:56 offset1:57
	s_waitcnt lgkmcnt(0)
	v_mul_f64 v[80:81], v[144:145], v[82:83]
	s_delay_alu instid0(VALU_DEP_1) | instskip(SKIP_1) | instid1(VALU_DEP_2)
	v_fma_f64 v[80:81], v[142:143], v[140:141], -v[80:81]
	v_mul_f64 v[142:143], v[142:143], v[82:83]
	v_add_f64 v[24:25], v[24:25], -v[80:81]
	s_delay_alu instid0(VALU_DEP_2) | instskip(NEXT) | instid1(VALU_DEP_1)
	v_fma_f64 v[142:143], v[144:145], v[140:141], v[142:143]
	v_add_f64 v[26:27], v[26:27], -v[142:143]
	ds_load_2addr_b64 v[142:145], v172 offset0:58 offset1:59
	s_waitcnt lgkmcnt(0)
	v_mul_f64 v[80:81], v[144:145], v[82:83]
	s_delay_alu instid0(VALU_DEP_1) | instskip(SKIP_1) | instid1(VALU_DEP_2)
	v_fma_f64 v[80:81], v[142:143], v[140:141], -v[80:81]
	v_mul_f64 v[142:143], v[142:143], v[82:83]
	v_add_f64 v[20:21], v[20:21], -v[80:81]
	s_delay_alu instid0(VALU_DEP_2) | instskip(NEXT) | instid1(VALU_DEP_1)
	v_fma_f64 v[142:143], v[144:145], v[140:141], v[142:143]
	v_add_f64 v[22:23], v[22:23], -v[142:143]
	ds_load_2addr_b64 v[142:145], v172 offset0:60 offset1:61
	s_waitcnt lgkmcnt(0)
	v_mul_f64 v[80:81], v[144:145], v[82:83]
	s_delay_alu instid0(VALU_DEP_1) | instskip(SKIP_1) | instid1(VALU_DEP_2)
	v_fma_f64 v[80:81], v[142:143], v[140:141], -v[80:81]
	v_mul_f64 v[142:143], v[142:143], v[82:83]
	v_add_f64 v[16:17], v[16:17], -v[80:81]
	s_delay_alu instid0(VALU_DEP_2) | instskip(NEXT) | instid1(VALU_DEP_1)
	v_fma_f64 v[142:143], v[144:145], v[140:141], v[142:143]
	v_add_f64 v[18:19], v[18:19], -v[142:143]
	ds_load_2addr_b64 v[142:145], v172 offset0:62 offset1:63
	s_waitcnt lgkmcnt(0)
	v_mul_f64 v[80:81], v[144:145], v[82:83]
	s_delay_alu instid0(VALU_DEP_1) | instskip(SKIP_1) | instid1(VALU_DEP_2)
	v_fma_f64 v[80:81], v[142:143], v[140:141], -v[80:81]
	v_mul_f64 v[142:143], v[142:143], v[82:83]
	v_add_f64 v[12:13], v[12:13], -v[80:81]
	s_delay_alu instid0(VALU_DEP_2) | instskip(NEXT) | instid1(VALU_DEP_1)
	v_fma_f64 v[142:143], v[144:145], v[140:141], v[142:143]
	v_add_f64 v[14:15], v[14:15], -v[142:143]
	ds_load_2addr_b64 v[142:145], v172 offset0:64 offset1:65
	s_waitcnt lgkmcnt(0)
	v_mul_f64 v[80:81], v[144:145], v[82:83]
	s_delay_alu instid0(VALU_DEP_1) | instskip(SKIP_1) | instid1(VALU_DEP_2)
	v_fma_f64 v[80:81], v[142:143], v[140:141], -v[80:81]
	v_mul_f64 v[142:143], v[142:143], v[82:83]
	v_add_f64 v[8:9], v[8:9], -v[80:81]
	s_delay_alu instid0(VALU_DEP_2) | instskip(NEXT) | instid1(VALU_DEP_1)
	v_fma_f64 v[142:143], v[144:145], v[140:141], v[142:143]
	v_add_f64 v[10:11], v[10:11], -v[142:143]
	ds_load_2addr_b64 v[142:145], v172 offset0:66 offset1:67
	s_waitcnt lgkmcnt(0)
	v_mul_f64 v[80:81], v[144:145], v[82:83]
	s_delay_alu instid0(VALU_DEP_1) | instskip(SKIP_1) | instid1(VALU_DEP_2)
	v_fma_f64 v[80:81], v[142:143], v[140:141], -v[80:81]
	v_mul_f64 v[142:143], v[142:143], v[82:83]
	v_add_f64 v[4:5], v[4:5], -v[80:81]
	s_delay_alu instid0(VALU_DEP_2) | instskip(NEXT) | instid1(VALU_DEP_1)
	v_fma_f64 v[142:143], v[144:145], v[140:141], v[142:143]
	v_add_f64 v[6:7], v[6:7], -v[142:143]
	ds_load_2addr_b64 v[142:145], v172 offset0:68 offset1:69
	s_waitcnt lgkmcnt(0)
	v_mul_f64 v[80:81], v[144:145], v[82:83]
	s_delay_alu instid0(VALU_DEP_1) | instskip(SKIP_1) | instid1(VALU_DEP_2)
	v_fma_f64 v[80:81], v[142:143], v[140:141], -v[80:81]
	v_mul_f64 v[142:143], v[142:143], v[82:83]
	v_add_f64 v[0:1], v[0:1], -v[80:81]
	s_delay_alu instid0(VALU_DEP_2) | instskip(SKIP_1) | instid1(VALU_DEP_2)
	v_fma_f64 v[142:143], v[144:145], v[140:141], v[142:143]
	v_dual_mov_b32 v80, v140 :: v_dual_mov_b32 v81, v141
	v_add_f64 v[2:3], v[2:3], -v[142:143]
.LBB69_136:
	s_or_b32 exec_lo, exec_lo, s3
	s_delay_alu instid0(SALU_CYCLE_1)
	s_mov_b32 s4, exec_lo
	s_waitcnt_vscnt null, 0x0
	s_barrier
	buffer_gl0_inv
	v_cmpx_eq_u32_e32 15, v170
	s_cbranch_execz .LBB69_143
; %bb.137:
	ds_store_2addr_b64 v171, v[76:77], v[78:79] offset1:1
	ds_store_2addr_b64 v172, v[72:73], v[74:75] offset0:32 offset1:33
	ds_store_2addr_b64 v172, v[68:69], v[70:71] offset0:34 offset1:35
	;; [unrolled: 1-line block ×19, first 2 shown]
	ds_load_2addr_b64 v[140:143], v171 offset1:1
	s_waitcnt lgkmcnt(0)
	v_cmp_neq_f64_e32 vcc_lo, 0, v[140:141]
	v_cmp_neq_f64_e64 s3, 0, v[142:143]
	s_delay_alu instid0(VALU_DEP_1) | instskip(NEXT) | instid1(SALU_CYCLE_1)
	s_or_b32 s3, vcc_lo, s3
	s_and_b32 exec_lo, exec_lo, s3
	s_cbranch_execz .LBB69_143
; %bb.138:
	v_cmp_gt_f64_e32 vcc_lo, 0, v[140:141]
	v_xor_b32_e32 v144, 0x80000000, v141
	v_xor_b32_e32 v146, 0x80000000, v143
	s_mov_b32 s3, exec_lo
                                        ; implicit-def: $vgpr148_vgpr149
	s_delay_alu instid0(VALU_DEP_2) | instskip(SKIP_4) | instid1(VALU_DEP_1)
	v_cndmask_b32_e32 v145, v141, v144, vcc_lo
	v_cndmask_b32_e32 v144, v140, v140, vcc_lo
	v_cmp_gt_f64_e32 vcc_lo, 0, v[142:143]
	v_cndmask_b32_e32 v147, v143, v146, vcc_lo
	v_cndmask_b32_e32 v146, v142, v142, vcc_lo
	v_cmpx_ngt_f64_e32 v[144:145], v[146:147]
	s_xor_b32 s3, exec_lo, s3
                                        ; implicit-def: $vgpr144_vgpr145_vgpr146_vgpr147
	s_cbranch_execz .LBB69_140
; %bb.139:
	v_div_scale_f64 v[144:145], null, v[142:143], v[142:143], v[140:141]
	v_div_scale_f64 v[150:151], vcc_lo, v[140:141], v[142:143], v[140:141]
	s_delay_alu instid0(VALU_DEP_2) | instskip(SKIP_2) | instid1(VALU_DEP_1)
	v_rcp_f64_e32 v[146:147], v[144:145]
	s_waitcnt_depctr 0xfff
	v_fma_f64 v[148:149], -v[144:145], v[146:147], 1.0
	v_fma_f64 v[146:147], v[146:147], v[148:149], v[146:147]
	s_delay_alu instid0(VALU_DEP_1) | instskip(NEXT) | instid1(VALU_DEP_1)
	v_fma_f64 v[148:149], -v[144:145], v[146:147], 1.0
	v_fma_f64 v[146:147], v[146:147], v[148:149], v[146:147]
	s_delay_alu instid0(VALU_DEP_1) | instskip(NEXT) | instid1(VALU_DEP_1)
	v_mul_f64 v[148:149], v[150:151], v[146:147]
	v_fma_f64 v[144:145], -v[144:145], v[148:149], v[150:151]
	s_delay_alu instid0(VALU_DEP_1) | instskip(NEXT) | instid1(VALU_DEP_1)
	v_div_fmas_f64 v[144:145], v[144:145], v[146:147], v[148:149]
	v_div_fixup_f64 v[144:145], v[144:145], v[142:143], v[140:141]
	s_delay_alu instid0(VALU_DEP_1) | instskip(NEXT) | instid1(VALU_DEP_1)
	v_fma_f64 v[140:141], v[140:141], v[144:145], v[142:143]
	v_div_scale_f64 v[142:143], null, v[140:141], v[140:141], 1.0
	s_delay_alu instid0(VALU_DEP_1) | instskip(SKIP_2) | instid1(VALU_DEP_1)
	v_rcp_f64_e32 v[146:147], v[142:143]
	s_waitcnt_depctr 0xfff
	v_fma_f64 v[148:149], -v[142:143], v[146:147], 1.0
	v_fma_f64 v[146:147], v[146:147], v[148:149], v[146:147]
	s_delay_alu instid0(VALU_DEP_1) | instskip(NEXT) | instid1(VALU_DEP_1)
	v_fma_f64 v[148:149], -v[142:143], v[146:147], 1.0
	v_fma_f64 v[146:147], v[146:147], v[148:149], v[146:147]
	v_div_scale_f64 v[148:149], vcc_lo, 1.0, v[140:141], 1.0
	s_delay_alu instid0(VALU_DEP_1) | instskip(NEXT) | instid1(VALU_DEP_1)
	v_mul_f64 v[150:151], v[148:149], v[146:147]
	v_fma_f64 v[142:143], -v[142:143], v[150:151], v[148:149]
	s_delay_alu instid0(VALU_DEP_1) | instskip(NEXT) | instid1(VALU_DEP_1)
	v_div_fmas_f64 v[142:143], v[142:143], v[146:147], v[150:151]
	v_div_fixup_f64 v[146:147], v[142:143], v[140:141], 1.0
                                        ; implicit-def: $vgpr140_vgpr141
	s_delay_alu instid0(VALU_DEP_1)
	v_mul_f64 v[148:149], v[144:145], v[146:147]
	v_xor_b32_e32 v147, 0x80000000, v147
.LBB69_140:
	s_and_not1_saveexec_b32 s3, s3
	s_cbranch_execz .LBB69_142
; %bb.141:
	v_div_scale_f64 v[144:145], null, v[140:141], v[140:141], v[142:143]
	v_div_scale_f64 v[150:151], vcc_lo, v[142:143], v[140:141], v[142:143]
	s_delay_alu instid0(VALU_DEP_2) | instskip(SKIP_2) | instid1(VALU_DEP_1)
	v_rcp_f64_e32 v[146:147], v[144:145]
	s_waitcnt_depctr 0xfff
	v_fma_f64 v[148:149], -v[144:145], v[146:147], 1.0
	v_fma_f64 v[146:147], v[146:147], v[148:149], v[146:147]
	s_delay_alu instid0(VALU_DEP_1) | instskip(NEXT) | instid1(VALU_DEP_1)
	v_fma_f64 v[148:149], -v[144:145], v[146:147], 1.0
	v_fma_f64 v[146:147], v[146:147], v[148:149], v[146:147]
	s_delay_alu instid0(VALU_DEP_1) | instskip(NEXT) | instid1(VALU_DEP_1)
	v_mul_f64 v[148:149], v[150:151], v[146:147]
	v_fma_f64 v[144:145], -v[144:145], v[148:149], v[150:151]
	s_delay_alu instid0(VALU_DEP_1) | instskip(NEXT) | instid1(VALU_DEP_1)
	v_div_fmas_f64 v[144:145], v[144:145], v[146:147], v[148:149]
	v_div_fixup_f64 v[144:145], v[144:145], v[140:141], v[142:143]
	s_delay_alu instid0(VALU_DEP_1) | instskip(NEXT) | instid1(VALU_DEP_1)
	v_fma_f64 v[140:141], v[142:143], v[144:145], v[140:141]
	v_div_scale_f64 v[142:143], null, v[140:141], v[140:141], 1.0
	s_delay_alu instid0(VALU_DEP_1) | instskip(SKIP_2) | instid1(VALU_DEP_1)
	v_rcp_f64_e32 v[146:147], v[142:143]
	s_waitcnt_depctr 0xfff
	v_fma_f64 v[148:149], -v[142:143], v[146:147], 1.0
	v_fma_f64 v[146:147], v[146:147], v[148:149], v[146:147]
	s_delay_alu instid0(VALU_DEP_1) | instskip(NEXT) | instid1(VALU_DEP_1)
	v_fma_f64 v[148:149], -v[142:143], v[146:147], 1.0
	v_fma_f64 v[146:147], v[146:147], v[148:149], v[146:147]
	v_div_scale_f64 v[148:149], vcc_lo, 1.0, v[140:141], 1.0
	s_delay_alu instid0(VALU_DEP_1) | instskip(NEXT) | instid1(VALU_DEP_1)
	v_mul_f64 v[150:151], v[148:149], v[146:147]
	v_fma_f64 v[142:143], -v[142:143], v[150:151], v[148:149]
	s_delay_alu instid0(VALU_DEP_1) | instskip(NEXT) | instid1(VALU_DEP_1)
	v_div_fmas_f64 v[142:143], v[142:143], v[146:147], v[150:151]
	v_div_fixup_f64 v[148:149], v[142:143], v[140:141], 1.0
	s_delay_alu instid0(VALU_DEP_1)
	v_mul_f64 v[146:147], v[144:145], -v[148:149]
.LBB69_142:
	s_or_b32 exec_lo, exec_lo, s3
	ds_store_2addr_b64 v171, v[148:149], v[146:147] offset1:1
.LBB69_143:
	s_or_b32 exec_lo, exec_lo, s4
	s_waitcnt lgkmcnt(0)
	s_barrier
	buffer_gl0_inv
	ds_load_2addr_b64 v[140:143], v171 offset1:1
	s_mov_b32 s3, exec_lo
	s_waitcnt lgkmcnt(0)
	scratch_store_b128 off, v[140:143], off offset:360 ; 16-byte Folded Spill
	v_cmpx_lt_u32_e32 15, v170
	s_cbranch_execz .LBB69_145
; %bb.144:
	scratch_load_b128 v[142:145], off, off offset:360 ; 16-byte Folded Reload
	s_waitcnt vmcnt(0)
	v_mul_f64 v[140:141], v[144:145], v[78:79]
	v_mul_f64 v[78:79], v[142:143], v[78:79]
	s_delay_alu instid0(VALU_DEP_2) | instskip(NEXT) | instid1(VALU_DEP_2)
	v_fma_f64 v[140:141], v[142:143], v[76:77], -v[140:141]
	v_fma_f64 v[78:79], v[144:145], v[76:77], v[78:79]
	ds_load_2addr_b64 v[142:145], v172 offset0:32 offset1:33
	s_waitcnt lgkmcnt(0)
	v_mul_f64 v[76:77], v[144:145], v[78:79]
	s_delay_alu instid0(VALU_DEP_1) | instskip(SKIP_1) | instid1(VALU_DEP_2)
	v_fma_f64 v[76:77], v[142:143], v[140:141], -v[76:77]
	v_mul_f64 v[142:143], v[142:143], v[78:79]
	v_add_f64 v[72:73], v[72:73], -v[76:77]
	s_delay_alu instid0(VALU_DEP_2) | instskip(NEXT) | instid1(VALU_DEP_1)
	v_fma_f64 v[142:143], v[144:145], v[140:141], v[142:143]
	v_add_f64 v[74:75], v[74:75], -v[142:143]
	ds_load_2addr_b64 v[142:145], v172 offset0:34 offset1:35
	s_waitcnt lgkmcnt(0)
	v_mul_f64 v[76:77], v[144:145], v[78:79]
	s_delay_alu instid0(VALU_DEP_1) | instskip(SKIP_1) | instid1(VALU_DEP_2)
	v_fma_f64 v[76:77], v[142:143], v[140:141], -v[76:77]
	v_mul_f64 v[142:143], v[142:143], v[78:79]
	v_add_f64 v[68:69], v[68:69], -v[76:77]
	s_delay_alu instid0(VALU_DEP_2) | instskip(NEXT) | instid1(VALU_DEP_1)
	v_fma_f64 v[142:143], v[144:145], v[140:141], v[142:143]
	v_add_f64 v[70:71], v[70:71], -v[142:143]
	;; [unrolled: 10-line block ×18, first 2 shown]
	ds_load_2addr_b64 v[142:145], v172 offset0:68 offset1:69
	s_waitcnt lgkmcnt(0)
	v_mul_f64 v[76:77], v[144:145], v[78:79]
	s_delay_alu instid0(VALU_DEP_1) | instskip(SKIP_1) | instid1(VALU_DEP_2)
	v_fma_f64 v[76:77], v[142:143], v[140:141], -v[76:77]
	v_mul_f64 v[142:143], v[142:143], v[78:79]
	v_add_f64 v[0:1], v[0:1], -v[76:77]
	s_delay_alu instid0(VALU_DEP_2) | instskip(SKIP_1) | instid1(VALU_DEP_2)
	v_fma_f64 v[142:143], v[144:145], v[140:141], v[142:143]
	v_dual_mov_b32 v76, v140 :: v_dual_mov_b32 v77, v141
	v_add_f64 v[2:3], v[2:3], -v[142:143]
.LBB69_145:
	s_or_b32 exec_lo, exec_lo, s3
	s_delay_alu instid0(SALU_CYCLE_1)
	s_mov_b32 s4, exec_lo
	s_waitcnt_vscnt null, 0x0
	s_barrier
	buffer_gl0_inv
	v_cmpx_eq_u32_e32 16, v170
	s_cbranch_execz .LBB69_152
; %bb.146:
	ds_store_2addr_b64 v171, v[72:73], v[74:75] offset1:1
	ds_store_2addr_b64 v172, v[68:69], v[70:71] offset0:34 offset1:35
	ds_store_2addr_b64 v172, v[64:65], v[66:67] offset0:36 offset1:37
	;; [unrolled: 1-line block ×18, first 2 shown]
	ds_load_2addr_b64 v[140:143], v171 offset1:1
	s_waitcnt lgkmcnt(0)
	v_cmp_neq_f64_e32 vcc_lo, 0, v[140:141]
	v_cmp_neq_f64_e64 s3, 0, v[142:143]
	s_delay_alu instid0(VALU_DEP_1) | instskip(NEXT) | instid1(SALU_CYCLE_1)
	s_or_b32 s3, vcc_lo, s3
	s_and_b32 exec_lo, exec_lo, s3
	s_cbranch_execz .LBB69_152
; %bb.147:
	v_cmp_gt_f64_e32 vcc_lo, 0, v[140:141]
	v_xor_b32_e32 v144, 0x80000000, v141
	v_xor_b32_e32 v146, 0x80000000, v143
	s_mov_b32 s3, exec_lo
                                        ; implicit-def: $vgpr148_vgpr149
	s_delay_alu instid0(VALU_DEP_2) | instskip(SKIP_4) | instid1(VALU_DEP_1)
	v_cndmask_b32_e32 v145, v141, v144, vcc_lo
	v_cndmask_b32_e32 v144, v140, v140, vcc_lo
	v_cmp_gt_f64_e32 vcc_lo, 0, v[142:143]
	v_cndmask_b32_e32 v147, v143, v146, vcc_lo
	v_cndmask_b32_e32 v146, v142, v142, vcc_lo
	v_cmpx_ngt_f64_e32 v[144:145], v[146:147]
	s_xor_b32 s3, exec_lo, s3
                                        ; implicit-def: $vgpr144_vgpr145_vgpr146_vgpr147
	s_cbranch_execz .LBB69_149
; %bb.148:
	v_div_scale_f64 v[144:145], null, v[142:143], v[142:143], v[140:141]
	v_div_scale_f64 v[150:151], vcc_lo, v[140:141], v[142:143], v[140:141]
	s_delay_alu instid0(VALU_DEP_2) | instskip(SKIP_2) | instid1(VALU_DEP_1)
	v_rcp_f64_e32 v[146:147], v[144:145]
	s_waitcnt_depctr 0xfff
	v_fma_f64 v[148:149], -v[144:145], v[146:147], 1.0
	v_fma_f64 v[146:147], v[146:147], v[148:149], v[146:147]
	s_delay_alu instid0(VALU_DEP_1) | instskip(NEXT) | instid1(VALU_DEP_1)
	v_fma_f64 v[148:149], -v[144:145], v[146:147], 1.0
	v_fma_f64 v[146:147], v[146:147], v[148:149], v[146:147]
	s_delay_alu instid0(VALU_DEP_1) | instskip(NEXT) | instid1(VALU_DEP_1)
	v_mul_f64 v[148:149], v[150:151], v[146:147]
	v_fma_f64 v[144:145], -v[144:145], v[148:149], v[150:151]
	s_delay_alu instid0(VALU_DEP_1) | instskip(NEXT) | instid1(VALU_DEP_1)
	v_div_fmas_f64 v[144:145], v[144:145], v[146:147], v[148:149]
	v_div_fixup_f64 v[144:145], v[144:145], v[142:143], v[140:141]
	s_delay_alu instid0(VALU_DEP_1) | instskip(NEXT) | instid1(VALU_DEP_1)
	v_fma_f64 v[140:141], v[140:141], v[144:145], v[142:143]
	v_div_scale_f64 v[142:143], null, v[140:141], v[140:141], 1.0
	s_delay_alu instid0(VALU_DEP_1) | instskip(SKIP_2) | instid1(VALU_DEP_1)
	v_rcp_f64_e32 v[146:147], v[142:143]
	s_waitcnt_depctr 0xfff
	v_fma_f64 v[148:149], -v[142:143], v[146:147], 1.0
	v_fma_f64 v[146:147], v[146:147], v[148:149], v[146:147]
	s_delay_alu instid0(VALU_DEP_1) | instskip(NEXT) | instid1(VALU_DEP_1)
	v_fma_f64 v[148:149], -v[142:143], v[146:147], 1.0
	v_fma_f64 v[146:147], v[146:147], v[148:149], v[146:147]
	v_div_scale_f64 v[148:149], vcc_lo, 1.0, v[140:141], 1.0
	s_delay_alu instid0(VALU_DEP_1) | instskip(NEXT) | instid1(VALU_DEP_1)
	v_mul_f64 v[150:151], v[148:149], v[146:147]
	v_fma_f64 v[142:143], -v[142:143], v[150:151], v[148:149]
	s_delay_alu instid0(VALU_DEP_1) | instskip(NEXT) | instid1(VALU_DEP_1)
	v_div_fmas_f64 v[142:143], v[142:143], v[146:147], v[150:151]
	v_div_fixup_f64 v[146:147], v[142:143], v[140:141], 1.0
                                        ; implicit-def: $vgpr140_vgpr141
	s_delay_alu instid0(VALU_DEP_1)
	v_mul_f64 v[148:149], v[144:145], v[146:147]
	v_xor_b32_e32 v147, 0x80000000, v147
.LBB69_149:
	s_and_not1_saveexec_b32 s3, s3
	s_cbranch_execz .LBB69_151
; %bb.150:
	v_div_scale_f64 v[144:145], null, v[140:141], v[140:141], v[142:143]
	v_div_scale_f64 v[150:151], vcc_lo, v[142:143], v[140:141], v[142:143]
	s_delay_alu instid0(VALU_DEP_2) | instskip(SKIP_2) | instid1(VALU_DEP_1)
	v_rcp_f64_e32 v[146:147], v[144:145]
	s_waitcnt_depctr 0xfff
	v_fma_f64 v[148:149], -v[144:145], v[146:147], 1.0
	v_fma_f64 v[146:147], v[146:147], v[148:149], v[146:147]
	s_delay_alu instid0(VALU_DEP_1) | instskip(NEXT) | instid1(VALU_DEP_1)
	v_fma_f64 v[148:149], -v[144:145], v[146:147], 1.0
	v_fma_f64 v[146:147], v[146:147], v[148:149], v[146:147]
	s_delay_alu instid0(VALU_DEP_1) | instskip(NEXT) | instid1(VALU_DEP_1)
	v_mul_f64 v[148:149], v[150:151], v[146:147]
	v_fma_f64 v[144:145], -v[144:145], v[148:149], v[150:151]
	s_delay_alu instid0(VALU_DEP_1) | instskip(NEXT) | instid1(VALU_DEP_1)
	v_div_fmas_f64 v[144:145], v[144:145], v[146:147], v[148:149]
	v_div_fixup_f64 v[144:145], v[144:145], v[140:141], v[142:143]
	s_delay_alu instid0(VALU_DEP_1) | instskip(NEXT) | instid1(VALU_DEP_1)
	v_fma_f64 v[140:141], v[142:143], v[144:145], v[140:141]
	v_div_scale_f64 v[142:143], null, v[140:141], v[140:141], 1.0
	s_delay_alu instid0(VALU_DEP_1) | instskip(SKIP_2) | instid1(VALU_DEP_1)
	v_rcp_f64_e32 v[146:147], v[142:143]
	s_waitcnt_depctr 0xfff
	v_fma_f64 v[148:149], -v[142:143], v[146:147], 1.0
	v_fma_f64 v[146:147], v[146:147], v[148:149], v[146:147]
	s_delay_alu instid0(VALU_DEP_1) | instskip(NEXT) | instid1(VALU_DEP_1)
	v_fma_f64 v[148:149], -v[142:143], v[146:147], 1.0
	v_fma_f64 v[146:147], v[146:147], v[148:149], v[146:147]
	v_div_scale_f64 v[148:149], vcc_lo, 1.0, v[140:141], 1.0
	s_delay_alu instid0(VALU_DEP_1) | instskip(NEXT) | instid1(VALU_DEP_1)
	v_mul_f64 v[150:151], v[148:149], v[146:147]
	v_fma_f64 v[142:143], -v[142:143], v[150:151], v[148:149]
	s_delay_alu instid0(VALU_DEP_1) | instskip(NEXT) | instid1(VALU_DEP_1)
	v_div_fmas_f64 v[142:143], v[142:143], v[146:147], v[150:151]
	v_div_fixup_f64 v[148:149], v[142:143], v[140:141], 1.0
	s_delay_alu instid0(VALU_DEP_1)
	v_mul_f64 v[146:147], v[144:145], -v[148:149]
.LBB69_151:
	s_or_b32 exec_lo, exec_lo, s3
	ds_store_2addr_b64 v171, v[148:149], v[146:147] offset1:1
.LBB69_152:
	s_or_b32 exec_lo, exec_lo, s4
	s_waitcnt lgkmcnt(0)
	s_barrier
	buffer_gl0_inv
	ds_load_2addr_b64 v[140:143], v171 offset1:1
	s_mov_b32 s3, exec_lo
	s_waitcnt lgkmcnt(0)
	scratch_store_b128 off, v[140:143], off offset:376 ; 16-byte Folded Spill
	v_cmpx_lt_u32_e32 16, v170
	s_cbranch_execz .LBB69_154
; %bb.153:
	scratch_load_b128 v[142:145], off, off offset:376 ; 16-byte Folded Reload
	s_waitcnt vmcnt(0)
	v_mul_f64 v[140:141], v[144:145], v[74:75]
	v_mul_f64 v[74:75], v[142:143], v[74:75]
	s_delay_alu instid0(VALU_DEP_2) | instskip(NEXT) | instid1(VALU_DEP_2)
	v_fma_f64 v[140:141], v[142:143], v[72:73], -v[140:141]
	v_fma_f64 v[74:75], v[144:145], v[72:73], v[74:75]
	ds_load_2addr_b64 v[142:145], v172 offset0:34 offset1:35
	s_waitcnt lgkmcnt(0)
	v_mul_f64 v[72:73], v[144:145], v[74:75]
	s_delay_alu instid0(VALU_DEP_1) | instskip(SKIP_1) | instid1(VALU_DEP_2)
	v_fma_f64 v[72:73], v[142:143], v[140:141], -v[72:73]
	v_mul_f64 v[142:143], v[142:143], v[74:75]
	v_add_f64 v[68:69], v[68:69], -v[72:73]
	s_delay_alu instid0(VALU_DEP_2) | instskip(NEXT) | instid1(VALU_DEP_1)
	v_fma_f64 v[142:143], v[144:145], v[140:141], v[142:143]
	v_add_f64 v[70:71], v[70:71], -v[142:143]
	ds_load_2addr_b64 v[142:145], v172 offset0:36 offset1:37
	s_waitcnt lgkmcnt(0)
	v_mul_f64 v[72:73], v[144:145], v[74:75]
	s_delay_alu instid0(VALU_DEP_1) | instskip(SKIP_1) | instid1(VALU_DEP_2)
	v_fma_f64 v[72:73], v[142:143], v[140:141], -v[72:73]
	v_mul_f64 v[142:143], v[142:143], v[74:75]
	v_add_f64 v[64:65], v[64:65], -v[72:73]
	s_delay_alu instid0(VALU_DEP_2) | instskip(NEXT) | instid1(VALU_DEP_1)
	v_fma_f64 v[142:143], v[144:145], v[140:141], v[142:143]
	v_add_f64 v[66:67], v[66:67], -v[142:143]
	;; [unrolled: 10-line block ×17, first 2 shown]
	ds_load_2addr_b64 v[142:145], v172 offset0:68 offset1:69
	s_waitcnt lgkmcnt(0)
	v_mul_f64 v[72:73], v[144:145], v[74:75]
	s_delay_alu instid0(VALU_DEP_1) | instskip(SKIP_1) | instid1(VALU_DEP_2)
	v_fma_f64 v[72:73], v[142:143], v[140:141], -v[72:73]
	v_mul_f64 v[142:143], v[142:143], v[74:75]
	v_add_f64 v[0:1], v[0:1], -v[72:73]
	s_delay_alu instid0(VALU_DEP_2) | instskip(SKIP_1) | instid1(VALU_DEP_2)
	v_fma_f64 v[142:143], v[144:145], v[140:141], v[142:143]
	v_dual_mov_b32 v72, v140 :: v_dual_mov_b32 v73, v141
	v_add_f64 v[2:3], v[2:3], -v[142:143]
.LBB69_154:
	s_or_b32 exec_lo, exec_lo, s3
	s_delay_alu instid0(SALU_CYCLE_1)
	s_mov_b32 s4, exec_lo
	s_waitcnt_vscnt null, 0x0
	s_barrier
	buffer_gl0_inv
	v_cmpx_eq_u32_e32 17, v170
	s_cbranch_execz .LBB69_161
; %bb.155:
	ds_store_2addr_b64 v171, v[68:69], v[70:71] offset1:1
	ds_store_2addr_b64 v172, v[64:65], v[66:67] offset0:36 offset1:37
	ds_store_2addr_b64 v172, v[60:61], v[62:63] offset0:38 offset1:39
	;; [unrolled: 1-line block ×17, first 2 shown]
	ds_load_2addr_b64 v[140:143], v171 offset1:1
	s_waitcnt lgkmcnt(0)
	v_cmp_neq_f64_e32 vcc_lo, 0, v[140:141]
	v_cmp_neq_f64_e64 s3, 0, v[142:143]
	s_delay_alu instid0(VALU_DEP_1) | instskip(NEXT) | instid1(SALU_CYCLE_1)
	s_or_b32 s3, vcc_lo, s3
	s_and_b32 exec_lo, exec_lo, s3
	s_cbranch_execz .LBB69_161
; %bb.156:
	v_cmp_gt_f64_e32 vcc_lo, 0, v[140:141]
	v_xor_b32_e32 v144, 0x80000000, v141
	v_xor_b32_e32 v146, 0x80000000, v143
	s_mov_b32 s3, exec_lo
                                        ; implicit-def: $vgpr148_vgpr149
	s_delay_alu instid0(VALU_DEP_2) | instskip(SKIP_4) | instid1(VALU_DEP_1)
	v_cndmask_b32_e32 v145, v141, v144, vcc_lo
	v_cndmask_b32_e32 v144, v140, v140, vcc_lo
	v_cmp_gt_f64_e32 vcc_lo, 0, v[142:143]
	v_cndmask_b32_e32 v147, v143, v146, vcc_lo
	v_cndmask_b32_e32 v146, v142, v142, vcc_lo
	v_cmpx_ngt_f64_e32 v[144:145], v[146:147]
	s_xor_b32 s3, exec_lo, s3
                                        ; implicit-def: $vgpr144_vgpr145_vgpr146_vgpr147
	s_cbranch_execz .LBB69_158
; %bb.157:
	v_div_scale_f64 v[144:145], null, v[142:143], v[142:143], v[140:141]
	v_div_scale_f64 v[150:151], vcc_lo, v[140:141], v[142:143], v[140:141]
	s_delay_alu instid0(VALU_DEP_2) | instskip(SKIP_2) | instid1(VALU_DEP_1)
	v_rcp_f64_e32 v[146:147], v[144:145]
	s_waitcnt_depctr 0xfff
	v_fma_f64 v[148:149], -v[144:145], v[146:147], 1.0
	v_fma_f64 v[146:147], v[146:147], v[148:149], v[146:147]
	s_delay_alu instid0(VALU_DEP_1) | instskip(NEXT) | instid1(VALU_DEP_1)
	v_fma_f64 v[148:149], -v[144:145], v[146:147], 1.0
	v_fma_f64 v[146:147], v[146:147], v[148:149], v[146:147]
	s_delay_alu instid0(VALU_DEP_1) | instskip(NEXT) | instid1(VALU_DEP_1)
	v_mul_f64 v[148:149], v[150:151], v[146:147]
	v_fma_f64 v[144:145], -v[144:145], v[148:149], v[150:151]
	s_delay_alu instid0(VALU_DEP_1) | instskip(NEXT) | instid1(VALU_DEP_1)
	v_div_fmas_f64 v[144:145], v[144:145], v[146:147], v[148:149]
	v_div_fixup_f64 v[144:145], v[144:145], v[142:143], v[140:141]
	s_delay_alu instid0(VALU_DEP_1) | instskip(NEXT) | instid1(VALU_DEP_1)
	v_fma_f64 v[140:141], v[140:141], v[144:145], v[142:143]
	v_div_scale_f64 v[142:143], null, v[140:141], v[140:141], 1.0
	s_delay_alu instid0(VALU_DEP_1) | instskip(SKIP_2) | instid1(VALU_DEP_1)
	v_rcp_f64_e32 v[146:147], v[142:143]
	s_waitcnt_depctr 0xfff
	v_fma_f64 v[148:149], -v[142:143], v[146:147], 1.0
	v_fma_f64 v[146:147], v[146:147], v[148:149], v[146:147]
	s_delay_alu instid0(VALU_DEP_1) | instskip(NEXT) | instid1(VALU_DEP_1)
	v_fma_f64 v[148:149], -v[142:143], v[146:147], 1.0
	v_fma_f64 v[146:147], v[146:147], v[148:149], v[146:147]
	v_div_scale_f64 v[148:149], vcc_lo, 1.0, v[140:141], 1.0
	s_delay_alu instid0(VALU_DEP_1) | instskip(NEXT) | instid1(VALU_DEP_1)
	v_mul_f64 v[150:151], v[148:149], v[146:147]
	v_fma_f64 v[142:143], -v[142:143], v[150:151], v[148:149]
	s_delay_alu instid0(VALU_DEP_1) | instskip(NEXT) | instid1(VALU_DEP_1)
	v_div_fmas_f64 v[142:143], v[142:143], v[146:147], v[150:151]
	v_div_fixup_f64 v[146:147], v[142:143], v[140:141], 1.0
                                        ; implicit-def: $vgpr140_vgpr141
	s_delay_alu instid0(VALU_DEP_1)
	v_mul_f64 v[148:149], v[144:145], v[146:147]
	v_xor_b32_e32 v147, 0x80000000, v147
.LBB69_158:
	s_and_not1_saveexec_b32 s3, s3
	s_cbranch_execz .LBB69_160
; %bb.159:
	v_div_scale_f64 v[144:145], null, v[140:141], v[140:141], v[142:143]
	v_div_scale_f64 v[150:151], vcc_lo, v[142:143], v[140:141], v[142:143]
	s_delay_alu instid0(VALU_DEP_2) | instskip(SKIP_2) | instid1(VALU_DEP_1)
	v_rcp_f64_e32 v[146:147], v[144:145]
	s_waitcnt_depctr 0xfff
	v_fma_f64 v[148:149], -v[144:145], v[146:147], 1.0
	v_fma_f64 v[146:147], v[146:147], v[148:149], v[146:147]
	s_delay_alu instid0(VALU_DEP_1) | instskip(NEXT) | instid1(VALU_DEP_1)
	v_fma_f64 v[148:149], -v[144:145], v[146:147], 1.0
	v_fma_f64 v[146:147], v[146:147], v[148:149], v[146:147]
	s_delay_alu instid0(VALU_DEP_1) | instskip(NEXT) | instid1(VALU_DEP_1)
	v_mul_f64 v[148:149], v[150:151], v[146:147]
	v_fma_f64 v[144:145], -v[144:145], v[148:149], v[150:151]
	s_delay_alu instid0(VALU_DEP_1) | instskip(NEXT) | instid1(VALU_DEP_1)
	v_div_fmas_f64 v[144:145], v[144:145], v[146:147], v[148:149]
	v_div_fixup_f64 v[144:145], v[144:145], v[140:141], v[142:143]
	s_delay_alu instid0(VALU_DEP_1) | instskip(NEXT) | instid1(VALU_DEP_1)
	v_fma_f64 v[140:141], v[142:143], v[144:145], v[140:141]
	v_div_scale_f64 v[142:143], null, v[140:141], v[140:141], 1.0
	s_delay_alu instid0(VALU_DEP_1) | instskip(SKIP_2) | instid1(VALU_DEP_1)
	v_rcp_f64_e32 v[146:147], v[142:143]
	s_waitcnt_depctr 0xfff
	v_fma_f64 v[148:149], -v[142:143], v[146:147], 1.0
	v_fma_f64 v[146:147], v[146:147], v[148:149], v[146:147]
	s_delay_alu instid0(VALU_DEP_1) | instskip(NEXT) | instid1(VALU_DEP_1)
	v_fma_f64 v[148:149], -v[142:143], v[146:147], 1.0
	v_fma_f64 v[146:147], v[146:147], v[148:149], v[146:147]
	v_div_scale_f64 v[148:149], vcc_lo, 1.0, v[140:141], 1.0
	s_delay_alu instid0(VALU_DEP_1) | instskip(NEXT) | instid1(VALU_DEP_1)
	v_mul_f64 v[150:151], v[148:149], v[146:147]
	v_fma_f64 v[142:143], -v[142:143], v[150:151], v[148:149]
	s_delay_alu instid0(VALU_DEP_1) | instskip(NEXT) | instid1(VALU_DEP_1)
	v_div_fmas_f64 v[142:143], v[142:143], v[146:147], v[150:151]
	v_div_fixup_f64 v[148:149], v[142:143], v[140:141], 1.0
	s_delay_alu instid0(VALU_DEP_1)
	v_mul_f64 v[146:147], v[144:145], -v[148:149]
.LBB69_160:
	s_or_b32 exec_lo, exec_lo, s3
	ds_store_2addr_b64 v171, v[148:149], v[146:147] offset1:1
.LBB69_161:
	s_or_b32 exec_lo, exec_lo, s4
	s_waitcnt lgkmcnt(0)
	s_barrier
	buffer_gl0_inv
	ds_load_2addr_b64 v[140:143], v171 offset1:1
	s_mov_b32 s3, exec_lo
	s_waitcnt lgkmcnt(0)
	scratch_store_b128 off, v[140:143], off offset:392 ; 16-byte Folded Spill
	v_cmpx_lt_u32_e32 17, v170
	s_cbranch_execz .LBB69_163
; %bb.162:
	scratch_load_b128 v[142:145], off, off offset:392 ; 16-byte Folded Reload
	s_waitcnt vmcnt(0)
	v_mul_f64 v[140:141], v[144:145], v[70:71]
	v_mul_f64 v[70:71], v[142:143], v[70:71]
	s_delay_alu instid0(VALU_DEP_2) | instskip(NEXT) | instid1(VALU_DEP_2)
	v_fma_f64 v[140:141], v[142:143], v[68:69], -v[140:141]
	v_fma_f64 v[70:71], v[144:145], v[68:69], v[70:71]
	ds_load_2addr_b64 v[142:145], v172 offset0:36 offset1:37
	s_waitcnt lgkmcnt(0)
	v_mul_f64 v[68:69], v[144:145], v[70:71]
	s_delay_alu instid0(VALU_DEP_1) | instskip(SKIP_1) | instid1(VALU_DEP_2)
	v_fma_f64 v[68:69], v[142:143], v[140:141], -v[68:69]
	v_mul_f64 v[142:143], v[142:143], v[70:71]
	v_add_f64 v[64:65], v[64:65], -v[68:69]
	s_delay_alu instid0(VALU_DEP_2) | instskip(NEXT) | instid1(VALU_DEP_1)
	v_fma_f64 v[142:143], v[144:145], v[140:141], v[142:143]
	v_add_f64 v[66:67], v[66:67], -v[142:143]
	ds_load_2addr_b64 v[142:145], v172 offset0:38 offset1:39
	s_waitcnt lgkmcnt(0)
	v_mul_f64 v[68:69], v[144:145], v[70:71]
	s_delay_alu instid0(VALU_DEP_1) | instskip(SKIP_1) | instid1(VALU_DEP_2)
	v_fma_f64 v[68:69], v[142:143], v[140:141], -v[68:69]
	v_mul_f64 v[142:143], v[142:143], v[70:71]
	v_add_f64 v[60:61], v[60:61], -v[68:69]
	s_delay_alu instid0(VALU_DEP_2) | instskip(NEXT) | instid1(VALU_DEP_1)
	v_fma_f64 v[142:143], v[144:145], v[140:141], v[142:143]
	v_add_f64 v[62:63], v[62:63], -v[142:143]
	ds_load_2addr_b64 v[142:145], v172 offset0:40 offset1:41
	s_waitcnt lgkmcnt(0)
	v_mul_f64 v[68:69], v[144:145], v[70:71]
	s_delay_alu instid0(VALU_DEP_1) | instskip(SKIP_1) | instid1(VALU_DEP_2)
	v_fma_f64 v[68:69], v[142:143], v[140:141], -v[68:69]
	v_mul_f64 v[142:143], v[142:143], v[70:71]
	v_add_f64 v[56:57], v[56:57], -v[68:69]
	s_delay_alu instid0(VALU_DEP_2) | instskip(NEXT) | instid1(VALU_DEP_1)
	v_fma_f64 v[142:143], v[144:145], v[140:141], v[142:143]
	v_add_f64 v[58:59], v[58:59], -v[142:143]
	ds_load_2addr_b64 v[142:145], v172 offset0:42 offset1:43
	s_waitcnt lgkmcnt(0)
	v_mul_f64 v[68:69], v[144:145], v[70:71]
	s_delay_alu instid0(VALU_DEP_1) | instskip(SKIP_1) | instid1(VALU_DEP_2)
	v_fma_f64 v[68:69], v[142:143], v[140:141], -v[68:69]
	v_mul_f64 v[142:143], v[142:143], v[70:71]
	v_add_f64 v[52:53], v[52:53], -v[68:69]
	s_delay_alu instid0(VALU_DEP_2) | instskip(NEXT) | instid1(VALU_DEP_1)
	v_fma_f64 v[142:143], v[144:145], v[140:141], v[142:143]
	v_add_f64 v[54:55], v[54:55], -v[142:143]
	ds_load_2addr_b64 v[142:145], v172 offset0:44 offset1:45
	s_waitcnt lgkmcnt(0)
	v_mul_f64 v[68:69], v[144:145], v[70:71]
	s_delay_alu instid0(VALU_DEP_1) | instskip(SKIP_1) | instid1(VALU_DEP_2)
	v_fma_f64 v[68:69], v[142:143], v[140:141], -v[68:69]
	v_mul_f64 v[142:143], v[142:143], v[70:71]
	v_add_f64 v[48:49], v[48:49], -v[68:69]
	s_delay_alu instid0(VALU_DEP_2) | instskip(NEXT) | instid1(VALU_DEP_1)
	v_fma_f64 v[142:143], v[144:145], v[140:141], v[142:143]
	v_add_f64 v[50:51], v[50:51], -v[142:143]
	ds_load_2addr_b64 v[142:145], v172 offset0:46 offset1:47
	s_waitcnt lgkmcnt(0)
	v_mul_f64 v[68:69], v[144:145], v[70:71]
	s_delay_alu instid0(VALU_DEP_1) | instskip(SKIP_1) | instid1(VALU_DEP_2)
	v_fma_f64 v[68:69], v[142:143], v[140:141], -v[68:69]
	v_mul_f64 v[142:143], v[142:143], v[70:71]
	v_add_f64 v[44:45], v[44:45], -v[68:69]
	s_delay_alu instid0(VALU_DEP_2) | instskip(NEXT) | instid1(VALU_DEP_1)
	v_fma_f64 v[142:143], v[144:145], v[140:141], v[142:143]
	v_add_f64 v[46:47], v[46:47], -v[142:143]
	ds_load_2addr_b64 v[142:145], v172 offset0:48 offset1:49
	s_waitcnt lgkmcnt(0)
	v_mul_f64 v[68:69], v[144:145], v[70:71]
	s_delay_alu instid0(VALU_DEP_1) | instskip(SKIP_1) | instid1(VALU_DEP_2)
	v_fma_f64 v[68:69], v[142:143], v[140:141], -v[68:69]
	v_mul_f64 v[142:143], v[142:143], v[70:71]
	v_add_f64 v[40:41], v[40:41], -v[68:69]
	s_delay_alu instid0(VALU_DEP_2) | instskip(NEXT) | instid1(VALU_DEP_1)
	v_fma_f64 v[142:143], v[144:145], v[140:141], v[142:143]
	v_add_f64 v[42:43], v[42:43], -v[142:143]
	ds_load_2addr_b64 v[142:145], v172 offset0:50 offset1:51
	s_waitcnt lgkmcnt(0)
	v_mul_f64 v[68:69], v[144:145], v[70:71]
	s_delay_alu instid0(VALU_DEP_1) | instskip(SKIP_1) | instid1(VALU_DEP_2)
	v_fma_f64 v[68:69], v[142:143], v[140:141], -v[68:69]
	v_mul_f64 v[142:143], v[142:143], v[70:71]
	v_add_f64 v[36:37], v[36:37], -v[68:69]
	s_delay_alu instid0(VALU_DEP_2) | instskip(NEXT) | instid1(VALU_DEP_1)
	v_fma_f64 v[142:143], v[144:145], v[140:141], v[142:143]
	v_add_f64 v[38:39], v[38:39], -v[142:143]
	ds_load_2addr_b64 v[142:145], v172 offset0:52 offset1:53
	s_waitcnt lgkmcnt(0)
	v_mul_f64 v[68:69], v[144:145], v[70:71]
	s_delay_alu instid0(VALU_DEP_1) | instskip(SKIP_1) | instid1(VALU_DEP_2)
	v_fma_f64 v[68:69], v[142:143], v[140:141], -v[68:69]
	v_mul_f64 v[142:143], v[142:143], v[70:71]
	v_add_f64 v[32:33], v[32:33], -v[68:69]
	s_delay_alu instid0(VALU_DEP_2) | instskip(NEXT) | instid1(VALU_DEP_1)
	v_fma_f64 v[142:143], v[144:145], v[140:141], v[142:143]
	v_add_f64 v[34:35], v[34:35], -v[142:143]
	ds_load_2addr_b64 v[142:145], v172 offset0:54 offset1:55
	s_waitcnt lgkmcnt(0)
	v_mul_f64 v[68:69], v[144:145], v[70:71]
	s_delay_alu instid0(VALU_DEP_1) | instskip(SKIP_1) | instid1(VALU_DEP_2)
	v_fma_f64 v[68:69], v[142:143], v[140:141], -v[68:69]
	v_mul_f64 v[142:143], v[142:143], v[70:71]
	v_add_f64 v[28:29], v[28:29], -v[68:69]
	s_delay_alu instid0(VALU_DEP_2) | instskip(NEXT) | instid1(VALU_DEP_1)
	v_fma_f64 v[142:143], v[144:145], v[140:141], v[142:143]
	v_add_f64 v[30:31], v[30:31], -v[142:143]
	ds_load_2addr_b64 v[142:145], v172 offset0:56 offset1:57
	s_waitcnt lgkmcnt(0)
	v_mul_f64 v[68:69], v[144:145], v[70:71]
	s_delay_alu instid0(VALU_DEP_1) | instskip(SKIP_1) | instid1(VALU_DEP_2)
	v_fma_f64 v[68:69], v[142:143], v[140:141], -v[68:69]
	v_mul_f64 v[142:143], v[142:143], v[70:71]
	v_add_f64 v[24:25], v[24:25], -v[68:69]
	s_delay_alu instid0(VALU_DEP_2) | instskip(NEXT) | instid1(VALU_DEP_1)
	v_fma_f64 v[142:143], v[144:145], v[140:141], v[142:143]
	v_add_f64 v[26:27], v[26:27], -v[142:143]
	ds_load_2addr_b64 v[142:145], v172 offset0:58 offset1:59
	s_waitcnt lgkmcnt(0)
	v_mul_f64 v[68:69], v[144:145], v[70:71]
	s_delay_alu instid0(VALU_DEP_1) | instskip(SKIP_1) | instid1(VALU_DEP_2)
	v_fma_f64 v[68:69], v[142:143], v[140:141], -v[68:69]
	v_mul_f64 v[142:143], v[142:143], v[70:71]
	v_add_f64 v[20:21], v[20:21], -v[68:69]
	s_delay_alu instid0(VALU_DEP_2) | instskip(NEXT) | instid1(VALU_DEP_1)
	v_fma_f64 v[142:143], v[144:145], v[140:141], v[142:143]
	v_add_f64 v[22:23], v[22:23], -v[142:143]
	ds_load_2addr_b64 v[142:145], v172 offset0:60 offset1:61
	s_waitcnt lgkmcnt(0)
	v_mul_f64 v[68:69], v[144:145], v[70:71]
	s_delay_alu instid0(VALU_DEP_1) | instskip(SKIP_1) | instid1(VALU_DEP_2)
	v_fma_f64 v[68:69], v[142:143], v[140:141], -v[68:69]
	v_mul_f64 v[142:143], v[142:143], v[70:71]
	v_add_f64 v[16:17], v[16:17], -v[68:69]
	s_delay_alu instid0(VALU_DEP_2) | instskip(NEXT) | instid1(VALU_DEP_1)
	v_fma_f64 v[142:143], v[144:145], v[140:141], v[142:143]
	v_add_f64 v[18:19], v[18:19], -v[142:143]
	ds_load_2addr_b64 v[142:145], v172 offset0:62 offset1:63
	s_waitcnt lgkmcnt(0)
	v_mul_f64 v[68:69], v[144:145], v[70:71]
	s_delay_alu instid0(VALU_DEP_1) | instskip(SKIP_1) | instid1(VALU_DEP_2)
	v_fma_f64 v[68:69], v[142:143], v[140:141], -v[68:69]
	v_mul_f64 v[142:143], v[142:143], v[70:71]
	v_add_f64 v[12:13], v[12:13], -v[68:69]
	s_delay_alu instid0(VALU_DEP_2) | instskip(NEXT) | instid1(VALU_DEP_1)
	v_fma_f64 v[142:143], v[144:145], v[140:141], v[142:143]
	v_add_f64 v[14:15], v[14:15], -v[142:143]
	ds_load_2addr_b64 v[142:145], v172 offset0:64 offset1:65
	s_waitcnt lgkmcnt(0)
	v_mul_f64 v[68:69], v[144:145], v[70:71]
	s_delay_alu instid0(VALU_DEP_1) | instskip(SKIP_1) | instid1(VALU_DEP_2)
	v_fma_f64 v[68:69], v[142:143], v[140:141], -v[68:69]
	v_mul_f64 v[142:143], v[142:143], v[70:71]
	v_add_f64 v[8:9], v[8:9], -v[68:69]
	s_delay_alu instid0(VALU_DEP_2) | instskip(NEXT) | instid1(VALU_DEP_1)
	v_fma_f64 v[142:143], v[144:145], v[140:141], v[142:143]
	v_add_f64 v[10:11], v[10:11], -v[142:143]
	ds_load_2addr_b64 v[142:145], v172 offset0:66 offset1:67
	s_waitcnt lgkmcnt(0)
	v_mul_f64 v[68:69], v[144:145], v[70:71]
	s_delay_alu instid0(VALU_DEP_1) | instskip(SKIP_1) | instid1(VALU_DEP_2)
	v_fma_f64 v[68:69], v[142:143], v[140:141], -v[68:69]
	v_mul_f64 v[142:143], v[142:143], v[70:71]
	v_add_f64 v[4:5], v[4:5], -v[68:69]
	s_delay_alu instid0(VALU_DEP_2) | instskip(NEXT) | instid1(VALU_DEP_1)
	v_fma_f64 v[142:143], v[144:145], v[140:141], v[142:143]
	v_add_f64 v[6:7], v[6:7], -v[142:143]
	ds_load_2addr_b64 v[142:145], v172 offset0:68 offset1:69
	s_waitcnt lgkmcnt(0)
	v_mul_f64 v[68:69], v[144:145], v[70:71]
	s_delay_alu instid0(VALU_DEP_1) | instskip(SKIP_1) | instid1(VALU_DEP_2)
	v_fma_f64 v[68:69], v[142:143], v[140:141], -v[68:69]
	v_mul_f64 v[142:143], v[142:143], v[70:71]
	v_add_f64 v[0:1], v[0:1], -v[68:69]
	s_delay_alu instid0(VALU_DEP_2) | instskip(SKIP_1) | instid1(VALU_DEP_2)
	v_fma_f64 v[142:143], v[144:145], v[140:141], v[142:143]
	v_dual_mov_b32 v68, v140 :: v_dual_mov_b32 v69, v141
	v_add_f64 v[2:3], v[2:3], -v[142:143]
.LBB69_163:
	s_or_b32 exec_lo, exec_lo, s3
	s_delay_alu instid0(SALU_CYCLE_1)
	s_mov_b32 s4, exec_lo
	s_waitcnt_vscnt null, 0x0
	s_barrier
	buffer_gl0_inv
	v_cmpx_eq_u32_e32 18, v170
	s_cbranch_execz .LBB69_170
; %bb.164:
	ds_store_2addr_b64 v171, v[64:65], v[66:67] offset1:1
	ds_store_2addr_b64 v172, v[60:61], v[62:63] offset0:38 offset1:39
	ds_store_2addr_b64 v172, v[56:57], v[58:59] offset0:40 offset1:41
	;; [unrolled: 1-line block ×16, first 2 shown]
	ds_load_2addr_b64 v[140:143], v171 offset1:1
	s_waitcnt lgkmcnt(0)
	v_cmp_neq_f64_e32 vcc_lo, 0, v[140:141]
	v_cmp_neq_f64_e64 s3, 0, v[142:143]
	s_delay_alu instid0(VALU_DEP_1) | instskip(NEXT) | instid1(SALU_CYCLE_1)
	s_or_b32 s3, vcc_lo, s3
	s_and_b32 exec_lo, exec_lo, s3
	s_cbranch_execz .LBB69_170
; %bb.165:
	v_cmp_gt_f64_e32 vcc_lo, 0, v[140:141]
	v_xor_b32_e32 v144, 0x80000000, v141
	v_xor_b32_e32 v146, 0x80000000, v143
	s_mov_b32 s3, exec_lo
                                        ; implicit-def: $vgpr148_vgpr149
	s_delay_alu instid0(VALU_DEP_2) | instskip(SKIP_4) | instid1(VALU_DEP_1)
	v_cndmask_b32_e32 v145, v141, v144, vcc_lo
	v_cndmask_b32_e32 v144, v140, v140, vcc_lo
	v_cmp_gt_f64_e32 vcc_lo, 0, v[142:143]
	v_cndmask_b32_e32 v147, v143, v146, vcc_lo
	v_cndmask_b32_e32 v146, v142, v142, vcc_lo
	v_cmpx_ngt_f64_e32 v[144:145], v[146:147]
	s_xor_b32 s3, exec_lo, s3
                                        ; implicit-def: $vgpr144_vgpr145_vgpr146_vgpr147
	s_cbranch_execz .LBB69_167
; %bb.166:
	v_div_scale_f64 v[144:145], null, v[142:143], v[142:143], v[140:141]
	v_div_scale_f64 v[150:151], vcc_lo, v[140:141], v[142:143], v[140:141]
	s_delay_alu instid0(VALU_DEP_2) | instskip(SKIP_2) | instid1(VALU_DEP_1)
	v_rcp_f64_e32 v[146:147], v[144:145]
	s_waitcnt_depctr 0xfff
	v_fma_f64 v[148:149], -v[144:145], v[146:147], 1.0
	v_fma_f64 v[146:147], v[146:147], v[148:149], v[146:147]
	s_delay_alu instid0(VALU_DEP_1) | instskip(NEXT) | instid1(VALU_DEP_1)
	v_fma_f64 v[148:149], -v[144:145], v[146:147], 1.0
	v_fma_f64 v[146:147], v[146:147], v[148:149], v[146:147]
	s_delay_alu instid0(VALU_DEP_1) | instskip(NEXT) | instid1(VALU_DEP_1)
	v_mul_f64 v[148:149], v[150:151], v[146:147]
	v_fma_f64 v[144:145], -v[144:145], v[148:149], v[150:151]
	s_delay_alu instid0(VALU_DEP_1) | instskip(NEXT) | instid1(VALU_DEP_1)
	v_div_fmas_f64 v[144:145], v[144:145], v[146:147], v[148:149]
	v_div_fixup_f64 v[144:145], v[144:145], v[142:143], v[140:141]
	s_delay_alu instid0(VALU_DEP_1) | instskip(NEXT) | instid1(VALU_DEP_1)
	v_fma_f64 v[140:141], v[140:141], v[144:145], v[142:143]
	v_div_scale_f64 v[142:143], null, v[140:141], v[140:141], 1.0
	s_delay_alu instid0(VALU_DEP_1) | instskip(SKIP_2) | instid1(VALU_DEP_1)
	v_rcp_f64_e32 v[146:147], v[142:143]
	s_waitcnt_depctr 0xfff
	v_fma_f64 v[148:149], -v[142:143], v[146:147], 1.0
	v_fma_f64 v[146:147], v[146:147], v[148:149], v[146:147]
	s_delay_alu instid0(VALU_DEP_1) | instskip(NEXT) | instid1(VALU_DEP_1)
	v_fma_f64 v[148:149], -v[142:143], v[146:147], 1.0
	v_fma_f64 v[146:147], v[146:147], v[148:149], v[146:147]
	v_div_scale_f64 v[148:149], vcc_lo, 1.0, v[140:141], 1.0
	s_delay_alu instid0(VALU_DEP_1) | instskip(NEXT) | instid1(VALU_DEP_1)
	v_mul_f64 v[150:151], v[148:149], v[146:147]
	v_fma_f64 v[142:143], -v[142:143], v[150:151], v[148:149]
	s_delay_alu instid0(VALU_DEP_1) | instskip(NEXT) | instid1(VALU_DEP_1)
	v_div_fmas_f64 v[142:143], v[142:143], v[146:147], v[150:151]
	v_div_fixup_f64 v[146:147], v[142:143], v[140:141], 1.0
                                        ; implicit-def: $vgpr140_vgpr141
	s_delay_alu instid0(VALU_DEP_1)
	v_mul_f64 v[148:149], v[144:145], v[146:147]
	v_xor_b32_e32 v147, 0x80000000, v147
.LBB69_167:
	s_and_not1_saveexec_b32 s3, s3
	s_cbranch_execz .LBB69_169
; %bb.168:
	v_div_scale_f64 v[144:145], null, v[140:141], v[140:141], v[142:143]
	v_div_scale_f64 v[150:151], vcc_lo, v[142:143], v[140:141], v[142:143]
	s_delay_alu instid0(VALU_DEP_2) | instskip(SKIP_2) | instid1(VALU_DEP_1)
	v_rcp_f64_e32 v[146:147], v[144:145]
	s_waitcnt_depctr 0xfff
	v_fma_f64 v[148:149], -v[144:145], v[146:147], 1.0
	v_fma_f64 v[146:147], v[146:147], v[148:149], v[146:147]
	s_delay_alu instid0(VALU_DEP_1) | instskip(NEXT) | instid1(VALU_DEP_1)
	v_fma_f64 v[148:149], -v[144:145], v[146:147], 1.0
	v_fma_f64 v[146:147], v[146:147], v[148:149], v[146:147]
	s_delay_alu instid0(VALU_DEP_1) | instskip(NEXT) | instid1(VALU_DEP_1)
	v_mul_f64 v[148:149], v[150:151], v[146:147]
	v_fma_f64 v[144:145], -v[144:145], v[148:149], v[150:151]
	s_delay_alu instid0(VALU_DEP_1) | instskip(NEXT) | instid1(VALU_DEP_1)
	v_div_fmas_f64 v[144:145], v[144:145], v[146:147], v[148:149]
	v_div_fixup_f64 v[144:145], v[144:145], v[140:141], v[142:143]
	s_delay_alu instid0(VALU_DEP_1) | instskip(NEXT) | instid1(VALU_DEP_1)
	v_fma_f64 v[140:141], v[142:143], v[144:145], v[140:141]
	v_div_scale_f64 v[142:143], null, v[140:141], v[140:141], 1.0
	s_delay_alu instid0(VALU_DEP_1) | instskip(SKIP_2) | instid1(VALU_DEP_1)
	v_rcp_f64_e32 v[146:147], v[142:143]
	s_waitcnt_depctr 0xfff
	v_fma_f64 v[148:149], -v[142:143], v[146:147], 1.0
	v_fma_f64 v[146:147], v[146:147], v[148:149], v[146:147]
	s_delay_alu instid0(VALU_DEP_1) | instskip(NEXT) | instid1(VALU_DEP_1)
	v_fma_f64 v[148:149], -v[142:143], v[146:147], 1.0
	v_fma_f64 v[146:147], v[146:147], v[148:149], v[146:147]
	v_div_scale_f64 v[148:149], vcc_lo, 1.0, v[140:141], 1.0
	s_delay_alu instid0(VALU_DEP_1) | instskip(NEXT) | instid1(VALU_DEP_1)
	v_mul_f64 v[150:151], v[148:149], v[146:147]
	v_fma_f64 v[142:143], -v[142:143], v[150:151], v[148:149]
	s_delay_alu instid0(VALU_DEP_1) | instskip(NEXT) | instid1(VALU_DEP_1)
	v_div_fmas_f64 v[142:143], v[142:143], v[146:147], v[150:151]
	v_div_fixup_f64 v[148:149], v[142:143], v[140:141], 1.0
	s_delay_alu instid0(VALU_DEP_1)
	v_mul_f64 v[146:147], v[144:145], -v[148:149]
.LBB69_169:
	s_or_b32 exec_lo, exec_lo, s3
	ds_store_2addr_b64 v171, v[148:149], v[146:147] offset1:1
.LBB69_170:
	s_or_b32 exec_lo, exec_lo, s4
	s_waitcnt lgkmcnt(0)
	s_barrier
	buffer_gl0_inv
	ds_load_2addr_b64 v[140:143], v171 offset1:1
	s_mov_b32 s3, exec_lo
	s_waitcnt lgkmcnt(0)
	scratch_store_b128 off, v[140:143], off offset:408 ; 16-byte Folded Spill
	v_cmpx_lt_u32_e32 18, v170
	s_cbranch_execz .LBB69_172
; %bb.171:
	scratch_load_b128 v[142:145], off, off offset:408 ; 16-byte Folded Reload
	s_waitcnt vmcnt(0)
	v_mul_f64 v[140:141], v[142:143], v[66:67]
	v_mul_f64 v[66:67], v[144:145], v[66:67]
	s_delay_alu instid0(VALU_DEP_2) | instskip(NEXT) | instid1(VALU_DEP_2)
	v_fma_f64 v[140:141], v[144:145], v[64:65], v[140:141]
	v_fma_f64 v[64:65], v[142:143], v[64:65], -v[66:67]
	ds_load_2addr_b64 v[142:145], v172 offset0:38 offset1:39
	s_waitcnt lgkmcnt(0)
	v_mul_f64 v[66:67], v[144:145], v[140:141]
	s_delay_alu instid0(VALU_DEP_1) | instskip(SKIP_1) | instid1(VALU_DEP_2)
	v_fma_f64 v[66:67], v[142:143], v[64:65], -v[66:67]
	v_mul_f64 v[142:143], v[142:143], v[140:141]
	v_add_f64 v[60:61], v[60:61], -v[66:67]
	s_delay_alu instid0(VALU_DEP_2) | instskip(NEXT) | instid1(VALU_DEP_1)
	v_fma_f64 v[142:143], v[144:145], v[64:65], v[142:143]
	v_add_f64 v[62:63], v[62:63], -v[142:143]
	ds_load_2addr_b64 v[142:145], v172 offset0:40 offset1:41
	s_waitcnt lgkmcnt(0)
	v_mul_f64 v[66:67], v[144:145], v[140:141]
	s_delay_alu instid0(VALU_DEP_1) | instskip(SKIP_1) | instid1(VALU_DEP_2)
	v_fma_f64 v[66:67], v[142:143], v[64:65], -v[66:67]
	v_mul_f64 v[142:143], v[142:143], v[140:141]
	v_add_f64 v[56:57], v[56:57], -v[66:67]
	s_delay_alu instid0(VALU_DEP_2) | instskip(NEXT) | instid1(VALU_DEP_1)
	v_fma_f64 v[142:143], v[144:145], v[64:65], v[142:143]
	v_add_f64 v[58:59], v[58:59], -v[142:143]
	;; [unrolled: 10-line block ×15, first 2 shown]
	ds_load_2addr_b64 v[142:145], v172 offset0:68 offset1:69
	s_waitcnt lgkmcnt(0)
	v_mul_f64 v[66:67], v[144:145], v[140:141]
	s_delay_alu instid0(VALU_DEP_1) | instskip(SKIP_1) | instid1(VALU_DEP_2)
	v_fma_f64 v[66:67], v[142:143], v[64:65], -v[66:67]
	v_mul_f64 v[142:143], v[142:143], v[140:141]
	v_add_f64 v[0:1], v[0:1], -v[66:67]
	s_delay_alu instid0(VALU_DEP_2) | instskip(SKIP_1) | instid1(VALU_DEP_2)
	v_fma_f64 v[142:143], v[144:145], v[64:65], v[142:143]
	v_dual_mov_b32 v66, v140 :: v_dual_mov_b32 v67, v141
	v_add_f64 v[2:3], v[2:3], -v[142:143]
.LBB69_172:
	s_or_b32 exec_lo, exec_lo, s3
	s_delay_alu instid0(SALU_CYCLE_1)
	s_mov_b32 s4, exec_lo
	s_waitcnt_vscnt null, 0x0
	s_barrier
	buffer_gl0_inv
	v_cmpx_eq_u32_e32 19, v170
	s_cbranch_execz .LBB69_179
; %bb.173:
	ds_store_2addr_b64 v171, v[60:61], v[62:63] offset1:1
	ds_store_2addr_b64 v172, v[56:57], v[58:59] offset0:40 offset1:41
	ds_store_2addr_b64 v172, v[52:53], v[54:55] offset0:42 offset1:43
	;; [unrolled: 1-line block ×15, first 2 shown]
	ds_load_2addr_b64 v[140:143], v171 offset1:1
	s_waitcnt lgkmcnt(0)
	v_cmp_neq_f64_e32 vcc_lo, 0, v[140:141]
	v_cmp_neq_f64_e64 s3, 0, v[142:143]
	s_delay_alu instid0(VALU_DEP_1) | instskip(NEXT) | instid1(SALU_CYCLE_1)
	s_or_b32 s3, vcc_lo, s3
	s_and_b32 exec_lo, exec_lo, s3
	s_cbranch_execz .LBB69_179
; %bb.174:
	v_cmp_gt_f64_e32 vcc_lo, 0, v[140:141]
	v_xor_b32_e32 v144, 0x80000000, v141
	v_xor_b32_e32 v146, 0x80000000, v143
	s_mov_b32 s3, exec_lo
                                        ; implicit-def: $vgpr148_vgpr149
	s_delay_alu instid0(VALU_DEP_2) | instskip(SKIP_4) | instid1(VALU_DEP_1)
	v_cndmask_b32_e32 v145, v141, v144, vcc_lo
	v_cndmask_b32_e32 v144, v140, v140, vcc_lo
	v_cmp_gt_f64_e32 vcc_lo, 0, v[142:143]
	v_cndmask_b32_e32 v147, v143, v146, vcc_lo
	v_cndmask_b32_e32 v146, v142, v142, vcc_lo
	v_cmpx_ngt_f64_e32 v[144:145], v[146:147]
	s_xor_b32 s3, exec_lo, s3
                                        ; implicit-def: $vgpr144_vgpr145_vgpr146_vgpr147
	s_cbranch_execz .LBB69_176
; %bb.175:
	v_div_scale_f64 v[144:145], null, v[142:143], v[142:143], v[140:141]
	v_div_scale_f64 v[150:151], vcc_lo, v[140:141], v[142:143], v[140:141]
	s_delay_alu instid0(VALU_DEP_2) | instskip(SKIP_2) | instid1(VALU_DEP_1)
	v_rcp_f64_e32 v[146:147], v[144:145]
	s_waitcnt_depctr 0xfff
	v_fma_f64 v[148:149], -v[144:145], v[146:147], 1.0
	v_fma_f64 v[146:147], v[146:147], v[148:149], v[146:147]
	s_delay_alu instid0(VALU_DEP_1) | instskip(NEXT) | instid1(VALU_DEP_1)
	v_fma_f64 v[148:149], -v[144:145], v[146:147], 1.0
	v_fma_f64 v[146:147], v[146:147], v[148:149], v[146:147]
	s_delay_alu instid0(VALU_DEP_1) | instskip(NEXT) | instid1(VALU_DEP_1)
	v_mul_f64 v[148:149], v[150:151], v[146:147]
	v_fma_f64 v[144:145], -v[144:145], v[148:149], v[150:151]
	s_delay_alu instid0(VALU_DEP_1) | instskip(NEXT) | instid1(VALU_DEP_1)
	v_div_fmas_f64 v[144:145], v[144:145], v[146:147], v[148:149]
	v_div_fixup_f64 v[144:145], v[144:145], v[142:143], v[140:141]
	s_delay_alu instid0(VALU_DEP_1) | instskip(NEXT) | instid1(VALU_DEP_1)
	v_fma_f64 v[140:141], v[140:141], v[144:145], v[142:143]
	v_div_scale_f64 v[142:143], null, v[140:141], v[140:141], 1.0
	s_delay_alu instid0(VALU_DEP_1) | instskip(SKIP_2) | instid1(VALU_DEP_1)
	v_rcp_f64_e32 v[146:147], v[142:143]
	s_waitcnt_depctr 0xfff
	v_fma_f64 v[148:149], -v[142:143], v[146:147], 1.0
	v_fma_f64 v[146:147], v[146:147], v[148:149], v[146:147]
	s_delay_alu instid0(VALU_DEP_1) | instskip(NEXT) | instid1(VALU_DEP_1)
	v_fma_f64 v[148:149], -v[142:143], v[146:147], 1.0
	v_fma_f64 v[146:147], v[146:147], v[148:149], v[146:147]
	v_div_scale_f64 v[148:149], vcc_lo, 1.0, v[140:141], 1.0
	s_delay_alu instid0(VALU_DEP_1) | instskip(NEXT) | instid1(VALU_DEP_1)
	v_mul_f64 v[150:151], v[148:149], v[146:147]
	v_fma_f64 v[142:143], -v[142:143], v[150:151], v[148:149]
	s_delay_alu instid0(VALU_DEP_1) | instskip(NEXT) | instid1(VALU_DEP_1)
	v_div_fmas_f64 v[142:143], v[142:143], v[146:147], v[150:151]
	v_div_fixup_f64 v[146:147], v[142:143], v[140:141], 1.0
                                        ; implicit-def: $vgpr140_vgpr141
	s_delay_alu instid0(VALU_DEP_1)
	v_mul_f64 v[148:149], v[144:145], v[146:147]
	v_xor_b32_e32 v147, 0x80000000, v147
.LBB69_176:
	s_and_not1_saveexec_b32 s3, s3
	s_cbranch_execz .LBB69_178
; %bb.177:
	v_div_scale_f64 v[144:145], null, v[140:141], v[140:141], v[142:143]
	v_div_scale_f64 v[150:151], vcc_lo, v[142:143], v[140:141], v[142:143]
	s_delay_alu instid0(VALU_DEP_2) | instskip(SKIP_2) | instid1(VALU_DEP_1)
	v_rcp_f64_e32 v[146:147], v[144:145]
	s_waitcnt_depctr 0xfff
	v_fma_f64 v[148:149], -v[144:145], v[146:147], 1.0
	v_fma_f64 v[146:147], v[146:147], v[148:149], v[146:147]
	s_delay_alu instid0(VALU_DEP_1) | instskip(NEXT) | instid1(VALU_DEP_1)
	v_fma_f64 v[148:149], -v[144:145], v[146:147], 1.0
	v_fma_f64 v[146:147], v[146:147], v[148:149], v[146:147]
	s_delay_alu instid0(VALU_DEP_1) | instskip(NEXT) | instid1(VALU_DEP_1)
	v_mul_f64 v[148:149], v[150:151], v[146:147]
	v_fma_f64 v[144:145], -v[144:145], v[148:149], v[150:151]
	s_delay_alu instid0(VALU_DEP_1) | instskip(NEXT) | instid1(VALU_DEP_1)
	v_div_fmas_f64 v[144:145], v[144:145], v[146:147], v[148:149]
	v_div_fixup_f64 v[144:145], v[144:145], v[140:141], v[142:143]
	s_delay_alu instid0(VALU_DEP_1) | instskip(NEXT) | instid1(VALU_DEP_1)
	v_fma_f64 v[140:141], v[142:143], v[144:145], v[140:141]
	v_div_scale_f64 v[142:143], null, v[140:141], v[140:141], 1.0
	s_delay_alu instid0(VALU_DEP_1) | instskip(SKIP_2) | instid1(VALU_DEP_1)
	v_rcp_f64_e32 v[146:147], v[142:143]
	s_waitcnt_depctr 0xfff
	v_fma_f64 v[148:149], -v[142:143], v[146:147], 1.0
	v_fma_f64 v[146:147], v[146:147], v[148:149], v[146:147]
	s_delay_alu instid0(VALU_DEP_1) | instskip(NEXT) | instid1(VALU_DEP_1)
	v_fma_f64 v[148:149], -v[142:143], v[146:147], 1.0
	v_fma_f64 v[146:147], v[146:147], v[148:149], v[146:147]
	v_div_scale_f64 v[148:149], vcc_lo, 1.0, v[140:141], 1.0
	s_delay_alu instid0(VALU_DEP_1) | instskip(NEXT) | instid1(VALU_DEP_1)
	v_mul_f64 v[150:151], v[148:149], v[146:147]
	v_fma_f64 v[142:143], -v[142:143], v[150:151], v[148:149]
	s_delay_alu instid0(VALU_DEP_1) | instskip(NEXT) | instid1(VALU_DEP_1)
	v_div_fmas_f64 v[142:143], v[142:143], v[146:147], v[150:151]
	v_div_fixup_f64 v[148:149], v[142:143], v[140:141], 1.0
	s_delay_alu instid0(VALU_DEP_1)
	v_mul_f64 v[146:147], v[144:145], -v[148:149]
.LBB69_178:
	s_or_b32 exec_lo, exec_lo, s3
	ds_store_2addr_b64 v171, v[148:149], v[146:147] offset1:1
.LBB69_179:
	s_or_b32 exec_lo, exec_lo, s4
	s_waitcnt lgkmcnt(0)
	s_barrier
	buffer_gl0_inv
	ds_load_2addr_b64 v[216:219], v171 offset1:1
	s_mov_b32 s3, exec_lo
	v_cmpx_lt_u32_e32 19, v170
	s_cbranch_execz .LBB69_181
; %bb.180:
	s_waitcnt lgkmcnt(0)
	v_mul_f64 v[140:141], v[216:217], v[62:63]
	v_mul_f64 v[62:63], v[218:219], v[62:63]
	ds_load_2addr_b64 v[142:145], v172 offset0:40 offset1:41
	v_fma_f64 v[140:141], v[218:219], v[60:61], v[140:141]
	v_fma_f64 v[60:61], v[216:217], v[60:61], -v[62:63]
	s_waitcnt lgkmcnt(0)
	s_delay_alu instid0(VALU_DEP_2) | instskip(NEXT) | instid1(VALU_DEP_1)
	v_mul_f64 v[62:63], v[144:145], v[140:141]
	v_fma_f64 v[62:63], v[142:143], v[60:61], -v[62:63]
	v_mul_f64 v[142:143], v[142:143], v[140:141]
	s_delay_alu instid0(VALU_DEP_2) | instskip(NEXT) | instid1(VALU_DEP_2)
	v_add_f64 v[56:57], v[56:57], -v[62:63]
	v_fma_f64 v[142:143], v[144:145], v[60:61], v[142:143]
	s_delay_alu instid0(VALU_DEP_1) | instskip(SKIP_3) | instid1(VALU_DEP_1)
	v_add_f64 v[58:59], v[58:59], -v[142:143]
	ds_load_2addr_b64 v[142:145], v172 offset0:42 offset1:43
	s_waitcnt lgkmcnt(0)
	v_mul_f64 v[62:63], v[144:145], v[140:141]
	v_fma_f64 v[62:63], v[142:143], v[60:61], -v[62:63]
	v_mul_f64 v[142:143], v[142:143], v[140:141]
	s_delay_alu instid0(VALU_DEP_2) | instskip(NEXT) | instid1(VALU_DEP_2)
	v_add_f64 v[52:53], v[52:53], -v[62:63]
	v_fma_f64 v[142:143], v[144:145], v[60:61], v[142:143]
	s_delay_alu instid0(VALU_DEP_1) | instskip(SKIP_3) | instid1(VALU_DEP_1)
	v_add_f64 v[54:55], v[54:55], -v[142:143]
	ds_load_2addr_b64 v[142:145], v172 offset0:44 offset1:45
	s_waitcnt lgkmcnt(0)
	;; [unrolled: 10-line block ×14, first 2 shown]
	v_mul_f64 v[62:63], v[144:145], v[140:141]
	v_fma_f64 v[62:63], v[142:143], v[60:61], -v[62:63]
	v_mul_f64 v[142:143], v[142:143], v[140:141]
	s_delay_alu instid0(VALU_DEP_2) | instskip(NEXT) | instid1(VALU_DEP_2)
	v_add_f64 v[0:1], v[0:1], -v[62:63]
	v_fma_f64 v[142:143], v[144:145], v[60:61], v[142:143]
	v_dual_mov_b32 v62, v140 :: v_dual_mov_b32 v63, v141
	s_delay_alu instid0(VALU_DEP_2)
	v_add_f64 v[2:3], v[2:3], -v[142:143]
.LBB69_181:
	s_or_b32 exec_lo, exec_lo, s3
	s_delay_alu instid0(SALU_CYCLE_1)
	s_mov_b32 s4, exec_lo
	s_waitcnt lgkmcnt(0)
	s_barrier
	buffer_gl0_inv
	v_cmpx_eq_u32_e32 20, v170
	s_cbranch_execz .LBB69_188
; %bb.182:
	ds_store_2addr_b64 v171, v[56:57], v[58:59] offset1:1
	ds_store_2addr_b64 v172, v[52:53], v[54:55] offset0:42 offset1:43
	ds_store_2addr_b64 v172, v[48:49], v[50:51] offset0:44 offset1:45
	;; [unrolled: 1-line block ×14, first 2 shown]
	ds_load_2addr_b64 v[140:143], v171 offset1:1
	s_waitcnt lgkmcnt(0)
	v_cmp_neq_f64_e32 vcc_lo, 0, v[140:141]
	v_cmp_neq_f64_e64 s3, 0, v[142:143]
	s_delay_alu instid0(VALU_DEP_1) | instskip(NEXT) | instid1(SALU_CYCLE_1)
	s_or_b32 s3, vcc_lo, s3
	s_and_b32 exec_lo, exec_lo, s3
	s_cbranch_execz .LBB69_188
; %bb.183:
	v_cmp_gt_f64_e32 vcc_lo, 0, v[140:141]
	v_xor_b32_e32 v144, 0x80000000, v141
	v_xor_b32_e32 v146, 0x80000000, v143
	s_mov_b32 s3, exec_lo
                                        ; implicit-def: $vgpr148_vgpr149
	s_delay_alu instid0(VALU_DEP_2) | instskip(SKIP_4) | instid1(VALU_DEP_1)
	v_cndmask_b32_e32 v145, v141, v144, vcc_lo
	v_cndmask_b32_e32 v144, v140, v140, vcc_lo
	v_cmp_gt_f64_e32 vcc_lo, 0, v[142:143]
	v_cndmask_b32_e32 v147, v143, v146, vcc_lo
	v_cndmask_b32_e32 v146, v142, v142, vcc_lo
	v_cmpx_ngt_f64_e32 v[144:145], v[146:147]
	s_xor_b32 s3, exec_lo, s3
                                        ; implicit-def: $vgpr144_vgpr145_vgpr146_vgpr147
	s_cbranch_execz .LBB69_185
; %bb.184:
	v_div_scale_f64 v[144:145], null, v[142:143], v[142:143], v[140:141]
	v_div_scale_f64 v[150:151], vcc_lo, v[140:141], v[142:143], v[140:141]
	s_delay_alu instid0(VALU_DEP_2) | instskip(SKIP_2) | instid1(VALU_DEP_1)
	v_rcp_f64_e32 v[146:147], v[144:145]
	s_waitcnt_depctr 0xfff
	v_fma_f64 v[148:149], -v[144:145], v[146:147], 1.0
	v_fma_f64 v[146:147], v[146:147], v[148:149], v[146:147]
	s_delay_alu instid0(VALU_DEP_1) | instskip(NEXT) | instid1(VALU_DEP_1)
	v_fma_f64 v[148:149], -v[144:145], v[146:147], 1.0
	v_fma_f64 v[146:147], v[146:147], v[148:149], v[146:147]
	s_delay_alu instid0(VALU_DEP_1) | instskip(NEXT) | instid1(VALU_DEP_1)
	v_mul_f64 v[148:149], v[150:151], v[146:147]
	v_fma_f64 v[144:145], -v[144:145], v[148:149], v[150:151]
	s_delay_alu instid0(VALU_DEP_1) | instskip(NEXT) | instid1(VALU_DEP_1)
	v_div_fmas_f64 v[144:145], v[144:145], v[146:147], v[148:149]
	v_div_fixup_f64 v[144:145], v[144:145], v[142:143], v[140:141]
	s_delay_alu instid0(VALU_DEP_1) | instskip(NEXT) | instid1(VALU_DEP_1)
	v_fma_f64 v[140:141], v[140:141], v[144:145], v[142:143]
	v_div_scale_f64 v[142:143], null, v[140:141], v[140:141], 1.0
	s_delay_alu instid0(VALU_DEP_1) | instskip(SKIP_2) | instid1(VALU_DEP_1)
	v_rcp_f64_e32 v[146:147], v[142:143]
	s_waitcnt_depctr 0xfff
	v_fma_f64 v[148:149], -v[142:143], v[146:147], 1.0
	v_fma_f64 v[146:147], v[146:147], v[148:149], v[146:147]
	s_delay_alu instid0(VALU_DEP_1) | instskip(NEXT) | instid1(VALU_DEP_1)
	v_fma_f64 v[148:149], -v[142:143], v[146:147], 1.0
	v_fma_f64 v[146:147], v[146:147], v[148:149], v[146:147]
	v_div_scale_f64 v[148:149], vcc_lo, 1.0, v[140:141], 1.0
	s_delay_alu instid0(VALU_DEP_1) | instskip(NEXT) | instid1(VALU_DEP_1)
	v_mul_f64 v[150:151], v[148:149], v[146:147]
	v_fma_f64 v[142:143], -v[142:143], v[150:151], v[148:149]
	s_delay_alu instid0(VALU_DEP_1) | instskip(NEXT) | instid1(VALU_DEP_1)
	v_div_fmas_f64 v[142:143], v[142:143], v[146:147], v[150:151]
	v_div_fixup_f64 v[146:147], v[142:143], v[140:141], 1.0
                                        ; implicit-def: $vgpr140_vgpr141
	s_delay_alu instid0(VALU_DEP_1)
	v_mul_f64 v[148:149], v[144:145], v[146:147]
	v_xor_b32_e32 v147, 0x80000000, v147
.LBB69_185:
	s_and_not1_saveexec_b32 s3, s3
	s_cbranch_execz .LBB69_187
; %bb.186:
	v_div_scale_f64 v[144:145], null, v[140:141], v[140:141], v[142:143]
	v_div_scale_f64 v[150:151], vcc_lo, v[142:143], v[140:141], v[142:143]
	s_delay_alu instid0(VALU_DEP_2) | instskip(SKIP_2) | instid1(VALU_DEP_1)
	v_rcp_f64_e32 v[146:147], v[144:145]
	s_waitcnt_depctr 0xfff
	v_fma_f64 v[148:149], -v[144:145], v[146:147], 1.0
	v_fma_f64 v[146:147], v[146:147], v[148:149], v[146:147]
	s_delay_alu instid0(VALU_DEP_1) | instskip(NEXT) | instid1(VALU_DEP_1)
	v_fma_f64 v[148:149], -v[144:145], v[146:147], 1.0
	v_fma_f64 v[146:147], v[146:147], v[148:149], v[146:147]
	s_delay_alu instid0(VALU_DEP_1) | instskip(NEXT) | instid1(VALU_DEP_1)
	v_mul_f64 v[148:149], v[150:151], v[146:147]
	v_fma_f64 v[144:145], -v[144:145], v[148:149], v[150:151]
	s_delay_alu instid0(VALU_DEP_1) | instskip(NEXT) | instid1(VALU_DEP_1)
	v_div_fmas_f64 v[144:145], v[144:145], v[146:147], v[148:149]
	v_div_fixup_f64 v[144:145], v[144:145], v[140:141], v[142:143]
	s_delay_alu instid0(VALU_DEP_1) | instskip(NEXT) | instid1(VALU_DEP_1)
	v_fma_f64 v[140:141], v[142:143], v[144:145], v[140:141]
	v_div_scale_f64 v[142:143], null, v[140:141], v[140:141], 1.0
	s_delay_alu instid0(VALU_DEP_1) | instskip(SKIP_2) | instid1(VALU_DEP_1)
	v_rcp_f64_e32 v[146:147], v[142:143]
	s_waitcnt_depctr 0xfff
	v_fma_f64 v[148:149], -v[142:143], v[146:147], 1.0
	v_fma_f64 v[146:147], v[146:147], v[148:149], v[146:147]
	s_delay_alu instid0(VALU_DEP_1) | instskip(NEXT) | instid1(VALU_DEP_1)
	v_fma_f64 v[148:149], -v[142:143], v[146:147], 1.0
	v_fma_f64 v[146:147], v[146:147], v[148:149], v[146:147]
	v_div_scale_f64 v[148:149], vcc_lo, 1.0, v[140:141], 1.0
	s_delay_alu instid0(VALU_DEP_1) | instskip(NEXT) | instid1(VALU_DEP_1)
	v_mul_f64 v[150:151], v[148:149], v[146:147]
	v_fma_f64 v[142:143], -v[142:143], v[150:151], v[148:149]
	s_delay_alu instid0(VALU_DEP_1) | instskip(NEXT) | instid1(VALU_DEP_1)
	v_div_fmas_f64 v[142:143], v[142:143], v[146:147], v[150:151]
	v_div_fixup_f64 v[148:149], v[142:143], v[140:141], 1.0
	s_delay_alu instid0(VALU_DEP_1)
	v_mul_f64 v[146:147], v[144:145], -v[148:149]
.LBB69_187:
	s_or_b32 exec_lo, exec_lo, s3
	ds_store_2addr_b64 v171, v[148:149], v[146:147] offset1:1
.LBB69_188:
	s_or_b32 exec_lo, exec_lo, s4
	s_waitcnt lgkmcnt(0)
	s_barrier
	buffer_gl0_inv
	ds_load_2addr_b64 v[220:223], v171 offset1:1
	s_mov_b32 s3, exec_lo
	v_cmpx_lt_u32_e32 20, v170
	s_cbranch_execz .LBB69_190
; %bb.189:
	s_waitcnt lgkmcnt(0)
	v_mul_f64 v[140:141], v[220:221], v[58:59]
	v_mul_f64 v[58:59], v[222:223], v[58:59]
	ds_load_2addr_b64 v[142:145], v172 offset0:42 offset1:43
	v_fma_f64 v[140:141], v[222:223], v[56:57], v[140:141]
	v_fma_f64 v[56:57], v[220:221], v[56:57], -v[58:59]
	s_waitcnt lgkmcnt(0)
	s_delay_alu instid0(VALU_DEP_2) | instskip(NEXT) | instid1(VALU_DEP_1)
	v_mul_f64 v[58:59], v[144:145], v[140:141]
	v_fma_f64 v[58:59], v[142:143], v[56:57], -v[58:59]
	v_mul_f64 v[142:143], v[142:143], v[140:141]
	s_delay_alu instid0(VALU_DEP_2) | instskip(NEXT) | instid1(VALU_DEP_2)
	v_add_f64 v[52:53], v[52:53], -v[58:59]
	v_fma_f64 v[142:143], v[144:145], v[56:57], v[142:143]
	s_delay_alu instid0(VALU_DEP_1) | instskip(SKIP_3) | instid1(VALU_DEP_1)
	v_add_f64 v[54:55], v[54:55], -v[142:143]
	ds_load_2addr_b64 v[142:145], v172 offset0:44 offset1:45
	s_waitcnt lgkmcnt(0)
	v_mul_f64 v[58:59], v[144:145], v[140:141]
	v_fma_f64 v[58:59], v[142:143], v[56:57], -v[58:59]
	v_mul_f64 v[142:143], v[142:143], v[140:141]
	s_delay_alu instid0(VALU_DEP_2) | instskip(NEXT) | instid1(VALU_DEP_2)
	v_add_f64 v[48:49], v[48:49], -v[58:59]
	v_fma_f64 v[142:143], v[144:145], v[56:57], v[142:143]
	s_delay_alu instid0(VALU_DEP_1) | instskip(SKIP_3) | instid1(VALU_DEP_1)
	v_add_f64 v[50:51], v[50:51], -v[142:143]
	ds_load_2addr_b64 v[142:145], v172 offset0:46 offset1:47
	s_waitcnt lgkmcnt(0)
	v_mul_f64 v[58:59], v[144:145], v[140:141]
	v_fma_f64 v[58:59], v[142:143], v[56:57], -v[58:59]
	v_mul_f64 v[142:143], v[142:143], v[140:141]
	s_delay_alu instid0(VALU_DEP_2) | instskip(NEXT) | instid1(VALU_DEP_2)
	v_add_f64 v[44:45], v[44:45], -v[58:59]
	v_fma_f64 v[142:143], v[144:145], v[56:57], v[142:143]
	s_delay_alu instid0(VALU_DEP_1) | instskip(SKIP_3) | instid1(VALU_DEP_1)
	v_add_f64 v[46:47], v[46:47], -v[142:143]
	ds_load_2addr_b64 v[142:145], v172 offset0:48 offset1:49
	s_waitcnt lgkmcnt(0)
	v_mul_f64 v[58:59], v[144:145], v[140:141]
	v_fma_f64 v[58:59], v[142:143], v[56:57], -v[58:59]
	v_mul_f64 v[142:143], v[142:143], v[140:141]
	s_delay_alu instid0(VALU_DEP_2) | instskip(NEXT) | instid1(VALU_DEP_2)
	v_add_f64 v[40:41], v[40:41], -v[58:59]
	v_fma_f64 v[142:143], v[144:145], v[56:57], v[142:143]
	s_delay_alu instid0(VALU_DEP_1) | instskip(SKIP_3) | instid1(VALU_DEP_1)
	v_add_f64 v[42:43], v[42:43], -v[142:143]
	ds_load_2addr_b64 v[142:145], v172 offset0:50 offset1:51
	s_waitcnt lgkmcnt(0)
	v_mul_f64 v[58:59], v[144:145], v[140:141]
	v_fma_f64 v[58:59], v[142:143], v[56:57], -v[58:59]
	v_mul_f64 v[142:143], v[142:143], v[140:141]
	s_delay_alu instid0(VALU_DEP_2) | instskip(NEXT) | instid1(VALU_DEP_2)
	v_add_f64 v[36:37], v[36:37], -v[58:59]
	v_fma_f64 v[142:143], v[144:145], v[56:57], v[142:143]
	s_delay_alu instid0(VALU_DEP_1) | instskip(SKIP_3) | instid1(VALU_DEP_1)
	v_add_f64 v[38:39], v[38:39], -v[142:143]
	ds_load_2addr_b64 v[142:145], v172 offset0:52 offset1:53
	s_waitcnt lgkmcnt(0)
	v_mul_f64 v[58:59], v[144:145], v[140:141]
	v_fma_f64 v[58:59], v[142:143], v[56:57], -v[58:59]
	v_mul_f64 v[142:143], v[142:143], v[140:141]
	s_delay_alu instid0(VALU_DEP_2) | instskip(NEXT) | instid1(VALU_DEP_2)
	v_add_f64 v[32:33], v[32:33], -v[58:59]
	v_fma_f64 v[142:143], v[144:145], v[56:57], v[142:143]
	s_delay_alu instid0(VALU_DEP_1) | instskip(SKIP_3) | instid1(VALU_DEP_1)
	v_add_f64 v[34:35], v[34:35], -v[142:143]
	ds_load_2addr_b64 v[142:145], v172 offset0:54 offset1:55
	s_waitcnt lgkmcnt(0)
	v_mul_f64 v[58:59], v[144:145], v[140:141]
	v_fma_f64 v[58:59], v[142:143], v[56:57], -v[58:59]
	v_mul_f64 v[142:143], v[142:143], v[140:141]
	s_delay_alu instid0(VALU_DEP_2) | instskip(NEXT) | instid1(VALU_DEP_2)
	v_add_f64 v[28:29], v[28:29], -v[58:59]
	v_fma_f64 v[142:143], v[144:145], v[56:57], v[142:143]
	s_delay_alu instid0(VALU_DEP_1) | instskip(SKIP_3) | instid1(VALU_DEP_1)
	v_add_f64 v[30:31], v[30:31], -v[142:143]
	ds_load_2addr_b64 v[142:145], v172 offset0:56 offset1:57
	s_waitcnt lgkmcnt(0)
	v_mul_f64 v[58:59], v[144:145], v[140:141]
	v_fma_f64 v[58:59], v[142:143], v[56:57], -v[58:59]
	v_mul_f64 v[142:143], v[142:143], v[140:141]
	s_delay_alu instid0(VALU_DEP_2) | instskip(NEXT) | instid1(VALU_DEP_2)
	v_add_f64 v[24:25], v[24:25], -v[58:59]
	v_fma_f64 v[142:143], v[144:145], v[56:57], v[142:143]
	s_delay_alu instid0(VALU_DEP_1) | instskip(SKIP_3) | instid1(VALU_DEP_1)
	v_add_f64 v[26:27], v[26:27], -v[142:143]
	ds_load_2addr_b64 v[142:145], v172 offset0:58 offset1:59
	s_waitcnt lgkmcnt(0)
	v_mul_f64 v[58:59], v[144:145], v[140:141]
	v_fma_f64 v[58:59], v[142:143], v[56:57], -v[58:59]
	v_mul_f64 v[142:143], v[142:143], v[140:141]
	s_delay_alu instid0(VALU_DEP_2) | instskip(NEXT) | instid1(VALU_DEP_2)
	v_add_f64 v[20:21], v[20:21], -v[58:59]
	v_fma_f64 v[142:143], v[144:145], v[56:57], v[142:143]
	s_delay_alu instid0(VALU_DEP_1) | instskip(SKIP_3) | instid1(VALU_DEP_1)
	v_add_f64 v[22:23], v[22:23], -v[142:143]
	ds_load_2addr_b64 v[142:145], v172 offset0:60 offset1:61
	s_waitcnt lgkmcnt(0)
	v_mul_f64 v[58:59], v[144:145], v[140:141]
	v_fma_f64 v[58:59], v[142:143], v[56:57], -v[58:59]
	v_mul_f64 v[142:143], v[142:143], v[140:141]
	s_delay_alu instid0(VALU_DEP_2) | instskip(NEXT) | instid1(VALU_DEP_2)
	v_add_f64 v[16:17], v[16:17], -v[58:59]
	v_fma_f64 v[142:143], v[144:145], v[56:57], v[142:143]
	s_delay_alu instid0(VALU_DEP_1) | instskip(SKIP_3) | instid1(VALU_DEP_1)
	v_add_f64 v[18:19], v[18:19], -v[142:143]
	ds_load_2addr_b64 v[142:145], v172 offset0:62 offset1:63
	s_waitcnt lgkmcnt(0)
	v_mul_f64 v[58:59], v[144:145], v[140:141]
	v_fma_f64 v[58:59], v[142:143], v[56:57], -v[58:59]
	v_mul_f64 v[142:143], v[142:143], v[140:141]
	s_delay_alu instid0(VALU_DEP_2) | instskip(NEXT) | instid1(VALU_DEP_2)
	v_add_f64 v[12:13], v[12:13], -v[58:59]
	v_fma_f64 v[142:143], v[144:145], v[56:57], v[142:143]
	s_delay_alu instid0(VALU_DEP_1) | instskip(SKIP_3) | instid1(VALU_DEP_1)
	v_add_f64 v[14:15], v[14:15], -v[142:143]
	ds_load_2addr_b64 v[142:145], v172 offset0:64 offset1:65
	s_waitcnt lgkmcnt(0)
	v_mul_f64 v[58:59], v[144:145], v[140:141]
	v_fma_f64 v[58:59], v[142:143], v[56:57], -v[58:59]
	v_mul_f64 v[142:143], v[142:143], v[140:141]
	s_delay_alu instid0(VALU_DEP_2) | instskip(NEXT) | instid1(VALU_DEP_2)
	v_add_f64 v[8:9], v[8:9], -v[58:59]
	v_fma_f64 v[142:143], v[144:145], v[56:57], v[142:143]
	s_delay_alu instid0(VALU_DEP_1) | instskip(SKIP_3) | instid1(VALU_DEP_1)
	v_add_f64 v[10:11], v[10:11], -v[142:143]
	ds_load_2addr_b64 v[142:145], v172 offset0:66 offset1:67
	s_waitcnt lgkmcnt(0)
	v_mul_f64 v[58:59], v[144:145], v[140:141]
	v_fma_f64 v[58:59], v[142:143], v[56:57], -v[58:59]
	v_mul_f64 v[142:143], v[142:143], v[140:141]
	s_delay_alu instid0(VALU_DEP_2) | instskip(NEXT) | instid1(VALU_DEP_2)
	v_add_f64 v[4:5], v[4:5], -v[58:59]
	v_fma_f64 v[142:143], v[144:145], v[56:57], v[142:143]
	s_delay_alu instid0(VALU_DEP_1) | instskip(SKIP_3) | instid1(VALU_DEP_1)
	v_add_f64 v[6:7], v[6:7], -v[142:143]
	ds_load_2addr_b64 v[142:145], v172 offset0:68 offset1:69
	s_waitcnt lgkmcnt(0)
	v_mul_f64 v[58:59], v[144:145], v[140:141]
	v_fma_f64 v[58:59], v[142:143], v[56:57], -v[58:59]
	v_mul_f64 v[142:143], v[142:143], v[140:141]
	s_delay_alu instid0(VALU_DEP_2) | instskip(NEXT) | instid1(VALU_DEP_2)
	v_add_f64 v[0:1], v[0:1], -v[58:59]
	v_fma_f64 v[142:143], v[144:145], v[56:57], v[142:143]
	v_dual_mov_b32 v58, v140 :: v_dual_mov_b32 v59, v141
	s_delay_alu instid0(VALU_DEP_2)
	v_add_f64 v[2:3], v[2:3], -v[142:143]
.LBB69_190:
	s_or_b32 exec_lo, exec_lo, s3
	s_delay_alu instid0(SALU_CYCLE_1)
	s_mov_b32 s4, exec_lo
	s_waitcnt lgkmcnt(0)
	s_barrier
	buffer_gl0_inv
	v_cmpx_eq_u32_e32 21, v170
	s_cbranch_execz .LBB69_197
; %bb.191:
	ds_store_2addr_b64 v171, v[52:53], v[54:55] offset1:1
	ds_store_2addr_b64 v172, v[48:49], v[50:51] offset0:44 offset1:45
	ds_store_2addr_b64 v172, v[44:45], v[46:47] offset0:46 offset1:47
	;; [unrolled: 1-line block ×13, first 2 shown]
	ds_load_2addr_b64 v[140:143], v171 offset1:1
	s_waitcnt lgkmcnt(0)
	v_cmp_neq_f64_e32 vcc_lo, 0, v[140:141]
	v_cmp_neq_f64_e64 s3, 0, v[142:143]
	s_delay_alu instid0(VALU_DEP_1) | instskip(NEXT) | instid1(SALU_CYCLE_1)
	s_or_b32 s3, vcc_lo, s3
	s_and_b32 exec_lo, exec_lo, s3
	s_cbranch_execz .LBB69_197
; %bb.192:
	v_cmp_gt_f64_e32 vcc_lo, 0, v[140:141]
	v_xor_b32_e32 v144, 0x80000000, v141
	v_xor_b32_e32 v146, 0x80000000, v143
	s_mov_b32 s3, exec_lo
                                        ; implicit-def: $vgpr148_vgpr149
	s_delay_alu instid0(VALU_DEP_2) | instskip(SKIP_4) | instid1(VALU_DEP_1)
	v_cndmask_b32_e32 v145, v141, v144, vcc_lo
	v_cndmask_b32_e32 v144, v140, v140, vcc_lo
	v_cmp_gt_f64_e32 vcc_lo, 0, v[142:143]
	v_cndmask_b32_e32 v147, v143, v146, vcc_lo
	v_cndmask_b32_e32 v146, v142, v142, vcc_lo
	v_cmpx_ngt_f64_e32 v[144:145], v[146:147]
	s_xor_b32 s3, exec_lo, s3
                                        ; implicit-def: $vgpr144_vgpr145_vgpr146_vgpr147
	s_cbranch_execz .LBB69_194
; %bb.193:
	v_div_scale_f64 v[144:145], null, v[142:143], v[142:143], v[140:141]
	v_div_scale_f64 v[150:151], vcc_lo, v[140:141], v[142:143], v[140:141]
	s_delay_alu instid0(VALU_DEP_2) | instskip(SKIP_2) | instid1(VALU_DEP_1)
	v_rcp_f64_e32 v[146:147], v[144:145]
	s_waitcnt_depctr 0xfff
	v_fma_f64 v[148:149], -v[144:145], v[146:147], 1.0
	v_fma_f64 v[146:147], v[146:147], v[148:149], v[146:147]
	s_delay_alu instid0(VALU_DEP_1) | instskip(NEXT) | instid1(VALU_DEP_1)
	v_fma_f64 v[148:149], -v[144:145], v[146:147], 1.0
	v_fma_f64 v[146:147], v[146:147], v[148:149], v[146:147]
	s_delay_alu instid0(VALU_DEP_1) | instskip(NEXT) | instid1(VALU_DEP_1)
	v_mul_f64 v[148:149], v[150:151], v[146:147]
	v_fma_f64 v[144:145], -v[144:145], v[148:149], v[150:151]
	s_delay_alu instid0(VALU_DEP_1) | instskip(NEXT) | instid1(VALU_DEP_1)
	v_div_fmas_f64 v[144:145], v[144:145], v[146:147], v[148:149]
	v_div_fixup_f64 v[144:145], v[144:145], v[142:143], v[140:141]
	s_delay_alu instid0(VALU_DEP_1) | instskip(NEXT) | instid1(VALU_DEP_1)
	v_fma_f64 v[140:141], v[140:141], v[144:145], v[142:143]
	v_div_scale_f64 v[142:143], null, v[140:141], v[140:141], 1.0
	s_delay_alu instid0(VALU_DEP_1) | instskip(SKIP_2) | instid1(VALU_DEP_1)
	v_rcp_f64_e32 v[146:147], v[142:143]
	s_waitcnt_depctr 0xfff
	v_fma_f64 v[148:149], -v[142:143], v[146:147], 1.0
	v_fma_f64 v[146:147], v[146:147], v[148:149], v[146:147]
	s_delay_alu instid0(VALU_DEP_1) | instskip(NEXT) | instid1(VALU_DEP_1)
	v_fma_f64 v[148:149], -v[142:143], v[146:147], 1.0
	v_fma_f64 v[146:147], v[146:147], v[148:149], v[146:147]
	v_div_scale_f64 v[148:149], vcc_lo, 1.0, v[140:141], 1.0
	s_delay_alu instid0(VALU_DEP_1) | instskip(NEXT) | instid1(VALU_DEP_1)
	v_mul_f64 v[150:151], v[148:149], v[146:147]
	v_fma_f64 v[142:143], -v[142:143], v[150:151], v[148:149]
	s_delay_alu instid0(VALU_DEP_1) | instskip(NEXT) | instid1(VALU_DEP_1)
	v_div_fmas_f64 v[142:143], v[142:143], v[146:147], v[150:151]
	v_div_fixup_f64 v[146:147], v[142:143], v[140:141], 1.0
                                        ; implicit-def: $vgpr140_vgpr141
	s_delay_alu instid0(VALU_DEP_1)
	v_mul_f64 v[148:149], v[144:145], v[146:147]
	v_xor_b32_e32 v147, 0x80000000, v147
.LBB69_194:
	s_and_not1_saveexec_b32 s3, s3
	s_cbranch_execz .LBB69_196
; %bb.195:
	v_div_scale_f64 v[144:145], null, v[140:141], v[140:141], v[142:143]
	v_div_scale_f64 v[150:151], vcc_lo, v[142:143], v[140:141], v[142:143]
	s_delay_alu instid0(VALU_DEP_2) | instskip(SKIP_2) | instid1(VALU_DEP_1)
	v_rcp_f64_e32 v[146:147], v[144:145]
	s_waitcnt_depctr 0xfff
	v_fma_f64 v[148:149], -v[144:145], v[146:147], 1.0
	v_fma_f64 v[146:147], v[146:147], v[148:149], v[146:147]
	s_delay_alu instid0(VALU_DEP_1) | instskip(NEXT) | instid1(VALU_DEP_1)
	v_fma_f64 v[148:149], -v[144:145], v[146:147], 1.0
	v_fma_f64 v[146:147], v[146:147], v[148:149], v[146:147]
	s_delay_alu instid0(VALU_DEP_1) | instskip(NEXT) | instid1(VALU_DEP_1)
	v_mul_f64 v[148:149], v[150:151], v[146:147]
	v_fma_f64 v[144:145], -v[144:145], v[148:149], v[150:151]
	s_delay_alu instid0(VALU_DEP_1) | instskip(NEXT) | instid1(VALU_DEP_1)
	v_div_fmas_f64 v[144:145], v[144:145], v[146:147], v[148:149]
	v_div_fixup_f64 v[144:145], v[144:145], v[140:141], v[142:143]
	s_delay_alu instid0(VALU_DEP_1) | instskip(NEXT) | instid1(VALU_DEP_1)
	v_fma_f64 v[140:141], v[142:143], v[144:145], v[140:141]
	v_div_scale_f64 v[142:143], null, v[140:141], v[140:141], 1.0
	s_delay_alu instid0(VALU_DEP_1) | instskip(SKIP_2) | instid1(VALU_DEP_1)
	v_rcp_f64_e32 v[146:147], v[142:143]
	s_waitcnt_depctr 0xfff
	v_fma_f64 v[148:149], -v[142:143], v[146:147], 1.0
	v_fma_f64 v[146:147], v[146:147], v[148:149], v[146:147]
	s_delay_alu instid0(VALU_DEP_1) | instskip(NEXT) | instid1(VALU_DEP_1)
	v_fma_f64 v[148:149], -v[142:143], v[146:147], 1.0
	v_fma_f64 v[146:147], v[146:147], v[148:149], v[146:147]
	v_div_scale_f64 v[148:149], vcc_lo, 1.0, v[140:141], 1.0
	s_delay_alu instid0(VALU_DEP_1) | instskip(NEXT) | instid1(VALU_DEP_1)
	v_mul_f64 v[150:151], v[148:149], v[146:147]
	v_fma_f64 v[142:143], -v[142:143], v[150:151], v[148:149]
	s_delay_alu instid0(VALU_DEP_1) | instskip(NEXT) | instid1(VALU_DEP_1)
	v_div_fmas_f64 v[142:143], v[142:143], v[146:147], v[150:151]
	v_div_fixup_f64 v[148:149], v[142:143], v[140:141], 1.0
	s_delay_alu instid0(VALU_DEP_1)
	v_mul_f64 v[146:147], v[144:145], -v[148:149]
.LBB69_196:
	s_or_b32 exec_lo, exec_lo, s3
	ds_store_2addr_b64 v171, v[148:149], v[146:147] offset1:1
.LBB69_197:
	s_or_b32 exec_lo, exec_lo, s4
	s_waitcnt lgkmcnt(0)
	s_barrier
	buffer_gl0_inv
	ds_load_2addr_b64 v[224:227], v171 offset1:1
	s_mov_b32 s3, exec_lo
	v_cmpx_lt_u32_e32 21, v170
	s_cbranch_execz .LBB69_199
; %bb.198:
	s_waitcnt lgkmcnt(0)
	v_mul_f64 v[140:141], v[224:225], v[54:55]
	v_mul_f64 v[54:55], v[226:227], v[54:55]
	ds_load_2addr_b64 v[142:145], v172 offset0:44 offset1:45
	v_fma_f64 v[140:141], v[226:227], v[52:53], v[140:141]
	v_fma_f64 v[52:53], v[224:225], v[52:53], -v[54:55]
	s_waitcnt lgkmcnt(0)
	s_delay_alu instid0(VALU_DEP_2) | instskip(NEXT) | instid1(VALU_DEP_1)
	v_mul_f64 v[54:55], v[144:145], v[140:141]
	v_fma_f64 v[54:55], v[142:143], v[52:53], -v[54:55]
	v_mul_f64 v[142:143], v[142:143], v[140:141]
	s_delay_alu instid0(VALU_DEP_2) | instskip(NEXT) | instid1(VALU_DEP_2)
	v_add_f64 v[48:49], v[48:49], -v[54:55]
	v_fma_f64 v[142:143], v[144:145], v[52:53], v[142:143]
	s_delay_alu instid0(VALU_DEP_1) | instskip(SKIP_3) | instid1(VALU_DEP_1)
	v_add_f64 v[50:51], v[50:51], -v[142:143]
	ds_load_2addr_b64 v[142:145], v172 offset0:46 offset1:47
	s_waitcnt lgkmcnt(0)
	v_mul_f64 v[54:55], v[144:145], v[140:141]
	v_fma_f64 v[54:55], v[142:143], v[52:53], -v[54:55]
	v_mul_f64 v[142:143], v[142:143], v[140:141]
	s_delay_alu instid0(VALU_DEP_2) | instskip(NEXT) | instid1(VALU_DEP_2)
	v_add_f64 v[44:45], v[44:45], -v[54:55]
	v_fma_f64 v[142:143], v[144:145], v[52:53], v[142:143]
	s_delay_alu instid0(VALU_DEP_1) | instskip(SKIP_3) | instid1(VALU_DEP_1)
	v_add_f64 v[46:47], v[46:47], -v[142:143]
	ds_load_2addr_b64 v[142:145], v172 offset0:48 offset1:49
	s_waitcnt lgkmcnt(0)
	;; [unrolled: 10-line block ×12, first 2 shown]
	v_mul_f64 v[54:55], v[144:145], v[140:141]
	v_fma_f64 v[54:55], v[142:143], v[52:53], -v[54:55]
	v_mul_f64 v[142:143], v[142:143], v[140:141]
	s_delay_alu instid0(VALU_DEP_2) | instskip(NEXT) | instid1(VALU_DEP_2)
	v_add_f64 v[0:1], v[0:1], -v[54:55]
	v_fma_f64 v[142:143], v[144:145], v[52:53], v[142:143]
	v_dual_mov_b32 v54, v140 :: v_dual_mov_b32 v55, v141
	s_delay_alu instid0(VALU_DEP_2)
	v_add_f64 v[2:3], v[2:3], -v[142:143]
.LBB69_199:
	s_or_b32 exec_lo, exec_lo, s3
	s_delay_alu instid0(SALU_CYCLE_1)
	s_mov_b32 s4, exec_lo
	s_waitcnt lgkmcnt(0)
	s_barrier
	buffer_gl0_inv
	v_cmpx_eq_u32_e32 22, v170
	s_cbranch_execz .LBB69_206
; %bb.200:
	ds_store_2addr_b64 v171, v[48:49], v[50:51] offset1:1
	ds_store_2addr_b64 v172, v[44:45], v[46:47] offset0:46 offset1:47
	ds_store_2addr_b64 v172, v[40:41], v[42:43] offset0:48 offset1:49
	;; [unrolled: 1-line block ×12, first 2 shown]
	ds_load_2addr_b64 v[140:143], v171 offset1:1
	s_waitcnt lgkmcnt(0)
	v_cmp_neq_f64_e32 vcc_lo, 0, v[140:141]
	v_cmp_neq_f64_e64 s3, 0, v[142:143]
	s_delay_alu instid0(VALU_DEP_1) | instskip(NEXT) | instid1(SALU_CYCLE_1)
	s_or_b32 s3, vcc_lo, s3
	s_and_b32 exec_lo, exec_lo, s3
	s_cbranch_execz .LBB69_206
; %bb.201:
	v_cmp_gt_f64_e32 vcc_lo, 0, v[140:141]
	v_xor_b32_e32 v144, 0x80000000, v141
	v_xor_b32_e32 v146, 0x80000000, v143
	s_mov_b32 s3, exec_lo
                                        ; implicit-def: $vgpr148_vgpr149
	s_delay_alu instid0(VALU_DEP_2) | instskip(SKIP_4) | instid1(VALU_DEP_1)
	v_cndmask_b32_e32 v145, v141, v144, vcc_lo
	v_cndmask_b32_e32 v144, v140, v140, vcc_lo
	v_cmp_gt_f64_e32 vcc_lo, 0, v[142:143]
	v_cndmask_b32_e32 v147, v143, v146, vcc_lo
	v_cndmask_b32_e32 v146, v142, v142, vcc_lo
	v_cmpx_ngt_f64_e32 v[144:145], v[146:147]
	s_xor_b32 s3, exec_lo, s3
                                        ; implicit-def: $vgpr144_vgpr145_vgpr146_vgpr147
	s_cbranch_execz .LBB69_203
; %bb.202:
	v_div_scale_f64 v[144:145], null, v[142:143], v[142:143], v[140:141]
	v_div_scale_f64 v[150:151], vcc_lo, v[140:141], v[142:143], v[140:141]
	s_delay_alu instid0(VALU_DEP_2) | instskip(SKIP_2) | instid1(VALU_DEP_1)
	v_rcp_f64_e32 v[146:147], v[144:145]
	s_waitcnt_depctr 0xfff
	v_fma_f64 v[148:149], -v[144:145], v[146:147], 1.0
	v_fma_f64 v[146:147], v[146:147], v[148:149], v[146:147]
	s_delay_alu instid0(VALU_DEP_1) | instskip(NEXT) | instid1(VALU_DEP_1)
	v_fma_f64 v[148:149], -v[144:145], v[146:147], 1.0
	v_fma_f64 v[146:147], v[146:147], v[148:149], v[146:147]
	s_delay_alu instid0(VALU_DEP_1) | instskip(NEXT) | instid1(VALU_DEP_1)
	v_mul_f64 v[148:149], v[150:151], v[146:147]
	v_fma_f64 v[144:145], -v[144:145], v[148:149], v[150:151]
	s_delay_alu instid0(VALU_DEP_1) | instskip(NEXT) | instid1(VALU_DEP_1)
	v_div_fmas_f64 v[144:145], v[144:145], v[146:147], v[148:149]
	v_div_fixup_f64 v[144:145], v[144:145], v[142:143], v[140:141]
	s_delay_alu instid0(VALU_DEP_1) | instskip(NEXT) | instid1(VALU_DEP_1)
	v_fma_f64 v[140:141], v[140:141], v[144:145], v[142:143]
	v_div_scale_f64 v[142:143], null, v[140:141], v[140:141], 1.0
	s_delay_alu instid0(VALU_DEP_1) | instskip(SKIP_2) | instid1(VALU_DEP_1)
	v_rcp_f64_e32 v[146:147], v[142:143]
	s_waitcnt_depctr 0xfff
	v_fma_f64 v[148:149], -v[142:143], v[146:147], 1.0
	v_fma_f64 v[146:147], v[146:147], v[148:149], v[146:147]
	s_delay_alu instid0(VALU_DEP_1) | instskip(NEXT) | instid1(VALU_DEP_1)
	v_fma_f64 v[148:149], -v[142:143], v[146:147], 1.0
	v_fma_f64 v[146:147], v[146:147], v[148:149], v[146:147]
	v_div_scale_f64 v[148:149], vcc_lo, 1.0, v[140:141], 1.0
	s_delay_alu instid0(VALU_DEP_1) | instskip(NEXT) | instid1(VALU_DEP_1)
	v_mul_f64 v[150:151], v[148:149], v[146:147]
	v_fma_f64 v[142:143], -v[142:143], v[150:151], v[148:149]
	s_delay_alu instid0(VALU_DEP_1) | instskip(NEXT) | instid1(VALU_DEP_1)
	v_div_fmas_f64 v[142:143], v[142:143], v[146:147], v[150:151]
	v_div_fixup_f64 v[146:147], v[142:143], v[140:141], 1.0
                                        ; implicit-def: $vgpr140_vgpr141
	s_delay_alu instid0(VALU_DEP_1)
	v_mul_f64 v[148:149], v[144:145], v[146:147]
	v_xor_b32_e32 v147, 0x80000000, v147
.LBB69_203:
	s_and_not1_saveexec_b32 s3, s3
	s_cbranch_execz .LBB69_205
; %bb.204:
	v_div_scale_f64 v[144:145], null, v[140:141], v[140:141], v[142:143]
	v_div_scale_f64 v[150:151], vcc_lo, v[142:143], v[140:141], v[142:143]
	s_delay_alu instid0(VALU_DEP_2) | instskip(SKIP_2) | instid1(VALU_DEP_1)
	v_rcp_f64_e32 v[146:147], v[144:145]
	s_waitcnt_depctr 0xfff
	v_fma_f64 v[148:149], -v[144:145], v[146:147], 1.0
	v_fma_f64 v[146:147], v[146:147], v[148:149], v[146:147]
	s_delay_alu instid0(VALU_DEP_1) | instskip(NEXT) | instid1(VALU_DEP_1)
	v_fma_f64 v[148:149], -v[144:145], v[146:147], 1.0
	v_fma_f64 v[146:147], v[146:147], v[148:149], v[146:147]
	s_delay_alu instid0(VALU_DEP_1) | instskip(NEXT) | instid1(VALU_DEP_1)
	v_mul_f64 v[148:149], v[150:151], v[146:147]
	v_fma_f64 v[144:145], -v[144:145], v[148:149], v[150:151]
	s_delay_alu instid0(VALU_DEP_1) | instskip(NEXT) | instid1(VALU_DEP_1)
	v_div_fmas_f64 v[144:145], v[144:145], v[146:147], v[148:149]
	v_div_fixup_f64 v[144:145], v[144:145], v[140:141], v[142:143]
	s_delay_alu instid0(VALU_DEP_1) | instskip(NEXT) | instid1(VALU_DEP_1)
	v_fma_f64 v[140:141], v[142:143], v[144:145], v[140:141]
	v_div_scale_f64 v[142:143], null, v[140:141], v[140:141], 1.0
	s_delay_alu instid0(VALU_DEP_1) | instskip(SKIP_2) | instid1(VALU_DEP_1)
	v_rcp_f64_e32 v[146:147], v[142:143]
	s_waitcnt_depctr 0xfff
	v_fma_f64 v[148:149], -v[142:143], v[146:147], 1.0
	v_fma_f64 v[146:147], v[146:147], v[148:149], v[146:147]
	s_delay_alu instid0(VALU_DEP_1) | instskip(NEXT) | instid1(VALU_DEP_1)
	v_fma_f64 v[148:149], -v[142:143], v[146:147], 1.0
	v_fma_f64 v[146:147], v[146:147], v[148:149], v[146:147]
	v_div_scale_f64 v[148:149], vcc_lo, 1.0, v[140:141], 1.0
	s_delay_alu instid0(VALU_DEP_1) | instskip(NEXT) | instid1(VALU_DEP_1)
	v_mul_f64 v[150:151], v[148:149], v[146:147]
	v_fma_f64 v[142:143], -v[142:143], v[150:151], v[148:149]
	s_delay_alu instid0(VALU_DEP_1) | instskip(NEXT) | instid1(VALU_DEP_1)
	v_div_fmas_f64 v[142:143], v[142:143], v[146:147], v[150:151]
	v_div_fixup_f64 v[148:149], v[142:143], v[140:141], 1.0
	s_delay_alu instid0(VALU_DEP_1)
	v_mul_f64 v[146:147], v[144:145], -v[148:149]
.LBB69_205:
	s_or_b32 exec_lo, exec_lo, s3
	ds_store_2addr_b64 v171, v[148:149], v[146:147] offset1:1
.LBB69_206:
	s_or_b32 exec_lo, exec_lo, s4
	s_waitcnt lgkmcnt(0)
	s_barrier
	buffer_gl0_inv
	ds_load_2addr_b64 v[228:231], v171 offset1:1
	s_mov_b32 s3, exec_lo
	v_cmpx_lt_u32_e32 22, v170
	s_cbranch_execz .LBB69_208
; %bb.207:
	s_waitcnt lgkmcnt(0)
	v_mul_f64 v[140:141], v[228:229], v[50:51]
	v_mul_f64 v[50:51], v[230:231], v[50:51]
	s_delay_alu instid0(VALU_DEP_2) | instskip(SKIP_4) | instid1(VALU_DEP_1)
	v_fma_f64 v[144:145], v[230:231], v[48:49], v[140:141]
	ds_load_2addr_b64 v[140:143], v172 offset0:46 offset1:47
	v_fma_f64 v[48:49], v[228:229], v[48:49], -v[50:51]
	s_waitcnt lgkmcnt(0)
	v_mul_f64 v[50:51], v[142:143], v[144:145]
	v_fma_f64 v[50:51], v[140:141], v[48:49], -v[50:51]
	v_mul_f64 v[140:141], v[140:141], v[144:145]
	s_delay_alu instid0(VALU_DEP_2) | instskip(NEXT) | instid1(VALU_DEP_2)
	v_add_f64 v[44:45], v[44:45], -v[50:51]
	v_fma_f64 v[140:141], v[142:143], v[48:49], v[140:141]
	s_delay_alu instid0(VALU_DEP_1) | instskip(SKIP_3) | instid1(VALU_DEP_1)
	v_add_f64 v[46:47], v[46:47], -v[140:141]
	ds_load_2addr_b64 v[140:143], v172 offset0:48 offset1:49
	s_waitcnt lgkmcnt(0)
	v_mul_f64 v[50:51], v[142:143], v[144:145]
	v_fma_f64 v[50:51], v[140:141], v[48:49], -v[50:51]
	v_mul_f64 v[140:141], v[140:141], v[144:145]
	s_delay_alu instid0(VALU_DEP_2) | instskip(NEXT) | instid1(VALU_DEP_2)
	v_add_f64 v[40:41], v[40:41], -v[50:51]
	v_fma_f64 v[140:141], v[142:143], v[48:49], v[140:141]
	s_delay_alu instid0(VALU_DEP_1) | instskip(SKIP_3) | instid1(VALU_DEP_1)
	v_add_f64 v[42:43], v[42:43], -v[140:141]
	ds_load_2addr_b64 v[140:143], v172 offset0:50 offset1:51
	;; [unrolled: 10-line block ×11, first 2 shown]
	s_waitcnt lgkmcnt(0)
	v_mul_f64 v[50:51], v[142:143], v[144:145]
	v_fma_f64 v[50:51], v[140:141], v[48:49], -v[50:51]
	v_mul_f64 v[140:141], v[140:141], v[144:145]
	s_delay_alu instid0(VALU_DEP_2) | instskip(NEXT) | instid1(VALU_DEP_2)
	v_add_f64 v[0:1], v[0:1], -v[50:51]
	v_fma_f64 v[140:141], v[142:143], v[48:49], v[140:141]
	v_dual_mov_b32 v50, v144 :: v_dual_mov_b32 v51, v145
	s_delay_alu instid0(VALU_DEP_2)
	v_add_f64 v[2:3], v[2:3], -v[140:141]
.LBB69_208:
	s_or_b32 exec_lo, exec_lo, s3
	s_delay_alu instid0(SALU_CYCLE_1)
	s_mov_b32 s4, exec_lo
	s_waitcnt lgkmcnt(0)
	s_barrier
	buffer_gl0_inv
	v_cmpx_eq_u32_e32 23, v170
	s_cbranch_execz .LBB69_215
; %bb.209:
	ds_store_2addr_b64 v171, v[44:45], v[46:47] offset1:1
	ds_store_2addr_b64 v172, v[40:41], v[42:43] offset0:48 offset1:49
	ds_store_2addr_b64 v172, v[36:37], v[38:39] offset0:50 offset1:51
	;; [unrolled: 1-line block ×11, first 2 shown]
	ds_load_2addr_b64 v[140:143], v171 offset1:1
	s_waitcnt lgkmcnt(0)
	v_cmp_neq_f64_e32 vcc_lo, 0, v[140:141]
	v_cmp_neq_f64_e64 s3, 0, v[142:143]
	s_delay_alu instid0(VALU_DEP_1) | instskip(NEXT) | instid1(SALU_CYCLE_1)
	s_or_b32 s3, vcc_lo, s3
	s_and_b32 exec_lo, exec_lo, s3
	s_cbranch_execz .LBB69_215
; %bb.210:
	v_cmp_gt_f64_e32 vcc_lo, 0, v[140:141]
	v_xor_b32_e32 v144, 0x80000000, v141
	v_xor_b32_e32 v146, 0x80000000, v143
	s_mov_b32 s3, exec_lo
                                        ; implicit-def: $vgpr148_vgpr149
	s_delay_alu instid0(VALU_DEP_2) | instskip(SKIP_4) | instid1(VALU_DEP_1)
	v_cndmask_b32_e32 v145, v141, v144, vcc_lo
	v_cndmask_b32_e32 v144, v140, v140, vcc_lo
	v_cmp_gt_f64_e32 vcc_lo, 0, v[142:143]
	v_cndmask_b32_e32 v147, v143, v146, vcc_lo
	v_cndmask_b32_e32 v146, v142, v142, vcc_lo
	v_cmpx_ngt_f64_e32 v[144:145], v[146:147]
	s_xor_b32 s3, exec_lo, s3
                                        ; implicit-def: $vgpr144_vgpr145_vgpr146_vgpr147
	s_cbranch_execz .LBB69_212
; %bb.211:
	v_div_scale_f64 v[144:145], null, v[142:143], v[142:143], v[140:141]
	v_div_scale_f64 v[150:151], vcc_lo, v[140:141], v[142:143], v[140:141]
	s_delay_alu instid0(VALU_DEP_2) | instskip(SKIP_2) | instid1(VALU_DEP_1)
	v_rcp_f64_e32 v[146:147], v[144:145]
	s_waitcnt_depctr 0xfff
	v_fma_f64 v[148:149], -v[144:145], v[146:147], 1.0
	v_fma_f64 v[146:147], v[146:147], v[148:149], v[146:147]
	s_delay_alu instid0(VALU_DEP_1) | instskip(NEXT) | instid1(VALU_DEP_1)
	v_fma_f64 v[148:149], -v[144:145], v[146:147], 1.0
	v_fma_f64 v[146:147], v[146:147], v[148:149], v[146:147]
	s_delay_alu instid0(VALU_DEP_1) | instskip(NEXT) | instid1(VALU_DEP_1)
	v_mul_f64 v[148:149], v[150:151], v[146:147]
	v_fma_f64 v[144:145], -v[144:145], v[148:149], v[150:151]
	s_delay_alu instid0(VALU_DEP_1) | instskip(NEXT) | instid1(VALU_DEP_1)
	v_div_fmas_f64 v[144:145], v[144:145], v[146:147], v[148:149]
	v_div_fixup_f64 v[144:145], v[144:145], v[142:143], v[140:141]
	s_delay_alu instid0(VALU_DEP_1) | instskip(NEXT) | instid1(VALU_DEP_1)
	v_fma_f64 v[140:141], v[140:141], v[144:145], v[142:143]
	v_div_scale_f64 v[142:143], null, v[140:141], v[140:141], 1.0
	s_delay_alu instid0(VALU_DEP_1) | instskip(SKIP_2) | instid1(VALU_DEP_1)
	v_rcp_f64_e32 v[146:147], v[142:143]
	s_waitcnt_depctr 0xfff
	v_fma_f64 v[148:149], -v[142:143], v[146:147], 1.0
	v_fma_f64 v[146:147], v[146:147], v[148:149], v[146:147]
	s_delay_alu instid0(VALU_DEP_1) | instskip(NEXT) | instid1(VALU_DEP_1)
	v_fma_f64 v[148:149], -v[142:143], v[146:147], 1.0
	v_fma_f64 v[146:147], v[146:147], v[148:149], v[146:147]
	v_div_scale_f64 v[148:149], vcc_lo, 1.0, v[140:141], 1.0
	s_delay_alu instid0(VALU_DEP_1) | instskip(NEXT) | instid1(VALU_DEP_1)
	v_mul_f64 v[150:151], v[148:149], v[146:147]
	v_fma_f64 v[142:143], -v[142:143], v[150:151], v[148:149]
	s_delay_alu instid0(VALU_DEP_1) | instskip(NEXT) | instid1(VALU_DEP_1)
	v_div_fmas_f64 v[142:143], v[142:143], v[146:147], v[150:151]
	v_div_fixup_f64 v[146:147], v[142:143], v[140:141], 1.0
                                        ; implicit-def: $vgpr140_vgpr141
	s_delay_alu instid0(VALU_DEP_1)
	v_mul_f64 v[148:149], v[144:145], v[146:147]
	v_xor_b32_e32 v147, 0x80000000, v147
.LBB69_212:
	s_and_not1_saveexec_b32 s3, s3
	s_cbranch_execz .LBB69_214
; %bb.213:
	v_div_scale_f64 v[144:145], null, v[140:141], v[140:141], v[142:143]
	v_div_scale_f64 v[150:151], vcc_lo, v[142:143], v[140:141], v[142:143]
	s_delay_alu instid0(VALU_DEP_2) | instskip(SKIP_2) | instid1(VALU_DEP_1)
	v_rcp_f64_e32 v[146:147], v[144:145]
	s_waitcnt_depctr 0xfff
	v_fma_f64 v[148:149], -v[144:145], v[146:147], 1.0
	v_fma_f64 v[146:147], v[146:147], v[148:149], v[146:147]
	s_delay_alu instid0(VALU_DEP_1) | instskip(NEXT) | instid1(VALU_DEP_1)
	v_fma_f64 v[148:149], -v[144:145], v[146:147], 1.0
	v_fma_f64 v[146:147], v[146:147], v[148:149], v[146:147]
	s_delay_alu instid0(VALU_DEP_1) | instskip(NEXT) | instid1(VALU_DEP_1)
	v_mul_f64 v[148:149], v[150:151], v[146:147]
	v_fma_f64 v[144:145], -v[144:145], v[148:149], v[150:151]
	s_delay_alu instid0(VALU_DEP_1) | instskip(NEXT) | instid1(VALU_DEP_1)
	v_div_fmas_f64 v[144:145], v[144:145], v[146:147], v[148:149]
	v_div_fixup_f64 v[144:145], v[144:145], v[140:141], v[142:143]
	s_delay_alu instid0(VALU_DEP_1) | instskip(NEXT) | instid1(VALU_DEP_1)
	v_fma_f64 v[140:141], v[142:143], v[144:145], v[140:141]
	v_div_scale_f64 v[142:143], null, v[140:141], v[140:141], 1.0
	s_delay_alu instid0(VALU_DEP_1) | instskip(SKIP_2) | instid1(VALU_DEP_1)
	v_rcp_f64_e32 v[146:147], v[142:143]
	s_waitcnt_depctr 0xfff
	v_fma_f64 v[148:149], -v[142:143], v[146:147], 1.0
	v_fma_f64 v[146:147], v[146:147], v[148:149], v[146:147]
	s_delay_alu instid0(VALU_DEP_1) | instskip(NEXT) | instid1(VALU_DEP_1)
	v_fma_f64 v[148:149], -v[142:143], v[146:147], 1.0
	v_fma_f64 v[146:147], v[146:147], v[148:149], v[146:147]
	v_div_scale_f64 v[148:149], vcc_lo, 1.0, v[140:141], 1.0
	s_delay_alu instid0(VALU_DEP_1) | instskip(NEXT) | instid1(VALU_DEP_1)
	v_mul_f64 v[150:151], v[148:149], v[146:147]
	v_fma_f64 v[142:143], -v[142:143], v[150:151], v[148:149]
	s_delay_alu instid0(VALU_DEP_1) | instskip(NEXT) | instid1(VALU_DEP_1)
	v_div_fmas_f64 v[142:143], v[142:143], v[146:147], v[150:151]
	v_div_fixup_f64 v[148:149], v[142:143], v[140:141], 1.0
	s_delay_alu instid0(VALU_DEP_1)
	v_mul_f64 v[146:147], v[144:145], -v[148:149]
.LBB69_214:
	s_or_b32 exec_lo, exec_lo, s3
	ds_store_2addr_b64 v171, v[148:149], v[146:147] offset1:1
.LBB69_215:
	s_or_b32 exec_lo, exec_lo, s4
	s_waitcnt lgkmcnt(0)
	s_barrier
	buffer_gl0_inv
	ds_load_2addr_b64 v[232:235], v171 offset1:1
	s_mov_b32 s3, exec_lo
	v_cmpx_lt_u32_e32 23, v170
	s_cbranch_execz .LBB69_217
; %bb.216:
	s_waitcnt lgkmcnt(0)
	v_mul_f64 v[140:141], v[232:233], v[46:47]
	v_mul_f64 v[46:47], v[234:235], v[46:47]
	s_delay_alu instid0(VALU_DEP_2) | instskip(SKIP_4) | instid1(VALU_DEP_1)
	v_fma_f64 v[144:145], v[234:235], v[44:45], v[140:141]
	ds_load_2addr_b64 v[140:143], v172 offset0:48 offset1:49
	v_fma_f64 v[44:45], v[232:233], v[44:45], -v[46:47]
	s_waitcnt lgkmcnt(0)
	v_mul_f64 v[46:47], v[142:143], v[144:145]
	v_fma_f64 v[46:47], v[140:141], v[44:45], -v[46:47]
	v_mul_f64 v[140:141], v[140:141], v[144:145]
	s_delay_alu instid0(VALU_DEP_2) | instskip(NEXT) | instid1(VALU_DEP_2)
	v_add_f64 v[40:41], v[40:41], -v[46:47]
	v_fma_f64 v[140:141], v[142:143], v[44:45], v[140:141]
	s_delay_alu instid0(VALU_DEP_1) | instskip(SKIP_3) | instid1(VALU_DEP_1)
	v_add_f64 v[42:43], v[42:43], -v[140:141]
	ds_load_2addr_b64 v[140:143], v172 offset0:50 offset1:51
	s_waitcnt lgkmcnt(0)
	v_mul_f64 v[46:47], v[142:143], v[144:145]
	v_fma_f64 v[46:47], v[140:141], v[44:45], -v[46:47]
	v_mul_f64 v[140:141], v[140:141], v[144:145]
	s_delay_alu instid0(VALU_DEP_2) | instskip(NEXT) | instid1(VALU_DEP_2)
	v_add_f64 v[36:37], v[36:37], -v[46:47]
	v_fma_f64 v[140:141], v[142:143], v[44:45], v[140:141]
	s_delay_alu instid0(VALU_DEP_1) | instskip(SKIP_3) | instid1(VALU_DEP_1)
	v_add_f64 v[38:39], v[38:39], -v[140:141]
	ds_load_2addr_b64 v[140:143], v172 offset0:52 offset1:53
	;; [unrolled: 10-line block ×10, first 2 shown]
	s_waitcnt lgkmcnt(0)
	v_mul_f64 v[46:47], v[142:143], v[144:145]
	v_fma_f64 v[46:47], v[140:141], v[44:45], -v[46:47]
	v_mul_f64 v[140:141], v[140:141], v[144:145]
	s_delay_alu instid0(VALU_DEP_2) | instskip(NEXT) | instid1(VALU_DEP_2)
	v_add_f64 v[0:1], v[0:1], -v[46:47]
	v_fma_f64 v[140:141], v[142:143], v[44:45], v[140:141]
	v_dual_mov_b32 v46, v144 :: v_dual_mov_b32 v47, v145
	s_delay_alu instid0(VALU_DEP_2)
	v_add_f64 v[2:3], v[2:3], -v[140:141]
.LBB69_217:
	s_or_b32 exec_lo, exec_lo, s3
	s_delay_alu instid0(SALU_CYCLE_1)
	s_mov_b32 s4, exec_lo
	s_waitcnt lgkmcnt(0)
	s_barrier
	buffer_gl0_inv
	v_cmpx_eq_u32_e32 24, v170
	s_cbranch_execz .LBB69_224
; %bb.218:
	ds_store_2addr_b64 v171, v[40:41], v[42:43] offset1:1
	ds_store_2addr_b64 v172, v[36:37], v[38:39] offset0:50 offset1:51
	ds_store_2addr_b64 v172, v[32:33], v[34:35] offset0:52 offset1:53
	;; [unrolled: 1-line block ×10, first 2 shown]
	ds_load_2addr_b64 v[140:143], v171 offset1:1
	s_waitcnt lgkmcnt(0)
	v_cmp_neq_f64_e32 vcc_lo, 0, v[140:141]
	v_cmp_neq_f64_e64 s3, 0, v[142:143]
	s_delay_alu instid0(VALU_DEP_1) | instskip(NEXT) | instid1(SALU_CYCLE_1)
	s_or_b32 s3, vcc_lo, s3
	s_and_b32 exec_lo, exec_lo, s3
	s_cbranch_execz .LBB69_224
; %bb.219:
	v_cmp_gt_f64_e32 vcc_lo, 0, v[140:141]
	v_xor_b32_e32 v144, 0x80000000, v141
	v_xor_b32_e32 v146, 0x80000000, v143
	s_mov_b32 s3, exec_lo
                                        ; implicit-def: $vgpr148_vgpr149
	s_delay_alu instid0(VALU_DEP_2) | instskip(SKIP_4) | instid1(VALU_DEP_1)
	v_cndmask_b32_e32 v145, v141, v144, vcc_lo
	v_cndmask_b32_e32 v144, v140, v140, vcc_lo
	v_cmp_gt_f64_e32 vcc_lo, 0, v[142:143]
	v_cndmask_b32_e32 v147, v143, v146, vcc_lo
	v_cndmask_b32_e32 v146, v142, v142, vcc_lo
	v_cmpx_ngt_f64_e32 v[144:145], v[146:147]
	s_xor_b32 s3, exec_lo, s3
                                        ; implicit-def: $vgpr144_vgpr145_vgpr146_vgpr147
	s_cbranch_execz .LBB69_221
; %bb.220:
	v_div_scale_f64 v[144:145], null, v[142:143], v[142:143], v[140:141]
	v_div_scale_f64 v[150:151], vcc_lo, v[140:141], v[142:143], v[140:141]
	s_delay_alu instid0(VALU_DEP_2) | instskip(SKIP_2) | instid1(VALU_DEP_1)
	v_rcp_f64_e32 v[146:147], v[144:145]
	s_waitcnt_depctr 0xfff
	v_fma_f64 v[148:149], -v[144:145], v[146:147], 1.0
	v_fma_f64 v[146:147], v[146:147], v[148:149], v[146:147]
	s_delay_alu instid0(VALU_DEP_1) | instskip(NEXT) | instid1(VALU_DEP_1)
	v_fma_f64 v[148:149], -v[144:145], v[146:147], 1.0
	v_fma_f64 v[146:147], v[146:147], v[148:149], v[146:147]
	s_delay_alu instid0(VALU_DEP_1) | instskip(NEXT) | instid1(VALU_DEP_1)
	v_mul_f64 v[148:149], v[150:151], v[146:147]
	v_fma_f64 v[144:145], -v[144:145], v[148:149], v[150:151]
	s_delay_alu instid0(VALU_DEP_1) | instskip(NEXT) | instid1(VALU_DEP_1)
	v_div_fmas_f64 v[144:145], v[144:145], v[146:147], v[148:149]
	v_div_fixup_f64 v[144:145], v[144:145], v[142:143], v[140:141]
	s_delay_alu instid0(VALU_DEP_1) | instskip(NEXT) | instid1(VALU_DEP_1)
	v_fma_f64 v[140:141], v[140:141], v[144:145], v[142:143]
	v_div_scale_f64 v[142:143], null, v[140:141], v[140:141], 1.0
	s_delay_alu instid0(VALU_DEP_1) | instskip(SKIP_2) | instid1(VALU_DEP_1)
	v_rcp_f64_e32 v[146:147], v[142:143]
	s_waitcnt_depctr 0xfff
	v_fma_f64 v[148:149], -v[142:143], v[146:147], 1.0
	v_fma_f64 v[146:147], v[146:147], v[148:149], v[146:147]
	s_delay_alu instid0(VALU_DEP_1) | instskip(NEXT) | instid1(VALU_DEP_1)
	v_fma_f64 v[148:149], -v[142:143], v[146:147], 1.0
	v_fma_f64 v[146:147], v[146:147], v[148:149], v[146:147]
	v_div_scale_f64 v[148:149], vcc_lo, 1.0, v[140:141], 1.0
	s_delay_alu instid0(VALU_DEP_1) | instskip(NEXT) | instid1(VALU_DEP_1)
	v_mul_f64 v[150:151], v[148:149], v[146:147]
	v_fma_f64 v[142:143], -v[142:143], v[150:151], v[148:149]
	s_delay_alu instid0(VALU_DEP_1) | instskip(NEXT) | instid1(VALU_DEP_1)
	v_div_fmas_f64 v[142:143], v[142:143], v[146:147], v[150:151]
	v_div_fixup_f64 v[146:147], v[142:143], v[140:141], 1.0
                                        ; implicit-def: $vgpr140_vgpr141
	s_delay_alu instid0(VALU_DEP_1)
	v_mul_f64 v[148:149], v[144:145], v[146:147]
	v_xor_b32_e32 v147, 0x80000000, v147
.LBB69_221:
	s_and_not1_saveexec_b32 s3, s3
	s_cbranch_execz .LBB69_223
; %bb.222:
	v_div_scale_f64 v[144:145], null, v[140:141], v[140:141], v[142:143]
	v_div_scale_f64 v[150:151], vcc_lo, v[142:143], v[140:141], v[142:143]
	s_delay_alu instid0(VALU_DEP_2) | instskip(SKIP_2) | instid1(VALU_DEP_1)
	v_rcp_f64_e32 v[146:147], v[144:145]
	s_waitcnt_depctr 0xfff
	v_fma_f64 v[148:149], -v[144:145], v[146:147], 1.0
	v_fma_f64 v[146:147], v[146:147], v[148:149], v[146:147]
	s_delay_alu instid0(VALU_DEP_1) | instskip(NEXT) | instid1(VALU_DEP_1)
	v_fma_f64 v[148:149], -v[144:145], v[146:147], 1.0
	v_fma_f64 v[146:147], v[146:147], v[148:149], v[146:147]
	s_delay_alu instid0(VALU_DEP_1) | instskip(NEXT) | instid1(VALU_DEP_1)
	v_mul_f64 v[148:149], v[150:151], v[146:147]
	v_fma_f64 v[144:145], -v[144:145], v[148:149], v[150:151]
	s_delay_alu instid0(VALU_DEP_1) | instskip(NEXT) | instid1(VALU_DEP_1)
	v_div_fmas_f64 v[144:145], v[144:145], v[146:147], v[148:149]
	v_div_fixup_f64 v[144:145], v[144:145], v[140:141], v[142:143]
	s_delay_alu instid0(VALU_DEP_1) | instskip(NEXT) | instid1(VALU_DEP_1)
	v_fma_f64 v[140:141], v[142:143], v[144:145], v[140:141]
	v_div_scale_f64 v[142:143], null, v[140:141], v[140:141], 1.0
	s_delay_alu instid0(VALU_DEP_1) | instskip(SKIP_2) | instid1(VALU_DEP_1)
	v_rcp_f64_e32 v[146:147], v[142:143]
	s_waitcnt_depctr 0xfff
	v_fma_f64 v[148:149], -v[142:143], v[146:147], 1.0
	v_fma_f64 v[146:147], v[146:147], v[148:149], v[146:147]
	s_delay_alu instid0(VALU_DEP_1) | instskip(NEXT) | instid1(VALU_DEP_1)
	v_fma_f64 v[148:149], -v[142:143], v[146:147], 1.0
	v_fma_f64 v[146:147], v[146:147], v[148:149], v[146:147]
	v_div_scale_f64 v[148:149], vcc_lo, 1.0, v[140:141], 1.0
	s_delay_alu instid0(VALU_DEP_1) | instskip(NEXT) | instid1(VALU_DEP_1)
	v_mul_f64 v[150:151], v[148:149], v[146:147]
	v_fma_f64 v[142:143], -v[142:143], v[150:151], v[148:149]
	s_delay_alu instid0(VALU_DEP_1) | instskip(NEXT) | instid1(VALU_DEP_1)
	v_div_fmas_f64 v[142:143], v[142:143], v[146:147], v[150:151]
	v_div_fixup_f64 v[148:149], v[142:143], v[140:141], 1.0
	s_delay_alu instid0(VALU_DEP_1)
	v_mul_f64 v[146:147], v[144:145], -v[148:149]
.LBB69_223:
	s_or_b32 exec_lo, exec_lo, s3
	ds_store_2addr_b64 v171, v[148:149], v[146:147] offset1:1
.LBB69_224:
	s_or_b32 exec_lo, exec_lo, s4
	s_waitcnt lgkmcnt(0)
	s_barrier
	buffer_gl0_inv
	ds_load_2addr_b64 v[236:239], v171 offset1:1
	s_mov_b32 s3, exec_lo
	v_cmpx_lt_u32_e32 24, v170
	s_cbranch_execz .LBB69_226
; %bb.225:
	s_waitcnt lgkmcnt(0)
	v_mul_f64 v[140:141], v[236:237], v[42:43]
	v_mul_f64 v[42:43], v[238:239], v[42:43]
	s_delay_alu instid0(VALU_DEP_2) | instskip(SKIP_4) | instid1(VALU_DEP_1)
	v_fma_f64 v[144:145], v[238:239], v[40:41], v[140:141]
	ds_load_2addr_b64 v[140:143], v172 offset0:50 offset1:51
	v_fma_f64 v[40:41], v[236:237], v[40:41], -v[42:43]
	s_waitcnt lgkmcnt(0)
	v_mul_f64 v[42:43], v[142:143], v[144:145]
	v_fma_f64 v[42:43], v[140:141], v[40:41], -v[42:43]
	v_mul_f64 v[140:141], v[140:141], v[144:145]
	s_delay_alu instid0(VALU_DEP_2) | instskip(NEXT) | instid1(VALU_DEP_2)
	v_add_f64 v[36:37], v[36:37], -v[42:43]
	v_fma_f64 v[140:141], v[142:143], v[40:41], v[140:141]
	s_delay_alu instid0(VALU_DEP_1) | instskip(SKIP_3) | instid1(VALU_DEP_1)
	v_add_f64 v[38:39], v[38:39], -v[140:141]
	ds_load_2addr_b64 v[140:143], v172 offset0:52 offset1:53
	s_waitcnt lgkmcnt(0)
	v_mul_f64 v[42:43], v[142:143], v[144:145]
	v_fma_f64 v[42:43], v[140:141], v[40:41], -v[42:43]
	v_mul_f64 v[140:141], v[140:141], v[144:145]
	s_delay_alu instid0(VALU_DEP_2) | instskip(NEXT) | instid1(VALU_DEP_2)
	v_add_f64 v[32:33], v[32:33], -v[42:43]
	v_fma_f64 v[140:141], v[142:143], v[40:41], v[140:141]
	s_delay_alu instid0(VALU_DEP_1) | instskip(SKIP_3) | instid1(VALU_DEP_1)
	v_add_f64 v[34:35], v[34:35], -v[140:141]
	ds_load_2addr_b64 v[140:143], v172 offset0:54 offset1:55
	;; [unrolled: 10-line block ×9, first 2 shown]
	s_waitcnt lgkmcnt(0)
	v_mul_f64 v[42:43], v[142:143], v[144:145]
	v_fma_f64 v[42:43], v[140:141], v[40:41], -v[42:43]
	v_mul_f64 v[140:141], v[140:141], v[144:145]
	s_delay_alu instid0(VALU_DEP_2) | instskip(NEXT) | instid1(VALU_DEP_2)
	v_add_f64 v[0:1], v[0:1], -v[42:43]
	v_fma_f64 v[140:141], v[142:143], v[40:41], v[140:141]
	v_dual_mov_b32 v42, v144 :: v_dual_mov_b32 v43, v145
	s_delay_alu instid0(VALU_DEP_2)
	v_add_f64 v[2:3], v[2:3], -v[140:141]
.LBB69_226:
	s_or_b32 exec_lo, exec_lo, s3
	s_delay_alu instid0(SALU_CYCLE_1)
	s_mov_b32 s4, exec_lo
	s_waitcnt lgkmcnt(0)
	s_barrier
	buffer_gl0_inv
	v_cmpx_eq_u32_e32 25, v170
	s_cbranch_execz .LBB69_233
; %bb.227:
	ds_store_2addr_b64 v171, v[36:37], v[38:39] offset1:1
	ds_store_2addr_b64 v172, v[32:33], v[34:35] offset0:52 offset1:53
	ds_store_2addr_b64 v172, v[28:29], v[30:31] offset0:54 offset1:55
	;; [unrolled: 1-line block ×9, first 2 shown]
	ds_load_2addr_b64 v[140:143], v171 offset1:1
	s_waitcnt lgkmcnt(0)
	v_cmp_neq_f64_e32 vcc_lo, 0, v[140:141]
	v_cmp_neq_f64_e64 s3, 0, v[142:143]
	s_delay_alu instid0(VALU_DEP_1) | instskip(NEXT) | instid1(SALU_CYCLE_1)
	s_or_b32 s3, vcc_lo, s3
	s_and_b32 exec_lo, exec_lo, s3
	s_cbranch_execz .LBB69_233
; %bb.228:
	v_cmp_gt_f64_e32 vcc_lo, 0, v[140:141]
	v_xor_b32_e32 v144, 0x80000000, v141
	v_xor_b32_e32 v146, 0x80000000, v143
	s_mov_b32 s3, exec_lo
                                        ; implicit-def: $vgpr148_vgpr149
	s_delay_alu instid0(VALU_DEP_2) | instskip(SKIP_4) | instid1(VALU_DEP_1)
	v_cndmask_b32_e32 v145, v141, v144, vcc_lo
	v_cndmask_b32_e32 v144, v140, v140, vcc_lo
	v_cmp_gt_f64_e32 vcc_lo, 0, v[142:143]
	v_cndmask_b32_e32 v147, v143, v146, vcc_lo
	v_cndmask_b32_e32 v146, v142, v142, vcc_lo
	v_cmpx_ngt_f64_e32 v[144:145], v[146:147]
	s_xor_b32 s3, exec_lo, s3
                                        ; implicit-def: $vgpr144_vgpr145_vgpr146_vgpr147
	s_cbranch_execz .LBB69_230
; %bb.229:
	v_div_scale_f64 v[144:145], null, v[142:143], v[142:143], v[140:141]
	v_div_scale_f64 v[150:151], vcc_lo, v[140:141], v[142:143], v[140:141]
	s_delay_alu instid0(VALU_DEP_2) | instskip(SKIP_2) | instid1(VALU_DEP_1)
	v_rcp_f64_e32 v[146:147], v[144:145]
	s_waitcnt_depctr 0xfff
	v_fma_f64 v[148:149], -v[144:145], v[146:147], 1.0
	v_fma_f64 v[146:147], v[146:147], v[148:149], v[146:147]
	s_delay_alu instid0(VALU_DEP_1) | instskip(NEXT) | instid1(VALU_DEP_1)
	v_fma_f64 v[148:149], -v[144:145], v[146:147], 1.0
	v_fma_f64 v[146:147], v[146:147], v[148:149], v[146:147]
	s_delay_alu instid0(VALU_DEP_1) | instskip(NEXT) | instid1(VALU_DEP_1)
	v_mul_f64 v[148:149], v[150:151], v[146:147]
	v_fma_f64 v[144:145], -v[144:145], v[148:149], v[150:151]
	s_delay_alu instid0(VALU_DEP_1) | instskip(NEXT) | instid1(VALU_DEP_1)
	v_div_fmas_f64 v[144:145], v[144:145], v[146:147], v[148:149]
	v_div_fixup_f64 v[144:145], v[144:145], v[142:143], v[140:141]
	s_delay_alu instid0(VALU_DEP_1) | instskip(NEXT) | instid1(VALU_DEP_1)
	v_fma_f64 v[140:141], v[140:141], v[144:145], v[142:143]
	v_div_scale_f64 v[142:143], null, v[140:141], v[140:141], 1.0
	s_delay_alu instid0(VALU_DEP_1) | instskip(SKIP_2) | instid1(VALU_DEP_1)
	v_rcp_f64_e32 v[146:147], v[142:143]
	s_waitcnt_depctr 0xfff
	v_fma_f64 v[148:149], -v[142:143], v[146:147], 1.0
	v_fma_f64 v[146:147], v[146:147], v[148:149], v[146:147]
	s_delay_alu instid0(VALU_DEP_1) | instskip(NEXT) | instid1(VALU_DEP_1)
	v_fma_f64 v[148:149], -v[142:143], v[146:147], 1.0
	v_fma_f64 v[146:147], v[146:147], v[148:149], v[146:147]
	v_div_scale_f64 v[148:149], vcc_lo, 1.0, v[140:141], 1.0
	s_delay_alu instid0(VALU_DEP_1) | instskip(NEXT) | instid1(VALU_DEP_1)
	v_mul_f64 v[150:151], v[148:149], v[146:147]
	v_fma_f64 v[142:143], -v[142:143], v[150:151], v[148:149]
	s_delay_alu instid0(VALU_DEP_1) | instskip(NEXT) | instid1(VALU_DEP_1)
	v_div_fmas_f64 v[142:143], v[142:143], v[146:147], v[150:151]
	v_div_fixup_f64 v[146:147], v[142:143], v[140:141], 1.0
                                        ; implicit-def: $vgpr140_vgpr141
	s_delay_alu instid0(VALU_DEP_1)
	v_mul_f64 v[148:149], v[144:145], v[146:147]
	v_xor_b32_e32 v147, 0x80000000, v147
.LBB69_230:
	s_and_not1_saveexec_b32 s3, s3
	s_cbranch_execz .LBB69_232
; %bb.231:
	v_div_scale_f64 v[144:145], null, v[140:141], v[140:141], v[142:143]
	v_div_scale_f64 v[150:151], vcc_lo, v[142:143], v[140:141], v[142:143]
	s_delay_alu instid0(VALU_DEP_2) | instskip(SKIP_2) | instid1(VALU_DEP_1)
	v_rcp_f64_e32 v[146:147], v[144:145]
	s_waitcnt_depctr 0xfff
	v_fma_f64 v[148:149], -v[144:145], v[146:147], 1.0
	v_fma_f64 v[146:147], v[146:147], v[148:149], v[146:147]
	s_delay_alu instid0(VALU_DEP_1) | instskip(NEXT) | instid1(VALU_DEP_1)
	v_fma_f64 v[148:149], -v[144:145], v[146:147], 1.0
	v_fma_f64 v[146:147], v[146:147], v[148:149], v[146:147]
	s_delay_alu instid0(VALU_DEP_1) | instskip(NEXT) | instid1(VALU_DEP_1)
	v_mul_f64 v[148:149], v[150:151], v[146:147]
	v_fma_f64 v[144:145], -v[144:145], v[148:149], v[150:151]
	s_delay_alu instid0(VALU_DEP_1) | instskip(NEXT) | instid1(VALU_DEP_1)
	v_div_fmas_f64 v[144:145], v[144:145], v[146:147], v[148:149]
	v_div_fixup_f64 v[144:145], v[144:145], v[140:141], v[142:143]
	s_delay_alu instid0(VALU_DEP_1) | instskip(NEXT) | instid1(VALU_DEP_1)
	v_fma_f64 v[140:141], v[142:143], v[144:145], v[140:141]
	v_div_scale_f64 v[142:143], null, v[140:141], v[140:141], 1.0
	s_delay_alu instid0(VALU_DEP_1) | instskip(SKIP_2) | instid1(VALU_DEP_1)
	v_rcp_f64_e32 v[146:147], v[142:143]
	s_waitcnt_depctr 0xfff
	v_fma_f64 v[148:149], -v[142:143], v[146:147], 1.0
	v_fma_f64 v[146:147], v[146:147], v[148:149], v[146:147]
	s_delay_alu instid0(VALU_DEP_1) | instskip(NEXT) | instid1(VALU_DEP_1)
	v_fma_f64 v[148:149], -v[142:143], v[146:147], 1.0
	v_fma_f64 v[146:147], v[146:147], v[148:149], v[146:147]
	v_div_scale_f64 v[148:149], vcc_lo, 1.0, v[140:141], 1.0
	s_delay_alu instid0(VALU_DEP_1) | instskip(NEXT) | instid1(VALU_DEP_1)
	v_mul_f64 v[150:151], v[148:149], v[146:147]
	v_fma_f64 v[142:143], -v[142:143], v[150:151], v[148:149]
	s_delay_alu instid0(VALU_DEP_1) | instskip(NEXT) | instid1(VALU_DEP_1)
	v_div_fmas_f64 v[142:143], v[142:143], v[146:147], v[150:151]
	v_div_fixup_f64 v[148:149], v[142:143], v[140:141], 1.0
	s_delay_alu instid0(VALU_DEP_1)
	v_mul_f64 v[146:147], v[144:145], -v[148:149]
.LBB69_232:
	s_or_b32 exec_lo, exec_lo, s3
	ds_store_2addr_b64 v171, v[148:149], v[146:147] offset1:1
.LBB69_233:
	s_or_b32 exec_lo, exec_lo, s4
	s_waitcnt lgkmcnt(0)
	s_barrier
	buffer_gl0_inv
	ds_load_2addr_b64 v[240:243], v171 offset1:1
	s_mov_b32 s3, exec_lo
	v_cmpx_lt_u32_e32 25, v170
	s_cbranch_execz .LBB69_235
; %bb.234:
	s_waitcnt lgkmcnt(0)
	v_mul_f64 v[140:141], v[240:241], v[38:39]
	v_mul_f64 v[38:39], v[242:243], v[38:39]
	s_delay_alu instid0(VALU_DEP_2) | instskip(SKIP_4) | instid1(VALU_DEP_1)
	v_fma_f64 v[144:145], v[242:243], v[36:37], v[140:141]
	ds_load_2addr_b64 v[140:143], v172 offset0:52 offset1:53
	v_fma_f64 v[36:37], v[240:241], v[36:37], -v[38:39]
	s_waitcnt lgkmcnt(0)
	v_mul_f64 v[38:39], v[142:143], v[144:145]
	v_fma_f64 v[38:39], v[140:141], v[36:37], -v[38:39]
	v_mul_f64 v[140:141], v[140:141], v[144:145]
	s_delay_alu instid0(VALU_DEP_2) | instskip(NEXT) | instid1(VALU_DEP_2)
	v_add_f64 v[32:33], v[32:33], -v[38:39]
	v_fma_f64 v[140:141], v[142:143], v[36:37], v[140:141]
	s_delay_alu instid0(VALU_DEP_1) | instskip(SKIP_3) | instid1(VALU_DEP_1)
	v_add_f64 v[34:35], v[34:35], -v[140:141]
	ds_load_2addr_b64 v[140:143], v172 offset0:54 offset1:55
	s_waitcnt lgkmcnt(0)
	v_mul_f64 v[38:39], v[142:143], v[144:145]
	v_fma_f64 v[38:39], v[140:141], v[36:37], -v[38:39]
	v_mul_f64 v[140:141], v[140:141], v[144:145]
	s_delay_alu instid0(VALU_DEP_2) | instskip(NEXT) | instid1(VALU_DEP_2)
	v_add_f64 v[28:29], v[28:29], -v[38:39]
	v_fma_f64 v[140:141], v[142:143], v[36:37], v[140:141]
	s_delay_alu instid0(VALU_DEP_1) | instskip(SKIP_3) | instid1(VALU_DEP_1)
	v_add_f64 v[30:31], v[30:31], -v[140:141]
	ds_load_2addr_b64 v[140:143], v172 offset0:56 offset1:57
	;; [unrolled: 10-line block ×8, first 2 shown]
	s_waitcnt lgkmcnt(0)
	v_mul_f64 v[38:39], v[142:143], v[144:145]
	v_fma_f64 v[38:39], v[140:141], v[36:37], -v[38:39]
	v_mul_f64 v[140:141], v[140:141], v[144:145]
	s_delay_alu instid0(VALU_DEP_2) | instskip(NEXT) | instid1(VALU_DEP_2)
	v_add_f64 v[0:1], v[0:1], -v[38:39]
	v_fma_f64 v[140:141], v[142:143], v[36:37], v[140:141]
	v_dual_mov_b32 v38, v144 :: v_dual_mov_b32 v39, v145
	s_delay_alu instid0(VALU_DEP_2)
	v_add_f64 v[2:3], v[2:3], -v[140:141]
.LBB69_235:
	s_or_b32 exec_lo, exec_lo, s3
	s_delay_alu instid0(SALU_CYCLE_1)
	s_mov_b32 s4, exec_lo
	s_waitcnt lgkmcnt(0)
	s_barrier
	buffer_gl0_inv
	v_cmpx_eq_u32_e32 26, v170
	s_cbranch_execz .LBB69_242
; %bb.236:
	ds_store_2addr_b64 v171, v[32:33], v[34:35] offset1:1
	ds_store_2addr_b64 v172, v[28:29], v[30:31] offset0:54 offset1:55
	ds_store_2addr_b64 v172, v[24:25], v[26:27] offset0:56 offset1:57
	;; [unrolled: 1-line block ×8, first 2 shown]
	ds_load_2addr_b64 v[140:143], v171 offset1:1
	s_waitcnt lgkmcnt(0)
	v_cmp_neq_f64_e32 vcc_lo, 0, v[140:141]
	v_cmp_neq_f64_e64 s3, 0, v[142:143]
	s_delay_alu instid0(VALU_DEP_1) | instskip(NEXT) | instid1(SALU_CYCLE_1)
	s_or_b32 s3, vcc_lo, s3
	s_and_b32 exec_lo, exec_lo, s3
	s_cbranch_execz .LBB69_242
; %bb.237:
	v_cmp_gt_f64_e32 vcc_lo, 0, v[140:141]
	v_xor_b32_e32 v144, 0x80000000, v141
	v_xor_b32_e32 v146, 0x80000000, v143
	s_mov_b32 s3, exec_lo
                                        ; implicit-def: $vgpr148_vgpr149
	s_delay_alu instid0(VALU_DEP_2) | instskip(SKIP_4) | instid1(VALU_DEP_1)
	v_cndmask_b32_e32 v145, v141, v144, vcc_lo
	v_cndmask_b32_e32 v144, v140, v140, vcc_lo
	v_cmp_gt_f64_e32 vcc_lo, 0, v[142:143]
	v_cndmask_b32_e32 v147, v143, v146, vcc_lo
	v_cndmask_b32_e32 v146, v142, v142, vcc_lo
	v_cmpx_ngt_f64_e32 v[144:145], v[146:147]
	s_xor_b32 s3, exec_lo, s3
                                        ; implicit-def: $vgpr144_vgpr145_vgpr146_vgpr147
	s_cbranch_execz .LBB69_239
; %bb.238:
	v_div_scale_f64 v[144:145], null, v[142:143], v[142:143], v[140:141]
	v_div_scale_f64 v[150:151], vcc_lo, v[140:141], v[142:143], v[140:141]
	s_delay_alu instid0(VALU_DEP_2) | instskip(SKIP_2) | instid1(VALU_DEP_1)
	v_rcp_f64_e32 v[146:147], v[144:145]
	s_waitcnt_depctr 0xfff
	v_fma_f64 v[148:149], -v[144:145], v[146:147], 1.0
	v_fma_f64 v[146:147], v[146:147], v[148:149], v[146:147]
	s_delay_alu instid0(VALU_DEP_1) | instskip(NEXT) | instid1(VALU_DEP_1)
	v_fma_f64 v[148:149], -v[144:145], v[146:147], 1.0
	v_fma_f64 v[146:147], v[146:147], v[148:149], v[146:147]
	s_delay_alu instid0(VALU_DEP_1) | instskip(NEXT) | instid1(VALU_DEP_1)
	v_mul_f64 v[148:149], v[150:151], v[146:147]
	v_fma_f64 v[144:145], -v[144:145], v[148:149], v[150:151]
	s_delay_alu instid0(VALU_DEP_1) | instskip(NEXT) | instid1(VALU_DEP_1)
	v_div_fmas_f64 v[144:145], v[144:145], v[146:147], v[148:149]
	v_div_fixup_f64 v[144:145], v[144:145], v[142:143], v[140:141]
	s_delay_alu instid0(VALU_DEP_1) | instskip(NEXT) | instid1(VALU_DEP_1)
	v_fma_f64 v[140:141], v[140:141], v[144:145], v[142:143]
	v_div_scale_f64 v[142:143], null, v[140:141], v[140:141], 1.0
	s_delay_alu instid0(VALU_DEP_1) | instskip(SKIP_2) | instid1(VALU_DEP_1)
	v_rcp_f64_e32 v[146:147], v[142:143]
	s_waitcnt_depctr 0xfff
	v_fma_f64 v[148:149], -v[142:143], v[146:147], 1.0
	v_fma_f64 v[146:147], v[146:147], v[148:149], v[146:147]
	s_delay_alu instid0(VALU_DEP_1) | instskip(NEXT) | instid1(VALU_DEP_1)
	v_fma_f64 v[148:149], -v[142:143], v[146:147], 1.0
	v_fma_f64 v[146:147], v[146:147], v[148:149], v[146:147]
	v_div_scale_f64 v[148:149], vcc_lo, 1.0, v[140:141], 1.0
	s_delay_alu instid0(VALU_DEP_1) | instskip(NEXT) | instid1(VALU_DEP_1)
	v_mul_f64 v[150:151], v[148:149], v[146:147]
	v_fma_f64 v[142:143], -v[142:143], v[150:151], v[148:149]
	s_delay_alu instid0(VALU_DEP_1) | instskip(NEXT) | instid1(VALU_DEP_1)
	v_div_fmas_f64 v[142:143], v[142:143], v[146:147], v[150:151]
	v_div_fixup_f64 v[146:147], v[142:143], v[140:141], 1.0
                                        ; implicit-def: $vgpr140_vgpr141
	s_delay_alu instid0(VALU_DEP_1)
	v_mul_f64 v[148:149], v[144:145], v[146:147]
	v_xor_b32_e32 v147, 0x80000000, v147
.LBB69_239:
	s_and_not1_saveexec_b32 s3, s3
	s_cbranch_execz .LBB69_241
; %bb.240:
	v_div_scale_f64 v[144:145], null, v[140:141], v[140:141], v[142:143]
	v_div_scale_f64 v[150:151], vcc_lo, v[142:143], v[140:141], v[142:143]
	s_delay_alu instid0(VALU_DEP_2) | instskip(SKIP_2) | instid1(VALU_DEP_1)
	v_rcp_f64_e32 v[146:147], v[144:145]
	s_waitcnt_depctr 0xfff
	v_fma_f64 v[148:149], -v[144:145], v[146:147], 1.0
	v_fma_f64 v[146:147], v[146:147], v[148:149], v[146:147]
	s_delay_alu instid0(VALU_DEP_1) | instskip(NEXT) | instid1(VALU_DEP_1)
	v_fma_f64 v[148:149], -v[144:145], v[146:147], 1.0
	v_fma_f64 v[146:147], v[146:147], v[148:149], v[146:147]
	s_delay_alu instid0(VALU_DEP_1) | instskip(NEXT) | instid1(VALU_DEP_1)
	v_mul_f64 v[148:149], v[150:151], v[146:147]
	v_fma_f64 v[144:145], -v[144:145], v[148:149], v[150:151]
	s_delay_alu instid0(VALU_DEP_1) | instskip(NEXT) | instid1(VALU_DEP_1)
	v_div_fmas_f64 v[144:145], v[144:145], v[146:147], v[148:149]
	v_div_fixup_f64 v[144:145], v[144:145], v[140:141], v[142:143]
	s_delay_alu instid0(VALU_DEP_1) | instskip(NEXT) | instid1(VALU_DEP_1)
	v_fma_f64 v[140:141], v[142:143], v[144:145], v[140:141]
	v_div_scale_f64 v[142:143], null, v[140:141], v[140:141], 1.0
	s_delay_alu instid0(VALU_DEP_1) | instskip(SKIP_2) | instid1(VALU_DEP_1)
	v_rcp_f64_e32 v[146:147], v[142:143]
	s_waitcnt_depctr 0xfff
	v_fma_f64 v[148:149], -v[142:143], v[146:147], 1.0
	v_fma_f64 v[146:147], v[146:147], v[148:149], v[146:147]
	s_delay_alu instid0(VALU_DEP_1) | instskip(NEXT) | instid1(VALU_DEP_1)
	v_fma_f64 v[148:149], -v[142:143], v[146:147], 1.0
	v_fma_f64 v[146:147], v[146:147], v[148:149], v[146:147]
	v_div_scale_f64 v[148:149], vcc_lo, 1.0, v[140:141], 1.0
	s_delay_alu instid0(VALU_DEP_1) | instskip(NEXT) | instid1(VALU_DEP_1)
	v_mul_f64 v[150:151], v[148:149], v[146:147]
	v_fma_f64 v[142:143], -v[142:143], v[150:151], v[148:149]
	s_delay_alu instid0(VALU_DEP_1) | instskip(NEXT) | instid1(VALU_DEP_1)
	v_div_fmas_f64 v[142:143], v[142:143], v[146:147], v[150:151]
	v_div_fixup_f64 v[148:149], v[142:143], v[140:141], 1.0
	s_delay_alu instid0(VALU_DEP_1)
	v_mul_f64 v[146:147], v[144:145], -v[148:149]
.LBB69_241:
	s_or_b32 exec_lo, exec_lo, s3
	ds_store_2addr_b64 v171, v[148:149], v[146:147] offset1:1
.LBB69_242:
	s_or_b32 exec_lo, exec_lo, s4
	s_waitcnt lgkmcnt(0)
	s_barrier
	buffer_gl0_inv
	ds_load_2addr_b64 v[244:247], v171 offset1:1
	s_mov_b32 s3, exec_lo
	v_cmpx_lt_u32_e32 26, v170
	s_cbranch_execz .LBB69_244
; %bb.243:
	s_waitcnt lgkmcnt(0)
	v_mul_f64 v[140:141], v[244:245], v[34:35]
	v_mul_f64 v[34:35], v[246:247], v[34:35]
	s_delay_alu instid0(VALU_DEP_2) | instskip(SKIP_4) | instid1(VALU_DEP_1)
	v_fma_f64 v[144:145], v[246:247], v[32:33], v[140:141]
	ds_load_2addr_b64 v[140:143], v172 offset0:54 offset1:55
	v_fma_f64 v[32:33], v[244:245], v[32:33], -v[34:35]
	s_waitcnt lgkmcnt(0)
	v_mul_f64 v[34:35], v[142:143], v[144:145]
	v_fma_f64 v[34:35], v[140:141], v[32:33], -v[34:35]
	v_mul_f64 v[140:141], v[140:141], v[144:145]
	s_delay_alu instid0(VALU_DEP_2) | instskip(NEXT) | instid1(VALU_DEP_2)
	v_add_f64 v[28:29], v[28:29], -v[34:35]
	v_fma_f64 v[140:141], v[142:143], v[32:33], v[140:141]
	s_delay_alu instid0(VALU_DEP_1) | instskip(SKIP_3) | instid1(VALU_DEP_1)
	v_add_f64 v[30:31], v[30:31], -v[140:141]
	ds_load_2addr_b64 v[140:143], v172 offset0:56 offset1:57
	s_waitcnt lgkmcnt(0)
	v_mul_f64 v[34:35], v[142:143], v[144:145]
	v_fma_f64 v[34:35], v[140:141], v[32:33], -v[34:35]
	v_mul_f64 v[140:141], v[140:141], v[144:145]
	s_delay_alu instid0(VALU_DEP_2) | instskip(NEXT) | instid1(VALU_DEP_2)
	v_add_f64 v[24:25], v[24:25], -v[34:35]
	v_fma_f64 v[140:141], v[142:143], v[32:33], v[140:141]
	s_delay_alu instid0(VALU_DEP_1) | instskip(SKIP_3) | instid1(VALU_DEP_1)
	v_add_f64 v[26:27], v[26:27], -v[140:141]
	ds_load_2addr_b64 v[140:143], v172 offset0:58 offset1:59
	;; [unrolled: 10-line block ×7, first 2 shown]
	s_waitcnt lgkmcnt(0)
	v_mul_f64 v[34:35], v[142:143], v[144:145]
	v_fma_f64 v[34:35], v[140:141], v[32:33], -v[34:35]
	v_mul_f64 v[140:141], v[140:141], v[144:145]
	s_delay_alu instid0(VALU_DEP_2) | instskip(NEXT) | instid1(VALU_DEP_2)
	v_add_f64 v[0:1], v[0:1], -v[34:35]
	v_fma_f64 v[140:141], v[142:143], v[32:33], v[140:141]
	v_dual_mov_b32 v34, v144 :: v_dual_mov_b32 v35, v145
	s_delay_alu instid0(VALU_DEP_2)
	v_add_f64 v[2:3], v[2:3], -v[140:141]
.LBB69_244:
	s_or_b32 exec_lo, exec_lo, s3
	s_delay_alu instid0(SALU_CYCLE_1)
	s_mov_b32 s4, exec_lo
	s_waitcnt lgkmcnt(0)
	s_barrier
	buffer_gl0_inv
	v_cmpx_eq_u32_e32 27, v170
	s_cbranch_execz .LBB69_251
; %bb.245:
	ds_store_2addr_b64 v171, v[28:29], v[30:31] offset1:1
	ds_store_2addr_b64 v172, v[24:25], v[26:27] offset0:56 offset1:57
	ds_store_2addr_b64 v172, v[20:21], v[22:23] offset0:58 offset1:59
	;; [unrolled: 1-line block ×7, first 2 shown]
	ds_load_2addr_b64 v[140:143], v171 offset1:1
	s_waitcnt lgkmcnt(0)
	v_cmp_neq_f64_e32 vcc_lo, 0, v[140:141]
	v_cmp_neq_f64_e64 s3, 0, v[142:143]
	s_delay_alu instid0(VALU_DEP_1) | instskip(NEXT) | instid1(SALU_CYCLE_1)
	s_or_b32 s3, vcc_lo, s3
	s_and_b32 exec_lo, exec_lo, s3
	s_cbranch_execz .LBB69_251
; %bb.246:
	v_cmp_gt_f64_e32 vcc_lo, 0, v[140:141]
	v_xor_b32_e32 v144, 0x80000000, v141
	v_xor_b32_e32 v146, 0x80000000, v143
	s_mov_b32 s3, exec_lo
                                        ; implicit-def: $vgpr148_vgpr149
	s_delay_alu instid0(VALU_DEP_2) | instskip(SKIP_4) | instid1(VALU_DEP_1)
	v_cndmask_b32_e32 v145, v141, v144, vcc_lo
	v_cndmask_b32_e32 v144, v140, v140, vcc_lo
	v_cmp_gt_f64_e32 vcc_lo, 0, v[142:143]
	v_cndmask_b32_e32 v147, v143, v146, vcc_lo
	v_cndmask_b32_e32 v146, v142, v142, vcc_lo
	v_cmpx_ngt_f64_e32 v[144:145], v[146:147]
	s_xor_b32 s3, exec_lo, s3
                                        ; implicit-def: $vgpr144_vgpr145_vgpr146_vgpr147
	s_cbranch_execz .LBB69_248
; %bb.247:
	v_div_scale_f64 v[144:145], null, v[142:143], v[142:143], v[140:141]
	v_div_scale_f64 v[150:151], vcc_lo, v[140:141], v[142:143], v[140:141]
	s_delay_alu instid0(VALU_DEP_2) | instskip(SKIP_2) | instid1(VALU_DEP_1)
	v_rcp_f64_e32 v[146:147], v[144:145]
	s_waitcnt_depctr 0xfff
	v_fma_f64 v[148:149], -v[144:145], v[146:147], 1.0
	v_fma_f64 v[146:147], v[146:147], v[148:149], v[146:147]
	s_delay_alu instid0(VALU_DEP_1) | instskip(NEXT) | instid1(VALU_DEP_1)
	v_fma_f64 v[148:149], -v[144:145], v[146:147], 1.0
	v_fma_f64 v[146:147], v[146:147], v[148:149], v[146:147]
	s_delay_alu instid0(VALU_DEP_1) | instskip(NEXT) | instid1(VALU_DEP_1)
	v_mul_f64 v[148:149], v[150:151], v[146:147]
	v_fma_f64 v[144:145], -v[144:145], v[148:149], v[150:151]
	s_delay_alu instid0(VALU_DEP_1) | instskip(NEXT) | instid1(VALU_DEP_1)
	v_div_fmas_f64 v[144:145], v[144:145], v[146:147], v[148:149]
	v_div_fixup_f64 v[144:145], v[144:145], v[142:143], v[140:141]
	s_delay_alu instid0(VALU_DEP_1) | instskip(NEXT) | instid1(VALU_DEP_1)
	v_fma_f64 v[140:141], v[140:141], v[144:145], v[142:143]
	v_div_scale_f64 v[142:143], null, v[140:141], v[140:141], 1.0
	s_delay_alu instid0(VALU_DEP_1) | instskip(SKIP_2) | instid1(VALU_DEP_1)
	v_rcp_f64_e32 v[146:147], v[142:143]
	s_waitcnt_depctr 0xfff
	v_fma_f64 v[148:149], -v[142:143], v[146:147], 1.0
	v_fma_f64 v[146:147], v[146:147], v[148:149], v[146:147]
	s_delay_alu instid0(VALU_DEP_1) | instskip(NEXT) | instid1(VALU_DEP_1)
	v_fma_f64 v[148:149], -v[142:143], v[146:147], 1.0
	v_fma_f64 v[146:147], v[146:147], v[148:149], v[146:147]
	v_div_scale_f64 v[148:149], vcc_lo, 1.0, v[140:141], 1.0
	s_delay_alu instid0(VALU_DEP_1) | instskip(NEXT) | instid1(VALU_DEP_1)
	v_mul_f64 v[150:151], v[148:149], v[146:147]
	v_fma_f64 v[142:143], -v[142:143], v[150:151], v[148:149]
	s_delay_alu instid0(VALU_DEP_1) | instskip(NEXT) | instid1(VALU_DEP_1)
	v_div_fmas_f64 v[142:143], v[142:143], v[146:147], v[150:151]
	v_div_fixup_f64 v[146:147], v[142:143], v[140:141], 1.0
                                        ; implicit-def: $vgpr140_vgpr141
	s_delay_alu instid0(VALU_DEP_1)
	v_mul_f64 v[148:149], v[144:145], v[146:147]
	v_xor_b32_e32 v147, 0x80000000, v147
.LBB69_248:
	s_and_not1_saveexec_b32 s3, s3
	s_cbranch_execz .LBB69_250
; %bb.249:
	v_div_scale_f64 v[144:145], null, v[140:141], v[140:141], v[142:143]
	v_div_scale_f64 v[150:151], vcc_lo, v[142:143], v[140:141], v[142:143]
	s_delay_alu instid0(VALU_DEP_2) | instskip(SKIP_2) | instid1(VALU_DEP_1)
	v_rcp_f64_e32 v[146:147], v[144:145]
	s_waitcnt_depctr 0xfff
	v_fma_f64 v[148:149], -v[144:145], v[146:147], 1.0
	v_fma_f64 v[146:147], v[146:147], v[148:149], v[146:147]
	s_delay_alu instid0(VALU_DEP_1) | instskip(NEXT) | instid1(VALU_DEP_1)
	v_fma_f64 v[148:149], -v[144:145], v[146:147], 1.0
	v_fma_f64 v[146:147], v[146:147], v[148:149], v[146:147]
	s_delay_alu instid0(VALU_DEP_1) | instskip(NEXT) | instid1(VALU_DEP_1)
	v_mul_f64 v[148:149], v[150:151], v[146:147]
	v_fma_f64 v[144:145], -v[144:145], v[148:149], v[150:151]
	s_delay_alu instid0(VALU_DEP_1) | instskip(NEXT) | instid1(VALU_DEP_1)
	v_div_fmas_f64 v[144:145], v[144:145], v[146:147], v[148:149]
	v_div_fixup_f64 v[144:145], v[144:145], v[140:141], v[142:143]
	s_delay_alu instid0(VALU_DEP_1) | instskip(NEXT) | instid1(VALU_DEP_1)
	v_fma_f64 v[140:141], v[142:143], v[144:145], v[140:141]
	v_div_scale_f64 v[142:143], null, v[140:141], v[140:141], 1.0
	s_delay_alu instid0(VALU_DEP_1) | instskip(SKIP_2) | instid1(VALU_DEP_1)
	v_rcp_f64_e32 v[146:147], v[142:143]
	s_waitcnt_depctr 0xfff
	v_fma_f64 v[148:149], -v[142:143], v[146:147], 1.0
	v_fma_f64 v[146:147], v[146:147], v[148:149], v[146:147]
	s_delay_alu instid0(VALU_DEP_1) | instskip(NEXT) | instid1(VALU_DEP_1)
	v_fma_f64 v[148:149], -v[142:143], v[146:147], 1.0
	v_fma_f64 v[146:147], v[146:147], v[148:149], v[146:147]
	v_div_scale_f64 v[148:149], vcc_lo, 1.0, v[140:141], 1.0
	s_delay_alu instid0(VALU_DEP_1) | instskip(NEXT) | instid1(VALU_DEP_1)
	v_mul_f64 v[150:151], v[148:149], v[146:147]
	v_fma_f64 v[142:143], -v[142:143], v[150:151], v[148:149]
	s_delay_alu instid0(VALU_DEP_1) | instskip(NEXT) | instid1(VALU_DEP_1)
	v_div_fmas_f64 v[142:143], v[142:143], v[146:147], v[150:151]
	v_div_fixup_f64 v[148:149], v[142:143], v[140:141], 1.0
	s_delay_alu instid0(VALU_DEP_1)
	v_mul_f64 v[146:147], v[144:145], -v[148:149]
.LBB69_250:
	s_or_b32 exec_lo, exec_lo, s3
	ds_store_2addr_b64 v171, v[148:149], v[146:147] offset1:1
.LBB69_251:
	s_or_b32 exec_lo, exec_lo, s4
	s_waitcnt lgkmcnt(0)
	s_barrier
	buffer_gl0_inv
	ds_load_2addr_b64 v[248:251], v171 offset1:1
	s_mov_b32 s3, exec_lo
	v_cmpx_lt_u32_e32 27, v170
	s_cbranch_execz .LBB69_253
; %bb.252:
	s_waitcnt lgkmcnt(0)
	v_mul_f64 v[140:141], v[248:249], v[30:31]
	v_mul_f64 v[30:31], v[250:251], v[30:31]
	s_delay_alu instid0(VALU_DEP_2) | instskip(SKIP_4) | instid1(VALU_DEP_1)
	v_fma_f64 v[144:145], v[250:251], v[28:29], v[140:141]
	ds_load_2addr_b64 v[140:143], v172 offset0:56 offset1:57
	v_fma_f64 v[28:29], v[248:249], v[28:29], -v[30:31]
	s_waitcnt lgkmcnt(0)
	v_mul_f64 v[30:31], v[142:143], v[144:145]
	v_fma_f64 v[30:31], v[140:141], v[28:29], -v[30:31]
	v_mul_f64 v[140:141], v[140:141], v[144:145]
	s_delay_alu instid0(VALU_DEP_2) | instskip(NEXT) | instid1(VALU_DEP_2)
	v_add_f64 v[24:25], v[24:25], -v[30:31]
	v_fma_f64 v[140:141], v[142:143], v[28:29], v[140:141]
	s_delay_alu instid0(VALU_DEP_1) | instskip(SKIP_3) | instid1(VALU_DEP_1)
	v_add_f64 v[26:27], v[26:27], -v[140:141]
	ds_load_2addr_b64 v[140:143], v172 offset0:58 offset1:59
	s_waitcnt lgkmcnt(0)
	v_mul_f64 v[30:31], v[142:143], v[144:145]
	v_fma_f64 v[30:31], v[140:141], v[28:29], -v[30:31]
	v_mul_f64 v[140:141], v[140:141], v[144:145]
	s_delay_alu instid0(VALU_DEP_2) | instskip(NEXT) | instid1(VALU_DEP_2)
	v_add_f64 v[20:21], v[20:21], -v[30:31]
	v_fma_f64 v[140:141], v[142:143], v[28:29], v[140:141]
	s_delay_alu instid0(VALU_DEP_1) | instskip(SKIP_3) | instid1(VALU_DEP_1)
	v_add_f64 v[22:23], v[22:23], -v[140:141]
	ds_load_2addr_b64 v[140:143], v172 offset0:60 offset1:61
	;; [unrolled: 10-line block ×6, first 2 shown]
	s_waitcnt lgkmcnt(0)
	v_mul_f64 v[30:31], v[142:143], v[144:145]
	v_fma_f64 v[30:31], v[140:141], v[28:29], -v[30:31]
	v_mul_f64 v[140:141], v[140:141], v[144:145]
	s_delay_alu instid0(VALU_DEP_2) | instskip(NEXT) | instid1(VALU_DEP_2)
	v_add_f64 v[0:1], v[0:1], -v[30:31]
	v_fma_f64 v[140:141], v[142:143], v[28:29], v[140:141]
	v_dual_mov_b32 v30, v144 :: v_dual_mov_b32 v31, v145
	s_delay_alu instid0(VALU_DEP_2)
	v_add_f64 v[2:3], v[2:3], -v[140:141]
.LBB69_253:
	s_or_b32 exec_lo, exec_lo, s3
	s_delay_alu instid0(SALU_CYCLE_1)
	s_mov_b32 s4, exec_lo
	s_waitcnt lgkmcnt(0)
	s_barrier
	buffer_gl0_inv
	v_cmpx_eq_u32_e32 28, v170
	s_cbranch_execz .LBB69_260
; %bb.254:
	ds_store_2addr_b64 v171, v[24:25], v[26:27] offset1:1
	ds_store_2addr_b64 v172, v[20:21], v[22:23] offset0:58 offset1:59
	ds_store_2addr_b64 v172, v[16:17], v[18:19] offset0:60 offset1:61
	ds_store_2addr_b64 v172, v[12:13], v[14:15] offset0:62 offset1:63
	ds_store_2addr_b64 v172, v[8:9], v[10:11] offset0:64 offset1:65
	ds_store_2addr_b64 v172, v[4:5], v[6:7] offset0:66 offset1:67
	ds_store_2addr_b64 v172, v[0:1], v[2:3] offset0:68 offset1:69
	ds_load_2addr_b64 v[140:143], v171 offset1:1
	s_waitcnt lgkmcnt(0)
	v_cmp_neq_f64_e32 vcc_lo, 0, v[140:141]
	v_cmp_neq_f64_e64 s3, 0, v[142:143]
	s_delay_alu instid0(VALU_DEP_1) | instskip(NEXT) | instid1(SALU_CYCLE_1)
	s_or_b32 s3, vcc_lo, s3
	s_and_b32 exec_lo, exec_lo, s3
	s_cbranch_execz .LBB69_260
; %bb.255:
	v_cmp_gt_f64_e32 vcc_lo, 0, v[140:141]
	v_xor_b32_e32 v144, 0x80000000, v141
	v_xor_b32_e32 v146, 0x80000000, v143
	s_mov_b32 s3, exec_lo
                                        ; implicit-def: $vgpr148_vgpr149
	s_delay_alu instid0(VALU_DEP_2) | instskip(SKIP_4) | instid1(VALU_DEP_1)
	v_cndmask_b32_e32 v145, v141, v144, vcc_lo
	v_cndmask_b32_e32 v144, v140, v140, vcc_lo
	v_cmp_gt_f64_e32 vcc_lo, 0, v[142:143]
	v_cndmask_b32_e32 v147, v143, v146, vcc_lo
	v_cndmask_b32_e32 v146, v142, v142, vcc_lo
	v_cmpx_ngt_f64_e32 v[144:145], v[146:147]
	s_xor_b32 s3, exec_lo, s3
                                        ; implicit-def: $vgpr144_vgpr145_vgpr146_vgpr147
	s_cbranch_execz .LBB69_257
; %bb.256:
	v_div_scale_f64 v[144:145], null, v[142:143], v[142:143], v[140:141]
	v_div_scale_f64 v[150:151], vcc_lo, v[140:141], v[142:143], v[140:141]
	s_delay_alu instid0(VALU_DEP_2) | instskip(SKIP_2) | instid1(VALU_DEP_1)
	v_rcp_f64_e32 v[146:147], v[144:145]
	s_waitcnt_depctr 0xfff
	v_fma_f64 v[148:149], -v[144:145], v[146:147], 1.0
	v_fma_f64 v[146:147], v[146:147], v[148:149], v[146:147]
	s_delay_alu instid0(VALU_DEP_1) | instskip(NEXT) | instid1(VALU_DEP_1)
	v_fma_f64 v[148:149], -v[144:145], v[146:147], 1.0
	v_fma_f64 v[146:147], v[146:147], v[148:149], v[146:147]
	s_delay_alu instid0(VALU_DEP_1) | instskip(NEXT) | instid1(VALU_DEP_1)
	v_mul_f64 v[148:149], v[150:151], v[146:147]
	v_fma_f64 v[144:145], -v[144:145], v[148:149], v[150:151]
	s_delay_alu instid0(VALU_DEP_1) | instskip(NEXT) | instid1(VALU_DEP_1)
	v_div_fmas_f64 v[144:145], v[144:145], v[146:147], v[148:149]
	v_div_fixup_f64 v[144:145], v[144:145], v[142:143], v[140:141]
	s_delay_alu instid0(VALU_DEP_1) | instskip(NEXT) | instid1(VALU_DEP_1)
	v_fma_f64 v[140:141], v[140:141], v[144:145], v[142:143]
	v_div_scale_f64 v[142:143], null, v[140:141], v[140:141], 1.0
	s_delay_alu instid0(VALU_DEP_1) | instskip(SKIP_2) | instid1(VALU_DEP_1)
	v_rcp_f64_e32 v[146:147], v[142:143]
	s_waitcnt_depctr 0xfff
	v_fma_f64 v[148:149], -v[142:143], v[146:147], 1.0
	v_fma_f64 v[146:147], v[146:147], v[148:149], v[146:147]
	s_delay_alu instid0(VALU_DEP_1) | instskip(NEXT) | instid1(VALU_DEP_1)
	v_fma_f64 v[148:149], -v[142:143], v[146:147], 1.0
	v_fma_f64 v[146:147], v[146:147], v[148:149], v[146:147]
	v_div_scale_f64 v[148:149], vcc_lo, 1.0, v[140:141], 1.0
	s_delay_alu instid0(VALU_DEP_1) | instskip(NEXT) | instid1(VALU_DEP_1)
	v_mul_f64 v[150:151], v[148:149], v[146:147]
	v_fma_f64 v[142:143], -v[142:143], v[150:151], v[148:149]
	s_delay_alu instid0(VALU_DEP_1) | instskip(NEXT) | instid1(VALU_DEP_1)
	v_div_fmas_f64 v[142:143], v[142:143], v[146:147], v[150:151]
	v_div_fixup_f64 v[146:147], v[142:143], v[140:141], 1.0
                                        ; implicit-def: $vgpr140_vgpr141
	s_delay_alu instid0(VALU_DEP_1)
	v_mul_f64 v[148:149], v[144:145], v[146:147]
	v_xor_b32_e32 v147, 0x80000000, v147
.LBB69_257:
	s_and_not1_saveexec_b32 s3, s3
	s_cbranch_execz .LBB69_259
; %bb.258:
	v_div_scale_f64 v[144:145], null, v[140:141], v[140:141], v[142:143]
	v_div_scale_f64 v[150:151], vcc_lo, v[142:143], v[140:141], v[142:143]
	s_delay_alu instid0(VALU_DEP_2) | instskip(SKIP_2) | instid1(VALU_DEP_1)
	v_rcp_f64_e32 v[146:147], v[144:145]
	s_waitcnt_depctr 0xfff
	v_fma_f64 v[148:149], -v[144:145], v[146:147], 1.0
	v_fma_f64 v[146:147], v[146:147], v[148:149], v[146:147]
	s_delay_alu instid0(VALU_DEP_1) | instskip(NEXT) | instid1(VALU_DEP_1)
	v_fma_f64 v[148:149], -v[144:145], v[146:147], 1.0
	v_fma_f64 v[146:147], v[146:147], v[148:149], v[146:147]
	s_delay_alu instid0(VALU_DEP_1) | instskip(NEXT) | instid1(VALU_DEP_1)
	v_mul_f64 v[148:149], v[150:151], v[146:147]
	v_fma_f64 v[144:145], -v[144:145], v[148:149], v[150:151]
	s_delay_alu instid0(VALU_DEP_1) | instskip(NEXT) | instid1(VALU_DEP_1)
	v_div_fmas_f64 v[144:145], v[144:145], v[146:147], v[148:149]
	v_div_fixup_f64 v[144:145], v[144:145], v[140:141], v[142:143]
	s_delay_alu instid0(VALU_DEP_1) | instskip(NEXT) | instid1(VALU_DEP_1)
	v_fma_f64 v[140:141], v[142:143], v[144:145], v[140:141]
	v_div_scale_f64 v[142:143], null, v[140:141], v[140:141], 1.0
	s_delay_alu instid0(VALU_DEP_1) | instskip(SKIP_2) | instid1(VALU_DEP_1)
	v_rcp_f64_e32 v[146:147], v[142:143]
	s_waitcnt_depctr 0xfff
	v_fma_f64 v[148:149], -v[142:143], v[146:147], 1.0
	v_fma_f64 v[146:147], v[146:147], v[148:149], v[146:147]
	s_delay_alu instid0(VALU_DEP_1) | instskip(NEXT) | instid1(VALU_DEP_1)
	v_fma_f64 v[148:149], -v[142:143], v[146:147], 1.0
	v_fma_f64 v[146:147], v[146:147], v[148:149], v[146:147]
	v_div_scale_f64 v[148:149], vcc_lo, 1.0, v[140:141], 1.0
	s_delay_alu instid0(VALU_DEP_1) | instskip(NEXT) | instid1(VALU_DEP_1)
	v_mul_f64 v[150:151], v[148:149], v[146:147]
	v_fma_f64 v[142:143], -v[142:143], v[150:151], v[148:149]
	s_delay_alu instid0(VALU_DEP_1) | instskip(NEXT) | instid1(VALU_DEP_1)
	v_div_fmas_f64 v[142:143], v[142:143], v[146:147], v[150:151]
	v_div_fixup_f64 v[148:149], v[142:143], v[140:141], 1.0
	s_delay_alu instid0(VALU_DEP_1)
	v_mul_f64 v[146:147], v[144:145], -v[148:149]
.LBB69_259:
	s_or_b32 exec_lo, exec_lo, s3
	ds_store_2addr_b64 v171, v[148:149], v[146:147] offset1:1
.LBB69_260:
	s_or_b32 exec_lo, exec_lo, s4
	s_waitcnt lgkmcnt(0)
	s_barrier
	buffer_gl0_inv
	ds_load_2addr_b64 v[252:255], v171 offset1:1
	s_mov_b32 s3, exec_lo
	v_cmpx_lt_u32_e32 28, v170
	s_cbranch_execz .LBB69_262
; %bb.261:
	s_waitcnt lgkmcnt(0)
	v_mul_f64 v[140:141], v[252:253], v[26:27]
	v_mul_f64 v[26:27], v[254:255], v[26:27]
	s_delay_alu instid0(VALU_DEP_2) | instskip(SKIP_4) | instid1(VALU_DEP_1)
	v_fma_f64 v[144:145], v[254:255], v[24:25], v[140:141]
	ds_load_2addr_b64 v[140:143], v172 offset0:58 offset1:59
	v_fma_f64 v[24:25], v[252:253], v[24:25], -v[26:27]
	s_waitcnt lgkmcnt(0)
	v_mul_f64 v[26:27], v[142:143], v[144:145]
	v_fma_f64 v[26:27], v[140:141], v[24:25], -v[26:27]
	v_mul_f64 v[140:141], v[140:141], v[144:145]
	s_delay_alu instid0(VALU_DEP_2) | instskip(NEXT) | instid1(VALU_DEP_2)
	v_add_f64 v[20:21], v[20:21], -v[26:27]
	v_fma_f64 v[140:141], v[142:143], v[24:25], v[140:141]
	s_delay_alu instid0(VALU_DEP_1) | instskip(SKIP_3) | instid1(VALU_DEP_1)
	v_add_f64 v[22:23], v[22:23], -v[140:141]
	ds_load_2addr_b64 v[140:143], v172 offset0:60 offset1:61
	s_waitcnt lgkmcnt(0)
	v_mul_f64 v[26:27], v[142:143], v[144:145]
	v_fma_f64 v[26:27], v[140:141], v[24:25], -v[26:27]
	v_mul_f64 v[140:141], v[140:141], v[144:145]
	s_delay_alu instid0(VALU_DEP_2) | instskip(NEXT) | instid1(VALU_DEP_2)
	v_add_f64 v[16:17], v[16:17], -v[26:27]
	v_fma_f64 v[140:141], v[142:143], v[24:25], v[140:141]
	s_delay_alu instid0(VALU_DEP_1) | instskip(SKIP_3) | instid1(VALU_DEP_1)
	v_add_f64 v[18:19], v[18:19], -v[140:141]
	ds_load_2addr_b64 v[140:143], v172 offset0:62 offset1:63
	;; [unrolled: 10-line block ×5, first 2 shown]
	s_waitcnt lgkmcnt(0)
	v_mul_f64 v[26:27], v[142:143], v[144:145]
	v_fma_f64 v[26:27], v[140:141], v[24:25], -v[26:27]
	v_mul_f64 v[140:141], v[140:141], v[144:145]
	s_delay_alu instid0(VALU_DEP_2) | instskip(NEXT) | instid1(VALU_DEP_2)
	v_add_f64 v[0:1], v[0:1], -v[26:27]
	v_fma_f64 v[140:141], v[142:143], v[24:25], v[140:141]
	v_dual_mov_b32 v26, v144 :: v_dual_mov_b32 v27, v145
	s_delay_alu instid0(VALU_DEP_2)
	v_add_f64 v[2:3], v[2:3], -v[140:141]
.LBB69_262:
	s_or_b32 exec_lo, exec_lo, s3
	s_delay_alu instid0(SALU_CYCLE_1)
	s_mov_b32 s4, exec_lo
	s_waitcnt lgkmcnt(0)
	s_barrier
	buffer_gl0_inv
	v_cmpx_eq_u32_e32 29, v170
	s_cbranch_execz .LBB69_269
; %bb.263:
	ds_store_2addr_b64 v171, v[20:21], v[22:23] offset1:1
	ds_store_2addr_b64 v172, v[16:17], v[18:19] offset0:60 offset1:61
	ds_store_2addr_b64 v172, v[12:13], v[14:15] offset0:62 offset1:63
	ds_store_2addr_b64 v172, v[8:9], v[10:11] offset0:64 offset1:65
	ds_store_2addr_b64 v172, v[4:5], v[6:7] offset0:66 offset1:67
	ds_store_2addr_b64 v172, v[0:1], v[2:3] offset0:68 offset1:69
	ds_load_2addr_b64 v[140:143], v171 offset1:1
	s_waitcnt lgkmcnt(0)
	v_cmp_neq_f64_e32 vcc_lo, 0, v[140:141]
	v_cmp_neq_f64_e64 s3, 0, v[142:143]
	s_delay_alu instid0(VALU_DEP_1) | instskip(NEXT) | instid1(SALU_CYCLE_1)
	s_or_b32 s3, vcc_lo, s3
	s_and_b32 exec_lo, exec_lo, s3
	s_cbranch_execz .LBB69_269
; %bb.264:
	v_cmp_gt_f64_e32 vcc_lo, 0, v[140:141]
	v_xor_b32_e32 v144, 0x80000000, v141
	v_xor_b32_e32 v146, 0x80000000, v143
	s_mov_b32 s3, exec_lo
                                        ; implicit-def: $vgpr148_vgpr149
	s_delay_alu instid0(VALU_DEP_2) | instskip(SKIP_4) | instid1(VALU_DEP_1)
	v_cndmask_b32_e32 v145, v141, v144, vcc_lo
	v_cndmask_b32_e32 v144, v140, v140, vcc_lo
	v_cmp_gt_f64_e32 vcc_lo, 0, v[142:143]
	v_cndmask_b32_e32 v147, v143, v146, vcc_lo
	v_cndmask_b32_e32 v146, v142, v142, vcc_lo
	v_cmpx_ngt_f64_e32 v[144:145], v[146:147]
	s_xor_b32 s3, exec_lo, s3
                                        ; implicit-def: $vgpr144_vgpr145_vgpr146_vgpr147
	s_cbranch_execz .LBB69_266
; %bb.265:
	v_div_scale_f64 v[144:145], null, v[142:143], v[142:143], v[140:141]
	v_div_scale_f64 v[150:151], vcc_lo, v[140:141], v[142:143], v[140:141]
	s_delay_alu instid0(VALU_DEP_2) | instskip(SKIP_2) | instid1(VALU_DEP_1)
	v_rcp_f64_e32 v[146:147], v[144:145]
	s_waitcnt_depctr 0xfff
	v_fma_f64 v[148:149], -v[144:145], v[146:147], 1.0
	v_fma_f64 v[146:147], v[146:147], v[148:149], v[146:147]
	s_delay_alu instid0(VALU_DEP_1) | instskip(NEXT) | instid1(VALU_DEP_1)
	v_fma_f64 v[148:149], -v[144:145], v[146:147], 1.0
	v_fma_f64 v[146:147], v[146:147], v[148:149], v[146:147]
	s_delay_alu instid0(VALU_DEP_1) | instskip(NEXT) | instid1(VALU_DEP_1)
	v_mul_f64 v[148:149], v[150:151], v[146:147]
	v_fma_f64 v[144:145], -v[144:145], v[148:149], v[150:151]
	s_delay_alu instid0(VALU_DEP_1) | instskip(NEXT) | instid1(VALU_DEP_1)
	v_div_fmas_f64 v[144:145], v[144:145], v[146:147], v[148:149]
	v_div_fixup_f64 v[144:145], v[144:145], v[142:143], v[140:141]
	s_delay_alu instid0(VALU_DEP_1) | instskip(NEXT) | instid1(VALU_DEP_1)
	v_fma_f64 v[140:141], v[140:141], v[144:145], v[142:143]
	v_div_scale_f64 v[142:143], null, v[140:141], v[140:141], 1.0
	s_delay_alu instid0(VALU_DEP_1) | instskip(SKIP_2) | instid1(VALU_DEP_1)
	v_rcp_f64_e32 v[146:147], v[142:143]
	s_waitcnt_depctr 0xfff
	v_fma_f64 v[148:149], -v[142:143], v[146:147], 1.0
	v_fma_f64 v[146:147], v[146:147], v[148:149], v[146:147]
	s_delay_alu instid0(VALU_DEP_1) | instskip(NEXT) | instid1(VALU_DEP_1)
	v_fma_f64 v[148:149], -v[142:143], v[146:147], 1.0
	v_fma_f64 v[146:147], v[146:147], v[148:149], v[146:147]
	v_div_scale_f64 v[148:149], vcc_lo, 1.0, v[140:141], 1.0
	s_delay_alu instid0(VALU_DEP_1) | instskip(NEXT) | instid1(VALU_DEP_1)
	v_mul_f64 v[150:151], v[148:149], v[146:147]
	v_fma_f64 v[142:143], -v[142:143], v[150:151], v[148:149]
	s_delay_alu instid0(VALU_DEP_1) | instskip(NEXT) | instid1(VALU_DEP_1)
	v_div_fmas_f64 v[142:143], v[142:143], v[146:147], v[150:151]
	v_div_fixup_f64 v[146:147], v[142:143], v[140:141], 1.0
                                        ; implicit-def: $vgpr140_vgpr141
	s_delay_alu instid0(VALU_DEP_1)
	v_mul_f64 v[148:149], v[144:145], v[146:147]
	v_xor_b32_e32 v147, 0x80000000, v147
.LBB69_266:
	s_and_not1_saveexec_b32 s3, s3
	s_cbranch_execz .LBB69_268
; %bb.267:
	v_div_scale_f64 v[144:145], null, v[140:141], v[140:141], v[142:143]
	v_div_scale_f64 v[150:151], vcc_lo, v[142:143], v[140:141], v[142:143]
	s_delay_alu instid0(VALU_DEP_2) | instskip(SKIP_2) | instid1(VALU_DEP_1)
	v_rcp_f64_e32 v[146:147], v[144:145]
	s_waitcnt_depctr 0xfff
	v_fma_f64 v[148:149], -v[144:145], v[146:147], 1.0
	v_fma_f64 v[146:147], v[146:147], v[148:149], v[146:147]
	s_delay_alu instid0(VALU_DEP_1) | instskip(NEXT) | instid1(VALU_DEP_1)
	v_fma_f64 v[148:149], -v[144:145], v[146:147], 1.0
	v_fma_f64 v[146:147], v[146:147], v[148:149], v[146:147]
	s_delay_alu instid0(VALU_DEP_1) | instskip(NEXT) | instid1(VALU_DEP_1)
	v_mul_f64 v[148:149], v[150:151], v[146:147]
	v_fma_f64 v[144:145], -v[144:145], v[148:149], v[150:151]
	s_delay_alu instid0(VALU_DEP_1) | instskip(NEXT) | instid1(VALU_DEP_1)
	v_div_fmas_f64 v[144:145], v[144:145], v[146:147], v[148:149]
	v_div_fixup_f64 v[144:145], v[144:145], v[140:141], v[142:143]
	s_delay_alu instid0(VALU_DEP_1) | instskip(NEXT) | instid1(VALU_DEP_1)
	v_fma_f64 v[140:141], v[142:143], v[144:145], v[140:141]
	v_div_scale_f64 v[142:143], null, v[140:141], v[140:141], 1.0
	s_delay_alu instid0(VALU_DEP_1) | instskip(SKIP_2) | instid1(VALU_DEP_1)
	v_rcp_f64_e32 v[146:147], v[142:143]
	s_waitcnt_depctr 0xfff
	v_fma_f64 v[148:149], -v[142:143], v[146:147], 1.0
	v_fma_f64 v[146:147], v[146:147], v[148:149], v[146:147]
	s_delay_alu instid0(VALU_DEP_1) | instskip(NEXT) | instid1(VALU_DEP_1)
	v_fma_f64 v[148:149], -v[142:143], v[146:147], 1.0
	v_fma_f64 v[146:147], v[146:147], v[148:149], v[146:147]
	v_div_scale_f64 v[148:149], vcc_lo, 1.0, v[140:141], 1.0
	s_delay_alu instid0(VALU_DEP_1) | instskip(NEXT) | instid1(VALU_DEP_1)
	v_mul_f64 v[150:151], v[148:149], v[146:147]
	v_fma_f64 v[142:143], -v[142:143], v[150:151], v[148:149]
	s_delay_alu instid0(VALU_DEP_1) | instskip(NEXT) | instid1(VALU_DEP_1)
	v_div_fmas_f64 v[142:143], v[142:143], v[146:147], v[150:151]
	v_div_fixup_f64 v[148:149], v[142:143], v[140:141], 1.0
	s_delay_alu instid0(VALU_DEP_1)
	v_mul_f64 v[146:147], v[144:145], -v[148:149]
.LBB69_268:
	s_or_b32 exec_lo, exec_lo, s3
	ds_store_2addr_b64 v171, v[148:149], v[146:147] offset1:1
.LBB69_269:
	s_or_b32 exec_lo, exec_lo, s4
	s_waitcnt lgkmcnt(0)
	s_barrier
	buffer_gl0_inv
	ds_load_2addr_b64 v[140:143], v171 offset1:1
	s_mov_b32 s3, exec_lo
	v_cmpx_lt_u32_e32 29, v170
	s_cbranch_execz .LBB69_271
; %bb.270:
	s_waitcnt lgkmcnt(0)
	v_mul_f64 v[144:145], v[140:141], v[22:23]
	v_mul_f64 v[22:23], v[142:143], v[22:23]
	s_delay_alu instid0(VALU_DEP_2) | instskip(SKIP_4) | instid1(VALU_DEP_1)
	v_fma_f64 v[148:149], v[142:143], v[20:21], v[144:145]
	ds_load_2addr_b64 v[144:147], v172 offset0:60 offset1:61
	v_fma_f64 v[20:21], v[140:141], v[20:21], -v[22:23]
	s_waitcnt lgkmcnt(0)
	v_mul_f64 v[22:23], v[146:147], v[148:149]
	v_fma_f64 v[22:23], v[144:145], v[20:21], -v[22:23]
	v_mul_f64 v[144:145], v[144:145], v[148:149]
	s_delay_alu instid0(VALU_DEP_2) | instskip(NEXT) | instid1(VALU_DEP_2)
	v_add_f64 v[16:17], v[16:17], -v[22:23]
	v_fma_f64 v[144:145], v[146:147], v[20:21], v[144:145]
	s_delay_alu instid0(VALU_DEP_1) | instskip(SKIP_3) | instid1(VALU_DEP_1)
	v_add_f64 v[18:19], v[18:19], -v[144:145]
	ds_load_2addr_b64 v[144:147], v172 offset0:62 offset1:63
	s_waitcnt lgkmcnt(0)
	v_mul_f64 v[22:23], v[146:147], v[148:149]
	v_fma_f64 v[22:23], v[144:145], v[20:21], -v[22:23]
	v_mul_f64 v[144:145], v[144:145], v[148:149]
	s_delay_alu instid0(VALU_DEP_2) | instskip(NEXT) | instid1(VALU_DEP_2)
	v_add_f64 v[12:13], v[12:13], -v[22:23]
	v_fma_f64 v[144:145], v[146:147], v[20:21], v[144:145]
	s_delay_alu instid0(VALU_DEP_1) | instskip(SKIP_3) | instid1(VALU_DEP_1)
	v_add_f64 v[14:15], v[14:15], -v[144:145]
	ds_load_2addr_b64 v[144:147], v172 offset0:64 offset1:65
	;; [unrolled: 10-line block ×4, first 2 shown]
	s_waitcnt lgkmcnt(0)
	v_mul_f64 v[22:23], v[146:147], v[148:149]
	v_fma_f64 v[22:23], v[144:145], v[20:21], -v[22:23]
	v_mul_f64 v[144:145], v[144:145], v[148:149]
	s_delay_alu instid0(VALU_DEP_2) | instskip(NEXT) | instid1(VALU_DEP_2)
	v_add_f64 v[0:1], v[0:1], -v[22:23]
	v_fma_f64 v[144:145], v[146:147], v[20:21], v[144:145]
	v_dual_mov_b32 v22, v148 :: v_dual_mov_b32 v23, v149
	s_delay_alu instid0(VALU_DEP_2)
	v_add_f64 v[2:3], v[2:3], -v[144:145]
.LBB69_271:
	s_or_b32 exec_lo, exec_lo, s3
	s_delay_alu instid0(SALU_CYCLE_1)
	s_mov_b32 s4, exec_lo
	s_waitcnt lgkmcnt(0)
	s_barrier
	buffer_gl0_inv
	v_cmpx_eq_u32_e32 30, v170
	s_cbranch_execz .LBB69_278
; %bb.272:
	ds_store_2addr_b64 v171, v[16:17], v[18:19] offset1:1
	ds_store_2addr_b64 v172, v[12:13], v[14:15] offset0:62 offset1:63
	ds_store_2addr_b64 v172, v[8:9], v[10:11] offset0:64 offset1:65
	;; [unrolled: 1-line block ×4, first 2 shown]
	ds_load_2addr_b64 v[144:147], v171 offset1:1
	s_waitcnt lgkmcnt(0)
	v_cmp_neq_f64_e32 vcc_lo, 0, v[144:145]
	v_cmp_neq_f64_e64 s3, 0, v[146:147]
	s_delay_alu instid0(VALU_DEP_1) | instskip(NEXT) | instid1(SALU_CYCLE_1)
	s_or_b32 s3, vcc_lo, s3
	s_and_b32 exec_lo, exec_lo, s3
	s_cbranch_execz .LBB69_278
; %bb.273:
	v_cmp_gt_f64_e32 vcc_lo, 0, v[144:145]
	v_xor_b32_e32 v148, 0x80000000, v145
	v_xor_b32_e32 v150, 0x80000000, v147
	s_mov_b32 s3, exec_lo
                                        ; implicit-def: $vgpr152_vgpr153
	s_delay_alu instid0(VALU_DEP_2) | instskip(SKIP_4) | instid1(VALU_DEP_1)
	v_cndmask_b32_e32 v149, v145, v148, vcc_lo
	v_cndmask_b32_e32 v148, v144, v144, vcc_lo
	v_cmp_gt_f64_e32 vcc_lo, 0, v[146:147]
	v_cndmask_b32_e32 v151, v147, v150, vcc_lo
	v_cndmask_b32_e32 v150, v146, v146, vcc_lo
	v_cmpx_ngt_f64_e32 v[148:149], v[150:151]
	s_xor_b32 s3, exec_lo, s3
                                        ; implicit-def: $vgpr148_vgpr149_vgpr150_vgpr151
	s_cbranch_execz .LBB69_275
; %bb.274:
	v_div_scale_f64 v[148:149], null, v[146:147], v[146:147], v[144:145]
	v_div_scale_f64 v[154:155], vcc_lo, v[144:145], v[146:147], v[144:145]
	s_delay_alu instid0(VALU_DEP_2) | instskip(SKIP_2) | instid1(VALU_DEP_1)
	v_rcp_f64_e32 v[150:151], v[148:149]
	s_waitcnt_depctr 0xfff
	v_fma_f64 v[152:153], -v[148:149], v[150:151], 1.0
	v_fma_f64 v[150:151], v[150:151], v[152:153], v[150:151]
	s_delay_alu instid0(VALU_DEP_1) | instskip(NEXT) | instid1(VALU_DEP_1)
	v_fma_f64 v[152:153], -v[148:149], v[150:151], 1.0
	v_fma_f64 v[150:151], v[150:151], v[152:153], v[150:151]
	s_delay_alu instid0(VALU_DEP_1) | instskip(NEXT) | instid1(VALU_DEP_1)
	v_mul_f64 v[152:153], v[154:155], v[150:151]
	v_fma_f64 v[148:149], -v[148:149], v[152:153], v[154:155]
	s_delay_alu instid0(VALU_DEP_1) | instskip(NEXT) | instid1(VALU_DEP_1)
	v_div_fmas_f64 v[148:149], v[148:149], v[150:151], v[152:153]
	v_div_fixup_f64 v[148:149], v[148:149], v[146:147], v[144:145]
	s_delay_alu instid0(VALU_DEP_1) | instskip(NEXT) | instid1(VALU_DEP_1)
	v_fma_f64 v[144:145], v[144:145], v[148:149], v[146:147]
	v_div_scale_f64 v[146:147], null, v[144:145], v[144:145], 1.0
	s_delay_alu instid0(VALU_DEP_1) | instskip(SKIP_2) | instid1(VALU_DEP_1)
	v_rcp_f64_e32 v[150:151], v[146:147]
	s_waitcnt_depctr 0xfff
	v_fma_f64 v[152:153], -v[146:147], v[150:151], 1.0
	v_fma_f64 v[150:151], v[150:151], v[152:153], v[150:151]
	s_delay_alu instid0(VALU_DEP_1) | instskip(NEXT) | instid1(VALU_DEP_1)
	v_fma_f64 v[152:153], -v[146:147], v[150:151], 1.0
	v_fma_f64 v[150:151], v[150:151], v[152:153], v[150:151]
	v_div_scale_f64 v[152:153], vcc_lo, 1.0, v[144:145], 1.0
	s_delay_alu instid0(VALU_DEP_1) | instskip(NEXT) | instid1(VALU_DEP_1)
	v_mul_f64 v[154:155], v[152:153], v[150:151]
	v_fma_f64 v[146:147], -v[146:147], v[154:155], v[152:153]
	s_delay_alu instid0(VALU_DEP_1) | instskip(NEXT) | instid1(VALU_DEP_1)
	v_div_fmas_f64 v[146:147], v[146:147], v[150:151], v[154:155]
	v_div_fixup_f64 v[150:151], v[146:147], v[144:145], 1.0
                                        ; implicit-def: $vgpr144_vgpr145
	s_delay_alu instid0(VALU_DEP_1)
	v_mul_f64 v[152:153], v[148:149], v[150:151]
	v_xor_b32_e32 v151, 0x80000000, v151
.LBB69_275:
	s_and_not1_saveexec_b32 s3, s3
	s_cbranch_execz .LBB69_277
; %bb.276:
	v_div_scale_f64 v[148:149], null, v[144:145], v[144:145], v[146:147]
	v_div_scale_f64 v[154:155], vcc_lo, v[146:147], v[144:145], v[146:147]
	s_delay_alu instid0(VALU_DEP_2) | instskip(SKIP_2) | instid1(VALU_DEP_1)
	v_rcp_f64_e32 v[150:151], v[148:149]
	s_waitcnt_depctr 0xfff
	v_fma_f64 v[152:153], -v[148:149], v[150:151], 1.0
	v_fma_f64 v[150:151], v[150:151], v[152:153], v[150:151]
	s_delay_alu instid0(VALU_DEP_1) | instskip(NEXT) | instid1(VALU_DEP_1)
	v_fma_f64 v[152:153], -v[148:149], v[150:151], 1.0
	v_fma_f64 v[150:151], v[150:151], v[152:153], v[150:151]
	s_delay_alu instid0(VALU_DEP_1) | instskip(NEXT) | instid1(VALU_DEP_1)
	v_mul_f64 v[152:153], v[154:155], v[150:151]
	v_fma_f64 v[148:149], -v[148:149], v[152:153], v[154:155]
	s_delay_alu instid0(VALU_DEP_1) | instskip(NEXT) | instid1(VALU_DEP_1)
	v_div_fmas_f64 v[148:149], v[148:149], v[150:151], v[152:153]
	v_div_fixup_f64 v[148:149], v[148:149], v[144:145], v[146:147]
	s_delay_alu instid0(VALU_DEP_1) | instskip(NEXT) | instid1(VALU_DEP_1)
	v_fma_f64 v[144:145], v[146:147], v[148:149], v[144:145]
	v_div_scale_f64 v[146:147], null, v[144:145], v[144:145], 1.0
	s_delay_alu instid0(VALU_DEP_1) | instskip(SKIP_2) | instid1(VALU_DEP_1)
	v_rcp_f64_e32 v[150:151], v[146:147]
	s_waitcnt_depctr 0xfff
	v_fma_f64 v[152:153], -v[146:147], v[150:151], 1.0
	v_fma_f64 v[150:151], v[150:151], v[152:153], v[150:151]
	s_delay_alu instid0(VALU_DEP_1) | instskip(NEXT) | instid1(VALU_DEP_1)
	v_fma_f64 v[152:153], -v[146:147], v[150:151], 1.0
	v_fma_f64 v[150:151], v[150:151], v[152:153], v[150:151]
	v_div_scale_f64 v[152:153], vcc_lo, 1.0, v[144:145], 1.0
	s_delay_alu instid0(VALU_DEP_1) | instskip(NEXT) | instid1(VALU_DEP_1)
	v_mul_f64 v[154:155], v[152:153], v[150:151]
	v_fma_f64 v[146:147], -v[146:147], v[154:155], v[152:153]
	s_delay_alu instid0(VALU_DEP_1) | instskip(NEXT) | instid1(VALU_DEP_1)
	v_div_fmas_f64 v[146:147], v[146:147], v[150:151], v[154:155]
	v_div_fixup_f64 v[152:153], v[146:147], v[144:145], 1.0
	s_delay_alu instid0(VALU_DEP_1)
	v_mul_f64 v[150:151], v[148:149], -v[152:153]
.LBB69_277:
	s_or_b32 exec_lo, exec_lo, s3
	ds_store_2addr_b64 v171, v[152:153], v[150:151] offset1:1
.LBB69_278:
	s_or_b32 exec_lo, exec_lo, s4
	s_waitcnt lgkmcnt(0)
	s_barrier
	buffer_gl0_inv
	ds_load_2addr_b64 v[144:147], v171 offset1:1
	s_mov_b32 s3, exec_lo
	v_cmpx_lt_u32_e32 30, v170
	s_cbranch_execz .LBB69_280
; %bb.279:
	s_waitcnt lgkmcnt(0)
	v_mul_f64 v[148:149], v[144:145], v[18:19]
	v_mul_f64 v[18:19], v[146:147], v[18:19]
	s_delay_alu instid0(VALU_DEP_2) | instskip(SKIP_4) | instid1(VALU_DEP_1)
	v_fma_f64 v[152:153], v[146:147], v[16:17], v[148:149]
	ds_load_2addr_b64 v[148:151], v172 offset0:62 offset1:63
	v_fma_f64 v[16:17], v[144:145], v[16:17], -v[18:19]
	s_waitcnt lgkmcnt(0)
	v_mul_f64 v[18:19], v[150:151], v[152:153]
	v_fma_f64 v[18:19], v[148:149], v[16:17], -v[18:19]
	v_mul_f64 v[148:149], v[148:149], v[152:153]
	s_delay_alu instid0(VALU_DEP_2) | instskip(NEXT) | instid1(VALU_DEP_2)
	v_add_f64 v[12:13], v[12:13], -v[18:19]
	v_fma_f64 v[148:149], v[150:151], v[16:17], v[148:149]
	s_delay_alu instid0(VALU_DEP_1) | instskip(SKIP_3) | instid1(VALU_DEP_1)
	v_add_f64 v[14:15], v[14:15], -v[148:149]
	ds_load_2addr_b64 v[148:151], v172 offset0:64 offset1:65
	s_waitcnt lgkmcnt(0)
	v_mul_f64 v[18:19], v[150:151], v[152:153]
	v_fma_f64 v[18:19], v[148:149], v[16:17], -v[18:19]
	v_mul_f64 v[148:149], v[148:149], v[152:153]
	s_delay_alu instid0(VALU_DEP_2) | instskip(NEXT) | instid1(VALU_DEP_2)
	v_add_f64 v[8:9], v[8:9], -v[18:19]
	v_fma_f64 v[148:149], v[150:151], v[16:17], v[148:149]
	s_delay_alu instid0(VALU_DEP_1) | instskip(SKIP_3) | instid1(VALU_DEP_1)
	v_add_f64 v[10:11], v[10:11], -v[148:149]
	ds_load_2addr_b64 v[148:151], v172 offset0:66 offset1:67
	;; [unrolled: 10-line block ×3, first 2 shown]
	s_waitcnt lgkmcnt(0)
	v_mul_f64 v[18:19], v[150:151], v[152:153]
	v_fma_f64 v[18:19], v[148:149], v[16:17], -v[18:19]
	v_mul_f64 v[148:149], v[148:149], v[152:153]
	s_delay_alu instid0(VALU_DEP_2) | instskip(NEXT) | instid1(VALU_DEP_2)
	v_add_f64 v[0:1], v[0:1], -v[18:19]
	v_fma_f64 v[148:149], v[150:151], v[16:17], v[148:149]
	v_dual_mov_b32 v18, v152 :: v_dual_mov_b32 v19, v153
	s_delay_alu instid0(VALU_DEP_2)
	v_add_f64 v[2:3], v[2:3], -v[148:149]
.LBB69_280:
	s_or_b32 exec_lo, exec_lo, s3
	s_delay_alu instid0(SALU_CYCLE_1)
	s_mov_b32 s4, exec_lo
	s_waitcnt lgkmcnt(0)
	s_barrier
	buffer_gl0_inv
	v_cmpx_eq_u32_e32 31, v170
	s_cbranch_execz .LBB69_287
; %bb.281:
	ds_store_2addr_b64 v171, v[12:13], v[14:15] offset1:1
	ds_store_2addr_b64 v172, v[8:9], v[10:11] offset0:64 offset1:65
	ds_store_2addr_b64 v172, v[4:5], v[6:7] offset0:66 offset1:67
	;; [unrolled: 1-line block ×3, first 2 shown]
	ds_load_2addr_b64 v[148:151], v171 offset1:1
	s_waitcnt lgkmcnt(0)
	v_cmp_neq_f64_e32 vcc_lo, 0, v[148:149]
	v_cmp_neq_f64_e64 s3, 0, v[150:151]
	s_delay_alu instid0(VALU_DEP_1) | instskip(NEXT) | instid1(SALU_CYCLE_1)
	s_or_b32 s3, vcc_lo, s3
	s_and_b32 exec_lo, exec_lo, s3
	s_cbranch_execz .LBB69_287
; %bb.282:
	v_cmp_gt_f64_e32 vcc_lo, 0, v[148:149]
	v_xor_b32_e32 v152, 0x80000000, v149
	v_xor_b32_e32 v154, 0x80000000, v151
	s_mov_b32 s3, exec_lo
                                        ; implicit-def: $vgpr156_vgpr157
	s_delay_alu instid0(VALU_DEP_2) | instskip(SKIP_4) | instid1(VALU_DEP_1)
	v_cndmask_b32_e32 v153, v149, v152, vcc_lo
	v_cndmask_b32_e32 v152, v148, v148, vcc_lo
	v_cmp_gt_f64_e32 vcc_lo, 0, v[150:151]
	v_cndmask_b32_e32 v155, v151, v154, vcc_lo
	v_cndmask_b32_e32 v154, v150, v150, vcc_lo
	v_cmpx_ngt_f64_e32 v[152:153], v[154:155]
	s_xor_b32 s3, exec_lo, s3
                                        ; implicit-def: $vgpr152_vgpr153_vgpr154_vgpr155
	s_cbranch_execz .LBB69_284
; %bb.283:
	v_div_scale_f64 v[152:153], null, v[150:151], v[150:151], v[148:149]
	v_div_scale_f64 v[158:159], vcc_lo, v[148:149], v[150:151], v[148:149]
	s_delay_alu instid0(VALU_DEP_2) | instskip(SKIP_2) | instid1(VALU_DEP_1)
	v_rcp_f64_e32 v[154:155], v[152:153]
	s_waitcnt_depctr 0xfff
	v_fma_f64 v[156:157], -v[152:153], v[154:155], 1.0
	v_fma_f64 v[154:155], v[154:155], v[156:157], v[154:155]
	s_delay_alu instid0(VALU_DEP_1) | instskip(NEXT) | instid1(VALU_DEP_1)
	v_fma_f64 v[156:157], -v[152:153], v[154:155], 1.0
	v_fma_f64 v[154:155], v[154:155], v[156:157], v[154:155]
	s_delay_alu instid0(VALU_DEP_1) | instskip(NEXT) | instid1(VALU_DEP_1)
	v_mul_f64 v[156:157], v[158:159], v[154:155]
	v_fma_f64 v[152:153], -v[152:153], v[156:157], v[158:159]
	s_delay_alu instid0(VALU_DEP_1) | instskip(NEXT) | instid1(VALU_DEP_1)
	v_div_fmas_f64 v[152:153], v[152:153], v[154:155], v[156:157]
	v_div_fixup_f64 v[152:153], v[152:153], v[150:151], v[148:149]
	s_delay_alu instid0(VALU_DEP_1) | instskip(NEXT) | instid1(VALU_DEP_1)
	v_fma_f64 v[148:149], v[148:149], v[152:153], v[150:151]
	v_div_scale_f64 v[150:151], null, v[148:149], v[148:149], 1.0
	s_delay_alu instid0(VALU_DEP_1) | instskip(SKIP_2) | instid1(VALU_DEP_1)
	v_rcp_f64_e32 v[154:155], v[150:151]
	s_waitcnt_depctr 0xfff
	v_fma_f64 v[156:157], -v[150:151], v[154:155], 1.0
	v_fma_f64 v[154:155], v[154:155], v[156:157], v[154:155]
	s_delay_alu instid0(VALU_DEP_1) | instskip(NEXT) | instid1(VALU_DEP_1)
	v_fma_f64 v[156:157], -v[150:151], v[154:155], 1.0
	v_fma_f64 v[154:155], v[154:155], v[156:157], v[154:155]
	v_div_scale_f64 v[156:157], vcc_lo, 1.0, v[148:149], 1.0
	s_delay_alu instid0(VALU_DEP_1) | instskip(NEXT) | instid1(VALU_DEP_1)
	v_mul_f64 v[158:159], v[156:157], v[154:155]
	v_fma_f64 v[150:151], -v[150:151], v[158:159], v[156:157]
	s_delay_alu instid0(VALU_DEP_1) | instskip(NEXT) | instid1(VALU_DEP_1)
	v_div_fmas_f64 v[150:151], v[150:151], v[154:155], v[158:159]
	v_div_fixup_f64 v[154:155], v[150:151], v[148:149], 1.0
                                        ; implicit-def: $vgpr148_vgpr149
	s_delay_alu instid0(VALU_DEP_1)
	v_mul_f64 v[156:157], v[152:153], v[154:155]
	v_xor_b32_e32 v155, 0x80000000, v155
.LBB69_284:
	s_and_not1_saveexec_b32 s3, s3
	s_cbranch_execz .LBB69_286
; %bb.285:
	v_div_scale_f64 v[152:153], null, v[148:149], v[148:149], v[150:151]
	v_div_scale_f64 v[158:159], vcc_lo, v[150:151], v[148:149], v[150:151]
	s_delay_alu instid0(VALU_DEP_2) | instskip(SKIP_2) | instid1(VALU_DEP_1)
	v_rcp_f64_e32 v[154:155], v[152:153]
	s_waitcnt_depctr 0xfff
	v_fma_f64 v[156:157], -v[152:153], v[154:155], 1.0
	v_fma_f64 v[154:155], v[154:155], v[156:157], v[154:155]
	s_delay_alu instid0(VALU_DEP_1) | instskip(NEXT) | instid1(VALU_DEP_1)
	v_fma_f64 v[156:157], -v[152:153], v[154:155], 1.0
	v_fma_f64 v[154:155], v[154:155], v[156:157], v[154:155]
	s_delay_alu instid0(VALU_DEP_1) | instskip(NEXT) | instid1(VALU_DEP_1)
	v_mul_f64 v[156:157], v[158:159], v[154:155]
	v_fma_f64 v[152:153], -v[152:153], v[156:157], v[158:159]
	s_delay_alu instid0(VALU_DEP_1) | instskip(NEXT) | instid1(VALU_DEP_1)
	v_div_fmas_f64 v[152:153], v[152:153], v[154:155], v[156:157]
	v_div_fixup_f64 v[152:153], v[152:153], v[148:149], v[150:151]
	s_delay_alu instid0(VALU_DEP_1) | instskip(NEXT) | instid1(VALU_DEP_1)
	v_fma_f64 v[148:149], v[150:151], v[152:153], v[148:149]
	v_div_scale_f64 v[150:151], null, v[148:149], v[148:149], 1.0
	s_delay_alu instid0(VALU_DEP_1) | instskip(SKIP_2) | instid1(VALU_DEP_1)
	v_rcp_f64_e32 v[154:155], v[150:151]
	s_waitcnt_depctr 0xfff
	v_fma_f64 v[156:157], -v[150:151], v[154:155], 1.0
	v_fma_f64 v[154:155], v[154:155], v[156:157], v[154:155]
	s_delay_alu instid0(VALU_DEP_1) | instskip(NEXT) | instid1(VALU_DEP_1)
	v_fma_f64 v[156:157], -v[150:151], v[154:155], 1.0
	v_fma_f64 v[154:155], v[154:155], v[156:157], v[154:155]
	v_div_scale_f64 v[156:157], vcc_lo, 1.0, v[148:149], 1.0
	s_delay_alu instid0(VALU_DEP_1) | instskip(NEXT) | instid1(VALU_DEP_1)
	v_mul_f64 v[158:159], v[156:157], v[154:155]
	v_fma_f64 v[150:151], -v[150:151], v[158:159], v[156:157]
	s_delay_alu instid0(VALU_DEP_1) | instskip(NEXT) | instid1(VALU_DEP_1)
	v_div_fmas_f64 v[150:151], v[150:151], v[154:155], v[158:159]
	v_div_fixup_f64 v[156:157], v[150:151], v[148:149], 1.0
	s_delay_alu instid0(VALU_DEP_1)
	v_mul_f64 v[154:155], v[152:153], -v[156:157]
.LBB69_286:
	s_or_b32 exec_lo, exec_lo, s3
	ds_store_2addr_b64 v171, v[156:157], v[154:155] offset1:1
.LBB69_287:
	s_or_b32 exec_lo, exec_lo, s4
	s_waitcnt lgkmcnt(0)
	s_barrier
	buffer_gl0_inv
	ds_load_2addr_b64 v[148:151], v171 offset1:1
	s_mov_b32 s3, exec_lo
	v_cmpx_lt_u32_e32 31, v170
	s_cbranch_execz .LBB69_289
; %bb.288:
	s_waitcnt lgkmcnt(0)
	v_mul_f64 v[152:153], v[148:149], v[14:15]
	v_mul_f64 v[14:15], v[150:151], v[14:15]
	s_delay_alu instid0(VALU_DEP_2) | instskip(SKIP_4) | instid1(VALU_DEP_1)
	v_fma_f64 v[156:157], v[150:151], v[12:13], v[152:153]
	ds_load_2addr_b64 v[152:155], v172 offset0:64 offset1:65
	v_fma_f64 v[12:13], v[148:149], v[12:13], -v[14:15]
	s_waitcnt lgkmcnt(0)
	v_mul_f64 v[14:15], v[154:155], v[156:157]
	v_fma_f64 v[14:15], v[152:153], v[12:13], -v[14:15]
	v_mul_f64 v[152:153], v[152:153], v[156:157]
	s_delay_alu instid0(VALU_DEP_2) | instskip(NEXT) | instid1(VALU_DEP_2)
	v_add_f64 v[8:9], v[8:9], -v[14:15]
	v_fma_f64 v[152:153], v[154:155], v[12:13], v[152:153]
	s_delay_alu instid0(VALU_DEP_1) | instskip(SKIP_3) | instid1(VALU_DEP_1)
	v_add_f64 v[10:11], v[10:11], -v[152:153]
	ds_load_2addr_b64 v[152:155], v172 offset0:66 offset1:67
	s_waitcnt lgkmcnt(0)
	v_mul_f64 v[14:15], v[154:155], v[156:157]
	v_fma_f64 v[14:15], v[152:153], v[12:13], -v[14:15]
	v_mul_f64 v[152:153], v[152:153], v[156:157]
	s_delay_alu instid0(VALU_DEP_2) | instskip(NEXT) | instid1(VALU_DEP_2)
	v_add_f64 v[4:5], v[4:5], -v[14:15]
	v_fma_f64 v[152:153], v[154:155], v[12:13], v[152:153]
	s_delay_alu instid0(VALU_DEP_1) | instskip(SKIP_3) | instid1(VALU_DEP_1)
	v_add_f64 v[6:7], v[6:7], -v[152:153]
	ds_load_2addr_b64 v[152:155], v172 offset0:68 offset1:69
	s_waitcnt lgkmcnt(0)
	v_mul_f64 v[14:15], v[154:155], v[156:157]
	v_fma_f64 v[14:15], v[152:153], v[12:13], -v[14:15]
	v_mul_f64 v[152:153], v[152:153], v[156:157]
	s_delay_alu instid0(VALU_DEP_2) | instskip(NEXT) | instid1(VALU_DEP_2)
	v_add_f64 v[0:1], v[0:1], -v[14:15]
	v_fma_f64 v[152:153], v[154:155], v[12:13], v[152:153]
	v_dual_mov_b32 v14, v156 :: v_dual_mov_b32 v15, v157
	s_delay_alu instid0(VALU_DEP_2)
	v_add_f64 v[2:3], v[2:3], -v[152:153]
.LBB69_289:
	s_or_b32 exec_lo, exec_lo, s3
	s_delay_alu instid0(SALU_CYCLE_1)
	s_mov_b32 s4, exec_lo
	s_waitcnt lgkmcnt(0)
	s_barrier
	buffer_gl0_inv
	v_cmpx_eq_u32_e32 32, v170
	s_cbranch_execz .LBB69_296
; %bb.290:
	ds_store_2addr_b64 v171, v[8:9], v[10:11] offset1:1
	ds_store_2addr_b64 v172, v[4:5], v[6:7] offset0:66 offset1:67
	ds_store_2addr_b64 v172, v[0:1], v[2:3] offset0:68 offset1:69
	ds_load_2addr_b64 v[152:155], v171 offset1:1
	s_waitcnt lgkmcnt(0)
	v_cmp_neq_f64_e32 vcc_lo, 0, v[152:153]
	v_cmp_neq_f64_e64 s3, 0, v[154:155]
	s_delay_alu instid0(VALU_DEP_1) | instskip(NEXT) | instid1(SALU_CYCLE_1)
	s_or_b32 s3, vcc_lo, s3
	s_and_b32 exec_lo, exec_lo, s3
	s_cbranch_execz .LBB69_296
; %bb.291:
	v_cmp_gt_f64_e32 vcc_lo, 0, v[152:153]
	v_xor_b32_e32 v156, 0x80000000, v153
	v_xor_b32_e32 v158, 0x80000000, v155
	s_mov_b32 s3, exec_lo
                                        ; implicit-def: $vgpr160_vgpr161
	s_delay_alu instid0(VALU_DEP_2) | instskip(SKIP_4) | instid1(VALU_DEP_1)
	v_cndmask_b32_e32 v157, v153, v156, vcc_lo
	v_cndmask_b32_e32 v156, v152, v152, vcc_lo
	v_cmp_gt_f64_e32 vcc_lo, 0, v[154:155]
	v_cndmask_b32_e32 v159, v155, v158, vcc_lo
	v_cndmask_b32_e32 v158, v154, v154, vcc_lo
	v_cmpx_ngt_f64_e32 v[156:157], v[158:159]
	s_xor_b32 s3, exec_lo, s3
                                        ; implicit-def: $vgpr156_vgpr157_vgpr158_vgpr159
	s_cbranch_execz .LBB69_293
; %bb.292:
	v_div_scale_f64 v[156:157], null, v[154:155], v[154:155], v[152:153]
	v_div_scale_f64 v[162:163], vcc_lo, v[152:153], v[154:155], v[152:153]
	s_delay_alu instid0(VALU_DEP_2) | instskip(SKIP_2) | instid1(VALU_DEP_1)
	v_rcp_f64_e32 v[158:159], v[156:157]
	s_waitcnt_depctr 0xfff
	v_fma_f64 v[160:161], -v[156:157], v[158:159], 1.0
	v_fma_f64 v[158:159], v[158:159], v[160:161], v[158:159]
	s_delay_alu instid0(VALU_DEP_1) | instskip(NEXT) | instid1(VALU_DEP_1)
	v_fma_f64 v[160:161], -v[156:157], v[158:159], 1.0
	v_fma_f64 v[158:159], v[158:159], v[160:161], v[158:159]
	s_delay_alu instid0(VALU_DEP_1) | instskip(NEXT) | instid1(VALU_DEP_1)
	v_mul_f64 v[160:161], v[162:163], v[158:159]
	v_fma_f64 v[156:157], -v[156:157], v[160:161], v[162:163]
	s_delay_alu instid0(VALU_DEP_1) | instskip(NEXT) | instid1(VALU_DEP_1)
	v_div_fmas_f64 v[156:157], v[156:157], v[158:159], v[160:161]
	v_div_fixup_f64 v[156:157], v[156:157], v[154:155], v[152:153]
	s_delay_alu instid0(VALU_DEP_1) | instskip(NEXT) | instid1(VALU_DEP_1)
	v_fma_f64 v[152:153], v[152:153], v[156:157], v[154:155]
	v_div_scale_f64 v[154:155], null, v[152:153], v[152:153], 1.0
	s_delay_alu instid0(VALU_DEP_1) | instskip(SKIP_2) | instid1(VALU_DEP_1)
	v_rcp_f64_e32 v[158:159], v[154:155]
	s_waitcnt_depctr 0xfff
	v_fma_f64 v[160:161], -v[154:155], v[158:159], 1.0
	v_fma_f64 v[158:159], v[158:159], v[160:161], v[158:159]
	s_delay_alu instid0(VALU_DEP_1) | instskip(NEXT) | instid1(VALU_DEP_1)
	v_fma_f64 v[160:161], -v[154:155], v[158:159], 1.0
	v_fma_f64 v[158:159], v[158:159], v[160:161], v[158:159]
	v_div_scale_f64 v[160:161], vcc_lo, 1.0, v[152:153], 1.0
	s_delay_alu instid0(VALU_DEP_1) | instskip(NEXT) | instid1(VALU_DEP_1)
	v_mul_f64 v[162:163], v[160:161], v[158:159]
	v_fma_f64 v[154:155], -v[154:155], v[162:163], v[160:161]
	s_delay_alu instid0(VALU_DEP_1) | instskip(NEXT) | instid1(VALU_DEP_1)
	v_div_fmas_f64 v[154:155], v[154:155], v[158:159], v[162:163]
	v_div_fixup_f64 v[158:159], v[154:155], v[152:153], 1.0
                                        ; implicit-def: $vgpr152_vgpr153
	s_delay_alu instid0(VALU_DEP_1)
	v_mul_f64 v[160:161], v[156:157], v[158:159]
	v_xor_b32_e32 v159, 0x80000000, v159
.LBB69_293:
	s_and_not1_saveexec_b32 s3, s3
	s_cbranch_execz .LBB69_295
; %bb.294:
	v_div_scale_f64 v[156:157], null, v[152:153], v[152:153], v[154:155]
	v_div_scale_f64 v[162:163], vcc_lo, v[154:155], v[152:153], v[154:155]
	s_delay_alu instid0(VALU_DEP_2) | instskip(SKIP_2) | instid1(VALU_DEP_1)
	v_rcp_f64_e32 v[158:159], v[156:157]
	s_waitcnt_depctr 0xfff
	v_fma_f64 v[160:161], -v[156:157], v[158:159], 1.0
	v_fma_f64 v[158:159], v[158:159], v[160:161], v[158:159]
	s_delay_alu instid0(VALU_DEP_1) | instskip(NEXT) | instid1(VALU_DEP_1)
	v_fma_f64 v[160:161], -v[156:157], v[158:159], 1.0
	v_fma_f64 v[158:159], v[158:159], v[160:161], v[158:159]
	s_delay_alu instid0(VALU_DEP_1) | instskip(NEXT) | instid1(VALU_DEP_1)
	v_mul_f64 v[160:161], v[162:163], v[158:159]
	v_fma_f64 v[156:157], -v[156:157], v[160:161], v[162:163]
	s_delay_alu instid0(VALU_DEP_1) | instskip(NEXT) | instid1(VALU_DEP_1)
	v_div_fmas_f64 v[156:157], v[156:157], v[158:159], v[160:161]
	v_div_fixup_f64 v[156:157], v[156:157], v[152:153], v[154:155]
	s_delay_alu instid0(VALU_DEP_1) | instskip(NEXT) | instid1(VALU_DEP_1)
	v_fma_f64 v[152:153], v[154:155], v[156:157], v[152:153]
	v_div_scale_f64 v[154:155], null, v[152:153], v[152:153], 1.0
	s_delay_alu instid0(VALU_DEP_1) | instskip(SKIP_2) | instid1(VALU_DEP_1)
	v_rcp_f64_e32 v[158:159], v[154:155]
	s_waitcnt_depctr 0xfff
	v_fma_f64 v[160:161], -v[154:155], v[158:159], 1.0
	v_fma_f64 v[158:159], v[158:159], v[160:161], v[158:159]
	s_delay_alu instid0(VALU_DEP_1) | instskip(NEXT) | instid1(VALU_DEP_1)
	v_fma_f64 v[160:161], -v[154:155], v[158:159], 1.0
	v_fma_f64 v[158:159], v[158:159], v[160:161], v[158:159]
	v_div_scale_f64 v[160:161], vcc_lo, 1.0, v[152:153], 1.0
	s_delay_alu instid0(VALU_DEP_1) | instskip(NEXT) | instid1(VALU_DEP_1)
	v_mul_f64 v[162:163], v[160:161], v[158:159]
	v_fma_f64 v[154:155], -v[154:155], v[162:163], v[160:161]
	s_delay_alu instid0(VALU_DEP_1) | instskip(NEXT) | instid1(VALU_DEP_1)
	v_div_fmas_f64 v[154:155], v[154:155], v[158:159], v[162:163]
	v_div_fixup_f64 v[160:161], v[154:155], v[152:153], 1.0
	s_delay_alu instid0(VALU_DEP_1)
	v_mul_f64 v[158:159], v[156:157], -v[160:161]
.LBB69_295:
	s_or_b32 exec_lo, exec_lo, s3
	ds_store_2addr_b64 v171, v[160:161], v[158:159] offset1:1
.LBB69_296:
	s_or_b32 exec_lo, exec_lo, s4
	s_waitcnt lgkmcnt(0)
	s_barrier
	buffer_gl0_inv
	ds_load_2addr_b64 v[152:155], v171 offset1:1
	s_mov_b32 s3, exec_lo
	v_cmpx_lt_u32_e32 32, v170
	s_cbranch_execz .LBB69_298
; %bb.297:
	s_waitcnt lgkmcnt(0)
	v_mul_f64 v[156:157], v[152:153], v[10:11]
	v_mul_f64 v[10:11], v[154:155], v[10:11]
	s_delay_alu instid0(VALU_DEP_2) | instskip(SKIP_4) | instid1(VALU_DEP_1)
	v_fma_f64 v[160:161], v[154:155], v[8:9], v[156:157]
	ds_load_2addr_b64 v[156:159], v172 offset0:66 offset1:67
	v_fma_f64 v[8:9], v[152:153], v[8:9], -v[10:11]
	s_waitcnt lgkmcnt(0)
	v_mul_f64 v[10:11], v[158:159], v[160:161]
	v_fma_f64 v[10:11], v[156:157], v[8:9], -v[10:11]
	v_mul_f64 v[156:157], v[156:157], v[160:161]
	s_delay_alu instid0(VALU_DEP_2) | instskip(NEXT) | instid1(VALU_DEP_2)
	v_add_f64 v[4:5], v[4:5], -v[10:11]
	v_fma_f64 v[156:157], v[158:159], v[8:9], v[156:157]
	s_delay_alu instid0(VALU_DEP_1) | instskip(SKIP_3) | instid1(VALU_DEP_1)
	v_add_f64 v[6:7], v[6:7], -v[156:157]
	ds_load_2addr_b64 v[156:159], v172 offset0:68 offset1:69
	s_waitcnt lgkmcnt(0)
	v_mul_f64 v[10:11], v[158:159], v[160:161]
	v_fma_f64 v[10:11], v[156:157], v[8:9], -v[10:11]
	v_mul_f64 v[156:157], v[156:157], v[160:161]
	s_delay_alu instid0(VALU_DEP_2) | instskip(NEXT) | instid1(VALU_DEP_2)
	v_add_f64 v[0:1], v[0:1], -v[10:11]
	v_fma_f64 v[156:157], v[158:159], v[8:9], v[156:157]
	v_dual_mov_b32 v10, v160 :: v_dual_mov_b32 v11, v161
	s_delay_alu instid0(VALU_DEP_2)
	v_add_f64 v[2:3], v[2:3], -v[156:157]
.LBB69_298:
	s_or_b32 exec_lo, exec_lo, s3
	s_delay_alu instid0(SALU_CYCLE_1)
	s_mov_b32 s4, exec_lo
	s_waitcnt lgkmcnt(0)
	s_barrier
	buffer_gl0_inv
	v_cmpx_eq_u32_e32 33, v170
	s_cbranch_execz .LBB69_305
; %bb.299:
	ds_store_2addr_b64 v171, v[4:5], v[6:7] offset1:1
	ds_store_2addr_b64 v172, v[0:1], v[2:3] offset0:68 offset1:69
	ds_load_2addr_b64 v[156:159], v171 offset1:1
	s_waitcnt lgkmcnt(0)
	v_cmp_neq_f64_e32 vcc_lo, 0, v[156:157]
	v_cmp_neq_f64_e64 s3, 0, v[158:159]
	s_delay_alu instid0(VALU_DEP_1) | instskip(NEXT) | instid1(SALU_CYCLE_1)
	s_or_b32 s3, vcc_lo, s3
	s_and_b32 exec_lo, exec_lo, s3
	s_cbranch_execz .LBB69_305
; %bb.300:
	v_cmp_gt_f64_e32 vcc_lo, 0, v[156:157]
	v_xor_b32_e32 v160, 0x80000000, v157
	v_xor_b32_e32 v162, 0x80000000, v159
	s_mov_b32 s3, exec_lo
                                        ; implicit-def: $vgpr168_vgpr169
	s_delay_alu instid0(VALU_DEP_2) | instskip(SKIP_4) | instid1(VALU_DEP_1)
	v_cndmask_b32_e32 v161, v157, v160, vcc_lo
	v_cndmask_b32_e32 v160, v156, v156, vcc_lo
	v_cmp_gt_f64_e32 vcc_lo, 0, v[158:159]
	v_cndmask_b32_e32 v163, v159, v162, vcc_lo
	v_cndmask_b32_e32 v162, v158, v158, vcc_lo
	v_cmpx_ngt_f64_e32 v[160:161], v[162:163]
	s_xor_b32 s3, exec_lo, s3
                                        ; implicit-def: $vgpr160_vgpr161_vgpr162_vgpr163
	s_cbranch_execz .LBB69_302
; %bb.301:
	v_div_scale_f64 v[160:161], null, v[158:159], v[158:159], v[156:157]
	v_dual_mov_b32 v166, v173 :: v_dual_mov_b32 v167, v174
	v_div_scale_f64 v[173:174], vcc_lo, v[156:157], v[158:159], v[156:157]
	s_delay_alu instid0(VALU_DEP_3) | instskip(SKIP_2) | instid1(VALU_DEP_1)
	v_rcp_f64_e32 v[162:163], v[160:161]
	s_waitcnt_depctr 0xfff
	v_fma_f64 v[168:169], -v[160:161], v[162:163], 1.0
	v_fma_f64 v[162:163], v[162:163], v[168:169], v[162:163]
	s_delay_alu instid0(VALU_DEP_1) | instskip(NEXT) | instid1(VALU_DEP_1)
	v_fma_f64 v[168:169], -v[160:161], v[162:163], 1.0
	v_fma_f64 v[162:163], v[162:163], v[168:169], v[162:163]
	s_delay_alu instid0(VALU_DEP_1) | instskip(NEXT) | instid1(VALU_DEP_1)
	v_mul_f64 v[168:169], v[173:174], v[162:163]
	v_fma_f64 v[160:161], -v[160:161], v[168:169], v[173:174]
	s_delay_alu instid0(VALU_DEP_1) | instskip(NEXT) | instid1(VALU_DEP_1)
	v_div_fmas_f64 v[160:161], v[160:161], v[162:163], v[168:169]
	v_div_fixup_f64 v[160:161], v[160:161], v[158:159], v[156:157]
	s_delay_alu instid0(VALU_DEP_1) | instskip(NEXT) | instid1(VALU_DEP_1)
	v_fma_f64 v[156:157], v[156:157], v[160:161], v[158:159]
	v_div_scale_f64 v[158:159], null, v[156:157], v[156:157], 1.0
	s_delay_alu instid0(VALU_DEP_1) | instskip(SKIP_2) | instid1(VALU_DEP_1)
	v_rcp_f64_e32 v[162:163], v[158:159]
	s_waitcnt_depctr 0xfff
	v_fma_f64 v[168:169], -v[158:159], v[162:163], 1.0
	v_fma_f64 v[162:163], v[162:163], v[168:169], v[162:163]
	s_delay_alu instid0(VALU_DEP_1) | instskip(NEXT) | instid1(VALU_DEP_1)
	v_fma_f64 v[168:169], -v[158:159], v[162:163], 1.0
	v_fma_f64 v[162:163], v[162:163], v[168:169], v[162:163]
	v_div_scale_f64 v[168:169], vcc_lo, 1.0, v[156:157], 1.0
	s_delay_alu instid0(VALU_DEP_1) | instskip(NEXT) | instid1(VALU_DEP_1)
	v_mul_f64 v[173:174], v[168:169], v[162:163]
	v_fma_f64 v[158:159], -v[158:159], v[173:174], v[168:169]
	s_delay_alu instid0(VALU_DEP_1) | instskip(SKIP_1) | instid1(VALU_DEP_2)
	v_div_fmas_f64 v[158:159], v[158:159], v[162:163], v[173:174]
	v_dual_mov_b32 v174, v167 :: v_dual_mov_b32 v173, v166
	v_div_fixup_f64 v[162:163], v[158:159], v[156:157], 1.0
                                        ; implicit-def: $vgpr156_vgpr157
	s_delay_alu instid0(VALU_DEP_1)
	v_mul_f64 v[168:169], v[160:161], v[162:163]
	v_xor_b32_e32 v163, 0x80000000, v163
.LBB69_302:
	s_and_not1_saveexec_b32 s3, s3
	s_cbranch_execz .LBB69_304
; %bb.303:
	v_div_scale_f64 v[160:161], null, v[156:157], v[156:157], v[158:159]
	v_dual_mov_b32 v166, v173 :: v_dual_mov_b32 v167, v174
	v_div_scale_f64 v[173:174], vcc_lo, v[158:159], v[156:157], v[158:159]
	s_delay_alu instid0(VALU_DEP_3) | instskip(SKIP_2) | instid1(VALU_DEP_1)
	v_rcp_f64_e32 v[162:163], v[160:161]
	s_waitcnt_depctr 0xfff
	v_fma_f64 v[168:169], -v[160:161], v[162:163], 1.0
	v_fma_f64 v[162:163], v[162:163], v[168:169], v[162:163]
	s_delay_alu instid0(VALU_DEP_1) | instskip(NEXT) | instid1(VALU_DEP_1)
	v_fma_f64 v[168:169], -v[160:161], v[162:163], 1.0
	v_fma_f64 v[162:163], v[162:163], v[168:169], v[162:163]
	s_delay_alu instid0(VALU_DEP_1) | instskip(NEXT) | instid1(VALU_DEP_1)
	v_mul_f64 v[168:169], v[173:174], v[162:163]
	v_fma_f64 v[160:161], -v[160:161], v[168:169], v[173:174]
	s_delay_alu instid0(VALU_DEP_1) | instskip(NEXT) | instid1(VALU_DEP_1)
	v_div_fmas_f64 v[160:161], v[160:161], v[162:163], v[168:169]
	v_div_fixup_f64 v[160:161], v[160:161], v[156:157], v[158:159]
	s_delay_alu instid0(VALU_DEP_1) | instskip(NEXT) | instid1(VALU_DEP_1)
	v_fma_f64 v[156:157], v[158:159], v[160:161], v[156:157]
	v_div_scale_f64 v[158:159], null, v[156:157], v[156:157], 1.0
	s_delay_alu instid0(VALU_DEP_1) | instskip(SKIP_2) | instid1(VALU_DEP_1)
	v_rcp_f64_e32 v[162:163], v[158:159]
	s_waitcnt_depctr 0xfff
	v_fma_f64 v[168:169], -v[158:159], v[162:163], 1.0
	v_fma_f64 v[162:163], v[162:163], v[168:169], v[162:163]
	s_delay_alu instid0(VALU_DEP_1) | instskip(NEXT) | instid1(VALU_DEP_1)
	v_fma_f64 v[168:169], -v[158:159], v[162:163], 1.0
	v_fma_f64 v[162:163], v[162:163], v[168:169], v[162:163]
	v_div_scale_f64 v[168:169], vcc_lo, 1.0, v[156:157], 1.0
	s_delay_alu instid0(VALU_DEP_1) | instskip(NEXT) | instid1(VALU_DEP_1)
	v_mul_f64 v[173:174], v[168:169], v[162:163]
	v_fma_f64 v[158:159], -v[158:159], v[173:174], v[168:169]
	s_delay_alu instid0(VALU_DEP_1) | instskip(SKIP_1) | instid1(VALU_DEP_2)
	v_div_fmas_f64 v[158:159], v[158:159], v[162:163], v[173:174]
	v_dual_mov_b32 v174, v167 :: v_dual_mov_b32 v173, v166
	v_div_fixup_f64 v[168:169], v[158:159], v[156:157], 1.0
	s_delay_alu instid0(VALU_DEP_1)
	v_mul_f64 v[162:163], v[160:161], -v[168:169]
.LBB69_304:
	s_or_b32 exec_lo, exec_lo, s3
	ds_store_2addr_b64 v171, v[168:169], v[162:163] offset1:1
.LBB69_305:
	s_or_b32 exec_lo, exec_lo, s4
	s_waitcnt lgkmcnt(0)
	s_barrier
	buffer_gl0_inv
	ds_load_2addr_b64 v[156:159], v171 offset1:1
	s_mov_b32 s3, exec_lo
	v_cmpx_lt_u32_e32 33, v170
	s_cbranch_execz .LBB69_307
; %bb.306:
	s_waitcnt lgkmcnt(0)
	v_mul_f64 v[160:161], v[156:157], v[6:7]
	v_mul_f64 v[6:7], v[158:159], v[6:7]
	s_delay_alu instid0(VALU_DEP_2) | instskip(SKIP_4) | instid1(VALU_DEP_1)
	v_fma_f64 v[168:169], v[158:159], v[4:5], v[160:161]
	ds_load_2addr_b64 v[160:163], v172 offset0:68 offset1:69
	v_fma_f64 v[4:5], v[156:157], v[4:5], -v[6:7]
	s_waitcnt lgkmcnt(0)
	v_mul_f64 v[6:7], v[162:163], v[168:169]
	v_fma_f64 v[6:7], v[160:161], v[4:5], -v[6:7]
	v_mul_f64 v[160:161], v[160:161], v[168:169]
	s_delay_alu instid0(VALU_DEP_2) | instskip(NEXT) | instid1(VALU_DEP_2)
	v_add_f64 v[0:1], v[0:1], -v[6:7]
	v_fma_f64 v[160:161], v[162:163], v[4:5], v[160:161]
	v_dual_mov_b32 v6, v168 :: v_dual_mov_b32 v7, v169
	s_delay_alu instid0(VALU_DEP_2)
	v_add_f64 v[2:3], v[2:3], -v[160:161]
.LBB69_307:
	s_or_b32 exec_lo, exec_lo, s3
	s_delay_alu instid0(SALU_CYCLE_1)
	s_mov_b32 s4, exec_lo
	s_waitcnt lgkmcnt(0)
	s_barrier
	buffer_gl0_inv
	v_cmpx_eq_u32_e32 34, v170
	s_cbranch_execz .LBB69_314
; %bb.308:
	v_cmp_neq_f64_e32 vcc_lo, 0, v[0:1]
	v_cmp_neq_f64_e64 s3, 0, v[2:3]
	ds_store_2addr_b64 v171, v[0:1], v[2:3] offset1:1
	s_or_b32 s3, vcc_lo, s3
	s_delay_alu instid0(SALU_CYCLE_1)
	s_and_b32 exec_lo, exec_lo, s3
	s_cbranch_execz .LBB69_314
; %bb.309:
	v_cmp_gt_f64_e32 vcc_lo, 0, v[0:1]
	v_xor_b32_e32 v160, 0x80000000, v1
	v_xor_b32_e32 v162, 0x80000000, v3
	s_mov_b32 s3, exec_lo
                                        ; implicit-def: $vgpr168_vgpr169
	s_delay_alu instid0(VALU_DEP_2) | instskip(SKIP_4) | instid1(VALU_DEP_1)
	v_cndmask_b32_e32 v161, v1, v160, vcc_lo
	v_cndmask_b32_e32 v160, v0, v0, vcc_lo
	v_cmp_gt_f64_e32 vcc_lo, 0, v[2:3]
	v_cndmask_b32_e32 v163, v3, v162, vcc_lo
	v_cndmask_b32_e32 v162, v2, v2, vcc_lo
	v_cmpx_ngt_f64_e32 v[160:161], v[162:163]
	s_xor_b32 s3, exec_lo, s3
                                        ; implicit-def: $vgpr160_vgpr161_vgpr162_vgpr163
	s_cbranch_execz .LBB69_311
; %bb.310:
	v_div_scale_f64 v[160:161], null, v[2:3], v[2:3], v[0:1]
	v_dual_mov_b32 v211, v208 :: v_dual_mov_b32 v210, v207
	v_dual_mov_b32 v209, v206 :: v_dual_mov_b32 v208, v205
	v_dual_mov_b32 v207, v204 :: v_dual_mov_b32 v206, v203
	v_dual_mov_b32 v205, v202 :: v_dual_mov_b32 v204, v201
	v_dual_mov_b32 v203, v200 :: v_dual_mov_b32 v202, v199
	v_dual_mov_b32 v201, v198 :: v_dual_mov_b32 v200, v197
	v_dual_mov_b32 v199, v196 :: v_dual_mov_b32 v198, v195
	v_dual_mov_b32 v197, v194 :: v_dual_mov_b32 v196, v193
	v_dual_mov_b32 v195, v192 :: v_dual_mov_b32 v194, v191
	v_dual_mov_b32 v193, v190 :: v_dual_mov_b32 v192, v189
	v_dual_mov_b32 v191, v188 :: v_dual_mov_b32 v190, v187
	v_dual_mov_b32 v189, v186 :: v_dual_mov_b32 v188, v185
	v_dual_mov_b32 v187, v184 :: v_dual_mov_b32 v186, v183
	v_dual_mov_b32 v185, v182 :: v_dual_mov_b32 v184, v181
	v_dual_mov_b32 v183, v180 :: v_dual_mov_b32 v182, v179
	v_dual_mov_b32 v181, v165 :: v_dual_mov_b32 v180, v164
	v_dual_mov_b32 v164, v177 :: v_dual_mov_b32 v165, v178
	v_dual_mov_b32 v179, v176 :: v_dual_mov_b32 v178, v175
	v_rcp_f64_e32 v[162:163], v[160:161]
	v_dual_mov_b32 v177, v174 :: v_dual_mov_b32 v176, v173
	v_div_scale_f64 v[172:173], vcc_lo, v[0:1], v[2:3], v[0:1]
	s_waitcnt_depctr 0xfff
	v_fma_f64 v[168:169], -v[160:161], v[162:163], 1.0
	s_delay_alu instid0(VALU_DEP_1) | instskip(NEXT) | instid1(VALU_DEP_1)
	v_fma_f64 v[162:163], v[162:163], v[168:169], v[162:163]
	v_fma_f64 v[168:169], -v[160:161], v[162:163], 1.0
	s_delay_alu instid0(VALU_DEP_1) | instskip(NEXT) | instid1(VALU_DEP_1)
	v_fma_f64 v[162:163], v[162:163], v[168:169], v[162:163]
	v_mul_f64 v[168:169], v[172:173], v[162:163]
	s_delay_alu instid0(VALU_DEP_1) | instskip(NEXT) | instid1(VALU_DEP_1)
	v_fma_f64 v[160:161], -v[160:161], v[168:169], v[172:173]
	v_div_fmas_f64 v[160:161], v[160:161], v[162:163], v[168:169]
	s_delay_alu instid0(VALU_DEP_1) | instskip(NEXT) | instid1(VALU_DEP_1)
	v_div_fixup_f64 v[160:161], v[160:161], v[2:3], v[0:1]
	v_fma_f64 v[162:163], v[0:1], v[160:161], v[2:3]
	s_delay_alu instid0(VALU_DEP_1) | instskip(NEXT) | instid1(VALU_DEP_1)
	v_div_scale_f64 v[168:169], null, v[162:163], v[162:163], 1.0
	v_rcp_f64_e32 v[172:173], v[168:169]
	s_waitcnt_depctr 0xfff
	v_fma_f64 v[174:175], -v[168:169], v[172:173], 1.0
	s_delay_alu instid0(VALU_DEP_1) | instskip(NEXT) | instid1(VALU_DEP_1)
	v_fma_f64 v[172:173], v[172:173], v[174:175], v[172:173]
	v_fma_f64 v[174:175], -v[168:169], v[172:173], 1.0
	s_delay_alu instid0(VALU_DEP_1) | instskip(SKIP_1) | instid1(VALU_DEP_1)
	v_fma_f64 v[172:173], v[172:173], v[174:175], v[172:173]
	v_div_scale_f64 v[174:175], vcc_lo, 1.0, v[162:163], 1.0
	v_mul_f64 v[166:167], v[174:175], v[172:173]
	s_delay_alu instid0(VALU_DEP_1) | instskip(NEXT) | instid1(VALU_DEP_1)
	v_fma_f64 v[168:169], -v[168:169], v[166:167], v[174:175]
	v_div_fmas_f64 v[166:167], v[168:169], v[172:173], v[166:167]
	v_dual_mov_b32 v173, v176 :: v_dual_mov_b32 v174, v177
	v_dual_mov_b32 v175, v178 :: v_dual_mov_b32 v176, v179
	;; [unrolled: 1-line block ×19, first 2 shown]
	v_div_fixup_f64 v[162:163], v[166:167], v[162:163], 1.0
	s_delay_alu instid0(VALU_DEP_1)
	v_mul_f64 v[168:169], v[160:161], v[162:163]
	v_xor_b32_e32 v163, 0x80000000, v163
.LBB69_311:
	s_and_not1_saveexec_b32 s3, s3
	s_cbranch_execz .LBB69_313
; %bb.312:
	v_div_scale_f64 v[160:161], null, v[0:1], v[0:1], v[2:3]
	v_div_scale_f64 v[168:169], vcc_lo, v[2:3], v[0:1], v[2:3]
	v_dual_mov_b32 v211, v208 :: v_dual_mov_b32 v210, v207
	v_dual_mov_b32 v209, v206 :: v_dual_mov_b32 v208, v205
	;; [unrolled: 1-line block ×17, first 2 shown]
	v_rcp_f64_e32 v[162:163], v[160:161]
	v_dual_mov_b32 v179, v176 :: v_dual_mov_b32 v178, v175
	v_dual_mov_b32 v177, v174 :: v_dual_mov_b32 v176, v173
	s_waitcnt_depctr 0xfff
	v_fma_f64 v[166:167], -v[160:161], v[162:163], 1.0
	s_delay_alu instid0(VALU_DEP_1) | instskip(NEXT) | instid1(VALU_DEP_1)
	v_fma_f64 v[162:163], v[162:163], v[166:167], v[162:163]
	v_fma_f64 v[166:167], -v[160:161], v[162:163], 1.0
	s_delay_alu instid0(VALU_DEP_1) | instskip(NEXT) | instid1(VALU_DEP_1)
	v_fma_f64 v[162:163], v[162:163], v[166:167], v[162:163]
	v_mul_f64 v[166:167], v[168:169], v[162:163]
	s_delay_alu instid0(VALU_DEP_1) | instskip(NEXT) | instid1(VALU_DEP_1)
	v_fma_f64 v[160:161], -v[160:161], v[166:167], v[168:169]
	v_div_fmas_f64 v[160:161], v[160:161], v[162:163], v[166:167]
	s_delay_alu instid0(VALU_DEP_1) | instskip(NEXT) | instid1(VALU_DEP_1)
	v_div_fixup_f64 v[160:161], v[160:161], v[0:1], v[2:3]
	v_fma_f64 v[162:163], v[2:3], v[160:161], v[0:1]
	s_delay_alu instid0(VALU_DEP_1) | instskip(NEXT) | instid1(VALU_DEP_1)
	v_div_scale_f64 v[166:167], null, v[162:163], v[162:163], 1.0
	v_rcp_f64_e32 v[168:169], v[166:167]
	s_waitcnt_depctr 0xfff
	v_fma_f64 v[172:173], -v[166:167], v[168:169], 1.0
	s_delay_alu instid0(VALU_DEP_1) | instskip(NEXT) | instid1(VALU_DEP_1)
	v_fma_f64 v[168:169], v[168:169], v[172:173], v[168:169]
	v_fma_f64 v[172:173], -v[166:167], v[168:169], 1.0
	s_delay_alu instid0(VALU_DEP_1) | instskip(SKIP_1) | instid1(VALU_DEP_1)
	v_fma_f64 v[168:169], v[168:169], v[172:173], v[168:169]
	v_div_scale_f64 v[172:173], vcc_lo, 1.0, v[162:163], 1.0
	v_mul_f64 v[174:175], v[172:173], v[168:169]
	s_delay_alu instid0(VALU_DEP_1) | instskip(NEXT) | instid1(VALU_DEP_1)
	v_fma_f64 v[166:167], -v[166:167], v[174:175], v[172:173]
	v_div_fmas_f64 v[166:167], v[166:167], v[168:169], v[174:175]
	v_dual_mov_b32 v173, v176 :: v_dual_mov_b32 v174, v177
	v_dual_mov_b32 v175, v178 :: v_dual_mov_b32 v176, v179
	;; [unrolled: 1-line block ×19, first 2 shown]
	v_div_fixup_f64 v[168:169], v[166:167], v[162:163], 1.0
	s_delay_alu instid0(VALU_DEP_1)
	v_mul_f64 v[162:163], v[160:161], -v[168:169]
.LBB69_313:
	s_or_b32 exec_lo, exec_lo, s3
	ds_store_2addr_b64 v171, v[168:169], v[162:163] offset1:1
.LBB69_314:
	s_or_b32 exec_lo, exec_lo, s4
	s_waitcnt lgkmcnt(0)
	s_barrier
	buffer_gl0_inv
	ds_load_2addr_b64 v[160:163], v171 offset1:1
	s_mov_b32 s3, exec_lo
	v_cmpx_lt_u32_e32 34, v170
	s_cbranch_execz .LBB69_316
; %bb.315:
	s_waitcnt lgkmcnt(0)
	v_mul_f64 v[166:167], v[162:163], v[2:3]
	v_mul_f64 v[2:3], v[160:161], v[2:3]
	s_delay_alu instid0(VALU_DEP_2) | instskip(NEXT) | instid1(VALU_DEP_2)
	v_fma_f64 v[166:167], v[160:161], v[0:1], -v[166:167]
	v_fma_f64 v[2:3], v[162:163], v[0:1], v[2:3]
	s_delay_alu instid0(VALU_DEP_2)
	v_dual_mov_b32 v0, v166 :: v_dual_mov_b32 v1, v167
.LBB69_316:
	s_or_b32 exec_lo, exec_lo, s3
	s_waitcnt lgkmcnt(0)
	s_barrier
	buffer_gl0_inv
	s_and_saveexec_b32 s12, s2
	s_cbranch_execz .LBB69_319
; %bb.317:
	scratch_load_b128 v[166:169], off, off offset:120 ; 16-byte Folded Reload
	s_load_b64 s[14:15], s[0:1], 0x28
	v_lshlrev_b64 v[164:165], 2, v[164:165]
	s_waitcnt vmcnt(0)
	v_cmp_eq_f64_e32 vcc_lo, 0, v[166:167]
	v_cmp_eq_f64_e64 s2, 0, v[168:169]
	scratch_load_b128 v[166:169], off, off offset:136 ; 16-byte Folded Reload
	s_and_b32 s13, vcc_lo, s2
	s_waitcnt vmcnt(0)
	v_cmp_neq_f64_e64 s3, 0, v[166:167]
	v_cmp_neq_f64_e64 s4, 0, v[168:169]
	scratch_load_b128 v[166:169], off, off offset:152 ; 16-byte Folded Reload
	s_or_b32 s4, s3, s4
	s_delay_alu instid0(SALU_CYCLE_1)
	s_or_b32 vcc_lo, s4, s13
	s_waitcnt vmcnt(0)
	v_cmp_eq_f64_e64 s5, 0, v[166:167]
	v_cmp_eq_f64_e64 s6, 0, v[168:169]
	scratch_load_b128 v[166:169], off, off offset:168 ; 16-byte Folded Reload
	s_and_b32 s4, s5, s6
	s_waitcnt vmcnt(0)
	v_cmp_eq_f64_e64 s7, 0, v[166:167]
	v_cmp_eq_f64_e64 s8, 0, v[168:169]
	scratch_load_b128 v[166:169], off, off offset:184 ; 16-byte Folded Reload
	s_and_b32 s6, s7, s8
	s_waitcnt vmcnt(0)
	v_cmp_eq_f64_e64 s9, 0, v[166:167]
	v_cmp_eq_f64_e64 s10, 0, v[168:169]
	scratch_load_b128 v[167:170], off, off offset:200 ; 16-byte Folded Reload
	v_cndmask_b32_e64 v166, 0, 1, s13
	s_delay_alu instid0(VALU_DEP_1) | instskip(NEXT) | instid1(VALU_DEP_1)
	v_cndmask_b32_e32 v166, 2, v166, vcc_lo
	v_cmp_eq_u32_e32 vcc_lo, 0, v166
	s_and_b32 s4, s4, vcc_lo
	s_delay_alu instid0(SALU_CYCLE_1) | instskip(NEXT) | instid1(VALU_DEP_1)
	v_cndmask_b32_e64 v166, v166, 3, s4
	v_cmp_eq_u32_e32 vcc_lo, 0, v166
	s_and_b32 s0, s6, vcc_lo
	s_delay_alu instid0(SALU_CYCLE_1) | instskip(NEXT) | instid1(VALU_DEP_1)
	v_cndmask_b32_e64 v166, v166, 4, s0
	v_cmp_eq_u32_e64 s1, 0, v166
	s_and_b32 s6, s9, s10
	s_delay_alu instid0(VALU_DEP_1) | instid1(SALU_CYCLE_1)
	s_and_b32 s1, s6, s1
	s_delay_alu instid0(SALU_CYCLE_1)
	v_cndmask_b32_e64 v166, v166, 5, s1
	s_waitcnt vmcnt(0)
	v_cmp_eq_f64_e64 s2, 0, v[167:168]
	v_cmp_eq_f64_e64 s3, 0, v[169:170]
	scratch_load_b128 v[167:170], off, off offset:216 ; 16-byte Folded Reload
	s_and_b32 s7, s2, s3
	s_waitcnt lgkmcnt(0)
	v_add_co_u32 v164, s3, s14, v164
	s_delay_alu instid0(VALU_DEP_1) | instskip(SKIP_1) | instid1(VALU_DEP_1)
	v_add_co_ci_u32_e64 v165, s3, s15, v165, s3
	v_cmp_eq_u32_e64 s2, 0, v166
	s_and_b32 s2, s7, s2
	s_delay_alu instid0(SALU_CYCLE_1) | instskip(NEXT) | instid1(VALU_DEP_1)
	v_cndmask_b32_e64 v166, v166, 6, s2
	v_cmp_eq_u32_e64 s7, 0, v166
	s_waitcnt vmcnt(0)
	v_cmp_eq_f64_e64 s4, 0, v[167:168]
	v_cmp_eq_f64_e64 s5, 0, v[169:170]
	scratch_load_b128 v[167:170], off, off offset:232 ; 16-byte Folded Reload
	s_and_b32 s4, s4, s5
	s_delay_alu instid0(SALU_CYCLE_1) | instskip(NEXT) | instid1(SALU_CYCLE_1)
	s_and_b32 s4, s4, s7
	v_cndmask_b32_e64 v166, v166, 7, s4
	s_delay_alu instid0(VALU_DEP_1)
	v_cmp_eq_u32_e64 s7, 0, v166
	s_waitcnt vmcnt(0)
	v_cmp_eq_f64_e32 vcc_lo, 0, v[167:168]
	v_cmp_eq_f64_e64 s0, 0, v[169:170]
	scratch_load_b128 v[167:170], off, off offset:248 ; 16-byte Folded Reload
	s_and_b32 s0, vcc_lo, s0
	s_delay_alu instid0(SALU_CYCLE_1) | instskip(NEXT) | instid1(SALU_CYCLE_1)
	s_and_b32 s0, s0, s7
	v_cndmask_b32_e64 v166, v166, 8, s0
	s_delay_alu instid0(VALU_DEP_1)
	v_cmp_eq_u32_e64 s7, 0, v166
	s_waitcnt vmcnt(0)
	v_cmp_eq_f64_e64 s1, 0, v[167:168]
	v_cmp_eq_f64_e64 s6, 0, v[169:170]
	scratch_load_b128 v[167:170], off, off offset:264 ; 16-byte Folded Reload
	s_and_b32 s1, s1, s6
	s_delay_alu instid0(SALU_CYCLE_1) | instskip(NEXT) | instid1(SALU_CYCLE_1)
	s_and_b32 s1, s1, s7
	v_cndmask_b32_e64 v166, v166, 9, s1
	s_delay_alu instid0(VALU_DEP_1)
	v_cmp_eq_u32_e64 s7, 0, v166
	s_waitcnt vmcnt(0)
	v_cmp_eq_f64_e64 s3, 0, v[169:170]
	scratch_load_b128 v[169:172], off, off offset:280 ; 16-byte Folded Reload
	v_cmp_eq_f64_e64 s2, 0, v[167:168]
	global_load_b32 v168, v[164:165], off
	s_and_b32 s2, s2, s3
	s_delay_alu instid0(SALU_CYCLE_1) | instskip(NEXT) | instid1(SALU_CYCLE_1)
	s_and_b32 s2, s2, s7
	v_cndmask_b32_e64 v166, v166, 10, s2
	s_delay_alu instid0(VALU_DEP_1)
	v_cmp_eq_u32_e64 s7, 0, v166
	s_waitcnt vmcnt(1)
	v_cmp_eq_f64_e64 s4, 0, v[169:170]
	v_cmp_eq_f64_e64 s5, 0, v[171:172]
	scratch_load_b128 v[169:172], off, off offset:296 ; 16-byte Folded Reload
	s_and_b32 s4, s4, s5
	s_delay_alu instid0(SALU_CYCLE_1) | instskip(NEXT) | instid1(SALU_CYCLE_1)
	s_and_b32 s4, s4, s7
	v_cndmask_b32_e64 v166, v166, 11, s4
	s_delay_alu instid0(VALU_DEP_1)
	v_cmp_eq_u32_e64 s7, 0, v166
	s_waitcnt vmcnt(0)
	v_cmp_eq_f64_e32 vcc_lo, 0, v[169:170]
	v_cmp_eq_f64_e64 s0, 0, v[171:172]
	scratch_load_b128 v[169:172], off, off offset:312 ; 16-byte Folded Reload
	s_and_b32 s0, vcc_lo, s0
	s_delay_alu instid0(SALU_CYCLE_1) | instskip(NEXT) | instid1(SALU_CYCLE_1)
	s_and_b32 s0, s0, s7
	v_cndmask_b32_e64 v166, v166, 12, s0
	s_delay_alu instid0(VALU_DEP_1)
	v_cmp_eq_u32_e64 s7, 0, v166
	s_waitcnt vmcnt(0)
	v_cmp_eq_f64_e64 s1, 0, v[169:170]
	v_cmp_eq_f64_e64 s6, 0, v[171:172]
	scratch_load_b128 v[169:172], off, off offset:328 ; 16-byte Folded Reload
	s_and_b32 s1, s1, s6
	s_delay_alu instid0(SALU_CYCLE_1) | instskip(NEXT) | instid1(SALU_CYCLE_1)
	s_and_b32 s1, s1, s7
	v_cndmask_b32_e64 v166, v166, 13, s1
	s_delay_alu instid0(VALU_DEP_1)
	v_cmp_eq_u32_e64 s7, 0, v166
	s_waitcnt vmcnt(0)
	v_cmp_eq_f64_e64 s2, 0, v[169:170]
	v_cmp_eq_f64_e64 s3, 0, v[171:172]
	scratch_load_b128 v[169:172], off, off offset:344 ; 16-byte Folded Reload
	s_and_b32 s2, s2, s3
	;; [unrolled: 10-line block ×3, first 2 shown]
	s_delay_alu instid0(SALU_CYCLE_1) | instskip(NEXT) | instid1(SALU_CYCLE_1)
	s_and_b32 s4, s4, s7
	v_cndmask_b32_e64 v166, v166, 15, s4
	s_delay_alu instid0(VALU_DEP_1)
	v_cmp_eq_u32_e64 s7, 0, v166
	s_waitcnt vmcnt(0)
	v_cmp_eq_f64_e32 vcc_lo, 0, v[169:170]
	v_cmp_eq_f64_e64 s0, 0, v[171:172]
	scratch_load_b128 v[169:172], off, off offset:376 ; 16-byte Folded Reload
	s_and_b32 s0, vcc_lo, s0
	v_cmp_eq_f64_e32 vcc_lo, 0, v[216:217]
	s_and_b32 s0, s0, s7
	s_delay_alu instid0(SALU_CYCLE_1) | instskip(SKIP_1) | instid1(VALU_DEP_2)
	v_cndmask_b32_e64 v166, v166, 16, s0
	v_cmp_eq_f64_e64 s0, 0, v[218:219]
	v_cmp_eq_u32_e64 s7, 0, v166
	s_delay_alu instid0(VALU_DEP_2)
	s_and_b32 s0, vcc_lo, s0
	v_cmp_eq_f64_e32 vcc_lo, 0, v[232:233]
	s_waitcnt vmcnt(0)
	v_cmp_eq_f64_e64 s1, 0, v[169:170]
	v_cmp_eq_f64_e64 s6, 0, v[171:172]
	scratch_load_b128 v[169:172], off, off offset:392 ; 16-byte Folded Reload
	s_and_b32 s1, s1, s6
	v_cmp_eq_f64_e64 s6, 0, v[222:223]
	s_and_b32 s1, s1, s7
	s_delay_alu instid0(SALU_CYCLE_1) | instskip(SKIP_1) | instid1(VALU_DEP_2)
	v_cndmask_b32_e64 v166, v166, 17, s1
	v_cmp_eq_f64_e64 s1, 0, v[220:221]
	v_cmp_eq_u32_e64 s7, 0, v166
	s_delay_alu instid0(VALU_DEP_2)
	s_and_b32 s1, s1, s6
	v_cmp_eq_f64_e64 s6, 0, v[238:239]
	s_waitcnt vmcnt(0)
	v_cmp_eq_f64_e64 s2, 0, v[169:170]
	v_cmp_eq_f64_e64 s3, 0, v[171:172]
	scratch_load_b128 v[169:172], off, off offset:408 ; 16-byte Folded Reload
	s_and_b32 s2, s2, s3
	v_cmp_eq_f64_e64 s3, 0, v[226:227]
	s_and_b32 s2, s2, s7
	s_delay_alu instid0(SALU_CYCLE_1) | instskip(SKIP_1) | instid1(VALU_DEP_2)
	v_cndmask_b32_e64 v166, v166, 18, s2
	v_cmp_eq_f64_e64 s2, 0, v[224:225]
	v_cmp_eq_u32_e64 s7, 0, v166
	s_delay_alu instid0(VALU_DEP_2) | instskip(SKIP_4) | instid1(VALU_DEP_1)
	s_and_b32 s2, s2, s3
	v_cmp_eq_f64_e64 s3, 0, v[242:243]
	s_waitcnt vmcnt(0)
	v_cmp_eq_f64_e64 s4, 0, v[169:170]
	v_cmp_eq_f64_e64 s5, 0, v[171:172]
	s_and_b32 s4, s4, s5
	v_cmp_eq_f64_e64 s5, 0, v[230:231]
	s_and_b32 s4, s4, s7
	s_delay_alu instid0(SALU_CYCLE_1) | instskip(SKIP_1) | instid1(VALU_DEP_2)
	v_cndmask_b32_e64 v166, v166, 19, s4
	v_cmp_eq_f64_e64 s4, 0, v[228:229]
	v_cmp_eq_u32_e64 s7, 0, v166
	s_delay_alu instid0(VALU_DEP_1) | instskip(NEXT) | instid1(SALU_CYCLE_1)
	s_and_b32 s0, s0, s7
	v_cndmask_b32_e64 v166, v166, 20, s0
	v_cmp_eq_f64_e64 s0, 0, v[234:235]
	s_delay_alu instid0(VALU_DEP_2) | instskip(NEXT) | instid1(VALU_DEP_1)
	v_cmp_eq_u32_e64 s7, 0, v166
	s_and_b32 s1, s1, s7
	s_delay_alu instid0(SALU_CYCLE_1) | instskip(SKIP_1) | instid1(VALU_DEP_2)
	v_cndmask_b32_e64 v166, v166, 21, s1
	v_cmp_eq_f64_e64 s1, 0, v[236:237]
	v_cmp_eq_u32_e64 s7, 0, v166
	s_delay_alu instid0(VALU_DEP_1) | instskip(NEXT) | instid1(SALU_CYCLE_1)
	s_and_b32 s2, s2, s7
	v_cndmask_b32_e64 v166, v166, 22, s2
	v_cmp_eq_f64_e64 s2, 0, v[240:241]
	s_and_b32 s4, s4, s5
	v_cmp_eq_f64_e64 s5, 0, v[246:247]
	s_delay_alu instid0(VALU_DEP_3) | instskip(NEXT) | instid1(VALU_DEP_1)
	v_cmp_eq_u32_e64 s7, 0, v166
	s_and_b32 s4, s4, s7
	s_delay_alu instid0(SALU_CYCLE_1) | instskip(SKIP_3) | instid1(VALU_DEP_3)
	v_cndmask_b32_e64 v166, v166, 23, s4
	v_cmp_eq_f64_e64 s4, 0, v[244:245]
	s_and_b32 s0, vcc_lo, s0
	v_cmp_eq_f64_e32 vcc_lo, 0, v[248:249]
	v_cmp_eq_u32_e64 s7, 0, v166
	s_delay_alu instid0(VALU_DEP_1) | instskip(NEXT) | instid1(SALU_CYCLE_1)
	s_and_b32 s0, s0, s7
	v_cndmask_b32_e64 v166, v166, 24, s0
	v_cmp_eq_f64_e64 s0, 0, v[250:251]
	s_and_b32 s1, s1, s6
	v_cmp_eq_f64_e64 s6, 0, v[254:255]
	s_delay_alu instid0(VALU_DEP_3) | instskip(NEXT) | instid1(VALU_DEP_1)
	v_cmp_eq_u32_e64 s7, 0, v166
	s_and_b32 s1, s1, s7
	s_delay_alu instid0(SALU_CYCLE_1) | instskip(SKIP_3) | instid1(VALU_DEP_3)
	v_cndmask_b32_e64 v166, v166, 25, s1
	v_cmp_eq_f64_e64 s1, 0, v[252:253]
	s_and_b32 s2, s2, s3
	v_cmp_eq_f64_e64 s3, 0, v[142:143]
	v_cmp_eq_u32_e64 s7, 0, v166
	s_delay_alu instid0(VALU_DEP_1) | instskip(NEXT) | instid1(SALU_CYCLE_1)
	s_and_b32 s2, s2, s7
	v_cndmask_b32_e64 v166, v166, 26, s2
	v_cmp_eq_f64_e64 s2, 0, v[140:141]
	s_and_b32 s4, s4, s5
	v_cmp_eq_f64_e64 s5, 0, v[146:147]
	s_delay_alu instid0(VALU_DEP_3) | instskip(NEXT) | instid1(VALU_DEP_1)
	v_cmp_eq_u32_e64 s7, 0, v166
	s_and_b32 s4, s4, s7
	s_delay_alu instid0(SALU_CYCLE_1) | instskip(SKIP_3) | instid1(VALU_DEP_3)
	v_cndmask_b32_e64 v140, v166, 27, s4
	v_cmp_eq_f64_e64 s4, 0, v[144:145]
	s_and_b32 s0, vcc_lo, s0
	v_cmp_eq_f64_e32 vcc_lo, 0, v[148:149]
	v_cmp_eq_u32_e64 s7, 0, v140
	s_delay_alu instid0(VALU_DEP_1) | instskip(NEXT) | instid1(SALU_CYCLE_1)
	s_and_b32 s0, s0, s7
	v_cndmask_b32_e64 v140, v140, 28, s0
	v_cmp_eq_f64_e64 s0, 0, v[150:151]
	s_and_b32 s1, s1, s6
	v_cmp_eq_f64_e64 s6, 0, v[154:155]
	s_delay_alu instid0(VALU_DEP_3) | instskip(NEXT) | instid1(VALU_DEP_1)
	v_cmp_eq_u32_e64 s7, 0, v140
	s_and_b32 s1, s1, s7
	s_delay_alu instid0(SALU_CYCLE_1) | instskip(SKIP_3) | instid1(VALU_DEP_3)
	v_cndmask_b32_e64 v140, v140, 29, s1
	v_cmp_eq_f64_e64 s1, 0, v[152:153]
	s_and_b32 s2, s2, s3
	v_cmp_eq_f64_e64 s3, 0, v[158:159]
	v_cmp_eq_u32_e64 s7, 0, v140
	s_delay_alu instid0(VALU_DEP_1) | instskip(NEXT) | instid1(SALU_CYCLE_1)
	s_and_b32 s2, s2, s7
	v_cndmask_b32_e64 v140, v140, 30, s2
	v_cmp_eq_f64_e64 s2, 0, v[156:157]
	s_and_b32 s4, s4, s5
	v_cmp_eq_f64_e64 s5, 0, v[162:163]
	s_delay_alu instid0(VALU_DEP_3) | instskip(NEXT) | instid1(VALU_DEP_1)
	v_cmp_eq_u32_e64 s7, 0, v140
	s_and_b32 s4, s4, s7
	s_delay_alu instid0(SALU_CYCLE_1) | instskip(SKIP_2) | instid1(VALU_DEP_2)
	v_cndmask_b32_e64 v140, v140, 31, s4
	v_cmp_eq_f64_e64 s4, 0, v[160:161]
	s_and_b32 s0, vcc_lo, s0
	v_cmp_eq_u32_e64 s7, 0, v140
	s_delay_alu instid0(VALU_DEP_1) | instskip(NEXT) | instid1(SALU_CYCLE_1)
	s_and_b32 s0, s0, s7
	v_cndmask_b32_e64 v140, v140, 32, s0
	s_and_b32 s0, s1, s6
	s_delay_alu instid0(VALU_DEP_1) | instskip(SKIP_1) | instid1(SALU_CYCLE_1)
	v_cmp_eq_u32_e32 vcc_lo, 0, v140
	s_and_b32 s0, s0, vcc_lo
	v_cndmask_b32_e64 v140, v140, 33, s0
	s_and_b32 s0, s2, s3
	s_delay_alu instid0(VALU_DEP_1) | instskip(SKIP_1) | instid1(SALU_CYCLE_1)
	v_cmp_eq_u32_e32 vcc_lo, 0, v140
	s_and_b32 s0, s0, vcc_lo
	v_cndmask_b32_e64 v140, v140, 34, s0
	s_and_b32 s0, s4, s5
	s_delay_alu instid0(VALU_DEP_1) | instskip(SKIP_3) | instid1(VALU_DEP_1)
	v_cmp_eq_u32_e32 vcc_lo, 0, v140
	s_and_b32 s0, s0, vcc_lo
	v_cmp_eq_u32_e32 vcc_lo, 0, v168
	v_cndmask_b32_e64 v140, v140, 35, s0
	v_cmp_ne_u32_e64 s0, 0, v140
	s_delay_alu instid0(VALU_DEP_1) | instskip(NEXT) | instid1(SALU_CYCLE_1)
	s_and_b32 s0, vcc_lo, s0
	s_and_b32 exec_lo, exec_lo, s0
	s_cbranch_execz .LBB69_319
; %bb.318:
	v_add_nc_u32_e32 v140, s11, v140
	global_store_b32 v[164:165], v140, off
.LBB69_319:
	s_or_b32 exec_lo, exec_lo, s12
	s_clause 0x10
	global_store_b128 v[207:208], v[136:139], off
	global_store_b128 v[214:215], v[132:135], off
	;; [unrolled: 1-line block ×17, first 2 shown]
	scratch_load_b64 v[72:73], off, off offset:112 ; 8-byte Folded Reload
	s_waitcnt vmcnt(0)
	global_store_b128 v[72:73], v[68:71], off
	scratch_load_b64 v[68:69], off, off offset:104 ; 8-byte Folded Reload
	s_waitcnt vmcnt(0)
	global_store_b128 v[68:69], v[64:67], off
	;; [unrolled: 3-line block ×14, first 2 shown]
	scratch_load_b64 v[16:17], off, off     ; 8-byte Folded Reload
	s_waitcnt vmcnt(0)
	s_clause 0x3
	global_store_b128 v[16:17], v[12:15], off
	global_store_b128 v[175:176], v[8:11], off
	;; [unrolled: 1-line block ×4, first 2 shown]
.LBB69_320:
	s_nop 0
	s_sendmsg sendmsg(MSG_DEALLOC_VGPRS)
	s_endpgm
	.section	.rodata,"a",@progbits
	.p2align	6, 0x0
	.amdhsa_kernel _ZN9rocsolver6v33100L23getf2_npvt_small_kernelILi35E19rocblas_complex_numIdEiiPKPS3_EEvT1_T3_lS7_lPT2_S7_S7_
		.amdhsa_group_segment_fixed_size 0
		.amdhsa_private_segment_fixed_size 428
		.amdhsa_kernarg_size 312
		.amdhsa_user_sgpr_count 14
		.amdhsa_user_sgpr_dispatch_ptr 0
		.amdhsa_user_sgpr_queue_ptr 0
		.amdhsa_user_sgpr_kernarg_segment_ptr 1
		.amdhsa_user_sgpr_dispatch_id 0
		.amdhsa_user_sgpr_private_segment_size 0
		.amdhsa_wavefront_size32 1
		.amdhsa_uses_dynamic_stack 0
		.amdhsa_enable_private_segment 1
		.amdhsa_system_sgpr_workgroup_id_x 1
		.amdhsa_system_sgpr_workgroup_id_y 1
		.amdhsa_system_sgpr_workgroup_id_z 0
		.amdhsa_system_sgpr_workgroup_info 0
		.amdhsa_system_vgpr_workitem_id 1
		.amdhsa_next_free_vgpr 256
		.amdhsa_next_free_sgpr 16
		.amdhsa_reserve_vcc 1
		.amdhsa_float_round_mode_32 0
		.amdhsa_float_round_mode_16_64 0
		.amdhsa_float_denorm_mode_32 3
		.amdhsa_float_denorm_mode_16_64 3
		.amdhsa_dx10_clamp 1
		.amdhsa_ieee_mode 1
		.amdhsa_fp16_overflow 0
		.amdhsa_workgroup_processor_mode 1
		.amdhsa_memory_ordered 1
		.amdhsa_forward_progress 0
		.amdhsa_shared_vgpr_count 0
		.amdhsa_exception_fp_ieee_invalid_op 0
		.amdhsa_exception_fp_denorm_src 0
		.amdhsa_exception_fp_ieee_div_zero 0
		.amdhsa_exception_fp_ieee_overflow 0
		.amdhsa_exception_fp_ieee_underflow 0
		.amdhsa_exception_fp_ieee_inexact 0
		.amdhsa_exception_int_div_zero 0
	.end_amdhsa_kernel
	.section	.text._ZN9rocsolver6v33100L23getf2_npvt_small_kernelILi35E19rocblas_complex_numIdEiiPKPS3_EEvT1_T3_lS7_lPT2_S7_S7_,"axG",@progbits,_ZN9rocsolver6v33100L23getf2_npvt_small_kernelILi35E19rocblas_complex_numIdEiiPKPS3_EEvT1_T3_lS7_lPT2_S7_S7_,comdat
.Lfunc_end69:
	.size	_ZN9rocsolver6v33100L23getf2_npvt_small_kernelILi35E19rocblas_complex_numIdEiiPKPS3_EEvT1_T3_lS7_lPT2_S7_S7_, .Lfunc_end69-_ZN9rocsolver6v33100L23getf2_npvt_small_kernelILi35E19rocblas_complex_numIdEiiPKPS3_EEvT1_T3_lS7_lPT2_S7_S7_
                                        ; -- End function
	.section	.AMDGPU.csdata,"",@progbits
; Kernel info:
; codeLenInByte = 75764
; NumSgprs: 18
; NumVgprs: 256
; ScratchSize: 428
; MemoryBound: 1
; FloatMode: 240
; IeeeMode: 1
; LDSByteSize: 0 bytes/workgroup (compile time only)
; SGPRBlocks: 2
; VGPRBlocks: 31
; NumSGPRsForWavesPerEU: 18
; NumVGPRsForWavesPerEU: 256
; Occupancy: 5
; WaveLimiterHint : 1
; COMPUTE_PGM_RSRC2:SCRATCH_EN: 1
; COMPUTE_PGM_RSRC2:USER_SGPR: 14
; COMPUTE_PGM_RSRC2:TRAP_HANDLER: 0
; COMPUTE_PGM_RSRC2:TGID_X_EN: 1
; COMPUTE_PGM_RSRC2:TGID_Y_EN: 1
; COMPUTE_PGM_RSRC2:TGID_Z_EN: 0
; COMPUTE_PGM_RSRC2:TIDIG_COMP_CNT: 1
	.section	.text._ZN9rocsolver6v33100L18getf2_small_kernelILi36E19rocblas_complex_numIdEiiPKPS3_EEvT1_T3_lS7_lPS7_llPT2_S7_S7_S9_l,"axG",@progbits,_ZN9rocsolver6v33100L18getf2_small_kernelILi36E19rocblas_complex_numIdEiiPKPS3_EEvT1_T3_lS7_lPS7_llPT2_S7_S7_S9_l,comdat
	.globl	_ZN9rocsolver6v33100L18getf2_small_kernelILi36E19rocblas_complex_numIdEiiPKPS3_EEvT1_T3_lS7_lPS7_llPT2_S7_S7_S9_l ; -- Begin function _ZN9rocsolver6v33100L18getf2_small_kernelILi36E19rocblas_complex_numIdEiiPKPS3_EEvT1_T3_lS7_lPS7_llPT2_S7_S7_S9_l
	.p2align	8
	.type	_ZN9rocsolver6v33100L18getf2_small_kernelILi36E19rocblas_complex_numIdEiiPKPS3_EEvT1_T3_lS7_lPS7_llPT2_S7_S7_S9_l,@function
_ZN9rocsolver6v33100L18getf2_small_kernelILi36E19rocblas_complex_numIdEiiPKPS3_EEvT1_T3_lS7_lPS7_llPT2_S7_S7_S9_l: ; @_ZN9rocsolver6v33100L18getf2_small_kernelILi36E19rocblas_complex_numIdEiiPKPS3_EEvT1_T3_lS7_lPS7_llPT2_S7_S7_S9_l
; %bb.0:
	s_clause 0x1
	s_load_b32 s2, s[0:1], 0x6c
	s_load_b64 s[12:13], s[0:1], 0x48
	v_bfe_u32 v144, v0, 10, 10
	s_waitcnt lgkmcnt(0)
	s_lshr_b32 s2, s2, 16
	s_delay_alu instid0(VALU_DEP_1) | instid1(SALU_CYCLE_1)
	v_mad_u64_u32 v[148:149], null, s15, s2, v[144:145]
	s_mov_b32 s2, exec_lo
	s_delay_alu instid0(VALU_DEP_1)
	v_cmpx_gt_i32_e64 s12, v148
	s_cbranch_execz .LBB70_759
; %bb.1:
	s_clause 0x1
	s_load_b128 s[4:7], s[0:1], 0x8
	s_load_b128 s[8:11], s[0:1], 0x50
	v_ashrrev_i32_e32 v149, 31, v148
	v_mov_b32_e32 v150, 0
	v_mov_b32_e32 v151, 0
	s_delay_alu instid0(VALU_DEP_3) | instskip(SKIP_1) | instid1(VALU_DEP_1)
	v_lshlrev_b64 v[1:2], 3, v[148:149]
	s_waitcnt lgkmcnt(0)
	v_add_co_u32 v1, vcc_lo, s4, v1
	s_delay_alu instid0(VALU_DEP_2)
	v_add_co_ci_u32_e32 v2, vcc_lo, s5, v2, vcc_lo
	s_cmp_eq_u64 s[8:9], 0
	s_cselect_b32 s4, -1, 0
	global_load_b64 v[1:2], v[1:2], off
	s_and_b32 vcc_lo, exec_lo, s4
	s_cbranch_vccnz .LBB70_3
; %bb.2:
	v_mul_lo_u32 v5, v149, s10
	v_mul_lo_u32 v6, v148, s11
	v_mad_u64_u32 v[3:4], null, v148, s10, 0
	s_delay_alu instid0(VALU_DEP_1) | instskip(NEXT) | instid1(VALU_DEP_1)
	v_add3_u32 v4, v4, v6, v5
	v_lshlrev_b64 v[3:4], 2, v[3:4]
	s_delay_alu instid0(VALU_DEP_1) | instskip(NEXT) | instid1(VALU_DEP_2)
	v_add_co_u32 v150, vcc_lo, s8, v3
	v_add_co_ci_u32_e32 v151, vcc_lo, s9, v4, vcc_lo
.LBB70_3:
	s_clause 0x1
	s_load_b32 s8, s[0:1], 0x18
	s_load_b32 s5, s[0:1], 0x0
	v_and_b32_e32 v158, 0x3ff, v0
	s_lshl_b64 s[2:3], s[6:7], 4
	s_waitcnt vmcnt(0)
	v_add_co_u32 v155, vcc_lo, v1, s2
	s_delay_alu instid0(VALU_DEP_2) | instskip(SKIP_1) | instid1(VALU_DEP_2)
	v_lshlrev_b32_e32 v145, 4, v158
	v_add_co_ci_u32_e32 v156, vcc_lo, s3, v2, vcc_lo
	v_add_co_u32 v2, vcc_lo, v155, v145
	s_delay_alu instid0(VALU_DEP_2)
	v_add_co_ci_u32_e32 v3, vcc_lo, 0, v156, vcc_lo
	s_waitcnt lgkmcnt(0)
	v_add3_u32 v0, s8, s8, v158
	s_ashr_i32 s9, s8, 31
	s_max_i32 s2, s5, 36
	s_lshl_b64 s[10:11], s[8:9], 4
	s_cmp_lt_i32 s5, 2
	v_add_nc_u32_e32 v4, s8, v0
	v_add_co_u32 v6, vcc_lo, v2, s10
	v_ashrrev_i32_e32 v1, 31, v0
	v_add_co_ci_u32_e32 v7, vcc_lo, s11, v3, vcc_lo
	s_delay_alu instid0(VALU_DEP_4) | instskip(SKIP_1) | instid1(VALU_DEP_4)
	v_ashrrev_i32_e32 v5, 31, v4
	v_add_nc_u32_e32 v8, s8, v4
	v_lshlrev_b64 v[0:1], 4, v[0:1]
	s_clause 0x1
	global_load_b128 v[52:55], v[2:3], off
	global_load_b128 v[40:43], v[6:7], off
	v_lshlrev_b64 v[2:3], 4, v[4:5]
	v_ashrrev_i32_e32 v9, 31, v8
	v_add_nc_u32_e32 v4, s8, v8
	v_add_co_u32 v0, vcc_lo, v155, v0
	v_add_co_ci_u32_e32 v1, vcc_lo, v156, v1, vcc_lo
	s_delay_alu instid0(VALU_DEP_4) | instskip(NEXT) | instid1(VALU_DEP_4)
	v_lshlrev_b64 v[6:7], 4, v[8:9]
	v_add_nc_u32_e32 v8, s8, v4
	v_ashrrev_i32_e32 v5, 31, v4
	v_add_co_u32 v2, vcc_lo, v155, v2
	v_add_co_ci_u32_e32 v3, vcc_lo, v156, v3, vcc_lo
	s_delay_alu instid0(VALU_DEP_4) | instskip(NEXT) | instid1(VALU_DEP_4)
	v_add_nc_u32_e32 v10, s8, v8
	v_lshlrev_b64 v[4:5], 4, v[4:5]
	v_ashrrev_i32_e32 v9, 31, v8
	s_clause 0x1
	global_load_b128 v[128:131], v[0:1], off
	global_load_b128 v[124:127], v[2:3], off
	v_add_co_u32 v0, vcc_lo, v155, v6
	v_ashrrev_i32_e32 v11, 31, v10
	v_add_nc_u32_e32 v6, s8, v10
	v_add_co_ci_u32_e32 v1, vcc_lo, v156, v7, vcc_lo
	v_lshlrev_b64 v[2:3], 4, v[8:9]
	v_add_co_u32 v4, vcc_lo, v155, v4
	v_lshlrev_b64 v[8:9], 4, v[10:11]
	v_add_nc_u32_e32 v10, s8, v6
	v_add_co_ci_u32_e32 v5, vcc_lo, v156, v5, vcc_lo
	v_ashrrev_i32_e32 v7, 31, v6
	s_clause 0x1
	global_load_b128 v[112:115], v[0:1], off
	global_load_b128 v[108:111], v[4:5], off
	v_add_co_u32 v0, vcc_lo, v155, v2
	v_ashrrev_i32_e32 v11, 31, v10
	v_add_nc_u32_e32 v4, s8, v10
	v_add_co_ci_u32_e32 v1, vcc_lo, v156, v3, vcc_lo
	v_lshlrev_b64 v[2:3], 4, v[6:7]
	v_add_co_u32 v6, vcc_lo, v155, v8
	v_add_co_ci_u32_e32 v7, vcc_lo, v156, v9, vcc_lo
	v_lshlrev_b64 v[8:9], 4, v[10:11]
	v_add_nc_u32_e32 v10, s8, v4
	v_ashrrev_i32_e32 v5, 31, v4
	v_add_co_u32 v2, vcc_lo, v155, v2
	v_add_co_ci_u32_e32 v3, vcc_lo, v156, v3, vcc_lo
	s_delay_alu instid0(VALU_DEP_4) | instskip(SKIP_3) | instid1(VALU_DEP_4)
	v_add_nc_u32_e32 v12, s8, v10
	v_ashrrev_i32_e32 v11, 31, v10
	v_lshlrev_b64 v[4:5], 4, v[4:5]
	v_add_co_u32 v8, vcc_lo, v155, v8
	v_add_nc_u32_e32 v14, s8, v12
	v_ashrrev_i32_e32 v13, 31, v12
	v_lshlrev_b64 v[10:11], 4, v[10:11]
	v_add_co_ci_u32_e32 v9, vcc_lo, v156, v9, vcc_lo
	s_delay_alu instid0(VALU_DEP_4) | instskip(SKIP_3) | instid1(VALU_DEP_4)
	v_add_nc_u32_e32 v16, s8, v14
	v_ashrrev_i32_e32 v15, 31, v14
	v_add_co_u32 v4, vcc_lo, v155, v4
	v_lshlrev_b64 v[12:13], 4, v[12:13]
	v_add_nc_u32_e32 v18, s8, v16
	v_ashrrev_i32_e32 v17, 31, v16
	v_add_co_ci_u32_e32 v5, vcc_lo, v156, v5, vcc_lo
	v_add_co_u32 v10, vcc_lo, v155, v10
	s_delay_alu instid0(VALU_DEP_4) | instskip(SKIP_3) | instid1(VALU_DEP_4)
	v_add_nc_u32_e32 v20, s8, v18
	v_lshlrev_b64 v[14:15], 4, v[14:15]
	v_ashrrev_i32_e32 v19, 31, v18
	v_add_co_ci_u32_e32 v11, vcc_lo, v156, v11, vcc_lo
	v_add_nc_u32_e32 v22, s8, v20
	v_add_co_u32 v12, vcc_lo, v155, v12
	v_lshlrev_b64 v[16:17], 4, v[16:17]
	v_ashrrev_i32_e32 v21, 31, v20
	s_delay_alu instid0(VALU_DEP_4) | instskip(SKIP_2) | instid1(VALU_DEP_3)
	v_add_nc_u32_e32 v24, s8, v22
	v_add_co_ci_u32_e32 v13, vcc_lo, v156, v13, vcc_lo
	v_add_co_u32 v14, vcc_lo, v155, v14
	v_add_nc_u32_e32 v26, s8, v24
	v_lshlrev_b64 v[18:19], 4, v[18:19]
	v_ashrrev_i32_e32 v23, 31, v22
	v_add_co_ci_u32_e32 v15, vcc_lo, v156, v15, vcc_lo
	s_delay_alu instid0(VALU_DEP_4) | instskip(SKIP_3) | instid1(VALU_DEP_4)
	v_add_nc_u32_e32 v28, s8, v26
	v_add_co_u32 v16, vcc_lo, v155, v16
	v_lshlrev_b64 v[20:21], 4, v[20:21]
	v_ashrrev_i32_e32 v25, 31, v24
	v_add_nc_u32_e32 v30, s8, v28
	v_add_co_ci_u32_e32 v17, vcc_lo, v156, v17, vcc_lo
	v_add_co_u32 v18, vcc_lo, v155, v18
	s_delay_alu instid0(VALU_DEP_3) | instskip(SKIP_3) | instid1(VALU_DEP_4)
	v_add_nc_u32_e32 v32, s8, v30
	v_lshlrev_b64 v[22:23], 4, v[22:23]
	v_ashrrev_i32_e32 v27, 31, v26
	v_add_co_ci_u32_e32 v19, vcc_lo, v156, v19, vcc_lo
	v_add_nc_u32_e32 v34, s8, v32
	v_add_co_u32 v20, vcc_lo, v155, v20
	v_lshlrev_b64 v[24:25], 4, v[24:25]
	v_ashrrev_i32_e32 v29, 31, v28
	v_add_co_ci_u32_e32 v21, vcc_lo, v156, v21, vcc_lo
	v_add_nc_u32_e32 v36, s8, v34
	v_add_co_u32 v22, vcc_lo, v155, v22
	v_lshlrev_b64 v[26:27], 4, v[26:27]
	v_ashrrev_i32_e32 v31, 31, v30
	v_add_co_ci_u32_e32 v23, vcc_lo, v156, v23, vcc_lo
	v_add_co_u32 v24, vcc_lo, v155, v24
	v_lshlrev_b64 v[28:29], 4, v[28:29]
	v_ashrrev_i32_e32 v33, 31, v32
	v_add_nc_u32_e32 v38, s8, v36
	v_add_co_ci_u32_e32 v25, vcc_lo, v156, v25, vcc_lo
	v_add_co_u32 v26, vcc_lo, v155, v26
	v_lshlrev_b64 v[30:31], 4, v[30:31]
	v_ashrrev_i32_e32 v35, 31, v34
	v_add_co_ci_u32_e32 v27, vcc_lo, v156, v27, vcc_lo
	v_add_co_u32 v28, vcc_lo, v155, v28
	v_lshlrev_b64 v[32:33], 4, v[32:33]
	v_add_nc_u32_e32 v44, s8, v38
	v_ashrrev_i32_e32 v37, 31, v36
	v_add_co_ci_u32_e32 v29, vcc_lo, v156, v29, vcc_lo
	v_add_co_u32 v30, vcc_lo, v155, v30
	v_lshlrev_b64 v[34:35], 4, v[34:35]
	v_ashrrev_i32_e32 v39, 31, v38
	v_add_co_ci_u32_e32 v31, vcc_lo, v156, v31, vcc_lo
	v_add_nc_u32_e32 v46, s8, v44
	v_add_co_u32 v32, vcc_lo, v155, v32
	v_lshlrev_b64 v[36:37], 4, v[36:37]
	v_ashrrev_i32_e32 v45, 31, v44
	v_add_co_ci_u32_e32 v33, vcc_lo, v156, v33, vcc_lo
	v_add_co_u32 v34, vcc_lo, v155, v34
	v_lshlrev_b64 v[38:39], 4, v[38:39]
	v_add_nc_u32_e32 v48, s8, v46
	v_add_co_ci_u32_e32 v35, vcc_lo, v156, v35, vcc_lo
	v_add_co_u32 v36, vcc_lo, v155, v36
	v_lshlrev_b64 v[44:45], 4, v[44:45]
	v_ashrrev_i32_e32 v47, 31, v46
	v_add_co_ci_u32_e32 v37, vcc_lo, v156, v37, vcc_lo
	v_add_co_u32 v38, vcc_lo, v155, v38
	v_ashrrev_i32_e32 v49, 31, v48
	v_add_nc_u32_e32 v50, s8, v48
	v_add_co_ci_u32_e32 v39, vcc_lo, v156, v39, vcc_lo
	v_lshlrev_b64 v[46:47], 4, v[46:47]
	v_add_co_u32 v146, vcc_lo, v155, v44
	v_add_co_ci_u32_e32 v147, vcc_lo, v156, v45, vcc_lo
	v_lshlrev_b64 v[44:45], 4, v[48:49]
	v_ashrrev_i32_e32 v51, 31, v50
	v_add_nc_u32_e32 v48, s8, v50
	v_add_co_u32 v152, vcc_lo, v155, v46
	v_add_co_ci_u32_e32 v153, vcc_lo, v156, v47, vcc_lo
	s_delay_alu instid0(VALU_DEP_4) | instskip(NEXT) | instid1(VALU_DEP_4)
	v_lshlrev_b64 v[46:47], 4, v[50:51]
	v_ashrrev_i32_e32 v49, 31, v48
	v_add_nc_u32_e32 v50, s8, v48
	v_add_co_u32 v159, vcc_lo, v155, v44
	v_add_co_ci_u32_e32 v160, vcc_lo, v156, v45, vcc_lo
	s_delay_alu instid0(VALU_DEP_4) | instskip(NEXT) | instid1(VALU_DEP_4)
	;; [unrolled: 6-line block ×5, first 2 shown]
	v_lshlrev_b64 v[46:47], 4, v[50:51]
	v_add_nc_u32_e32 v50, s8, v48
	v_ashrrev_i32_e32 v49, 31, v48
	v_add_co_u32 v167, vcc_lo, v155, v44
	v_add_co_ci_u32_e32 v168, vcc_lo, v156, v45, vcc_lo
	s_delay_alu instid0(VALU_DEP_4) | instskip(NEXT) | instid1(VALU_DEP_4)
	v_ashrrev_i32_e32 v51, 31, v50
	v_lshlrev_b64 v[44:45], 4, v[48:49]
	v_add_co_u32 v169, vcc_lo, v155, v46
	v_add_co_ci_u32_e32 v170, vcc_lo, v156, v47, vcc_lo
	s_delay_alu instid0(VALU_DEP_4) | instskip(NEXT) | instid1(VALU_DEP_4)
	v_lshlrev_b64 v[46:47], 4, v[50:51]
	v_add_co_u32 v171, vcc_lo, v155, v44
	v_add_co_ci_u32_e32 v172, vcc_lo, v156, v45, vcc_lo
	s_delay_alu instid0(VALU_DEP_3) | instskip(NEXT) | instid1(VALU_DEP_4)
	v_add_co_u32 v173, vcc_lo, v155, v46
	v_add_co_ci_u32_e32 v174, vcc_lo, v156, v47, vcc_lo
	s_clause 0x1d
	global_load_b128 v[140:143], v[0:1], off
	global_load_b128 v[136:139], v[6:7], off
	;; [unrolled: 1-line block ×30, first 2 shown]
	v_mul_lo_u32 v152, s2, v144
	s_delay_alu instid0(VALU_DEP_1) | instskip(SKIP_1) | instid1(VALU_DEP_2)
	v_lshl_add_u32 v154, v152, 4, 0
	v_dual_mov_b32 v152, 0 :: v_dual_lshlrev_b32 v159, 4, v152
	v_add_nc_u32_e32 v144, v154, v145
	s_waitcnt vmcnt(35)
	ds_store_2addr_b64 v144, v[52:53], v[54:55] offset1:1
	s_waitcnt vmcnt(0) lgkmcnt(0)
	s_barrier
	buffer_gl0_inv
	ds_load_2addr_b64 v[144:147], v154 offset1:1
	s_cbranch_scc1 .LBB70_6
; %bb.4:
	v_add3_u32 v153, v159, 0, 16
	v_mov_b32_e32 v152, 0
	s_mov_b32 s6, 1
	s_set_inst_prefetch_distance 0x1
	.p2align	6
.LBB70_5:                               ; =>This Inner Loop Header: Depth=1
	ds_load_2addr_b64 v[160:163], v153 offset1:1
	s_waitcnt lgkmcnt(1)
	v_cmp_gt_f64_e32 vcc_lo, 0, v[144:145]
	v_xor_b32_e32 v157, 0x80000000, v145
	v_cmp_gt_f64_e64 s2, 0, v[146:147]
	v_xor_b32_e32 v164, 0x80000000, v147
	v_add_nc_u32_e32 v153, 16, v153
	s_waitcnt lgkmcnt(0)
	v_cmp_gt_f64_e64 s3, 0, v[160:161]
	v_mov_b32_e32 v168, v160
	v_dual_mov_b32 v170, v162 :: v_dual_cndmask_b32 v165, v145, v157
	v_xor_b32_e32 v157, 0x80000000, v161
	v_cndmask_b32_e64 v167, v147, v164, s2
	v_xor_b32_e32 v164, 0x80000000, v163
	v_cndmask_b32_e64 v166, v146, v146, s2
	s_delay_alu instid0(VALU_DEP_4) | instskip(SKIP_1) | instid1(VALU_DEP_1)
	v_cndmask_b32_e64 v169, v161, v157, s3
	v_cmp_gt_f64_e64 s3, 0, v[162:163]
	v_cndmask_b32_e64 v171, v163, v164, s3
	v_cndmask_b32_e32 v164, v144, v144, vcc_lo
	s_delay_alu instid0(VALU_DEP_2) | instskip(NEXT) | instid1(VALU_DEP_2)
	v_add_f64 v[168:169], v[168:169], v[170:171]
	v_add_f64 v[164:165], v[164:165], v[166:167]
	s_delay_alu instid0(VALU_DEP_1)
	v_cmp_lt_f64_e32 vcc_lo, v[164:165], v[168:169]
	v_cndmask_b32_e32 v147, v147, v163, vcc_lo
	v_dual_cndmask_b32 v145, v145, v161 :: v_dual_cndmask_b32 v144, v144, v160
	v_cndmask_b32_e32 v146, v146, v162, vcc_lo
	v_cndmask_b32_e64 v152, v152, s6, vcc_lo
	s_add_i32 s6, s6, 1
	s_delay_alu instid0(SALU_CYCLE_1)
	s_cmp_eq_u32 s5, s6
	s_cbranch_scc0 .LBB70_5
.LBB70_6:
	s_set_inst_prefetch_distance 0x2
	s_waitcnt lgkmcnt(0)
	v_cmp_neq_f64_e32 vcc_lo, 0, v[144:145]
	v_cmp_neq_f64_e64 s2, 0, v[146:147]
	v_mov_b32_e32 v157, 1
	v_mov_b32_e32 v161, 1
	s_delay_alu instid0(VALU_DEP_3) | instskip(NEXT) | instid1(SALU_CYCLE_1)
	s_or_b32 s2, vcc_lo, s2
	s_and_saveexec_b32 s3, s2
	s_cbranch_execz .LBB70_12
; %bb.7:
	v_cmp_gt_f64_e32 vcc_lo, 0, v[144:145]
	v_cmp_gt_f64_e64 s2, 0, v[146:147]
	v_xor_b32_e32 v153, 0x80000000, v145
	v_xor_b32_e32 v157, 0x80000000, v147
                                        ; implicit-def: $sgpr6
                                        ; implicit-def: $sgpr7
	s_delay_alu instid0(VALU_DEP_2) | instskip(NEXT) | instid1(VALU_DEP_2)
	v_dual_cndmask_b32 v161, v145, v153 :: v_dual_cndmask_b32 v160, v144, v144
	v_cndmask_b32_e64 v163, v147, v157, s2
	v_cndmask_b32_e64 v162, v146, v146, s2
	s_mov_b32 s2, exec_lo
	s_delay_alu instid0(VALU_DEP_1)
	v_cmpx_ngt_f64_e32 v[160:161], v[162:163]
	s_xor_b32 s2, exec_lo, s2
	s_cbranch_execz .LBB70_9
; %bb.8:
	v_div_scale_f64 v[160:161], null, v[146:147], v[146:147], v[144:145]
	v_div_scale_f64 v[166:167], vcc_lo, v[144:145], v[146:147], v[144:145]
	s_mov_b32 s7, 2
	s_mov_b32 s6, 0
	s_delay_alu instid0(VALU_DEP_2) | instskip(SKIP_2) | instid1(VALU_DEP_1)
	v_rcp_f64_e32 v[162:163], v[160:161]
	s_waitcnt_depctr 0xfff
	v_fma_f64 v[164:165], -v[160:161], v[162:163], 1.0
	v_fma_f64 v[162:163], v[162:163], v[164:165], v[162:163]
	s_delay_alu instid0(VALU_DEP_1) | instskip(NEXT) | instid1(VALU_DEP_1)
	v_fma_f64 v[164:165], -v[160:161], v[162:163], 1.0
	v_fma_f64 v[162:163], v[162:163], v[164:165], v[162:163]
	s_delay_alu instid0(VALU_DEP_1) | instskip(NEXT) | instid1(VALU_DEP_1)
	v_mul_f64 v[164:165], v[166:167], v[162:163]
	v_fma_f64 v[160:161], -v[160:161], v[164:165], v[166:167]
	s_delay_alu instid0(VALU_DEP_1) | instskip(NEXT) | instid1(VALU_DEP_1)
	v_div_fmas_f64 v[160:161], v[160:161], v[162:163], v[164:165]
	v_div_fixup_f64 v[160:161], v[160:161], v[146:147], v[144:145]
	s_delay_alu instid0(VALU_DEP_1) | instskip(NEXT) | instid1(VALU_DEP_1)
	v_fma_f64 v[144:145], v[144:145], v[160:161], v[146:147]
	v_div_scale_f64 v[146:147], null, v[144:145], v[144:145], 1.0
	s_delay_alu instid0(VALU_DEP_1) | instskip(SKIP_2) | instid1(VALU_DEP_1)
	v_rcp_f64_e32 v[162:163], v[146:147]
	s_waitcnt_depctr 0xfff
	v_fma_f64 v[164:165], -v[146:147], v[162:163], 1.0
	v_fma_f64 v[162:163], v[162:163], v[164:165], v[162:163]
	s_delay_alu instid0(VALU_DEP_1) | instskip(NEXT) | instid1(VALU_DEP_1)
	v_fma_f64 v[164:165], -v[146:147], v[162:163], 1.0
	v_fma_f64 v[162:163], v[162:163], v[164:165], v[162:163]
	v_div_scale_f64 v[164:165], vcc_lo, 1.0, v[144:145], 1.0
	s_delay_alu instid0(VALU_DEP_1) | instskip(NEXT) | instid1(VALU_DEP_1)
	v_mul_f64 v[166:167], v[164:165], v[162:163]
	v_fma_f64 v[146:147], -v[146:147], v[166:167], v[164:165]
	s_delay_alu instid0(VALU_DEP_1) | instskip(NEXT) | instid1(VALU_DEP_1)
	v_div_fmas_f64 v[146:147], v[146:147], v[162:163], v[166:167]
	v_div_fixup_f64 v[146:147], v[146:147], v[144:145], 1.0
	s_delay_alu instid0(VALU_DEP_1)
	v_mul_f64 v[144:145], v[160:161], v[146:147]
	v_xor_b32_e32 v147, 0x80000000, v147
.LBB70_9:
	s_or_saveexec_b32 s2, s2
	v_mov_b32_e32 v161, s6
	v_mov_b32_e32 v157, s7
	s_xor_b32 exec_lo, exec_lo, s2
	s_cbranch_execz .LBB70_11
; %bb.10:
	s_delay_alu instid0(VALU_DEP_4) | instskip(SKIP_2) | instid1(VALU_DEP_3)
	v_div_scale_f64 v[160:161], null, v[144:145], v[144:145], v[146:147]
	v_div_scale_f64 v[166:167], vcc_lo, v[146:147], v[144:145], v[146:147]
	v_mov_b32_e32 v157, 2
	v_rcp_f64_e32 v[162:163], v[160:161]
	s_waitcnt_depctr 0xfff
	v_fma_f64 v[164:165], -v[160:161], v[162:163], 1.0
	s_delay_alu instid0(VALU_DEP_1) | instskip(NEXT) | instid1(VALU_DEP_1)
	v_fma_f64 v[162:163], v[162:163], v[164:165], v[162:163]
	v_fma_f64 v[164:165], -v[160:161], v[162:163], 1.0
	s_delay_alu instid0(VALU_DEP_1) | instskip(NEXT) | instid1(VALU_DEP_1)
	v_fma_f64 v[162:163], v[162:163], v[164:165], v[162:163]
	v_mul_f64 v[164:165], v[166:167], v[162:163]
	s_delay_alu instid0(VALU_DEP_1) | instskip(NEXT) | instid1(VALU_DEP_1)
	v_fma_f64 v[160:161], -v[160:161], v[164:165], v[166:167]
	v_div_fmas_f64 v[160:161], v[160:161], v[162:163], v[164:165]
	s_delay_alu instid0(VALU_DEP_1) | instskip(NEXT) | instid1(VALU_DEP_1)
	v_div_fixup_f64 v[160:161], v[160:161], v[144:145], v[146:147]
	v_fma_f64 v[144:145], v[146:147], v[160:161], v[144:145]
	s_delay_alu instid0(VALU_DEP_1) | instskip(NEXT) | instid1(VALU_DEP_1)
	v_div_scale_f64 v[146:147], null, v[144:145], v[144:145], 1.0
	v_rcp_f64_e32 v[162:163], v[146:147]
	s_waitcnt_depctr 0xfff
	v_fma_f64 v[164:165], -v[146:147], v[162:163], 1.0
	s_delay_alu instid0(VALU_DEP_1) | instskip(NEXT) | instid1(VALU_DEP_1)
	v_fma_f64 v[162:163], v[162:163], v[164:165], v[162:163]
	v_fma_f64 v[164:165], -v[146:147], v[162:163], 1.0
	s_delay_alu instid0(VALU_DEP_1) | instskip(SKIP_1) | instid1(VALU_DEP_1)
	v_fma_f64 v[162:163], v[162:163], v[164:165], v[162:163]
	v_div_scale_f64 v[164:165], vcc_lo, 1.0, v[144:145], 1.0
	v_mul_f64 v[166:167], v[164:165], v[162:163]
	s_delay_alu instid0(VALU_DEP_1) | instskip(NEXT) | instid1(VALU_DEP_1)
	v_fma_f64 v[146:147], -v[146:147], v[166:167], v[164:165]
	v_div_fmas_f64 v[146:147], v[146:147], v[162:163], v[166:167]
	s_delay_alu instid0(VALU_DEP_1) | instskip(NEXT) | instid1(VALU_DEP_1)
	v_div_fixup_f64 v[144:145], v[146:147], v[144:145], 1.0
	v_mul_f64 v[146:147], v[160:161], -v[144:145]
	v_mov_b32_e32 v161, 0
.LBB70_11:
	s_or_b32 exec_lo, exec_lo, s2
.LBB70_12:
	s_delay_alu instid0(SALU_CYCLE_1) | instskip(NEXT) | instid1(SALU_CYCLE_1)
	s_or_b32 exec_lo, exec_lo, s3
	s_mov_b32 s2, exec_lo
	v_cmpx_ne_u32_e64 v158, v152
	s_xor_b32 s2, exec_lo, s2
	s_cbranch_execz .LBB70_18
; %bb.13:
	s_mov_b32 s3, exec_lo
	v_cmpx_eq_u32_e32 0, v158
	s_cbranch_execz .LBB70_17
; %bb.14:
	v_cmp_ne_u32_e32 vcc_lo, 0, v152
	s_xor_b32 s6, s4, -1
	s_delay_alu instid0(SALU_CYCLE_1) | instskip(NEXT) | instid1(SALU_CYCLE_1)
	s_and_b32 s7, s6, vcc_lo
	s_and_saveexec_b32 s6, s7
	s_cbranch_execz .LBB70_16
; %bb.15:
	v_ashrrev_i32_e32 v153, 31, v152
	s_delay_alu instid0(VALU_DEP_1) | instskip(NEXT) | instid1(VALU_DEP_1)
	v_lshlrev_b64 v[162:163], 2, v[152:153]
	v_add_co_u32 v162, vcc_lo, v150, v162
	s_delay_alu instid0(VALU_DEP_2)
	v_add_co_ci_u32_e32 v163, vcc_lo, v151, v163, vcc_lo
	s_clause 0x1
	flat_load_b32 v153, v[162:163]
	flat_load_b32 v158, v[150:151]
	s_waitcnt vmcnt(1) lgkmcnt(1)
	flat_store_b32 v[150:151], v153
	s_waitcnt vmcnt(0) lgkmcnt(1)
	flat_store_b32 v[162:163], v158
.LBB70_16:
	s_or_b32 exec_lo, exec_lo, s6
	v_mov_b32_e32 v158, v152
.LBB70_17:
	s_or_b32 exec_lo, exec_lo, s3
.LBB70_18:
	s_or_saveexec_b32 s2, s2
	s_delay_alu instid0(VALU_DEP_1)
	v_mov_b32_e32 v160, v158
	s_xor_b32 exec_lo, exec_lo, s2
	s_cbranch_execz .LBB70_20
; %bb.19:
	v_mov_b32_e32 v160, 0
	ds_store_2addr_b64 v154, v[40:41], v[42:43] offset0:2 offset1:3
	ds_store_2addr_b64 v154, v[128:129], v[130:131] offset0:4 offset1:5
	;; [unrolled: 1-line block ×35, first 2 shown]
.LBB70_20:
	s_or_b32 exec_lo, exec_lo, s2
	s_delay_alu instid0(SALU_CYCLE_1)
	s_mov_b32 s2, exec_lo
	s_waitcnt lgkmcnt(0)
	s_waitcnt_vscnt null, 0x0
	s_barrier
	buffer_gl0_inv
	v_cmpx_lt_i32_e32 0, v160
	s_cbranch_execz .LBB70_22
; %bb.21:
	v_mul_f64 v[152:153], v[146:147], v[54:55]
	v_mul_f64 v[54:55], v[144:145], v[54:55]
	s_delay_alu instid0(VALU_DEP_2) | instskip(NEXT) | instid1(VALU_DEP_2)
	v_fma_f64 v[152:153], v[144:145], v[52:53], -v[152:153]
	v_fma_f64 v[54:55], v[146:147], v[52:53], v[54:55]
	ds_load_2addr_b64 v[144:147], v154 offset0:2 offset1:3
	s_waitcnt lgkmcnt(0)
	v_mul_f64 v[52:53], v[146:147], v[54:55]
	s_delay_alu instid0(VALU_DEP_1) | instskip(SKIP_1) | instid1(VALU_DEP_2)
	v_fma_f64 v[52:53], v[144:145], v[152:153], -v[52:53]
	v_mul_f64 v[144:145], v[144:145], v[54:55]
	v_add_f64 v[40:41], v[40:41], -v[52:53]
	s_delay_alu instid0(VALU_DEP_2) | instskip(NEXT) | instid1(VALU_DEP_1)
	v_fma_f64 v[144:145], v[146:147], v[152:153], v[144:145]
	v_add_f64 v[42:43], v[42:43], -v[144:145]
	ds_load_2addr_b64 v[144:147], v154 offset0:4 offset1:5
	s_waitcnt lgkmcnt(0)
	v_mul_f64 v[52:53], v[146:147], v[54:55]
	s_delay_alu instid0(VALU_DEP_1) | instskip(SKIP_1) | instid1(VALU_DEP_2)
	v_fma_f64 v[52:53], v[144:145], v[152:153], -v[52:53]
	v_mul_f64 v[144:145], v[144:145], v[54:55]
	v_add_f64 v[128:129], v[128:129], -v[52:53]
	s_delay_alu instid0(VALU_DEP_2) | instskip(NEXT) | instid1(VALU_DEP_1)
	v_fma_f64 v[144:145], v[146:147], v[152:153], v[144:145]
	v_add_f64 v[130:131], v[130:131], -v[144:145]
	;; [unrolled: 10-line block ×34, first 2 shown]
	ds_load_2addr_b64 v[144:147], v154 offset0:70 offset1:71
	s_waitcnt lgkmcnt(0)
	v_mul_f64 v[52:53], v[146:147], v[54:55]
	s_delay_alu instid0(VALU_DEP_1) | instskip(SKIP_1) | instid1(VALU_DEP_2)
	v_fma_f64 v[52:53], v[144:145], v[152:153], -v[52:53]
	v_mul_f64 v[144:145], v[144:145], v[54:55]
	v_add_f64 v[0:1], v[0:1], -v[52:53]
	s_delay_alu instid0(VALU_DEP_2) | instskip(SKIP_1) | instid1(VALU_DEP_2)
	v_fma_f64 v[144:145], v[146:147], v[152:153], v[144:145]
	v_dual_mov_b32 v52, v152 :: v_dual_mov_b32 v53, v153
	v_add_f64 v[2:3], v[2:3], -v[144:145]
.LBB70_22:
	s_or_b32 exec_lo, exec_lo, s2
	v_lshl_add_u32 v144, v160, 4, v154
	s_barrier
	buffer_gl0_inv
	v_mov_b32_e32 v152, 1
	ds_store_2addr_b64 v144, v[40:41], v[42:43] offset1:1
	s_waitcnt lgkmcnt(0)
	s_barrier
	buffer_gl0_inv
	ds_load_2addr_b64 v[144:147], v154 offset0:2 offset1:3
	s_cmp_lt_i32 s5, 3
	s_cbranch_scc1 .LBB70_25
; %bb.23:
	v_add3_u32 v153, v159, 0, 32
	v_mov_b32_e32 v152, 1
	s_mov_b32 s6, 2
	s_set_inst_prefetch_distance 0x1
	.p2align	6
.LBB70_24:                              ; =>This Inner Loop Header: Depth=1
	ds_load_2addr_b64 v[162:165], v153 offset1:1
	s_waitcnt lgkmcnt(1)
	v_cmp_gt_f64_e32 vcc_lo, 0, v[144:145]
	v_xor_b32_e32 v166, 0x80000000, v145
	v_cmp_gt_f64_e64 s2, 0, v[146:147]
	v_xor_b32_e32 v168, 0x80000000, v147
	v_add_nc_u32_e32 v153, 16, v153
	s_waitcnt lgkmcnt(0)
	v_cmp_gt_f64_e64 s3, 0, v[162:163]
	v_mov_b32_e32 v170, v162
	v_dual_mov_b32 v172, v164 :: v_dual_cndmask_b32 v167, v145, v166
	v_xor_b32_e32 v166, 0x80000000, v163
	v_cndmask_b32_e64 v169, v147, v168, s2
	v_xor_b32_e32 v168, 0x80000000, v165
	s_delay_alu instid0(VALU_DEP_3) | instskip(SKIP_2) | instid1(VALU_DEP_2)
	v_cndmask_b32_e64 v171, v163, v166, s3
	v_cmp_gt_f64_e64 s3, 0, v[164:165]
	v_cndmask_b32_e32 v166, v144, v144, vcc_lo
	v_cndmask_b32_e64 v173, v165, v168, s3
	v_cndmask_b32_e64 v168, v146, v146, s2
	s_delay_alu instid0(VALU_DEP_2) | instskip(NEXT) | instid1(VALU_DEP_2)
	v_add_f64 v[170:171], v[170:171], v[172:173]
	v_add_f64 v[166:167], v[166:167], v[168:169]
	s_delay_alu instid0(VALU_DEP_1)
	v_cmp_lt_f64_e32 vcc_lo, v[166:167], v[170:171]
	v_cndmask_b32_e32 v147, v147, v165, vcc_lo
	v_dual_cndmask_b32 v145, v145, v163 :: v_dual_cndmask_b32 v144, v144, v162
	v_cndmask_b32_e32 v146, v146, v164, vcc_lo
	v_cndmask_b32_e64 v152, v152, s6, vcc_lo
	s_add_i32 s6, s6, 1
	s_delay_alu instid0(SALU_CYCLE_1)
	s_cmp_lg_u32 s5, s6
	s_cbranch_scc1 .LBB70_24
.LBB70_25:
	s_set_inst_prefetch_distance 0x2
	s_waitcnt lgkmcnt(0)
	v_cmp_neq_f64_e32 vcc_lo, 0, v[144:145]
	v_cmp_neq_f64_e64 s2, 0, v[146:147]
	s_delay_alu instid0(VALU_DEP_1) | instskip(NEXT) | instid1(SALU_CYCLE_1)
	s_or_b32 s2, vcc_lo, s2
	s_and_saveexec_b32 s3, s2
	s_cbranch_execz .LBB70_31
; %bb.26:
	v_cmp_gt_f64_e32 vcc_lo, 0, v[144:145]
	v_cmp_gt_f64_e64 s2, 0, v[146:147]
	v_xor_b32_e32 v153, 0x80000000, v145
	v_xor_b32_e32 v157, 0x80000000, v147
	s_delay_alu instid0(VALU_DEP_2) | instskip(NEXT) | instid1(VALU_DEP_2)
	v_dual_cndmask_b32 v163, v145, v153 :: v_dual_cndmask_b32 v162, v144, v144
	v_cndmask_b32_e64 v165, v147, v157, s2
	v_cndmask_b32_e64 v164, v146, v146, s2
	s_mov_b32 s2, exec_lo
	s_delay_alu instid0(VALU_DEP_1)
	v_cmpx_ngt_f64_e32 v[162:163], v[164:165]
	s_xor_b32 s2, exec_lo, s2
	s_cbranch_execz .LBB70_28
; %bb.27:
	v_div_scale_f64 v[162:163], null, v[146:147], v[146:147], v[144:145]
	v_div_scale_f64 v[168:169], vcc_lo, v[144:145], v[146:147], v[144:145]
	s_delay_alu instid0(VALU_DEP_2) | instskip(SKIP_2) | instid1(VALU_DEP_1)
	v_rcp_f64_e32 v[164:165], v[162:163]
	s_waitcnt_depctr 0xfff
	v_fma_f64 v[166:167], -v[162:163], v[164:165], 1.0
	v_fma_f64 v[164:165], v[164:165], v[166:167], v[164:165]
	s_delay_alu instid0(VALU_DEP_1) | instskip(NEXT) | instid1(VALU_DEP_1)
	v_fma_f64 v[166:167], -v[162:163], v[164:165], 1.0
	v_fma_f64 v[164:165], v[164:165], v[166:167], v[164:165]
	s_delay_alu instid0(VALU_DEP_1) | instskip(NEXT) | instid1(VALU_DEP_1)
	v_mul_f64 v[166:167], v[168:169], v[164:165]
	v_fma_f64 v[162:163], -v[162:163], v[166:167], v[168:169]
	s_delay_alu instid0(VALU_DEP_1) | instskip(NEXT) | instid1(VALU_DEP_1)
	v_div_fmas_f64 v[162:163], v[162:163], v[164:165], v[166:167]
	v_div_fixup_f64 v[162:163], v[162:163], v[146:147], v[144:145]
	s_delay_alu instid0(VALU_DEP_1) | instskip(NEXT) | instid1(VALU_DEP_1)
	v_fma_f64 v[144:145], v[144:145], v[162:163], v[146:147]
	v_div_scale_f64 v[146:147], null, v[144:145], v[144:145], 1.0
	s_delay_alu instid0(VALU_DEP_1) | instskip(SKIP_2) | instid1(VALU_DEP_1)
	v_rcp_f64_e32 v[164:165], v[146:147]
	s_waitcnt_depctr 0xfff
	v_fma_f64 v[166:167], -v[146:147], v[164:165], 1.0
	v_fma_f64 v[164:165], v[164:165], v[166:167], v[164:165]
	s_delay_alu instid0(VALU_DEP_1) | instskip(NEXT) | instid1(VALU_DEP_1)
	v_fma_f64 v[166:167], -v[146:147], v[164:165], 1.0
	v_fma_f64 v[164:165], v[164:165], v[166:167], v[164:165]
	v_div_scale_f64 v[166:167], vcc_lo, 1.0, v[144:145], 1.0
	s_delay_alu instid0(VALU_DEP_1) | instskip(NEXT) | instid1(VALU_DEP_1)
	v_mul_f64 v[168:169], v[166:167], v[164:165]
	v_fma_f64 v[146:147], -v[146:147], v[168:169], v[166:167]
	s_delay_alu instid0(VALU_DEP_1) | instskip(NEXT) | instid1(VALU_DEP_1)
	v_div_fmas_f64 v[146:147], v[146:147], v[164:165], v[168:169]
	v_div_fixup_f64 v[146:147], v[146:147], v[144:145], 1.0
	s_delay_alu instid0(VALU_DEP_1)
	v_mul_f64 v[144:145], v[162:163], v[146:147]
	v_xor_b32_e32 v147, 0x80000000, v147
.LBB70_28:
	s_and_not1_saveexec_b32 s2, s2
	s_cbranch_execz .LBB70_30
; %bb.29:
	s_delay_alu instid0(VALU_DEP_1) | instskip(SKIP_1) | instid1(VALU_DEP_2)
	v_div_scale_f64 v[162:163], null, v[144:145], v[144:145], v[146:147]
	v_div_scale_f64 v[168:169], vcc_lo, v[146:147], v[144:145], v[146:147]
	v_rcp_f64_e32 v[164:165], v[162:163]
	s_waitcnt_depctr 0xfff
	v_fma_f64 v[166:167], -v[162:163], v[164:165], 1.0
	s_delay_alu instid0(VALU_DEP_1) | instskip(NEXT) | instid1(VALU_DEP_1)
	v_fma_f64 v[164:165], v[164:165], v[166:167], v[164:165]
	v_fma_f64 v[166:167], -v[162:163], v[164:165], 1.0
	s_delay_alu instid0(VALU_DEP_1) | instskip(NEXT) | instid1(VALU_DEP_1)
	v_fma_f64 v[164:165], v[164:165], v[166:167], v[164:165]
	v_mul_f64 v[166:167], v[168:169], v[164:165]
	s_delay_alu instid0(VALU_DEP_1) | instskip(NEXT) | instid1(VALU_DEP_1)
	v_fma_f64 v[162:163], -v[162:163], v[166:167], v[168:169]
	v_div_fmas_f64 v[162:163], v[162:163], v[164:165], v[166:167]
	s_delay_alu instid0(VALU_DEP_1) | instskip(NEXT) | instid1(VALU_DEP_1)
	v_div_fixup_f64 v[162:163], v[162:163], v[144:145], v[146:147]
	v_fma_f64 v[144:145], v[146:147], v[162:163], v[144:145]
	s_delay_alu instid0(VALU_DEP_1) | instskip(NEXT) | instid1(VALU_DEP_1)
	v_div_scale_f64 v[146:147], null, v[144:145], v[144:145], 1.0
	v_rcp_f64_e32 v[164:165], v[146:147]
	s_waitcnt_depctr 0xfff
	v_fma_f64 v[166:167], -v[146:147], v[164:165], 1.0
	s_delay_alu instid0(VALU_DEP_1) | instskip(NEXT) | instid1(VALU_DEP_1)
	v_fma_f64 v[164:165], v[164:165], v[166:167], v[164:165]
	v_fma_f64 v[166:167], -v[146:147], v[164:165], 1.0
	s_delay_alu instid0(VALU_DEP_1) | instskip(SKIP_1) | instid1(VALU_DEP_1)
	v_fma_f64 v[164:165], v[164:165], v[166:167], v[164:165]
	v_div_scale_f64 v[166:167], vcc_lo, 1.0, v[144:145], 1.0
	v_mul_f64 v[168:169], v[166:167], v[164:165]
	s_delay_alu instid0(VALU_DEP_1) | instskip(NEXT) | instid1(VALU_DEP_1)
	v_fma_f64 v[146:147], -v[146:147], v[168:169], v[166:167]
	v_div_fmas_f64 v[146:147], v[146:147], v[164:165], v[168:169]
	s_delay_alu instid0(VALU_DEP_1) | instskip(NEXT) | instid1(VALU_DEP_1)
	v_div_fixup_f64 v[144:145], v[146:147], v[144:145], 1.0
	v_mul_f64 v[146:147], v[162:163], -v[144:145]
.LBB70_30:
	s_or_b32 exec_lo, exec_lo, s2
	v_mov_b32_e32 v157, v161
.LBB70_31:
	s_or_b32 exec_lo, exec_lo, s3
	s_delay_alu instid0(SALU_CYCLE_1)
	s_mov_b32 s2, exec_lo
	v_cmpx_ne_u32_e64 v160, v152
	s_xor_b32 s2, exec_lo, s2
	s_cbranch_execz .LBB70_37
; %bb.32:
	s_mov_b32 s3, exec_lo
	v_cmpx_eq_u32_e32 1, v160
	s_cbranch_execz .LBB70_36
; %bb.33:
	v_cmp_ne_u32_e32 vcc_lo, 1, v152
	s_xor_b32 s6, s4, -1
	s_delay_alu instid0(SALU_CYCLE_1) | instskip(NEXT) | instid1(SALU_CYCLE_1)
	s_and_b32 s7, s6, vcc_lo
	s_and_saveexec_b32 s6, s7
	s_cbranch_execz .LBB70_35
; %bb.34:
	v_ashrrev_i32_e32 v153, 31, v152
	s_delay_alu instid0(VALU_DEP_1) | instskip(NEXT) | instid1(VALU_DEP_1)
	v_lshlrev_b64 v[160:161], 2, v[152:153]
	v_add_co_u32 v160, vcc_lo, v150, v160
	s_delay_alu instid0(VALU_DEP_2)
	v_add_co_ci_u32_e32 v161, vcc_lo, v151, v161, vcc_lo
	s_clause 0x1
	flat_load_b32 v153, v[160:161]
	flat_load_b32 v158, v[150:151] offset:4
	s_waitcnt vmcnt(1) lgkmcnt(1)
	flat_store_b32 v[150:151], v153 offset:4
	s_waitcnt vmcnt(0) lgkmcnt(1)
	flat_store_b32 v[160:161], v158
.LBB70_35:
	s_or_b32 exec_lo, exec_lo, s6
	v_mov_b32_e32 v160, v152
	v_mov_b32_e32 v158, v152
.LBB70_36:
	s_or_b32 exec_lo, exec_lo, s3
.LBB70_37:
	s_and_not1_saveexec_b32 s2, s2
	s_cbranch_execz .LBB70_39
; %bb.38:
	v_mov_b32_e32 v160, 1
	ds_store_2addr_b64 v154, v[128:129], v[130:131] offset0:4 offset1:5
	ds_store_2addr_b64 v154, v[124:125], v[126:127] offset0:6 offset1:7
	;; [unrolled: 1-line block ×34, first 2 shown]
.LBB70_39:
	s_or_b32 exec_lo, exec_lo, s2
	s_delay_alu instid0(SALU_CYCLE_1)
	s_mov_b32 s2, exec_lo
	s_waitcnt lgkmcnt(0)
	s_waitcnt_vscnt null, 0x0
	s_barrier
	buffer_gl0_inv
	v_cmpx_lt_i32_e32 1, v160
	s_cbranch_execz .LBB70_41
; %bb.40:
	v_mul_f64 v[152:153], v[146:147], v[42:43]
	v_mul_f64 v[42:43], v[144:145], v[42:43]
	s_delay_alu instid0(VALU_DEP_2) | instskip(NEXT) | instid1(VALU_DEP_2)
	v_fma_f64 v[152:153], v[144:145], v[40:41], -v[152:153]
	v_fma_f64 v[42:43], v[146:147], v[40:41], v[42:43]
	ds_load_2addr_b64 v[144:147], v154 offset0:4 offset1:5
	s_waitcnt lgkmcnt(0)
	v_mul_f64 v[40:41], v[146:147], v[42:43]
	s_delay_alu instid0(VALU_DEP_1) | instskip(SKIP_1) | instid1(VALU_DEP_2)
	v_fma_f64 v[40:41], v[144:145], v[152:153], -v[40:41]
	v_mul_f64 v[144:145], v[144:145], v[42:43]
	v_add_f64 v[128:129], v[128:129], -v[40:41]
	s_delay_alu instid0(VALU_DEP_2) | instskip(NEXT) | instid1(VALU_DEP_1)
	v_fma_f64 v[144:145], v[146:147], v[152:153], v[144:145]
	v_add_f64 v[130:131], v[130:131], -v[144:145]
	ds_load_2addr_b64 v[144:147], v154 offset0:6 offset1:7
	s_waitcnt lgkmcnt(0)
	v_mul_f64 v[40:41], v[146:147], v[42:43]
	s_delay_alu instid0(VALU_DEP_1) | instskip(SKIP_1) | instid1(VALU_DEP_2)
	v_fma_f64 v[40:41], v[144:145], v[152:153], -v[40:41]
	v_mul_f64 v[144:145], v[144:145], v[42:43]
	v_add_f64 v[124:125], v[124:125], -v[40:41]
	s_delay_alu instid0(VALU_DEP_2) | instskip(NEXT) | instid1(VALU_DEP_1)
	v_fma_f64 v[144:145], v[146:147], v[152:153], v[144:145]
	v_add_f64 v[126:127], v[126:127], -v[144:145]
	;; [unrolled: 10-line block ×33, first 2 shown]
	ds_load_2addr_b64 v[144:147], v154 offset0:70 offset1:71
	s_waitcnt lgkmcnt(0)
	v_mul_f64 v[40:41], v[146:147], v[42:43]
	s_delay_alu instid0(VALU_DEP_1) | instskip(SKIP_1) | instid1(VALU_DEP_2)
	v_fma_f64 v[40:41], v[144:145], v[152:153], -v[40:41]
	v_mul_f64 v[144:145], v[144:145], v[42:43]
	v_add_f64 v[0:1], v[0:1], -v[40:41]
	s_delay_alu instid0(VALU_DEP_2) | instskip(SKIP_1) | instid1(VALU_DEP_2)
	v_fma_f64 v[144:145], v[146:147], v[152:153], v[144:145]
	v_dual_mov_b32 v40, v152 :: v_dual_mov_b32 v41, v153
	v_add_f64 v[2:3], v[2:3], -v[144:145]
.LBB70_41:
	s_or_b32 exec_lo, exec_lo, s2
	v_lshl_add_u32 v144, v160, 4, v154
	s_barrier
	buffer_gl0_inv
	v_mov_b32_e32 v152, 2
	ds_store_2addr_b64 v144, v[128:129], v[130:131] offset1:1
	s_waitcnt lgkmcnt(0)
	s_barrier
	buffer_gl0_inv
	ds_load_2addr_b64 v[144:147], v154 offset0:4 offset1:5
	s_cmp_lt_i32 s5, 4
	s_cbranch_scc1 .LBB70_44
; %bb.42:
	v_add3_u32 v153, v159, 0, 48
	v_mov_b32_e32 v152, 2
	s_mov_b32 s6, 3
	s_set_inst_prefetch_distance 0x1
	.p2align	6
.LBB70_43:                              ; =>This Inner Loop Header: Depth=1
	ds_load_2addr_b64 v[161:164], v153 offset1:1
	s_waitcnt lgkmcnt(1)
	v_cmp_gt_f64_e32 vcc_lo, 0, v[144:145]
	v_xor_b32_e32 v165, 0x80000000, v145
	v_cmp_gt_f64_e64 s2, 0, v[146:147]
	v_xor_b32_e32 v167, 0x80000000, v147
	v_add_nc_u32_e32 v153, 16, v153
	s_waitcnt lgkmcnt(0)
	v_cmp_gt_f64_e64 s3, 0, v[161:162]
	v_mov_b32_e32 v169, v161
	v_dual_mov_b32 v171, v163 :: v_dual_cndmask_b32 v166, v145, v165
	v_xor_b32_e32 v165, 0x80000000, v162
	v_cndmask_b32_e64 v168, v147, v167, s2
	v_xor_b32_e32 v167, 0x80000000, v164
	s_delay_alu instid0(VALU_DEP_3) | instskip(SKIP_2) | instid1(VALU_DEP_2)
	v_cndmask_b32_e64 v170, v162, v165, s3
	v_cmp_gt_f64_e64 s3, 0, v[163:164]
	v_cndmask_b32_e32 v165, v144, v144, vcc_lo
	v_cndmask_b32_e64 v172, v164, v167, s3
	v_cndmask_b32_e64 v167, v146, v146, s2
	s_delay_alu instid0(VALU_DEP_2) | instskip(NEXT) | instid1(VALU_DEP_2)
	v_add_f64 v[169:170], v[169:170], v[171:172]
	v_add_f64 v[165:166], v[165:166], v[167:168]
	s_delay_alu instid0(VALU_DEP_1) | instskip(SKIP_4) | instid1(SALU_CYCLE_1)
	v_cmp_lt_f64_e32 vcc_lo, v[165:166], v[169:170]
	v_dual_cndmask_b32 v146, v146, v163 :: v_dual_cndmask_b32 v145, v145, v162
	v_dual_cndmask_b32 v144, v144, v161 :: v_dual_cndmask_b32 v147, v147, v164
	v_cndmask_b32_e64 v152, v152, s6, vcc_lo
	s_add_i32 s6, s6, 1
	s_cmp_lg_u32 s5, s6
	s_cbranch_scc1 .LBB70_43
.LBB70_44:
	s_set_inst_prefetch_distance 0x2
	s_waitcnt lgkmcnt(0)
	v_cmp_eq_f64_e32 vcc_lo, 0, v[144:145]
	v_cmp_eq_f64_e64 s2, 0, v[146:147]
	s_delay_alu instid0(VALU_DEP_1) | instskip(NEXT) | instid1(SALU_CYCLE_1)
	s_and_b32 s2, vcc_lo, s2
	s_and_saveexec_b32 s3, s2
	s_delay_alu instid0(SALU_CYCLE_1)
	s_xor_b32 s2, exec_lo, s3
; %bb.45:
	v_cmp_ne_u32_e32 vcc_lo, 0, v157
	v_cndmask_b32_e32 v157, 3, v157, vcc_lo
; %bb.46:
	s_and_not1_saveexec_b32 s3, s2
	s_cbranch_execz .LBB70_52
; %bb.47:
	v_cmp_gt_f64_e32 vcc_lo, 0, v[144:145]
	v_cmp_gt_f64_e64 s2, 0, v[146:147]
	v_xor_b32_e32 v153, 0x80000000, v145
	v_xor_b32_e32 v161, 0x80000000, v147
	s_delay_alu instid0(VALU_DEP_2) | instskip(NEXT) | instid1(VALU_DEP_2)
	v_cndmask_b32_e32 v162, v145, v153, vcc_lo
	v_cndmask_b32_e64 v164, v147, v161, s2
	v_cndmask_b32_e32 v161, v144, v144, vcc_lo
	v_cndmask_b32_e64 v163, v146, v146, s2
	s_mov_b32 s2, exec_lo
	s_delay_alu instid0(VALU_DEP_1)
	v_cmpx_ngt_f64_e32 v[161:162], v[163:164]
	s_xor_b32 s2, exec_lo, s2
	s_cbranch_execz .LBB70_49
; %bb.48:
	v_div_scale_f64 v[161:162], null, v[146:147], v[146:147], v[144:145]
	v_div_scale_f64 v[167:168], vcc_lo, v[144:145], v[146:147], v[144:145]
	s_delay_alu instid0(VALU_DEP_2) | instskip(SKIP_2) | instid1(VALU_DEP_1)
	v_rcp_f64_e32 v[163:164], v[161:162]
	s_waitcnt_depctr 0xfff
	v_fma_f64 v[165:166], -v[161:162], v[163:164], 1.0
	v_fma_f64 v[163:164], v[163:164], v[165:166], v[163:164]
	s_delay_alu instid0(VALU_DEP_1) | instskip(NEXT) | instid1(VALU_DEP_1)
	v_fma_f64 v[165:166], -v[161:162], v[163:164], 1.0
	v_fma_f64 v[163:164], v[163:164], v[165:166], v[163:164]
	s_delay_alu instid0(VALU_DEP_1) | instskip(NEXT) | instid1(VALU_DEP_1)
	v_mul_f64 v[165:166], v[167:168], v[163:164]
	v_fma_f64 v[161:162], -v[161:162], v[165:166], v[167:168]
	s_delay_alu instid0(VALU_DEP_1) | instskip(NEXT) | instid1(VALU_DEP_1)
	v_div_fmas_f64 v[161:162], v[161:162], v[163:164], v[165:166]
	v_div_fixup_f64 v[161:162], v[161:162], v[146:147], v[144:145]
	s_delay_alu instid0(VALU_DEP_1) | instskip(NEXT) | instid1(VALU_DEP_1)
	v_fma_f64 v[144:145], v[144:145], v[161:162], v[146:147]
	v_div_scale_f64 v[146:147], null, v[144:145], v[144:145], 1.0
	s_delay_alu instid0(VALU_DEP_1) | instskip(SKIP_2) | instid1(VALU_DEP_1)
	v_rcp_f64_e32 v[163:164], v[146:147]
	s_waitcnt_depctr 0xfff
	v_fma_f64 v[165:166], -v[146:147], v[163:164], 1.0
	v_fma_f64 v[163:164], v[163:164], v[165:166], v[163:164]
	s_delay_alu instid0(VALU_DEP_1) | instskip(NEXT) | instid1(VALU_DEP_1)
	v_fma_f64 v[165:166], -v[146:147], v[163:164], 1.0
	v_fma_f64 v[163:164], v[163:164], v[165:166], v[163:164]
	v_div_scale_f64 v[165:166], vcc_lo, 1.0, v[144:145], 1.0
	s_delay_alu instid0(VALU_DEP_1) | instskip(NEXT) | instid1(VALU_DEP_1)
	v_mul_f64 v[167:168], v[165:166], v[163:164]
	v_fma_f64 v[146:147], -v[146:147], v[167:168], v[165:166]
	s_delay_alu instid0(VALU_DEP_1) | instskip(NEXT) | instid1(VALU_DEP_1)
	v_div_fmas_f64 v[146:147], v[146:147], v[163:164], v[167:168]
	v_div_fixup_f64 v[146:147], v[146:147], v[144:145], 1.0
	s_delay_alu instid0(VALU_DEP_1)
	v_mul_f64 v[144:145], v[161:162], v[146:147]
	v_xor_b32_e32 v147, 0x80000000, v147
.LBB70_49:
	s_and_not1_saveexec_b32 s2, s2
	s_cbranch_execz .LBB70_51
; %bb.50:
	s_delay_alu instid0(VALU_DEP_1) | instskip(SKIP_1) | instid1(VALU_DEP_2)
	v_div_scale_f64 v[161:162], null, v[144:145], v[144:145], v[146:147]
	v_div_scale_f64 v[167:168], vcc_lo, v[146:147], v[144:145], v[146:147]
	v_rcp_f64_e32 v[163:164], v[161:162]
	s_waitcnt_depctr 0xfff
	v_fma_f64 v[165:166], -v[161:162], v[163:164], 1.0
	s_delay_alu instid0(VALU_DEP_1) | instskip(NEXT) | instid1(VALU_DEP_1)
	v_fma_f64 v[163:164], v[163:164], v[165:166], v[163:164]
	v_fma_f64 v[165:166], -v[161:162], v[163:164], 1.0
	s_delay_alu instid0(VALU_DEP_1) | instskip(NEXT) | instid1(VALU_DEP_1)
	v_fma_f64 v[163:164], v[163:164], v[165:166], v[163:164]
	v_mul_f64 v[165:166], v[167:168], v[163:164]
	s_delay_alu instid0(VALU_DEP_1) | instskip(NEXT) | instid1(VALU_DEP_1)
	v_fma_f64 v[161:162], -v[161:162], v[165:166], v[167:168]
	v_div_fmas_f64 v[161:162], v[161:162], v[163:164], v[165:166]
	s_delay_alu instid0(VALU_DEP_1) | instskip(NEXT) | instid1(VALU_DEP_1)
	v_div_fixup_f64 v[161:162], v[161:162], v[144:145], v[146:147]
	v_fma_f64 v[144:145], v[146:147], v[161:162], v[144:145]
	s_delay_alu instid0(VALU_DEP_1) | instskip(NEXT) | instid1(VALU_DEP_1)
	v_div_scale_f64 v[146:147], null, v[144:145], v[144:145], 1.0
	v_rcp_f64_e32 v[163:164], v[146:147]
	s_waitcnt_depctr 0xfff
	v_fma_f64 v[165:166], -v[146:147], v[163:164], 1.0
	s_delay_alu instid0(VALU_DEP_1) | instskip(NEXT) | instid1(VALU_DEP_1)
	v_fma_f64 v[163:164], v[163:164], v[165:166], v[163:164]
	v_fma_f64 v[165:166], -v[146:147], v[163:164], 1.0
	s_delay_alu instid0(VALU_DEP_1) | instskip(SKIP_1) | instid1(VALU_DEP_1)
	v_fma_f64 v[163:164], v[163:164], v[165:166], v[163:164]
	v_div_scale_f64 v[165:166], vcc_lo, 1.0, v[144:145], 1.0
	v_mul_f64 v[167:168], v[165:166], v[163:164]
	s_delay_alu instid0(VALU_DEP_1) | instskip(NEXT) | instid1(VALU_DEP_1)
	v_fma_f64 v[146:147], -v[146:147], v[167:168], v[165:166]
	v_div_fmas_f64 v[146:147], v[146:147], v[163:164], v[167:168]
	s_delay_alu instid0(VALU_DEP_1) | instskip(NEXT) | instid1(VALU_DEP_1)
	v_div_fixup_f64 v[144:145], v[146:147], v[144:145], 1.0
	v_mul_f64 v[146:147], v[161:162], -v[144:145]
.LBB70_51:
	s_or_b32 exec_lo, exec_lo, s2
.LBB70_52:
	s_delay_alu instid0(SALU_CYCLE_1) | instskip(NEXT) | instid1(SALU_CYCLE_1)
	s_or_b32 exec_lo, exec_lo, s3
	s_mov_b32 s2, exec_lo
	v_cmpx_ne_u32_e64 v160, v152
	s_xor_b32 s2, exec_lo, s2
	s_cbranch_execz .LBB70_58
; %bb.53:
	s_mov_b32 s3, exec_lo
	v_cmpx_eq_u32_e32 2, v160
	s_cbranch_execz .LBB70_57
; %bb.54:
	v_cmp_ne_u32_e32 vcc_lo, 2, v152
	s_xor_b32 s6, s4, -1
	s_delay_alu instid0(SALU_CYCLE_1) | instskip(NEXT) | instid1(SALU_CYCLE_1)
	s_and_b32 s7, s6, vcc_lo
	s_and_saveexec_b32 s6, s7
	s_cbranch_execz .LBB70_56
; %bb.55:
	v_ashrrev_i32_e32 v153, 31, v152
	s_delay_alu instid0(VALU_DEP_1) | instskip(NEXT) | instid1(VALU_DEP_1)
	v_lshlrev_b64 v[160:161], 2, v[152:153]
	v_add_co_u32 v160, vcc_lo, v150, v160
	s_delay_alu instid0(VALU_DEP_2)
	v_add_co_ci_u32_e32 v161, vcc_lo, v151, v161, vcc_lo
	s_clause 0x1
	flat_load_b32 v153, v[160:161]
	flat_load_b32 v158, v[150:151] offset:8
	s_waitcnt vmcnt(1) lgkmcnt(1)
	flat_store_b32 v[150:151], v153 offset:8
	s_waitcnt vmcnt(0) lgkmcnt(1)
	flat_store_b32 v[160:161], v158
.LBB70_56:
	s_or_b32 exec_lo, exec_lo, s6
	v_mov_b32_e32 v160, v152
	v_mov_b32_e32 v158, v152
.LBB70_57:
	s_or_b32 exec_lo, exec_lo, s3
.LBB70_58:
	s_and_not1_saveexec_b32 s2, s2
	s_cbranch_execz .LBB70_60
; %bb.59:
	v_mov_b32_e32 v160, 2
	ds_store_2addr_b64 v154, v[124:125], v[126:127] offset0:6 offset1:7
	ds_store_2addr_b64 v154, v[112:113], v[114:115] offset0:8 offset1:9
	;; [unrolled: 1-line block ×33, first 2 shown]
.LBB70_60:
	s_or_b32 exec_lo, exec_lo, s2
	s_delay_alu instid0(SALU_CYCLE_1)
	s_mov_b32 s2, exec_lo
	s_waitcnt lgkmcnt(0)
	s_waitcnt_vscnt null, 0x0
	s_barrier
	buffer_gl0_inv
	v_cmpx_lt_i32_e32 2, v160
	s_cbranch_execz .LBB70_62
; %bb.61:
	v_mul_f64 v[152:153], v[146:147], v[130:131]
	v_mul_f64 v[130:131], v[144:145], v[130:131]
	s_delay_alu instid0(VALU_DEP_2) | instskip(NEXT) | instid1(VALU_DEP_2)
	v_fma_f64 v[152:153], v[144:145], v[128:129], -v[152:153]
	v_fma_f64 v[130:131], v[146:147], v[128:129], v[130:131]
	ds_load_2addr_b64 v[144:147], v154 offset0:6 offset1:7
	s_waitcnt lgkmcnt(0)
	v_mul_f64 v[128:129], v[146:147], v[130:131]
	s_delay_alu instid0(VALU_DEP_1) | instskip(SKIP_1) | instid1(VALU_DEP_2)
	v_fma_f64 v[128:129], v[144:145], v[152:153], -v[128:129]
	v_mul_f64 v[144:145], v[144:145], v[130:131]
	v_add_f64 v[124:125], v[124:125], -v[128:129]
	s_delay_alu instid0(VALU_DEP_2) | instskip(NEXT) | instid1(VALU_DEP_1)
	v_fma_f64 v[144:145], v[146:147], v[152:153], v[144:145]
	v_add_f64 v[126:127], v[126:127], -v[144:145]
	ds_load_2addr_b64 v[144:147], v154 offset0:8 offset1:9
	s_waitcnt lgkmcnt(0)
	v_mul_f64 v[128:129], v[146:147], v[130:131]
	s_delay_alu instid0(VALU_DEP_1) | instskip(SKIP_1) | instid1(VALU_DEP_2)
	v_fma_f64 v[128:129], v[144:145], v[152:153], -v[128:129]
	v_mul_f64 v[144:145], v[144:145], v[130:131]
	v_add_f64 v[112:113], v[112:113], -v[128:129]
	s_delay_alu instid0(VALU_DEP_2) | instskip(NEXT) | instid1(VALU_DEP_1)
	v_fma_f64 v[144:145], v[146:147], v[152:153], v[144:145]
	v_add_f64 v[114:115], v[114:115], -v[144:145]
	;; [unrolled: 10-line block ×32, first 2 shown]
	ds_load_2addr_b64 v[144:147], v154 offset0:70 offset1:71
	s_waitcnt lgkmcnt(0)
	v_mul_f64 v[128:129], v[146:147], v[130:131]
	s_delay_alu instid0(VALU_DEP_1) | instskip(SKIP_1) | instid1(VALU_DEP_2)
	v_fma_f64 v[128:129], v[144:145], v[152:153], -v[128:129]
	v_mul_f64 v[144:145], v[144:145], v[130:131]
	v_add_f64 v[0:1], v[0:1], -v[128:129]
	s_delay_alu instid0(VALU_DEP_2) | instskip(SKIP_1) | instid1(VALU_DEP_2)
	v_fma_f64 v[144:145], v[146:147], v[152:153], v[144:145]
	v_dual_mov_b32 v128, v152 :: v_dual_mov_b32 v129, v153
	v_add_f64 v[2:3], v[2:3], -v[144:145]
.LBB70_62:
	s_or_b32 exec_lo, exec_lo, s2
	v_lshl_add_u32 v144, v160, 4, v154
	s_barrier
	buffer_gl0_inv
	v_mov_b32_e32 v152, 3
	ds_store_2addr_b64 v144, v[124:125], v[126:127] offset1:1
	s_waitcnt lgkmcnt(0)
	s_barrier
	buffer_gl0_inv
	ds_load_2addr_b64 v[144:147], v154 offset0:6 offset1:7
	s_cmp_lt_i32 s5, 5
	s_mov_b32 s6, 4
	s_cbranch_scc1 .LBB70_65
; %bb.63:
	v_add3_u32 v153, v159, 0, 64
	v_mov_b32_e32 v152, 3
	s_set_inst_prefetch_distance 0x1
	.p2align	6
.LBB70_64:                              ; =>This Inner Loop Header: Depth=1
	ds_load_2addr_b64 v[161:164], v153 offset1:1
	s_waitcnt lgkmcnt(1)
	v_cmp_gt_f64_e32 vcc_lo, 0, v[144:145]
	v_xor_b32_e32 v165, 0x80000000, v145
	v_cmp_gt_f64_e64 s2, 0, v[146:147]
	v_xor_b32_e32 v167, 0x80000000, v147
	v_add_nc_u32_e32 v153, 16, v153
	s_waitcnt lgkmcnt(0)
	v_cmp_gt_f64_e64 s3, 0, v[161:162]
	v_mov_b32_e32 v169, v161
	v_dual_mov_b32 v171, v163 :: v_dual_cndmask_b32 v166, v145, v165
	v_xor_b32_e32 v165, 0x80000000, v162
	v_cndmask_b32_e64 v168, v147, v167, s2
	v_xor_b32_e32 v167, 0x80000000, v164
	s_delay_alu instid0(VALU_DEP_3) | instskip(SKIP_2) | instid1(VALU_DEP_2)
	v_cndmask_b32_e64 v170, v162, v165, s3
	v_cmp_gt_f64_e64 s3, 0, v[163:164]
	v_cndmask_b32_e32 v165, v144, v144, vcc_lo
	v_cndmask_b32_e64 v172, v164, v167, s3
	v_cndmask_b32_e64 v167, v146, v146, s2
	s_delay_alu instid0(VALU_DEP_2) | instskip(NEXT) | instid1(VALU_DEP_2)
	v_add_f64 v[169:170], v[169:170], v[171:172]
	v_add_f64 v[165:166], v[165:166], v[167:168]
	s_delay_alu instid0(VALU_DEP_1) | instskip(SKIP_4) | instid1(SALU_CYCLE_1)
	v_cmp_lt_f64_e32 vcc_lo, v[165:166], v[169:170]
	v_dual_cndmask_b32 v146, v146, v163 :: v_dual_cndmask_b32 v145, v145, v162
	v_dual_cndmask_b32 v144, v144, v161 :: v_dual_cndmask_b32 v147, v147, v164
	v_cndmask_b32_e64 v152, v152, s6, vcc_lo
	s_add_i32 s6, s6, 1
	s_cmp_lg_u32 s5, s6
	s_cbranch_scc1 .LBB70_64
.LBB70_65:
	s_set_inst_prefetch_distance 0x2
	s_waitcnt lgkmcnt(0)
	v_cmp_eq_f64_e32 vcc_lo, 0, v[144:145]
	v_cmp_eq_f64_e64 s2, 0, v[146:147]
	s_delay_alu instid0(VALU_DEP_1) | instskip(NEXT) | instid1(SALU_CYCLE_1)
	s_and_b32 s2, vcc_lo, s2
	s_and_saveexec_b32 s3, s2
	s_delay_alu instid0(SALU_CYCLE_1)
	s_xor_b32 s2, exec_lo, s3
; %bb.66:
	v_cmp_ne_u32_e32 vcc_lo, 0, v157
	v_cndmask_b32_e32 v157, 4, v157, vcc_lo
; %bb.67:
	s_and_not1_saveexec_b32 s3, s2
	s_cbranch_execz .LBB70_73
; %bb.68:
	v_cmp_gt_f64_e32 vcc_lo, 0, v[144:145]
	v_cmp_gt_f64_e64 s2, 0, v[146:147]
	v_xor_b32_e32 v153, 0x80000000, v145
	v_xor_b32_e32 v161, 0x80000000, v147
	s_delay_alu instid0(VALU_DEP_2) | instskip(NEXT) | instid1(VALU_DEP_2)
	v_cndmask_b32_e32 v162, v145, v153, vcc_lo
	v_cndmask_b32_e64 v164, v147, v161, s2
	v_cndmask_b32_e32 v161, v144, v144, vcc_lo
	v_cndmask_b32_e64 v163, v146, v146, s2
	s_mov_b32 s2, exec_lo
	s_delay_alu instid0(VALU_DEP_1)
	v_cmpx_ngt_f64_e32 v[161:162], v[163:164]
	s_xor_b32 s2, exec_lo, s2
	s_cbranch_execz .LBB70_70
; %bb.69:
	v_div_scale_f64 v[161:162], null, v[146:147], v[146:147], v[144:145]
	v_div_scale_f64 v[167:168], vcc_lo, v[144:145], v[146:147], v[144:145]
	s_delay_alu instid0(VALU_DEP_2) | instskip(SKIP_2) | instid1(VALU_DEP_1)
	v_rcp_f64_e32 v[163:164], v[161:162]
	s_waitcnt_depctr 0xfff
	v_fma_f64 v[165:166], -v[161:162], v[163:164], 1.0
	v_fma_f64 v[163:164], v[163:164], v[165:166], v[163:164]
	s_delay_alu instid0(VALU_DEP_1) | instskip(NEXT) | instid1(VALU_DEP_1)
	v_fma_f64 v[165:166], -v[161:162], v[163:164], 1.0
	v_fma_f64 v[163:164], v[163:164], v[165:166], v[163:164]
	s_delay_alu instid0(VALU_DEP_1) | instskip(NEXT) | instid1(VALU_DEP_1)
	v_mul_f64 v[165:166], v[167:168], v[163:164]
	v_fma_f64 v[161:162], -v[161:162], v[165:166], v[167:168]
	s_delay_alu instid0(VALU_DEP_1) | instskip(NEXT) | instid1(VALU_DEP_1)
	v_div_fmas_f64 v[161:162], v[161:162], v[163:164], v[165:166]
	v_div_fixup_f64 v[161:162], v[161:162], v[146:147], v[144:145]
	s_delay_alu instid0(VALU_DEP_1) | instskip(NEXT) | instid1(VALU_DEP_1)
	v_fma_f64 v[144:145], v[144:145], v[161:162], v[146:147]
	v_div_scale_f64 v[146:147], null, v[144:145], v[144:145], 1.0
	s_delay_alu instid0(VALU_DEP_1) | instskip(SKIP_2) | instid1(VALU_DEP_1)
	v_rcp_f64_e32 v[163:164], v[146:147]
	s_waitcnt_depctr 0xfff
	v_fma_f64 v[165:166], -v[146:147], v[163:164], 1.0
	v_fma_f64 v[163:164], v[163:164], v[165:166], v[163:164]
	s_delay_alu instid0(VALU_DEP_1) | instskip(NEXT) | instid1(VALU_DEP_1)
	v_fma_f64 v[165:166], -v[146:147], v[163:164], 1.0
	v_fma_f64 v[163:164], v[163:164], v[165:166], v[163:164]
	v_div_scale_f64 v[165:166], vcc_lo, 1.0, v[144:145], 1.0
	s_delay_alu instid0(VALU_DEP_1) | instskip(NEXT) | instid1(VALU_DEP_1)
	v_mul_f64 v[167:168], v[165:166], v[163:164]
	v_fma_f64 v[146:147], -v[146:147], v[167:168], v[165:166]
	s_delay_alu instid0(VALU_DEP_1) | instskip(NEXT) | instid1(VALU_DEP_1)
	v_div_fmas_f64 v[146:147], v[146:147], v[163:164], v[167:168]
	v_div_fixup_f64 v[146:147], v[146:147], v[144:145], 1.0
	s_delay_alu instid0(VALU_DEP_1)
	v_mul_f64 v[144:145], v[161:162], v[146:147]
	v_xor_b32_e32 v147, 0x80000000, v147
.LBB70_70:
	s_and_not1_saveexec_b32 s2, s2
	s_cbranch_execz .LBB70_72
; %bb.71:
	s_delay_alu instid0(VALU_DEP_1) | instskip(SKIP_1) | instid1(VALU_DEP_2)
	v_div_scale_f64 v[161:162], null, v[144:145], v[144:145], v[146:147]
	v_div_scale_f64 v[167:168], vcc_lo, v[146:147], v[144:145], v[146:147]
	v_rcp_f64_e32 v[163:164], v[161:162]
	s_waitcnt_depctr 0xfff
	v_fma_f64 v[165:166], -v[161:162], v[163:164], 1.0
	s_delay_alu instid0(VALU_DEP_1) | instskip(NEXT) | instid1(VALU_DEP_1)
	v_fma_f64 v[163:164], v[163:164], v[165:166], v[163:164]
	v_fma_f64 v[165:166], -v[161:162], v[163:164], 1.0
	s_delay_alu instid0(VALU_DEP_1) | instskip(NEXT) | instid1(VALU_DEP_1)
	v_fma_f64 v[163:164], v[163:164], v[165:166], v[163:164]
	v_mul_f64 v[165:166], v[167:168], v[163:164]
	s_delay_alu instid0(VALU_DEP_1) | instskip(NEXT) | instid1(VALU_DEP_1)
	v_fma_f64 v[161:162], -v[161:162], v[165:166], v[167:168]
	v_div_fmas_f64 v[161:162], v[161:162], v[163:164], v[165:166]
	s_delay_alu instid0(VALU_DEP_1) | instskip(NEXT) | instid1(VALU_DEP_1)
	v_div_fixup_f64 v[161:162], v[161:162], v[144:145], v[146:147]
	v_fma_f64 v[144:145], v[146:147], v[161:162], v[144:145]
	s_delay_alu instid0(VALU_DEP_1) | instskip(NEXT) | instid1(VALU_DEP_1)
	v_div_scale_f64 v[146:147], null, v[144:145], v[144:145], 1.0
	v_rcp_f64_e32 v[163:164], v[146:147]
	s_waitcnt_depctr 0xfff
	v_fma_f64 v[165:166], -v[146:147], v[163:164], 1.0
	s_delay_alu instid0(VALU_DEP_1) | instskip(NEXT) | instid1(VALU_DEP_1)
	v_fma_f64 v[163:164], v[163:164], v[165:166], v[163:164]
	v_fma_f64 v[165:166], -v[146:147], v[163:164], 1.0
	s_delay_alu instid0(VALU_DEP_1) | instskip(SKIP_1) | instid1(VALU_DEP_1)
	v_fma_f64 v[163:164], v[163:164], v[165:166], v[163:164]
	v_div_scale_f64 v[165:166], vcc_lo, 1.0, v[144:145], 1.0
	v_mul_f64 v[167:168], v[165:166], v[163:164]
	s_delay_alu instid0(VALU_DEP_1) | instskip(NEXT) | instid1(VALU_DEP_1)
	v_fma_f64 v[146:147], -v[146:147], v[167:168], v[165:166]
	v_div_fmas_f64 v[146:147], v[146:147], v[163:164], v[167:168]
	s_delay_alu instid0(VALU_DEP_1) | instskip(NEXT) | instid1(VALU_DEP_1)
	v_div_fixup_f64 v[144:145], v[146:147], v[144:145], 1.0
	v_mul_f64 v[146:147], v[161:162], -v[144:145]
.LBB70_72:
	s_or_b32 exec_lo, exec_lo, s2
.LBB70_73:
	s_delay_alu instid0(SALU_CYCLE_1) | instskip(NEXT) | instid1(SALU_CYCLE_1)
	s_or_b32 exec_lo, exec_lo, s3
	s_mov_b32 s2, exec_lo
	v_cmpx_ne_u32_e64 v160, v152
	s_xor_b32 s2, exec_lo, s2
	s_cbranch_execz .LBB70_79
; %bb.74:
	s_mov_b32 s3, exec_lo
	v_cmpx_eq_u32_e32 3, v160
	s_cbranch_execz .LBB70_78
; %bb.75:
	v_cmp_ne_u32_e32 vcc_lo, 3, v152
	s_xor_b32 s6, s4, -1
	s_delay_alu instid0(SALU_CYCLE_1) | instskip(NEXT) | instid1(SALU_CYCLE_1)
	s_and_b32 s7, s6, vcc_lo
	s_and_saveexec_b32 s6, s7
	s_cbranch_execz .LBB70_77
; %bb.76:
	v_ashrrev_i32_e32 v153, 31, v152
	s_delay_alu instid0(VALU_DEP_1) | instskip(NEXT) | instid1(VALU_DEP_1)
	v_lshlrev_b64 v[160:161], 2, v[152:153]
	v_add_co_u32 v160, vcc_lo, v150, v160
	s_delay_alu instid0(VALU_DEP_2)
	v_add_co_ci_u32_e32 v161, vcc_lo, v151, v161, vcc_lo
	s_clause 0x1
	flat_load_b32 v153, v[160:161]
	flat_load_b32 v158, v[150:151] offset:12
	s_waitcnt vmcnt(1) lgkmcnt(1)
	flat_store_b32 v[150:151], v153 offset:12
	s_waitcnt vmcnt(0) lgkmcnt(1)
	flat_store_b32 v[160:161], v158
.LBB70_77:
	s_or_b32 exec_lo, exec_lo, s6
	v_mov_b32_e32 v160, v152
	v_mov_b32_e32 v158, v152
.LBB70_78:
	s_or_b32 exec_lo, exec_lo, s3
.LBB70_79:
	s_and_not1_saveexec_b32 s2, s2
	s_cbranch_execz .LBB70_81
; %bb.80:
	v_mov_b32_e32 v160, 3
	ds_store_2addr_b64 v154, v[112:113], v[114:115] offset0:8 offset1:9
	ds_store_2addr_b64 v154, v[108:109], v[110:111] offset0:10 offset1:11
	;; [unrolled: 1-line block ×32, first 2 shown]
.LBB70_81:
	s_or_b32 exec_lo, exec_lo, s2
	s_delay_alu instid0(SALU_CYCLE_1)
	s_mov_b32 s2, exec_lo
	s_waitcnt lgkmcnt(0)
	s_waitcnt_vscnt null, 0x0
	s_barrier
	buffer_gl0_inv
	v_cmpx_lt_i32_e32 3, v160
	s_cbranch_execz .LBB70_83
; %bb.82:
	v_mul_f64 v[152:153], v[146:147], v[126:127]
	v_mul_f64 v[126:127], v[144:145], v[126:127]
	s_delay_alu instid0(VALU_DEP_2) | instskip(NEXT) | instid1(VALU_DEP_2)
	v_fma_f64 v[152:153], v[144:145], v[124:125], -v[152:153]
	v_fma_f64 v[126:127], v[146:147], v[124:125], v[126:127]
	ds_load_2addr_b64 v[144:147], v154 offset0:8 offset1:9
	s_waitcnt lgkmcnt(0)
	v_mul_f64 v[124:125], v[146:147], v[126:127]
	s_delay_alu instid0(VALU_DEP_1) | instskip(SKIP_1) | instid1(VALU_DEP_2)
	v_fma_f64 v[124:125], v[144:145], v[152:153], -v[124:125]
	v_mul_f64 v[144:145], v[144:145], v[126:127]
	v_add_f64 v[112:113], v[112:113], -v[124:125]
	s_delay_alu instid0(VALU_DEP_2) | instskip(NEXT) | instid1(VALU_DEP_1)
	v_fma_f64 v[144:145], v[146:147], v[152:153], v[144:145]
	v_add_f64 v[114:115], v[114:115], -v[144:145]
	ds_load_2addr_b64 v[144:147], v154 offset0:10 offset1:11
	s_waitcnt lgkmcnt(0)
	v_mul_f64 v[124:125], v[146:147], v[126:127]
	s_delay_alu instid0(VALU_DEP_1) | instskip(SKIP_1) | instid1(VALU_DEP_2)
	v_fma_f64 v[124:125], v[144:145], v[152:153], -v[124:125]
	v_mul_f64 v[144:145], v[144:145], v[126:127]
	v_add_f64 v[108:109], v[108:109], -v[124:125]
	s_delay_alu instid0(VALU_DEP_2) | instskip(NEXT) | instid1(VALU_DEP_1)
	v_fma_f64 v[144:145], v[146:147], v[152:153], v[144:145]
	v_add_f64 v[110:111], v[110:111], -v[144:145]
	;; [unrolled: 10-line block ×31, first 2 shown]
	ds_load_2addr_b64 v[144:147], v154 offset0:70 offset1:71
	s_waitcnt lgkmcnt(0)
	v_mul_f64 v[124:125], v[146:147], v[126:127]
	s_delay_alu instid0(VALU_DEP_1) | instskip(SKIP_1) | instid1(VALU_DEP_2)
	v_fma_f64 v[124:125], v[144:145], v[152:153], -v[124:125]
	v_mul_f64 v[144:145], v[144:145], v[126:127]
	v_add_f64 v[0:1], v[0:1], -v[124:125]
	s_delay_alu instid0(VALU_DEP_2) | instskip(SKIP_1) | instid1(VALU_DEP_2)
	v_fma_f64 v[144:145], v[146:147], v[152:153], v[144:145]
	v_dual_mov_b32 v124, v152 :: v_dual_mov_b32 v125, v153
	v_add_f64 v[2:3], v[2:3], -v[144:145]
.LBB70_83:
	s_or_b32 exec_lo, exec_lo, s2
	v_lshl_add_u32 v144, v160, 4, v154
	s_barrier
	buffer_gl0_inv
	v_mov_b32_e32 v152, 4
	ds_store_2addr_b64 v144, v[112:113], v[114:115] offset1:1
	s_waitcnt lgkmcnt(0)
	s_barrier
	buffer_gl0_inv
	ds_load_2addr_b64 v[144:147], v154 offset0:8 offset1:9
	s_cmp_lt_i32 s5, 6
	s_cbranch_scc1 .LBB70_86
; %bb.84:
	v_add3_u32 v153, v159, 0, 0x50
	v_mov_b32_e32 v152, 4
	s_mov_b32 s6, 5
	s_set_inst_prefetch_distance 0x1
	.p2align	6
.LBB70_85:                              ; =>This Inner Loop Header: Depth=1
	ds_load_2addr_b64 v[161:164], v153 offset1:1
	s_waitcnt lgkmcnt(1)
	v_cmp_gt_f64_e32 vcc_lo, 0, v[144:145]
	v_xor_b32_e32 v165, 0x80000000, v145
	v_cmp_gt_f64_e64 s2, 0, v[146:147]
	v_xor_b32_e32 v167, 0x80000000, v147
	v_add_nc_u32_e32 v153, 16, v153
	s_waitcnt lgkmcnt(0)
	v_cmp_gt_f64_e64 s3, 0, v[161:162]
	v_mov_b32_e32 v169, v161
	v_dual_mov_b32 v171, v163 :: v_dual_cndmask_b32 v166, v145, v165
	v_xor_b32_e32 v165, 0x80000000, v162
	v_cndmask_b32_e64 v168, v147, v167, s2
	v_xor_b32_e32 v167, 0x80000000, v164
	s_delay_alu instid0(VALU_DEP_3) | instskip(SKIP_2) | instid1(VALU_DEP_2)
	v_cndmask_b32_e64 v170, v162, v165, s3
	v_cmp_gt_f64_e64 s3, 0, v[163:164]
	v_cndmask_b32_e32 v165, v144, v144, vcc_lo
	v_cndmask_b32_e64 v172, v164, v167, s3
	v_cndmask_b32_e64 v167, v146, v146, s2
	s_delay_alu instid0(VALU_DEP_2) | instskip(NEXT) | instid1(VALU_DEP_2)
	v_add_f64 v[169:170], v[169:170], v[171:172]
	v_add_f64 v[165:166], v[165:166], v[167:168]
	s_delay_alu instid0(VALU_DEP_1) | instskip(SKIP_4) | instid1(SALU_CYCLE_1)
	v_cmp_lt_f64_e32 vcc_lo, v[165:166], v[169:170]
	v_dual_cndmask_b32 v146, v146, v163 :: v_dual_cndmask_b32 v145, v145, v162
	v_dual_cndmask_b32 v144, v144, v161 :: v_dual_cndmask_b32 v147, v147, v164
	v_cndmask_b32_e64 v152, v152, s6, vcc_lo
	s_add_i32 s6, s6, 1
	s_cmp_lg_u32 s5, s6
	s_cbranch_scc1 .LBB70_85
.LBB70_86:
	s_set_inst_prefetch_distance 0x2
	s_waitcnt lgkmcnt(0)
	v_cmp_eq_f64_e32 vcc_lo, 0, v[144:145]
	v_cmp_eq_f64_e64 s2, 0, v[146:147]
	s_delay_alu instid0(VALU_DEP_1) | instskip(NEXT) | instid1(SALU_CYCLE_1)
	s_and_b32 s2, vcc_lo, s2
	s_and_saveexec_b32 s3, s2
	s_delay_alu instid0(SALU_CYCLE_1)
	s_xor_b32 s2, exec_lo, s3
; %bb.87:
	v_cmp_ne_u32_e32 vcc_lo, 0, v157
	v_cndmask_b32_e32 v157, 5, v157, vcc_lo
; %bb.88:
	s_and_not1_saveexec_b32 s3, s2
	s_cbranch_execz .LBB70_94
; %bb.89:
	v_cmp_gt_f64_e32 vcc_lo, 0, v[144:145]
	v_cmp_gt_f64_e64 s2, 0, v[146:147]
	v_xor_b32_e32 v153, 0x80000000, v145
	v_xor_b32_e32 v161, 0x80000000, v147
	s_delay_alu instid0(VALU_DEP_2) | instskip(NEXT) | instid1(VALU_DEP_2)
	v_cndmask_b32_e32 v162, v145, v153, vcc_lo
	v_cndmask_b32_e64 v164, v147, v161, s2
	v_cndmask_b32_e32 v161, v144, v144, vcc_lo
	v_cndmask_b32_e64 v163, v146, v146, s2
	s_mov_b32 s2, exec_lo
	s_delay_alu instid0(VALU_DEP_1)
	v_cmpx_ngt_f64_e32 v[161:162], v[163:164]
	s_xor_b32 s2, exec_lo, s2
	s_cbranch_execz .LBB70_91
; %bb.90:
	v_div_scale_f64 v[161:162], null, v[146:147], v[146:147], v[144:145]
	v_div_scale_f64 v[167:168], vcc_lo, v[144:145], v[146:147], v[144:145]
	s_delay_alu instid0(VALU_DEP_2) | instskip(SKIP_2) | instid1(VALU_DEP_1)
	v_rcp_f64_e32 v[163:164], v[161:162]
	s_waitcnt_depctr 0xfff
	v_fma_f64 v[165:166], -v[161:162], v[163:164], 1.0
	v_fma_f64 v[163:164], v[163:164], v[165:166], v[163:164]
	s_delay_alu instid0(VALU_DEP_1) | instskip(NEXT) | instid1(VALU_DEP_1)
	v_fma_f64 v[165:166], -v[161:162], v[163:164], 1.0
	v_fma_f64 v[163:164], v[163:164], v[165:166], v[163:164]
	s_delay_alu instid0(VALU_DEP_1) | instskip(NEXT) | instid1(VALU_DEP_1)
	v_mul_f64 v[165:166], v[167:168], v[163:164]
	v_fma_f64 v[161:162], -v[161:162], v[165:166], v[167:168]
	s_delay_alu instid0(VALU_DEP_1) | instskip(NEXT) | instid1(VALU_DEP_1)
	v_div_fmas_f64 v[161:162], v[161:162], v[163:164], v[165:166]
	v_div_fixup_f64 v[161:162], v[161:162], v[146:147], v[144:145]
	s_delay_alu instid0(VALU_DEP_1) | instskip(NEXT) | instid1(VALU_DEP_1)
	v_fma_f64 v[144:145], v[144:145], v[161:162], v[146:147]
	v_div_scale_f64 v[146:147], null, v[144:145], v[144:145], 1.0
	s_delay_alu instid0(VALU_DEP_1) | instskip(SKIP_2) | instid1(VALU_DEP_1)
	v_rcp_f64_e32 v[163:164], v[146:147]
	s_waitcnt_depctr 0xfff
	v_fma_f64 v[165:166], -v[146:147], v[163:164], 1.0
	v_fma_f64 v[163:164], v[163:164], v[165:166], v[163:164]
	s_delay_alu instid0(VALU_DEP_1) | instskip(NEXT) | instid1(VALU_DEP_1)
	v_fma_f64 v[165:166], -v[146:147], v[163:164], 1.0
	v_fma_f64 v[163:164], v[163:164], v[165:166], v[163:164]
	v_div_scale_f64 v[165:166], vcc_lo, 1.0, v[144:145], 1.0
	s_delay_alu instid0(VALU_DEP_1) | instskip(NEXT) | instid1(VALU_DEP_1)
	v_mul_f64 v[167:168], v[165:166], v[163:164]
	v_fma_f64 v[146:147], -v[146:147], v[167:168], v[165:166]
	s_delay_alu instid0(VALU_DEP_1) | instskip(NEXT) | instid1(VALU_DEP_1)
	v_div_fmas_f64 v[146:147], v[146:147], v[163:164], v[167:168]
	v_div_fixup_f64 v[146:147], v[146:147], v[144:145], 1.0
	s_delay_alu instid0(VALU_DEP_1)
	v_mul_f64 v[144:145], v[161:162], v[146:147]
	v_xor_b32_e32 v147, 0x80000000, v147
.LBB70_91:
	s_and_not1_saveexec_b32 s2, s2
	s_cbranch_execz .LBB70_93
; %bb.92:
	s_delay_alu instid0(VALU_DEP_1) | instskip(SKIP_1) | instid1(VALU_DEP_2)
	v_div_scale_f64 v[161:162], null, v[144:145], v[144:145], v[146:147]
	v_div_scale_f64 v[167:168], vcc_lo, v[146:147], v[144:145], v[146:147]
	v_rcp_f64_e32 v[163:164], v[161:162]
	s_waitcnt_depctr 0xfff
	v_fma_f64 v[165:166], -v[161:162], v[163:164], 1.0
	s_delay_alu instid0(VALU_DEP_1) | instskip(NEXT) | instid1(VALU_DEP_1)
	v_fma_f64 v[163:164], v[163:164], v[165:166], v[163:164]
	v_fma_f64 v[165:166], -v[161:162], v[163:164], 1.0
	s_delay_alu instid0(VALU_DEP_1) | instskip(NEXT) | instid1(VALU_DEP_1)
	v_fma_f64 v[163:164], v[163:164], v[165:166], v[163:164]
	v_mul_f64 v[165:166], v[167:168], v[163:164]
	s_delay_alu instid0(VALU_DEP_1) | instskip(NEXT) | instid1(VALU_DEP_1)
	v_fma_f64 v[161:162], -v[161:162], v[165:166], v[167:168]
	v_div_fmas_f64 v[161:162], v[161:162], v[163:164], v[165:166]
	s_delay_alu instid0(VALU_DEP_1) | instskip(NEXT) | instid1(VALU_DEP_1)
	v_div_fixup_f64 v[161:162], v[161:162], v[144:145], v[146:147]
	v_fma_f64 v[144:145], v[146:147], v[161:162], v[144:145]
	s_delay_alu instid0(VALU_DEP_1) | instskip(NEXT) | instid1(VALU_DEP_1)
	v_div_scale_f64 v[146:147], null, v[144:145], v[144:145], 1.0
	v_rcp_f64_e32 v[163:164], v[146:147]
	s_waitcnt_depctr 0xfff
	v_fma_f64 v[165:166], -v[146:147], v[163:164], 1.0
	s_delay_alu instid0(VALU_DEP_1) | instskip(NEXT) | instid1(VALU_DEP_1)
	v_fma_f64 v[163:164], v[163:164], v[165:166], v[163:164]
	v_fma_f64 v[165:166], -v[146:147], v[163:164], 1.0
	s_delay_alu instid0(VALU_DEP_1) | instskip(SKIP_1) | instid1(VALU_DEP_1)
	v_fma_f64 v[163:164], v[163:164], v[165:166], v[163:164]
	v_div_scale_f64 v[165:166], vcc_lo, 1.0, v[144:145], 1.0
	v_mul_f64 v[167:168], v[165:166], v[163:164]
	s_delay_alu instid0(VALU_DEP_1) | instskip(NEXT) | instid1(VALU_DEP_1)
	v_fma_f64 v[146:147], -v[146:147], v[167:168], v[165:166]
	v_div_fmas_f64 v[146:147], v[146:147], v[163:164], v[167:168]
	s_delay_alu instid0(VALU_DEP_1) | instskip(NEXT) | instid1(VALU_DEP_1)
	v_div_fixup_f64 v[144:145], v[146:147], v[144:145], 1.0
	v_mul_f64 v[146:147], v[161:162], -v[144:145]
.LBB70_93:
	s_or_b32 exec_lo, exec_lo, s2
.LBB70_94:
	s_delay_alu instid0(SALU_CYCLE_1) | instskip(NEXT) | instid1(SALU_CYCLE_1)
	s_or_b32 exec_lo, exec_lo, s3
	s_mov_b32 s2, exec_lo
	v_cmpx_ne_u32_e64 v160, v152
	s_xor_b32 s2, exec_lo, s2
	s_cbranch_execz .LBB70_100
; %bb.95:
	s_mov_b32 s3, exec_lo
	v_cmpx_eq_u32_e32 4, v160
	s_cbranch_execz .LBB70_99
; %bb.96:
	v_cmp_ne_u32_e32 vcc_lo, 4, v152
	s_xor_b32 s6, s4, -1
	s_delay_alu instid0(SALU_CYCLE_1) | instskip(NEXT) | instid1(SALU_CYCLE_1)
	s_and_b32 s7, s6, vcc_lo
	s_and_saveexec_b32 s6, s7
	s_cbranch_execz .LBB70_98
; %bb.97:
	v_ashrrev_i32_e32 v153, 31, v152
	s_delay_alu instid0(VALU_DEP_1) | instskip(NEXT) | instid1(VALU_DEP_1)
	v_lshlrev_b64 v[160:161], 2, v[152:153]
	v_add_co_u32 v160, vcc_lo, v150, v160
	s_delay_alu instid0(VALU_DEP_2)
	v_add_co_ci_u32_e32 v161, vcc_lo, v151, v161, vcc_lo
	s_clause 0x1
	flat_load_b32 v153, v[160:161]
	flat_load_b32 v158, v[150:151] offset:16
	s_waitcnt vmcnt(1) lgkmcnt(1)
	flat_store_b32 v[150:151], v153 offset:16
	s_waitcnt vmcnt(0) lgkmcnt(1)
	flat_store_b32 v[160:161], v158
.LBB70_98:
	s_or_b32 exec_lo, exec_lo, s6
	v_mov_b32_e32 v160, v152
	v_mov_b32_e32 v158, v152
.LBB70_99:
	s_or_b32 exec_lo, exec_lo, s3
.LBB70_100:
	s_and_not1_saveexec_b32 s2, s2
	s_cbranch_execz .LBB70_102
; %bb.101:
	v_mov_b32_e32 v160, 4
	ds_store_2addr_b64 v154, v[108:109], v[110:111] offset0:10 offset1:11
	ds_store_2addr_b64 v154, v[140:141], v[142:143] offset0:12 offset1:13
	;; [unrolled: 1-line block ×31, first 2 shown]
.LBB70_102:
	s_or_b32 exec_lo, exec_lo, s2
	s_delay_alu instid0(SALU_CYCLE_1)
	s_mov_b32 s2, exec_lo
	s_waitcnt lgkmcnt(0)
	s_waitcnt_vscnt null, 0x0
	s_barrier
	buffer_gl0_inv
	v_cmpx_lt_i32_e32 4, v160
	s_cbranch_execz .LBB70_104
; %bb.103:
	v_mul_f64 v[152:153], v[146:147], v[114:115]
	v_mul_f64 v[114:115], v[144:145], v[114:115]
	s_delay_alu instid0(VALU_DEP_2) | instskip(NEXT) | instid1(VALU_DEP_2)
	v_fma_f64 v[152:153], v[144:145], v[112:113], -v[152:153]
	v_fma_f64 v[114:115], v[146:147], v[112:113], v[114:115]
	ds_load_2addr_b64 v[144:147], v154 offset0:10 offset1:11
	s_waitcnt lgkmcnt(0)
	v_mul_f64 v[112:113], v[146:147], v[114:115]
	s_delay_alu instid0(VALU_DEP_1) | instskip(SKIP_1) | instid1(VALU_DEP_2)
	v_fma_f64 v[112:113], v[144:145], v[152:153], -v[112:113]
	v_mul_f64 v[144:145], v[144:145], v[114:115]
	v_add_f64 v[108:109], v[108:109], -v[112:113]
	s_delay_alu instid0(VALU_DEP_2) | instskip(NEXT) | instid1(VALU_DEP_1)
	v_fma_f64 v[144:145], v[146:147], v[152:153], v[144:145]
	v_add_f64 v[110:111], v[110:111], -v[144:145]
	ds_load_2addr_b64 v[144:147], v154 offset0:12 offset1:13
	s_waitcnt lgkmcnt(0)
	v_mul_f64 v[112:113], v[146:147], v[114:115]
	s_delay_alu instid0(VALU_DEP_1) | instskip(SKIP_1) | instid1(VALU_DEP_2)
	v_fma_f64 v[112:113], v[144:145], v[152:153], -v[112:113]
	v_mul_f64 v[144:145], v[144:145], v[114:115]
	v_add_f64 v[140:141], v[140:141], -v[112:113]
	s_delay_alu instid0(VALU_DEP_2) | instskip(NEXT) | instid1(VALU_DEP_1)
	v_fma_f64 v[144:145], v[146:147], v[152:153], v[144:145]
	v_add_f64 v[142:143], v[142:143], -v[144:145]
	;; [unrolled: 10-line block ×30, first 2 shown]
	ds_load_2addr_b64 v[144:147], v154 offset0:70 offset1:71
	s_waitcnt lgkmcnt(0)
	v_mul_f64 v[112:113], v[146:147], v[114:115]
	s_delay_alu instid0(VALU_DEP_1) | instskip(SKIP_1) | instid1(VALU_DEP_2)
	v_fma_f64 v[112:113], v[144:145], v[152:153], -v[112:113]
	v_mul_f64 v[144:145], v[144:145], v[114:115]
	v_add_f64 v[0:1], v[0:1], -v[112:113]
	s_delay_alu instid0(VALU_DEP_2) | instskip(SKIP_1) | instid1(VALU_DEP_2)
	v_fma_f64 v[144:145], v[146:147], v[152:153], v[144:145]
	v_dual_mov_b32 v112, v152 :: v_dual_mov_b32 v113, v153
	v_add_f64 v[2:3], v[2:3], -v[144:145]
.LBB70_104:
	s_or_b32 exec_lo, exec_lo, s2
	v_lshl_add_u32 v144, v160, 4, v154
	s_barrier
	buffer_gl0_inv
	v_mov_b32_e32 v152, 5
	ds_store_2addr_b64 v144, v[108:109], v[110:111] offset1:1
	s_waitcnt lgkmcnt(0)
	s_barrier
	buffer_gl0_inv
	ds_load_2addr_b64 v[144:147], v154 offset0:10 offset1:11
	s_cmp_lt_i32 s5, 7
	s_cbranch_scc1 .LBB70_107
; %bb.105:
	v_add3_u32 v153, v159, 0, 0x60
	v_mov_b32_e32 v152, 5
	s_mov_b32 s6, 6
	s_set_inst_prefetch_distance 0x1
	.p2align	6
.LBB70_106:                             ; =>This Inner Loop Header: Depth=1
	ds_load_2addr_b64 v[161:164], v153 offset1:1
	s_waitcnt lgkmcnt(1)
	v_cmp_gt_f64_e32 vcc_lo, 0, v[144:145]
	v_xor_b32_e32 v165, 0x80000000, v145
	v_cmp_gt_f64_e64 s2, 0, v[146:147]
	v_xor_b32_e32 v167, 0x80000000, v147
	v_add_nc_u32_e32 v153, 16, v153
	s_waitcnt lgkmcnt(0)
	v_cmp_gt_f64_e64 s3, 0, v[161:162]
	v_mov_b32_e32 v169, v161
	v_dual_mov_b32 v171, v163 :: v_dual_cndmask_b32 v166, v145, v165
	v_xor_b32_e32 v165, 0x80000000, v162
	v_cndmask_b32_e64 v168, v147, v167, s2
	v_xor_b32_e32 v167, 0x80000000, v164
	s_delay_alu instid0(VALU_DEP_3) | instskip(SKIP_2) | instid1(VALU_DEP_2)
	v_cndmask_b32_e64 v170, v162, v165, s3
	v_cmp_gt_f64_e64 s3, 0, v[163:164]
	v_cndmask_b32_e32 v165, v144, v144, vcc_lo
	v_cndmask_b32_e64 v172, v164, v167, s3
	v_cndmask_b32_e64 v167, v146, v146, s2
	s_delay_alu instid0(VALU_DEP_2) | instskip(NEXT) | instid1(VALU_DEP_2)
	v_add_f64 v[169:170], v[169:170], v[171:172]
	v_add_f64 v[165:166], v[165:166], v[167:168]
	s_delay_alu instid0(VALU_DEP_1) | instskip(SKIP_4) | instid1(SALU_CYCLE_1)
	v_cmp_lt_f64_e32 vcc_lo, v[165:166], v[169:170]
	v_dual_cndmask_b32 v146, v146, v163 :: v_dual_cndmask_b32 v145, v145, v162
	v_dual_cndmask_b32 v144, v144, v161 :: v_dual_cndmask_b32 v147, v147, v164
	v_cndmask_b32_e64 v152, v152, s6, vcc_lo
	s_add_i32 s6, s6, 1
	s_cmp_lg_u32 s5, s6
	s_cbranch_scc1 .LBB70_106
.LBB70_107:
	s_set_inst_prefetch_distance 0x2
	s_waitcnt lgkmcnt(0)
	v_cmp_eq_f64_e32 vcc_lo, 0, v[144:145]
	v_cmp_eq_f64_e64 s2, 0, v[146:147]
	s_delay_alu instid0(VALU_DEP_1) | instskip(NEXT) | instid1(SALU_CYCLE_1)
	s_and_b32 s2, vcc_lo, s2
	s_and_saveexec_b32 s3, s2
	s_delay_alu instid0(SALU_CYCLE_1)
	s_xor_b32 s2, exec_lo, s3
; %bb.108:
	v_cmp_ne_u32_e32 vcc_lo, 0, v157
	v_cndmask_b32_e32 v157, 6, v157, vcc_lo
; %bb.109:
	s_and_not1_saveexec_b32 s3, s2
	s_cbranch_execz .LBB70_115
; %bb.110:
	v_cmp_gt_f64_e32 vcc_lo, 0, v[144:145]
	v_cmp_gt_f64_e64 s2, 0, v[146:147]
	v_xor_b32_e32 v153, 0x80000000, v145
	v_xor_b32_e32 v161, 0x80000000, v147
	s_delay_alu instid0(VALU_DEP_2) | instskip(NEXT) | instid1(VALU_DEP_2)
	v_cndmask_b32_e32 v162, v145, v153, vcc_lo
	v_cndmask_b32_e64 v164, v147, v161, s2
	v_cndmask_b32_e32 v161, v144, v144, vcc_lo
	v_cndmask_b32_e64 v163, v146, v146, s2
	s_mov_b32 s2, exec_lo
	s_delay_alu instid0(VALU_DEP_1)
	v_cmpx_ngt_f64_e32 v[161:162], v[163:164]
	s_xor_b32 s2, exec_lo, s2
	s_cbranch_execz .LBB70_112
; %bb.111:
	v_div_scale_f64 v[161:162], null, v[146:147], v[146:147], v[144:145]
	v_div_scale_f64 v[167:168], vcc_lo, v[144:145], v[146:147], v[144:145]
	s_delay_alu instid0(VALU_DEP_2) | instskip(SKIP_2) | instid1(VALU_DEP_1)
	v_rcp_f64_e32 v[163:164], v[161:162]
	s_waitcnt_depctr 0xfff
	v_fma_f64 v[165:166], -v[161:162], v[163:164], 1.0
	v_fma_f64 v[163:164], v[163:164], v[165:166], v[163:164]
	s_delay_alu instid0(VALU_DEP_1) | instskip(NEXT) | instid1(VALU_DEP_1)
	v_fma_f64 v[165:166], -v[161:162], v[163:164], 1.0
	v_fma_f64 v[163:164], v[163:164], v[165:166], v[163:164]
	s_delay_alu instid0(VALU_DEP_1) | instskip(NEXT) | instid1(VALU_DEP_1)
	v_mul_f64 v[165:166], v[167:168], v[163:164]
	v_fma_f64 v[161:162], -v[161:162], v[165:166], v[167:168]
	s_delay_alu instid0(VALU_DEP_1) | instskip(NEXT) | instid1(VALU_DEP_1)
	v_div_fmas_f64 v[161:162], v[161:162], v[163:164], v[165:166]
	v_div_fixup_f64 v[161:162], v[161:162], v[146:147], v[144:145]
	s_delay_alu instid0(VALU_DEP_1) | instskip(NEXT) | instid1(VALU_DEP_1)
	v_fma_f64 v[144:145], v[144:145], v[161:162], v[146:147]
	v_div_scale_f64 v[146:147], null, v[144:145], v[144:145], 1.0
	s_delay_alu instid0(VALU_DEP_1) | instskip(SKIP_2) | instid1(VALU_DEP_1)
	v_rcp_f64_e32 v[163:164], v[146:147]
	s_waitcnt_depctr 0xfff
	v_fma_f64 v[165:166], -v[146:147], v[163:164], 1.0
	v_fma_f64 v[163:164], v[163:164], v[165:166], v[163:164]
	s_delay_alu instid0(VALU_DEP_1) | instskip(NEXT) | instid1(VALU_DEP_1)
	v_fma_f64 v[165:166], -v[146:147], v[163:164], 1.0
	v_fma_f64 v[163:164], v[163:164], v[165:166], v[163:164]
	v_div_scale_f64 v[165:166], vcc_lo, 1.0, v[144:145], 1.0
	s_delay_alu instid0(VALU_DEP_1) | instskip(NEXT) | instid1(VALU_DEP_1)
	v_mul_f64 v[167:168], v[165:166], v[163:164]
	v_fma_f64 v[146:147], -v[146:147], v[167:168], v[165:166]
	s_delay_alu instid0(VALU_DEP_1) | instskip(NEXT) | instid1(VALU_DEP_1)
	v_div_fmas_f64 v[146:147], v[146:147], v[163:164], v[167:168]
	v_div_fixup_f64 v[146:147], v[146:147], v[144:145], 1.0
	s_delay_alu instid0(VALU_DEP_1)
	v_mul_f64 v[144:145], v[161:162], v[146:147]
	v_xor_b32_e32 v147, 0x80000000, v147
.LBB70_112:
	s_and_not1_saveexec_b32 s2, s2
	s_cbranch_execz .LBB70_114
; %bb.113:
	s_delay_alu instid0(VALU_DEP_1) | instskip(SKIP_1) | instid1(VALU_DEP_2)
	v_div_scale_f64 v[161:162], null, v[144:145], v[144:145], v[146:147]
	v_div_scale_f64 v[167:168], vcc_lo, v[146:147], v[144:145], v[146:147]
	v_rcp_f64_e32 v[163:164], v[161:162]
	s_waitcnt_depctr 0xfff
	v_fma_f64 v[165:166], -v[161:162], v[163:164], 1.0
	s_delay_alu instid0(VALU_DEP_1) | instskip(NEXT) | instid1(VALU_DEP_1)
	v_fma_f64 v[163:164], v[163:164], v[165:166], v[163:164]
	v_fma_f64 v[165:166], -v[161:162], v[163:164], 1.0
	s_delay_alu instid0(VALU_DEP_1) | instskip(NEXT) | instid1(VALU_DEP_1)
	v_fma_f64 v[163:164], v[163:164], v[165:166], v[163:164]
	v_mul_f64 v[165:166], v[167:168], v[163:164]
	s_delay_alu instid0(VALU_DEP_1) | instskip(NEXT) | instid1(VALU_DEP_1)
	v_fma_f64 v[161:162], -v[161:162], v[165:166], v[167:168]
	v_div_fmas_f64 v[161:162], v[161:162], v[163:164], v[165:166]
	s_delay_alu instid0(VALU_DEP_1) | instskip(NEXT) | instid1(VALU_DEP_1)
	v_div_fixup_f64 v[161:162], v[161:162], v[144:145], v[146:147]
	v_fma_f64 v[144:145], v[146:147], v[161:162], v[144:145]
	s_delay_alu instid0(VALU_DEP_1) | instskip(NEXT) | instid1(VALU_DEP_1)
	v_div_scale_f64 v[146:147], null, v[144:145], v[144:145], 1.0
	v_rcp_f64_e32 v[163:164], v[146:147]
	s_waitcnt_depctr 0xfff
	v_fma_f64 v[165:166], -v[146:147], v[163:164], 1.0
	s_delay_alu instid0(VALU_DEP_1) | instskip(NEXT) | instid1(VALU_DEP_1)
	v_fma_f64 v[163:164], v[163:164], v[165:166], v[163:164]
	v_fma_f64 v[165:166], -v[146:147], v[163:164], 1.0
	s_delay_alu instid0(VALU_DEP_1) | instskip(SKIP_1) | instid1(VALU_DEP_1)
	v_fma_f64 v[163:164], v[163:164], v[165:166], v[163:164]
	v_div_scale_f64 v[165:166], vcc_lo, 1.0, v[144:145], 1.0
	v_mul_f64 v[167:168], v[165:166], v[163:164]
	s_delay_alu instid0(VALU_DEP_1) | instskip(NEXT) | instid1(VALU_DEP_1)
	v_fma_f64 v[146:147], -v[146:147], v[167:168], v[165:166]
	v_div_fmas_f64 v[146:147], v[146:147], v[163:164], v[167:168]
	s_delay_alu instid0(VALU_DEP_1) | instskip(NEXT) | instid1(VALU_DEP_1)
	v_div_fixup_f64 v[144:145], v[146:147], v[144:145], 1.0
	v_mul_f64 v[146:147], v[161:162], -v[144:145]
.LBB70_114:
	s_or_b32 exec_lo, exec_lo, s2
.LBB70_115:
	s_delay_alu instid0(SALU_CYCLE_1) | instskip(NEXT) | instid1(SALU_CYCLE_1)
	s_or_b32 exec_lo, exec_lo, s3
	s_mov_b32 s2, exec_lo
	v_cmpx_ne_u32_e64 v160, v152
	s_xor_b32 s2, exec_lo, s2
	s_cbranch_execz .LBB70_121
; %bb.116:
	s_mov_b32 s3, exec_lo
	v_cmpx_eq_u32_e32 5, v160
	s_cbranch_execz .LBB70_120
; %bb.117:
	v_cmp_ne_u32_e32 vcc_lo, 5, v152
	s_xor_b32 s6, s4, -1
	s_delay_alu instid0(SALU_CYCLE_1) | instskip(NEXT) | instid1(SALU_CYCLE_1)
	s_and_b32 s7, s6, vcc_lo
	s_and_saveexec_b32 s6, s7
	s_cbranch_execz .LBB70_119
; %bb.118:
	v_ashrrev_i32_e32 v153, 31, v152
	s_delay_alu instid0(VALU_DEP_1) | instskip(NEXT) | instid1(VALU_DEP_1)
	v_lshlrev_b64 v[160:161], 2, v[152:153]
	v_add_co_u32 v160, vcc_lo, v150, v160
	s_delay_alu instid0(VALU_DEP_2)
	v_add_co_ci_u32_e32 v161, vcc_lo, v151, v161, vcc_lo
	s_clause 0x1
	flat_load_b32 v153, v[160:161]
	flat_load_b32 v158, v[150:151] offset:20
	s_waitcnt vmcnt(1) lgkmcnt(1)
	flat_store_b32 v[150:151], v153 offset:20
	s_waitcnt vmcnt(0) lgkmcnt(1)
	flat_store_b32 v[160:161], v158
.LBB70_119:
	s_or_b32 exec_lo, exec_lo, s6
	v_mov_b32_e32 v160, v152
	v_mov_b32_e32 v158, v152
.LBB70_120:
	s_or_b32 exec_lo, exec_lo, s3
.LBB70_121:
	s_and_not1_saveexec_b32 s2, s2
	s_cbranch_execz .LBB70_123
; %bb.122:
	v_mov_b32_e32 v160, 5
	ds_store_2addr_b64 v154, v[140:141], v[142:143] offset0:12 offset1:13
	ds_store_2addr_b64 v154, v[136:137], v[138:139] offset0:14 offset1:15
	;; [unrolled: 1-line block ×30, first 2 shown]
.LBB70_123:
	s_or_b32 exec_lo, exec_lo, s2
	s_delay_alu instid0(SALU_CYCLE_1)
	s_mov_b32 s2, exec_lo
	s_waitcnt lgkmcnt(0)
	s_waitcnt_vscnt null, 0x0
	s_barrier
	buffer_gl0_inv
	v_cmpx_lt_i32_e32 5, v160
	s_cbranch_execz .LBB70_125
; %bb.124:
	v_mul_f64 v[152:153], v[146:147], v[110:111]
	v_mul_f64 v[110:111], v[144:145], v[110:111]
	s_delay_alu instid0(VALU_DEP_2) | instskip(NEXT) | instid1(VALU_DEP_2)
	v_fma_f64 v[152:153], v[144:145], v[108:109], -v[152:153]
	v_fma_f64 v[110:111], v[146:147], v[108:109], v[110:111]
	ds_load_2addr_b64 v[144:147], v154 offset0:12 offset1:13
	s_waitcnt lgkmcnt(0)
	v_mul_f64 v[108:109], v[146:147], v[110:111]
	s_delay_alu instid0(VALU_DEP_1) | instskip(SKIP_1) | instid1(VALU_DEP_2)
	v_fma_f64 v[108:109], v[144:145], v[152:153], -v[108:109]
	v_mul_f64 v[144:145], v[144:145], v[110:111]
	v_add_f64 v[140:141], v[140:141], -v[108:109]
	s_delay_alu instid0(VALU_DEP_2) | instskip(NEXT) | instid1(VALU_DEP_1)
	v_fma_f64 v[144:145], v[146:147], v[152:153], v[144:145]
	v_add_f64 v[142:143], v[142:143], -v[144:145]
	ds_load_2addr_b64 v[144:147], v154 offset0:14 offset1:15
	s_waitcnt lgkmcnt(0)
	v_mul_f64 v[108:109], v[146:147], v[110:111]
	s_delay_alu instid0(VALU_DEP_1) | instskip(SKIP_1) | instid1(VALU_DEP_2)
	v_fma_f64 v[108:109], v[144:145], v[152:153], -v[108:109]
	v_mul_f64 v[144:145], v[144:145], v[110:111]
	v_add_f64 v[136:137], v[136:137], -v[108:109]
	s_delay_alu instid0(VALU_DEP_2) | instskip(NEXT) | instid1(VALU_DEP_1)
	v_fma_f64 v[144:145], v[146:147], v[152:153], v[144:145]
	v_add_f64 v[138:139], v[138:139], -v[144:145]
	;; [unrolled: 10-line block ×29, first 2 shown]
	ds_load_2addr_b64 v[144:147], v154 offset0:70 offset1:71
	s_waitcnt lgkmcnt(0)
	v_mul_f64 v[108:109], v[146:147], v[110:111]
	s_delay_alu instid0(VALU_DEP_1) | instskip(SKIP_1) | instid1(VALU_DEP_2)
	v_fma_f64 v[108:109], v[144:145], v[152:153], -v[108:109]
	v_mul_f64 v[144:145], v[144:145], v[110:111]
	v_add_f64 v[0:1], v[0:1], -v[108:109]
	s_delay_alu instid0(VALU_DEP_2) | instskip(SKIP_1) | instid1(VALU_DEP_2)
	v_fma_f64 v[144:145], v[146:147], v[152:153], v[144:145]
	v_dual_mov_b32 v108, v152 :: v_dual_mov_b32 v109, v153
	v_add_f64 v[2:3], v[2:3], -v[144:145]
.LBB70_125:
	s_or_b32 exec_lo, exec_lo, s2
	v_lshl_add_u32 v144, v160, 4, v154
	s_barrier
	buffer_gl0_inv
	v_mov_b32_e32 v152, 6
	ds_store_2addr_b64 v144, v[140:141], v[142:143] offset1:1
	s_waitcnt lgkmcnt(0)
	s_barrier
	buffer_gl0_inv
	ds_load_2addr_b64 v[144:147], v154 offset0:12 offset1:13
	s_cmp_lt_i32 s5, 8
	s_cbranch_scc1 .LBB70_128
; %bb.126:
	v_add3_u32 v153, v159, 0, 0x70
	v_mov_b32_e32 v152, 6
	s_mov_b32 s6, 7
	s_set_inst_prefetch_distance 0x1
	.p2align	6
.LBB70_127:                             ; =>This Inner Loop Header: Depth=1
	ds_load_2addr_b64 v[161:164], v153 offset1:1
	s_waitcnt lgkmcnt(1)
	v_cmp_gt_f64_e32 vcc_lo, 0, v[144:145]
	v_xor_b32_e32 v165, 0x80000000, v145
	v_cmp_gt_f64_e64 s2, 0, v[146:147]
	v_xor_b32_e32 v167, 0x80000000, v147
	v_add_nc_u32_e32 v153, 16, v153
	s_waitcnt lgkmcnt(0)
	v_cmp_gt_f64_e64 s3, 0, v[161:162]
	v_mov_b32_e32 v169, v161
	v_dual_mov_b32 v171, v163 :: v_dual_cndmask_b32 v166, v145, v165
	v_xor_b32_e32 v165, 0x80000000, v162
	v_cndmask_b32_e64 v168, v147, v167, s2
	v_xor_b32_e32 v167, 0x80000000, v164
	s_delay_alu instid0(VALU_DEP_3) | instskip(SKIP_2) | instid1(VALU_DEP_2)
	v_cndmask_b32_e64 v170, v162, v165, s3
	v_cmp_gt_f64_e64 s3, 0, v[163:164]
	v_cndmask_b32_e32 v165, v144, v144, vcc_lo
	v_cndmask_b32_e64 v172, v164, v167, s3
	v_cndmask_b32_e64 v167, v146, v146, s2
	s_delay_alu instid0(VALU_DEP_2) | instskip(NEXT) | instid1(VALU_DEP_2)
	v_add_f64 v[169:170], v[169:170], v[171:172]
	v_add_f64 v[165:166], v[165:166], v[167:168]
	s_delay_alu instid0(VALU_DEP_1) | instskip(SKIP_4) | instid1(SALU_CYCLE_1)
	v_cmp_lt_f64_e32 vcc_lo, v[165:166], v[169:170]
	v_dual_cndmask_b32 v146, v146, v163 :: v_dual_cndmask_b32 v145, v145, v162
	v_dual_cndmask_b32 v144, v144, v161 :: v_dual_cndmask_b32 v147, v147, v164
	v_cndmask_b32_e64 v152, v152, s6, vcc_lo
	s_add_i32 s6, s6, 1
	s_cmp_lg_u32 s5, s6
	s_cbranch_scc1 .LBB70_127
.LBB70_128:
	s_set_inst_prefetch_distance 0x2
	s_waitcnt lgkmcnt(0)
	v_cmp_eq_f64_e32 vcc_lo, 0, v[144:145]
	v_cmp_eq_f64_e64 s2, 0, v[146:147]
	s_delay_alu instid0(VALU_DEP_1) | instskip(NEXT) | instid1(SALU_CYCLE_1)
	s_and_b32 s2, vcc_lo, s2
	s_and_saveexec_b32 s3, s2
	s_delay_alu instid0(SALU_CYCLE_1)
	s_xor_b32 s2, exec_lo, s3
; %bb.129:
	v_cmp_ne_u32_e32 vcc_lo, 0, v157
	v_cndmask_b32_e32 v157, 7, v157, vcc_lo
; %bb.130:
	s_and_not1_saveexec_b32 s3, s2
	s_cbranch_execz .LBB70_136
; %bb.131:
	v_cmp_gt_f64_e32 vcc_lo, 0, v[144:145]
	v_cmp_gt_f64_e64 s2, 0, v[146:147]
	v_xor_b32_e32 v153, 0x80000000, v145
	v_xor_b32_e32 v161, 0x80000000, v147
	s_delay_alu instid0(VALU_DEP_2) | instskip(NEXT) | instid1(VALU_DEP_2)
	v_cndmask_b32_e32 v162, v145, v153, vcc_lo
	v_cndmask_b32_e64 v164, v147, v161, s2
	v_cndmask_b32_e32 v161, v144, v144, vcc_lo
	v_cndmask_b32_e64 v163, v146, v146, s2
	s_mov_b32 s2, exec_lo
	s_delay_alu instid0(VALU_DEP_1)
	v_cmpx_ngt_f64_e32 v[161:162], v[163:164]
	s_xor_b32 s2, exec_lo, s2
	s_cbranch_execz .LBB70_133
; %bb.132:
	v_div_scale_f64 v[161:162], null, v[146:147], v[146:147], v[144:145]
	v_div_scale_f64 v[167:168], vcc_lo, v[144:145], v[146:147], v[144:145]
	s_delay_alu instid0(VALU_DEP_2) | instskip(SKIP_2) | instid1(VALU_DEP_1)
	v_rcp_f64_e32 v[163:164], v[161:162]
	s_waitcnt_depctr 0xfff
	v_fma_f64 v[165:166], -v[161:162], v[163:164], 1.0
	v_fma_f64 v[163:164], v[163:164], v[165:166], v[163:164]
	s_delay_alu instid0(VALU_DEP_1) | instskip(NEXT) | instid1(VALU_DEP_1)
	v_fma_f64 v[165:166], -v[161:162], v[163:164], 1.0
	v_fma_f64 v[163:164], v[163:164], v[165:166], v[163:164]
	s_delay_alu instid0(VALU_DEP_1) | instskip(NEXT) | instid1(VALU_DEP_1)
	v_mul_f64 v[165:166], v[167:168], v[163:164]
	v_fma_f64 v[161:162], -v[161:162], v[165:166], v[167:168]
	s_delay_alu instid0(VALU_DEP_1) | instskip(NEXT) | instid1(VALU_DEP_1)
	v_div_fmas_f64 v[161:162], v[161:162], v[163:164], v[165:166]
	v_div_fixup_f64 v[161:162], v[161:162], v[146:147], v[144:145]
	s_delay_alu instid0(VALU_DEP_1) | instskip(NEXT) | instid1(VALU_DEP_1)
	v_fma_f64 v[144:145], v[144:145], v[161:162], v[146:147]
	v_div_scale_f64 v[146:147], null, v[144:145], v[144:145], 1.0
	s_delay_alu instid0(VALU_DEP_1) | instskip(SKIP_2) | instid1(VALU_DEP_1)
	v_rcp_f64_e32 v[163:164], v[146:147]
	s_waitcnt_depctr 0xfff
	v_fma_f64 v[165:166], -v[146:147], v[163:164], 1.0
	v_fma_f64 v[163:164], v[163:164], v[165:166], v[163:164]
	s_delay_alu instid0(VALU_DEP_1) | instskip(NEXT) | instid1(VALU_DEP_1)
	v_fma_f64 v[165:166], -v[146:147], v[163:164], 1.0
	v_fma_f64 v[163:164], v[163:164], v[165:166], v[163:164]
	v_div_scale_f64 v[165:166], vcc_lo, 1.0, v[144:145], 1.0
	s_delay_alu instid0(VALU_DEP_1) | instskip(NEXT) | instid1(VALU_DEP_1)
	v_mul_f64 v[167:168], v[165:166], v[163:164]
	v_fma_f64 v[146:147], -v[146:147], v[167:168], v[165:166]
	s_delay_alu instid0(VALU_DEP_1) | instskip(NEXT) | instid1(VALU_DEP_1)
	v_div_fmas_f64 v[146:147], v[146:147], v[163:164], v[167:168]
	v_div_fixup_f64 v[146:147], v[146:147], v[144:145], 1.0
	s_delay_alu instid0(VALU_DEP_1)
	v_mul_f64 v[144:145], v[161:162], v[146:147]
	v_xor_b32_e32 v147, 0x80000000, v147
.LBB70_133:
	s_and_not1_saveexec_b32 s2, s2
	s_cbranch_execz .LBB70_135
; %bb.134:
	s_delay_alu instid0(VALU_DEP_1) | instskip(SKIP_1) | instid1(VALU_DEP_2)
	v_div_scale_f64 v[161:162], null, v[144:145], v[144:145], v[146:147]
	v_div_scale_f64 v[167:168], vcc_lo, v[146:147], v[144:145], v[146:147]
	v_rcp_f64_e32 v[163:164], v[161:162]
	s_waitcnt_depctr 0xfff
	v_fma_f64 v[165:166], -v[161:162], v[163:164], 1.0
	s_delay_alu instid0(VALU_DEP_1) | instskip(NEXT) | instid1(VALU_DEP_1)
	v_fma_f64 v[163:164], v[163:164], v[165:166], v[163:164]
	v_fma_f64 v[165:166], -v[161:162], v[163:164], 1.0
	s_delay_alu instid0(VALU_DEP_1) | instskip(NEXT) | instid1(VALU_DEP_1)
	v_fma_f64 v[163:164], v[163:164], v[165:166], v[163:164]
	v_mul_f64 v[165:166], v[167:168], v[163:164]
	s_delay_alu instid0(VALU_DEP_1) | instskip(NEXT) | instid1(VALU_DEP_1)
	v_fma_f64 v[161:162], -v[161:162], v[165:166], v[167:168]
	v_div_fmas_f64 v[161:162], v[161:162], v[163:164], v[165:166]
	s_delay_alu instid0(VALU_DEP_1) | instskip(NEXT) | instid1(VALU_DEP_1)
	v_div_fixup_f64 v[161:162], v[161:162], v[144:145], v[146:147]
	v_fma_f64 v[144:145], v[146:147], v[161:162], v[144:145]
	s_delay_alu instid0(VALU_DEP_1) | instskip(NEXT) | instid1(VALU_DEP_1)
	v_div_scale_f64 v[146:147], null, v[144:145], v[144:145], 1.0
	v_rcp_f64_e32 v[163:164], v[146:147]
	s_waitcnt_depctr 0xfff
	v_fma_f64 v[165:166], -v[146:147], v[163:164], 1.0
	s_delay_alu instid0(VALU_DEP_1) | instskip(NEXT) | instid1(VALU_DEP_1)
	v_fma_f64 v[163:164], v[163:164], v[165:166], v[163:164]
	v_fma_f64 v[165:166], -v[146:147], v[163:164], 1.0
	s_delay_alu instid0(VALU_DEP_1) | instskip(SKIP_1) | instid1(VALU_DEP_1)
	v_fma_f64 v[163:164], v[163:164], v[165:166], v[163:164]
	v_div_scale_f64 v[165:166], vcc_lo, 1.0, v[144:145], 1.0
	v_mul_f64 v[167:168], v[165:166], v[163:164]
	s_delay_alu instid0(VALU_DEP_1) | instskip(NEXT) | instid1(VALU_DEP_1)
	v_fma_f64 v[146:147], -v[146:147], v[167:168], v[165:166]
	v_div_fmas_f64 v[146:147], v[146:147], v[163:164], v[167:168]
	s_delay_alu instid0(VALU_DEP_1) | instskip(NEXT) | instid1(VALU_DEP_1)
	v_div_fixup_f64 v[144:145], v[146:147], v[144:145], 1.0
	v_mul_f64 v[146:147], v[161:162], -v[144:145]
.LBB70_135:
	s_or_b32 exec_lo, exec_lo, s2
.LBB70_136:
	s_delay_alu instid0(SALU_CYCLE_1) | instskip(NEXT) | instid1(SALU_CYCLE_1)
	s_or_b32 exec_lo, exec_lo, s3
	s_mov_b32 s2, exec_lo
	v_cmpx_ne_u32_e64 v160, v152
	s_xor_b32 s2, exec_lo, s2
	s_cbranch_execz .LBB70_142
; %bb.137:
	s_mov_b32 s3, exec_lo
	v_cmpx_eq_u32_e32 6, v160
	s_cbranch_execz .LBB70_141
; %bb.138:
	v_cmp_ne_u32_e32 vcc_lo, 6, v152
	s_xor_b32 s6, s4, -1
	s_delay_alu instid0(SALU_CYCLE_1) | instskip(NEXT) | instid1(SALU_CYCLE_1)
	s_and_b32 s7, s6, vcc_lo
	s_and_saveexec_b32 s6, s7
	s_cbranch_execz .LBB70_140
; %bb.139:
	v_ashrrev_i32_e32 v153, 31, v152
	s_delay_alu instid0(VALU_DEP_1) | instskip(NEXT) | instid1(VALU_DEP_1)
	v_lshlrev_b64 v[160:161], 2, v[152:153]
	v_add_co_u32 v160, vcc_lo, v150, v160
	s_delay_alu instid0(VALU_DEP_2)
	v_add_co_ci_u32_e32 v161, vcc_lo, v151, v161, vcc_lo
	s_clause 0x1
	flat_load_b32 v153, v[160:161]
	flat_load_b32 v158, v[150:151] offset:24
	s_waitcnt vmcnt(1) lgkmcnt(1)
	flat_store_b32 v[150:151], v153 offset:24
	s_waitcnt vmcnt(0) lgkmcnt(1)
	flat_store_b32 v[160:161], v158
.LBB70_140:
	s_or_b32 exec_lo, exec_lo, s6
	v_mov_b32_e32 v160, v152
	v_mov_b32_e32 v158, v152
.LBB70_141:
	s_or_b32 exec_lo, exec_lo, s3
.LBB70_142:
	s_and_not1_saveexec_b32 s2, s2
	s_cbranch_execz .LBB70_144
; %bb.143:
	v_mov_b32_e32 v160, 6
	ds_store_2addr_b64 v154, v[136:137], v[138:139] offset0:14 offset1:15
	ds_store_2addr_b64 v154, v[132:133], v[134:135] offset0:16 offset1:17
	;; [unrolled: 1-line block ×29, first 2 shown]
.LBB70_144:
	s_or_b32 exec_lo, exec_lo, s2
	s_delay_alu instid0(SALU_CYCLE_1)
	s_mov_b32 s2, exec_lo
	s_waitcnt lgkmcnt(0)
	s_waitcnt_vscnt null, 0x0
	s_barrier
	buffer_gl0_inv
	v_cmpx_lt_i32_e32 6, v160
	s_cbranch_execz .LBB70_146
; %bb.145:
	v_mul_f64 v[152:153], v[146:147], v[142:143]
	v_mul_f64 v[142:143], v[144:145], v[142:143]
	s_delay_alu instid0(VALU_DEP_2) | instskip(NEXT) | instid1(VALU_DEP_2)
	v_fma_f64 v[152:153], v[144:145], v[140:141], -v[152:153]
	v_fma_f64 v[142:143], v[146:147], v[140:141], v[142:143]
	ds_load_2addr_b64 v[144:147], v154 offset0:14 offset1:15
	s_waitcnt lgkmcnt(0)
	v_mul_f64 v[140:141], v[146:147], v[142:143]
	s_delay_alu instid0(VALU_DEP_1) | instskip(SKIP_1) | instid1(VALU_DEP_2)
	v_fma_f64 v[140:141], v[144:145], v[152:153], -v[140:141]
	v_mul_f64 v[144:145], v[144:145], v[142:143]
	v_add_f64 v[136:137], v[136:137], -v[140:141]
	s_delay_alu instid0(VALU_DEP_2) | instskip(NEXT) | instid1(VALU_DEP_1)
	v_fma_f64 v[144:145], v[146:147], v[152:153], v[144:145]
	v_add_f64 v[138:139], v[138:139], -v[144:145]
	ds_load_2addr_b64 v[144:147], v154 offset0:16 offset1:17
	s_waitcnt lgkmcnt(0)
	v_mul_f64 v[140:141], v[146:147], v[142:143]
	s_delay_alu instid0(VALU_DEP_1) | instskip(SKIP_1) | instid1(VALU_DEP_2)
	v_fma_f64 v[140:141], v[144:145], v[152:153], -v[140:141]
	v_mul_f64 v[144:145], v[144:145], v[142:143]
	v_add_f64 v[132:133], v[132:133], -v[140:141]
	s_delay_alu instid0(VALU_DEP_2) | instskip(NEXT) | instid1(VALU_DEP_1)
	v_fma_f64 v[144:145], v[146:147], v[152:153], v[144:145]
	v_add_f64 v[134:135], v[134:135], -v[144:145]
	;; [unrolled: 10-line block ×28, first 2 shown]
	ds_load_2addr_b64 v[144:147], v154 offset0:70 offset1:71
	s_waitcnt lgkmcnt(0)
	v_mul_f64 v[140:141], v[146:147], v[142:143]
	s_delay_alu instid0(VALU_DEP_1) | instskip(SKIP_1) | instid1(VALU_DEP_2)
	v_fma_f64 v[140:141], v[144:145], v[152:153], -v[140:141]
	v_mul_f64 v[144:145], v[144:145], v[142:143]
	v_add_f64 v[0:1], v[0:1], -v[140:141]
	s_delay_alu instid0(VALU_DEP_2) | instskip(SKIP_1) | instid1(VALU_DEP_2)
	v_fma_f64 v[144:145], v[146:147], v[152:153], v[144:145]
	v_dual_mov_b32 v140, v152 :: v_dual_mov_b32 v141, v153
	v_add_f64 v[2:3], v[2:3], -v[144:145]
.LBB70_146:
	s_or_b32 exec_lo, exec_lo, s2
	v_lshl_add_u32 v144, v160, 4, v154
	s_barrier
	buffer_gl0_inv
	v_mov_b32_e32 v152, 7
	ds_store_2addr_b64 v144, v[136:137], v[138:139] offset1:1
	s_waitcnt lgkmcnt(0)
	s_barrier
	buffer_gl0_inv
	ds_load_2addr_b64 v[144:147], v154 offset0:14 offset1:15
	s_cmp_lt_i32 s5, 9
	s_cbranch_scc1 .LBB70_149
; %bb.147:
	v_add3_u32 v153, v159, 0, 0x80
	v_mov_b32_e32 v152, 7
	s_mov_b32 s6, 8
	s_set_inst_prefetch_distance 0x1
	.p2align	6
.LBB70_148:                             ; =>This Inner Loop Header: Depth=1
	ds_load_2addr_b64 v[161:164], v153 offset1:1
	s_waitcnt lgkmcnt(1)
	v_cmp_gt_f64_e32 vcc_lo, 0, v[144:145]
	v_xor_b32_e32 v165, 0x80000000, v145
	v_cmp_gt_f64_e64 s2, 0, v[146:147]
	v_xor_b32_e32 v167, 0x80000000, v147
	v_add_nc_u32_e32 v153, 16, v153
	s_waitcnt lgkmcnt(0)
	v_cmp_gt_f64_e64 s3, 0, v[161:162]
	v_mov_b32_e32 v169, v161
	v_dual_mov_b32 v171, v163 :: v_dual_cndmask_b32 v166, v145, v165
	v_xor_b32_e32 v165, 0x80000000, v162
	v_cndmask_b32_e64 v168, v147, v167, s2
	v_xor_b32_e32 v167, 0x80000000, v164
	s_delay_alu instid0(VALU_DEP_3) | instskip(SKIP_2) | instid1(VALU_DEP_2)
	v_cndmask_b32_e64 v170, v162, v165, s3
	v_cmp_gt_f64_e64 s3, 0, v[163:164]
	v_cndmask_b32_e32 v165, v144, v144, vcc_lo
	v_cndmask_b32_e64 v172, v164, v167, s3
	v_cndmask_b32_e64 v167, v146, v146, s2
	s_delay_alu instid0(VALU_DEP_2) | instskip(NEXT) | instid1(VALU_DEP_2)
	v_add_f64 v[169:170], v[169:170], v[171:172]
	v_add_f64 v[165:166], v[165:166], v[167:168]
	s_delay_alu instid0(VALU_DEP_1) | instskip(SKIP_4) | instid1(SALU_CYCLE_1)
	v_cmp_lt_f64_e32 vcc_lo, v[165:166], v[169:170]
	v_dual_cndmask_b32 v146, v146, v163 :: v_dual_cndmask_b32 v145, v145, v162
	v_dual_cndmask_b32 v144, v144, v161 :: v_dual_cndmask_b32 v147, v147, v164
	v_cndmask_b32_e64 v152, v152, s6, vcc_lo
	s_add_i32 s6, s6, 1
	s_cmp_lg_u32 s5, s6
	s_cbranch_scc1 .LBB70_148
.LBB70_149:
	s_set_inst_prefetch_distance 0x2
	s_waitcnt lgkmcnt(0)
	v_cmp_eq_f64_e32 vcc_lo, 0, v[144:145]
	v_cmp_eq_f64_e64 s2, 0, v[146:147]
	s_delay_alu instid0(VALU_DEP_1) | instskip(NEXT) | instid1(SALU_CYCLE_1)
	s_and_b32 s2, vcc_lo, s2
	s_and_saveexec_b32 s3, s2
	s_delay_alu instid0(SALU_CYCLE_1)
	s_xor_b32 s2, exec_lo, s3
; %bb.150:
	v_cmp_ne_u32_e32 vcc_lo, 0, v157
	v_cndmask_b32_e32 v157, 8, v157, vcc_lo
; %bb.151:
	s_and_not1_saveexec_b32 s3, s2
	s_cbranch_execz .LBB70_157
; %bb.152:
	v_cmp_gt_f64_e32 vcc_lo, 0, v[144:145]
	v_cmp_gt_f64_e64 s2, 0, v[146:147]
	v_xor_b32_e32 v153, 0x80000000, v145
	v_xor_b32_e32 v161, 0x80000000, v147
	s_delay_alu instid0(VALU_DEP_2) | instskip(NEXT) | instid1(VALU_DEP_2)
	v_cndmask_b32_e32 v162, v145, v153, vcc_lo
	v_cndmask_b32_e64 v164, v147, v161, s2
	v_cndmask_b32_e32 v161, v144, v144, vcc_lo
	v_cndmask_b32_e64 v163, v146, v146, s2
	s_mov_b32 s2, exec_lo
	s_delay_alu instid0(VALU_DEP_1)
	v_cmpx_ngt_f64_e32 v[161:162], v[163:164]
	s_xor_b32 s2, exec_lo, s2
	s_cbranch_execz .LBB70_154
; %bb.153:
	v_div_scale_f64 v[161:162], null, v[146:147], v[146:147], v[144:145]
	v_div_scale_f64 v[167:168], vcc_lo, v[144:145], v[146:147], v[144:145]
	s_delay_alu instid0(VALU_DEP_2) | instskip(SKIP_2) | instid1(VALU_DEP_1)
	v_rcp_f64_e32 v[163:164], v[161:162]
	s_waitcnt_depctr 0xfff
	v_fma_f64 v[165:166], -v[161:162], v[163:164], 1.0
	v_fma_f64 v[163:164], v[163:164], v[165:166], v[163:164]
	s_delay_alu instid0(VALU_DEP_1) | instskip(NEXT) | instid1(VALU_DEP_1)
	v_fma_f64 v[165:166], -v[161:162], v[163:164], 1.0
	v_fma_f64 v[163:164], v[163:164], v[165:166], v[163:164]
	s_delay_alu instid0(VALU_DEP_1) | instskip(NEXT) | instid1(VALU_DEP_1)
	v_mul_f64 v[165:166], v[167:168], v[163:164]
	v_fma_f64 v[161:162], -v[161:162], v[165:166], v[167:168]
	s_delay_alu instid0(VALU_DEP_1) | instskip(NEXT) | instid1(VALU_DEP_1)
	v_div_fmas_f64 v[161:162], v[161:162], v[163:164], v[165:166]
	v_div_fixup_f64 v[161:162], v[161:162], v[146:147], v[144:145]
	s_delay_alu instid0(VALU_DEP_1) | instskip(NEXT) | instid1(VALU_DEP_1)
	v_fma_f64 v[144:145], v[144:145], v[161:162], v[146:147]
	v_div_scale_f64 v[146:147], null, v[144:145], v[144:145], 1.0
	s_delay_alu instid0(VALU_DEP_1) | instskip(SKIP_2) | instid1(VALU_DEP_1)
	v_rcp_f64_e32 v[163:164], v[146:147]
	s_waitcnt_depctr 0xfff
	v_fma_f64 v[165:166], -v[146:147], v[163:164], 1.0
	v_fma_f64 v[163:164], v[163:164], v[165:166], v[163:164]
	s_delay_alu instid0(VALU_DEP_1) | instskip(NEXT) | instid1(VALU_DEP_1)
	v_fma_f64 v[165:166], -v[146:147], v[163:164], 1.0
	v_fma_f64 v[163:164], v[163:164], v[165:166], v[163:164]
	v_div_scale_f64 v[165:166], vcc_lo, 1.0, v[144:145], 1.0
	s_delay_alu instid0(VALU_DEP_1) | instskip(NEXT) | instid1(VALU_DEP_1)
	v_mul_f64 v[167:168], v[165:166], v[163:164]
	v_fma_f64 v[146:147], -v[146:147], v[167:168], v[165:166]
	s_delay_alu instid0(VALU_DEP_1) | instskip(NEXT) | instid1(VALU_DEP_1)
	v_div_fmas_f64 v[146:147], v[146:147], v[163:164], v[167:168]
	v_div_fixup_f64 v[146:147], v[146:147], v[144:145], 1.0
	s_delay_alu instid0(VALU_DEP_1)
	v_mul_f64 v[144:145], v[161:162], v[146:147]
	v_xor_b32_e32 v147, 0x80000000, v147
.LBB70_154:
	s_and_not1_saveexec_b32 s2, s2
	s_cbranch_execz .LBB70_156
; %bb.155:
	s_delay_alu instid0(VALU_DEP_1) | instskip(SKIP_1) | instid1(VALU_DEP_2)
	v_div_scale_f64 v[161:162], null, v[144:145], v[144:145], v[146:147]
	v_div_scale_f64 v[167:168], vcc_lo, v[146:147], v[144:145], v[146:147]
	v_rcp_f64_e32 v[163:164], v[161:162]
	s_waitcnt_depctr 0xfff
	v_fma_f64 v[165:166], -v[161:162], v[163:164], 1.0
	s_delay_alu instid0(VALU_DEP_1) | instskip(NEXT) | instid1(VALU_DEP_1)
	v_fma_f64 v[163:164], v[163:164], v[165:166], v[163:164]
	v_fma_f64 v[165:166], -v[161:162], v[163:164], 1.0
	s_delay_alu instid0(VALU_DEP_1) | instskip(NEXT) | instid1(VALU_DEP_1)
	v_fma_f64 v[163:164], v[163:164], v[165:166], v[163:164]
	v_mul_f64 v[165:166], v[167:168], v[163:164]
	s_delay_alu instid0(VALU_DEP_1) | instskip(NEXT) | instid1(VALU_DEP_1)
	v_fma_f64 v[161:162], -v[161:162], v[165:166], v[167:168]
	v_div_fmas_f64 v[161:162], v[161:162], v[163:164], v[165:166]
	s_delay_alu instid0(VALU_DEP_1) | instskip(NEXT) | instid1(VALU_DEP_1)
	v_div_fixup_f64 v[161:162], v[161:162], v[144:145], v[146:147]
	v_fma_f64 v[144:145], v[146:147], v[161:162], v[144:145]
	s_delay_alu instid0(VALU_DEP_1) | instskip(NEXT) | instid1(VALU_DEP_1)
	v_div_scale_f64 v[146:147], null, v[144:145], v[144:145], 1.0
	v_rcp_f64_e32 v[163:164], v[146:147]
	s_waitcnt_depctr 0xfff
	v_fma_f64 v[165:166], -v[146:147], v[163:164], 1.0
	s_delay_alu instid0(VALU_DEP_1) | instskip(NEXT) | instid1(VALU_DEP_1)
	v_fma_f64 v[163:164], v[163:164], v[165:166], v[163:164]
	v_fma_f64 v[165:166], -v[146:147], v[163:164], 1.0
	s_delay_alu instid0(VALU_DEP_1) | instskip(SKIP_1) | instid1(VALU_DEP_1)
	v_fma_f64 v[163:164], v[163:164], v[165:166], v[163:164]
	v_div_scale_f64 v[165:166], vcc_lo, 1.0, v[144:145], 1.0
	v_mul_f64 v[167:168], v[165:166], v[163:164]
	s_delay_alu instid0(VALU_DEP_1) | instskip(NEXT) | instid1(VALU_DEP_1)
	v_fma_f64 v[146:147], -v[146:147], v[167:168], v[165:166]
	v_div_fmas_f64 v[146:147], v[146:147], v[163:164], v[167:168]
	s_delay_alu instid0(VALU_DEP_1) | instskip(NEXT) | instid1(VALU_DEP_1)
	v_div_fixup_f64 v[144:145], v[146:147], v[144:145], 1.0
	v_mul_f64 v[146:147], v[161:162], -v[144:145]
.LBB70_156:
	s_or_b32 exec_lo, exec_lo, s2
.LBB70_157:
	s_delay_alu instid0(SALU_CYCLE_1) | instskip(NEXT) | instid1(SALU_CYCLE_1)
	s_or_b32 exec_lo, exec_lo, s3
	s_mov_b32 s2, exec_lo
	v_cmpx_ne_u32_e64 v160, v152
	s_xor_b32 s2, exec_lo, s2
	s_cbranch_execz .LBB70_163
; %bb.158:
	s_mov_b32 s3, exec_lo
	v_cmpx_eq_u32_e32 7, v160
	s_cbranch_execz .LBB70_162
; %bb.159:
	v_cmp_ne_u32_e32 vcc_lo, 7, v152
	s_xor_b32 s6, s4, -1
	s_delay_alu instid0(SALU_CYCLE_1) | instskip(NEXT) | instid1(SALU_CYCLE_1)
	s_and_b32 s7, s6, vcc_lo
	s_and_saveexec_b32 s6, s7
	s_cbranch_execz .LBB70_161
; %bb.160:
	v_ashrrev_i32_e32 v153, 31, v152
	s_delay_alu instid0(VALU_DEP_1) | instskip(NEXT) | instid1(VALU_DEP_1)
	v_lshlrev_b64 v[160:161], 2, v[152:153]
	v_add_co_u32 v160, vcc_lo, v150, v160
	s_delay_alu instid0(VALU_DEP_2)
	v_add_co_ci_u32_e32 v161, vcc_lo, v151, v161, vcc_lo
	s_clause 0x1
	flat_load_b32 v153, v[160:161]
	flat_load_b32 v158, v[150:151] offset:28
	s_waitcnt vmcnt(1) lgkmcnt(1)
	flat_store_b32 v[150:151], v153 offset:28
	s_waitcnt vmcnt(0) lgkmcnt(1)
	flat_store_b32 v[160:161], v158
.LBB70_161:
	s_or_b32 exec_lo, exec_lo, s6
	v_mov_b32_e32 v160, v152
	v_mov_b32_e32 v158, v152
.LBB70_162:
	s_or_b32 exec_lo, exec_lo, s3
.LBB70_163:
	s_and_not1_saveexec_b32 s2, s2
	s_cbranch_execz .LBB70_165
; %bb.164:
	v_mov_b32_e32 v160, 7
	ds_store_2addr_b64 v154, v[132:133], v[134:135] offset0:16 offset1:17
	ds_store_2addr_b64 v154, v[120:121], v[122:123] offset0:18 offset1:19
	;; [unrolled: 1-line block ×28, first 2 shown]
.LBB70_165:
	s_or_b32 exec_lo, exec_lo, s2
	s_delay_alu instid0(SALU_CYCLE_1)
	s_mov_b32 s2, exec_lo
	s_waitcnt lgkmcnt(0)
	s_waitcnt_vscnt null, 0x0
	s_barrier
	buffer_gl0_inv
	v_cmpx_lt_i32_e32 7, v160
	s_cbranch_execz .LBB70_167
; %bb.166:
	v_mul_f64 v[152:153], v[146:147], v[138:139]
	v_mul_f64 v[138:139], v[144:145], v[138:139]
	s_delay_alu instid0(VALU_DEP_2) | instskip(NEXT) | instid1(VALU_DEP_2)
	v_fma_f64 v[152:153], v[144:145], v[136:137], -v[152:153]
	v_fma_f64 v[138:139], v[146:147], v[136:137], v[138:139]
	ds_load_2addr_b64 v[144:147], v154 offset0:16 offset1:17
	s_waitcnt lgkmcnt(0)
	v_mul_f64 v[136:137], v[146:147], v[138:139]
	s_delay_alu instid0(VALU_DEP_1) | instskip(SKIP_1) | instid1(VALU_DEP_2)
	v_fma_f64 v[136:137], v[144:145], v[152:153], -v[136:137]
	v_mul_f64 v[144:145], v[144:145], v[138:139]
	v_add_f64 v[132:133], v[132:133], -v[136:137]
	s_delay_alu instid0(VALU_DEP_2) | instskip(NEXT) | instid1(VALU_DEP_1)
	v_fma_f64 v[144:145], v[146:147], v[152:153], v[144:145]
	v_add_f64 v[134:135], v[134:135], -v[144:145]
	ds_load_2addr_b64 v[144:147], v154 offset0:18 offset1:19
	s_waitcnt lgkmcnt(0)
	v_mul_f64 v[136:137], v[146:147], v[138:139]
	s_delay_alu instid0(VALU_DEP_1) | instskip(SKIP_1) | instid1(VALU_DEP_2)
	v_fma_f64 v[136:137], v[144:145], v[152:153], -v[136:137]
	v_mul_f64 v[144:145], v[144:145], v[138:139]
	v_add_f64 v[120:121], v[120:121], -v[136:137]
	s_delay_alu instid0(VALU_DEP_2) | instskip(NEXT) | instid1(VALU_DEP_1)
	v_fma_f64 v[144:145], v[146:147], v[152:153], v[144:145]
	v_add_f64 v[122:123], v[122:123], -v[144:145]
	;; [unrolled: 10-line block ×27, first 2 shown]
	ds_load_2addr_b64 v[144:147], v154 offset0:70 offset1:71
	s_waitcnt lgkmcnt(0)
	v_mul_f64 v[136:137], v[146:147], v[138:139]
	s_delay_alu instid0(VALU_DEP_1) | instskip(SKIP_1) | instid1(VALU_DEP_2)
	v_fma_f64 v[136:137], v[144:145], v[152:153], -v[136:137]
	v_mul_f64 v[144:145], v[144:145], v[138:139]
	v_add_f64 v[0:1], v[0:1], -v[136:137]
	s_delay_alu instid0(VALU_DEP_2) | instskip(SKIP_1) | instid1(VALU_DEP_2)
	v_fma_f64 v[144:145], v[146:147], v[152:153], v[144:145]
	v_dual_mov_b32 v136, v152 :: v_dual_mov_b32 v137, v153
	v_add_f64 v[2:3], v[2:3], -v[144:145]
.LBB70_167:
	s_or_b32 exec_lo, exec_lo, s2
	v_lshl_add_u32 v144, v160, 4, v154
	s_barrier
	buffer_gl0_inv
	v_mov_b32_e32 v152, 8
	ds_store_2addr_b64 v144, v[132:133], v[134:135] offset1:1
	s_waitcnt lgkmcnt(0)
	s_barrier
	buffer_gl0_inv
	ds_load_2addr_b64 v[144:147], v154 offset0:16 offset1:17
	s_cmp_lt_i32 s5, 10
	s_cbranch_scc1 .LBB70_170
; %bb.168:
	v_add3_u32 v153, v159, 0, 0x90
	v_mov_b32_e32 v152, 8
	s_mov_b32 s6, 9
	s_set_inst_prefetch_distance 0x1
	.p2align	6
.LBB70_169:                             ; =>This Inner Loop Header: Depth=1
	ds_load_2addr_b64 v[161:164], v153 offset1:1
	s_waitcnt lgkmcnt(1)
	v_cmp_gt_f64_e32 vcc_lo, 0, v[144:145]
	v_xor_b32_e32 v165, 0x80000000, v145
	v_cmp_gt_f64_e64 s2, 0, v[146:147]
	v_xor_b32_e32 v167, 0x80000000, v147
	v_add_nc_u32_e32 v153, 16, v153
	s_waitcnt lgkmcnt(0)
	v_cmp_gt_f64_e64 s3, 0, v[161:162]
	v_mov_b32_e32 v169, v161
	v_dual_mov_b32 v171, v163 :: v_dual_cndmask_b32 v166, v145, v165
	v_xor_b32_e32 v165, 0x80000000, v162
	v_cndmask_b32_e64 v168, v147, v167, s2
	v_xor_b32_e32 v167, 0x80000000, v164
	s_delay_alu instid0(VALU_DEP_3) | instskip(SKIP_2) | instid1(VALU_DEP_2)
	v_cndmask_b32_e64 v170, v162, v165, s3
	v_cmp_gt_f64_e64 s3, 0, v[163:164]
	v_cndmask_b32_e32 v165, v144, v144, vcc_lo
	v_cndmask_b32_e64 v172, v164, v167, s3
	v_cndmask_b32_e64 v167, v146, v146, s2
	s_delay_alu instid0(VALU_DEP_2) | instskip(NEXT) | instid1(VALU_DEP_2)
	v_add_f64 v[169:170], v[169:170], v[171:172]
	v_add_f64 v[165:166], v[165:166], v[167:168]
	s_delay_alu instid0(VALU_DEP_1) | instskip(SKIP_4) | instid1(SALU_CYCLE_1)
	v_cmp_lt_f64_e32 vcc_lo, v[165:166], v[169:170]
	v_dual_cndmask_b32 v146, v146, v163 :: v_dual_cndmask_b32 v145, v145, v162
	v_dual_cndmask_b32 v144, v144, v161 :: v_dual_cndmask_b32 v147, v147, v164
	v_cndmask_b32_e64 v152, v152, s6, vcc_lo
	s_add_i32 s6, s6, 1
	s_cmp_lg_u32 s5, s6
	s_cbranch_scc1 .LBB70_169
.LBB70_170:
	s_set_inst_prefetch_distance 0x2
	s_waitcnt lgkmcnt(0)
	v_cmp_eq_f64_e32 vcc_lo, 0, v[144:145]
	v_cmp_eq_f64_e64 s2, 0, v[146:147]
	s_delay_alu instid0(VALU_DEP_1) | instskip(NEXT) | instid1(SALU_CYCLE_1)
	s_and_b32 s2, vcc_lo, s2
	s_and_saveexec_b32 s3, s2
	s_delay_alu instid0(SALU_CYCLE_1)
	s_xor_b32 s2, exec_lo, s3
; %bb.171:
	v_cmp_ne_u32_e32 vcc_lo, 0, v157
	v_cndmask_b32_e32 v157, 9, v157, vcc_lo
; %bb.172:
	s_and_not1_saveexec_b32 s3, s2
	s_cbranch_execz .LBB70_178
; %bb.173:
	v_cmp_gt_f64_e32 vcc_lo, 0, v[144:145]
	v_cmp_gt_f64_e64 s2, 0, v[146:147]
	v_xor_b32_e32 v153, 0x80000000, v145
	v_xor_b32_e32 v161, 0x80000000, v147
	s_delay_alu instid0(VALU_DEP_2) | instskip(NEXT) | instid1(VALU_DEP_2)
	v_cndmask_b32_e32 v162, v145, v153, vcc_lo
	v_cndmask_b32_e64 v164, v147, v161, s2
	v_cndmask_b32_e32 v161, v144, v144, vcc_lo
	v_cndmask_b32_e64 v163, v146, v146, s2
	s_mov_b32 s2, exec_lo
	s_delay_alu instid0(VALU_DEP_1)
	v_cmpx_ngt_f64_e32 v[161:162], v[163:164]
	s_xor_b32 s2, exec_lo, s2
	s_cbranch_execz .LBB70_175
; %bb.174:
	v_div_scale_f64 v[161:162], null, v[146:147], v[146:147], v[144:145]
	v_div_scale_f64 v[167:168], vcc_lo, v[144:145], v[146:147], v[144:145]
	s_delay_alu instid0(VALU_DEP_2) | instskip(SKIP_2) | instid1(VALU_DEP_1)
	v_rcp_f64_e32 v[163:164], v[161:162]
	s_waitcnt_depctr 0xfff
	v_fma_f64 v[165:166], -v[161:162], v[163:164], 1.0
	v_fma_f64 v[163:164], v[163:164], v[165:166], v[163:164]
	s_delay_alu instid0(VALU_DEP_1) | instskip(NEXT) | instid1(VALU_DEP_1)
	v_fma_f64 v[165:166], -v[161:162], v[163:164], 1.0
	v_fma_f64 v[163:164], v[163:164], v[165:166], v[163:164]
	s_delay_alu instid0(VALU_DEP_1) | instskip(NEXT) | instid1(VALU_DEP_1)
	v_mul_f64 v[165:166], v[167:168], v[163:164]
	v_fma_f64 v[161:162], -v[161:162], v[165:166], v[167:168]
	s_delay_alu instid0(VALU_DEP_1) | instskip(NEXT) | instid1(VALU_DEP_1)
	v_div_fmas_f64 v[161:162], v[161:162], v[163:164], v[165:166]
	v_div_fixup_f64 v[161:162], v[161:162], v[146:147], v[144:145]
	s_delay_alu instid0(VALU_DEP_1) | instskip(NEXT) | instid1(VALU_DEP_1)
	v_fma_f64 v[144:145], v[144:145], v[161:162], v[146:147]
	v_div_scale_f64 v[146:147], null, v[144:145], v[144:145], 1.0
	s_delay_alu instid0(VALU_DEP_1) | instskip(SKIP_2) | instid1(VALU_DEP_1)
	v_rcp_f64_e32 v[163:164], v[146:147]
	s_waitcnt_depctr 0xfff
	v_fma_f64 v[165:166], -v[146:147], v[163:164], 1.0
	v_fma_f64 v[163:164], v[163:164], v[165:166], v[163:164]
	s_delay_alu instid0(VALU_DEP_1) | instskip(NEXT) | instid1(VALU_DEP_1)
	v_fma_f64 v[165:166], -v[146:147], v[163:164], 1.0
	v_fma_f64 v[163:164], v[163:164], v[165:166], v[163:164]
	v_div_scale_f64 v[165:166], vcc_lo, 1.0, v[144:145], 1.0
	s_delay_alu instid0(VALU_DEP_1) | instskip(NEXT) | instid1(VALU_DEP_1)
	v_mul_f64 v[167:168], v[165:166], v[163:164]
	v_fma_f64 v[146:147], -v[146:147], v[167:168], v[165:166]
	s_delay_alu instid0(VALU_DEP_1) | instskip(NEXT) | instid1(VALU_DEP_1)
	v_div_fmas_f64 v[146:147], v[146:147], v[163:164], v[167:168]
	v_div_fixup_f64 v[146:147], v[146:147], v[144:145], 1.0
	s_delay_alu instid0(VALU_DEP_1)
	v_mul_f64 v[144:145], v[161:162], v[146:147]
	v_xor_b32_e32 v147, 0x80000000, v147
.LBB70_175:
	s_and_not1_saveexec_b32 s2, s2
	s_cbranch_execz .LBB70_177
; %bb.176:
	s_delay_alu instid0(VALU_DEP_1) | instskip(SKIP_1) | instid1(VALU_DEP_2)
	v_div_scale_f64 v[161:162], null, v[144:145], v[144:145], v[146:147]
	v_div_scale_f64 v[167:168], vcc_lo, v[146:147], v[144:145], v[146:147]
	v_rcp_f64_e32 v[163:164], v[161:162]
	s_waitcnt_depctr 0xfff
	v_fma_f64 v[165:166], -v[161:162], v[163:164], 1.0
	s_delay_alu instid0(VALU_DEP_1) | instskip(NEXT) | instid1(VALU_DEP_1)
	v_fma_f64 v[163:164], v[163:164], v[165:166], v[163:164]
	v_fma_f64 v[165:166], -v[161:162], v[163:164], 1.0
	s_delay_alu instid0(VALU_DEP_1) | instskip(NEXT) | instid1(VALU_DEP_1)
	v_fma_f64 v[163:164], v[163:164], v[165:166], v[163:164]
	v_mul_f64 v[165:166], v[167:168], v[163:164]
	s_delay_alu instid0(VALU_DEP_1) | instskip(NEXT) | instid1(VALU_DEP_1)
	v_fma_f64 v[161:162], -v[161:162], v[165:166], v[167:168]
	v_div_fmas_f64 v[161:162], v[161:162], v[163:164], v[165:166]
	s_delay_alu instid0(VALU_DEP_1) | instskip(NEXT) | instid1(VALU_DEP_1)
	v_div_fixup_f64 v[161:162], v[161:162], v[144:145], v[146:147]
	v_fma_f64 v[144:145], v[146:147], v[161:162], v[144:145]
	s_delay_alu instid0(VALU_DEP_1) | instskip(NEXT) | instid1(VALU_DEP_1)
	v_div_scale_f64 v[146:147], null, v[144:145], v[144:145], 1.0
	v_rcp_f64_e32 v[163:164], v[146:147]
	s_waitcnt_depctr 0xfff
	v_fma_f64 v[165:166], -v[146:147], v[163:164], 1.0
	s_delay_alu instid0(VALU_DEP_1) | instskip(NEXT) | instid1(VALU_DEP_1)
	v_fma_f64 v[163:164], v[163:164], v[165:166], v[163:164]
	v_fma_f64 v[165:166], -v[146:147], v[163:164], 1.0
	s_delay_alu instid0(VALU_DEP_1) | instskip(SKIP_1) | instid1(VALU_DEP_1)
	v_fma_f64 v[163:164], v[163:164], v[165:166], v[163:164]
	v_div_scale_f64 v[165:166], vcc_lo, 1.0, v[144:145], 1.0
	v_mul_f64 v[167:168], v[165:166], v[163:164]
	s_delay_alu instid0(VALU_DEP_1) | instskip(NEXT) | instid1(VALU_DEP_1)
	v_fma_f64 v[146:147], -v[146:147], v[167:168], v[165:166]
	v_div_fmas_f64 v[146:147], v[146:147], v[163:164], v[167:168]
	s_delay_alu instid0(VALU_DEP_1) | instskip(NEXT) | instid1(VALU_DEP_1)
	v_div_fixup_f64 v[144:145], v[146:147], v[144:145], 1.0
	v_mul_f64 v[146:147], v[161:162], -v[144:145]
.LBB70_177:
	s_or_b32 exec_lo, exec_lo, s2
.LBB70_178:
	s_delay_alu instid0(SALU_CYCLE_1) | instskip(NEXT) | instid1(SALU_CYCLE_1)
	s_or_b32 exec_lo, exec_lo, s3
	s_mov_b32 s2, exec_lo
	v_cmpx_ne_u32_e64 v160, v152
	s_xor_b32 s2, exec_lo, s2
	s_cbranch_execz .LBB70_184
; %bb.179:
	s_mov_b32 s3, exec_lo
	v_cmpx_eq_u32_e32 8, v160
	s_cbranch_execz .LBB70_183
; %bb.180:
	v_cmp_ne_u32_e32 vcc_lo, 8, v152
	s_xor_b32 s6, s4, -1
	s_delay_alu instid0(SALU_CYCLE_1) | instskip(NEXT) | instid1(SALU_CYCLE_1)
	s_and_b32 s7, s6, vcc_lo
	s_and_saveexec_b32 s6, s7
	s_cbranch_execz .LBB70_182
; %bb.181:
	v_ashrrev_i32_e32 v153, 31, v152
	s_delay_alu instid0(VALU_DEP_1) | instskip(NEXT) | instid1(VALU_DEP_1)
	v_lshlrev_b64 v[160:161], 2, v[152:153]
	v_add_co_u32 v160, vcc_lo, v150, v160
	s_delay_alu instid0(VALU_DEP_2)
	v_add_co_ci_u32_e32 v161, vcc_lo, v151, v161, vcc_lo
	s_clause 0x1
	flat_load_b32 v153, v[160:161]
	flat_load_b32 v158, v[150:151] offset:32
	s_waitcnt vmcnt(1) lgkmcnt(1)
	flat_store_b32 v[150:151], v153 offset:32
	s_waitcnt vmcnt(0) lgkmcnt(1)
	flat_store_b32 v[160:161], v158
.LBB70_182:
	s_or_b32 exec_lo, exec_lo, s6
	v_mov_b32_e32 v160, v152
	v_mov_b32_e32 v158, v152
.LBB70_183:
	s_or_b32 exec_lo, exec_lo, s3
.LBB70_184:
	s_and_not1_saveexec_b32 s2, s2
	s_cbranch_execz .LBB70_186
; %bb.185:
	v_mov_b32_e32 v160, 8
	ds_store_2addr_b64 v154, v[120:121], v[122:123] offset0:18 offset1:19
	ds_store_2addr_b64 v154, v[116:117], v[118:119] offset0:20 offset1:21
	;; [unrolled: 1-line block ×27, first 2 shown]
.LBB70_186:
	s_or_b32 exec_lo, exec_lo, s2
	s_delay_alu instid0(SALU_CYCLE_1)
	s_mov_b32 s2, exec_lo
	s_waitcnt lgkmcnt(0)
	s_waitcnt_vscnt null, 0x0
	s_barrier
	buffer_gl0_inv
	v_cmpx_lt_i32_e32 8, v160
	s_cbranch_execz .LBB70_188
; %bb.187:
	v_mul_f64 v[152:153], v[146:147], v[134:135]
	v_mul_f64 v[134:135], v[144:145], v[134:135]
	s_delay_alu instid0(VALU_DEP_2) | instskip(NEXT) | instid1(VALU_DEP_2)
	v_fma_f64 v[152:153], v[144:145], v[132:133], -v[152:153]
	v_fma_f64 v[134:135], v[146:147], v[132:133], v[134:135]
	ds_load_2addr_b64 v[144:147], v154 offset0:18 offset1:19
	s_waitcnt lgkmcnt(0)
	v_mul_f64 v[132:133], v[146:147], v[134:135]
	s_delay_alu instid0(VALU_DEP_1) | instskip(SKIP_1) | instid1(VALU_DEP_2)
	v_fma_f64 v[132:133], v[144:145], v[152:153], -v[132:133]
	v_mul_f64 v[144:145], v[144:145], v[134:135]
	v_add_f64 v[120:121], v[120:121], -v[132:133]
	s_delay_alu instid0(VALU_DEP_2) | instskip(NEXT) | instid1(VALU_DEP_1)
	v_fma_f64 v[144:145], v[146:147], v[152:153], v[144:145]
	v_add_f64 v[122:123], v[122:123], -v[144:145]
	ds_load_2addr_b64 v[144:147], v154 offset0:20 offset1:21
	s_waitcnt lgkmcnt(0)
	v_mul_f64 v[132:133], v[146:147], v[134:135]
	s_delay_alu instid0(VALU_DEP_1) | instskip(SKIP_1) | instid1(VALU_DEP_2)
	v_fma_f64 v[132:133], v[144:145], v[152:153], -v[132:133]
	v_mul_f64 v[144:145], v[144:145], v[134:135]
	v_add_f64 v[116:117], v[116:117], -v[132:133]
	s_delay_alu instid0(VALU_DEP_2) | instskip(NEXT) | instid1(VALU_DEP_1)
	v_fma_f64 v[144:145], v[146:147], v[152:153], v[144:145]
	v_add_f64 v[118:119], v[118:119], -v[144:145]
	;; [unrolled: 10-line block ×26, first 2 shown]
	ds_load_2addr_b64 v[144:147], v154 offset0:70 offset1:71
	s_waitcnt lgkmcnt(0)
	v_mul_f64 v[132:133], v[146:147], v[134:135]
	s_delay_alu instid0(VALU_DEP_1) | instskip(SKIP_1) | instid1(VALU_DEP_2)
	v_fma_f64 v[132:133], v[144:145], v[152:153], -v[132:133]
	v_mul_f64 v[144:145], v[144:145], v[134:135]
	v_add_f64 v[0:1], v[0:1], -v[132:133]
	s_delay_alu instid0(VALU_DEP_2) | instskip(SKIP_1) | instid1(VALU_DEP_2)
	v_fma_f64 v[144:145], v[146:147], v[152:153], v[144:145]
	v_dual_mov_b32 v132, v152 :: v_dual_mov_b32 v133, v153
	v_add_f64 v[2:3], v[2:3], -v[144:145]
.LBB70_188:
	s_or_b32 exec_lo, exec_lo, s2
	v_lshl_add_u32 v144, v160, 4, v154
	s_barrier
	buffer_gl0_inv
	v_mov_b32_e32 v152, 9
	ds_store_2addr_b64 v144, v[120:121], v[122:123] offset1:1
	s_waitcnt lgkmcnt(0)
	s_barrier
	buffer_gl0_inv
	ds_load_2addr_b64 v[144:147], v154 offset0:18 offset1:19
	s_cmp_lt_i32 s5, 11
	s_cbranch_scc1 .LBB70_191
; %bb.189:
	v_add3_u32 v153, v159, 0, 0xa0
	v_mov_b32_e32 v152, 9
	s_mov_b32 s6, 10
	s_set_inst_prefetch_distance 0x1
	.p2align	6
.LBB70_190:                             ; =>This Inner Loop Header: Depth=1
	ds_load_2addr_b64 v[161:164], v153 offset1:1
	s_waitcnt lgkmcnt(1)
	v_cmp_gt_f64_e32 vcc_lo, 0, v[144:145]
	v_xor_b32_e32 v165, 0x80000000, v145
	v_cmp_gt_f64_e64 s2, 0, v[146:147]
	v_xor_b32_e32 v167, 0x80000000, v147
	v_add_nc_u32_e32 v153, 16, v153
	s_waitcnt lgkmcnt(0)
	v_cmp_gt_f64_e64 s3, 0, v[161:162]
	v_mov_b32_e32 v169, v161
	v_dual_mov_b32 v171, v163 :: v_dual_cndmask_b32 v166, v145, v165
	v_xor_b32_e32 v165, 0x80000000, v162
	v_cndmask_b32_e64 v168, v147, v167, s2
	v_xor_b32_e32 v167, 0x80000000, v164
	s_delay_alu instid0(VALU_DEP_3) | instskip(SKIP_2) | instid1(VALU_DEP_2)
	v_cndmask_b32_e64 v170, v162, v165, s3
	v_cmp_gt_f64_e64 s3, 0, v[163:164]
	v_cndmask_b32_e32 v165, v144, v144, vcc_lo
	v_cndmask_b32_e64 v172, v164, v167, s3
	v_cndmask_b32_e64 v167, v146, v146, s2
	s_delay_alu instid0(VALU_DEP_2) | instskip(NEXT) | instid1(VALU_DEP_2)
	v_add_f64 v[169:170], v[169:170], v[171:172]
	v_add_f64 v[165:166], v[165:166], v[167:168]
	s_delay_alu instid0(VALU_DEP_1) | instskip(SKIP_4) | instid1(SALU_CYCLE_1)
	v_cmp_lt_f64_e32 vcc_lo, v[165:166], v[169:170]
	v_dual_cndmask_b32 v146, v146, v163 :: v_dual_cndmask_b32 v145, v145, v162
	v_dual_cndmask_b32 v144, v144, v161 :: v_dual_cndmask_b32 v147, v147, v164
	v_cndmask_b32_e64 v152, v152, s6, vcc_lo
	s_add_i32 s6, s6, 1
	s_cmp_lg_u32 s5, s6
	s_cbranch_scc1 .LBB70_190
.LBB70_191:
	s_set_inst_prefetch_distance 0x2
	s_waitcnt lgkmcnt(0)
	v_cmp_eq_f64_e32 vcc_lo, 0, v[144:145]
	v_cmp_eq_f64_e64 s2, 0, v[146:147]
	s_delay_alu instid0(VALU_DEP_1) | instskip(NEXT) | instid1(SALU_CYCLE_1)
	s_and_b32 s2, vcc_lo, s2
	s_and_saveexec_b32 s3, s2
	s_delay_alu instid0(SALU_CYCLE_1)
	s_xor_b32 s2, exec_lo, s3
; %bb.192:
	v_cmp_ne_u32_e32 vcc_lo, 0, v157
	v_cndmask_b32_e32 v157, 10, v157, vcc_lo
; %bb.193:
	s_and_not1_saveexec_b32 s3, s2
	s_cbranch_execz .LBB70_199
; %bb.194:
	v_cmp_gt_f64_e32 vcc_lo, 0, v[144:145]
	v_cmp_gt_f64_e64 s2, 0, v[146:147]
	v_xor_b32_e32 v153, 0x80000000, v145
	v_xor_b32_e32 v161, 0x80000000, v147
	s_delay_alu instid0(VALU_DEP_2) | instskip(NEXT) | instid1(VALU_DEP_2)
	v_cndmask_b32_e32 v162, v145, v153, vcc_lo
	v_cndmask_b32_e64 v164, v147, v161, s2
	v_cndmask_b32_e32 v161, v144, v144, vcc_lo
	v_cndmask_b32_e64 v163, v146, v146, s2
	s_mov_b32 s2, exec_lo
	s_delay_alu instid0(VALU_DEP_1)
	v_cmpx_ngt_f64_e32 v[161:162], v[163:164]
	s_xor_b32 s2, exec_lo, s2
	s_cbranch_execz .LBB70_196
; %bb.195:
	v_div_scale_f64 v[161:162], null, v[146:147], v[146:147], v[144:145]
	v_div_scale_f64 v[167:168], vcc_lo, v[144:145], v[146:147], v[144:145]
	s_delay_alu instid0(VALU_DEP_2) | instskip(SKIP_2) | instid1(VALU_DEP_1)
	v_rcp_f64_e32 v[163:164], v[161:162]
	s_waitcnt_depctr 0xfff
	v_fma_f64 v[165:166], -v[161:162], v[163:164], 1.0
	v_fma_f64 v[163:164], v[163:164], v[165:166], v[163:164]
	s_delay_alu instid0(VALU_DEP_1) | instskip(NEXT) | instid1(VALU_DEP_1)
	v_fma_f64 v[165:166], -v[161:162], v[163:164], 1.0
	v_fma_f64 v[163:164], v[163:164], v[165:166], v[163:164]
	s_delay_alu instid0(VALU_DEP_1) | instskip(NEXT) | instid1(VALU_DEP_1)
	v_mul_f64 v[165:166], v[167:168], v[163:164]
	v_fma_f64 v[161:162], -v[161:162], v[165:166], v[167:168]
	s_delay_alu instid0(VALU_DEP_1) | instskip(NEXT) | instid1(VALU_DEP_1)
	v_div_fmas_f64 v[161:162], v[161:162], v[163:164], v[165:166]
	v_div_fixup_f64 v[161:162], v[161:162], v[146:147], v[144:145]
	s_delay_alu instid0(VALU_DEP_1) | instskip(NEXT) | instid1(VALU_DEP_1)
	v_fma_f64 v[144:145], v[144:145], v[161:162], v[146:147]
	v_div_scale_f64 v[146:147], null, v[144:145], v[144:145], 1.0
	s_delay_alu instid0(VALU_DEP_1) | instskip(SKIP_2) | instid1(VALU_DEP_1)
	v_rcp_f64_e32 v[163:164], v[146:147]
	s_waitcnt_depctr 0xfff
	v_fma_f64 v[165:166], -v[146:147], v[163:164], 1.0
	v_fma_f64 v[163:164], v[163:164], v[165:166], v[163:164]
	s_delay_alu instid0(VALU_DEP_1) | instskip(NEXT) | instid1(VALU_DEP_1)
	v_fma_f64 v[165:166], -v[146:147], v[163:164], 1.0
	v_fma_f64 v[163:164], v[163:164], v[165:166], v[163:164]
	v_div_scale_f64 v[165:166], vcc_lo, 1.0, v[144:145], 1.0
	s_delay_alu instid0(VALU_DEP_1) | instskip(NEXT) | instid1(VALU_DEP_1)
	v_mul_f64 v[167:168], v[165:166], v[163:164]
	v_fma_f64 v[146:147], -v[146:147], v[167:168], v[165:166]
	s_delay_alu instid0(VALU_DEP_1) | instskip(NEXT) | instid1(VALU_DEP_1)
	v_div_fmas_f64 v[146:147], v[146:147], v[163:164], v[167:168]
	v_div_fixup_f64 v[146:147], v[146:147], v[144:145], 1.0
	s_delay_alu instid0(VALU_DEP_1)
	v_mul_f64 v[144:145], v[161:162], v[146:147]
	v_xor_b32_e32 v147, 0x80000000, v147
.LBB70_196:
	s_and_not1_saveexec_b32 s2, s2
	s_cbranch_execz .LBB70_198
; %bb.197:
	s_delay_alu instid0(VALU_DEP_1) | instskip(SKIP_1) | instid1(VALU_DEP_2)
	v_div_scale_f64 v[161:162], null, v[144:145], v[144:145], v[146:147]
	v_div_scale_f64 v[167:168], vcc_lo, v[146:147], v[144:145], v[146:147]
	v_rcp_f64_e32 v[163:164], v[161:162]
	s_waitcnt_depctr 0xfff
	v_fma_f64 v[165:166], -v[161:162], v[163:164], 1.0
	s_delay_alu instid0(VALU_DEP_1) | instskip(NEXT) | instid1(VALU_DEP_1)
	v_fma_f64 v[163:164], v[163:164], v[165:166], v[163:164]
	v_fma_f64 v[165:166], -v[161:162], v[163:164], 1.0
	s_delay_alu instid0(VALU_DEP_1) | instskip(NEXT) | instid1(VALU_DEP_1)
	v_fma_f64 v[163:164], v[163:164], v[165:166], v[163:164]
	v_mul_f64 v[165:166], v[167:168], v[163:164]
	s_delay_alu instid0(VALU_DEP_1) | instskip(NEXT) | instid1(VALU_DEP_1)
	v_fma_f64 v[161:162], -v[161:162], v[165:166], v[167:168]
	v_div_fmas_f64 v[161:162], v[161:162], v[163:164], v[165:166]
	s_delay_alu instid0(VALU_DEP_1) | instskip(NEXT) | instid1(VALU_DEP_1)
	v_div_fixup_f64 v[161:162], v[161:162], v[144:145], v[146:147]
	v_fma_f64 v[144:145], v[146:147], v[161:162], v[144:145]
	s_delay_alu instid0(VALU_DEP_1) | instskip(NEXT) | instid1(VALU_DEP_1)
	v_div_scale_f64 v[146:147], null, v[144:145], v[144:145], 1.0
	v_rcp_f64_e32 v[163:164], v[146:147]
	s_waitcnt_depctr 0xfff
	v_fma_f64 v[165:166], -v[146:147], v[163:164], 1.0
	s_delay_alu instid0(VALU_DEP_1) | instskip(NEXT) | instid1(VALU_DEP_1)
	v_fma_f64 v[163:164], v[163:164], v[165:166], v[163:164]
	v_fma_f64 v[165:166], -v[146:147], v[163:164], 1.0
	s_delay_alu instid0(VALU_DEP_1) | instskip(SKIP_1) | instid1(VALU_DEP_1)
	v_fma_f64 v[163:164], v[163:164], v[165:166], v[163:164]
	v_div_scale_f64 v[165:166], vcc_lo, 1.0, v[144:145], 1.0
	v_mul_f64 v[167:168], v[165:166], v[163:164]
	s_delay_alu instid0(VALU_DEP_1) | instskip(NEXT) | instid1(VALU_DEP_1)
	v_fma_f64 v[146:147], -v[146:147], v[167:168], v[165:166]
	v_div_fmas_f64 v[146:147], v[146:147], v[163:164], v[167:168]
	s_delay_alu instid0(VALU_DEP_1) | instskip(NEXT) | instid1(VALU_DEP_1)
	v_div_fixup_f64 v[144:145], v[146:147], v[144:145], 1.0
	v_mul_f64 v[146:147], v[161:162], -v[144:145]
.LBB70_198:
	s_or_b32 exec_lo, exec_lo, s2
.LBB70_199:
	s_delay_alu instid0(SALU_CYCLE_1) | instskip(NEXT) | instid1(SALU_CYCLE_1)
	s_or_b32 exec_lo, exec_lo, s3
	s_mov_b32 s2, exec_lo
	v_cmpx_ne_u32_e64 v160, v152
	s_xor_b32 s2, exec_lo, s2
	s_cbranch_execz .LBB70_205
; %bb.200:
	s_mov_b32 s3, exec_lo
	v_cmpx_eq_u32_e32 9, v160
	s_cbranch_execz .LBB70_204
; %bb.201:
	v_cmp_ne_u32_e32 vcc_lo, 9, v152
	s_xor_b32 s6, s4, -1
	s_delay_alu instid0(SALU_CYCLE_1) | instskip(NEXT) | instid1(SALU_CYCLE_1)
	s_and_b32 s7, s6, vcc_lo
	s_and_saveexec_b32 s6, s7
	s_cbranch_execz .LBB70_203
; %bb.202:
	v_ashrrev_i32_e32 v153, 31, v152
	s_delay_alu instid0(VALU_DEP_1) | instskip(NEXT) | instid1(VALU_DEP_1)
	v_lshlrev_b64 v[160:161], 2, v[152:153]
	v_add_co_u32 v160, vcc_lo, v150, v160
	s_delay_alu instid0(VALU_DEP_2)
	v_add_co_ci_u32_e32 v161, vcc_lo, v151, v161, vcc_lo
	s_clause 0x1
	flat_load_b32 v153, v[160:161]
	flat_load_b32 v158, v[150:151] offset:36
	s_waitcnt vmcnt(1) lgkmcnt(1)
	flat_store_b32 v[150:151], v153 offset:36
	s_waitcnt vmcnt(0) lgkmcnt(1)
	flat_store_b32 v[160:161], v158
.LBB70_203:
	s_or_b32 exec_lo, exec_lo, s6
	v_mov_b32_e32 v160, v152
	v_mov_b32_e32 v158, v152
.LBB70_204:
	s_or_b32 exec_lo, exec_lo, s3
.LBB70_205:
	s_and_not1_saveexec_b32 s2, s2
	s_cbranch_execz .LBB70_207
; %bb.206:
	v_mov_b32_e32 v160, 9
	ds_store_2addr_b64 v154, v[116:117], v[118:119] offset0:20 offset1:21
	ds_store_2addr_b64 v154, v[104:105], v[106:107] offset0:22 offset1:23
	;; [unrolled: 1-line block ×26, first 2 shown]
.LBB70_207:
	s_or_b32 exec_lo, exec_lo, s2
	s_delay_alu instid0(SALU_CYCLE_1)
	s_mov_b32 s2, exec_lo
	s_waitcnt lgkmcnt(0)
	s_waitcnt_vscnt null, 0x0
	s_barrier
	buffer_gl0_inv
	v_cmpx_lt_i32_e32 9, v160
	s_cbranch_execz .LBB70_209
; %bb.208:
	v_mul_f64 v[152:153], v[146:147], v[122:123]
	v_mul_f64 v[122:123], v[144:145], v[122:123]
	s_delay_alu instid0(VALU_DEP_2) | instskip(NEXT) | instid1(VALU_DEP_2)
	v_fma_f64 v[152:153], v[144:145], v[120:121], -v[152:153]
	v_fma_f64 v[122:123], v[146:147], v[120:121], v[122:123]
	ds_load_2addr_b64 v[144:147], v154 offset0:20 offset1:21
	s_waitcnt lgkmcnt(0)
	v_mul_f64 v[120:121], v[146:147], v[122:123]
	s_delay_alu instid0(VALU_DEP_1) | instskip(SKIP_1) | instid1(VALU_DEP_2)
	v_fma_f64 v[120:121], v[144:145], v[152:153], -v[120:121]
	v_mul_f64 v[144:145], v[144:145], v[122:123]
	v_add_f64 v[116:117], v[116:117], -v[120:121]
	s_delay_alu instid0(VALU_DEP_2) | instskip(NEXT) | instid1(VALU_DEP_1)
	v_fma_f64 v[144:145], v[146:147], v[152:153], v[144:145]
	v_add_f64 v[118:119], v[118:119], -v[144:145]
	ds_load_2addr_b64 v[144:147], v154 offset0:22 offset1:23
	s_waitcnt lgkmcnt(0)
	v_mul_f64 v[120:121], v[146:147], v[122:123]
	s_delay_alu instid0(VALU_DEP_1) | instskip(SKIP_1) | instid1(VALU_DEP_2)
	v_fma_f64 v[120:121], v[144:145], v[152:153], -v[120:121]
	v_mul_f64 v[144:145], v[144:145], v[122:123]
	v_add_f64 v[104:105], v[104:105], -v[120:121]
	s_delay_alu instid0(VALU_DEP_2) | instskip(NEXT) | instid1(VALU_DEP_1)
	v_fma_f64 v[144:145], v[146:147], v[152:153], v[144:145]
	v_add_f64 v[106:107], v[106:107], -v[144:145]
	;; [unrolled: 10-line block ×25, first 2 shown]
	ds_load_2addr_b64 v[144:147], v154 offset0:70 offset1:71
	s_waitcnt lgkmcnt(0)
	v_mul_f64 v[120:121], v[146:147], v[122:123]
	s_delay_alu instid0(VALU_DEP_1) | instskip(SKIP_1) | instid1(VALU_DEP_2)
	v_fma_f64 v[120:121], v[144:145], v[152:153], -v[120:121]
	v_mul_f64 v[144:145], v[144:145], v[122:123]
	v_add_f64 v[0:1], v[0:1], -v[120:121]
	s_delay_alu instid0(VALU_DEP_2) | instskip(SKIP_1) | instid1(VALU_DEP_2)
	v_fma_f64 v[144:145], v[146:147], v[152:153], v[144:145]
	v_dual_mov_b32 v120, v152 :: v_dual_mov_b32 v121, v153
	v_add_f64 v[2:3], v[2:3], -v[144:145]
.LBB70_209:
	s_or_b32 exec_lo, exec_lo, s2
	v_lshl_add_u32 v144, v160, 4, v154
	s_barrier
	buffer_gl0_inv
	v_mov_b32_e32 v152, 10
	ds_store_2addr_b64 v144, v[116:117], v[118:119] offset1:1
	s_waitcnt lgkmcnt(0)
	s_barrier
	buffer_gl0_inv
	ds_load_2addr_b64 v[144:147], v154 offset0:20 offset1:21
	s_cmp_lt_i32 s5, 12
	s_cbranch_scc1 .LBB70_212
; %bb.210:
	v_add3_u32 v153, v159, 0, 0xb0
	v_mov_b32_e32 v152, 10
	s_mov_b32 s6, 11
	s_set_inst_prefetch_distance 0x1
	.p2align	6
.LBB70_211:                             ; =>This Inner Loop Header: Depth=1
	ds_load_2addr_b64 v[161:164], v153 offset1:1
	s_waitcnt lgkmcnt(1)
	v_cmp_gt_f64_e32 vcc_lo, 0, v[144:145]
	v_xor_b32_e32 v165, 0x80000000, v145
	v_cmp_gt_f64_e64 s2, 0, v[146:147]
	v_xor_b32_e32 v167, 0x80000000, v147
	v_add_nc_u32_e32 v153, 16, v153
	s_waitcnt lgkmcnt(0)
	v_cmp_gt_f64_e64 s3, 0, v[161:162]
	v_mov_b32_e32 v169, v161
	v_dual_mov_b32 v171, v163 :: v_dual_cndmask_b32 v166, v145, v165
	v_xor_b32_e32 v165, 0x80000000, v162
	v_cndmask_b32_e64 v168, v147, v167, s2
	v_xor_b32_e32 v167, 0x80000000, v164
	s_delay_alu instid0(VALU_DEP_3) | instskip(SKIP_2) | instid1(VALU_DEP_2)
	v_cndmask_b32_e64 v170, v162, v165, s3
	v_cmp_gt_f64_e64 s3, 0, v[163:164]
	v_cndmask_b32_e32 v165, v144, v144, vcc_lo
	v_cndmask_b32_e64 v172, v164, v167, s3
	v_cndmask_b32_e64 v167, v146, v146, s2
	s_delay_alu instid0(VALU_DEP_2) | instskip(NEXT) | instid1(VALU_DEP_2)
	v_add_f64 v[169:170], v[169:170], v[171:172]
	v_add_f64 v[165:166], v[165:166], v[167:168]
	s_delay_alu instid0(VALU_DEP_1) | instskip(SKIP_4) | instid1(SALU_CYCLE_1)
	v_cmp_lt_f64_e32 vcc_lo, v[165:166], v[169:170]
	v_dual_cndmask_b32 v146, v146, v163 :: v_dual_cndmask_b32 v145, v145, v162
	v_dual_cndmask_b32 v144, v144, v161 :: v_dual_cndmask_b32 v147, v147, v164
	v_cndmask_b32_e64 v152, v152, s6, vcc_lo
	s_add_i32 s6, s6, 1
	s_cmp_lg_u32 s5, s6
	s_cbranch_scc1 .LBB70_211
.LBB70_212:
	s_set_inst_prefetch_distance 0x2
	s_waitcnt lgkmcnt(0)
	v_cmp_eq_f64_e32 vcc_lo, 0, v[144:145]
	v_cmp_eq_f64_e64 s2, 0, v[146:147]
	s_delay_alu instid0(VALU_DEP_1) | instskip(NEXT) | instid1(SALU_CYCLE_1)
	s_and_b32 s2, vcc_lo, s2
	s_and_saveexec_b32 s3, s2
	s_delay_alu instid0(SALU_CYCLE_1)
	s_xor_b32 s2, exec_lo, s3
; %bb.213:
	v_cmp_ne_u32_e32 vcc_lo, 0, v157
	v_cndmask_b32_e32 v157, 11, v157, vcc_lo
; %bb.214:
	s_and_not1_saveexec_b32 s3, s2
	s_cbranch_execz .LBB70_220
; %bb.215:
	v_cmp_gt_f64_e32 vcc_lo, 0, v[144:145]
	v_cmp_gt_f64_e64 s2, 0, v[146:147]
	v_xor_b32_e32 v153, 0x80000000, v145
	v_xor_b32_e32 v161, 0x80000000, v147
	s_delay_alu instid0(VALU_DEP_2) | instskip(NEXT) | instid1(VALU_DEP_2)
	v_cndmask_b32_e32 v162, v145, v153, vcc_lo
	v_cndmask_b32_e64 v164, v147, v161, s2
	v_cndmask_b32_e32 v161, v144, v144, vcc_lo
	v_cndmask_b32_e64 v163, v146, v146, s2
	s_mov_b32 s2, exec_lo
	s_delay_alu instid0(VALU_DEP_1)
	v_cmpx_ngt_f64_e32 v[161:162], v[163:164]
	s_xor_b32 s2, exec_lo, s2
	s_cbranch_execz .LBB70_217
; %bb.216:
	v_div_scale_f64 v[161:162], null, v[146:147], v[146:147], v[144:145]
	v_div_scale_f64 v[167:168], vcc_lo, v[144:145], v[146:147], v[144:145]
	s_delay_alu instid0(VALU_DEP_2) | instskip(SKIP_2) | instid1(VALU_DEP_1)
	v_rcp_f64_e32 v[163:164], v[161:162]
	s_waitcnt_depctr 0xfff
	v_fma_f64 v[165:166], -v[161:162], v[163:164], 1.0
	v_fma_f64 v[163:164], v[163:164], v[165:166], v[163:164]
	s_delay_alu instid0(VALU_DEP_1) | instskip(NEXT) | instid1(VALU_DEP_1)
	v_fma_f64 v[165:166], -v[161:162], v[163:164], 1.0
	v_fma_f64 v[163:164], v[163:164], v[165:166], v[163:164]
	s_delay_alu instid0(VALU_DEP_1) | instskip(NEXT) | instid1(VALU_DEP_1)
	v_mul_f64 v[165:166], v[167:168], v[163:164]
	v_fma_f64 v[161:162], -v[161:162], v[165:166], v[167:168]
	s_delay_alu instid0(VALU_DEP_1) | instskip(NEXT) | instid1(VALU_DEP_1)
	v_div_fmas_f64 v[161:162], v[161:162], v[163:164], v[165:166]
	v_div_fixup_f64 v[161:162], v[161:162], v[146:147], v[144:145]
	s_delay_alu instid0(VALU_DEP_1) | instskip(NEXT) | instid1(VALU_DEP_1)
	v_fma_f64 v[144:145], v[144:145], v[161:162], v[146:147]
	v_div_scale_f64 v[146:147], null, v[144:145], v[144:145], 1.0
	s_delay_alu instid0(VALU_DEP_1) | instskip(SKIP_2) | instid1(VALU_DEP_1)
	v_rcp_f64_e32 v[163:164], v[146:147]
	s_waitcnt_depctr 0xfff
	v_fma_f64 v[165:166], -v[146:147], v[163:164], 1.0
	v_fma_f64 v[163:164], v[163:164], v[165:166], v[163:164]
	s_delay_alu instid0(VALU_DEP_1) | instskip(NEXT) | instid1(VALU_DEP_1)
	v_fma_f64 v[165:166], -v[146:147], v[163:164], 1.0
	v_fma_f64 v[163:164], v[163:164], v[165:166], v[163:164]
	v_div_scale_f64 v[165:166], vcc_lo, 1.0, v[144:145], 1.0
	s_delay_alu instid0(VALU_DEP_1) | instskip(NEXT) | instid1(VALU_DEP_1)
	v_mul_f64 v[167:168], v[165:166], v[163:164]
	v_fma_f64 v[146:147], -v[146:147], v[167:168], v[165:166]
	s_delay_alu instid0(VALU_DEP_1) | instskip(NEXT) | instid1(VALU_DEP_1)
	v_div_fmas_f64 v[146:147], v[146:147], v[163:164], v[167:168]
	v_div_fixup_f64 v[146:147], v[146:147], v[144:145], 1.0
	s_delay_alu instid0(VALU_DEP_1)
	v_mul_f64 v[144:145], v[161:162], v[146:147]
	v_xor_b32_e32 v147, 0x80000000, v147
.LBB70_217:
	s_and_not1_saveexec_b32 s2, s2
	s_cbranch_execz .LBB70_219
; %bb.218:
	s_delay_alu instid0(VALU_DEP_1) | instskip(SKIP_1) | instid1(VALU_DEP_2)
	v_div_scale_f64 v[161:162], null, v[144:145], v[144:145], v[146:147]
	v_div_scale_f64 v[167:168], vcc_lo, v[146:147], v[144:145], v[146:147]
	v_rcp_f64_e32 v[163:164], v[161:162]
	s_waitcnt_depctr 0xfff
	v_fma_f64 v[165:166], -v[161:162], v[163:164], 1.0
	s_delay_alu instid0(VALU_DEP_1) | instskip(NEXT) | instid1(VALU_DEP_1)
	v_fma_f64 v[163:164], v[163:164], v[165:166], v[163:164]
	v_fma_f64 v[165:166], -v[161:162], v[163:164], 1.0
	s_delay_alu instid0(VALU_DEP_1) | instskip(NEXT) | instid1(VALU_DEP_1)
	v_fma_f64 v[163:164], v[163:164], v[165:166], v[163:164]
	v_mul_f64 v[165:166], v[167:168], v[163:164]
	s_delay_alu instid0(VALU_DEP_1) | instskip(NEXT) | instid1(VALU_DEP_1)
	v_fma_f64 v[161:162], -v[161:162], v[165:166], v[167:168]
	v_div_fmas_f64 v[161:162], v[161:162], v[163:164], v[165:166]
	s_delay_alu instid0(VALU_DEP_1) | instskip(NEXT) | instid1(VALU_DEP_1)
	v_div_fixup_f64 v[161:162], v[161:162], v[144:145], v[146:147]
	v_fma_f64 v[144:145], v[146:147], v[161:162], v[144:145]
	s_delay_alu instid0(VALU_DEP_1) | instskip(NEXT) | instid1(VALU_DEP_1)
	v_div_scale_f64 v[146:147], null, v[144:145], v[144:145], 1.0
	v_rcp_f64_e32 v[163:164], v[146:147]
	s_waitcnt_depctr 0xfff
	v_fma_f64 v[165:166], -v[146:147], v[163:164], 1.0
	s_delay_alu instid0(VALU_DEP_1) | instskip(NEXT) | instid1(VALU_DEP_1)
	v_fma_f64 v[163:164], v[163:164], v[165:166], v[163:164]
	v_fma_f64 v[165:166], -v[146:147], v[163:164], 1.0
	s_delay_alu instid0(VALU_DEP_1) | instskip(SKIP_1) | instid1(VALU_DEP_1)
	v_fma_f64 v[163:164], v[163:164], v[165:166], v[163:164]
	v_div_scale_f64 v[165:166], vcc_lo, 1.0, v[144:145], 1.0
	v_mul_f64 v[167:168], v[165:166], v[163:164]
	s_delay_alu instid0(VALU_DEP_1) | instskip(NEXT) | instid1(VALU_DEP_1)
	v_fma_f64 v[146:147], -v[146:147], v[167:168], v[165:166]
	v_div_fmas_f64 v[146:147], v[146:147], v[163:164], v[167:168]
	s_delay_alu instid0(VALU_DEP_1) | instskip(NEXT) | instid1(VALU_DEP_1)
	v_div_fixup_f64 v[144:145], v[146:147], v[144:145], 1.0
	v_mul_f64 v[146:147], v[161:162], -v[144:145]
.LBB70_219:
	s_or_b32 exec_lo, exec_lo, s2
.LBB70_220:
	s_delay_alu instid0(SALU_CYCLE_1) | instskip(NEXT) | instid1(SALU_CYCLE_1)
	s_or_b32 exec_lo, exec_lo, s3
	s_mov_b32 s2, exec_lo
	v_cmpx_ne_u32_e64 v160, v152
	s_xor_b32 s2, exec_lo, s2
	s_cbranch_execz .LBB70_226
; %bb.221:
	s_mov_b32 s3, exec_lo
	v_cmpx_eq_u32_e32 10, v160
	s_cbranch_execz .LBB70_225
; %bb.222:
	v_cmp_ne_u32_e32 vcc_lo, 10, v152
	s_xor_b32 s6, s4, -1
	s_delay_alu instid0(SALU_CYCLE_1) | instskip(NEXT) | instid1(SALU_CYCLE_1)
	s_and_b32 s7, s6, vcc_lo
	s_and_saveexec_b32 s6, s7
	s_cbranch_execz .LBB70_224
; %bb.223:
	v_ashrrev_i32_e32 v153, 31, v152
	s_delay_alu instid0(VALU_DEP_1) | instskip(NEXT) | instid1(VALU_DEP_1)
	v_lshlrev_b64 v[160:161], 2, v[152:153]
	v_add_co_u32 v160, vcc_lo, v150, v160
	s_delay_alu instid0(VALU_DEP_2)
	v_add_co_ci_u32_e32 v161, vcc_lo, v151, v161, vcc_lo
	s_clause 0x1
	flat_load_b32 v153, v[160:161]
	flat_load_b32 v158, v[150:151] offset:40
	s_waitcnt vmcnt(1) lgkmcnt(1)
	flat_store_b32 v[150:151], v153 offset:40
	s_waitcnt vmcnt(0) lgkmcnt(1)
	flat_store_b32 v[160:161], v158
.LBB70_224:
	s_or_b32 exec_lo, exec_lo, s6
	v_mov_b32_e32 v160, v152
	v_mov_b32_e32 v158, v152
.LBB70_225:
	s_or_b32 exec_lo, exec_lo, s3
.LBB70_226:
	s_and_not1_saveexec_b32 s2, s2
	s_cbranch_execz .LBB70_228
; %bb.227:
	v_mov_b32_e32 v160, 10
	ds_store_2addr_b64 v154, v[104:105], v[106:107] offset0:22 offset1:23
	ds_store_2addr_b64 v154, v[100:101], v[102:103] offset0:24 offset1:25
	;; [unrolled: 1-line block ×25, first 2 shown]
.LBB70_228:
	s_or_b32 exec_lo, exec_lo, s2
	s_delay_alu instid0(SALU_CYCLE_1)
	s_mov_b32 s2, exec_lo
	s_waitcnt lgkmcnt(0)
	s_waitcnt_vscnt null, 0x0
	s_barrier
	buffer_gl0_inv
	v_cmpx_lt_i32_e32 10, v160
	s_cbranch_execz .LBB70_230
; %bb.229:
	v_mul_f64 v[152:153], v[146:147], v[118:119]
	v_mul_f64 v[118:119], v[144:145], v[118:119]
	s_delay_alu instid0(VALU_DEP_2) | instskip(NEXT) | instid1(VALU_DEP_2)
	v_fma_f64 v[152:153], v[144:145], v[116:117], -v[152:153]
	v_fma_f64 v[118:119], v[146:147], v[116:117], v[118:119]
	ds_load_2addr_b64 v[144:147], v154 offset0:22 offset1:23
	s_waitcnt lgkmcnt(0)
	v_mul_f64 v[116:117], v[146:147], v[118:119]
	s_delay_alu instid0(VALU_DEP_1) | instskip(SKIP_1) | instid1(VALU_DEP_2)
	v_fma_f64 v[116:117], v[144:145], v[152:153], -v[116:117]
	v_mul_f64 v[144:145], v[144:145], v[118:119]
	v_add_f64 v[104:105], v[104:105], -v[116:117]
	s_delay_alu instid0(VALU_DEP_2) | instskip(NEXT) | instid1(VALU_DEP_1)
	v_fma_f64 v[144:145], v[146:147], v[152:153], v[144:145]
	v_add_f64 v[106:107], v[106:107], -v[144:145]
	ds_load_2addr_b64 v[144:147], v154 offset0:24 offset1:25
	s_waitcnt lgkmcnt(0)
	v_mul_f64 v[116:117], v[146:147], v[118:119]
	s_delay_alu instid0(VALU_DEP_1) | instskip(SKIP_1) | instid1(VALU_DEP_2)
	v_fma_f64 v[116:117], v[144:145], v[152:153], -v[116:117]
	v_mul_f64 v[144:145], v[144:145], v[118:119]
	v_add_f64 v[100:101], v[100:101], -v[116:117]
	s_delay_alu instid0(VALU_DEP_2) | instskip(NEXT) | instid1(VALU_DEP_1)
	v_fma_f64 v[144:145], v[146:147], v[152:153], v[144:145]
	v_add_f64 v[102:103], v[102:103], -v[144:145]
	;; [unrolled: 10-line block ×24, first 2 shown]
	ds_load_2addr_b64 v[144:147], v154 offset0:70 offset1:71
	s_waitcnt lgkmcnt(0)
	v_mul_f64 v[116:117], v[146:147], v[118:119]
	s_delay_alu instid0(VALU_DEP_1) | instskip(SKIP_1) | instid1(VALU_DEP_2)
	v_fma_f64 v[116:117], v[144:145], v[152:153], -v[116:117]
	v_mul_f64 v[144:145], v[144:145], v[118:119]
	v_add_f64 v[0:1], v[0:1], -v[116:117]
	s_delay_alu instid0(VALU_DEP_2) | instskip(SKIP_1) | instid1(VALU_DEP_2)
	v_fma_f64 v[144:145], v[146:147], v[152:153], v[144:145]
	v_dual_mov_b32 v116, v152 :: v_dual_mov_b32 v117, v153
	v_add_f64 v[2:3], v[2:3], -v[144:145]
.LBB70_230:
	s_or_b32 exec_lo, exec_lo, s2
	v_lshl_add_u32 v144, v160, 4, v154
	s_barrier
	buffer_gl0_inv
	v_mov_b32_e32 v152, 11
	ds_store_2addr_b64 v144, v[104:105], v[106:107] offset1:1
	s_waitcnt lgkmcnt(0)
	s_barrier
	buffer_gl0_inv
	ds_load_2addr_b64 v[144:147], v154 offset0:22 offset1:23
	s_cmp_lt_i32 s5, 13
	s_cbranch_scc1 .LBB70_233
; %bb.231:
	v_add3_u32 v153, v159, 0, 0xc0
	v_mov_b32_e32 v152, 11
	s_mov_b32 s6, 12
	s_set_inst_prefetch_distance 0x1
	.p2align	6
.LBB70_232:                             ; =>This Inner Loop Header: Depth=1
	ds_load_2addr_b64 v[161:164], v153 offset1:1
	s_waitcnt lgkmcnt(1)
	v_cmp_gt_f64_e32 vcc_lo, 0, v[144:145]
	v_xor_b32_e32 v165, 0x80000000, v145
	v_cmp_gt_f64_e64 s2, 0, v[146:147]
	v_xor_b32_e32 v167, 0x80000000, v147
	v_add_nc_u32_e32 v153, 16, v153
	s_waitcnt lgkmcnt(0)
	v_cmp_gt_f64_e64 s3, 0, v[161:162]
	v_mov_b32_e32 v169, v161
	v_dual_mov_b32 v171, v163 :: v_dual_cndmask_b32 v166, v145, v165
	v_xor_b32_e32 v165, 0x80000000, v162
	v_cndmask_b32_e64 v168, v147, v167, s2
	v_xor_b32_e32 v167, 0x80000000, v164
	s_delay_alu instid0(VALU_DEP_3) | instskip(SKIP_2) | instid1(VALU_DEP_2)
	v_cndmask_b32_e64 v170, v162, v165, s3
	v_cmp_gt_f64_e64 s3, 0, v[163:164]
	v_cndmask_b32_e32 v165, v144, v144, vcc_lo
	v_cndmask_b32_e64 v172, v164, v167, s3
	v_cndmask_b32_e64 v167, v146, v146, s2
	s_delay_alu instid0(VALU_DEP_2) | instskip(NEXT) | instid1(VALU_DEP_2)
	v_add_f64 v[169:170], v[169:170], v[171:172]
	v_add_f64 v[165:166], v[165:166], v[167:168]
	s_delay_alu instid0(VALU_DEP_1) | instskip(SKIP_4) | instid1(SALU_CYCLE_1)
	v_cmp_lt_f64_e32 vcc_lo, v[165:166], v[169:170]
	v_dual_cndmask_b32 v146, v146, v163 :: v_dual_cndmask_b32 v145, v145, v162
	v_dual_cndmask_b32 v144, v144, v161 :: v_dual_cndmask_b32 v147, v147, v164
	v_cndmask_b32_e64 v152, v152, s6, vcc_lo
	s_add_i32 s6, s6, 1
	s_cmp_lg_u32 s5, s6
	s_cbranch_scc1 .LBB70_232
.LBB70_233:
	s_set_inst_prefetch_distance 0x2
	s_waitcnt lgkmcnt(0)
	v_cmp_eq_f64_e32 vcc_lo, 0, v[144:145]
	v_cmp_eq_f64_e64 s2, 0, v[146:147]
	s_delay_alu instid0(VALU_DEP_1) | instskip(NEXT) | instid1(SALU_CYCLE_1)
	s_and_b32 s2, vcc_lo, s2
	s_and_saveexec_b32 s3, s2
	s_delay_alu instid0(SALU_CYCLE_1)
	s_xor_b32 s2, exec_lo, s3
; %bb.234:
	v_cmp_ne_u32_e32 vcc_lo, 0, v157
	v_cndmask_b32_e32 v157, 12, v157, vcc_lo
; %bb.235:
	s_and_not1_saveexec_b32 s3, s2
	s_cbranch_execz .LBB70_241
; %bb.236:
	v_cmp_gt_f64_e32 vcc_lo, 0, v[144:145]
	v_cmp_gt_f64_e64 s2, 0, v[146:147]
	v_xor_b32_e32 v153, 0x80000000, v145
	v_xor_b32_e32 v161, 0x80000000, v147
	s_delay_alu instid0(VALU_DEP_2) | instskip(NEXT) | instid1(VALU_DEP_2)
	v_cndmask_b32_e32 v162, v145, v153, vcc_lo
	v_cndmask_b32_e64 v164, v147, v161, s2
	v_cndmask_b32_e32 v161, v144, v144, vcc_lo
	v_cndmask_b32_e64 v163, v146, v146, s2
	s_mov_b32 s2, exec_lo
	s_delay_alu instid0(VALU_DEP_1)
	v_cmpx_ngt_f64_e32 v[161:162], v[163:164]
	s_xor_b32 s2, exec_lo, s2
	s_cbranch_execz .LBB70_238
; %bb.237:
	v_div_scale_f64 v[161:162], null, v[146:147], v[146:147], v[144:145]
	v_div_scale_f64 v[167:168], vcc_lo, v[144:145], v[146:147], v[144:145]
	s_delay_alu instid0(VALU_DEP_2) | instskip(SKIP_2) | instid1(VALU_DEP_1)
	v_rcp_f64_e32 v[163:164], v[161:162]
	s_waitcnt_depctr 0xfff
	v_fma_f64 v[165:166], -v[161:162], v[163:164], 1.0
	v_fma_f64 v[163:164], v[163:164], v[165:166], v[163:164]
	s_delay_alu instid0(VALU_DEP_1) | instskip(NEXT) | instid1(VALU_DEP_1)
	v_fma_f64 v[165:166], -v[161:162], v[163:164], 1.0
	v_fma_f64 v[163:164], v[163:164], v[165:166], v[163:164]
	s_delay_alu instid0(VALU_DEP_1) | instskip(NEXT) | instid1(VALU_DEP_1)
	v_mul_f64 v[165:166], v[167:168], v[163:164]
	v_fma_f64 v[161:162], -v[161:162], v[165:166], v[167:168]
	s_delay_alu instid0(VALU_DEP_1) | instskip(NEXT) | instid1(VALU_DEP_1)
	v_div_fmas_f64 v[161:162], v[161:162], v[163:164], v[165:166]
	v_div_fixup_f64 v[161:162], v[161:162], v[146:147], v[144:145]
	s_delay_alu instid0(VALU_DEP_1) | instskip(NEXT) | instid1(VALU_DEP_1)
	v_fma_f64 v[144:145], v[144:145], v[161:162], v[146:147]
	v_div_scale_f64 v[146:147], null, v[144:145], v[144:145], 1.0
	s_delay_alu instid0(VALU_DEP_1) | instskip(SKIP_2) | instid1(VALU_DEP_1)
	v_rcp_f64_e32 v[163:164], v[146:147]
	s_waitcnt_depctr 0xfff
	v_fma_f64 v[165:166], -v[146:147], v[163:164], 1.0
	v_fma_f64 v[163:164], v[163:164], v[165:166], v[163:164]
	s_delay_alu instid0(VALU_DEP_1) | instskip(NEXT) | instid1(VALU_DEP_1)
	v_fma_f64 v[165:166], -v[146:147], v[163:164], 1.0
	v_fma_f64 v[163:164], v[163:164], v[165:166], v[163:164]
	v_div_scale_f64 v[165:166], vcc_lo, 1.0, v[144:145], 1.0
	s_delay_alu instid0(VALU_DEP_1) | instskip(NEXT) | instid1(VALU_DEP_1)
	v_mul_f64 v[167:168], v[165:166], v[163:164]
	v_fma_f64 v[146:147], -v[146:147], v[167:168], v[165:166]
	s_delay_alu instid0(VALU_DEP_1) | instskip(NEXT) | instid1(VALU_DEP_1)
	v_div_fmas_f64 v[146:147], v[146:147], v[163:164], v[167:168]
	v_div_fixup_f64 v[146:147], v[146:147], v[144:145], 1.0
	s_delay_alu instid0(VALU_DEP_1)
	v_mul_f64 v[144:145], v[161:162], v[146:147]
	v_xor_b32_e32 v147, 0x80000000, v147
.LBB70_238:
	s_and_not1_saveexec_b32 s2, s2
	s_cbranch_execz .LBB70_240
; %bb.239:
	s_delay_alu instid0(VALU_DEP_1) | instskip(SKIP_1) | instid1(VALU_DEP_2)
	v_div_scale_f64 v[161:162], null, v[144:145], v[144:145], v[146:147]
	v_div_scale_f64 v[167:168], vcc_lo, v[146:147], v[144:145], v[146:147]
	v_rcp_f64_e32 v[163:164], v[161:162]
	s_waitcnt_depctr 0xfff
	v_fma_f64 v[165:166], -v[161:162], v[163:164], 1.0
	s_delay_alu instid0(VALU_DEP_1) | instskip(NEXT) | instid1(VALU_DEP_1)
	v_fma_f64 v[163:164], v[163:164], v[165:166], v[163:164]
	v_fma_f64 v[165:166], -v[161:162], v[163:164], 1.0
	s_delay_alu instid0(VALU_DEP_1) | instskip(NEXT) | instid1(VALU_DEP_1)
	v_fma_f64 v[163:164], v[163:164], v[165:166], v[163:164]
	v_mul_f64 v[165:166], v[167:168], v[163:164]
	s_delay_alu instid0(VALU_DEP_1) | instskip(NEXT) | instid1(VALU_DEP_1)
	v_fma_f64 v[161:162], -v[161:162], v[165:166], v[167:168]
	v_div_fmas_f64 v[161:162], v[161:162], v[163:164], v[165:166]
	s_delay_alu instid0(VALU_DEP_1) | instskip(NEXT) | instid1(VALU_DEP_1)
	v_div_fixup_f64 v[161:162], v[161:162], v[144:145], v[146:147]
	v_fma_f64 v[144:145], v[146:147], v[161:162], v[144:145]
	s_delay_alu instid0(VALU_DEP_1) | instskip(NEXT) | instid1(VALU_DEP_1)
	v_div_scale_f64 v[146:147], null, v[144:145], v[144:145], 1.0
	v_rcp_f64_e32 v[163:164], v[146:147]
	s_waitcnt_depctr 0xfff
	v_fma_f64 v[165:166], -v[146:147], v[163:164], 1.0
	s_delay_alu instid0(VALU_DEP_1) | instskip(NEXT) | instid1(VALU_DEP_1)
	v_fma_f64 v[163:164], v[163:164], v[165:166], v[163:164]
	v_fma_f64 v[165:166], -v[146:147], v[163:164], 1.0
	s_delay_alu instid0(VALU_DEP_1) | instskip(SKIP_1) | instid1(VALU_DEP_1)
	v_fma_f64 v[163:164], v[163:164], v[165:166], v[163:164]
	v_div_scale_f64 v[165:166], vcc_lo, 1.0, v[144:145], 1.0
	v_mul_f64 v[167:168], v[165:166], v[163:164]
	s_delay_alu instid0(VALU_DEP_1) | instskip(NEXT) | instid1(VALU_DEP_1)
	v_fma_f64 v[146:147], -v[146:147], v[167:168], v[165:166]
	v_div_fmas_f64 v[146:147], v[146:147], v[163:164], v[167:168]
	s_delay_alu instid0(VALU_DEP_1) | instskip(NEXT) | instid1(VALU_DEP_1)
	v_div_fixup_f64 v[144:145], v[146:147], v[144:145], 1.0
	v_mul_f64 v[146:147], v[161:162], -v[144:145]
.LBB70_240:
	s_or_b32 exec_lo, exec_lo, s2
.LBB70_241:
	s_delay_alu instid0(SALU_CYCLE_1) | instskip(NEXT) | instid1(SALU_CYCLE_1)
	s_or_b32 exec_lo, exec_lo, s3
	s_mov_b32 s2, exec_lo
	v_cmpx_ne_u32_e64 v160, v152
	s_xor_b32 s2, exec_lo, s2
	s_cbranch_execz .LBB70_247
; %bb.242:
	s_mov_b32 s3, exec_lo
	v_cmpx_eq_u32_e32 11, v160
	s_cbranch_execz .LBB70_246
; %bb.243:
	v_cmp_ne_u32_e32 vcc_lo, 11, v152
	s_xor_b32 s6, s4, -1
	s_delay_alu instid0(SALU_CYCLE_1) | instskip(NEXT) | instid1(SALU_CYCLE_1)
	s_and_b32 s7, s6, vcc_lo
	s_and_saveexec_b32 s6, s7
	s_cbranch_execz .LBB70_245
; %bb.244:
	v_ashrrev_i32_e32 v153, 31, v152
	s_delay_alu instid0(VALU_DEP_1) | instskip(NEXT) | instid1(VALU_DEP_1)
	v_lshlrev_b64 v[160:161], 2, v[152:153]
	v_add_co_u32 v160, vcc_lo, v150, v160
	s_delay_alu instid0(VALU_DEP_2)
	v_add_co_ci_u32_e32 v161, vcc_lo, v151, v161, vcc_lo
	s_clause 0x1
	flat_load_b32 v153, v[160:161]
	flat_load_b32 v158, v[150:151] offset:44
	s_waitcnt vmcnt(1) lgkmcnt(1)
	flat_store_b32 v[150:151], v153 offset:44
	s_waitcnt vmcnt(0) lgkmcnt(1)
	flat_store_b32 v[160:161], v158
.LBB70_245:
	s_or_b32 exec_lo, exec_lo, s6
	v_mov_b32_e32 v160, v152
	v_mov_b32_e32 v158, v152
.LBB70_246:
	s_or_b32 exec_lo, exec_lo, s3
.LBB70_247:
	s_and_not1_saveexec_b32 s2, s2
	s_cbranch_execz .LBB70_249
; %bb.248:
	v_mov_b32_e32 v160, 11
	ds_store_2addr_b64 v154, v[100:101], v[102:103] offset0:24 offset1:25
	ds_store_2addr_b64 v154, v[96:97], v[98:99] offset0:26 offset1:27
	;; [unrolled: 1-line block ×24, first 2 shown]
.LBB70_249:
	s_or_b32 exec_lo, exec_lo, s2
	s_delay_alu instid0(SALU_CYCLE_1)
	s_mov_b32 s2, exec_lo
	s_waitcnt lgkmcnt(0)
	s_waitcnt_vscnt null, 0x0
	s_barrier
	buffer_gl0_inv
	v_cmpx_lt_i32_e32 11, v160
	s_cbranch_execz .LBB70_251
; %bb.250:
	v_mul_f64 v[152:153], v[146:147], v[106:107]
	v_mul_f64 v[106:107], v[144:145], v[106:107]
	s_delay_alu instid0(VALU_DEP_2) | instskip(NEXT) | instid1(VALU_DEP_2)
	v_fma_f64 v[152:153], v[144:145], v[104:105], -v[152:153]
	v_fma_f64 v[106:107], v[146:147], v[104:105], v[106:107]
	ds_load_2addr_b64 v[144:147], v154 offset0:24 offset1:25
	s_waitcnt lgkmcnt(0)
	v_mul_f64 v[104:105], v[146:147], v[106:107]
	s_delay_alu instid0(VALU_DEP_1) | instskip(SKIP_1) | instid1(VALU_DEP_2)
	v_fma_f64 v[104:105], v[144:145], v[152:153], -v[104:105]
	v_mul_f64 v[144:145], v[144:145], v[106:107]
	v_add_f64 v[100:101], v[100:101], -v[104:105]
	s_delay_alu instid0(VALU_DEP_2) | instskip(NEXT) | instid1(VALU_DEP_1)
	v_fma_f64 v[144:145], v[146:147], v[152:153], v[144:145]
	v_add_f64 v[102:103], v[102:103], -v[144:145]
	ds_load_2addr_b64 v[144:147], v154 offset0:26 offset1:27
	s_waitcnt lgkmcnt(0)
	v_mul_f64 v[104:105], v[146:147], v[106:107]
	s_delay_alu instid0(VALU_DEP_1) | instskip(SKIP_1) | instid1(VALU_DEP_2)
	v_fma_f64 v[104:105], v[144:145], v[152:153], -v[104:105]
	v_mul_f64 v[144:145], v[144:145], v[106:107]
	v_add_f64 v[96:97], v[96:97], -v[104:105]
	s_delay_alu instid0(VALU_DEP_2) | instskip(NEXT) | instid1(VALU_DEP_1)
	v_fma_f64 v[144:145], v[146:147], v[152:153], v[144:145]
	v_add_f64 v[98:99], v[98:99], -v[144:145]
	;; [unrolled: 10-line block ×23, first 2 shown]
	ds_load_2addr_b64 v[144:147], v154 offset0:70 offset1:71
	s_waitcnt lgkmcnt(0)
	v_mul_f64 v[104:105], v[146:147], v[106:107]
	s_delay_alu instid0(VALU_DEP_1) | instskip(SKIP_1) | instid1(VALU_DEP_2)
	v_fma_f64 v[104:105], v[144:145], v[152:153], -v[104:105]
	v_mul_f64 v[144:145], v[144:145], v[106:107]
	v_add_f64 v[0:1], v[0:1], -v[104:105]
	s_delay_alu instid0(VALU_DEP_2) | instskip(SKIP_1) | instid1(VALU_DEP_2)
	v_fma_f64 v[144:145], v[146:147], v[152:153], v[144:145]
	v_dual_mov_b32 v104, v152 :: v_dual_mov_b32 v105, v153
	v_add_f64 v[2:3], v[2:3], -v[144:145]
.LBB70_251:
	s_or_b32 exec_lo, exec_lo, s2
	v_lshl_add_u32 v144, v160, 4, v154
	s_barrier
	buffer_gl0_inv
	v_mov_b32_e32 v152, 12
	ds_store_2addr_b64 v144, v[100:101], v[102:103] offset1:1
	s_waitcnt lgkmcnt(0)
	s_barrier
	buffer_gl0_inv
	ds_load_2addr_b64 v[144:147], v154 offset0:24 offset1:25
	s_cmp_lt_i32 s5, 14
	s_cbranch_scc1 .LBB70_254
; %bb.252:
	v_add3_u32 v153, v159, 0, 0xd0
	v_mov_b32_e32 v152, 12
	s_mov_b32 s6, 13
	s_set_inst_prefetch_distance 0x1
	.p2align	6
.LBB70_253:                             ; =>This Inner Loop Header: Depth=1
	ds_load_2addr_b64 v[161:164], v153 offset1:1
	s_waitcnt lgkmcnt(1)
	v_cmp_gt_f64_e32 vcc_lo, 0, v[144:145]
	v_xor_b32_e32 v165, 0x80000000, v145
	v_cmp_gt_f64_e64 s2, 0, v[146:147]
	v_xor_b32_e32 v167, 0x80000000, v147
	v_add_nc_u32_e32 v153, 16, v153
	s_waitcnt lgkmcnt(0)
	v_cmp_gt_f64_e64 s3, 0, v[161:162]
	v_mov_b32_e32 v169, v161
	v_dual_mov_b32 v171, v163 :: v_dual_cndmask_b32 v166, v145, v165
	v_xor_b32_e32 v165, 0x80000000, v162
	v_cndmask_b32_e64 v168, v147, v167, s2
	v_xor_b32_e32 v167, 0x80000000, v164
	s_delay_alu instid0(VALU_DEP_3) | instskip(SKIP_2) | instid1(VALU_DEP_2)
	v_cndmask_b32_e64 v170, v162, v165, s3
	v_cmp_gt_f64_e64 s3, 0, v[163:164]
	v_cndmask_b32_e32 v165, v144, v144, vcc_lo
	v_cndmask_b32_e64 v172, v164, v167, s3
	v_cndmask_b32_e64 v167, v146, v146, s2
	s_delay_alu instid0(VALU_DEP_2) | instskip(NEXT) | instid1(VALU_DEP_2)
	v_add_f64 v[169:170], v[169:170], v[171:172]
	v_add_f64 v[165:166], v[165:166], v[167:168]
	s_delay_alu instid0(VALU_DEP_1) | instskip(SKIP_4) | instid1(SALU_CYCLE_1)
	v_cmp_lt_f64_e32 vcc_lo, v[165:166], v[169:170]
	v_dual_cndmask_b32 v146, v146, v163 :: v_dual_cndmask_b32 v145, v145, v162
	v_dual_cndmask_b32 v144, v144, v161 :: v_dual_cndmask_b32 v147, v147, v164
	v_cndmask_b32_e64 v152, v152, s6, vcc_lo
	s_add_i32 s6, s6, 1
	s_cmp_lg_u32 s5, s6
	s_cbranch_scc1 .LBB70_253
.LBB70_254:
	s_set_inst_prefetch_distance 0x2
	s_waitcnt lgkmcnt(0)
	v_cmp_eq_f64_e32 vcc_lo, 0, v[144:145]
	v_cmp_eq_f64_e64 s2, 0, v[146:147]
	s_delay_alu instid0(VALU_DEP_1) | instskip(NEXT) | instid1(SALU_CYCLE_1)
	s_and_b32 s2, vcc_lo, s2
	s_and_saveexec_b32 s3, s2
	s_delay_alu instid0(SALU_CYCLE_1)
	s_xor_b32 s2, exec_lo, s3
; %bb.255:
	v_cmp_ne_u32_e32 vcc_lo, 0, v157
	v_cndmask_b32_e32 v157, 13, v157, vcc_lo
; %bb.256:
	s_and_not1_saveexec_b32 s3, s2
	s_cbranch_execz .LBB70_262
; %bb.257:
	v_cmp_gt_f64_e32 vcc_lo, 0, v[144:145]
	v_cmp_gt_f64_e64 s2, 0, v[146:147]
	v_xor_b32_e32 v153, 0x80000000, v145
	v_xor_b32_e32 v161, 0x80000000, v147
	s_delay_alu instid0(VALU_DEP_2) | instskip(NEXT) | instid1(VALU_DEP_2)
	v_cndmask_b32_e32 v162, v145, v153, vcc_lo
	v_cndmask_b32_e64 v164, v147, v161, s2
	v_cndmask_b32_e32 v161, v144, v144, vcc_lo
	v_cndmask_b32_e64 v163, v146, v146, s2
	s_mov_b32 s2, exec_lo
	s_delay_alu instid0(VALU_DEP_1)
	v_cmpx_ngt_f64_e32 v[161:162], v[163:164]
	s_xor_b32 s2, exec_lo, s2
	s_cbranch_execz .LBB70_259
; %bb.258:
	v_div_scale_f64 v[161:162], null, v[146:147], v[146:147], v[144:145]
	v_div_scale_f64 v[167:168], vcc_lo, v[144:145], v[146:147], v[144:145]
	s_delay_alu instid0(VALU_DEP_2) | instskip(SKIP_2) | instid1(VALU_DEP_1)
	v_rcp_f64_e32 v[163:164], v[161:162]
	s_waitcnt_depctr 0xfff
	v_fma_f64 v[165:166], -v[161:162], v[163:164], 1.0
	v_fma_f64 v[163:164], v[163:164], v[165:166], v[163:164]
	s_delay_alu instid0(VALU_DEP_1) | instskip(NEXT) | instid1(VALU_DEP_1)
	v_fma_f64 v[165:166], -v[161:162], v[163:164], 1.0
	v_fma_f64 v[163:164], v[163:164], v[165:166], v[163:164]
	s_delay_alu instid0(VALU_DEP_1) | instskip(NEXT) | instid1(VALU_DEP_1)
	v_mul_f64 v[165:166], v[167:168], v[163:164]
	v_fma_f64 v[161:162], -v[161:162], v[165:166], v[167:168]
	s_delay_alu instid0(VALU_DEP_1) | instskip(NEXT) | instid1(VALU_DEP_1)
	v_div_fmas_f64 v[161:162], v[161:162], v[163:164], v[165:166]
	v_div_fixup_f64 v[161:162], v[161:162], v[146:147], v[144:145]
	s_delay_alu instid0(VALU_DEP_1) | instskip(NEXT) | instid1(VALU_DEP_1)
	v_fma_f64 v[144:145], v[144:145], v[161:162], v[146:147]
	v_div_scale_f64 v[146:147], null, v[144:145], v[144:145], 1.0
	s_delay_alu instid0(VALU_DEP_1) | instskip(SKIP_2) | instid1(VALU_DEP_1)
	v_rcp_f64_e32 v[163:164], v[146:147]
	s_waitcnt_depctr 0xfff
	v_fma_f64 v[165:166], -v[146:147], v[163:164], 1.0
	v_fma_f64 v[163:164], v[163:164], v[165:166], v[163:164]
	s_delay_alu instid0(VALU_DEP_1) | instskip(NEXT) | instid1(VALU_DEP_1)
	v_fma_f64 v[165:166], -v[146:147], v[163:164], 1.0
	v_fma_f64 v[163:164], v[163:164], v[165:166], v[163:164]
	v_div_scale_f64 v[165:166], vcc_lo, 1.0, v[144:145], 1.0
	s_delay_alu instid0(VALU_DEP_1) | instskip(NEXT) | instid1(VALU_DEP_1)
	v_mul_f64 v[167:168], v[165:166], v[163:164]
	v_fma_f64 v[146:147], -v[146:147], v[167:168], v[165:166]
	s_delay_alu instid0(VALU_DEP_1) | instskip(NEXT) | instid1(VALU_DEP_1)
	v_div_fmas_f64 v[146:147], v[146:147], v[163:164], v[167:168]
	v_div_fixup_f64 v[146:147], v[146:147], v[144:145], 1.0
	s_delay_alu instid0(VALU_DEP_1)
	v_mul_f64 v[144:145], v[161:162], v[146:147]
	v_xor_b32_e32 v147, 0x80000000, v147
.LBB70_259:
	s_and_not1_saveexec_b32 s2, s2
	s_cbranch_execz .LBB70_261
; %bb.260:
	s_delay_alu instid0(VALU_DEP_1) | instskip(SKIP_1) | instid1(VALU_DEP_2)
	v_div_scale_f64 v[161:162], null, v[144:145], v[144:145], v[146:147]
	v_div_scale_f64 v[167:168], vcc_lo, v[146:147], v[144:145], v[146:147]
	v_rcp_f64_e32 v[163:164], v[161:162]
	s_waitcnt_depctr 0xfff
	v_fma_f64 v[165:166], -v[161:162], v[163:164], 1.0
	s_delay_alu instid0(VALU_DEP_1) | instskip(NEXT) | instid1(VALU_DEP_1)
	v_fma_f64 v[163:164], v[163:164], v[165:166], v[163:164]
	v_fma_f64 v[165:166], -v[161:162], v[163:164], 1.0
	s_delay_alu instid0(VALU_DEP_1) | instskip(NEXT) | instid1(VALU_DEP_1)
	v_fma_f64 v[163:164], v[163:164], v[165:166], v[163:164]
	v_mul_f64 v[165:166], v[167:168], v[163:164]
	s_delay_alu instid0(VALU_DEP_1) | instskip(NEXT) | instid1(VALU_DEP_1)
	v_fma_f64 v[161:162], -v[161:162], v[165:166], v[167:168]
	v_div_fmas_f64 v[161:162], v[161:162], v[163:164], v[165:166]
	s_delay_alu instid0(VALU_DEP_1) | instskip(NEXT) | instid1(VALU_DEP_1)
	v_div_fixup_f64 v[161:162], v[161:162], v[144:145], v[146:147]
	v_fma_f64 v[144:145], v[146:147], v[161:162], v[144:145]
	s_delay_alu instid0(VALU_DEP_1) | instskip(NEXT) | instid1(VALU_DEP_1)
	v_div_scale_f64 v[146:147], null, v[144:145], v[144:145], 1.0
	v_rcp_f64_e32 v[163:164], v[146:147]
	s_waitcnt_depctr 0xfff
	v_fma_f64 v[165:166], -v[146:147], v[163:164], 1.0
	s_delay_alu instid0(VALU_DEP_1) | instskip(NEXT) | instid1(VALU_DEP_1)
	v_fma_f64 v[163:164], v[163:164], v[165:166], v[163:164]
	v_fma_f64 v[165:166], -v[146:147], v[163:164], 1.0
	s_delay_alu instid0(VALU_DEP_1) | instskip(SKIP_1) | instid1(VALU_DEP_1)
	v_fma_f64 v[163:164], v[163:164], v[165:166], v[163:164]
	v_div_scale_f64 v[165:166], vcc_lo, 1.0, v[144:145], 1.0
	v_mul_f64 v[167:168], v[165:166], v[163:164]
	s_delay_alu instid0(VALU_DEP_1) | instskip(NEXT) | instid1(VALU_DEP_1)
	v_fma_f64 v[146:147], -v[146:147], v[167:168], v[165:166]
	v_div_fmas_f64 v[146:147], v[146:147], v[163:164], v[167:168]
	s_delay_alu instid0(VALU_DEP_1) | instskip(NEXT) | instid1(VALU_DEP_1)
	v_div_fixup_f64 v[144:145], v[146:147], v[144:145], 1.0
	v_mul_f64 v[146:147], v[161:162], -v[144:145]
.LBB70_261:
	s_or_b32 exec_lo, exec_lo, s2
.LBB70_262:
	s_delay_alu instid0(SALU_CYCLE_1) | instskip(NEXT) | instid1(SALU_CYCLE_1)
	s_or_b32 exec_lo, exec_lo, s3
	s_mov_b32 s2, exec_lo
	v_cmpx_ne_u32_e64 v160, v152
	s_xor_b32 s2, exec_lo, s2
	s_cbranch_execz .LBB70_268
; %bb.263:
	s_mov_b32 s3, exec_lo
	v_cmpx_eq_u32_e32 12, v160
	s_cbranch_execz .LBB70_267
; %bb.264:
	v_cmp_ne_u32_e32 vcc_lo, 12, v152
	s_xor_b32 s6, s4, -1
	s_delay_alu instid0(SALU_CYCLE_1) | instskip(NEXT) | instid1(SALU_CYCLE_1)
	s_and_b32 s7, s6, vcc_lo
	s_and_saveexec_b32 s6, s7
	s_cbranch_execz .LBB70_266
; %bb.265:
	v_ashrrev_i32_e32 v153, 31, v152
	s_delay_alu instid0(VALU_DEP_1) | instskip(NEXT) | instid1(VALU_DEP_1)
	v_lshlrev_b64 v[160:161], 2, v[152:153]
	v_add_co_u32 v160, vcc_lo, v150, v160
	s_delay_alu instid0(VALU_DEP_2)
	v_add_co_ci_u32_e32 v161, vcc_lo, v151, v161, vcc_lo
	s_clause 0x1
	flat_load_b32 v153, v[160:161]
	flat_load_b32 v158, v[150:151] offset:48
	s_waitcnt vmcnt(1) lgkmcnt(1)
	flat_store_b32 v[150:151], v153 offset:48
	s_waitcnt vmcnt(0) lgkmcnt(1)
	flat_store_b32 v[160:161], v158
.LBB70_266:
	s_or_b32 exec_lo, exec_lo, s6
	v_mov_b32_e32 v160, v152
	v_mov_b32_e32 v158, v152
.LBB70_267:
	s_or_b32 exec_lo, exec_lo, s3
.LBB70_268:
	s_and_not1_saveexec_b32 s2, s2
	s_cbranch_execz .LBB70_270
; %bb.269:
	v_mov_b32_e32 v160, 12
	ds_store_2addr_b64 v154, v[96:97], v[98:99] offset0:26 offset1:27
	ds_store_2addr_b64 v154, v[92:93], v[94:95] offset0:28 offset1:29
	;; [unrolled: 1-line block ×23, first 2 shown]
.LBB70_270:
	s_or_b32 exec_lo, exec_lo, s2
	s_delay_alu instid0(SALU_CYCLE_1)
	s_mov_b32 s2, exec_lo
	s_waitcnt lgkmcnt(0)
	s_waitcnt_vscnt null, 0x0
	s_barrier
	buffer_gl0_inv
	v_cmpx_lt_i32_e32 12, v160
	s_cbranch_execz .LBB70_272
; %bb.271:
	v_mul_f64 v[152:153], v[146:147], v[102:103]
	v_mul_f64 v[102:103], v[144:145], v[102:103]
	s_delay_alu instid0(VALU_DEP_2) | instskip(NEXT) | instid1(VALU_DEP_2)
	v_fma_f64 v[152:153], v[144:145], v[100:101], -v[152:153]
	v_fma_f64 v[102:103], v[146:147], v[100:101], v[102:103]
	ds_load_2addr_b64 v[144:147], v154 offset0:26 offset1:27
	s_waitcnt lgkmcnt(0)
	v_mul_f64 v[100:101], v[146:147], v[102:103]
	s_delay_alu instid0(VALU_DEP_1) | instskip(SKIP_1) | instid1(VALU_DEP_2)
	v_fma_f64 v[100:101], v[144:145], v[152:153], -v[100:101]
	v_mul_f64 v[144:145], v[144:145], v[102:103]
	v_add_f64 v[96:97], v[96:97], -v[100:101]
	s_delay_alu instid0(VALU_DEP_2) | instskip(NEXT) | instid1(VALU_DEP_1)
	v_fma_f64 v[144:145], v[146:147], v[152:153], v[144:145]
	v_add_f64 v[98:99], v[98:99], -v[144:145]
	ds_load_2addr_b64 v[144:147], v154 offset0:28 offset1:29
	s_waitcnt lgkmcnt(0)
	v_mul_f64 v[100:101], v[146:147], v[102:103]
	s_delay_alu instid0(VALU_DEP_1) | instskip(SKIP_1) | instid1(VALU_DEP_2)
	v_fma_f64 v[100:101], v[144:145], v[152:153], -v[100:101]
	v_mul_f64 v[144:145], v[144:145], v[102:103]
	v_add_f64 v[92:93], v[92:93], -v[100:101]
	s_delay_alu instid0(VALU_DEP_2) | instskip(NEXT) | instid1(VALU_DEP_1)
	v_fma_f64 v[144:145], v[146:147], v[152:153], v[144:145]
	v_add_f64 v[94:95], v[94:95], -v[144:145]
	;; [unrolled: 10-line block ×22, first 2 shown]
	ds_load_2addr_b64 v[144:147], v154 offset0:70 offset1:71
	s_waitcnt lgkmcnt(0)
	v_mul_f64 v[100:101], v[146:147], v[102:103]
	s_delay_alu instid0(VALU_DEP_1) | instskip(SKIP_1) | instid1(VALU_DEP_2)
	v_fma_f64 v[100:101], v[144:145], v[152:153], -v[100:101]
	v_mul_f64 v[144:145], v[144:145], v[102:103]
	v_add_f64 v[0:1], v[0:1], -v[100:101]
	s_delay_alu instid0(VALU_DEP_2) | instskip(SKIP_1) | instid1(VALU_DEP_2)
	v_fma_f64 v[144:145], v[146:147], v[152:153], v[144:145]
	v_dual_mov_b32 v100, v152 :: v_dual_mov_b32 v101, v153
	v_add_f64 v[2:3], v[2:3], -v[144:145]
.LBB70_272:
	s_or_b32 exec_lo, exec_lo, s2
	v_lshl_add_u32 v144, v160, 4, v154
	s_barrier
	buffer_gl0_inv
	v_mov_b32_e32 v152, 13
	ds_store_2addr_b64 v144, v[96:97], v[98:99] offset1:1
	s_waitcnt lgkmcnt(0)
	s_barrier
	buffer_gl0_inv
	ds_load_2addr_b64 v[144:147], v154 offset0:26 offset1:27
	s_cmp_lt_i32 s5, 15
	s_cbranch_scc1 .LBB70_275
; %bb.273:
	v_add3_u32 v153, v159, 0, 0xe0
	v_mov_b32_e32 v152, 13
	s_mov_b32 s6, 14
	s_set_inst_prefetch_distance 0x1
	.p2align	6
.LBB70_274:                             ; =>This Inner Loop Header: Depth=1
	ds_load_2addr_b64 v[161:164], v153 offset1:1
	s_waitcnt lgkmcnt(1)
	v_cmp_gt_f64_e32 vcc_lo, 0, v[144:145]
	v_xor_b32_e32 v165, 0x80000000, v145
	v_cmp_gt_f64_e64 s2, 0, v[146:147]
	v_xor_b32_e32 v167, 0x80000000, v147
	v_add_nc_u32_e32 v153, 16, v153
	s_waitcnt lgkmcnt(0)
	v_cmp_gt_f64_e64 s3, 0, v[161:162]
	v_mov_b32_e32 v169, v161
	v_dual_mov_b32 v171, v163 :: v_dual_cndmask_b32 v166, v145, v165
	v_xor_b32_e32 v165, 0x80000000, v162
	v_cndmask_b32_e64 v168, v147, v167, s2
	v_xor_b32_e32 v167, 0x80000000, v164
	s_delay_alu instid0(VALU_DEP_3) | instskip(SKIP_2) | instid1(VALU_DEP_2)
	v_cndmask_b32_e64 v170, v162, v165, s3
	v_cmp_gt_f64_e64 s3, 0, v[163:164]
	v_cndmask_b32_e32 v165, v144, v144, vcc_lo
	v_cndmask_b32_e64 v172, v164, v167, s3
	v_cndmask_b32_e64 v167, v146, v146, s2
	s_delay_alu instid0(VALU_DEP_2) | instskip(NEXT) | instid1(VALU_DEP_2)
	v_add_f64 v[169:170], v[169:170], v[171:172]
	v_add_f64 v[165:166], v[165:166], v[167:168]
	s_delay_alu instid0(VALU_DEP_1) | instskip(SKIP_4) | instid1(SALU_CYCLE_1)
	v_cmp_lt_f64_e32 vcc_lo, v[165:166], v[169:170]
	v_dual_cndmask_b32 v146, v146, v163 :: v_dual_cndmask_b32 v145, v145, v162
	v_dual_cndmask_b32 v144, v144, v161 :: v_dual_cndmask_b32 v147, v147, v164
	v_cndmask_b32_e64 v152, v152, s6, vcc_lo
	s_add_i32 s6, s6, 1
	s_cmp_lg_u32 s5, s6
	s_cbranch_scc1 .LBB70_274
.LBB70_275:
	s_set_inst_prefetch_distance 0x2
	s_waitcnt lgkmcnt(0)
	v_cmp_eq_f64_e32 vcc_lo, 0, v[144:145]
	v_cmp_eq_f64_e64 s2, 0, v[146:147]
	s_delay_alu instid0(VALU_DEP_1) | instskip(NEXT) | instid1(SALU_CYCLE_1)
	s_and_b32 s2, vcc_lo, s2
	s_and_saveexec_b32 s3, s2
	s_delay_alu instid0(SALU_CYCLE_1)
	s_xor_b32 s2, exec_lo, s3
; %bb.276:
	v_cmp_ne_u32_e32 vcc_lo, 0, v157
	v_cndmask_b32_e32 v157, 14, v157, vcc_lo
; %bb.277:
	s_and_not1_saveexec_b32 s3, s2
	s_cbranch_execz .LBB70_283
; %bb.278:
	v_cmp_gt_f64_e32 vcc_lo, 0, v[144:145]
	v_cmp_gt_f64_e64 s2, 0, v[146:147]
	v_xor_b32_e32 v153, 0x80000000, v145
	v_xor_b32_e32 v161, 0x80000000, v147
	s_delay_alu instid0(VALU_DEP_2) | instskip(NEXT) | instid1(VALU_DEP_2)
	v_cndmask_b32_e32 v162, v145, v153, vcc_lo
	v_cndmask_b32_e64 v164, v147, v161, s2
	v_cndmask_b32_e32 v161, v144, v144, vcc_lo
	v_cndmask_b32_e64 v163, v146, v146, s2
	s_mov_b32 s2, exec_lo
	s_delay_alu instid0(VALU_DEP_1)
	v_cmpx_ngt_f64_e32 v[161:162], v[163:164]
	s_xor_b32 s2, exec_lo, s2
	s_cbranch_execz .LBB70_280
; %bb.279:
	v_div_scale_f64 v[161:162], null, v[146:147], v[146:147], v[144:145]
	v_div_scale_f64 v[167:168], vcc_lo, v[144:145], v[146:147], v[144:145]
	s_delay_alu instid0(VALU_DEP_2) | instskip(SKIP_2) | instid1(VALU_DEP_1)
	v_rcp_f64_e32 v[163:164], v[161:162]
	s_waitcnt_depctr 0xfff
	v_fma_f64 v[165:166], -v[161:162], v[163:164], 1.0
	v_fma_f64 v[163:164], v[163:164], v[165:166], v[163:164]
	s_delay_alu instid0(VALU_DEP_1) | instskip(NEXT) | instid1(VALU_DEP_1)
	v_fma_f64 v[165:166], -v[161:162], v[163:164], 1.0
	v_fma_f64 v[163:164], v[163:164], v[165:166], v[163:164]
	s_delay_alu instid0(VALU_DEP_1) | instskip(NEXT) | instid1(VALU_DEP_1)
	v_mul_f64 v[165:166], v[167:168], v[163:164]
	v_fma_f64 v[161:162], -v[161:162], v[165:166], v[167:168]
	s_delay_alu instid0(VALU_DEP_1) | instskip(NEXT) | instid1(VALU_DEP_1)
	v_div_fmas_f64 v[161:162], v[161:162], v[163:164], v[165:166]
	v_div_fixup_f64 v[161:162], v[161:162], v[146:147], v[144:145]
	s_delay_alu instid0(VALU_DEP_1) | instskip(NEXT) | instid1(VALU_DEP_1)
	v_fma_f64 v[144:145], v[144:145], v[161:162], v[146:147]
	v_div_scale_f64 v[146:147], null, v[144:145], v[144:145], 1.0
	s_delay_alu instid0(VALU_DEP_1) | instskip(SKIP_2) | instid1(VALU_DEP_1)
	v_rcp_f64_e32 v[163:164], v[146:147]
	s_waitcnt_depctr 0xfff
	v_fma_f64 v[165:166], -v[146:147], v[163:164], 1.0
	v_fma_f64 v[163:164], v[163:164], v[165:166], v[163:164]
	s_delay_alu instid0(VALU_DEP_1) | instskip(NEXT) | instid1(VALU_DEP_1)
	v_fma_f64 v[165:166], -v[146:147], v[163:164], 1.0
	v_fma_f64 v[163:164], v[163:164], v[165:166], v[163:164]
	v_div_scale_f64 v[165:166], vcc_lo, 1.0, v[144:145], 1.0
	s_delay_alu instid0(VALU_DEP_1) | instskip(NEXT) | instid1(VALU_DEP_1)
	v_mul_f64 v[167:168], v[165:166], v[163:164]
	v_fma_f64 v[146:147], -v[146:147], v[167:168], v[165:166]
	s_delay_alu instid0(VALU_DEP_1) | instskip(NEXT) | instid1(VALU_DEP_1)
	v_div_fmas_f64 v[146:147], v[146:147], v[163:164], v[167:168]
	v_div_fixup_f64 v[146:147], v[146:147], v[144:145], 1.0
	s_delay_alu instid0(VALU_DEP_1)
	v_mul_f64 v[144:145], v[161:162], v[146:147]
	v_xor_b32_e32 v147, 0x80000000, v147
.LBB70_280:
	s_and_not1_saveexec_b32 s2, s2
	s_cbranch_execz .LBB70_282
; %bb.281:
	s_delay_alu instid0(VALU_DEP_1) | instskip(SKIP_1) | instid1(VALU_DEP_2)
	v_div_scale_f64 v[161:162], null, v[144:145], v[144:145], v[146:147]
	v_div_scale_f64 v[167:168], vcc_lo, v[146:147], v[144:145], v[146:147]
	v_rcp_f64_e32 v[163:164], v[161:162]
	s_waitcnt_depctr 0xfff
	v_fma_f64 v[165:166], -v[161:162], v[163:164], 1.0
	s_delay_alu instid0(VALU_DEP_1) | instskip(NEXT) | instid1(VALU_DEP_1)
	v_fma_f64 v[163:164], v[163:164], v[165:166], v[163:164]
	v_fma_f64 v[165:166], -v[161:162], v[163:164], 1.0
	s_delay_alu instid0(VALU_DEP_1) | instskip(NEXT) | instid1(VALU_DEP_1)
	v_fma_f64 v[163:164], v[163:164], v[165:166], v[163:164]
	v_mul_f64 v[165:166], v[167:168], v[163:164]
	s_delay_alu instid0(VALU_DEP_1) | instskip(NEXT) | instid1(VALU_DEP_1)
	v_fma_f64 v[161:162], -v[161:162], v[165:166], v[167:168]
	v_div_fmas_f64 v[161:162], v[161:162], v[163:164], v[165:166]
	s_delay_alu instid0(VALU_DEP_1) | instskip(NEXT) | instid1(VALU_DEP_1)
	v_div_fixup_f64 v[161:162], v[161:162], v[144:145], v[146:147]
	v_fma_f64 v[144:145], v[146:147], v[161:162], v[144:145]
	s_delay_alu instid0(VALU_DEP_1) | instskip(NEXT) | instid1(VALU_DEP_1)
	v_div_scale_f64 v[146:147], null, v[144:145], v[144:145], 1.0
	v_rcp_f64_e32 v[163:164], v[146:147]
	s_waitcnt_depctr 0xfff
	v_fma_f64 v[165:166], -v[146:147], v[163:164], 1.0
	s_delay_alu instid0(VALU_DEP_1) | instskip(NEXT) | instid1(VALU_DEP_1)
	v_fma_f64 v[163:164], v[163:164], v[165:166], v[163:164]
	v_fma_f64 v[165:166], -v[146:147], v[163:164], 1.0
	s_delay_alu instid0(VALU_DEP_1) | instskip(SKIP_1) | instid1(VALU_DEP_1)
	v_fma_f64 v[163:164], v[163:164], v[165:166], v[163:164]
	v_div_scale_f64 v[165:166], vcc_lo, 1.0, v[144:145], 1.0
	v_mul_f64 v[167:168], v[165:166], v[163:164]
	s_delay_alu instid0(VALU_DEP_1) | instskip(NEXT) | instid1(VALU_DEP_1)
	v_fma_f64 v[146:147], -v[146:147], v[167:168], v[165:166]
	v_div_fmas_f64 v[146:147], v[146:147], v[163:164], v[167:168]
	s_delay_alu instid0(VALU_DEP_1) | instskip(NEXT) | instid1(VALU_DEP_1)
	v_div_fixup_f64 v[144:145], v[146:147], v[144:145], 1.0
	v_mul_f64 v[146:147], v[161:162], -v[144:145]
.LBB70_282:
	s_or_b32 exec_lo, exec_lo, s2
.LBB70_283:
	s_delay_alu instid0(SALU_CYCLE_1) | instskip(NEXT) | instid1(SALU_CYCLE_1)
	s_or_b32 exec_lo, exec_lo, s3
	s_mov_b32 s2, exec_lo
	v_cmpx_ne_u32_e64 v160, v152
	s_xor_b32 s2, exec_lo, s2
	s_cbranch_execz .LBB70_289
; %bb.284:
	s_mov_b32 s3, exec_lo
	v_cmpx_eq_u32_e32 13, v160
	s_cbranch_execz .LBB70_288
; %bb.285:
	v_cmp_ne_u32_e32 vcc_lo, 13, v152
	s_xor_b32 s6, s4, -1
	s_delay_alu instid0(SALU_CYCLE_1) | instskip(NEXT) | instid1(SALU_CYCLE_1)
	s_and_b32 s7, s6, vcc_lo
	s_and_saveexec_b32 s6, s7
	s_cbranch_execz .LBB70_287
; %bb.286:
	v_ashrrev_i32_e32 v153, 31, v152
	s_delay_alu instid0(VALU_DEP_1) | instskip(NEXT) | instid1(VALU_DEP_1)
	v_lshlrev_b64 v[160:161], 2, v[152:153]
	v_add_co_u32 v160, vcc_lo, v150, v160
	s_delay_alu instid0(VALU_DEP_2)
	v_add_co_ci_u32_e32 v161, vcc_lo, v151, v161, vcc_lo
	s_clause 0x1
	flat_load_b32 v153, v[160:161]
	flat_load_b32 v158, v[150:151] offset:52
	s_waitcnt vmcnt(1) lgkmcnt(1)
	flat_store_b32 v[150:151], v153 offset:52
	s_waitcnt vmcnt(0) lgkmcnt(1)
	flat_store_b32 v[160:161], v158
.LBB70_287:
	s_or_b32 exec_lo, exec_lo, s6
	v_mov_b32_e32 v160, v152
	v_mov_b32_e32 v158, v152
.LBB70_288:
	s_or_b32 exec_lo, exec_lo, s3
.LBB70_289:
	s_and_not1_saveexec_b32 s2, s2
	s_cbranch_execz .LBB70_291
; %bb.290:
	v_mov_b32_e32 v160, 13
	ds_store_2addr_b64 v154, v[92:93], v[94:95] offset0:28 offset1:29
	ds_store_2addr_b64 v154, v[88:89], v[90:91] offset0:30 offset1:31
	;; [unrolled: 1-line block ×22, first 2 shown]
.LBB70_291:
	s_or_b32 exec_lo, exec_lo, s2
	s_delay_alu instid0(SALU_CYCLE_1)
	s_mov_b32 s2, exec_lo
	s_waitcnt lgkmcnt(0)
	s_waitcnt_vscnt null, 0x0
	s_barrier
	buffer_gl0_inv
	v_cmpx_lt_i32_e32 13, v160
	s_cbranch_execz .LBB70_293
; %bb.292:
	v_mul_f64 v[152:153], v[146:147], v[98:99]
	v_mul_f64 v[98:99], v[144:145], v[98:99]
	s_delay_alu instid0(VALU_DEP_2) | instskip(NEXT) | instid1(VALU_DEP_2)
	v_fma_f64 v[152:153], v[144:145], v[96:97], -v[152:153]
	v_fma_f64 v[98:99], v[146:147], v[96:97], v[98:99]
	ds_load_2addr_b64 v[144:147], v154 offset0:28 offset1:29
	s_waitcnt lgkmcnt(0)
	v_mul_f64 v[96:97], v[146:147], v[98:99]
	s_delay_alu instid0(VALU_DEP_1) | instskip(SKIP_1) | instid1(VALU_DEP_2)
	v_fma_f64 v[96:97], v[144:145], v[152:153], -v[96:97]
	v_mul_f64 v[144:145], v[144:145], v[98:99]
	v_add_f64 v[92:93], v[92:93], -v[96:97]
	s_delay_alu instid0(VALU_DEP_2) | instskip(NEXT) | instid1(VALU_DEP_1)
	v_fma_f64 v[144:145], v[146:147], v[152:153], v[144:145]
	v_add_f64 v[94:95], v[94:95], -v[144:145]
	ds_load_2addr_b64 v[144:147], v154 offset0:30 offset1:31
	s_waitcnt lgkmcnt(0)
	v_mul_f64 v[96:97], v[146:147], v[98:99]
	s_delay_alu instid0(VALU_DEP_1) | instskip(SKIP_1) | instid1(VALU_DEP_2)
	v_fma_f64 v[96:97], v[144:145], v[152:153], -v[96:97]
	v_mul_f64 v[144:145], v[144:145], v[98:99]
	v_add_f64 v[88:89], v[88:89], -v[96:97]
	s_delay_alu instid0(VALU_DEP_2) | instskip(NEXT) | instid1(VALU_DEP_1)
	v_fma_f64 v[144:145], v[146:147], v[152:153], v[144:145]
	v_add_f64 v[90:91], v[90:91], -v[144:145]
	;; [unrolled: 10-line block ×21, first 2 shown]
	ds_load_2addr_b64 v[144:147], v154 offset0:70 offset1:71
	s_waitcnt lgkmcnt(0)
	v_mul_f64 v[96:97], v[146:147], v[98:99]
	s_delay_alu instid0(VALU_DEP_1) | instskip(SKIP_1) | instid1(VALU_DEP_2)
	v_fma_f64 v[96:97], v[144:145], v[152:153], -v[96:97]
	v_mul_f64 v[144:145], v[144:145], v[98:99]
	v_add_f64 v[0:1], v[0:1], -v[96:97]
	s_delay_alu instid0(VALU_DEP_2) | instskip(SKIP_1) | instid1(VALU_DEP_2)
	v_fma_f64 v[144:145], v[146:147], v[152:153], v[144:145]
	v_dual_mov_b32 v96, v152 :: v_dual_mov_b32 v97, v153
	v_add_f64 v[2:3], v[2:3], -v[144:145]
.LBB70_293:
	s_or_b32 exec_lo, exec_lo, s2
	v_lshl_add_u32 v144, v160, 4, v154
	s_barrier
	buffer_gl0_inv
	v_mov_b32_e32 v152, 14
	ds_store_2addr_b64 v144, v[92:93], v[94:95] offset1:1
	s_waitcnt lgkmcnt(0)
	s_barrier
	buffer_gl0_inv
	ds_load_2addr_b64 v[144:147], v154 offset0:28 offset1:29
	s_cmp_lt_i32 s5, 16
	s_cbranch_scc1 .LBB70_296
; %bb.294:
	v_add3_u32 v153, v159, 0, 0xf0
	v_mov_b32_e32 v152, 14
	s_mov_b32 s6, 15
	s_set_inst_prefetch_distance 0x1
	.p2align	6
.LBB70_295:                             ; =>This Inner Loop Header: Depth=1
	ds_load_2addr_b64 v[161:164], v153 offset1:1
	s_waitcnt lgkmcnt(1)
	v_cmp_gt_f64_e32 vcc_lo, 0, v[144:145]
	v_xor_b32_e32 v165, 0x80000000, v145
	v_cmp_gt_f64_e64 s2, 0, v[146:147]
	v_xor_b32_e32 v167, 0x80000000, v147
	v_add_nc_u32_e32 v153, 16, v153
	s_waitcnt lgkmcnt(0)
	v_cmp_gt_f64_e64 s3, 0, v[161:162]
	v_mov_b32_e32 v169, v161
	v_dual_mov_b32 v171, v163 :: v_dual_cndmask_b32 v166, v145, v165
	v_xor_b32_e32 v165, 0x80000000, v162
	v_cndmask_b32_e64 v168, v147, v167, s2
	v_xor_b32_e32 v167, 0x80000000, v164
	s_delay_alu instid0(VALU_DEP_3) | instskip(SKIP_2) | instid1(VALU_DEP_2)
	v_cndmask_b32_e64 v170, v162, v165, s3
	v_cmp_gt_f64_e64 s3, 0, v[163:164]
	v_cndmask_b32_e32 v165, v144, v144, vcc_lo
	v_cndmask_b32_e64 v172, v164, v167, s3
	v_cndmask_b32_e64 v167, v146, v146, s2
	s_delay_alu instid0(VALU_DEP_2) | instskip(NEXT) | instid1(VALU_DEP_2)
	v_add_f64 v[169:170], v[169:170], v[171:172]
	v_add_f64 v[165:166], v[165:166], v[167:168]
	s_delay_alu instid0(VALU_DEP_1) | instskip(SKIP_4) | instid1(SALU_CYCLE_1)
	v_cmp_lt_f64_e32 vcc_lo, v[165:166], v[169:170]
	v_dual_cndmask_b32 v146, v146, v163 :: v_dual_cndmask_b32 v145, v145, v162
	v_dual_cndmask_b32 v144, v144, v161 :: v_dual_cndmask_b32 v147, v147, v164
	v_cndmask_b32_e64 v152, v152, s6, vcc_lo
	s_add_i32 s6, s6, 1
	s_cmp_lg_u32 s5, s6
	s_cbranch_scc1 .LBB70_295
.LBB70_296:
	s_set_inst_prefetch_distance 0x2
	s_waitcnt lgkmcnt(0)
	v_cmp_eq_f64_e32 vcc_lo, 0, v[144:145]
	v_cmp_eq_f64_e64 s2, 0, v[146:147]
	s_delay_alu instid0(VALU_DEP_1) | instskip(NEXT) | instid1(SALU_CYCLE_1)
	s_and_b32 s2, vcc_lo, s2
	s_and_saveexec_b32 s3, s2
	s_delay_alu instid0(SALU_CYCLE_1)
	s_xor_b32 s2, exec_lo, s3
; %bb.297:
	v_cmp_ne_u32_e32 vcc_lo, 0, v157
	v_cndmask_b32_e32 v157, 15, v157, vcc_lo
; %bb.298:
	s_and_not1_saveexec_b32 s3, s2
	s_cbranch_execz .LBB70_304
; %bb.299:
	v_cmp_gt_f64_e32 vcc_lo, 0, v[144:145]
	v_cmp_gt_f64_e64 s2, 0, v[146:147]
	v_xor_b32_e32 v153, 0x80000000, v145
	v_xor_b32_e32 v161, 0x80000000, v147
	s_delay_alu instid0(VALU_DEP_2) | instskip(NEXT) | instid1(VALU_DEP_2)
	v_cndmask_b32_e32 v162, v145, v153, vcc_lo
	v_cndmask_b32_e64 v164, v147, v161, s2
	v_cndmask_b32_e32 v161, v144, v144, vcc_lo
	v_cndmask_b32_e64 v163, v146, v146, s2
	s_mov_b32 s2, exec_lo
	s_delay_alu instid0(VALU_DEP_1)
	v_cmpx_ngt_f64_e32 v[161:162], v[163:164]
	s_xor_b32 s2, exec_lo, s2
	s_cbranch_execz .LBB70_301
; %bb.300:
	v_div_scale_f64 v[161:162], null, v[146:147], v[146:147], v[144:145]
	v_div_scale_f64 v[167:168], vcc_lo, v[144:145], v[146:147], v[144:145]
	s_delay_alu instid0(VALU_DEP_2) | instskip(SKIP_2) | instid1(VALU_DEP_1)
	v_rcp_f64_e32 v[163:164], v[161:162]
	s_waitcnt_depctr 0xfff
	v_fma_f64 v[165:166], -v[161:162], v[163:164], 1.0
	v_fma_f64 v[163:164], v[163:164], v[165:166], v[163:164]
	s_delay_alu instid0(VALU_DEP_1) | instskip(NEXT) | instid1(VALU_DEP_1)
	v_fma_f64 v[165:166], -v[161:162], v[163:164], 1.0
	v_fma_f64 v[163:164], v[163:164], v[165:166], v[163:164]
	s_delay_alu instid0(VALU_DEP_1) | instskip(NEXT) | instid1(VALU_DEP_1)
	v_mul_f64 v[165:166], v[167:168], v[163:164]
	v_fma_f64 v[161:162], -v[161:162], v[165:166], v[167:168]
	s_delay_alu instid0(VALU_DEP_1) | instskip(NEXT) | instid1(VALU_DEP_1)
	v_div_fmas_f64 v[161:162], v[161:162], v[163:164], v[165:166]
	v_div_fixup_f64 v[161:162], v[161:162], v[146:147], v[144:145]
	s_delay_alu instid0(VALU_DEP_1) | instskip(NEXT) | instid1(VALU_DEP_1)
	v_fma_f64 v[144:145], v[144:145], v[161:162], v[146:147]
	v_div_scale_f64 v[146:147], null, v[144:145], v[144:145], 1.0
	s_delay_alu instid0(VALU_DEP_1) | instskip(SKIP_2) | instid1(VALU_DEP_1)
	v_rcp_f64_e32 v[163:164], v[146:147]
	s_waitcnt_depctr 0xfff
	v_fma_f64 v[165:166], -v[146:147], v[163:164], 1.0
	v_fma_f64 v[163:164], v[163:164], v[165:166], v[163:164]
	s_delay_alu instid0(VALU_DEP_1) | instskip(NEXT) | instid1(VALU_DEP_1)
	v_fma_f64 v[165:166], -v[146:147], v[163:164], 1.0
	v_fma_f64 v[163:164], v[163:164], v[165:166], v[163:164]
	v_div_scale_f64 v[165:166], vcc_lo, 1.0, v[144:145], 1.0
	s_delay_alu instid0(VALU_DEP_1) | instskip(NEXT) | instid1(VALU_DEP_1)
	v_mul_f64 v[167:168], v[165:166], v[163:164]
	v_fma_f64 v[146:147], -v[146:147], v[167:168], v[165:166]
	s_delay_alu instid0(VALU_DEP_1) | instskip(NEXT) | instid1(VALU_DEP_1)
	v_div_fmas_f64 v[146:147], v[146:147], v[163:164], v[167:168]
	v_div_fixup_f64 v[146:147], v[146:147], v[144:145], 1.0
	s_delay_alu instid0(VALU_DEP_1)
	v_mul_f64 v[144:145], v[161:162], v[146:147]
	v_xor_b32_e32 v147, 0x80000000, v147
.LBB70_301:
	s_and_not1_saveexec_b32 s2, s2
	s_cbranch_execz .LBB70_303
; %bb.302:
	s_delay_alu instid0(VALU_DEP_1) | instskip(SKIP_1) | instid1(VALU_DEP_2)
	v_div_scale_f64 v[161:162], null, v[144:145], v[144:145], v[146:147]
	v_div_scale_f64 v[167:168], vcc_lo, v[146:147], v[144:145], v[146:147]
	v_rcp_f64_e32 v[163:164], v[161:162]
	s_waitcnt_depctr 0xfff
	v_fma_f64 v[165:166], -v[161:162], v[163:164], 1.0
	s_delay_alu instid0(VALU_DEP_1) | instskip(NEXT) | instid1(VALU_DEP_1)
	v_fma_f64 v[163:164], v[163:164], v[165:166], v[163:164]
	v_fma_f64 v[165:166], -v[161:162], v[163:164], 1.0
	s_delay_alu instid0(VALU_DEP_1) | instskip(NEXT) | instid1(VALU_DEP_1)
	v_fma_f64 v[163:164], v[163:164], v[165:166], v[163:164]
	v_mul_f64 v[165:166], v[167:168], v[163:164]
	s_delay_alu instid0(VALU_DEP_1) | instskip(NEXT) | instid1(VALU_DEP_1)
	v_fma_f64 v[161:162], -v[161:162], v[165:166], v[167:168]
	v_div_fmas_f64 v[161:162], v[161:162], v[163:164], v[165:166]
	s_delay_alu instid0(VALU_DEP_1) | instskip(NEXT) | instid1(VALU_DEP_1)
	v_div_fixup_f64 v[161:162], v[161:162], v[144:145], v[146:147]
	v_fma_f64 v[144:145], v[146:147], v[161:162], v[144:145]
	s_delay_alu instid0(VALU_DEP_1) | instskip(NEXT) | instid1(VALU_DEP_1)
	v_div_scale_f64 v[146:147], null, v[144:145], v[144:145], 1.0
	v_rcp_f64_e32 v[163:164], v[146:147]
	s_waitcnt_depctr 0xfff
	v_fma_f64 v[165:166], -v[146:147], v[163:164], 1.0
	s_delay_alu instid0(VALU_DEP_1) | instskip(NEXT) | instid1(VALU_DEP_1)
	v_fma_f64 v[163:164], v[163:164], v[165:166], v[163:164]
	v_fma_f64 v[165:166], -v[146:147], v[163:164], 1.0
	s_delay_alu instid0(VALU_DEP_1) | instskip(SKIP_1) | instid1(VALU_DEP_1)
	v_fma_f64 v[163:164], v[163:164], v[165:166], v[163:164]
	v_div_scale_f64 v[165:166], vcc_lo, 1.0, v[144:145], 1.0
	v_mul_f64 v[167:168], v[165:166], v[163:164]
	s_delay_alu instid0(VALU_DEP_1) | instskip(NEXT) | instid1(VALU_DEP_1)
	v_fma_f64 v[146:147], -v[146:147], v[167:168], v[165:166]
	v_div_fmas_f64 v[146:147], v[146:147], v[163:164], v[167:168]
	s_delay_alu instid0(VALU_DEP_1) | instskip(NEXT) | instid1(VALU_DEP_1)
	v_div_fixup_f64 v[144:145], v[146:147], v[144:145], 1.0
	v_mul_f64 v[146:147], v[161:162], -v[144:145]
.LBB70_303:
	s_or_b32 exec_lo, exec_lo, s2
.LBB70_304:
	s_delay_alu instid0(SALU_CYCLE_1) | instskip(NEXT) | instid1(SALU_CYCLE_1)
	s_or_b32 exec_lo, exec_lo, s3
	s_mov_b32 s2, exec_lo
	v_cmpx_ne_u32_e64 v160, v152
	s_xor_b32 s2, exec_lo, s2
	s_cbranch_execz .LBB70_310
; %bb.305:
	s_mov_b32 s3, exec_lo
	v_cmpx_eq_u32_e32 14, v160
	s_cbranch_execz .LBB70_309
; %bb.306:
	v_cmp_ne_u32_e32 vcc_lo, 14, v152
	s_xor_b32 s6, s4, -1
	s_delay_alu instid0(SALU_CYCLE_1) | instskip(NEXT) | instid1(SALU_CYCLE_1)
	s_and_b32 s7, s6, vcc_lo
	s_and_saveexec_b32 s6, s7
	s_cbranch_execz .LBB70_308
; %bb.307:
	v_ashrrev_i32_e32 v153, 31, v152
	s_delay_alu instid0(VALU_DEP_1) | instskip(NEXT) | instid1(VALU_DEP_1)
	v_lshlrev_b64 v[160:161], 2, v[152:153]
	v_add_co_u32 v160, vcc_lo, v150, v160
	s_delay_alu instid0(VALU_DEP_2)
	v_add_co_ci_u32_e32 v161, vcc_lo, v151, v161, vcc_lo
	s_clause 0x1
	flat_load_b32 v153, v[160:161]
	flat_load_b32 v158, v[150:151] offset:56
	s_waitcnt vmcnt(1) lgkmcnt(1)
	flat_store_b32 v[150:151], v153 offset:56
	s_waitcnt vmcnt(0) lgkmcnt(1)
	flat_store_b32 v[160:161], v158
.LBB70_308:
	s_or_b32 exec_lo, exec_lo, s6
	v_mov_b32_e32 v160, v152
	v_mov_b32_e32 v158, v152
.LBB70_309:
	s_or_b32 exec_lo, exec_lo, s3
.LBB70_310:
	s_and_not1_saveexec_b32 s2, s2
	s_cbranch_execz .LBB70_312
; %bb.311:
	v_mov_b32_e32 v160, 14
	ds_store_2addr_b64 v154, v[88:89], v[90:91] offset0:30 offset1:31
	ds_store_2addr_b64 v154, v[84:85], v[86:87] offset0:32 offset1:33
	;; [unrolled: 1-line block ×21, first 2 shown]
.LBB70_312:
	s_or_b32 exec_lo, exec_lo, s2
	s_delay_alu instid0(SALU_CYCLE_1)
	s_mov_b32 s2, exec_lo
	s_waitcnt lgkmcnt(0)
	s_waitcnt_vscnt null, 0x0
	s_barrier
	buffer_gl0_inv
	v_cmpx_lt_i32_e32 14, v160
	s_cbranch_execz .LBB70_314
; %bb.313:
	v_mul_f64 v[152:153], v[146:147], v[94:95]
	v_mul_f64 v[94:95], v[144:145], v[94:95]
	s_delay_alu instid0(VALU_DEP_2) | instskip(NEXT) | instid1(VALU_DEP_2)
	v_fma_f64 v[152:153], v[144:145], v[92:93], -v[152:153]
	v_fma_f64 v[94:95], v[146:147], v[92:93], v[94:95]
	ds_load_2addr_b64 v[144:147], v154 offset0:30 offset1:31
	s_waitcnt lgkmcnt(0)
	v_mul_f64 v[92:93], v[146:147], v[94:95]
	s_delay_alu instid0(VALU_DEP_1) | instskip(SKIP_1) | instid1(VALU_DEP_2)
	v_fma_f64 v[92:93], v[144:145], v[152:153], -v[92:93]
	v_mul_f64 v[144:145], v[144:145], v[94:95]
	v_add_f64 v[88:89], v[88:89], -v[92:93]
	s_delay_alu instid0(VALU_DEP_2) | instskip(NEXT) | instid1(VALU_DEP_1)
	v_fma_f64 v[144:145], v[146:147], v[152:153], v[144:145]
	v_add_f64 v[90:91], v[90:91], -v[144:145]
	ds_load_2addr_b64 v[144:147], v154 offset0:32 offset1:33
	s_waitcnt lgkmcnt(0)
	v_mul_f64 v[92:93], v[146:147], v[94:95]
	s_delay_alu instid0(VALU_DEP_1) | instskip(SKIP_1) | instid1(VALU_DEP_2)
	v_fma_f64 v[92:93], v[144:145], v[152:153], -v[92:93]
	v_mul_f64 v[144:145], v[144:145], v[94:95]
	v_add_f64 v[84:85], v[84:85], -v[92:93]
	s_delay_alu instid0(VALU_DEP_2) | instskip(NEXT) | instid1(VALU_DEP_1)
	v_fma_f64 v[144:145], v[146:147], v[152:153], v[144:145]
	v_add_f64 v[86:87], v[86:87], -v[144:145]
	;; [unrolled: 10-line block ×20, first 2 shown]
	ds_load_2addr_b64 v[144:147], v154 offset0:70 offset1:71
	s_waitcnt lgkmcnt(0)
	v_mul_f64 v[92:93], v[146:147], v[94:95]
	s_delay_alu instid0(VALU_DEP_1) | instskip(SKIP_1) | instid1(VALU_DEP_2)
	v_fma_f64 v[92:93], v[144:145], v[152:153], -v[92:93]
	v_mul_f64 v[144:145], v[144:145], v[94:95]
	v_add_f64 v[0:1], v[0:1], -v[92:93]
	s_delay_alu instid0(VALU_DEP_2) | instskip(SKIP_1) | instid1(VALU_DEP_2)
	v_fma_f64 v[144:145], v[146:147], v[152:153], v[144:145]
	v_dual_mov_b32 v92, v152 :: v_dual_mov_b32 v93, v153
	v_add_f64 v[2:3], v[2:3], -v[144:145]
.LBB70_314:
	s_or_b32 exec_lo, exec_lo, s2
	v_lshl_add_u32 v144, v160, 4, v154
	s_barrier
	buffer_gl0_inv
	v_mov_b32_e32 v152, 15
	ds_store_2addr_b64 v144, v[88:89], v[90:91] offset1:1
	s_waitcnt lgkmcnt(0)
	s_barrier
	buffer_gl0_inv
	ds_load_2addr_b64 v[144:147], v154 offset0:30 offset1:31
	s_cmp_lt_i32 s5, 17
	s_cbranch_scc1 .LBB70_317
; %bb.315:
	v_add3_u32 v153, v159, 0, 0x100
	v_mov_b32_e32 v152, 15
	s_mov_b32 s6, 16
	s_set_inst_prefetch_distance 0x1
	.p2align	6
.LBB70_316:                             ; =>This Inner Loop Header: Depth=1
	ds_load_2addr_b64 v[161:164], v153 offset1:1
	s_waitcnt lgkmcnt(1)
	v_cmp_gt_f64_e32 vcc_lo, 0, v[144:145]
	v_xor_b32_e32 v165, 0x80000000, v145
	v_cmp_gt_f64_e64 s2, 0, v[146:147]
	v_xor_b32_e32 v167, 0x80000000, v147
	v_add_nc_u32_e32 v153, 16, v153
	s_waitcnt lgkmcnt(0)
	v_cmp_gt_f64_e64 s3, 0, v[161:162]
	v_mov_b32_e32 v169, v161
	v_dual_mov_b32 v171, v163 :: v_dual_cndmask_b32 v166, v145, v165
	v_xor_b32_e32 v165, 0x80000000, v162
	v_cndmask_b32_e64 v168, v147, v167, s2
	v_xor_b32_e32 v167, 0x80000000, v164
	s_delay_alu instid0(VALU_DEP_3) | instskip(SKIP_2) | instid1(VALU_DEP_2)
	v_cndmask_b32_e64 v170, v162, v165, s3
	v_cmp_gt_f64_e64 s3, 0, v[163:164]
	v_cndmask_b32_e32 v165, v144, v144, vcc_lo
	v_cndmask_b32_e64 v172, v164, v167, s3
	v_cndmask_b32_e64 v167, v146, v146, s2
	s_delay_alu instid0(VALU_DEP_2) | instskip(NEXT) | instid1(VALU_DEP_2)
	v_add_f64 v[169:170], v[169:170], v[171:172]
	v_add_f64 v[165:166], v[165:166], v[167:168]
	s_delay_alu instid0(VALU_DEP_1) | instskip(SKIP_4) | instid1(SALU_CYCLE_1)
	v_cmp_lt_f64_e32 vcc_lo, v[165:166], v[169:170]
	v_dual_cndmask_b32 v146, v146, v163 :: v_dual_cndmask_b32 v145, v145, v162
	v_dual_cndmask_b32 v144, v144, v161 :: v_dual_cndmask_b32 v147, v147, v164
	v_cndmask_b32_e64 v152, v152, s6, vcc_lo
	s_add_i32 s6, s6, 1
	s_cmp_lg_u32 s5, s6
	s_cbranch_scc1 .LBB70_316
.LBB70_317:
	s_set_inst_prefetch_distance 0x2
	s_waitcnt lgkmcnt(0)
	v_cmp_eq_f64_e32 vcc_lo, 0, v[144:145]
	v_cmp_eq_f64_e64 s2, 0, v[146:147]
	s_delay_alu instid0(VALU_DEP_1) | instskip(NEXT) | instid1(SALU_CYCLE_1)
	s_and_b32 s2, vcc_lo, s2
	s_and_saveexec_b32 s3, s2
	s_delay_alu instid0(SALU_CYCLE_1)
	s_xor_b32 s2, exec_lo, s3
; %bb.318:
	v_cmp_ne_u32_e32 vcc_lo, 0, v157
	v_cndmask_b32_e32 v157, 16, v157, vcc_lo
; %bb.319:
	s_and_not1_saveexec_b32 s3, s2
	s_cbranch_execz .LBB70_325
; %bb.320:
	v_cmp_gt_f64_e32 vcc_lo, 0, v[144:145]
	v_cmp_gt_f64_e64 s2, 0, v[146:147]
	v_xor_b32_e32 v153, 0x80000000, v145
	v_xor_b32_e32 v161, 0x80000000, v147
	s_delay_alu instid0(VALU_DEP_2) | instskip(NEXT) | instid1(VALU_DEP_2)
	v_cndmask_b32_e32 v162, v145, v153, vcc_lo
	v_cndmask_b32_e64 v164, v147, v161, s2
	v_cndmask_b32_e32 v161, v144, v144, vcc_lo
	v_cndmask_b32_e64 v163, v146, v146, s2
	s_mov_b32 s2, exec_lo
	s_delay_alu instid0(VALU_DEP_1)
	v_cmpx_ngt_f64_e32 v[161:162], v[163:164]
	s_xor_b32 s2, exec_lo, s2
	s_cbranch_execz .LBB70_322
; %bb.321:
	v_div_scale_f64 v[161:162], null, v[146:147], v[146:147], v[144:145]
	v_div_scale_f64 v[167:168], vcc_lo, v[144:145], v[146:147], v[144:145]
	s_delay_alu instid0(VALU_DEP_2) | instskip(SKIP_2) | instid1(VALU_DEP_1)
	v_rcp_f64_e32 v[163:164], v[161:162]
	s_waitcnt_depctr 0xfff
	v_fma_f64 v[165:166], -v[161:162], v[163:164], 1.0
	v_fma_f64 v[163:164], v[163:164], v[165:166], v[163:164]
	s_delay_alu instid0(VALU_DEP_1) | instskip(NEXT) | instid1(VALU_DEP_1)
	v_fma_f64 v[165:166], -v[161:162], v[163:164], 1.0
	v_fma_f64 v[163:164], v[163:164], v[165:166], v[163:164]
	s_delay_alu instid0(VALU_DEP_1) | instskip(NEXT) | instid1(VALU_DEP_1)
	v_mul_f64 v[165:166], v[167:168], v[163:164]
	v_fma_f64 v[161:162], -v[161:162], v[165:166], v[167:168]
	s_delay_alu instid0(VALU_DEP_1) | instskip(NEXT) | instid1(VALU_DEP_1)
	v_div_fmas_f64 v[161:162], v[161:162], v[163:164], v[165:166]
	v_div_fixup_f64 v[161:162], v[161:162], v[146:147], v[144:145]
	s_delay_alu instid0(VALU_DEP_1) | instskip(NEXT) | instid1(VALU_DEP_1)
	v_fma_f64 v[144:145], v[144:145], v[161:162], v[146:147]
	v_div_scale_f64 v[146:147], null, v[144:145], v[144:145], 1.0
	s_delay_alu instid0(VALU_DEP_1) | instskip(SKIP_2) | instid1(VALU_DEP_1)
	v_rcp_f64_e32 v[163:164], v[146:147]
	s_waitcnt_depctr 0xfff
	v_fma_f64 v[165:166], -v[146:147], v[163:164], 1.0
	v_fma_f64 v[163:164], v[163:164], v[165:166], v[163:164]
	s_delay_alu instid0(VALU_DEP_1) | instskip(NEXT) | instid1(VALU_DEP_1)
	v_fma_f64 v[165:166], -v[146:147], v[163:164], 1.0
	v_fma_f64 v[163:164], v[163:164], v[165:166], v[163:164]
	v_div_scale_f64 v[165:166], vcc_lo, 1.0, v[144:145], 1.0
	s_delay_alu instid0(VALU_DEP_1) | instskip(NEXT) | instid1(VALU_DEP_1)
	v_mul_f64 v[167:168], v[165:166], v[163:164]
	v_fma_f64 v[146:147], -v[146:147], v[167:168], v[165:166]
	s_delay_alu instid0(VALU_DEP_1) | instskip(NEXT) | instid1(VALU_DEP_1)
	v_div_fmas_f64 v[146:147], v[146:147], v[163:164], v[167:168]
	v_div_fixup_f64 v[146:147], v[146:147], v[144:145], 1.0
	s_delay_alu instid0(VALU_DEP_1)
	v_mul_f64 v[144:145], v[161:162], v[146:147]
	v_xor_b32_e32 v147, 0x80000000, v147
.LBB70_322:
	s_and_not1_saveexec_b32 s2, s2
	s_cbranch_execz .LBB70_324
; %bb.323:
	s_delay_alu instid0(VALU_DEP_1) | instskip(SKIP_1) | instid1(VALU_DEP_2)
	v_div_scale_f64 v[161:162], null, v[144:145], v[144:145], v[146:147]
	v_div_scale_f64 v[167:168], vcc_lo, v[146:147], v[144:145], v[146:147]
	v_rcp_f64_e32 v[163:164], v[161:162]
	s_waitcnt_depctr 0xfff
	v_fma_f64 v[165:166], -v[161:162], v[163:164], 1.0
	s_delay_alu instid0(VALU_DEP_1) | instskip(NEXT) | instid1(VALU_DEP_1)
	v_fma_f64 v[163:164], v[163:164], v[165:166], v[163:164]
	v_fma_f64 v[165:166], -v[161:162], v[163:164], 1.0
	s_delay_alu instid0(VALU_DEP_1) | instskip(NEXT) | instid1(VALU_DEP_1)
	v_fma_f64 v[163:164], v[163:164], v[165:166], v[163:164]
	v_mul_f64 v[165:166], v[167:168], v[163:164]
	s_delay_alu instid0(VALU_DEP_1) | instskip(NEXT) | instid1(VALU_DEP_1)
	v_fma_f64 v[161:162], -v[161:162], v[165:166], v[167:168]
	v_div_fmas_f64 v[161:162], v[161:162], v[163:164], v[165:166]
	s_delay_alu instid0(VALU_DEP_1) | instskip(NEXT) | instid1(VALU_DEP_1)
	v_div_fixup_f64 v[161:162], v[161:162], v[144:145], v[146:147]
	v_fma_f64 v[144:145], v[146:147], v[161:162], v[144:145]
	s_delay_alu instid0(VALU_DEP_1) | instskip(NEXT) | instid1(VALU_DEP_1)
	v_div_scale_f64 v[146:147], null, v[144:145], v[144:145], 1.0
	v_rcp_f64_e32 v[163:164], v[146:147]
	s_waitcnt_depctr 0xfff
	v_fma_f64 v[165:166], -v[146:147], v[163:164], 1.0
	s_delay_alu instid0(VALU_DEP_1) | instskip(NEXT) | instid1(VALU_DEP_1)
	v_fma_f64 v[163:164], v[163:164], v[165:166], v[163:164]
	v_fma_f64 v[165:166], -v[146:147], v[163:164], 1.0
	s_delay_alu instid0(VALU_DEP_1) | instskip(SKIP_1) | instid1(VALU_DEP_1)
	v_fma_f64 v[163:164], v[163:164], v[165:166], v[163:164]
	v_div_scale_f64 v[165:166], vcc_lo, 1.0, v[144:145], 1.0
	v_mul_f64 v[167:168], v[165:166], v[163:164]
	s_delay_alu instid0(VALU_DEP_1) | instskip(NEXT) | instid1(VALU_DEP_1)
	v_fma_f64 v[146:147], -v[146:147], v[167:168], v[165:166]
	v_div_fmas_f64 v[146:147], v[146:147], v[163:164], v[167:168]
	s_delay_alu instid0(VALU_DEP_1) | instskip(NEXT) | instid1(VALU_DEP_1)
	v_div_fixup_f64 v[144:145], v[146:147], v[144:145], 1.0
	v_mul_f64 v[146:147], v[161:162], -v[144:145]
.LBB70_324:
	s_or_b32 exec_lo, exec_lo, s2
.LBB70_325:
	s_delay_alu instid0(SALU_CYCLE_1) | instskip(NEXT) | instid1(SALU_CYCLE_1)
	s_or_b32 exec_lo, exec_lo, s3
	s_mov_b32 s2, exec_lo
	v_cmpx_ne_u32_e64 v160, v152
	s_xor_b32 s2, exec_lo, s2
	s_cbranch_execz .LBB70_331
; %bb.326:
	s_mov_b32 s3, exec_lo
	v_cmpx_eq_u32_e32 15, v160
	s_cbranch_execz .LBB70_330
; %bb.327:
	v_cmp_ne_u32_e32 vcc_lo, 15, v152
	s_xor_b32 s6, s4, -1
	s_delay_alu instid0(SALU_CYCLE_1) | instskip(NEXT) | instid1(SALU_CYCLE_1)
	s_and_b32 s7, s6, vcc_lo
	s_and_saveexec_b32 s6, s7
	s_cbranch_execz .LBB70_329
; %bb.328:
	v_ashrrev_i32_e32 v153, 31, v152
	s_delay_alu instid0(VALU_DEP_1) | instskip(NEXT) | instid1(VALU_DEP_1)
	v_lshlrev_b64 v[160:161], 2, v[152:153]
	v_add_co_u32 v160, vcc_lo, v150, v160
	s_delay_alu instid0(VALU_DEP_2)
	v_add_co_ci_u32_e32 v161, vcc_lo, v151, v161, vcc_lo
	s_clause 0x1
	flat_load_b32 v153, v[160:161]
	flat_load_b32 v158, v[150:151] offset:60
	s_waitcnt vmcnt(1) lgkmcnt(1)
	flat_store_b32 v[150:151], v153 offset:60
	s_waitcnt vmcnt(0) lgkmcnt(1)
	flat_store_b32 v[160:161], v158
.LBB70_329:
	s_or_b32 exec_lo, exec_lo, s6
	v_mov_b32_e32 v160, v152
	v_mov_b32_e32 v158, v152
.LBB70_330:
	s_or_b32 exec_lo, exec_lo, s3
.LBB70_331:
	s_and_not1_saveexec_b32 s2, s2
	s_cbranch_execz .LBB70_333
; %bb.332:
	v_mov_b32_e32 v160, 15
	ds_store_2addr_b64 v154, v[84:85], v[86:87] offset0:32 offset1:33
	ds_store_2addr_b64 v154, v[80:81], v[82:83] offset0:34 offset1:35
	;; [unrolled: 1-line block ×20, first 2 shown]
.LBB70_333:
	s_or_b32 exec_lo, exec_lo, s2
	s_delay_alu instid0(SALU_CYCLE_1)
	s_mov_b32 s2, exec_lo
	s_waitcnt lgkmcnt(0)
	s_waitcnt_vscnt null, 0x0
	s_barrier
	buffer_gl0_inv
	v_cmpx_lt_i32_e32 15, v160
	s_cbranch_execz .LBB70_335
; %bb.334:
	v_mul_f64 v[152:153], v[146:147], v[90:91]
	v_mul_f64 v[90:91], v[144:145], v[90:91]
	s_delay_alu instid0(VALU_DEP_2) | instskip(NEXT) | instid1(VALU_DEP_2)
	v_fma_f64 v[152:153], v[144:145], v[88:89], -v[152:153]
	v_fma_f64 v[90:91], v[146:147], v[88:89], v[90:91]
	ds_load_2addr_b64 v[144:147], v154 offset0:32 offset1:33
	s_waitcnt lgkmcnt(0)
	v_mul_f64 v[88:89], v[146:147], v[90:91]
	s_delay_alu instid0(VALU_DEP_1) | instskip(SKIP_1) | instid1(VALU_DEP_2)
	v_fma_f64 v[88:89], v[144:145], v[152:153], -v[88:89]
	v_mul_f64 v[144:145], v[144:145], v[90:91]
	v_add_f64 v[84:85], v[84:85], -v[88:89]
	s_delay_alu instid0(VALU_DEP_2) | instskip(NEXT) | instid1(VALU_DEP_1)
	v_fma_f64 v[144:145], v[146:147], v[152:153], v[144:145]
	v_add_f64 v[86:87], v[86:87], -v[144:145]
	ds_load_2addr_b64 v[144:147], v154 offset0:34 offset1:35
	s_waitcnt lgkmcnt(0)
	v_mul_f64 v[88:89], v[146:147], v[90:91]
	s_delay_alu instid0(VALU_DEP_1) | instskip(SKIP_1) | instid1(VALU_DEP_2)
	v_fma_f64 v[88:89], v[144:145], v[152:153], -v[88:89]
	v_mul_f64 v[144:145], v[144:145], v[90:91]
	v_add_f64 v[80:81], v[80:81], -v[88:89]
	s_delay_alu instid0(VALU_DEP_2) | instskip(NEXT) | instid1(VALU_DEP_1)
	v_fma_f64 v[144:145], v[146:147], v[152:153], v[144:145]
	v_add_f64 v[82:83], v[82:83], -v[144:145]
	;; [unrolled: 10-line block ×19, first 2 shown]
	ds_load_2addr_b64 v[144:147], v154 offset0:70 offset1:71
	s_waitcnt lgkmcnt(0)
	v_mul_f64 v[88:89], v[146:147], v[90:91]
	s_delay_alu instid0(VALU_DEP_1) | instskip(SKIP_1) | instid1(VALU_DEP_2)
	v_fma_f64 v[88:89], v[144:145], v[152:153], -v[88:89]
	v_mul_f64 v[144:145], v[144:145], v[90:91]
	v_add_f64 v[0:1], v[0:1], -v[88:89]
	s_delay_alu instid0(VALU_DEP_2) | instskip(SKIP_1) | instid1(VALU_DEP_2)
	v_fma_f64 v[144:145], v[146:147], v[152:153], v[144:145]
	v_dual_mov_b32 v88, v152 :: v_dual_mov_b32 v89, v153
	v_add_f64 v[2:3], v[2:3], -v[144:145]
.LBB70_335:
	s_or_b32 exec_lo, exec_lo, s2
	v_lshl_add_u32 v144, v160, 4, v154
	s_barrier
	buffer_gl0_inv
	v_mov_b32_e32 v152, 16
	ds_store_2addr_b64 v144, v[84:85], v[86:87] offset1:1
	s_waitcnt lgkmcnt(0)
	s_barrier
	buffer_gl0_inv
	ds_load_2addr_b64 v[144:147], v154 offset0:32 offset1:33
	s_cmp_lt_i32 s5, 18
	s_cbranch_scc1 .LBB70_338
; %bb.336:
	v_add3_u32 v153, v159, 0, 0x110
	v_mov_b32_e32 v152, 16
	s_mov_b32 s6, 17
	s_set_inst_prefetch_distance 0x1
	.p2align	6
.LBB70_337:                             ; =>This Inner Loop Header: Depth=1
	ds_load_2addr_b64 v[161:164], v153 offset1:1
	s_waitcnt lgkmcnt(1)
	v_cmp_gt_f64_e32 vcc_lo, 0, v[144:145]
	v_xor_b32_e32 v165, 0x80000000, v145
	v_cmp_gt_f64_e64 s2, 0, v[146:147]
	v_xor_b32_e32 v167, 0x80000000, v147
	v_add_nc_u32_e32 v153, 16, v153
	s_waitcnt lgkmcnt(0)
	v_cmp_gt_f64_e64 s3, 0, v[161:162]
	v_mov_b32_e32 v169, v161
	v_dual_mov_b32 v171, v163 :: v_dual_cndmask_b32 v166, v145, v165
	v_xor_b32_e32 v165, 0x80000000, v162
	v_cndmask_b32_e64 v168, v147, v167, s2
	v_xor_b32_e32 v167, 0x80000000, v164
	s_delay_alu instid0(VALU_DEP_3) | instskip(SKIP_2) | instid1(VALU_DEP_2)
	v_cndmask_b32_e64 v170, v162, v165, s3
	v_cmp_gt_f64_e64 s3, 0, v[163:164]
	v_cndmask_b32_e32 v165, v144, v144, vcc_lo
	v_cndmask_b32_e64 v172, v164, v167, s3
	v_cndmask_b32_e64 v167, v146, v146, s2
	s_delay_alu instid0(VALU_DEP_2) | instskip(NEXT) | instid1(VALU_DEP_2)
	v_add_f64 v[169:170], v[169:170], v[171:172]
	v_add_f64 v[165:166], v[165:166], v[167:168]
	s_delay_alu instid0(VALU_DEP_1) | instskip(SKIP_4) | instid1(SALU_CYCLE_1)
	v_cmp_lt_f64_e32 vcc_lo, v[165:166], v[169:170]
	v_dual_cndmask_b32 v146, v146, v163 :: v_dual_cndmask_b32 v145, v145, v162
	v_dual_cndmask_b32 v144, v144, v161 :: v_dual_cndmask_b32 v147, v147, v164
	v_cndmask_b32_e64 v152, v152, s6, vcc_lo
	s_add_i32 s6, s6, 1
	s_cmp_lg_u32 s5, s6
	s_cbranch_scc1 .LBB70_337
.LBB70_338:
	s_set_inst_prefetch_distance 0x2
	s_waitcnt lgkmcnt(0)
	v_cmp_eq_f64_e32 vcc_lo, 0, v[144:145]
	v_cmp_eq_f64_e64 s2, 0, v[146:147]
	s_delay_alu instid0(VALU_DEP_1) | instskip(NEXT) | instid1(SALU_CYCLE_1)
	s_and_b32 s2, vcc_lo, s2
	s_and_saveexec_b32 s3, s2
	s_delay_alu instid0(SALU_CYCLE_1)
	s_xor_b32 s2, exec_lo, s3
; %bb.339:
	v_cmp_ne_u32_e32 vcc_lo, 0, v157
	v_cndmask_b32_e32 v157, 17, v157, vcc_lo
; %bb.340:
	s_and_not1_saveexec_b32 s3, s2
	s_cbranch_execz .LBB70_346
; %bb.341:
	v_cmp_gt_f64_e32 vcc_lo, 0, v[144:145]
	v_cmp_gt_f64_e64 s2, 0, v[146:147]
	v_xor_b32_e32 v153, 0x80000000, v145
	v_xor_b32_e32 v161, 0x80000000, v147
	s_delay_alu instid0(VALU_DEP_2) | instskip(NEXT) | instid1(VALU_DEP_2)
	v_cndmask_b32_e32 v162, v145, v153, vcc_lo
	v_cndmask_b32_e64 v164, v147, v161, s2
	v_cndmask_b32_e32 v161, v144, v144, vcc_lo
	v_cndmask_b32_e64 v163, v146, v146, s2
	s_mov_b32 s2, exec_lo
	s_delay_alu instid0(VALU_DEP_1)
	v_cmpx_ngt_f64_e32 v[161:162], v[163:164]
	s_xor_b32 s2, exec_lo, s2
	s_cbranch_execz .LBB70_343
; %bb.342:
	v_div_scale_f64 v[161:162], null, v[146:147], v[146:147], v[144:145]
	v_div_scale_f64 v[167:168], vcc_lo, v[144:145], v[146:147], v[144:145]
	s_delay_alu instid0(VALU_DEP_2) | instskip(SKIP_2) | instid1(VALU_DEP_1)
	v_rcp_f64_e32 v[163:164], v[161:162]
	s_waitcnt_depctr 0xfff
	v_fma_f64 v[165:166], -v[161:162], v[163:164], 1.0
	v_fma_f64 v[163:164], v[163:164], v[165:166], v[163:164]
	s_delay_alu instid0(VALU_DEP_1) | instskip(NEXT) | instid1(VALU_DEP_1)
	v_fma_f64 v[165:166], -v[161:162], v[163:164], 1.0
	v_fma_f64 v[163:164], v[163:164], v[165:166], v[163:164]
	s_delay_alu instid0(VALU_DEP_1) | instskip(NEXT) | instid1(VALU_DEP_1)
	v_mul_f64 v[165:166], v[167:168], v[163:164]
	v_fma_f64 v[161:162], -v[161:162], v[165:166], v[167:168]
	s_delay_alu instid0(VALU_DEP_1) | instskip(NEXT) | instid1(VALU_DEP_1)
	v_div_fmas_f64 v[161:162], v[161:162], v[163:164], v[165:166]
	v_div_fixup_f64 v[161:162], v[161:162], v[146:147], v[144:145]
	s_delay_alu instid0(VALU_DEP_1) | instskip(NEXT) | instid1(VALU_DEP_1)
	v_fma_f64 v[144:145], v[144:145], v[161:162], v[146:147]
	v_div_scale_f64 v[146:147], null, v[144:145], v[144:145], 1.0
	s_delay_alu instid0(VALU_DEP_1) | instskip(SKIP_2) | instid1(VALU_DEP_1)
	v_rcp_f64_e32 v[163:164], v[146:147]
	s_waitcnt_depctr 0xfff
	v_fma_f64 v[165:166], -v[146:147], v[163:164], 1.0
	v_fma_f64 v[163:164], v[163:164], v[165:166], v[163:164]
	s_delay_alu instid0(VALU_DEP_1) | instskip(NEXT) | instid1(VALU_DEP_1)
	v_fma_f64 v[165:166], -v[146:147], v[163:164], 1.0
	v_fma_f64 v[163:164], v[163:164], v[165:166], v[163:164]
	v_div_scale_f64 v[165:166], vcc_lo, 1.0, v[144:145], 1.0
	s_delay_alu instid0(VALU_DEP_1) | instskip(NEXT) | instid1(VALU_DEP_1)
	v_mul_f64 v[167:168], v[165:166], v[163:164]
	v_fma_f64 v[146:147], -v[146:147], v[167:168], v[165:166]
	s_delay_alu instid0(VALU_DEP_1) | instskip(NEXT) | instid1(VALU_DEP_1)
	v_div_fmas_f64 v[146:147], v[146:147], v[163:164], v[167:168]
	v_div_fixup_f64 v[146:147], v[146:147], v[144:145], 1.0
	s_delay_alu instid0(VALU_DEP_1)
	v_mul_f64 v[144:145], v[161:162], v[146:147]
	v_xor_b32_e32 v147, 0x80000000, v147
.LBB70_343:
	s_and_not1_saveexec_b32 s2, s2
	s_cbranch_execz .LBB70_345
; %bb.344:
	s_delay_alu instid0(VALU_DEP_1) | instskip(SKIP_1) | instid1(VALU_DEP_2)
	v_div_scale_f64 v[161:162], null, v[144:145], v[144:145], v[146:147]
	v_div_scale_f64 v[167:168], vcc_lo, v[146:147], v[144:145], v[146:147]
	v_rcp_f64_e32 v[163:164], v[161:162]
	s_waitcnt_depctr 0xfff
	v_fma_f64 v[165:166], -v[161:162], v[163:164], 1.0
	s_delay_alu instid0(VALU_DEP_1) | instskip(NEXT) | instid1(VALU_DEP_1)
	v_fma_f64 v[163:164], v[163:164], v[165:166], v[163:164]
	v_fma_f64 v[165:166], -v[161:162], v[163:164], 1.0
	s_delay_alu instid0(VALU_DEP_1) | instskip(NEXT) | instid1(VALU_DEP_1)
	v_fma_f64 v[163:164], v[163:164], v[165:166], v[163:164]
	v_mul_f64 v[165:166], v[167:168], v[163:164]
	s_delay_alu instid0(VALU_DEP_1) | instskip(NEXT) | instid1(VALU_DEP_1)
	v_fma_f64 v[161:162], -v[161:162], v[165:166], v[167:168]
	v_div_fmas_f64 v[161:162], v[161:162], v[163:164], v[165:166]
	s_delay_alu instid0(VALU_DEP_1) | instskip(NEXT) | instid1(VALU_DEP_1)
	v_div_fixup_f64 v[161:162], v[161:162], v[144:145], v[146:147]
	v_fma_f64 v[144:145], v[146:147], v[161:162], v[144:145]
	s_delay_alu instid0(VALU_DEP_1) | instskip(NEXT) | instid1(VALU_DEP_1)
	v_div_scale_f64 v[146:147], null, v[144:145], v[144:145], 1.0
	v_rcp_f64_e32 v[163:164], v[146:147]
	s_waitcnt_depctr 0xfff
	v_fma_f64 v[165:166], -v[146:147], v[163:164], 1.0
	s_delay_alu instid0(VALU_DEP_1) | instskip(NEXT) | instid1(VALU_DEP_1)
	v_fma_f64 v[163:164], v[163:164], v[165:166], v[163:164]
	v_fma_f64 v[165:166], -v[146:147], v[163:164], 1.0
	s_delay_alu instid0(VALU_DEP_1) | instskip(SKIP_1) | instid1(VALU_DEP_1)
	v_fma_f64 v[163:164], v[163:164], v[165:166], v[163:164]
	v_div_scale_f64 v[165:166], vcc_lo, 1.0, v[144:145], 1.0
	v_mul_f64 v[167:168], v[165:166], v[163:164]
	s_delay_alu instid0(VALU_DEP_1) | instskip(NEXT) | instid1(VALU_DEP_1)
	v_fma_f64 v[146:147], -v[146:147], v[167:168], v[165:166]
	v_div_fmas_f64 v[146:147], v[146:147], v[163:164], v[167:168]
	s_delay_alu instid0(VALU_DEP_1) | instskip(NEXT) | instid1(VALU_DEP_1)
	v_div_fixup_f64 v[144:145], v[146:147], v[144:145], 1.0
	v_mul_f64 v[146:147], v[161:162], -v[144:145]
.LBB70_345:
	s_or_b32 exec_lo, exec_lo, s2
.LBB70_346:
	s_delay_alu instid0(SALU_CYCLE_1) | instskip(NEXT) | instid1(SALU_CYCLE_1)
	s_or_b32 exec_lo, exec_lo, s3
	s_mov_b32 s2, exec_lo
	v_cmpx_ne_u32_e64 v160, v152
	s_xor_b32 s2, exec_lo, s2
	s_cbranch_execz .LBB70_352
; %bb.347:
	s_mov_b32 s3, exec_lo
	v_cmpx_eq_u32_e32 16, v160
	s_cbranch_execz .LBB70_351
; %bb.348:
	v_cmp_ne_u32_e32 vcc_lo, 16, v152
	s_xor_b32 s6, s4, -1
	s_delay_alu instid0(SALU_CYCLE_1) | instskip(NEXT) | instid1(SALU_CYCLE_1)
	s_and_b32 s7, s6, vcc_lo
	s_and_saveexec_b32 s6, s7
	s_cbranch_execz .LBB70_350
; %bb.349:
	v_ashrrev_i32_e32 v153, 31, v152
	s_delay_alu instid0(VALU_DEP_1) | instskip(NEXT) | instid1(VALU_DEP_1)
	v_lshlrev_b64 v[160:161], 2, v[152:153]
	v_add_co_u32 v160, vcc_lo, v150, v160
	s_delay_alu instid0(VALU_DEP_2)
	v_add_co_ci_u32_e32 v161, vcc_lo, v151, v161, vcc_lo
	s_clause 0x1
	flat_load_b32 v153, v[160:161]
	flat_load_b32 v158, v[150:151] offset:64
	s_waitcnt vmcnt(1) lgkmcnt(1)
	flat_store_b32 v[150:151], v153 offset:64
	s_waitcnt vmcnt(0) lgkmcnt(1)
	flat_store_b32 v[160:161], v158
.LBB70_350:
	s_or_b32 exec_lo, exec_lo, s6
	v_mov_b32_e32 v160, v152
	v_mov_b32_e32 v158, v152
.LBB70_351:
	s_or_b32 exec_lo, exec_lo, s3
.LBB70_352:
	s_and_not1_saveexec_b32 s2, s2
	s_cbranch_execz .LBB70_354
; %bb.353:
	v_mov_b32_e32 v160, 16
	ds_store_2addr_b64 v154, v[80:81], v[82:83] offset0:34 offset1:35
	ds_store_2addr_b64 v154, v[76:77], v[78:79] offset0:36 offset1:37
	;; [unrolled: 1-line block ×19, first 2 shown]
.LBB70_354:
	s_or_b32 exec_lo, exec_lo, s2
	s_delay_alu instid0(SALU_CYCLE_1)
	s_mov_b32 s2, exec_lo
	s_waitcnt lgkmcnt(0)
	s_waitcnt_vscnt null, 0x0
	s_barrier
	buffer_gl0_inv
	v_cmpx_lt_i32_e32 16, v160
	s_cbranch_execz .LBB70_356
; %bb.355:
	v_mul_f64 v[152:153], v[146:147], v[86:87]
	v_mul_f64 v[86:87], v[144:145], v[86:87]
	s_delay_alu instid0(VALU_DEP_2) | instskip(NEXT) | instid1(VALU_DEP_2)
	v_fma_f64 v[152:153], v[144:145], v[84:85], -v[152:153]
	v_fma_f64 v[86:87], v[146:147], v[84:85], v[86:87]
	ds_load_2addr_b64 v[144:147], v154 offset0:34 offset1:35
	s_waitcnt lgkmcnt(0)
	v_mul_f64 v[84:85], v[146:147], v[86:87]
	s_delay_alu instid0(VALU_DEP_1) | instskip(SKIP_1) | instid1(VALU_DEP_2)
	v_fma_f64 v[84:85], v[144:145], v[152:153], -v[84:85]
	v_mul_f64 v[144:145], v[144:145], v[86:87]
	v_add_f64 v[80:81], v[80:81], -v[84:85]
	s_delay_alu instid0(VALU_DEP_2) | instskip(NEXT) | instid1(VALU_DEP_1)
	v_fma_f64 v[144:145], v[146:147], v[152:153], v[144:145]
	v_add_f64 v[82:83], v[82:83], -v[144:145]
	ds_load_2addr_b64 v[144:147], v154 offset0:36 offset1:37
	s_waitcnt lgkmcnt(0)
	v_mul_f64 v[84:85], v[146:147], v[86:87]
	s_delay_alu instid0(VALU_DEP_1) | instskip(SKIP_1) | instid1(VALU_DEP_2)
	v_fma_f64 v[84:85], v[144:145], v[152:153], -v[84:85]
	v_mul_f64 v[144:145], v[144:145], v[86:87]
	v_add_f64 v[76:77], v[76:77], -v[84:85]
	s_delay_alu instid0(VALU_DEP_2) | instskip(NEXT) | instid1(VALU_DEP_1)
	v_fma_f64 v[144:145], v[146:147], v[152:153], v[144:145]
	v_add_f64 v[78:79], v[78:79], -v[144:145]
	;; [unrolled: 10-line block ×18, first 2 shown]
	ds_load_2addr_b64 v[144:147], v154 offset0:70 offset1:71
	s_waitcnt lgkmcnt(0)
	v_mul_f64 v[84:85], v[146:147], v[86:87]
	s_delay_alu instid0(VALU_DEP_1) | instskip(SKIP_1) | instid1(VALU_DEP_2)
	v_fma_f64 v[84:85], v[144:145], v[152:153], -v[84:85]
	v_mul_f64 v[144:145], v[144:145], v[86:87]
	v_add_f64 v[0:1], v[0:1], -v[84:85]
	s_delay_alu instid0(VALU_DEP_2) | instskip(SKIP_1) | instid1(VALU_DEP_2)
	v_fma_f64 v[144:145], v[146:147], v[152:153], v[144:145]
	v_dual_mov_b32 v84, v152 :: v_dual_mov_b32 v85, v153
	v_add_f64 v[2:3], v[2:3], -v[144:145]
.LBB70_356:
	s_or_b32 exec_lo, exec_lo, s2
	v_lshl_add_u32 v144, v160, 4, v154
	s_barrier
	buffer_gl0_inv
	v_mov_b32_e32 v152, 17
	ds_store_2addr_b64 v144, v[80:81], v[82:83] offset1:1
	s_waitcnt lgkmcnt(0)
	s_barrier
	buffer_gl0_inv
	ds_load_2addr_b64 v[144:147], v154 offset0:34 offset1:35
	s_cmp_lt_i32 s5, 19
	s_cbranch_scc1 .LBB70_359
; %bb.357:
	v_add3_u32 v153, v159, 0, 0x120
	v_mov_b32_e32 v152, 17
	s_mov_b32 s6, 18
	s_set_inst_prefetch_distance 0x1
	.p2align	6
.LBB70_358:                             ; =>This Inner Loop Header: Depth=1
	ds_load_2addr_b64 v[161:164], v153 offset1:1
	s_waitcnt lgkmcnt(1)
	v_cmp_gt_f64_e32 vcc_lo, 0, v[144:145]
	v_xor_b32_e32 v165, 0x80000000, v145
	v_cmp_gt_f64_e64 s2, 0, v[146:147]
	v_xor_b32_e32 v167, 0x80000000, v147
	v_add_nc_u32_e32 v153, 16, v153
	s_waitcnt lgkmcnt(0)
	v_cmp_gt_f64_e64 s3, 0, v[161:162]
	v_mov_b32_e32 v169, v161
	v_dual_mov_b32 v171, v163 :: v_dual_cndmask_b32 v166, v145, v165
	v_xor_b32_e32 v165, 0x80000000, v162
	v_cndmask_b32_e64 v168, v147, v167, s2
	v_xor_b32_e32 v167, 0x80000000, v164
	s_delay_alu instid0(VALU_DEP_3) | instskip(SKIP_2) | instid1(VALU_DEP_2)
	v_cndmask_b32_e64 v170, v162, v165, s3
	v_cmp_gt_f64_e64 s3, 0, v[163:164]
	v_cndmask_b32_e32 v165, v144, v144, vcc_lo
	v_cndmask_b32_e64 v172, v164, v167, s3
	v_cndmask_b32_e64 v167, v146, v146, s2
	s_delay_alu instid0(VALU_DEP_2) | instskip(NEXT) | instid1(VALU_DEP_2)
	v_add_f64 v[169:170], v[169:170], v[171:172]
	v_add_f64 v[165:166], v[165:166], v[167:168]
	s_delay_alu instid0(VALU_DEP_1) | instskip(SKIP_4) | instid1(SALU_CYCLE_1)
	v_cmp_lt_f64_e32 vcc_lo, v[165:166], v[169:170]
	v_dual_cndmask_b32 v146, v146, v163 :: v_dual_cndmask_b32 v145, v145, v162
	v_dual_cndmask_b32 v144, v144, v161 :: v_dual_cndmask_b32 v147, v147, v164
	v_cndmask_b32_e64 v152, v152, s6, vcc_lo
	s_add_i32 s6, s6, 1
	s_cmp_lg_u32 s5, s6
	s_cbranch_scc1 .LBB70_358
.LBB70_359:
	s_set_inst_prefetch_distance 0x2
	s_waitcnt lgkmcnt(0)
	v_cmp_eq_f64_e32 vcc_lo, 0, v[144:145]
	v_cmp_eq_f64_e64 s2, 0, v[146:147]
	s_delay_alu instid0(VALU_DEP_1) | instskip(NEXT) | instid1(SALU_CYCLE_1)
	s_and_b32 s2, vcc_lo, s2
	s_and_saveexec_b32 s3, s2
	s_delay_alu instid0(SALU_CYCLE_1)
	s_xor_b32 s2, exec_lo, s3
; %bb.360:
	v_cmp_ne_u32_e32 vcc_lo, 0, v157
	v_cndmask_b32_e32 v157, 18, v157, vcc_lo
; %bb.361:
	s_and_not1_saveexec_b32 s3, s2
	s_cbranch_execz .LBB70_367
; %bb.362:
	v_cmp_gt_f64_e32 vcc_lo, 0, v[144:145]
	v_cmp_gt_f64_e64 s2, 0, v[146:147]
	v_xor_b32_e32 v153, 0x80000000, v145
	v_xor_b32_e32 v161, 0x80000000, v147
	s_delay_alu instid0(VALU_DEP_2) | instskip(NEXT) | instid1(VALU_DEP_2)
	v_cndmask_b32_e32 v162, v145, v153, vcc_lo
	v_cndmask_b32_e64 v164, v147, v161, s2
	v_cndmask_b32_e32 v161, v144, v144, vcc_lo
	v_cndmask_b32_e64 v163, v146, v146, s2
	s_mov_b32 s2, exec_lo
	s_delay_alu instid0(VALU_DEP_1)
	v_cmpx_ngt_f64_e32 v[161:162], v[163:164]
	s_xor_b32 s2, exec_lo, s2
	s_cbranch_execz .LBB70_364
; %bb.363:
	v_div_scale_f64 v[161:162], null, v[146:147], v[146:147], v[144:145]
	v_div_scale_f64 v[167:168], vcc_lo, v[144:145], v[146:147], v[144:145]
	s_delay_alu instid0(VALU_DEP_2) | instskip(SKIP_2) | instid1(VALU_DEP_1)
	v_rcp_f64_e32 v[163:164], v[161:162]
	s_waitcnt_depctr 0xfff
	v_fma_f64 v[165:166], -v[161:162], v[163:164], 1.0
	v_fma_f64 v[163:164], v[163:164], v[165:166], v[163:164]
	s_delay_alu instid0(VALU_DEP_1) | instskip(NEXT) | instid1(VALU_DEP_1)
	v_fma_f64 v[165:166], -v[161:162], v[163:164], 1.0
	v_fma_f64 v[163:164], v[163:164], v[165:166], v[163:164]
	s_delay_alu instid0(VALU_DEP_1) | instskip(NEXT) | instid1(VALU_DEP_1)
	v_mul_f64 v[165:166], v[167:168], v[163:164]
	v_fma_f64 v[161:162], -v[161:162], v[165:166], v[167:168]
	s_delay_alu instid0(VALU_DEP_1) | instskip(NEXT) | instid1(VALU_DEP_1)
	v_div_fmas_f64 v[161:162], v[161:162], v[163:164], v[165:166]
	v_div_fixup_f64 v[161:162], v[161:162], v[146:147], v[144:145]
	s_delay_alu instid0(VALU_DEP_1) | instskip(NEXT) | instid1(VALU_DEP_1)
	v_fma_f64 v[144:145], v[144:145], v[161:162], v[146:147]
	v_div_scale_f64 v[146:147], null, v[144:145], v[144:145], 1.0
	s_delay_alu instid0(VALU_DEP_1) | instskip(SKIP_2) | instid1(VALU_DEP_1)
	v_rcp_f64_e32 v[163:164], v[146:147]
	s_waitcnt_depctr 0xfff
	v_fma_f64 v[165:166], -v[146:147], v[163:164], 1.0
	v_fma_f64 v[163:164], v[163:164], v[165:166], v[163:164]
	s_delay_alu instid0(VALU_DEP_1) | instskip(NEXT) | instid1(VALU_DEP_1)
	v_fma_f64 v[165:166], -v[146:147], v[163:164], 1.0
	v_fma_f64 v[163:164], v[163:164], v[165:166], v[163:164]
	v_div_scale_f64 v[165:166], vcc_lo, 1.0, v[144:145], 1.0
	s_delay_alu instid0(VALU_DEP_1) | instskip(NEXT) | instid1(VALU_DEP_1)
	v_mul_f64 v[167:168], v[165:166], v[163:164]
	v_fma_f64 v[146:147], -v[146:147], v[167:168], v[165:166]
	s_delay_alu instid0(VALU_DEP_1) | instskip(NEXT) | instid1(VALU_DEP_1)
	v_div_fmas_f64 v[146:147], v[146:147], v[163:164], v[167:168]
	v_div_fixup_f64 v[146:147], v[146:147], v[144:145], 1.0
	s_delay_alu instid0(VALU_DEP_1)
	v_mul_f64 v[144:145], v[161:162], v[146:147]
	v_xor_b32_e32 v147, 0x80000000, v147
.LBB70_364:
	s_and_not1_saveexec_b32 s2, s2
	s_cbranch_execz .LBB70_366
; %bb.365:
	s_delay_alu instid0(VALU_DEP_1) | instskip(SKIP_1) | instid1(VALU_DEP_2)
	v_div_scale_f64 v[161:162], null, v[144:145], v[144:145], v[146:147]
	v_div_scale_f64 v[167:168], vcc_lo, v[146:147], v[144:145], v[146:147]
	v_rcp_f64_e32 v[163:164], v[161:162]
	s_waitcnt_depctr 0xfff
	v_fma_f64 v[165:166], -v[161:162], v[163:164], 1.0
	s_delay_alu instid0(VALU_DEP_1) | instskip(NEXT) | instid1(VALU_DEP_1)
	v_fma_f64 v[163:164], v[163:164], v[165:166], v[163:164]
	v_fma_f64 v[165:166], -v[161:162], v[163:164], 1.0
	s_delay_alu instid0(VALU_DEP_1) | instskip(NEXT) | instid1(VALU_DEP_1)
	v_fma_f64 v[163:164], v[163:164], v[165:166], v[163:164]
	v_mul_f64 v[165:166], v[167:168], v[163:164]
	s_delay_alu instid0(VALU_DEP_1) | instskip(NEXT) | instid1(VALU_DEP_1)
	v_fma_f64 v[161:162], -v[161:162], v[165:166], v[167:168]
	v_div_fmas_f64 v[161:162], v[161:162], v[163:164], v[165:166]
	s_delay_alu instid0(VALU_DEP_1) | instskip(NEXT) | instid1(VALU_DEP_1)
	v_div_fixup_f64 v[161:162], v[161:162], v[144:145], v[146:147]
	v_fma_f64 v[144:145], v[146:147], v[161:162], v[144:145]
	s_delay_alu instid0(VALU_DEP_1) | instskip(NEXT) | instid1(VALU_DEP_1)
	v_div_scale_f64 v[146:147], null, v[144:145], v[144:145], 1.0
	v_rcp_f64_e32 v[163:164], v[146:147]
	s_waitcnt_depctr 0xfff
	v_fma_f64 v[165:166], -v[146:147], v[163:164], 1.0
	s_delay_alu instid0(VALU_DEP_1) | instskip(NEXT) | instid1(VALU_DEP_1)
	v_fma_f64 v[163:164], v[163:164], v[165:166], v[163:164]
	v_fma_f64 v[165:166], -v[146:147], v[163:164], 1.0
	s_delay_alu instid0(VALU_DEP_1) | instskip(SKIP_1) | instid1(VALU_DEP_1)
	v_fma_f64 v[163:164], v[163:164], v[165:166], v[163:164]
	v_div_scale_f64 v[165:166], vcc_lo, 1.0, v[144:145], 1.0
	v_mul_f64 v[167:168], v[165:166], v[163:164]
	s_delay_alu instid0(VALU_DEP_1) | instskip(NEXT) | instid1(VALU_DEP_1)
	v_fma_f64 v[146:147], -v[146:147], v[167:168], v[165:166]
	v_div_fmas_f64 v[146:147], v[146:147], v[163:164], v[167:168]
	s_delay_alu instid0(VALU_DEP_1) | instskip(NEXT) | instid1(VALU_DEP_1)
	v_div_fixup_f64 v[144:145], v[146:147], v[144:145], 1.0
	v_mul_f64 v[146:147], v[161:162], -v[144:145]
.LBB70_366:
	s_or_b32 exec_lo, exec_lo, s2
.LBB70_367:
	s_delay_alu instid0(SALU_CYCLE_1) | instskip(NEXT) | instid1(SALU_CYCLE_1)
	s_or_b32 exec_lo, exec_lo, s3
	s_mov_b32 s2, exec_lo
	v_cmpx_ne_u32_e64 v160, v152
	s_xor_b32 s2, exec_lo, s2
	s_cbranch_execz .LBB70_373
; %bb.368:
	s_mov_b32 s3, exec_lo
	v_cmpx_eq_u32_e32 17, v160
	s_cbranch_execz .LBB70_372
; %bb.369:
	v_cmp_ne_u32_e32 vcc_lo, 17, v152
	s_xor_b32 s6, s4, -1
	s_delay_alu instid0(SALU_CYCLE_1) | instskip(NEXT) | instid1(SALU_CYCLE_1)
	s_and_b32 s7, s6, vcc_lo
	s_and_saveexec_b32 s6, s7
	s_cbranch_execz .LBB70_371
; %bb.370:
	v_ashrrev_i32_e32 v153, 31, v152
	s_delay_alu instid0(VALU_DEP_1) | instskip(NEXT) | instid1(VALU_DEP_1)
	v_lshlrev_b64 v[160:161], 2, v[152:153]
	v_add_co_u32 v160, vcc_lo, v150, v160
	s_delay_alu instid0(VALU_DEP_2)
	v_add_co_ci_u32_e32 v161, vcc_lo, v151, v161, vcc_lo
	s_clause 0x1
	flat_load_b32 v153, v[160:161]
	flat_load_b32 v158, v[150:151] offset:68
	s_waitcnt vmcnt(1) lgkmcnt(1)
	flat_store_b32 v[150:151], v153 offset:68
	s_waitcnt vmcnt(0) lgkmcnt(1)
	flat_store_b32 v[160:161], v158
.LBB70_371:
	s_or_b32 exec_lo, exec_lo, s6
	v_mov_b32_e32 v160, v152
	v_mov_b32_e32 v158, v152
.LBB70_372:
	s_or_b32 exec_lo, exec_lo, s3
.LBB70_373:
	s_and_not1_saveexec_b32 s2, s2
	s_cbranch_execz .LBB70_375
; %bb.374:
	v_mov_b32_e32 v160, 17
	ds_store_2addr_b64 v154, v[76:77], v[78:79] offset0:36 offset1:37
	ds_store_2addr_b64 v154, v[72:73], v[74:75] offset0:38 offset1:39
	;; [unrolled: 1-line block ×18, first 2 shown]
.LBB70_375:
	s_or_b32 exec_lo, exec_lo, s2
	s_delay_alu instid0(SALU_CYCLE_1)
	s_mov_b32 s2, exec_lo
	s_waitcnt lgkmcnt(0)
	s_waitcnt_vscnt null, 0x0
	s_barrier
	buffer_gl0_inv
	v_cmpx_lt_i32_e32 17, v160
	s_cbranch_execz .LBB70_377
; %bb.376:
	v_mul_f64 v[152:153], v[146:147], v[82:83]
	v_mul_f64 v[82:83], v[144:145], v[82:83]
	s_delay_alu instid0(VALU_DEP_2) | instskip(NEXT) | instid1(VALU_DEP_2)
	v_fma_f64 v[152:153], v[144:145], v[80:81], -v[152:153]
	v_fma_f64 v[82:83], v[146:147], v[80:81], v[82:83]
	ds_load_2addr_b64 v[144:147], v154 offset0:36 offset1:37
	s_waitcnt lgkmcnt(0)
	v_mul_f64 v[80:81], v[146:147], v[82:83]
	s_delay_alu instid0(VALU_DEP_1) | instskip(SKIP_1) | instid1(VALU_DEP_2)
	v_fma_f64 v[80:81], v[144:145], v[152:153], -v[80:81]
	v_mul_f64 v[144:145], v[144:145], v[82:83]
	v_add_f64 v[76:77], v[76:77], -v[80:81]
	s_delay_alu instid0(VALU_DEP_2) | instskip(NEXT) | instid1(VALU_DEP_1)
	v_fma_f64 v[144:145], v[146:147], v[152:153], v[144:145]
	v_add_f64 v[78:79], v[78:79], -v[144:145]
	ds_load_2addr_b64 v[144:147], v154 offset0:38 offset1:39
	s_waitcnt lgkmcnt(0)
	v_mul_f64 v[80:81], v[146:147], v[82:83]
	s_delay_alu instid0(VALU_DEP_1) | instskip(SKIP_1) | instid1(VALU_DEP_2)
	v_fma_f64 v[80:81], v[144:145], v[152:153], -v[80:81]
	v_mul_f64 v[144:145], v[144:145], v[82:83]
	v_add_f64 v[72:73], v[72:73], -v[80:81]
	s_delay_alu instid0(VALU_DEP_2) | instskip(NEXT) | instid1(VALU_DEP_1)
	v_fma_f64 v[144:145], v[146:147], v[152:153], v[144:145]
	v_add_f64 v[74:75], v[74:75], -v[144:145]
	;; [unrolled: 10-line block ×17, first 2 shown]
	ds_load_2addr_b64 v[144:147], v154 offset0:70 offset1:71
	s_waitcnt lgkmcnt(0)
	v_mul_f64 v[80:81], v[146:147], v[82:83]
	s_delay_alu instid0(VALU_DEP_1) | instskip(SKIP_1) | instid1(VALU_DEP_2)
	v_fma_f64 v[80:81], v[144:145], v[152:153], -v[80:81]
	v_mul_f64 v[144:145], v[144:145], v[82:83]
	v_add_f64 v[0:1], v[0:1], -v[80:81]
	s_delay_alu instid0(VALU_DEP_2) | instskip(SKIP_1) | instid1(VALU_DEP_2)
	v_fma_f64 v[144:145], v[146:147], v[152:153], v[144:145]
	v_dual_mov_b32 v80, v152 :: v_dual_mov_b32 v81, v153
	v_add_f64 v[2:3], v[2:3], -v[144:145]
.LBB70_377:
	s_or_b32 exec_lo, exec_lo, s2
	v_lshl_add_u32 v144, v160, 4, v154
	s_barrier
	buffer_gl0_inv
	v_mov_b32_e32 v152, 18
	ds_store_2addr_b64 v144, v[76:77], v[78:79] offset1:1
	s_waitcnt lgkmcnt(0)
	s_barrier
	buffer_gl0_inv
	ds_load_2addr_b64 v[144:147], v154 offset0:36 offset1:37
	s_cmp_lt_i32 s5, 20
	s_cbranch_scc1 .LBB70_380
; %bb.378:
	v_add3_u32 v153, v159, 0, 0x130
	v_mov_b32_e32 v152, 18
	s_mov_b32 s6, 19
	s_set_inst_prefetch_distance 0x1
	.p2align	6
.LBB70_379:                             ; =>This Inner Loop Header: Depth=1
	ds_load_2addr_b64 v[161:164], v153 offset1:1
	s_waitcnt lgkmcnt(1)
	v_cmp_gt_f64_e32 vcc_lo, 0, v[144:145]
	v_xor_b32_e32 v165, 0x80000000, v145
	v_cmp_gt_f64_e64 s2, 0, v[146:147]
	v_xor_b32_e32 v167, 0x80000000, v147
	v_add_nc_u32_e32 v153, 16, v153
	s_waitcnt lgkmcnt(0)
	v_cmp_gt_f64_e64 s3, 0, v[161:162]
	v_mov_b32_e32 v169, v161
	v_dual_mov_b32 v171, v163 :: v_dual_cndmask_b32 v166, v145, v165
	v_xor_b32_e32 v165, 0x80000000, v162
	v_cndmask_b32_e64 v168, v147, v167, s2
	v_xor_b32_e32 v167, 0x80000000, v164
	s_delay_alu instid0(VALU_DEP_3) | instskip(SKIP_2) | instid1(VALU_DEP_2)
	v_cndmask_b32_e64 v170, v162, v165, s3
	v_cmp_gt_f64_e64 s3, 0, v[163:164]
	v_cndmask_b32_e32 v165, v144, v144, vcc_lo
	v_cndmask_b32_e64 v172, v164, v167, s3
	v_cndmask_b32_e64 v167, v146, v146, s2
	s_delay_alu instid0(VALU_DEP_2) | instskip(NEXT) | instid1(VALU_DEP_2)
	v_add_f64 v[169:170], v[169:170], v[171:172]
	v_add_f64 v[165:166], v[165:166], v[167:168]
	s_delay_alu instid0(VALU_DEP_1) | instskip(SKIP_4) | instid1(SALU_CYCLE_1)
	v_cmp_lt_f64_e32 vcc_lo, v[165:166], v[169:170]
	v_dual_cndmask_b32 v146, v146, v163 :: v_dual_cndmask_b32 v145, v145, v162
	v_dual_cndmask_b32 v144, v144, v161 :: v_dual_cndmask_b32 v147, v147, v164
	v_cndmask_b32_e64 v152, v152, s6, vcc_lo
	s_add_i32 s6, s6, 1
	s_cmp_lg_u32 s5, s6
	s_cbranch_scc1 .LBB70_379
.LBB70_380:
	s_set_inst_prefetch_distance 0x2
	s_waitcnt lgkmcnt(0)
	v_cmp_eq_f64_e32 vcc_lo, 0, v[144:145]
	v_cmp_eq_f64_e64 s2, 0, v[146:147]
	s_delay_alu instid0(VALU_DEP_1) | instskip(NEXT) | instid1(SALU_CYCLE_1)
	s_and_b32 s2, vcc_lo, s2
	s_and_saveexec_b32 s3, s2
	s_delay_alu instid0(SALU_CYCLE_1)
	s_xor_b32 s2, exec_lo, s3
; %bb.381:
	v_cmp_ne_u32_e32 vcc_lo, 0, v157
	v_cndmask_b32_e32 v157, 19, v157, vcc_lo
; %bb.382:
	s_and_not1_saveexec_b32 s3, s2
	s_cbranch_execz .LBB70_388
; %bb.383:
	v_cmp_gt_f64_e32 vcc_lo, 0, v[144:145]
	v_cmp_gt_f64_e64 s2, 0, v[146:147]
	v_xor_b32_e32 v153, 0x80000000, v145
	v_xor_b32_e32 v161, 0x80000000, v147
	s_delay_alu instid0(VALU_DEP_2) | instskip(NEXT) | instid1(VALU_DEP_2)
	v_cndmask_b32_e32 v162, v145, v153, vcc_lo
	v_cndmask_b32_e64 v164, v147, v161, s2
	v_cndmask_b32_e32 v161, v144, v144, vcc_lo
	v_cndmask_b32_e64 v163, v146, v146, s2
	s_mov_b32 s2, exec_lo
	s_delay_alu instid0(VALU_DEP_1)
	v_cmpx_ngt_f64_e32 v[161:162], v[163:164]
	s_xor_b32 s2, exec_lo, s2
	s_cbranch_execz .LBB70_385
; %bb.384:
	v_div_scale_f64 v[161:162], null, v[146:147], v[146:147], v[144:145]
	v_div_scale_f64 v[167:168], vcc_lo, v[144:145], v[146:147], v[144:145]
	s_delay_alu instid0(VALU_DEP_2) | instskip(SKIP_2) | instid1(VALU_DEP_1)
	v_rcp_f64_e32 v[163:164], v[161:162]
	s_waitcnt_depctr 0xfff
	v_fma_f64 v[165:166], -v[161:162], v[163:164], 1.0
	v_fma_f64 v[163:164], v[163:164], v[165:166], v[163:164]
	s_delay_alu instid0(VALU_DEP_1) | instskip(NEXT) | instid1(VALU_DEP_1)
	v_fma_f64 v[165:166], -v[161:162], v[163:164], 1.0
	v_fma_f64 v[163:164], v[163:164], v[165:166], v[163:164]
	s_delay_alu instid0(VALU_DEP_1) | instskip(NEXT) | instid1(VALU_DEP_1)
	v_mul_f64 v[165:166], v[167:168], v[163:164]
	v_fma_f64 v[161:162], -v[161:162], v[165:166], v[167:168]
	s_delay_alu instid0(VALU_DEP_1) | instskip(NEXT) | instid1(VALU_DEP_1)
	v_div_fmas_f64 v[161:162], v[161:162], v[163:164], v[165:166]
	v_div_fixup_f64 v[161:162], v[161:162], v[146:147], v[144:145]
	s_delay_alu instid0(VALU_DEP_1) | instskip(NEXT) | instid1(VALU_DEP_1)
	v_fma_f64 v[144:145], v[144:145], v[161:162], v[146:147]
	v_div_scale_f64 v[146:147], null, v[144:145], v[144:145], 1.0
	s_delay_alu instid0(VALU_DEP_1) | instskip(SKIP_2) | instid1(VALU_DEP_1)
	v_rcp_f64_e32 v[163:164], v[146:147]
	s_waitcnt_depctr 0xfff
	v_fma_f64 v[165:166], -v[146:147], v[163:164], 1.0
	v_fma_f64 v[163:164], v[163:164], v[165:166], v[163:164]
	s_delay_alu instid0(VALU_DEP_1) | instskip(NEXT) | instid1(VALU_DEP_1)
	v_fma_f64 v[165:166], -v[146:147], v[163:164], 1.0
	v_fma_f64 v[163:164], v[163:164], v[165:166], v[163:164]
	v_div_scale_f64 v[165:166], vcc_lo, 1.0, v[144:145], 1.0
	s_delay_alu instid0(VALU_DEP_1) | instskip(NEXT) | instid1(VALU_DEP_1)
	v_mul_f64 v[167:168], v[165:166], v[163:164]
	v_fma_f64 v[146:147], -v[146:147], v[167:168], v[165:166]
	s_delay_alu instid0(VALU_DEP_1) | instskip(NEXT) | instid1(VALU_DEP_1)
	v_div_fmas_f64 v[146:147], v[146:147], v[163:164], v[167:168]
	v_div_fixup_f64 v[146:147], v[146:147], v[144:145], 1.0
	s_delay_alu instid0(VALU_DEP_1)
	v_mul_f64 v[144:145], v[161:162], v[146:147]
	v_xor_b32_e32 v147, 0x80000000, v147
.LBB70_385:
	s_and_not1_saveexec_b32 s2, s2
	s_cbranch_execz .LBB70_387
; %bb.386:
	s_delay_alu instid0(VALU_DEP_1) | instskip(SKIP_1) | instid1(VALU_DEP_2)
	v_div_scale_f64 v[161:162], null, v[144:145], v[144:145], v[146:147]
	v_div_scale_f64 v[167:168], vcc_lo, v[146:147], v[144:145], v[146:147]
	v_rcp_f64_e32 v[163:164], v[161:162]
	s_waitcnt_depctr 0xfff
	v_fma_f64 v[165:166], -v[161:162], v[163:164], 1.0
	s_delay_alu instid0(VALU_DEP_1) | instskip(NEXT) | instid1(VALU_DEP_1)
	v_fma_f64 v[163:164], v[163:164], v[165:166], v[163:164]
	v_fma_f64 v[165:166], -v[161:162], v[163:164], 1.0
	s_delay_alu instid0(VALU_DEP_1) | instskip(NEXT) | instid1(VALU_DEP_1)
	v_fma_f64 v[163:164], v[163:164], v[165:166], v[163:164]
	v_mul_f64 v[165:166], v[167:168], v[163:164]
	s_delay_alu instid0(VALU_DEP_1) | instskip(NEXT) | instid1(VALU_DEP_1)
	v_fma_f64 v[161:162], -v[161:162], v[165:166], v[167:168]
	v_div_fmas_f64 v[161:162], v[161:162], v[163:164], v[165:166]
	s_delay_alu instid0(VALU_DEP_1) | instskip(NEXT) | instid1(VALU_DEP_1)
	v_div_fixup_f64 v[161:162], v[161:162], v[144:145], v[146:147]
	v_fma_f64 v[144:145], v[146:147], v[161:162], v[144:145]
	s_delay_alu instid0(VALU_DEP_1) | instskip(NEXT) | instid1(VALU_DEP_1)
	v_div_scale_f64 v[146:147], null, v[144:145], v[144:145], 1.0
	v_rcp_f64_e32 v[163:164], v[146:147]
	s_waitcnt_depctr 0xfff
	v_fma_f64 v[165:166], -v[146:147], v[163:164], 1.0
	s_delay_alu instid0(VALU_DEP_1) | instskip(NEXT) | instid1(VALU_DEP_1)
	v_fma_f64 v[163:164], v[163:164], v[165:166], v[163:164]
	v_fma_f64 v[165:166], -v[146:147], v[163:164], 1.0
	s_delay_alu instid0(VALU_DEP_1) | instskip(SKIP_1) | instid1(VALU_DEP_1)
	v_fma_f64 v[163:164], v[163:164], v[165:166], v[163:164]
	v_div_scale_f64 v[165:166], vcc_lo, 1.0, v[144:145], 1.0
	v_mul_f64 v[167:168], v[165:166], v[163:164]
	s_delay_alu instid0(VALU_DEP_1) | instskip(NEXT) | instid1(VALU_DEP_1)
	v_fma_f64 v[146:147], -v[146:147], v[167:168], v[165:166]
	v_div_fmas_f64 v[146:147], v[146:147], v[163:164], v[167:168]
	s_delay_alu instid0(VALU_DEP_1) | instskip(NEXT) | instid1(VALU_DEP_1)
	v_div_fixup_f64 v[144:145], v[146:147], v[144:145], 1.0
	v_mul_f64 v[146:147], v[161:162], -v[144:145]
.LBB70_387:
	s_or_b32 exec_lo, exec_lo, s2
.LBB70_388:
	s_delay_alu instid0(SALU_CYCLE_1) | instskip(NEXT) | instid1(SALU_CYCLE_1)
	s_or_b32 exec_lo, exec_lo, s3
	s_mov_b32 s2, exec_lo
	v_cmpx_ne_u32_e64 v160, v152
	s_xor_b32 s2, exec_lo, s2
	s_cbranch_execz .LBB70_394
; %bb.389:
	s_mov_b32 s3, exec_lo
	v_cmpx_eq_u32_e32 18, v160
	s_cbranch_execz .LBB70_393
; %bb.390:
	v_cmp_ne_u32_e32 vcc_lo, 18, v152
	s_xor_b32 s6, s4, -1
	s_delay_alu instid0(SALU_CYCLE_1) | instskip(NEXT) | instid1(SALU_CYCLE_1)
	s_and_b32 s7, s6, vcc_lo
	s_and_saveexec_b32 s6, s7
	s_cbranch_execz .LBB70_392
; %bb.391:
	v_ashrrev_i32_e32 v153, 31, v152
	s_delay_alu instid0(VALU_DEP_1) | instskip(NEXT) | instid1(VALU_DEP_1)
	v_lshlrev_b64 v[160:161], 2, v[152:153]
	v_add_co_u32 v160, vcc_lo, v150, v160
	s_delay_alu instid0(VALU_DEP_2)
	v_add_co_ci_u32_e32 v161, vcc_lo, v151, v161, vcc_lo
	s_clause 0x1
	flat_load_b32 v153, v[160:161]
	flat_load_b32 v158, v[150:151] offset:72
	s_waitcnt vmcnt(1) lgkmcnt(1)
	flat_store_b32 v[150:151], v153 offset:72
	s_waitcnt vmcnt(0) lgkmcnt(1)
	flat_store_b32 v[160:161], v158
.LBB70_392:
	s_or_b32 exec_lo, exec_lo, s6
	v_mov_b32_e32 v160, v152
	v_mov_b32_e32 v158, v152
.LBB70_393:
	s_or_b32 exec_lo, exec_lo, s3
.LBB70_394:
	s_and_not1_saveexec_b32 s2, s2
	s_cbranch_execz .LBB70_396
; %bb.395:
	v_mov_b32_e32 v160, 18
	ds_store_2addr_b64 v154, v[72:73], v[74:75] offset0:38 offset1:39
	ds_store_2addr_b64 v154, v[68:69], v[70:71] offset0:40 offset1:41
	;; [unrolled: 1-line block ×17, first 2 shown]
.LBB70_396:
	s_or_b32 exec_lo, exec_lo, s2
	s_delay_alu instid0(SALU_CYCLE_1)
	s_mov_b32 s2, exec_lo
	s_waitcnt lgkmcnt(0)
	s_waitcnt_vscnt null, 0x0
	s_barrier
	buffer_gl0_inv
	v_cmpx_lt_i32_e32 18, v160
	s_cbranch_execz .LBB70_398
; %bb.397:
	v_mul_f64 v[152:153], v[146:147], v[78:79]
	v_mul_f64 v[78:79], v[144:145], v[78:79]
	s_delay_alu instid0(VALU_DEP_2) | instskip(NEXT) | instid1(VALU_DEP_2)
	v_fma_f64 v[152:153], v[144:145], v[76:77], -v[152:153]
	v_fma_f64 v[78:79], v[146:147], v[76:77], v[78:79]
	ds_load_2addr_b64 v[144:147], v154 offset0:38 offset1:39
	s_waitcnt lgkmcnt(0)
	v_mul_f64 v[76:77], v[146:147], v[78:79]
	s_delay_alu instid0(VALU_DEP_1) | instskip(SKIP_1) | instid1(VALU_DEP_2)
	v_fma_f64 v[76:77], v[144:145], v[152:153], -v[76:77]
	v_mul_f64 v[144:145], v[144:145], v[78:79]
	v_add_f64 v[72:73], v[72:73], -v[76:77]
	s_delay_alu instid0(VALU_DEP_2) | instskip(NEXT) | instid1(VALU_DEP_1)
	v_fma_f64 v[144:145], v[146:147], v[152:153], v[144:145]
	v_add_f64 v[74:75], v[74:75], -v[144:145]
	ds_load_2addr_b64 v[144:147], v154 offset0:40 offset1:41
	s_waitcnt lgkmcnt(0)
	v_mul_f64 v[76:77], v[146:147], v[78:79]
	s_delay_alu instid0(VALU_DEP_1) | instskip(SKIP_1) | instid1(VALU_DEP_2)
	v_fma_f64 v[76:77], v[144:145], v[152:153], -v[76:77]
	v_mul_f64 v[144:145], v[144:145], v[78:79]
	v_add_f64 v[68:69], v[68:69], -v[76:77]
	s_delay_alu instid0(VALU_DEP_2) | instskip(NEXT) | instid1(VALU_DEP_1)
	v_fma_f64 v[144:145], v[146:147], v[152:153], v[144:145]
	v_add_f64 v[70:71], v[70:71], -v[144:145]
	;; [unrolled: 10-line block ×16, first 2 shown]
	ds_load_2addr_b64 v[144:147], v154 offset0:70 offset1:71
	s_waitcnt lgkmcnt(0)
	v_mul_f64 v[76:77], v[146:147], v[78:79]
	s_delay_alu instid0(VALU_DEP_1) | instskip(SKIP_1) | instid1(VALU_DEP_2)
	v_fma_f64 v[76:77], v[144:145], v[152:153], -v[76:77]
	v_mul_f64 v[144:145], v[144:145], v[78:79]
	v_add_f64 v[0:1], v[0:1], -v[76:77]
	s_delay_alu instid0(VALU_DEP_2) | instskip(SKIP_1) | instid1(VALU_DEP_2)
	v_fma_f64 v[144:145], v[146:147], v[152:153], v[144:145]
	v_dual_mov_b32 v76, v152 :: v_dual_mov_b32 v77, v153
	v_add_f64 v[2:3], v[2:3], -v[144:145]
.LBB70_398:
	s_or_b32 exec_lo, exec_lo, s2
	v_lshl_add_u32 v144, v160, 4, v154
	s_barrier
	buffer_gl0_inv
	v_mov_b32_e32 v152, 19
	ds_store_2addr_b64 v144, v[72:73], v[74:75] offset1:1
	s_waitcnt lgkmcnt(0)
	s_barrier
	buffer_gl0_inv
	ds_load_2addr_b64 v[144:147], v154 offset0:38 offset1:39
	s_cmp_lt_i32 s5, 21
	s_cbranch_scc1 .LBB70_401
; %bb.399:
	v_add3_u32 v153, v159, 0, 0x140
	v_mov_b32_e32 v152, 19
	s_mov_b32 s6, 20
	s_set_inst_prefetch_distance 0x1
	.p2align	6
.LBB70_400:                             ; =>This Inner Loop Header: Depth=1
	ds_load_2addr_b64 v[161:164], v153 offset1:1
	s_waitcnt lgkmcnt(1)
	v_cmp_gt_f64_e32 vcc_lo, 0, v[144:145]
	v_xor_b32_e32 v165, 0x80000000, v145
	v_cmp_gt_f64_e64 s2, 0, v[146:147]
	v_xor_b32_e32 v167, 0x80000000, v147
	v_add_nc_u32_e32 v153, 16, v153
	s_waitcnt lgkmcnt(0)
	v_cmp_gt_f64_e64 s3, 0, v[161:162]
	v_mov_b32_e32 v169, v161
	v_dual_mov_b32 v171, v163 :: v_dual_cndmask_b32 v166, v145, v165
	v_xor_b32_e32 v165, 0x80000000, v162
	v_cndmask_b32_e64 v168, v147, v167, s2
	v_xor_b32_e32 v167, 0x80000000, v164
	s_delay_alu instid0(VALU_DEP_3) | instskip(SKIP_2) | instid1(VALU_DEP_2)
	v_cndmask_b32_e64 v170, v162, v165, s3
	v_cmp_gt_f64_e64 s3, 0, v[163:164]
	v_cndmask_b32_e32 v165, v144, v144, vcc_lo
	v_cndmask_b32_e64 v172, v164, v167, s3
	v_cndmask_b32_e64 v167, v146, v146, s2
	s_delay_alu instid0(VALU_DEP_2) | instskip(NEXT) | instid1(VALU_DEP_2)
	v_add_f64 v[169:170], v[169:170], v[171:172]
	v_add_f64 v[165:166], v[165:166], v[167:168]
	s_delay_alu instid0(VALU_DEP_1) | instskip(SKIP_4) | instid1(SALU_CYCLE_1)
	v_cmp_lt_f64_e32 vcc_lo, v[165:166], v[169:170]
	v_dual_cndmask_b32 v146, v146, v163 :: v_dual_cndmask_b32 v145, v145, v162
	v_dual_cndmask_b32 v144, v144, v161 :: v_dual_cndmask_b32 v147, v147, v164
	v_cndmask_b32_e64 v152, v152, s6, vcc_lo
	s_add_i32 s6, s6, 1
	s_cmp_lg_u32 s5, s6
	s_cbranch_scc1 .LBB70_400
.LBB70_401:
	s_set_inst_prefetch_distance 0x2
	s_waitcnt lgkmcnt(0)
	v_cmp_eq_f64_e32 vcc_lo, 0, v[144:145]
	v_cmp_eq_f64_e64 s2, 0, v[146:147]
	s_delay_alu instid0(VALU_DEP_1) | instskip(NEXT) | instid1(SALU_CYCLE_1)
	s_and_b32 s2, vcc_lo, s2
	s_and_saveexec_b32 s3, s2
	s_delay_alu instid0(SALU_CYCLE_1)
	s_xor_b32 s2, exec_lo, s3
; %bb.402:
	v_cmp_ne_u32_e32 vcc_lo, 0, v157
	v_cndmask_b32_e32 v157, 20, v157, vcc_lo
; %bb.403:
	s_and_not1_saveexec_b32 s3, s2
	s_cbranch_execz .LBB70_409
; %bb.404:
	v_cmp_gt_f64_e32 vcc_lo, 0, v[144:145]
	v_cmp_gt_f64_e64 s2, 0, v[146:147]
	v_xor_b32_e32 v153, 0x80000000, v145
	v_xor_b32_e32 v161, 0x80000000, v147
	s_delay_alu instid0(VALU_DEP_2) | instskip(NEXT) | instid1(VALU_DEP_2)
	v_cndmask_b32_e32 v162, v145, v153, vcc_lo
	v_cndmask_b32_e64 v164, v147, v161, s2
	v_cndmask_b32_e32 v161, v144, v144, vcc_lo
	v_cndmask_b32_e64 v163, v146, v146, s2
	s_mov_b32 s2, exec_lo
	s_delay_alu instid0(VALU_DEP_1)
	v_cmpx_ngt_f64_e32 v[161:162], v[163:164]
	s_xor_b32 s2, exec_lo, s2
	s_cbranch_execz .LBB70_406
; %bb.405:
	v_div_scale_f64 v[161:162], null, v[146:147], v[146:147], v[144:145]
	v_div_scale_f64 v[167:168], vcc_lo, v[144:145], v[146:147], v[144:145]
	s_delay_alu instid0(VALU_DEP_2) | instskip(SKIP_2) | instid1(VALU_DEP_1)
	v_rcp_f64_e32 v[163:164], v[161:162]
	s_waitcnt_depctr 0xfff
	v_fma_f64 v[165:166], -v[161:162], v[163:164], 1.0
	v_fma_f64 v[163:164], v[163:164], v[165:166], v[163:164]
	s_delay_alu instid0(VALU_DEP_1) | instskip(NEXT) | instid1(VALU_DEP_1)
	v_fma_f64 v[165:166], -v[161:162], v[163:164], 1.0
	v_fma_f64 v[163:164], v[163:164], v[165:166], v[163:164]
	s_delay_alu instid0(VALU_DEP_1) | instskip(NEXT) | instid1(VALU_DEP_1)
	v_mul_f64 v[165:166], v[167:168], v[163:164]
	v_fma_f64 v[161:162], -v[161:162], v[165:166], v[167:168]
	s_delay_alu instid0(VALU_DEP_1) | instskip(NEXT) | instid1(VALU_DEP_1)
	v_div_fmas_f64 v[161:162], v[161:162], v[163:164], v[165:166]
	v_div_fixup_f64 v[161:162], v[161:162], v[146:147], v[144:145]
	s_delay_alu instid0(VALU_DEP_1) | instskip(NEXT) | instid1(VALU_DEP_1)
	v_fma_f64 v[144:145], v[144:145], v[161:162], v[146:147]
	v_div_scale_f64 v[146:147], null, v[144:145], v[144:145], 1.0
	s_delay_alu instid0(VALU_DEP_1) | instskip(SKIP_2) | instid1(VALU_DEP_1)
	v_rcp_f64_e32 v[163:164], v[146:147]
	s_waitcnt_depctr 0xfff
	v_fma_f64 v[165:166], -v[146:147], v[163:164], 1.0
	v_fma_f64 v[163:164], v[163:164], v[165:166], v[163:164]
	s_delay_alu instid0(VALU_DEP_1) | instskip(NEXT) | instid1(VALU_DEP_1)
	v_fma_f64 v[165:166], -v[146:147], v[163:164], 1.0
	v_fma_f64 v[163:164], v[163:164], v[165:166], v[163:164]
	v_div_scale_f64 v[165:166], vcc_lo, 1.0, v[144:145], 1.0
	s_delay_alu instid0(VALU_DEP_1) | instskip(NEXT) | instid1(VALU_DEP_1)
	v_mul_f64 v[167:168], v[165:166], v[163:164]
	v_fma_f64 v[146:147], -v[146:147], v[167:168], v[165:166]
	s_delay_alu instid0(VALU_DEP_1) | instskip(NEXT) | instid1(VALU_DEP_1)
	v_div_fmas_f64 v[146:147], v[146:147], v[163:164], v[167:168]
	v_div_fixup_f64 v[146:147], v[146:147], v[144:145], 1.0
	s_delay_alu instid0(VALU_DEP_1)
	v_mul_f64 v[144:145], v[161:162], v[146:147]
	v_xor_b32_e32 v147, 0x80000000, v147
.LBB70_406:
	s_and_not1_saveexec_b32 s2, s2
	s_cbranch_execz .LBB70_408
; %bb.407:
	s_delay_alu instid0(VALU_DEP_1) | instskip(SKIP_1) | instid1(VALU_DEP_2)
	v_div_scale_f64 v[161:162], null, v[144:145], v[144:145], v[146:147]
	v_div_scale_f64 v[167:168], vcc_lo, v[146:147], v[144:145], v[146:147]
	v_rcp_f64_e32 v[163:164], v[161:162]
	s_waitcnt_depctr 0xfff
	v_fma_f64 v[165:166], -v[161:162], v[163:164], 1.0
	s_delay_alu instid0(VALU_DEP_1) | instskip(NEXT) | instid1(VALU_DEP_1)
	v_fma_f64 v[163:164], v[163:164], v[165:166], v[163:164]
	v_fma_f64 v[165:166], -v[161:162], v[163:164], 1.0
	s_delay_alu instid0(VALU_DEP_1) | instskip(NEXT) | instid1(VALU_DEP_1)
	v_fma_f64 v[163:164], v[163:164], v[165:166], v[163:164]
	v_mul_f64 v[165:166], v[167:168], v[163:164]
	s_delay_alu instid0(VALU_DEP_1) | instskip(NEXT) | instid1(VALU_DEP_1)
	v_fma_f64 v[161:162], -v[161:162], v[165:166], v[167:168]
	v_div_fmas_f64 v[161:162], v[161:162], v[163:164], v[165:166]
	s_delay_alu instid0(VALU_DEP_1) | instskip(NEXT) | instid1(VALU_DEP_1)
	v_div_fixup_f64 v[161:162], v[161:162], v[144:145], v[146:147]
	v_fma_f64 v[144:145], v[146:147], v[161:162], v[144:145]
	s_delay_alu instid0(VALU_DEP_1) | instskip(NEXT) | instid1(VALU_DEP_1)
	v_div_scale_f64 v[146:147], null, v[144:145], v[144:145], 1.0
	v_rcp_f64_e32 v[163:164], v[146:147]
	s_waitcnt_depctr 0xfff
	v_fma_f64 v[165:166], -v[146:147], v[163:164], 1.0
	s_delay_alu instid0(VALU_DEP_1) | instskip(NEXT) | instid1(VALU_DEP_1)
	v_fma_f64 v[163:164], v[163:164], v[165:166], v[163:164]
	v_fma_f64 v[165:166], -v[146:147], v[163:164], 1.0
	s_delay_alu instid0(VALU_DEP_1) | instskip(SKIP_1) | instid1(VALU_DEP_1)
	v_fma_f64 v[163:164], v[163:164], v[165:166], v[163:164]
	v_div_scale_f64 v[165:166], vcc_lo, 1.0, v[144:145], 1.0
	v_mul_f64 v[167:168], v[165:166], v[163:164]
	s_delay_alu instid0(VALU_DEP_1) | instskip(NEXT) | instid1(VALU_DEP_1)
	v_fma_f64 v[146:147], -v[146:147], v[167:168], v[165:166]
	v_div_fmas_f64 v[146:147], v[146:147], v[163:164], v[167:168]
	s_delay_alu instid0(VALU_DEP_1) | instskip(NEXT) | instid1(VALU_DEP_1)
	v_div_fixup_f64 v[144:145], v[146:147], v[144:145], 1.0
	v_mul_f64 v[146:147], v[161:162], -v[144:145]
.LBB70_408:
	s_or_b32 exec_lo, exec_lo, s2
.LBB70_409:
	s_delay_alu instid0(SALU_CYCLE_1) | instskip(NEXT) | instid1(SALU_CYCLE_1)
	s_or_b32 exec_lo, exec_lo, s3
	s_mov_b32 s2, exec_lo
	v_cmpx_ne_u32_e64 v160, v152
	s_xor_b32 s2, exec_lo, s2
	s_cbranch_execz .LBB70_415
; %bb.410:
	s_mov_b32 s3, exec_lo
	v_cmpx_eq_u32_e32 19, v160
	s_cbranch_execz .LBB70_414
; %bb.411:
	v_cmp_ne_u32_e32 vcc_lo, 19, v152
	s_xor_b32 s6, s4, -1
	s_delay_alu instid0(SALU_CYCLE_1) | instskip(NEXT) | instid1(SALU_CYCLE_1)
	s_and_b32 s7, s6, vcc_lo
	s_and_saveexec_b32 s6, s7
	s_cbranch_execz .LBB70_413
; %bb.412:
	v_ashrrev_i32_e32 v153, 31, v152
	s_delay_alu instid0(VALU_DEP_1) | instskip(NEXT) | instid1(VALU_DEP_1)
	v_lshlrev_b64 v[160:161], 2, v[152:153]
	v_add_co_u32 v160, vcc_lo, v150, v160
	s_delay_alu instid0(VALU_DEP_2)
	v_add_co_ci_u32_e32 v161, vcc_lo, v151, v161, vcc_lo
	s_clause 0x1
	flat_load_b32 v153, v[160:161]
	flat_load_b32 v158, v[150:151] offset:76
	s_waitcnt vmcnt(1) lgkmcnt(1)
	flat_store_b32 v[150:151], v153 offset:76
	s_waitcnt vmcnt(0) lgkmcnt(1)
	flat_store_b32 v[160:161], v158
.LBB70_413:
	s_or_b32 exec_lo, exec_lo, s6
	v_mov_b32_e32 v160, v152
	v_mov_b32_e32 v158, v152
.LBB70_414:
	s_or_b32 exec_lo, exec_lo, s3
.LBB70_415:
	s_and_not1_saveexec_b32 s2, s2
	s_cbranch_execz .LBB70_417
; %bb.416:
	v_mov_b32_e32 v160, 19
	ds_store_2addr_b64 v154, v[68:69], v[70:71] offset0:40 offset1:41
	ds_store_2addr_b64 v154, v[64:65], v[66:67] offset0:42 offset1:43
	;; [unrolled: 1-line block ×16, first 2 shown]
.LBB70_417:
	s_or_b32 exec_lo, exec_lo, s2
	s_delay_alu instid0(SALU_CYCLE_1)
	s_mov_b32 s2, exec_lo
	s_waitcnt lgkmcnt(0)
	s_waitcnt_vscnt null, 0x0
	s_barrier
	buffer_gl0_inv
	v_cmpx_lt_i32_e32 19, v160
	s_cbranch_execz .LBB70_419
; %bb.418:
	v_mul_f64 v[152:153], v[144:145], v[74:75]
	v_mul_f64 v[74:75], v[146:147], v[74:75]
	s_delay_alu instid0(VALU_DEP_2) | instskip(NEXT) | instid1(VALU_DEP_2)
	v_fma_f64 v[152:153], v[146:147], v[72:73], v[152:153]
	v_fma_f64 v[72:73], v[144:145], v[72:73], -v[74:75]
	ds_load_2addr_b64 v[144:147], v154 offset0:40 offset1:41
	s_waitcnt lgkmcnt(0)
	v_mul_f64 v[74:75], v[146:147], v[152:153]
	s_delay_alu instid0(VALU_DEP_1) | instskip(SKIP_1) | instid1(VALU_DEP_2)
	v_fma_f64 v[74:75], v[144:145], v[72:73], -v[74:75]
	v_mul_f64 v[144:145], v[144:145], v[152:153]
	v_add_f64 v[68:69], v[68:69], -v[74:75]
	s_delay_alu instid0(VALU_DEP_2) | instskip(NEXT) | instid1(VALU_DEP_1)
	v_fma_f64 v[144:145], v[146:147], v[72:73], v[144:145]
	v_add_f64 v[70:71], v[70:71], -v[144:145]
	ds_load_2addr_b64 v[144:147], v154 offset0:42 offset1:43
	s_waitcnt lgkmcnt(0)
	v_mul_f64 v[74:75], v[146:147], v[152:153]
	s_delay_alu instid0(VALU_DEP_1) | instskip(SKIP_1) | instid1(VALU_DEP_2)
	v_fma_f64 v[74:75], v[144:145], v[72:73], -v[74:75]
	v_mul_f64 v[144:145], v[144:145], v[152:153]
	v_add_f64 v[64:65], v[64:65], -v[74:75]
	s_delay_alu instid0(VALU_DEP_2) | instskip(NEXT) | instid1(VALU_DEP_1)
	v_fma_f64 v[144:145], v[146:147], v[72:73], v[144:145]
	v_add_f64 v[66:67], v[66:67], -v[144:145]
	;; [unrolled: 10-line block ×15, first 2 shown]
	ds_load_2addr_b64 v[144:147], v154 offset0:70 offset1:71
	s_waitcnt lgkmcnt(0)
	v_mul_f64 v[74:75], v[146:147], v[152:153]
	s_delay_alu instid0(VALU_DEP_1) | instskip(SKIP_1) | instid1(VALU_DEP_2)
	v_fma_f64 v[74:75], v[144:145], v[72:73], -v[74:75]
	v_mul_f64 v[144:145], v[144:145], v[152:153]
	v_add_f64 v[0:1], v[0:1], -v[74:75]
	s_delay_alu instid0(VALU_DEP_2) | instskip(SKIP_1) | instid1(VALU_DEP_2)
	v_fma_f64 v[144:145], v[146:147], v[72:73], v[144:145]
	v_dual_mov_b32 v74, v152 :: v_dual_mov_b32 v75, v153
	v_add_f64 v[2:3], v[2:3], -v[144:145]
.LBB70_419:
	s_or_b32 exec_lo, exec_lo, s2
	v_lshl_add_u32 v144, v160, 4, v154
	s_barrier
	buffer_gl0_inv
	v_mov_b32_e32 v152, 20
	ds_store_2addr_b64 v144, v[68:69], v[70:71] offset1:1
	s_waitcnt lgkmcnt(0)
	s_barrier
	buffer_gl0_inv
	ds_load_2addr_b64 v[144:147], v154 offset0:40 offset1:41
	s_cmp_lt_i32 s5, 22
	s_cbranch_scc1 .LBB70_422
; %bb.420:
	v_add3_u32 v153, v159, 0, 0x150
	v_mov_b32_e32 v152, 20
	s_mov_b32 s6, 21
	s_set_inst_prefetch_distance 0x1
	.p2align	6
.LBB70_421:                             ; =>This Inner Loop Header: Depth=1
	ds_load_2addr_b64 v[161:164], v153 offset1:1
	s_waitcnt lgkmcnt(1)
	v_cmp_gt_f64_e32 vcc_lo, 0, v[144:145]
	v_xor_b32_e32 v165, 0x80000000, v145
	v_cmp_gt_f64_e64 s2, 0, v[146:147]
	v_xor_b32_e32 v167, 0x80000000, v147
	v_add_nc_u32_e32 v153, 16, v153
	s_waitcnt lgkmcnt(0)
	v_cmp_gt_f64_e64 s3, 0, v[161:162]
	v_mov_b32_e32 v169, v161
	v_dual_mov_b32 v171, v163 :: v_dual_cndmask_b32 v166, v145, v165
	v_xor_b32_e32 v165, 0x80000000, v162
	v_cndmask_b32_e64 v168, v147, v167, s2
	v_xor_b32_e32 v167, 0x80000000, v164
	s_delay_alu instid0(VALU_DEP_3) | instskip(SKIP_2) | instid1(VALU_DEP_2)
	v_cndmask_b32_e64 v170, v162, v165, s3
	v_cmp_gt_f64_e64 s3, 0, v[163:164]
	v_cndmask_b32_e32 v165, v144, v144, vcc_lo
	v_cndmask_b32_e64 v172, v164, v167, s3
	v_cndmask_b32_e64 v167, v146, v146, s2
	s_delay_alu instid0(VALU_DEP_2) | instskip(NEXT) | instid1(VALU_DEP_2)
	v_add_f64 v[169:170], v[169:170], v[171:172]
	v_add_f64 v[165:166], v[165:166], v[167:168]
	s_delay_alu instid0(VALU_DEP_1) | instskip(SKIP_4) | instid1(SALU_CYCLE_1)
	v_cmp_lt_f64_e32 vcc_lo, v[165:166], v[169:170]
	v_dual_cndmask_b32 v146, v146, v163 :: v_dual_cndmask_b32 v145, v145, v162
	v_dual_cndmask_b32 v144, v144, v161 :: v_dual_cndmask_b32 v147, v147, v164
	v_cndmask_b32_e64 v152, v152, s6, vcc_lo
	s_add_i32 s6, s6, 1
	s_cmp_lg_u32 s5, s6
	s_cbranch_scc1 .LBB70_421
.LBB70_422:
	s_set_inst_prefetch_distance 0x2
	s_waitcnt lgkmcnt(0)
	v_cmp_eq_f64_e32 vcc_lo, 0, v[144:145]
	v_cmp_eq_f64_e64 s2, 0, v[146:147]
	s_delay_alu instid0(VALU_DEP_1) | instskip(NEXT) | instid1(SALU_CYCLE_1)
	s_and_b32 s2, vcc_lo, s2
	s_and_saveexec_b32 s3, s2
	s_delay_alu instid0(SALU_CYCLE_1)
	s_xor_b32 s2, exec_lo, s3
; %bb.423:
	v_cmp_ne_u32_e32 vcc_lo, 0, v157
	v_cndmask_b32_e32 v157, 21, v157, vcc_lo
; %bb.424:
	s_and_not1_saveexec_b32 s3, s2
	s_cbranch_execz .LBB70_430
; %bb.425:
	v_cmp_gt_f64_e32 vcc_lo, 0, v[144:145]
	v_cmp_gt_f64_e64 s2, 0, v[146:147]
	v_xor_b32_e32 v153, 0x80000000, v145
	v_xor_b32_e32 v161, 0x80000000, v147
	s_delay_alu instid0(VALU_DEP_2) | instskip(NEXT) | instid1(VALU_DEP_2)
	v_cndmask_b32_e32 v162, v145, v153, vcc_lo
	v_cndmask_b32_e64 v164, v147, v161, s2
	v_cndmask_b32_e32 v161, v144, v144, vcc_lo
	v_cndmask_b32_e64 v163, v146, v146, s2
	s_mov_b32 s2, exec_lo
	s_delay_alu instid0(VALU_DEP_1)
	v_cmpx_ngt_f64_e32 v[161:162], v[163:164]
	s_xor_b32 s2, exec_lo, s2
	s_cbranch_execz .LBB70_427
; %bb.426:
	v_div_scale_f64 v[161:162], null, v[146:147], v[146:147], v[144:145]
	v_div_scale_f64 v[167:168], vcc_lo, v[144:145], v[146:147], v[144:145]
	s_delay_alu instid0(VALU_DEP_2) | instskip(SKIP_2) | instid1(VALU_DEP_1)
	v_rcp_f64_e32 v[163:164], v[161:162]
	s_waitcnt_depctr 0xfff
	v_fma_f64 v[165:166], -v[161:162], v[163:164], 1.0
	v_fma_f64 v[163:164], v[163:164], v[165:166], v[163:164]
	s_delay_alu instid0(VALU_DEP_1) | instskip(NEXT) | instid1(VALU_DEP_1)
	v_fma_f64 v[165:166], -v[161:162], v[163:164], 1.0
	v_fma_f64 v[163:164], v[163:164], v[165:166], v[163:164]
	s_delay_alu instid0(VALU_DEP_1) | instskip(NEXT) | instid1(VALU_DEP_1)
	v_mul_f64 v[165:166], v[167:168], v[163:164]
	v_fma_f64 v[161:162], -v[161:162], v[165:166], v[167:168]
	s_delay_alu instid0(VALU_DEP_1) | instskip(NEXT) | instid1(VALU_DEP_1)
	v_div_fmas_f64 v[161:162], v[161:162], v[163:164], v[165:166]
	v_div_fixup_f64 v[161:162], v[161:162], v[146:147], v[144:145]
	s_delay_alu instid0(VALU_DEP_1) | instskip(NEXT) | instid1(VALU_DEP_1)
	v_fma_f64 v[144:145], v[144:145], v[161:162], v[146:147]
	v_div_scale_f64 v[146:147], null, v[144:145], v[144:145], 1.0
	s_delay_alu instid0(VALU_DEP_1) | instskip(SKIP_2) | instid1(VALU_DEP_1)
	v_rcp_f64_e32 v[163:164], v[146:147]
	s_waitcnt_depctr 0xfff
	v_fma_f64 v[165:166], -v[146:147], v[163:164], 1.0
	v_fma_f64 v[163:164], v[163:164], v[165:166], v[163:164]
	s_delay_alu instid0(VALU_DEP_1) | instskip(NEXT) | instid1(VALU_DEP_1)
	v_fma_f64 v[165:166], -v[146:147], v[163:164], 1.0
	v_fma_f64 v[163:164], v[163:164], v[165:166], v[163:164]
	v_div_scale_f64 v[165:166], vcc_lo, 1.0, v[144:145], 1.0
	s_delay_alu instid0(VALU_DEP_1) | instskip(NEXT) | instid1(VALU_DEP_1)
	v_mul_f64 v[167:168], v[165:166], v[163:164]
	v_fma_f64 v[146:147], -v[146:147], v[167:168], v[165:166]
	s_delay_alu instid0(VALU_DEP_1) | instskip(NEXT) | instid1(VALU_DEP_1)
	v_div_fmas_f64 v[146:147], v[146:147], v[163:164], v[167:168]
	v_div_fixup_f64 v[146:147], v[146:147], v[144:145], 1.0
	s_delay_alu instid0(VALU_DEP_1)
	v_mul_f64 v[144:145], v[161:162], v[146:147]
	v_xor_b32_e32 v147, 0x80000000, v147
.LBB70_427:
	s_and_not1_saveexec_b32 s2, s2
	s_cbranch_execz .LBB70_429
; %bb.428:
	s_delay_alu instid0(VALU_DEP_1) | instskip(SKIP_1) | instid1(VALU_DEP_2)
	v_div_scale_f64 v[161:162], null, v[144:145], v[144:145], v[146:147]
	v_div_scale_f64 v[167:168], vcc_lo, v[146:147], v[144:145], v[146:147]
	v_rcp_f64_e32 v[163:164], v[161:162]
	s_waitcnt_depctr 0xfff
	v_fma_f64 v[165:166], -v[161:162], v[163:164], 1.0
	s_delay_alu instid0(VALU_DEP_1) | instskip(NEXT) | instid1(VALU_DEP_1)
	v_fma_f64 v[163:164], v[163:164], v[165:166], v[163:164]
	v_fma_f64 v[165:166], -v[161:162], v[163:164], 1.0
	s_delay_alu instid0(VALU_DEP_1) | instskip(NEXT) | instid1(VALU_DEP_1)
	v_fma_f64 v[163:164], v[163:164], v[165:166], v[163:164]
	v_mul_f64 v[165:166], v[167:168], v[163:164]
	s_delay_alu instid0(VALU_DEP_1) | instskip(NEXT) | instid1(VALU_DEP_1)
	v_fma_f64 v[161:162], -v[161:162], v[165:166], v[167:168]
	v_div_fmas_f64 v[161:162], v[161:162], v[163:164], v[165:166]
	s_delay_alu instid0(VALU_DEP_1) | instskip(NEXT) | instid1(VALU_DEP_1)
	v_div_fixup_f64 v[161:162], v[161:162], v[144:145], v[146:147]
	v_fma_f64 v[144:145], v[146:147], v[161:162], v[144:145]
	s_delay_alu instid0(VALU_DEP_1) | instskip(NEXT) | instid1(VALU_DEP_1)
	v_div_scale_f64 v[146:147], null, v[144:145], v[144:145], 1.0
	v_rcp_f64_e32 v[163:164], v[146:147]
	s_waitcnt_depctr 0xfff
	v_fma_f64 v[165:166], -v[146:147], v[163:164], 1.0
	s_delay_alu instid0(VALU_DEP_1) | instskip(NEXT) | instid1(VALU_DEP_1)
	v_fma_f64 v[163:164], v[163:164], v[165:166], v[163:164]
	v_fma_f64 v[165:166], -v[146:147], v[163:164], 1.0
	s_delay_alu instid0(VALU_DEP_1) | instskip(SKIP_1) | instid1(VALU_DEP_1)
	v_fma_f64 v[163:164], v[163:164], v[165:166], v[163:164]
	v_div_scale_f64 v[165:166], vcc_lo, 1.0, v[144:145], 1.0
	v_mul_f64 v[167:168], v[165:166], v[163:164]
	s_delay_alu instid0(VALU_DEP_1) | instskip(NEXT) | instid1(VALU_DEP_1)
	v_fma_f64 v[146:147], -v[146:147], v[167:168], v[165:166]
	v_div_fmas_f64 v[146:147], v[146:147], v[163:164], v[167:168]
	s_delay_alu instid0(VALU_DEP_1) | instskip(NEXT) | instid1(VALU_DEP_1)
	v_div_fixup_f64 v[144:145], v[146:147], v[144:145], 1.0
	v_mul_f64 v[146:147], v[161:162], -v[144:145]
.LBB70_429:
	s_or_b32 exec_lo, exec_lo, s2
.LBB70_430:
	s_delay_alu instid0(SALU_CYCLE_1) | instskip(NEXT) | instid1(SALU_CYCLE_1)
	s_or_b32 exec_lo, exec_lo, s3
	s_mov_b32 s2, exec_lo
	v_cmpx_ne_u32_e64 v160, v152
	s_xor_b32 s2, exec_lo, s2
	s_cbranch_execz .LBB70_436
; %bb.431:
	s_mov_b32 s3, exec_lo
	v_cmpx_eq_u32_e32 20, v160
	s_cbranch_execz .LBB70_435
; %bb.432:
	v_cmp_ne_u32_e32 vcc_lo, 20, v152
	s_xor_b32 s6, s4, -1
	s_delay_alu instid0(SALU_CYCLE_1) | instskip(NEXT) | instid1(SALU_CYCLE_1)
	s_and_b32 s7, s6, vcc_lo
	s_and_saveexec_b32 s6, s7
	s_cbranch_execz .LBB70_434
; %bb.433:
	v_ashrrev_i32_e32 v153, 31, v152
	s_delay_alu instid0(VALU_DEP_1) | instskip(NEXT) | instid1(VALU_DEP_1)
	v_lshlrev_b64 v[160:161], 2, v[152:153]
	v_add_co_u32 v160, vcc_lo, v150, v160
	s_delay_alu instid0(VALU_DEP_2)
	v_add_co_ci_u32_e32 v161, vcc_lo, v151, v161, vcc_lo
	s_clause 0x1
	flat_load_b32 v153, v[160:161]
	flat_load_b32 v158, v[150:151] offset:80
	s_waitcnt vmcnt(1) lgkmcnt(1)
	flat_store_b32 v[150:151], v153 offset:80
	s_waitcnt vmcnt(0) lgkmcnt(1)
	flat_store_b32 v[160:161], v158
.LBB70_434:
	s_or_b32 exec_lo, exec_lo, s6
	v_mov_b32_e32 v160, v152
	v_mov_b32_e32 v158, v152
.LBB70_435:
	s_or_b32 exec_lo, exec_lo, s3
.LBB70_436:
	s_and_not1_saveexec_b32 s2, s2
	s_cbranch_execz .LBB70_438
; %bb.437:
	v_mov_b32_e32 v160, 20
	ds_store_2addr_b64 v154, v[64:65], v[66:67] offset0:42 offset1:43
	ds_store_2addr_b64 v154, v[60:61], v[62:63] offset0:44 offset1:45
	;; [unrolled: 1-line block ×15, first 2 shown]
.LBB70_438:
	s_or_b32 exec_lo, exec_lo, s2
	s_delay_alu instid0(SALU_CYCLE_1)
	s_mov_b32 s2, exec_lo
	s_waitcnt lgkmcnt(0)
	s_waitcnt_vscnt null, 0x0
	s_barrier
	buffer_gl0_inv
	v_cmpx_lt_i32_e32 20, v160
	s_cbranch_execz .LBB70_440
; %bb.439:
	v_mul_f64 v[152:153], v[144:145], v[70:71]
	v_mul_f64 v[70:71], v[146:147], v[70:71]
	s_delay_alu instid0(VALU_DEP_2) | instskip(NEXT) | instid1(VALU_DEP_2)
	v_fma_f64 v[152:153], v[146:147], v[68:69], v[152:153]
	v_fma_f64 v[68:69], v[144:145], v[68:69], -v[70:71]
	ds_load_2addr_b64 v[144:147], v154 offset0:42 offset1:43
	s_waitcnt lgkmcnt(0)
	v_mul_f64 v[70:71], v[146:147], v[152:153]
	s_delay_alu instid0(VALU_DEP_1) | instskip(SKIP_1) | instid1(VALU_DEP_2)
	v_fma_f64 v[70:71], v[144:145], v[68:69], -v[70:71]
	v_mul_f64 v[144:145], v[144:145], v[152:153]
	v_add_f64 v[64:65], v[64:65], -v[70:71]
	s_delay_alu instid0(VALU_DEP_2) | instskip(NEXT) | instid1(VALU_DEP_1)
	v_fma_f64 v[144:145], v[146:147], v[68:69], v[144:145]
	v_add_f64 v[66:67], v[66:67], -v[144:145]
	ds_load_2addr_b64 v[144:147], v154 offset0:44 offset1:45
	s_waitcnt lgkmcnt(0)
	v_mul_f64 v[70:71], v[146:147], v[152:153]
	s_delay_alu instid0(VALU_DEP_1) | instskip(SKIP_1) | instid1(VALU_DEP_2)
	v_fma_f64 v[70:71], v[144:145], v[68:69], -v[70:71]
	v_mul_f64 v[144:145], v[144:145], v[152:153]
	v_add_f64 v[60:61], v[60:61], -v[70:71]
	s_delay_alu instid0(VALU_DEP_2) | instskip(NEXT) | instid1(VALU_DEP_1)
	v_fma_f64 v[144:145], v[146:147], v[68:69], v[144:145]
	v_add_f64 v[62:63], v[62:63], -v[144:145]
	;; [unrolled: 10-line block ×14, first 2 shown]
	ds_load_2addr_b64 v[144:147], v154 offset0:70 offset1:71
	s_waitcnt lgkmcnt(0)
	v_mul_f64 v[70:71], v[146:147], v[152:153]
	s_delay_alu instid0(VALU_DEP_1) | instskip(SKIP_1) | instid1(VALU_DEP_2)
	v_fma_f64 v[70:71], v[144:145], v[68:69], -v[70:71]
	v_mul_f64 v[144:145], v[144:145], v[152:153]
	v_add_f64 v[0:1], v[0:1], -v[70:71]
	s_delay_alu instid0(VALU_DEP_2) | instskip(SKIP_1) | instid1(VALU_DEP_2)
	v_fma_f64 v[144:145], v[146:147], v[68:69], v[144:145]
	v_dual_mov_b32 v70, v152 :: v_dual_mov_b32 v71, v153
	v_add_f64 v[2:3], v[2:3], -v[144:145]
.LBB70_440:
	s_or_b32 exec_lo, exec_lo, s2
	v_lshl_add_u32 v144, v160, 4, v154
	s_barrier
	buffer_gl0_inv
	v_mov_b32_e32 v152, 21
	ds_store_2addr_b64 v144, v[64:65], v[66:67] offset1:1
	s_waitcnt lgkmcnt(0)
	s_barrier
	buffer_gl0_inv
	ds_load_2addr_b64 v[144:147], v154 offset0:42 offset1:43
	s_cmp_lt_i32 s5, 23
	s_cbranch_scc1 .LBB70_443
; %bb.441:
	v_add3_u32 v153, v159, 0, 0x160
	v_mov_b32_e32 v152, 21
	s_mov_b32 s6, 22
	s_set_inst_prefetch_distance 0x1
	.p2align	6
.LBB70_442:                             ; =>This Inner Loop Header: Depth=1
	ds_load_2addr_b64 v[161:164], v153 offset1:1
	s_waitcnt lgkmcnt(1)
	v_cmp_gt_f64_e32 vcc_lo, 0, v[144:145]
	v_xor_b32_e32 v165, 0x80000000, v145
	v_cmp_gt_f64_e64 s2, 0, v[146:147]
	v_xor_b32_e32 v167, 0x80000000, v147
	v_add_nc_u32_e32 v153, 16, v153
	s_waitcnt lgkmcnt(0)
	v_cmp_gt_f64_e64 s3, 0, v[161:162]
	v_mov_b32_e32 v169, v161
	v_dual_mov_b32 v171, v163 :: v_dual_cndmask_b32 v166, v145, v165
	v_xor_b32_e32 v165, 0x80000000, v162
	v_cndmask_b32_e64 v168, v147, v167, s2
	v_xor_b32_e32 v167, 0x80000000, v164
	s_delay_alu instid0(VALU_DEP_3) | instskip(SKIP_2) | instid1(VALU_DEP_2)
	v_cndmask_b32_e64 v170, v162, v165, s3
	v_cmp_gt_f64_e64 s3, 0, v[163:164]
	v_cndmask_b32_e32 v165, v144, v144, vcc_lo
	v_cndmask_b32_e64 v172, v164, v167, s3
	v_cndmask_b32_e64 v167, v146, v146, s2
	s_delay_alu instid0(VALU_DEP_2) | instskip(NEXT) | instid1(VALU_DEP_2)
	v_add_f64 v[169:170], v[169:170], v[171:172]
	v_add_f64 v[165:166], v[165:166], v[167:168]
	s_delay_alu instid0(VALU_DEP_1) | instskip(SKIP_4) | instid1(SALU_CYCLE_1)
	v_cmp_lt_f64_e32 vcc_lo, v[165:166], v[169:170]
	v_dual_cndmask_b32 v146, v146, v163 :: v_dual_cndmask_b32 v145, v145, v162
	v_dual_cndmask_b32 v144, v144, v161 :: v_dual_cndmask_b32 v147, v147, v164
	v_cndmask_b32_e64 v152, v152, s6, vcc_lo
	s_add_i32 s6, s6, 1
	s_cmp_lg_u32 s5, s6
	s_cbranch_scc1 .LBB70_442
.LBB70_443:
	s_set_inst_prefetch_distance 0x2
	s_waitcnt lgkmcnt(0)
	v_cmp_eq_f64_e32 vcc_lo, 0, v[144:145]
	v_cmp_eq_f64_e64 s2, 0, v[146:147]
	s_delay_alu instid0(VALU_DEP_1) | instskip(NEXT) | instid1(SALU_CYCLE_1)
	s_and_b32 s2, vcc_lo, s2
	s_and_saveexec_b32 s3, s2
	s_delay_alu instid0(SALU_CYCLE_1)
	s_xor_b32 s2, exec_lo, s3
; %bb.444:
	v_cmp_ne_u32_e32 vcc_lo, 0, v157
	v_cndmask_b32_e32 v157, 22, v157, vcc_lo
; %bb.445:
	s_and_not1_saveexec_b32 s3, s2
	s_cbranch_execz .LBB70_451
; %bb.446:
	v_cmp_gt_f64_e32 vcc_lo, 0, v[144:145]
	v_cmp_gt_f64_e64 s2, 0, v[146:147]
	v_xor_b32_e32 v153, 0x80000000, v145
	v_xor_b32_e32 v161, 0x80000000, v147
	s_delay_alu instid0(VALU_DEP_2) | instskip(NEXT) | instid1(VALU_DEP_2)
	v_cndmask_b32_e32 v162, v145, v153, vcc_lo
	v_cndmask_b32_e64 v164, v147, v161, s2
	v_cndmask_b32_e32 v161, v144, v144, vcc_lo
	v_cndmask_b32_e64 v163, v146, v146, s2
	s_mov_b32 s2, exec_lo
	s_delay_alu instid0(VALU_DEP_1)
	v_cmpx_ngt_f64_e32 v[161:162], v[163:164]
	s_xor_b32 s2, exec_lo, s2
	s_cbranch_execz .LBB70_448
; %bb.447:
	v_div_scale_f64 v[161:162], null, v[146:147], v[146:147], v[144:145]
	v_div_scale_f64 v[167:168], vcc_lo, v[144:145], v[146:147], v[144:145]
	s_delay_alu instid0(VALU_DEP_2) | instskip(SKIP_2) | instid1(VALU_DEP_1)
	v_rcp_f64_e32 v[163:164], v[161:162]
	s_waitcnt_depctr 0xfff
	v_fma_f64 v[165:166], -v[161:162], v[163:164], 1.0
	v_fma_f64 v[163:164], v[163:164], v[165:166], v[163:164]
	s_delay_alu instid0(VALU_DEP_1) | instskip(NEXT) | instid1(VALU_DEP_1)
	v_fma_f64 v[165:166], -v[161:162], v[163:164], 1.0
	v_fma_f64 v[163:164], v[163:164], v[165:166], v[163:164]
	s_delay_alu instid0(VALU_DEP_1) | instskip(NEXT) | instid1(VALU_DEP_1)
	v_mul_f64 v[165:166], v[167:168], v[163:164]
	v_fma_f64 v[161:162], -v[161:162], v[165:166], v[167:168]
	s_delay_alu instid0(VALU_DEP_1) | instskip(NEXT) | instid1(VALU_DEP_1)
	v_div_fmas_f64 v[161:162], v[161:162], v[163:164], v[165:166]
	v_div_fixup_f64 v[161:162], v[161:162], v[146:147], v[144:145]
	s_delay_alu instid0(VALU_DEP_1) | instskip(NEXT) | instid1(VALU_DEP_1)
	v_fma_f64 v[144:145], v[144:145], v[161:162], v[146:147]
	v_div_scale_f64 v[146:147], null, v[144:145], v[144:145], 1.0
	s_delay_alu instid0(VALU_DEP_1) | instskip(SKIP_2) | instid1(VALU_DEP_1)
	v_rcp_f64_e32 v[163:164], v[146:147]
	s_waitcnt_depctr 0xfff
	v_fma_f64 v[165:166], -v[146:147], v[163:164], 1.0
	v_fma_f64 v[163:164], v[163:164], v[165:166], v[163:164]
	s_delay_alu instid0(VALU_DEP_1) | instskip(NEXT) | instid1(VALU_DEP_1)
	v_fma_f64 v[165:166], -v[146:147], v[163:164], 1.0
	v_fma_f64 v[163:164], v[163:164], v[165:166], v[163:164]
	v_div_scale_f64 v[165:166], vcc_lo, 1.0, v[144:145], 1.0
	s_delay_alu instid0(VALU_DEP_1) | instskip(NEXT) | instid1(VALU_DEP_1)
	v_mul_f64 v[167:168], v[165:166], v[163:164]
	v_fma_f64 v[146:147], -v[146:147], v[167:168], v[165:166]
	s_delay_alu instid0(VALU_DEP_1) | instskip(NEXT) | instid1(VALU_DEP_1)
	v_div_fmas_f64 v[146:147], v[146:147], v[163:164], v[167:168]
	v_div_fixup_f64 v[146:147], v[146:147], v[144:145], 1.0
	s_delay_alu instid0(VALU_DEP_1)
	v_mul_f64 v[144:145], v[161:162], v[146:147]
	v_xor_b32_e32 v147, 0x80000000, v147
.LBB70_448:
	s_and_not1_saveexec_b32 s2, s2
	s_cbranch_execz .LBB70_450
; %bb.449:
	s_delay_alu instid0(VALU_DEP_1) | instskip(SKIP_1) | instid1(VALU_DEP_2)
	v_div_scale_f64 v[161:162], null, v[144:145], v[144:145], v[146:147]
	v_div_scale_f64 v[167:168], vcc_lo, v[146:147], v[144:145], v[146:147]
	v_rcp_f64_e32 v[163:164], v[161:162]
	s_waitcnt_depctr 0xfff
	v_fma_f64 v[165:166], -v[161:162], v[163:164], 1.0
	s_delay_alu instid0(VALU_DEP_1) | instskip(NEXT) | instid1(VALU_DEP_1)
	v_fma_f64 v[163:164], v[163:164], v[165:166], v[163:164]
	v_fma_f64 v[165:166], -v[161:162], v[163:164], 1.0
	s_delay_alu instid0(VALU_DEP_1) | instskip(NEXT) | instid1(VALU_DEP_1)
	v_fma_f64 v[163:164], v[163:164], v[165:166], v[163:164]
	v_mul_f64 v[165:166], v[167:168], v[163:164]
	s_delay_alu instid0(VALU_DEP_1) | instskip(NEXT) | instid1(VALU_DEP_1)
	v_fma_f64 v[161:162], -v[161:162], v[165:166], v[167:168]
	v_div_fmas_f64 v[161:162], v[161:162], v[163:164], v[165:166]
	s_delay_alu instid0(VALU_DEP_1) | instskip(NEXT) | instid1(VALU_DEP_1)
	v_div_fixup_f64 v[161:162], v[161:162], v[144:145], v[146:147]
	v_fma_f64 v[144:145], v[146:147], v[161:162], v[144:145]
	s_delay_alu instid0(VALU_DEP_1) | instskip(NEXT) | instid1(VALU_DEP_1)
	v_div_scale_f64 v[146:147], null, v[144:145], v[144:145], 1.0
	v_rcp_f64_e32 v[163:164], v[146:147]
	s_waitcnt_depctr 0xfff
	v_fma_f64 v[165:166], -v[146:147], v[163:164], 1.0
	s_delay_alu instid0(VALU_DEP_1) | instskip(NEXT) | instid1(VALU_DEP_1)
	v_fma_f64 v[163:164], v[163:164], v[165:166], v[163:164]
	v_fma_f64 v[165:166], -v[146:147], v[163:164], 1.0
	s_delay_alu instid0(VALU_DEP_1) | instskip(SKIP_1) | instid1(VALU_DEP_1)
	v_fma_f64 v[163:164], v[163:164], v[165:166], v[163:164]
	v_div_scale_f64 v[165:166], vcc_lo, 1.0, v[144:145], 1.0
	v_mul_f64 v[167:168], v[165:166], v[163:164]
	s_delay_alu instid0(VALU_DEP_1) | instskip(NEXT) | instid1(VALU_DEP_1)
	v_fma_f64 v[146:147], -v[146:147], v[167:168], v[165:166]
	v_div_fmas_f64 v[146:147], v[146:147], v[163:164], v[167:168]
	s_delay_alu instid0(VALU_DEP_1) | instskip(NEXT) | instid1(VALU_DEP_1)
	v_div_fixup_f64 v[144:145], v[146:147], v[144:145], 1.0
	v_mul_f64 v[146:147], v[161:162], -v[144:145]
.LBB70_450:
	s_or_b32 exec_lo, exec_lo, s2
.LBB70_451:
	s_delay_alu instid0(SALU_CYCLE_1) | instskip(NEXT) | instid1(SALU_CYCLE_1)
	s_or_b32 exec_lo, exec_lo, s3
	s_mov_b32 s2, exec_lo
	v_cmpx_ne_u32_e64 v160, v152
	s_xor_b32 s2, exec_lo, s2
	s_cbranch_execz .LBB70_457
; %bb.452:
	s_mov_b32 s3, exec_lo
	v_cmpx_eq_u32_e32 21, v160
	s_cbranch_execz .LBB70_456
; %bb.453:
	v_cmp_ne_u32_e32 vcc_lo, 21, v152
	s_xor_b32 s6, s4, -1
	s_delay_alu instid0(SALU_CYCLE_1) | instskip(NEXT) | instid1(SALU_CYCLE_1)
	s_and_b32 s7, s6, vcc_lo
	s_and_saveexec_b32 s6, s7
	s_cbranch_execz .LBB70_455
; %bb.454:
	v_ashrrev_i32_e32 v153, 31, v152
	s_delay_alu instid0(VALU_DEP_1) | instskip(NEXT) | instid1(VALU_DEP_1)
	v_lshlrev_b64 v[160:161], 2, v[152:153]
	v_add_co_u32 v160, vcc_lo, v150, v160
	s_delay_alu instid0(VALU_DEP_2)
	v_add_co_ci_u32_e32 v161, vcc_lo, v151, v161, vcc_lo
	s_clause 0x1
	flat_load_b32 v153, v[160:161]
	flat_load_b32 v158, v[150:151] offset:84
	s_waitcnt vmcnt(1) lgkmcnt(1)
	flat_store_b32 v[150:151], v153 offset:84
	s_waitcnt vmcnt(0) lgkmcnt(1)
	flat_store_b32 v[160:161], v158
.LBB70_455:
	s_or_b32 exec_lo, exec_lo, s6
	v_mov_b32_e32 v160, v152
	v_mov_b32_e32 v158, v152
.LBB70_456:
	s_or_b32 exec_lo, exec_lo, s3
.LBB70_457:
	s_and_not1_saveexec_b32 s2, s2
	s_cbranch_execz .LBB70_459
; %bb.458:
	v_mov_b32_e32 v160, 21
	ds_store_2addr_b64 v154, v[60:61], v[62:63] offset0:44 offset1:45
	ds_store_2addr_b64 v154, v[56:57], v[58:59] offset0:46 offset1:47
	;; [unrolled: 1-line block ×14, first 2 shown]
.LBB70_459:
	s_or_b32 exec_lo, exec_lo, s2
	s_delay_alu instid0(SALU_CYCLE_1)
	s_mov_b32 s2, exec_lo
	s_waitcnt lgkmcnt(0)
	s_waitcnt_vscnt null, 0x0
	s_barrier
	buffer_gl0_inv
	v_cmpx_lt_i32_e32 21, v160
	s_cbranch_execz .LBB70_461
; %bb.460:
	v_mul_f64 v[152:153], v[144:145], v[66:67]
	v_mul_f64 v[66:67], v[146:147], v[66:67]
	s_delay_alu instid0(VALU_DEP_2) | instskip(NEXT) | instid1(VALU_DEP_2)
	v_fma_f64 v[152:153], v[146:147], v[64:65], v[152:153]
	v_fma_f64 v[64:65], v[144:145], v[64:65], -v[66:67]
	ds_load_2addr_b64 v[144:147], v154 offset0:44 offset1:45
	s_waitcnt lgkmcnt(0)
	v_mul_f64 v[66:67], v[146:147], v[152:153]
	s_delay_alu instid0(VALU_DEP_1) | instskip(SKIP_1) | instid1(VALU_DEP_2)
	v_fma_f64 v[66:67], v[144:145], v[64:65], -v[66:67]
	v_mul_f64 v[144:145], v[144:145], v[152:153]
	v_add_f64 v[60:61], v[60:61], -v[66:67]
	s_delay_alu instid0(VALU_DEP_2) | instskip(NEXT) | instid1(VALU_DEP_1)
	v_fma_f64 v[144:145], v[146:147], v[64:65], v[144:145]
	v_add_f64 v[62:63], v[62:63], -v[144:145]
	ds_load_2addr_b64 v[144:147], v154 offset0:46 offset1:47
	s_waitcnt lgkmcnt(0)
	v_mul_f64 v[66:67], v[146:147], v[152:153]
	s_delay_alu instid0(VALU_DEP_1) | instskip(SKIP_1) | instid1(VALU_DEP_2)
	v_fma_f64 v[66:67], v[144:145], v[64:65], -v[66:67]
	v_mul_f64 v[144:145], v[144:145], v[152:153]
	v_add_f64 v[56:57], v[56:57], -v[66:67]
	s_delay_alu instid0(VALU_DEP_2) | instskip(NEXT) | instid1(VALU_DEP_1)
	v_fma_f64 v[144:145], v[146:147], v[64:65], v[144:145]
	v_add_f64 v[58:59], v[58:59], -v[144:145]
	;; [unrolled: 10-line block ×13, first 2 shown]
	ds_load_2addr_b64 v[144:147], v154 offset0:70 offset1:71
	s_waitcnt lgkmcnt(0)
	v_mul_f64 v[66:67], v[146:147], v[152:153]
	s_delay_alu instid0(VALU_DEP_1) | instskip(SKIP_1) | instid1(VALU_DEP_2)
	v_fma_f64 v[66:67], v[144:145], v[64:65], -v[66:67]
	v_mul_f64 v[144:145], v[144:145], v[152:153]
	v_add_f64 v[0:1], v[0:1], -v[66:67]
	s_delay_alu instid0(VALU_DEP_2) | instskip(SKIP_1) | instid1(VALU_DEP_2)
	v_fma_f64 v[144:145], v[146:147], v[64:65], v[144:145]
	v_dual_mov_b32 v66, v152 :: v_dual_mov_b32 v67, v153
	v_add_f64 v[2:3], v[2:3], -v[144:145]
.LBB70_461:
	s_or_b32 exec_lo, exec_lo, s2
	v_lshl_add_u32 v144, v160, 4, v154
	s_barrier
	buffer_gl0_inv
	v_mov_b32_e32 v152, 22
	ds_store_2addr_b64 v144, v[60:61], v[62:63] offset1:1
	s_waitcnt lgkmcnt(0)
	s_barrier
	buffer_gl0_inv
	ds_load_2addr_b64 v[144:147], v154 offset0:44 offset1:45
	s_cmp_lt_i32 s5, 24
	s_cbranch_scc1 .LBB70_464
; %bb.462:
	v_add3_u32 v153, v159, 0, 0x170
	v_mov_b32_e32 v152, 22
	s_mov_b32 s6, 23
	s_set_inst_prefetch_distance 0x1
	.p2align	6
.LBB70_463:                             ; =>This Inner Loop Header: Depth=1
	ds_load_2addr_b64 v[161:164], v153 offset1:1
	s_waitcnt lgkmcnt(1)
	v_cmp_gt_f64_e32 vcc_lo, 0, v[144:145]
	v_xor_b32_e32 v165, 0x80000000, v145
	v_cmp_gt_f64_e64 s2, 0, v[146:147]
	v_xor_b32_e32 v167, 0x80000000, v147
	v_add_nc_u32_e32 v153, 16, v153
	s_waitcnt lgkmcnt(0)
	v_cmp_gt_f64_e64 s3, 0, v[161:162]
	v_mov_b32_e32 v169, v161
	v_dual_mov_b32 v171, v163 :: v_dual_cndmask_b32 v166, v145, v165
	v_xor_b32_e32 v165, 0x80000000, v162
	v_cndmask_b32_e64 v168, v147, v167, s2
	v_xor_b32_e32 v167, 0x80000000, v164
	s_delay_alu instid0(VALU_DEP_3) | instskip(SKIP_2) | instid1(VALU_DEP_2)
	v_cndmask_b32_e64 v170, v162, v165, s3
	v_cmp_gt_f64_e64 s3, 0, v[163:164]
	v_cndmask_b32_e32 v165, v144, v144, vcc_lo
	v_cndmask_b32_e64 v172, v164, v167, s3
	v_cndmask_b32_e64 v167, v146, v146, s2
	s_delay_alu instid0(VALU_DEP_2) | instskip(NEXT) | instid1(VALU_DEP_2)
	v_add_f64 v[169:170], v[169:170], v[171:172]
	v_add_f64 v[165:166], v[165:166], v[167:168]
	s_delay_alu instid0(VALU_DEP_1) | instskip(SKIP_4) | instid1(SALU_CYCLE_1)
	v_cmp_lt_f64_e32 vcc_lo, v[165:166], v[169:170]
	v_dual_cndmask_b32 v146, v146, v163 :: v_dual_cndmask_b32 v145, v145, v162
	v_dual_cndmask_b32 v144, v144, v161 :: v_dual_cndmask_b32 v147, v147, v164
	v_cndmask_b32_e64 v152, v152, s6, vcc_lo
	s_add_i32 s6, s6, 1
	s_cmp_lg_u32 s5, s6
	s_cbranch_scc1 .LBB70_463
.LBB70_464:
	s_set_inst_prefetch_distance 0x2
	s_waitcnt lgkmcnt(0)
	v_cmp_eq_f64_e32 vcc_lo, 0, v[144:145]
	v_cmp_eq_f64_e64 s2, 0, v[146:147]
	s_delay_alu instid0(VALU_DEP_1) | instskip(NEXT) | instid1(SALU_CYCLE_1)
	s_and_b32 s2, vcc_lo, s2
	s_and_saveexec_b32 s3, s2
	s_delay_alu instid0(SALU_CYCLE_1)
	s_xor_b32 s2, exec_lo, s3
; %bb.465:
	v_cmp_ne_u32_e32 vcc_lo, 0, v157
	v_cndmask_b32_e32 v157, 23, v157, vcc_lo
; %bb.466:
	s_and_not1_saveexec_b32 s3, s2
	s_cbranch_execz .LBB70_472
; %bb.467:
	v_cmp_gt_f64_e32 vcc_lo, 0, v[144:145]
	v_cmp_gt_f64_e64 s2, 0, v[146:147]
	v_xor_b32_e32 v153, 0x80000000, v145
	v_xor_b32_e32 v161, 0x80000000, v147
	s_delay_alu instid0(VALU_DEP_2) | instskip(NEXT) | instid1(VALU_DEP_2)
	v_cndmask_b32_e32 v162, v145, v153, vcc_lo
	v_cndmask_b32_e64 v164, v147, v161, s2
	v_cndmask_b32_e32 v161, v144, v144, vcc_lo
	v_cndmask_b32_e64 v163, v146, v146, s2
	s_mov_b32 s2, exec_lo
	s_delay_alu instid0(VALU_DEP_1)
	v_cmpx_ngt_f64_e32 v[161:162], v[163:164]
	s_xor_b32 s2, exec_lo, s2
	s_cbranch_execz .LBB70_469
; %bb.468:
	v_div_scale_f64 v[161:162], null, v[146:147], v[146:147], v[144:145]
	v_div_scale_f64 v[167:168], vcc_lo, v[144:145], v[146:147], v[144:145]
	s_delay_alu instid0(VALU_DEP_2) | instskip(SKIP_2) | instid1(VALU_DEP_1)
	v_rcp_f64_e32 v[163:164], v[161:162]
	s_waitcnt_depctr 0xfff
	v_fma_f64 v[165:166], -v[161:162], v[163:164], 1.0
	v_fma_f64 v[163:164], v[163:164], v[165:166], v[163:164]
	s_delay_alu instid0(VALU_DEP_1) | instskip(NEXT) | instid1(VALU_DEP_1)
	v_fma_f64 v[165:166], -v[161:162], v[163:164], 1.0
	v_fma_f64 v[163:164], v[163:164], v[165:166], v[163:164]
	s_delay_alu instid0(VALU_DEP_1) | instskip(NEXT) | instid1(VALU_DEP_1)
	v_mul_f64 v[165:166], v[167:168], v[163:164]
	v_fma_f64 v[161:162], -v[161:162], v[165:166], v[167:168]
	s_delay_alu instid0(VALU_DEP_1) | instskip(NEXT) | instid1(VALU_DEP_1)
	v_div_fmas_f64 v[161:162], v[161:162], v[163:164], v[165:166]
	v_div_fixup_f64 v[161:162], v[161:162], v[146:147], v[144:145]
	s_delay_alu instid0(VALU_DEP_1) | instskip(NEXT) | instid1(VALU_DEP_1)
	v_fma_f64 v[144:145], v[144:145], v[161:162], v[146:147]
	v_div_scale_f64 v[146:147], null, v[144:145], v[144:145], 1.0
	s_delay_alu instid0(VALU_DEP_1) | instskip(SKIP_2) | instid1(VALU_DEP_1)
	v_rcp_f64_e32 v[163:164], v[146:147]
	s_waitcnt_depctr 0xfff
	v_fma_f64 v[165:166], -v[146:147], v[163:164], 1.0
	v_fma_f64 v[163:164], v[163:164], v[165:166], v[163:164]
	s_delay_alu instid0(VALU_DEP_1) | instskip(NEXT) | instid1(VALU_DEP_1)
	v_fma_f64 v[165:166], -v[146:147], v[163:164], 1.0
	v_fma_f64 v[163:164], v[163:164], v[165:166], v[163:164]
	v_div_scale_f64 v[165:166], vcc_lo, 1.0, v[144:145], 1.0
	s_delay_alu instid0(VALU_DEP_1) | instskip(NEXT) | instid1(VALU_DEP_1)
	v_mul_f64 v[167:168], v[165:166], v[163:164]
	v_fma_f64 v[146:147], -v[146:147], v[167:168], v[165:166]
	s_delay_alu instid0(VALU_DEP_1) | instskip(NEXT) | instid1(VALU_DEP_1)
	v_div_fmas_f64 v[146:147], v[146:147], v[163:164], v[167:168]
	v_div_fixup_f64 v[146:147], v[146:147], v[144:145], 1.0
	s_delay_alu instid0(VALU_DEP_1)
	v_mul_f64 v[144:145], v[161:162], v[146:147]
	v_xor_b32_e32 v147, 0x80000000, v147
.LBB70_469:
	s_and_not1_saveexec_b32 s2, s2
	s_cbranch_execz .LBB70_471
; %bb.470:
	s_delay_alu instid0(VALU_DEP_1) | instskip(SKIP_1) | instid1(VALU_DEP_2)
	v_div_scale_f64 v[161:162], null, v[144:145], v[144:145], v[146:147]
	v_div_scale_f64 v[167:168], vcc_lo, v[146:147], v[144:145], v[146:147]
	v_rcp_f64_e32 v[163:164], v[161:162]
	s_waitcnt_depctr 0xfff
	v_fma_f64 v[165:166], -v[161:162], v[163:164], 1.0
	s_delay_alu instid0(VALU_DEP_1) | instskip(NEXT) | instid1(VALU_DEP_1)
	v_fma_f64 v[163:164], v[163:164], v[165:166], v[163:164]
	v_fma_f64 v[165:166], -v[161:162], v[163:164], 1.0
	s_delay_alu instid0(VALU_DEP_1) | instskip(NEXT) | instid1(VALU_DEP_1)
	v_fma_f64 v[163:164], v[163:164], v[165:166], v[163:164]
	v_mul_f64 v[165:166], v[167:168], v[163:164]
	s_delay_alu instid0(VALU_DEP_1) | instskip(NEXT) | instid1(VALU_DEP_1)
	v_fma_f64 v[161:162], -v[161:162], v[165:166], v[167:168]
	v_div_fmas_f64 v[161:162], v[161:162], v[163:164], v[165:166]
	s_delay_alu instid0(VALU_DEP_1) | instskip(NEXT) | instid1(VALU_DEP_1)
	v_div_fixup_f64 v[161:162], v[161:162], v[144:145], v[146:147]
	v_fma_f64 v[144:145], v[146:147], v[161:162], v[144:145]
	s_delay_alu instid0(VALU_DEP_1) | instskip(NEXT) | instid1(VALU_DEP_1)
	v_div_scale_f64 v[146:147], null, v[144:145], v[144:145], 1.0
	v_rcp_f64_e32 v[163:164], v[146:147]
	s_waitcnt_depctr 0xfff
	v_fma_f64 v[165:166], -v[146:147], v[163:164], 1.0
	s_delay_alu instid0(VALU_DEP_1) | instskip(NEXT) | instid1(VALU_DEP_1)
	v_fma_f64 v[163:164], v[163:164], v[165:166], v[163:164]
	v_fma_f64 v[165:166], -v[146:147], v[163:164], 1.0
	s_delay_alu instid0(VALU_DEP_1) | instskip(SKIP_1) | instid1(VALU_DEP_1)
	v_fma_f64 v[163:164], v[163:164], v[165:166], v[163:164]
	v_div_scale_f64 v[165:166], vcc_lo, 1.0, v[144:145], 1.0
	v_mul_f64 v[167:168], v[165:166], v[163:164]
	s_delay_alu instid0(VALU_DEP_1) | instskip(NEXT) | instid1(VALU_DEP_1)
	v_fma_f64 v[146:147], -v[146:147], v[167:168], v[165:166]
	v_div_fmas_f64 v[146:147], v[146:147], v[163:164], v[167:168]
	s_delay_alu instid0(VALU_DEP_1) | instskip(NEXT) | instid1(VALU_DEP_1)
	v_div_fixup_f64 v[144:145], v[146:147], v[144:145], 1.0
	v_mul_f64 v[146:147], v[161:162], -v[144:145]
.LBB70_471:
	s_or_b32 exec_lo, exec_lo, s2
.LBB70_472:
	s_delay_alu instid0(SALU_CYCLE_1) | instskip(NEXT) | instid1(SALU_CYCLE_1)
	s_or_b32 exec_lo, exec_lo, s3
	s_mov_b32 s2, exec_lo
	v_cmpx_ne_u32_e64 v160, v152
	s_xor_b32 s2, exec_lo, s2
	s_cbranch_execz .LBB70_478
; %bb.473:
	s_mov_b32 s3, exec_lo
	v_cmpx_eq_u32_e32 22, v160
	s_cbranch_execz .LBB70_477
; %bb.474:
	v_cmp_ne_u32_e32 vcc_lo, 22, v152
	s_xor_b32 s6, s4, -1
	s_delay_alu instid0(SALU_CYCLE_1) | instskip(NEXT) | instid1(SALU_CYCLE_1)
	s_and_b32 s7, s6, vcc_lo
	s_and_saveexec_b32 s6, s7
	s_cbranch_execz .LBB70_476
; %bb.475:
	v_ashrrev_i32_e32 v153, 31, v152
	s_delay_alu instid0(VALU_DEP_1) | instskip(NEXT) | instid1(VALU_DEP_1)
	v_lshlrev_b64 v[160:161], 2, v[152:153]
	v_add_co_u32 v160, vcc_lo, v150, v160
	s_delay_alu instid0(VALU_DEP_2)
	v_add_co_ci_u32_e32 v161, vcc_lo, v151, v161, vcc_lo
	s_clause 0x1
	flat_load_b32 v153, v[160:161]
	flat_load_b32 v158, v[150:151] offset:88
	s_waitcnt vmcnt(1) lgkmcnt(1)
	flat_store_b32 v[150:151], v153 offset:88
	s_waitcnt vmcnt(0) lgkmcnt(1)
	flat_store_b32 v[160:161], v158
.LBB70_476:
	s_or_b32 exec_lo, exec_lo, s6
	v_mov_b32_e32 v160, v152
	v_mov_b32_e32 v158, v152
.LBB70_477:
	s_or_b32 exec_lo, exec_lo, s3
.LBB70_478:
	s_and_not1_saveexec_b32 s2, s2
	s_cbranch_execz .LBB70_480
; %bb.479:
	v_mov_b32_e32 v160, 22
	ds_store_2addr_b64 v154, v[56:57], v[58:59] offset0:46 offset1:47
	ds_store_2addr_b64 v154, v[48:49], v[50:51] offset0:48 offset1:49
	ds_store_2addr_b64 v154, v[44:45], v[46:47] offset0:50 offset1:51
	ds_store_2addr_b64 v154, v[36:37], v[38:39] offset0:52 offset1:53
	ds_store_2addr_b64 v154, v[32:33], v[34:35] offset0:54 offset1:55
	ds_store_2addr_b64 v154, v[28:29], v[30:31] offset0:56 offset1:57
	ds_store_2addr_b64 v154, v[24:25], v[26:27] offset0:58 offset1:59
	ds_store_2addr_b64 v154, v[20:21], v[22:23] offset0:60 offset1:61
	ds_store_2addr_b64 v154, v[16:17], v[18:19] offset0:62 offset1:63
	ds_store_2addr_b64 v154, v[12:13], v[14:15] offset0:64 offset1:65
	ds_store_2addr_b64 v154, v[8:9], v[10:11] offset0:66 offset1:67
	ds_store_2addr_b64 v154, v[4:5], v[6:7] offset0:68 offset1:69
	ds_store_2addr_b64 v154, v[0:1], v[2:3] offset0:70 offset1:71
.LBB70_480:
	s_or_b32 exec_lo, exec_lo, s2
	s_delay_alu instid0(SALU_CYCLE_1)
	s_mov_b32 s2, exec_lo
	s_waitcnt lgkmcnt(0)
	s_waitcnt_vscnt null, 0x0
	s_barrier
	buffer_gl0_inv
	v_cmpx_lt_i32_e32 22, v160
	s_cbranch_execz .LBB70_482
; %bb.481:
	v_mul_f64 v[152:153], v[144:145], v[62:63]
	v_mul_f64 v[62:63], v[146:147], v[62:63]
	s_delay_alu instid0(VALU_DEP_2) | instskip(NEXT) | instid1(VALU_DEP_2)
	v_fma_f64 v[152:153], v[146:147], v[60:61], v[152:153]
	v_fma_f64 v[60:61], v[144:145], v[60:61], -v[62:63]
	ds_load_2addr_b64 v[144:147], v154 offset0:46 offset1:47
	s_waitcnt lgkmcnt(0)
	v_mul_f64 v[62:63], v[146:147], v[152:153]
	s_delay_alu instid0(VALU_DEP_1) | instskip(SKIP_1) | instid1(VALU_DEP_2)
	v_fma_f64 v[62:63], v[144:145], v[60:61], -v[62:63]
	v_mul_f64 v[144:145], v[144:145], v[152:153]
	v_add_f64 v[56:57], v[56:57], -v[62:63]
	s_delay_alu instid0(VALU_DEP_2) | instskip(NEXT) | instid1(VALU_DEP_1)
	v_fma_f64 v[144:145], v[146:147], v[60:61], v[144:145]
	v_add_f64 v[58:59], v[58:59], -v[144:145]
	ds_load_2addr_b64 v[144:147], v154 offset0:48 offset1:49
	s_waitcnt lgkmcnt(0)
	v_mul_f64 v[62:63], v[146:147], v[152:153]
	s_delay_alu instid0(VALU_DEP_1) | instskip(SKIP_1) | instid1(VALU_DEP_2)
	v_fma_f64 v[62:63], v[144:145], v[60:61], -v[62:63]
	v_mul_f64 v[144:145], v[144:145], v[152:153]
	v_add_f64 v[48:49], v[48:49], -v[62:63]
	s_delay_alu instid0(VALU_DEP_2) | instskip(NEXT) | instid1(VALU_DEP_1)
	v_fma_f64 v[144:145], v[146:147], v[60:61], v[144:145]
	v_add_f64 v[50:51], v[50:51], -v[144:145]
	;; [unrolled: 10-line block ×12, first 2 shown]
	ds_load_2addr_b64 v[144:147], v154 offset0:70 offset1:71
	s_waitcnt lgkmcnt(0)
	v_mul_f64 v[62:63], v[146:147], v[152:153]
	s_delay_alu instid0(VALU_DEP_1) | instskip(SKIP_1) | instid1(VALU_DEP_2)
	v_fma_f64 v[62:63], v[144:145], v[60:61], -v[62:63]
	v_mul_f64 v[144:145], v[144:145], v[152:153]
	v_add_f64 v[0:1], v[0:1], -v[62:63]
	s_delay_alu instid0(VALU_DEP_2) | instskip(SKIP_1) | instid1(VALU_DEP_2)
	v_fma_f64 v[144:145], v[146:147], v[60:61], v[144:145]
	v_dual_mov_b32 v62, v152 :: v_dual_mov_b32 v63, v153
	v_add_f64 v[2:3], v[2:3], -v[144:145]
.LBB70_482:
	s_or_b32 exec_lo, exec_lo, s2
	v_lshl_add_u32 v144, v160, 4, v154
	s_barrier
	buffer_gl0_inv
	v_mov_b32_e32 v152, 23
	ds_store_2addr_b64 v144, v[56:57], v[58:59] offset1:1
	s_waitcnt lgkmcnt(0)
	s_barrier
	buffer_gl0_inv
	ds_load_2addr_b64 v[144:147], v154 offset0:46 offset1:47
	s_cmp_lt_i32 s5, 25
	s_cbranch_scc1 .LBB70_485
; %bb.483:
	v_add3_u32 v153, v159, 0, 0x180
	v_mov_b32_e32 v152, 23
	s_mov_b32 s6, 24
	s_set_inst_prefetch_distance 0x1
	.p2align	6
.LBB70_484:                             ; =>This Inner Loop Header: Depth=1
	ds_load_2addr_b64 v[161:164], v153 offset1:1
	s_waitcnt lgkmcnt(1)
	v_cmp_gt_f64_e32 vcc_lo, 0, v[144:145]
	v_xor_b32_e32 v165, 0x80000000, v145
	v_cmp_gt_f64_e64 s2, 0, v[146:147]
	v_xor_b32_e32 v167, 0x80000000, v147
	v_add_nc_u32_e32 v153, 16, v153
	s_waitcnt lgkmcnt(0)
	v_cmp_gt_f64_e64 s3, 0, v[161:162]
	v_mov_b32_e32 v169, v161
	v_dual_mov_b32 v171, v163 :: v_dual_cndmask_b32 v166, v145, v165
	v_xor_b32_e32 v165, 0x80000000, v162
	v_cndmask_b32_e64 v168, v147, v167, s2
	v_xor_b32_e32 v167, 0x80000000, v164
	s_delay_alu instid0(VALU_DEP_3) | instskip(SKIP_2) | instid1(VALU_DEP_2)
	v_cndmask_b32_e64 v170, v162, v165, s3
	v_cmp_gt_f64_e64 s3, 0, v[163:164]
	v_cndmask_b32_e32 v165, v144, v144, vcc_lo
	v_cndmask_b32_e64 v172, v164, v167, s3
	v_cndmask_b32_e64 v167, v146, v146, s2
	s_delay_alu instid0(VALU_DEP_2) | instskip(NEXT) | instid1(VALU_DEP_2)
	v_add_f64 v[169:170], v[169:170], v[171:172]
	v_add_f64 v[165:166], v[165:166], v[167:168]
	s_delay_alu instid0(VALU_DEP_1) | instskip(SKIP_4) | instid1(SALU_CYCLE_1)
	v_cmp_lt_f64_e32 vcc_lo, v[165:166], v[169:170]
	v_dual_cndmask_b32 v146, v146, v163 :: v_dual_cndmask_b32 v145, v145, v162
	v_dual_cndmask_b32 v144, v144, v161 :: v_dual_cndmask_b32 v147, v147, v164
	v_cndmask_b32_e64 v152, v152, s6, vcc_lo
	s_add_i32 s6, s6, 1
	s_cmp_lg_u32 s5, s6
	s_cbranch_scc1 .LBB70_484
.LBB70_485:
	s_set_inst_prefetch_distance 0x2
	s_waitcnt lgkmcnt(0)
	v_cmp_eq_f64_e32 vcc_lo, 0, v[144:145]
	v_cmp_eq_f64_e64 s2, 0, v[146:147]
	s_delay_alu instid0(VALU_DEP_1) | instskip(NEXT) | instid1(SALU_CYCLE_1)
	s_and_b32 s2, vcc_lo, s2
	s_and_saveexec_b32 s3, s2
	s_delay_alu instid0(SALU_CYCLE_1)
	s_xor_b32 s2, exec_lo, s3
; %bb.486:
	v_cmp_ne_u32_e32 vcc_lo, 0, v157
	v_cndmask_b32_e32 v157, 24, v157, vcc_lo
; %bb.487:
	s_and_not1_saveexec_b32 s3, s2
	s_cbranch_execz .LBB70_493
; %bb.488:
	v_cmp_gt_f64_e32 vcc_lo, 0, v[144:145]
	v_cmp_gt_f64_e64 s2, 0, v[146:147]
	v_xor_b32_e32 v153, 0x80000000, v145
	v_xor_b32_e32 v161, 0x80000000, v147
	s_delay_alu instid0(VALU_DEP_2) | instskip(NEXT) | instid1(VALU_DEP_2)
	v_cndmask_b32_e32 v162, v145, v153, vcc_lo
	v_cndmask_b32_e64 v164, v147, v161, s2
	v_cndmask_b32_e32 v161, v144, v144, vcc_lo
	v_cndmask_b32_e64 v163, v146, v146, s2
	s_mov_b32 s2, exec_lo
	s_delay_alu instid0(VALU_DEP_1)
	v_cmpx_ngt_f64_e32 v[161:162], v[163:164]
	s_xor_b32 s2, exec_lo, s2
	s_cbranch_execz .LBB70_490
; %bb.489:
	v_div_scale_f64 v[161:162], null, v[146:147], v[146:147], v[144:145]
	v_div_scale_f64 v[167:168], vcc_lo, v[144:145], v[146:147], v[144:145]
	s_delay_alu instid0(VALU_DEP_2) | instskip(SKIP_2) | instid1(VALU_DEP_1)
	v_rcp_f64_e32 v[163:164], v[161:162]
	s_waitcnt_depctr 0xfff
	v_fma_f64 v[165:166], -v[161:162], v[163:164], 1.0
	v_fma_f64 v[163:164], v[163:164], v[165:166], v[163:164]
	s_delay_alu instid0(VALU_DEP_1) | instskip(NEXT) | instid1(VALU_DEP_1)
	v_fma_f64 v[165:166], -v[161:162], v[163:164], 1.0
	v_fma_f64 v[163:164], v[163:164], v[165:166], v[163:164]
	s_delay_alu instid0(VALU_DEP_1) | instskip(NEXT) | instid1(VALU_DEP_1)
	v_mul_f64 v[165:166], v[167:168], v[163:164]
	v_fma_f64 v[161:162], -v[161:162], v[165:166], v[167:168]
	s_delay_alu instid0(VALU_DEP_1) | instskip(NEXT) | instid1(VALU_DEP_1)
	v_div_fmas_f64 v[161:162], v[161:162], v[163:164], v[165:166]
	v_div_fixup_f64 v[161:162], v[161:162], v[146:147], v[144:145]
	s_delay_alu instid0(VALU_DEP_1) | instskip(NEXT) | instid1(VALU_DEP_1)
	v_fma_f64 v[144:145], v[144:145], v[161:162], v[146:147]
	v_div_scale_f64 v[146:147], null, v[144:145], v[144:145], 1.0
	s_delay_alu instid0(VALU_DEP_1) | instskip(SKIP_2) | instid1(VALU_DEP_1)
	v_rcp_f64_e32 v[163:164], v[146:147]
	s_waitcnt_depctr 0xfff
	v_fma_f64 v[165:166], -v[146:147], v[163:164], 1.0
	v_fma_f64 v[163:164], v[163:164], v[165:166], v[163:164]
	s_delay_alu instid0(VALU_DEP_1) | instskip(NEXT) | instid1(VALU_DEP_1)
	v_fma_f64 v[165:166], -v[146:147], v[163:164], 1.0
	v_fma_f64 v[163:164], v[163:164], v[165:166], v[163:164]
	v_div_scale_f64 v[165:166], vcc_lo, 1.0, v[144:145], 1.0
	s_delay_alu instid0(VALU_DEP_1) | instskip(NEXT) | instid1(VALU_DEP_1)
	v_mul_f64 v[167:168], v[165:166], v[163:164]
	v_fma_f64 v[146:147], -v[146:147], v[167:168], v[165:166]
	s_delay_alu instid0(VALU_DEP_1) | instskip(NEXT) | instid1(VALU_DEP_1)
	v_div_fmas_f64 v[146:147], v[146:147], v[163:164], v[167:168]
	v_div_fixup_f64 v[146:147], v[146:147], v[144:145], 1.0
	s_delay_alu instid0(VALU_DEP_1)
	v_mul_f64 v[144:145], v[161:162], v[146:147]
	v_xor_b32_e32 v147, 0x80000000, v147
.LBB70_490:
	s_and_not1_saveexec_b32 s2, s2
	s_cbranch_execz .LBB70_492
; %bb.491:
	s_delay_alu instid0(VALU_DEP_1) | instskip(SKIP_1) | instid1(VALU_DEP_2)
	v_div_scale_f64 v[161:162], null, v[144:145], v[144:145], v[146:147]
	v_div_scale_f64 v[167:168], vcc_lo, v[146:147], v[144:145], v[146:147]
	v_rcp_f64_e32 v[163:164], v[161:162]
	s_waitcnt_depctr 0xfff
	v_fma_f64 v[165:166], -v[161:162], v[163:164], 1.0
	s_delay_alu instid0(VALU_DEP_1) | instskip(NEXT) | instid1(VALU_DEP_1)
	v_fma_f64 v[163:164], v[163:164], v[165:166], v[163:164]
	v_fma_f64 v[165:166], -v[161:162], v[163:164], 1.0
	s_delay_alu instid0(VALU_DEP_1) | instskip(NEXT) | instid1(VALU_DEP_1)
	v_fma_f64 v[163:164], v[163:164], v[165:166], v[163:164]
	v_mul_f64 v[165:166], v[167:168], v[163:164]
	s_delay_alu instid0(VALU_DEP_1) | instskip(NEXT) | instid1(VALU_DEP_1)
	v_fma_f64 v[161:162], -v[161:162], v[165:166], v[167:168]
	v_div_fmas_f64 v[161:162], v[161:162], v[163:164], v[165:166]
	s_delay_alu instid0(VALU_DEP_1) | instskip(NEXT) | instid1(VALU_DEP_1)
	v_div_fixup_f64 v[161:162], v[161:162], v[144:145], v[146:147]
	v_fma_f64 v[144:145], v[146:147], v[161:162], v[144:145]
	s_delay_alu instid0(VALU_DEP_1) | instskip(NEXT) | instid1(VALU_DEP_1)
	v_div_scale_f64 v[146:147], null, v[144:145], v[144:145], 1.0
	v_rcp_f64_e32 v[163:164], v[146:147]
	s_waitcnt_depctr 0xfff
	v_fma_f64 v[165:166], -v[146:147], v[163:164], 1.0
	s_delay_alu instid0(VALU_DEP_1) | instskip(NEXT) | instid1(VALU_DEP_1)
	v_fma_f64 v[163:164], v[163:164], v[165:166], v[163:164]
	v_fma_f64 v[165:166], -v[146:147], v[163:164], 1.0
	s_delay_alu instid0(VALU_DEP_1) | instskip(SKIP_1) | instid1(VALU_DEP_1)
	v_fma_f64 v[163:164], v[163:164], v[165:166], v[163:164]
	v_div_scale_f64 v[165:166], vcc_lo, 1.0, v[144:145], 1.0
	v_mul_f64 v[167:168], v[165:166], v[163:164]
	s_delay_alu instid0(VALU_DEP_1) | instskip(NEXT) | instid1(VALU_DEP_1)
	v_fma_f64 v[146:147], -v[146:147], v[167:168], v[165:166]
	v_div_fmas_f64 v[146:147], v[146:147], v[163:164], v[167:168]
	s_delay_alu instid0(VALU_DEP_1) | instskip(NEXT) | instid1(VALU_DEP_1)
	v_div_fixup_f64 v[144:145], v[146:147], v[144:145], 1.0
	v_mul_f64 v[146:147], v[161:162], -v[144:145]
.LBB70_492:
	s_or_b32 exec_lo, exec_lo, s2
.LBB70_493:
	s_delay_alu instid0(SALU_CYCLE_1) | instskip(NEXT) | instid1(SALU_CYCLE_1)
	s_or_b32 exec_lo, exec_lo, s3
	s_mov_b32 s2, exec_lo
	v_cmpx_ne_u32_e64 v160, v152
	s_xor_b32 s2, exec_lo, s2
	s_cbranch_execz .LBB70_499
; %bb.494:
	s_mov_b32 s3, exec_lo
	v_cmpx_eq_u32_e32 23, v160
	s_cbranch_execz .LBB70_498
; %bb.495:
	v_cmp_ne_u32_e32 vcc_lo, 23, v152
	s_xor_b32 s6, s4, -1
	s_delay_alu instid0(SALU_CYCLE_1) | instskip(NEXT) | instid1(SALU_CYCLE_1)
	s_and_b32 s7, s6, vcc_lo
	s_and_saveexec_b32 s6, s7
	s_cbranch_execz .LBB70_497
; %bb.496:
	v_ashrrev_i32_e32 v153, 31, v152
	s_delay_alu instid0(VALU_DEP_1) | instskip(NEXT) | instid1(VALU_DEP_1)
	v_lshlrev_b64 v[160:161], 2, v[152:153]
	v_add_co_u32 v160, vcc_lo, v150, v160
	s_delay_alu instid0(VALU_DEP_2)
	v_add_co_ci_u32_e32 v161, vcc_lo, v151, v161, vcc_lo
	s_clause 0x1
	flat_load_b32 v153, v[160:161]
	flat_load_b32 v158, v[150:151] offset:92
	s_waitcnt vmcnt(1) lgkmcnt(1)
	flat_store_b32 v[150:151], v153 offset:92
	s_waitcnt vmcnt(0) lgkmcnt(1)
	flat_store_b32 v[160:161], v158
.LBB70_497:
	s_or_b32 exec_lo, exec_lo, s6
	v_mov_b32_e32 v160, v152
	v_mov_b32_e32 v158, v152
.LBB70_498:
	s_or_b32 exec_lo, exec_lo, s3
.LBB70_499:
	s_and_not1_saveexec_b32 s2, s2
	s_cbranch_execz .LBB70_501
; %bb.500:
	v_mov_b32_e32 v160, 23
	ds_store_2addr_b64 v154, v[48:49], v[50:51] offset0:48 offset1:49
	ds_store_2addr_b64 v154, v[44:45], v[46:47] offset0:50 offset1:51
	;; [unrolled: 1-line block ×12, first 2 shown]
.LBB70_501:
	s_or_b32 exec_lo, exec_lo, s2
	s_delay_alu instid0(SALU_CYCLE_1)
	s_mov_b32 s2, exec_lo
	s_waitcnt lgkmcnt(0)
	s_waitcnt_vscnt null, 0x0
	s_barrier
	buffer_gl0_inv
	v_cmpx_lt_i32_e32 23, v160
	s_cbranch_execz .LBB70_503
; %bb.502:
	v_mul_f64 v[152:153], v[144:145], v[58:59]
	v_mul_f64 v[58:59], v[146:147], v[58:59]
	ds_load_2addr_b64 v[161:164], v154 offset0:48 offset1:49
	ds_load_2addr_b64 v[165:168], v154 offset0:50 offset1:51
	;; [unrolled: 1-line block ×12, first 2 shown]
	v_fma_f64 v[146:147], v[146:147], v[56:57], v[152:153]
	v_fma_f64 v[56:57], v[144:145], v[56:57], -v[58:59]
	s_waitcnt lgkmcnt(11)
	s_delay_alu instid0(VALU_DEP_2)
	v_mul_f64 v[58:59], v[163:164], v[146:147]
	v_mul_f64 v[144:145], v[161:162], v[146:147]
	s_waitcnt lgkmcnt(10)
	v_mul_f64 v[152:153], v[167:168], v[146:147]
	v_mul_f64 v[209:210], v[165:166], v[146:147]
	s_waitcnt lgkmcnt(9)
	;; [unrolled: 3-line block ×11, first 2 shown]
	v_mul_f64 v[247:248], v[207:208], v[146:147]
	v_mul_f64 v[249:250], v[205:206], v[146:147]
	v_fma_f64 v[58:59], v[161:162], v[56:57], -v[58:59]
	v_fma_f64 v[144:145], v[163:164], v[56:57], v[144:145]
	v_fma_f64 v[152:153], v[165:166], v[56:57], -v[152:153]
	v_fma_f64 v[161:162], v[167:168], v[56:57], v[209:210]
	;; [unrolled: 2-line block ×12, first 2 shown]
	v_add_f64 v[48:49], v[48:49], -v[58:59]
	v_add_f64 v[50:51], v[50:51], -v[144:145]
	;; [unrolled: 1-line block ×24, first 2 shown]
	v_dual_mov_b32 v58, v146 :: v_dual_mov_b32 v59, v147
.LBB70_503:
	s_or_b32 exec_lo, exec_lo, s2
	v_lshl_add_u32 v144, v160, 4, v154
	s_barrier
	buffer_gl0_inv
	v_mov_b32_e32 v152, 24
	ds_store_2addr_b64 v144, v[48:49], v[50:51] offset1:1
	s_waitcnt lgkmcnt(0)
	s_barrier
	buffer_gl0_inv
	ds_load_2addr_b64 v[144:147], v154 offset0:48 offset1:49
	s_cmp_lt_i32 s5, 26
	s_cbranch_scc1 .LBB70_506
; %bb.504:
	v_add3_u32 v153, v159, 0, 0x190
	v_mov_b32_e32 v152, 24
	s_mov_b32 s6, 25
	s_set_inst_prefetch_distance 0x1
	.p2align	6
.LBB70_505:                             ; =>This Inner Loop Header: Depth=1
	ds_load_2addr_b64 v[161:164], v153 offset1:1
	s_waitcnt lgkmcnt(1)
	v_cmp_gt_f64_e32 vcc_lo, 0, v[144:145]
	v_xor_b32_e32 v165, 0x80000000, v145
	v_cmp_gt_f64_e64 s2, 0, v[146:147]
	v_xor_b32_e32 v167, 0x80000000, v147
	v_add_nc_u32_e32 v153, 16, v153
	s_waitcnt lgkmcnt(0)
	v_cmp_gt_f64_e64 s3, 0, v[161:162]
	v_mov_b32_e32 v169, v161
	v_dual_mov_b32 v171, v163 :: v_dual_cndmask_b32 v166, v145, v165
	v_xor_b32_e32 v165, 0x80000000, v162
	v_cndmask_b32_e64 v168, v147, v167, s2
	v_xor_b32_e32 v167, 0x80000000, v164
	s_delay_alu instid0(VALU_DEP_3) | instskip(SKIP_2) | instid1(VALU_DEP_2)
	v_cndmask_b32_e64 v170, v162, v165, s3
	v_cmp_gt_f64_e64 s3, 0, v[163:164]
	v_cndmask_b32_e32 v165, v144, v144, vcc_lo
	v_cndmask_b32_e64 v172, v164, v167, s3
	v_cndmask_b32_e64 v167, v146, v146, s2
	s_delay_alu instid0(VALU_DEP_2) | instskip(NEXT) | instid1(VALU_DEP_2)
	v_add_f64 v[169:170], v[169:170], v[171:172]
	v_add_f64 v[165:166], v[165:166], v[167:168]
	s_delay_alu instid0(VALU_DEP_1) | instskip(SKIP_4) | instid1(SALU_CYCLE_1)
	v_cmp_lt_f64_e32 vcc_lo, v[165:166], v[169:170]
	v_dual_cndmask_b32 v146, v146, v163 :: v_dual_cndmask_b32 v145, v145, v162
	v_dual_cndmask_b32 v144, v144, v161 :: v_dual_cndmask_b32 v147, v147, v164
	v_cndmask_b32_e64 v152, v152, s6, vcc_lo
	s_add_i32 s6, s6, 1
	s_cmp_lg_u32 s5, s6
	s_cbranch_scc1 .LBB70_505
.LBB70_506:
	s_set_inst_prefetch_distance 0x2
	s_waitcnt lgkmcnt(0)
	v_cmp_eq_f64_e32 vcc_lo, 0, v[144:145]
	v_cmp_eq_f64_e64 s2, 0, v[146:147]
	s_delay_alu instid0(VALU_DEP_1) | instskip(NEXT) | instid1(SALU_CYCLE_1)
	s_and_b32 s2, vcc_lo, s2
	s_and_saveexec_b32 s3, s2
	s_delay_alu instid0(SALU_CYCLE_1)
	s_xor_b32 s2, exec_lo, s3
; %bb.507:
	v_cmp_ne_u32_e32 vcc_lo, 0, v157
	v_cndmask_b32_e32 v157, 25, v157, vcc_lo
; %bb.508:
	s_and_not1_saveexec_b32 s3, s2
	s_cbranch_execz .LBB70_514
; %bb.509:
	v_cmp_gt_f64_e32 vcc_lo, 0, v[144:145]
	v_cmp_gt_f64_e64 s2, 0, v[146:147]
	v_xor_b32_e32 v153, 0x80000000, v145
	v_xor_b32_e32 v161, 0x80000000, v147
	s_delay_alu instid0(VALU_DEP_2) | instskip(NEXT) | instid1(VALU_DEP_2)
	v_cndmask_b32_e32 v162, v145, v153, vcc_lo
	v_cndmask_b32_e64 v164, v147, v161, s2
	v_cndmask_b32_e32 v161, v144, v144, vcc_lo
	v_cndmask_b32_e64 v163, v146, v146, s2
	s_mov_b32 s2, exec_lo
	s_delay_alu instid0(VALU_DEP_1)
	v_cmpx_ngt_f64_e32 v[161:162], v[163:164]
	s_xor_b32 s2, exec_lo, s2
	s_cbranch_execz .LBB70_511
; %bb.510:
	v_div_scale_f64 v[161:162], null, v[146:147], v[146:147], v[144:145]
	v_div_scale_f64 v[167:168], vcc_lo, v[144:145], v[146:147], v[144:145]
	s_delay_alu instid0(VALU_DEP_2) | instskip(SKIP_2) | instid1(VALU_DEP_1)
	v_rcp_f64_e32 v[163:164], v[161:162]
	s_waitcnt_depctr 0xfff
	v_fma_f64 v[165:166], -v[161:162], v[163:164], 1.0
	v_fma_f64 v[163:164], v[163:164], v[165:166], v[163:164]
	s_delay_alu instid0(VALU_DEP_1) | instskip(NEXT) | instid1(VALU_DEP_1)
	v_fma_f64 v[165:166], -v[161:162], v[163:164], 1.0
	v_fma_f64 v[163:164], v[163:164], v[165:166], v[163:164]
	s_delay_alu instid0(VALU_DEP_1) | instskip(NEXT) | instid1(VALU_DEP_1)
	v_mul_f64 v[165:166], v[167:168], v[163:164]
	v_fma_f64 v[161:162], -v[161:162], v[165:166], v[167:168]
	s_delay_alu instid0(VALU_DEP_1) | instskip(NEXT) | instid1(VALU_DEP_1)
	v_div_fmas_f64 v[161:162], v[161:162], v[163:164], v[165:166]
	v_div_fixup_f64 v[161:162], v[161:162], v[146:147], v[144:145]
	s_delay_alu instid0(VALU_DEP_1) | instskip(NEXT) | instid1(VALU_DEP_1)
	v_fma_f64 v[144:145], v[144:145], v[161:162], v[146:147]
	v_div_scale_f64 v[146:147], null, v[144:145], v[144:145], 1.0
	s_delay_alu instid0(VALU_DEP_1) | instskip(SKIP_2) | instid1(VALU_DEP_1)
	v_rcp_f64_e32 v[163:164], v[146:147]
	s_waitcnt_depctr 0xfff
	v_fma_f64 v[165:166], -v[146:147], v[163:164], 1.0
	v_fma_f64 v[163:164], v[163:164], v[165:166], v[163:164]
	s_delay_alu instid0(VALU_DEP_1) | instskip(NEXT) | instid1(VALU_DEP_1)
	v_fma_f64 v[165:166], -v[146:147], v[163:164], 1.0
	v_fma_f64 v[163:164], v[163:164], v[165:166], v[163:164]
	v_div_scale_f64 v[165:166], vcc_lo, 1.0, v[144:145], 1.0
	s_delay_alu instid0(VALU_DEP_1) | instskip(NEXT) | instid1(VALU_DEP_1)
	v_mul_f64 v[167:168], v[165:166], v[163:164]
	v_fma_f64 v[146:147], -v[146:147], v[167:168], v[165:166]
	s_delay_alu instid0(VALU_DEP_1) | instskip(NEXT) | instid1(VALU_DEP_1)
	v_div_fmas_f64 v[146:147], v[146:147], v[163:164], v[167:168]
	v_div_fixup_f64 v[146:147], v[146:147], v[144:145], 1.0
	s_delay_alu instid0(VALU_DEP_1)
	v_mul_f64 v[144:145], v[161:162], v[146:147]
	v_xor_b32_e32 v147, 0x80000000, v147
.LBB70_511:
	s_and_not1_saveexec_b32 s2, s2
	s_cbranch_execz .LBB70_513
; %bb.512:
	s_delay_alu instid0(VALU_DEP_1) | instskip(SKIP_1) | instid1(VALU_DEP_2)
	v_div_scale_f64 v[161:162], null, v[144:145], v[144:145], v[146:147]
	v_div_scale_f64 v[167:168], vcc_lo, v[146:147], v[144:145], v[146:147]
	v_rcp_f64_e32 v[163:164], v[161:162]
	s_waitcnt_depctr 0xfff
	v_fma_f64 v[165:166], -v[161:162], v[163:164], 1.0
	s_delay_alu instid0(VALU_DEP_1) | instskip(NEXT) | instid1(VALU_DEP_1)
	v_fma_f64 v[163:164], v[163:164], v[165:166], v[163:164]
	v_fma_f64 v[165:166], -v[161:162], v[163:164], 1.0
	s_delay_alu instid0(VALU_DEP_1) | instskip(NEXT) | instid1(VALU_DEP_1)
	v_fma_f64 v[163:164], v[163:164], v[165:166], v[163:164]
	v_mul_f64 v[165:166], v[167:168], v[163:164]
	s_delay_alu instid0(VALU_DEP_1) | instskip(NEXT) | instid1(VALU_DEP_1)
	v_fma_f64 v[161:162], -v[161:162], v[165:166], v[167:168]
	v_div_fmas_f64 v[161:162], v[161:162], v[163:164], v[165:166]
	s_delay_alu instid0(VALU_DEP_1) | instskip(NEXT) | instid1(VALU_DEP_1)
	v_div_fixup_f64 v[161:162], v[161:162], v[144:145], v[146:147]
	v_fma_f64 v[144:145], v[146:147], v[161:162], v[144:145]
	s_delay_alu instid0(VALU_DEP_1) | instskip(NEXT) | instid1(VALU_DEP_1)
	v_div_scale_f64 v[146:147], null, v[144:145], v[144:145], 1.0
	v_rcp_f64_e32 v[163:164], v[146:147]
	s_waitcnt_depctr 0xfff
	v_fma_f64 v[165:166], -v[146:147], v[163:164], 1.0
	s_delay_alu instid0(VALU_DEP_1) | instskip(NEXT) | instid1(VALU_DEP_1)
	v_fma_f64 v[163:164], v[163:164], v[165:166], v[163:164]
	v_fma_f64 v[165:166], -v[146:147], v[163:164], 1.0
	s_delay_alu instid0(VALU_DEP_1) | instskip(SKIP_1) | instid1(VALU_DEP_1)
	v_fma_f64 v[163:164], v[163:164], v[165:166], v[163:164]
	v_div_scale_f64 v[165:166], vcc_lo, 1.0, v[144:145], 1.0
	v_mul_f64 v[167:168], v[165:166], v[163:164]
	s_delay_alu instid0(VALU_DEP_1) | instskip(NEXT) | instid1(VALU_DEP_1)
	v_fma_f64 v[146:147], -v[146:147], v[167:168], v[165:166]
	v_div_fmas_f64 v[146:147], v[146:147], v[163:164], v[167:168]
	s_delay_alu instid0(VALU_DEP_1) | instskip(NEXT) | instid1(VALU_DEP_1)
	v_div_fixup_f64 v[144:145], v[146:147], v[144:145], 1.0
	v_mul_f64 v[146:147], v[161:162], -v[144:145]
.LBB70_513:
	s_or_b32 exec_lo, exec_lo, s2
.LBB70_514:
	s_delay_alu instid0(SALU_CYCLE_1) | instskip(NEXT) | instid1(SALU_CYCLE_1)
	s_or_b32 exec_lo, exec_lo, s3
	s_mov_b32 s2, exec_lo
	v_cmpx_ne_u32_e64 v160, v152
	s_xor_b32 s2, exec_lo, s2
	s_cbranch_execz .LBB70_520
; %bb.515:
	s_mov_b32 s3, exec_lo
	v_cmpx_eq_u32_e32 24, v160
	s_cbranch_execz .LBB70_519
; %bb.516:
	v_cmp_ne_u32_e32 vcc_lo, 24, v152
	s_xor_b32 s6, s4, -1
	s_delay_alu instid0(SALU_CYCLE_1) | instskip(NEXT) | instid1(SALU_CYCLE_1)
	s_and_b32 s7, s6, vcc_lo
	s_and_saveexec_b32 s6, s7
	s_cbranch_execz .LBB70_518
; %bb.517:
	v_ashrrev_i32_e32 v153, 31, v152
	s_delay_alu instid0(VALU_DEP_1) | instskip(NEXT) | instid1(VALU_DEP_1)
	v_lshlrev_b64 v[160:161], 2, v[152:153]
	v_add_co_u32 v160, vcc_lo, v150, v160
	s_delay_alu instid0(VALU_DEP_2)
	v_add_co_ci_u32_e32 v161, vcc_lo, v151, v161, vcc_lo
	s_clause 0x1
	flat_load_b32 v153, v[160:161]
	flat_load_b32 v158, v[150:151] offset:96
	s_waitcnt vmcnt(1) lgkmcnt(1)
	flat_store_b32 v[150:151], v153 offset:96
	s_waitcnt vmcnt(0) lgkmcnt(1)
	flat_store_b32 v[160:161], v158
.LBB70_518:
	s_or_b32 exec_lo, exec_lo, s6
	v_mov_b32_e32 v160, v152
	v_mov_b32_e32 v158, v152
.LBB70_519:
	s_or_b32 exec_lo, exec_lo, s3
.LBB70_520:
	s_and_not1_saveexec_b32 s2, s2
	s_cbranch_execz .LBB70_522
; %bb.521:
	v_mov_b32_e32 v160, 24
	ds_store_2addr_b64 v154, v[44:45], v[46:47] offset0:50 offset1:51
	ds_store_2addr_b64 v154, v[36:37], v[38:39] offset0:52 offset1:53
	ds_store_2addr_b64 v154, v[32:33], v[34:35] offset0:54 offset1:55
	ds_store_2addr_b64 v154, v[28:29], v[30:31] offset0:56 offset1:57
	ds_store_2addr_b64 v154, v[24:25], v[26:27] offset0:58 offset1:59
	ds_store_2addr_b64 v154, v[20:21], v[22:23] offset0:60 offset1:61
	ds_store_2addr_b64 v154, v[16:17], v[18:19] offset0:62 offset1:63
	ds_store_2addr_b64 v154, v[12:13], v[14:15] offset0:64 offset1:65
	ds_store_2addr_b64 v154, v[8:9], v[10:11] offset0:66 offset1:67
	ds_store_2addr_b64 v154, v[4:5], v[6:7] offset0:68 offset1:69
	ds_store_2addr_b64 v154, v[0:1], v[2:3] offset0:70 offset1:71
.LBB70_522:
	s_or_b32 exec_lo, exec_lo, s2
	s_delay_alu instid0(SALU_CYCLE_1)
	s_mov_b32 s2, exec_lo
	s_waitcnt lgkmcnt(0)
	s_waitcnt_vscnt null, 0x0
	s_barrier
	buffer_gl0_inv
	v_cmpx_lt_i32_e32 24, v160
	s_cbranch_execz .LBB70_524
; %bb.523:
	v_mul_f64 v[152:153], v[144:145], v[50:51]
	v_mul_f64 v[50:51], v[146:147], v[50:51]
	ds_load_2addr_b64 v[161:164], v154 offset0:50 offset1:51
	ds_load_2addr_b64 v[165:168], v154 offset0:52 offset1:53
	;; [unrolled: 1-line block ×11, first 2 shown]
	v_fma_f64 v[146:147], v[146:147], v[48:49], v[152:153]
	v_fma_f64 v[48:49], v[144:145], v[48:49], -v[50:51]
	s_waitcnt lgkmcnt(10)
	s_delay_alu instid0(VALU_DEP_2)
	v_mul_f64 v[50:51], v[163:164], v[146:147]
	v_mul_f64 v[144:145], v[161:162], v[146:147]
	s_waitcnt lgkmcnt(9)
	v_mul_f64 v[152:153], v[167:168], v[146:147]
	v_mul_f64 v[205:206], v[165:166], v[146:147]
	s_waitcnt lgkmcnt(8)
	;; [unrolled: 3-line block ×10, first 2 shown]
	v_mul_f64 v[239:240], v[203:204], v[146:147]
	v_mul_f64 v[241:242], v[201:202], v[146:147]
	v_fma_f64 v[50:51], v[161:162], v[48:49], -v[50:51]
	v_fma_f64 v[144:145], v[163:164], v[48:49], v[144:145]
	v_fma_f64 v[152:153], v[165:166], v[48:49], -v[152:153]
	v_fma_f64 v[161:162], v[167:168], v[48:49], v[205:206]
	;; [unrolled: 2-line block ×11, first 2 shown]
	v_add_f64 v[44:45], v[44:45], -v[50:51]
	v_add_f64 v[46:47], v[46:47], -v[144:145]
	;; [unrolled: 1-line block ×22, first 2 shown]
	v_dual_mov_b32 v50, v146 :: v_dual_mov_b32 v51, v147
.LBB70_524:
	s_or_b32 exec_lo, exec_lo, s2
	v_lshl_add_u32 v144, v160, 4, v154
	s_barrier
	buffer_gl0_inv
	v_mov_b32_e32 v152, 25
	ds_store_2addr_b64 v144, v[44:45], v[46:47] offset1:1
	s_waitcnt lgkmcnt(0)
	s_barrier
	buffer_gl0_inv
	ds_load_2addr_b64 v[144:147], v154 offset0:50 offset1:51
	s_cmp_lt_i32 s5, 27
	s_cbranch_scc1 .LBB70_527
; %bb.525:
	v_add3_u32 v153, v159, 0, 0x1a0
	v_mov_b32_e32 v152, 25
	s_mov_b32 s6, 26
	s_set_inst_prefetch_distance 0x1
	.p2align	6
.LBB70_526:                             ; =>This Inner Loop Header: Depth=1
	ds_load_2addr_b64 v[161:164], v153 offset1:1
	s_waitcnt lgkmcnt(1)
	v_cmp_gt_f64_e32 vcc_lo, 0, v[144:145]
	v_xor_b32_e32 v165, 0x80000000, v145
	v_cmp_gt_f64_e64 s2, 0, v[146:147]
	v_xor_b32_e32 v167, 0x80000000, v147
	v_add_nc_u32_e32 v153, 16, v153
	s_waitcnt lgkmcnt(0)
	v_cmp_gt_f64_e64 s3, 0, v[161:162]
	v_mov_b32_e32 v169, v161
	v_dual_mov_b32 v171, v163 :: v_dual_cndmask_b32 v166, v145, v165
	v_xor_b32_e32 v165, 0x80000000, v162
	v_cndmask_b32_e64 v168, v147, v167, s2
	v_xor_b32_e32 v167, 0x80000000, v164
	s_delay_alu instid0(VALU_DEP_3) | instskip(SKIP_2) | instid1(VALU_DEP_2)
	v_cndmask_b32_e64 v170, v162, v165, s3
	v_cmp_gt_f64_e64 s3, 0, v[163:164]
	v_cndmask_b32_e32 v165, v144, v144, vcc_lo
	v_cndmask_b32_e64 v172, v164, v167, s3
	v_cndmask_b32_e64 v167, v146, v146, s2
	s_delay_alu instid0(VALU_DEP_2) | instskip(NEXT) | instid1(VALU_DEP_2)
	v_add_f64 v[169:170], v[169:170], v[171:172]
	v_add_f64 v[165:166], v[165:166], v[167:168]
	s_delay_alu instid0(VALU_DEP_1) | instskip(SKIP_4) | instid1(SALU_CYCLE_1)
	v_cmp_lt_f64_e32 vcc_lo, v[165:166], v[169:170]
	v_dual_cndmask_b32 v146, v146, v163 :: v_dual_cndmask_b32 v145, v145, v162
	v_dual_cndmask_b32 v144, v144, v161 :: v_dual_cndmask_b32 v147, v147, v164
	v_cndmask_b32_e64 v152, v152, s6, vcc_lo
	s_add_i32 s6, s6, 1
	s_cmp_lg_u32 s5, s6
	s_cbranch_scc1 .LBB70_526
.LBB70_527:
	s_set_inst_prefetch_distance 0x2
	s_waitcnt lgkmcnt(0)
	v_cmp_eq_f64_e32 vcc_lo, 0, v[144:145]
	v_cmp_eq_f64_e64 s2, 0, v[146:147]
	s_delay_alu instid0(VALU_DEP_1) | instskip(NEXT) | instid1(SALU_CYCLE_1)
	s_and_b32 s2, vcc_lo, s2
	s_and_saveexec_b32 s3, s2
	s_delay_alu instid0(SALU_CYCLE_1)
	s_xor_b32 s2, exec_lo, s3
; %bb.528:
	v_cmp_ne_u32_e32 vcc_lo, 0, v157
	v_cndmask_b32_e32 v157, 26, v157, vcc_lo
; %bb.529:
	s_and_not1_saveexec_b32 s3, s2
	s_cbranch_execz .LBB70_535
; %bb.530:
	v_cmp_gt_f64_e32 vcc_lo, 0, v[144:145]
	v_cmp_gt_f64_e64 s2, 0, v[146:147]
	v_xor_b32_e32 v153, 0x80000000, v145
	v_xor_b32_e32 v161, 0x80000000, v147
	s_delay_alu instid0(VALU_DEP_2) | instskip(NEXT) | instid1(VALU_DEP_2)
	v_cndmask_b32_e32 v162, v145, v153, vcc_lo
	v_cndmask_b32_e64 v164, v147, v161, s2
	v_cndmask_b32_e32 v161, v144, v144, vcc_lo
	v_cndmask_b32_e64 v163, v146, v146, s2
	s_mov_b32 s2, exec_lo
	s_delay_alu instid0(VALU_DEP_1)
	v_cmpx_ngt_f64_e32 v[161:162], v[163:164]
	s_xor_b32 s2, exec_lo, s2
	s_cbranch_execz .LBB70_532
; %bb.531:
	v_div_scale_f64 v[161:162], null, v[146:147], v[146:147], v[144:145]
	v_div_scale_f64 v[167:168], vcc_lo, v[144:145], v[146:147], v[144:145]
	s_delay_alu instid0(VALU_DEP_2) | instskip(SKIP_2) | instid1(VALU_DEP_1)
	v_rcp_f64_e32 v[163:164], v[161:162]
	s_waitcnt_depctr 0xfff
	v_fma_f64 v[165:166], -v[161:162], v[163:164], 1.0
	v_fma_f64 v[163:164], v[163:164], v[165:166], v[163:164]
	s_delay_alu instid0(VALU_DEP_1) | instskip(NEXT) | instid1(VALU_DEP_1)
	v_fma_f64 v[165:166], -v[161:162], v[163:164], 1.0
	v_fma_f64 v[163:164], v[163:164], v[165:166], v[163:164]
	s_delay_alu instid0(VALU_DEP_1) | instskip(NEXT) | instid1(VALU_DEP_1)
	v_mul_f64 v[165:166], v[167:168], v[163:164]
	v_fma_f64 v[161:162], -v[161:162], v[165:166], v[167:168]
	s_delay_alu instid0(VALU_DEP_1) | instskip(NEXT) | instid1(VALU_DEP_1)
	v_div_fmas_f64 v[161:162], v[161:162], v[163:164], v[165:166]
	v_div_fixup_f64 v[161:162], v[161:162], v[146:147], v[144:145]
	s_delay_alu instid0(VALU_DEP_1) | instskip(NEXT) | instid1(VALU_DEP_1)
	v_fma_f64 v[144:145], v[144:145], v[161:162], v[146:147]
	v_div_scale_f64 v[146:147], null, v[144:145], v[144:145], 1.0
	s_delay_alu instid0(VALU_DEP_1) | instskip(SKIP_2) | instid1(VALU_DEP_1)
	v_rcp_f64_e32 v[163:164], v[146:147]
	s_waitcnt_depctr 0xfff
	v_fma_f64 v[165:166], -v[146:147], v[163:164], 1.0
	v_fma_f64 v[163:164], v[163:164], v[165:166], v[163:164]
	s_delay_alu instid0(VALU_DEP_1) | instskip(NEXT) | instid1(VALU_DEP_1)
	v_fma_f64 v[165:166], -v[146:147], v[163:164], 1.0
	v_fma_f64 v[163:164], v[163:164], v[165:166], v[163:164]
	v_div_scale_f64 v[165:166], vcc_lo, 1.0, v[144:145], 1.0
	s_delay_alu instid0(VALU_DEP_1) | instskip(NEXT) | instid1(VALU_DEP_1)
	v_mul_f64 v[167:168], v[165:166], v[163:164]
	v_fma_f64 v[146:147], -v[146:147], v[167:168], v[165:166]
	s_delay_alu instid0(VALU_DEP_1) | instskip(NEXT) | instid1(VALU_DEP_1)
	v_div_fmas_f64 v[146:147], v[146:147], v[163:164], v[167:168]
	v_div_fixup_f64 v[146:147], v[146:147], v[144:145], 1.0
	s_delay_alu instid0(VALU_DEP_1)
	v_mul_f64 v[144:145], v[161:162], v[146:147]
	v_xor_b32_e32 v147, 0x80000000, v147
.LBB70_532:
	s_and_not1_saveexec_b32 s2, s2
	s_cbranch_execz .LBB70_534
; %bb.533:
	s_delay_alu instid0(VALU_DEP_1) | instskip(SKIP_1) | instid1(VALU_DEP_2)
	v_div_scale_f64 v[161:162], null, v[144:145], v[144:145], v[146:147]
	v_div_scale_f64 v[167:168], vcc_lo, v[146:147], v[144:145], v[146:147]
	v_rcp_f64_e32 v[163:164], v[161:162]
	s_waitcnt_depctr 0xfff
	v_fma_f64 v[165:166], -v[161:162], v[163:164], 1.0
	s_delay_alu instid0(VALU_DEP_1) | instskip(NEXT) | instid1(VALU_DEP_1)
	v_fma_f64 v[163:164], v[163:164], v[165:166], v[163:164]
	v_fma_f64 v[165:166], -v[161:162], v[163:164], 1.0
	s_delay_alu instid0(VALU_DEP_1) | instskip(NEXT) | instid1(VALU_DEP_1)
	v_fma_f64 v[163:164], v[163:164], v[165:166], v[163:164]
	v_mul_f64 v[165:166], v[167:168], v[163:164]
	s_delay_alu instid0(VALU_DEP_1) | instskip(NEXT) | instid1(VALU_DEP_1)
	v_fma_f64 v[161:162], -v[161:162], v[165:166], v[167:168]
	v_div_fmas_f64 v[161:162], v[161:162], v[163:164], v[165:166]
	s_delay_alu instid0(VALU_DEP_1) | instskip(NEXT) | instid1(VALU_DEP_1)
	v_div_fixup_f64 v[161:162], v[161:162], v[144:145], v[146:147]
	v_fma_f64 v[144:145], v[146:147], v[161:162], v[144:145]
	s_delay_alu instid0(VALU_DEP_1) | instskip(NEXT) | instid1(VALU_DEP_1)
	v_div_scale_f64 v[146:147], null, v[144:145], v[144:145], 1.0
	v_rcp_f64_e32 v[163:164], v[146:147]
	s_waitcnt_depctr 0xfff
	v_fma_f64 v[165:166], -v[146:147], v[163:164], 1.0
	s_delay_alu instid0(VALU_DEP_1) | instskip(NEXT) | instid1(VALU_DEP_1)
	v_fma_f64 v[163:164], v[163:164], v[165:166], v[163:164]
	v_fma_f64 v[165:166], -v[146:147], v[163:164], 1.0
	s_delay_alu instid0(VALU_DEP_1) | instskip(SKIP_1) | instid1(VALU_DEP_1)
	v_fma_f64 v[163:164], v[163:164], v[165:166], v[163:164]
	v_div_scale_f64 v[165:166], vcc_lo, 1.0, v[144:145], 1.0
	v_mul_f64 v[167:168], v[165:166], v[163:164]
	s_delay_alu instid0(VALU_DEP_1) | instskip(NEXT) | instid1(VALU_DEP_1)
	v_fma_f64 v[146:147], -v[146:147], v[167:168], v[165:166]
	v_div_fmas_f64 v[146:147], v[146:147], v[163:164], v[167:168]
	s_delay_alu instid0(VALU_DEP_1) | instskip(NEXT) | instid1(VALU_DEP_1)
	v_div_fixup_f64 v[144:145], v[146:147], v[144:145], 1.0
	v_mul_f64 v[146:147], v[161:162], -v[144:145]
.LBB70_534:
	s_or_b32 exec_lo, exec_lo, s2
.LBB70_535:
	s_delay_alu instid0(SALU_CYCLE_1) | instskip(NEXT) | instid1(SALU_CYCLE_1)
	s_or_b32 exec_lo, exec_lo, s3
	s_mov_b32 s2, exec_lo
	v_cmpx_ne_u32_e64 v160, v152
	s_xor_b32 s2, exec_lo, s2
	s_cbranch_execz .LBB70_541
; %bb.536:
	s_mov_b32 s3, exec_lo
	v_cmpx_eq_u32_e32 25, v160
	s_cbranch_execz .LBB70_540
; %bb.537:
	v_cmp_ne_u32_e32 vcc_lo, 25, v152
	s_xor_b32 s6, s4, -1
	s_delay_alu instid0(SALU_CYCLE_1) | instskip(NEXT) | instid1(SALU_CYCLE_1)
	s_and_b32 s7, s6, vcc_lo
	s_and_saveexec_b32 s6, s7
	s_cbranch_execz .LBB70_539
; %bb.538:
	v_ashrrev_i32_e32 v153, 31, v152
	s_delay_alu instid0(VALU_DEP_1) | instskip(NEXT) | instid1(VALU_DEP_1)
	v_lshlrev_b64 v[160:161], 2, v[152:153]
	v_add_co_u32 v160, vcc_lo, v150, v160
	s_delay_alu instid0(VALU_DEP_2)
	v_add_co_ci_u32_e32 v161, vcc_lo, v151, v161, vcc_lo
	s_clause 0x1
	flat_load_b32 v153, v[160:161]
	flat_load_b32 v158, v[150:151] offset:100
	s_waitcnt vmcnt(1) lgkmcnt(1)
	flat_store_b32 v[150:151], v153 offset:100
	s_waitcnt vmcnt(0) lgkmcnt(1)
	flat_store_b32 v[160:161], v158
.LBB70_539:
	s_or_b32 exec_lo, exec_lo, s6
	v_mov_b32_e32 v160, v152
	v_mov_b32_e32 v158, v152
.LBB70_540:
	s_or_b32 exec_lo, exec_lo, s3
.LBB70_541:
	s_and_not1_saveexec_b32 s2, s2
	s_cbranch_execz .LBB70_543
; %bb.542:
	v_mov_b32_e32 v160, 25
	ds_store_2addr_b64 v154, v[36:37], v[38:39] offset0:52 offset1:53
	ds_store_2addr_b64 v154, v[32:33], v[34:35] offset0:54 offset1:55
	;; [unrolled: 1-line block ×10, first 2 shown]
.LBB70_543:
	s_or_b32 exec_lo, exec_lo, s2
	s_delay_alu instid0(SALU_CYCLE_1)
	s_mov_b32 s2, exec_lo
	s_waitcnt lgkmcnt(0)
	s_waitcnt_vscnt null, 0x0
	s_barrier
	buffer_gl0_inv
	v_cmpx_lt_i32_e32 25, v160
	s_cbranch_execz .LBB70_545
; %bb.544:
	v_mul_f64 v[152:153], v[144:145], v[46:47]
	v_mul_f64 v[46:47], v[146:147], v[46:47]
	ds_load_2addr_b64 v[161:164], v154 offset0:52 offset1:53
	ds_load_2addr_b64 v[165:168], v154 offset0:54 offset1:55
	;; [unrolled: 1-line block ×10, first 2 shown]
	v_fma_f64 v[146:147], v[146:147], v[44:45], v[152:153]
	v_fma_f64 v[44:45], v[144:145], v[44:45], -v[46:47]
	s_waitcnt lgkmcnt(9)
	s_delay_alu instid0(VALU_DEP_2)
	v_mul_f64 v[46:47], v[163:164], v[146:147]
	v_mul_f64 v[144:145], v[161:162], v[146:147]
	s_waitcnt lgkmcnt(8)
	v_mul_f64 v[152:153], v[167:168], v[146:147]
	v_mul_f64 v[201:202], v[165:166], v[146:147]
	s_waitcnt lgkmcnt(7)
	;; [unrolled: 3-line block ×9, first 2 shown]
	v_mul_f64 v[231:232], v[199:200], v[146:147]
	v_mul_f64 v[233:234], v[197:198], v[146:147]
	v_fma_f64 v[46:47], v[161:162], v[44:45], -v[46:47]
	v_fma_f64 v[144:145], v[163:164], v[44:45], v[144:145]
	v_fma_f64 v[152:153], v[165:166], v[44:45], -v[152:153]
	v_fma_f64 v[161:162], v[167:168], v[44:45], v[201:202]
	v_fma_f64 v[163:164], v[169:170], v[44:45], -v[203:204]
	v_fma_f64 v[165:166], v[171:172], v[44:45], v[205:206]
	v_fma_f64 v[167:168], v[173:174], v[44:45], -v[207:208]
	v_fma_f64 v[169:170], v[175:176], v[44:45], v[209:210]
	v_fma_f64 v[171:172], v[177:178], v[44:45], -v[211:212]
	v_fma_f64 v[173:174], v[179:180], v[44:45], v[213:214]
	v_fma_f64 v[175:176], v[181:182], v[44:45], -v[215:216]
	v_fma_f64 v[177:178], v[183:184], v[44:45], v[217:218]
	v_fma_f64 v[179:180], v[185:186], v[44:45], -v[219:220]
	v_fma_f64 v[181:182], v[187:188], v[44:45], v[221:222]
	v_fma_f64 v[183:184], v[189:190], v[44:45], -v[223:224]
	v_fma_f64 v[185:186], v[191:192], v[44:45], v[225:226]
	v_fma_f64 v[187:188], v[193:194], v[44:45], -v[227:228]
	v_fma_f64 v[189:190], v[195:196], v[44:45], v[229:230]
	v_fma_f64 v[191:192], v[197:198], v[44:45], -v[231:232]
	v_fma_f64 v[193:194], v[199:200], v[44:45], v[233:234]
	v_add_f64 v[36:37], v[36:37], -v[46:47]
	v_add_f64 v[38:39], v[38:39], -v[144:145]
	v_add_f64 v[32:33], v[32:33], -v[152:153]
	v_add_f64 v[34:35], v[34:35], -v[161:162]
	v_add_f64 v[28:29], v[28:29], -v[163:164]
	v_add_f64 v[30:31], v[30:31], -v[165:166]
	v_add_f64 v[24:25], v[24:25], -v[167:168]
	v_add_f64 v[26:27], v[26:27], -v[169:170]
	v_add_f64 v[20:21], v[20:21], -v[171:172]
	v_add_f64 v[22:23], v[22:23], -v[173:174]
	v_add_f64 v[16:17], v[16:17], -v[175:176]
	v_add_f64 v[18:19], v[18:19], -v[177:178]
	v_add_f64 v[12:13], v[12:13], -v[179:180]
	v_add_f64 v[14:15], v[14:15], -v[181:182]
	v_add_f64 v[8:9], v[8:9], -v[183:184]
	v_add_f64 v[10:11], v[10:11], -v[185:186]
	v_add_f64 v[4:5], v[4:5], -v[187:188]
	v_add_f64 v[6:7], v[6:7], -v[189:190]
	v_add_f64 v[0:1], v[0:1], -v[191:192]
	v_add_f64 v[2:3], v[2:3], -v[193:194]
	v_dual_mov_b32 v46, v146 :: v_dual_mov_b32 v47, v147
.LBB70_545:
	s_or_b32 exec_lo, exec_lo, s2
	v_lshl_add_u32 v144, v160, 4, v154
	s_barrier
	buffer_gl0_inv
	v_mov_b32_e32 v152, 26
	ds_store_2addr_b64 v144, v[36:37], v[38:39] offset1:1
	s_waitcnt lgkmcnt(0)
	s_barrier
	buffer_gl0_inv
	ds_load_2addr_b64 v[144:147], v154 offset0:52 offset1:53
	s_cmp_lt_i32 s5, 28
	s_cbranch_scc1 .LBB70_548
; %bb.546:
	v_add3_u32 v153, v159, 0, 0x1b0
	v_mov_b32_e32 v152, 26
	s_mov_b32 s6, 27
	s_set_inst_prefetch_distance 0x1
	.p2align	6
.LBB70_547:                             ; =>This Inner Loop Header: Depth=1
	ds_load_2addr_b64 v[161:164], v153 offset1:1
	s_waitcnt lgkmcnt(1)
	v_cmp_gt_f64_e32 vcc_lo, 0, v[144:145]
	v_xor_b32_e32 v165, 0x80000000, v145
	v_cmp_gt_f64_e64 s2, 0, v[146:147]
	v_xor_b32_e32 v167, 0x80000000, v147
	v_add_nc_u32_e32 v153, 16, v153
	s_waitcnt lgkmcnt(0)
	v_cmp_gt_f64_e64 s3, 0, v[161:162]
	v_mov_b32_e32 v169, v161
	v_dual_mov_b32 v171, v163 :: v_dual_cndmask_b32 v166, v145, v165
	v_xor_b32_e32 v165, 0x80000000, v162
	v_cndmask_b32_e64 v168, v147, v167, s2
	v_xor_b32_e32 v167, 0x80000000, v164
	s_delay_alu instid0(VALU_DEP_3) | instskip(SKIP_2) | instid1(VALU_DEP_2)
	v_cndmask_b32_e64 v170, v162, v165, s3
	v_cmp_gt_f64_e64 s3, 0, v[163:164]
	v_cndmask_b32_e32 v165, v144, v144, vcc_lo
	v_cndmask_b32_e64 v172, v164, v167, s3
	v_cndmask_b32_e64 v167, v146, v146, s2
	s_delay_alu instid0(VALU_DEP_2) | instskip(NEXT) | instid1(VALU_DEP_2)
	v_add_f64 v[169:170], v[169:170], v[171:172]
	v_add_f64 v[165:166], v[165:166], v[167:168]
	s_delay_alu instid0(VALU_DEP_1) | instskip(SKIP_4) | instid1(SALU_CYCLE_1)
	v_cmp_lt_f64_e32 vcc_lo, v[165:166], v[169:170]
	v_dual_cndmask_b32 v146, v146, v163 :: v_dual_cndmask_b32 v145, v145, v162
	v_dual_cndmask_b32 v144, v144, v161 :: v_dual_cndmask_b32 v147, v147, v164
	v_cndmask_b32_e64 v152, v152, s6, vcc_lo
	s_add_i32 s6, s6, 1
	s_cmp_lg_u32 s5, s6
	s_cbranch_scc1 .LBB70_547
.LBB70_548:
	s_set_inst_prefetch_distance 0x2
	s_waitcnt lgkmcnt(0)
	v_cmp_eq_f64_e32 vcc_lo, 0, v[144:145]
	v_cmp_eq_f64_e64 s2, 0, v[146:147]
	s_delay_alu instid0(VALU_DEP_1) | instskip(NEXT) | instid1(SALU_CYCLE_1)
	s_and_b32 s2, vcc_lo, s2
	s_and_saveexec_b32 s3, s2
	s_delay_alu instid0(SALU_CYCLE_1)
	s_xor_b32 s2, exec_lo, s3
; %bb.549:
	v_cmp_ne_u32_e32 vcc_lo, 0, v157
	v_cndmask_b32_e32 v157, 27, v157, vcc_lo
; %bb.550:
	s_and_not1_saveexec_b32 s3, s2
	s_cbranch_execz .LBB70_556
; %bb.551:
	v_cmp_gt_f64_e32 vcc_lo, 0, v[144:145]
	v_cmp_gt_f64_e64 s2, 0, v[146:147]
	v_xor_b32_e32 v153, 0x80000000, v145
	v_xor_b32_e32 v161, 0x80000000, v147
	s_delay_alu instid0(VALU_DEP_2) | instskip(NEXT) | instid1(VALU_DEP_2)
	v_cndmask_b32_e32 v162, v145, v153, vcc_lo
	v_cndmask_b32_e64 v164, v147, v161, s2
	v_cndmask_b32_e32 v161, v144, v144, vcc_lo
	v_cndmask_b32_e64 v163, v146, v146, s2
	s_mov_b32 s2, exec_lo
	s_delay_alu instid0(VALU_DEP_1)
	v_cmpx_ngt_f64_e32 v[161:162], v[163:164]
	s_xor_b32 s2, exec_lo, s2
	s_cbranch_execz .LBB70_553
; %bb.552:
	v_div_scale_f64 v[161:162], null, v[146:147], v[146:147], v[144:145]
	v_div_scale_f64 v[167:168], vcc_lo, v[144:145], v[146:147], v[144:145]
	s_delay_alu instid0(VALU_DEP_2) | instskip(SKIP_2) | instid1(VALU_DEP_1)
	v_rcp_f64_e32 v[163:164], v[161:162]
	s_waitcnt_depctr 0xfff
	v_fma_f64 v[165:166], -v[161:162], v[163:164], 1.0
	v_fma_f64 v[163:164], v[163:164], v[165:166], v[163:164]
	s_delay_alu instid0(VALU_DEP_1) | instskip(NEXT) | instid1(VALU_DEP_1)
	v_fma_f64 v[165:166], -v[161:162], v[163:164], 1.0
	v_fma_f64 v[163:164], v[163:164], v[165:166], v[163:164]
	s_delay_alu instid0(VALU_DEP_1) | instskip(NEXT) | instid1(VALU_DEP_1)
	v_mul_f64 v[165:166], v[167:168], v[163:164]
	v_fma_f64 v[161:162], -v[161:162], v[165:166], v[167:168]
	s_delay_alu instid0(VALU_DEP_1) | instskip(NEXT) | instid1(VALU_DEP_1)
	v_div_fmas_f64 v[161:162], v[161:162], v[163:164], v[165:166]
	v_div_fixup_f64 v[161:162], v[161:162], v[146:147], v[144:145]
	s_delay_alu instid0(VALU_DEP_1) | instskip(NEXT) | instid1(VALU_DEP_1)
	v_fma_f64 v[144:145], v[144:145], v[161:162], v[146:147]
	v_div_scale_f64 v[146:147], null, v[144:145], v[144:145], 1.0
	s_delay_alu instid0(VALU_DEP_1) | instskip(SKIP_2) | instid1(VALU_DEP_1)
	v_rcp_f64_e32 v[163:164], v[146:147]
	s_waitcnt_depctr 0xfff
	v_fma_f64 v[165:166], -v[146:147], v[163:164], 1.0
	v_fma_f64 v[163:164], v[163:164], v[165:166], v[163:164]
	s_delay_alu instid0(VALU_DEP_1) | instskip(NEXT) | instid1(VALU_DEP_1)
	v_fma_f64 v[165:166], -v[146:147], v[163:164], 1.0
	v_fma_f64 v[163:164], v[163:164], v[165:166], v[163:164]
	v_div_scale_f64 v[165:166], vcc_lo, 1.0, v[144:145], 1.0
	s_delay_alu instid0(VALU_DEP_1) | instskip(NEXT) | instid1(VALU_DEP_1)
	v_mul_f64 v[167:168], v[165:166], v[163:164]
	v_fma_f64 v[146:147], -v[146:147], v[167:168], v[165:166]
	s_delay_alu instid0(VALU_DEP_1) | instskip(NEXT) | instid1(VALU_DEP_1)
	v_div_fmas_f64 v[146:147], v[146:147], v[163:164], v[167:168]
	v_div_fixup_f64 v[146:147], v[146:147], v[144:145], 1.0
	s_delay_alu instid0(VALU_DEP_1)
	v_mul_f64 v[144:145], v[161:162], v[146:147]
	v_xor_b32_e32 v147, 0x80000000, v147
.LBB70_553:
	s_and_not1_saveexec_b32 s2, s2
	s_cbranch_execz .LBB70_555
; %bb.554:
	s_delay_alu instid0(VALU_DEP_1) | instskip(SKIP_1) | instid1(VALU_DEP_2)
	v_div_scale_f64 v[161:162], null, v[144:145], v[144:145], v[146:147]
	v_div_scale_f64 v[167:168], vcc_lo, v[146:147], v[144:145], v[146:147]
	v_rcp_f64_e32 v[163:164], v[161:162]
	s_waitcnt_depctr 0xfff
	v_fma_f64 v[165:166], -v[161:162], v[163:164], 1.0
	s_delay_alu instid0(VALU_DEP_1) | instskip(NEXT) | instid1(VALU_DEP_1)
	v_fma_f64 v[163:164], v[163:164], v[165:166], v[163:164]
	v_fma_f64 v[165:166], -v[161:162], v[163:164], 1.0
	s_delay_alu instid0(VALU_DEP_1) | instskip(NEXT) | instid1(VALU_DEP_1)
	v_fma_f64 v[163:164], v[163:164], v[165:166], v[163:164]
	v_mul_f64 v[165:166], v[167:168], v[163:164]
	s_delay_alu instid0(VALU_DEP_1) | instskip(NEXT) | instid1(VALU_DEP_1)
	v_fma_f64 v[161:162], -v[161:162], v[165:166], v[167:168]
	v_div_fmas_f64 v[161:162], v[161:162], v[163:164], v[165:166]
	s_delay_alu instid0(VALU_DEP_1) | instskip(NEXT) | instid1(VALU_DEP_1)
	v_div_fixup_f64 v[161:162], v[161:162], v[144:145], v[146:147]
	v_fma_f64 v[144:145], v[146:147], v[161:162], v[144:145]
	s_delay_alu instid0(VALU_DEP_1) | instskip(NEXT) | instid1(VALU_DEP_1)
	v_div_scale_f64 v[146:147], null, v[144:145], v[144:145], 1.0
	v_rcp_f64_e32 v[163:164], v[146:147]
	s_waitcnt_depctr 0xfff
	v_fma_f64 v[165:166], -v[146:147], v[163:164], 1.0
	s_delay_alu instid0(VALU_DEP_1) | instskip(NEXT) | instid1(VALU_DEP_1)
	v_fma_f64 v[163:164], v[163:164], v[165:166], v[163:164]
	v_fma_f64 v[165:166], -v[146:147], v[163:164], 1.0
	s_delay_alu instid0(VALU_DEP_1) | instskip(SKIP_1) | instid1(VALU_DEP_1)
	v_fma_f64 v[163:164], v[163:164], v[165:166], v[163:164]
	v_div_scale_f64 v[165:166], vcc_lo, 1.0, v[144:145], 1.0
	v_mul_f64 v[167:168], v[165:166], v[163:164]
	s_delay_alu instid0(VALU_DEP_1) | instskip(NEXT) | instid1(VALU_DEP_1)
	v_fma_f64 v[146:147], -v[146:147], v[167:168], v[165:166]
	v_div_fmas_f64 v[146:147], v[146:147], v[163:164], v[167:168]
	s_delay_alu instid0(VALU_DEP_1) | instskip(NEXT) | instid1(VALU_DEP_1)
	v_div_fixup_f64 v[144:145], v[146:147], v[144:145], 1.0
	v_mul_f64 v[146:147], v[161:162], -v[144:145]
.LBB70_555:
	s_or_b32 exec_lo, exec_lo, s2
.LBB70_556:
	s_delay_alu instid0(SALU_CYCLE_1) | instskip(NEXT) | instid1(SALU_CYCLE_1)
	s_or_b32 exec_lo, exec_lo, s3
	s_mov_b32 s2, exec_lo
	v_cmpx_ne_u32_e64 v160, v152
	s_xor_b32 s2, exec_lo, s2
	s_cbranch_execz .LBB70_562
; %bb.557:
	s_mov_b32 s3, exec_lo
	v_cmpx_eq_u32_e32 26, v160
	s_cbranch_execz .LBB70_561
; %bb.558:
	v_cmp_ne_u32_e32 vcc_lo, 26, v152
	s_xor_b32 s6, s4, -1
	s_delay_alu instid0(SALU_CYCLE_1) | instskip(NEXT) | instid1(SALU_CYCLE_1)
	s_and_b32 s7, s6, vcc_lo
	s_and_saveexec_b32 s6, s7
	s_cbranch_execz .LBB70_560
; %bb.559:
	v_ashrrev_i32_e32 v153, 31, v152
	s_delay_alu instid0(VALU_DEP_1) | instskip(NEXT) | instid1(VALU_DEP_1)
	v_lshlrev_b64 v[160:161], 2, v[152:153]
	v_add_co_u32 v160, vcc_lo, v150, v160
	s_delay_alu instid0(VALU_DEP_2)
	v_add_co_ci_u32_e32 v161, vcc_lo, v151, v161, vcc_lo
	s_clause 0x1
	flat_load_b32 v153, v[160:161]
	flat_load_b32 v158, v[150:151] offset:104
	s_waitcnt vmcnt(1) lgkmcnt(1)
	flat_store_b32 v[150:151], v153 offset:104
	s_waitcnt vmcnt(0) lgkmcnt(1)
	flat_store_b32 v[160:161], v158
.LBB70_560:
	s_or_b32 exec_lo, exec_lo, s6
	v_mov_b32_e32 v160, v152
	v_mov_b32_e32 v158, v152
.LBB70_561:
	s_or_b32 exec_lo, exec_lo, s3
.LBB70_562:
	s_and_not1_saveexec_b32 s2, s2
	s_cbranch_execz .LBB70_564
; %bb.563:
	v_mov_b32_e32 v160, 26
	ds_store_2addr_b64 v154, v[32:33], v[34:35] offset0:54 offset1:55
	ds_store_2addr_b64 v154, v[28:29], v[30:31] offset0:56 offset1:57
	;; [unrolled: 1-line block ×9, first 2 shown]
.LBB70_564:
	s_or_b32 exec_lo, exec_lo, s2
	s_delay_alu instid0(SALU_CYCLE_1)
	s_mov_b32 s2, exec_lo
	s_waitcnt lgkmcnt(0)
	s_waitcnt_vscnt null, 0x0
	s_barrier
	buffer_gl0_inv
	v_cmpx_lt_i32_e32 26, v160
	s_cbranch_execz .LBB70_566
; %bb.565:
	v_mul_f64 v[152:153], v[144:145], v[38:39]
	v_mul_f64 v[38:39], v[146:147], v[38:39]
	ds_load_2addr_b64 v[161:164], v154 offset0:54 offset1:55
	ds_load_2addr_b64 v[165:168], v154 offset0:56 offset1:57
	;; [unrolled: 1-line block ×9, first 2 shown]
	v_fma_f64 v[146:147], v[146:147], v[36:37], v[152:153]
	v_fma_f64 v[36:37], v[144:145], v[36:37], -v[38:39]
	s_waitcnt lgkmcnt(8)
	s_delay_alu instid0(VALU_DEP_2)
	v_mul_f64 v[38:39], v[163:164], v[146:147]
	v_mul_f64 v[144:145], v[161:162], v[146:147]
	s_waitcnt lgkmcnt(7)
	v_mul_f64 v[152:153], v[167:168], v[146:147]
	v_mul_f64 v[197:198], v[165:166], v[146:147]
	s_waitcnt lgkmcnt(6)
	;; [unrolled: 3-line block ×8, first 2 shown]
	v_mul_f64 v[223:224], v[195:196], v[146:147]
	v_mul_f64 v[225:226], v[193:194], v[146:147]
	v_fma_f64 v[38:39], v[161:162], v[36:37], -v[38:39]
	v_fma_f64 v[144:145], v[163:164], v[36:37], v[144:145]
	v_fma_f64 v[152:153], v[165:166], v[36:37], -v[152:153]
	v_fma_f64 v[161:162], v[167:168], v[36:37], v[197:198]
	;; [unrolled: 2-line block ×9, first 2 shown]
	v_add_f64 v[32:33], v[32:33], -v[38:39]
	v_add_f64 v[34:35], v[34:35], -v[144:145]
	;; [unrolled: 1-line block ×18, first 2 shown]
	v_dual_mov_b32 v38, v146 :: v_dual_mov_b32 v39, v147
.LBB70_566:
	s_or_b32 exec_lo, exec_lo, s2
	v_lshl_add_u32 v144, v160, 4, v154
	s_barrier
	buffer_gl0_inv
	v_mov_b32_e32 v152, 27
	ds_store_2addr_b64 v144, v[32:33], v[34:35] offset1:1
	s_waitcnt lgkmcnt(0)
	s_barrier
	buffer_gl0_inv
	ds_load_2addr_b64 v[144:147], v154 offset0:54 offset1:55
	s_cmp_lt_i32 s5, 29
	s_cbranch_scc1 .LBB70_569
; %bb.567:
	v_add3_u32 v153, v159, 0, 0x1c0
	v_mov_b32_e32 v152, 27
	s_mov_b32 s6, 28
	s_set_inst_prefetch_distance 0x1
	.p2align	6
.LBB70_568:                             ; =>This Inner Loop Header: Depth=1
	ds_load_2addr_b64 v[161:164], v153 offset1:1
	s_waitcnt lgkmcnt(1)
	v_cmp_gt_f64_e32 vcc_lo, 0, v[144:145]
	v_xor_b32_e32 v165, 0x80000000, v145
	v_cmp_gt_f64_e64 s2, 0, v[146:147]
	v_xor_b32_e32 v167, 0x80000000, v147
	v_add_nc_u32_e32 v153, 16, v153
	s_waitcnt lgkmcnt(0)
	v_cmp_gt_f64_e64 s3, 0, v[161:162]
	v_mov_b32_e32 v169, v161
	v_dual_mov_b32 v171, v163 :: v_dual_cndmask_b32 v166, v145, v165
	v_xor_b32_e32 v165, 0x80000000, v162
	v_cndmask_b32_e64 v168, v147, v167, s2
	v_xor_b32_e32 v167, 0x80000000, v164
	s_delay_alu instid0(VALU_DEP_3) | instskip(SKIP_2) | instid1(VALU_DEP_2)
	v_cndmask_b32_e64 v170, v162, v165, s3
	v_cmp_gt_f64_e64 s3, 0, v[163:164]
	v_cndmask_b32_e32 v165, v144, v144, vcc_lo
	v_cndmask_b32_e64 v172, v164, v167, s3
	v_cndmask_b32_e64 v167, v146, v146, s2
	s_delay_alu instid0(VALU_DEP_2) | instskip(NEXT) | instid1(VALU_DEP_2)
	v_add_f64 v[169:170], v[169:170], v[171:172]
	v_add_f64 v[165:166], v[165:166], v[167:168]
	s_delay_alu instid0(VALU_DEP_1) | instskip(SKIP_4) | instid1(SALU_CYCLE_1)
	v_cmp_lt_f64_e32 vcc_lo, v[165:166], v[169:170]
	v_dual_cndmask_b32 v146, v146, v163 :: v_dual_cndmask_b32 v145, v145, v162
	v_dual_cndmask_b32 v144, v144, v161 :: v_dual_cndmask_b32 v147, v147, v164
	v_cndmask_b32_e64 v152, v152, s6, vcc_lo
	s_add_i32 s6, s6, 1
	s_cmp_lg_u32 s5, s6
	s_cbranch_scc1 .LBB70_568
.LBB70_569:
	s_set_inst_prefetch_distance 0x2
	s_waitcnt lgkmcnt(0)
	v_cmp_eq_f64_e32 vcc_lo, 0, v[144:145]
	v_cmp_eq_f64_e64 s2, 0, v[146:147]
	s_delay_alu instid0(VALU_DEP_1) | instskip(NEXT) | instid1(SALU_CYCLE_1)
	s_and_b32 s2, vcc_lo, s2
	s_and_saveexec_b32 s3, s2
	s_delay_alu instid0(SALU_CYCLE_1)
	s_xor_b32 s2, exec_lo, s3
; %bb.570:
	v_cmp_ne_u32_e32 vcc_lo, 0, v157
	v_cndmask_b32_e32 v157, 28, v157, vcc_lo
; %bb.571:
	s_and_not1_saveexec_b32 s3, s2
	s_cbranch_execz .LBB70_577
; %bb.572:
	v_cmp_gt_f64_e32 vcc_lo, 0, v[144:145]
	v_cmp_gt_f64_e64 s2, 0, v[146:147]
	v_xor_b32_e32 v153, 0x80000000, v145
	v_xor_b32_e32 v161, 0x80000000, v147
	s_delay_alu instid0(VALU_DEP_2) | instskip(NEXT) | instid1(VALU_DEP_2)
	v_cndmask_b32_e32 v162, v145, v153, vcc_lo
	v_cndmask_b32_e64 v164, v147, v161, s2
	v_cndmask_b32_e32 v161, v144, v144, vcc_lo
	v_cndmask_b32_e64 v163, v146, v146, s2
	s_mov_b32 s2, exec_lo
	s_delay_alu instid0(VALU_DEP_1)
	v_cmpx_ngt_f64_e32 v[161:162], v[163:164]
	s_xor_b32 s2, exec_lo, s2
	s_cbranch_execz .LBB70_574
; %bb.573:
	v_div_scale_f64 v[161:162], null, v[146:147], v[146:147], v[144:145]
	v_div_scale_f64 v[167:168], vcc_lo, v[144:145], v[146:147], v[144:145]
	s_delay_alu instid0(VALU_DEP_2) | instskip(SKIP_2) | instid1(VALU_DEP_1)
	v_rcp_f64_e32 v[163:164], v[161:162]
	s_waitcnt_depctr 0xfff
	v_fma_f64 v[165:166], -v[161:162], v[163:164], 1.0
	v_fma_f64 v[163:164], v[163:164], v[165:166], v[163:164]
	s_delay_alu instid0(VALU_DEP_1) | instskip(NEXT) | instid1(VALU_DEP_1)
	v_fma_f64 v[165:166], -v[161:162], v[163:164], 1.0
	v_fma_f64 v[163:164], v[163:164], v[165:166], v[163:164]
	s_delay_alu instid0(VALU_DEP_1) | instskip(NEXT) | instid1(VALU_DEP_1)
	v_mul_f64 v[165:166], v[167:168], v[163:164]
	v_fma_f64 v[161:162], -v[161:162], v[165:166], v[167:168]
	s_delay_alu instid0(VALU_DEP_1) | instskip(NEXT) | instid1(VALU_DEP_1)
	v_div_fmas_f64 v[161:162], v[161:162], v[163:164], v[165:166]
	v_div_fixup_f64 v[161:162], v[161:162], v[146:147], v[144:145]
	s_delay_alu instid0(VALU_DEP_1) | instskip(NEXT) | instid1(VALU_DEP_1)
	v_fma_f64 v[144:145], v[144:145], v[161:162], v[146:147]
	v_div_scale_f64 v[146:147], null, v[144:145], v[144:145], 1.0
	s_delay_alu instid0(VALU_DEP_1) | instskip(SKIP_2) | instid1(VALU_DEP_1)
	v_rcp_f64_e32 v[163:164], v[146:147]
	s_waitcnt_depctr 0xfff
	v_fma_f64 v[165:166], -v[146:147], v[163:164], 1.0
	v_fma_f64 v[163:164], v[163:164], v[165:166], v[163:164]
	s_delay_alu instid0(VALU_DEP_1) | instskip(NEXT) | instid1(VALU_DEP_1)
	v_fma_f64 v[165:166], -v[146:147], v[163:164], 1.0
	v_fma_f64 v[163:164], v[163:164], v[165:166], v[163:164]
	v_div_scale_f64 v[165:166], vcc_lo, 1.0, v[144:145], 1.0
	s_delay_alu instid0(VALU_DEP_1) | instskip(NEXT) | instid1(VALU_DEP_1)
	v_mul_f64 v[167:168], v[165:166], v[163:164]
	v_fma_f64 v[146:147], -v[146:147], v[167:168], v[165:166]
	s_delay_alu instid0(VALU_DEP_1) | instskip(NEXT) | instid1(VALU_DEP_1)
	v_div_fmas_f64 v[146:147], v[146:147], v[163:164], v[167:168]
	v_div_fixup_f64 v[146:147], v[146:147], v[144:145], 1.0
	s_delay_alu instid0(VALU_DEP_1)
	v_mul_f64 v[144:145], v[161:162], v[146:147]
	v_xor_b32_e32 v147, 0x80000000, v147
.LBB70_574:
	s_and_not1_saveexec_b32 s2, s2
	s_cbranch_execz .LBB70_576
; %bb.575:
	s_delay_alu instid0(VALU_DEP_1) | instskip(SKIP_1) | instid1(VALU_DEP_2)
	v_div_scale_f64 v[161:162], null, v[144:145], v[144:145], v[146:147]
	v_div_scale_f64 v[167:168], vcc_lo, v[146:147], v[144:145], v[146:147]
	v_rcp_f64_e32 v[163:164], v[161:162]
	s_waitcnt_depctr 0xfff
	v_fma_f64 v[165:166], -v[161:162], v[163:164], 1.0
	s_delay_alu instid0(VALU_DEP_1) | instskip(NEXT) | instid1(VALU_DEP_1)
	v_fma_f64 v[163:164], v[163:164], v[165:166], v[163:164]
	v_fma_f64 v[165:166], -v[161:162], v[163:164], 1.0
	s_delay_alu instid0(VALU_DEP_1) | instskip(NEXT) | instid1(VALU_DEP_1)
	v_fma_f64 v[163:164], v[163:164], v[165:166], v[163:164]
	v_mul_f64 v[165:166], v[167:168], v[163:164]
	s_delay_alu instid0(VALU_DEP_1) | instskip(NEXT) | instid1(VALU_DEP_1)
	v_fma_f64 v[161:162], -v[161:162], v[165:166], v[167:168]
	v_div_fmas_f64 v[161:162], v[161:162], v[163:164], v[165:166]
	s_delay_alu instid0(VALU_DEP_1) | instskip(NEXT) | instid1(VALU_DEP_1)
	v_div_fixup_f64 v[161:162], v[161:162], v[144:145], v[146:147]
	v_fma_f64 v[144:145], v[146:147], v[161:162], v[144:145]
	s_delay_alu instid0(VALU_DEP_1) | instskip(NEXT) | instid1(VALU_DEP_1)
	v_div_scale_f64 v[146:147], null, v[144:145], v[144:145], 1.0
	v_rcp_f64_e32 v[163:164], v[146:147]
	s_waitcnt_depctr 0xfff
	v_fma_f64 v[165:166], -v[146:147], v[163:164], 1.0
	s_delay_alu instid0(VALU_DEP_1) | instskip(NEXT) | instid1(VALU_DEP_1)
	v_fma_f64 v[163:164], v[163:164], v[165:166], v[163:164]
	v_fma_f64 v[165:166], -v[146:147], v[163:164], 1.0
	s_delay_alu instid0(VALU_DEP_1) | instskip(SKIP_1) | instid1(VALU_DEP_1)
	v_fma_f64 v[163:164], v[163:164], v[165:166], v[163:164]
	v_div_scale_f64 v[165:166], vcc_lo, 1.0, v[144:145], 1.0
	v_mul_f64 v[167:168], v[165:166], v[163:164]
	s_delay_alu instid0(VALU_DEP_1) | instskip(NEXT) | instid1(VALU_DEP_1)
	v_fma_f64 v[146:147], -v[146:147], v[167:168], v[165:166]
	v_div_fmas_f64 v[146:147], v[146:147], v[163:164], v[167:168]
	s_delay_alu instid0(VALU_DEP_1) | instskip(NEXT) | instid1(VALU_DEP_1)
	v_div_fixup_f64 v[144:145], v[146:147], v[144:145], 1.0
	v_mul_f64 v[146:147], v[161:162], -v[144:145]
.LBB70_576:
	s_or_b32 exec_lo, exec_lo, s2
.LBB70_577:
	s_delay_alu instid0(SALU_CYCLE_1) | instskip(NEXT) | instid1(SALU_CYCLE_1)
	s_or_b32 exec_lo, exec_lo, s3
	s_mov_b32 s2, exec_lo
	v_cmpx_ne_u32_e64 v160, v152
	s_xor_b32 s2, exec_lo, s2
	s_cbranch_execz .LBB70_583
; %bb.578:
	s_mov_b32 s3, exec_lo
	v_cmpx_eq_u32_e32 27, v160
	s_cbranch_execz .LBB70_582
; %bb.579:
	v_cmp_ne_u32_e32 vcc_lo, 27, v152
	s_xor_b32 s6, s4, -1
	s_delay_alu instid0(SALU_CYCLE_1) | instskip(NEXT) | instid1(SALU_CYCLE_1)
	s_and_b32 s7, s6, vcc_lo
	s_and_saveexec_b32 s6, s7
	s_cbranch_execz .LBB70_581
; %bb.580:
	v_ashrrev_i32_e32 v153, 31, v152
	s_delay_alu instid0(VALU_DEP_1) | instskip(NEXT) | instid1(VALU_DEP_1)
	v_lshlrev_b64 v[160:161], 2, v[152:153]
	v_add_co_u32 v160, vcc_lo, v150, v160
	s_delay_alu instid0(VALU_DEP_2)
	v_add_co_ci_u32_e32 v161, vcc_lo, v151, v161, vcc_lo
	s_clause 0x1
	flat_load_b32 v153, v[160:161]
	flat_load_b32 v158, v[150:151] offset:108
	s_waitcnt vmcnt(1) lgkmcnt(1)
	flat_store_b32 v[150:151], v153 offset:108
	s_waitcnt vmcnt(0) lgkmcnt(1)
	flat_store_b32 v[160:161], v158
.LBB70_581:
	s_or_b32 exec_lo, exec_lo, s6
	v_mov_b32_e32 v160, v152
	v_mov_b32_e32 v158, v152
.LBB70_582:
	s_or_b32 exec_lo, exec_lo, s3
.LBB70_583:
	s_and_not1_saveexec_b32 s2, s2
	s_cbranch_execz .LBB70_585
; %bb.584:
	v_mov_b32_e32 v160, 27
	ds_store_2addr_b64 v154, v[28:29], v[30:31] offset0:56 offset1:57
	ds_store_2addr_b64 v154, v[24:25], v[26:27] offset0:58 offset1:59
	;; [unrolled: 1-line block ×8, first 2 shown]
.LBB70_585:
	s_or_b32 exec_lo, exec_lo, s2
	s_delay_alu instid0(SALU_CYCLE_1)
	s_mov_b32 s2, exec_lo
	s_waitcnt lgkmcnt(0)
	s_waitcnt_vscnt null, 0x0
	s_barrier
	buffer_gl0_inv
	v_cmpx_lt_i32_e32 27, v160
	s_cbranch_execz .LBB70_587
; %bb.586:
	v_mul_f64 v[152:153], v[144:145], v[34:35]
	v_mul_f64 v[34:35], v[146:147], v[34:35]
	ds_load_2addr_b64 v[161:164], v154 offset0:56 offset1:57
	ds_load_2addr_b64 v[165:168], v154 offset0:58 offset1:59
	;; [unrolled: 1-line block ×8, first 2 shown]
	v_fma_f64 v[146:147], v[146:147], v[32:33], v[152:153]
	v_fma_f64 v[32:33], v[144:145], v[32:33], -v[34:35]
	s_waitcnt lgkmcnt(7)
	s_delay_alu instid0(VALU_DEP_2)
	v_mul_f64 v[34:35], v[163:164], v[146:147]
	v_mul_f64 v[144:145], v[161:162], v[146:147]
	s_waitcnt lgkmcnt(6)
	v_mul_f64 v[152:153], v[167:168], v[146:147]
	v_mul_f64 v[193:194], v[165:166], v[146:147]
	s_waitcnt lgkmcnt(5)
	;; [unrolled: 3-line block ×7, first 2 shown]
	v_mul_f64 v[215:216], v[191:192], v[146:147]
	v_mul_f64 v[217:218], v[189:190], v[146:147]
	v_fma_f64 v[34:35], v[161:162], v[32:33], -v[34:35]
	v_fma_f64 v[144:145], v[163:164], v[32:33], v[144:145]
	v_fma_f64 v[152:153], v[165:166], v[32:33], -v[152:153]
	v_fma_f64 v[161:162], v[167:168], v[32:33], v[193:194]
	;; [unrolled: 2-line block ×8, first 2 shown]
	v_add_f64 v[28:29], v[28:29], -v[34:35]
	v_add_f64 v[30:31], v[30:31], -v[144:145]
	;; [unrolled: 1-line block ×16, first 2 shown]
	v_dual_mov_b32 v34, v146 :: v_dual_mov_b32 v35, v147
.LBB70_587:
	s_or_b32 exec_lo, exec_lo, s2
	v_lshl_add_u32 v144, v160, 4, v154
	s_barrier
	buffer_gl0_inv
	v_mov_b32_e32 v152, 28
	ds_store_2addr_b64 v144, v[28:29], v[30:31] offset1:1
	s_waitcnt lgkmcnt(0)
	s_barrier
	buffer_gl0_inv
	ds_load_2addr_b64 v[144:147], v154 offset0:56 offset1:57
	s_cmp_lt_i32 s5, 30
	s_cbranch_scc1 .LBB70_590
; %bb.588:
	v_add3_u32 v153, v159, 0, 0x1d0
	v_mov_b32_e32 v152, 28
	s_mov_b32 s6, 29
	s_set_inst_prefetch_distance 0x1
	.p2align	6
.LBB70_589:                             ; =>This Inner Loop Header: Depth=1
	ds_load_2addr_b64 v[161:164], v153 offset1:1
	s_waitcnt lgkmcnt(1)
	v_cmp_gt_f64_e32 vcc_lo, 0, v[144:145]
	v_xor_b32_e32 v165, 0x80000000, v145
	v_cmp_gt_f64_e64 s2, 0, v[146:147]
	v_xor_b32_e32 v167, 0x80000000, v147
	v_add_nc_u32_e32 v153, 16, v153
	s_waitcnt lgkmcnt(0)
	v_cmp_gt_f64_e64 s3, 0, v[161:162]
	v_mov_b32_e32 v169, v161
	v_dual_mov_b32 v171, v163 :: v_dual_cndmask_b32 v166, v145, v165
	v_xor_b32_e32 v165, 0x80000000, v162
	v_cndmask_b32_e64 v168, v147, v167, s2
	v_xor_b32_e32 v167, 0x80000000, v164
	s_delay_alu instid0(VALU_DEP_3) | instskip(SKIP_2) | instid1(VALU_DEP_2)
	v_cndmask_b32_e64 v170, v162, v165, s3
	v_cmp_gt_f64_e64 s3, 0, v[163:164]
	v_cndmask_b32_e32 v165, v144, v144, vcc_lo
	v_cndmask_b32_e64 v172, v164, v167, s3
	v_cndmask_b32_e64 v167, v146, v146, s2
	s_delay_alu instid0(VALU_DEP_2) | instskip(NEXT) | instid1(VALU_DEP_2)
	v_add_f64 v[169:170], v[169:170], v[171:172]
	v_add_f64 v[165:166], v[165:166], v[167:168]
	s_delay_alu instid0(VALU_DEP_1) | instskip(SKIP_4) | instid1(SALU_CYCLE_1)
	v_cmp_lt_f64_e32 vcc_lo, v[165:166], v[169:170]
	v_dual_cndmask_b32 v146, v146, v163 :: v_dual_cndmask_b32 v145, v145, v162
	v_dual_cndmask_b32 v144, v144, v161 :: v_dual_cndmask_b32 v147, v147, v164
	v_cndmask_b32_e64 v152, v152, s6, vcc_lo
	s_add_i32 s6, s6, 1
	s_cmp_lg_u32 s5, s6
	s_cbranch_scc1 .LBB70_589
.LBB70_590:
	s_set_inst_prefetch_distance 0x2
	s_waitcnt lgkmcnt(0)
	v_cmp_eq_f64_e32 vcc_lo, 0, v[144:145]
	v_cmp_eq_f64_e64 s2, 0, v[146:147]
	s_delay_alu instid0(VALU_DEP_1) | instskip(NEXT) | instid1(SALU_CYCLE_1)
	s_and_b32 s2, vcc_lo, s2
	s_and_saveexec_b32 s3, s2
	s_delay_alu instid0(SALU_CYCLE_1)
	s_xor_b32 s2, exec_lo, s3
; %bb.591:
	v_cmp_ne_u32_e32 vcc_lo, 0, v157
	v_cndmask_b32_e32 v157, 29, v157, vcc_lo
; %bb.592:
	s_and_not1_saveexec_b32 s3, s2
	s_cbranch_execz .LBB70_598
; %bb.593:
	v_cmp_gt_f64_e32 vcc_lo, 0, v[144:145]
	v_cmp_gt_f64_e64 s2, 0, v[146:147]
	v_xor_b32_e32 v153, 0x80000000, v145
	v_xor_b32_e32 v161, 0x80000000, v147
	s_delay_alu instid0(VALU_DEP_2) | instskip(NEXT) | instid1(VALU_DEP_2)
	v_cndmask_b32_e32 v162, v145, v153, vcc_lo
	v_cndmask_b32_e64 v164, v147, v161, s2
	v_cndmask_b32_e32 v161, v144, v144, vcc_lo
	v_cndmask_b32_e64 v163, v146, v146, s2
	s_mov_b32 s2, exec_lo
	s_delay_alu instid0(VALU_DEP_1)
	v_cmpx_ngt_f64_e32 v[161:162], v[163:164]
	s_xor_b32 s2, exec_lo, s2
	s_cbranch_execz .LBB70_595
; %bb.594:
	v_div_scale_f64 v[161:162], null, v[146:147], v[146:147], v[144:145]
	v_div_scale_f64 v[167:168], vcc_lo, v[144:145], v[146:147], v[144:145]
	s_delay_alu instid0(VALU_DEP_2) | instskip(SKIP_2) | instid1(VALU_DEP_1)
	v_rcp_f64_e32 v[163:164], v[161:162]
	s_waitcnt_depctr 0xfff
	v_fma_f64 v[165:166], -v[161:162], v[163:164], 1.0
	v_fma_f64 v[163:164], v[163:164], v[165:166], v[163:164]
	s_delay_alu instid0(VALU_DEP_1) | instskip(NEXT) | instid1(VALU_DEP_1)
	v_fma_f64 v[165:166], -v[161:162], v[163:164], 1.0
	v_fma_f64 v[163:164], v[163:164], v[165:166], v[163:164]
	s_delay_alu instid0(VALU_DEP_1) | instskip(NEXT) | instid1(VALU_DEP_1)
	v_mul_f64 v[165:166], v[167:168], v[163:164]
	v_fma_f64 v[161:162], -v[161:162], v[165:166], v[167:168]
	s_delay_alu instid0(VALU_DEP_1) | instskip(NEXT) | instid1(VALU_DEP_1)
	v_div_fmas_f64 v[161:162], v[161:162], v[163:164], v[165:166]
	v_div_fixup_f64 v[161:162], v[161:162], v[146:147], v[144:145]
	s_delay_alu instid0(VALU_DEP_1) | instskip(NEXT) | instid1(VALU_DEP_1)
	v_fma_f64 v[144:145], v[144:145], v[161:162], v[146:147]
	v_div_scale_f64 v[146:147], null, v[144:145], v[144:145], 1.0
	s_delay_alu instid0(VALU_DEP_1) | instskip(SKIP_2) | instid1(VALU_DEP_1)
	v_rcp_f64_e32 v[163:164], v[146:147]
	s_waitcnt_depctr 0xfff
	v_fma_f64 v[165:166], -v[146:147], v[163:164], 1.0
	v_fma_f64 v[163:164], v[163:164], v[165:166], v[163:164]
	s_delay_alu instid0(VALU_DEP_1) | instskip(NEXT) | instid1(VALU_DEP_1)
	v_fma_f64 v[165:166], -v[146:147], v[163:164], 1.0
	v_fma_f64 v[163:164], v[163:164], v[165:166], v[163:164]
	v_div_scale_f64 v[165:166], vcc_lo, 1.0, v[144:145], 1.0
	s_delay_alu instid0(VALU_DEP_1) | instskip(NEXT) | instid1(VALU_DEP_1)
	v_mul_f64 v[167:168], v[165:166], v[163:164]
	v_fma_f64 v[146:147], -v[146:147], v[167:168], v[165:166]
	s_delay_alu instid0(VALU_DEP_1) | instskip(NEXT) | instid1(VALU_DEP_1)
	v_div_fmas_f64 v[146:147], v[146:147], v[163:164], v[167:168]
	v_div_fixup_f64 v[146:147], v[146:147], v[144:145], 1.0
	s_delay_alu instid0(VALU_DEP_1)
	v_mul_f64 v[144:145], v[161:162], v[146:147]
	v_xor_b32_e32 v147, 0x80000000, v147
.LBB70_595:
	s_and_not1_saveexec_b32 s2, s2
	s_cbranch_execz .LBB70_597
; %bb.596:
	s_delay_alu instid0(VALU_DEP_1) | instskip(SKIP_1) | instid1(VALU_DEP_2)
	v_div_scale_f64 v[161:162], null, v[144:145], v[144:145], v[146:147]
	v_div_scale_f64 v[167:168], vcc_lo, v[146:147], v[144:145], v[146:147]
	v_rcp_f64_e32 v[163:164], v[161:162]
	s_waitcnt_depctr 0xfff
	v_fma_f64 v[165:166], -v[161:162], v[163:164], 1.0
	s_delay_alu instid0(VALU_DEP_1) | instskip(NEXT) | instid1(VALU_DEP_1)
	v_fma_f64 v[163:164], v[163:164], v[165:166], v[163:164]
	v_fma_f64 v[165:166], -v[161:162], v[163:164], 1.0
	s_delay_alu instid0(VALU_DEP_1) | instskip(NEXT) | instid1(VALU_DEP_1)
	v_fma_f64 v[163:164], v[163:164], v[165:166], v[163:164]
	v_mul_f64 v[165:166], v[167:168], v[163:164]
	s_delay_alu instid0(VALU_DEP_1) | instskip(NEXT) | instid1(VALU_DEP_1)
	v_fma_f64 v[161:162], -v[161:162], v[165:166], v[167:168]
	v_div_fmas_f64 v[161:162], v[161:162], v[163:164], v[165:166]
	s_delay_alu instid0(VALU_DEP_1) | instskip(NEXT) | instid1(VALU_DEP_1)
	v_div_fixup_f64 v[161:162], v[161:162], v[144:145], v[146:147]
	v_fma_f64 v[144:145], v[146:147], v[161:162], v[144:145]
	s_delay_alu instid0(VALU_DEP_1) | instskip(NEXT) | instid1(VALU_DEP_1)
	v_div_scale_f64 v[146:147], null, v[144:145], v[144:145], 1.0
	v_rcp_f64_e32 v[163:164], v[146:147]
	s_waitcnt_depctr 0xfff
	v_fma_f64 v[165:166], -v[146:147], v[163:164], 1.0
	s_delay_alu instid0(VALU_DEP_1) | instskip(NEXT) | instid1(VALU_DEP_1)
	v_fma_f64 v[163:164], v[163:164], v[165:166], v[163:164]
	v_fma_f64 v[165:166], -v[146:147], v[163:164], 1.0
	s_delay_alu instid0(VALU_DEP_1) | instskip(SKIP_1) | instid1(VALU_DEP_1)
	v_fma_f64 v[163:164], v[163:164], v[165:166], v[163:164]
	v_div_scale_f64 v[165:166], vcc_lo, 1.0, v[144:145], 1.0
	v_mul_f64 v[167:168], v[165:166], v[163:164]
	s_delay_alu instid0(VALU_DEP_1) | instskip(NEXT) | instid1(VALU_DEP_1)
	v_fma_f64 v[146:147], -v[146:147], v[167:168], v[165:166]
	v_div_fmas_f64 v[146:147], v[146:147], v[163:164], v[167:168]
	s_delay_alu instid0(VALU_DEP_1) | instskip(NEXT) | instid1(VALU_DEP_1)
	v_div_fixup_f64 v[144:145], v[146:147], v[144:145], 1.0
	v_mul_f64 v[146:147], v[161:162], -v[144:145]
.LBB70_597:
	s_or_b32 exec_lo, exec_lo, s2
.LBB70_598:
	s_delay_alu instid0(SALU_CYCLE_1) | instskip(NEXT) | instid1(SALU_CYCLE_1)
	s_or_b32 exec_lo, exec_lo, s3
	s_mov_b32 s2, exec_lo
	v_cmpx_ne_u32_e64 v160, v152
	s_xor_b32 s2, exec_lo, s2
	s_cbranch_execz .LBB70_604
; %bb.599:
	s_mov_b32 s3, exec_lo
	v_cmpx_eq_u32_e32 28, v160
	s_cbranch_execz .LBB70_603
; %bb.600:
	v_cmp_ne_u32_e32 vcc_lo, 28, v152
	s_xor_b32 s6, s4, -1
	s_delay_alu instid0(SALU_CYCLE_1) | instskip(NEXT) | instid1(SALU_CYCLE_1)
	s_and_b32 s7, s6, vcc_lo
	s_and_saveexec_b32 s6, s7
	s_cbranch_execz .LBB70_602
; %bb.601:
	v_ashrrev_i32_e32 v153, 31, v152
	s_delay_alu instid0(VALU_DEP_1) | instskip(NEXT) | instid1(VALU_DEP_1)
	v_lshlrev_b64 v[160:161], 2, v[152:153]
	v_add_co_u32 v160, vcc_lo, v150, v160
	s_delay_alu instid0(VALU_DEP_2)
	v_add_co_ci_u32_e32 v161, vcc_lo, v151, v161, vcc_lo
	s_clause 0x1
	flat_load_b32 v153, v[160:161]
	flat_load_b32 v158, v[150:151] offset:112
	s_waitcnt vmcnt(1) lgkmcnt(1)
	flat_store_b32 v[150:151], v153 offset:112
	s_waitcnt vmcnt(0) lgkmcnt(1)
	flat_store_b32 v[160:161], v158
.LBB70_602:
	s_or_b32 exec_lo, exec_lo, s6
	v_mov_b32_e32 v160, v152
	v_mov_b32_e32 v158, v152
.LBB70_603:
	s_or_b32 exec_lo, exec_lo, s3
.LBB70_604:
	s_and_not1_saveexec_b32 s2, s2
	s_cbranch_execz .LBB70_606
; %bb.605:
	v_mov_b32_e32 v160, 28
	ds_store_2addr_b64 v154, v[24:25], v[26:27] offset0:58 offset1:59
	ds_store_2addr_b64 v154, v[20:21], v[22:23] offset0:60 offset1:61
	;; [unrolled: 1-line block ×7, first 2 shown]
.LBB70_606:
	s_or_b32 exec_lo, exec_lo, s2
	s_delay_alu instid0(SALU_CYCLE_1)
	s_mov_b32 s2, exec_lo
	s_waitcnt lgkmcnt(0)
	s_waitcnt_vscnt null, 0x0
	s_barrier
	buffer_gl0_inv
	v_cmpx_lt_i32_e32 28, v160
	s_cbranch_execz .LBB70_608
; %bb.607:
	v_mul_f64 v[152:153], v[144:145], v[30:31]
	v_mul_f64 v[30:31], v[146:147], v[30:31]
	ds_load_2addr_b64 v[161:164], v154 offset0:58 offset1:59
	ds_load_2addr_b64 v[165:168], v154 offset0:60 offset1:61
	;; [unrolled: 1-line block ×7, first 2 shown]
	v_fma_f64 v[146:147], v[146:147], v[28:29], v[152:153]
	v_fma_f64 v[28:29], v[144:145], v[28:29], -v[30:31]
	s_waitcnt lgkmcnt(6)
	s_delay_alu instid0(VALU_DEP_2)
	v_mul_f64 v[30:31], v[163:164], v[146:147]
	v_mul_f64 v[144:145], v[161:162], v[146:147]
	s_waitcnt lgkmcnt(5)
	v_mul_f64 v[152:153], v[167:168], v[146:147]
	v_mul_f64 v[189:190], v[165:166], v[146:147]
	s_waitcnt lgkmcnt(4)
	;; [unrolled: 3-line block ×6, first 2 shown]
	v_mul_f64 v[207:208], v[187:188], v[146:147]
	v_mul_f64 v[209:210], v[185:186], v[146:147]
	v_fma_f64 v[30:31], v[161:162], v[28:29], -v[30:31]
	v_fma_f64 v[144:145], v[163:164], v[28:29], v[144:145]
	v_fma_f64 v[152:153], v[165:166], v[28:29], -v[152:153]
	v_fma_f64 v[161:162], v[167:168], v[28:29], v[189:190]
	;; [unrolled: 2-line block ×7, first 2 shown]
	v_add_f64 v[24:25], v[24:25], -v[30:31]
	v_add_f64 v[26:27], v[26:27], -v[144:145]
	;; [unrolled: 1-line block ×14, first 2 shown]
	v_dual_mov_b32 v30, v146 :: v_dual_mov_b32 v31, v147
.LBB70_608:
	s_or_b32 exec_lo, exec_lo, s2
	v_lshl_add_u32 v144, v160, 4, v154
	s_barrier
	buffer_gl0_inv
	v_mov_b32_e32 v152, 29
	ds_store_2addr_b64 v144, v[24:25], v[26:27] offset1:1
	s_waitcnt lgkmcnt(0)
	s_barrier
	buffer_gl0_inv
	ds_load_2addr_b64 v[144:147], v154 offset0:58 offset1:59
	s_cmp_lt_i32 s5, 31
	s_cbranch_scc1 .LBB70_611
; %bb.609:
	v_add3_u32 v153, v159, 0, 0x1e0
	v_mov_b32_e32 v152, 29
	s_mov_b32 s6, 30
	s_set_inst_prefetch_distance 0x1
	.p2align	6
.LBB70_610:                             ; =>This Inner Loop Header: Depth=1
	ds_load_2addr_b64 v[161:164], v153 offset1:1
	s_waitcnt lgkmcnt(1)
	v_cmp_gt_f64_e32 vcc_lo, 0, v[144:145]
	v_xor_b32_e32 v165, 0x80000000, v145
	v_cmp_gt_f64_e64 s2, 0, v[146:147]
	v_xor_b32_e32 v167, 0x80000000, v147
	v_add_nc_u32_e32 v153, 16, v153
	s_waitcnt lgkmcnt(0)
	v_cmp_gt_f64_e64 s3, 0, v[161:162]
	v_mov_b32_e32 v169, v161
	v_dual_mov_b32 v171, v163 :: v_dual_cndmask_b32 v166, v145, v165
	v_xor_b32_e32 v165, 0x80000000, v162
	v_cndmask_b32_e64 v168, v147, v167, s2
	v_xor_b32_e32 v167, 0x80000000, v164
	s_delay_alu instid0(VALU_DEP_3) | instskip(SKIP_2) | instid1(VALU_DEP_2)
	v_cndmask_b32_e64 v170, v162, v165, s3
	v_cmp_gt_f64_e64 s3, 0, v[163:164]
	v_cndmask_b32_e32 v165, v144, v144, vcc_lo
	v_cndmask_b32_e64 v172, v164, v167, s3
	v_cndmask_b32_e64 v167, v146, v146, s2
	s_delay_alu instid0(VALU_DEP_2) | instskip(NEXT) | instid1(VALU_DEP_2)
	v_add_f64 v[169:170], v[169:170], v[171:172]
	v_add_f64 v[165:166], v[165:166], v[167:168]
	s_delay_alu instid0(VALU_DEP_1) | instskip(SKIP_4) | instid1(SALU_CYCLE_1)
	v_cmp_lt_f64_e32 vcc_lo, v[165:166], v[169:170]
	v_dual_cndmask_b32 v146, v146, v163 :: v_dual_cndmask_b32 v145, v145, v162
	v_dual_cndmask_b32 v144, v144, v161 :: v_dual_cndmask_b32 v147, v147, v164
	v_cndmask_b32_e64 v152, v152, s6, vcc_lo
	s_add_i32 s6, s6, 1
	s_cmp_lg_u32 s5, s6
	s_cbranch_scc1 .LBB70_610
.LBB70_611:
	s_set_inst_prefetch_distance 0x2
	s_waitcnt lgkmcnt(0)
	v_cmp_eq_f64_e32 vcc_lo, 0, v[144:145]
	v_cmp_eq_f64_e64 s2, 0, v[146:147]
	s_delay_alu instid0(VALU_DEP_1) | instskip(NEXT) | instid1(SALU_CYCLE_1)
	s_and_b32 s2, vcc_lo, s2
	s_and_saveexec_b32 s3, s2
	s_delay_alu instid0(SALU_CYCLE_1)
	s_xor_b32 s2, exec_lo, s3
; %bb.612:
	v_cmp_ne_u32_e32 vcc_lo, 0, v157
	v_cndmask_b32_e32 v157, 30, v157, vcc_lo
; %bb.613:
	s_and_not1_saveexec_b32 s3, s2
	s_cbranch_execz .LBB70_619
; %bb.614:
	v_cmp_gt_f64_e32 vcc_lo, 0, v[144:145]
	v_cmp_gt_f64_e64 s2, 0, v[146:147]
	v_xor_b32_e32 v153, 0x80000000, v145
	v_xor_b32_e32 v161, 0x80000000, v147
	s_delay_alu instid0(VALU_DEP_2) | instskip(NEXT) | instid1(VALU_DEP_2)
	v_cndmask_b32_e32 v162, v145, v153, vcc_lo
	v_cndmask_b32_e64 v164, v147, v161, s2
	v_cndmask_b32_e32 v161, v144, v144, vcc_lo
	v_cndmask_b32_e64 v163, v146, v146, s2
	s_mov_b32 s2, exec_lo
	s_delay_alu instid0(VALU_DEP_1)
	v_cmpx_ngt_f64_e32 v[161:162], v[163:164]
	s_xor_b32 s2, exec_lo, s2
	s_cbranch_execz .LBB70_616
; %bb.615:
	v_div_scale_f64 v[161:162], null, v[146:147], v[146:147], v[144:145]
	v_div_scale_f64 v[167:168], vcc_lo, v[144:145], v[146:147], v[144:145]
	s_delay_alu instid0(VALU_DEP_2) | instskip(SKIP_2) | instid1(VALU_DEP_1)
	v_rcp_f64_e32 v[163:164], v[161:162]
	s_waitcnt_depctr 0xfff
	v_fma_f64 v[165:166], -v[161:162], v[163:164], 1.0
	v_fma_f64 v[163:164], v[163:164], v[165:166], v[163:164]
	s_delay_alu instid0(VALU_DEP_1) | instskip(NEXT) | instid1(VALU_DEP_1)
	v_fma_f64 v[165:166], -v[161:162], v[163:164], 1.0
	v_fma_f64 v[163:164], v[163:164], v[165:166], v[163:164]
	s_delay_alu instid0(VALU_DEP_1) | instskip(NEXT) | instid1(VALU_DEP_1)
	v_mul_f64 v[165:166], v[167:168], v[163:164]
	v_fma_f64 v[161:162], -v[161:162], v[165:166], v[167:168]
	s_delay_alu instid0(VALU_DEP_1) | instskip(NEXT) | instid1(VALU_DEP_1)
	v_div_fmas_f64 v[161:162], v[161:162], v[163:164], v[165:166]
	v_div_fixup_f64 v[161:162], v[161:162], v[146:147], v[144:145]
	s_delay_alu instid0(VALU_DEP_1) | instskip(NEXT) | instid1(VALU_DEP_1)
	v_fma_f64 v[144:145], v[144:145], v[161:162], v[146:147]
	v_div_scale_f64 v[146:147], null, v[144:145], v[144:145], 1.0
	s_delay_alu instid0(VALU_DEP_1) | instskip(SKIP_2) | instid1(VALU_DEP_1)
	v_rcp_f64_e32 v[163:164], v[146:147]
	s_waitcnt_depctr 0xfff
	v_fma_f64 v[165:166], -v[146:147], v[163:164], 1.0
	v_fma_f64 v[163:164], v[163:164], v[165:166], v[163:164]
	s_delay_alu instid0(VALU_DEP_1) | instskip(NEXT) | instid1(VALU_DEP_1)
	v_fma_f64 v[165:166], -v[146:147], v[163:164], 1.0
	v_fma_f64 v[163:164], v[163:164], v[165:166], v[163:164]
	v_div_scale_f64 v[165:166], vcc_lo, 1.0, v[144:145], 1.0
	s_delay_alu instid0(VALU_DEP_1) | instskip(NEXT) | instid1(VALU_DEP_1)
	v_mul_f64 v[167:168], v[165:166], v[163:164]
	v_fma_f64 v[146:147], -v[146:147], v[167:168], v[165:166]
	s_delay_alu instid0(VALU_DEP_1) | instskip(NEXT) | instid1(VALU_DEP_1)
	v_div_fmas_f64 v[146:147], v[146:147], v[163:164], v[167:168]
	v_div_fixup_f64 v[146:147], v[146:147], v[144:145], 1.0
	s_delay_alu instid0(VALU_DEP_1)
	v_mul_f64 v[144:145], v[161:162], v[146:147]
	v_xor_b32_e32 v147, 0x80000000, v147
.LBB70_616:
	s_and_not1_saveexec_b32 s2, s2
	s_cbranch_execz .LBB70_618
; %bb.617:
	s_delay_alu instid0(VALU_DEP_1) | instskip(SKIP_1) | instid1(VALU_DEP_2)
	v_div_scale_f64 v[161:162], null, v[144:145], v[144:145], v[146:147]
	v_div_scale_f64 v[167:168], vcc_lo, v[146:147], v[144:145], v[146:147]
	v_rcp_f64_e32 v[163:164], v[161:162]
	s_waitcnt_depctr 0xfff
	v_fma_f64 v[165:166], -v[161:162], v[163:164], 1.0
	s_delay_alu instid0(VALU_DEP_1) | instskip(NEXT) | instid1(VALU_DEP_1)
	v_fma_f64 v[163:164], v[163:164], v[165:166], v[163:164]
	v_fma_f64 v[165:166], -v[161:162], v[163:164], 1.0
	s_delay_alu instid0(VALU_DEP_1) | instskip(NEXT) | instid1(VALU_DEP_1)
	v_fma_f64 v[163:164], v[163:164], v[165:166], v[163:164]
	v_mul_f64 v[165:166], v[167:168], v[163:164]
	s_delay_alu instid0(VALU_DEP_1) | instskip(NEXT) | instid1(VALU_DEP_1)
	v_fma_f64 v[161:162], -v[161:162], v[165:166], v[167:168]
	v_div_fmas_f64 v[161:162], v[161:162], v[163:164], v[165:166]
	s_delay_alu instid0(VALU_DEP_1) | instskip(NEXT) | instid1(VALU_DEP_1)
	v_div_fixup_f64 v[161:162], v[161:162], v[144:145], v[146:147]
	v_fma_f64 v[144:145], v[146:147], v[161:162], v[144:145]
	s_delay_alu instid0(VALU_DEP_1) | instskip(NEXT) | instid1(VALU_DEP_1)
	v_div_scale_f64 v[146:147], null, v[144:145], v[144:145], 1.0
	v_rcp_f64_e32 v[163:164], v[146:147]
	s_waitcnt_depctr 0xfff
	v_fma_f64 v[165:166], -v[146:147], v[163:164], 1.0
	s_delay_alu instid0(VALU_DEP_1) | instskip(NEXT) | instid1(VALU_DEP_1)
	v_fma_f64 v[163:164], v[163:164], v[165:166], v[163:164]
	v_fma_f64 v[165:166], -v[146:147], v[163:164], 1.0
	s_delay_alu instid0(VALU_DEP_1) | instskip(SKIP_1) | instid1(VALU_DEP_1)
	v_fma_f64 v[163:164], v[163:164], v[165:166], v[163:164]
	v_div_scale_f64 v[165:166], vcc_lo, 1.0, v[144:145], 1.0
	v_mul_f64 v[167:168], v[165:166], v[163:164]
	s_delay_alu instid0(VALU_DEP_1) | instskip(NEXT) | instid1(VALU_DEP_1)
	v_fma_f64 v[146:147], -v[146:147], v[167:168], v[165:166]
	v_div_fmas_f64 v[146:147], v[146:147], v[163:164], v[167:168]
	s_delay_alu instid0(VALU_DEP_1) | instskip(NEXT) | instid1(VALU_DEP_1)
	v_div_fixup_f64 v[144:145], v[146:147], v[144:145], 1.0
	v_mul_f64 v[146:147], v[161:162], -v[144:145]
.LBB70_618:
	s_or_b32 exec_lo, exec_lo, s2
.LBB70_619:
	s_delay_alu instid0(SALU_CYCLE_1) | instskip(NEXT) | instid1(SALU_CYCLE_1)
	s_or_b32 exec_lo, exec_lo, s3
	s_mov_b32 s2, exec_lo
	v_cmpx_ne_u32_e64 v160, v152
	s_xor_b32 s2, exec_lo, s2
	s_cbranch_execz .LBB70_625
; %bb.620:
	s_mov_b32 s3, exec_lo
	v_cmpx_eq_u32_e32 29, v160
	s_cbranch_execz .LBB70_624
; %bb.621:
	v_cmp_ne_u32_e32 vcc_lo, 29, v152
	s_xor_b32 s6, s4, -1
	s_delay_alu instid0(SALU_CYCLE_1) | instskip(NEXT) | instid1(SALU_CYCLE_1)
	s_and_b32 s7, s6, vcc_lo
	s_and_saveexec_b32 s6, s7
	s_cbranch_execz .LBB70_623
; %bb.622:
	v_ashrrev_i32_e32 v153, 31, v152
	s_delay_alu instid0(VALU_DEP_1) | instskip(NEXT) | instid1(VALU_DEP_1)
	v_lshlrev_b64 v[160:161], 2, v[152:153]
	v_add_co_u32 v160, vcc_lo, v150, v160
	s_delay_alu instid0(VALU_DEP_2)
	v_add_co_ci_u32_e32 v161, vcc_lo, v151, v161, vcc_lo
	s_clause 0x1
	flat_load_b32 v153, v[160:161]
	flat_load_b32 v158, v[150:151] offset:116
	s_waitcnt vmcnt(1) lgkmcnt(1)
	flat_store_b32 v[150:151], v153 offset:116
	s_waitcnt vmcnt(0) lgkmcnt(1)
	flat_store_b32 v[160:161], v158
.LBB70_623:
	s_or_b32 exec_lo, exec_lo, s6
	v_mov_b32_e32 v160, v152
	v_mov_b32_e32 v158, v152
.LBB70_624:
	s_or_b32 exec_lo, exec_lo, s3
.LBB70_625:
	s_and_not1_saveexec_b32 s2, s2
	s_cbranch_execz .LBB70_627
; %bb.626:
	v_mov_b32_e32 v160, 29
	ds_store_2addr_b64 v154, v[20:21], v[22:23] offset0:60 offset1:61
	ds_store_2addr_b64 v154, v[16:17], v[18:19] offset0:62 offset1:63
	;; [unrolled: 1-line block ×6, first 2 shown]
.LBB70_627:
	s_or_b32 exec_lo, exec_lo, s2
	s_delay_alu instid0(SALU_CYCLE_1)
	s_mov_b32 s2, exec_lo
	s_waitcnt lgkmcnt(0)
	s_waitcnt_vscnt null, 0x0
	s_barrier
	buffer_gl0_inv
	v_cmpx_lt_i32_e32 29, v160
	s_cbranch_execz .LBB70_629
; %bb.628:
	v_mul_f64 v[152:153], v[144:145], v[26:27]
	v_mul_f64 v[26:27], v[146:147], v[26:27]
	ds_load_2addr_b64 v[161:164], v154 offset0:60 offset1:61
	ds_load_2addr_b64 v[165:168], v154 offset0:62 offset1:63
	;; [unrolled: 1-line block ×6, first 2 shown]
	v_fma_f64 v[146:147], v[146:147], v[24:25], v[152:153]
	v_fma_f64 v[24:25], v[144:145], v[24:25], -v[26:27]
	s_waitcnt lgkmcnt(5)
	s_delay_alu instid0(VALU_DEP_2)
	v_mul_f64 v[26:27], v[163:164], v[146:147]
	v_mul_f64 v[144:145], v[161:162], v[146:147]
	s_waitcnt lgkmcnt(4)
	v_mul_f64 v[152:153], v[167:168], v[146:147]
	v_mul_f64 v[185:186], v[165:166], v[146:147]
	s_waitcnt lgkmcnt(3)
	;; [unrolled: 3-line block ×5, first 2 shown]
	v_mul_f64 v[199:200], v[183:184], v[146:147]
	v_mul_f64 v[201:202], v[181:182], v[146:147]
	v_fma_f64 v[26:27], v[161:162], v[24:25], -v[26:27]
	v_fma_f64 v[144:145], v[163:164], v[24:25], v[144:145]
	v_fma_f64 v[152:153], v[165:166], v[24:25], -v[152:153]
	v_fma_f64 v[161:162], v[167:168], v[24:25], v[185:186]
	;; [unrolled: 2-line block ×6, first 2 shown]
	v_add_f64 v[20:21], v[20:21], -v[26:27]
	v_add_f64 v[22:23], v[22:23], -v[144:145]
	;; [unrolled: 1-line block ×12, first 2 shown]
	v_dual_mov_b32 v26, v146 :: v_dual_mov_b32 v27, v147
.LBB70_629:
	s_or_b32 exec_lo, exec_lo, s2
	v_lshl_add_u32 v144, v160, 4, v154
	s_barrier
	buffer_gl0_inv
	v_mov_b32_e32 v152, 30
	ds_store_2addr_b64 v144, v[20:21], v[22:23] offset1:1
	s_waitcnt lgkmcnt(0)
	s_barrier
	buffer_gl0_inv
	ds_load_2addr_b64 v[144:147], v154 offset0:60 offset1:61
	s_cmp_lt_i32 s5, 32
	s_cbranch_scc1 .LBB70_632
; %bb.630:
	v_add3_u32 v153, v159, 0, 0x1f0
	v_mov_b32_e32 v152, 30
	s_mov_b32 s6, 31
	s_set_inst_prefetch_distance 0x1
	.p2align	6
.LBB70_631:                             ; =>This Inner Loop Header: Depth=1
	ds_load_2addr_b64 v[161:164], v153 offset1:1
	s_waitcnt lgkmcnt(1)
	v_cmp_gt_f64_e32 vcc_lo, 0, v[144:145]
	v_xor_b32_e32 v165, 0x80000000, v145
	v_cmp_gt_f64_e64 s2, 0, v[146:147]
	v_xor_b32_e32 v167, 0x80000000, v147
	v_add_nc_u32_e32 v153, 16, v153
	s_waitcnt lgkmcnt(0)
	v_cmp_gt_f64_e64 s3, 0, v[161:162]
	v_mov_b32_e32 v169, v161
	v_dual_mov_b32 v171, v163 :: v_dual_cndmask_b32 v166, v145, v165
	v_xor_b32_e32 v165, 0x80000000, v162
	v_cndmask_b32_e64 v168, v147, v167, s2
	v_xor_b32_e32 v167, 0x80000000, v164
	s_delay_alu instid0(VALU_DEP_3) | instskip(SKIP_2) | instid1(VALU_DEP_2)
	v_cndmask_b32_e64 v170, v162, v165, s3
	v_cmp_gt_f64_e64 s3, 0, v[163:164]
	v_cndmask_b32_e32 v165, v144, v144, vcc_lo
	v_cndmask_b32_e64 v172, v164, v167, s3
	v_cndmask_b32_e64 v167, v146, v146, s2
	s_delay_alu instid0(VALU_DEP_2) | instskip(NEXT) | instid1(VALU_DEP_2)
	v_add_f64 v[169:170], v[169:170], v[171:172]
	v_add_f64 v[165:166], v[165:166], v[167:168]
	s_delay_alu instid0(VALU_DEP_1) | instskip(SKIP_4) | instid1(SALU_CYCLE_1)
	v_cmp_lt_f64_e32 vcc_lo, v[165:166], v[169:170]
	v_dual_cndmask_b32 v146, v146, v163 :: v_dual_cndmask_b32 v145, v145, v162
	v_dual_cndmask_b32 v144, v144, v161 :: v_dual_cndmask_b32 v147, v147, v164
	v_cndmask_b32_e64 v152, v152, s6, vcc_lo
	s_add_i32 s6, s6, 1
	s_cmp_lg_u32 s5, s6
	s_cbranch_scc1 .LBB70_631
.LBB70_632:
	s_set_inst_prefetch_distance 0x2
	s_waitcnt lgkmcnt(0)
	v_cmp_eq_f64_e32 vcc_lo, 0, v[144:145]
	v_cmp_eq_f64_e64 s2, 0, v[146:147]
	s_delay_alu instid0(VALU_DEP_1) | instskip(NEXT) | instid1(SALU_CYCLE_1)
	s_and_b32 s2, vcc_lo, s2
	s_and_saveexec_b32 s3, s2
	s_delay_alu instid0(SALU_CYCLE_1)
	s_xor_b32 s2, exec_lo, s3
; %bb.633:
	v_cmp_ne_u32_e32 vcc_lo, 0, v157
	v_cndmask_b32_e32 v157, 31, v157, vcc_lo
; %bb.634:
	s_and_not1_saveexec_b32 s3, s2
	s_cbranch_execz .LBB70_640
; %bb.635:
	v_cmp_gt_f64_e32 vcc_lo, 0, v[144:145]
	v_cmp_gt_f64_e64 s2, 0, v[146:147]
	v_xor_b32_e32 v153, 0x80000000, v145
	v_xor_b32_e32 v161, 0x80000000, v147
	s_delay_alu instid0(VALU_DEP_2) | instskip(NEXT) | instid1(VALU_DEP_2)
	v_cndmask_b32_e32 v162, v145, v153, vcc_lo
	v_cndmask_b32_e64 v164, v147, v161, s2
	v_cndmask_b32_e32 v161, v144, v144, vcc_lo
	v_cndmask_b32_e64 v163, v146, v146, s2
	s_mov_b32 s2, exec_lo
	s_delay_alu instid0(VALU_DEP_1)
	v_cmpx_ngt_f64_e32 v[161:162], v[163:164]
	s_xor_b32 s2, exec_lo, s2
	s_cbranch_execz .LBB70_637
; %bb.636:
	v_div_scale_f64 v[161:162], null, v[146:147], v[146:147], v[144:145]
	v_div_scale_f64 v[167:168], vcc_lo, v[144:145], v[146:147], v[144:145]
	s_delay_alu instid0(VALU_DEP_2) | instskip(SKIP_2) | instid1(VALU_DEP_1)
	v_rcp_f64_e32 v[163:164], v[161:162]
	s_waitcnt_depctr 0xfff
	v_fma_f64 v[165:166], -v[161:162], v[163:164], 1.0
	v_fma_f64 v[163:164], v[163:164], v[165:166], v[163:164]
	s_delay_alu instid0(VALU_DEP_1) | instskip(NEXT) | instid1(VALU_DEP_1)
	v_fma_f64 v[165:166], -v[161:162], v[163:164], 1.0
	v_fma_f64 v[163:164], v[163:164], v[165:166], v[163:164]
	s_delay_alu instid0(VALU_DEP_1) | instskip(NEXT) | instid1(VALU_DEP_1)
	v_mul_f64 v[165:166], v[167:168], v[163:164]
	v_fma_f64 v[161:162], -v[161:162], v[165:166], v[167:168]
	s_delay_alu instid0(VALU_DEP_1) | instskip(NEXT) | instid1(VALU_DEP_1)
	v_div_fmas_f64 v[161:162], v[161:162], v[163:164], v[165:166]
	v_div_fixup_f64 v[161:162], v[161:162], v[146:147], v[144:145]
	s_delay_alu instid0(VALU_DEP_1) | instskip(NEXT) | instid1(VALU_DEP_1)
	v_fma_f64 v[144:145], v[144:145], v[161:162], v[146:147]
	v_div_scale_f64 v[146:147], null, v[144:145], v[144:145], 1.0
	s_delay_alu instid0(VALU_DEP_1) | instskip(SKIP_2) | instid1(VALU_DEP_1)
	v_rcp_f64_e32 v[163:164], v[146:147]
	s_waitcnt_depctr 0xfff
	v_fma_f64 v[165:166], -v[146:147], v[163:164], 1.0
	v_fma_f64 v[163:164], v[163:164], v[165:166], v[163:164]
	s_delay_alu instid0(VALU_DEP_1) | instskip(NEXT) | instid1(VALU_DEP_1)
	v_fma_f64 v[165:166], -v[146:147], v[163:164], 1.0
	v_fma_f64 v[163:164], v[163:164], v[165:166], v[163:164]
	v_div_scale_f64 v[165:166], vcc_lo, 1.0, v[144:145], 1.0
	s_delay_alu instid0(VALU_DEP_1) | instskip(NEXT) | instid1(VALU_DEP_1)
	v_mul_f64 v[167:168], v[165:166], v[163:164]
	v_fma_f64 v[146:147], -v[146:147], v[167:168], v[165:166]
	s_delay_alu instid0(VALU_DEP_1) | instskip(NEXT) | instid1(VALU_DEP_1)
	v_div_fmas_f64 v[146:147], v[146:147], v[163:164], v[167:168]
	v_div_fixup_f64 v[146:147], v[146:147], v[144:145], 1.0
	s_delay_alu instid0(VALU_DEP_1)
	v_mul_f64 v[144:145], v[161:162], v[146:147]
	v_xor_b32_e32 v147, 0x80000000, v147
.LBB70_637:
	s_and_not1_saveexec_b32 s2, s2
	s_cbranch_execz .LBB70_639
; %bb.638:
	s_delay_alu instid0(VALU_DEP_1) | instskip(SKIP_1) | instid1(VALU_DEP_2)
	v_div_scale_f64 v[161:162], null, v[144:145], v[144:145], v[146:147]
	v_div_scale_f64 v[167:168], vcc_lo, v[146:147], v[144:145], v[146:147]
	v_rcp_f64_e32 v[163:164], v[161:162]
	s_waitcnt_depctr 0xfff
	v_fma_f64 v[165:166], -v[161:162], v[163:164], 1.0
	s_delay_alu instid0(VALU_DEP_1) | instskip(NEXT) | instid1(VALU_DEP_1)
	v_fma_f64 v[163:164], v[163:164], v[165:166], v[163:164]
	v_fma_f64 v[165:166], -v[161:162], v[163:164], 1.0
	s_delay_alu instid0(VALU_DEP_1) | instskip(NEXT) | instid1(VALU_DEP_1)
	v_fma_f64 v[163:164], v[163:164], v[165:166], v[163:164]
	v_mul_f64 v[165:166], v[167:168], v[163:164]
	s_delay_alu instid0(VALU_DEP_1) | instskip(NEXT) | instid1(VALU_DEP_1)
	v_fma_f64 v[161:162], -v[161:162], v[165:166], v[167:168]
	v_div_fmas_f64 v[161:162], v[161:162], v[163:164], v[165:166]
	s_delay_alu instid0(VALU_DEP_1) | instskip(NEXT) | instid1(VALU_DEP_1)
	v_div_fixup_f64 v[161:162], v[161:162], v[144:145], v[146:147]
	v_fma_f64 v[144:145], v[146:147], v[161:162], v[144:145]
	s_delay_alu instid0(VALU_DEP_1) | instskip(NEXT) | instid1(VALU_DEP_1)
	v_div_scale_f64 v[146:147], null, v[144:145], v[144:145], 1.0
	v_rcp_f64_e32 v[163:164], v[146:147]
	s_waitcnt_depctr 0xfff
	v_fma_f64 v[165:166], -v[146:147], v[163:164], 1.0
	s_delay_alu instid0(VALU_DEP_1) | instskip(NEXT) | instid1(VALU_DEP_1)
	v_fma_f64 v[163:164], v[163:164], v[165:166], v[163:164]
	v_fma_f64 v[165:166], -v[146:147], v[163:164], 1.0
	s_delay_alu instid0(VALU_DEP_1) | instskip(SKIP_1) | instid1(VALU_DEP_1)
	v_fma_f64 v[163:164], v[163:164], v[165:166], v[163:164]
	v_div_scale_f64 v[165:166], vcc_lo, 1.0, v[144:145], 1.0
	v_mul_f64 v[167:168], v[165:166], v[163:164]
	s_delay_alu instid0(VALU_DEP_1) | instskip(NEXT) | instid1(VALU_DEP_1)
	v_fma_f64 v[146:147], -v[146:147], v[167:168], v[165:166]
	v_div_fmas_f64 v[146:147], v[146:147], v[163:164], v[167:168]
	s_delay_alu instid0(VALU_DEP_1) | instskip(NEXT) | instid1(VALU_DEP_1)
	v_div_fixup_f64 v[144:145], v[146:147], v[144:145], 1.0
	v_mul_f64 v[146:147], v[161:162], -v[144:145]
.LBB70_639:
	s_or_b32 exec_lo, exec_lo, s2
.LBB70_640:
	s_delay_alu instid0(SALU_CYCLE_1) | instskip(NEXT) | instid1(SALU_CYCLE_1)
	s_or_b32 exec_lo, exec_lo, s3
	s_mov_b32 s2, exec_lo
	v_cmpx_ne_u32_e64 v160, v152
	s_xor_b32 s2, exec_lo, s2
	s_cbranch_execz .LBB70_646
; %bb.641:
	s_mov_b32 s3, exec_lo
	v_cmpx_eq_u32_e32 30, v160
	s_cbranch_execz .LBB70_645
; %bb.642:
	v_cmp_ne_u32_e32 vcc_lo, 30, v152
	s_xor_b32 s6, s4, -1
	s_delay_alu instid0(SALU_CYCLE_1) | instskip(NEXT) | instid1(SALU_CYCLE_1)
	s_and_b32 s7, s6, vcc_lo
	s_and_saveexec_b32 s6, s7
	s_cbranch_execz .LBB70_644
; %bb.643:
	v_ashrrev_i32_e32 v153, 31, v152
	s_delay_alu instid0(VALU_DEP_1) | instskip(NEXT) | instid1(VALU_DEP_1)
	v_lshlrev_b64 v[160:161], 2, v[152:153]
	v_add_co_u32 v160, vcc_lo, v150, v160
	s_delay_alu instid0(VALU_DEP_2)
	v_add_co_ci_u32_e32 v161, vcc_lo, v151, v161, vcc_lo
	s_clause 0x1
	flat_load_b32 v153, v[160:161]
	flat_load_b32 v158, v[150:151] offset:120
	s_waitcnt vmcnt(1) lgkmcnt(1)
	flat_store_b32 v[150:151], v153 offset:120
	s_waitcnt vmcnt(0) lgkmcnt(1)
	flat_store_b32 v[160:161], v158
.LBB70_644:
	s_or_b32 exec_lo, exec_lo, s6
	v_mov_b32_e32 v160, v152
	v_mov_b32_e32 v158, v152
.LBB70_645:
	s_or_b32 exec_lo, exec_lo, s3
.LBB70_646:
	s_and_not1_saveexec_b32 s2, s2
	s_cbranch_execz .LBB70_648
; %bb.647:
	v_mov_b32_e32 v160, 30
	ds_store_2addr_b64 v154, v[16:17], v[18:19] offset0:62 offset1:63
	ds_store_2addr_b64 v154, v[12:13], v[14:15] offset0:64 offset1:65
	;; [unrolled: 1-line block ×5, first 2 shown]
.LBB70_648:
	s_or_b32 exec_lo, exec_lo, s2
	s_delay_alu instid0(SALU_CYCLE_1)
	s_mov_b32 s2, exec_lo
	s_waitcnt lgkmcnt(0)
	s_waitcnt_vscnt null, 0x0
	s_barrier
	buffer_gl0_inv
	v_cmpx_lt_i32_e32 30, v160
	s_cbranch_execz .LBB70_650
; %bb.649:
	v_mul_f64 v[152:153], v[144:145], v[22:23]
	v_mul_f64 v[22:23], v[146:147], v[22:23]
	ds_load_2addr_b64 v[161:164], v154 offset0:62 offset1:63
	ds_load_2addr_b64 v[165:168], v154 offset0:64 offset1:65
	;; [unrolled: 1-line block ×5, first 2 shown]
	v_fma_f64 v[146:147], v[146:147], v[20:21], v[152:153]
	v_fma_f64 v[20:21], v[144:145], v[20:21], -v[22:23]
	s_waitcnt lgkmcnt(4)
	s_delay_alu instid0(VALU_DEP_2)
	v_mul_f64 v[22:23], v[163:164], v[146:147]
	v_mul_f64 v[144:145], v[161:162], v[146:147]
	s_waitcnt lgkmcnt(3)
	v_mul_f64 v[152:153], v[167:168], v[146:147]
	v_mul_f64 v[181:182], v[165:166], v[146:147]
	s_waitcnt lgkmcnt(2)
	v_mul_f64 v[183:184], v[171:172], v[146:147]
	v_mul_f64 v[185:186], v[169:170], v[146:147]
	s_waitcnt lgkmcnt(1)
	v_mul_f64 v[187:188], v[175:176], v[146:147]
	v_mul_f64 v[189:190], v[173:174], v[146:147]
	s_waitcnt lgkmcnt(0)
	v_mul_f64 v[191:192], v[179:180], v[146:147]
	v_mul_f64 v[193:194], v[177:178], v[146:147]
	v_fma_f64 v[22:23], v[161:162], v[20:21], -v[22:23]
	v_fma_f64 v[144:145], v[163:164], v[20:21], v[144:145]
	v_fma_f64 v[152:153], v[165:166], v[20:21], -v[152:153]
	v_fma_f64 v[161:162], v[167:168], v[20:21], v[181:182]
	;; [unrolled: 2-line block ×5, first 2 shown]
	v_add_f64 v[16:17], v[16:17], -v[22:23]
	v_add_f64 v[18:19], v[18:19], -v[144:145]
	;; [unrolled: 1-line block ×10, first 2 shown]
	v_dual_mov_b32 v22, v146 :: v_dual_mov_b32 v23, v147
.LBB70_650:
	s_or_b32 exec_lo, exec_lo, s2
	v_lshl_add_u32 v144, v160, 4, v154
	s_barrier
	buffer_gl0_inv
	v_mov_b32_e32 v152, 31
	ds_store_2addr_b64 v144, v[16:17], v[18:19] offset1:1
	s_waitcnt lgkmcnt(0)
	s_barrier
	buffer_gl0_inv
	ds_load_2addr_b64 v[144:147], v154 offset0:62 offset1:63
	s_cmp_lt_i32 s5, 33
	s_cbranch_scc1 .LBB70_653
; %bb.651:
	v_add3_u32 v153, v159, 0, 0x200
	v_mov_b32_e32 v152, 31
	s_mov_b32 s6, 32
	s_set_inst_prefetch_distance 0x1
	.p2align	6
.LBB70_652:                             ; =>This Inner Loop Header: Depth=1
	ds_load_2addr_b64 v[161:164], v153 offset1:1
	s_waitcnt lgkmcnt(1)
	v_cmp_gt_f64_e32 vcc_lo, 0, v[144:145]
	v_xor_b32_e32 v165, 0x80000000, v145
	v_cmp_gt_f64_e64 s2, 0, v[146:147]
	v_xor_b32_e32 v167, 0x80000000, v147
	v_add_nc_u32_e32 v153, 16, v153
	s_waitcnt lgkmcnt(0)
	v_cmp_gt_f64_e64 s3, 0, v[161:162]
	v_mov_b32_e32 v169, v161
	v_dual_mov_b32 v171, v163 :: v_dual_cndmask_b32 v166, v145, v165
	v_xor_b32_e32 v165, 0x80000000, v162
	v_cndmask_b32_e64 v168, v147, v167, s2
	v_xor_b32_e32 v167, 0x80000000, v164
	s_delay_alu instid0(VALU_DEP_3) | instskip(SKIP_2) | instid1(VALU_DEP_2)
	v_cndmask_b32_e64 v170, v162, v165, s3
	v_cmp_gt_f64_e64 s3, 0, v[163:164]
	v_cndmask_b32_e32 v165, v144, v144, vcc_lo
	v_cndmask_b32_e64 v172, v164, v167, s3
	v_cndmask_b32_e64 v167, v146, v146, s2
	s_delay_alu instid0(VALU_DEP_2) | instskip(NEXT) | instid1(VALU_DEP_2)
	v_add_f64 v[169:170], v[169:170], v[171:172]
	v_add_f64 v[165:166], v[165:166], v[167:168]
	s_delay_alu instid0(VALU_DEP_1) | instskip(SKIP_4) | instid1(SALU_CYCLE_1)
	v_cmp_lt_f64_e32 vcc_lo, v[165:166], v[169:170]
	v_dual_cndmask_b32 v146, v146, v163 :: v_dual_cndmask_b32 v145, v145, v162
	v_dual_cndmask_b32 v144, v144, v161 :: v_dual_cndmask_b32 v147, v147, v164
	v_cndmask_b32_e64 v152, v152, s6, vcc_lo
	s_add_i32 s6, s6, 1
	s_cmp_lg_u32 s5, s6
	s_cbranch_scc1 .LBB70_652
.LBB70_653:
	s_set_inst_prefetch_distance 0x2
	s_waitcnt lgkmcnt(0)
	v_cmp_eq_f64_e32 vcc_lo, 0, v[144:145]
	v_cmp_eq_f64_e64 s2, 0, v[146:147]
	s_delay_alu instid0(VALU_DEP_1) | instskip(NEXT) | instid1(SALU_CYCLE_1)
	s_and_b32 s2, vcc_lo, s2
	s_and_saveexec_b32 s3, s2
	s_delay_alu instid0(SALU_CYCLE_1)
	s_xor_b32 s2, exec_lo, s3
; %bb.654:
	v_cmp_ne_u32_e32 vcc_lo, 0, v157
	v_cndmask_b32_e32 v157, 32, v157, vcc_lo
; %bb.655:
	s_and_not1_saveexec_b32 s3, s2
	s_cbranch_execz .LBB70_661
; %bb.656:
	v_cmp_gt_f64_e32 vcc_lo, 0, v[144:145]
	v_cmp_gt_f64_e64 s2, 0, v[146:147]
	v_xor_b32_e32 v153, 0x80000000, v145
	v_xor_b32_e32 v161, 0x80000000, v147
	s_delay_alu instid0(VALU_DEP_2) | instskip(NEXT) | instid1(VALU_DEP_2)
	v_cndmask_b32_e32 v162, v145, v153, vcc_lo
	v_cndmask_b32_e64 v164, v147, v161, s2
	v_cndmask_b32_e32 v161, v144, v144, vcc_lo
	v_cndmask_b32_e64 v163, v146, v146, s2
	s_mov_b32 s2, exec_lo
	s_delay_alu instid0(VALU_DEP_1)
	v_cmpx_ngt_f64_e32 v[161:162], v[163:164]
	s_xor_b32 s2, exec_lo, s2
	s_cbranch_execz .LBB70_658
; %bb.657:
	v_div_scale_f64 v[161:162], null, v[146:147], v[146:147], v[144:145]
	v_div_scale_f64 v[167:168], vcc_lo, v[144:145], v[146:147], v[144:145]
	s_delay_alu instid0(VALU_DEP_2) | instskip(SKIP_2) | instid1(VALU_DEP_1)
	v_rcp_f64_e32 v[163:164], v[161:162]
	s_waitcnt_depctr 0xfff
	v_fma_f64 v[165:166], -v[161:162], v[163:164], 1.0
	v_fma_f64 v[163:164], v[163:164], v[165:166], v[163:164]
	s_delay_alu instid0(VALU_DEP_1) | instskip(NEXT) | instid1(VALU_DEP_1)
	v_fma_f64 v[165:166], -v[161:162], v[163:164], 1.0
	v_fma_f64 v[163:164], v[163:164], v[165:166], v[163:164]
	s_delay_alu instid0(VALU_DEP_1) | instskip(NEXT) | instid1(VALU_DEP_1)
	v_mul_f64 v[165:166], v[167:168], v[163:164]
	v_fma_f64 v[161:162], -v[161:162], v[165:166], v[167:168]
	s_delay_alu instid0(VALU_DEP_1) | instskip(NEXT) | instid1(VALU_DEP_1)
	v_div_fmas_f64 v[161:162], v[161:162], v[163:164], v[165:166]
	v_div_fixup_f64 v[161:162], v[161:162], v[146:147], v[144:145]
	s_delay_alu instid0(VALU_DEP_1) | instskip(NEXT) | instid1(VALU_DEP_1)
	v_fma_f64 v[144:145], v[144:145], v[161:162], v[146:147]
	v_div_scale_f64 v[146:147], null, v[144:145], v[144:145], 1.0
	s_delay_alu instid0(VALU_DEP_1) | instskip(SKIP_2) | instid1(VALU_DEP_1)
	v_rcp_f64_e32 v[163:164], v[146:147]
	s_waitcnt_depctr 0xfff
	v_fma_f64 v[165:166], -v[146:147], v[163:164], 1.0
	v_fma_f64 v[163:164], v[163:164], v[165:166], v[163:164]
	s_delay_alu instid0(VALU_DEP_1) | instskip(NEXT) | instid1(VALU_DEP_1)
	v_fma_f64 v[165:166], -v[146:147], v[163:164], 1.0
	v_fma_f64 v[163:164], v[163:164], v[165:166], v[163:164]
	v_div_scale_f64 v[165:166], vcc_lo, 1.0, v[144:145], 1.0
	s_delay_alu instid0(VALU_DEP_1) | instskip(NEXT) | instid1(VALU_DEP_1)
	v_mul_f64 v[167:168], v[165:166], v[163:164]
	v_fma_f64 v[146:147], -v[146:147], v[167:168], v[165:166]
	s_delay_alu instid0(VALU_DEP_1) | instskip(NEXT) | instid1(VALU_DEP_1)
	v_div_fmas_f64 v[146:147], v[146:147], v[163:164], v[167:168]
	v_div_fixup_f64 v[146:147], v[146:147], v[144:145], 1.0
	s_delay_alu instid0(VALU_DEP_1)
	v_mul_f64 v[144:145], v[161:162], v[146:147]
	v_xor_b32_e32 v147, 0x80000000, v147
.LBB70_658:
	s_and_not1_saveexec_b32 s2, s2
	s_cbranch_execz .LBB70_660
; %bb.659:
	s_delay_alu instid0(VALU_DEP_1) | instskip(SKIP_1) | instid1(VALU_DEP_2)
	v_div_scale_f64 v[161:162], null, v[144:145], v[144:145], v[146:147]
	v_div_scale_f64 v[167:168], vcc_lo, v[146:147], v[144:145], v[146:147]
	v_rcp_f64_e32 v[163:164], v[161:162]
	s_waitcnt_depctr 0xfff
	v_fma_f64 v[165:166], -v[161:162], v[163:164], 1.0
	s_delay_alu instid0(VALU_DEP_1) | instskip(NEXT) | instid1(VALU_DEP_1)
	v_fma_f64 v[163:164], v[163:164], v[165:166], v[163:164]
	v_fma_f64 v[165:166], -v[161:162], v[163:164], 1.0
	s_delay_alu instid0(VALU_DEP_1) | instskip(NEXT) | instid1(VALU_DEP_1)
	v_fma_f64 v[163:164], v[163:164], v[165:166], v[163:164]
	v_mul_f64 v[165:166], v[167:168], v[163:164]
	s_delay_alu instid0(VALU_DEP_1) | instskip(NEXT) | instid1(VALU_DEP_1)
	v_fma_f64 v[161:162], -v[161:162], v[165:166], v[167:168]
	v_div_fmas_f64 v[161:162], v[161:162], v[163:164], v[165:166]
	s_delay_alu instid0(VALU_DEP_1) | instskip(NEXT) | instid1(VALU_DEP_1)
	v_div_fixup_f64 v[161:162], v[161:162], v[144:145], v[146:147]
	v_fma_f64 v[144:145], v[146:147], v[161:162], v[144:145]
	s_delay_alu instid0(VALU_DEP_1) | instskip(NEXT) | instid1(VALU_DEP_1)
	v_div_scale_f64 v[146:147], null, v[144:145], v[144:145], 1.0
	v_rcp_f64_e32 v[163:164], v[146:147]
	s_waitcnt_depctr 0xfff
	v_fma_f64 v[165:166], -v[146:147], v[163:164], 1.0
	s_delay_alu instid0(VALU_DEP_1) | instskip(NEXT) | instid1(VALU_DEP_1)
	v_fma_f64 v[163:164], v[163:164], v[165:166], v[163:164]
	v_fma_f64 v[165:166], -v[146:147], v[163:164], 1.0
	s_delay_alu instid0(VALU_DEP_1) | instskip(SKIP_1) | instid1(VALU_DEP_1)
	v_fma_f64 v[163:164], v[163:164], v[165:166], v[163:164]
	v_div_scale_f64 v[165:166], vcc_lo, 1.0, v[144:145], 1.0
	v_mul_f64 v[167:168], v[165:166], v[163:164]
	s_delay_alu instid0(VALU_DEP_1) | instskip(NEXT) | instid1(VALU_DEP_1)
	v_fma_f64 v[146:147], -v[146:147], v[167:168], v[165:166]
	v_div_fmas_f64 v[146:147], v[146:147], v[163:164], v[167:168]
	s_delay_alu instid0(VALU_DEP_1) | instskip(NEXT) | instid1(VALU_DEP_1)
	v_div_fixup_f64 v[144:145], v[146:147], v[144:145], 1.0
	v_mul_f64 v[146:147], v[161:162], -v[144:145]
.LBB70_660:
	s_or_b32 exec_lo, exec_lo, s2
.LBB70_661:
	s_delay_alu instid0(SALU_CYCLE_1) | instskip(NEXT) | instid1(SALU_CYCLE_1)
	s_or_b32 exec_lo, exec_lo, s3
	s_mov_b32 s2, exec_lo
	v_cmpx_ne_u32_e64 v160, v152
	s_xor_b32 s2, exec_lo, s2
	s_cbranch_execz .LBB70_667
; %bb.662:
	s_mov_b32 s3, exec_lo
	v_cmpx_eq_u32_e32 31, v160
	s_cbranch_execz .LBB70_666
; %bb.663:
	v_cmp_ne_u32_e32 vcc_lo, 31, v152
	s_xor_b32 s6, s4, -1
	s_delay_alu instid0(SALU_CYCLE_1) | instskip(NEXT) | instid1(SALU_CYCLE_1)
	s_and_b32 s7, s6, vcc_lo
	s_and_saveexec_b32 s6, s7
	s_cbranch_execz .LBB70_665
; %bb.664:
	v_ashrrev_i32_e32 v153, 31, v152
	s_delay_alu instid0(VALU_DEP_1) | instskip(NEXT) | instid1(VALU_DEP_1)
	v_lshlrev_b64 v[160:161], 2, v[152:153]
	v_add_co_u32 v160, vcc_lo, v150, v160
	s_delay_alu instid0(VALU_DEP_2)
	v_add_co_ci_u32_e32 v161, vcc_lo, v151, v161, vcc_lo
	s_clause 0x1
	flat_load_b32 v153, v[160:161]
	flat_load_b32 v158, v[150:151] offset:124
	s_waitcnt vmcnt(1) lgkmcnt(1)
	flat_store_b32 v[150:151], v153 offset:124
	s_waitcnt vmcnt(0) lgkmcnt(1)
	flat_store_b32 v[160:161], v158
.LBB70_665:
	s_or_b32 exec_lo, exec_lo, s6
	v_mov_b32_e32 v160, v152
	v_mov_b32_e32 v158, v152
.LBB70_666:
	s_or_b32 exec_lo, exec_lo, s3
.LBB70_667:
	s_and_not1_saveexec_b32 s2, s2
	s_cbranch_execz .LBB70_669
; %bb.668:
	v_mov_b32_e32 v160, 31
	ds_store_2addr_b64 v154, v[12:13], v[14:15] offset0:64 offset1:65
	ds_store_2addr_b64 v154, v[8:9], v[10:11] offset0:66 offset1:67
	;; [unrolled: 1-line block ×4, first 2 shown]
.LBB70_669:
	s_or_b32 exec_lo, exec_lo, s2
	s_delay_alu instid0(SALU_CYCLE_1)
	s_mov_b32 s2, exec_lo
	s_waitcnt lgkmcnt(0)
	s_waitcnt_vscnt null, 0x0
	s_barrier
	buffer_gl0_inv
	v_cmpx_lt_i32_e32 31, v160
	s_cbranch_execz .LBB70_671
; %bb.670:
	v_mul_f64 v[152:153], v[144:145], v[18:19]
	v_mul_f64 v[18:19], v[146:147], v[18:19]
	ds_load_2addr_b64 v[161:164], v154 offset0:64 offset1:65
	ds_load_2addr_b64 v[165:168], v154 offset0:66 offset1:67
	ds_load_2addr_b64 v[169:172], v154 offset0:68 offset1:69
	ds_load_2addr_b64 v[173:176], v154 offset0:70 offset1:71
	v_fma_f64 v[146:147], v[146:147], v[16:17], v[152:153]
	v_fma_f64 v[16:17], v[144:145], v[16:17], -v[18:19]
	s_waitcnt lgkmcnt(3)
	s_delay_alu instid0(VALU_DEP_2)
	v_mul_f64 v[18:19], v[163:164], v[146:147]
	v_mul_f64 v[144:145], v[161:162], v[146:147]
	s_waitcnt lgkmcnt(2)
	v_mul_f64 v[152:153], v[167:168], v[146:147]
	v_mul_f64 v[177:178], v[165:166], v[146:147]
	s_waitcnt lgkmcnt(1)
	;; [unrolled: 3-line block ×3, first 2 shown]
	v_mul_f64 v[183:184], v[175:176], v[146:147]
	v_mul_f64 v[185:186], v[173:174], v[146:147]
	v_fma_f64 v[18:19], v[161:162], v[16:17], -v[18:19]
	v_fma_f64 v[144:145], v[163:164], v[16:17], v[144:145]
	v_fma_f64 v[152:153], v[165:166], v[16:17], -v[152:153]
	v_fma_f64 v[161:162], v[167:168], v[16:17], v[177:178]
	v_fma_f64 v[163:164], v[169:170], v[16:17], -v[179:180]
	v_fma_f64 v[165:166], v[171:172], v[16:17], v[181:182]
	v_fma_f64 v[167:168], v[173:174], v[16:17], -v[183:184]
	v_fma_f64 v[169:170], v[175:176], v[16:17], v[185:186]
	v_add_f64 v[12:13], v[12:13], -v[18:19]
	v_add_f64 v[14:15], v[14:15], -v[144:145]
	;; [unrolled: 1-line block ×8, first 2 shown]
	v_dual_mov_b32 v18, v146 :: v_dual_mov_b32 v19, v147
.LBB70_671:
	s_or_b32 exec_lo, exec_lo, s2
	v_lshl_add_u32 v144, v160, 4, v154
	s_barrier
	buffer_gl0_inv
	v_mov_b32_e32 v152, 32
	ds_store_2addr_b64 v144, v[12:13], v[14:15] offset1:1
	s_waitcnt lgkmcnt(0)
	s_barrier
	buffer_gl0_inv
	ds_load_2addr_b64 v[144:147], v154 offset0:64 offset1:65
	s_cmp_lt_i32 s5, 34
	s_cbranch_scc1 .LBB70_674
; %bb.672:
	v_add3_u32 v153, v159, 0, 0x210
	v_mov_b32_e32 v152, 32
	s_mov_b32 s6, 33
	s_set_inst_prefetch_distance 0x1
	.p2align	6
.LBB70_673:                             ; =>This Inner Loop Header: Depth=1
	ds_load_2addr_b64 v[161:164], v153 offset1:1
	s_waitcnt lgkmcnt(1)
	v_cmp_gt_f64_e32 vcc_lo, 0, v[144:145]
	v_xor_b32_e32 v165, 0x80000000, v145
	v_cmp_gt_f64_e64 s2, 0, v[146:147]
	v_xor_b32_e32 v167, 0x80000000, v147
	v_add_nc_u32_e32 v153, 16, v153
	s_waitcnt lgkmcnt(0)
	v_cmp_gt_f64_e64 s3, 0, v[161:162]
	v_mov_b32_e32 v169, v161
	v_dual_mov_b32 v171, v163 :: v_dual_cndmask_b32 v166, v145, v165
	v_xor_b32_e32 v165, 0x80000000, v162
	v_cndmask_b32_e64 v168, v147, v167, s2
	v_xor_b32_e32 v167, 0x80000000, v164
	s_delay_alu instid0(VALU_DEP_3) | instskip(SKIP_2) | instid1(VALU_DEP_2)
	v_cndmask_b32_e64 v170, v162, v165, s3
	v_cmp_gt_f64_e64 s3, 0, v[163:164]
	v_cndmask_b32_e32 v165, v144, v144, vcc_lo
	v_cndmask_b32_e64 v172, v164, v167, s3
	v_cndmask_b32_e64 v167, v146, v146, s2
	s_delay_alu instid0(VALU_DEP_2) | instskip(NEXT) | instid1(VALU_DEP_2)
	v_add_f64 v[169:170], v[169:170], v[171:172]
	v_add_f64 v[165:166], v[165:166], v[167:168]
	s_delay_alu instid0(VALU_DEP_1) | instskip(SKIP_4) | instid1(SALU_CYCLE_1)
	v_cmp_lt_f64_e32 vcc_lo, v[165:166], v[169:170]
	v_dual_cndmask_b32 v146, v146, v163 :: v_dual_cndmask_b32 v145, v145, v162
	v_dual_cndmask_b32 v144, v144, v161 :: v_dual_cndmask_b32 v147, v147, v164
	v_cndmask_b32_e64 v152, v152, s6, vcc_lo
	s_add_i32 s6, s6, 1
	s_cmp_lg_u32 s5, s6
	s_cbranch_scc1 .LBB70_673
.LBB70_674:
	s_set_inst_prefetch_distance 0x2
	s_waitcnt lgkmcnt(0)
	v_cmp_eq_f64_e32 vcc_lo, 0, v[144:145]
	v_cmp_eq_f64_e64 s2, 0, v[146:147]
	s_delay_alu instid0(VALU_DEP_1) | instskip(NEXT) | instid1(SALU_CYCLE_1)
	s_and_b32 s2, vcc_lo, s2
	s_and_saveexec_b32 s3, s2
	s_delay_alu instid0(SALU_CYCLE_1)
	s_xor_b32 s2, exec_lo, s3
; %bb.675:
	v_cmp_ne_u32_e32 vcc_lo, 0, v157
	v_cndmask_b32_e32 v157, 33, v157, vcc_lo
; %bb.676:
	s_and_not1_saveexec_b32 s3, s2
	s_cbranch_execz .LBB70_682
; %bb.677:
	v_cmp_gt_f64_e32 vcc_lo, 0, v[144:145]
	v_cmp_gt_f64_e64 s2, 0, v[146:147]
	v_xor_b32_e32 v153, 0x80000000, v145
	v_xor_b32_e32 v161, 0x80000000, v147
	s_delay_alu instid0(VALU_DEP_2) | instskip(NEXT) | instid1(VALU_DEP_2)
	v_cndmask_b32_e32 v162, v145, v153, vcc_lo
	v_cndmask_b32_e64 v164, v147, v161, s2
	v_cndmask_b32_e32 v161, v144, v144, vcc_lo
	v_cndmask_b32_e64 v163, v146, v146, s2
	s_mov_b32 s2, exec_lo
	s_delay_alu instid0(VALU_DEP_1)
	v_cmpx_ngt_f64_e32 v[161:162], v[163:164]
	s_xor_b32 s2, exec_lo, s2
	s_cbranch_execz .LBB70_679
; %bb.678:
	v_div_scale_f64 v[161:162], null, v[146:147], v[146:147], v[144:145]
	v_div_scale_f64 v[167:168], vcc_lo, v[144:145], v[146:147], v[144:145]
	s_delay_alu instid0(VALU_DEP_2) | instskip(SKIP_2) | instid1(VALU_DEP_1)
	v_rcp_f64_e32 v[163:164], v[161:162]
	s_waitcnt_depctr 0xfff
	v_fma_f64 v[165:166], -v[161:162], v[163:164], 1.0
	v_fma_f64 v[163:164], v[163:164], v[165:166], v[163:164]
	s_delay_alu instid0(VALU_DEP_1) | instskip(NEXT) | instid1(VALU_DEP_1)
	v_fma_f64 v[165:166], -v[161:162], v[163:164], 1.0
	v_fma_f64 v[163:164], v[163:164], v[165:166], v[163:164]
	s_delay_alu instid0(VALU_DEP_1) | instskip(NEXT) | instid1(VALU_DEP_1)
	v_mul_f64 v[165:166], v[167:168], v[163:164]
	v_fma_f64 v[161:162], -v[161:162], v[165:166], v[167:168]
	s_delay_alu instid0(VALU_DEP_1) | instskip(NEXT) | instid1(VALU_DEP_1)
	v_div_fmas_f64 v[161:162], v[161:162], v[163:164], v[165:166]
	v_div_fixup_f64 v[161:162], v[161:162], v[146:147], v[144:145]
	s_delay_alu instid0(VALU_DEP_1) | instskip(NEXT) | instid1(VALU_DEP_1)
	v_fma_f64 v[144:145], v[144:145], v[161:162], v[146:147]
	v_div_scale_f64 v[146:147], null, v[144:145], v[144:145], 1.0
	s_delay_alu instid0(VALU_DEP_1) | instskip(SKIP_2) | instid1(VALU_DEP_1)
	v_rcp_f64_e32 v[163:164], v[146:147]
	s_waitcnt_depctr 0xfff
	v_fma_f64 v[165:166], -v[146:147], v[163:164], 1.0
	v_fma_f64 v[163:164], v[163:164], v[165:166], v[163:164]
	s_delay_alu instid0(VALU_DEP_1) | instskip(NEXT) | instid1(VALU_DEP_1)
	v_fma_f64 v[165:166], -v[146:147], v[163:164], 1.0
	v_fma_f64 v[163:164], v[163:164], v[165:166], v[163:164]
	v_div_scale_f64 v[165:166], vcc_lo, 1.0, v[144:145], 1.0
	s_delay_alu instid0(VALU_DEP_1) | instskip(NEXT) | instid1(VALU_DEP_1)
	v_mul_f64 v[167:168], v[165:166], v[163:164]
	v_fma_f64 v[146:147], -v[146:147], v[167:168], v[165:166]
	s_delay_alu instid0(VALU_DEP_1) | instskip(NEXT) | instid1(VALU_DEP_1)
	v_div_fmas_f64 v[146:147], v[146:147], v[163:164], v[167:168]
	v_div_fixup_f64 v[146:147], v[146:147], v[144:145], 1.0
	s_delay_alu instid0(VALU_DEP_1)
	v_mul_f64 v[144:145], v[161:162], v[146:147]
	v_xor_b32_e32 v147, 0x80000000, v147
.LBB70_679:
	s_and_not1_saveexec_b32 s2, s2
	s_cbranch_execz .LBB70_681
; %bb.680:
	s_delay_alu instid0(VALU_DEP_1) | instskip(SKIP_1) | instid1(VALU_DEP_2)
	v_div_scale_f64 v[161:162], null, v[144:145], v[144:145], v[146:147]
	v_div_scale_f64 v[167:168], vcc_lo, v[146:147], v[144:145], v[146:147]
	v_rcp_f64_e32 v[163:164], v[161:162]
	s_waitcnt_depctr 0xfff
	v_fma_f64 v[165:166], -v[161:162], v[163:164], 1.0
	s_delay_alu instid0(VALU_DEP_1) | instskip(NEXT) | instid1(VALU_DEP_1)
	v_fma_f64 v[163:164], v[163:164], v[165:166], v[163:164]
	v_fma_f64 v[165:166], -v[161:162], v[163:164], 1.0
	s_delay_alu instid0(VALU_DEP_1) | instskip(NEXT) | instid1(VALU_DEP_1)
	v_fma_f64 v[163:164], v[163:164], v[165:166], v[163:164]
	v_mul_f64 v[165:166], v[167:168], v[163:164]
	s_delay_alu instid0(VALU_DEP_1) | instskip(NEXT) | instid1(VALU_DEP_1)
	v_fma_f64 v[161:162], -v[161:162], v[165:166], v[167:168]
	v_div_fmas_f64 v[161:162], v[161:162], v[163:164], v[165:166]
	s_delay_alu instid0(VALU_DEP_1) | instskip(NEXT) | instid1(VALU_DEP_1)
	v_div_fixup_f64 v[161:162], v[161:162], v[144:145], v[146:147]
	v_fma_f64 v[144:145], v[146:147], v[161:162], v[144:145]
	s_delay_alu instid0(VALU_DEP_1) | instskip(NEXT) | instid1(VALU_DEP_1)
	v_div_scale_f64 v[146:147], null, v[144:145], v[144:145], 1.0
	v_rcp_f64_e32 v[163:164], v[146:147]
	s_waitcnt_depctr 0xfff
	v_fma_f64 v[165:166], -v[146:147], v[163:164], 1.0
	s_delay_alu instid0(VALU_DEP_1) | instskip(NEXT) | instid1(VALU_DEP_1)
	v_fma_f64 v[163:164], v[163:164], v[165:166], v[163:164]
	v_fma_f64 v[165:166], -v[146:147], v[163:164], 1.0
	s_delay_alu instid0(VALU_DEP_1) | instskip(SKIP_1) | instid1(VALU_DEP_1)
	v_fma_f64 v[163:164], v[163:164], v[165:166], v[163:164]
	v_div_scale_f64 v[165:166], vcc_lo, 1.0, v[144:145], 1.0
	v_mul_f64 v[167:168], v[165:166], v[163:164]
	s_delay_alu instid0(VALU_DEP_1) | instskip(NEXT) | instid1(VALU_DEP_1)
	v_fma_f64 v[146:147], -v[146:147], v[167:168], v[165:166]
	v_div_fmas_f64 v[146:147], v[146:147], v[163:164], v[167:168]
	s_delay_alu instid0(VALU_DEP_1) | instskip(NEXT) | instid1(VALU_DEP_1)
	v_div_fixup_f64 v[144:145], v[146:147], v[144:145], 1.0
	v_mul_f64 v[146:147], v[161:162], -v[144:145]
.LBB70_681:
	s_or_b32 exec_lo, exec_lo, s2
.LBB70_682:
	s_delay_alu instid0(SALU_CYCLE_1) | instskip(NEXT) | instid1(SALU_CYCLE_1)
	s_or_b32 exec_lo, exec_lo, s3
	s_mov_b32 s2, exec_lo
	v_cmpx_ne_u32_e64 v160, v152
	s_xor_b32 s2, exec_lo, s2
	s_cbranch_execz .LBB70_688
; %bb.683:
	s_mov_b32 s3, exec_lo
	v_cmpx_eq_u32_e32 32, v160
	s_cbranch_execz .LBB70_687
; %bb.684:
	v_cmp_ne_u32_e32 vcc_lo, 32, v152
	s_xor_b32 s6, s4, -1
	s_delay_alu instid0(SALU_CYCLE_1) | instskip(NEXT) | instid1(SALU_CYCLE_1)
	s_and_b32 s7, s6, vcc_lo
	s_and_saveexec_b32 s6, s7
	s_cbranch_execz .LBB70_686
; %bb.685:
	v_ashrrev_i32_e32 v153, 31, v152
	s_delay_alu instid0(VALU_DEP_1) | instskip(NEXT) | instid1(VALU_DEP_1)
	v_lshlrev_b64 v[160:161], 2, v[152:153]
	v_add_co_u32 v160, vcc_lo, v150, v160
	s_delay_alu instid0(VALU_DEP_2)
	v_add_co_ci_u32_e32 v161, vcc_lo, v151, v161, vcc_lo
	s_clause 0x1
	flat_load_b32 v153, v[160:161]
	flat_load_b32 v158, v[150:151] offset:128
	s_waitcnt vmcnt(1) lgkmcnt(1)
	flat_store_b32 v[150:151], v153 offset:128
	s_waitcnt vmcnt(0) lgkmcnt(1)
	flat_store_b32 v[160:161], v158
.LBB70_686:
	s_or_b32 exec_lo, exec_lo, s6
	v_mov_b32_e32 v160, v152
	v_mov_b32_e32 v158, v152
.LBB70_687:
	s_or_b32 exec_lo, exec_lo, s3
.LBB70_688:
	s_and_not1_saveexec_b32 s2, s2
	s_cbranch_execz .LBB70_690
; %bb.689:
	v_mov_b32_e32 v160, 32
	ds_store_2addr_b64 v154, v[8:9], v[10:11] offset0:66 offset1:67
	ds_store_2addr_b64 v154, v[4:5], v[6:7] offset0:68 offset1:69
	ds_store_2addr_b64 v154, v[0:1], v[2:3] offset0:70 offset1:71
.LBB70_690:
	s_or_b32 exec_lo, exec_lo, s2
	s_delay_alu instid0(SALU_CYCLE_1)
	s_mov_b32 s2, exec_lo
	s_waitcnt lgkmcnt(0)
	s_waitcnt_vscnt null, 0x0
	s_barrier
	buffer_gl0_inv
	v_cmpx_lt_i32_e32 32, v160
	s_cbranch_execz .LBB70_692
; %bb.691:
	v_mul_f64 v[152:153], v[144:145], v[14:15]
	v_mul_f64 v[14:15], v[146:147], v[14:15]
	ds_load_2addr_b64 v[161:164], v154 offset0:66 offset1:67
	ds_load_2addr_b64 v[165:168], v154 offset0:68 offset1:69
	;; [unrolled: 1-line block ×3, first 2 shown]
	v_fma_f64 v[146:147], v[146:147], v[12:13], v[152:153]
	v_fma_f64 v[12:13], v[144:145], v[12:13], -v[14:15]
	s_waitcnt lgkmcnt(2)
	s_delay_alu instid0(VALU_DEP_2)
	v_mul_f64 v[14:15], v[163:164], v[146:147]
	v_mul_f64 v[144:145], v[161:162], v[146:147]
	s_waitcnt lgkmcnt(1)
	v_mul_f64 v[152:153], v[167:168], v[146:147]
	v_mul_f64 v[173:174], v[165:166], v[146:147]
	s_waitcnt lgkmcnt(0)
	v_mul_f64 v[175:176], v[171:172], v[146:147]
	v_mul_f64 v[177:178], v[169:170], v[146:147]
	v_fma_f64 v[14:15], v[161:162], v[12:13], -v[14:15]
	v_fma_f64 v[144:145], v[163:164], v[12:13], v[144:145]
	v_fma_f64 v[152:153], v[165:166], v[12:13], -v[152:153]
	v_fma_f64 v[161:162], v[167:168], v[12:13], v[173:174]
	;; [unrolled: 2-line block ×3, first 2 shown]
	v_add_f64 v[8:9], v[8:9], -v[14:15]
	v_add_f64 v[10:11], v[10:11], -v[144:145]
	;; [unrolled: 1-line block ×6, first 2 shown]
	v_dual_mov_b32 v14, v146 :: v_dual_mov_b32 v15, v147
.LBB70_692:
	s_or_b32 exec_lo, exec_lo, s2
	v_lshl_add_u32 v144, v160, 4, v154
	s_barrier
	buffer_gl0_inv
	v_mov_b32_e32 v152, 33
	ds_store_2addr_b64 v144, v[8:9], v[10:11] offset1:1
	s_waitcnt lgkmcnt(0)
	s_barrier
	buffer_gl0_inv
	ds_load_2addr_b64 v[144:147], v154 offset0:66 offset1:67
	s_cmp_lt_i32 s5, 35
	s_cbranch_scc1 .LBB70_695
; %bb.693:
	v_add3_u32 v153, v159, 0, 0x220
	v_mov_b32_e32 v152, 33
	s_mov_b32 s6, 34
	s_set_inst_prefetch_distance 0x1
	.p2align	6
.LBB70_694:                             ; =>This Inner Loop Header: Depth=1
	ds_load_2addr_b64 v[161:164], v153 offset1:1
	s_waitcnt lgkmcnt(1)
	v_cmp_gt_f64_e32 vcc_lo, 0, v[144:145]
	v_xor_b32_e32 v165, 0x80000000, v145
	v_cmp_gt_f64_e64 s2, 0, v[146:147]
	v_xor_b32_e32 v167, 0x80000000, v147
	v_add_nc_u32_e32 v153, 16, v153
	s_waitcnt lgkmcnt(0)
	v_cmp_gt_f64_e64 s3, 0, v[161:162]
	v_mov_b32_e32 v169, v161
	v_dual_mov_b32 v171, v163 :: v_dual_cndmask_b32 v166, v145, v165
	v_xor_b32_e32 v165, 0x80000000, v162
	v_cndmask_b32_e64 v168, v147, v167, s2
	v_xor_b32_e32 v167, 0x80000000, v164
	s_delay_alu instid0(VALU_DEP_3) | instskip(SKIP_2) | instid1(VALU_DEP_2)
	v_cndmask_b32_e64 v170, v162, v165, s3
	v_cmp_gt_f64_e64 s3, 0, v[163:164]
	v_cndmask_b32_e32 v165, v144, v144, vcc_lo
	v_cndmask_b32_e64 v172, v164, v167, s3
	v_cndmask_b32_e64 v167, v146, v146, s2
	s_delay_alu instid0(VALU_DEP_2) | instskip(NEXT) | instid1(VALU_DEP_2)
	v_add_f64 v[169:170], v[169:170], v[171:172]
	v_add_f64 v[165:166], v[165:166], v[167:168]
	s_delay_alu instid0(VALU_DEP_1) | instskip(SKIP_4) | instid1(SALU_CYCLE_1)
	v_cmp_lt_f64_e32 vcc_lo, v[165:166], v[169:170]
	v_dual_cndmask_b32 v146, v146, v163 :: v_dual_cndmask_b32 v145, v145, v162
	v_dual_cndmask_b32 v144, v144, v161 :: v_dual_cndmask_b32 v147, v147, v164
	v_cndmask_b32_e64 v152, v152, s6, vcc_lo
	s_add_i32 s6, s6, 1
	s_cmp_lg_u32 s5, s6
	s_cbranch_scc1 .LBB70_694
.LBB70_695:
	s_set_inst_prefetch_distance 0x2
	s_waitcnt lgkmcnt(0)
	v_cmp_eq_f64_e32 vcc_lo, 0, v[144:145]
	v_cmp_eq_f64_e64 s2, 0, v[146:147]
	s_delay_alu instid0(VALU_DEP_1) | instskip(NEXT) | instid1(SALU_CYCLE_1)
	s_and_b32 s2, vcc_lo, s2
	s_and_saveexec_b32 s3, s2
	s_delay_alu instid0(SALU_CYCLE_1)
	s_xor_b32 s2, exec_lo, s3
; %bb.696:
	v_cmp_ne_u32_e32 vcc_lo, 0, v157
	v_cndmask_b32_e32 v157, 34, v157, vcc_lo
; %bb.697:
	s_and_not1_saveexec_b32 s3, s2
	s_cbranch_execz .LBB70_703
; %bb.698:
	v_cmp_gt_f64_e32 vcc_lo, 0, v[144:145]
	v_cmp_gt_f64_e64 s2, 0, v[146:147]
	v_xor_b32_e32 v153, 0x80000000, v145
	v_xor_b32_e32 v161, 0x80000000, v147
	s_delay_alu instid0(VALU_DEP_2) | instskip(NEXT) | instid1(VALU_DEP_2)
	v_cndmask_b32_e32 v162, v145, v153, vcc_lo
	v_cndmask_b32_e64 v164, v147, v161, s2
	v_cndmask_b32_e32 v161, v144, v144, vcc_lo
	v_cndmask_b32_e64 v163, v146, v146, s2
	s_mov_b32 s2, exec_lo
	s_delay_alu instid0(VALU_DEP_1)
	v_cmpx_ngt_f64_e32 v[161:162], v[163:164]
	s_xor_b32 s2, exec_lo, s2
	s_cbranch_execz .LBB70_700
; %bb.699:
	v_div_scale_f64 v[161:162], null, v[146:147], v[146:147], v[144:145]
	v_div_scale_f64 v[167:168], vcc_lo, v[144:145], v[146:147], v[144:145]
	s_delay_alu instid0(VALU_DEP_2) | instskip(SKIP_2) | instid1(VALU_DEP_1)
	v_rcp_f64_e32 v[163:164], v[161:162]
	s_waitcnt_depctr 0xfff
	v_fma_f64 v[165:166], -v[161:162], v[163:164], 1.0
	v_fma_f64 v[163:164], v[163:164], v[165:166], v[163:164]
	s_delay_alu instid0(VALU_DEP_1) | instskip(NEXT) | instid1(VALU_DEP_1)
	v_fma_f64 v[165:166], -v[161:162], v[163:164], 1.0
	v_fma_f64 v[163:164], v[163:164], v[165:166], v[163:164]
	s_delay_alu instid0(VALU_DEP_1) | instskip(NEXT) | instid1(VALU_DEP_1)
	v_mul_f64 v[165:166], v[167:168], v[163:164]
	v_fma_f64 v[161:162], -v[161:162], v[165:166], v[167:168]
	s_delay_alu instid0(VALU_DEP_1) | instskip(NEXT) | instid1(VALU_DEP_1)
	v_div_fmas_f64 v[161:162], v[161:162], v[163:164], v[165:166]
	v_div_fixup_f64 v[161:162], v[161:162], v[146:147], v[144:145]
	s_delay_alu instid0(VALU_DEP_1) | instskip(NEXT) | instid1(VALU_DEP_1)
	v_fma_f64 v[144:145], v[144:145], v[161:162], v[146:147]
	v_div_scale_f64 v[146:147], null, v[144:145], v[144:145], 1.0
	s_delay_alu instid0(VALU_DEP_1) | instskip(SKIP_2) | instid1(VALU_DEP_1)
	v_rcp_f64_e32 v[163:164], v[146:147]
	s_waitcnt_depctr 0xfff
	v_fma_f64 v[165:166], -v[146:147], v[163:164], 1.0
	v_fma_f64 v[163:164], v[163:164], v[165:166], v[163:164]
	s_delay_alu instid0(VALU_DEP_1) | instskip(NEXT) | instid1(VALU_DEP_1)
	v_fma_f64 v[165:166], -v[146:147], v[163:164], 1.0
	v_fma_f64 v[163:164], v[163:164], v[165:166], v[163:164]
	v_div_scale_f64 v[165:166], vcc_lo, 1.0, v[144:145], 1.0
	s_delay_alu instid0(VALU_DEP_1) | instskip(NEXT) | instid1(VALU_DEP_1)
	v_mul_f64 v[167:168], v[165:166], v[163:164]
	v_fma_f64 v[146:147], -v[146:147], v[167:168], v[165:166]
	s_delay_alu instid0(VALU_DEP_1) | instskip(NEXT) | instid1(VALU_DEP_1)
	v_div_fmas_f64 v[146:147], v[146:147], v[163:164], v[167:168]
	v_div_fixup_f64 v[146:147], v[146:147], v[144:145], 1.0
	s_delay_alu instid0(VALU_DEP_1)
	v_mul_f64 v[144:145], v[161:162], v[146:147]
	v_xor_b32_e32 v147, 0x80000000, v147
.LBB70_700:
	s_and_not1_saveexec_b32 s2, s2
	s_cbranch_execz .LBB70_702
; %bb.701:
	s_delay_alu instid0(VALU_DEP_1) | instskip(SKIP_1) | instid1(VALU_DEP_2)
	v_div_scale_f64 v[161:162], null, v[144:145], v[144:145], v[146:147]
	v_div_scale_f64 v[167:168], vcc_lo, v[146:147], v[144:145], v[146:147]
	v_rcp_f64_e32 v[163:164], v[161:162]
	s_waitcnt_depctr 0xfff
	v_fma_f64 v[165:166], -v[161:162], v[163:164], 1.0
	s_delay_alu instid0(VALU_DEP_1) | instskip(NEXT) | instid1(VALU_DEP_1)
	v_fma_f64 v[163:164], v[163:164], v[165:166], v[163:164]
	v_fma_f64 v[165:166], -v[161:162], v[163:164], 1.0
	s_delay_alu instid0(VALU_DEP_1) | instskip(NEXT) | instid1(VALU_DEP_1)
	v_fma_f64 v[163:164], v[163:164], v[165:166], v[163:164]
	v_mul_f64 v[165:166], v[167:168], v[163:164]
	s_delay_alu instid0(VALU_DEP_1) | instskip(NEXT) | instid1(VALU_DEP_1)
	v_fma_f64 v[161:162], -v[161:162], v[165:166], v[167:168]
	v_div_fmas_f64 v[161:162], v[161:162], v[163:164], v[165:166]
	s_delay_alu instid0(VALU_DEP_1) | instskip(NEXT) | instid1(VALU_DEP_1)
	v_div_fixup_f64 v[161:162], v[161:162], v[144:145], v[146:147]
	v_fma_f64 v[144:145], v[146:147], v[161:162], v[144:145]
	s_delay_alu instid0(VALU_DEP_1) | instskip(NEXT) | instid1(VALU_DEP_1)
	v_div_scale_f64 v[146:147], null, v[144:145], v[144:145], 1.0
	v_rcp_f64_e32 v[163:164], v[146:147]
	s_waitcnt_depctr 0xfff
	v_fma_f64 v[165:166], -v[146:147], v[163:164], 1.0
	s_delay_alu instid0(VALU_DEP_1) | instskip(NEXT) | instid1(VALU_DEP_1)
	v_fma_f64 v[163:164], v[163:164], v[165:166], v[163:164]
	v_fma_f64 v[165:166], -v[146:147], v[163:164], 1.0
	s_delay_alu instid0(VALU_DEP_1) | instskip(SKIP_1) | instid1(VALU_DEP_1)
	v_fma_f64 v[163:164], v[163:164], v[165:166], v[163:164]
	v_div_scale_f64 v[165:166], vcc_lo, 1.0, v[144:145], 1.0
	v_mul_f64 v[167:168], v[165:166], v[163:164]
	s_delay_alu instid0(VALU_DEP_1) | instskip(NEXT) | instid1(VALU_DEP_1)
	v_fma_f64 v[146:147], -v[146:147], v[167:168], v[165:166]
	v_div_fmas_f64 v[146:147], v[146:147], v[163:164], v[167:168]
	s_delay_alu instid0(VALU_DEP_1) | instskip(NEXT) | instid1(VALU_DEP_1)
	v_div_fixup_f64 v[144:145], v[146:147], v[144:145], 1.0
	v_mul_f64 v[146:147], v[161:162], -v[144:145]
.LBB70_702:
	s_or_b32 exec_lo, exec_lo, s2
.LBB70_703:
	s_delay_alu instid0(SALU_CYCLE_1) | instskip(NEXT) | instid1(SALU_CYCLE_1)
	s_or_b32 exec_lo, exec_lo, s3
	s_mov_b32 s2, exec_lo
	v_cmpx_ne_u32_e64 v160, v152
	s_xor_b32 s2, exec_lo, s2
	s_cbranch_execz .LBB70_709
; %bb.704:
	s_mov_b32 s3, exec_lo
	v_cmpx_eq_u32_e32 33, v160
	s_cbranch_execz .LBB70_708
; %bb.705:
	v_cmp_ne_u32_e32 vcc_lo, 33, v152
	s_xor_b32 s6, s4, -1
	s_delay_alu instid0(SALU_CYCLE_1) | instskip(NEXT) | instid1(SALU_CYCLE_1)
	s_and_b32 s7, s6, vcc_lo
	s_and_saveexec_b32 s6, s7
	s_cbranch_execz .LBB70_707
; %bb.706:
	v_ashrrev_i32_e32 v153, 31, v152
	s_delay_alu instid0(VALU_DEP_1) | instskip(NEXT) | instid1(VALU_DEP_1)
	v_lshlrev_b64 v[160:161], 2, v[152:153]
	v_add_co_u32 v160, vcc_lo, v150, v160
	s_delay_alu instid0(VALU_DEP_2)
	v_add_co_ci_u32_e32 v161, vcc_lo, v151, v161, vcc_lo
	s_clause 0x1
	flat_load_b32 v153, v[160:161]
	flat_load_b32 v158, v[150:151] offset:132
	s_waitcnt vmcnt(1) lgkmcnt(1)
	flat_store_b32 v[150:151], v153 offset:132
	s_waitcnt vmcnt(0) lgkmcnt(1)
	flat_store_b32 v[160:161], v158
.LBB70_707:
	s_or_b32 exec_lo, exec_lo, s6
	v_mov_b32_e32 v160, v152
	v_mov_b32_e32 v158, v152
.LBB70_708:
	s_or_b32 exec_lo, exec_lo, s3
.LBB70_709:
	s_and_not1_saveexec_b32 s2, s2
	s_cbranch_execz .LBB70_711
; %bb.710:
	v_mov_b32_e32 v160, 33
	ds_store_2addr_b64 v154, v[4:5], v[6:7] offset0:68 offset1:69
	ds_store_2addr_b64 v154, v[0:1], v[2:3] offset0:70 offset1:71
.LBB70_711:
	s_or_b32 exec_lo, exec_lo, s2
	s_delay_alu instid0(SALU_CYCLE_1)
	s_mov_b32 s2, exec_lo
	s_waitcnt lgkmcnt(0)
	s_waitcnt_vscnt null, 0x0
	s_barrier
	buffer_gl0_inv
	v_cmpx_lt_i32_e32 33, v160
	s_cbranch_execz .LBB70_713
; %bb.712:
	v_mul_f64 v[152:153], v[144:145], v[10:11]
	v_mul_f64 v[10:11], v[146:147], v[10:11]
	ds_load_2addr_b64 v[161:164], v154 offset0:68 offset1:69
	ds_load_2addr_b64 v[165:168], v154 offset0:70 offset1:71
	v_fma_f64 v[146:147], v[146:147], v[8:9], v[152:153]
	v_fma_f64 v[8:9], v[144:145], v[8:9], -v[10:11]
	s_waitcnt lgkmcnt(1)
	s_delay_alu instid0(VALU_DEP_2) | instskip(SKIP_4) | instid1(VALU_DEP_4)
	v_mul_f64 v[10:11], v[163:164], v[146:147]
	v_mul_f64 v[144:145], v[161:162], v[146:147]
	s_waitcnt lgkmcnt(0)
	v_mul_f64 v[152:153], v[167:168], v[146:147]
	v_mul_f64 v[169:170], v[165:166], v[146:147]
	v_fma_f64 v[10:11], v[161:162], v[8:9], -v[10:11]
	s_delay_alu instid0(VALU_DEP_4) | instskip(NEXT) | instid1(VALU_DEP_4)
	v_fma_f64 v[144:145], v[163:164], v[8:9], v[144:145]
	v_fma_f64 v[152:153], v[165:166], v[8:9], -v[152:153]
	s_delay_alu instid0(VALU_DEP_4) | instskip(NEXT) | instid1(VALU_DEP_4)
	v_fma_f64 v[161:162], v[167:168], v[8:9], v[169:170]
	v_add_f64 v[4:5], v[4:5], -v[10:11]
	s_delay_alu instid0(VALU_DEP_4) | instskip(NEXT) | instid1(VALU_DEP_4)
	v_add_f64 v[6:7], v[6:7], -v[144:145]
	v_add_f64 v[0:1], v[0:1], -v[152:153]
	s_delay_alu instid0(VALU_DEP_4)
	v_add_f64 v[2:3], v[2:3], -v[161:162]
	v_dual_mov_b32 v10, v146 :: v_dual_mov_b32 v11, v147
.LBB70_713:
	s_or_b32 exec_lo, exec_lo, s2
	v_lshl_add_u32 v144, v160, 4, v154
	s_barrier
	buffer_gl0_inv
	v_mov_b32_e32 v152, 34
	ds_store_2addr_b64 v144, v[4:5], v[6:7] offset1:1
	s_waitcnt lgkmcnt(0)
	s_barrier
	buffer_gl0_inv
	ds_load_2addr_b64 v[144:147], v154 offset0:68 offset1:69
	s_cmp_lt_i32 s5, 36
	s_cbranch_scc1 .LBB70_716
; %bb.714:
	v_add3_u32 v153, v159, 0, 0x230
	v_mov_b32_e32 v152, 34
	s_mov_b32 s6, 35
	s_set_inst_prefetch_distance 0x1
	.p2align	6
.LBB70_715:                             ; =>This Inner Loop Header: Depth=1
	ds_load_2addr_b64 v[161:164], v153 offset1:1
	s_waitcnt lgkmcnt(1)
	v_cmp_gt_f64_e32 vcc_lo, 0, v[144:145]
	v_xor_b32_e32 v165, 0x80000000, v145
	v_cmp_gt_f64_e64 s2, 0, v[146:147]
	v_xor_b32_e32 v167, 0x80000000, v147
	v_add_nc_u32_e32 v153, 16, v153
	s_waitcnt lgkmcnt(0)
	v_cmp_gt_f64_e64 s3, 0, v[161:162]
	v_mov_b32_e32 v169, v161
	v_dual_mov_b32 v171, v163 :: v_dual_cndmask_b32 v166, v145, v165
	v_xor_b32_e32 v165, 0x80000000, v162
	v_cndmask_b32_e64 v168, v147, v167, s2
	v_xor_b32_e32 v167, 0x80000000, v164
	s_delay_alu instid0(VALU_DEP_3) | instskip(SKIP_2) | instid1(VALU_DEP_2)
	v_cndmask_b32_e64 v170, v162, v165, s3
	v_cmp_gt_f64_e64 s3, 0, v[163:164]
	v_cndmask_b32_e32 v165, v144, v144, vcc_lo
	v_cndmask_b32_e64 v172, v164, v167, s3
	v_cndmask_b32_e64 v167, v146, v146, s2
	s_delay_alu instid0(VALU_DEP_2) | instskip(NEXT) | instid1(VALU_DEP_2)
	v_add_f64 v[169:170], v[169:170], v[171:172]
	v_add_f64 v[165:166], v[165:166], v[167:168]
	s_delay_alu instid0(VALU_DEP_1) | instskip(SKIP_4) | instid1(SALU_CYCLE_1)
	v_cmp_lt_f64_e32 vcc_lo, v[165:166], v[169:170]
	v_dual_cndmask_b32 v146, v146, v163 :: v_dual_cndmask_b32 v145, v145, v162
	v_dual_cndmask_b32 v144, v144, v161 :: v_dual_cndmask_b32 v147, v147, v164
	v_cndmask_b32_e64 v152, v152, s6, vcc_lo
	s_add_i32 s6, s6, 1
	s_cmp_lg_u32 s5, s6
	s_cbranch_scc1 .LBB70_715
.LBB70_716:
	s_set_inst_prefetch_distance 0x2
	s_waitcnt lgkmcnt(0)
	v_cmp_eq_f64_e32 vcc_lo, 0, v[144:145]
	v_cmp_eq_f64_e64 s2, 0, v[146:147]
	s_delay_alu instid0(VALU_DEP_1) | instskip(NEXT) | instid1(SALU_CYCLE_1)
	s_and_b32 s2, vcc_lo, s2
	s_and_saveexec_b32 s3, s2
	s_delay_alu instid0(SALU_CYCLE_1)
	s_xor_b32 s2, exec_lo, s3
; %bb.717:
	v_cmp_ne_u32_e32 vcc_lo, 0, v157
	v_cndmask_b32_e32 v157, 35, v157, vcc_lo
; %bb.718:
	s_and_not1_saveexec_b32 s3, s2
	s_cbranch_execz .LBB70_724
; %bb.719:
	v_cmp_gt_f64_e32 vcc_lo, 0, v[144:145]
	v_cmp_gt_f64_e64 s2, 0, v[146:147]
	v_xor_b32_e32 v153, 0x80000000, v145
	v_xor_b32_e32 v161, 0x80000000, v147
	s_delay_alu instid0(VALU_DEP_2) | instskip(NEXT) | instid1(VALU_DEP_2)
	v_cndmask_b32_e32 v162, v145, v153, vcc_lo
	v_cndmask_b32_e64 v164, v147, v161, s2
	v_cndmask_b32_e32 v161, v144, v144, vcc_lo
	v_cndmask_b32_e64 v163, v146, v146, s2
	s_mov_b32 s2, exec_lo
	s_delay_alu instid0(VALU_DEP_1)
	v_cmpx_ngt_f64_e32 v[161:162], v[163:164]
	s_xor_b32 s2, exec_lo, s2
	s_cbranch_execz .LBB70_721
; %bb.720:
	v_div_scale_f64 v[161:162], null, v[146:147], v[146:147], v[144:145]
	v_div_scale_f64 v[167:168], vcc_lo, v[144:145], v[146:147], v[144:145]
	s_delay_alu instid0(VALU_DEP_2) | instskip(SKIP_2) | instid1(VALU_DEP_1)
	v_rcp_f64_e32 v[163:164], v[161:162]
	s_waitcnt_depctr 0xfff
	v_fma_f64 v[165:166], -v[161:162], v[163:164], 1.0
	v_fma_f64 v[163:164], v[163:164], v[165:166], v[163:164]
	s_delay_alu instid0(VALU_DEP_1) | instskip(NEXT) | instid1(VALU_DEP_1)
	v_fma_f64 v[165:166], -v[161:162], v[163:164], 1.0
	v_fma_f64 v[163:164], v[163:164], v[165:166], v[163:164]
	s_delay_alu instid0(VALU_DEP_1) | instskip(NEXT) | instid1(VALU_DEP_1)
	v_mul_f64 v[165:166], v[167:168], v[163:164]
	v_fma_f64 v[161:162], -v[161:162], v[165:166], v[167:168]
	s_delay_alu instid0(VALU_DEP_1) | instskip(NEXT) | instid1(VALU_DEP_1)
	v_div_fmas_f64 v[161:162], v[161:162], v[163:164], v[165:166]
	v_div_fixup_f64 v[161:162], v[161:162], v[146:147], v[144:145]
	s_delay_alu instid0(VALU_DEP_1) | instskip(NEXT) | instid1(VALU_DEP_1)
	v_fma_f64 v[144:145], v[144:145], v[161:162], v[146:147]
	v_div_scale_f64 v[146:147], null, v[144:145], v[144:145], 1.0
	s_delay_alu instid0(VALU_DEP_1) | instskip(SKIP_2) | instid1(VALU_DEP_1)
	v_rcp_f64_e32 v[163:164], v[146:147]
	s_waitcnt_depctr 0xfff
	v_fma_f64 v[165:166], -v[146:147], v[163:164], 1.0
	v_fma_f64 v[163:164], v[163:164], v[165:166], v[163:164]
	s_delay_alu instid0(VALU_DEP_1) | instskip(NEXT) | instid1(VALU_DEP_1)
	v_fma_f64 v[165:166], -v[146:147], v[163:164], 1.0
	v_fma_f64 v[163:164], v[163:164], v[165:166], v[163:164]
	v_div_scale_f64 v[165:166], vcc_lo, 1.0, v[144:145], 1.0
	s_delay_alu instid0(VALU_DEP_1) | instskip(NEXT) | instid1(VALU_DEP_1)
	v_mul_f64 v[167:168], v[165:166], v[163:164]
	v_fma_f64 v[146:147], -v[146:147], v[167:168], v[165:166]
	s_delay_alu instid0(VALU_DEP_1) | instskip(NEXT) | instid1(VALU_DEP_1)
	v_div_fmas_f64 v[146:147], v[146:147], v[163:164], v[167:168]
	v_div_fixup_f64 v[146:147], v[146:147], v[144:145], 1.0
	s_delay_alu instid0(VALU_DEP_1)
	v_mul_f64 v[144:145], v[161:162], v[146:147]
	v_xor_b32_e32 v147, 0x80000000, v147
.LBB70_721:
	s_and_not1_saveexec_b32 s2, s2
	s_cbranch_execz .LBB70_723
; %bb.722:
	s_delay_alu instid0(VALU_DEP_1) | instskip(SKIP_1) | instid1(VALU_DEP_2)
	v_div_scale_f64 v[161:162], null, v[144:145], v[144:145], v[146:147]
	v_div_scale_f64 v[167:168], vcc_lo, v[146:147], v[144:145], v[146:147]
	v_rcp_f64_e32 v[163:164], v[161:162]
	s_waitcnt_depctr 0xfff
	v_fma_f64 v[165:166], -v[161:162], v[163:164], 1.0
	s_delay_alu instid0(VALU_DEP_1) | instskip(NEXT) | instid1(VALU_DEP_1)
	v_fma_f64 v[163:164], v[163:164], v[165:166], v[163:164]
	v_fma_f64 v[165:166], -v[161:162], v[163:164], 1.0
	s_delay_alu instid0(VALU_DEP_1) | instskip(NEXT) | instid1(VALU_DEP_1)
	v_fma_f64 v[163:164], v[163:164], v[165:166], v[163:164]
	v_mul_f64 v[165:166], v[167:168], v[163:164]
	s_delay_alu instid0(VALU_DEP_1) | instskip(NEXT) | instid1(VALU_DEP_1)
	v_fma_f64 v[161:162], -v[161:162], v[165:166], v[167:168]
	v_div_fmas_f64 v[161:162], v[161:162], v[163:164], v[165:166]
	s_delay_alu instid0(VALU_DEP_1) | instskip(NEXT) | instid1(VALU_DEP_1)
	v_div_fixup_f64 v[161:162], v[161:162], v[144:145], v[146:147]
	v_fma_f64 v[144:145], v[146:147], v[161:162], v[144:145]
	s_delay_alu instid0(VALU_DEP_1) | instskip(NEXT) | instid1(VALU_DEP_1)
	v_div_scale_f64 v[146:147], null, v[144:145], v[144:145], 1.0
	v_rcp_f64_e32 v[163:164], v[146:147]
	s_waitcnt_depctr 0xfff
	v_fma_f64 v[165:166], -v[146:147], v[163:164], 1.0
	s_delay_alu instid0(VALU_DEP_1) | instskip(NEXT) | instid1(VALU_DEP_1)
	v_fma_f64 v[163:164], v[163:164], v[165:166], v[163:164]
	v_fma_f64 v[165:166], -v[146:147], v[163:164], 1.0
	s_delay_alu instid0(VALU_DEP_1) | instskip(SKIP_1) | instid1(VALU_DEP_1)
	v_fma_f64 v[163:164], v[163:164], v[165:166], v[163:164]
	v_div_scale_f64 v[165:166], vcc_lo, 1.0, v[144:145], 1.0
	v_mul_f64 v[167:168], v[165:166], v[163:164]
	s_delay_alu instid0(VALU_DEP_1) | instskip(NEXT) | instid1(VALU_DEP_1)
	v_fma_f64 v[146:147], -v[146:147], v[167:168], v[165:166]
	v_div_fmas_f64 v[146:147], v[146:147], v[163:164], v[167:168]
	s_delay_alu instid0(VALU_DEP_1) | instskip(NEXT) | instid1(VALU_DEP_1)
	v_div_fixup_f64 v[144:145], v[146:147], v[144:145], 1.0
	v_mul_f64 v[146:147], v[161:162], -v[144:145]
.LBB70_723:
	s_or_b32 exec_lo, exec_lo, s2
.LBB70_724:
	s_delay_alu instid0(SALU_CYCLE_1) | instskip(NEXT) | instid1(SALU_CYCLE_1)
	s_or_b32 exec_lo, exec_lo, s3
	s_mov_b32 s2, exec_lo
	v_cmpx_ne_u32_e64 v160, v152
	s_xor_b32 s2, exec_lo, s2
	s_cbranch_execz .LBB70_730
; %bb.725:
	s_mov_b32 s3, exec_lo
	v_cmpx_eq_u32_e32 34, v160
	s_cbranch_execz .LBB70_729
; %bb.726:
	v_cmp_ne_u32_e32 vcc_lo, 34, v152
	s_xor_b32 s6, s4, -1
	s_delay_alu instid0(SALU_CYCLE_1) | instskip(NEXT) | instid1(SALU_CYCLE_1)
	s_and_b32 s7, s6, vcc_lo
	s_and_saveexec_b32 s6, s7
	s_cbranch_execz .LBB70_728
; %bb.727:
	v_ashrrev_i32_e32 v153, 31, v152
	s_delay_alu instid0(VALU_DEP_1) | instskip(NEXT) | instid1(VALU_DEP_1)
	v_lshlrev_b64 v[160:161], 2, v[152:153]
	v_add_co_u32 v160, vcc_lo, v150, v160
	s_delay_alu instid0(VALU_DEP_2)
	v_add_co_ci_u32_e32 v161, vcc_lo, v151, v161, vcc_lo
	s_clause 0x1
	flat_load_b32 v153, v[160:161]
	flat_load_b32 v158, v[150:151] offset:136
	s_waitcnt vmcnt(1) lgkmcnt(1)
	flat_store_b32 v[150:151], v153 offset:136
	s_waitcnt vmcnt(0) lgkmcnt(1)
	flat_store_b32 v[160:161], v158
.LBB70_728:
	s_or_b32 exec_lo, exec_lo, s6
	v_mov_b32_e32 v160, v152
	v_mov_b32_e32 v158, v152
.LBB70_729:
	s_or_b32 exec_lo, exec_lo, s3
.LBB70_730:
	s_and_not1_saveexec_b32 s2, s2
	s_cbranch_execz .LBB70_732
; %bb.731:
	v_mov_b32_e32 v160, 34
	ds_store_2addr_b64 v154, v[0:1], v[2:3] offset0:70 offset1:71
.LBB70_732:
	s_or_b32 exec_lo, exec_lo, s2
	s_delay_alu instid0(SALU_CYCLE_1)
	s_mov_b32 s2, exec_lo
	s_waitcnt lgkmcnt(0)
	s_waitcnt_vscnt null, 0x0
	s_barrier
	buffer_gl0_inv
	v_cmpx_lt_i32_e32 34, v160
	s_cbranch_execz .LBB70_734
; %bb.733:
	v_mul_f64 v[152:153], v[144:145], v[6:7]
	v_mul_f64 v[6:7], v[146:147], v[6:7]
	ds_load_2addr_b64 v[161:164], v154 offset0:70 offset1:71
	v_fma_f64 v[146:147], v[146:147], v[4:5], v[152:153]
	v_fma_f64 v[4:5], v[144:145], v[4:5], -v[6:7]
	s_waitcnt lgkmcnt(0)
	s_delay_alu instid0(VALU_DEP_2) | instskip(SKIP_1) | instid1(VALU_DEP_2)
	v_mul_f64 v[6:7], v[163:164], v[146:147]
	v_mul_f64 v[144:145], v[161:162], v[146:147]
	v_fma_f64 v[6:7], v[161:162], v[4:5], -v[6:7]
	s_delay_alu instid0(VALU_DEP_2) | instskip(NEXT) | instid1(VALU_DEP_2)
	v_fma_f64 v[144:145], v[163:164], v[4:5], v[144:145]
	v_add_f64 v[0:1], v[0:1], -v[6:7]
	s_delay_alu instid0(VALU_DEP_2)
	v_add_f64 v[2:3], v[2:3], -v[144:145]
	v_dual_mov_b32 v6, v146 :: v_dual_mov_b32 v7, v147
.LBB70_734:
	s_or_b32 exec_lo, exec_lo, s2
	v_lshl_add_u32 v144, v160, 4, v154
	s_barrier
	buffer_gl0_inv
	v_mov_b32_e32 v152, 35
	ds_store_2addr_b64 v144, v[0:1], v[2:3] offset1:1
	s_waitcnt lgkmcnt(0)
	s_barrier
	buffer_gl0_inv
	ds_load_2addr_b64 v[144:147], v154 offset0:70 offset1:71
	s_cmp_lt_i32 s5, 37
	s_cbranch_scc1 .LBB70_737
; %bb.735:
	v_add3_u32 v153, v159, 0, 0x240
	v_mov_b32_e32 v152, 35
	s_mov_b32 s6, 36
	s_set_inst_prefetch_distance 0x1
	.p2align	6
.LBB70_736:                             ; =>This Inner Loop Header: Depth=1
	ds_load_2addr_b64 v[161:164], v153 offset1:1
	s_waitcnt lgkmcnt(1)
	v_cmp_gt_f64_e32 vcc_lo, 0, v[144:145]
	v_xor_b32_e32 v154, 0x80000000, v145
	v_cmp_gt_f64_e64 s2, 0, v[146:147]
	v_xor_b32_e32 v159, 0x80000000, v147
	v_add_nc_u32_e32 v153, 16, v153
	s_waitcnt lgkmcnt(0)
	v_cmp_gt_f64_e64 s3, 0, v[161:162]
	v_mov_b32_e32 v169, v161
	v_dual_mov_b32 v171, v163 :: v_dual_cndmask_b32 v166, v145, v154
	v_xor_b32_e32 v154, 0x80000000, v162
	v_cndmask_b32_e64 v168, v147, v159, s2
	v_xor_b32_e32 v159, 0x80000000, v164
	v_cndmask_b32_e32 v165, v144, v144, vcc_lo
	v_cndmask_b32_e64 v167, v146, v146, s2
	s_delay_alu instid0(VALU_DEP_1) | instskip(SKIP_2) | instid1(VALU_DEP_1)
	v_add_f64 v[165:166], v[165:166], v[167:168]
	v_cndmask_b32_e64 v170, v162, v154, s3
	v_cmp_gt_f64_e64 s3, 0, v[163:164]
	v_cndmask_b32_e64 v172, v164, v159, s3
	s_delay_alu instid0(VALU_DEP_1) | instskip(NEXT) | instid1(VALU_DEP_1)
	v_add_f64 v[169:170], v[169:170], v[171:172]
	v_cmp_lt_f64_e32 vcc_lo, v[165:166], v[169:170]
	v_dual_cndmask_b32 v146, v146, v163 :: v_dual_cndmask_b32 v145, v145, v162
	v_dual_cndmask_b32 v144, v144, v161 :: v_dual_cndmask_b32 v147, v147, v164
	v_cndmask_b32_e64 v152, v152, s6, vcc_lo
	s_add_i32 s6, s6, 1
	s_delay_alu instid0(SALU_CYCLE_1)
	s_cmp_lg_u32 s5, s6
	s_cbranch_scc1 .LBB70_736
.LBB70_737:
	s_set_inst_prefetch_distance 0x2
	s_waitcnt lgkmcnt(0)
	v_cmp_eq_f64_e32 vcc_lo, 0, v[144:145]
	v_cmp_eq_f64_e64 s2, 0, v[146:147]
	s_delay_alu instid0(VALU_DEP_1) | instskip(NEXT) | instid1(SALU_CYCLE_1)
	s_and_b32 s2, vcc_lo, s2
	s_and_saveexec_b32 s3, s2
	s_delay_alu instid0(SALU_CYCLE_1)
	s_xor_b32 s2, exec_lo, s3
; %bb.738:
	v_cmp_ne_u32_e32 vcc_lo, 0, v157
	v_cndmask_b32_e32 v157, 36, v157, vcc_lo
; %bb.739:
	s_and_not1_saveexec_b32 s3, s2
	s_cbranch_execz .LBB70_745
; %bb.740:
	v_cmp_gt_f64_e32 vcc_lo, 0, v[144:145]
	v_cmp_gt_f64_e64 s2, 0, v[146:147]
	v_xor_b32_e32 v153, 0x80000000, v145
	v_xor_b32_e32 v159, 0x80000000, v147
	s_delay_alu instid0(VALU_DEP_2) | instskip(NEXT) | instid1(VALU_DEP_2)
	v_dual_cndmask_b32 v154, v145, v153 :: v_dual_cndmask_b32 v153, v144, v144
	v_cndmask_b32_e64 v162, v147, v159, s2
	v_cndmask_b32_e64 v161, v146, v146, s2
	s_mov_b32 s2, exec_lo
	s_delay_alu instid0(VALU_DEP_1)
	v_cmpx_ngt_f64_e32 v[153:154], v[161:162]
	s_xor_b32 s2, exec_lo, s2
	s_cbranch_execz .LBB70_742
; %bb.741:
	v_div_scale_f64 v[153:154], null, v[146:147], v[146:147], v[144:145]
	v_div_scale_f64 v[165:166], vcc_lo, v[144:145], v[146:147], v[144:145]
	s_delay_alu instid0(VALU_DEP_2) | instskip(SKIP_2) | instid1(VALU_DEP_1)
	v_rcp_f64_e32 v[161:162], v[153:154]
	s_waitcnt_depctr 0xfff
	v_fma_f64 v[163:164], -v[153:154], v[161:162], 1.0
	v_fma_f64 v[161:162], v[161:162], v[163:164], v[161:162]
	s_delay_alu instid0(VALU_DEP_1) | instskip(NEXT) | instid1(VALU_DEP_1)
	v_fma_f64 v[163:164], -v[153:154], v[161:162], 1.0
	v_fma_f64 v[161:162], v[161:162], v[163:164], v[161:162]
	s_delay_alu instid0(VALU_DEP_1) | instskip(NEXT) | instid1(VALU_DEP_1)
	v_mul_f64 v[163:164], v[165:166], v[161:162]
	v_fma_f64 v[153:154], -v[153:154], v[163:164], v[165:166]
	s_delay_alu instid0(VALU_DEP_1) | instskip(NEXT) | instid1(VALU_DEP_1)
	v_div_fmas_f64 v[153:154], v[153:154], v[161:162], v[163:164]
	v_div_fixup_f64 v[153:154], v[153:154], v[146:147], v[144:145]
	s_delay_alu instid0(VALU_DEP_1) | instskip(NEXT) | instid1(VALU_DEP_1)
	v_fma_f64 v[144:145], v[144:145], v[153:154], v[146:147]
	v_div_scale_f64 v[146:147], null, v[144:145], v[144:145], 1.0
	s_delay_alu instid0(VALU_DEP_1) | instskip(SKIP_2) | instid1(VALU_DEP_1)
	v_rcp_f64_e32 v[161:162], v[146:147]
	s_waitcnt_depctr 0xfff
	v_fma_f64 v[163:164], -v[146:147], v[161:162], 1.0
	v_fma_f64 v[161:162], v[161:162], v[163:164], v[161:162]
	s_delay_alu instid0(VALU_DEP_1) | instskip(NEXT) | instid1(VALU_DEP_1)
	v_fma_f64 v[163:164], -v[146:147], v[161:162], 1.0
	v_fma_f64 v[161:162], v[161:162], v[163:164], v[161:162]
	v_div_scale_f64 v[163:164], vcc_lo, 1.0, v[144:145], 1.0
	s_delay_alu instid0(VALU_DEP_1) | instskip(NEXT) | instid1(VALU_DEP_1)
	v_mul_f64 v[165:166], v[163:164], v[161:162]
	v_fma_f64 v[146:147], -v[146:147], v[165:166], v[163:164]
	s_delay_alu instid0(VALU_DEP_1) | instskip(NEXT) | instid1(VALU_DEP_1)
	v_div_fmas_f64 v[146:147], v[146:147], v[161:162], v[165:166]
	v_div_fixup_f64 v[146:147], v[146:147], v[144:145], 1.0
	s_delay_alu instid0(VALU_DEP_1)
	v_mul_f64 v[144:145], v[153:154], v[146:147]
	v_xor_b32_e32 v147, 0x80000000, v147
.LBB70_742:
	s_and_not1_saveexec_b32 s2, s2
	s_cbranch_execz .LBB70_744
; %bb.743:
	s_delay_alu instid0(VALU_DEP_1) | instskip(SKIP_1) | instid1(VALU_DEP_2)
	v_div_scale_f64 v[153:154], null, v[144:145], v[144:145], v[146:147]
	v_div_scale_f64 v[165:166], vcc_lo, v[146:147], v[144:145], v[146:147]
	v_rcp_f64_e32 v[161:162], v[153:154]
	s_waitcnt_depctr 0xfff
	v_fma_f64 v[163:164], -v[153:154], v[161:162], 1.0
	s_delay_alu instid0(VALU_DEP_1) | instskip(NEXT) | instid1(VALU_DEP_1)
	v_fma_f64 v[161:162], v[161:162], v[163:164], v[161:162]
	v_fma_f64 v[163:164], -v[153:154], v[161:162], 1.0
	s_delay_alu instid0(VALU_DEP_1) | instskip(NEXT) | instid1(VALU_DEP_1)
	v_fma_f64 v[161:162], v[161:162], v[163:164], v[161:162]
	v_mul_f64 v[163:164], v[165:166], v[161:162]
	s_delay_alu instid0(VALU_DEP_1) | instskip(NEXT) | instid1(VALU_DEP_1)
	v_fma_f64 v[153:154], -v[153:154], v[163:164], v[165:166]
	v_div_fmas_f64 v[153:154], v[153:154], v[161:162], v[163:164]
	s_delay_alu instid0(VALU_DEP_1) | instskip(NEXT) | instid1(VALU_DEP_1)
	v_div_fixup_f64 v[153:154], v[153:154], v[144:145], v[146:147]
	v_fma_f64 v[144:145], v[146:147], v[153:154], v[144:145]
	s_delay_alu instid0(VALU_DEP_1) | instskip(NEXT) | instid1(VALU_DEP_1)
	v_div_scale_f64 v[146:147], null, v[144:145], v[144:145], 1.0
	v_rcp_f64_e32 v[161:162], v[146:147]
	s_waitcnt_depctr 0xfff
	v_fma_f64 v[163:164], -v[146:147], v[161:162], 1.0
	s_delay_alu instid0(VALU_DEP_1) | instskip(NEXT) | instid1(VALU_DEP_1)
	v_fma_f64 v[161:162], v[161:162], v[163:164], v[161:162]
	v_fma_f64 v[163:164], -v[146:147], v[161:162], 1.0
	s_delay_alu instid0(VALU_DEP_1) | instskip(SKIP_1) | instid1(VALU_DEP_1)
	v_fma_f64 v[161:162], v[161:162], v[163:164], v[161:162]
	v_div_scale_f64 v[163:164], vcc_lo, 1.0, v[144:145], 1.0
	v_mul_f64 v[165:166], v[163:164], v[161:162]
	s_delay_alu instid0(VALU_DEP_1) | instskip(NEXT) | instid1(VALU_DEP_1)
	v_fma_f64 v[146:147], -v[146:147], v[165:166], v[163:164]
	v_div_fmas_f64 v[146:147], v[146:147], v[161:162], v[165:166]
	s_delay_alu instid0(VALU_DEP_1) | instskip(NEXT) | instid1(VALU_DEP_1)
	v_div_fixup_f64 v[144:145], v[146:147], v[144:145], 1.0
	v_mul_f64 v[146:147], v[153:154], -v[144:145]
.LBB70_744:
	s_or_b32 exec_lo, exec_lo, s2
.LBB70_745:
	s_delay_alu instid0(SALU_CYCLE_1)
	s_or_b32 exec_lo, exec_lo, s3
	v_mov_b32_e32 v153, 35
	s_mov_b32 s2, exec_lo
	v_cmpx_ne_u32_e64 v160, v152
	s_cbranch_execz .LBB70_751
; %bb.746:
	s_mov_b32 s3, exec_lo
	v_cmpx_eq_u32_e32 35, v160
	s_cbranch_execz .LBB70_750
; %bb.747:
	v_cmp_ne_u32_e32 vcc_lo, 35, v152
	s_xor_b32 s4, s4, -1
	s_delay_alu instid0(SALU_CYCLE_1) | instskip(NEXT) | instid1(SALU_CYCLE_1)
	s_and_b32 s5, s4, vcc_lo
	s_and_saveexec_b32 s4, s5
	s_cbranch_execz .LBB70_749
; %bb.748:
	v_ashrrev_i32_e32 v153, 31, v152
	s_delay_alu instid0(VALU_DEP_1) | instskip(NEXT) | instid1(VALU_DEP_1)
	v_lshlrev_b64 v[153:154], 2, v[152:153]
	v_add_co_u32 v153, vcc_lo, v150, v153
	s_delay_alu instid0(VALU_DEP_2)
	v_add_co_ci_u32_e32 v154, vcc_lo, v151, v154, vcc_lo
	s_clause 0x1
	flat_load_b32 v158, v[153:154]
	flat_load_b32 v159, v[150:151] offset:140
	s_waitcnt vmcnt(1) lgkmcnt(1)
	flat_store_b32 v[150:151], v158 offset:140
	s_waitcnt vmcnt(0) lgkmcnt(1)
	flat_store_b32 v[153:154], v159
.LBB70_749:
	s_or_b32 exec_lo, exec_lo, s4
	v_mov_b32_e32 v160, v152
	v_mov_b32_e32 v158, v152
.LBB70_750:
	s_or_b32 exec_lo, exec_lo, s3
	s_delay_alu instid0(VALU_DEP_2)
	v_mov_b32_e32 v153, v160
.LBB70_751:
	s_or_b32 exec_lo, exec_lo, s2
	s_delay_alu instid0(SALU_CYCLE_1)
	s_mov_b32 s2, exec_lo
	s_waitcnt lgkmcnt(0)
	s_waitcnt_vscnt null, 0x0
	s_barrier
	buffer_gl0_inv
	v_cmpx_lt_i32_e32 35, v153
; %bb.752:
	v_mul_f64 v[150:151], v[146:147], v[2:3]
	v_mul_f64 v[2:3], v[144:145], v[2:3]
	s_delay_alu instid0(VALU_DEP_2) | instskip(NEXT) | instid1(VALU_DEP_2)
	v_fma_f64 v[144:145], v[144:145], v[0:1], -v[150:151]
	v_fma_f64 v[2:3], v[146:147], v[0:1], v[2:3]
	s_delay_alu instid0(VALU_DEP_2)
	v_dual_mov_b32 v0, v144 :: v_dual_mov_b32 v1, v145
; %bb.753:
	s_or_b32 exec_lo, exec_lo, s2
	s_load_b256 s[0:7], s[0:1], 0x28
	v_ashrrev_i32_e32 v154, 31, v153
	s_mov_b32 s9, exec_lo
	s_waitcnt lgkmcnt(0)
	s_barrier
	buffer_gl0_inv
	v_cmpx_gt_i32_e32 36, v153
	s_cbranch_execz .LBB70_755
; %bb.754:
	v_mul_lo_u32 v146, v149, s4
	v_mul_lo_u32 v147, v148, s5
	v_mad_u64_u32 v[144:145], null, v148, s4, 0
	s_lshl_b64 s[2:3], s[2:3], 2
	s_delay_alu instid0(SALU_CYCLE_1) | instskip(SKIP_1) | instid1(VALU_DEP_1)
	s_add_u32 s0, s2, s0
	s_addc_u32 s1, s3, s1
	v_add3_u32 v145, v145, v147, v146
	v_lshlrev_b64 v[146:147], 2, v[153:154]
	s_delay_alu instid0(VALU_DEP_2) | instskip(NEXT) | instid1(VALU_DEP_1)
	v_lshlrev_b64 v[144:145], 2, v[144:145]
	v_add_co_u32 v144, vcc_lo, s0, v144
	s_delay_alu instid0(VALU_DEP_2) | instskip(NEXT) | instid1(VALU_DEP_2)
	v_add_co_ci_u32_e32 v145, vcc_lo, s1, v145, vcc_lo
	v_add_co_u32 v144, vcc_lo, v144, v146
	s_delay_alu instid0(VALU_DEP_2)
	v_add_co_ci_u32_e32 v145, vcc_lo, v145, v147, vcc_lo
	v_add3_u32 v146, v158, s13, 1
	global_store_b32 v[144:145], v146, off
.LBB70_755:
	s_or_b32 exec_lo, exec_lo, s9
	s_delay_alu instid0(SALU_CYCLE_1)
	s_mov_b32 s1, exec_lo
	v_cmpx_eq_u32_e32 0, v153
	s_cbranch_execz .LBB70_758
; %bb.756:
	v_lshlrev_b64 v[144:145], 2, v[148:149]
	v_cmp_lt_i32_e64 s0, 0, v157
	s_delay_alu instid0(VALU_DEP_2) | instskip(NEXT) | instid1(VALU_DEP_3)
	v_add_co_u32 v144, vcc_lo, s6, v144
	v_add_co_ci_u32_e32 v145, vcc_lo, s7, v145, vcc_lo
	global_load_b32 v146, v[144:145], off
	s_waitcnt vmcnt(0)
	v_cmp_eq_u32_e32 vcc_lo, 0, v146
	s_and_b32 s0, vcc_lo, s0
	s_delay_alu instid0(SALU_CYCLE_1)
	s_and_b32 exec_lo, exec_lo, s0
	s_cbranch_execz .LBB70_758
; %bb.757:
	v_add_nc_u32_e32 v146, s13, v157
	global_store_b32 v[144:145], v146, off
.LBB70_758:
	s_or_b32 exec_lo, exec_lo, s1
	v_lshlrev_b64 v[146:147], 4, v[153:154]
	v_add3_u32 v144, s8, s8, v153
	s_delay_alu instid0(VALU_DEP_1) | instskip(NEXT) | instid1(VALU_DEP_3)
	v_add_nc_u32_e32 v148, s8, v144
	v_add_co_u32 v146, vcc_lo, v155, v146
	v_ashrrev_i32_e32 v145, 31, v144
	v_add_co_ci_u32_e32 v147, vcc_lo, v156, v147, vcc_lo
	s_delay_alu instid0(VALU_DEP_4) | instskip(NEXT) | instid1(VALU_DEP_3)
	v_ashrrev_i32_e32 v149, 31, v148
	v_lshlrev_b64 v[144:145], 4, v[144:145]
	global_store_b128 v[146:147], v[52:55], off
	v_add_co_u32 v52, vcc_lo, v146, s10
	v_add_nc_u32_e32 v146, s8, v148
	v_lshlrev_b64 v[54:55], 4, v[148:149]
	v_add_co_ci_u32_e32 v53, vcc_lo, s11, v147, vcc_lo
	v_add_co_u32 v144, vcc_lo, v155, v144
	s_delay_alu instid0(VALU_DEP_4) | instskip(SKIP_3) | instid1(VALU_DEP_4)
	v_add_nc_u32_e32 v148, s8, v146
	v_ashrrev_i32_e32 v147, 31, v146
	v_add_co_ci_u32_e32 v145, vcc_lo, v156, v145, vcc_lo
	v_add_co_u32 v54, vcc_lo, v155, v54
	v_ashrrev_i32_e32 v149, 31, v148
	global_store_b128 v[52:53], v[40:43], off
	v_add_nc_u32_e32 v52, s8, v148
	v_add_co_ci_u32_e32 v55, vcc_lo, v156, v55, vcc_lo
	v_lshlrev_b64 v[40:41], 4, v[146:147]
	s_clause 0x1
	global_store_b128 v[144:145], v[128:131], off
	global_store_b128 v[54:55], v[124:127], off
	v_lshlrev_b64 v[42:43], 4, v[148:149]
	v_add_nc_u32_e32 v54, s8, v52
	v_ashrrev_i32_e32 v53, 31, v52
	v_add_co_u32 v40, vcc_lo, v155, v40
	v_add_co_ci_u32_e32 v41, vcc_lo, v156, v41, vcc_lo
	s_delay_alu instid0(VALU_DEP_4)
	v_add_nc_u32_e32 v124, s8, v54
	v_add_co_u32 v42, vcc_lo, v155, v42
	v_ashrrev_i32_e32 v55, 31, v54
	v_lshlrev_b64 v[52:53], 4, v[52:53]
	v_add_co_ci_u32_e32 v43, vcc_lo, v156, v43, vcc_lo
	v_ashrrev_i32_e32 v125, 31, v124
	s_clause 0x1
	global_store_b128 v[40:41], v[112:115], off
	global_store_b128 v[42:43], v[108:111], off
	v_lshlrev_b64 v[40:41], 4, v[54:55]
	v_add_co_u32 v42, vcc_lo, v155, v52
	v_add_co_ci_u32_e32 v43, vcc_lo, v156, v53, vcc_lo
	v_lshlrev_b64 v[52:53], 4, v[124:125]
	v_add_nc_u32_e32 v54, s8, v124
	v_add_co_u32 v40, vcc_lo, v155, v40
	v_add_co_ci_u32_e32 v41, vcc_lo, v156, v41, vcc_lo
	s_delay_alu instid0(VALU_DEP_4) | instskip(NEXT) | instid1(VALU_DEP_4)
	v_add_co_u32 v52, vcc_lo, v155, v52
	v_add_nc_u32_e32 v108, s8, v54
	v_add_co_ci_u32_e32 v53, vcc_lo, v156, v53, vcc_lo
	v_ashrrev_i32_e32 v55, 31, v54
	global_store_b128 v[42:43], v[140:143], off
	v_ashrrev_i32_e32 v109, 31, v108
	s_clause 0x1
	global_store_b128 v[40:41], v[136:139], off
	global_store_b128 v[52:53], v[132:135], off
	v_add_nc_u32_e32 v52, s8, v108
	v_lshlrev_b64 v[42:43], 4, v[54:55]
	v_lshlrev_b64 v[40:41], 4, v[108:109]
	s_delay_alu instid0(VALU_DEP_3) | instskip(SKIP_1) | instid1(VALU_DEP_4)
	v_add_nc_u32_e32 v54, s8, v52
	v_ashrrev_i32_e32 v53, 31, v52
	v_add_co_u32 v42, vcc_lo, v155, v42
	v_add_co_ci_u32_e32 v43, vcc_lo, v156, v43, vcc_lo
	s_delay_alu instid0(VALU_DEP_4)
	v_add_nc_u32_e32 v108, s8, v54
	v_add_co_u32 v40, vcc_lo, v155, v40
	v_ashrrev_i32_e32 v55, 31, v54
	v_lshlrev_b64 v[52:53], 4, v[52:53]
	v_add_co_ci_u32_e32 v41, vcc_lo, v156, v41, vcc_lo
	v_ashrrev_i32_e32 v109, 31, v108
	s_clause 0x1
	global_store_b128 v[42:43], v[120:123], off
	global_store_b128 v[40:41], v[116:119], off
	v_lshlrev_b64 v[40:41], 4, v[54:55]
	v_add_co_u32 v42, vcc_lo, v155, v52
	v_add_co_ci_u32_e32 v43, vcc_lo, v156, v53, vcc_lo
	v_lshlrev_b64 v[52:53], 4, v[108:109]
	v_add_nc_u32_e32 v54, s8, v108
	v_add_co_u32 v40, vcc_lo, v155, v40
	v_add_co_ci_u32_e32 v41, vcc_lo, v156, v41, vcc_lo
	s_delay_alu instid0(VALU_DEP_4) | instskip(NEXT) | instid1(VALU_DEP_4)
	v_add_co_u32 v52, vcc_lo, v155, v52
	v_add_nc_u32_e32 v108, s8, v54
	v_add_co_ci_u32_e32 v53, vcc_lo, v156, v53, vcc_lo
	v_ashrrev_i32_e32 v55, 31, v54
	global_store_b128 v[42:43], v[104:107], off
	v_ashrrev_i32_e32 v109, 31, v108
	s_clause 0x1
	global_store_b128 v[40:41], v[100:103], off
	global_store_b128 v[52:53], v[96:99], off
	v_add_nc_u32_e32 v52, s8, v108
	v_lshlrev_b64 v[42:43], 4, v[54:55]
	v_lshlrev_b64 v[40:41], 4, v[108:109]
	s_delay_alu instid0(VALU_DEP_3) | instskip(SKIP_1) | instid1(VALU_DEP_4)
	;; [unrolled: 35-line block ×4, first 2 shown]
	v_add_nc_u32_e32 v54, s8, v52
	v_ashrrev_i32_e32 v53, 31, v52
	v_add_co_u32 v42, vcc_lo, v155, v42
	v_add_co_ci_u32_e32 v43, vcc_lo, v156, v43, vcc_lo
	s_delay_alu instid0(VALU_DEP_4)
	v_add_nc_u32_e32 v56, s8, v54
	v_add_co_u32 v40, vcc_lo, v155, v40
	v_ashrrev_i32_e32 v55, 31, v54
	v_add_co_ci_u32_e32 v41, vcc_lo, v156, v41, vcc_lo
	v_lshlrev_b64 v[52:53], 4, v[52:53]
	v_ashrrev_i32_e32 v57, 31, v56
	s_clause 0x1
	global_store_b128 v[42:43], v[48:51], off
	global_store_b128 v[40:41], v[44:47], off
	v_lshlrev_b64 v[40:41], 4, v[54:55]
	v_add_nc_u32_e32 v46, s8, v56
	v_add_co_u32 v42, vcc_lo, v155, v52
	v_lshlrev_b64 v[44:45], 4, v[56:57]
	v_add_co_ci_u32_e32 v43, vcc_lo, v156, v53, vcc_lo
	v_add_co_u32 v40, vcc_lo, v155, v40
	v_add_nc_u32_e32 v48, s8, v46
	v_add_co_ci_u32_e32 v41, vcc_lo, v156, v41, vcc_lo
	v_ashrrev_i32_e32 v47, 31, v46
	v_add_co_u32 v44, vcc_lo, v155, v44
	v_add_co_ci_u32_e32 v45, vcc_lo, v156, v45, vcc_lo
	v_ashrrev_i32_e32 v49, 31, v48
	global_store_b128 v[42:43], v[36:39], off
	v_lshlrev_b64 v[36:37], 4, v[46:47]
	s_clause 0x1
	global_store_b128 v[40:41], v[32:35], off
	global_store_b128 v[44:45], v[28:31], off
	v_add_nc_u32_e32 v30, s8, v48
	v_lshlrev_b64 v[28:29], 4, v[48:49]
	v_add_co_u32 v32, vcc_lo, v155, v36
	s_delay_alu instid0(VALU_DEP_3) | instskip(SKIP_1) | instid1(VALU_DEP_4)
	v_add_nc_u32_e32 v34, s8, v30
	v_add_co_ci_u32_e32 v33, vcc_lo, v156, v37, vcc_lo
	v_add_co_u32 v28, vcc_lo, v155, v28
	v_add_co_ci_u32_e32 v29, vcc_lo, v156, v29, vcc_lo
	s_delay_alu instid0(VALU_DEP_4)
	v_add_nc_u32_e32 v36, s8, v34
	v_ashrrev_i32_e32 v31, 31, v30
	s_clause 0x1
	global_store_b128 v[32:33], v[24:27], off
	global_store_b128 v[28:29], v[20:23], off
	v_ashrrev_i32_e32 v35, 31, v34
	v_add_nc_u32_e32 v22, s8, v36
	v_lshlrev_b64 v[24:25], 4, v[30:31]
	v_ashrrev_i32_e32 v37, 31, v36
	s_delay_alu instid0(VALU_DEP_4) | instskip(NEXT) | instid1(VALU_DEP_4)
	v_lshlrev_b64 v[20:21], 4, v[34:35]
	v_add_nc_u32_e32 v28, s8, v22
	v_ashrrev_i32_e32 v23, 31, v22
	v_add_co_u32 v24, vcc_lo, v155, v24
	v_lshlrev_b64 v[26:27], 4, v[36:37]
	s_delay_alu instid0(VALU_DEP_4)
	v_ashrrev_i32_e32 v29, 31, v28
	v_add_co_ci_u32_e32 v25, vcc_lo, v156, v25, vcc_lo
	v_add_co_u32 v20, vcc_lo, v155, v20
	v_lshlrev_b64 v[22:23], 4, v[22:23]
	v_add_co_ci_u32_e32 v21, vcc_lo, v156, v21, vcc_lo
	v_add_co_u32 v26, vcc_lo, v155, v26
	v_lshlrev_b64 v[28:29], 4, v[28:29]
	v_add_co_ci_u32_e32 v27, vcc_lo, v156, v27, vcc_lo
	v_add_co_u32 v22, vcc_lo, v155, v22
	v_add_co_ci_u32_e32 v23, vcc_lo, v156, v23, vcc_lo
	s_delay_alu instid0(VALU_DEP_4)
	v_add_co_u32 v28, vcc_lo, v155, v28
	v_add_co_ci_u32_e32 v29, vcc_lo, v156, v29, vcc_lo
	s_clause 0x4
	global_store_b128 v[24:25], v[16:19], off
	global_store_b128 v[20:21], v[12:15], off
	;; [unrolled: 1-line block ×5, first 2 shown]
.LBB70_759:
	s_nop 0
	s_sendmsg sendmsg(MSG_DEALLOC_VGPRS)
	s_endpgm
	.section	.rodata,"a",@progbits
	.p2align	6, 0x0
	.amdhsa_kernel _ZN9rocsolver6v33100L18getf2_small_kernelILi36E19rocblas_complex_numIdEiiPKPS3_EEvT1_T3_lS7_lPS7_llPT2_S7_S7_S9_l
		.amdhsa_group_segment_fixed_size 0
		.amdhsa_private_segment_fixed_size 0
		.amdhsa_kernarg_size 352
		.amdhsa_user_sgpr_count 14
		.amdhsa_user_sgpr_dispatch_ptr 0
		.amdhsa_user_sgpr_queue_ptr 0
		.amdhsa_user_sgpr_kernarg_segment_ptr 1
		.amdhsa_user_sgpr_dispatch_id 0
		.amdhsa_user_sgpr_private_segment_size 0
		.amdhsa_wavefront_size32 1
		.amdhsa_uses_dynamic_stack 0
		.amdhsa_enable_private_segment 0
		.amdhsa_system_sgpr_workgroup_id_x 1
		.amdhsa_system_sgpr_workgroup_id_y 1
		.amdhsa_system_sgpr_workgroup_id_z 0
		.amdhsa_system_sgpr_workgroup_info 0
		.amdhsa_system_vgpr_workitem_id 1
		.amdhsa_next_free_vgpr 251
		.amdhsa_next_free_sgpr 16
		.amdhsa_reserve_vcc 1
		.amdhsa_float_round_mode_32 0
		.amdhsa_float_round_mode_16_64 0
		.amdhsa_float_denorm_mode_32 3
		.amdhsa_float_denorm_mode_16_64 3
		.amdhsa_dx10_clamp 1
		.amdhsa_ieee_mode 1
		.amdhsa_fp16_overflow 0
		.amdhsa_workgroup_processor_mode 1
		.amdhsa_memory_ordered 1
		.amdhsa_forward_progress 0
		.amdhsa_shared_vgpr_count 0
		.amdhsa_exception_fp_ieee_invalid_op 0
		.amdhsa_exception_fp_denorm_src 0
		.amdhsa_exception_fp_ieee_div_zero 0
		.amdhsa_exception_fp_ieee_overflow 0
		.amdhsa_exception_fp_ieee_underflow 0
		.amdhsa_exception_fp_ieee_inexact 0
		.amdhsa_exception_int_div_zero 0
	.end_amdhsa_kernel
	.section	.text._ZN9rocsolver6v33100L18getf2_small_kernelILi36E19rocblas_complex_numIdEiiPKPS3_EEvT1_T3_lS7_lPS7_llPT2_S7_S7_S9_l,"axG",@progbits,_ZN9rocsolver6v33100L18getf2_small_kernelILi36E19rocblas_complex_numIdEiiPKPS3_EEvT1_T3_lS7_lPS7_llPT2_S7_S7_S9_l,comdat
.Lfunc_end70:
	.size	_ZN9rocsolver6v33100L18getf2_small_kernelILi36E19rocblas_complex_numIdEiiPKPS3_EEvT1_T3_lS7_lPS7_llPT2_S7_S7_S9_l, .Lfunc_end70-_ZN9rocsolver6v33100L18getf2_small_kernelILi36E19rocblas_complex_numIdEiiPKPS3_EEvT1_T3_lS7_lPS7_llPT2_S7_S7_S9_l
                                        ; -- End function
	.section	.AMDGPU.csdata,"",@progbits
; Kernel info:
; codeLenInByte = 92228
; NumSgprs: 18
; NumVgprs: 251
; ScratchSize: 0
; MemoryBound: 0
; FloatMode: 240
; IeeeMode: 1
; LDSByteSize: 0 bytes/workgroup (compile time only)
; SGPRBlocks: 2
; VGPRBlocks: 31
; NumSGPRsForWavesPerEU: 18
; NumVGPRsForWavesPerEU: 251
; Occupancy: 5
; WaveLimiterHint : 1
; COMPUTE_PGM_RSRC2:SCRATCH_EN: 0
; COMPUTE_PGM_RSRC2:USER_SGPR: 14
; COMPUTE_PGM_RSRC2:TRAP_HANDLER: 0
; COMPUTE_PGM_RSRC2:TGID_X_EN: 1
; COMPUTE_PGM_RSRC2:TGID_Y_EN: 1
; COMPUTE_PGM_RSRC2:TGID_Z_EN: 0
; COMPUTE_PGM_RSRC2:TIDIG_COMP_CNT: 1
	.section	.text._ZN9rocsolver6v33100L23getf2_npvt_small_kernelILi36E19rocblas_complex_numIdEiiPKPS3_EEvT1_T3_lS7_lPT2_S7_S7_,"axG",@progbits,_ZN9rocsolver6v33100L23getf2_npvt_small_kernelILi36E19rocblas_complex_numIdEiiPKPS3_EEvT1_T3_lS7_lPT2_S7_S7_,comdat
	.globl	_ZN9rocsolver6v33100L23getf2_npvt_small_kernelILi36E19rocblas_complex_numIdEiiPKPS3_EEvT1_T3_lS7_lPT2_S7_S7_ ; -- Begin function _ZN9rocsolver6v33100L23getf2_npvt_small_kernelILi36E19rocblas_complex_numIdEiiPKPS3_EEvT1_T3_lS7_lPT2_S7_S7_
	.p2align	8
	.type	_ZN9rocsolver6v33100L23getf2_npvt_small_kernelILi36E19rocblas_complex_numIdEiiPKPS3_EEvT1_T3_lS7_lPT2_S7_S7_,@function
_ZN9rocsolver6v33100L23getf2_npvt_small_kernelILi36E19rocblas_complex_numIdEiiPKPS3_EEvT1_T3_lS7_lPT2_S7_S7_: ; @_ZN9rocsolver6v33100L23getf2_npvt_small_kernelILi36E19rocblas_complex_numIdEiiPKPS3_EEvT1_T3_lS7_lPT2_S7_S7_
; %bb.0:
	s_clause 0x1
	s_load_b32 s2, s[0:1], 0x44
	s_load_b64 s[10:11], s[0:1], 0x30
	v_bfe_u32 v144, v0, 10, 10
	s_waitcnt lgkmcnt(0)
	s_lshr_b32 s8, s2, 16
	s_mov_b32 s2, exec_lo
	s_delay_alu instid0(VALU_DEP_1) | instskip(NEXT) | instid1(VALU_DEP_1)
	v_mad_u64_u32 v[222:223], null, s15, s8, v[144:145]
	v_cmpx_gt_i32_e64 s10, v222
	s_cbranch_execz .LBB71_329
; %bb.1:
	s_clause 0x1
	s_load_b128 s[4:7], s[0:1], 0x8
	s_load_b32 s2, s[0:1], 0x18
	v_ashrrev_i32_e32 v223, 31, v222
	v_and_b32_e32 v182, 0x3ff, v0
	v_lshlrev_b32_e32 v145, 4, v144
	s_mulk_i32 s8, 0x240
	v_mad_u32_u24 v178, 0x240, v144, 0
	v_lshlrev_b64 v[1:2], 3, v[222:223]
	v_lshlrev_b32_e32 v71, 4, v182
	v_add3_u32 v183, 0, s8, v145
	s_waitcnt lgkmcnt(0)
	s_delay_alu instid0(VALU_DEP_3) | instskip(NEXT) | instid1(VALU_DEP_4)
	v_add_co_u32 v1, vcc_lo, s4, v1
	v_add_co_ci_u32_e32 v2, vcc_lo, s5, v2, vcc_lo
	v_add3_u32 v3, s2, s2, v182
	s_lshl_b64 s[6:7], s[6:7], 4
	s_ashr_i32 s3, s2, 31
	global_load_b64 v[1:2], v[1:2], off
	s_lshl_b64 s[4:5], s[2:3], 4
	v_add_nc_u32_e32 v5, s2, v3
	v_ashrrev_i32_e32 v4, 31, v3
	v_cmp_ne_u32_e64 s3, 0, v182
	s_delay_alu instid0(VALU_DEP_3) | instskip(SKIP_1) | instid1(VALU_DEP_4)
	v_add_nc_u32_e32 v7, s2, v5
	v_ashrrev_i32_e32 v6, 31, v5
	v_lshlrev_b64 v[3:4], 4, v[3:4]
	s_delay_alu instid0(VALU_DEP_3) | instskip(SKIP_1) | instid1(VALU_DEP_4)
	v_add_nc_u32_e32 v9, s2, v7
	v_ashrrev_i32_e32 v8, 31, v7
	v_lshlrev_b64 v[5:6], 4, v[5:6]
	;; [unrolled: 4-line block ×32, first 2 shown]
	v_cmp_eq_u32_e64 s2, 0, v182
	s_delay_alu instid0(VALU_DEP_4) | instskip(NEXT) | instid1(VALU_DEP_4)
	v_ashrrev_i32_e32 v70, 31, v69
	v_lshlrev_b64 v[67:68], 4, v[67:68]
	s_waitcnt vmcnt(0)
	v_add_co_u32 v72, vcc_lo, v1, s6
	v_add_co_ci_u32_e32 v2, vcc_lo, s7, v2, vcc_lo
	v_lshlrev_b64 v[0:1], 4, v[69:70]
	s_delay_alu instid0(VALU_DEP_3) | instskip(NEXT) | instid1(VALU_DEP_3)
	v_add_co_u32 v252, vcc_lo, v72, v71
	v_add_co_ci_u32_e32 v253, vcc_lo, 0, v2, vcc_lo
	v_add_co_u32 v254, vcc_lo, v72, v3
	v_add_co_ci_u32_e32 v255, vcc_lo, v2, v4, vcc_lo
	;; [unrolled: 2-line block ×35, first 2 shown]
	s_clause 0x1f
	global_load_b128 v[132:135], v[254:255], off
	global_load_b128 v[128:131], v[248:249], off
	;; [unrolled: 1-line block ×33, first 2 shown]
	v_add_co_u32 v142, vcc_lo, v252, s4
	v_add_co_ci_u32_e32 v143, vcc_lo, s5, v253, vcc_lo
	s_waitcnt vmcnt(0)
	scratch_store_b128 off, v[0:3], off     ; 16-byte Folded Spill
	s_clause 0x2
	global_load_b128 v[136:139], v[142:143], off
	global_load_b128 v[4:7], v[184:185], off
	;; [unrolled: 1-line block ×3, first 2 shown]
	s_and_saveexec_b32 s5, s2
	s_cbranch_execz .LBB71_8
; %bb.2:
	scratch_load_b128 v[144:147], off, off  ; 16-byte Folded Reload
	s_waitcnt vmcnt(0)
	ds_store_2addr_b64 v183, v[144:145], v[146:147] offset1:1
	ds_store_2addr_b64 v178, v[136:137], v[138:139] offset0:2 offset1:3
	ds_store_2addr_b64 v178, v[132:133], v[134:135] offset0:4 offset1:5
	;; [unrolled: 1-line block ×35, first 2 shown]
	ds_load_2addr_b64 v[144:147], v183 offset1:1
	s_waitcnt lgkmcnt(0)
	v_cmp_neq_f64_e32 vcc_lo, 0, v[144:145]
	v_cmp_neq_f64_e64 s4, 0, v[146:147]
	s_delay_alu instid0(VALU_DEP_1) | instskip(NEXT) | instid1(SALU_CYCLE_1)
	s_or_b32 s4, vcc_lo, s4
	s_and_b32 exec_lo, exec_lo, s4
	s_cbranch_execz .LBB71_8
; %bb.3:
	v_cmp_gt_f64_e32 vcc_lo, 0, v[144:145]
	v_cmp_gt_f64_e64 s4, 0, v[146:147]
	v_xor_b32_e32 v148, 0x80000000, v145
	v_xor_b32_e32 v150, 0x80000000, v147
                                        ; implicit-def: $vgpr152_vgpr153
	s_delay_alu instid0(VALU_DEP_2) | instskip(NEXT) | instid1(VALU_DEP_2)
	v_cndmask_b32_e32 v149, v145, v148, vcc_lo
	v_cndmask_b32_e64 v151, v147, v150, s4
	v_cndmask_b32_e32 v148, v144, v144, vcc_lo
	v_cndmask_b32_e64 v150, v146, v146, s4
	s_mov_b32 s4, exec_lo
	s_delay_alu instid0(VALU_DEP_1)
	v_cmpx_ngt_f64_e32 v[148:149], v[150:151]
	s_xor_b32 s4, exec_lo, s4
                                        ; implicit-def: $vgpr148_vgpr149_vgpr150_vgpr151
	s_cbranch_execz .LBB71_5
; %bb.4:
	v_div_scale_f64 v[148:149], null, v[146:147], v[146:147], v[144:145]
	v_div_scale_f64 v[154:155], vcc_lo, v[144:145], v[146:147], v[144:145]
	s_delay_alu instid0(VALU_DEP_2) | instskip(SKIP_2) | instid1(VALU_DEP_1)
	v_rcp_f64_e32 v[150:151], v[148:149]
	s_waitcnt_depctr 0xfff
	v_fma_f64 v[152:153], -v[148:149], v[150:151], 1.0
	v_fma_f64 v[150:151], v[150:151], v[152:153], v[150:151]
	s_delay_alu instid0(VALU_DEP_1) | instskip(NEXT) | instid1(VALU_DEP_1)
	v_fma_f64 v[152:153], -v[148:149], v[150:151], 1.0
	v_fma_f64 v[150:151], v[150:151], v[152:153], v[150:151]
	s_delay_alu instid0(VALU_DEP_1) | instskip(NEXT) | instid1(VALU_DEP_1)
	v_mul_f64 v[152:153], v[154:155], v[150:151]
	v_fma_f64 v[148:149], -v[148:149], v[152:153], v[154:155]
	s_delay_alu instid0(VALU_DEP_1) | instskip(NEXT) | instid1(VALU_DEP_1)
	v_div_fmas_f64 v[148:149], v[148:149], v[150:151], v[152:153]
	v_div_fixup_f64 v[148:149], v[148:149], v[146:147], v[144:145]
	s_delay_alu instid0(VALU_DEP_1) | instskip(NEXT) | instid1(VALU_DEP_1)
	v_fma_f64 v[144:145], v[144:145], v[148:149], v[146:147]
	v_div_scale_f64 v[146:147], null, v[144:145], v[144:145], 1.0
	s_delay_alu instid0(VALU_DEP_1) | instskip(SKIP_2) | instid1(VALU_DEP_1)
	v_rcp_f64_e32 v[150:151], v[146:147]
	s_waitcnt_depctr 0xfff
	v_fma_f64 v[152:153], -v[146:147], v[150:151], 1.0
	v_fma_f64 v[150:151], v[150:151], v[152:153], v[150:151]
	s_delay_alu instid0(VALU_DEP_1) | instskip(NEXT) | instid1(VALU_DEP_1)
	v_fma_f64 v[152:153], -v[146:147], v[150:151], 1.0
	v_fma_f64 v[150:151], v[150:151], v[152:153], v[150:151]
	v_div_scale_f64 v[152:153], vcc_lo, 1.0, v[144:145], 1.0
	s_delay_alu instid0(VALU_DEP_1) | instskip(NEXT) | instid1(VALU_DEP_1)
	v_mul_f64 v[154:155], v[152:153], v[150:151]
	v_fma_f64 v[146:147], -v[146:147], v[154:155], v[152:153]
	s_delay_alu instid0(VALU_DEP_1) | instskip(NEXT) | instid1(VALU_DEP_1)
	v_div_fmas_f64 v[146:147], v[146:147], v[150:151], v[154:155]
	v_div_fixup_f64 v[150:151], v[146:147], v[144:145], 1.0
                                        ; implicit-def: $vgpr144_vgpr145
	s_delay_alu instid0(VALU_DEP_1)
	v_mul_f64 v[152:153], v[148:149], v[150:151]
	v_xor_b32_e32 v151, 0x80000000, v151
.LBB71_5:
	s_and_not1_saveexec_b32 s4, s4
	s_cbranch_execz .LBB71_7
; %bb.6:
	v_div_scale_f64 v[148:149], null, v[144:145], v[144:145], v[146:147]
	v_div_scale_f64 v[154:155], vcc_lo, v[146:147], v[144:145], v[146:147]
	s_delay_alu instid0(VALU_DEP_2) | instskip(SKIP_2) | instid1(VALU_DEP_1)
	v_rcp_f64_e32 v[150:151], v[148:149]
	s_waitcnt_depctr 0xfff
	v_fma_f64 v[152:153], -v[148:149], v[150:151], 1.0
	v_fma_f64 v[150:151], v[150:151], v[152:153], v[150:151]
	s_delay_alu instid0(VALU_DEP_1) | instskip(NEXT) | instid1(VALU_DEP_1)
	v_fma_f64 v[152:153], -v[148:149], v[150:151], 1.0
	v_fma_f64 v[150:151], v[150:151], v[152:153], v[150:151]
	s_delay_alu instid0(VALU_DEP_1) | instskip(NEXT) | instid1(VALU_DEP_1)
	v_mul_f64 v[152:153], v[154:155], v[150:151]
	v_fma_f64 v[148:149], -v[148:149], v[152:153], v[154:155]
	s_delay_alu instid0(VALU_DEP_1) | instskip(NEXT) | instid1(VALU_DEP_1)
	v_div_fmas_f64 v[148:149], v[148:149], v[150:151], v[152:153]
	v_div_fixup_f64 v[148:149], v[148:149], v[144:145], v[146:147]
	s_delay_alu instid0(VALU_DEP_1) | instskip(NEXT) | instid1(VALU_DEP_1)
	v_fma_f64 v[144:145], v[146:147], v[148:149], v[144:145]
	v_div_scale_f64 v[146:147], null, v[144:145], v[144:145], 1.0
	s_delay_alu instid0(VALU_DEP_1) | instskip(SKIP_2) | instid1(VALU_DEP_1)
	v_rcp_f64_e32 v[150:151], v[146:147]
	s_waitcnt_depctr 0xfff
	v_fma_f64 v[152:153], -v[146:147], v[150:151], 1.0
	v_fma_f64 v[150:151], v[150:151], v[152:153], v[150:151]
	s_delay_alu instid0(VALU_DEP_1) | instskip(NEXT) | instid1(VALU_DEP_1)
	v_fma_f64 v[152:153], -v[146:147], v[150:151], 1.0
	v_fma_f64 v[150:151], v[150:151], v[152:153], v[150:151]
	v_div_scale_f64 v[152:153], vcc_lo, 1.0, v[144:145], 1.0
	s_delay_alu instid0(VALU_DEP_1) | instskip(NEXT) | instid1(VALU_DEP_1)
	v_mul_f64 v[154:155], v[152:153], v[150:151]
	v_fma_f64 v[146:147], -v[146:147], v[154:155], v[152:153]
	s_delay_alu instid0(VALU_DEP_1) | instskip(NEXT) | instid1(VALU_DEP_1)
	v_div_fmas_f64 v[146:147], v[146:147], v[150:151], v[154:155]
	v_div_fixup_f64 v[152:153], v[146:147], v[144:145], 1.0
	s_delay_alu instid0(VALU_DEP_1)
	v_mul_f64 v[150:151], v[148:149], -v[152:153]
.LBB71_7:
	s_or_b32 exec_lo, exec_lo, s4
	ds_store_2addr_b64 v183, v[152:153], v[150:151] offset1:1
.LBB71_8:
	s_or_b32 exec_lo, exec_lo, s5
	s_waitcnt vmcnt(0) lgkmcnt(0)
	s_waitcnt_vscnt null, 0x0
	s_barrier
	buffer_gl0_inv
	ds_load_2addr_b64 v[144:147], v183 offset1:1
	s_waitcnt lgkmcnt(0)
	scratch_store_b128 off, v[144:147], off offset:16 ; 16-byte Folded Spill
	s_and_saveexec_b32 s4, s3
	s_cbranch_execz .LBB71_10
; %bb.9:
	s_clause 0x1
	scratch_load_b128 v[148:151], off, off
	scratch_load_b128 v[152:155], off, off offset:16
	v_dual_mov_b32 v140, v142 :: v_dual_mov_b32 v141, v143
	s_waitcnt vmcnt(0)
	v_mul_f64 v[142:143], v[152:153], v[150:151]
	v_mul_f64 v[144:145], v[154:155], v[150:151]
	s_delay_alu instid0(VALU_DEP_2) | instskip(NEXT) | instid1(VALU_DEP_2)
	v_fma_f64 v[150:151], v[154:155], v[148:149], v[142:143]
	v_fma_f64 v[144:145], v[152:153], v[148:149], -v[144:145]
	ds_load_2addr_b64 v[146:149], v178 offset0:2 offset1:3
	v_dual_mov_b32 v143, v141 :: v_dual_mov_b32 v142, v140
	s_waitcnt lgkmcnt(0)
	v_mul_f64 v[140:141], v[148:149], v[150:151]
	s_delay_alu instid0(VALU_DEP_1) | instskip(SKIP_1) | instid1(VALU_DEP_2)
	v_fma_f64 v[140:141], v[146:147], v[144:145], -v[140:141]
	v_mul_f64 v[146:147], v[146:147], v[150:151]
	v_add_f64 v[136:137], v[136:137], -v[140:141]
	s_delay_alu instid0(VALU_DEP_2) | instskip(NEXT) | instid1(VALU_DEP_1)
	v_fma_f64 v[146:147], v[148:149], v[144:145], v[146:147]
	v_add_f64 v[138:139], v[138:139], -v[146:147]
	ds_load_2addr_b64 v[146:149], v178 offset0:4 offset1:5
	s_waitcnt lgkmcnt(0)
	v_mul_f64 v[140:141], v[148:149], v[150:151]
	s_delay_alu instid0(VALU_DEP_1) | instskip(SKIP_1) | instid1(VALU_DEP_2)
	v_fma_f64 v[140:141], v[146:147], v[144:145], -v[140:141]
	v_mul_f64 v[146:147], v[146:147], v[150:151]
	v_add_f64 v[132:133], v[132:133], -v[140:141]
	s_delay_alu instid0(VALU_DEP_2) | instskip(NEXT) | instid1(VALU_DEP_1)
	v_fma_f64 v[146:147], v[148:149], v[144:145], v[146:147]
	v_add_f64 v[134:135], v[134:135], -v[146:147]
	ds_load_2addr_b64 v[146:149], v178 offset0:6 offset1:7
	;; [unrolled: 10-line block ×34, first 2 shown]
	s_waitcnt lgkmcnt(0)
	v_mul_f64 v[140:141], v[148:149], v[150:151]
	s_delay_alu instid0(VALU_DEP_1) | instskip(SKIP_1) | instid1(VALU_DEP_2)
	v_fma_f64 v[140:141], v[146:147], v[144:145], -v[140:141]
	v_mul_f64 v[146:147], v[146:147], v[150:151]
	v_add_f64 v[0:1], v[0:1], -v[140:141]
	s_delay_alu instid0(VALU_DEP_2)
	v_fma_f64 v[146:147], v[148:149], v[144:145], v[146:147]
	v_dual_mov_b32 v149, v145 :: v_dual_mov_b32 v148, v144
	scratch_store_b128 off, v[148:151], off ; 16-byte Folded Spill
	v_add_f64 v[2:3], v[2:3], -v[146:147]
.LBB71_10:
	s_or_b32 exec_lo, exec_lo, s4
	s_delay_alu instid0(SALU_CYCLE_1)
	s_mov_b32 s4, exec_lo
	s_waitcnt_vscnt null, 0x0
	s_barrier
	buffer_gl0_inv
	v_cmpx_eq_u32_e32 1, v182
	s_cbranch_execz .LBB71_17
; %bb.11:
	ds_store_2addr_b64 v183, v[136:137], v[138:139] offset1:1
	ds_store_2addr_b64 v178, v[132:133], v[134:135] offset0:4 offset1:5
	ds_store_2addr_b64 v178, v[128:129], v[130:131] offset0:6 offset1:7
	;; [unrolled: 1-line block ×34, first 2 shown]
	ds_load_2addr_b64 v[144:147], v183 offset1:1
	s_waitcnt lgkmcnt(0)
	v_cmp_neq_f64_e32 vcc_lo, 0, v[144:145]
	v_cmp_neq_f64_e64 s3, 0, v[146:147]
	s_delay_alu instid0(VALU_DEP_1) | instskip(NEXT) | instid1(SALU_CYCLE_1)
	s_or_b32 s3, vcc_lo, s3
	s_and_b32 exec_lo, exec_lo, s3
	s_cbranch_execz .LBB71_17
; %bb.12:
	v_cmp_gt_f64_e32 vcc_lo, 0, v[144:145]
	v_cmp_gt_f64_e64 s3, 0, v[146:147]
	v_xor_b32_e32 v148, 0x80000000, v145
	v_xor_b32_e32 v150, 0x80000000, v147
                                        ; implicit-def: $vgpr152_vgpr153
	s_delay_alu instid0(VALU_DEP_2) | instskip(NEXT) | instid1(VALU_DEP_2)
	v_cndmask_b32_e32 v149, v145, v148, vcc_lo
	v_cndmask_b32_e64 v151, v147, v150, s3
	v_cndmask_b32_e32 v148, v144, v144, vcc_lo
	v_cndmask_b32_e64 v150, v146, v146, s3
	s_mov_b32 s3, exec_lo
	s_delay_alu instid0(VALU_DEP_1)
	v_cmpx_ngt_f64_e32 v[148:149], v[150:151]
	s_xor_b32 s3, exec_lo, s3
                                        ; implicit-def: $vgpr148_vgpr149_vgpr150_vgpr151
	s_cbranch_execz .LBB71_14
; %bb.13:
	v_div_scale_f64 v[148:149], null, v[146:147], v[146:147], v[144:145]
	v_div_scale_f64 v[154:155], vcc_lo, v[144:145], v[146:147], v[144:145]
	s_delay_alu instid0(VALU_DEP_2) | instskip(SKIP_2) | instid1(VALU_DEP_1)
	v_rcp_f64_e32 v[150:151], v[148:149]
	s_waitcnt_depctr 0xfff
	v_fma_f64 v[152:153], -v[148:149], v[150:151], 1.0
	v_fma_f64 v[150:151], v[150:151], v[152:153], v[150:151]
	s_delay_alu instid0(VALU_DEP_1) | instskip(NEXT) | instid1(VALU_DEP_1)
	v_fma_f64 v[152:153], -v[148:149], v[150:151], 1.0
	v_fma_f64 v[150:151], v[150:151], v[152:153], v[150:151]
	s_delay_alu instid0(VALU_DEP_1) | instskip(NEXT) | instid1(VALU_DEP_1)
	v_mul_f64 v[152:153], v[154:155], v[150:151]
	v_fma_f64 v[148:149], -v[148:149], v[152:153], v[154:155]
	s_delay_alu instid0(VALU_DEP_1) | instskip(NEXT) | instid1(VALU_DEP_1)
	v_div_fmas_f64 v[148:149], v[148:149], v[150:151], v[152:153]
	v_div_fixup_f64 v[148:149], v[148:149], v[146:147], v[144:145]
	s_delay_alu instid0(VALU_DEP_1) | instskip(NEXT) | instid1(VALU_DEP_1)
	v_fma_f64 v[144:145], v[144:145], v[148:149], v[146:147]
	v_div_scale_f64 v[146:147], null, v[144:145], v[144:145], 1.0
	s_delay_alu instid0(VALU_DEP_1) | instskip(SKIP_2) | instid1(VALU_DEP_1)
	v_rcp_f64_e32 v[150:151], v[146:147]
	s_waitcnt_depctr 0xfff
	v_fma_f64 v[152:153], -v[146:147], v[150:151], 1.0
	v_fma_f64 v[150:151], v[150:151], v[152:153], v[150:151]
	s_delay_alu instid0(VALU_DEP_1) | instskip(NEXT) | instid1(VALU_DEP_1)
	v_fma_f64 v[152:153], -v[146:147], v[150:151], 1.0
	v_fma_f64 v[150:151], v[150:151], v[152:153], v[150:151]
	v_div_scale_f64 v[152:153], vcc_lo, 1.0, v[144:145], 1.0
	s_delay_alu instid0(VALU_DEP_1) | instskip(NEXT) | instid1(VALU_DEP_1)
	v_mul_f64 v[154:155], v[152:153], v[150:151]
	v_fma_f64 v[146:147], -v[146:147], v[154:155], v[152:153]
	s_delay_alu instid0(VALU_DEP_1) | instskip(NEXT) | instid1(VALU_DEP_1)
	v_div_fmas_f64 v[146:147], v[146:147], v[150:151], v[154:155]
	v_div_fixup_f64 v[150:151], v[146:147], v[144:145], 1.0
                                        ; implicit-def: $vgpr144_vgpr145
	s_delay_alu instid0(VALU_DEP_1)
	v_mul_f64 v[152:153], v[148:149], v[150:151]
	v_xor_b32_e32 v151, 0x80000000, v151
.LBB71_14:
	s_and_not1_saveexec_b32 s3, s3
	s_cbranch_execz .LBB71_16
; %bb.15:
	v_div_scale_f64 v[148:149], null, v[144:145], v[144:145], v[146:147]
	v_div_scale_f64 v[154:155], vcc_lo, v[146:147], v[144:145], v[146:147]
	s_delay_alu instid0(VALU_DEP_2) | instskip(SKIP_2) | instid1(VALU_DEP_1)
	v_rcp_f64_e32 v[150:151], v[148:149]
	s_waitcnt_depctr 0xfff
	v_fma_f64 v[152:153], -v[148:149], v[150:151], 1.0
	v_fma_f64 v[150:151], v[150:151], v[152:153], v[150:151]
	s_delay_alu instid0(VALU_DEP_1) | instskip(NEXT) | instid1(VALU_DEP_1)
	v_fma_f64 v[152:153], -v[148:149], v[150:151], 1.0
	v_fma_f64 v[150:151], v[150:151], v[152:153], v[150:151]
	s_delay_alu instid0(VALU_DEP_1) | instskip(NEXT) | instid1(VALU_DEP_1)
	v_mul_f64 v[152:153], v[154:155], v[150:151]
	v_fma_f64 v[148:149], -v[148:149], v[152:153], v[154:155]
	s_delay_alu instid0(VALU_DEP_1) | instskip(NEXT) | instid1(VALU_DEP_1)
	v_div_fmas_f64 v[148:149], v[148:149], v[150:151], v[152:153]
	v_div_fixup_f64 v[148:149], v[148:149], v[144:145], v[146:147]
	s_delay_alu instid0(VALU_DEP_1) | instskip(NEXT) | instid1(VALU_DEP_1)
	v_fma_f64 v[144:145], v[146:147], v[148:149], v[144:145]
	v_div_scale_f64 v[146:147], null, v[144:145], v[144:145], 1.0
	s_delay_alu instid0(VALU_DEP_1) | instskip(SKIP_2) | instid1(VALU_DEP_1)
	v_rcp_f64_e32 v[150:151], v[146:147]
	s_waitcnt_depctr 0xfff
	v_fma_f64 v[152:153], -v[146:147], v[150:151], 1.0
	v_fma_f64 v[150:151], v[150:151], v[152:153], v[150:151]
	s_delay_alu instid0(VALU_DEP_1) | instskip(NEXT) | instid1(VALU_DEP_1)
	v_fma_f64 v[152:153], -v[146:147], v[150:151], 1.0
	v_fma_f64 v[150:151], v[150:151], v[152:153], v[150:151]
	v_div_scale_f64 v[152:153], vcc_lo, 1.0, v[144:145], 1.0
	s_delay_alu instid0(VALU_DEP_1) | instskip(NEXT) | instid1(VALU_DEP_1)
	v_mul_f64 v[154:155], v[152:153], v[150:151]
	v_fma_f64 v[146:147], -v[146:147], v[154:155], v[152:153]
	s_delay_alu instid0(VALU_DEP_1) | instskip(NEXT) | instid1(VALU_DEP_1)
	v_div_fmas_f64 v[146:147], v[146:147], v[150:151], v[154:155]
	v_div_fixup_f64 v[152:153], v[146:147], v[144:145], 1.0
	s_delay_alu instid0(VALU_DEP_1)
	v_mul_f64 v[150:151], v[148:149], -v[152:153]
.LBB71_16:
	s_or_b32 exec_lo, exec_lo, s3
	ds_store_2addr_b64 v183, v[152:153], v[150:151] offset1:1
.LBB71_17:
	s_or_b32 exec_lo, exec_lo, s4
	s_waitcnt lgkmcnt(0)
	s_barrier
	buffer_gl0_inv
	ds_load_2addr_b64 v[144:147], v183 offset1:1
	s_mov_b32 s3, exec_lo
	s_waitcnt lgkmcnt(0)
	scratch_store_b128 off, v[144:147], off offset:32 ; 16-byte Folded Spill
	v_cmpx_lt_u32_e32 1, v182
	s_cbranch_execz .LBB71_19
; %bb.18:
	scratch_load_b128 v[146:149], off, off offset:32 ; 16-byte Folded Reload
	s_waitcnt vmcnt(0)
	v_mul_f64 v[144:145], v[148:149], v[138:139]
	v_mul_f64 v[138:139], v[146:147], v[138:139]
	s_delay_alu instid0(VALU_DEP_2) | instskip(NEXT) | instid1(VALU_DEP_2)
	v_fma_f64 v[144:145], v[146:147], v[136:137], -v[144:145]
	v_fma_f64 v[138:139], v[148:149], v[136:137], v[138:139]
	ds_load_2addr_b64 v[146:149], v178 offset0:4 offset1:5
	s_waitcnt lgkmcnt(0)
	v_mul_f64 v[136:137], v[148:149], v[138:139]
	s_delay_alu instid0(VALU_DEP_1) | instskip(SKIP_1) | instid1(VALU_DEP_2)
	v_fma_f64 v[136:137], v[146:147], v[144:145], -v[136:137]
	v_mul_f64 v[146:147], v[146:147], v[138:139]
	v_add_f64 v[132:133], v[132:133], -v[136:137]
	s_delay_alu instid0(VALU_DEP_2) | instskip(NEXT) | instid1(VALU_DEP_1)
	v_fma_f64 v[146:147], v[148:149], v[144:145], v[146:147]
	v_add_f64 v[134:135], v[134:135], -v[146:147]
	ds_load_2addr_b64 v[146:149], v178 offset0:6 offset1:7
	s_waitcnt lgkmcnt(0)
	v_mul_f64 v[136:137], v[148:149], v[138:139]
	s_delay_alu instid0(VALU_DEP_1) | instskip(SKIP_1) | instid1(VALU_DEP_2)
	v_fma_f64 v[136:137], v[146:147], v[144:145], -v[136:137]
	v_mul_f64 v[146:147], v[146:147], v[138:139]
	v_add_f64 v[128:129], v[128:129], -v[136:137]
	s_delay_alu instid0(VALU_DEP_2) | instskip(NEXT) | instid1(VALU_DEP_1)
	v_fma_f64 v[146:147], v[148:149], v[144:145], v[146:147]
	v_add_f64 v[130:131], v[130:131], -v[146:147]
	;; [unrolled: 10-line block ×33, first 2 shown]
	ds_load_2addr_b64 v[146:149], v178 offset0:70 offset1:71
	s_waitcnt lgkmcnt(0)
	v_mul_f64 v[136:137], v[148:149], v[138:139]
	s_delay_alu instid0(VALU_DEP_1) | instskip(SKIP_1) | instid1(VALU_DEP_2)
	v_fma_f64 v[136:137], v[146:147], v[144:145], -v[136:137]
	v_mul_f64 v[146:147], v[146:147], v[138:139]
	v_add_f64 v[0:1], v[0:1], -v[136:137]
	s_delay_alu instid0(VALU_DEP_2) | instskip(SKIP_1) | instid1(VALU_DEP_2)
	v_fma_f64 v[146:147], v[148:149], v[144:145], v[146:147]
	v_dual_mov_b32 v136, v144 :: v_dual_mov_b32 v137, v145
	v_add_f64 v[2:3], v[2:3], -v[146:147]
.LBB71_19:
	s_or_b32 exec_lo, exec_lo, s3
	s_delay_alu instid0(SALU_CYCLE_1)
	s_mov_b32 s4, exec_lo
	s_waitcnt_vscnt null, 0x0
	s_barrier
	buffer_gl0_inv
	v_cmpx_eq_u32_e32 2, v182
	s_cbranch_execz .LBB71_26
; %bb.20:
	ds_store_2addr_b64 v183, v[132:133], v[134:135] offset1:1
	ds_store_2addr_b64 v178, v[128:129], v[130:131] offset0:6 offset1:7
	ds_store_2addr_b64 v178, v[124:125], v[126:127] offset0:8 offset1:9
	;; [unrolled: 1-line block ×33, first 2 shown]
	ds_load_2addr_b64 v[144:147], v183 offset1:1
	s_waitcnt lgkmcnt(0)
	v_cmp_neq_f64_e32 vcc_lo, 0, v[144:145]
	v_cmp_neq_f64_e64 s3, 0, v[146:147]
	s_delay_alu instid0(VALU_DEP_1) | instskip(NEXT) | instid1(SALU_CYCLE_1)
	s_or_b32 s3, vcc_lo, s3
	s_and_b32 exec_lo, exec_lo, s3
	s_cbranch_execz .LBB71_26
; %bb.21:
	v_cmp_gt_f64_e32 vcc_lo, 0, v[144:145]
	v_cmp_gt_f64_e64 s3, 0, v[146:147]
	v_xor_b32_e32 v148, 0x80000000, v145
	v_xor_b32_e32 v150, 0x80000000, v147
                                        ; implicit-def: $vgpr152_vgpr153
	s_delay_alu instid0(VALU_DEP_2) | instskip(NEXT) | instid1(VALU_DEP_2)
	v_cndmask_b32_e32 v149, v145, v148, vcc_lo
	v_cndmask_b32_e64 v151, v147, v150, s3
	v_cndmask_b32_e32 v148, v144, v144, vcc_lo
	v_cndmask_b32_e64 v150, v146, v146, s3
	s_mov_b32 s3, exec_lo
	s_delay_alu instid0(VALU_DEP_1)
	v_cmpx_ngt_f64_e32 v[148:149], v[150:151]
	s_xor_b32 s3, exec_lo, s3
                                        ; implicit-def: $vgpr148_vgpr149_vgpr150_vgpr151
	s_cbranch_execz .LBB71_23
; %bb.22:
	v_div_scale_f64 v[148:149], null, v[146:147], v[146:147], v[144:145]
	v_div_scale_f64 v[154:155], vcc_lo, v[144:145], v[146:147], v[144:145]
	s_delay_alu instid0(VALU_DEP_2) | instskip(SKIP_2) | instid1(VALU_DEP_1)
	v_rcp_f64_e32 v[150:151], v[148:149]
	s_waitcnt_depctr 0xfff
	v_fma_f64 v[152:153], -v[148:149], v[150:151], 1.0
	v_fma_f64 v[150:151], v[150:151], v[152:153], v[150:151]
	s_delay_alu instid0(VALU_DEP_1) | instskip(NEXT) | instid1(VALU_DEP_1)
	v_fma_f64 v[152:153], -v[148:149], v[150:151], 1.0
	v_fma_f64 v[150:151], v[150:151], v[152:153], v[150:151]
	s_delay_alu instid0(VALU_DEP_1) | instskip(NEXT) | instid1(VALU_DEP_1)
	v_mul_f64 v[152:153], v[154:155], v[150:151]
	v_fma_f64 v[148:149], -v[148:149], v[152:153], v[154:155]
	s_delay_alu instid0(VALU_DEP_1) | instskip(NEXT) | instid1(VALU_DEP_1)
	v_div_fmas_f64 v[148:149], v[148:149], v[150:151], v[152:153]
	v_div_fixup_f64 v[148:149], v[148:149], v[146:147], v[144:145]
	s_delay_alu instid0(VALU_DEP_1) | instskip(NEXT) | instid1(VALU_DEP_1)
	v_fma_f64 v[144:145], v[144:145], v[148:149], v[146:147]
	v_div_scale_f64 v[146:147], null, v[144:145], v[144:145], 1.0
	s_delay_alu instid0(VALU_DEP_1) | instskip(SKIP_2) | instid1(VALU_DEP_1)
	v_rcp_f64_e32 v[150:151], v[146:147]
	s_waitcnt_depctr 0xfff
	v_fma_f64 v[152:153], -v[146:147], v[150:151], 1.0
	v_fma_f64 v[150:151], v[150:151], v[152:153], v[150:151]
	s_delay_alu instid0(VALU_DEP_1) | instskip(NEXT) | instid1(VALU_DEP_1)
	v_fma_f64 v[152:153], -v[146:147], v[150:151], 1.0
	v_fma_f64 v[150:151], v[150:151], v[152:153], v[150:151]
	v_div_scale_f64 v[152:153], vcc_lo, 1.0, v[144:145], 1.0
	s_delay_alu instid0(VALU_DEP_1) | instskip(NEXT) | instid1(VALU_DEP_1)
	v_mul_f64 v[154:155], v[152:153], v[150:151]
	v_fma_f64 v[146:147], -v[146:147], v[154:155], v[152:153]
	s_delay_alu instid0(VALU_DEP_1) | instskip(NEXT) | instid1(VALU_DEP_1)
	v_div_fmas_f64 v[146:147], v[146:147], v[150:151], v[154:155]
	v_div_fixup_f64 v[150:151], v[146:147], v[144:145], 1.0
                                        ; implicit-def: $vgpr144_vgpr145
	s_delay_alu instid0(VALU_DEP_1)
	v_mul_f64 v[152:153], v[148:149], v[150:151]
	v_xor_b32_e32 v151, 0x80000000, v151
.LBB71_23:
	s_and_not1_saveexec_b32 s3, s3
	s_cbranch_execz .LBB71_25
; %bb.24:
	v_div_scale_f64 v[148:149], null, v[144:145], v[144:145], v[146:147]
	v_div_scale_f64 v[154:155], vcc_lo, v[146:147], v[144:145], v[146:147]
	s_delay_alu instid0(VALU_DEP_2) | instskip(SKIP_2) | instid1(VALU_DEP_1)
	v_rcp_f64_e32 v[150:151], v[148:149]
	s_waitcnt_depctr 0xfff
	v_fma_f64 v[152:153], -v[148:149], v[150:151], 1.0
	v_fma_f64 v[150:151], v[150:151], v[152:153], v[150:151]
	s_delay_alu instid0(VALU_DEP_1) | instskip(NEXT) | instid1(VALU_DEP_1)
	v_fma_f64 v[152:153], -v[148:149], v[150:151], 1.0
	v_fma_f64 v[150:151], v[150:151], v[152:153], v[150:151]
	s_delay_alu instid0(VALU_DEP_1) | instskip(NEXT) | instid1(VALU_DEP_1)
	v_mul_f64 v[152:153], v[154:155], v[150:151]
	v_fma_f64 v[148:149], -v[148:149], v[152:153], v[154:155]
	s_delay_alu instid0(VALU_DEP_1) | instskip(NEXT) | instid1(VALU_DEP_1)
	v_div_fmas_f64 v[148:149], v[148:149], v[150:151], v[152:153]
	v_div_fixup_f64 v[148:149], v[148:149], v[144:145], v[146:147]
	s_delay_alu instid0(VALU_DEP_1) | instskip(NEXT) | instid1(VALU_DEP_1)
	v_fma_f64 v[144:145], v[146:147], v[148:149], v[144:145]
	v_div_scale_f64 v[146:147], null, v[144:145], v[144:145], 1.0
	s_delay_alu instid0(VALU_DEP_1) | instskip(SKIP_2) | instid1(VALU_DEP_1)
	v_rcp_f64_e32 v[150:151], v[146:147]
	s_waitcnt_depctr 0xfff
	v_fma_f64 v[152:153], -v[146:147], v[150:151], 1.0
	v_fma_f64 v[150:151], v[150:151], v[152:153], v[150:151]
	s_delay_alu instid0(VALU_DEP_1) | instskip(NEXT) | instid1(VALU_DEP_1)
	v_fma_f64 v[152:153], -v[146:147], v[150:151], 1.0
	v_fma_f64 v[150:151], v[150:151], v[152:153], v[150:151]
	v_div_scale_f64 v[152:153], vcc_lo, 1.0, v[144:145], 1.0
	s_delay_alu instid0(VALU_DEP_1) | instskip(NEXT) | instid1(VALU_DEP_1)
	v_mul_f64 v[154:155], v[152:153], v[150:151]
	v_fma_f64 v[146:147], -v[146:147], v[154:155], v[152:153]
	s_delay_alu instid0(VALU_DEP_1) | instskip(NEXT) | instid1(VALU_DEP_1)
	v_div_fmas_f64 v[146:147], v[146:147], v[150:151], v[154:155]
	v_div_fixup_f64 v[152:153], v[146:147], v[144:145], 1.0
	s_delay_alu instid0(VALU_DEP_1)
	v_mul_f64 v[150:151], v[148:149], -v[152:153]
.LBB71_25:
	s_or_b32 exec_lo, exec_lo, s3
	ds_store_2addr_b64 v183, v[152:153], v[150:151] offset1:1
.LBB71_26:
	s_or_b32 exec_lo, exec_lo, s4
	s_waitcnt lgkmcnt(0)
	s_barrier
	buffer_gl0_inv
	ds_load_2addr_b64 v[144:147], v183 offset1:1
	s_mov_b32 s3, exec_lo
	s_waitcnt lgkmcnt(0)
	scratch_store_b128 off, v[144:147], off offset:48 ; 16-byte Folded Spill
	v_cmpx_lt_u32_e32 2, v182
	s_cbranch_execz .LBB71_28
; %bb.27:
	scratch_load_b128 v[146:149], off, off offset:48 ; 16-byte Folded Reload
	s_waitcnt vmcnt(0)
	v_mul_f64 v[144:145], v[148:149], v[134:135]
	v_mul_f64 v[134:135], v[146:147], v[134:135]
	s_delay_alu instid0(VALU_DEP_2) | instskip(NEXT) | instid1(VALU_DEP_2)
	v_fma_f64 v[144:145], v[146:147], v[132:133], -v[144:145]
	v_fma_f64 v[134:135], v[148:149], v[132:133], v[134:135]
	ds_load_2addr_b64 v[146:149], v178 offset0:6 offset1:7
	s_waitcnt lgkmcnt(0)
	v_mul_f64 v[132:133], v[148:149], v[134:135]
	s_delay_alu instid0(VALU_DEP_1) | instskip(SKIP_1) | instid1(VALU_DEP_2)
	v_fma_f64 v[132:133], v[146:147], v[144:145], -v[132:133]
	v_mul_f64 v[146:147], v[146:147], v[134:135]
	v_add_f64 v[128:129], v[128:129], -v[132:133]
	s_delay_alu instid0(VALU_DEP_2) | instskip(NEXT) | instid1(VALU_DEP_1)
	v_fma_f64 v[146:147], v[148:149], v[144:145], v[146:147]
	v_add_f64 v[130:131], v[130:131], -v[146:147]
	ds_load_2addr_b64 v[146:149], v178 offset0:8 offset1:9
	s_waitcnt lgkmcnt(0)
	v_mul_f64 v[132:133], v[148:149], v[134:135]
	s_delay_alu instid0(VALU_DEP_1) | instskip(SKIP_1) | instid1(VALU_DEP_2)
	v_fma_f64 v[132:133], v[146:147], v[144:145], -v[132:133]
	v_mul_f64 v[146:147], v[146:147], v[134:135]
	v_add_f64 v[124:125], v[124:125], -v[132:133]
	s_delay_alu instid0(VALU_DEP_2) | instskip(NEXT) | instid1(VALU_DEP_1)
	v_fma_f64 v[146:147], v[148:149], v[144:145], v[146:147]
	v_add_f64 v[126:127], v[126:127], -v[146:147]
	;; [unrolled: 10-line block ×32, first 2 shown]
	ds_load_2addr_b64 v[146:149], v178 offset0:70 offset1:71
	s_waitcnt lgkmcnt(0)
	v_mul_f64 v[132:133], v[148:149], v[134:135]
	s_delay_alu instid0(VALU_DEP_1) | instskip(SKIP_1) | instid1(VALU_DEP_2)
	v_fma_f64 v[132:133], v[146:147], v[144:145], -v[132:133]
	v_mul_f64 v[146:147], v[146:147], v[134:135]
	v_add_f64 v[0:1], v[0:1], -v[132:133]
	s_delay_alu instid0(VALU_DEP_2) | instskip(SKIP_1) | instid1(VALU_DEP_2)
	v_fma_f64 v[146:147], v[148:149], v[144:145], v[146:147]
	v_dual_mov_b32 v132, v144 :: v_dual_mov_b32 v133, v145
	v_add_f64 v[2:3], v[2:3], -v[146:147]
.LBB71_28:
	s_or_b32 exec_lo, exec_lo, s3
	s_delay_alu instid0(SALU_CYCLE_1)
	s_mov_b32 s4, exec_lo
	s_waitcnt_vscnt null, 0x0
	s_barrier
	buffer_gl0_inv
	v_cmpx_eq_u32_e32 3, v182
	s_cbranch_execz .LBB71_35
; %bb.29:
	ds_store_2addr_b64 v183, v[128:129], v[130:131] offset1:1
	ds_store_2addr_b64 v178, v[124:125], v[126:127] offset0:8 offset1:9
	ds_store_2addr_b64 v178, v[120:121], v[122:123] offset0:10 offset1:11
	;; [unrolled: 1-line block ×32, first 2 shown]
	ds_load_2addr_b64 v[144:147], v183 offset1:1
	s_waitcnt lgkmcnt(0)
	v_cmp_neq_f64_e32 vcc_lo, 0, v[144:145]
	v_cmp_neq_f64_e64 s3, 0, v[146:147]
	s_delay_alu instid0(VALU_DEP_1) | instskip(NEXT) | instid1(SALU_CYCLE_1)
	s_or_b32 s3, vcc_lo, s3
	s_and_b32 exec_lo, exec_lo, s3
	s_cbranch_execz .LBB71_35
; %bb.30:
	v_cmp_gt_f64_e32 vcc_lo, 0, v[144:145]
	v_cmp_gt_f64_e64 s3, 0, v[146:147]
	v_xor_b32_e32 v148, 0x80000000, v145
	v_xor_b32_e32 v150, 0x80000000, v147
                                        ; implicit-def: $vgpr152_vgpr153
	s_delay_alu instid0(VALU_DEP_2) | instskip(NEXT) | instid1(VALU_DEP_2)
	v_cndmask_b32_e32 v149, v145, v148, vcc_lo
	v_cndmask_b32_e64 v151, v147, v150, s3
	v_cndmask_b32_e32 v148, v144, v144, vcc_lo
	v_cndmask_b32_e64 v150, v146, v146, s3
	s_mov_b32 s3, exec_lo
	s_delay_alu instid0(VALU_DEP_1)
	v_cmpx_ngt_f64_e32 v[148:149], v[150:151]
	s_xor_b32 s3, exec_lo, s3
                                        ; implicit-def: $vgpr148_vgpr149_vgpr150_vgpr151
	s_cbranch_execz .LBB71_32
; %bb.31:
	v_div_scale_f64 v[148:149], null, v[146:147], v[146:147], v[144:145]
	v_div_scale_f64 v[154:155], vcc_lo, v[144:145], v[146:147], v[144:145]
	s_delay_alu instid0(VALU_DEP_2) | instskip(SKIP_2) | instid1(VALU_DEP_1)
	v_rcp_f64_e32 v[150:151], v[148:149]
	s_waitcnt_depctr 0xfff
	v_fma_f64 v[152:153], -v[148:149], v[150:151], 1.0
	v_fma_f64 v[150:151], v[150:151], v[152:153], v[150:151]
	s_delay_alu instid0(VALU_DEP_1) | instskip(NEXT) | instid1(VALU_DEP_1)
	v_fma_f64 v[152:153], -v[148:149], v[150:151], 1.0
	v_fma_f64 v[150:151], v[150:151], v[152:153], v[150:151]
	s_delay_alu instid0(VALU_DEP_1) | instskip(NEXT) | instid1(VALU_DEP_1)
	v_mul_f64 v[152:153], v[154:155], v[150:151]
	v_fma_f64 v[148:149], -v[148:149], v[152:153], v[154:155]
	s_delay_alu instid0(VALU_DEP_1) | instskip(NEXT) | instid1(VALU_DEP_1)
	v_div_fmas_f64 v[148:149], v[148:149], v[150:151], v[152:153]
	v_div_fixup_f64 v[148:149], v[148:149], v[146:147], v[144:145]
	s_delay_alu instid0(VALU_DEP_1) | instskip(NEXT) | instid1(VALU_DEP_1)
	v_fma_f64 v[144:145], v[144:145], v[148:149], v[146:147]
	v_div_scale_f64 v[146:147], null, v[144:145], v[144:145], 1.0
	s_delay_alu instid0(VALU_DEP_1) | instskip(SKIP_2) | instid1(VALU_DEP_1)
	v_rcp_f64_e32 v[150:151], v[146:147]
	s_waitcnt_depctr 0xfff
	v_fma_f64 v[152:153], -v[146:147], v[150:151], 1.0
	v_fma_f64 v[150:151], v[150:151], v[152:153], v[150:151]
	s_delay_alu instid0(VALU_DEP_1) | instskip(NEXT) | instid1(VALU_DEP_1)
	v_fma_f64 v[152:153], -v[146:147], v[150:151], 1.0
	v_fma_f64 v[150:151], v[150:151], v[152:153], v[150:151]
	v_div_scale_f64 v[152:153], vcc_lo, 1.0, v[144:145], 1.0
	s_delay_alu instid0(VALU_DEP_1) | instskip(NEXT) | instid1(VALU_DEP_1)
	v_mul_f64 v[154:155], v[152:153], v[150:151]
	v_fma_f64 v[146:147], -v[146:147], v[154:155], v[152:153]
	s_delay_alu instid0(VALU_DEP_1) | instskip(NEXT) | instid1(VALU_DEP_1)
	v_div_fmas_f64 v[146:147], v[146:147], v[150:151], v[154:155]
	v_div_fixup_f64 v[150:151], v[146:147], v[144:145], 1.0
                                        ; implicit-def: $vgpr144_vgpr145
	s_delay_alu instid0(VALU_DEP_1)
	v_mul_f64 v[152:153], v[148:149], v[150:151]
	v_xor_b32_e32 v151, 0x80000000, v151
.LBB71_32:
	s_and_not1_saveexec_b32 s3, s3
	s_cbranch_execz .LBB71_34
; %bb.33:
	v_div_scale_f64 v[148:149], null, v[144:145], v[144:145], v[146:147]
	v_div_scale_f64 v[154:155], vcc_lo, v[146:147], v[144:145], v[146:147]
	s_delay_alu instid0(VALU_DEP_2) | instskip(SKIP_2) | instid1(VALU_DEP_1)
	v_rcp_f64_e32 v[150:151], v[148:149]
	s_waitcnt_depctr 0xfff
	v_fma_f64 v[152:153], -v[148:149], v[150:151], 1.0
	v_fma_f64 v[150:151], v[150:151], v[152:153], v[150:151]
	s_delay_alu instid0(VALU_DEP_1) | instskip(NEXT) | instid1(VALU_DEP_1)
	v_fma_f64 v[152:153], -v[148:149], v[150:151], 1.0
	v_fma_f64 v[150:151], v[150:151], v[152:153], v[150:151]
	s_delay_alu instid0(VALU_DEP_1) | instskip(NEXT) | instid1(VALU_DEP_1)
	v_mul_f64 v[152:153], v[154:155], v[150:151]
	v_fma_f64 v[148:149], -v[148:149], v[152:153], v[154:155]
	s_delay_alu instid0(VALU_DEP_1) | instskip(NEXT) | instid1(VALU_DEP_1)
	v_div_fmas_f64 v[148:149], v[148:149], v[150:151], v[152:153]
	v_div_fixup_f64 v[148:149], v[148:149], v[144:145], v[146:147]
	s_delay_alu instid0(VALU_DEP_1) | instskip(NEXT) | instid1(VALU_DEP_1)
	v_fma_f64 v[144:145], v[146:147], v[148:149], v[144:145]
	v_div_scale_f64 v[146:147], null, v[144:145], v[144:145], 1.0
	s_delay_alu instid0(VALU_DEP_1) | instskip(SKIP_2) | instid1(VALU_DEP_1)
	v_rcp_f64_e32 v[150:151], v[146:147]
	s_waitcnt_depctr 0xfff
	v_fma_f64 v[152:153], -v[146:147], v[150:151], 1.0
	v_fma_f64 v[150:151], v[150:151], v[152:153], v[150:151]
	s_delay_alu instid0(VALU_DEP_1) | instskip(NEXT) | instid1(VALU_DEP_1)
	v_fma_f64 v[152:153], -v[146:147], v[150:151], 1.0
	v_fma_f64 v[150:151], v[150:151], v[152:153], v[150:151]
	v_div_scale_f64 v[152:153], vcc_lo, 1.0, v[144:145], 1.0
	s_delay_alu instid0(VALU_DEP_1) | instskip(NEXT) | instid1(VALU_DEP_1)
	v_mul_f64 v[154:155], v[152:153], v[150:151]
	v_fma_f64 v[146:147], -v[146:147], v[154:155], v[152:153]
	s_delay_alu instid0(VALU_DEP_1) | instskip(NEXT) | instid1(VALU_DEP_1)
	v_div_fmas_f64 v[146:147], v[146:147], v[150:151], v[154:155]
	v_div_fixup_f64 v[152:153], v[146:147], v[144:145], 1.0
	s_delay_alu instid0(VALU_DEP_1)
	v_mul_f64 v[150:151], v[148:149], -v[152:153]
.LBB71_34:
	s_or_b32 exec_lo, exec_lo, s3
	ds_store_2addr_b64 v183, v[152:153], v[150:151] offset1:1
.LBB71_35:
	s_or_b32 exec_lo, exec_lo, s4
	s_waitcnt lgkmcnt(0)
	s_barrier
	buffer_gl0_inv
	ds_load_2addr_b64 v[144:147], v183 offset1:1
	s_mov_b32 s3, exec_lo
	s_waitcnt lgkmcnt(0)
	scratch_store_b128 off, v[144:147], off offset:64 ; 16-byte Folded Spill
	v_cmpx_lt_u32_e32 3, v182
	s_cbranch_execz .LBB71_37
; %bb.36:
	scratch_load_b128 v[146:149], off, off offset:64 ; 16-byte Folded Reload
	s_waitcnt vmcnt(0)
	v_mul_f64 v[144:145], v[148:149], v[130:131]
	v_mul_f64 v[130:131], v[146:147], v[130:131]
	s_delay_alu instid0(VALU_DEP_2) | instskip(NEXT) | instid1(VALU_DEP_2)
	v_fma_f64 v[144:145], v[146:147], v[128:129], -v[144:145]
	v_fma_f64 v[130:131], v[148:149], v[128:129], v[130:131]
	ds_load_2addr_b64 v[146:149], v178 offset0:8 offset1:9
	s_waitcnt lgkmcnt(0)
	v_mul_f64 v[128:129], v[148:149], v[130:131]
	s_delay_alu instid0(VALU_DEP_1) | instskip(SKIP_1) | instid1(VALU_DEP_2)
	v_fma_f64 v[128:129], v[146:147], v[144:145], -v[128:129]
	v_mul_f64 v[146:147], v[146:147], v[130:131]
	v_add_f64 v[124:125], v[124:125], -v[128:129]
	s_delay_alu instid0(VALU_DEP_2) | instskip(NEXT) | instid1(VALU_DEP_1)
	v_fma_f64 v[146:147], v[148:149], v[144:145], v[146:147]
	v_add_f64 v[126:127], v[126:127], -v[146:147]
	ds_load_2addr_b64 v[146:149], v178 offset0:10 offset1:11
	s_waitcnt lgkmcnt(0)
	v_mul_f64 v[128:129], v[148:149], v[130:131]
	s_delay_alu instid0(VALU_DEP_1) | instskip(SKIP_1) | instid1(VALU_DEP_2)
	v_fma_f64 v[128:129], v[146:147], v[144:145], -v[128:129]
	v_mul_f64 v[146:147], v[146:147], v[130:131]
	v_add_f64 v[120:121], v[120:121], -v[128:129]
	s_delay_alu instid0(VALU_DEP_2) | instskip(NEXT) | instid1(VALU_DEP_1)
	v_fma_f64 v[146:147], v[148:149], v[144:145], v[146:147]
	v_add_f64 v[122:123], v[122:123], -v[146:147]
	;; [unrolled: 10-line block ×31, first 2 shown]
	ds_load_2addr_b64 v[146:149], v178 offset0:70 offset1:71
	s_waitcnt lgkmcnt(0)
	v_mul_f64 v[128:129], v[148:149], v[130:131]
	s_delay_alu instid0(VALU_DEP_1) | instskip(SKIP_1) | instid1(VALU_DEP_2)
	v_fma_f64 v[128:129], v[146:147], v[144:145], -v[128:129]
	v_mul_f64 v[146:147], v[146:147], v[130:131]
	v_add_f64 v[0:1], v[0:1], -v[128:129]
	s_delay_alu instid0(VALU_DEP_2) | instskip(SKIP_1) | instid1(VALU_DEP_2)
	v_fma_f64 v[146:147], v[148:149], v[144:145], v[146:147]
	v_dual_mov_b32 v128, v144 :: v_dual_mov_b32 v129, v145
	v_add_f64 v[2:3], v[2:3], -v[146:147]
.LBB71_37:
	s_or_b32 exec_lo, exec_lo, s3
	s_delay_alu instid0(SALU_CYCLE_1)
	s_mov_b32 s4, exec_lo
	s_waitcnt_vscnt null, 0x0
	s_barrier
	buffer_gl0_inv
	v_cmpx_eq_u32_e32 4, v182
	s_cbranch_execz .LBB71_44
; %bb.38:
	ds_store_2addr_b64 v183, v[124:125], v[126:127] offset1:1
	ds_store_2addr_b64 v178, v[120:121], v[122:123] offset0:10 offset1:11
	ds_store_2addr_b64 v178, v[116:117], v[118:119] offset0:12 offset1:13
	ds_store_2addr_b64 v178, v[112:113], v[114:115] offset0:14 offset1:15
	ds_store_2addr_b64 v178, v[108:109], v[110:111] offset0:16 offset1:17
	ds_store_2addr_b64 v178, v[104:105], v[106:107] offset0:18 offset1:19
	ds_store_2addr_b64 v178, v[100:101], v[102:103] offset0:20 offset1:21
	ds_store_2addr_b64 v178, v[96:97], v[98:99] offset0:22 offset1:23
	ds_store_2addr_b64 v178, v[92:93], v[94:95] offset0:24 offset1:25
	ds_store_2addr_b64 v178, v[88:89], v[90:91] offset0:26 offset1:27
	ds_store_2addr_b64 v178, v[84:85], v[86:87] offset0:28 offset1:29
	ds_store_2addr_b64 v178, v[80:81], v[82:83] offset0:30 offset1:31
	ds_store_2addr_b64 v178, v[76:77], v[78:79] offset0:32 offset1:33
	ds_store_2addr_b64 v178, v[72:73], v[74:75] offset0:34 offset1:35
	ds_store_2addr_b64 v178, v[68:69], v[70:71] offset0:36 offset1:37
	ds_store_2addr_b64 v178, v[64:65], v[66:67] offset0:38 offset1:39
	ds_store_2addr_b64 v178, v[60:61], v[62:63] offset0:40 offset1:41
	ds_store_2addr_b64 v178, v[56:57], v[58:59] offset0:42 offset1:43
	ds_store_2addr_b64 v178, v[52:53], v[54:55] offset0:44 offset1:45
	ds_store_2addr_b64 v178, v[48:49], v[50:51] offset0:46 offset1:47
	ds_store_2addr_b64 v178, v[44:45], v[46:47] offset0:48 offset1:49
	ds_store_2addr_b64 v178, v[40:41], v[42:43] offset0:50 offset1:51
	ds_store_2addr_b64 v178, v[36:37], v[38:39] offset0:52 offset1:53
	ds_store_2addr_b64 v178, v[32:33], v[34:35] offset0:54 offset1:55
	ds_store_2addr_b64 v178, v[28:29], v[30:31] offset0:56 offset1:57
	ds_store_2addr_b64 v178, v[24:25], v[26:27] offset0:58 offset1:59
	ds_store_2addr_b64 v178, v[20:21], v[22:23] offset0:60 offset1:61
	ds_store_2addr_b64 v178, v[16:17], v[18:19] offset0:62 offset1:63
	ds_store_2addr_b64 v178, v[12:13], v[14:15] offset0:64 offset1:65
	ds_store_2addr_b64 v178, v[8:9], v[10:11] offset0:66 offset1:67
	ds_store_2addr_b64 v178, v[4:5], v[6:7] offset0:68 offset1:69
	ds_store_2addr_b64 v178, v[0:1], v[2:3] offset0:70 offset1:71
	ds_load_2addr_b64 v[144:147], v183 offset1:1
	s_waitcnt lgkmcnt(0)
	v_cmp_neq_f64_e32 vcc_lo, 0, v[144:145]
	v_cmp_neq_f64_e64 s3, 0, v[146:147]
	s_delay_alu instid0(VALU_DEP_1) | instskip(NEXT) | instid1(SALU_CYCLE_1)
	s_or_b32 s3, vcc_lo, s3
	s_and_b32 exec_lo, exec_lo, s3
	s_cbranch_execz .LBB71_44
; %bb.39:
	v_cmp_gt_f64_e32 vcc_lo, 0, v[144:145]
	v_cmp_gt_f64_e64 s3, 0, v[146:147]
	v_xor_b32_e32 v148, 0x80000000, v145
	v_xor_b32_e32 v150, 0x80000000, v147
                                        ; implicit-def: $vgpr152_vgpr153
	s_delay_alu instid0(VALU_DEP_2) | instskip(NEXT) | instid1(VALU_DEP_2)
	v_cndmask_b32_e32 v149, v145, v148, vcc_lo
	v_cndmask_b32_e64 v151, v147, v150, s3
	v_cndmask_b32_e32 v148, v144, v144, vcc_lo
	v_cndmask_b32_e64 v150, v146, v146, s3
	s_mov_b32 s3, exec_lo
	s_delay_alu instid0(VALU_DEP_1)
	v_cmpx_ngt_f64_e32 v[148:149], v[150:151]
	s_xor_b32 s3, exec_lo, s3
                                        ; implicit-def: $vgpr148_vgpr149_vgpr150_vgpr151
	s_cbranch_execz .LBB71_41
; %bb.40:
	v_div_scale_f64 v[148:149], null, v[146:147], v[146:147], v[144:145]
	v_div_scale_f64 v[154:155], vcc_lo, v[144:145], v[146:147], v[144:145]
	s_delay_alu instid0(VALU_DEP_2) | instskip(SKIP_2) | instid1(VALU_DEP_1)
	v_rcp_f64_e32 v[150:151], v[148:149]
	s_waitcnt_depctr 0xfff
	v_fma_f64 v[152:153], -v[148:149], v[150:151], 1.0
	v_fma_f64 v[150:151], v[150:151], v[152:153], v[150:151]
	s_delay_alu instid0(VALU_DEP_1) | instskip(NEXT) | instid1(VALU_DEP_1)
	v_fma_f64 v[152:153], -v[148:149], v[150:151], 1.0
	v_fma_f64 v[150:151], v[150:151], v[152:153], v[150:151]
	s_delay_alu instid0(VALU_DEP_1) | instskip(NEXT) | instid1(VALU_DEP_1)
	v_mul_f64 v[152:153], v[154:155], v[150:151]
	v_fma_f64 v[148:149], -v[148:149], v[152:153], v[154:155]
	s_delay_alu instid0(VALU_DEP_1) | instskip(NEXT) | instid1(VALU_DEP_1)
	v_div_fmas_f64 v[148:149], v[148:149], v[150:151], v[152:153]
	v_div_fixup_f64 v[148:149], v[148:149], v[146:147], v[144:145]
	s_delay_alu instid0(VALU_DEP_1) | instskip(NEXT) | instid1(VALU_DEP_1)
	v_fma_f64 v[144:145], v[144:145], v[148:149], v[146:147]
	v_div_scale_f64 v[146:147], null, v[144:145], v[144:145], 1.0
	s_delay_alu instid0(VALU_DEP_1) | instskip(SKIP_2) | instid1(VALU_DEP_1)
	v_rcp_f64_e32 v[150:151], v[146:147]
	s_waitcnt_depctr 0xfff
	v_fma_f64 v[152:153], -v[146:147], v[150:151], 1.0
	v_fma_f64 v[150:151], v[150:151], v[152:153], v[150:151]
	s_delay_alu instid0(VALU_DEP_1) | instskip(NEXT) | instid1(VALU_DEP_1)
	v_fma_f64 v[152:153], -v[146:147], v[150:151], 1.0
	v_fma_f64 v[150:151], v[150:151], v[152:153], v[150:151]
	v_div_scale_f64 v[152:153], vcc_lo, 1.0, v[144:145], 1.0
	s_delay_alu instid0(VALU_DEP_1) | instskip(NEXT) | instid1(VALU_DEP_1)
	v_mul_f64 v[154:155], v[152:153], v[150:151]
	v_fma_f64 v[146:147], -v[146:147], v[154:155], v[152:153]
	s_delay_alu instid0(VALU_DEP_1) | instskip(NEXT) | instid1(VALU_DEP_1)
	v_div_fmas_f64 v[146:147], v[146:147], v[150:151], v[154:155]
	v_div_fixup_f64 v[150:151], v[146:147], v[144:145], 1.0
                                        ; implicit-def: $vgpr144_vgpr145
	s_delay_alu instid0(VALU_DEP_1)
	v_mul_f64 v[152:153], v[148:149], v[150:151]
	v_xor_b32_e32 v151, 0x80000000, v151
.LBB71_41:
	s_and_not1_saveexec_b32 s3, s3
	s_cbranch_execz .LBB71_43
; %bb.42:
	v_div_scale_f64 v[148:149], null, v[144:145], v[144:145], v[146:147]
	v_div_scale_f64 v[154:155], vcc_lo, v[146:147], v[144:145], v[146:147]
	s_delay_alu instid0(VALU_DEP_2) | instskip(SKIP_2) | instid1(VALU_DEP_1)
	v_rcp_f64_e32 v[150:151], v[148:149]
	s_waitcnt_depctr 0xfff
	v_fma_f64 v[152:153], -v[148:149], v[150:151], 1.0
	v_fma_f64 v[150:151], v[150:151], v[152:153], v[150:151]
	s_delay_alu instid0(VALU_DEP_1) | instskip(NEXT) | instid1(VALU_DEP_1)
	v_fma_f64 v[152:153], -v[148:149], v[150:151], 1.0
	v_fma_f64 v[150:151], v[150:151], v[152:153], v[150:151]
	s_delay_alu instid0(VALU_DEP_1) | instskip(NEXT) | instid1(VALU_DEP_1)
	v_mul_f64 v[152:153], v[154:155], v[150:151]
	v_fma_f64 v[148:149], -v[148:149], v[152:153], v[154:155]
	s_delay_alu instid0(VALU_DEP_1) | instskip(NEXT) | instid1(VALU_DEP_1)
	v_div_fmas_f64 v[148:149], v[148:149], v[150:151], v[152:153]
	v_div_fixup_f64 v[148:149], v[148:149], v[144:145], v[146:147]
	s_delay_alu instid0(VALU_DEP_1) | instskip(NEXT) | instid1(VALU_DEP_1)
	v_fma_f64 v[144:145], v[146:147], v[148:149], v[144:145]
	v_div_scale_f64 v[146:147], null, v[144:145], v[144:145], 1.0
	s_delay_alu instid0(VALU_DEP_1) | instskip(SKIP_2) | instid1(VALU_DEP_1)
	v_rcp_f64_e32 v[150:151], v[146:147]
	s_waitcnt_depctr 0xfff
	v_fma_f64 v[152:153], -v[146:147], v[150:151], 1.0
	v_fma_f64 v[150:151], v[150:151], v[152:153], v[150:151]
	s_delay_alu instid0(VALU_DEP_1) | instskip(NEXT) | instid1(VALU_DEP_1)
	v_fma_f64 v[152:153], -v[146:147], v[150:151], 1.0
	v_fma_f64 v[150:151], v[150:151], v[152:153], v[150:151]
	v_div_scale_f64 v[152:153], vcc_lo, 1.0, v[144:145], 1.0
	s_delay_alu instid0(VALU_DEP_1) | instskip(NEXT) | instid1(VALU_DEP_1)
	v_mul_f64 v[154:155], v[152:153], v[150:151]
	v_fma_f64 v[146:147], -v[146:147], v[154:155], v[152:153]
	s_delay_alu instid0(VALU_DEP_1) | instskip(NEXT) | instid1(VALU_DEP_1)
	v_div_fmas_f64 v[146:147], v[146:147], v[150:151], v[154:155]
	v_div_fixup_f64 v[152:153], v[146:147], v[144:145], 1.0
	s_delay_alu instid0(VALU_DEP_1)
	v_mul_f64 v[150:151], v[148:149], -v[152:153]
.LBB71_43:
	s_or_b32 exec_lo, exec_lo, s3
	ds_store_2addr_b64 v183, v[152:153], v[150:151] offset1:1
.LBB71_44:
	s_or_b32 exec_lo, exec_lo, s4
	s_waitcnt lgkmcnt(0)
	s_barrier
	buffer_gl0_inv
	ds_load_2addr_b64 v[144:147], v183 offset1:1
	s_mov_b32 s3, exec_lo
	s_waitcnt lgkmcnt(0)
	scratch_store_b128 off, v[144:147], off offset:80 ; 16-byte Folded Spill
	v_cmpx_lt_u32_e32 4, v182
	s_cbranch_execz .LBB71_46
; %bb.45:
	scratch_load_b128 v[146:149], off, off offset:80 ; 16-byte Folded Reload
	s_waitcnt vmcnt(0)
	v_mul_f64 v[144:145], v[148:149], v[126:127]
	v_mul_f64 v[126:127], v[146:147], v[126:127]
	s_delay_alu instid0(VALU_DEP_2) | instskip(NEXT) | instid1(VALU_DEP_2)
	v_fma_f64 v[144:145], v[146:147], v[124:125], -v[144:145]
	v_fma_f64 v[126:127], v[148:149], v[124:125], v[126:127]
	ds_load_2addr_b64 v[146:149], v178 offset0:10 offset1:11
	s_waitcnt lgkmcnt(0)
	v_mul_f64 v[124:125], v[148:149], v[126:127]
	s_delay_alu instid0(VALU_DEP_1) | instskip(SKIP_1) | instid1(VALU_DEP_2)
	v_fma_f64 v[124:125], v[146:147], v[144:145], -v[124:125]
	v_mul_f64 v[146:147], v[146:147], v[126:127]
	v_add_f64 v[120:121], v[120:121], -v[124:125]
	s_delay_alu instid0(VALU_DEP_2) | instskip(NEXT) | instid1(VALU_DEP_1)
	v_fma_f64 v[146:147], v[148:149], v[144:145], v[146:147]
	v_add_f64 v[122:123], v[122:123], -v[146:147]
	ds_load_2addr_b64 v[146:149], v178 offset0:12 offset1:13
	s_waitcnt lgkmcnt(0)
	v_mul_f64 v[124:125], v[148:149], v[126:127]
	s_delay_alu instid0(VALU_DEP_1) | instskip(SKIP_1) | instid1(VALU_DEP_2)
	v_fma_f64 v[124:125], v[146:147], v[144:145], -v[124:125]
	v_mul_f64 v[146:147], v[146:147], v[126:127]
	v_add_f64 v[116:117], v[116:117], -v[124:125]
	s_delay_alu instid0(VALU_DEP_2) | instskip(NEXT) | instid1(VALU_DEP_1)
	v_fma_f64 v[146:147], v[148:149], v[144:145], v[146:147]
	v_add_f64 v[118:119], v[118:119], -v[146:147]
	;; [unrolled: 10-line block ×30, first 2 shown]
	ds_load_2addr_b64 v[146:149], v178 offset0:70 offset1:71
	s_waitcnt lgkmcnt(0)
	v_mul_f64 v[124:125], v[148:149], v[126:127]
	s_delay_alu instid0(VALU_DEP_1) | instskip(SKIP_1) | instid1(VALU_DEP_2)
	v_fma_f64 v[124:125], v[146:147], v[144:145], -v[124:125]
	v_mul_f64 v[146:147], v[146:147], v[126:127]
	v_add_f64 v[0:1], v[0:1], -v[124:125]
	s_delay_alu instid0(VALU_DEP_2) | instskip(SKIP_1) | instid1(VALU_DEP_2)
	v_fma_f64 v[146:147], v[148:149], v[144:145], v[146:147]
	v_dual_mov_b32 v124, v144 :: v_dual_mov_b32 v125, v145
	v_add_f64 v[2:3], v[2:3], -v[146:147]
.LBB71_46:
	s_or_b32 exec_lo, exec_lo, s3
	s_delay_alu instid0(SALU_CYCLE_1)
	s_mov_b32 s4, exec_lo
	s_waitcnt_vscnt null, 0x0
	s_barrier
	buffer_gl0_inv
	v_cmpx_eq_u32_e32 5, v182
	s_cbranch_execz .LBB71_53
; %bb.47:
	ds_store_2addr_b64 v183, v[120:121], v[122:123] offset1:1
	ds_store_2addr_b64 v178, v[116:117], v[118:119] offset0:12 offset1:13
	ds_store_2addr_b64 v178, v[112:113], v[114:115] offset0:14 offset1:15
	;; [unrolled: 1-line block ×30, first 2 shown]
	ds_load_2addr_b64 v[144:147], v183 offset1:1
	s_waitcnt lgkmcnt(0)
	v_cmp_neq_f64_e32 vcc_lo, 0, v[144:145]
	v_cmp_neq_f64_e64 s3, 0, v[146:147]
	s_delay_alu instid0(VALU_DEP_1) | instskip(NEXT) | instid1(SALU_CYCLE_1)
	s_or_b32 s3, vcc_lo, s3
	s_and_b32 exec_lo, exec_lo, s3
	s_cbranch_execz .LBB71_53
; %bb.48:
	v_cmp_gt_f64_e32 vcc_lo, 0, v[144:145]
	v_cmp_gt_f64_e64 s3, 0, v[146:147]
	v_xor_b32_e32 v148, 0x80000000, v145
	v_xor_b32_e32 v150, 0x80000000, v147
                                        ; implicit-def: $vgpr152_vgpr153
	s_delay_alu instid0(VALU_DEP_2) | instskip(NEXT) | instid1(VALU_DEP_2)
	v_cndmask_b32_e32 v149, v145, v148, vcc_lo
	v_cndmask_b32_e64 v151, v147, v150, s3
	v_cndmask_b32_e32 v148, v144, v144, vcc_lo
	v_cndmask_b32_e64 v150, v146, v146, s3
	s_mov_b32 s3, exec_lo
	s_delay_alu instid0(VALU_DEP_1)
	v_cmpx_ngt_f64_e32 v[148:149], v[150:151]
	s_xor_b32 s3, exec_lo, s3
                                        ; implicit-def: $vgpr148_vgpr149_vgpr150_vgpr151
	s_cbranch_execz .LBB71_50
; %bb.49:
	v_div_scale_f64 v[148:149], null, v[146:147], v[146:147], v[144:145]
	v_div_scale_f64 v[154:155], vcc_lo, v[144:145], v[146:147], v[144:145]
	s_delay_alu instid0(VALU_DEP_2) | instskip(SKIP_2) | instid1(VALU_DEP_1)
	v_rcp_f64_e32 v[150:151], v[148:149]
	s_waitcnt_depctr 0xfff
	v_fma_f64 v[152:153], -v[148:149], v[150:151], 1.0
	v_fma_f64 v[150:151], v[150:151], v[152:153], v[150:151]
	s_delay_alu instid0(VALU_DEP_1) | instskip(NEXT) | instid1(VALU_DEP_1)
	v_fma_f64 v[152:153], -v[148:149], v[150:151], 1.0
	v_fma_f64 v[150:151], v[150:151], v[152:153], v[150:151]
	s_delay_alu instid0(VALU_DEP_1) | instskip(NEXT) | instid1(VALU_DEP_1)
	v_mul_f64 v[152:153], v[154:155], v[150:151]
	v_fma_f64 v[148:149], -v[148:149], v[152:153], v[154:155]
	s_delay_alu instid0(VALU_DEP_1) | instskip(NEXT) | instid1(VALU_DEP_1)
	v_div_fmas_f64 v[148:149], v[148:149], v[150:151], v[152:153]
	v_div_fixup_f64 v[148:149], v[148:149], v[146:147], v[144:145]
	s_delay_alu instid0(VALU_DEP_1) | instskip(NEXT) | instid1(VALU_DEP_1)
	v_fma_f64 v[144:145], v[144:145], v[148:149], v[146:147]
	v_div_scale_f64 v[146:147], null, v[144:145], v[144:145], 1.0
	s_delay_alu instid0(VALU_DEP_1) | instskip(SKIP_2) | instid1(VALU_DEP_1)
	v_rcp_f64_e32 v[150:151], v[146:147]
	s_waitcnt_depctr 0xfff
	v_fma_f64 v[152:153], -v[146:147], v[150:151], 1.0
	v_fma_f64 v[150:151], v[150:151], v[152:153], v[150:151]
	s_delay_alu instid0(VALU_DEP_1) | instskip(NEXT) | instid1(VALU_DEP_1)
	v_fma_f64 v[152:153], -v[146:147], v[150:151], 1.0
	v_fma_f64 v[150:151], v[150:151], v[152:153], v[150:151]
	v_div_scale_f64 v[152:153], vcc_lo, 1.0, v[144:145], 1.0
	s_delay_alu instid0(VALU_DEP_1) | instskip(NEXT) | instid1(VALU_DEP_1)
	v_mul_f64 v[154:155], v[152:153], v[150:151]
	v_fma_f64 v[146:147], -v[146:147], v[154:155], v[152:153]
	s_delay_alu instid0(VALU_DEP_1) | instskip(NEXT) | instid1(VALU_DEP_1)
	v_div_fmas_f64 v[146:147], v[146:147], v[150:151], v[154:155]
	v_div_fixup_f64 v[150:151], v[146:147], v[144:145], 1.0
                                        ; implicit-def: $vgpr144_vgpr145
	s_delay_alu instid0(VALU_DEP_1)
	v_mul_f64 v[152:153], v[148:149], v[150:151]
	v_xor_b32_e32 v151, 0x80000000, v151
.LBB71_50:
	s_and_not1_saveexec_b32 s3, s3
	s_cbranch_execz .LBB71_52
; %bb.51:
	v_div_scale_f64 v[148:149], null, v[144:145], v[144:145], v[146:147]
	v_div_scale_f64 v[154:155], vcc_lo, v[146:147], v[144:145], v[146:147]
	s_delay_alu instid0(VALU_DEP_2) | instskip(SKIP_2) | instid1(VALU_DEP_1)
	v_rcp_f64_e32 v[150:151], v[148:149]
	s_waitcnt_depctr 0xfff
	v_fma_f64 v[152:153], -v[148:149], v[150:151], 1.0
	v_fma_f64 v[150:151], v[150:151], v[152:153], v[150:151]
	s_delay_alu instid0(VALU_DEP_1) | instskip(NEXT) | instid1(VALU_DEP_1)
	v_fma_f64 v[152:153], -v[148:149], v[150:151], 1.0
	v_fma_f64 v[150:151], v[150:151], v[152:153], v[150:151]
	s_delay_alu instid0(VALU_DEP_1) | instskip(NEXT) | instid1(VALU_DEP_1)
	v_mul_f64 v[152:153], v[154:155], v[150:151]
	v_fma_f64 v[148:149], -v[148:149], v[152:153], v[154:155]
	s_delay_alu instid0(VALU_DEP_1) | instskip(NEXT) | instid1(VALU_DEP_1)
	v_div_fmas_f64 v[148:149], v[148:149], v[150:151], v[152:153]
	v_div_fixup_f64 v[148:149], v[148:149], v[144:145], v[146:147]
	s_delay_alu instid0(VALU_DEP_1) | instskip(NEXT) | instid1(VALU_DEP_1)
	v_fma_f64 v[144:145], v[146:147], v[148:149], v[144:145]
	v_div_scale_f64 v[146:147], null, v[144:145], v[144:145], 1.0
	s_delay_alu instid0(VALU_DEP_1) | instskip(SKIP_2) | instid1(VALU_DEP_1)
	v_rcp_f64_e32 v[150:151], v[146:147]
	s_waitcnt_depctr 0xfff
	v_fma_f64 v[152:153], -v[146:147], v[150:151], 1.0
	v_fma_f64 v[150:151], v[150:151], v[152:153], v[150:151]
	s_delay_alu instid0(VALU_DEP_1) | instskip(NEXT) | instid1(VALU_DEP_1)
	v_fma_f64 v[152:153], -v[146:147], v[150:151], 1.0
	v_fma_f64 v[150:151], v[150:151], v[152:153], v[150:151]
	v_div_scale_f64 v[152:153], vcc_lo, 1.0, v[144:145], 1.0
	s_delay_alu instid0(VALU_DEP_1) | instskip(NEXT) | instid1(VALU_DEP_1)
	v_mul_f64 v[154:155], v[152:153], v[150:151]
	v_fma_f64 v[146:147], -v[146:147], v[154:155], v[152:153]
	s_delay_alu instid0(VALU_DEP_1) | instskip(NEXT) | instid1(VALU_DEP_1)
	v_div_fmas_f64 v[146:147], v[146:147], v[150:151], v[154:155]
	v_div_fixup_f64 v[152:153], v[146:147], v[144:145], 1.0
	s_delay_alu instid0(VALU_DEP_1)
	v_mul_f64 v[150:151], v[148:149], -v[152:153]
.LBB71_52:
	s_or_b32 exec_lo, exec_lo, s3
	ds_store_2addr_b64 v183, v[152:153], v[150:151] offset1:1
.LBB71_53:
	s_or_b32 exec_lo, exec_lo, s4
	s_waitcnt lgkmcnt(0)
	s_barrier
	buffer_gl0_inv
	ds_load_2addr_b64 v[144:147], v183 offset1:1
	s_mov_b32 s3, exec_lo
	s_waitcnt lgkmcnt(0)
	scratch_store_b128 off, v[144:147], off offset:96 ; 16-byte Folded Spill
	v_cmpx_lt_u32_e32 5, v182
	s_cbranch_execz .LBB71_55
; %bb.54:
	scratch_load_b128 v[146:149], off, off offset:96 ; 16-byte Folded Reload
	s_waitcnt vmcnt(0)
	v_mul_f64 v[144:145], v[148:149], v[122:123]
	v_mul_f64 v[122:123], v[146:147], v[122:123]
	s_delay_alu instid0(VALU_DEP_2) | instskip(NEXT) | instid1(VALU_DEP_2)
	v_fma_f64 v[144:145], v[146:147], v[120:121], -v[144:145]
	v_fma_f64 v[122:123], v[148:149], v[120:121], v[122:123]
	ds_load_2addr_b64 v[146:149], v178 offset0:12 offset1:13
	s_waitcnt lgkmcnt(0)
	v_mul_f64 v[120:121], v[148:149], v[122:123]
	s_delay_alu instid0(VALU_DEP_1) | instskip(SKIP_1) | instid1(VALU_DEP_2)
	v_fma_f64 v[120:121], v[146:147], v[144:145], -v[120:121]
	v_mul_f64 v[146:147], v[146:147], v[122:123]
	v_add_f64 v[116:117], v[116:117], -v[120:121]
	s_delay_alu instid0(VALU_DEP_2) | instskip(NEXT) | instid1(VALU_DEP_1)
	v_fma_f64 v[146:147], v[148:149], v[144:145], v[146:147]
	v_add_f64 v[118:119], v[118:119], -v[146:147]
	ds_load_2addr_b64 v[146:149], v178 offset0:14 offset1:15
	s_waitcnt lgkmcnt(0)
	v_mul_f64 v[120:121], v[148:149], v[122:123]
	s_delay_alu instid0(VALU_DEP_1) | instskip(SKIP_1) | instid1(VALU_DEP_2)
	v_fma_f64 v[120:121], v[146:147], v[144:145], -v[120:121]
	v_mul_f64 v[146:147], v[146:147], v[122:123]
	v_add_f64 v[112:113], v[112:113], -v[120:121]
	s_delay_alu instid0(VALU_DEP_2) | instskip(NEXT) | instid1(VALU_DEP_1)
	v_fma_f64 v[146:147], v[148:149], v[144:145], v[146:147]
	v_add_f64 v[114:115], v[114:115], -v[146:147]
	;; [unrolled: 10-line block ×29, first 2 shown]
	ds_load_2addr_b64 v[146:149], v178 offset0:70 offset1:71
	s_waitcnt lgkmcnt(0)
	v_mul_f64 v[120:121], v[148:149], v[122:123]
	s_delay_alu instid0(VALU_DEP_1) | instskip(SKIP_1) | instid1(VALU_DEP_2)
	v_fma_f64 v[120:121], v[146:147], v[144:145], -v[120:121]
	v_mul_f64 v[146:147], v[146:147], v[122:123]
	v_add_f64 v[0:1], v[0:1], -v[120:121]
	s_delay_alu instid0(VALU_DEP_2) | instskip(SKIP_1) | instid1(VALU_DEP_2)
	v_fma_f64 v[146:147], v[148:149], v[144:145], v[146:147]
	v_dual_mov_b32 v120, v144 :: v_dual_mov_b32 v121, v145
	v_add_f64 v[2:3], v[2:3], -v[146:147]
.LBB71_55:
	s_or_b32 exec_lo, exec_lo, s3
	s_delay_alu instid0(SALU_CYCLE_1)
	s_mov_b32 s4, exec_lo
	s_waitcnt_vscnt null, 0x0
	s_barrier
	buffer_gl0_inv
	v_cmpx_eq_u32_e32 6, v182
	s_cbranch_execz .LBB71_62
; %bb.56:
	ds_store_2addr_b64 v183, v[116:117], v[118:119] offset1:1
	ds_store_2addr_b64 v178, v[112:113], v[114:115] offset0:14 offset1:15
	ds_store_2addr_b64 v178, v[108:109], v[110:111] offset0:16 offset1:17
	;; [unrolled: 1-line block ×29, first 2 shown]
	ds_load_2addr_b64 v[144:147], v183 offset1:1
	s_waitcnt lgkmcnt(0)
	v_cmp_neq_f64_e32 vcc_lo, 0, v[144:145]
	v_cmp_neq_f64_e64 s3, 0, v[146:147]
	s_delay_alu instid0(VALU_DEP_1) | instskip(NEXT) | instid1(SALU_CYCLE_1)
	s_or_b32 s3, vcc_lo, s3
	s_and_b32 exec_lo, exec_lo, s3
	s_cbranch_execz .LBB71_62
; %bb.57:
	v_cmp_gt_f64_e32 vcc_lo, 0, v[144:145]
	v_cmp_gt_f64_e64 s3, 0, v[146:147]
	v_xor_b32_e32 v148, 0x80000000, v145
	v_xor_b32_e32 v150, 0x80000000, v147
                                        ; implicit-def: $vgpr152_vgpr153
	s_delay_alu instid0(VALU_DEP_2) | instskip(NEXT) | instid1(VALU_DEP_2)
	v_cndmask_b32_e32 v149, v145, v148, vcc_lo
	v_cndmask_b32_e64 v151, v147, v150, s3
	v_cndmask_b32_e32 v148, v144, v144, vcc_lo
	v_cndmask_b32_e64 v150, v146, v146, s3
	s_mov_b32 s3, exec_lo
	s_delay_alu instid0(VALU_DEP_1)
	v_cmpx_ngt_f64_e32 v[148:149], v[150:151]
	s_xor_b32 s3, exec_lo, s3
                                        ; implicit-def: $vgpr148_vgpr149_vgpr150_vgpr151
	s_cbranch_execz .LBB71_59
; %bb.58:
	v_div_scale_f64 v[148:149], null, v[146:147], v[146:147], v[144:145]
	v_div_scale_f64 v[154:155], vcc_lo, v[144:145], v[146:147], v[144:145]
	s_delay_alu instid0(VALU_DEP_2) | instskip(SKIP_2) | instid1(VALU_DEP_1)
	v_rcp_f64_e32 v[150:151], v[148:149]
	s_waitcnt_depctr 0xfff
	v_fma_f64 v[152:153], -v[148:149], v[150:151], 1.0
	v_fma_f64 v[150:151], v[150:151], v[152:153], v[150:151]
	s_delay_alu instid0(VALU_DEP_1) | instskip(NEXT) | instid1(VALU_DEP_1)
	v_fma_f64 v[152:153], -v[148:149], v[150:151], 1.0
	v_fma_f64 v[150:151], v[150:151], v[152:153], v[150:151]
	s_delay_alu instid0(VALU_DEP_1) | instskip(NEXT) | instid1(VALU_DEP_1)
	v_mul_f64 v[152:153], v[154:155], v[150:151]
	v_fma_f64 v[148:149], -v[148:149], v[152:153], v[154:155]
	s_delay_alu instid0(VALU_DEP_1) | instskip(NEXT) | instid1(VALU_DEP_1)
	v_div_fmas_f64 v[148:149], v[148:149], v[150:151], v[152:153]
	v_div_fixup_f64 v[148:149], v[148:149], v[146:147], v[144:145]
	s_delay_alu instid0(VALU_DEP_1) | instskip(NEXT) | instid1(VALU_DEP_1)
	v_fma_f64 v[144:145], v[144:145], v[148:149], v[146:147]
	v_div_scale_f64 v[146:147], null, v[144:145], v[144:145], 1.0
	s_delay_alu instid0(VALU_DEP_1) | instskip(SKIP_2) | instid1(VALU_DEP_1)
	v_rcp_f64_e32 v[150:151], v[146:147]
	s_waitcnt_depctr 0xfff
	v_fma_f64 v[152:153], -v[146:147], v[150:151], 1.0
	v_fma_f64 v[150:151], v[150:151], v[152:153], v[150:151]
	s_delay_alu instid0(VALU_DEP_1) | instskip(NEXT) | instid1(VALU_DEP_1)
	v_fma_f64 v[152:153], -v[146:147], v[150:151], 1.0
	v_fma_f64 v[150:151], v[150:151], v[152:153], v[150:151]
	v_div_scale_f64 v[152:153], vcc_lo, 1.0, v[144:145], 1.0
	s_delay_alu instid0(VALU_DEP_1) | instskip(NEXT) | instid1(VALU_DEP_1)
	v_mul_f64 v[154:155], v[152:153], v[150:151]
	v_fma_f64 v[146:147], -v[146:147], v[154:155], v[152:153]
	s_delay_alu instid0(VALU_DEP_1) | instskip(NEXT) | instid1(VALU_DEP_1)
	v_div_fmas_f64 v[146:147], v[146:147], v[150:151], v[154:155]
	v_div_fixup_f64 v[150:151], v[146:147], v[144:145], 1.0
                                        ; implicit-def: $vgpr144_vgpr145
	s_delay_alu instid0(VALU_DEP_1)
	v_mul_f64 v[152:153], v[148:149], v[150:151]
	v_xor_b32_e32 v151, 0x80000000, v151
.LBB71_59:
	s_and_not1_saveexec_b32 s3, s3
	s_cbranch_execz .LBB71_61
; %bb.60:
	v_div_scale_f64 v[148:149], null, v[144:145], v[144:145], v[146:147]
	v_div_scale_f64 v[154:155], vcc_lo, v[146:147], v[144:145], v[146:147]
	s_delay_alu instid0(VALU_DEP_2) | instskip(SKIP_2) | instid1(VALU_DEP_1)
	v_rcp_f64_e32 v[150:151], v[148:149]
	s_waitcnt_depctr 0xfff
	v_fma_f64 v[152:153], -v[148:149], v[150:151], 1.0
	v_fma_f64 v[150:151], v[150:151], v[152:153], v[150:151]
	s_delay_alu instid0(VALU_DEP_1) | instskip(NEXT) | instid1(VALU_DEP_1)
	v_fma_f64 v[152:153], -v[148:149], v[150:151], 1.0
	v_fma_f64 v[150:151], v[150:151], v[152:153], v[150:151]
	s_delay_alu instid0(VALU_DEP_1) | instskip(NEXT) | instid1(VALU_DEP_1)
	v_mul_f64 v[152:153], v[154:155], v[150:151]
	v_fma_f64 v[148:149], -v[148:149], v[152:153], v[154:155]
	s_delay_alu instid0(VALU_DEP_1) | instskip(NEXT) | instid1(VALU_DEP_1)
	v_div_fmas_f64 v[148:149], v[148:149], v[150:151], v[152:153]
	v_div_fixup_f64 v[148:149], v[148:149], v[144:145], v[146:147]
	s_delay_alu instid0(VALU_DEP_1) | instskip(NEXT) | instid1(VALU_DEP_1)
	v_fma_f64 v[144:145], v[146:147], v[148:149], v[144:145]
	v_div_scale_f64 v[146:147], null, v[144:145], v[144:145], 1.0
	s_delay_alu instid0(VALU_DEP_1) | instskip(SKIP_2) | instid1(VALU_DEP_1)
	v_rcp_f64_e32 v[150:151], v[146:147]
	s_waitcnt_depctr 0xfff
	v_fma_f64 v[152:153], -v[146:147], v[150:151], 1.0
	v_fma_f64 v[150:151], v[150:151], v[152:153], v[150:151]
	s_delay_alu instid0(VALU_DEP_1) | instskip(NEXT) | instid1(VALU_DEP_1)
	v_fma_f64 v[152:153], -v[146:147], v[150:151], 1.0
	v_fma_f64 v[150:151], v[150:151], v[152:153], v[150:151]
	v_div_scale_f64 v[152:153], vcc_lo, 1.0, v[144:145], 1.0
	s_delay_alu instid0(VALU_DEP_1) | instskip(NEXT) | instid1(VALU_DEP_1)
	v_mul_f64 v[154:155], v[152:153], v[150:151]
	v_fma_f64 v[146:147], -v[146:147], v[154:155], v[152:153]
	s_delay_alu instid0(VALU_DEP_1) | instskip(NEXT) | instid1(VALU_DEP_1)
	v_div_fmas_f64 v[146:147], v[146:147], v[150:151], v[154:155]
	v_div_fixup_f64 v[152:153], v[146:147], v[144:145], 1.0
	s_delay_alu instid0(VALU_DEP_1)
	v_mul_f64 v[150:151], v[148:149], -v[152:153]
.LBB71_61:
	s_or_b32 exec_lo, exec_lo, s3
	ds_store_2addr_b64 v183, v[152:153], v[150:151] offset1:1
.LBB71_62:
	s_or_b32 exec_lo, exec_lo, s4
	s_waitcnt lgkmcnt(0)
	s_barrier
	buffer_gl0_inv
	ds_load_2addr_b64 v[144:147], v183 offset1:1
	s_mov_b32 s3, exec_lo
	s_waitcnt lgkmcnt(0)
	scratch_store_b128 off, v[144:147], off offset:112 ; 16-byte Folded Spill
	v_cmpx_lt_u32_e32 6, v182
	s_cbranch_execz .LBB71_64
; %bb.63:
	scratch_load_b128 v[146:149], off, off offset:112 ; 16-byte Folded Reload
	s_waitcnt vmcnt(0)
	v_mul_f64 v[144:145], v[148:149], v[118:119]
	v_mul_f64 v[118:119], v[146:147], v[118:119]
	s_delay_alu instid0(VALU_DEP_2) | instskip(NEXT) | instid1(VALU_DEP_2)
	v_fma_f64 v[144:145], v[146:147], v[116:117], -v[144:145]
	v_fma_f64 v[118:119], v[148:149], v[116:117], v[118:119]
	ds_load_2addr_b64 v[146:149], v178 offset0:14 offset1:15
	s_waitcnt lgkmcnt(0)
	v_mul_f64 v[116:117], v[148:149], v[118:119]
	s_delay_alu instid0(VALU_DEP_1) | instskip(SKIP_1) | instid1(VALU_DEP_2)
	v_fma_f64 v[116:117], v[146:147], v[144:145], -v[116:117]
	v_mul_f64 v[146:147], v[146:147], v[118:119]
	v_add_f64 v[112:113], v[112:113], -v[116:117]
	s_delay_alu instid0(VALU_DEP_2) | instskip(NEXT) | instid1(VALU_DEP_1)
	v_fma_f64 v[146:147], v[148:149], v[144:145], v[146:147]
	v_add_f64 v[114:115], v[114:115], -v[146:147]
	ds_load_2addr_b64 v[146:149], v178 offset0:16 offset1:17
	s_waitcnt lgkmcnt(0)
	v_mul_f64 v[116:117], v[148:149], v[118:119]
	s_delay_alu instid0(VALU_DEP_1) | instskip(SKIP_1) | instid1(VALU_DEP_2)
	v_fma_f64 v[116:117], v[146:147], v[144:145], -v[116:117]
	v_mul_f64 v[146:147], v[146:147], v[118:119]
	v_add_f64 v[108:109], v[108:109], -v[116:117]
	s_delay_alu instid0(VALU_DEP_2) | instskip(NEXT) | instid1(VALU_DEP_1)
	v_fma_f64 v[146:147], v[148:149], v[144:145], v[146:147]
	v_add_f64 v[110:111], v[110:111], -v[146:147]
	;; [unrolled: 10-line block ×28, first 2 shown]
	ds_load_2addr_b64 v[146:149], v178 offset0:70 offset1:71
	s_waitcnt lgkmcnt(0)
	v_mul_f64 v[116:117], v[148:149], v[118:119]
	s_delay_alu instid0(VALU_DEP_1) | instskip(SKIP_1) | instid1(VALU_DEP_2)
	v_fma_f64 v[116:117], v[146:147], v[144:145], -v[116:117]
	v_mul_f64 v[146:147], v[146:147], v[118:119]
	v_add_f64 v[0:1], v[0:1], -v[116:117]
	s_delay_alu instid0(VALU_DEP_2) | instskip(SKIP_1) | instid1(VALU_DEP_2)
	v_fma_f64 v[146:147], v[148:149], v[144:145], v[146:147]
	v_dual_mov_b32 v116, v144 :: v_dual_mov_b32 v117, v145
	v_add_f64 v[2:3], v[2:3], -v[146:147]
.LBB71_64:
	s_or_b32 exec_lo, exec_lo, s3
	s_delay_alu instid0(SALU_CYCLE_1)
	s_mov_b32 s4, exec_lo
	s_waitcnt_vscnt null, 0x0
	s_barrier
	buffer_gl0_inv
	v_cmpx_eq_u32_e32 7, v182
	s_cbranch_execz .LBB71_71
; %bb.65:
	ds_store_2addr_b64 v183, v[112:113], v[114:115] offset1:1
	ds_store_2addr_b64 v178, v[108:109], v[110:111] offset0:16 offset1:17
	ds_store_2addr_b64 v178, v[104:105], v[106:107] offset0:18 offset1:19
	;; [unrolled: 1-line block ×28, first 2 shown]
	ds_load_2addr_b64 v[144:147], v183 offset1:1
	s_waitcnt lgkmcnt(0)
	v_cmp_neq_f64_e32 vcc_lo, 0, v[144:145]
	v_cmp_neq_f64_e64 s3, 0, v[146:147]
	s_delay_alu instid0(VALU_DEP_1) | instskip(NEXT) | instid1(SALU_CYCLE_1)
	s_or_b32 s3, vcc_lo, s3
	s_and_b32 exec_lo, exec_lo, s3
	s_cbranch_execz .LBB71_71
; %bb.66:
	v_cmp_gt_f64_e32 vcc_lo, 0, v[144:145]
	v_xor_b32_e32 v148, 0x80000000, v145
	v_xor_b32_e32 v150, 0x80000000, v147
	s_mov_b32 s3, exec_lo
                                        ; implicit-def: $vgpr152_vgpr153
	s_delay_alu instid0(VALU_DEP_2) | instskip(SKIP_4) | instid1(VALU_DEP_1)
	v_cndmask_b32_e32 v149, v145, v148, vcc_lo
	v_cndmask_b32_e32 v148, v144, v144, vcc_lo
	v_cmp_gt_f64_e32 vcc_lo, 0, v[146:147]
	v_cndmask_b32_e32 v151, v147, v150, vcc_lo
	v_cndmask_b32_e32 v150, v146, v146, vcc_lo
	v_cmpx_ngt_f64_e32 v[148:149], v[150:151]
	s_xor_b32 s3, exec_lo, s3
                                        ; implicit-def: $vgpr148_vgpr149_vgpr150_vgpr151
	s_cbranch_execz .LBB71_68
; %bb.67:
	v_div_scale_f64 v[148:149], null, v[146:147], v[146:147], v[144:145]
	v_div_scale_f64 v[154:155], vcc_lo, v[144:145], v[146:147], v[144:145]
	s_delay_alu instid0(VALU_DEP_2) | instskip(SKIP_2) | instid1(VALU_DEP_1)
	v_rcp_f64_e32 v[150:151], v[148:149]
	s_waitcnt_depctr 0xfff
	v_fma_f64 v[152:153], -v[148:149], v[150:151], 1.0
	v_fma_f64 v[150:151], v[150:151], v[152:153], v[150:151]
	s_delay_alu instid0(VALU_DEP_1) | instskip(NEXT) | instid1(VALU_DEP_1)
	v_fma_f64 v[152:153], -v[148:149], v[150:151], 1.0
	v_fma_f64 v[150:151], v[150:151], v[152:153], v[150:151]
	s_delay_alu instid0(VALU_DEP_1) | instskip(NEXT) | instid1(VALU_DEP_1)
	v_mul_f64 v[152:153], v[154:155], v[150:151]
	v_fma_f64 v[148:149], -v[148:149], v[152:153], v[154:155]
	s_delay_alu instid0(VALU_DEP_1) | instskip(NEXT) | instid1(VALU_DEP_1)
	v_div_fmas_f64 v[148:149], v[148:149], v[150:151], v[152:153]
	v_div_fixup_f64 v[148:149], v[148:149], v[146:147], v[144:145]
	s_delay_alu instid0(VALU_DEP_1) | instskip(NEXT) | instid1(VALU_DEP_1)
	v_fma_f64 v[144:145], v[144:145], v[148:149], v[146:147]
	v_div_scale_f64 v[146:147], null, v[144:145], v[144:145], 1.0
	s_delay_alu instid0(VALU_DEP_1) | instskip(SKIP_2) | instid1(VALU_DEP_1)
	v_rcp_f64_e32 v[150:151], v[146:147]
	s_waitcnt_depctr 0xfff
	v_fma_f64 v[152:153], -v[146:147], v[150:151], 1.0
	v_fma_f64 v[150:151], v[150:151], v[152:153], v[150:151]
	s_delay_alu instid0(VALU_DEP_1) | instskip(NEXT) | instid1(VALU_DEP_1)
	v_fma_f64 v[152:153], -v[146:147], v[150:151], 1.0
	v_fma_f64 v[150:151], v[150:151], v[152:153], v[150:151]
	v_div_scale_f64 v[152:153], vcc_lo, 1.0, v[144:145], 1.0
	s_delay_alu instid0(VALU_DEP_1) | instskip(NEXT) | instid1(VALU_DEP_1)
	v_mul_f64 v[154:155], v[152:153], v[150:151]
	v_fma_f64 v[146:147], -v[146:147], v[154:155], v[152:153]
	s_delay_alu instid0(VALU_DEP_1) | instskip(NEXT) | instid1(VALU_DEP_1)
	v_div_fmas_f64 v[146:147], v[146:147], v[150:151], v[154:155]
	v_div_fixup_f64 v[150:151], v[146:147], v[144:145], 1.0
                                        ; implicit-def: $vgpr144_vgpr145
	s_delay_alu instid0(VALU_DEP_1)
	v_mul_f64 v[152:153], v[148:149], v[150:151]
	v_xor_b32_e32 v151, 0x80000000, v151
.LBB71_68:
	s_and_not1_saveexec_b32 s3, s3
	s_cbranch_execz .LBB71_70
; %bb.69:
	v_div_scale_f64 v[148:149], null, v[144:145], v[144:145], v[146:147]
	v_div_scale_f64 v[154:155], vcc_lo, v[146:147], v[144:145], v[146:147]
	s_delay_alu instid0(VALU_DEP_2) | instskip(SKIP_2) | instid1(VALU_DEP_1)
	v_rcp_f64_e32 v[150:151], v[148:149]
	s_waitcnt_depctr 0xfff
	v_fma_f64 v[152:153], -v[148:149], v[150:151], 1.0
	v_fma_f64 v[150:151], v[150:151], v[152:153], v[150:151]
	s_delay_alu instid0(VALU_DEP_1) | instskip(NEXT) | instid1(VALU_DEP_1)
	v_fma_f64 v[152:153], -v[148:149], v[150:151], 1.0
	v_fma_f64 v[150:151], v[150:151], v[152:153], v[150:151]
	s_delay_alu instid0(VALU_DEP_1) | instskip(NEXT) | instid1(VALU_DEP_1)
	v_mul_f64 v[152:153], v[154:155], v[150:151]
	v_fma_f64 v[148:149], -v[148:149], v[152:153], v[154:155]
	s_delay_alu instid0(VALU_DEP_1) | instskip(NEXT) | instid1(VALU_DEP_1)
	v_div_fmas_f64 v[148:149], v[148:149], v[150:151], v[152:153]
	v_div_fixup_f64 v[148:149], v[148:149], v[144:145], v[146:147]
	s_delay_alu instid0(VALU_DEP_1) | instskip(NEXT) | instid1(VALU_DEP_1)
	v_fma_f64 v[144:145], v[146:147], v[148:149], v[144:145]
	v_div_scale_f64 v[146:147], null, v[144:145], v[144:145], 1.0
	s_delay_alu instid0(VALU_DEP_1) | instskip(SKIP_2) | instid1(VALU_DEP_1)
	v_rcp_f64_e32 v[150:151], v[146:147]
	s_waitcnt_depctr 0xfff
	v_fma_f64 v[152:153], -v[146:147], v[150:151], 1.0
	v_fma_f64 v[150:151], v[150:151], v[152:153], v[150:151]
	s_delay_alu instid0(VALU_DEP_1) | instskip(NEXT) | instid1(VALU_DEP_1)
	v_fma_f64 v[152:153], -v[146:147], v[150:151], 1.0
	v_fma_f64 v[150:151], v[150:151], v[152:153], v[150:151]
	v_div_scale_f64 v[152:153], vcc_lo, 1.0, v[144:145], 1.0
	s_delay_alu instid0(VALU_DEP_1) | instskip(NEXT) | instid1(VALU_DEP_1)
	v_mul_f64 v[154:155], v[152:153], v[150:151]
	v_fma_f64 v[146:147], -v[146:147], v[154:155], v[152:153]
	s_delay_alu instid0(VALU_DEP_1) | instskip(NEXT) | instid1(VALU_DEP_1)
	v_div_fmas_f64 v[146:147], v[146:147], v[150:151], v[154:155]
	v_div_fixup_f64 v[152:153], v[146:147], v[144:145], 1.0
	s_delay_alu instid0(VALU_DEP_1)
	v_mul_f64 v[150:151], v[148:149], -v[152:153]
.LBB71_70:
	s_or_b32 exec_lo, exec_lo, s3
	ds_store_2addr_b64 v183, v[152:153], v[150:151] offset1:1
.LBB71_71:
	s_or_b32 exec_lo, exec_lo, s4
	s_waitcnt lgkmcnt(0)
	s_barrier
	buffer_gl0_inv
	ds_load_2addr_b64 v[144:147], v183 offset1:1
	s_mov_b32 s3, exec_lo
	s_waitcnt lgkmcnt(0)
	scratch_store_b128 off, v[144:147], off offset:128 ; 16-byte Folded Spill
	v_cmpx_lt_u32_e32 7, v182
	s_cbranch_execz .LBB71_73
; %bb.72:
	scratch_load_b128 v[146:149], off, off offset:128 ; 16-byte Folded Reload
	s_waitcnt vmcnt(0)
	v_mul_f64 v[144:145], v[148:149], v[114:115]
	v_mul_f64 v[114:115], v[146:147], v[114:115]
	s_delay_alu instid0(VALU_DEP_2) | instskip(NEXT) | instid1(VALU_DEP_2)
	v_fma_f64 v[144:145], v[146:147], v[112:113], -v[144:145]
	v_fma_f64 v[114:115], v[148:149], v[112:113], v[114:115]
	ds_load_2addr_b64 v[146:149], v178 offset0:16 offset1:17
	s_waitcnt lgkmcnt(0)
	v_mul_f64 v[112:113], v[148:149], v[114:115]
	s_delay_alu instid0(VALU_DEP_1) | instskip(SKIP_1) | instid1(VALU_DEP_2)
	v_fma_f64 v[112:113], v[146:147], v[144:145], -v[112:113]
	v_mul_f64 v[146:147], v[146:147], v[114:115]
	v_add_f64 v[108:109], v[108:109], -v[112:113]
	s_delay_alu instid0(VALU_DEP_2) | instskip(NEXT) | instid1(VALU_DEP_1)
	v_fma_f64 v[146:147], v[148:149], v[144:145], v[146:147]
	v_add_f64 v[110:111], v[110:111], -v[146:147]
	ds_load_2addr_b64 v[146:149], v178 offset0:18 offset1:19
	s_waitcnt lgkmcnt(0)
	v_mul_f64 v[112:113], v[148:149], v[114:115]
	s_delay_alu instid0(VALU_DEP_1) | instskip(SKIP_1) | instid1(VALU_DEP_2)
	v_fma_f64 v[112:113], v[146:147], v[144:145], -v[112:113]
	v_mul_f64 v[146:147], v[146:147], v[114:115]
	v_add_f64 v[104:105], v[104:105], -v[112:113]
	s_delay_alu instid0(VALU_DEP_2) | instskip(NEXT) | instid1(VALU_DEP_1)
	v_fma_f64 v[146:147], v[148:149], v[144:145], v[146:147]
	v_add_f64 v[106:107], v[106:107], -v[146:147]
	;; [unrolled: 10-line block ×27, first 2 shown]
	ds_load_2addr_b64 v[146:149], v178 offset0:70 offset1:71
	s_waitcnt lgkmcnt(0)
	v_mul_f64 v[112:113], v[148:149], v[114:115]
	s_delay_alu instid0(VALU_DEP_1) | instskip(SKIP_1) | instid1(VALU_DEP_2)
	v_fma_f64 v[112:113], v[146:147], v[144:145], -v[112:113]
	v_mul_f64 v[146:147], v[146:147], v[114:115]
	v_add_f64 v[0:1], v[0:1], -v[112:113]
	s_delay_alu instid0(VALU_DEP_2) | instskip(SKIP_1) | instid1(VALU_DEP_2)
	v_fma_f64 v[146:147], v[148:149], v[144:145], v[146:147]
	v_dual_mov_b32 v112, v144 :: v_dual_mov_b32 v113, v145
	v_add_f64 v[2:3], v[2:3], -v[146:147]
.LBB71_73:
	s_or_b32 exec_lo, exec_lo, s3
	s_delay_alu instid0(SALU_CYCLE_1)
	s_mov_b32 s4, exec_lo
	s_waitcnt_vscnt null, 0x0
	s_barrier
	buffer_gl0_inv
	v_cmpx_eq_u32_e32 8, v182
	s_cbranch_execz .LBB71_80
; %bb.74:
	ds_store_2addr_b64 v183, v[108:109], v[110:111] offset1:1
	ds_store_2addr_b64 v178, v[104:105], v[106:107] offset0:18 offset1:19
	ds_store_2addr_b64 v178, v[100:101], v[102:103] offset0:20 offset1:21
	;; [unrolled: 1-line block ×27, first 2 shown]
	ds_load_2addr_b64 v[144:147], v183 offset1:1
	s_waitcnt lgkmcnt(0)
	v_cmp_neq_f64_e32 vcc_lo, 0, v[144:145]
	v_cmp_neq_f64_e64 s3, 0, v[146:147]
	s_delay_alu instid0(VALU_DEP_1) | instskip(NEXT) | instid1(SALU_CYCLE_1)
	s_or_b32 s3, vcc_lo, s3
	s_and_b32 exec_lo, exec_lo, s3
	s_cbranch_execz .LBB71_80
; %bb.75:
	v_cmp_gt_f64_e32 vcc_lo, 0, v[144:145]
	v_xor_b32_e32 v148, 0x80000000, v145
	v_xor_b32_e32 v150, 0x80000000, v147
	s_mov_b32 s3, exec_lo
                                        ; implicit-def: $vgpr152_vgpr153
	s_delay_alu instid0(VALU_DEP_2) | instskip(SKIP_4) | instid1(VALU_DEP_1)
	v_cndmask_b32_e32 v149, v145, v148, vcc_lo
	v_cndmask_b32_e32 v148, v144, v144, vcc_lo
	v_cmp_gt_f64_e32 vcc_lo, 0, v[146:147]
	v_cndmask_b32_e32 v151, v147, v150, vcc_lo
	v_cndmask_b32_e32 v150, v146, v146, vcc_lo
	v_cmpx_ngt_f64_e32 v[148:149], v[150:151]
	s_xor_b32 s3, exec_lo, s3
                                        ; implicit-def: $vgpr148_vgpr149_vgpr150_vgpr151
	s_cbranch_execz .LBB71_77
; %bb.76:
	v_div_scale_f64 v[148:149], null, v[146:147], v[146:147], v[144:145]
	v_div_scale_f64 v[154:155], vcc_lo, v[144:145], v[146:147], v[144:145]
	s_delay_alu instid0(VALU_DEP_2) | instskip(SKIP_2) | instid1(VALU_DEP_1)
	v_rcp_f64_e32 v[150:151], v[148:149]
	s_waitcnt_depctr 0xfff
	v_fma_f64 v[152:153], -v[148:149], v[150:151], 1.0
	v_fma_f64 v[150:151], v[150:151], v[152:153], v[150:151]
	s_delay_alu instid0(VALU_DEP_1) | instskip(NEXT) | instid1(VALU_DEP_1)
	v_fma_f64 v[152:153], -v[148:149], v[150:151], 1.0
	v_fma_f64 v[150:151], v[150:151], v[152:153], v[150:151]
	s_delay_alu instid0(VALU_DEP_1) | instskip(NEXT) | instid1(VALU_DEP_1)
	v_mul_f64 v[152:153], v[154:155], v[150:151]
	v_fma_f64 v[148:149], -v[148:149], v[152:153], v[154:155]
	s_delay_alu instid0(VALU_DEP_1) | instskip(NEXT) | instid1(VALU_DEP_1)
	v_div_fmas_f64 v[148:149], v[148:149], v[150:151], v[152:153]
	v_div_fixup_f64 v[148:149], v[148:149], v[146:147], v[144:145]
	s_delay_alu instid0(VALU_DEP_1) | instskip(NEXT) | instid1(VALU_DEP_1)
	v_fma_f64 v[144:145], v[144:145], v[148:149], v[146:147]
	v_div_scale_f64 v[146:147], null, v[144:145], v[144:145], 1.0
	s_delay_alu instid0(VALU_DEP_1) | instskip(SKIP_2) | instid1(VALU_DEP_1)
	v_rcp_f64_e32 v[150:151], v[146:147]
	s_waitcnt_depctr 0xfff
	v_fma_f64 v[152:153], -v[146:147], v[150:151], 1.0
	v_fma_f64 v[150:151], v[150:151], v[152:153], v[150:151]
	s_delay_alu instid0(VALU_DEP_1) | instskip(NEXT) | instid1(VALU_DEP_1)
	v_fma_f64 v[152:153], -v[146:147], v[150:151], 1.0
	v_fma_f64 v[150:151], v[150:151], v[152:153], v[150:151]
	v_div_scale_f64 v[152:153], vcc_lo, 1.0, v[144:145], 1.0
	s_delay_alu instid0(VALU_DEP_1) | instskip(NEXT) | instid1(VALU_DEP_1)
	v_mul_f64 v[154:155], v[152:153], v[150:151]
	v_fma_f64 v[146:147], -v[146:147], v[154:155], v[152:153]
	s_delay_alu instid0(VALU_DEP_1) | instskip(NEXT) | instid1(VALU_DEP_1)
	v_div_fmas_f64 v[146:147], v[146:147], v[150:151], v[154:155]
	v_div_fixup_f64 v[150:151], v[146:147], v[144:145], 1.0
                                        ; implicit-def: $vgpr144_vgpr145
	s_delay_alu instid0(VALU_DEP_1)
	v_mul_f64 v[152:153], v[148:149], v[150:151]
	v_xor_b32_e32 v151, 0x80000000, v151
.LBB71_77:
	s_and_not1_saveexec_b32 s3, s3
	s_cbranch_execz .LBB71_79
; %bb.78:
	v_div_scale_f64 v[148:149], null, v[144:145], v[144:145], v[146:147]
	v_div_scale_f64 v[154:155], vcc_lo, v[146:147], v[144:145], v[146:147]
	s_delay_alu instid0(VALU_DEP_2) | instskip(SKIP_2) | instid1(VALU_DEP_1)
	v_rcp_f64_e32 v[150:151], v[148:149]
	s_waitcnt_depctr 0xfff
	v_fma_f64 v[152:153], -v[148:149], v[150:151], 1.0
	v_fma_f64 v[150:151], v[150:151], v[152:153], v[150:151]
	s_delay_alu instid0(VALU_DEP_1) | instskip(NEXT) | instid1(VALU_DEP_1)
	v_fma_f64 v[152:153], -v[148:149], v[150:151], 1.0
	v_fma_f64 v[150:151], v[150:151], v[152:153], v[150:151]
	s_delay_alu instid0(VALU_DEP_1) | instskip(NEXT) | instid1(VALU_DEP_1)
	v_mul_f64 v[152:153], v[154:155], v[150:151]
	v_fma_f64 v[148:149], -v[148:149], v[152:153], v[154:155]
	s_delay_alu instid0(VALU_DEP_1) | instskip(NEXT) | instid1(VALU_DEP_1)
	v_div_fmas_f64 v[148:149], v[148:149], v[150:151], v[152:153]
	v_div_fixup_f64 v[148:149], v[148:149], v[144:145], v[146:147]
	s_delay_alu instid0(VALU_DEP_1) | instskip(NEXT) | instid1(VALU_DEP_1)
	v_fma_f64 v[144:145], v[146:147], v[148:149], v[144:145]
	v_div_scale_f64 v[146:147], null, v[144:145], v[144:145], 1.0
	s_delay_alu instid0(VALU_DEP_1) | instskip(SKIP_2) | instid1(VALU_DEP_1)
	v_rcp_f64_e32 v[150:151], v[146:147]
	s_waitcnt_depctr 0xfff
	v_fma_f64 v[152:153], -v[146:147], v[150:151], 1.0
	v_fma_f64 v[150:151], v[150:151], v[152:153], v[150:151]
	s_delay_alu instid0(VALU_DEP_1) | instskip(NEXT) | instid1(VALU_DEP_1)
	v_fma_f64 v[152:153], -v[146:147], v[150:151], 1.0
	v_fma_f64 v[150:151], v[150:151], v[152:153], v[150:151]
	v_div_scale_f64 v[152:153], vcc_lo, 1.0, v[144:145], 1.0
	s_delay_alu instid0(VALU_DEP_1) | instskip(NEXT) | instid1(VALU_DEP_1)
	v_mul_f64 v[154:155], v[152:153], v[150:151]
	v_fma_f64 v[146:147], -v[146:147], v[154:155], v[152:153]
	s_delay_alu instid0(VALU_DEP_1) | instskip(NEXT) | instid1(VALU_DEP_1)
	v_div_fmas_f64 v[146:147], v[146:147], v[150:151], v[154:155]
	v_div_fixup_f64 v[152:153], v[146:147], v[144:145], 1.0
	s_delay_alu instid0(VALU_DEP_1)
	v_mul_f64 v[150:151], v[148:149], -v[152:153]
.LBB71_79:
	s_or_b32 exec_lo, exec_lo, s3
	ds_store_2addr_b64 v183, v[152:153], v[150:151] offset1:1
.LBB71_80:
	s_or_b32 exec_lo, exec_lo, s4
	s_waitcnt lgkmcnt(0)
	s_barrier
	buffer_gl0_inv
	ds_load_2addr_b64 v[144:147], v183 offset1:1
	s_mov_b32 s3, exec_lo
	s_waitcnt lgkmcnt(0)
	scratch_store_b128 off, v[144:147], off offset:144 ; 16-byte Folded Spill
	v_cmpx_lt_u32_e32 8, v182
	s_cbranch_execz .LBB71_82
; %bb.81:
	scratch_load_b128 v[146:149], off, off offset:144 ; 16-byte Folded Reload
	s_waitcnt vmcnt(0)
	v_mul_f64 v[144:145], v[148:149], v[110:111]
	v_mul_f64 v[110:111], v[146:147], v[110:111]
	s_delay_alu instid0(VALU_DEP_2) | instskip(NEXT) | instid1(VALU_DEP_2)
	v_fma_f64 v[144:145], v[146:147], v[108:109], -v[144:145]
	v_fma_f64 v[110:111], v[148:149], v[108:109], v[110:111]
	ds_load_2addr_b64 v[146:149], v178 offset0:18 offset1:19
	s_waitcnt lgkmcnt(0)
	v_mul_f64 v[108:109], v[148:149], v[110:111]
	s_delay_alu instid0(VALU_DEP_1) | instskip(SKIP_1) | instid1(VALU_DEP_2)
	v_fma_f64 v[108:109], v[146:147], v[144:145], -v[108:109]
	v_mul_f64 v[146:147], v[146:147], v[110:111]
	v_add_f64 v[104:105], v[104:105], -v[108:109]
	s_delay_alu instid0(VALU_DEP_2) | instskip(NEXT) | instid1(VALU_DEP_1)
	v_fma_f64 v[146:147], v[148:149], v[144:145], v[146:147]
	v_add_f64 v[106:107], v[106:107], -v[146:147]
	ds_load_2addr_b64 v[146:149], v178 offset0:20 offset1:21
	s_waitcnt lgkmcnt(0)
	v_mul_f64 v[108:109], v[148:149], v[110:111]
	s_delay_alu instid0(VALU_DEP_1) | instskip(SKIP_1) | instid1(VALU_DEP_2)
	v_fma_f64 v[108:109], v[146:147], v[144:145], -v[108:109]
	v_mul_f64 v[146:147], v[146:147], v[110:111]
	v_add_f64 v[100:101], v[100:101], -v[108:109]
	s_delay_alu instid0(VALU_DEP_2) | instskip(NEXT) | instid1(VALU_DEP_1)
	v_fma_f64 v[146:147], v[148:149], v[144:145], v[146:147]
	v_add_f64 v[102:103], v[102:103], -v[146:147]
	;; [unrolled: 10-line block ×26, first 2 shown]
	ds_load_2addr_b64 v[146:149], v178 offset0:70 offset1:71
	s_waitcnt lgkmcnt(0)
	v_mul_f64 v[108:109], v[148:149], v[110:111]
	s_delay_alu instid0(VALU_DEP_1) | instskip(SKIP_1) | instid1(VALU_DEP_2)
	v_fma_f64 v[108:109], v[146:147], v[144:145], -v[108:109]
	v_mul_f64 v[146:147], v[146:147], v[110:111]
	v_add_f64 v[0:1], v[0:1], -v[108:109]
	s_delay_alu instid0(VALU_DEP_2) | instskip(SKIP_1) | instid1(VALU_DEP_2)
	v_fma_f64 v[146:147], v[148:149], v[144:145], v[146:147]
	v_dual_mov_b32 v108, v144 :: v_dual_mov_b32 v109, v145
	v_add_f64 v[2:3], v[2:3], -v[146:147]
.LBB71_82:
	s_or_b32 exec_lo, exec_lo, s3
	s_delay_alu instid0(SALU_CYCLE_1)
	s_mov_b32 s4, exec_lo
	s_waitcnt_vscnt null, 0x0
	s_barrier
	buffer_gl0_inv
	v_cmpx_eq_u32_e32 9, v182
	s_cbranch_execz .LBB71_89
; %bb.83:
	ds_store_2addr_b64 v183, v[104:105], v[106:107] offset1:1
	ds_store_2addr_b64 v178, v[100:101], v[102:103] offset0:20 offset1:21
	ds_store_2addr_b64 v178, v[96:97], v[98:99] offset0:22 offset1:23
	;; [unrolled: 1-line block ×26, first 2 shown]
	ds_load_2addr_b64 v[144:147], v183 offset1:1
	s_waitcnt lgkmcnt(0)
	v_cmp_neq_f64_e32 vcc_lo, 0, v[144:145]
	v_cmp_neq_f64_e64 s3, 0, v[146:147]
	s_delay_alu instid0(VALU_DEP_1) | instskip(NEXT) | instid1(SALU_CYCLE_1)
	s_or_b32 s3, vcc_lo, s3
	s_and_b32 exec_lo, exec_lo, s3
	s_cbranch_execz .LBB71_89
; %bb.84:
	v_cmp_gt_f64_e32 vcc_lo, 0, v[144:145]
	v_xor_b32_e32 v148, 0x80000000, v145
	v_xor_b32_e32 v150, 0x80000000, v147
	s_mov_b32 s3, exec_lo
                                        ; implicit-def: $vgpr152_vgpr153
	s_delay_alu instid0(VALU_DEP_2) | instskip(SKIP_4) | instid1(VALU_DEP_1)
	v_cndmask_b32_e32 v149, v145, v148, vcc_lo
	v_cndmask_b32_e32 v148, v144, v144, vcc_lo
	v_cmp_gt_f64_e32 vcc_lo, 0, v[146:147]
	v_cndmask_b32_e32 v151, v147, v150, vcc_lo
	v_cndmask_b32_e32 v150, v146, v146, vcc_lo
	v_cmpx_ngt_f64_e32 v[148:149], v[150:151]
	s_xor_b32 s3, exec_lo, s3
                                        ; implicit-def: $vgpr148_vgpr149_vgpr150_vgpr151
	s_cbranch_execz .LBB71_86
; %bb.85:
	v_div_scale_f64 v[148:149], null, v[146:147], v[146:147], v[144:145]
	v_div_scale_f64 v[154:155], vcc_lo, v[144:145], v[146:147], v[144:145]
	s_delay_alu instid0(VALU_DEP_2) | instskip(SKIP_2) | instid1(VALU_DEP_1)
	v_rcp_f64_e32 v[150:151], v[148:149]
	s_waitcnt_depctr 0xfff
	v_fma_f64 v[152:153], -v[148:149], v[150:151], 1.0
	v_fma_f64 v[150:151], v[150:151], v[152:153], v[150:151]
	s_delay_alu instid0(VALU_DEP_1) | instskip(NEXT) | instid1(VALU_DEP_1)
	v_fma_f64 v[152:153], -v[148:149], v[150:151], 1.0
	v_fma_f64 v[150:151], v[150:151], v[152:153], v[150:151]
	s_delay_alu instid0(VALU_DEP_1) | instskip(NEXT) | instid1(VALU_DEP_1)
	v_mul_f64 v[152:153], v[154:155], v[150:151]
	v_fma_f64 v[148:149], -v[148:149], v[152:153], v[154:155]
	s_delay_alu instid0(VALU_DEP_1) | instskip(NEXT) | instid1(VALU_DEP_1)
	v_div_fmas_f64 v[148:149], v[148:149], v[150:151], v[152:153]
	v_div_fixup_f64 v[148:149], v[148:149], v[146:147], v[144:145]
	s_delay_alu instid0(VALU_DEP_1) | instskip(NEXT) | instid1(VALU_DEP_1)
	v_fma_f64 v[144:145], v[144:145], v[148:149], v[146:147]
	v_div_scale_f64 v[146:147], null, v[144:145], v[144:145], 1.0
	s_delay_alu instid0(VALU_DEP_1) | instskip(SKIP_2) | instid1(VALU_DEP_1)
	v_rcp_f64_e32 v[150:151], v[146:147]
	s_waitcnt_depctr 0xfff
	v_fma_f64 v[152:153], -v[146:147], v[150:151], 1.0
	v_fma_f64 v[150:151], v[150:151], v[152:153], v[150:151]
	s_delay_alu instid0(VALU_DEP_1) | instskip(NEXT) | instid1(VALU_DEP_1)
	v_fma_f64 v[152:153], -v[146:147], v[150:151], 1.0
	v_fma_f64 v[150:151], v[150:151], v[152:153], v[150:151]
	v_div_scale_f64 v[152:153], vcc_lo, 1.0, v[144:145], 1.0
	s_delay_alu instid0(VALU_DEP_1) | instskip(NEXT) | instid1(VALU_DEP_1)
	v_mul_f64 v[154:155], v[152:153], v[150:151]
	v_fma_f64 v[146:147], -v[146:147], v[154:155], v[152:153]
	s_delay_alu instid0(VALU_DEP_1) | instskip(NEXT) | instid1(VALU_DEP_1)
	v_div_fmas_f64 v[146:147], v[146:147], v[150:151], v[154:155]
	v_div_fixup_f64 v[150:151], v[146:147], v[144:145], 1.0
                                        ; implicit-def: $vgpr144_vgpr145
	s_delay_alu instid0(VALU_DEP_1)
	v_mul_f64 v[152:153], v[148:149], v[150:151]
	v_xor_b32_e32 v151, 0x80000000, v151
.LBB71_86:
	s_and_not1_saveexec_b32 s3, s3
	s_cbranch_execz .LBB71_88
; %bb.87:
	v_div_scale_f64 v[148:149], null, v[144:145], v[144:145], v[146:147]
	v_div_scale_f64 v[154:155], vcc_lo, v[146:147], v[144:145], v[146:147]
	s_delay_alu instid0(VALU_DEP_2) | instskip(SKIP_2) | instid1(VALU_DEP_1)
	v_rcp_f64_e32 v[150:151], v[148:149]
	s_waitcnt_depctr 0xfff
	v_fma_f64 v[152:153], -v[148:149], v[150:151], 1.0
	v_fma_f64 v[150:151], v[150:151], v[152:153], v[150:151]
	s_delay_alu instid0(VALU_DEP_1) | instskip(NEXT) | instid1(VALU_DEP_1)
	v_fma_f64 v[152:153], -v[148:149], v[150:151], 1.0
	v_fma_f64 v[150:151], v[150:151], v[152:153], v[150:151]
	s_delay_alu instid0(VALU_DEP_1) | instskip(NEXT) | instid1(VALU_DEP_1)
	v_mul_f64 v[152:153], v[154:155], v[150:151]
	v_fma_f64 v[148:149], -v[148:149], v[152:153], v[154:155]
	s_delay_alu instid0(VALU_DEP_1) | instskip(NEXT) | instid1(VALU_DEP_1)
	v_div_fmas_f64 v[148:149], v[148:149], v[150:151], v[152:153]
	v_div_fixup_f64 v[148:149], v[148:149], v[144:145], v[146:147]
	s_delay_alu instid0(VALU_DEP_1) | instskip(NEXT) | instid1(VALU_DEP_1)
	v_fma_f64 v[144:145], v[146:147], v[148:149], v[144:145]
	v_div_scale_f64 v[146:147], null, v[144:145], v[144:145], 1.0
	s_delay_alu instid0(VALU_DEP_1) | instskip(SKIP_2) | instid1(VALU_DEP_1)
	v_rcp_f64_e32 v[150:151], v[146:147]
	s_waitcnt_depctr 0xfff
	v_fma_f64 v[152:153], -v[146:147], v[150:151], 1.0
	v_fma_f64 v[150:151], v[150:151], v[152:153], v[150:151]
	s_delay_alu instid0(VALU_DEP_1) | instskip(NEXT) | instid1(VALU_DEP_1)
	v_fma_f64 v[152:153], -v[146:147], v[150:151], 1.0
	v_fma_f64 v[150:151], v[150:151], v[152:153], v[150:151]
	v_div_scale_f64 v[152:153], vcc_lo, 1.0, v[144:145], 1.0
	s_delay_alu instid0(VALU_DEP_1) | instskip(NEXT) | instid1(VALU_DEP_1)
	v_mul_f64 v[154:155], v[152:153], v[150:151]
	v_fma_f64 v[146:147], -v[146:147], v[154:155], v[152:153]
	s_delay_alu instid0(VALU_DEP_1) | instskip(NEXT) | instid1(VALU_DEP_1)
	v_div_fmas_f64 v[146:147], v[146:147], v[150:151], v[154:155]
	v_div_fixup_f64 v[152:153], v[146:147], v[144:145], 1.0
	s_delay_alu instid0(VALU_DEP_1)
	v_mul_f64 v[150:151], v[148:149], -v[152:153]
.LBB71_88:
	s_or_b32 exec_lo, exec_lo, s3
	ds_store_2addr_b64 v183, v[152:153], v[150:151] offset1:1
.LBB71_89:
	s_or_b32 exec_lo, exec_lo, s4
	s_waitcnt lgkmcnt(0)
	s_barrier
	buffer_gl0_inv
	ds_load_2addr_b64 v[144:147], v183 offset1:1
	s_mov_b32 s3, exec_lo
	s_waitcnt lgkmcnt(0)
	scratch_store_b128 off, v[144:147], off offset:160 ; 16-byte Folded Spill
	v_cmpx_lt_u32_e32 9, v182
	s_cbranch_execz .LBB71_91
; %bb.90:
	scratch_load_b128 v[146:149], off, off offset:160 ; 16-byte Folded Reload
	s_waitcnt vmcnt(0)
	v_mul_f64 v[144:145], v[148:149], v[106:107]
	v_mul_f64 v[106:107], v[146:147], v[106:107]
	s_delay_alu instid0(VALU_DEP_2) | instskip(NEXT) | instid1(VALU_DEP_2)
	v_fma_f64 v[144:145], v[146:147], v[104:105], -v[144:145]
	v_fma_f64 v[106:107], v[148:149], v[104:105], v[106:107]
	ds_load_2addr_b64 v[146:149], v178 offset0:20 offset1:21
	s_waitcnt lgkmcnt(0)
	v_mul_f64 v[104:105], v[148:149], v[106:107]
	s_delay_alu instid0(VALU_DEP_1) | instskip(SKIP_1) | instid1(VALU_DEP_2)
	v_fma_f64 v[104:105], v[146:147], v[144:145], -v[104:105]
	v_mul_f64 v[146:147], v[146:147], v[106:107]
	v_add_f64 v[100:101], v[100:101], -v[104:105]
	s_delay_alu instid0(VALU_DEP_2) | instskip(NEXT) | instid1(VALU_DEP_1)
	v_fma_f64 v[146:147], v[148:149], v[144:145], v[146:147]
	v_add_f64 v[102:103], v[102:103], -v[146:147]
	ds_load_2addr_b64 v[146:149], v178 offset0:22 offset1:23
	s_waitcnt lgkmcnt(0)
	v_mul_f64 v[104:105], v[148:149], v[106:107]
	s_delay_alu instid0(VALU_DEP_1) | instskip(SKIP_1) | instid1(VALU_DEP_2)
	v_fma_f64 v[104:105], v[146:147], v[144:145], -v[104:105]
	v_mul_f64 v[146:147], v[146:147], v[106:107]
	v_add_f64 v[96:97], v[96:97], -v[104:105]
	s_delay_alu instid0(VALU_DEP_2) | instskip(NEXT) | instid1(VALU_DEP_1)
	v_fma_f64 v[146:147], v[148:149], v[144:145], v[146:147]
	v_add_f64 v[98:99], v[98:99], -v[146:147]
	;; [unrolled: 10-line block ×25, first 2 shown]
	ds_load_2addr_b64 v[146:149], v178 offset0:70 offset1:71
	s_waitcnt lgkmcnt(0)
	v_mul_f64 v[104:105], v[148:149], v[106:107]
	s_delay_alu instid0(VALU_DEP_1) | instskip(SKIP_1) | instid1(VALU_DEP_2)
	v_fma_f64 v[104:105], v[146:147], v[144:145], -v[104:105]
	v_mul_f64 v[146:147], v[146:147], v[106:107]
	v_add_f64 v[0:1], v[0:1], -v[104:105]
	s_delay_alu instid0(VALU_DEP_2) | instskip(SKIP_1) | instid1(VALU_DEP_2)
	v_fma_f64 v[146:147], v[148:149], v[144:145], v[146:147]
	v_dual_mov_b32 v104, v144 :: v_dual_mov_b32 v105, v145
	v_add_f64 v[2:3], v[2:3], -v[146:147]
.LBB71_91:
	s_or_b32 exec_lo, exec_lo, s3
	s_delay_alu instid0(SALU_CYCLE_1)
	s_mov_b32 s4, exec_lo
	s_waitcnt_vscnt null, 0x0
	s_barrier
	buffer_gl0_inv
	v_cmpx_eq_u32_e32 10, v182
	s_cbranch_execz .LBB71_98
; %bb.92:
	ds_store_2addr_b64 v183, v[100:101], v[102:103] offset1:1
	ds_store_2addr_b64 v178, v[96:97], v[98:99] offset0:22 offset1:23
	ds_store_2addr_b64 v178, v[92:93], v[94:95] offset0:24 offset1:25
	;; [unrolled: 1-line block ×25, first 2 shown]
	ds_load_2addr_b64 v[144:147], v183 offset1:1
	s_waitcnt lgkmcnt(0)
	v_cmp_neq_f64_e32 vcc_lo, 0, v[144:145]
	v_cmp_neq_f64_e64 s3, 0, v[146:147]
	s_delay_alu instid0(VALU_DEP_1) | instskip(NEXT) | instid1(SALU_CYCLE_1)
	s_or_b32 s3, vcc_lo, s3
	s_and_b32 exec_lo, exec_lo, s3
	s_cbranch_execz .LBB71_98
; %bb.93:
	v_cmp_gt_f64_e32 vcc_lo, 0, v[144:145]
	v_xor_b32_e32 v148, 0x80000000, v145
	v_xor_b32_e32 v150, 0x80000000, v147
	s_mov_b32 s3, exec_lo
                                        ; implicit-def: $vgpr152_vgpr153
	s_delay_alu instid0(VALU_DEP_2) | instskip(SKIP_4) | instid1(VALU_DEP_1)
	v_cndmask_b32_e32 v149, v145, v148, vcc_lo
	v_cndmask_b32_e32 v148, v144, v144, vcc_lo
	v_cmp_gt_f64_e32 vcc_lo, 0, v[146:147]
	v_cndmask_b32_e32 v151, v147, v150, vcc_lo
	v_cndmask_b32_e32 v150, v146, v146, vcc_lo
	v_cmpx_ngt_f64_e32 v[148:149], v[150:151]
	s_xor_b32 s3, exec_lo, s3
                                        ; implicit-def: $vgpr148_vgpr149_vgpr150_vgpr151
	s_cbranch_execz .LBB71_95
; %bb.94:
	v_div_scale_f64 v[148:149], null, v[146:147], v[146:147], v[144:145]
	v_div_scale_f64 v[154:155], vcc_lo, v[144:145], v[146:147], v[144:145]
	s_delay_alu instid0(VALU_DEP_2) | instskip(SKIP_2) | instid1(VALU_DEP_1)
	v_rcp_f64_e32 v[150:151], v[148:149]
	s_waitcnt_depctr 0xfff
	v_fma_f64 v[152:153], -v[148:149], v[150:151], 1.0
	v_fma_f64 v[150:151], v[150:151], v[152:153], v[150:151]
	s_delay_alu instid0(VALU_DEP_1) | instskip(NEXT) | instid1(VALU_DEP_1)
	v_fma_f64 v[152:153], -v[148:149], v[150:151], 1.0
	v_fma_f64 v[150:151], v[150:151], v[152:153], v[150:151]
	s_delay_alu instid0(VALU_DEP_1) | instskip(NEXT) | instid1(VALU_DEP_1)
	v_mul_f64 v[152:153], v[154:155], v[150:151]
	v_fma_f64 v[148:149], -v[148:149], v[152:153], v[154:155]
	s_delay_alu instid0(VALU_DEP_1) | instskip(NEXT) | instid1(VALU_DEP_1)
	v_div_fmas_f64 v[148:149], v[148:149], v[150:151], v[152:153]
	v_div_fixup_f64 v[148:149], v[148:149], v[146:147], v[144:145]
	s_delay_alu instid0(VALU_DEP_1) | instskip(NEXT) | instid1(VALU_DEP_1)
	v_fma_f64 v[144:145], v[144:145], v[148:149], v[146:147]
	v_div_scale_f64 v[146:147], null, v[144:145], v[144:145], 1.0
	s_delay_alu instid0(VALU_DEP_1) | instskip(SKIP_2) | instid1(VALU_DEP_1)
	v_rcp_f64_e32 v[150:151], v[146:147]
	s_waitcnt_depctr 0xfff
	v_fma_f64 v[152:153], -v[146:147], v[150:151], 1.0
	v_fma_f64 v[150:151], v[150:151], v[152:153], v[150:151]
	s_delay_alu instid0(VALU_DEP_1) | instskip(NEXT) | instid1(VALU_DEP_1)
	v_fma_f64 v[152:153], -v[146:147], v[150:151], 1.0
	v_fma_f64 v[150:151], v[150:151], v[152:153], v[150:151]
	v_div_scale_f64 v[152:153], vcc_lo, 1.0, v[144:145], 1.0
	s_delay_alu instid0(VALU_DEP_1) | instskip(NEXT) | instid1(VALU_DEP_1)
	v_mul_f64 v[154:155], v[152:153], v[150:151]
	v_fma_f64 v[146:147], -v[146:147], v[154:155], v[152:153]
	s_delay_alu instid0(VALU_DEP_1) | instskip(NEXT) | instid1(VALU_DEP_1)
	v_div_fmas_f64 v[146:147], v[146:147], v[150:151], v[154:155]
	v_div_fixup_f64 v[150:151], v[146:147], v[144:145], 1.0
                                        ; implicit-def: $vgpr144_vgpr145
	s_delay_alu instid0(VALU_DEP_1)
	v_mul_f64 v[152:153], v[148:149], v[150:151]
	v_xor_b32_e32 v151, 0x80000000, v151
.LBB71_95:
	s_and_not1_saveexec_b32 s3, s3
	s_cbranch_execz .LBB71_97
; %bb.96:
	v_div_scale_f64 v[148:149], null, v[144:145], v[144:145], v[146:147]
	v_div_scale_f64 v[154:155], vcc_lo, v[146:147], v[144:145], v[146:147]
	s_delay_alu instid0(VALU_DEP_2) | instskip(SKIP_2) | instid1(VALU_DEP_1)
	v_rcp_f64_e32 v[150:151], v[148:149]
	s_waitcnt_depctr 0xfff
	v_fma_f64 v[152:153], -v[148:149], v[150:151], 1.0
	v_fma_f64 v[150:151], v[150:151], v[152:153], v[150:151]
	s_delay_alu instid0(VALU_DEP_1) | instskip(NEXT) | instid1(VALU_DEP_1)
	v_fma_f64 v[152:153], -v[148:149], v[150:151], 1.0
	v_fma_f64 v[150:151], v[150:151], v[152:153], v[150:151]
	s_delay_alu instid0(VALU_DEP_1) | instskip(NEXT) | instid1(VALU_DEP_1)
	v_mul_f64 v[152:153], v[154:155], v[150:151]
	v_fma_f64 v[148:149], -v[148:149], v[152:153], v[154:155]
	s_delay_alu instid0(VALU_DEP_1) | instskip(NEXT) | instid1(VALU_DEP_1)
	v_div_fmas_f64 v[148:149], v[148:149], v[150:151], v[152:153]
	v_div_fixup_f64 v[148:149], v[148:149], v[144:145], v[146:147]
	s_delay_alu instid0(VALU_DEP_1) | instskip(NEXT) | instid1(VALU_DEP_1)
	v_fma_f64 v[144:145], v[146:147], v[148:149], v[144:145]
	v_div_scale_f64 v[146:147], null, v[144:145], v[144:145], 1.0
	s_delay_alu instid0(VALU_DEP_1) | instskip(SKIP_2) | instid1(VALU_DEP_1)
	v_rcp_f64_e32 v[150:151], v[146:147]
	s_waitcnt_depctr 0xfff
	v_fma_f64 v[152:153], -v[146:147], v[150:151], 1.0
	v_fma_f64 v[150:151], v[150:151], v[152:153], v[150:151]
	s_delay_alu instid0(VALU_DEP_1) | instskip(NEXT) | instid1(VALU_DEP_1)
	v_fma_f64 v[152:153], -v[146:147], v[150:151], 1.0
	v_fma_f64 v[150:151], v[150:151], v[152:153], v[150:151]
	v_div_scale_f64 v[152:153], vcc_lo, 1.0, v[144:145], 1.0
	s_delay_alu instid0(VALU_DEP_1) | instskip(NEXT) | instid1(VALU_DEP_1)
	v_mul_f64 v[154:155], v[152:153], v[150:151]
	v_fma_f64 v[146:147], -v[146:147], v[154:155], v[152:153]
	s_delay_alu instid0(VALU_DEP_1) | instskip(NEXT) | instid1(VALU_DEP_1)
	v_div_fmas_f64 v[146:147], v[146:147], v[150:151], v[154:155]
	v_div_fixup_f64 v[152:153], v[146:147], v[144:145], 1.0
	s_delay_alu instid0(VALU_DEP_1)
	v_mul_f64 v[150:151], v[148:149], -v[152:153]
.LBB71_97:
	s_or_b32 exec_lo, exec_lo, s3
	ds_store_2addr_b64 v183, v[152:153], v[150:151] offset1:1
.LBB71_98:
	s_or_b32 exec_lo, exec_lo, s4
	s_waitcnt lgkmcnt(0)
	s_barrier
	buffer_gl0_inv
	ds_load_2addr_b64 v[144:147], v183 offset1:1
	s_mov_b32 s3, exec_lo
	s_waitcnt lgkmcnt(0)
	scratch_store_b128 off, v[144:147], off offset:176 ; 16-byte Folded Spill
	v_cmpx_lt_u32_e32 10, v182
	s_cbranch_execz .LBB71_100
; %bb.99:
	scratch_load_b128 v[146:149], off, off offset:176 ; 16-byte Folded Reload
	s_waitcnt vmcnt(0)
	v_mul_f64 v[144:145], v[148:149], v[102:103]
	v_mul_f64 v[102:103], v[146:147], v[102:103]
	s_delay_alu instid0(VALU_DEP_2) | instskip(NEXT) | instid1(VALU_DEP_2)
	v_fma_f64 v[144:145], v[146:147], v[100:101], -v[144:145]
	v_fma_f64 v[102:103], v[148:149], v[100:101], v[102:103]
	ds_load_2addr_b64 v[146:149], v178 offset0:22 offset1:23
	s_waitcnt lgkmcnt(0)
	v_mul_f64 v[100:101], v[148:149], v[102:103]
	s_delay_alu instid0(VALU_DEP_1) | instskip(SKIP_1) | instid1(VALU_DEP_2)
	v_fma_f64 v[100:101], v[146:147], v[144:145], -v[100:101]
	v_mul_f64 v[146:147], v[146:147], v[102:103]
	v_add_f64 v[96:97], v[96:97], -v[100:101]
	s_delay_alu instid0(VALU_DEP_2) | instskip(NEXT) | instid1(VALU_DEP_1)
	v_fma_f64 v[146:147], v[148:149], v[144:145], v[146:147]
	v_add_f64 v[98:99], v[98:99], -v[146:147]
	ds_load_2addr_b64 v[146:149], v178 offset0:24 offset1:25
	s_waitcnt lgkmcnt(0)
	v_mul_f64 v[100:101], v[148:149], v[102:103]
	s_delay_alu instid0(VALU_DEP_1) | instskip(SKIP_1) | instid1(VALU_DEP_2)
	v_fma_f64 v[100:101], v[146:147], v[144:145], -v[100:101]
	v_mul_f64 v[146:147], v[146:147], v[102:103]
	v_add_f64 v[92:93], v[92:93], -v[100:101]
	s_delay_alu instid0(VALU_DEP_2) | instskip(NEXT) | instid1(VALU_DEP_1)
	v_fma_f64 v[146:147], v[148:149], v[144:145], v[146:147]
	v_add_f64 v[94:95], v[94:95], -v[146:147]
	ds_load_2addr_b64 v[146:149], v178 offset0:26 offset1:27
	s_waitcnt lgkmcnt(0)
	v_mul_f64 v[100:101], v[148:149], v[102:103]
	s_delay_alu instid0(VALU_DEP_1) | instskip(SKIP_1) | instid1(VALU_DEP_2)
	v_fma_f64 v[100:101], v[146:147], v[144:145], -v[100:101]
	v_mul_f64 v[146:147], v[146:147], v[102:103]
	v_add_f64 v[88:89], v[88:89], -v[100:101]
	s_delay_alu instid0(VALU_DEP_2) | instskip(NEXT) | instid1(VALU_DEP_1)
	v_fma_f64 v[146:147], v[148:149], v[144:145], v[146:147]
	v_add_f64 v[90:91], v[90:91], -v[146:147]
	ds_load_2addr_b64 v[146:149], v178 offset0:28 offset1:29
	s_waitcnt lgkmcnt(0)
	v_mul_f64 v[100:101], v[148:149], v[102:103]
	s_delay_alu instid0(VALU_DEP_1) | instskip(SKIP_1) | instid1(VALU_DEP_2)
	v_fma_f64 v[100:101], v[146:147], v[144:145], -v[100:101]
	v_mul_f64 v[146:147], v[146:147], v[102:103]
	v_add_f64 v[84:85], v[84:85], -v[100:101]
	s_delay_alu instid0(VALU_DEP_2) | instskip(NEXT) | instid1(VALU_DEP_1)
	v_fma_f64 v[146:147], v[148:149], v[144:145], v[146:147]
	v_add_f64 v[86:87], v[86:87], -v[146:147]
	ds_load_2addr_b64 v[146:149], v178 offset0:30 offset1:31
	s_waitcnt lgkmcnt(0)
	v_mul_f64 v[100:101], v[148:149], v[102:103]
	s_delay_alu instid0(VALU_DEP_1) | instskip(SKIP_1) | instid1(VALU_DEP_2)
	v_fma_f64 v[100:101], v[146:147], v[144:145], -v[100:101]
	v_mul_f64 v[146:147], v[146:147], v[102:103]
	v_add_f64 v[80:81], v[80:81], -v[100:101]
	s_delay_alu instid0(VALU_DEP_2) | instskip(NEXT) | instid1(VALU_DEP_1)
	v_fma_f64 v[146:147], v[148:149], v[144:145], v[146:147]
	v_add_f64 v[82:83], v[82:83], -v[146:147]
	ds_load_2addr_b64 v[146:149], v178 offset0:32 offset1:33
	s_waitcnt lgkmcnt(0)
	v_mul_f64 v[100:101], v[148:149], v[102:103]
	s_delay_alu instid0(VALU_DEP_1) | instskip(SKIP_1) | instid1(VALU_DEP_2)
	v_fma_f64 v[100:101], v[146:147], v[144:145], -v[100:101]
	v_mul_f64 v[146:147], v[146:147], v[102:103]
	v_add_f64 v[76:77], v[76:77], -v[100:101]
	s_delay_alu instid0(VALU_DEP_2) | instskip(NEXT) | instid1(VALU_DEP_1)
	v_fma_f64 v[146:147], v[148:149], v[144:145], v[146:147]
	v_add_f64 v[78:79], v[78:79], -v[146:147]
	ds_load_2addr_b64 v[146:149], v178 offset0:34 offset1:35
	s_waitcnt lgkmcnt(0)
	v_mul_f64 v[100:101], v[148:149], v[102:103]
	s_delay_alu instid0(VALU_DEP_1) | instskip(SKIP_1) | instid1(VALU_DEP_2)
	v_fma_f64 v[100:101], v[146:147], v[144:145], -v[100:101]
	v_mul_f64 v[146:147], v[146:147], v[102:103]
	v_add_f64 v[72:73], v[72:73], -v[100:101]
	s_delay_alu instid0(VALU_DEP_2) | instskip(NEXT) | instid1(VALU_DEP_1)
	v_fma_f64 v[146:147], v[148:149], v[144:145], v[146:147]
	v_add_f64 v[74:75], v[74:75], -v[146:147]
	ds_load_2addr_b64 v[146:149], v178 offset0:36 offset1:37
	s_waitcnt lgkmcnt(0)
	v_mul_f64 v[100:101], v[148:149], v[102:103]
	s_delay_alu instid0(VALU_DEP_1) | instskip(SKIP_1) | instid1(VALU_DEP_2)
	v_fma_f64 v[100:101], v[146:147], v[144:145], -v[100:101]
	v_mul_f64 v[146:147], v[146:147], v[102:103]
	v_add_f64 v[68:69], v[68:69], -v[100:101]
	s_delay_alu instid0(VALU_DEP_2) | instskip(NEXT) | instid1(VALU_DEP_1)
	v_fma_f64 v[146:147], v[148:149], v[144:145], v[146:147]
	v_add_f64 v[70:71], v[70:71], -v[146:147]
	ds_load_2addr_b64 v[146:149], v178 offset0:38 offset1:39
	s_waitcnt lgkmcnt(0)
	v_mul_f64 v[100:101], v[148:149], v[102:103]
	s_delay_alu instid0(VALU_DEP_1) | instskip(SKIP_1) | instid1(VALU_DEP_2)
	v_fma_f64 v[100:101], v[146:147], v[144:145], -v[100:101]
	v_mul_f64 v[146:147], v[146:147], v[102:103]
	v_add_f64 v[64:65], v[64:65], -v[100:101]
	s_delay_alu instid0(VALU_DEP_2) | instskip(NEXT) | instid1(VALU_DEP_1)
	v_fma_f64 v[146:147], v[148:149], v[144:145], v[146:147]
	v_add_f64 v[66:67], v[66:67], -v[146:147]
	ds_load_2addr_b64 v[146:149], v178 offset0:40 offset1:41
	s_waitcnt lgkmcnt(0)
	v_mul_f64 v[100:101], v[148:149], v[102:103]
	s_delay_alu instid0(VALU_DEP_1) | instskip(SKIP_1) | instid1(VALU_DEP_2)
	v_fma_f64 v[100:101], v[146:147], v[144:145], -v[100:101]
	v_mul_f64 v[146:147], v[146:147], v[102:103]
	v_add_f64 v[60:61], v[60:61], -v[100:101]
	s_delay_alu instid0(VALU_DEP_2) | instskip(NEXT) | instid1(VALU_DEP_1)
	v_fma_f64 v[146:147], v[148:149], v[144:145], v[146:147]
	v_add_f64 v[62:63], v[62:63], -v[146:147]
	ds_load_2addr_b64 v[146:149], v178 offset0:42 offset1:43
	s_waitcnt lgkmcnt(0)
	v_mul_f64 v[100:101], v[148:149], v[102:103]
	s_delay_alu instid0(VALU_DEP_1) | instskip(SKIP_1) | instid1(VALU_DEP_2)
	v_fma_f64 v[100:101], v[146:147], v[144:145], -v[100:101]
	v_mul_f64 v[146:147], v[146:147], v[102:103]
	v_add_f64 v[56:57], v[56:57], -v[100:101]
	s_delay_alu instid0(VALU_DEP_2) | instskip(NEXT) | instid1(VALU_DEP_1)
	v_fma_f64 v[146:147], v[148:149], v[144:145], v[146:147]
	v_add_f64 v[58:59], v[58:59], -v[146:147]
	ds_load_2addr_b64 v[146:149], v178 offset0:44 offset1:45
	s_waitcnt lgkmcnt(0)
	v_mul_f64 v[100:101], v[148:149], v[102:103]
	s_delay_alu instid0(VALU_DEP_1) | instskip(SKIP_1) | instid1(VALU_DEP_2)
	v_fma_f64 v[100:101], v[146:147], v[144:145], -v[100:101]
	v_mul_f64 v[146:147], v[146:147], v[102:103]
	v_add_f64 v[52:53], v[52:53], -v[100:101]
	s_delay_alu instid0(VALU_DEP_2) | instskip(NEXT) | instid1(VALU_DEP_1)
	v_fma_f64 v[146:147], v[148:149], v[144:145], v[146:147]
	v_add_f64 v[54:55], v[54:55], -v[146:147]
	ds_load_2addr_b64 v[146:149], v178 offset0:46 offset1:47
	s_waitcnt lgkmcnt(0)
	v_mul_f64 v[100:101], v[148:149], v[102:103]
	s_delay_alu instid0(VALU_DEP_1) | instskip(SKIP_1) | instid1(VALU_DEP_2)
	v_fma_f64 v[100:101], v[146:147], v[144:145], -v[100:101]
	v_mul_f64 v[146:147], v[146:147], v[102:103]
	v_add_f64 v[48:49], v[48:49], -v[100:101]
	s_delay_alu instid0(VALU_DEP_2) | instskip(NEXT) | instid1(VALU_DEP_1)
	v_fma_f64 v[146:147], v[148:149], v[144:145], v[146:147]
	v_add_f64 v[50:51], v[50:51], -v[146:147]
	ds_load_2addr_b64 v[146:149], v178 offset0:48 offset1:49
	s_waitcnt lgkmcnt(0)
	v_mul_f64 v[100:101], v[148:149], v[102:103]
	s_delay_alu instid0(VALU_DEP_1) | instskip(SKIP_1) | instid1(VALU_DEP_2)
	v_fma_f64 v[100:101], v[146:147], v[144:145], -v[100:101]
	v_mul_f64 v[146:147], v[146:147], v[102:103]
	v_add_f64 v[44:45], v[44:45], -v[100:101]
	s_delay_alu instid0(VALU_DEP_2) | instskip(NEXT) | instid1(VALU_DEP_1)
	v_fma_f64 v[146:147], v[148:149], v[144:145], v[146:147]
	v_add_f64 v[46:47], v[46:47], -v[146:147]
	ds_load_2addr_b64 v[146:149], v178 offset0:50 offset1:51
	s_waitcnt lgkmcnt(0)
	v_mul_f64 v[100:101], v[148:149], v[102:103]
	s_delay_alu instid0(VALU_DEP_1) | instskip(SKIP_1) | instid1(VALU_DEP_2)
	v_fma_f64 v[100:101], v[146:147], v[144:145], -v[100:101]
	v_mul_f64 v[146:147], v[146:147], v[102:103]
	v_add_f64 v[40:41], v[40:41], -v[100:101]
	s_delay_alu instid0(VALU_DEP_2) | instskip(NEXT) | instid1(VALU_DEP_1)
	v_fma_f64 v[146:147], v[148:149], v[144:145], v[146:147]
	v_add_f64 v[42:43], v[42:43], -v[146:147]
	ds_load_2addr_b64 v[146:149], v178 offset0:52 offset1:53
	s_waitcnt lgkmcnt(0)
	v_mul_f64 v[100:101], v[148:149], v[102:103]
	s_delay_alu instid0(VALU_DEP_1) | instskip(SKIP_1) | instid1(VALU_DEP_2)
	v_fma_f64 v[100:101], v[146:147], v[144:145], -v[100:101]
	v_mul_f64 v[146:147], v[146:147], v[102:103]
	v_add_f64 v[36:37], v[36:37], -v[100:101]
	s_delay_alu instid0(VALU_DEP_2) | instskip(NEXT) | instid1(VALU_DEP_1)
	v_fma_f64 v[146:147], v[148:149], v[144:145], v[146:147]
	v_add_f64 v[38:39], v[38:39], -v[146:147]
	ds_load_2addr_b64 v[146:149], v178 offset0:54 offset1:55
	s_waitcnt lgkmcnt(0)
	v_mul_f64 v[100:101], v[148:149], v[102:103]
	s_delay_alu instid0(VALU_DEP_1) | instskip(SKIP_1) | instid1(VALU_DEP_2)
	v_fma_f64 v[100:101], v[146:147], v[144:145], -v[100:101]
	v_mul_f64 v[146:147], v[146:147], v[102:103]
	v_add_f64 v[32:33], v[32:33], -v[100:101]
	s_delay_alu instid0(VALU_DEP_2) | instskip(NEXT) | instid1(VALU_DEP_1)
	v_fma_f64 v[146:147], v[148:149], v[144:145], v[146:147]
	v_add_f64 v[34:35], v[34:35], -v[146:147]
	ds_load_2addr_b64 v[146:149], v178 offset0:56 offset1:57
	s_waitcnt lgkmcnt(0)
	v_mul_f64 v[100:101], v[148:149], v[102:103]
	s_delay_alu instid0(VALU_DEP_1) | instskip(SKIP_1) | instid1(VALU_DEP_2)
	v_fma_f64 v[100:101], v[146:147], v[144:145], -v[100:101]
	v_mul_f64 v[146:147], v[146:147], v[102:103]
	v_add_f64 v[28:29], v[28:29], -v[100:101]
	s_delay_alu instid0(VALU_DEP_2) | instskip(NEXT) | instid1(VALU_DEP_1)
	v_fma_f64 v[146:147], v[148:149], v[144:145], v[146:147]
	v_add_f64 v[30:31], v[30:31], -v[146:147]
	ds_load_2addr_b64 v[146:149], v178 offset0:58 offset1:59
	s_waitcnt lgkmcnt(0)
	v_mul_f64 v[100:101], v[148:149], v[102:103]
	s_delay_alu instid0(VALU_DEP_1) | instskip(SKIP_1) | instid1(VALU_DEP_2)
	v_fma_f64 v[100:101], v[146:147], v[144:145], -v[100:101]
	v_mul_f64 v[146:147], v[146:147], v[102:103]
	v_add_f64 v[24:25], v[24:25], -v[100:101]
	s_delay_alu instid0(VALU_DEP_2) | instskip(NEXT) | instid1(VALU_DEP_1)
	v_fma_f64 v[146:147], v[148:149], v[144:145], v[146:147]
	v_add_f64 v[26:27], v[26:27], -v[146:147]
	ds_load_2addr_b64 v[146:149], v178 offset0:60 offset1:61
	s_waitcnt lgkmcnt(0)
	v_mul_f64 v[100:101], v[148:149], v[102:103]
	s_delay_alu instid0(VALU_DEP_1) | instskip(SKIP_1) | instid1(VALU_DEP_2)
	v_fma_f64 v[100:101], v[146:147], v[144:145], -v[100:101]
	v_mul_f64 v[146:147], v[146:147], v[102:103]
	v_add_f64 v[20:21], v[20:21], -v[100:101]
	s_delay_alu instid0(VALU_DEP_2) | instskip(NEXT) | instid1(VALU_DEP_1)
	v_fma_f64 v[146:147], v[148:149], v[144:145], v[146:147]
	v_add_f64 v[22:23], v[22:23], -v[146:147]
	ds_load_2addr_b64 v[146:149], v178 offset0:62 offset1:63
	s_waitcnt lgkmcnt(0)
	v_mul_f64 v[100:101], v[148:149], v[102:103]
	s_delay_alu instid0(VALU_DEP_1) | instskip(SKIP_1) | instid1(VALU_DEP_2)
	v_fma_f64 v[100:101], v[146:147], v[144:145], -v[100:101]
	v_mul_f64 v[146:147], v[146:147], v[102:103]
	v_add_f64 v[16:17], v[16:17], -v[100:101]
	s_delay_alu instid0(VALU_DEP_2) | instskip(NEXT) | instid1(VALU_DEP_1)
	v_fma_f64 v[146:147], v[148:149], v[144:145], v[146:147]
	v_add_f64 v[18:19], v[18:19], -v[146:147]
	ds_load_2addr_b64 v[146:149], v178 offset0:64 offset1:65
	s_waitcnt lgkmcnt(0)
	v_mul_f64 v[100:101], v[148:149], v[102:103]
	s_delay_alu instid0(VALU_DEP_1) | instskip(SKIP_1) | instid1(VALU_DEP_2)
	v_fma_f64 v[100:101], v[146:147], v[144:145], -v[100:101]
	v_mul_f64 v[146:147], v[146:147], v[102:103]
	v_add_f64 v[12:13], v[12:13], -v[100:101]
	s_delay_alu instid0(VALU_DEP_2) | instskip(NEXT) | instid1(VALU_DEP_1)
	v_fma_f64 v[146:147], v[148:149], v[144:145], v[146:147]
	v_add_f64 v[14:15], v[14:15], -v[146:147]
	ds_load_2addr_b64 v[146:149], v178 offset0:66 offset1:67
	s_waitcnt lgkmcnt(0)
	v_mul_f64 v[100:101], v[148:149], v[102:103]
	s_delay_alu instid0(VALU_DEP_1) | instskip(SKIP_1) | instid1(VALU_DEP_2)
	v_fma_f64 v[100:101], v[146:147], v[144:145], -v[100:101]
	v_mul_f64 v[146:147], v[146:147], v[102:103]
	v_add_f64 v[8:9], v[8:9], -v[100:101]
	s_delay_alu instid0(VALU_DEP_2) | instskip(NEXT) | instid1(VALU_DEP_1)
	v_fma_f64 v[146:147], v[148:149], v[144:145], v[146:147]
	v_add_f64 v[10:11], v[10:11], -v[146:147]
	ds_load_2addr_b64 v[146:149], v178 offset0:68 offset1:69
	s_waitcnt lgkmcnt(0)
	v_mul_f64 v[100:101], v[148:149], v[102:103]
	s_delay_alu instid0(VALU_DEP_1) | instskip(SKIP_1) | instid1(VALU_DEP_2)
	v_fma_f64 v[100:101], v[146:147], v[144:145], -v[100:101]
	v_mul_f64 v[146:147], v[146:147], v[102:103]
	v_add_f64 v[4:5], v[4:5], -v[100:101]
	s_delay_alu instid0(VALU_DEP_2) | instskip(NEXT) | instid1(VALU_DEP_1)
	v_fma_f64 v[146:147], v[148:149], v[144:145], v[146:147]
	v_add_f64 v[6:7], v[6:7], -v[146:147]
	ds_load_2addr_b64 v[146:149], v178 offset0:70 offset1:71
	s_waitcnt lgkmcnt(0)
	v_mul_f64 v[100:101], v[148:149], v[102:103]
	s_delay_alu instid0(VALU_DEP_1) | instskip(SKIP_1) | instid1(VALU_DEP_2)
	v_fma_f64 v[100:101], v[146:147], v[144:145], -v[100:101]
	v_mul_f64 v[146:147], v[146:147], v[102:103]
	v_add_f64 v[0:1], v[0:1], -v[100:101]
	s_delay_alu instid0(VALU_DEP_2) | instskip(SKIP_1) | instid1(VALU_DEP_2)
	v_fma_f64 v[146:147], v[148:149], v[144:145], v[146:147]
	v_dual_mov_b32 v100, v144 :: v_dual_mov_b32 v101, v145
	v_add_f64 v[2:3], v[2:3], -v[146:147]
.LBB71_100:
	s_or_b32 exec_lo, exec_lo, s3
	s_delay_alu instid0(SALU_CYCLE_1)
	s_mov_b32 s4, exec_lo
	s_waitcnt_vscnt null, 0x0
	s_barrier
	buffer_gl0_inv
	v_cmpx_eq_u32_e32 11, v182
	s_cbranch_execz .LBB71_107
; %bb.101:
	ds_store_2addr_b64 v183, v[96:97], v[98:99] offset1:1
	ds_store_2addr_b64 v178, v[92:93], v[94:95] offset0:24 offset1:25
	ds_store_2addr_b64 v178, v[88:89], v[90:91] offset0:26 offset1:27
	;; [unrolled: 1-line block ×24, first 2 shown]
	ds_load_2addr_b64 v[144:147], v183 offset1:1
	s_waitcnt lgkmcnt(0)
	v_cmp_neq_f64_e32 vcc_lo, 0, v[144:145]
	v_cmp_neq_f64_e64 s3, 0, v[146:147]
	s_delay_alu instid0(VALU_DEP_1) | instskip(NEXT) | instid1(SALU_CYCLE_1)
	s_or_b32 s3, vcc_lo, s3
	s_and_b32 exec_lo, exec_lo, s3
	s_cbranch_execz .LBB71_107
; %bb.102:
	v_cmp_gt_f64_e32 vcc_lo, 0, v[144:145]
	v_xor_b32_e32 v148, 0x80000000, v145
	v_xor_b32_e32 v150, 0x80000000, v147
	s_mov_b32 s3, exec_lo
                                        ; implicit-def: $vgpr152_vgpr153
	s_delay_alu instid0(VALU_DEP_2) | instskip(SKIP_4) | instid1(VALU_DEP_1)
	v_cndmask_b32_e32 v149, v145, v148, vcc_lo
	v_cndmask_b32_e32 v148, v144, v144, vcc_lo
	v_cmp_gt_f64_e32 vcc_lo, 0, v[146:147]
	v_cndmask_b32_e32 v151, v147, v150, vcc_lo
	v_cndmask_b32_e32 v150, v146, v146, vcc_lo
	v_cmpx_ngt_f64_e32 v[148:149], v[150:151]
	s_xor_b32 s3, exec_lo, s3
                                        ; implicit-def: $vgpr148_vgpr149_vgpr150_vgpr151
	s_cbranch_execz .LBB71_104
; %bb.103:
	v_div_scale_f64 v[148:149], null, v[146:147], v[146:147], v[144:145]
	v_div_scale_f64 v[154:155], vcc_lo, v[144:145], v[146:147], v[144:145]
	s_delay_alu instid0(VALU_DEP_2) | instskip(SKIP_2) | instid1(VALU_DEP_1)
	v_rcp_f64_e32 v[150:151], v[148:149]
	s_waitcnt_depctr 0xfff
	v_fma_f64 v[152:153], -v[148:149], v[150:151], 1.0
	v_fma_f64 v[150:151], v[150:151], v[152:153], v[150:151]
	s_delay_alu instid0(VALU_DEP_1) | instskip(NEXT) | instid1(VALU_DEP_1)
	v_fma_f64 v[152:153], -v[148:149], v[150:151], 1.0
	v_fma_f64 v[150:151], v[150:151], v[152:153], v[150:151]
	s_delay_alu instid0(VALU_DEP_1) | instskip(NEXT) | instid1(VALU_DEP_1)
	v_mul_f64 v[152:153], v[154:155], v[150:151]
	v_fma_f64 v[148:149], -v[148:149], v[152:153], v[154:155]
	s_delay_alu instid0(VALU_DEP_1) | instskip(NEXT) | instid1(VALU_DEP_1)
	v_div_fmas_f64 v[148:149], v[148:149], v[150:151], v[152:153]
	v_div_fixup_f64 v[148:149], v[148:149], v[146:147], v[144:145]
	s_delay_alu instid0(VALU_DEP_1) | instskip(NEXT) | instid1(VALU_DEP_1)
	v_fma_f64 v[144:145], v[144:145], v[148:149], v[146:147]
	v_div_scale_f64 v[146:147], null, v[144:145], v[144:145], 1.0
	s_delay_alu instid0(VALU_DEP_1) | instskip(SKIP_2) | instid1(VALU_DEP_1)
	v_rcp_f64_e32 v[150:151], v[146:147]
	s_waitcnt_depctr 0xfff
	v_fma_f64 v[152:153], -v[146:147], v[150:151], 1.0
	v_fma_f64 v[150:151], v[150:151], v[152:153], v[150:151]
	s_delay_alu instid0(VALU_DEP_1) | instskip(NEXT) | instid1(VALU_DEP_1)
	v_fma_f64 v[152:153], -v[146:147], v[150:151], 1.0
	v_fma_f64 v[150:151], v[150:151], v[152:153], v[150:151]
	v_div_scale_f64 v[152:153], vcc_lo, 1.0, v[144:145], 1.0
	s_delay_alu instid0(VALU_DEP_1) | instskip(NEXT) | instid1(VALU_DEP_1)
	v_mul_f64 v[154:155], v[152:153], v[150:151]
	v_fma_f64 v[146:147], -v[146:147], v[154:155], v[152:153]
	s_delay_alu instid0(VALU_DEP_1) | instskip(NEXT) | instid1(VALU_DEP_1)
	v_div_fmas_f64 v[146:147], v[146:147], v[150:151], v[154:155]
	v_div_fixup_f64 v[150:151], v[146:147], v[144:145], 1.0
                                        ; implicit-def: $vgpr144_vgpr145
	s_delay_alu instid0(VALU_DEP_1)
	v_mul_f64 v[152:153], v[148:149], v[150:151]
	v_xor_b32_e32 v151, 0x80000000, v151
.LBB71_104:
	s_and_not1_saveexec_b32 s3, s3
	s_cbranch_execz .LBB71_106
; %bb.105:
	v_div_scale_f64 v[148:149], null, v[144:145], v[144:145], v[146:147]
	v_div_scale_f64 v[154:155], vcc_lo, v[146:147], v[144:145], v[146:147]
	s_delay_alu instid0(VALU_DEP_2) | instskip(SKIP_2) | instid1(VALU_DEP_1)
	v_rcp_f64_e32 v[150:151], v[148:149]
	s_waitcnt_depctr 0xfff
	v_fma_f64 v[152:153], -v[148:149], v[150:151], 1.0
	v_fma_f64 v[150:151], v[150:151], v[152:153], v[150:151]
	s_delay_alu instid0(VALU_DEP_1) | instskip(NEXT) | instid1(VALU_DEP_1)
	v_fma_f64 v[152:153], -v[148:149], v[150:151], 1.0
	v_fma_f64 v[150:151], v[150:151], v[152:153], v[150:151]
	s_delay_alu instid0(VALU_DEP_1) | instskip(NEXT) | instid1(VALU_DEP_1)
	v_mul_f64 v[152:153], v[154:155], v[150:151]
	v_fma_f64 v[148:149], -v[148:149], v[152:153], v[154:155]
	s_delay_alu instid0(VALU_DEP_1) | instskip(NEXT) | instid1(VALU_DEP_1)
	v_div_fmas_f64 v[148:149], v[148:149], v[150:151], v[152:153]
	v_div_fixup_f64 v[148:149], v[148:149], v[144:145], v[146:147]
	s_delay_alu instid0(VALU_DEP_1) | instskip(NEXT) | instid1(VALU_DEP_1)
	v_fma_f64 v[144:145], v[146:147], v[148:149], v[144:145]
	v_div_scale_f64 v[146:147], null, v[144:145], v[144:145], 1.0
	s_delay_alu instid0(VALU_DEP_1) | instskip(SKIP_2) | instid1(VALU_DEP_1)
	v_rcp_f64_e32 v[150:151], v[146:147]
	s_waitcnt_depctr 0xfff
	v_fma_f64 v[152:153], -v[146:147], v[150:151], 1.0
	v_fma_f64 v[150:151], v[150:151], v[152:153], v[150:151]
	s_delay_alu instid0(VALU_DEP_1) | instskip(NEXT) | instid1(VALU_DEP_1)
	v_fma_f64 v[152:153], -v[146:147], v[150:151], 1.0
	v_fma_f64 v[150:151], v[150:151], v[152:153], v[150:151]
	v_div_scale_f64 v[152:153], vcc_lo, 1.0, v[144:145], 1.0
	s_delay_alu instid0(VALU_DEP_1) | instskip(NEXT) | instid1(VALU_DEP_1)
	v_mul_f64 v[154:155], v[152:153], v[150:151]
	v_fma_f64 v[146:147], -v[146:147], v[154:155], v[152:153]
	s_delay_alu instid0(VALU_DEP_1) | instskip(NEXT) | instid1(VALU_DEP_1)
	v_div_fmas_f64 v[146:147], v[146:147], v[150:151], v[154:155]
	v_div_fixup_f64 v[152:153], v[146:147], v[144:145], 1.0
	s_delay_alu instid0(VALU_DEP_1)
	v_mul_f64 v[150:151], v[148:149], -v[152:153]
.LBB71_106:
	s_or_b32 exec_lo, exec_lo, s3
	ds_store_2addr_b64 v183, v[152:153], v[150:151] offset1:1
.LBB71_107:
	s_or_b32 exec_lo, exec_lo, s4
	s_waitcnt lgkmcnt(0)
	s_barrier
	buffer_gl0_inv
	ds_load_2addr_b64 v[144:147], v183 offset1:1
	s_mov_b32 s3, exec_lo
	s_waitcnt lgkmcnt(0)
	scratch_store_b128 off, v[144:147], off offset:192 ; 16-byte Folded Spill
	v_cmpx_lt_u32_e32 11, v182
	s_cbranch_execz .LBB71_109
; %bb.108:
	scratch_load_b128 v[146:149], off, off offset:192 ; 16-byte Folded Reload
	s_waitcnt vmcnt(0)
	v_mul_f64 v[144:145], v[148:149], v[98:99]
	v_mul_f64 v[98:99], v[146:147], v[98:99]
	s_delay_alu instid0(VALU_DEP_2) | instskip(NEXT) | instid1(VALU_DEP_2)
	v_fma_f64 v[144:145], v[146:147], v[96:97], -v[144:145]
	v_fma_f64 v[98:99], v[148:149], v[96:97], v[98:99]
	ds_load_2addr_b64 v[146:149], v178 offset0:24 offset1:25
	s_waitcnt lgkmcnt(0)
	v_mul_f64 v[96:97], v[148:149], v[98:99]
	s_delay_alu instid0(VALU_DEP_1) | instskip(SKIP_1) | instid1(VALU_DEP_2)
	v_fma_f64 v[96:97], v[146:147], v[144:145], -v[96:97]
	v_mul_f64 v[146:147], v[146:147], v[98:99]
	v_add_f64 v[92:93], v[92:93], -v[96:97]
	s_delay_alu instid0(VALU_DEP_2) | instskip(NEXT) | instid1(VALU_DEP_1)
	v_fma_f64 v[146:147], v[148:149], v[144:145], v[146:147]
	v_add_f64 v[94:95], v[94:95], -v[146:147]
	ds_load_2addr_b64 v[146:149], v178 offset0:26 offset1:27
	s_waitcnt lgkmcnt(0)
	v_mul_f64 v[96:97], v[148:149], v[98:99]
	s_delay_alu instid0(VALU_DEP_1) | instskip(SKIP_1) | instid1(VALU_DEP_2)
	v_fma_f64 v[96:97], v[146:147], v[144:145], -v[96:97]
	v_mul_f64 v[146:147], v[146:147], v[98:99]
	v_add_f64 v[88:89], v[88:89], -v[96:97]
	s_delay_alu instid0(VALU_DEP_2) | instskip(NEXT) | instid1(VALU_DEP_1)
	v_fma_f64 v[146:147], v[148:149], v[144:145], v[146:147]
	v_add_f64 v[90:91], v[90:91], -v[146:147]
	;; [unrolled: 10-line block ×23, first 2 shown]
	ds_load_2addr_b64 v[146:149], v178 offset0:70 offset1:71
	s_waitcnt lgkmcnt(0)
	v_mul_f64 v[96:97], v[148:149], v[98:99]
	s_delay_alu instid0(VALU_DEP_1) | instskip(SKIP_1) | instid1(VALU_DEP_2)
	v_fma_f64 v[96:97], v[146:147], v[144:145], -v[96:97]
	v_mul_f64 v[146:147], v[146:147], v[98:99]
	v_add_f64 v[0:1], v[0:1], -v[96:97]
	s_delay_alu instid0(VALU_DEP_2) | instskip(SKIP_1) | instid1(VALU_DEP_2)
	v_fma_f64 v[146:147], v[148:149], v[144:145], v[146:147]
	v_dual_mov_b32 v96, v144 :: v_dual_mov_b32 v97, v145
	v_add_f64 v[2:3], v[2:3], -v[146:147]
.LBB71_109:
	s_or_b32 exec_lo, exec_lo, s3
	s_delay_alu instid0(SALU_CYCLE_1)
	s_mov_b32 s4, exec_lo
	s_waitcnt_vscnt null, 0x0
	s_barrier
	buffer_gl0_inv
	v_cmpx_eq_u32_e32 12, v182
	s_cbranch_execz .LBB71_116
; %bb.110:
	ds_store_2addr_b64 v183, v[92:93], v[94:95] offset1:1
	ds_store_2addr_b64 v178, v[88:89], v[90:91] offset0:26 offset1:27
	ds_store_2addr_b64 v178, v[84:85], v[86:87] offset0:28 offset1:29
	;; [unrolled: 1-line block ×23, first 2 shown]
	ds_load_2addr_b64 v[144:147], v183 offset1:1
	s_waitcnt lgkmcnt(0)
	v_cmp_neq_f64_e32 vcc_lo, 0, v[144:145]
	v_cmp_neq_f64_e64 s3, 0, v[146:147]
	s_delay_alu instid0(VALU_DEP_1) | instskip(NEXT) | instid1(SALU_CYCLE_1)
	s_or_b32 s3, vcc_lo, s3
	s_and_b32 exec_lo, exec_lo, s3
	s_cbranch_execz .LBB71_116
; %bb.111:
	v_cmp_gt_f64_e32 vcc_lo, 0, v[144:145]
	v_xor_b32_e32 v148, 0x80000000, v145
	v_xor_b32_e32 v150, 0x80000000, v147
	s_mov_b32 s3, exec_lo
                                        ; implicit-def: $vgpr152_vgpr153
	s_delay_alu instid0(VALU_DEP_2) | instskip(SKIP_4) | instid1(VALU_DEP_1)
	v_cndmask_b32_e32 v149, v145, v148, vcc_lo
	v_cndmask_b32_e32 v148, v144, v144, vcc_lo
	v_cmp_gt_f64_e32 vcc_lo, 0, v[146:147]
	v_cndmask_b32_e32 v151, v147, v150, vcc_lo
	v_cndmask_b32_e32 v150, v146, v146, vcc_lo
	v_cmpx_ngt_f64_e32 v[148:149], v[150:151]
	s_xor_b32 s3, exec_lo, s3
                                        ; implicit-def: $vgpr148_vgpr149_vgpr150_vgpr151
	s_cbranch_execz .LBB71_113
; %bb.112:
	v_div_scale_f64 v[148:149], null, v[146:147], v[146:147], v[144:145]
	v_div_scale_f64 v[154:155], vcc_lo, v[144:145], v[146:147], v[144:145]
	s_delay_alu instid0(VALU_DEP_2) | instskip(SKIP_2) | instid1(VALU_DEP_1)
	v_rcp_f64_e32 v[150:151], v[148:149]
	s_waitcnt_depctr 0xfff
	v_fma_f64 v[152:153], -v[148:149], v[150:151], 1.0
	v_fma_f64 v[150:151], v[150:151], v[152:153], v[150:151]
	s_delay_alu instid0(VALU_DEP_1) | instskip(NEXT) | instid1(VALU_DEP_1)
	v_fma_f64 v[152:153], -v[148:149], v[150:151], 1.0
	v_fma_f64 v[150:151], v[150:151], v[152:153], v[150:151]
	s_delay_alu instid0(VALU_DEP_1) | instskip(NEXT) | instid1(VALU_DEP_1)
	v_mul_f64 v[152:153], v[154:155], v[150:151]
	v_fma_f64 v[148:149], -v[148:149], v[152:153], v[154:155]
	s_delay_alu instid0(VALU_DEP_1) | instskip(NEXT) | instid1(VALU_DEP_1)
	v_div_fmas_f64 v[148:149], v[148:149], v[150:151], v[152:153]
	v_div_fixup_f64 v[148:149], v[148:149], v[146:147], v[144:145]
	s_delay_alu instid0(VALU_DEP_1) | instskip(NEXT) | instid1(VALU_DEP_1)
	v_fma_f64 v[144:145], v[144:145], v[148:149], v[146:147]
	v_div_scale_f64 v[146:147], null, v[144:145], v[144:145], 1.0
	s_delay_alu instid0(VALU_DEP_1) | instskip(SKIP_2) | instid1(VALU_DEP_1)
	v_rcp_f64_e32 v[150:151], v[146:147]
	s_waitcnt_depctr 0xfff
	v_fma_f64 v[152:153], -v[146:147], v[150:151], 1.0
	v_fma_f64 v[150:151], v[150:151], v[152:153], v[150:151]
	s_delay_alu instid0(VALU_DEP_1) | instskip(NEXT) | instid1(VALU_DEP_1)
	v_fma_f64 v[152:153], -v[146:147], v[150:151], 1.0
	v_fma_f64 v[150:151], v[150:151], v[152:153], v[150:151]
	v_div_scale_f64 v[152:153], vcc_lo, 1.0, v[144:145], 1.0
	s_delay_alu instid0(VALU_DEP_1) | instskip(NEXT) | instid1(VALU_DEP_1)
	v_mul_f64 v[154:155], v[152:153], v[150:151]
	v_fma_f64 v[146:147], -v[146:147], v[154:155], v[152:153]
	s_delay_alu instid0(VALU_DEP_1) | instskip(NEXT) | instid1(VALU_DEP_1)
	v_div_fmas_f64 v[146:147], v[146:147], v[150:151], v[154:155]
	v_div_fixup_f64 v[150:151], v[146:147], v[144:145], 1.0
                                        ; implicit-def: $vgpr144_vgpr145
	s_delay_alu instid0(VALU_DEP_1)
	v_mul_f64 v[152:153], v[148:149], v[150:151]
	v_xor_b32_e32 v151, 0x80000000, v151
.LBB71_113:
	s_and_not1_saveexec_b32 s3, s3
	s_cbranch_execz .LBB71_115
; %bb.114:
	v_div_scale_f64 v[148:149], null, v[144:145], v[144:145], v[146:147]
	v_div_scale_f64 v[154:155], vcc_lo, v[146:147], v[144:145], v[146:147]
	s_delay_alu instid0(VALU_DEP_2) | instskip(SKIP_2) | instid1(VALU_DEP_1)
	v_rcp_f64_e32 v[150:151], v[148:149]
	s_waitcnt_depctr 0xfff
	v_fma_f64 v[152:153], -v[148:149], v[150:151], 1.0
	v_fma_f64 v[150:151], v[150:151], v[152:153], v[150:151]
	s_delay_alu instid0(VALU_DEP_1) | instskip(NEXT) | instid1(VALU_DEP_1)
	v_fma_f64 v[152:153], -v[148:149], v[150:151], 1.0
	v_fma_f64 v[150:151], v[150:151], v[152:153], v[150:151]
	s_delay_alu instid0(VALU_DEP_1) | instskip(NEXT) | instid1(VALU_DEP_1)
	v_mul_f64 v[152:153], v[154:155], v[150:151]
	v_fma_f64 v[148:149], -v[148:149], v[152:153], v[154:155]
	s_delay_alu instid0(VALU_DEP_1) | instskip(NEXT) | instid1(VALU_DEP_1)
	v_div_fmas_f64 v[148:149], v[148:149], v[150:151], v[152:153]
	v_div_fixup_f64 v[148:149], v[148:149], v[144:145], v[146:147]
	s_delay_alu instid0(VALU_DEP_1) | instskip(NEXT) | instid1(VALU_DEP_1)
	v_fma_f64 v[144:145], v[146:147], v[148:149], v[144:145]
	v_div_scale_f64 v[146:147], null, v[144:145], v[144:145], 1.0
	s_delay_alu instid0(VALU_DEP_1) | instskip(SKIP_2) | instid1(VALU_DEP_1)
	v_rcp_f64_e32 v[150:151], v[146:147]
	s_waitcnt_depctr 0xfff
	v_fma_f64 v[152:153], -v[146:147], v[150:151], 1.0
	v_fma_f64 v[150:151], v[150:151], v[152:153], v[150:151]
	s_delay_alu instid0(VALU_DEP_1) | instskip(NEXT) | instid1(VALU_DEP_1)
	v_fma_f64 v[152:153], -v[146:147], v[150:151], 1.0
	v_fma_f64 v[150:151], v[150:151], v[152:153], v[150:151]
	v_div_scale_f64 v[152:153], vcc_lo, 1.0, v[144:145], 1.0
	s_delay_alu instid0(VALU_DEP_1) | instskip(NEXT) | instid1(VALU_DEP_1)
	v_mul_f64 v[154:155], v[152:153], v[150:151]
	v_fma_f64 v[146:147], -v[146:147], v[154:155], v[152:153]
	s_delay_alu instid0(VALU_DEP_1) | instskip(NEXT) | instid1(VALU_DEP_1)
	v_div_fmas_f64 v[146:147], v[146:147], v[150:151], v[154:155]
	v_div_fixup_f64 v[152:153], v[146:147], v[144:145], 1.0
	s_delay_alu instid0(VALU_DEP_1)
	v_mul_f64 v[150:151], v[148:149], -v[152:153]
.LBB71_115:
	s_or_b32 exec_lo, exec_lo, s3
	ds_store_2addr_b64 v183, v[152:153], v[150:151] offset1:1
.LBB71_116:
	s_or_b32 exec_lo, exec_lo, s4
	s_waitcnt lgkmcnt(0)
	s_barrier
	buffer_gl0_inv
	ds_load_2addr_b64 v[144:147], v183 offset1:1
	s_mov_b32 s3, exec_lo
	s_waitcnt lgkmcnt(0)
	scratch_store_b128 off, v[144:147], off offset:208 ; 16-byte Folded Spill
	v_cmpx_lt_u32_e32 12, v182
	s_cbranch_execz .LBB71_118
; %bb.117:
	scratch_load_b128 v[146:149], off, off offset:208 ; 16-byte Folded Reload
	s_waitcnt vmcnt(0)
	v_mul_f64 v[144:145], v[148:149], v[94:95]
	v_mul_f64 v[94:95], v[146:147], v[94:95]
	s_delay_alu instid0(VALU_DEP_2) | instskip(NEXT) | instid1(VALU_DEP_2)
	v_fma_f64 v[144:145], v[146:147], v[92:93], -v[144:145]
	v_fma_f64 v[94:95], v[148:149], v[92:93], v[94:95]
	ds_load_2addr_b64 v[146:149], v178 offset0:26 offset1:27
	s_waitcnt lgkmcnt(0)
	v_mul_f64 v[92:93], v[148:149], v[94:95]
	s_delay_alu instid0(VALU_DEP_1) | instskip(SKIP_1) | instid1(VALU_DEP_2)
	v_fma_f64 v[92:93], v[146:147], v[144:145], -v[92:93]
	v_mul_f64 v[146:147], v[146:147], v[94:95]
	v_add_f64 v[88:89], v[88:89], -v[92:93]
	s_delay_alu instid0(VALU_DEP_2) | instskip(NEXT) | instid1(VALU_DEP_1)
	v_fma_f64 v[146:147], v[148:149], v[144:145], v[146:147]
	v_add_f64 v[90:91], v[90:91], -v[146:147]
	ds_load_2addr_b64 v[146:149], v178 offset0:28 offset1:29
	s_waitcnt lgkmcnt(0)
	v_mul_f64 v[92:93], v[148:149], v[94:95]
	s_delay_alu instid0(VALU_DEP_1) | instskip(SKIP_1) | instid1(VALU_DEP_2)
	v_fma_f64 v[92:93], v[146:147], v[144:145], -v[92:93]
	v_mul_f64 v[146:147], v[146:147], v[94:95]
	v_add_f64 v[84:85], v[84:85], -v[92:93]
	s_delay_alu instid0(VALU_DEP_2) | instskip(NEXT) | instid1(VALU_DEP_1)
	v_fma_f64 v[146:147], v[148:149], v[144:145], v[146:147]
	v_add_f64 v[86:87], v[86:87], -v[146:147]
	;; [unrolled: 10-line block ×22, first 2 shown]
	ds_load_2addr_b64 v[146:149], v178 offset0:70 offset1:71
	s_waitcnt lgkmcnt(0)
	v_mul_f64 v[92:93], v[148:149], v[94:95]
	s_delay_alu instid0(VALU_DEP_1) | instskip(SKIP_1) | instid1(VALU_DEP_2)
	v_fma_f64 v[92:93], v[146:147], v[144:145], -v[92:93]
	v_mul_f64 v[146:147], v[146:147], v[94:95]
	v_add_f64 v[0:1], v[0:1], -v[92:93]
	s_delay_alu instid0(VALU_DEP_2) | instskip(SKIP_1) | instid1(VALU_DEP_2)
	v_fma_f64 v[146:147], v[148:149], v[144:145], v[146:147]
	v_dual_mov_b32 v92, v144 :: v_dual_mov_b32 v93, v145
	v_add_f64 v[2:3], v[2:3], -v[146:147]
.LBB71_118:
	s_or_b32 exec_lo, exec_lo, s3
	s_delay_alu instid0(SALU_CYCLE_1)
	s_mov_b32 s4, exec_lo
	s_waitcnt_vscnt null, 0x0
	s_barrier
	buffer_gl0_inv
	v_cmpx_eq_u32_e32 13, v182
	s_cbranch_execz .LBB71_125
; %bb.119:
	ds_store_2addr_b64 v183, v[88:89], v[90:91] offset1:1
	ds_store_2addr_b64 v178, v[84:85], v[86:87] offset0:28 offset1:29
	ds_store_2addr_b64 v178, v[80:81], v[82:83] offset0:30 offset1:31
	;; [unrolled: 1-line block ×22, first 2 shown]
	ds_load_2addr_b64 v[144:147], v183 offset1:1
	s_waitcnt lgkmcnt(0)
	v_cmp_neq_f64_e32 vcc_lo, 0, v[144:145]
	v_cmp_neq_f64_e64 s3, 0, v[146:147]
	s_delay_alu instid0(VALU_DEP_1) | instskip(NEXT) | instid1(SALU_CYCLE_1)
	s_or_b32 s3, vcc_lo, s3
	s_and_b32 exec_lo, exec_lo, s3
	s_cbranch_execz .LBB71_125
; %bb.120:
	v_cmp_gt_f64_e32 vcc_lo, 0, v[144:145]
	v_xor_b32_e32 v148, 0x80000000, v145
	v_xor_b32_e32 v150, 0x80000000, v147
	s_mov_b32 s3, exec_lo
                                        ; implicit-def: $vgpr152_vgpr153
	s_delay_alu instid0(VALU_DEP_2) | instskip(SKIP_4) | instid1(VALU_DEP_1)
	v_cndmask_b32_e32 v149, v145, v148, vcc_lo
	v_cndmask_b32_e32 v148, v144, v144, vcc_lo
	v_cmp_gt_f64_e32 vcc_lo, 0, v[146:147]
	v_cndmask_b32_e32 v151, v147, v150, vcc_lo
	v_cndmask_b32_e32 v150, v146, v146, vcc_lo
	v_cmpx_ngt_f64_e32 v[148:149], v[150:151]
	s_xor_b32 s3, exec_lo, s3
                                        ; implicit-def: $vgpr148_vgpr149_vgpr150_vgpr151
	s_cbranch_execz .LBB71_122
; %bb.121:
	v_div_scale_f64 v[148:149], null, v[146:147], v[146:147], v[144:145]
	v_div_scale_f64 v[154:155], vcc_lo, v[144:145], v[146:147], v[144:145]
	s_delay_alu instid0(VALU_DEP_2) | instskip(SKIP_2) | instid1(VALU_DEP_1)
	v_rcp_f64_e32 v[150:151], v[148:149]
	s_waitcnt_depctr 0xfff
	v_fma_f64 v[152:153], -v[148:149], v[150:151], 1.0
	v_fma_f64 v[150:151], v[150:151], v[152:153], v[150:151]
	s_delay_alu instid0(VALU_DEP_1) | instskip(NEXT) | instid1(VALU_DEP_1)
	v_fma_f64 v[152:153], -v[148:149], v[150:151], 1.0
	v_fma_f64 v[150:151], v[150:151], v[152:153], v[150:151]
	s_delay_alu instid0(VALU_DEP_1) | instskip(NEXT) | instid1(VALU_DEP_1)
	v_mul_f64 v[152:153], v[154:155], v[150:151]
	v_fma_f64 v[148:149], -v[148:149], v[152:153], v[154:155]
	s_delay_alu instid0(VALU_DEP_1) | instskip(NEXT) | instid1(VALU_DEP_1)
	v_div_fmas_f64 v[148:149], v[148:149], v[150:151], v[152:153]
	v_div_fixup_f64 v[148:149], v[148:149], v[146:147], v[144:145]
	s_delay_alu instid0(VALU_DEP_1) | instskip(NEXT) | instid1(VALU_DEP_1)
	v_fma_f64 v[144:145], v[144:145], v[148:149], v[146:147]
	v_div_scale_f64 v[146:147], null, v[144:145], v[144:145], 1.0
	s_delay_alu instid0(VALU_DEP_1) | instskip(SKIP_2) | instid1(VALU_DEP_1)
	v_rcp_f64_e32 v[150:151], v[146:147]
	s_waitcnt_depctr 0xfff
	v_fma_f64 v[152:153], -v[146:147], v[150:151], 1.0
	v_fma_f64 v[150:151], v[150:151], v[152:153], v[150:151]
	s_delay_alu instid0(VALU_DEP_1) | instskip(NEXT) | instid1(VALU_DEP_1)
	v_fma_f64 v[152:153], -v[146:147], v[150:151], 1.0
	v_fma_f64 v[150:151], v[150:151], v[152:153], v[150:151]
	v_div_scale_f64 v[152:153], vcc_lo, 1.0, v[144:145], 1.0
	s_delay_alu instid0(VALU_DEP_1) | instskip(NEXT) | instid1(VALU_DEP_1)
	v_mul_f64 v[154:155], v[152:153], v[150:151]
	v_fma_f64 v[146:147], -v[146:147], v[154:155], v[152:153]
	s_delay_alu instid0(VALU_DEP_1) | instskip(NEXT) | instid1(VALU_DEP_1)
	v_div_fmas_f64 v[146:147], v[146:147], v[150:151], v[154:155]
	v_div_fixup_f64 v[150:151], v[146:147], v[144:145], 1.0
                                        ; implicit-def: $vgpr144_vgpr145
	s_delay_alu instid0(VALU_DEP_1)
	v_mul_f64 v[152:153], v[148:149], v[150:151]
	v_xor_b32_e32 v151, 0x80000000, v151
.LBB71_122:
	s_and_not1_saveexec_b32 s3, s3
	s_cbranch_execz .LBB71_124
; %bb.123:
	v_div_scale_f64 v[148:149], null, v[144:145], v[144:145], v[146:147]
	v_div_scale_f64 v[154:155], vcc_lo, v[146:147], v[144:145], v[146:147]
	s_delay_alu instid0(VALU_DEP_2) | instskip(SKIP_2) | instid1(VALU_DEP_1)
	v_rcp_f64_e32 v[150:151], v[148:149]
	s_waitcnt_depctr 0xfff
	v_fma_f64 v[152:153], -v[148:149], v[150:151], 1.0
	v_fma_f64 v[150:151], v[150:151], v[152:153], v[150:151]
	s_delay_alu instid0(VALU_DEP_1) | instskip(NEXT) | instid1(VALU_DEP_1)
	v_fma_f64 v[152:153], -v[148:149], v[150:151], 1.0
	v_fma_f64 v[150:151], v[150:151], v[152:153], v[150:151]
	s_delay_alu instid0(VALU_DEP_1) | instskip(NEXT) | instid1(VALU_DEP_1)
	v_mul_f64 v[152:153], v[154:155], v[150:151]
	v_fma_f64 v[148:149], -v[148:149], v[152:153], v[154:155]
	s_delay_alu instid0(VALU_DEP_1) | instskip(NEXT) | instid1(VALU_DEP_1)
	v_div_fmas_f64 v[148:149], v[148:149], v[150:151], v[152:153]
	v_div_fixup_f64 v[148:149], v[148:149], v[144:145], v[146:147]
	s_delay_alu instid0(VALU_DEP_1) | instskip(NEXT) | instid1(VALU_DEP_1)
	v_fma_f64 v[144:145], v[146:147], v[148:149], v[144:145]
	v_div_scale_f64 v[146:147], null, v[144:145], v[144:145], 1.0
	s_delay_alu instid0(VALU_DEP_1) | instskip(SKIP_2) | instid1(VALU_DEP_1)
	v_rcp_f64_e32 v[150:151], v[146:147]
	s_waitcnt_depctr 0xfff
	v_fma_f64 v[152:153], -v[146:147], v[150:151], 1.0
	v_fma_f64 v[150:151], v[150:151], v[152:153], v[150:151]
	s_delay_alu instid0(VALU_DEP_1) | instskip(NEXT) | instid1(VALU_DEP_1)
	v_fma_f64 v[152:153], -v[146:147], v[150:151], 1.0
	v_fma_f64 v[150:151], v[150:151], v[152:153], v[150:151]
	v_div_scale_f64 v[152:153], vcc_lo, 1.0, v[144:145], 1.0
	s_delay_alu instid0(VALU_DEP_1) | instskip(NEXT) | instid1(VALU_DEP_1)
	v_mul_f64 v[154:155], v[152:153], v[150:151]
	v_fma_f64 v[146:147], -v[146:147], v[154:155], v[152:153]
	s_delay_alu instid0(VALU_DEP_1) | instskip(NEXT) | instid1(VALU_DEP_1)
	v_div_fmas_f64 v[146:147], v[146:147], v[150:151], v[154:155]
	v_div_fixup_f64 v[152:153], v[146:147], v[144:145], 1.0
	s_delay_alu instid0(VALU_DEP_1)
	v_mul_f64 v[150:151], v[148:149], -v[152:153]
.LBB71_124:
	s_or_b32 exec_lo, exec_lo, s3
	ds_store_2addr_b64 v183, v[152:153], v[150:151] offset1:1
.LBB71_125:
	s_or_b32 exec_lo, exec_lo, s4
	s_waitcnt lgkmcnt(0)
	s_barrier
	buffer_gl0_inv
	ds_load_2addr_b64 v[144:147], v183 offset1:1
	s_mov_b32 s3, exec_lo
	s_waitcnt lgkmcnt(0)
	scratch_store_b128 off, v[144:147], off offset:224 ; 16-byte Folded Spill
	v_cmpx_lt_u32_e32 13, v182
	s_cbranch_execz .LBB71_127
; %bb.126:
	scratch_load_b128 v[146:149], off, off offset:224 ; 16-byte Folded Reload
	s_waitcnt vmcnt(0)
	v_mul_f64 v[144:145], v[148:149], v[90:91]
	v_mul_f64 v[90:91], v[146:147], v[90:91]
	s_delay_alu instid0(VALU_DEP_2) | instskip(NEXT) | instid1(VALU_DEP_2)
	v_fma_f64 v[144:145], v[146:147], v[88:89], -v[144:145]
	v_fma_f64 v[90:91], v[148:149], v[88:89], v[90:91]
	ds_load_2addr_b64 v[146:149], v178 offset0:28 offset1:29
	s_waitcnt lgkmcnt(0)
	v_mul_f64 v[88:89], v[148:149], v[90:91]
	s_delay_alu instid0(VALU_DEP_1) | instskip(SKIP_1) | instid1(VALU_DEP_2)
	v_fma_f64 v[88:89], v[146:147], v[144:145], -v[88:89]
	v_mul_f64 v[146:147], v[146:147], v[90:91]
	v_add_f64 v[84:85], v[84:85], -v[88:89]
	s_delay_alu instid0(VALU_DEP_2) | instskip(NEXT) | instid1(VALU_DEP_1)
	v_fma_f64 v[146:147], v[148:149], v[144:145], v[146:147]
	v_add_f64 v[86:87], v[86:87], -v[146:147]
	ds_load_2addr_b64 v[146:149], v178 offset0:30 offset1:31
	s_waitcnt lgkmcnt(0)
	v_mul_f64 v[88:89], v[148:149], v[90:91]
	s_delay_alu instid0(VALU_DEP_1) | instskip(SKIP_1) | instid1(VALU_DEP_2)
	v_fma_f64 v[88:89], v[146:147], v[144:145], -v[88:89]
	v_mul_f64 v[146:147], v[146:147], v[90:91]
	v_add_f64 v[80:81], v[80:81], -v[88:89]
	s_delay_alu instid0(VALU_DEP_2) | instskip(NEXT) | instid1(VALU_DEP_1)
	v_fma_f64 v[146:147], v[148:149], v[144:145], v[146:147]
	v_add_f64 v[82:83], v[82:83], -v[146:147]
	;; [unrolled: 10-line block ×21, first 2 shown]
	ds_load_2addr_b64 v[146:149], v178 offset0:70 offset1:71
	s_waitcnt lgkmcnt(0)
	v_mul_f64 v[88:89], v[148:149], v[90:91]
	s_delay_alu instid0(VALU_DEP_1) | instskip(SKIP_1) | instid1(VALU_DEP_2)
	v_fma_f64 v[88:89], v[146:147], v[144:145], -v[88:89]
	v_mul_f64 v[146:147], v[146:147], v[90:91]
	v_add_f64 v[0:1], v[0:1], -v[88:89]
	s_delay_alu instid0(VALU_DEP_2) | instskip(SKIP_1) | instid1(VALU_DEP_2)
	v_fma_f64 v[146:147], v[148:149], v[144:145], v[146:147]
	v_dual_mov_b32 v88, v144 :: v_dual_mov_b32 v89, v145
	v_add_f64 v[2:3], v[2:3], -v[146:147]
.LBB71_127:
	s_or_b32 exec_lo, exec_lo, s3
	s_delay_alu instid0(SALU_CYCLE_1)
	s_mov_b32 s4, exec_lo
	s_waitcnt_vscnt null, 0x0
	s_barrier
	buffer_gl0_inv
	v_cmpx_eq_u32_e32 14, v182
	s_cbranch_execz .LBB71_134
; %bb.128:
	ds_store_2addr_b64 v183, v[84:85], v[86:87] offset1:1
	ds_store_2addr_b64 v178, v[80:81], v[82:83] offset0:30 offset1:31
	ds_store_2addr_b64 v178, v[76:77], v[78:79] offset0:32 offset1:33
	;; [unrolled: 1-line block ×21, first 2 shown]
	ds_load_2addr_b64 v[144:147], v183 offset1:1
	s_waitcnt lgkmcnt(0)
	v_cmp_neq_f64_e32 vcc_lo, 0, v[144:145]
	v_cmp_neq_f64_e64 s3, 0, v[146:147]
	s_delay_alu instid0(VALU_DEP_1) | instskip(NEXT) | instid1(SALU_CYCLE_1)
	s_or_b32 s3, vcc_lo, s3
	s_and_b32 exec_lo, exec_lo, s3
	s_cbranch_execz .LBB71_134
; %bb.129:
	v_cmp_gt_f64_e32 vcc_lo, 0, v[144:145]
	v_xor_b32_e32 v148, 0x80000000, v145
	v_xor_b32_e32 v150, 0x80000000, v147
	s_mov_b32 s3, exec_lo
                                        ; implicit-def: $vgpr152_vgpr153
	s_delay_alu instid0(VALU_DEP_2) | instskip(SKIP_4) | instid1(VALU_DEP_1)
	v_cndmask_b32_e32 v149, v145, v148, vcc_lo
	v_cndmask_b32_e32 v148, v144, v144, vcc_lo
	v_cmp_gt_f64_e32 vcc_lo, 0, v[146:147]
	v_cndmask_b32_e32 v151, v147, v150, vcc_lo
	v_cndmask_b32_e32 v150, v146, v146, vcc_lo
	v_cmpx_ngt_f64_e32 v[148:149], v[150:151]
	s_xor_b32 s3, exec_lo, s3
                                        ; implicit-def: $vgpr148_vgpr149_vgpr150_vgpr151
	s_cbranch_execz .LBB71_131
; %bb.130:
	v_div_scale_f64 v[148:149], null, v[146:147], v[146:147], v[144:145]
	v_div_scale_f64 v[154:155], vcc_lo, v[144:145], v[146:147], v[144:145]
	s_delay_alu instid0(VALU_DEP_2) | instskip(SKIP_2) | instid1(VALU_DEP_1)
	v_rcp_f64_e32 v[150:151], v[148:149]
	s_waitcnt_depctr 0xfff
	v_fma_f64 v[152:153], -v[148:149], v[150:151], 1.0
	v_fma_f64 v[150:151], v[150:151], v[152:153], v[150:151]
	s_delay_alu instid0(VALU_DEP_1) | instskip(NEXT) | instid1(VALU_DEP_1)
	v_fma_f64 v[152:153], -v[148:149], v[150:151], 1.0
	v_fma_f64 v[150:151], v[150:151], v[152:153], v[150:151]
	s_delay_alu instid0(VALU_DEP_1) | instskip(NEXT) | instid1(VALU_DEP_1)
	v_mul_f64 v[152:153], v[154:155], v[150:151]
	v_fma_f64 v[148:149], -v[148:149], v[152:153], v[154:155]
	s_delay_alu instid0(VALU_DEP_1) | instskip(NEXT) | instid1(VALU_DEP_1)
	v_div_fmas_f64 v[148:149], v[148:149], v[150:151], v[152:153]
	v_div_fixup_f64 v[148:149], v[148:149], v[146:147], v[144:145]
	s_delay_alu instid0(VALU_DEP_1) | instskip(NEXT) | instid1(VALU_DEP_1)
	v_fma_f64 v[144:145], v[144:145], v[148:149], v[146:147]
	v_div_scale_f64 v[146:147], null, v[144:145], v[144:145], 1.0
	s_delay_alu instid0(VALU_DEP_1) | instskip(SKIP_2) | instid1(VALU_DEP_1)
	v_rcp_f64_e32 v[150:151], v[146:147]
	s_waitcnt_depctr 0xfff
	v_fma_f64 v[152:153], -v[146:147], v[150:151], 1.0
	v_fma_f64 v[150:151], v[150:151], v[152:153], v[150:151]
	s_delay_alu instid0(VALU_DEP_1) | instskip(NEXT) | instid1(VALU_DEP_1)
	v_fma_f64 v[152:153], -v[146:147], v[150:151], 1.0
	v_fma_f64 v[150:151], v[150:151], v[152:153], v[150:151]
	v_div_scale_f64 v[152:153], vcc_lo, 1.0, v[144:145], 1.0
	s_delay_alu instid0(VALU_DEP_1) | instskip(NEXT) | instid1(VALU_DEP_1)
	v_mul_f64 v[154:155], v[152:153], v[150:151]
	v_fma_f64 v[146:147], -v[146:147], v[154:155], v[152:153]
	s_delay_alu instid0(VALU_DEP_1) | instskip(NEXT) | instid1(VALU_DEP_1)
	v_div_fmas_f64 v[146:147], v[146:147], v[150:151], v[154:155]
	v_div_fixup_f64 v[150:151], v[146:147], v[144:145], 1.0
                                        ; implicit-def: $vgpr144_vgpr145
	s_delay_alu instid0(VALU_DEP_1)
	v_mul_f64 v[152:153], v[148:149], v[150:151]
	v_xor_b32_e32 v151, 0x80000000, v151
.LBB71_131:
	s_and_not1_saveexec_b32 s3, s3
	s_cbranch_execz .LBB71_133
; %bb.132:
	v_div_scale_f64 v[148:149], null, v[144:145], v[144:145], v[146:147]
	v_div_scale_f64 v[154:155], vcc_lo, v[146:147], v[144:145], v[146:147]
	s_delay_alu instid0(VALU_DEP_2) | instskip(SKIP_2) | instid1(VALU_DEP_1)
	v_rcp_f64_e32 v[150:151], v[148:149]
	s_waitcnt_depctr 0xfff
	v_fma_f64 v[152:153], -v[148:149], v[150:151], 1.0
	v_fma_f64 v[150:151], v[150:151], v[152:153], v[150:151]
	s_delay_alu instid0(VALU_DEP_1) | instskip(NEXT) | instid1(VALU_DEP_1)
	v_fma_f64 v[152:153], -v[148:149], v[150:151], 1.0
	v_fma_f64 v[150:151], v[150:151], v[152:153], v[150:151]
	s_delay_alu instid0(VALU_DEP_1) | instskip(NEXT) | instid1(VALU_DEP_1)
	v_mul_f64 v[152:153], v[154:155], v[150:151]
	v_fma_f64 v[148:149], -v[148:149], v[152:153], v[154:155]
	s_delay_alu instid0(VALU_DEP_1) | instskip(NEXT) | instid1(VALU_DEP_1)
	v_div_fmas_f64 v[148:149], v[148:149], v[150:151], v[152:153]
	v_div_fixup_f64 v[148:149], v[148:149], v[144:145], v[146:147]
	s_delay_alu instid0(VALU_DEP_1) | instskip(NEXT) | instid1(VALU_DEP_1)
	v_fma_f64 v[144:145], v[146:147], v[148:149], v[144:145]
	v_div_scale_f64 v[146:147], null, v[144:145], v[144:145], 1.0
	s_delay_alu instid0(VALU_DEP_1) | instskip(SKIP_2) | instid1(VALU_DEP_1)
	v_rcp_f64_e32 v[150:151], v[146:147]
	s_waitcnt_depctr 0xfff
	v_fma_f64 v[152:153], -v[146:147], v[150:151], 1.0
	v_fma_f64 v[150:151], v[150:151], v[152:153], v[150:151]
	s_delay_alu instid0(VALU_DEP_1) | instskip(NEXT) | instid1(VALU_DEP_1)
	v_fma_f64 v[152:153], -v[146:147], v[150:151], 1.0
	v_fma_f64 v[150:151], v[150:151], v[152:153], v[150:151]
	v_div_scale_f64 v[152:153], vcc_lo, 1.0, v[144:145], 1.0
	s_delay_alu instid0(VALU_DEP_1) | instskip(NEXT) | instid1(VALU_DEP_1)
	v_mul_f64 v[154:155], v[152:153], v[150:151]
	v_fma_f64 v[146:147], -v[146:147], v[154:155], v[152:153]
	s_delay_alu instid0(VALU_DEP_1) | instskip(NEXT) | instid1(VALU_DEP_1)
	v_div_fmas_f64 v[146:147], v[146:147], v[150:151], v[154:155]
	v_div_fixup_f64 v[152:153], v[146:147], v[144:145], 1.0
	s_delay_alu instid0(VALU_DEP_1)
	v_mul_f64 v[150:151], v[148:149], -v[152:153]
.LBB71_133:
	s_or_b32 exec_lo, exec_lo, s3
	ds_store_2addr_b64 v183, v[152:153], v[150:151] offset1:1
.LBB71_134:
	s_or_b32 exec_lo, exec_lo, s4
	s_waitcnt lgkmcnt(0)
	s_barrier
	buffer_gl0_inv
	ds_load_2addr_b64 v[144:147], v183 offset1:1
	s_mov_b32 s3, exec_lo
	s_waitcnt lgkmcnt(0)
	scratch_store_b128 off, v[144:147], off offset:240 ; 16-byte Folded Spill
	v_cmpx_lt_u32_e32 14, v182
	s_cbranch_execz .LBB71_136
; %bb.135:
	scratch_load_b128 v[146:149], off, off offset:240 ; 16-byte Folded Reload
	s_waitcnt vmcnt(0)
	v_mul_f64 v[144:145], v[148:149], v[86:87]
	v_mul_f64 v[86:87], v[146:147], v[86:87]
	s_delay_alu instid0(VALU_DEP_2) | instskip(NEXT) | instid1(VALU_DEP_2)
	v_fma_f64 v[144:145], v[146:147], v[84:85], -v[144:145]
	v_fma_f64 v[86:87], v[148:149], v[84:85], v[86:87]
	ds_load_2addr_b64 v[146:149], v178 offset0:30 offset1:31
	s_waitcnt lgkmcnt(0)
	v_mul_f64 v[84:85], v[148:149], v[86:87]
	s_delay_alu instid0(VALU_DEP_1) | instskip(SKIP_1) | instid1(VALU_DEP_2)
	v_fma_f64 v[84:85], v[146:147], v[144:145], -v[84:85]
	v_mul_f64 v[146:147], v[146:147], v[86:87]
	v_add_f64 v[80:81], v[80:81], -v[84:85]
	s_delay_alu instid0(VALU_DEP_2) | instskip(NEXT) | instid1(VALU_DEP_1)
	v_fma_f64 v[146:147], v[148:149], v[144:145], v[146:147]
	v_add_f64 v[82:83], v[82:83], -v[146:147]
	ds_load_2addr_b64 v[146:149], v178 offset0:32 offset1:33
	s_waitcnt lgkmcnt(0)
	v_mul_f64 v[84:85], v[148:149], v[86:87]
	s_delay_alu instid0(VALU_DEP_1) | instskip(SKIP_1) | instid1(VALU_DEP_2)
	v_fma_f64 v[84:85], v[146:147], v[144:145], -v[84:85]
	v_mul_f64 v[146:147], v[146:147], v[86:87]
	v_add_f64 v[76:77], v[76:77], -v[84:85]
	s_delay_alu instid0(VALU_DEP_2) | instskip(NEXT) | instid1(VALU_DEP_1)
	v_fma_f64 v[146:147], v[148:149], v[144:145], v[146:147]
	v_add_f64 v[78:79], v[78:79], -v[146:147]
	;; [unrolled: 10-line block ×20, first 2 shown]
	ds_load_2addr_b64 v[146:149], v178 offset0:70 offset1:71
	s_waitcnt lgkmcnt(0)
	v_mul_f64 v[84:85], v[148:149], v[86:87]
	s_delay_alu instid0(VALU_DEP_1) | instskip(SKIP_1) | instid1(VALU_DEP_2)
	v_fma_f64 v[84:85], v[146:147], v[144:145], -v[84:85]
	v_mul_f64 v[146:147], v[146:147], v[86:87]
	v_add_f64 v[0:1], v[0:1], -v[84:85]
	s_delay_alu instid0(VALU_DEP_2) | instskip(SKIP_1) | instid1(VALU_DEP_2)
	v_fma_f64 v[146:147], v[148:149], v[144:145], v[146:147]
	v_dual_mov_b32 v84, v144 :: v_dual_mov_b32 v85, v145
	v_add_f64 v[2:3], v[2:3], -v[146:147]
.LBB71_136:
	s_or_b32 exec_lo, exec_lo, s3
	s_delay_alu instid0(SALU_CYCLE_1)
	s_mov_b32 s4, exec_lo
	s_waitcnt_vscnt null, 0x0
	s_barrier
	buffer_gl0_inv
	v_cmpx_eq_u32_e32 15, v182
	s_cbranch_execz .LBB71_143
; %bb.137:
	ds_store_2addr_b64 v183, v[80:81], v[82:83] offset1:1
	ds_store_2addr_b64 v178, v[76:77], v[78:79] offset0:32 offset1:33
	ds_store_2addr_b64 v178, v[72:73], v[74:75] offset0:34 offset1:35
	;; [unrolled: 1-line block ×20, first 2 shown]
	ds_load_2addr_b64 v[144:147], v183 offset1:1
	s_waitcnt lgkmcnt(0)
	v_cmp_neq_f64_e32 vcc_lo, 0, v[144:145]
	v_cmp_neq_f64_e64 s3, 0, v[146:147]
	s_delay_alu instid0(VALU_DEP_1) | instskip(NEXT) | instid1(SALU_CYCLE_1)
	s_or_b32 s3, vcc_lo, s3
	s_and_b32 exec_lo, exec_lo, s3
	s_cbranch_execz .LBB71_143
; %bb.138:
	v_cmp_gt_f64_e32 vcc_lo, 0, v[144:145]
	v_xor_b32_e32 v148, 0x80000000, v145
	v_xor_b32_e32 v150, 0x80000000, v147
	s_mov_b32 s3, exec_lo
                                        ; implicit-def: $vgpr152_vgpr153
	s_delay_alu instid0(VALU_DEP_2) | instskip(SKIP_4) | instid1(VALU_DEP_1)
	v_cndmask_b32_e32 v149, v145, v148, vcc_lo
	v_cndmask_b32_e32 v148, v144, v144, vcc_lo
	v_cmp_gt_f64_e32 vcc_lo, 0, v[146:147]
	v_cndmask_b32_e32 v151, v147, v150, vcc_lo
	v_cndmask_b32_e32 v150, v146, v146, vcc_lo
	v_cmpx_ngt_f64_e32 v[148:149], v[150:151]
	s_xor_b32 s3, exec_lo, s3
                                        ; implicit-def: $vgpr148_vgpr149_vgpr150_vgpr151
	s_cbranch_execz .LBB71_140
; %bb.139:
	v_div_scale_f64 v[148:149], null, v[146:147], v[146:147], v[144:145]
	v_div_scale_f64 v[154:155], vcc_lo, v[144:145], v[146:147], v[144:145]
	s_delay_alu instid0(VALU_DEP_2) | instskip(SKIP_2) | instid1(VALU_DEP_1)
	v_rcp_f64_e32 v[150:151], v[148:149]
	s_waitcnt_depctr 0xfff
	v_fma_f64 v[152:153], -v[148:149], v[150:151], 1.0
	v_fma_f64 v[150:151], v[150:151], v[152:153], v[150:151]
	s_delay_alu instid0(VALU_DEP_1) | instskip(NEXT) | instid1(VALU_DEP_1)
	v_fma_f64 v[152:153], -v[148:149], v[150:151], 1.0
	v_fma_f64 v[150:151], v[150:151], v[152:153], v[150:151]
	s_delay_alu instid0(VALU_DEP_1) | instskip(NEXT) | instid1(VALU_DEP_1)
	v_mul_f64 v[152:153], v[154:155], v[150:151]
	v_fma_f64 v[148:149], -v[148:149], v[152:153], v[154:155]
	s_delay_alu instid0(VALU_DEP_1) | instskip(NEXT) | instid1(VALU_DEP_1)
	v_div_fmas_f64 v[148:149], v[148:149], v[150:151], v[152:153]
	v_div_fixup_f64 v[148:149], v[148:149], v[146:147], v[144:145]
	s_delay_alu instid0(VALU_DEP_1) | instskip(NEXT) | instid1(VALU_DEP_1)
	v_fma_f64 v[144:145], v[144:145], v[148:149], v[146:147]
	v_div_scale_f64 v[146:147], null, v[144:145], v[144:145], 1.0
	s_delay_alu instid0(VALU_DEP_1) | instskip(SKIP_2) | instid1(VALU_DEP_1)
	v_rcp_f64_e32 v[150:151], v[146:147]
	s_waitcnt_depctr 0xfff
	v_fma_f64 v[152:153], -v[146:147], v[150:151], 1.0
	v_fma_f64 v[150:151], v[150:151], v[152:153], v[150:151]
	s_delay_alu instid0(VALU_DEP_1) | instskip(NEXT) | instid1(VALU_DEP_1)
	v_fma_f64 v[152:153], -v[146:147], v[150:151], 1.0
	v_fma_f64 v[150:151], v[150:151], v[152:153], v[150:151]
	v_div_scale_f64 v[152:153], vcc_lo, 1.0, v[144:145], 1.0
	s_delay_alu instid0(VALU_DEP_1) | instskip(NEXT) | instid1(VALU_DEP_1)
	v_mul_f64 v[154:155], v[152:153], v[150:151]
	v_fma_f64 v[146:147], -v[146:147], v[154:155], v[152:153]
	s_delay_alu instid0(VALU_DEP_1) | instskip(NEXT) | instid1(VALU_DEP_1)
	v_div_fmas_f64 v[146:147], v[146:147], v[150:151], v[154:155]
	v_div_fixup_f64 v[150:151], v[146:147], v[144:145], 1.0
                                        ; implicit-def: $vgpr144_vgpr145
	s_delay_alu instid0(VALU_DEP_1)
	v_mul_f64 v[152:153], v[148:149], v[150:151]
	v_xor_b32_e32 v151, 0x80000000, v151
.LBB71_140:
	s_and_not1_saveexec_b32 s3, s3
	s_cbranch_execz .LBB71_142
; %bb.141:
	v_div_scale_f64 v[148:149], null, v[144:145], v[144:145], v[146:147]
	v_div_scale_f64 v[154:155], vcc_lo, v[146:147], v[144:145], v[146:147]
	s_delay_alu instid0(VALU_DEP_2) | instskip(SKIP_2) | instid1(VALU_DEP_1)
	v_rcp_f64_e32 v[150:151], v[148:149]
	s_waitcnt_depctr 0xfff
	v_fma_f64 v[152:153], -v[148:149], v[150:151], 1.0
	v_fma_f64 v[150:151], v[150:151], v[152:153], v[150:151]
	s_delay_alu instid0(VALU_DEP_1) | instskip(NEXT) | instid1(VALU_DEP_1)
	v_fma_f64 v[152:153], -v[148:149], v[150:151], 1.0
	v_fma_f64 v[150:151], v[150:151], v[152:153], v[150:151]
	s_delay_alu instid0(VALU_DEP_1) | instskip(NEXT) | instid1(VALU_DEP_1)
	v_mul_f64 v[152:153], v[154:155], v[150:151]
	v_fma_f64 v[148:149], -v[148:149], v[152:153], v[154:155]
	s_delay_alu instid0(VALU_DEP_1) | instskip(NEXT) | instid1(VALU_DEP_1)
	v_div_fmas_f64 v[148:149], v[148:149], v[150:151], v[152:153]
	v_div_fixup_f64 v[148:149], v[148:149], v[144:145], v[146:147]
	s_delay_alu instid0(VALU_DEP_1) | instskip(NEXT) | instid1(VALU_DEP_1)
	v_fma_f64 v[144:145], v[146:147], v[148:149], v[144:145]
	v_div_scale_f64 v[146:147], null, v[144:145], v[144:145], 1.0
	s_delay_alu instid0(VALU_DEP_1) | instskip(SKIP_2) | instid1(VALU_DEP_1)
	v_rcp_f64_e32 v[150:151], v[146:147]
	s_waitcnt_depctr 0xfff
	v_fma_f64 v[152:153], -v[146:147], v[150:151], 1.0
	v_fma_f64 v[150:151], v[150:151], v[152:153], v[150:151]
	s_delay_alu instid0(VALU_DEP_1) | instskip(NEXT) | instid1(VALU_DEP_1)
	v_fma_f64 v[152:153], -v[146:147], v[150:151], 1.0
	v_fma_f64 v[150:151], v[150:151], v[152:153], v[150:151]
	v_div_scale_f64 v[152:153], vcc_lo, 1.0, v[144:145], 1.0
	s_delay_alu instid0(VALU_DEP_1) | instskip(NEXT) | instid1(VALU_DEP_1)
	v_mul_f64 v[154:155], v[152:153], v[150:151]
	v_fma_f64 v[146:147], -v[146:147], v[154:155], v[152:153]
	s_delay_alu instid0(VALU_DEP_1) | instskip(NEXT) | instid1(VALU_DEP_1)
	v_div_fmas_f64 v[146:147], v[146:147], v[150:151], v[154:155]
	v_div_fixup_f64 v[152:153], v[146:147], v[144:145], 1.0
	s_delay_alu instid0(VALU_DEP_1)
	v_mul_f64 v[150:151], v[148:149], -v[152:153]
.LBB71_142:
	s_or_b32 exec_lo, exec_lo, s3
	ds_store_2addr_b64 v183, v[152:153], v[150:151] offset1:1
.LBB71_143:
	s_or_b32 exec_lo, exec_lo, s4
	s_waitcnt lgkmcnt(0)
	s_barrier
	buffer_gl0_inv
	ds_load_2addr_b64 v[144:147], v183 offset1:1
	s_mov_b32 s3, exec_lo
	s_waitcnt lgkmcnt(0)
	scratch_store_b128 off, v[144:147], off offset:256 ; 16-byte Folded Spill
	v_cmpx_lt_u32_e32 15, v182
	s_cbranch_execz .LBB71_145
; %bb.144:
	scratch_load_b128 v[146:149], off, off offset:256 ; 16-byte Folded Reload
	s_waitcnt vmcnt(0)
	v_mul_f64 v[144:145], v[148:149], v[82:83]
	v_mul_f64 v[82:83], v[146:147], v[82:83]
	s_delay_alu instid0(VALU_DEP_2) | instskip(NEXT) | instid1(VALU_DEP_2)
	v_fma_f64 v[144:145], v[146:147], v[80:81], -v[144:145]
	v_fma_f64 v[82:83], v[148:149], v[80:81], v[82:83]
	ds_load_2addr_b64 v[146:149], v178 offset0:32 offset1:33
	s_waitcnt lgkmcnt(0)
	v_mul_f64 v[80:81], v[148:149], v[82:83]
	s_delay_alu instid0(VALU_DEP_1) | instskip(SKIP_1) | instid1(VALU_DEP_2)
	v_fma_f64 v[80:81], v[146:147], v[144:145], -v[80:81]
	v_mul_f64 v[146:147], v[146:147], v[82:83]
	v_add_f64 v[76:77], v[76:77], -v[80:81]
	s_delay_alu instid0(VALU_DEP_2) | instskip(NEXT) | instid1(VALU_DEP_1)
	v_fma_f64 v[146:147], v[148:149], v[144:145], v[146:147]
	v_add_f64 v[78:79], v[78:79], -v[146:147]
	ds_load_2addr_b64 v[146:149], v178 offset0:34 offset1:35
	s_waitcnt lgkmcnt(0)
	v_mul_f64 v[80:81], v[148:149], v[82:83]
	s_delay_alu instid0(VALU_DEP_1) | instskip(SKIP_1) | instid1(VALU_DEP_2)
	v_fma_f64 v[80:81], v[146:147], v[144:145], -v[80:81]
	v_mul_f64 v[146:147], v[146:147], v[82:83]
	v_add_f64 v[72:73], v[72:73], -v[80:81]
	s_delay_alu instid0(VALU_DEP_2) | instskip(NEXT) | instid1(VALU_DEP_1)
	v_fma_f64 v[146:147], v[148:149], v[144:145], v[146:147]
	v_add_f64 v[74:75], v[74:75], -v[146:147]
	;; [unrolled: 10-line block ×19, first 2 shown]
	ds_load_2addr_b64 v[146:149], v178 offset0:70 offset1:71
	s_waitcnt lgkmcnt(0)
	v_mul_f64 v[80:81], v[148:149], v[82:83]
	s_delay_alu instid0(VALU_DEP_1) | instskip(SKIP_1) | instid1(VALU_DEP_2)
	v_fma_f64 v[80:81], v[146:147], v[144:145], -v[80:81]
	v_mul_f64 v[146:147], v[146:147], v[82:83]
	v_add_f64 v[0:1], v[0:1], -v[80:81]
	s_delay_alu instid0(VALU_DEP_2) | instskip(SKIP_1) | instid1(VALU_DEP_2)
	v_fma_f64 v[146:147], v[148:149], v[144:145], v[146:147]
	v_dual_mov_b32 v80, v144 :: v_dual_mov_b32 v81, v145
	v_add_f64 v[2:3], v[2:3], -v[146:147]
.LBB71_145:
	s_or_b32 exec_lo, exec_lo, s3
	s_delay_alu instid0(SALU_CYCLE_1)
	s_mov_b32 s4, exec_lo
	s_waitcnt_vscnt null, 0x0
	s_barrier
	buffer_gl0_inv
	v_cmpx_eq_u32_e32 16, v182
	s_cbranch_execz .LBB71_152
; %bb.146:
	ds_store_2addr_b64 v183, v[76:77], v[78:79] offset1:1
	ds_store_2addr_b64 v178, v[72:73], v[74:75] offset0:34 offset1:35
	ds_store_2addr_b64 v178, v[68:69], v[70:71] offset0:36 offset1:37
	;; [unrolled: 1-line block ×19, first 2 shown]
	ds_load_2addr_b64 v[144:147], v183 offset1:1
	s_waitcnt lgkmcnt(0)
	v_cmp_neq_f64_e32 vcc_lo, 0, v[144:145]
	v_cmp_neq_f64_e64 s3, 0, v[146:147]
	s_delay_alu instid0(VALU_DEP_1) | instskip(NEXT) | instid1(SALU_CYCLE_1)
	s_or_b32 s3, vcc_lo, s3
	s_and_b32 exec_lo, exec_lo, s3
	s_cbranch_execz .LBB71_152
; %bb.147:
	v_cmp_gt_f64_e32 vcc_lo, 0, v[144:145]
	v_xor_b32_e32 v148, 0x80000000, v145
	v_xor_b32_e32 v150, 0x80000000, v147
	s_mov_b32 s3, exec_lo
                                        ; implicit-def: $vgpr152_vgpr153
	s_delay_alu instid0(VALU_DEP_2) | instskip(SKIP_4) | instid1(VALU_DEP_1)
	v_cndmask_b32_e32 v149, v145, v148, vcc_lo
	v_cndmask_b32_e32 v148, v144, v144, vcc_lo
	v_cmp_gt_f64_e32 vcc_lo, 0, v[146:147]
	v_cndmask_b32_e32 v151, v147, v150, vcc_lo
	v_cndmask_b32_e32 v150, v146, v146, vcc_lo
	v_cmpx_ngt_f64_e32 v[148:149], v[150:151]
	s_xor_b32 s3, exec_lo, s3
                                        ; implicit-def: $vgpr148_vgpr149_vgpr150_vgpr151
	s_cbranch_execz .LBB71_149
; %bb.148:
	v_div_scale_f64 v[148:149], null, v[146:147], v[146:147], v[144:145]
	v_div_scale_f64 v[154:155], vcc_lo, v[144:145], v[146:147], v[144:145]
	s_delay_alu instid0(VALU_DEP_2) | instskip(SKIP_2) | instid1(VALU_DEP_1)
	v_rcp_f64_e32 v[150:151], v[148:149]
	s_waitcnt_depctr 0xfff
	v_fma_f64 v[152:153], -v[148:149], v[150:151], 1.0
	v_fma_f64 v[150:151], v[150:151], v[152:153], v[150:151]
	s_delay_alu instid0(VALU_DEP_1) | instskip(NEXT) | instid1(VALU_DEP_1)
	v_fma_f64 v[152:153], -v[148:149], v[150:151], 1.0
	v_fma_f64 v[150:151], v[150:151], v[152:153], v[150:151]
	s_delay_alu instid0(VALU_DEP_1) | instskip(NEXT) | instid1(VALU_DEP_1)
	v_mul_f64 v[152:153], v[154:155], v[150:151]
	v_fma_f64 v[148:149], -v[148:149], v[152:153], v[154:155]
	s_delay_alu instid0(VALU_DEP_1) | instskip(NEXT) | instid1(VALU_DEP_1)
	v_div_fmas_f64 v[148:149], v[148:149], v[150:151], v[152:153]
	v_div_fixup_f64 v[148:149], v[148:149], v[146:147], v[144:145]
	s_delay_alu instid0(VALU_DEP_1) | instskip(NEXT) | instid1(VALU_DEP_1)
	v_fma_f64 v[144:145], v[144:145], v[148:149], v[146:147]
	v_div_scale_f64 v[146:147], null, v[144:145], v[144:145], 1.0
	s_delay_alu instid0(VALU_DEP_1) | instskip(SKIP_2) | instid1(VALU_DEP_1)
	v_rcp_f64_e32 v[150:151], v[146:147]
	s_waitcnt_depctr 0xfff
	v_fma_f64 v[152:153], -v[146:147], v[150:151], 1.0
	v_fma_f64 v[150:151], v[150:151], v[152:153], v[150:151]
	s_delay_alu instid0(VALU_DEP_1) | instskip(NEXT) | instid1(VALU_DEP_1)
	v_fma_f64 v[152:153], -v[146:147], v[150:151], 1.0
	v_fma_f64 v[150:151], v[150:151], v[152:153], v[150:151]
	v_div_scale_f64 v[152:153], vcc_lo, 1.0, v[144:145], 1.0
	s_delay_alu instid0(VALU_DEP_1) | instskip(NEXT) | instid1(VALU_DEP_1)
	v_mul_f64 v[154:155], v[152:153], v[150:151]
	v_fma_f64 v[146:147], -v[146:147], v[154:155], v[152:153]
	s_delay_alu instid0(VALU_DEP_1) | instskip(NEXT) | instid1(VALU_DEP_1)
	v_div_fmas_f64 v[146:147], v[146:147], v[150:151], v[154:155]
	v_div_fixup_f64 v[150:151], v[146:147], v[144:145], 1.0
                                        ; implicit-def: $vgpr144_vgpr145
	s_delay_alu instid0(VALU_DEP_1)
	v_mul_f64 v[152:153], v[148:149], v[150:151]
	v_xor_b32_e32 v151, 0x80000000, v151
.LBB71_149:
	s_and_not1_saveexec_b32 s3, s3
	s_cbranch_execz .LBB71_151
; %bb.150:
	v_div_scale_f64 v[148:149], null, v[144:145], v[144:145], v[146:147]
	v_div_scale_f64 v[154:155], vcc_lo, v[146:147], v[144:145], v[146:147]
	s_delay_alu instid0(VALU_DEP_2) | instskip(SKIP_2) | instid1(VALU_DEP_1)
	v_rcp_f64_e32 v[150:151], v[148:149]
	s_waitcnt_depctr 0xfff
	v_fma_f64 v[152:153], -v[148:149], v[150:151], 1.0
	v_fma_f64 v[150:151], v[150:151], v[152:153], v[150:151]
	s_delay_alu instid0(VALU_DEP_1) | instskip(NEXT) | instid1(VALU_DEP_1)
	v_fma_f64 v[152:153], -v[148:149], v[150:151], 1.0
	v_fma_f64 v[150:151], v[150:151], v[152:153], v[150:151]
	s_delay_alu instid0(VALU_DEP_1) | instskip(NEXT) | instid1(VALU_DEP_1)
	v_mul_f64 v[152:153], v[154:155], v[150:151]
	v_fma_f64 v[148:149], -v[148:149], v[152:153], v[154:155]
	s_delay_alu instid0(VALU_DEP_1) | instskip(NEXT) | instid1(VALU_DEP_1)
	v_div_fmas_f64 v[148:149], v[148:149], v[150:151], v[152:153]
	v_div_fixup_f64 v[148:149], v[148:149], v[144:145], v[146:147]
	s_delay_alu instid0(VALU_DEP_1) | instskip(NEXT) | instid1(VALU_DEP_1)
	v_fma_f64 v[144:145], v[146:147], v[148:149], v[144:145]
	v_div_scale_f64 v[146:147], null, v[144:145], v[144:145], 1.0
	s_delay_alu instid0(VALU_DEP_1) | instskip(SKIP_2) | instid1(VALU_DEP_1)
	v_rcp_f64_e32 v[150:151], v[146:147]
	s_waitcnt_depctr 0xfff
	v_fma_f64 v[152:153], -v[146:147], v[150:151], 1.0
	v_fma_f64 v[150:151], v[150:151], v[152:153], v[150:151]
	s_delay_alu instid0(VALU_DEP_1) | instskip(NEXT) | instid1(VALU_DEP_1)
	v_fma_f64 v[152:153], -v[146:147], v[150:151], 1.0
	v_fma_f64 v[150:151], v[150:151], v[152:153], v[150:151]
	v_div_scale_f64 v[152:153], vcc_lo, 1.0, v[144:145], 1.0
	s_delay_alu instid0(VALU_DEP_1) | instskip(NEXT) | instid1(VALU_DEP_1)
	v_mul_f64 v[154:155], v[152:153], v[150:151]
	v_fma_f64 v[146:147], -v[146:147], v[154:155], v[152:153]
	s_delay_alu instid0(VALU_DEP_1) | instskip(NEXT) | instid1(VALU_DEP_1)
	v_div_fmas_f64 v[146:147], v[146:147], v[150:151], v[154:155]
	v_div_fixup_f64 v[152:153], v[146:147], v[144:145], 1.0
	s_delay_alu instid0(VALU_DEP_1)
	v_mul_f64 v[150:151], v[148:149], -v[152:153]
.LBB71_151:
	s_or_b32 exec_lo, exec_lo, s3
	ds_store_2addr_b64 v183, v[152:153], v[150:151] offset1:1
.LBB71_152:
	s_or_b32 exec_lo, exec_lo, s4
	s_waitcnt lgkmcnt(0)
	s_barrier
	buffer_gl0_inv
	ds_load_2addr_b64 v[144:147], v183 offset1:1
	s_mov_b32 s3, exec_lo
	s_waitcnt lgkmcnt(0)
	scratch_store_b128 off, v[144:147], off offset:272 ; 16-byte Folded Spill
	v_cmpx_lt_u32_e32 16, v182
	s_cbranch_execz .LBB71_154
; %bb.153:
	scratch_load_b128 v[146:149], off, off offset:272 ; 16-byte Folded Reload
	s_waitcnt vmcnt(0)
	v_mul_f64 v[144:145], v[148:149], v[78:79]
	v_mul_f64 v[78:79], v[146:147], v[78:79]
	s_delay_alu instid0(VALU_DEP_2) | instskip(NEXT) | instid1(VALU_DEP_2)
	v_fma_f64 v[144:145], v[146:147], v[76:77], -v[144:145]
	v_fma_f64 v[78:79], v[148:149], v[76:77], v[78:79]
	ds_load_2addr_b64 v[146:149], v178 offset0:34 offset1:35
	s_waitcnt lgkmcnt(0)
	v_mul_f64 v[76:77], v[148:149], v[78:79]
	s_delay_alu instid0(VALU_DEP_1) | instskip(SKIP_1) | instid1(VALU_DEP_2)
	v_fma_f64 v[76:77], v[146:147], v[144:145], -v[76:77]
	v_mul_f64 v[146:147], v[146:147], v[78:79]
	v_add_f64 v[72:73], v[72:73], -v[76:77]
	s_delay_alu instid0(VALU_DEP_2) | instskip(NEXT) | instid1(VALU_DEP_1)
	v_fma_f64 v[146:147], v[148:149], v[144:145], v[146:147]
	v_add_f64 v[74:75], v[74:75], -v[146:147]
	ds_load_2addr_b64 v[146:149], v178 offset0:36 offset1:37
	s_waitcnt lgkmcnt(0)
	v_mul_f64 v[76:77], v[148:149], v[78:79]
	s_delay_alu instid0(VALU_DEP_1) | instskip(SKIP_1) | instid1(VALU_DEP_2)
	v_fma_f64 v[76:77], v[146:147], v[144:145], -v[76:77]
	v_mul_f64 v[146:147], v[146:147], v[78:79]
	v_add_f64 v[68:69], v[68:69], -v[76:77]
	s_delay_alu instid0(VALU_DEP_2) | instskip(NEXT) | instid1(VALU_DEP_1)
	v_fma_f64 v[146:147], v[148:149], v[144:145], v[146:147]
	v_add_f64 v[70:71], v[70:71], -v[146:147]
	;; [unrolled: 10-line block ×18, first 2 shown]
	ds_load_2addr_b64 v[146:149], v178 offset0:70 offset1:71
	s_waitcnt lgkmcnt(0)
	v_mul_f64 v[76:77], v[148:149], v[78:79]
	s_delay_alu instid0(VALU_DEP_1) | instskip(SKIP_1) | instid1(VALU_DEP_2)
	v_fma_f64 v[76:77], v[146:147], v[144:145], -v[76:77]
	v_mul_f64 v[146:147], v[146:147], v[78:79]
	v_add_f64 v[0:1], v[0:1], -v[76:77]
	s_delay_alu instid0(VALU_DEP_2) | instskip(SKIP_1) | instid1(VALU_DEP_2)
	v_fma_f64 v[146:147], v[148:149], v[144:145], v[146:147]
	v_dual_mov_b32 v76, v144 :: v_dual_mov_b32 v77, v145
	v_add_f64 v[2:3], v[2:3], -v[146:147]
.LBB71_154:
	s_or_b32 exec_lo, exec_lo, s3
	s_delay_alu instid0(SALU_CYCLE_1)
	s_mov_b32 s4, exec_lo
	s_waitcnt_vscnt null, 0x0
	s_barrier
	buffer_gl0_inv
	v_cmpx_eq_u32_e32 17, v182
	s_cbranch_execz .LBB71_161
; %bb.155:
	ds_store_2addr_b64 v183, v[72:73], v[74:75] offset1:1
	ds_store_2addr_b64 v178, v[68:69], v[70:71] offset0:36 offset1:37
	ds_store_2addr_b64 v178, v[64:65], v[66:67] offset0:38 offset1:39
	;; [unrolled: 1-line block ×18, first 2 shown]
	ds_load_2addr_b64 v[144:147], v183 offset1:1
	s_waitcnt lgkmcnt(0)
	v_cmp_neq_f64_e32 vcc_lo, 0, v[144:145]
	v_cmp_neq_f64_e64 s3, 0, v[146:147]
	s_delay_alu instid0(VALU_DEP_1) | instskip(NEXT) | instid1(SALU_CYCLE_1)
	s_or_b32 s3, vcc_lo, s3
	s_and_b32 exec_lo, exec_lo, s3
	s_cbranch_execz .LBB71_161
; %bb.156:
	v_cmp_gt_f64_e32 vcc_lo, 0, v[144:145]
	v_xor_b32_e32 v148, 0x80000000, v145
	v_xor_b32_e32 v150, 0x80000000, v147
	s_mov_b32 s3, exec_lo
                                        ; implicit-def: $vgpr152_vgpr153
	s_delay_alu instid0(VALU_DEP_2) | instskip(SKIP_4) | instid1(VALU_DEP_1)
	v_cndmask_b32_e32 v149, v145, v148, vcc_lo
	v_cndmask_b32_e32 v148, v144, v144, vcc_lo
	v_cmp_gt_f64_e32 vcc_lo, 0, v[146:147]
	v_cndmask_b32_e32 v151, v147, v150, vcc_lo
	v_cndmask_b32_e32 v150, v146, v146, vcc_lo
	v_cmpx_ngt_f64_e32 v[148:149], v[150:151]
	s_xor_b32 s3, exec_lo, s3
                                        ; implicit-def: $vgpr148_vgpr149_vgpr150_vgpr151
	s_cbranch_execz .LBB71_158
; %bb.157:
	v_div_scale_f64 v[148:149], null, v[146:147], v[146:147], v[144:145]
	v_div_scale_f64 v[154:155], vcc_lo, v[144:145], v[146:147], v[144:145]
	s_delay_alu instid0(VALU_DEP_2) | instskip(SKIP_2) | instid1(VALU_DEP_1)
	v_rcp_f64_e32 v[150:151], v[148:149]
	s_waitcnt_depctr 0xfff
	v_fma_f64 v[152:153], -v[148:149], v[150:151], 1.0
	v_fma_f64 v[150:151], v[150:151], v[152:153], v[150:151]
	s_delay_alu instid0(VALU_DEP_1) | instskip(NEXT) | instid1(VALU_DEP_1)
	v_fma_f64 v[152:153], -v[148:149], v[150:151], 1.0
	v_fma_f64 v[150:151], v[150:151], v[152:153], v[150:151]
	s_delay_alu instid0(VALU_DEP_1) | instskip(NEXT) | instid1(VALU_DEP_1)
	v_mul_f64 v[152:153], v[154:155], v[150:151]
	v_fma_f64 v[148:149], -v[148:149], v[152:153], v[154:155]
	s_delay_alu instid0(VALU_DEP_1) | instskip(NEXT) | instid1(VALU_DEP_1)
	v_div_fmas_f64 v[148:149], v[148:149], v[150:151], v[152:153]
	v_div_fixup_f64 v[148:149], v[148:149], v[146:147], v[144:145]
	s_delay_alu instid0(VALU_DEP_1) | instskip(NEXT) | instid1(VALU_DEP_1)
	v_fma_f64 v[144:145], v[144:145], v[148:149], v[146:147]
	v_div_scale_f64 v[146:147], null, v[144:145], v[144:145], 1.0
	s_delay_alu instid0(VALU_DEP_1) | instskip(SKIP_2) | instid1(VALU_DEP_1)
	v_rcp_f64_e32 v[150:151], v[146:147]
	s_waitcnt_depctr 0xfff
	v_fma_f64 v[152:153], -v[146:147], v[150:151], 1.0
	v_fma_f64 v[150:151], v[150:151], v[152:153], v[150:151]
	s_delay_alu instid0(VALU_DEP_1) | instskip(NEXT) | instid1(VALU_DEP_1)
	v_fma_f64 v[152:153], -v[146:147], v[150:151], 1.0
	v_fma_f64 v[150:151], v[150:151], v[152:153], v[150:151]
	v_div_scale_f64 v[152:153], vcc_lo, 1.0, v[144:145], 1.0
	s_delay_alu instid0(VALU_DEP_1) | instskip(NEXT) | instid1(VALU_DEP_1)
	v_mul_f64 v[154:155], v[152:153], v[150:151]
	v_fma_f64 v[146:147], -v[146:147], v[154:155], v[152:153]
	s_delay_alu instid0(VALU_DEP_1) | instskip(NEXT) | instid1(VALU_DEP_1)
	v_div_fmas_f64 v[146:147], v[146:147], v[150:151], v[154:155]
	v_div_fixup_f64 v[150:151], v[146:147], v[144:145], 1.0
                                        ; implicit-def: $vgpr144_vgpr145
	s_delay_alu instid0(VALU_DEP_1)
	v_mul_f64 v[152:153], v[148:149], v[150:151]
	v_xor_b32_e32 v151, 0x80000000, v151
.LBB71_158:
	s_and_not1_saveexec_b32 s3, s3
	s_cbranch_execz .LBB71_160
; %bb.159:
	v_div_scale_f64 v[148:149], null, v[144:145], v[144:145], v[146:147]
	v_div_scale_f64 v[154:155], vcc_lo, v[146:147], v[144:145], v[146:147]
	s_delay_alu instid0(VALU_DEP_2) | instskip(SKIP_2) | instid1(VALU_DEP_1)
	v_rcp_f64_e32 v[150:151], v[148:149]
	s_waitcnt_depctr 0xfff
	v_fma_f64 v[152:153], -v[148:149], v[150:151], 1.0
	v_fma_f64 v[150:151], v[150:151], v[152:153], v[150:151]
	s_delay_alu instid0(VALU_DEP_1) | instskip(NEXT) | instid1(VALU_DEP_1)
	v_fma_f64 v[152:153], -v[148:149], v[150:151], 1.0
	v_fma_f64 v[150:151], v[150:151], v[152:153], v[150:151]
	s_delay_alu instid0(VALU_DEP_1) | instskip(NEXT) | instid1(VALU_DEP_1)
	v_mul_f64 v[152:153], v[154:155], v[150:151]
	v_fma_f64 v[148:149], -v[148:149], v[152:153], v[154:155]
	s_delay_alu instid0(VALU_DEP_1) | instskip(NEXT) | instid1(VALU_DEP_1)
	v_div_fmas_f64 v[148:149], v[148:149], v[150:151], v[152:153]
	v_div_fixup_f64 v[148:149], v[148:149], v[144:145], v[146:147]
	s_delay_alu instid0(VALU_DEP_1) | instskip(NEXT) | instid1(VALU_DEP_1)
	v_fma_f64 v[144:145], v[146:147], v[148:149], v[144:145]
	v_div_scale_f64 v[146:147], null, v[144:145], v[144:145], 1.0
	s_delay_alu instid0(VALU_DEP_1) | instskip(SKIP_2) | instid1(VALU_DEP_1)
	v_rcp_f64_e32 v[150:151], v[146:147]
	s_waitcnt_depctr 0xfff
	v_fma_f64 v[152:153], -v[146:147], v[150:151], 1.0
	v_fma_f64 v[150:151], v[150:151], v[152:153], v[150:151]
	s_delay_alu instid0(VALU_DEP_1) | instskip(NEXT) | instid1(VALU_DEP_1)
	v_fma_f64 v[152:153], -v[146:147], v[150:151], 1.0
	v_fma_f64 v[150:151], v[150:151], v[152:153], v[150:151]
	v_div_scale_f64 v[152:153], vcc_lo, 1.0, v[144:145], 1.0
	s_delay_alu instid0(VALU_DEP_1) | instskip(NEXT) | instid1(VALU_DEP_1)
	v_mul_f64 v[154:155], v[152:153], v[150:151]
	v_fma_f64 v[146:147], -v[146:147], v[154:155], v[152:153]
	s_delay_alu instid0(VALU_DEP_1) | instskip(NEXT) | instid1(VALU_DEP_1)
	v_div_fmas_f64 v[146:147], v[146:147], v[150:151], v[154:155]
	v_div_fixup_f64 v[152:153], v[146:147], v[144:145], 1.0
	s_delay_alu instid0(VALU_DEP_1)
	v_mul_f64 v[150:151], v[148:149], -v[152:153]
.LBB71_160:
	s_or_b32 exec_lo, exec_lo, s3
	ds_store_2addr_b64 v183, v[152:153], v[150:151] offset1:1
.LBB71_161:
	s_or_b32 exec_lo, exec_lo, s4
	s_waitcnt lgkmcnt(0)
	s_barrier
	buffer_gl0_inv
	ds_load_2addr_b64 v[144:147], v183 offset1:1
	s_mov_b32 s3, exec_lo
	s_waitcnt lgkmcnt(0)
	scratch_store_b128 off, v[144:147], off offset:288 ; 16-byte Folded Spill
	v_cmpx_lt_u32_e32 17, v182
	s_cbranch_execz .LBB71_163
; %bb.162:
	scratch_load_b128 v[146:149], off, off offset:288 ; 16-byte Folded Reload
	s_waitcnt vmcnt(0)
	v_mul_f64 v[144:145], v[148:149], v[74:75]
	v_mul_f64 v[74:75], v[146:147], v[74:75]
	s_delay_alu instid0(VALU_DEP_2) | instskip(NEXT) | instid1(VALU_DEP_2)
	v_fma_f64 v[144:145], v[146:147], v[72:73], -v[144:145]
	v_fma_f64 v[74:75], v[148:149], v[72:73], v[74:75]
	ds_load_2addr_b64 v[146:149], v178 offset0:36 offset1:37
	s_waitcnt lgkmcnt(0)
	v_mul_f64 v[72:73], v[148:149], v[74:75]
	s_delay_alu instid0(VALU_DEP_1) | instskip(SKIP_1) | instid1(VALU_DEP_2)
	v_fma_f64 v[72:73], v[146:147], v[144:145], -v[72:73]
	v_mul_f64 v[146:147], v[146:147], v[74:75]
	v_add_f64 v[68:69], v[68:69], -v[72:73]
	s_delay_alu instid0(VALU_DEP_2) | instskip(NEXT) | instid1(VALU_DEP_1)
	v_fma_f64 v[146:147], v[148:149], v[144:145], v[146:147]
	v_add_f64 v[70:71], v[70:71], -v[146:147]
	ds_load_2addr_b64 v[146:149], v178 offset0:38 offset1:39
	s_waitcnt lgkmcnt(0)
	v_mul_f64 v[72:73], v[148:149], v[74:75]
	s_delay_alu instid0(VALU_DEP_1) | instskip(SKIP_1) | instid1(VALU_DEP_2)
	v_fma_f64 v[72:73], v[146:147], v[144:145], -v[72:73]
	v_mul_f64 v[146:147], v[146:147], v[74:75]
	v_add_f64 v[64:65], v[64:65], -v[72:73]
	s_delay_alu instid0(VALU_DEP_2) | instskip(NEXT) | instid1(VALU_DEP_1)
	v_fma_f64 v[146:147], v[148:149], v[144:145], v[146:147]
	v_add_f64 v[66:67], v[66:67], -v[146:147]
	;; [unrolled: 10-line block ×17, first 2 shown]
	ds_load_2addr_b64 v[146:149], v178 offset0:70 offset1:71
	s_waitcnt lgkmcnt(0)
	v_mul_f64 v[72:73], v[148:149], v[74:75]
	s_delay_alu instid0(VALU_DEP_1) | instskip(SKIP_1) | instid1(VALU_DEP_2)
	v_fma_f64 v[72:73], v[146:147], v[144:145], -v[72:73]
	v_mul_f64 v[146:147], v[146:147], v[74:75]
	v_add_f64 v[0:1], v[0:1], -v[72:73]
	s_delay_alu instid0(VALU_DEP_2) | instskip(SKIP_1) | instid1(VALU_DEP_2)
	v_fma_f64 v[146:147], v[148:149], v[144:145], v[146:147]
	v_dual_mov_b32 v72, v144 :: v_dual_mov_b32 v73, v145
	v_add_f64 v[2:3], v[2:3], -v[146:147]
.LBB71_163:
	s_or_b32 exec_lo, exec_lo, s3
	s_delay_alu instid0(SALU_CYCLE_1)
	s_mov_b32 s4, exec_lo
	s_waitcnt_vscnt null, 0x0
	s_barrier
	buffer_gl0_inv
	v_cmpx_eq_u32_e32 18, v182
	s_cbranch_execz .LBB71_170
; %bb.164:
	ds_store_2addr_b64 v183, v[68:69], v[70:71] offset1:1
	ds_store_2addr_b64 v178, v[64:65], v[66:67] offset0:38 offset1:39
	ds_store_2addr_b64 v178, v[60:61], v[62:63] offset0:40 offset1:41
	;; [unrolled: 1-line block ×17, first 2 shown]
	ds_load_2addr_b64 v[144:147], v183 offset1:1
	s_waitcnt lgkmcnt(0)
	v_cmp_neq_f64_e32 vcc_lo, 0, v[144:145]
	v_cmp_neq_f64_e64 s3, 0, v[146:147]
	s_delay_alu instid0(VALU_DEP_1) | instskip(NEXT) | instid1(SALU_CYCLE_1)
	s_or_b32 s3, vcc_lo, s3
	s_and_b32 exec_lo, exec_lo, s3
	s_cbranch_execz .LBB71_170
; %bb.165:
	v_cmp_gt_f64_e32 vcc_lo, 0, v[144:145]
	v_xor_b32_e32 v148, 0x80000000, v145
	v_xor_b32_e32 v150, 0x80000000, v147
	s_mov_b32 s3, exec_lo
                                        ; implicit-def: $vgpr152_vgpr153
	s_delay_alu instid0(VALU_DEP_2) | instskip(SKIP_4) | instid1(VALU_DEP_1)
	v_cndmask_b32_e32 v149, v145, v148, vcc_lo
	v_cndmask_b32_e32 v148, v144, v144, vcc_lo
	v_cmp_gt_f64_e32 vcc_lo, 0, v[146:147]
	v_cndmask_b32_e32 v151, v147, v150, vcc_lo
	v_cndmask_b32_e32 v150, v146, v146, vcc_lo
	v_cmpx_ngt_f64_e32 v[148:149], v[150:151]
	s_xor_b32 s3, exec_lo, s3
                                        ; implicit-def: $vgpr148_vgpr149_vgpr150_vgpr151
	s_cbranch_execz .LBB71_167
; %bb.166:
	v_div_scale_f64 v[148:149], null, v[146:147], v[146:147], v[144:145]
	v_div_scale_f64 v[154:155], vcc_lo, v[144:145], v[146:147], v[144:145]
	s_delay_alu instid0(VALU_DEP_2) | instskip(SKIP_2) | instid1(VALU_DEP_1)
	v_rcp_f64_e32 v[150:151], v[148:149]
	s_waitcnt_depctr 0xfff
	v_fma_f64 v[152:153], -v[148:149], v[150:151], 1.0
	v_fma_f64 v[150:151], v[150:151], v[152:153], v[150:151]
	s_delay_alu instid0(VALU_DEP_1) | instskip(NEXT) | instid1(VALU_DEP_1)
	v_fma_f64 v[152:153], -v[148:149], v[150:151], 1.0
	v_fma_f64 v[150:151], v[150:151], v[152:153], v[150:151]
	s_delay_alu instid0(VALU_DEP_1) | instskip(NEXT) | instid1(VALU_DEP_1)
	v_mul_f64 v[152:153], v[154:155], v[150:151]
	v_fma_f64 v[148:149], -v[148:149], v[152:153], v[154:155]
	s_delay_alu instid0(VALU_DEP_1) | instskip(NEXT) | instid1(VALU_DEP_1)
	v_div_fmas_f64 v[148:149], v[148:149], v[150:151], v[152:153]
	v_div_fixup_f64 v[148:149], v[148:149], v[146:147], v[144:145]
	s_delay_alu instid0(VALU_DEP_1) | instskip(NEXT) | instid1(VALU_DEP_1)
	v_fma_f64 v[144:145], v[144:145], v[148:149], v[146:147]
	v_div_scale_f64 v[146:147], null, v[144:145], v[144:145], 1.0
	s_delay_alu instid0(VALU_DEP_1) | instskip(SKIP_2) | instid1(VALU_DEP_1)
	v_rcp_f64_e32 v[150:151], v[146:147]
	s_waitcnt_depctr 0xfff
	v_fma_f64 v[152:153], -v[146:147], v[150:151], 1.0
	v_fma_f64 v[150:151], v[150:151], v[152:153], v[150:151]
	s_delay_alu instid0(VALU_DEP_1) | instskip(NEXT) | instid1(VALU_DEP_1)
	v_fma_f64 v[152:153], -v[146:147], v[150:151], 1.0
	v_fma_f64 v[150:151], v[150:151], v[152:153], v[150:151]
	v_div_scale_f64 v[152:153], vcc_lo, 1.0, v[144:145], 1.0
	s_delay_alu instid0(VALU_DEP_1) | instskip(NEXT) | instid1(VALU_DEP_1)
	v_mul_f64 v[154:155], v[152:153], v[150:151]
	v_fma_f64 v[146:147], -v[146:147], v[154:155], v[152:153]
	s_delay_alu instid0(VALU_DEP_1) | instskip(NEXT) | instid1(VALU_DEP_1)
	v_div_fmas_f64 v[146:147], v[146:147], v[150:151], v[154:155]
	v_div_fixup_f64 v[150:151], v[146:147], v[144:145], 1.0
                                        ; implicit-def: $vgpr144_vgpr145
	s_delay_alu instid0(VALU_DEP_1)
	v_mul_f64 v[152:153], v[148:149], v[150:151]
	v_xor_b32_e32 v151, 0x80000000, v151
.LBB71_167:
	s_and_not1_saveexec_b32 s3, s3
	s_cbranch_execz .LBB71_169
; %bb.168:
	v_div_scale_f64 v[148:149], null, v[144:145], v[144:145], v[146:147]
	v_div_scale_f64 v[154:155], vcc_lo, v[146:147], v[144:145], v[146:147]
	s_delay_alu instid0(VALU_DEP_2) | instskip(SKIP_2) | instid1(VALU_DEP_1)
	v_rcp_f64_e32 v[150:151], v[148:149]
	s_waitcnt_depctr 0xfff
	v_fma_f64 v[152:153], -v[148:149], v[150:151], 1.0
	v_fma_f64 v[150:151], v[150:151], v[152:153], v[150:151]
	s_delay_alu instid0(VALU_DEP_1) | instskip(NEXT) | instid1(VALU_DEP_1)
	v_fma_f64 v[152:153], -v[148:149], v[150:151], 1.0
	v_fma_f64 v[150:151], v[150:151], v[152:153], v[150:151]
	s_delay_alu instid0(VALU_DEP_1) | instskip(NEXT) | instid1(VALU_DEP_1)
	v_mul_f64 v[152:153], v[154:155], v[150:151]
	v_fma_f64 v[148:149], -v[148:149], v[152:153], v[154:155]
	s_delay_alu instid0(VALU_DEP_1) | instskip(NEXT) | instid1(VALU_DEP_1)
	v_div_fmas_f64 v[148:149], v[148:149], v[150:151], v[152:153]
	v_div_fixup_f64 v[148:149], v[148:149], v[144:145], v[146:147]
	s_delay_alu instid0(VALU_DEP_1) | instskip(NEXT) | instid1(VALU_DEP_1)
	v_fma_f64 v[144:145], v[146:147], v[148:149], v[144:145]
	v_div_scale_f64 v[146:147], null, v[144:145], v[144:145], 1.0
	s_delay_alu instid0(VALU_DEP_1) | instskip(SKIP_2) | instid1(VALU_DEP_1)
	v_rcp_f64_e32 v[150:151], v[146:147]
	s_waitcnt_depctr 0xfff
	v_fma_f64 v[152:153], -v[146:147], v[150:151], 1.0
	v_fma_f64 v[150:151], v[150:151], v[152:153], v[150:151]
	s_delay_alu instid0(VALU_DEP_1) | instskip(NEXT) | instid1(VALU_DEP_1)
	v_fma_f64 v[152:153], -v[146:147], v[150:151], 1.0
	v_fma_f64 v[150:151], v[150:151], v[152:153], v[150:151]
	v_div_scale_f64 v[152:153], vcc_lo, 1.0, v[144:145], 1.0
	s_delay_alu instid0(VALU_DEP_1) | instskip(NEXT) | instid1(VALU_DEP_1)
	v_mul_f64 v[154:155], v[152:153], v[150:151]
	v_fma_f64 v[146:147], -v[146:147], v[154:155], v[152:153]
	s_delay_alu instid0(VALU_DEP_1) | instskip(NEXT) | instid1(VALU_DEP_1)
	v_div_fmas_f64 v[146:147], v[146:147], v[150:151], v[154:155]
	v_div_fixup_f64 v[152:153], v[146:147], v[144:145], 1.0
	s_delay_alu instid0(VALU_DEP_1)
	v_mul_f64 v[150:151], v[148:149], -v[152:153]
.LBB71_169:
	s_or_b32 exec_lo, exec_lo, s3
	ds_store_2addr_b64 v183, v[152:153], v[150:151] offset1:1
.LBB71_170:
	s_or_b32 exec_lo, exec_lo, s4
	s_waitcnt lgkmcnt(0)
	s_barrier
	buffer_gl0_inv
	ds_load_2addr_b64 v[144:147], v183 offset1:1
	s_mov_b32 s3, exec_lo
	s_waitcnt lgkmcnt(0)
	scratch_store_b128 off, v[144:147], off offset:304 ; 16-byte Folded Spill
	v_cmpx_lt_u32_e32 18, v182
	s_cbranch_execz .LBB71_172
; %bb.171:
	scratch_load_b128 v[146:149], off, off offset:304 ; 16-byte Folded Reload
	s_waitcnt vmcnt(0)
	v_mul_f64 v[144:145], v[148:149], v[70:71]
	v_mul_f64 v[70:71], v[146:147], v[70:71]
	s_delay_alu instid0(VALU_DEP_2) | instskip(NEXT) | instid1(VALU_DEP_2)
	v_fma_f64 v[144:145], v[146:147], v[68:69], -v[144:145]
	v_fma_f64 v[70:71], v[148:149], v[68:69], v[70:71]
	ds_load_2addr_b64 v[146:149], v178 offset0:38 offset1:39
	s_waitcnt lgkmcnt(0)
	v_mul_f64 v[68:69], v[148:149], v[70:71]
	s_delay_alu instid0(VALU_DEP_1) | instskip(SKIP_1) | instid1(VALU_DEP_2)
	v_fma_f64 v[68:69], v[146:147], v[144:145], -v[68:69]
	v_mul_f64 v[146:147], v[146:147], v[70:71]
	v_add_f64 v[64:65], v[64:65], -v[68:69]
	s_delay_alu instid0(VALU_DEP_2) | instskip(NEXT) | instid1(VALU_DEP_1)
	v_fma_f64 v[146:147], v[148:149], v[144:145], v[146:147]
	v_add_f64 v[66:67], v[66:67], -v[146:147]
	ds_load_2addr_b64 v[146:149], v178 offset0:40 offset1:41
	s_waitcnt lgkmcnt(0)
	v_mul_f64 v[68:69], v[148:149], v[70:71]
	s_delay_alu instid0(VALU_DEP_1) | instskip(SKIP_1) | instid1(VALU_DEP_2)
	v_fma_f64 v[68:69], v[146:147], v[144:145], -v[68:69]
	v_mul_f64 v[146:147], v[146:147], v[70:71]
	v_add_f64 v[60:61], v[60:61], -v[68:69]
	s_delay_alu instid0(VALU_DEP_2) | instskip(NEXT) | instid1(VALU_DEP_1)
	v_fma_f64 v[146:147], v[148:149], v[144:145], v[146:147]
	v_add_f64 v[62:63], v[62:63], -v[146:147]
	;; [unrolled: 10-line block ×16, first 2 shown]
	ds_load_2addr_b64 v[146:149], v178 offset0:70 offset1:71
	s_waitcnt lgkmcnt(0)
	v_mul_f64 v[68:69], v[148:149], v[70:71]
	s_delay_alu instid0(VALU_DEP_1) | instskip(SKIP_1) | instid1(VALU_DEP_2)
	v_fma_f64 v[68:69], v[146:147], v[144:145], -v[68:69]
	v_mul_f64 v[146:147], v[146:147], v[70:71]
	v_add_f64 v[0:1], v[0:1], -v[68:69]
	s_delay_alu instid0(VALU_DEP_2) | instskip(SKIP_1) | instid1(VALU_DEP_2)
	v_fma_f64 v[146:147], v[148:149], v[144:145], v[146:147]
	v_dual_mov_b32 v68, v144 :: v_dual_mov_b32 v69, v145
	v_add_f64 v[2:3], v[2:3], -v[146:147]
.LBB71_172:
	s_or_b32 exec_lo, exec_lo, s3
	s_delay_alu instid0(SALU_CYCLE_1)
	s_mov_b32 s4, exec_lo
	s_waitcnt_vscnt null, 0x0
	s_barrier
	buffer_gl0_inv
	v_cmpx_eq_u32_e32 19, v182
	s_cbranch_execz .LBB71_179
; %bb.173:
	ds_store_2addr_b64 v183, v[64:65], v[66:67] offset1:1
	ds_store_2addr_b64 v178, v[60:61], v[62:63] offset0:40 offset1:41
	ds_store_2addr_b64 v178, v[56:57], v[58:59] offset0:42 offset1:43
	;; [unrolled: 1-line block ×16, first 2 shown]
	ds_load_2addr_b64 v[144:147], v183 offset1:1
	s_waitcnt lgkmcnt(0)
	v_cmp_neq_f64_e32 vcc_lo, 0, v[144:145]
	v_cmp_neq_f64_e64 s3, 0, v[146:147]
	s_delay_alu instid0(VALU_DEP_1) | instskip(NEXT) | instid1(SALU_CYCLE_1)
	s_or_b32 s3, vcc_lo, s3
	s_and_b32 exec_lo, exec_lo, s3
	s_cbranch_execz .LBB71_179
; %bb.174:
	v_cmp_gt_f64_e32 vcc_lo, 0, v[144:145]
	v_xor_b32_e32 v148, 0x80000000, v145
	v_xor_b32_e32 v150, 0x80000000, v147
	s_mov_b32 s3, exec_lo
                                        ; implicit-def: $vgpr152_vgpr153
	s_delay_alu instid0(VALU_DEP_2) | instskip(SKIP_4) | instid1(VALU_DEP_1)
	v_cndmask_b32_e32 v149, v145, v148, vcc_lo
	v_cndmask_b32_e32 v148, v144, v144, vcc_lo
	v_cmp_gt_f64_e32 vcc_lo, 0, v[146:147]
	v_cndmask_b32_e32 v151, v147, v150, vcc_lo
	v_cndmask_b32_e32 v150, v146, v146, vcc_lo
	v_cmpx_ngt_f64_e32 v[148:149], v[150:151]
	s_xor_b32 s3, exec_lo, s3
                                        ; implicit-def: $vgpr148_vgpr149_vgpr150_vgpr151
	s_cbranch_execz .LBB71_176
; %bb.175:
	v_div_scale_f64 v[148:149], null, v[146:147], v[146:147], v[144:145]
	v_div_scale_f64 v[154:155], vcc_lo, v[144:145], v[146:147], v[144:145]
	s_delay_alu instid0(VALU_DEP_2) | instskip(SKIP_2) | instid1(VALU_DEP_1)
	v_rcp_f64_e32 v[150:151], v[148:149]
	s_waitcnt_depctr 0xfff
	v_fma_f64 v[152:153], -v[148:149], v[150:151], 1.0
	v_fma_f64 v[150:151], v[150:151], v[152:153], v[150:151]
	s_delay_alu instid0(VALU_DEP_1) | instskip(NEXT) | instid1(VALU_DEP_1)
	v_fma_f64 v[152:153], -v[148:149], v[150:151], 1.0
	v_fma_f64 v[150:151], v[150:151], v[152:153], v[150:151]
	s_delay_alu instid0(VALU_DEP_1) | instskip(NEXT) | instid1(VALU_DEP_1)
	v_mul_f64 v[152:153], v[154:155], v[150:151]
	v_fma_f64 v[148:149], -v[148:149], v[152:153], v[154:155]
	s_delay_alu instid0(VALU_DEP_1) | instskip(NEXT) | instid1(VALU_DEP_1)
	v_div_fmas_f64 v[148:149], v[148:149], v[150:151], v[152:153]
	v_div_fixup_f64 v[148:149], v[148:149], v[146:147], v[144:145]
	s_delay_alu instid0(VALU_DEP_1) | instskip(NEXT) | instid1(VALU_DEP_1)
	v_fma_f64 v[144:145], v[144:145], v[148:149], v[146:147]
	v_div_scale_f64 v[146:147], null, v[144:145], v[144:145], 1.0
	s_delay_alu instid0(VALU_DEP_1) | instskip(SKIP_2) | instid1(VALU_DEP_1)
	v_rcp_f64_e32 v[150:151], v[146:147]
	s_waitcnt_depctr 0xfff
	v_fma_f64 v[152:153], -v[146:147], v[150:151], 1.0
	v_fma_f64 v[150:151], v[150:151], v[152:153], v[150:151]
	s_delay_alu instid0(VALU_DEP_1) | instskip(NEXT) | instid1(VALU_DEP_1)
	v_fma_f64 v[152:153], -v[146:147], v[150:151], 1.0
	v_fma_f64 v[150:151], v[150:151], v[152:153], v[150:151]
	v_div_scale_f64 v[152:153], vcc_lo, 1.0, v[144:145], 1.0
	s_delay_alu instid0(VALU_DEP_1) | instskip(NEXT) | instid1(VALU_DEP_1)
	v_mul_f64 v[154:155], v[152:153], v[150:151]
	v_fma_f64 v[146:147], -v[146:147], v[154:155], v[152:153]
	s_delay_alu instid0(VALU_DEP_1) | instskip(NEXT) | instid1(VALU_DEP_1)
	v_div_fmas_f64 v[146:147], v[146:147], v[150:151], v[154:155]
	v_div_fixup_f64 v[150:151], v[146:147], v[144:145], 1.0
                                        ; implicit-def: $vgpr144_vgpr145
	s_delay_alu instid0(VALU_DEP_1)
	v_mul_f64 v[152:153], v[148:149], v[150:151]
	v_xor_b32_e32 v151, 0x80000000, v151
.LBB71_176:
	s_and_not1_saveexec_b32 s3, s3
	s_cbranch_execz .LBB71_178
; %bb.177:
	v_div_scale_f64 v[148:149], null, v[144:145], v[144:145], v[146:147]
	v_div_scale_f64 v[154:155], vcc_lo, v[146:147], v[144:145], v[146:147]
	s_delay_alu instid0(VALU_DEP_2) | instskip(SKIP_2) | instid1(VALU_DEP_1)
	v_rcp_f64_e32 v[150:151], v[148:149]
	s_waitcnt_depctr 0xfff
	v_fma_f64 v[152:153], -v[148:149], v[150:151], 1.0
	v_fma_f64 v[150:151], v[150:151], v[152:153], v[150:151]
	s_delay_alu instid0(VALU_DEP_1) | instskip(NEXT) | instid1(VALU_DEP_1)
	v_fma_f64 v[152:153], -v[148:149], v[150:151], 1.0
	v_fma_f64 v[150:151], v[150:151], v[152:153], v[150:151]
	s_delay_alu instid0(VALU_DEP_1) | instskip(NEXT) | instid1(VALU_DEP_1)
	v_mul_f64 v[152:153], v[154:155], v[150:151]
	v_fma_f64 v[148:149], -v[148:149], v[152:153], v[154:155]
	s_delay_alu instid0(VALU_DEP_1) | instskip(NEXT) | instid1(VALU_DEP_1)
	v_div_fmas_f64 v[148:149], v[148:149], v[150:151], v[152:153]
	v_div_fixup_f64 v[148:149], v[148:149], v[144:145], v[146:147]
	s_delay_alu instid0(VALU_DEP_1) | instskip(NEXT) | instid1(VALU_DEP_1)
	v_fma_f64 v[144:145], v[146:147], v[148:149], v[144:145]
	v_div_scale_f64 v[146:147], null, v[144:145], v[144:145], 1.0
	s_delay_alu instid0(VALU_DEP_1) | instskip(SKIP_2) | instid1(VALU_DEP_1)
	v_rcp_f64_e32 v[150:151], v[146:147]
	s_waitcnt_depctr 0xfff
	v_fma_f64 v[152:153], -v[146:147], v[150:151], 1.0
	v_fma_f64 v[150:151], v[150:151], v[152:153], v[150:151]
	s_delay_alu instid0(VALU_DEP_1) | instskip(NEXT) | instid1(VALU_DEP_1)
	v_fma_f64 v[152:153], -v[146:147], v[150:151], 1.0
	v_fma_f64 v[150:151], v[150:151], v[152:153], v[150:151]
	v_div_scale_f64 v[152:153], vcc_lo, 1.0, v[144:145], 1.0
	s_delay_alu instid0(VALU_DEP_1) | instskip(NEXT) | instid1(VALU_DEP_1)
	v_mul_f64 v[154:155], v[152:153], v[150:151]
	v_fma_f64 v[146:147], -v[146:147], v[154:155], v[152:153]
	s_delay_alu instid0(VALU_DEP_1) | instskip(NEXT) | instid1(VALU_DEP_1)
	v_div_fmas_f64 v[146:147], v[146:147], v[150:151], v[154:155]
	v_div_fixup_f64 v[152:153], v[146:147], v[144:145], 1.0
	s_delay_alu instid0(VALU_DEP_1)
	v_mul_f64 v[150:151], v[148:149], -v[152:153]
.LBB71_178:
	s_or_b32 exec_lo, exec_lo, s3
	ds_store_2addr_b64 v183, v[152:153], v[150:151] offset1:1
.LBB71_179:
	s_or_b32 exec_lo, exec_lo, s4
	s_waitcnt lgkmcnt(0)
	s_barrier
	buffer_gl0_inv
	ds_load_2addr_b64 v[144:147], v183 offset1:1
	s_mov_b32 s3, exec_lo
	s_waitcnt lgkmcnt(0)
	scratch_store_b128 off, v[144:147], off offset:320 ; 16-byte Folded Spill
	v_cmpx_lt_u32_e32 19, v182
	s_cbranch_execz .LBB71_181
; %bb.180:
	scratch_load_b128 v[146:149], off, off offset:320 ; 16-byte Folded Reload
	s_waitcnt vmcnt(0)
	v_mul_f64 v[144:145], v[146:147], v[66:67]
	v_mul_f64 v[66:67], v[148:149], v[66:67]
	s_delay_alu instid0(VALU_DEP_2) | instskip(NEXT) | instid1(VALU_DEP_2)
	v_fma_f64 v[144:145], v[148:149], v[64:65], v[144:145]
	v_fma_f64 v[64:65], v[146:147], v[64:65], -v[66:67]
	ds_load_2addr_b64 v[146:149], v178 offset0:40 offset1:41
	s_waitcnt lgkmcnt(0)
	v_mul_f64 v[66:67], v[148:149], v[144:145]
	s_delay_alu instid0(VALU_DEP_1) | instskip(SKIP_1) | instid1(VALU_DEP_2)
	v_fma_f64 v[66:67], v[146:147], v[64:65], -v[66:67]
	v_mul_f64 v[146:147], v[146:147], v[144:145]
	v_add_f64 v[60:61], v[60:61], -v[66:67]
	s_delay_alu instid0(VALU_DEP_2) | instskip(NEXT) | instid1(VALU_DEP_1)
	v_fma_f64 v[146:147], v[148:149], v[64:65], v[146:147]
	v_add_f64 v[62:63], v[62:63], -v[146:147]
	ds_load_2addr_b64 v[146:149], v178 offset0:42 offset1:43
	s_waitcnt lgkmcnt(0)
	v_mul_f64 v[66:67], v[148:149], v[144:145]
	s_delay_alu instid0(VALU_DEP_1) | instskip(SKIP_1) | instid1(VALU_DEP_2)
	v_fma_f64 v[66:67], v[146:147], v[64:65], -v[66:67]
	v_mul_f64 v[146:147], v[146:147], v[144:145]
	v_add_f64 v[56:57], v[56:57], -v[66:67]
	s_delay_alu instid0(VALU_DEP_2) | instskip(NEXT) | instid1(VALU_DEP_1)
	v_fma_f64 v[146:147], v[148:149], v[64:65], v[146:147]
	v_add_f64 v[58:59], v[58:59], -v[146:147]
	;; [unrolled: 10-line block ×15, first 2 shown]
	ds_load_2addr_b64 v[146:149], v178 offset0:70 offset1:71
	s_waitcnt lgkmcnt(0)
	v_mul_f64 v[66:67], v[148:149], v[144:145]
	s_delay_alu instid0(VALU_DEP_1) | instskip(SKIP_1) | instid1(VALU_DEP_2)
	v_fma_f64 v[66:67], v[146:147], v[64:65], -v[66:67]
	v_mul_f64 v[146:147], v[146:147], v[144:145]
	v_add_f64 v[0:1], v[0:1], -v[66:67]
	s_delay_alu instid0(VALU_DEP_2) | instskip(SKIP_1) | instid1(VALU_DEP_2)
	v_fma_f64 v[146:147], v[148:149], v[64:65], v[146:147]
	v_dual_mov_b32 v66, v144 :: v_dual_mov_b32 v67, v145
	v_add_f64 v[2:3], v[2:3], -v[146:147]
.LBB71_181:
	s_or_b32 exec_lo, exec_lo, s3
	s_delay_alu instid0(SALU_CYCLE_1)
	s_mov_b32 s4, exec_lo
	s_waitcnt_vscnt null, 0x0
	s_barrier
	buffer_gl0_inv
	v_cmpx_eq_u32_e32 20, v182
	s_cbranch_execz .LBB71_188
; %bb.182:
	ds_store_2addr_b64 v183, v[60:61], v[62:63] offset1:1
	ds_store_2addr_b64 v178, v[56:57], v[58:59] offset0:42 offset1:43
	ds_store_2addr_b64 v178, v[52:53], v[54:55] offset0:44 offset1:45
	;; [unrolled: 1-line block ×15, first 2 shown]
	ds_load_2addr_b64 v[144:147], v183 offset1:1
	s_waitcnt lgkmcnt(0)
	v_cmp_neq_f64_e32 vcc_lo, 0, v[144:145]
	v_cmp_neq_f64_e64 s3, 0, v[146:147]
	s_delay_alu instid0(VALU_DEP_1) | instskip(NEXT) | instid1(SALU_CYCLE_1)
	s_or_b32 s3, vcc_lo, s3
	s_and_b32 exec_lo, exec_lo, s3
	s_cbranch_execz .LBB71_188
; %bb.183:
	v_cmp_gt_f64_e32 vcc_lo, 0, v[144:145]
	v_xor_b32_e32 v148, 0x80000000, v145
	v_xor_b32_e32 v150, 0x80000000, v147
	s_mov_b32 s3, exec_lo
                                        ; implicit-def: $vgpr152_vgpr153
	s_delay_alu instid0(VALU_DEP_2) | instskip(SKIP_4) | instid1(VALU_DEP_1)
	v_cndmask_b32_e32 v149, v145, v148, vcc_lo
	v_cndmask_b32_e32 v148, v144, v144, vcc_lo
	v_cmp_gt_f64_e32 vcc_lo, 0, v[146:147]
	v_cndmask_b32_e32 v151, v147, v150, vcc_lo
	v_cndmask_b32_e32 v150, v146, v146, vcc_lo
	v_cmpx_ngt_f64_e32 v[148:149], v[150:151]
	s_xor_b32 s3, exec_lo, s3
                                        ; implicit-def: $vgpr148_vgpr149_vgpr150_vgpr151
	s_cbranch_execz .LBB71_185
; %bb.184:
	v_div_scale_f64 v[148:149], null, v[146:147], v[146:147], v[144:145]
	v_div_scale_f64 v[154:155], vcc_lo, v[144:145], v[146:147], v[144:145]
	s_delay_alu instid0(VALU_DEP_2) | instskip(SKIP_2) | instid1(VALU_DEP_1)
	v_rcp_f64_e32 v[150:151], v[148:149]
	s_waitcnt_depctr 0xfff
	v_fma_f64 v[152:153], -v[148:149], v[150:151], 1.0
	v_fma_f64 v[150:151], v[150:151], v[152:153], v[150:151]
	s_delay_alu instid0(VALU_DEP_1) | instskip(NEXT) | instid1(VALU_DEP_1)
	v_fma_f64 v[152:153], -v[148:149], v[150:151], 1.0
	v_fma_f64 v[150:151], v[150:151], v[152:153], v[150:151]
	s_delay_alu instid0(VALU_DEP_1) | instskip(NEXT) | instid1(VALU_DEP_1)
	v_mul_f64 v[152:153], v[154:155], v[150:151]
	v_fma_f64 v[148:149], -v[148:149], v[152:153], v[154:155]
	s_delay_alu instid0(VALU_DEP_1) | instskip(NEXT) | instid1(VALU_DEP_1)
	v_div_fmas_f64 v[148:149], v[148:149], v[150:151], v[152:153]
	v_div_fixup_f64 v[148:149], v[148:149], v[146:147], v[144:145]
	s_delay_alu instid0(VALU_DEP_1) | instskip(NEXT) | instid1(VALU_DEP_1)
	v_fma_f64 v[144:145], v[144:145], v[148:149], v[146:147]
	v_div_scale_f64 v[146:147], null, v[144:145], v[144:145], 1.0
	s_delay_alu instid0(VALU_DEP_1) | instskip(SKIP_2) | instid1(VALU_DEP_1)
	v_rcp_f64_e32 v[150:151], v[146:147]
	s_waitcnt_depctr 0xfff
	v_fma_f64 v[152:153], -v[146:147], v[150:151], 1.0
	v_fma_f64 v[150:151], v[150:151], v[152:153], v[150:151]
	s_delay_alu instid0(VALU_DEP_1) | instskip(NEXT) | instid1(VALU_DEP_1)
	v_fma_f64 v[152:153], -v[146:147], v[150:151], 1.0
	v_fma_f64 v[150:151], v[150:151], v[152:153], v[150:151]
	v_div_scale_f64 v[152:153], vcc_lo, 1.0, v[144:145], 1.0
	s_delay_alu instid0(VALU_DEP_1) | instskip(NEXT) | instid1(VALU_DEP_1)
	v_mul_f64 v[154:155], v[152:153], v[150:151]
	v_fma_f64 v[146:147], -v[146:147], v[154:155], v[152:153]
	s_delay_alu instid0(VALU_DEP_1) | instskip(NEXT) | instid1(VALU_DEP_1)
	v_div_fmas_f64 v[146:147], v[146:147], v[150:151], v[154:155]
	v_div_fixup_f64 v[150:151], v[146:147], v[144:145], 1.0
                                        ; implicit-def: $vgpr144_vgpr145
	s_delay_alu instid0(VALU_DEP_1)
	v_mul_f64 v[152:153], v[148:149], v[150:151]
	v_xor_b32_e32 v151, 0x80000000, v151
.LBB71_185:
	s_and_not1_saveexec_b32 s3, s3
	s_cbranch_execz .LBB71_187
; %bb.186:
	v_div_scale_f64 v[148:149], null, v[144:145], v[144:145], v[146:147]
	v_div_scale_f64 v[154:155], vcc_lo, v[146:147], v[144:145], v[146:147]
	s_delay_alu instid0(VALU_DEP_2) | instskip(SKIP_2) | instid1(VALU_DEP_1)
	v_rcp_f64_e32 v[150:151], v[148:149]
	s_waitcnt_depctr 0xfff
	v_fma_f64 v[152:153], -v[148:149], v[150:151], 1.0
	v_fma_f64 v[150:151], v[150:151], v[152:153], v[150:151]
	s_delay_alu instid0(VALU_DEP_1) | instskip(NEXT) | instid1(VALU_DEP_1)
	v_fma_f64 v[152:153], -v[148:149], v[150:151], 1.0
	v_fma_f64 v[150:151], v[150:151], v[152:153], v[150:151]
	s_delay_alu instid0(VALU_DEP_1) | instskip(NEXT) | instid1(VALU_DEP_1)
	v_mul_f64 v[152:153], v[154:155], v[150:151]
	v_fma_f64 v[148:149], -v[148:149], v[152:153], v[154:155]
	s_delay_alu instid0(VALU_DEP_1) | instskip(NEXT) | instid1(VALU_DEP_1)
	v_div_fmas_f64 v[148:149], v[148:149], v[150:151], v[152:153]
	v_div_fixup_f64 v[148:149], v[148:149], v[144:145], v[146:147]
	s_delay_alu instid0(VALU_DEP_1) | instskip(NEXT) | instid1(VALU_DEP_1)
	v_fma_f64 v[144:145], v[146:147], v[148:149], v[144:145]
	v_div_scale_f64 v[146:147], null, v[144:145], v[144:145], 1.0
	s_delay_alu instid0(VALU_DEP_1) | instskip(SKIP_2) | instid1(VALU_DEP_1)
	v_rcp_f64_e32 v[150:151], v[146:147]
	s_waitcnt_depctr 0xfff
	v_fma_f64 v[152:153], -v[146:147], v[150:151], 1.0
	v_fma_f64 v[150:151], v[150:151], v[152:153], v[150:151]
	s_delay_alu instid0(VALU_DEP_1) | instskip(NEXT) | instid1(VALU_DEP_1)
	v_fma_f64 v[152:153], -v[146:147], v[150:151], 1.0
	v_fma_f64 v[150:151], v[150:151], v[152:153], v[150:151]
	v_div_scale_f64 v[152:153], vcc_lo, 1.0, v[144:145], 1.0
	s_delay_alu instid0(VALU_DEP_1) | instskip(NEXT) | instid1(VALU_DEP_1)
	v_mul_f64 v[154:155], v[152:153], v[150:151]
	v_fma_f64 v[146:147], -v[146:147], v[154:155], v[152:153]
	s_delay_alu instid0(VALU_DEP_1) | instskip(NEXT) | instid1(VALU_DEP_1)
	v_div_fmas_f64 v[146:147], v[146:147], v[150:151], v[154:155]
	v_div_fixup_f64 v[152:153], v[146:147], v[144:145], 1.0
	s_delay_alu instid0(VALU_DEP_1)
	v_mul_f64 v[150:151], v[148:149], -v[152:153]
.LBB71_187:
	s_or_b32 exec_lo, exec_lo, s3
	ds_store_2addr_b64 v183, v[152:153], v[150:151] offset1:1
.LBB71_188:
	s_or_b32 exec_lo, exec_lo, s4
	s_waitcnt lgkmcnt(0)
	s_barrier
	buffer_gl0_inv
	ds_load_2addr_b64 v[144:147], v183 offset1:1
	s_mov_b32 s3, exec_lo
	s_waitcnt lgkmcnt(0)
	scratch_store_b128 off, v[144:147], off offset:336 ; 16-byte Folded Spill
	v_cmpx_lt_u32_e32 20, v182
	s_cbranch_execz .LBB71_190
; %bb.189:
	scratch_load_b128 v[146:149], off, off offset:336 ; 16-byte Folded Reload
	s_waitcnt vmcnt(0)
	v_mul_f64 v[144:145], v[146:147], v[62:63]
	v_mul_f64 v[62:63], v[148:149], v[62:63]
	s_delay_alu instid0(VALU_DEP_2) | instskip(NEXT) | instid1(VALU_DEP_2)
	v_fma_f64 v[144:145], v[148:149], v[60:61], v[144:145]
	v_fma_f64 v[60:61], v[146:147], v[60:61], -v[62:63]
	ds_load_2addr_b64 v[146:149], v178 offset0:42 offset1:43
	s_waitcnt lgkmcnt(0)
	v_mul_f64 v[62:63], v[148:149], v[144:145]
	s_delay_alu instid0(VALU_DEP_1) | instskip(SKIP_1) | instid1(VALU_DEP_2)
	v_fma_f64 v[62:63], v[146:147], v[60:61], -v[62:63]
	v_mul_f64 v[146:147], v[146:147], v[144:145]
	v_add_f64 v[56:57], v[56:57], -v[62:63]
	s_delay_alu instid0(VALU_DEP_2) | instskip(NEXT) | instid1(VALU_DEP_1)
	v_fma_f64 v[146:147], v[148:149], v[60:61], v[146:147]
	v_add_f64 v[58:59], v[58:59], -v[146:147]
	ds_load_2addr_b64 v[146:149], v178 offset0:44 offset1:45
	s_waitcnt lgkmcnt(0)
	v_mul_f64 v[62:63], v[148:149], v[144:145]
	s_delay_alu instid0(VALU_DEP_1) | instskip(SKIP_1) | instid1(VALU_DEP_2)
	v_fma_f64 v[62:63], v[146:147], v[60:61], -v[62:63]
	v_mul_f64 v[146:147], v[146:147], v[144:145]
	v_add_f64 v[52:53], v[52:53], -v[62:63]
	s_delay_alu instid0(VALU_DEP_2) | instskip(NEXT) | instid1(VALU_DEP_1)
	v_fma_f64 v[146:147], v[148:149], v[60:61], v[146:147]
	v_add_f64 v[54:55], v[54:55], -v[146:147]
	;; [unrolled: 10-line block ×14, first 2 shown]
	ds_load_2addr_b64 v[146:149], v178 offset0:70 offset1:71
	s_waitcnt lgkmcnt(0)
	v_mul_f64 v[62:63], v[148:149], v[144:145]
	s_delay_alu instid0(VALU_DEP_1) | instskip(SKIP_1) | instid1(VALU_DEP_2)
	v_fma_f64 v[62:63], v[146:147], v[60:61], -v[62:63]
	v_mul_f64 v[146:147], v[146:147], v[144:145]
	v_add_f64 v[0:1], v[0:1], -v[62:63]
	s_delay_alu instid0(VALU_DEP_2) | instskip(SKIP_1) | instid1(VALU_DEP_2)
	v_fma_f64 v[146:147], v[148:149], v[60:61], v[146:147]
	v_dual_mov_b32 v62, v144 :: v_dual_mov_b32 v63, v145
	v_add_f64 v[2:3], v[2:3], -v[146:147]
.LBB71_190:
	s_or_b32 exec_lo, exec_lo, s3
	s_delay_alu instid0(SALU_CYCLE_1)
	s_mov_b32 s4, exec_lo
	s_waitcnt_vscnt null, 0x0
	s_barrier
	buffer_gl0_inv
	v_cmpx_eq_u32_e32 21, v182
	s_cbranch_execz .LBB71_197
; %bb.191:
	ds_store_2addr_b64 v183, v[56:57], v[58:59] offset1:1
	ds_store_2addr_b64 v178, v[52:53], v[54:55] offset0:44 offset1:45
	ds_store_2addr_b64 v178, v[48:49], v[50:51] offset0:46 offset1:47
	;; [unrolled: 1-line block ×14, first 2 shown]
	ds_load_2addr_b64 v[144:147], v183 offset1:1
	s_waitcnt lgkmcnt(0)
	v_cmp_neq_f64_e32 vcc_lo, 0, v[144:145]
	v_cmp_neq_f64_e64 s3, 0, v[146:147]
	s_delay_alu instid0(VALU_DEP_1) | instskip(NEXT) | instid1(SALU_CYCLE_1)
	s_or_b32 s3, vcc_lo, s3
	s_and_b32 exec_lo, exec_lo, s3
	s_cbranch_execz .LBB71_197
; %bb.192:
	v_cmp_gt_f64_e32 vcc_lo, 0, v[144:145]
	v_xor_b32_e32 v148, 0x80000000, v145
	v_xor_b32_e32 v150, 0x80000000, v147
	s_mov_b32 s3, exec_lo
                                        ; implicit-def: $vgpr152_vgpr153
	s_delay_alu instid0(VALU_DEP_2) | instskip(SKIP_4) | instid1(VALU_DEP_1)
	v_cndmask_b32_e32 v149, v145, v148, vcc_lo
	v_cndmask_b32_e32 v148, v144, v144, vcc_lo
	v_cmp_gt_f64_e32 vcc_lo, 0, v[146:147]
	v_cndmask_b32_e32 v151, v147, v150, vcc_lo
	v_cndmask_b32_e32 v150, v146, v146, vcc_lo
	v_cmpx_ngt_f64_e32 v[148:149], v[150:151]
	s_xor_b32 s3, exec_lo, s3
                                        ; implicit-def: $vgpr148_vgpr149_vgpr150_vgpr151
	s_cbranch_execz .LBB71_194
; %bb.193:
	v_div_scale_f64 v[148:149], null, v[146:147], v[146:147], v[144:145]
	v_div_scale_f64 v[154:155], vcc_lo, v[144:145], v[146:147], v[144:145]
	s_delay_alu instid0(VALU_DEP_2) | instskip(SKIP_2) | instid1(VALU_DEP_1)
	v_rcp_f64_e32 v[150:151], v[148:149]
	s_waitcnt_depctr 0xfff
	v_fma_f64 v[152:153], -v[148:149], v[150:151], 1.0
	v_fma_f64 v[150:151], v[150:151], v[152:153], v[150:151]
	s_delay_alu instid0(VALU_DEP_1) | instskip(NEXT) | instid1(VALU_DEP_1)
	v_fma_f64 v[152:153], -v[148:149], v[150:151], 1.0
	v_fma_f64 v[150:151], v[150:151], v[152:153], v[150:151]
	s_delay_alu instid0(VALU_DEP_1) | instskip(NEXT) | instid1(VALU_DEP_1)
	v_mul_f64 v[152:153], v[154:155], v[150:151]
	v_fma_f64 v[148:149], -v[148:149], v[152:153], v[154:155]
	s_delay_alu instid0(VALU_DEP_1) | instskip(NEXT) | instid1(VALU_DEP_1)
	v_div_fmas_f64 v[148:149], v[148:149], v[150:151], v[152:153]
	v_div_fixup_f64 v[148:149], v[148:149], v[146:147], v[144:145]
	s_delay_alu instid0(VALU_DEP_1) | instskip(NEXT) | instid1(VALU_DEP_1)
	v_fma_f64 v[144:145], v[144:145], v[148:149], v[146:147]
	v_div_scale_f64 v[146:147], null, v[144:145], v[144:145], 1.0
	s_delay_alu instid0(VALU_DEP_1) | instskip(SKIP_2) | instid1(VALU_DEP_1)
	v_rcp_f64_e32 v[150:151], v[146:147]
	s_waitcnt_depctr 0xfff
	v_fma_f64 v[152:153], -v[146:147], v[150:151], 1.0
	v_fma_f64 v[150:151], v[150:151], v[152:153], v[150:151]
	s_delay_alu instid0(VALU_DEP_1) | instskip(NEXT) | instid1(VALU_DEP_1)
	v_fma_f64 v[152:153], -v[146:147], v[150:151], 1.0
	v_fma_f64 v[150:151], v[150:151], v[152:153], v[150:151]
	v_div_scale_f64 v[152:153], vcc_lo, 1.0, v[144:145], 1.0
	s_delay_alu instid0(VALU_DEP_1) | instskip(NEXT) | instid1(VALU_DEP_1)
	v_mul_f64 v[154:155], v[152:153], v[150:151]
	v_fma_f64 v[146:147], -v[146:147], v[154:155], v[152:153]
	s_delay_alu instid0(VALU_DEP_1) | instskip(NEXT) | instid1(VALU_DEP_1)
	v_div_fmas_f64 v[146:147], v[146:147], v[150:151], v[154:155]
	v_div_fixup_f64 v[150:151], v[146:147], v[144:145], 1.0
                                        ; implicit-def: $vgpr144_vgpr145
	s_delay_alu instid0(VALU_DEP_1)
	v_mul_f64 v[152:153], v[148:149], v[150:151]
	v_xor_b32_e32 v151, 0x80000000, v151
.LBB71_194:
	s_and_not1_saveexec_b32 s3, s3
	s_cbranch_execz .LBB71_196
; %bb.195:
	v_div_scale_f64 v[148:149], null, v[144:145], v[144:145], v[146:147]
	v_div_scale_f64 v[154:155], vcc_lo, v[146:147], v[144:145], v[146:147]
	s_delay_alu instid0(VALU_DEP_2) | instskip(SKIP_2) | instid1(VALU_DEP_1)
	v_rcp_f64_e32 v[150:151], v[148:149]
	s_waitcnt_depctr 0xfff
	v_fma_f64 v[152:153], -v[148:149], v[150:151], 1.0
	v_fma_f64 v[150:151], v[150:151], v[152:153], v[150:151]
	s_delay_alu instid0(VALU_DEP_1) | instskip(NEXT) | instid1(VALU_DEP_1)
	v_fma_f64 v[152:153], -v[148:149], v[150:151], 1.0
	v_fma_f64 v[150:151], v[150:151], v[152:153], v[150:151]
	s_delay_alu instid0(VALU_DEP_1) | instskip(NEXT) | instid1(VALU_DEP_1)
	v_mul_f64 v[152:153], v[154:155], v[150:151]
	v_fma_f64 v[148:149], -v[148:149], v[152:153], v[154:155]
	s_delay_alu instid0(VALU_DEP_1) | instskip(NEXT) | instid1(VALU_DEP_1)
	v_div_fmas_f64 v[148:149], v[148:149], v[150:151], v[152:153]
	v_div_fixup_f64 v[148:149], v[148:149], v[144:145], v[146:147]
	s_delay_alu instid0(VALU_DEP_1) | instskip(NEXT) | instid1(VALU_DEP_1)
	v_fma_f64 v[144:145], v[146:147], v[148:149], v[144:145]
	v_div_scale_f64 v[146:147], null, v[144:145], v[144:145], 1.0
	s_delay_alu instid0(VALU_DEP_1) | instskip(SKIP_2) | instid1(VALU_DEP_1)
	v_rcp_f64_e32 v[150:151], v[146:147]
	s_waitcnt_depctr 0xfff
	v_fma_f64 v[152:153], -v[146:147], v[150:151], 1.0
	v_fma_f64 v[150:151], v[150:151], v[152:153], v[150:151]
	s_delay_alu instid0(VALU_DEP_1) | instskip(NEXT) | instid1(VALU_DEP_1)
	v_fma_f64 v[152:153], -v[146:147], v[150:151], 1.0
	v_fma_f64 v[150:151], v[150:151], v[152:153], v[150:151]
	v_div_scale_f64 v[152:153], vcc_lo, 1.0, v[144:145], 1.0
	s_delay_alu instid0(VALU_DEP_1) | instskip(NEXT) | instid1(VALU_DEP_1)
	v_mul_f64 v[154:155], v[152:153], v[150:151]
	v_fma_f64 v[146:147], -v[146:147], v[154:155], v[152:153]
	s_delay_alu instid0(VALU_DEP_1) | instskip(NEXT) | instid1(VALU_DEP_1)
	v_div_fmas_f64 v[146:147], v[146:147], v[150:151], v[154:155]
	v_div_fixup_f64 v[152:153], v[146:147], v[144:145], 1.0
	s_delay_alu instid0(VALU_DEP_1)
	v_mul_f64 v[150:151], v[148:149], -v[152:153]
.LBB71_196:
	s_or_b32 exec_lo, exec_lo, s3
	ds_store_2addr_b64 v183, v[152:153], v[150:151] offset1:1
.LBB71_197:
	s_or_b32 exec_lo, exec_lo, s4
	s_waitcnt lgkmcnt(0)
	s_barrier
	buffer_gl0_inv
	ds_load_2addr_b64 v[144:147], v183 offset1:1
	s_mov_b32 s3, exec_lo
	s_waitcnt lgkmcnt(0)
	scratch_store_b128 off, v[144:147], off offset:352 ; 16-byte Folded Spill
	v_cmpx_lt_u32_e32 21, v182
	s_cbranch_execz .LBB71_199
; %bb.198:
	scratch_load_b128 v[146:149], off, off offset:352 ; 16-byte Folded Reload
	s_waitcnt vmcnt(0)
	v_mul_f64 v[144:145], v[146:147], v[58:59]
	v_mul_f64 v[58:59], v[148:149], v[58:59]
	s_delay_alu instid0(VALU_DEP_2) | instskip(NEXT) | instid1(VALU_DEP_2)
	v_fma_f64 v[144:145], v[148:149], v[56:57], v[144:145]
	v_fma_f64 v[56:57], v[146:147], v[56:57], -v[58:59]
	ds_load_2addr_b64 v[146:149], v178 offset0:44 offset1:45
	s_waitcnt lgkmcnt(0)
	v_mul_f64 v[58:59], v[148:149], v[144:145]
	s_delay_alu instid0(VALU_DEP_1) | instskip(SKIP_1) | instid1(VALU_DEP_2)
	v_fma_f64 v[58:59], v[146:147], v[56:57], -v[58:59]
	v_mul_f64 v[146:147], v[146:147], v[144:145]
	v_add_f64 v[52:53], v[52:53], -v[58:59]
	s_delay_alu instid0(VALU_DEP_2) | instskip(NEXT) | instid1(VALU_DEP_1)
	v_fma_f64 v[146:147], v[148:149], v[56:57], v[146:147]
	v_add_f64 v[54:55], v[54:55], -v[146:147]
	ds_load_2addr_b64 v[146:149], v178 offset0:46 offset1:47
	s_waitcnt lgkmcnt(0)
	v_mul_f64 v[58:59], v[148:149], v[144:145]
	s_delay_alu instid0(VALU_DEP_1) | instskip(SKIP_1) | instid1(VALU_DEP_2)
	v_fma_f64 v[58:59], v[146:147], v[56:57], -v[58:59]
	v_mul_f64 v[146:147], v[146:147], v[144:145]
	v_add_f64 v[48:49], v[48:49], -v[58:59]
	s_delay_alu instid0(VALU_DEP_2) | instskip(NEXT) | instid1(VALU_DEP_1)
	v_fma_f64 v[146:147], v[148:149], v[56:57], v[146:147]
	v_add_f64 v[50:51], v[50:51], -v[146:147]
	;; [unrolled: 10-line block ×13, first 2 shown]
	ds_load_2addr_b64 v[146:149], v178 offset0:70 offset1:71
	s_waitcnt lgkmcnt(0)
	v_mul_f64 v[58:59], v[148:149], v[144:145]
	s_delay_alu instid0(VALU_DEP_1) | instskip(SKIP_1) | instid1(VALU_DEP_2)
	v_fma_f64 v[58:59], v[146:147], v[56:57], -v[58:59]
	v_mul_f64 v[146:147], v[146:147], v[144:145]
	v_add_f64 v[0:1], v[0:1], -v[58:59]
	s_delay_alu instid0(VALU_DEP_2) | instskip(SKIP_1) | instid1(VALU_DEP_2)
	v_fma_f64 v[146:147], v[148:149], v[56:57], v[146:147]
	v_dual_mov_b32 v58, v144 :: v_dual_mov_b32 v59, v145
	v_add_f64 v[2:3], v[2:3], -v[146:147]
.LBB71_199:
	s_or_b32 exec_lo, exec_lo, s3
	s_delay_alu instid0(SALU_CYCLE_1)
	s_mov_b32 s4, exec_lo
	s_waitcnt_vscnt null, 0x0
	s_barrier
	buffer_gl0_inv
	v_cmpx_eq_u32_e32 22, v182
	s_cbranch_execz .LBB71_206
; %bb.200:
	ds_store_2addr_b64 v183, v[52:53], v[54:55] offset1:1
	ds_store_2addr_b64 v178, v[48:49], v[50:51] offset0:46 offset1:47
	ds_store_2addr_b64 v178, v[44:45], v[46:47] offset0:48 offset1:49
	ds_store_2addr_b64 v178, v[40:41], v[42:43] offset0:50 offset1:51
	ds_store_2addr_b64 v178, v[36:37], v[38:39] offset0:52 offset1:53
	ds_store_2addr_b64 v178, v[32:33], v[34:35] offset0:54 offset1:55
	ds_store_2addr_b64 v178, v[28:29], v[30:31] offset0:56 offset1:57
	ds_store_2addr_b64 v178, v[24:25], v[26:27] offset0:58 offset1:59
	ds_store_2addr_b64 v178, v[20:21], v[22:23] offset0:60 offset1:61
	ds_store_2addr_b64 v178, v[16:17], v[18:19] offset0:62 offset1:63
	ds_store_2addr_b64 v178, v[12:13], v[14:15] offset0:64 offset1:65
	ds_store_2addr_b64 v178, v[8:9], v[10:11] offset0:66 offset1:67
	ds_store_2addr_b64 v178, v[4:5], v[6:7] offset0:68 offset1:69
	ds_store_2addr_b64 v178, v[0:1], v[2:3] offset0:70 offset1:71
	ds_load_2addr_b64 v[144:147], v183 offset1:1
	s_waitcnt lgkmcnt(0)
	v_cmp_neq_f64_e32 vcc_lo, 0, v[144:145]
	v_cmp_neq_f64_e64 s3, 0, v[146:147]
	s_delay_alu instid0(VALU_DEP_1) | instskip(NEXT) | instid1(SALU_CYCLE_1)
	s_or_b32 s3, vcc_lo, s3
	s_and_b32 exec_lo, exec_lo, s3
	s_cbranch_execz .LBB71_206
; %bb.201:
	v_cmp_gt_f64_e32 vcc_lo, 0, v[144:145]
	v_xor_b32_e32 v148, 0x80000000, v145
	v_xor_b32_e32 v150, 0x80000000, v147
	s_mov_b32 s3, exec_lo
                                        ; implicit-def: $vgpr152_vgpr153
	s_delay_alu instid0(VALU_DEP_2) | instskip(SKIP_4) | instid1(VALU_DEP_1)
	v_cndmask_b32_e32 v149, v145, v148, vcc_lo
	v_cndmask_b32_e32 v148, v144, v144, vcc_lo
	v_cmp_gt_f64_e32 vcc_lo, 0, v[146:147]
	v_cndmask_b32_e32 v151, v147, v150, vcc_lo
	v_cndmask_b32_e32 v150, v146, v146, vcc_lo
	v_cmpx_ngt_f64_e32 v[148:149], v[150:151]
	s_xor_b32 s3, exec_lo, s3
                                        ; implicit-def: $vgpr148_vgpr149_vgpr150_vgpr151
	s_cbranch_execz .LBB71_203
; %bb.202:
	v_div_scale_f64 v[148:149], null, v[146:147], v[146:147], v[144:145]
	v_div_scale_f64 v[154:155], vcc_lo, v[144:145], v[146:147], v[144:145]
	s_delay_alu instid0(VALU_DEP_2) | instskip(SKIP_2) | instid1(VALU_DEP_1)
	v_rcp_f64_e32 v[150:151], v[148:149]
	s_waitcnt_depctr 0xfff
	v_fma_f64 v[152:153], -v[148:149], v[150:151], 1.0
	v_fma_f64 v[150:151], v[150:151], v[152:153], v[150:151]
	s_delay_alu instid0(VALU_DEP_1) | instskip(NEXT) | instid1(VALU_DEP_1)
	v_fma_f64 v[152:153], -v[148:149], v[150:151], 1.0
	v_fma_f64 v[150:151], v[150:151], v[152:153], v[150:151]
	s_delay_alu instid0(VALU_DEP_1) | instskip(NEXT) | instid1(VALU_DEP_1)
	v_mul_f64 v[152:153], v[154:155], v[150:151]
	v_fma_f64 v[148:149], -v[148:149], v[152:153], v[154:155]
	s_delay_alu instid0(VALU_DEP_1) | instskip(NEXT) | instid1(VALU_DEP_1)
	v_div_fmas_f64 v[148:149], v[148:149], v[150:151], v[152:153]
	v_div_fixup_f64 v[148:149], v[148:149], v[146:147], v[144:145]
	s_delay_alu instid0(VALU_DEP_1) | instskip(NEXT) | instid1(VALU_DEP_1)
	v_fma_f64 v[144:145], v[144:145], v[148:149], v[146:147]
	v_div_scale_f64 v[146:147], null, v[144:145], v[144:145], 1.0
	s_delay_alu instid0(VALU_DEP_1) | instskip(SKIP_2) | instid1(VALU_DEP_1)
	v_rcp_f64_e32 v[150:151], v[146:147]
	s_waitcnt_depctr 0xfff
	v_fma_f64 v[152:153], -v[146:147], v[150:151], 1.0
	v_fma_f64 v[150:151], v[150:151], v[152:153], v[150:151]
	s_delay_alu instid0(VALU_DEP_1) | instskip(NEXT) | instid1(VALU_DEP_1)
	v_fma_f64 v[152:153], -v[146:147], v[150:151], 1.0
	v_fma_f64 v[150:151], v[150:151], v[152:153], v[150:151]
	v_div_scale_f64 v[152:153], vcc_lo, 1.0, v[144:145], 1.0
	s_delay_alu instid0(VALU_DEP_1) | instskip(NEXT) | instid1(VALU_DEP_1)
	v_mul_f64 v[154:155], v[152:153], v[150:151]
	v_fma_f64 v[146:147], -v[146:147], v[154:155], v[152:153]
	s_delay_alu instid0(VALU_DEP_1) | instskip(NEXT) | instid1(VALU_DEP_1)
	v_div_fmas_f64 v[146:147], v[146:147], v[150:151], v[154:155]
	v_div_fixup_f64 v[150:151], v[146:147], v[144:145], 1.0
                                        ; implicit-def: $vgpr144_vgpr145
	s_delay_alu instid0(VALU_DEP_1)
	v_mul_f64 v[152:153], v[148:149], v[150:151]
	v_xor_b32_e32 v151, 0x80000000, v151
.LBB71_203:
	s_and_not1_saveexec_b32 s3, s3
	s_cbranch_execz .LBB71_205
; %bb.204:
	v_div_scale_f64 v[148:149], null, v[144:145], v[144:145], v[146:147]
	v_div_scale_f64 v[154:155], vcc_lo, v[146:147], v[144:145], v[146:147]
	s_delay_alu instid0(VALU_DEP_2) | instskip(SKIP_2) | instid1(VALU_DEP_1)
	v_rcp_f64_e32 v[150:151], v[148:149]
	s_waitcnt_depctr 0xfff
	v_fma_f64 v[152:153], -v[148:149], v[150:151], 1.0
	v_fma_f64 v[150:151], v[150:151], v[152:153], v[150:151]
	s_delay_alu instid0(VALU_DEP_1) | instskip(NEXT) | instid1(VALU_DEP_1)
	v_fma_f64 v[152:153], -v[148:149], v[150:151], 1.0
	v_fma_f64 v[150:151], v[150:151], v[152:153], v[150:151]
	s_delay_alu instid0(VALU_DEP_1) | instskip(NEXT) | instid1(VALU_DEP_1)
	v_mul_f64 v[152:153], v[154:155], v[150:151]
	v_fma_f64 v[148:149], -v[148:149], v[152:153], v[154:155]
	s_delay_alu instid0(VALU_DEP_1) | instskip(NEXT) | instid1(VALU_DEP_1)
	v_div_fmas_f64 v[148:149], v[148:149], v[150:151], v[152:153]
	v_div_fixup_f64 v[148:149], v[148:149], v[144:145], v[146:147]
	s_delay_alu instid0(VALU_DEP_1) | instskip(NEXT) | instid1(VALU_DEP_1)
	v_fma_f64 v[144:145], v[146:147], v[148:149], v[144:145]
	v_div_scale_f64 v[146:147], null, v[144:145], v[144:145], 1.0
	s_delay_alu instid0(VALU_DEP_1) | instskip(SKIP_2) | instid1(VALU_DEP_1)
	v_rcp_f64_e32 v[150:151], v[146:147]
	s_waitcnt_depctr 0xfff
	v_fma_f64 v[152:153], -v[146:147], v[150:151], 1.0
	v_fma_f64 v[150:151], v[150:151], v[152:153], v[150:151]
	s_delay_alu instid0(VALU_DEP_1) | instskip(NEXT) | instid1(VALU_DEP_1)
	v_fma_f64 v[152:153], -v[146:147], v[150:151], 1.0
	v_fma_f64 v[150:151], v[150:151], v[152:153], v[150:151]
	v_div_scale_f64 v[152:153], vcc_lo, 1.0, v[144:145], 1.0
	s_delay_alu instid0(VALU_DEP_1) | instskip(NEXT) | instid1(VALU_DEP_1)
	v_mul_f64 v[154:155], v[152:153], v[150:151]
	v_fma_f64 v[146:147], -v[146:147], v[154:155], v[152:153]
	s_delay_alu instid0(VALU_DEP_1) | instskip(NEXT) | instid1(VALU_DEP_1)
	v_div_fmas_f64 v[146:147], v[146:147], v[150:151], v[154:155]
	v_div_fixup_f64 v[152:153], v[146:147], v[144:145], 1.0
	s_delay_alu instid0(VALU_DEP_1)
	v_mul_f64 v[150:151], v[148:149], -v[152:153]
.LBB71_205:
	s_or_b32 exec_lo, exec_lo, s3
	ds_store_2addr_b64 v183, v[152:153], v[150:151] offset1:1
.LBB71_206:
	s_or_b32 exec_lo, exec_lo, s4
	s_waitcnt lgkmcnt(0)
	s_barrier
	buffer_gl0_inv
	ds_load_2addr_b64 v[144:147], v183 offset1:1
	s_mov_b32 s3, exec_lo
	s_waitcnt lgkmcnt(0)
	scratch_store_b128 off, v[144:147], off offset:368 ; 16-byte Folded Spill
	v_cmpx_lt_u32_e32 22, v182
	s_cbranch_execz .LBB71_208
; %bb.207:
	scratch_load_b128 v[146:149], off, off offset:368 ; 16-byte Folded Reload
	s_waitcnt vmcnt(0)
	v_mul_f64 v[144:145], v[146:147], v[54:55]
	v_mul_f64 v[54:55], v[148:149], v[54:55]
	s_delay_alu instid0(VALU_DEP_2) | instskip(NEXT) | instid1(VALU_DEP_2)
	v_fma_f64 v[144:145], v[148:149], v[52:53], v[144:145]
	v_fma_f64 v[52:53], v[146:147], v[52:53], -v[54:55]
	ds_load_2addr_b64 v[146:149], v178 offset0:46 offset1:47
	s_waitcnt lgkmcnt(0)
	v_mul_f64 v[54:55], v[148:149], v[144:145]
	s_delay_alu instid0(VALU_DEP_1) | instskip(SKIP_1) | instid1(VALU_DEP_2)
	v_fma_f64 v[54:55], v[146:147], v[52:53], -v[54:55]
	v_mul_f64 v[146:147], v[146:147], v[144:145]
	v_add_f64 v[48:49], v[48:49], -v[54:55]
	s_delay_alu instid0(VALU_DEP_2) | instskip(NEXT) | instid1(VALU_DEP_1)
	v_fma_f64 v[146:147], v[148:149], v[52:53], v[146:147]
	v_add_f64 v[50:51], v[50:51], -v[146:147]
	ds_load_2addr_b64 v[146:149], v178 offset0:48 offset1:49
	s_waitcnt lgkmcnt(0)
	v_mul_f64 v[54:55], v[148:149], v[144:145]
	s_delay_alu instid0(VALU_DEP_1) | instskip(SKIP_1) | instid1(VALU_DEP_2)
	v_fma_f64 v[54:55], v[146:147], v[52:53], -v[54:55]
	v_mul_f64 v[146:147], v[146:147], v[144:145]
	v_add_f64 v[44:45], v[44:45], -v[54:55]
	s_delay_alu instid0(VALU_DEP_2) | instskip(NEXT) | instid1(VALU_DEP_1)
	v_fma_f64 v[146:147], v[148:149], v[52:53], v[146:147]
	v_add_f64 v[46:47], v[46:47], -v[146:147]
	;; [unrolled: 10-line block ×12, first 2 shown]
	ds_load_2addr_b64 v[146:149], v178 offset0:70 offset1:71
	s_waitcnt lgkmcnt(0)
	v_mul_f64 v[54:55], v[148:149], v[144:145]
	s_delay_alu instid0(VALU_DEP_1) | instskip(SKIP_1) | instid1(VALU_DEP_2)
	v_fma_f64 v[54:55], v[146:147], v[52:53], -v[54:55]
	v_mul_f64 v[146:147], v[146:147], v[144:145]
	v_add_f64 v[0:1], v[0:1], -v[54:55]
	s_delay_alu instid0(VALU_DEP_2) | instskip(SKIP_1) | instid1(VALU_DEP_2)
	v_fma_f64 v[146:147], v[148:149], v[52:53], v[146:147]
	v_dual_mov_b32 v54, v144 :: v_dual_mov_b32 v55, v145
	v_add_f64 v[2:3], v[2:3], -v[146:147]
.LBB71_208:
	s_or_b32 exec_lo, exec_lo, s3
	s_delay_alu instid0(SALU_CYCLE_1)
	s_mov_b32 s4, exec_lo
	s_waitcnt_vscnt null, 0x0
	s_barrier
	buffer_gl0_inv
	v_cmpx_eq_u32_e32 23, v182
	s_cbranch_execz .LBB71_215
; %bb.209:
	ds_store_2addr_b64 v183, v[48:49], v[50:51] offset1:1
	ds_store_2addr_b64 v178, v[44:45], v[46:47] offset0:48 offset1:49
	ds_store_2addr_b64 v178, v[40:41], v[42:43] offset0:50 offset1:51
	;; [unrolled: 1-line block ×12, first 2 shown]
	ds_load_2addr_b64 v[144:147], v183 offset1:1
	s_waitcnt lgkmcnt(0)
	v_cmp_neq_f64_e32 vcc_lo, 0, v[144:145]
	v_cmp_neq_f64_e64 s3, 0, v[146:147]
	s_delay_alu instid0(VALU_DEP_1) | instskip(NEXT) | instid1(SALU_CYCLE_1)
	s_or_b32 s3, vcc_lo, s3
	s_and_b32 exec_lo, exec_lo, s3
	s_cbranch_execz .LBB71_215
; %bb.210:
	v_cmp_gt_f64_e32 vcc_lo, 0, v[144:145]
	v_xor_b32_e32 v148, 0x80000000, v145
	v_xor_b32_e32 v150, 0x80000000, v147
	s_mov_b32 s3, exec_lo
                                        ; implicit-def: $vgpr152_vgpr153
	s_delay_alu instid0(VALU_DEP_2) | instskip(SKIP_4) | instid1(VALU_DEP_1)
	v_cndmask_b32_e32 v149, v145, v148, vcc_lo
	v_cndmask_b32_e32 v148, v144, v144, vcc_lo
	v_cmp_gt_f64_e32 vcc_lo, 0, v[146:147]
	v_cndmask_b32_e32 v151, v147, v150, vcc_lo
	v_cndmask_b32_e32 v150, v146, v146, vcc_lo
	v_cmpx_ngt_f64_e32 v[148:149], v[150:151]
	s_xor_b32 s3, exec_lo, s3
                                        ; implicit-def: $vgpr148_vgpr149_vgpr150_vgpr151
	s_cbranch_execz .LBB71_212
; %bb.211:
	v_div_scale_f64 v[148:149], null, v[146:147], v[146:147], v[144:145]
	v_div_scale_f64 v[154:155], vcc_lo, v[144:145], v[146:147], v[144:145]
	s_delay_alu instid0(VALU_DEP_2) | instskip(SKIP_2) | instid1(VALU_DEP_1)
	v_rcp_f64_e32 v[150:151], v[148:149]
	s_waitcnt_depctr 0xfff
	v_fma_f64 v[152:153], -v[148:149], v[150:151], 1.0
	v_fma_f64 v[150:151], v[150:151], v[152:153], v[150:151]
	s_delay_alu instid0(VALU_DEP_1) | instskip(NEXT) | instid1(VALU_DEP_1)
	v_fma_f64 v[152:153], -v[148:149], v[150:151], 1.0
	v_fma_f64 v[150:151], v[150:151], v[152:153], v[150:151]
	s_delay_alu instid0(VALU_DEP_1) | instskip(NEXT) | instid1(VALU_DEP_1)
	v_mul_f64 v[152:153], v[154:155], v[150:151]
	v_fma_f64 v[148:149], -v[148:149], v[152:153], v[154:155]
	s_delay_alu instid0(VALU_DEP_1) | instskip(NEXT) | instid1(VALU_DEP_1)
	v_div_fmas_f64 v[148:149], v[148:149], v[150:151], v[152:153]
	v_div_fixup_f64 v[148:149], v[148:149], v[146:147], v[144:145]
	s_delay_alu instid0(VALU_DEP_1) | instskip(NEXT) | instid1(VALU_DEP_1)
	v_fma_f64 v[144:145], v[144:145], v[148:149], v[146:147]
	v_div_scale_f64 v[146:147], null, v[144:145], v[144:145], 1.0
	s_delay_alu instid0(VALU_DEP_1) | instskip(SKIP_2) | instid1(VALU_DEP_1)
	v_rcp_f64_e32 v[150:151], v[146:147]
	s_waitcnt_depctr 0xfff
	v_fma_f64 v[152:153], -v[146:147], v[150:151], 1.0
	v_fma_f64 v[150:151], v[150:151], v[152:153], v[150:151]
	s_delay_alu instid0(VALU_DEP_1) | instskip(NEXT) | instid1(VALU_DEP_1)
	v_fma_f64 v[152:153], -v[146:147], v[150:151], 1.0
	v_fma_f64 v[150:151], v[150:151], v[152:153], v[150:151]
	v_div_scale_f64 v[152:153], vcc_lo, 1.0, v[144:145], 1.0
	s_delay_alu instid0(VALU_DEP_1) | instskip(NEXT) | instid1(VALU_DEP_1)
	v_mul_f64 v[154:155], v[152:153], v[150:151]
	v_fma_f64 v[146:147], -v[146:147], v[154:155], v[152:153]
	s_delay_alu instid0(VALU_DEP_1) | instskip(NEXT) | instid1(VALU_DEP_1)
	v_div_fmas_f64 v[146:147], v[146:147], v[150:151], v[154:155]
	v_div_fixup_f64 v[150:151], v[146:147], v[144:145], 1.0
                                        ; implicit-def: $vgpr144_vgpr145
	s_delay_alu instid0(VALU_DEP_1)
	v_mul_f64 v[152:153], v[148:149], v[150:151]
	v_xor_b32_e32 v151, 0x80000000, v151
.LBB71_212:
	s_and_not1_saveexec_b32 s3, s3
	s_cbranch_execz .LBB71_214
; %bb.213:
	v_div_scale_f64 v[148:149], null, v[144:145], v[144:145], v[146:147]
	v_div_scale_f64 v[154:155], vcc_lo, v[146:147], v[144:145], v[146:147]
	s_delay_alu instid0(VALU_DEP_2) | instskip(SKIP_2) | instid1(VALU_DEP_1)
	v_rcp_f64_e32 v[150:151], v[148:149]
	s_waitcnt_depctr 0xfff
	v_fma_f64 v[152:153], -v[148:149], v[150:151], 1.0
	v_fma_f64 v[150:151], v[150:151], v[152:153], v[150:151]
	s_delay_alu instid0(VALU_DEP_1) | instskip(NEXT) | instid1(VALU_DEP_1)
	v_fma_f64 v[152:153], -v[148:149], v[150:151], 1.0
	v_fma_f64 v[150:151], v[150:151], v[152:153], v[150:151]
	s_delay_alu instid0(VALU_DEP_1) | instskip(NEXT) | instid1(VALU_DEP_1)
	v_mul_f64 v[152:153], v[154:155], v[150:151]
	v_fma_f64 v[148:149], -v[148:149], v[152:153], v[154:155]
	s_delay_alu instid0(VALU_DEP_1) | instskip(NEXT) | instid1(VALU_DEP_1)
	v_div_fmas_f64 v[148:149], v[148:149], v[150:151], v[152:153]
	v_div_fixup_f64 v[148:149], v[148:149], v[144:145], v[146:147]
	s_delay_alu instid0(VALU_DEP_1) | instskip(NEXT) | instid1(VALU_DEP_1)
	v_fma_f64 v[144:145], v[146:147], v[148:149], v[144:145]
	v_div_scale_f64 v[146:147], null, v[144:145], v[144:145], 1.0
	s_delay_alu instid0(VALU_DEP_1) | instskip(SKIP_2) | instid1(VALU_DEP_1)
	v_rcp_f64_e32 v[150:151], v[146:147]
	s_waitcnt_depctr 0xfff
	v_fma_f64 v[152:153], -v[146:147], v[150:151], 1.0
	v_fma_f64 v[150:151], v[150:151], v[152:153], v[150:151]
	s_delay_alu instid0(VALU_DEP_1) | instskip(NEXT) | instid1(VALU_DEP_1)
	v_fma_f64 v[152:153], -v[146:147], v[150:151], 1.0
	v_fma_f64 v[150:151], v[150:151], v[152:153], v[150:151]
	v_div_scale_f64 v[152:153], vcc_lo, 1.0, v[144:145], 1.0
	s_delay_alu instid0(VALU_DEP_1) | instskip(NEXT) | instid1(VALU_DEP_1)
	v_mul_f64 v[154:155], v[152:153], v[150:151]
	v_fma_f64 v[146:147], -v[146:147], v[154:155], v[152:153]
	s_delay_alu instid0(VALU_DEP_1) | instskip(NEXT) | instid1(VALU_DEP_1)
	v_div_fmas_f64 v[146:147], v[146:147], v[150:151], v[154:155]
	v_div_fixup_f64 v[152:153], v[146:147], v[144:145], 1.0
	s_delay_alu instid0(VALU_DEP_1)
	v_mul_f64 v[150:151], v[148:149], -v[152:153]
.LBB71_214:
	s_or_b32 exec_lo, exec_lo, s3
	ds_store_2addr_b64 v183, v[152:153], v[150:151] offset1:1
.LBB71_215:
	s_or_b32 exec_lo, exec_lo, s4
	s_waitcnt lgkmcnt(0)
	s_barrier
	buffer_gl0_inv
	ds_load_2addr_b64 v[144:147], v183 offset1:1
	s_mov_b32 s3, exec_lo
	s_waitcnt lgkmcnt(0)
	scratch_store_b128 off, v[144:147], off offset:384 ; 16-byte Folded Spill
	v_cmpx_lt_u32_e32 23, v182
	s_cbranch_execz .LBB71_217
; %bb.216:
	scratch_load_b128 v[150:153], off, off offset:384 ; 16-byte Folded Reload
	s_waitcnt vmcnt(0)
	v_mul_f64 v[144:145], v[150:151], v[50:51]
	v_mul_f64 v[50:51], v[152:153], v[50:51]
	s_delay_alu instid0(VALU_DEP_2) | instskip(SKIP_4) | instid1(VALU_DEP_1)
	v_fma_f64 v[148:149], v[152:153], v[48:49], v[144:145]
	ds_load_2addr_b64 v[144:147], v178 offset0:48 offset1:49
	v_fma_f64 v[48:49], v[150:151], v[48:49], -v[50:51]
	s_waitcnt lgkmcnt(0)
	v_mul_f64 v[50:51], v[146:147], v[148:149]
	v_fma_f64 v[50:51], v[144:145], v[48:49], -v[50:51]
	v_mul_f64 v[144:145], v[144:145], v[148:149]
	s_delay_alu instid0(VALU_DEP_2) | instskip(NEXT) | instid1(VALU_DEP_2)
	v_add_f64 v[44:45], v[44:45], -v[50:51]
	v_fma_f64 v[144:145], v[146:147], v[48:49], v[144:145]
	s_delay_alu instid0(VALU_DEP_1) | instskip(SKIP_3) | instid1(VALU_DEP_1)
	v_add_f64 v[46:47], v[46:47], -v[144:145]
	ds_load_2addr_b64 v[144:147], v178 offset0:50 offset1:51
	s_waitcnt lgkmcnt(0)
	v_mul_f64 v[50:51], v[146:147], v[148:149]
	v_fma_f64 v[50:51], v[144:145], v[48:49], -v[50:51]
	v_mul_f64 v[144:145], v[144:145], v[148:149]
	s_delay_alu instid0(VALU_DEP_2) | instskip(NEXT) | instid1(VALU_DEP_2)
	v_add_f64 v[40:41], v[40:41], -v[50:51]
	v_fma_f64 v[144:145], v[146:147], v[48:49], v[144:145]
	s_delay_alu instid0(VALU_DEP_1) | instskip(SKIP_3) | instid1(VALU_DEP_1)
	v_add_f64 v[42:43], v[42:43], -v[144:145]
	ds_load_2addr_b64 v[144:147], v178 offset0:52 offset1:53
	;; [unrolled: 10-line block ×11, first 2 shown]
	s_waitcnt lgkmcnt(0)
	v_mul_f64 v[50:51], v[146:147], v[148:149]
	v_fma_f64 v[50:51], v[144:145], v[48:49], -v[50:51]
	v_mul_f64 v[144:145], v[144:145], v[148:149]
	s_delay_alu instid0(VALU_DEP_2) | instskip(NEXT) | instid1(VALU_DEP_2)
	v_add_f64 v[0:1], v[0:1], -v[50:51]
	v_fma_f64 v[144:145], v[146:147], v[48:49], v[144:145]
	v_dual_mov_b32 v50, v148 :: v_dual_mov_b32 v51, v149
	s_delay_alu instid0(VALU_DEP_2)
	v_add_f64 v[2:3], v[2:3], -v[144:145]
.LBB71_217:
	s_or_b32 exec_lo, exec_lo, s3
	s_delay_alu instid0(SALU_CYCLE_1)
	s_mov_b32 s4, exec_lo
	s_waitcnt_vscnt null, 0x0
	s_barrier
	buffer_gl0_inv
	v_cmpx_eq_u32_e32 24, v182
	s_cbranch_execz .LBB71_224
; %bb.218:
	ds_store_2addr_b64 v183, v[44:45], v[46:47] offset1:1
	ds_store_2addr_b64 v178, v[40:41], v[42:43] offset0:50 offset1:51
	ds_store_2addr_b64 v178, v[36:37], v[38:39] offset0:52 offset1:53
	;; [unrolled: 1-line block ×11, first 2 shown]
	ds_load_2addr_b64 v[144:147], v183 offset1:1
	s_waitcnt lgkmcnt(0)
	v_cmp_neq_f64_e32 vcc_lo, 0, v[144:145]
	v_cmp_neq_f64_e64 s3, 0, v[146:147]
	s_delay_alu instid0(VALU_DEP_1) | instskip(NEXT) | instid1(SALU_CYCLE_1)
	s_or_b32 s3, vcc_lo, s3
	s_and_b32 exec_lo, exec_lo, s3
	s_cbranch_execz .LBB71_224
; %bb.219:
	v_cmp_gt_f64_e32 vcc_lo, 0, v[144:145]
	v_xor_b32_e32 v148, 0x80000000, v145
	v_xor_b32_e32 v150, 0x80000000, v147
	s_mov_b32 s3, exec_lo
                                        ; implicit-def: $vgpr152_vgpr153
	s_delay_alu instid0(VALU_DEP_2) | instskip(SKIP_4) | instid1(VALU_DEP_1)
	v_cndmask_b32_e32 v149, v145, v148, vcc_lo
	v_cndmask_b32_e32 v148, v144, v144, vcc_lo
	v_cmp_gt_f64_e32 vcc_lo, 0, v[146:147]
	v_cndmask_b32_e32 v151, v147, v150, vcc_lo
	v_cndmask_b32_e32 v150, v146, v146, vcc_lo
	v_cmpx_ngt_f64_e32 v[148:149], v[150:151]
	s_xor_b32 s3, exec_lo, s3
                                        ; implicit-def: $vgpr148_vgpr149_vgpr150_vgpr151
	s_cbranch_execz .LBB71_221
; %bb.220:
	v_div_scale_f64 v[148:149], null, v[146:147], v[146:147], v[144:145]
	v_div_scale_f64 v[154:155], vcc_lo, v[144:145], v[146:147], v[144:145]
	s_delay_alu instid0(VALU_DEP_2) | instskip(SKIP_2) | instid1(VALU_DEP_1)
	v_rcp_f64_e32 v[150:151], v[148:149]
	s_waitcnt_depctr 0xfff
	v_fma_f64 v[152:153], -v[148:149], v[150:151], 1.0
	v_fma_f64 v[150:151], v[150:151], v[152:153], v[150:151]
	s_delay_alu instid0(VALU_DEP_1) | instskip(NEXT) | instid1(VALU_DEP_1)
	v_fma_f64 v[152:153], -v[148:149], v[150:151], 1.0
	v_fma_f64 v[150:151], v[150:151], v[152:153], v[150:151]
	s_delay_alu instid0(VALU_DEP_1) | instskip(NEXT) | instid1(VALU_DEP_1)
	v_mul_f64 v[152:153], v[154:155], v[150:151]
	v_fma_f64 v[148:149], -v[148:149], v[152:153], v[154:155]
	s_delay_alu instid0(VALU_DEP_1) | instskip(NEXT) | instid1(VALU_DEP_1)
	v_div_fmas_f64 v[148:149], v[148:149], v[150:151], v[152:153]
	v_div_fixup_f64 v[148:149], v[148:149], v[146:147], v[144:145]
	s_delay_alu instid0(VALU_DEP_1) | instskip(NEXT) | instid1(VALU_DEP_1)
	v_fma_f64 v[144:145], v[144:145], v[148:149], v[146:147]
	v_div_scale_f64 v[146:147], null, v[144:145], v[144:145], 1.0
	s_delay_alu instid0(VALU_DEP_1) | instskip(SKIP_2) | instid1(VALU_DEP_1)
	v_rcp_f64_e32 v[150:151], v[146:147]
	s_waitcnt_depctr 0xfff
	v_fma_f64 v[152:153], -v[146:147], v[150:151], 1.0
	v_fma_f64 v[150:151], v[150:151], v[152:153], v[150:151]
	s_delay_alu instid0(VALU_DEP_1) | instskip(NEXT) | instid1(VALU_DEP_1)
	v_fma_f64 v[152:153], -v[146:147], v[150:151], 1.0
	v_fma_f64 v[150:151], v[150:151], v[152:153], v[150:151]
	v_div_scale_f64 v[152:153], vcc_lo, 1.0, v[144:145], 1.0
	s_delay_alu instid0(VALU_DEP_1) | instskip(NEXT) | instid1(VALU_DEP_1)
	v_mul_f64 v[154:155], v[152:153], v[150:151]
	v_fma_f64 v[146:147], -v[146:147], v[154:155], v[152:153]
	s_delay_alu instid0(VALU_DEP_1) | instskip(NEXT) | instid1(VALU_DEP_1)
	v_div_fmas_f64 v[146:147], v[146:147], v[150:151], v[154:155]
	v_div_fixup_f64 v[150:151], v[146:147], v[144:145], 1.0
                                        ; implicit-def: $vgpr144_vgpr145
	s_delay_alu instid0(VALU_DEP_1)
	v_mul_f64 v[152:153], v[148:149], v[150:151]
	v_xor_b32_e32 v151, 0x80000000, v151
.LBB71_221:
	s_and_not1_saveexec_b32 s3, s3
	s_cbranch_execz .LBB71_223
; %bb.222:
	v_div_scale_f64 v[148:149], null, v[144:145], v[144:145], v[146:147]
	v_div_scale_f64 v[154:155], vcc_lo, v[146:147], v[144:145], v[146:147]
	s_delay_alu instid0(VALU_DEP_2) | instskip(SKIP_2) | instid1(VALU_DEP_1)
	v_rcp_f64_e32 v[150:151], v[148:149]
	s_waitcnt_depctr 0xfff
	v_fma_f64 v[152:153], -v[148:149], v[150:151], 1.0
	v_fma_f64 v[150:151], v[150:151], v[152:153], v[150:151]
	s_delay_alu instid0(VALU_DEP_1) | instskip(NEXT) | instid1(VALU_DEP_1)
	v_fma_f64 v[152:153], -v[148:149], v[150:151], 1.0
	v_fma_f64 v[150:151], v[150:151], v[152:153], v[150:151]
	s_delay_alu instid0(VALU_DEP_1) | instskip(NEXT) | instid1(VALU_DEP_1)
	v_mul_f64 v[152:153], v[154:155], v[150:151]
	v_fma_f64 v[148:149], -v[148:149], v[152:153], v[154:155]
	s_delay_alu instid0(VALU_DEP_1) | instskip(NEXT) | instid1(VALU_DEP_1)
	v_div_fmas_f64 v[148:149], v[148:149], v[150:151], v[152:153]
	v_div_fixup_f64 v[148:149], v[148:149], v[144:145], v[146:147]
	s_delay_alu instid0(VALU_DEP_1) | instskip(NEXT) | instid1(VALU_DEP_1)
	v_fma_f64 v[144:145], v[146:147], v[148:149], v[144:145]
	v_div_scale_f64 v[146:147], null, v[144:145], v[144:145], 1.0
	s_delay_alu instid0(VALU_DEP_1) | instskip(SKIP_2) | instid1(VALU_DEP_1)
	v_rcp_f64_e32 v[150:151], v[146:147]
	s_waitcnt_depctr 0xfff
	v_fma_f64 v[152:153], -v[146:147], v[150:151], 1.0
	v_fma_f64 v[150:151], v[150:151], v[152:153], v[150:151]
	s_delay_alu instid0(VALU_DEP_1) | instskip(NEXT) | instid1(VALU_DEP_1)
	v_fma_f64 v[152:153], -v[146:147], v[150:151], 1.0
	v_fma_f64 v[150:151], v[150:151], v[152:153], v[150:151]
	v_div_scale_f64 v[152:153], vcc_lo, 1.0, v[144:145], 1.0
	s_delay_alu instid0(VALU_DEP_1) | instskip(NEXT) | instid1(VALU_DEP_1)
	v_mul_f64 v[154:155], v[152:153], v[150:151]
	v_fma_f64 v[146:147], -v[146:147], v[154:155], v[152:153]
	s_delay_alu instid0(VALU_DEP_1) | instskip(NEXT) | instid1(VALU_DEP_1)
	v_div_fmas_f64 v[146:147], v[146:147], v[150:151], v[154:155]
	v_div_fixup_f64 v[152:153], v[146:147], v[144:145], 1.0
	s_delay_alu instid0(VALU_DEP_1)
	v_mul_f64 v[150:151], v[148:149], -v[152:153]
.LBB71_223:
	s_or_b32 exec_lo, exec_lo, s3
	ds_store_2addr_b64 v183, v[152:153], v[150:151] offset1:1
.LBB71_224:
	s_or_b32 exec_lo, exec_lo, s4
	s_waitcnt lgkmcnt(0)
	s_barrier
	buffer_gl0_inv
	ds_load_2addr_b64 v[144:147], v183 offset1:1
	s_mov_b32 s3, exec_lo
	s_waitcnt lgkmcnt(0)
	scratch_store_b128 off, v[144:147], off offset:400 ; 16-byte Folded Spill
	v_cmpx_lt_u32_e32 24, v182
	s_cbranch_execz .LBB71_226
; %bb.225:
	scratch_load_b128 v[150:153], off, off offset:400 ; 16-byte Folded Reload
	s_waitcnt vmcnt(0)
	v_mul_f64 v[144:145], v[150:151], v[46:47]
	v_mul_f64 v[46:47], v[152:153], v[46:47]
	s_delay_alu instid0(VALU_DEP_2) | instskip(SKIP_4) | instid1(VALU_DEP_1)
	v_fma_f64 v[148:149], v[152:153], v[44:45], v[144:145]
	ds_load_2addr_b64 v[144:147], v178 offset0:50 offset1:51
	v_fma_f64 v[44:45], v[150:151], v[44:45], -v[46:47]
	s_waitcnt lgkmcnt(0)
	v_mul_f64 v[46:47], v[146:147], v[148:149]
	v_fma_f64 v[46:47], v[144:145], v[44:45], -v[46:47]
	v_mul_f64 v[144:145], v[144:145], v[148:149]
	s_delay_alu instid0(VALU_DEP_2) | instskip(NEXT) | instid1(VALU_DEP_2)
	v_add_f64 v[40:41], v[40:41], -v[46:47]
	v_fma_f64 v[144:145], v[146:147], v[44:45], v[144:145]
	s_delay_alu instid0(VALU_DEP_1) | instskip(SKIP_3) | instid1(VALU_DEP_1)
	v_add_f64 v[42:43], v[42:43], -v[144:145]
	ds_load_2addr_b64 v[144:147], v178 offset0:52 offset1:53
	s_waitcnt lgkmcnt(0)
	v_mul_f64 v[46:47], v[146:147], v[148:149]
	v_fma_f64 v[46:47], v[144:145], v[44:45], -v[46:47]
	v_mul_f64 v[144:145], v[144:145], v[148:149]
	s_delay_alu instid0(VALU_DEP_2) | instskip(NEXT) | instid1(VALU_DEP_2)
	v_add_f64 v[36:37], v[36:37], -v[46:47]
	v_fma_f64 v[144:145], v[146:147], v[44:45], v[144:145]
	s_delay_alu instid0(VALU_DEP_1) | instskip(SKIP_3) | instid1(VALU_DEP_1)
	v_add_f64 v[38:39], v[38:39], -v[144:145]
	ds_load_2addr_b64 v[144:147], v178 offset0:54 offset1:55
	;; [unrolled: 10-line block ×10, first 2 shown]
	s_waitcnt lgkmcnt(0)
	v_mul_f64 v[46:47], v[146:147], v[148:149]
	v_fma_f64 v[46:47], v[144:145], v[44:45], -v[46:47]
	v_mul_f64 v[144:145], v[144:145], v[148:149]
	s_delay_alu instid0(VALU_DEP_2) | instskip(NEXT) | instid1(VALU_DEP_2)
	v_add_f64 v[0:1], v[0:1], -v[46:47]
	v_fma_f64 v[144:145], v[146:147], v[44:45], v[144:145]
	v_dual_mov_b32 v46, v148 :: v_dual_mov_b32 v47, v149
	s_delay_alu instid0(VALU_DEP_2)
	v_add_f64 v[2:3], v[2:3], -v[144:145]
.LBB71_226:
	s_or_b32 exec_lo, exec_lo, s3
	s_delay_alu instid0(SALU_CYCLE_1)
	s_mov_b32 s4, exec_lo
	s_waitcnt_vscnt null, 0x0
	s_barrier
	buffer_gl0_inv
	v_cmpx_eq_u32_e32 25, v182
	s_cbranch_execz .LBB71_233
; %bb.227:
	ds_store_2addr_b64 v183, v[40:41], v[42:43] offset1:1
	ds_store_2addr_b64 v178, v[36:37], v[38:39] offset0:52 offset1:53
	ds_store_2addr_b64 v178, v[32:33], v[34:35] offset0:54 offset1:55
	;; [unrolled: 1-line block ×10, first 2 shown]
	ds_load_2addr_b64 v[144:147], v183 offset1:1
	s_waitcnt lgkmcnt(0)
	v_cmp_neq_f64_e32 vcc_lo, 0, v[144:145]
	v_cmp_neq_f64_e64 s3, 0, v[146:147]
	s_delay_alu instid0(VALU_DEP_1) | instskip(NEXT) | instid1(SALU_CYCLE_1)
	s_or_b32 s3, vcc_lo, s3
	s_and_b32 exec_lo, exec_lo, s3
	s_cbranch_execz .LBB71_233
; %bb.228:
	v_cmp_gt_f64_e32 vcc_lo, 0, v[144:145]
	v_xor_b32_e32 v148, 0x80000000, v145
	v_xor_b32_e32 v150, 0x80000000, v147
	s_mov_b32 s3, exec_lo
                                        ; implicit-def: $vgpr152_vgpr153
	s_delay_alu instid0(VALU_DEP_2) | instskip(SKIP_4) | instid1(VALU_DEP_1)
	v_cndmask_b32_e32 v149, v145, v148, vcc_lo
	v_cndmask_b32_e32 v148, v144, v144, vcc_lo
	v_cmp_gt_f64_e32 vcc_lo, 0, v[146:147]
	v_cndmask_b32_e32 v151, v147, v150, vcc_lo
	v_cndmask_b32_e32 v150, v146, v146, vcc_lo
	v_cmpx_ngt_f64_e32 v[148:149], v[150:151]
	s_xor_b32 s3, exec_lo, s3
                                        ; implicit-def: $vgpr148_vgpr149_vgpr150_vgpr151
	s_cbranch_execz .LBB71_230
; %bb.229:
	v_div_scale_f64 v[148:149], null, v[146:147], v[146:147], v[144:145]
	v_div_scale_f64 v[154:155], vcc_lo, v[144:145], v[146:147], v[144:145]
	s_delay_alu instid0(VALU_DEP_2) | instskip(SKIP_2) | instid1(VALU_DEP_1)
	v_rcp_f64_e32 v[150:151], v[148:149]
	s_waitcnt_depctr 0xfff
	v_fma_f64 v[152:153], -v[148:149], v[150:151], 1.0
	v_fma_f64 v[150:151], v[150:151], v[152:153], v[150:151]
	s_delay_alu instid0(VALU_DEP_1) | instskip(NEXT) | instid1(VALU_DEP_1)
	v_fma_f64 v[152:153], -v[148:149], v[150:151], 1.0
	v_fma_f64 v[150:151], v[150:151], v[152:153], v[150:151]
	s_delay_alu instid0(VALU_DEP_1) | instskip(NEXT) | instid1(VALU_DEP_1)
	v_mul_f64 v[152:153], v[154:155], v[150:151]
	v_fma_f64 v[148:149], -v[148:149], v[152:153], v[154:155]
	s_delay_alu instid0(VALU_DEP_1) | instskip(NEXT) | instid1(VALU_DEP_1)
	v_div_fmas_f64 v[148:149], v[148:149], v[150:151], v[152:153]
	v_div_fixup_f64 v[148:149], v[148:149], v[146:147], v[144:145]
	s_delay_alu instid0(VALU_DEP_1) | instskip(NEXT) | instid1(VALU_DEP_1)
	v_fma_f64 v[144:145], v[144:145], v[148:149], v[146:147]
	v_div_scale_f64 v[146:147], null, v[144:145], v[144:145], 1.0
	s_delay_alu instid0(VALU_DEP_1) | instskip(SKIP_2) | instid1(VALU_DEP_1)
	v_rcp_f64_e32 v[150:151], v[146:147]
	s_waitcnt_depctr 0xfff
	v_fma_f64 v[152:153], -v[146:147], v[150:151], 1.0
	v_fma_f64 v[150:151], v[150:151], v[152:153], v[150:151]
	s_delay_alu instid0(VALU_DEP_1) | instskip(NEXT) | instid1(VALU_DEP_1)
	v_fma_f64 v[152:153], -v[146:147], v[150:151], 1.0
	v_fma_f64 v[150:151], v[150:151], v[152:153], v[150:151]
	v_div_scale_f64 v[152:153], vcc_lo, 1.0, v[144:145], 1.0
	s_delay_alu instid0(VALU_DEP_1) | instskip(NEXT) | instid1(VALU_DEP_1)
	v_mul_f64 v[154:155], v[152:153], v[150:151]
	v_fma_f64 v[146:147], -v[146:147], v[154:155], v[152:153]
	s_delay_alu instid0(VALU_DEP_1) | instskip(NEXT) | instid1(VALU_DEP_1)
	v_div_fmas_f64 v[146:147], v[146:147], v[150:151], v[154:155]
	v_div_fixup_f64 v[150:151], v[146:147], v[144:145], 1.0
                                        ; implicit-def: $vgpr144_vgpr145
	s_delay_alu instid0(VALU_DEP_1)
	v_mul_f64 v[152:153], v[148:149], v[150:151]
	v_xor_b32_e32 v151, 0x80000000, v151
.LBB71_230:
	s_and_not1_saveexec_b32 s3, s3
	s_cbranch_execz .LBB71_232
; %bb.231:
	v_div_scale_f64 v[148:149], null, v[144:145], v[144:145], v[146:147]
	v_div_scale_f64 v[154:155], vcc_lo, v[146:147], v[144:145], v[146:147]
	s_delay_alu instid0(VALU_DEP_2) | instskip(SKIP_2) | instid1(VALU_DEP_1)
	v_rcp_f64_e32 v[150:151], v[148:149]
	s_waitcnt_depctr 0xfff
	v_fma_f64 v[152:153], -v[148:149], v[150:151], 1.0
	v_fma_f64 v[150:151], v[150:151], v[152:153], v[150:151]
	s_delay_alu instid0(VALU_DEP_1) | instskip(NEXT) | instid1(VALU_DEP_1)
	v_fma_f64 v[152:153], -v[148:149], v[150:151], 1.0
	v_fma_f64 v[150:151], v[150:151], v[152:153], v[150:151]
	s_delay_alu instid0(VALU_DEP_1) | instskip(NEXT) | instid1(VALU_DEP_1)
	v_mul_f64 v[152:153], v[154:155], v[150:151]
	v_fma_f64 v[148:149], -v[148:149], v[152:153], v[154:155]
	s_delay_alu instid0(VALU_DEP_1) | instskip(NEXT) | instid1(VALU_DEP_1)
	v_div_fmas_f64 v[148:149], v[148:149], v[150:151], v[152:153]
	v_div_fixup_f64 v[148:149], v[148:149], v[144:145], v[146:147]
	s_delay_alu instid0(VALU_DEP_1) | instskip(NEXT) | instid1(VALU_DEP_1)
	v_fma_f64 v[144:145], v[146:147], v[148:149], v[144:145]
	v_div_scale_f64 v[146:147], null, v[144:145], v[144:145], 1.0
	s_delay_alu instid0(VALU_DEP_1) | instskip(SKIP_2) | instid1(VALU_DEP_1)
	v_rcp_f64_e32 v[150:151], v[146:147]
	s_waitcnt_depctr 0xfff
	v_fma_f64 v[152:153], -v[146:147], v[150:151], 1.0
	v_fma_f64 v[150:151], v[150:151], v[152:153], v[150:151]
	s_delay_alu instid0(VALU_DEP_1) | instskip(NEXT) | instid1(VALU_DEP_1)
	v_fma_f64 v[152:153], -v[146:147], v[150:151], 1.0
	v_fma_f64 v[150:151], v[150:151], v[152:153], v[150:151]
	v_div_scale_f64 v[152:153], vcc_lo, 1.0, v[144:145], 1.0
	s_delay_alu instid0(VALU_DEP_1) | instskip(NEXT) | instid1(VALU_DEP_1)
	v_mul_f64 v[154:155], v[152:153], v[150:151]
	v_fma_f64 v[146:147], -v[146:147], v[154:155], v[152:153]
	s_delay_alu instid0(VALU_DEP_1) | instskip(NEXT) | instid1(VALU_DEP_1)
	v_div_fmas_f64 v[146:147], v[146:147], v[150:151], v[154:155]
	v_div_fixup_f64 v[152:153], v[146:147], v[144:145], 1.0
	s_delay_alu instid0(VALU_DEP_1)
	v_mul_f64 v[150:151], v[148:149], -v[152:153]
.LBB71_232:
	s_or_b32 exec_lo, exec_lo, s3
	ds_store_2addr_b64 v183, v[152:153], v[150:151] offset1:1
.LBB71_233:
	s_or_b32 exec_lo, exec_lo, s4
	s_waitcnt lgkmcnt(0)
	s_barrier
	buffer_gl0_inv
	ds_load_2addr_b64 v[144:147], v183 offset1:1
	s_mov_b32 s3, exec_lo
	s_waitcnt lgkmcnt(0)
	scratch_store_b128 off, v[144:147], off offset:416 ; 16-byte Folded Spill
	v_cmpx_lt_u32_e32 25, v182
	s_cbranch_execz .LBB71_235
; %bb.234:
	scratch_load_b128 v[150:153], off, off offset:416 ; 16-byte Folded Reload
	s_waitcnt vmcnt(0)
	v_mul_f64 v[144:145], v[150:151], v[42:43]
	v_mul_f64 v[42:43], v[152:153], v[42:43]
	s_delay_alu instid0(VALU_DEP_2) | instskip(SKIP_4) | instid1(VALU_DEP_1)
	v_fma_f64 v[148:149], v[152:153], v[40:41], v[144:145]
	ds_load_2addr_b64 v[144:147], v178 offset0:52 offset1:53
	v_fma_f64 v[40:41], v[150:151], v[40:41], -v[42:43]
	s_waitcnt lgkmcnt(0)
	v_mul_f64 v[42:43], v[146:147], v[148:149]
	v_fma_f64 v[42:43], v[144:145], v[40:41], -v[42:43]
	v_mul_f64 v[144:145], v[144:145], v[148:149]
	s_delay_alu instid0(VALU_DEP_2) | instskip(NEXT) | instid1(VALU_DEP_2)
	v_add_f64 v[36:37], v[36:37], -v[42:43]
	v_fma_f64 v[144:145], v[146:147], v[40:41], v[144:145]
	s_delay_alu instid0(VALU_DEP_1) | instskip(SKIP_3) | instid1(VALU_DEP_1)
	v_add_f64 v[38:39], v[38:39], -v[144:145]
	ds_load_2addr_b64 v[144:147], v178 offset0:54 offset1:55
	s_waitcnt lgkmcnt(0)
	v_mul_f64 v[42:43], v[146:147], v[148:149]
	v_fma_f64 v[42:43], v[144:145], v[40:41], -v[42:43]
	v_mul_f64 v[144:145], v[144:145], v[148:149]
	s_delay_alu instid0(VALU_DEP_2) | instskip(NEXT) | instid1(VALU_DEP_2)
	v_add_f64 v[32:33], v[32:33], -v[42:43]
	v_fma_f64 v[144:145], v[146:147], v[40:41], v[144:145]
	s_delay_alu instid0(VALU_DEP_1) | instskip(SKIP_3) | instid1(VALU_DEP_1)
	v_add_f64 v[34:35], v[34:35], -v[144:145]
	ds_load_2addr_b64 v[144:147], v178 offset0:56 offset1:57
	s_waitcnt lgkmcnt(0)
	v_mul_f64 v[42:43], v[146:147], v[148:149]
	v_fma_f64 v[42:43], v[144:145], v[40:41], -v[42:43]
	v_mul_f64 v[144:145], v[144:145], v[148:149]
	s_delay_alu instid0(VALU_DEP_2) | instskip(NEXT) | instid1(VALU_DEP_2)
	v_add_f64 v[28:29], v[28:29], -v[42:43]
	v_fma_f64 v[144:145], v[146:147], v[40:41], v[144:145]
	s_delay_alu instid0(VALU_DEP_1) | instskip(SKIP_3) | instid1(VALU_DEP_1)
	v_add_f64 v[30:31], v[30:31], -v[144:145]
	ds_load_2addr_b64 v[144:147], v178 offset0:58 offset1:59
	s_waitcnt lgkmcnt(0)
	v_mul_f64 v[42:43], v[146:147], v[148:149]
	v_fma_f64 v[42:43], v[144:145], v[40:41], -v[42:43]
	v_mul_f64 v[144:145], v[144:145], v[148:149]
	s_delay_alu instid0(VALU_DEP_2) | instskip(NEXT) | instid1(VALU_DEP_2)
	v_add_f64 v[24:25], v[24:25], -v[42:43]
	v_fma_f64 v[144:145], v[146:147], v[40:41], v[144:145]
	s_delay_alu instid0(VALU_DEP_1) | instskip(SKIP_3) | instid1(VALU_DEP_1)
	v_add_f64 v[26:27], v[26:27], -v[144:145]
	ds_load_2addr_b64 v[144:147], v178 offset0:60 offset1:61
	s_waitcnt lgkmcnt(0)
	v_mul_f64 v[42:43], v[146:147], v[148:149]
	v_fma_f64 v[42:43], v[144:145], v[40:41], -v[42:43]
	v_mul_f64 v[144:145], v[144:145], v[148:149]
	s_delay_alu instid0(VALU_DEP_2) | instskip(NEXT) | instid1(VALU_DEP_2)
	v_add_f64 v[20:21], v[20:21], -v[42:43]
	v_fma_f64 v[144:145], v[146:147], v[40:41], v[144:145]
	s_delay_alu instid0(VALU_DEP_1) | instskip(SKIP_3) | instid1(VALU_DEP_1)
	v_add_f64 v[22:23], v[22:23], -v[144:145]
	ds_load_2addr_b64 v[144:147], v178 offset0:62 offset1:63
	s_waitcnt lgkmcnt(0)
	v_mul_f64 v[42:43], v[146:147], v[148:149]
	v_fma_f64 v[42:43], v[144:145], v[40:41], -v[42:43]
	v_mul_f64 v[144:145], v[144:145], v[148:149]
	s_delay_alu instid0(VALU_DEP_2) | instskip(NEXT) | instid1(VALU_DEP_2)
	v_add_f64 v[16:17], v[16:17], -v[42:43]
	v_fma_f64 v[144:145], v[146:147], v[40:41], v[144:145]
	s_delay_alu instid0(VALU_DEP_1) | instskip(SKIP_3) | instid1(VALU_DEP_1)
	v_add_f64 v[18:19], v[18:19], -v[144:145]
	ds_load_2addr_b64 v[144:147], v178 offset0:64 offset1:65
	s_waitcnt lgkmcnt(0)
	v_mul_f64 v[42:43], v[146:147], v[148:149]
	v_fma_f64 v[42:43], v[144:145], v[40:41], -v[42:43]
	v_mul_f64 v[144:145], v[144:145], v[148:149]
	s_delay_alu instid0(VALU_DEP_2) | instskip(NEXT) | instid1(VALU_DEP_2)
	v_add_f64 v[12:13], v[12:13], -v[42:43]
	v_fma_f64 v[144:145], v[146:147], v[40:41], v[144:145]
	s_delay_alu instid0(VALU_DEP_1) | instskip(SKIP_3) | instid1(VALU_DEP_1)
	v_add_f64 v[14:15], v[14:15], -v[144:145]
	ds_load_2addr_b64 v[144:147], v178 offset0:66 offset1:67
	s_waitcnt lgkmcnt(0)
	v_mul_f64 v[42:43], v[146:147], v[148:149]
	v_fma_f64 v[42:43], v[144:145], v[40:41], -v[42:43]
	v_mul_f64 v[144:145], v[144:145], v[148:149]
	s_delay_alu instid0(VALU_DEP_2) | instskip(NEXT) | instid1(VALU_DEP_2)
	v_add_f64 v[8:9], v[8:9], -v[42:43]
	v_fma_f64 v[144:145], v[146:147], v[40:41], v[144:145]
	s_delay_alu instid0(VALU_DEP_1) | instskip(SKIP_3) | instid1(VALU_DEP_1)
	v_add_f64 v[10:11], v[10:11], -v[144:145]
	ds_load_2addr_b64 v[144:147], v178 offset0:68 offset1:69
	s_waitcnt lgkmcnt(0)
	v_mul_f64 v[42:43], v[146:147], v[148:149]
	v_fma_f64 v[42:43], v[144:145], v[40:41], -v[42:43]
	v_mul_f64 v[144:145], v[144:145], v[148:149]
	s_delay_alu instid0(VALU_DEP_2) | instskip(NEXT) | instid1(VALU_DEP_2)
	v_add_f64 v[4:5], v[4:5], -v[42:43]
	v_fma_f64 v[144:145], v[146:147], v[40:41], v[144:145]
	s_delay_alu instid0(VALU_DEP_1) | instskip(SKIP_3) | instid1(VALU_DEP_1)
	v_add_f64 v[6:7], v[6:7], -v[144:145]
	ds_load_2addr_b64 v[144:147], v178 offset0:70 offset1:71
	s_waitcnt lgkmcnt(0)
	v_mul_f64 v[42:43], v[146:147], v[148:149]
	v_fma_f64 v[42:43], v[144:145], v[40:41], -v[42:43]
	v_mul_f64 v[144:145], v[144:145], v[148:149]
	s_delay_alu instid0(VALU_DEP_2) | instskip(NEXT) | instid1(VALU_DEP_2)
	v_add_f64 v[0:1], v[0:1], -v[42:43]
	v_fma_f64 v[144:145], v[146:147], v[40:41], v[144:145]
	v_dual_mov_b32 v42, v148 :: v_dual_mov_b32 v43, v149
	s_delay_alu instid0(VALU_DEP_2)
	v_add_f64 v[2:3], v[2:3], -v[144:145]
.LBB71_235:
	s_or_b32 exec_lo, exec_lo, s3
	s_delay_alu instid0(SALU_CYCLE_1)
	s_mov_b32 s4, exec_lo
	s_waitcnt_vscnt null, 0x0
	s_barrier
	buffer_gl0_inv
	v_cmpx_eq_u32_e32 26, v182
	s_cbranch_execz .LBB71_242
; %bb.236:
	ds_store_2addr_b64 v183, v[36:37], v[38:39] offset1:1
	ds_store_2addr_b64 v178, v[32:33], v[34:35] offset0:54 offset1:55
	ds_store_2addr_b64 v178, v[28:29], v[30:31] offset0:56 offset1:57
	;; [unrolled: 1-line block ×9, first 2 shown]
	ds_load_2addr_b64 v[144:147], v183 offset1:1
	s_waitcnt lgkmcnt(0)
	v_cmp_neq_f64_e32 vcc_lo, 0, v[144:145]
	v_cmp_neq_f64_e64 s3, 0, v[146:147]
	s_delay_alu instid0(VALU_DEP_1) | instskip(NEXT) | instid1(SALU_CYCLE_1)
	s_or_b32 s3, vcc_lo, s3
	s_and_b32 exec_lo, exec_lo, s3
	s_cbranch_execz .LBB71_242
; %bb.237:
	v_cmp_gt_f64_e32 vcc_lo, 0, v[144:145]
	v_xor_b32_e32 v148, 0x80000000, v145
	v_xor_b32_e32 v150, 0x80000000, v147
	s_mov_b32 s3, exec_lo
                                        ; implicit-def: $vgpr152_vgpr153
	s_delay_alu instid0(VALU_DEP_2) | instskip(SKIP_4) | instid1(VALU_DEP_1)
	v_cndmask_b32_e32 v149, v145, v148, vcc_lo
	v_cndmask_b32_e32 v148, v144, v144, vcc_lo
	v_cmp_gt_f64_e32 vcc_lo, 0, v[146:147]
	v_cndmask_b32_e32 v151, v147, v150, vcc_lo
	v_cndmask_b32_e32 v150, v146, v146, vcc_lo
	v_cmpx_ngt_f64_e32 v[148:149], v[150:151]
	s_xor_b32 s3, exec_lo, s3
                                        ; implicit-def: $vgpr148_vgpr149_vgpr150_vgpr151
	s_cbranch_execz .LBB71_239
; %bb.238:
	v_div_scale_f64 v[148:149], null, v[146:147], v[146:147], v[144:145]
	v_div_scale_f64 v[154:155], vcc_lo, v[144:145], v[146:147], v[144:145]
	s_delay_alu instid0(VALU_DEP_2) | instskip(SKIP_2) | instid1(VALU_DEP_1)
	v_rcp_f64_e32 v[150:151], v[148:149]
	s_waitcnt_depctr 0xfff
	v_fma_f64 v[152:153], -v[148:149], v[150:151], 1.0
	v_fma_f64 v[150:151], v[150:151], v[152:153], v[150:151]
	s_delay_alu instid0(VALU_DEP_1) | instskip(NEXT) | instid1(VALU_DEP_1)
	v_fma_f64 v[152:153], -v[148:149], v[150:151], 1.0
	v_fma_f64 v[150:151], v[150:151], v[152:153], v[150:151]
	s_delay_alu instid0(VALU_DEP_1) | instskip(NEXT) | instid1(VALU_DEP_1)
	v_mul_f64 v[152:153], v[154:155], v[150:151]
	v_fma_f64 v[148:149], -v[148:149], v[152:153], v[154:155]
	s_delay_alu instid0(VALU_DEP_1) | instskip(NEXT) | instid1(VALU_DEP_1)
	v_div_fmas_f64 v[148:149], v[148:149], v[150:151], v[152:153]
	v_div_fixup_f64 v[148:149], v[148:149], v[146:147], v[144:145]
	s_delay_alu instid0(VALU_DEP_1) | instskip(NEXT) | instid1(VALU_DEP_1)
	v_fma_f64 v[144:145], v[144:145], v[148:149], v[146:147]
	v_div_scale_f64 v[146:147], null, v[144:145], v[144:145], 1.0
	s_delay_alu instid0(VALU_DEP_1) | instskip(SKIP_2) | instid1(VALU_DEP_1)
	v_rcp_f64_e32 v[150:151], v[146:147]
	s_waitcnt_depctr 0xfff
	v_fma_f64 v[152:153], -v[146:147], v[150:151], 1.0
	v_fma_f64 v[150:151], v[150:151], v[152:153], v[150:151]
	s_delay_alu instid0(VALU_DEP_1) | instskip(NEXT) | instid1(VALU_DEP_1)
	v_fma_f64 v[152:153], -v[146:147], v[150:151], 1.0
	v_fma_f64 v[150:151], v[150:151], v[152:153], v[150:151]
	v_div_scale_f64 v[152:153], vcc_lo, 1.0, v[144:145], 1.0
	s_delay_alu instid0(VALU_DEP_1) | instskip(NEXT) | instid1(VALU_DEP_1)
	v_mul_f64 v[154:155], v[152:153], v[150:151]
	v_fma_f64 v[146:147], -v[146:147], v[154:155], v[152:153]
	s_delay_alu instid0(VALU_DEP_1) | instskip(NEXT) | instid1(VALU_DEP_1)
	v_div_fmas_f64 v[146:147], v[146:147], v[150:151], v[154:155]
	v_div_fixup_f64 v[150:151], v[146:147], v[144:145], 1.0
                                        ; implicit-def: $vgpr144_vgpr145
	s_delay_alu instid0(VALU_DEP_1)
	v_mul_f64 v[152:153], v[148:149], v[150:151]
	v_xor_b32_e32 v151, 0x80000000, v151
.LBB71_239:
	s_and_not1_saveexec_b32 s3, s3
	s_cbranch_execz .LBB71_241
; %bb.240:
	v_div_scale_f64 v[148:149], null, v[144:145], v[144:145], v[146:147]
	v_div_scale_f64 v[154:155], vcc_lo, v[146:147], v[144:145], v[146:147]
	s_delay_alu instid0(VALU_DEP_2) | instskip(SKIP_2) | instid1(VALU_DEP_1)
	v_rcp_f64_e32 v[150:151], v[148:149]
	s_waitcnt_depctr 0xfff
	v_fma_f64 v[152:153], -v[148:149], v[150:151], 1.0
	v_fma_f64 v[150:151], v[150:151], v[152:153], v[150:151]
	s_delay_alu instid0(VALU_DEP_1) | instskip(NEXT) | instid1(VALU_DEP_1)
	v_fma_f64 v[152:153], -v[148:149], v[150:151], 1.0
	v_fma_f64 v[150:151], v[150:151], v[152:153], v[150:151]
	s_delay_alu instid0(VALU_DEP_1) | instskip(NEXT) | instid1(VALU_DEP_1)
	v_mul_f64 v[152:153], v[154:155], v[150:151]
	v_fma_f64 v[148:149], -v[148:149], v[152:153], v[154:155]
	s_delay_alu instid0(VALU_DEP_1) | instskip(NEXT) | instid1(VALU_DEP_1)
	v_div_fmas_f64 v[148:149], v[148:149], v[150:151], v[152:153]
	v_div_fixup_f64 v[148:149], v[148:149], v[144:145], v[146:147]
	s_delay_alu instid0(VALU_DEP_1) | instskip(NEXT) | instid1(VALU_DEP_1)
	v_fma_f64 v[144:145], v[146:147], v[148:149], v[144:145]
	v_div_scale_f64 v[146:147], null, v[144:145], v[144:145], 1.0
	s_delay_alu instid0(VALU_DEP_1) | instskip(SKIP_2) | instid1(VALU_DEP_1)
	v_rcp_f64_e32 v[150:151], v[146:147]
	s_waitcnt_depctr 0xfff
	v_fma_f64 v[152:153], -v[146:147], v[150:151], 1.0
	v_fma_f64 v[150:151], v[150:151], v[152:153], v[150:151]
	s_delay_alu instid0(VALU_DEP_1) | instskip(NEXT) | instid1(VALU_DEP_1)
	v_fma_f64 v[152:153], -v[146:147], v[150:151], 1.0
	v_fma_f64 v[150:151], v[150:151], v[152:153], v[150:151]
	v_div_scale_f64 v[152:153], vcc_lo, 1.0, v[144:145], 1.0
	s_delay_alu instid0(VALU_DEP_1) | instskip(NEXT) | instid1(VALU_DEP_1)
	v_mul_f64 v[154:155], v[152:153], v[150:151]
	v_fma_f64 v[146:147], -v[146:147], v[154:155], v[152:153]
	s_delay_alu instid0(VALU_DEP_1) | instskip(NEXT) | instid1(VALU_DEP_1)
	v_div_fmas_f64 v[146:147], v[146:147], v[150:151], v[154:155]
	v_div_fixup_f64 v[152:153], v[146:147], v[144:145], 1.0
	s_delay_alu instid0(VALU_DEP_1)
	v_mul_f64 v[150:151], v[148:149], -v[152:153]
.LBB71_241:
	s_or_b32 exec_lo, exec_lo, s3
	ds_store_2addr_b64 v183, v[152:153], v[150:151] offset1:1
.LBB71_242:
	s_or_b32 exec_lo, exec_lo, s4
	s_waitcnt lgkmcnt(0)
	s_barrier
	buffer_gl0_inv
	ds_load_2addr_b64 v[144:147], v183 offset1:1
	s_mov_b32 s3, exec_lo
	s_waitcnt lgkmcnt(0)
	scratch_store_b128 off, v[144:147], off offset:432 ; 16-byte Folded Spill
	v_cmpx_lt_u32_e32 26, v182
	s_cbranch_execz .LBB71_244
; %bb.243:
	scratch_load_b128 v[150:153], off, off offset:432 ; 16-byte Folded Reload
	s_waitcnt vmcnt(0)
	v_mul_f64 v[144:145], v[150:151], v[38:39]
	v_mul_f64 v[38:39], v[152:153], v[38:39]
	s_delay_alu instid0(VALU_DEP_2) | instskip(SKIP_4) | instid1(VALU_DEP_1)
	v_fma_f64 v[148:149], v[152:153], v[36:37], v[144:145]
	ds_load_2addr_b64 v[144:147], v178 offset0:54 offset1:55
	v_fma_f64 v[36:37], v[150:151], v[36:37], -v[38:39]
	s_waitcnt lgkmcnt(0)
	v_mul_f64 v[38:39], v[146:147], v[148:149]
	v_fma_f64 v[38:39], v[144:145], v[36:37], -v[38:39]
	v_mul_f64 v[144:145], v[144:145], v[148:149]
	s_delay_alu instid0(VALU_DEP_2) | instskip(NEXT) | instid1(VALU_DEP_2)
	v_add_f64 v[32:33], v[32:33], -v[38:39]
	v_fma_f64 v[144:145], v[146:147], v[36:37], v[144:145]
	s_delay_alu instid0(VALU_DEP_1) | instskip(SKIP_3) | instid1(VALU_DEP_1)
	v_add_f64 v[34:35], v[34:35], -v[144:145]
	ds_load_2addr_b64 v[144:147], v178 offset0:56 offset1:57
	s_waitcnt lgkmcnt(0)
	v_mul_f64 v[38:39], v[146:147], v[148:149]
	v_fma_f64 v[38:39], v[144:145], v[36:37], -v[38:39]
	v_mul_f64 v[144:145], v[144:145], v[148:149]
	s_delay_alu instid0(VALU_DEP_2) | instskip(NEXT) | instid1(VALU_DEP_2)
	v_add_f64 v[28:29], v[28:29], -v[38:39]
	v_fma_f64 v[144:145], v[146:147], v[36:37], v[144:145]
	s_delay_alu instid0(VALU_DEP_1) | instskip(SKIP_3) | instid1(VALU_DEP_1)
	v_add_f64 v[30:31], v[30:31], -v[144:145]
	ds_load_2addr_b64 v[144:147], v178 offset0:58 offset1:59
	;; [unrolled: 10-line block ×8, first 2 shown]
	s_waitcnt lgkmcnt(0)
	v_mul_f64 v[38:39], v[146:147], v[148:149]
	v_fma_f64 v[38:39], v[144:145], v[36:37], -v[38:39]
	v_mul_f64 v[144:145], v[144:145], v[148:149]
	s_delay_alu instid0(VALU_DEP_2) | instskip(NEXT) | instid1(VALU_DEP_2)
	v_add_f64 v[0:1], v[0:1], -v[38:39]
	v_fma_f64 v[144:145], v[146:147], v[36:37], v[144:145]
	v_dual_mov_b32 v38, v148 :: v_dual_mov_b32 v39, v149
	s_delay_alu instid0(VALU_DEP_2)
	v_add_f64 v[2:3], v[2:3], -v[144:145]
.LBB71_244:
	s_or_b32 exec_lo, exec_lo, s3
	s_delay_alu instid0(SALU_CYCLE_1)
	s_mov_b32 s4, exec_lo
	s_waitcnt_vscnt null, 0x0
	s_barrier
	buffer_gl0_inv
	v_cmpx_eq_u32_e32 27, v182
	s_cbranch_execz .LBB71_251
; %bb.245:
	ds_store_2addr_b64 v183, v[32:33], v[34:35] offset1:1
	ds_store_2addr_b64 v178, v[28:29], v[30:31] offset0:56 offset1:57
	ds_store_2addr_b64 v178, v[24:25], v[26:27] offset0:58 offset1:59
	;; [unrolled: 1-line block ×8, first 2 shown]
	ds_load_2addr_b64 v[144:147], v183 offset1:1
	s_waitcnt lgkmcnt(0)
	v_cmp_neq_f64_e32 vcc_lo, 0, v[144:145]
	v_cmp_neq_f64_e64 s3, 0, v[146:147]
	s_delay_alu instid0(VALU_DEP_1) | instskip(NEXT) | instid1(SALU_CYCLE_1)
	s_or_b32 s3, vcc_lo, s3
	s_and_b32 exec_lo, exec_lo, s3
	s_cbranch_execz .LBB71_251
; %bb.246:
	v_cmp_gt_f64_e32 vcc_lo, 0, v[144:145]
	v_xor_b32_e32 v148, 0x80000000, v145
	v_xor_b32_e32 v150, 0x80000000, v147
	s_mov_b32 s3, exec_lo
                                        ; implicit-def: $vgpr152_vgpr153
	s_delay_alu instid0(VALU_DEP_2) | instskip(SKIP_4) | instid1(VALU_DEP_1)
	v_cndmask_b32_e32 v149, v145, v148, vcc_lo
	v_cndmask_b32_e32 v148, v144, v144, vcc_lo
	v_cmp_gt_f64_e32 vcc_lo, 0, v[146:147]
	v_cndmask_b32_e32 v151, v147, v150, vcc_lo
	v_cndmask_b32_e32 v150, v146, v146, vcc_lo
	v_cmpx_ngt_f64_e32 v[148:149], v[150:151]
	s_xor_b32 s3, exec_lo, s3
                                        ; implicit-def: $vgpr148_vgpr149_vgpr150_vgpr151
	s_cbranch_execz .LBB71_248
; %bb.247:
	v_div_scale_f64 v[148:149], null, v[146:147], v[146:147], v[144:145]
	v_div_scale_f64 v[154:155], vcc_lo, v[144:145], v[146:147], v[144:145]
	s_delay_alu instid0(VALU_DEP_2) | instskip(SKIP_2) | instid1(VALU_DEP_1)
	v_rcp_f64_e32 v[150:151], v[148:149]
	s_waitcnt_depctr 0xfff
	v_fma_f64 v[152:153], -v[148:149], v[150:151], 1.0
	v_fma_f64 v[150:151], v[150:151], v[152:153], v[150:151]
	s_delay_alu instid0(VALU_DEP_1) | instskip(NEXT) | instid1(VALU_DEP_1)
	v_fma_f64 v[152:153], -v[148:149], v[150:151], 1.0
	v_fma_f64 v[150:151], v[150:151], v[152:153], v[150:151]
	s_delay_alu instid0(VALU_DEP_1) | instskip(NEXT) | instid1(VALU_DEP_1)
	v_mul_f64 v[152:153], v[154:155], v[150:151]
	v_fma_f64 v[148:149], -v[148:149], v[152:153], v[154:155]
	s_delay_alu instid0(VALU_DEP_1) | instskip(NEXT) | instid1(VALU_DEP_1)
	v_div_fmas_f64 v[148:149], v[148:149], v[150:151], v[152:153]
	v_div_fixup_f64 v[148:149], v[148:149], v[146:147], v[144:145]
	s_delay_alu instid0(VALU_DEP_1) | instskip(NEXT) | instid1(VALU_DEP_1)
	v_fma_f64 v[144:145], v[144:145], v[148:149], v[146:147]
	v_div_scale_f64 v[146:147], null, v[144:145], v[144:145], 1.0
	s_delay_alu instid0(VALU_DEP_1) | instskip(SKIP_2) | instid1(VALU_DEP_1)
	v_rcp_f64_e32 v[150:151], v[146:147]
	s_waitcnt_depctr 0xfff
	v_fma_f64 v[152:153], -v[146:147], v[150:151], 1.0
	v_fma_f64 v[150:151], v[150:151], v[152:153], v[150:151]
	s_delay_alu instid0(VALU_DEP_1) | instskip(NEXT) | instid1(VALU_DEP_1)
	v_fma_f64 v[152:153], -v[146:147], v[150:151], 1.0
	v_fma_f64 v[150:151], v[150:151], v[152:153], v[150:151]
	v_div_scale_f64 v[152:153], vcc_lo, 1.0, v[144:145], 1.0
	s_delay_alu instid0(VALU_DEP_1) | instskip(NEXT) | instid1(VALU_DEP_1)
	v_mul_f64 v[154:155], v[152:153], v[150:151]
	v_fma_f64 v[146:147], -v[146:147], v[154:155], v[152:153]
	s_delay_alu instid0(VALU_DEP_1) | instskip(NEXT) | instid1(VALU_DEP_1)
	v_div_fmas_f64 v[146:147], v[146:147], v[150:151], v[154:155]
	v_div_fixup_f64 v[150:151], v[146:147], v[144:145], 1.0
                                        ; implicit-def: $vgpr144_vgpr145
	s_delay_alu instid0(VALU_DEP_1)
	v_mul_f64 v[152:153], v[148:149], v[150:151]
	v_xor_b32_e32 v151, 0x80000000, v151
.LBB71_248:
	s_and_not1_saveexec_b32 s3, s3
	s_cbranch_execz .LBB71_250
; %bb.249:
	v_div_scale_f64 v[148:149], null, v[144:145], v[144:145], v[146:147]
	v_div_scale_f64 v[154:155], vcc_lo, v[146:147], v[144:145], v[146:147]
	s_delay_alu instid0(VALU_DEP_2) | instskip(SKIP_2) | instid1(VALU_DEP_1)
	v_rcp_f64_e32 v[150:151], v[148:149]
	s_waitcnt_depctr 0xfff
	v_fma_f64 v[152:153], -v[148:149], v[150:151], 1.0
	v_fma_f64 v[150:151], v[150:151], v[152:153], v[150:151]
	s_delay_alu instid0(VALU_DEP_1) | instskip(NEXT) | instid1(VALU_DEP_1)
	v_fma_f64 v[152:153], -v[148:149], v[150:151], 1.0
	v_fma_f64 v[150:151], v[150:151], v[152:153], v[150:151]
	s_delay_alu instid0(VALU_DEP_1) | instskip(NEXT) | instid1(VALU_DEP_1)
	v_mul_f64 v[152:153], v[154:155], v[150:151]
	v_fma_f64 v[148:149], -v[148:149], v[152:153], v[154:155]
	s_delay_alu instid0(VALU_DEP_1) | instskip(NEXT) | instid1(VALU_DEP_1)
	v_div_fmas_f64 v[148:149], v[148:149], v[150:151], v[152:153]
	v_div_fixup_f64 v[148:149], v[148:149], v[144:145], v[146:147]
	s_delay_alu instid0(VALU_DEP_1) | instskip(NEXT) | instid1(VALU_DEP_1)
	v_fma_f64 v[144:145], v[146:147], v[148:149], v[144:145]
	v_div_scale_f64 v[146:147], null, v[144:145], v[144:145], 1.0
	s_delay_alu instid0(VALU_DEP_1) | instskip(SKIP_2) | instid1(VALU_DEP_1)
	v_rcp_f64_e32 v[150:151], v[146:147]
	s_waitcnt_depctr 0xfff
	v_fma_f64 v[152:153], -v[146:147], v[150:151], 1.0
	v_fma_f64 v[150:151], v[150:151], v[152:153], v[150:151]
	s_delay_alu instid0(VALU_DEP_1) | instskip(NEXT) | instid1(VALU_DEP_1)
	v_fma_f64 v[152:153], -v[146:147], v[150:151], 1.0
	v_fma_f64 v[150:151], v[150:151], v[152:153], v[150:151]
	v_div_scale_f64 v[152:153], vcc_lo, 1.0, v[144:145], 1.0
	s_delay_alu instid0(VALU_DEP_1) | instskip(NEXT) | instid1(VALU_DEP_1)
	v_mul_f64 v[154:155], v[152:153], v[150:151]
	v_fma_f64 v[146:147], -v[146:147], v[154:155], v[152:153]
	s_delay_alu instid0(VALU_DEP_1) | instskip(NEXT) | instid1(VALU_DEP_1)
	v_div_fmas_f64 v[146:147], v[146:147], v[150:151], v[154:155]
	v_div_fixup_f64 v[152:153], v[146:147], v[144:145], 1.0
	s_delay_alu instid0(VALU_DEP_1)
	v_mul_f64 v[150:151], v[148:149], -v[152:153]
.LBB71_250:
	s_or_b32 exec_lo, exec_lo, s3
	ds_store_2addr_b64 v183, v[152:153], v[150:151] offset1:1
.LBB71_251:
	s_or_b32 exec_lo, exec_lo, s4
	s_waitcnt lgkmcnt(0)
	s_barrier
	buffer_gl0_inv
	ds_load_2addr_b64 v[144:147], v183 offset1:1
	s_mov_b32 s3, exec_lo
	s_waitcnt lgkmcnt(0)
	scratch_store_b128 off, v[144:147], off offset:448 ; 16-byte Folded Spill
	v_cmpx_lt_u32_e32 27, v182
	s_cbranch_execz .LBB71_253
; %bb.252:
	scratch_load_b128 v[150:153], off, off offset:448 ; 16-byte Folded Reload
	s_waitcnt vmcnt(0)
	v_mul_f64 v[144:145], v[150:151], v[34:35]
	v_mul_f64 v[34:35], v[152:153], v[34:35]
	s_delay_alu instid0(VALU_DEP_2) | instskip(SKIP_4) | instid1(VALU_DEP_1)
	v_fma_f64 v[148:149], v[152:153], v[32:33], v[144:145]
	ds_load_2addr_b64 v[144:147], v178 offset0:56 offset1:57
	v_fma_f64 v[32:33], v[150:151], v[32:33], -v[34:35]
	s_waitcnt lgkmcnt(0)
	v_mul_f64 v[34:35], v[146:147], v[148:149]
	v_fma_f64 v[34:35], v[144:145], v[32:33], -v[34:35]
	v_mul_f64 v[144:145], v[144:145], v[148:149]
	s_delay_alu instid0(VALU_DEP_2) | instskip(NEXT) | instid1(VALU_DEP_2)
	v_add_f64 v[28:29], v[28:29], -v[34:35]
	v_fma_f64 v[144:145], v[146:147], v[32:33], v[144:145]
	s_delay_alu instid0(VALU_DEP_1) | instskip(SKIP_3) | instid1(VALU_DEP_1)
	v_add_f64 v[30:31], v[30:31], -v[144:145]
	ds_load_2addr_b64 v[144:147], v178 offset0:58 offset1:59
	s_waitcnt lgkmcnt(0)
	v_mul_f64 v[34:35], v[146:147], v[148:149]
	v_fma_f64 v[34:35], v[144:145], v[32:33], -v[34:35]
	v_mul_f64 v[144:145], v[144:145], v[148:149]
	s_delay_alu instid0(VALU_DEP_2) | instskip(NEXT) | instid1(VALU_DEP_2)
	v_add_f64 v[24:25], v[24:25], -v[34:35]
	v_fma_f64 v[144:145], v[146:147], v[32:33], v[144:145]
	s_delay_alu instid0(VALU_DEP_1) | instskip(SKIP_3) | instid1(VALU_DEP_1)
	v_add_f64 v[26:27], v[26:27], -v[144:145]
	ds_load_2addr_b64 v[144:147], v178 offset0:60 offset1:61
	;; [unrolled: 10-line block ×7, first 2 shown]
	s_waitcnt lgkmcnt(0)
	v_mul_f64 v[34:35], v[146:147], v[148:149]
	v_fma_f64 v[34:35], v[144:145], v[32:33], -v[34:35]
	v_mul_f64 v[144:145], v[144:145], v[148:149]
	s_delay_alu instid0(VALU_DEP_2) | instskip(NEXT) | instid1(VALU_DEP_2)
	v_add_f64 v[0:1], v[0:1], -v[34:35]
	v_fma_f64 v[144:145], v[146:147], v[32:33], v[144:145]
	v_dual_mov_b32 v34, v148 :: v_dual_mov_b32 v35, v149
	s_delay_alu instid0(VALU_DEP_2)
	v_add_f64 v[2:3], v[2:3], -v[144:145]
.LBB71_253:
	s_or_b32 exec_lo, exec_lo, s3
	s_delay_alu instid0(SALU_CYCLE_1)
	s_mov_b32 s4, exec_lo
	s_waitcnt_vscnt null, 0x0
	s_barrier
	buffer_gl0_inv
	v_cmpx_eq_u32_e32 28, v182
	s_cbranch_execz .LBB71_260
; %bb.254:
	ds_store_2addr_b64 v183, v[28:29], v[30:31] offset1:1
	ds_store_2addr_b64 v178, v[24:25], v[26:27] offset0:58 offset1:59
	ds_store_2addr_b64 v178, v[20:21], v[22:23] offset0:60 offset1:61
	;; [unrolled: 1-line block ×7, first 2 shown]
	ds_load_2addr_b64 v[144:147], v183 offset1:1
	s_waitcnt lgkmcnt(0)
	v_cmp_neq_f64_e32 vcc_lo, 0, v[144:145]
	v_cmp_neq_f64_e64 s3, 0, v[146:147]
	s_delay_alu instid0(VALU_DEP_1) | instskip(NEXT) | instid1(SALU_CYCLE_1)
	s_or_b32 s3, vcc_lo, s3
	s_and_b32 exec_lo, exec_lo, s3
	s_cbranch_execz .LBB71_260
; %bb.255:
	v_cmp_gt_f64_e32 vcc_lo, 0, v[144:145]
	v_xor_b32_e32 v148, 0x80000000, v145
	v_xor_b32_e32 v150, 0x80000000, v147
	s_mov_b32 s3, exec_lo
                                        ; implicit-def: $vgpr152_vgpr153
	s_delay_alu instid0(VALU_DEP_2) | instskip(SKIP_4) | instid1(VALU_DEP_1)
	v_cndmask_b32_e32 v149, v145, v148, vcc_lo
	v_cndmask_b32_e32 v148, v144, v144, vcc_lo
	v_cmp_gt_f64_e32 vcc_lo, 0, v[146:147]
	v_cndmask_b32_e32 v151, v147, v150, vcc_lo
	v_cndmask_b32_e32 v150, v146, v146, vcc_lo
	v_cmpx_ngt_f64_e32 v[148:149], v[150:151]
	s_xor_b32 s3, exec_lo, s3
                                        ; implicit-def: $vgpr148_vgpr149_vgpr150_vgpr151
	s_cbranch_execz .LBB71_257
; %bb.256:
	v_div_scale_f64 v[148:149], null, v[146:147], v[146:147], v[144:145]
	v_div_scale_f64 v[154:155], vcc_lo, v[144:145], v[146:147], v[144:145]
	s_delay_alu instid0(VALU_DEP_2) | instskip(SKIP_2) | instid1(VALU_DEP_1)
	v_rcp_f64_e32 v[150:151], v[148:149]
	s_waitcnt_depctr 0xfff
	v_fma_f64 v[152:153], -v[148:149], v[150:151], 1.0
	v_fma_f64 v[150:151], v[150:151], v[152:153], v[150:151]
	s_delay_alu instid0(VALU_DEP_1) | instskip(NEXT) | instid1(VALU_DEP_1)
	v_fma_f64 v[152:153], -v[148:149], v[150:151], 1.0
	v_fma_f64 v[150:151], v[150:151], v[152:153], v[150:151]
	s_delay_alu instid0(VALU_DEP_1) | instskip(NEXT) | instid1(VALU_DEP_1)
	v_mul_f64 v[152:153], v[154:155], v[150:151]
	v_fma_f64 v[148:149], -v[148:149], v[152:153], v[154:155]
	s_delay_alu instid0(VALU_DEP_1) | instskip(NEXT) | instid1(VALU_DEP_1)
	v_div_fmas_f64 v[148:149], v[148:149], v[150:151], v[152:153]
	v_div_fixup_f64 v[148:149], v[148:149], v[146:147], v[144:145]
	s_delay_alu instid0(VALU_DEP_1) | instskip(NEXT) | instid1(VALU_DEP_1)
	v_fma_f64 v[144:145], v[144:145], v[148:149], v[146:147]
	v_div_scale_f64 v[146:147], null, v[144:145], v[144:145], 1.0
	s_delay_alu instid0(VALU_DEP_1) | instskip(SKIP_2) | instid1(VALU_DEP_1)
	v_rcp_f64_e32 v[150:151], v[146:147]
	s_waitcnt_depctr 0xfff
	v_fma_f64 v[152:153], -v[146:147], v[150:151], 1.0
	v_fma_f64 v[150:151], v[150:151], v[152:153], v[150:151]
	s_delay_alu instid0(VALU_DEP_1) | instskip(NEXT) | instid1(VALU_DEP_1)
	v_fma_f64 v[152:153], -v[146:147], v[150:151], 1.0
	v_fma_f64 v[150:151], v[150:151], v[152:153], v[150:151]
	v_div_scale_f64 v[152:153], vcc_lo, 1.0, v[144:145], 1.0
	s_delay_alu instid0(VALU_DEP_1) | instskip(NEXT) | instid1(VALU_DEP_1)
	v_mul_f64 v[154:155], v[152:153], v[150:151]
	v_fma_f64 v[146:147], -v[146:147], v[154:155], v[152:153]
	s_delay_alu instid0(VALU_DEP_1) | instskip(NEXT) | instid1(VALU_DEP_1)
	v_div_fmas_f64 v[146:147], v[146:147], v[150:151], v[154:155]
	v_div_fixup_f64 v[150:151], v[146:147], v[144:145], 1.0
                                        ; implicit-def: $vgpr144_vgpr145
	s_delay_alu instid0(VALU_DEP_1)
	v_mul_f64 v[152:153], v[148:149], v[150:151]
	v_xor_b32_e32 v151, 0x80000000, v151
.LBB71_257:
	s_and_not1_saveexec_b32 s3, s3
	s_cbranch_execz .LBB71_259
; %bb.258:
	v_div_scale_f64 v[148:149], null, v[144:145], v[144:145], v[146:147]
	v_div_scale_f64 v[154:155], vcc_lo, v[146:147], v[144:145], v[146:147]
	s_delay_alu instid0(VALU_DEP_2) | instskip(SKIP_2) | instid1(VALU_DEP_1)
	v_rcp_f64_e32 v[150:151], v[148:149]
	s_waitcnt_depctr 0xfff
	v_fma_f64 v[152:153], -v[148:149], v[150:151], 1.0
	v_fma_f64 v[150:151], v[150:151], v[152:153], v[150:151]
	s_delay_alu instid0(VALU_DEP_1) | instskip(NEXT) | instid1(VALU_DEP_1)
	v_fma_f64 v[152:153], -v[148:149], v[150:151], 1.0
	v_fma_f64 v[150:151], v[150:151], v[152:153], v[150:151]
	s_delay_alu instid0(VALU_DEP_1) | instskip(NEXT) | instid1(VALU_DEP_1)
	v_mul_f64 v[152:153], v[154:155], v[150:151]
	v_fma_f64 v[148:149], -v[148:149], v[152:153], v[154:155]
	s_delay_alu instid0(VALU_DEP_1) | instskip(NEXT) | instid1(VALU_DEP_1)
	v_div_fmas_f64 v[148:149], v[148:149], v[150:151], v[152:153]
	v_div_fixup_f64 v[148:149], v[148:149], v[144:145], v[146:147]
	s_delay_alu instid0(VALU_DEP_1) | instskip(NEXT) | instid1(VALU_DEP_1)
	v_fma_f64 v[144:145], v[146:147], v[148:149], v[144:145]
	v_div_scale_f64 v[146:147], null, v[144:145], v[144:145], 1.0
	s_delay_alu instid0(VALU_DEP_1) | instskip(SKIP_2) | instid1(VALU_DEP_1)
	v_rcp_f64_e32 v[150:151], v[146:147]
	s_waitcnt_depctr 0xfff
	v_fma_f64 v[152:153], -v[146:147], v[150:151], 1.0
	v_fma_f64 v[150:151], v[150:151], v[152:153], v[150:151]
	s_delay_alu instid0(VALU_DEP_1) | instskip(NEXT) | instid1(VALU_DEP_1)
	v_fma_f64 v[152:153], -v[146:147], v[150:151], 1.0
	v_fma_f64 v[150:151], v[150:151], v[152:153], v[150:151]
	v_div_scale_f64 v[152:153], vcc_lo, 1.0, v[144:145], 1.0
	s_delay_alu instid0(VALU_DEP_1) | instskip(NEXT) | instid1(VALU_DEP_1)
	v_mul_f64 v[154:155], v[152:153], v[150:151]
	v_fma_f64 v[146:147], -v[146:147], v[154:155], v[152:153]
	s_delay_alu instid0(VALU_DEP_1) | instskip(NEXT) | instid1(VALU_DEP_1)
	v_div_fmas_f64 v[146:147], v[146:147], v[150:151], v[154:155]
	v_div_fixup_f64 v[152:153], v[146:147], v[144:145], 1.0
	s_delay_alu instid0(VALU_DEP_1)
	v_mul_f64 v[150:151], v[148:149], -v[152:153]
.LBB71_259:
	s_or_b32 exec_lo, exec_lo, s3
	ds_store_2addr_b64 v183, v[152:153], v[150:151] offset1:1
.LBB71_260:
	s_or_b32 exec_lo, exec_lo, s4
	s_waitcnt lgkmcnt(0)
	s_barrier
	buffer_gl0_inv
	ds_load_2addr_b64 v[144:147], v183 offset1:1
	s_mov_b32 s3, exec_lo
	v_cmpx_lt_u32_e32 28, v182
	s_cbranch_execz .LBB71_262
; %bb.261:
	s_waitcnt lgkmcnt(0)
	v_mul_f64 v[148:149], v[144:145], v[30:31]
	v_mul_f64 v[30:31], v[146:147], v[30:31]
	s_delay_alu instid0(VALU_DEP_2) | instskip(SKIP_4) | instid1(VALU_DEP_1)
	v_fma_f64 v[152:153], v[146:147], v[28:29], v[148:149]
	ds_load_2addr_b64 v[148:151], v178 offset0:58 offset1:59
	v_fma_f64 v[28:29], v[144:145], v[28:29], -v[30:31]
	s_waitcnt lgkmcnt(0)
	v_mul_f64 v[30:31], v[150:151], v[152:153]
	v_fma_f64 v[30:31], v[148:149], v[28:29], -v[30:31]
	v_mul_f64 v[148:149], v[148:149], v[152:153]
	s_delay_alu instid0(VALU_DEP_2) | instskip(NEXT) | instid1(VALU_DEP_2)
	v_add_f64 v[24:25], v[24:25], -v[30:31]
	v_fma_f64 v[148:149], v[150:151], v[28:29], v[148:149]
	s_delay_alu instid0(VALU_DEP_1) | instskip(SKIP_3) | instid1(VALU_DEP_1)
	v_add_f64 v[26:27], v[26:27], -v[148:149]
	ds_load_2addr_b64 v[148:151], v178 offset0:60 offset1:61
	s_waitcnt lgkmcnt(0)
	v_mul_f64 v[30:31], v[150:151], v[152:153]
	v_fma_f64 v[30:31], v[148:149], v[28:29], -v[30:31]
	v_mul_f64 v[148:149], v[148:149], v[152:153]
	s_delay_alu instid0(VALU_DEP_2) | instskip(NEXT) | instid1(VALU_DEP_2)
	v_add_f64 v[20:21], v[20:21], -v[30:31]
	v_fma_f64 v[148:149], v[150:151], v[28:29], v[148:149]
	s_delay_alu instid0(VALU_DEP_1) | instskip(SKIP_3) | instid1(VALU_DEP_1)
	v_add_f64 v[22:23], v[22:23], -v[148:149]
	ds_load_2addr_b64 v[148:151], v178 offset0:62 offset1:63
	;; [unrolled: 10-line block ×6, first 2 shown]
	s_waitcnt lgkmcnt(0)
	v_mul_f64 v[30:31], v[150:151], v[152:153]
	v_fma_f64 v[30:31], v[148:149], v[28:29], -v[30:31]
	v_mul_f64 v[148:149], v[148:149], v[152:153]
	s_delay_alu instid0(VALU_DEP_2) | instskip(NEXT) | instid1(VALU_DEP_2)
	v_add_f64 v[0:1], v[0:1], -v[30:31]
	v_fma_f64 v[148:149], v[150:151], v[28:29], v[148:149]
	v_dual_mov_b32 v30, v152 :: v_dual_mov_b32 v31, v153
	s_delay_alu instid0(VALU_DEP_2)
	v_add_f64 v[2:3], v[2:3], -v[148:149]
.LBB71_262:
	s_or_b32 exec_lo, exec_lo, s3
	s_delay_alu instid0(SALU_CYCLE_1)
	s_mov_b32 s4, exec_lo
	s_waitcnt lgkmcnt(0)
	s_barrier
	buffer_gl0_inv
	v_cmpx_eq_u32_e32 29, v182
	s_cbranch_execz .LBB71_269
; %bb.263:
	ds_store_2addr_b64 v183, v[24:25], v[26:27] offset1:1
	ds_store_2addr_b64 v178, v[20:21], v[22:23] offset0:60 offset1:61
	ds_store_2addr_b64 v178, v[16:17], v[18:19] offset0:62 offset1:63
	;; [unrolled: 1-line block ×6, first 2 shown]
	ds_load_2addr_b64 v[148:151], v183 offset1:1
	s_waitcnt lgkmcnt(0)
	v_cmp_neq_f64_e32 vcc_lo, 0, v[148:149]
	v_cmp_neq_f64_e64 s3, 0, v[150:151]
	s_delay_alu instid0(VALU_DEP_1) | instskip(NEXT) | instid1(SALU_CYCLE_1)
	s_or_b32 s3, vcc_lo, s3
	s_and_b32 exec_lo, exec_lo, s3
	s_cbranch_execz .LBB71_269
; %bb.264:
	v_cmp_gt_f64_e32 vcc_lo, 0, v[148:149]
	v_xor_b32_e32 v152, 0x80000000, v149
	v_xor_b32_e32 v154, 0x80000000, v151
	s_mov_b32 s3, exec_lo
                                        ; implicit-def: $vgpr156_vgpr157
	s_delay_alu instid0(VALU_DEP_2) | instskip(SKIP_4) | instid1(VALU_DEP_1)
	v_cndmask_b32_e32 v153, v149, v152, vcc_lo
	v_cndmask_b32_e32 v152, v148, v148, vcc_lo
	v_cmp_gt_f64_e32 vcc_lo, 0, v[150:151]
	v_cndmask_b32_e32 v155, v151, v154, vcc_lo
	v_cndmask_b32_e32 v154, v150, v150, vcc_lo
	v_cmpx_ngt_f64_e32 v[152:153], v[154:155]
	s_xor_b32 s3, exec_lo, s3
                                        ; implicit-def: $vgpr152_vgpr153_vgpr154_vgpr155
	s_cbranch_execz .LBB71_266
; %bb.265:
	v_div_scale_f64 v[152:153], null, v[150:151], v[150:151], v[148:149]
	v_div_scale_f64 v[158:159], vcc_lo, v[148:149], v[150:151], v[148:149]
	s_delay_alu instid0(VALU_DEP_2) | instskip(SKIP_2) | instid1(VALU_DEP_1)
	v_rcp_f64_e32 v[154:155], v[152:153]
	s_waitcnt_depctr 0xfff
	v_fma_f64 v[156:157], -v[152:153], v[154:155], 1.0
	v_fma_f64 v[154:155], v[154:155], v[156:157], v[154:155]
	s_delay_alu instid0(VALU_DEP_1) | instskip(NEXT) | instid1(VALU_DEP_1)
	v_fma_f64 v[156:157], -v[152:153], v[154:155], 1.0
	v_fma_f64 v[154:155], v[154:155], v[156:157], v[154:155]
	s_delay_alu instid0(VALU_DEP_1) | instskip(NEXT) | instid1(VALU_DEP_1)
	v_mul_f64 v[156:157], v[158:159], v[154:155]
	v_fma_f64 v[152:153], -v[152:153], v[156:157], v[158:159]
	s_delay_alu instid0(VALU_DEP_1) | instskip(NEXT) | instid1(VALU_DEP_1)
	v_div_fmas_f64 v[152:153], v[152:153], v[154:155], v[156:157]
	v_div_fixup_f64 v[152:153], v[152:153], v[150:151], v[148:149]
	s_delay_alu instid0(VALU_DEP_1) | instskip(NEXT) | instid1(VALU_DEP_1)
	v_fma_f64 v[148:149], v[148:149], v[152:153], v[150:151]
	v_div_scale_f64 v[150:151], null, v[148:149], v[148:149], 1.0
	s_delay_alu instid0(VALU_DEP_1) | instskip(SKIP_2) | instid1(VALU_DEP_1)
	v_rcp_f64_e32 v[154:155], v[150:151]
	s_waitcnt_depctr 0xfff
	v_fma_f64 v[156:157], -v[150:151], v[154:155], 1.0
	v_fma_f64 v[154:155], v[154:155], v[156:157], v[154:155]
	s_delay_alu instid0(VALU_DEP_1) | instskip(NEXT) | instid1(VALU_DEP_1)
	v_fma_f64 v[156:157], -v[150:151], v[154:155], 1.0
	v_fma_f64 v[154:155], v[154:155], v[156:157], v[154:155]
	v_div_scale_f64 v[156:157], vcc_lo, 1.0, v[148:149], 1.0
	s_delay_alu instid0(VALU_DEP_1) | instskip(NEXT) | instid1(VALU_DEP_1)
	v_mul_f64 v[158:159], v[156:157], v[154:155]
	v_fma_f64 v[150:151], -v[150:151], v[158:159], v[156:157]
	s_delay_alu instid0(VALU_DEP_1) | instskip(NEXT) | instid1(VALU_DEP_1)
	v_div_fmas_f64 v[150:151], v[150:151], v[154:155], v[158:159]
	v_div_fixup_f64 v[154:155], v[150:151], v[148:149], 1.0
                                        ; implicit-def: $vgpr148_vgpr149
	s_delay_alu instid0(VALU_DEP_1)
	v_mul_f64 v[156:157], v[152:153], v[154:155]
	v_xor_b32_e32 v155, 0x80000000, v155
.LBB71_266:
	s_and_not1_saveexec_b32 s3, s3
	s_cbranch_execz .LBB71_268
; %bb.267:
	v_div_scale_f64 v[152:153], null, v[148:149], v[148:149], v[150:151]
	v_div_scale_f64 v[158:159], vcc_lo, v[150:151], v[148:149], v[150:151]
	s_delay_alu instid0(VALU_DEP_2) | instskip(SKIP_2) | instid1(VALU_DEP_1)
	v_rcp_f64_e32 v[154:155], v[152:153]
	s_waitcnt_depctr 0xfff
	v_fma_f64 v[156:157], -v[152:153], v[154:155], 1.0
	v_fma_f64 v[154:155], v[154:155], v[156:157], v[154:155]
	s_delay_alu instid0(VALU_DEP_1) | instskip(NEXT) | instid1(VALU_DEP_1)
	v_fma_f64 v[156:157], -v[152:153], v[154:155], 1.0
	v_fma_f64 v[154:155], v[154:155], v[156:157], v[154:155]
	s_delay_alu instid0(VALU_DEP_1) | instskip(NEXT) | instid1(VALU_DEP_1)
	v_mul_f64 v[156:157], v[158:159], v[154:155]
	v_fma_f64 v[152:153], -v[152:153], v[156:157], v[158:159]
	s_delay_alu instid0(VALU_DEP_1) | instskip(NEXT) | instid1(VALU_DEP_1)
	v_div_fmas_f64 v[152:153], v[152:153], v[154:155], v[156:157]
	v_div_fixup_f64 v[152:153], v[152:153], v[148:149], v[150:151]
	s_delay_alu instid0(VALU_DEP_1) | instskip(NEXT) | instid1(VALU_DEP_1)
	v_fma_f64 v[148:149], v[150:151], v[152:153], v[148:149]
	v_div_scale_f64 v[150:151], null, v[148:149], v[148:149], 1.0
	s_delay_alu instid0(VALU_DEP_1) | instskip(SKIP_2) | instid1(VALU_DEP_1)
	v_rcp_f64_e32 v[154:155], v[150:151]
	s_waitcnt_depctr 0xfff
	v_fma_f64 v[156:157], -v[150:151], v[154:155], 1.0
	v_fma_f64 v[154:155], v[154:155], v[156:157], v[154:155]
	s_delay_alu instid0(VALU_DEP_1) | instskip(NEXT) | instid1(VALU_DEP_1)
	v_fma_f64 v[156:157], -v[150:151], v[154:155], 1.0
	v_fma_f64 v[154:155], v[154:155], v[156:157], v[154:155]
	v_div_scale_f64 v[156:157], vcc_lo, 1.0, v[148:149], 1.0
	s_delay_alu instid0(VALU_DEP_1) | instskip(NEXT) | instid1(VALU_DEP_1)
	v_mul_f64 v[158:159], v[156:157], v[154:155]
	v_fma_f64 v[150:151], -v[150:151], v[158:159], v[156:157]
	s_delay_alu instid0(VALU_DEP_1) | instskip(NEXT) | instid1(VALU_DEP_1)
	v_div_fmas_f64 v[150:151], v[150:151], v[154:155], v[158:159]
	v_div_fixup_f64 v[156:157], v[150:151], v[148:149], 1.0
	s_delay_alu instid0(VALU_DEP_1)
	v_mul_f64 v[154:155], v[152:153], -v[156:157]
.LBB71_268:
	s_or_b32 exec_lo, exec_lo, s3
	ds_store_2addr_b64 v183, v[156:157], v[154:155] offset1:1
.LBB71_269:
	s_or_b32 exec_lo, exec_lo, s4
	s_waitcnt lgkmcnt(0)
	s_barrier
	buffer_gl0_inv
	ds_load_2addr_b64 v[148:151], v183 offset1:1
	s_mov_b32 s3, exec_lo
	v_cmpx_lt_u32_e32 29, v182
	s_cbranch_execz .LBB71_271
; %bb.270:
	s_waitcnt lgkmcnt(0)
	v_mul_f64 v[152:153], v[148:149], v[26:27]
	v_mul_f64 v[26:27], v[150:151], v[26:27]
	s_delay_alu instid0(VALU_DEP_2) | instskip(SKIP_4) | instid1(VALU_DEP_1)
	v_fma_f64 v[156:157], v[150:151], v[24:25], v[152:153]
	ds_load_2addr_b64 v[152:155], v178 offset0:60 offset1:61
	v_fma_f64 v[24:25], v[148:149], v[24:25], -v[26:27]
	s_waitcnt lgkmcnt(0)
	v_mul_f64 v[26:27], v[154:155], v[156:157]
	v_fma_f64 v[26:27], v[152:153], v[24:25], -v[26:27]
	v_mul_f64 v[152:153], v[152:153], v[156:157]
	s_delay_alu instid0(VALU_DEP_2) | instskip(NEXT) | instid1(VALU_DEP_2)
	v_add_f64 v[20:21], v[20:21], -v[26:27]
	v_fma_f64 v[152:153], v[154:155], v[24:25], v[152:153]
	s_delay_alu instid0(VALU_DEP_1) | instskip(SKIP_3) | instid1(VALU_DEP_1)
	v_add_f64 v[22:23], v[22:23], -v[152:153]
	ds_load_2addr_b64 v[152:155], v178 offset0:62 offset1:63
	s_waitcnt lgkmcnt(0)
	v_mul_f64 v[26:27], v[154:155], v[156:157]
	v_fma_f64 v[26:27], v[152:153], v[24:25], -v[26:27]
	v_mul_f64 v[152:153], v[152:153], v[156:157]
	s_delay_alu instid0(VALU_DEP_2) | instskip(NEXT) | instid1(VALU_DEP_2)
	v_add_f64 v[16:17], v[16:17], -v[26:27]
	v_fma_f64 v[152:153], v[154:155], v[24:25], v[152:153]
	s_delay_alu instid0(VALU_DEP_1) | instskip(SKIP_3) | instid1(VALU_DEP_1)
	v_add_f64 v[18:19], v[18:19], -v[152:153]
	ds_load_2addr_b64 v[152:155], v178 offset0:64 offset1:65
	;; [unrolled: 10-line block ×5, first 2 shown]
	s_waitcnt lgkmcnt(0)
	v_mul_f64 v[26:27], v[154:155], v[156:157]
	v_fma_f64 v[26:27], v[152:153], v[24:25], -v[26:27]
	v_mul_f64 v[152:153], v[152:153], v[156:157]
	s_delay_alu instid0(VALU_DEP_2) | instskip(NEXT) | instid1(VALU_DEP_2)
	v_add_f64 v[0:1], v[0:1], -v[26:27]
	v_fma_f64 v[152:153], v[154:155], v[24:25], v[152:153]
	v_dual_mov_b32 v26, v156 :: v_dual_mov_b32 v27, v157
	s_delay_alu instid0(VALU_DEP_2)
	v_add_f64 v[2:3], v[2:3], -v[152:153]
.LBB71_271:
	s_or_b32 exec_lo, exec_lo, s3
	s_delay_alu instid0(SALU_CYCLE_1)
	s_mov_b32 s4, exec_lo
	s_waitcnt lgkmcnt(0)
	s_barrier
	buffer_gl0_inv
	v_cmpx_eq_u32_e32 30, v182
	s_cbranch_execz .LBB71_278
; %bb.272:
	ds_store_2addr_b64 v183, v[20:21], v[22:23] offset1:1
	ds_store_2addr_b64 v178, v[16:17], v[18:19] offset0:62 offset1:63
	ds_store_2addr_b64 v178, v[12:13], v[14:15] offset0:64 offset1:65
	;; [unrolled: 1-line block ×5, first 2 shown]
	ds_load_2addr_b64 v[152:155], v183 offset1:1
	s_waitcnt lgkmcnt(0)
	v_cmp_neq_f64_e32 vcc_lo, 0, v[152:153]
	v_cmp_neq_f64_e64 s3, 0, v[154:155]
	s_delay_alu instid0(VALU_DEP_1) | instskip(NEXT) | instid1(SALU_CYCLE_1)
	s_or_b32 s3, vcc_lo, s3
	s_and_b32 exec_lo, exec_lo, s3
	s_cbranch_execz .LBB71_278
; %bb.273:
	v_cmp_gt_f64_e32 vcc_lo, 0, v[152:153]
	v_xor_b32_e32 v156, 0x80000000, v153
	v_xor_b32_e32 v158, 0x80000000, v155
	s_mov_b32 s3, exec_lo
                                        ; implicit-def: $vgpr160_vgpr161
	s_delay_alu instid0(VALU_DEP_2) | instskip(SKIP_4) | instid1(VALU_DEP_1)
	v_cndmask_b32_e32 v157, v153, v156, vcc_lo
	v_cndmask_b32_e32 v156, v152, v152, vcc_lo
	v_cmp_gt_f64_e32 vcc_lo, 0, v[154:155]
	v_cndmask_b32_e32 v159, v155, v158, vcc_lo
	v_cndmask_b32_e32 v158, v154, v154, vcc_lo
	v_cmpx_ngt_f64_e32 v[156:157], v[158:159]
	s_xor_b32 s3, exec_lo, s3
                                        ; implicit-def: $vgpr156_vgpr157_vgpr158_vgpr159
	s_cbranch_execz .LBB71_275
; %bb.274:
	v_div_scale_f64 v[156:157], null, v[154:155], v[154:155], v[152:153]
	v_div_scale_f64 v[162:163], vcc_lo, v[152:153], v[154:155], v[152:153]
	s_delay_alu instid0(VALU_DEP_2) | instskip(SKIP_2) | instid1(VALU_DEP_1)
	v_rcp_f64_e32 v[158:159], v[156:157]
	s_waitcnt_depctr 0xfff
	v_fma_f64 v[160:161], -v[156:157], v[158:159], 1.0
	v_fma_f64 v[158:159], v[158:159], v[160:161], v[158:159]
	s_delay_alu instid0(VALU_DEP_1) | instskip(NEXT) | instid1(VALU_DEP_1)
	v_fma_f64 v[160:161], -v[156:157], v[158:159], 1.0
	v_fma_f64 v[158:159], v[158:159], v[160:161], v[158:159]
	s_delay_alu instid0(VALU_DEP_1) | instskip(NEXT) | instid1(VALU_DEP_1)
	v_mul_f64 v[160:161], v[162:163], v[158:159]
	v_fma_f64 v[156:157], -v[156:157], v[160:161], v[162:163]
	s_delay_alu instid0(VALU_DEP_1) | instskip(NEXT) | instid1(VALU_DEP_1)
	v_div_fmas_f64 v[156:157], v[156:157], v[158:159], v[160:161]
	v_div_fixup_f64 v[156:157], v[156:157], v[154:155], v[152:153]
	s_delay_alu instid0(VALU_DEP_1) | instskip(NEXT) | instid1(VALU_DEP_1)
	v_fma_f64 v[152:153], v[152:153], v[156:157], v[154:155]
	v_div_scale_f64 v[154:155], null, v[152:153], v[152:153], 1.0
	s_delay_alu instid0(VALU_DEP_1) | instskip(SKIP_2) | instid1(VALU_DEP_1)
	v_rcp_f64_e32 v[158:159], v[154:155]
	s_waitcnt_depctr 0xfff
	v_fma_f64 v[160:161], -v[154:155], v[158:159], 1.0
	v_fma_f64 v[158:159], v[158:159], v[160:161], v[158:159]
	s_delay_alu instid0(VALU_DEP_1) | instskip(NEXT) | instid1(VALU_DEP_1)
	v_fma_f64 v[160:161], -v[154:155], v[158:159], 1.0
	v_fma_f64 v[158:159], v[158:159], v[160:161], v[158:159]
	v_div_scale_f64 v[160:161], vcc_lo, 1.0, v[152:153], 1.0
	s_delay_alu instid0(VALU_DEP_1) | instskip(NEXT) | instid1(VALU_DEP_1)
	v_mul_f64 v[162:163], v[160:161], v[158:159]
	v_fma_f64 v[154:155], -v[154:155], v[162:163], v[160:161]
	s_delay_alu instid0(VALU_DEP_1) | instskip(NEXT) | instid1(VALU_DEP_1)
	v_div_fmas_f64 v[154:155], v[154:155], v[158:159], v[162:163]
	v_div_fixup_f64 v[158:159], v[154:155], v[152:153], 1.0
                                        ; implicit-def: $vgpr152_vgpr153
	s_delay_alu instid0(VALU_DEP_1)
	v_mul_f64 v[160:161], v[156:157], v[158:159]
	v_xor_b32_e32 v159, 0x80000000, v159
.LBB71_275:
	s_and_not1_saveexec_b32 s3, s3
	s_cbranch_execz .LBB71_277
; %bb.276:
	v_div_scale_f64 v[156:157], null, v[152:153], v[152:153], v[154:155]
	v_div_scale_f64 v[162:163], vcc_lo, v[154:155], v[152:153], v[154:155]
	s_delay_alu instid0(VALU_DEP_2) | instskip(SKIP_2) | instid1(VALU_DEP_1)
	v_rcp_f64_e32 v[158:159], v[156:157]
	s_waitcnt_depctr 0xfff
	v_fma_f64 v[160:161], -v[156:157], v[158:159], 1.0
	v_fma_f64 v[158:159], v[158:159], v[160:161], v[158:159]
	s_delay_alu instid0(VALU_DEP_1) | instskip(NEXT) | instid1(VALU_DEP_1)
	v_fma_f64 v[160:161], -v[156:157], v[158:159], 1.0
	v_fma_f64 v[158:159], v[158:159], v[160:161], v[158:159]
	s_delay_alu instid0(VALU_DEP_1) | instskip(NEXT) | instid1(VALU_DEP_1)
	v_mul_f64 v[160:161], v[162:163], v[158:159]
	v_fma_f64 v[156:157], -v[156:157], v[160:161], v[162:163]
	s_delay_alu instid0(VALU_DEP_1) | instskip(NEXT) | instid1(VALU_DEP_1)
	v_div_fmas_f64 v[156:157], v[156:157], v[158:159], v[160:161]
	v_div_fixup_f64 v[156:157], v[156:157], v[152:153], v[154:155]
	s_delay_alu instid0(VALU_DEP_1) | instskip(NEXT) | instid1(VALU_DEP_1)
	v_fma_f64 v[152:153], v[154:155], v[156:157], v[152:153]
	v_div_scale_f64 v[154:155], null, v[152:153], v[152:153], 1.0
	s_delay_alu instid0(VALU_DEP_1) | instskip(SKIP_2) | instid1(VALU_DEP_1)
	v_rcp_f64_e32 v[158:159], v[154:155]
	s_waitcnt_depctr 0xfff
	v_fma_f64 v[160:161], -v[154:155], v[158:159], 1.0
	v_fma_f64 v[158:159], v[158:159], v[160:161], v[158:159]
	s_delay_alu instid0(VALU_DEP_1) | instskip(NEXT) | instid1(VALU_DEP_1)
	v_fma_f64 v[160:161], -v[154:155], v[158:159], 1.0
	v_fma_f64 v[158:159], v[158:159], v[160:161], v[158:159]
	v_div_scale_f64 v[160:161], vcc_lo, 1.0, v[152:153], 1.0
	s_delay_alu instid0(VALU_DEP_1) | instskip(NEXT) | instid1(VALU_DEP_1)
	v_mul_f64 v[162:163], v[160:161], v[158:159]
	v_fma_f64 v[154:155], -v[154:155], v[162:163], v[160:161]
	s_delay_alu instid0(VALU_DEP_1) | instskip(NEXT) | instid1(VALU_DEP_1)
	v_div_fmas_f64 v[154:155], v[154:155], v[158:159], v[162:163]
	v_div_fixup_f64 v[160:161], v[154:155], v[152:153], 1.0
	s_delay_alu instid0(VALU_DEP_1)
	v_mul_f64 v[158:159], v[156:157], -v[160:161]
.LBB71_277:
	s_or_b32 exec_lo, exec_lo, s3
	ds_store_2addr_b64 v183, v[160:161], v[158:159] offset1:1
.LBB71_278:
	s_or_b32 exec_lo, exec_lo, s4
	s_waitcnt lgkmcnt(0)
	s_barrier
	buffer_gl0_inv
	ds_load_2addr_b64 v[152:155], v183 offset1:1
	s_mov_b32 s3, exec_lo
	v_cmpx_lt_u32_e32 30, v182
	s_cbranch_execz .LBB71_280
; %bb.279:
	s_waitcnt lgkmcnt(0)
	v_mul_f64 v[156:157], v[152:153], v[22:23]
	v_mul_f64 v[22:23], v[154:155], v[22:23]
	s_delay_alu instid0(VALU_DEP_2) | instskip(SKIP_4) | instid1(VALU_DEP_1)
	v_fma_f64 v[160:161], v[154:155], v[20:21], v[156:157]
	ds_load_2addr_b64 v[156:159], v178 offset0:62 offset1:63
	v_fma_f64 v[20:21], v[152:153], v[20:21], -v[22:23]
	s_waitcnt lgkmcnt(0)
	v_mul_f64 v[22:23], v[158:159], v[160:161]
	v_fma_f64 v[22:23], v[156:157], v[20:21], -v[22:23]
	v_mul_f64 v[156:157], v[156:157], v[160:161]
	s_delay_alu instid0(VALU_DEP_2) | instskip(NEXT) | instid1(VALU_DEP_2)
	v_add_f64 v[16:17], v[16:17], -v[22:23]
	v_fma_f64 v[156:157], v[158:159], v[20:21], v[156:157]
	s_delay_alu instid0(VALU_DEP_1) | instskip(SKIP_3) | instid1(VALU_DEP_1)
	v_add_f64 v[18:19], v[18:19], -v[156:157]
	ds_load_2addr_b64 v[156:159], v178 offset0:64 offset1:65
	s_waitcnt lgkmcnt(0)
	v_mul_f64 v[22:23], v[158:159], v[160:161]
	v_fma_f64 v[22:23], v[156:157], v[20:21], -v[22:23]
	v_mul_f64 v[156:157], v[156:157], v[160:161]
	s_delay_alu instid0(VALU_DEP_2) | instskip(NEXT) | instid1(VALU_DEP_2)
	v_add_f64 v[12:13], v[12:13], -v[22:23]
	v_fma_f64 v[156:157], v[158:159], v[20:21], v[156:157]
	s_delay_alu instid0(VALU_DEP_1) | instskip(SKIP_3) | instid1(VALU_DEP_1)
	v_add_f64 v[14:15], v[14:15], -v[156:157]
	ds_load_2addr_b64 v[156:159], v178 offset0:66 offset1:67
	;; [unrolled: 10-line block ×4, first 2 shown]
	s_waitcnt lgkmcnt(0)
	v_mul_f64 v[22:23], v[158:159], v[160:161]
	v_fma_f64 v[22:23], v[156:157], v[20:21], -v[22:23]
	v_mul_f64 v[156:157], v[156:157], v[160:161]
	s_delay_alu instid0(VALU_DEP_2) | instskip(NEXT) | instid1(VALU_DEP_2)
	v_add_f64 v[0:1], v[0:1], -v[22:23]
	v_fma_f64 v[156:157], v[158:159], v[20:21], v[156:157]
	v_dual_mov_b32 v22, v160 :: v_dual_mov_b32 v23, v161
	s_delay_alu instid0(VALU_DEP_2)
	v_add_f64 v[2:3], v[2:3], -v[156:157]
.LBB71_280:
	s_or_b32 exec_lo, exec_lo, s3
	s_delay_alu instid0(SALU_CYCLE_1)
	s_mov_b32 s4, exec_lo
	s_waitcnt lgkmcnt(0)
	s_barrier
	buffer_gl0_inv
	v_cmpx_eq_u32_e32 31, v182
	s_cbranch_execz .LBB71_287
; %bb.281:
	ds_store_2addr_b64 v183, v[16:17], v[18:19] offset1:1
	ds_store_2addr_b64 v178, v[12:13], v[14:15] offset0:64 offset1:65
	ds_store_2addr_b64 v178, v[8:9], v[10:11] offset0:66 offset1:67
	;; [unrolled: 1-line block ×4, first 2 shown]
	ds_load_2addr_b64 v[156:159], v183 offset1:1
	s_waitcnt lgkmcnt(0)
	v_cmp_neq_f64_e32 vcc_lo, 0, v[156:157]
	v_cmp_neq_f64_e64 s3, 0, v[158:159]
	s_delay_alu instid0(VALU_DEP_1) | instskip(NEXT) | instid1(SALU_CYCLE_1)
	s_or_b32 s3, vcc_lo, s3
	s_and_b32 exec_lo, exec_lo, s3
	s_cbranch_execz .LBB71_287
; %bb.282:
	v_cmp_gt_f64_e32 vcc_lo, 0, v[156:157]
	v_xor_b32_e32 v160, 0x80000000, v157
	v_xor_b32_e32 v162, 0x80000000, v159
	s_mov_b32 s3, exec_lo
                                        ; implicit-def: $vgpr164_vgpr165
	s_delay_alu instid0(VALU_DEP_2) | instskip(SKIP_4) | instid1(VALU_DEP_1)
	v_cndmask_b32_e32 v161, v157, v160, vcc_lo
	v_cndmask_b32_e32 v160, v156, v156, vcc_lo
	v_cmp_gt_f64_e32 vcc_lo, 0, v[158:159]
	v_cndmask_b32_e32 v163, v159, v162, vcc_lo
	v_cndmask_b32_e32 v162, v158, v158, vcc_lo
	v_cmpx_ngt_f64_e32 v[160:161], v[162:163]
	s_xor_b32 s3, exec_lo, s3
                                        ; implicit-def: $vgpr160_vgpr161_vgpr162_vgpr163
	s_cbranch_execz .LBB71_284
; %bb.283:
	v_div_scale_f64 v[160:161], null, v[158:159], v[158:159], v[156:157]
	v_div_scale_f64 v[166:167], vcc_lo, v[156:157], v[158:159], v[156:157]
	s_delay_alu instid0(VALU_DEP_2) | instskip(SKIP_2) | instid1(VALU_DEP_1)
	v_rcp_f64_e32 v[162:163], v[160:161]
	s_waitcnt_depctr 0xfff
	v_fma_f64 v[164:165], -v[160:161], v[162:163], 1.0
	v_fma_f64 v[162:163], v[162:163], v[164:165], v[162:163]
	s_delay_alu instid0(VALU_DEP_1) | instskip(NEXT) | instid1(VALU_DEP_1)
	v_fma_f64 v[164:165], -v[160:161], v[162:163], 1.0
	v_fma_f64 v[162:163], v[162:163], v[164:165], v[162:163]
	s_delay_alu instid0(VALU_DEP_1) | instskip(NEXT) | instid1(VALU_DEP_1)
	v_mul_f64 v[164:165], v[166:167], v[162:163]
	v_fma_f64 v[160:161], -v[160:161], v[164:165], v[166:167]
	s_delay_alu instid0(VALU_DEP_1) | instskip(NEXT) | instid1(VALU_DEP_1)
	v_div_fmas_f64 v[160:161], v[160:161], v[162:163], v[164:165]
	v_div_fixup_f64 v[160:161], v[160:161], v[158:159], v[156:157]
	s_delay_alu instid0(VALU_DEP_1) | instskip(NEXT) | instid1(VALU_DEP_1)
	v_fma_f64 v[156:157], v[156:157], v[160:161], v[158:159]
	v_div_scale_f64 v[158:159], null, v[156:157], v[156:157], 1.0
	s_delay_alu instid0(VALU_DEP_1) | instskip(SKIP_2) | instid1(VALU_DEP_1)
	v_rcp_f64_e32 v[162:163], v[158:159]
	s_waitcnt_depctr 0xfff
	v_fma_f64 v[164:165], -v[158:159], v[162:163], 1.0
	v_fma_f64 v[162:163], v[162:163], v[164:165], v[162:163]
	s_delay_alu instid0(VALU_DEP_1) | instskip(NEXT) | instid1(VALU_DEP_1)
	v_fma_f64 v[164:165], -v[158:159], v[162:163], 1.0
	v_fma_f64 v[162:163], v[162:163], v[164:165], v[162:163]
	v_div_scale_f64 v[164:165], vcc_lo, 1.0, v[156:157], 1.0
	s_delay_alu instid0(VALU_DEP_1) | instskip(NEXT) | instid1(VALU_DEP_1)
	v_mul_f64 v[166:167], v[164:165], v[162:163]
	v_fma_f64 v[158:159], -v[158:159], v[166:167], v[164:165]
	s_delay_alu instid0(VALU_DEP_1) | instskip(NEXT) | instid1(VALU_DEP_1)
	v_div_fmas_f64 v[158:159], v[158:159], v[162:163], v[166:167]
	v_div_fixup_f64 v[162:163], v[158:159], v[156:157], 1.0
                                        ; implicit-def: $vgpr156_vgpr157
	s_delay_alu instid0(VALU_DEP_1)
	v_mul_f64 v[164:165], v[160:161], v[162:163]
	v_xor_b32_e32 v163, 0x80000000, v163
.LBB71_284:
	s_and_not1_saveexec_b32 s3, s3
	s_cbranch_execz .LBB71_286
; %bb.285:
	v_div_scale_f64 v[160:161], null, v[156:157], v[156:157], v[158:159]
	v_div_scale_f64 v[166:167], vcc_lo, v[158:159], v[156:157], v[158:159]
	s_delay_alu instid0(VALU_DEP_2) | instskip(SKIP_2) | instid1(VALU_DEP_1)
	v_rcp_f64_e32 v[162:163], v[160:161]
	s_waitcnt_depctr 0xfff
	v_fma_f64 v[164:165], -v[160:161], v[162:163], 1.0
	v_fma_f64 v[162:163], v[162:163], v[164:165], v[162:163]
	s_delay_alu instid0(VALU_DEP_1) | instskip(NEXT) | instid1(VALU_DEP_1)
	v_fma_f64 v[164:165], -v[160:161], v[162:163], 1.0
	v_fma_f64 v[162:163], v[162:163], v[164:165], v[162:163]
	s_delay_alu instid0(VALU_DEP_1) | instskip(NEXT) | instid1(VALU_DEP_1)
	v_mul_f64 v[164:165], v[166:167], v[162:163]
	v_fma_f64 v[160:161], -v[160:161], v[164:165], v[166:167]
	s_delay_alu instid0(VALU_DEP_1) | instskip(NEXT) | instid1(VALU_DEP_1)
	v_div_fmas_f64 v[160:161], v[160:161], v[162:163], v[164:165]
	v_div_fixup_f64 v[160:161], v[160:161], v[156:157], v[158:159]
	s_delay_alu instid0(VALU_DEP_1) | instskip(NEXT) | instid1(VALU_DEP_1)
	v_fma_f64 v[156:157], v[158:159], v[160:161], v[156:157]
	v_div_scale_f64 v[158:159], null, v[156:157], v[156:157], 1.0
	s_delay_alu instid0(VALU_DEP_1) | instskip(SKIP_2) | instid1(VALU_DEP_1)
	v_rcp_f64_e32 v[162:163], v[158:159]
	s_waitcnt_depctr 0xfff
	v_fma_f64 v[164:165], -v[158:159], v[162:163], 1.0
	v_fma_f64 v[162:163], v[162:163], v[164:165], v[162:163]
	s_delay_alu instid0(VALU_DEP_1) | instskip(NEXT) | instid1(VALU_DEP_1)
	v_fma_f64 v[164:165], -v[158:159], v[162:163], 1.0
	v_fma_f64 v[162:163], v[162:163], v[164:165], v[162:163]
	v_div_scale_f64 v[164:165], vcc_lo, 1.0, v[156:157], 1.0
	s_delay_alu instid0(VALU_DEP_1) | instskip(NEXT) | instid1(VALU_DEP_1)
	v_mul_f64 v[166:167], v[164:165], v[162:163]
	v_fma_f64 v[158:159], -v[158:159], v[166:167], v[164:165]
	s_delay_alu instid0(VALU_DEP_1) | instskip(NEXT) | instid1(VALU_DEP_1)
	v_div_fmas_f64 v[158:159], v[158:159], v[162:163], v[166:167]
	v_div_fixup_f64 v[164:165], v[158:159], v[156:157], 1.0
	s_delay_alu instid0(VALU_DEP_1)
	v_mul_f64 v[162:163], v[160:161], -v[164:165]
.LBB71_286:
	s_or_b32 exec_lo, exec_lo, s3
	ds_store_2addr_b64 v183, v[164:165], v[162:163] offset1:1
.LBB71_287:
	s_or_b32 exec_lo, exec_lo, s4
	s_waitcnt lgkmcnt(0)
	s_barrier
	buffer_gl0_inv
	ds_load_2addr_b64 v[156:159], v183 offset1:1
	s_mov_b32 s3, exec_lo
	v_cmpx_lt_u32_e32 31, v182
	s_cbranch_execz .LBB71_289
; %bb.288:
	s_waitcnt lgkmcnt(0)
	v_mul_f64 v[160:161], v[156:157], v[18:19]
	v_mul_f64 v[18:19], v[158:159], v[18:19]
	s_delay_alu instid0(VALU_DEP_2) | instskip(SKIP_4) | instid1(VALU_DEP_1)
	v_fma_f64 v[164:165], v[158:159], v[16:17], v[160:161]
	ds_load_2addr_b64 v[160:163], v178 offset0:64 offset1:65
	v_fma_f64 v[16:17], v[156:157], v[16:17], -v[18:19]
	s_waitcnt lgkmcnt(0)
	v_mul_f64 v[18:19], v[162:163], v[164:165]
	v_fma_f64 v[18:19], v[160:161], v[16:17], -v[18:19]
	v_mul_f64 v[160:161], v[160:161], v[164:165]
	s_delay_alu instid0(VALU_DEP_2) | instskip(NEXT) | instid1(VALU_DEP_2)
	v_add_f64 v[12:13], v[12:13], -v[18:19]
	v_fma_f64 v[160:161], v[162:163], v[16:17], v[160:161]
	s_delay_alu instid0(VALU_DEP_1) | instskip(SKIP_3) | instid1(VALU_DEP_1)
	v_add_f64 v[14:15], v[14:15], -v[160:161]
	ds_load_2addr_b64 v[160:163], v178 offset0:66 offset1:67
	s_waitcnt lgkmcnt(0)
	v_mul_f64 v[18:19], v[162:163], v[164:165]
	v_fma_f64 v[18:19], v[160:161], v[16:17], -v[18:19]
	v_mul_f64 v[160:161], v[160:161], v[164:165]
	s_delay_alu instid0(VALU_DEP_2) | instskip(NEXT) | instid1(VALU_DEP_2)
	v_add_f64 v[8:9], v[8:9], -v[18:19]
	v_fma_f64 v[160:161], v[162:163], v[16:17], v[160:161]
	s_delay_alu instid0(VALU_DEP_1) | instskip(SKIP_3) | instid1(VALU_DEP_1)
	v_add_f64 v[10:11], v[10:11], -v[160:161]
	ds_load_2addr_b64 v[160:163], v178 offset0:68 offset1:69
	;; [unrolled: 10-line block ×3, first 2 shown]
	s_waitcnt lgkmcnt(0)
	v_mul_f64 v[18:19], v[162:163], v[164:165]
	v_fma_f64 v[18:19], v[160:161], v[16:17], -v[18:19]
	v_mul_f64 v[160:161], v[160:161], v[164:165]
	s_delay_alu instid0(VALU_DEP_2) | instskip(NEXT) | instid1(VALU_DEP_2)
	v_add_f64 v[0:1], v[0:1], -v[18:19]
	v_fma_f64 v[160:161], v[162:163], v[16:17], v[160:161]
	v_dual_mov_b32 v18, v164 :: v_dual_mov_b32 v19, v165
	s_delay_alu instid0(VALU_DEP_2)
	v_add_f64 v[2:3], v[2:3], -v[160:161]
.LBB71_289:
	s_or_b32 exec_lo, exec_lo, s3
	s_delay_alu instid0(SALU_CYCLE_1)
	s_mov_b32 s4, exec_lo
	s_waitcnt lgkmcnt(0)
	s_barrier
	buffer_gl0_inv
	v_cmpx_eq_u32_e32 32, v182
	s_cbranch_execz .LBB71_296
; %bb.290:
	ds_store_2addr_b64 v183, v[12:13], v[14:15] offset1:1
	ds_store_2addr_b64 v178, v[8:9], v[10:11] offset0:66 offset1:67
	ds_store_2addr_b64 v178, v[4:5], v[6:7] offset0:68 offset1:69
	;; [unrolled: 1-line block ×3, first 2 shown]
	ds_load_2addr_b64 v[160:163], v183 offset1:1
	s_waitcnt lgkmcnt(0)
	v_cmp_neq_f64_e32 vcc_lo, 0, v[160:161]
	v_cmp_neq_f64_e64 s3, 0, v[162:163]
	s_delay_alu instid0(VALU_DEP_1) | instskip(NEXT) | instid1(SALU_CYCLE_1)
	s_or_b32 s3, vcc_lo, s3
	s_and_b32 exec_lo, exec_lo, s3
	s_cbranch_execz .LBB71_296
; %bb.291:
	v_cmp_gt_f64_e32 vcc_lo, 0, v[160:161]
	v_xor_b32_e32 v164, 0x80000000, v161
	v_xor_b32_e32 v166, 0x80000000, v163
	s_mov_b32 s3, exec_lo
                                        ; implicit-def: $vgpr168_vgpr169
	s_delay_alu instid0(VALU_DEP_2) | instskip(SKIP_4) | instid1(VALU_DEP_1)
	v_cndmask_b32_e32 v165, v161, v164, vcc_lo
	v_cndmask_b32_e32 v164, v160, v160, vcc_lo
	v_cmp_gt_f64_e32 vcc_lo, 0, v[162:163]
	v_cndmask_b32_e32 v167, v163, v166, vcc_lo
	v_cndmask_b32_e32 v166, v162, v162, vcc_lo
	v_cmpx_ngt_f64_e32 v[164:165], v[166:167]
	s_xor_b32 s3, exec_lo, s3
                                        ; implicit-def: $vgpr164_vgpr165_vgpr166_vgpr167
	s_cbranch_execz .LBB71_293
; %bb.292:
	v_div_scale_f64 v[164:165], null, v[162:163], v[162:163], v[160:161]
	v_div_scale_f64 v[170:171], vcc_lo, v[160:161], v[162:163], v[160:161]
	s_delay_alu instid0(VALU_DEP_2) | instskip(SKIP_2) | instid1(VALU_DEP_1)
	v_rcp_f64_e32 v[166:167], v[164:165]
	s_waitcnt_depctr 0xfff
	v_fma_f64 v[168:169], -v[164:165], v[166:167], 1.0
	v_fma_f64 v[166:167], v[166:167], v[168:169], v[166:167]
	s_delay_alu instid0(VALU_DEP_1) | instskip(NEXT) | instid1(VALU_DEP_1)
	v_fma_f64 v[168:169], -v[164:165], v[166:167], 1.0
	v_fma_f64 v[166:167], v[166:167], v[168:169], v[166:167]
	s_delay_alu instid0(VALU_DEP_1) | instskip(NEXT) | instid1(VALU_DEP_1)
	v_mul_f64 v[168:169], v[170:171], v[166:167]
	v_fma_f64 v[164:165], -v[164:165], v[168:169], v[170:171]
	s_delay_alu instid0(VALU_DEP_1) | instskip(NEXT) | instid1(VALU_DEP_1)
	v_div_fmas_f64 v[164:165], v[164:165], v[166:167], v[168:169]
	v_div_fixup_f64 v[164:165], v[164:165], v[162:163], v[160:161]
	s_delay_alu instid0(VALU_DEP_1) | instskip(NEXT) | instid1(VALU_DEP_1)
	v_fma_f64 v[160:161], v[160:161], v[164:165], v[162:163]
	v_div_scale_f64 v[162:163], null, v[160:161], v[160:161], 1.0
	s_delay_alu instid0(VALU_DEP_1) | instskip(SKIP_2) | instid1(VALU_DEP_1)
	v_rcp_f64_e32 v[166:167], v[162:163]
	s_waitcnt_depctr 0xfff
	v_fma_f64 v[168:169], -v[162:163], v[166:167], 1.0
	v_fma_f64 v[166:167], v[166:167], v[168:169], v[166:167]
	s_delay_alu instid0(VALU_DEP_1) | instskip(NEXT) | instid1(VALU_DEP_1)
	v_fma_f64 v[168:169], -v[162:163], v[166:167], 1.0
	v_fma_f64 v[166:167], v[166:167], v[168:169], v[166:167]
	v_div_scale_f64 v[168:169], vcc_lo, 1.0, v[160:161], 1.0
	s_delay_alu instid0(VALU_DEP_1) | instskip(NEXT) | instid1(VALU_DEP_1)
	v_mul_f64 v[170:171], v[168:169], v[166:167]
	v_fma_f64 v[162:163], -v[162:163], v[170:171], v[168:169]
	s_delay_alu instid0(VALU_DEP_1) | instskip(NEXT) | instid1(VALU_DEP_1)
	v_div_fmas_f64 v[162:163], v[162:163], v[166:167], v[170:171]
	v_div_fixup_f64 v[166:167], v[162:163], v[160:161], 1.0
                                        ; implicit-def: $vgpr160_vgpr161
	s_delay_alu instid0(VALU_DEP_1)
	v_mul_f64 v[168:169], v[164:165], v[166:167]
	v_xor_b32_e32 v167, 0x80000000, v167
.LBB71_293:
	s_and_not1_saveexec_b32 s3, s3
	s_cbranch_execz .LBB71_295
; %bb.294:
	v_div_scale_f64 v[164:165], null, v[160:161], v[160:161], v[162:163]
	v_div_scale_f64 v[170:171], vcc_lo, v[162:163], v[160:161], v[162:163]
	s_delay_alu instid0(VALU_DEP_2) | instskip(SKIP_2) | instid1(VALU_DEP_1)
	v_rcp_f64_e32 v[166:167], v[164:165]
	s_waitcnt_depctr 0xfff
	v_fma_f64 v[168:169], -v[164:165], v[166:167], 1.0
	v_fma_f64 v[166:167], v[166:167], v[168:169], v[166:167]
	s_delay_alu instid0(VALU_DEP_1) | instskip(NEXT) | instid1(VALU_DEP_1)
	v_fma_f64 v[168:169], -v[164:165], v[166:167], 1.0
	v_fma_f64 v[166:167], v[166:167], v[168:169], v[166:167]
	s_delay_alu instid0(VALU_DEP_1) | instskip(NEXT) | instid1(VALU_DEP_1)
	v_mul_f64 v[168:169], v[170:171], v[166:167]
	v_fma_f64 v[164:165], -v[164:165], v[168:169], v[170:171]
	s_delay_alu instid0(VALU_DEP_1) | instskip(NEXT) | instid1(VALU_DEP_1)
	v_div_fmas_f64 v[164:165], v[164:165], v[166:167], v[168:169]
	v_div_fixup_f64 v[164:165], v[164:165], v[160:161], v[162:163]
	s_delay_alu instid0(VALU_DEP_1) | instskip(NEXT) | instid1(VALU_DEP_1)
	v_fma_f64 v[160:161], v[162:163], v[164:165], v[160:161]
	v_div_scale_f64 v[162:163], null, v[160:161], v[160:161], 1.0
	s_delay_alu instid0(VALU_DEP_1) | instskip(SKIP_2) | instid1(VALU_DEP_1)
	v_rcp_f64_e32 v[166:167], v[162:163]
	s_waitcnt_depctr 0xfff
	v_fma_f64 v[168:169], -v[162:163], v[166:167], 1.0
	v_fma_f64 v[166:167], v[166:167], v[168:169], v[166:167]
	s_delay_alu instid0(VALU_DEP_1) | instskip(NEXT) | instid1(VALU_DEP_1)
	v_fma_f64 v[168:169], -v[162:163], v[166:167], 1.0
	v_fma_f64 v[166:167], v[166:167], v[168:169], v[166:167]
	v_div_scale_f64 v[168:169], vcc_lo, 1.0, v[160:161], 1.0
	s_delay_alu instid0(VALU_DEP_1) | instskip(NEXT) | instid1(VALU_DEP_1)
	v_mul_f64 v[170:171], v[168:169], v[166:167]
	v_fma_f64 v[162:163], -v[162:163], v[170:171], v[168:169]
	s_delay_alu instid0(VALU_DEP_1) | instskip(NEXT) | instid1(VALU_DEP_1)
	v_div_fmas_f64 v[162:163], v[162:163], v[166:167], v[170:171]
	v_div_fixup_f64 v[168:169], v[162:163], v[160:161], 1.0
	s_delay_alu instid0(VALU_DEP_1)
	v_mul_f64 v[166:167], v[164:165], -v[168:169]
.LBB71_295:
	s_or_b32 exec_lo, exec_lo, s3
	ds_store_2addr_b64 v183, v[168:169], v[166:167] offset1:1
.LBB71_296:
	s_or_b32 exec_lo, exec_lo, s4
	s_waitcnt lgkmcnt(0)
	s_barrier
	buffer_gl0_inv
	ds_load_2addr_b64 v[160:163], v183 offset1:1
	s_mov_b32 s3, exec_lo
	v_cmpx_lt_u32_e32 32, v182
	s_cbranch_execz .LBB71_298
; %bb.297:
	s_waitcnt lgkmcnt(0)
	v_mul_f64 v[164:165], v[160:161], v[14:15]
	v_mul_f64 v[14:15], v[162:163], v[14:15]
	s_delay_alu instid0(VALU_DEP_2) | instskip(SKIP_4) | instid1(VALU_DEP_1)
	v_fma_f64 v[168:169], v[162:163], v[12:13], v[164:165]
	ds_load_2addr_b64 v[164:167], v178 offset0:66 offset1:67
	v_fma_f64 v[12:13], v[160:161], v[12:13], -v[14:15]
	s_waitcnt lgkmcnt(0)
	v_mul_f64 v[14:15], v[166:167], v[168:169]
	v_fma_f64 v[14:15], v[164:165], v[12:13], -v[14:15]
	v_mul_f64 v[164:165], v[164:165], v[168:169]
	s_delay_alu instid0(VALU_DEP_2) | instskip(NEXT) | instid1(VALU_DEP_2)
	v_add_f64 v[8:9], v[8:9], -v[14:15]
	v_fma_f64 v[164:165], v[166:167], v[12:13], v[164:165]
	s_delay_alu instid0(VALU_DEP_1) | instskip(SKIP_3) | instid1(VALU_DEP_1)
	v_add_f64 v[10:11], v[10:11], -v[164:165]
	ds_load_2addr_b64 v[164:167], v178 offset0:68 offset1:69
	s_waitcnt lgkmcnt(0)
	v_mul_f64 v[14:15], v[166:167], v[168:169]
	v_fma_f64 v[14:15], v[164:165], v[12:13], -v[14:15]
	v_mul_f64 v[164:165], v[164:165], v[168:169]
	s_delay_alu instid0(VALU_DEP_2) | instskip(NEXT) | instid1(VALU_DEP_2)
	v_add_f64 v[4:5], v[4:5], -v[14:15]
	v_fma_f64 v[164:165], v[166:167], v[12:13], v[164:165]
	s_delay_alu instid0(VALU_DEP_1) | instskip(SKIP_3) | instid1(VALU_DEP_1)
	v_add_f64 v[6:7], v[6:7], -v[164:165]
	ds_load_2addr_b64 v[164:167], v178 offset0:70 offset1:71
	s_waitcnt lgkmcnt(0)
	v_mul_f64 v[14:15], v[166:167], v[168:169]
	v_fma_f64 v[14:15], v[164:165], v[12:13], -v[14:15]
	v_mul_f64 v[164:165], v[164:165], v[168:169]
	s_delay_alu instid0(VALU_DEP_2) | instskip(NEXT) | instid1(VALU_DEP_2)
	v_add_f64 v[0:1], v[0:1], -v[14:15]
	v_fma_f64 v[164:165], v[166:167], v[12:13], v[164:165]
	v_dual_mov_b32 v14, v168 :: v_dual_mov_b32 v15, v169
	s_delay_alu instid0(VALU_DEP_2)
	v_add_f64 v[2:3], v[2:3], -v[164:165]
.LBB71_298:
	s_or_b32 exec_lo, exec_lo, s3
	s_delay_alu instid0(SALU_CYCLE_1)
	s_mov_b32 s4, exec_lo
	s_waitcnt lgkmcnt(0)
	s_barrier
	buffer_gl0_inv
	v_cmpx_eq_u32_e32 33, v182
	s_cbranch_execz .LBB71_305
; %bb.299:
	ds_store_2addr_b64 v183, v[8:9], v[10:11] offset1:1
	ds_store_2addr_b64 v178, v[4:5], v[6:7] offset0:68 offset1:69
	ds_store_2addr_b64 v178, v[0:1], v[2:3] offset0:70 offset1:71
	ds_load_2addr_b64 v[164:167], v183 offset1:1
	s_waitcnt lgkmcnt(0)
	v_cmp_neq_f64_e32 vcc_lo, 0, v[164:165]
	v_cmp_neq_f64_e64 s3, 0, v[166:167]
	s_delay_alu instid0(VALU_DEP_1) | instskip(NEXT) | instid1(SALU_CYCLE_1)
	s_or_b32 s3, vcc_lo, s3
	s_and_b32 exec_lo, exec_lo, s3
	s_cbranch_execz .LBB71_305
; %bb.300:
	v_cmp_gt_f64_e32 vcc_lo, 0, v[164:165]
	v_xor_b32_e32 v168, 0x80000000, v165
	v_xor_b32_e32 v170, 0x80000000, v167
	s_mov_b32 s3, exec_lo
                                        ; implicit-def: $vgpr172_vgpr173
	s_delay_alu instid0(VALU_DEP_2) | instskip(SKIP_4) | instid1(VALU_DEP_1)
	v_cndmask_b32_e32 v169, v165, v168, vcc_lo
	v_cndmask_b32_e32 v168, v164, v164, vcc_lo
	v_cmp_gt_f64_e32 vcc_lo, 0, v[166:167]
	v_cndmask_b32_e32 v171, v167, v170, vcc_lo
	v_cndmask_b32_e32 v170, v166, v166, vcc_lo
	v_cmpx_ngt_f64_e32 v[168:169], v[170:171]
	s_xor_b32 s3, exec_lo, s3
                                        ; implicit-def: $vgpr168_vgpr169_vgpr170_vgpr171
	s_cbranch_execz .LBB71_302
; %bb.301:
	v_div_scale_f64 v[168:169], null, v[166:167], v[166:167], v[164:165]
	v_div_scale_f64 v[174:175], vcc_lo, v[164:165], v[166:167], v[164:165]
	s_delay_alu instid0(VALU_DEP_2) | instskip(SKIP_2) | instid1(VALU_DEP_1)
	v_rcp_f64_e32 v[170:171], v[168:169]
	s_waitcnt_depctr 0xfff
	v_fma_f64 v[172:173], -v[168:169], v[170:171], 1.0
	v_fma_f64 v[170:171], v[170:171], v[172:173], v[170:171]
	s_delay_alu instid0(VALU_DEP_1) | instskip(NEXT) | instid1(VALU_DEP_1)
	v_fma_f64 v[172:173], -v[168:169], v[170:171], 1.0
	v_fma_f64 v[170:171], v[170:171], v[172:173], v[170:171]
	s_delay_alu instid0(VALU_DEP_1) | instskip(NEXT) | instid1(VALU_DEP_1)
	v_mul_f64 v[172:173], v[174:175], v[170:171]
	v_fma_f64 v[168:169], -v[168:169], v[172:173], v[174:175]
	s_delay_alu instid0(VALU_DEP_1) | instskip(NEXT) | instid1(VALU_DEP_1)
	v_div_fmas_f64 v[168:169], v[168:169], v[170:171], v[172:173]
	v_div_fixup_f64 v[168:169], v[168:169], v[166:167], v[164:165]
	s_delay_alu instid0(VALU_DEP_1) | instskip(NEXT) | instid1(VALU_DEP_1)
	v_fma_f64 v[164:165], v[164:165], v[168:169], v[166:167]
	v_div_scale_f64 v[166:167], null, v[164:165], v[164:165], 1.0
	s_delay_alu instid0(VALU_DEP_1) | instskip(SKIP_2) | instid1(VALU_DEP_1)
	v_rcp_f64_e32 v[170:171], v[166:167]
	s_waitcnt_depctr 0xfff
	v_fma_f64 v[172:173], -v[166:167], v[170:171], 1.0
	v_fma_f64 v[170:171], v[170:171], v[172:173], v[170:171]
	s_delay_alu instid0(VALU_DEP_1) | instskip(NEXT) | instid1(VALU_DEP_1)
	v_fma_f64 v[172:173], -v[166:167], v[170:171], 1.0
	v_fma_f64 v[170:171], v[170:171], v[172:173], v[170:171]
	v_div_scale_f64 v[172:173], vcc_lo, 1.0, v[164:165], 1.0
	s_delay_alu instid0(VALU_DEP_1) | instskip(NEXT) | instid1(VALU_DEP_1)
	v_mul_f64 v[174:175], v[172:173], v[170:171]
	v_fma_f64 v[166:167], -v[166:167], v[174:175], v[172:173]
	s_delay_alu instid0(VALU_DEP_1) | instskip(NEXT) | instid1(VALU_DEP_1)
	v_div_fmas_f64 v[166:167], v[166:167], v[170:171], v[174:175]
	v_div_fixup_f64 v[170:171], v[166:167], v[164:165], 1.0
                                        ; implicit-def: $vgpr164_vgpr165
	s_delay_alu instid0(VALU_DEP_1)
	v_mul_f64 v[172:173], v[168:169], v[170:171]
	v_xor_b32_e32 v171, 0x80000000, v171
.LBB71_302:
	s_and_not1_saveexec_b32 s3, s3
	s_cbranch_execz .LBB71_304
; %bb.303:
	v_div_scale_f64 v[168:169], null, v[164:165], v[164:165], v[166:167]
	v_div_scale_f64 v[174:175], vcc_lo, v[166:167], v[164:165], v[166:167]
	s_delay_alu instid0(VALU_DEP_2) | instskip(SKIP_2) | instid1(VALU_DEP_1)
	v_rcp_f64_e32 v[170:171], v[168:169]
	s_waitcnt_depctr 0xfff
	v_fma_f64 v[172:173], -v[168:169], v[170:171], 1.0
	v_fma_f64 v[170:171], v[170:171], v[172:173], v[170:171]
	s_delay_alu instid0(VALU_DEP_1) | instskip(NEXT) | instid1(VALU_DEP_1)
	v_fma_f64 v[172:173], -v[168:169], v[170:171], 1.0
	v_fma_f64 v[170:171], v[170:171], v[172:173], v[170:171]
	s_delay_alu instid0(VALU_DEP_1) | instskip(NEXT) | instid1(VALU_DEP_1)
	v_mul_f64 v[172:173], v[174:175], v[170:171]
	v_fma_f64 v[168:169], -v[168:169], v[172:173], v[174:175]
	s_delay_alu instid0(VALU_DEP_1) | instskip(NEXT) | instid1(VALU_DEP_1)
	v_div_fmas_f64 v[168:169], v[168:169], v[170:171], v[172:173]
	v_div_fixup_f64 v[168:169], v[168:169], v[164:165], v[166:167]
	s_delay_alu instid0(VALU_DEP_1) | instskip(NEXT) | instid1(VALU_DEP_1)
	v_fma_f64 v[164:165], v[166:167], v[168:169], v[164:165]
	v_div_scale_f64 v[166:167], null, v[164:165], v[164:165], 1.0
	s_delay_alu instid0(VALU_DEP_1) | instskip(SKIP_2) | instid1(VALU_DEP_1)
	v_rcp_f64_e32 v[170:171], v[166:167]
	s_waitcnt_depctr 0xfff
	v_fma_f64 v[172:173], -v[166:167], v[170:171], 1.0
	v_fma_f64 v[170:171], v[170:171], v[172:173], v[170:171]
	s_delay_alu instid0(VALU_DEP_1) | instskip(NEXT) | instid1(VALU_DEP_1)
	v_fma_f64 v[172:173], -v[166:167], v[170:171], 1.0
	v_fma_f64 v[170:171], v[170:171], v[172:173], v[170:171]
	v_div_scale_f64 v[172:173], vcc_lo, 1.0, v[164:165], 1.0
	s_delay_alu instid0(VALU_DEP_1) | instskip(NEXT) | instid1(VALU_DEP_1)
	v_mul_f64 v[174:175], v[172:173], v[170:171]
	v_fma_f64 v[166:167], -v[166:167], v[174:175], v[172:173]
	s_delay_alu instid0(VALU_DEP_1) | instskip(NEXT) | instid1(VALU_DEP_1)
	v_div_fmas_f64 v[166:167], v[166:167], v[170:171], v[174:175]
	v_div_fixup_f64 v[172:173], v[166:167], v[164:165], 1.0
	s_delay_alu instid0(VALU_DEP_1)
	v_mul_f64 v[170:171], v[168:169], -v[172:173]
.LBB71_304:
	s_or_b32 exec_lo, exec_lo, s3
	ds_store_2addr_b64 v183, v[172:173], v[170:171] offset1:1
.LBB71_305:
	s_or_b32 exec_lo, exec_lo, s4
	s_waitcnt lgkmcnt(0)
	s_barrier
	buffer_gl0_inv
	ds_load_2addr_b64 v[164:167], v183 offset1:1
	s_mov_b32 s3, exec_lo
	v_cmpx_lt_u32_e32 33, v182
	s_cbranch_execz .LBB71_307
; %bb.306:
	s_waitcnt lgkmcnt(0)
	v_mul_f64 v[168:169], v[164:165], v[10:11]
	v_mul_f64 v[10:11], v[166:167], v[10:11]
	s_delay_alu instid0(VALU_DEP_2) | instskip(SKIP_4) | instid1(VALU_DEP_1)
	v_fma_f64 v[172:173], v[166:167], v[8:9], v[168:169]
	ds_load_2addr_b64 v[168:171], v178 offset0:68 offset1:69
	v_fma_f64 v[8:9], v[164:165], v[8:9], -v[10:11]
	s_waitcnt lgkmcnt(0)
	v_mul_f64 v[10:11], v[170:171], v[172:173]
	v_fma_f64 v[10:11], v[168:169], v[8:9], -v[10:11]
	v_mul_f64 v[168:169], v[168:169], v[172:173]
	s_delay_alu instid0(VALU_DEP_2) | instskip(NEXT) | instid1(VALU_DEP_2)
	v_add_f64 v[4:5], v[4:5], -v[10:11]
	v_fma_f64 v[168:169], v[170:171], v[8:9], v[168:169]
	s_delay_alu instid0(VALU_DEP_1) | instskip(SKIP_3) | instid1(VALU_DEP_1)
	v_add_f64 v[6:7], v[6:7], -v[168:169]
	ds_load_2addr_b64 v[168:171], v178 offset0:70 offset1:71
	s_waitcnt lgkmcnt(0)
	v_mul_f64 v[10:11], v[170:171], v[172:173]
	v_fma_f64 v[10:11], v[168:169], v[8:9], -v[10:11]
	v_mul_f64 v[168:169], v[168:169], v[172:173]
	s_delay_alu instid0(VALU_DEP_2) | instskip(NEXT) | instid1(VALU_DEP_2)
	v_add_f64 v[0:1], v[0:1], -v[10:11]
	v_fma_f64 v[168:169], v[170:171], v[8:9], v[168:169]
	v_dual_mov_b32 v10, v172 :: v_dual_mov_b32 v11, v173
	s_delay_alu instid0(VALU_DEP_2)
	v_add_f64 v[2:3], v[2:3], -v[168:169]
.LBB71_307:
	s_or_b32 exec_lo, exec_lo, s3
	s_delay_alu instid0(SALU_CYCLE_1)
	s_mov_b32 s4, exec_lo
	s_waitcnt lgkmcnt(0)
	s_barrier
	buffer_gl0_inv
	v_cmpx_eq_u32_e32 34, v182
	s_cbranch_execz .LBB71_314
; %bb.308:
	ds_store_2addr_b64 v183, v[4:5], v[6:7] offset1:1
	ds_store_2addr_b64 v178, v[0:1], v[2:3] offset0:70 offset1:71
	ds_load_2addr_b64 v[168:171], v183 offset1:1
	s_waitcnt lgkmcnt(0)
	v_cmp_neq_f64_e32 vcc_lo, 0, v[168:169]
	v_cmp_neq_f64_e64 s3, 0, v[170:171]
	s_delay_alu instid0(VALU_DEP_1) | instskip(NEXT) | instid1(SALU_CYCLE_1)
	s_or_b32 s3, vcc_lo, s3
	s_and_b32 exec_lo, exec_lo, s3
	s_cbranch_execz .LBB71_314
; %bb.309:
	v_cmp_gt_f64_e32 vcc_lo, 0, v[168:169]
	v_xor_b32_e32 v172, 0x80000000, v169
	v_xor_b32_e32 v174, 0x80000000, v171
	s_mov_b32 s3, exec_lo
                                        ; implicit-def: $vgpr180_vgpr181
	s_delay_alu instid0(VALU_DEP_2) | instskip(SKIP_4) | instid1(VALU_DEP_1)
	v_cndmask_b32_e32 v173, v169, v172, vcc_lo
	v_cndmask_b32_e32 v172, v168, v168, vcc_lo
	v_cmp_gt_f64_e32 vcc_lo, 0, v[170:171]
	v_cndmask_b32_e32 v175, v171, v174, vcc_lo
	v_cndmask_b32_e32 v174, v170, v170, vcc_lo
	v_cmpx_ngt_f64_e32 v[172:173], v[174:175]
	s_xor_b32 s3, exec_lo, s3
                                        ; implicit-def: $vgpr172_vgpr173_vgpr174_vgpr175
	s_cbranch_execz .LBB71_311
; %bb.310:
	v_div_scale_f64 v[172:173], null, v[170:171], v[170:171], v[168:169]
	v_dual_mov_b32 v176, v184 :: v_dual_mov_b32 v177, v185
	v_div_scale_f64 v[184:185], vcc_lo, v[168:169], v[170:171], v[168:169]
	s_delay_alu instid0(VALU_DEP_3) | instskip(SKIP_2) | instid1(VALU_DEP_1)
	v_rcp_f64_e32 v[174:175], v[172:173]
	s_waitcnt_depctr 0xfff
	v_fma_f64 v[179:180], -v[172:173], v[174:175], 1.0
	v_fma_f64 v[174:175], v[174:175], v[179:180], v[174:175]
	s_delay_alu instid0(VALU_DEP_1) | instskip(NEXT) | instid1(VALU_DEP_1)
	v_fma_f64 v[179:180], -v[172:173], v[174:175], 1.0
	v_fma_f64 v[174:175], v[174:175], v[179:180], v[174:175]
	s_delay_alu instid0(VALU_DEP_1) | instskip(NEXT) | instid1(VALU_DEP_1)
	v_mul_f64 v[179:180], v[184:185], v[174:175]
	v_fma_f64 v[172:173], -v[172:173], v[179:180], v[184:185]
	s_delay_alu instid0(VALU_DEP_1) | instskip(NEXT) | instid1(VALU_DEP_1)
	v_div_fmas_f64 v[172:173], v[172:173], v[174:175], v[179:180]
	v_div_fixup_f64 v[172:173], v[172:173], v[170:171], v[168:169]
	s_delay_alu instid0(VALU_DEP_1) | instskip(NEXT) | instid1(VALU_DEP_1)
	v_fma_f64 v[168:169], v[168:169], v[172:173], v[170:171]
	v_div_scale_f64 v[170:171], null, v[168:169], v[168:169], 1.0
	s_delay_alu instid0(VALU_DEP_1) | instskip(SKIP_2) | instid1(VALU_DEP_1)
	v_rcp_f64_e32 v[174:175], v[170:171]
	s_waitcnt_depctr 0xfff
	v_fma_f64 v[179:180], -v[170:171], v[174:175], 1.0
	v_fma_f64 v[174:175], v[174:175], v[179:180], v[174:175]
	s_delay_alu instid0(VALU_DEP_1) | instskip(NEXT) | instid1(VALU_DEP_1)
	v_fma_f64 v[179:180], -v[170:171], v[174:175], 1.0
	v_fma_f64 v[174:175], v[174:175], v[179:180], v[174:175]
	v_div_scale_f64 v[179:180], vcc_lo, 1.0, v[168:169], 1.0
	s_delay_alu instid0(VALU_DEP_1) | instskip(NEXT) | instid1(VALU_DEP_1)
	v_mul_f64 v[184:185], v[179:180], v[174:175]
	v_fma_f64 v[170:171], -v[170:171], v[184:185], v[179:180]
	s_delay_alu instid0(VALU_DEP_1) | instskip(SKIP_1) | instid1(VALU_DEP_2)
	v_div_fmas_f64 v[170:171], v[170:171], v[174:175], v[184:185]
	v_dual_mov_b32 v185, v177 :: v_dual_mov_b32 v184, v176
	v_div_fixup_f64 v[174:175], v[170:171], v[168:169], 1.0
                                        ; implicit-def: $vgpr168_vgpr169
	s_delay_alu instid0(VALU_DEP_1)
	v_mul_f64 v[180:181], v[172:173], v[174:175]
	v_xor_b32_e32 v175, 0x80000000, v175
.LBB71_311:
	s_and_not1_saveexec_b32 s3, s3
	s_cbranch_execz .LBB71_313
; %bb.312:
	v_div_scale_f64 v[172:173], null, v[168:169], v[168:169], v[170:171]
	v_dual_mov_b32 v176, v184 :: v_dual_mov_b32 v177, v185
	v_div_scale_f64 v[184:185], vcc_lo, v[170:171], v[168:169], v[170:171]
	s_delay_alu instid0(VALU_DEP_3) | instskip(SKIP_2) | instid1(VALU_DEP_1)
	v_rcp_f64_e32 v[174:175], v[172:173]
	s_waitcnt_depctr 0xfff
	v_fma_f64 v[179:180], -v[172:173], v[174:175], 1.0
	v_fma_f64 v[174:175], v[174:175], v[179:180], v[174:175]
	s_delay_alu instid0(VALU_DEP_1) | instskip(NEXT) | instid1(VALU_DEP_1)
	v_fma_f64 v[179:180], -v[172:173], v[174:175], 1.0
	v_fma_f64 v[174:175], v[174:175], v[179:180], v[174:175]
	s_delay_alu instid0(VALU_DEP_1) | instskip(NEXT) | instid1(VALU_DEP_1)
	v_mul_f64 v[179:180], v[184:185], v[174:175]
	v_fma_f64 v[172:173], -v[172:173], v[179:180], v[184:185]
	s_delay_alu instid0(VALU_DEP_1) | instskip(NEXT) | instid1(VALU_DEP_1)
	v_div_fmas_f64 v[172:173], v[172:173], v[174:175], v[179:180]
	v_div_fixup_f64 v[172:173], v[172:173], v[168:169], v[170:171]
	s_delay_alu instid0(VALU_DEP_1) | instskip(NEXT) | instid1(VALU_DEP_1)
	v_fma_f64 v[168:169], v[170:171], v[172:173], v[168:169]
	v_div_scale_f64 v[170:171], null, v[168:169], v[168:169], 1.0
	s_delay_alu instid0(VALU_DEP_1) | instskip(SKIP_2) | instid1(VALU_DEP_1)
	v_rcp_f64_e32 v[174:175], v[170:171]
	s_waitcnt_depctr 0xfff
	v_fma_f64 v[179:180], -v[170:171], v[174:175], 1.0
	v_fma_f64 v[174:175], v[174:175], v[179:180], v[174:175]
	s_delay_alu instid0(VALU_DEP_1) | instskip(NEXT) | instid1(VALU_DEP_1)
	v_fma_f64 v[179:180], -v[170:171], v[174:175], 1.0
	v_fma_f64 v[174:175], v[174:175], v[179:180], v[174:175]
	v_div_scale_f64 v[179:180], vcc_lo, 1.0, v[168:169], 1.0
	s_delay_alu instid0(VALU_DEP_1) | instskip(NEXT) | instid1(VALU_DEP_1)
	v_mul_f64 v[184:185], v[179:180], v[174:175]
	v_fma_f64 v[170:171], -v[170:171], v[184:185], v[179:180]
	s_delay_alu instid0(VALU_DEP_1) | instskip(SKIP_1) | instid1(VALU_DEP_2)
	v_div_fmas_f64 v[170:171], v[170:171], v[174:175], v[184:185]
	v_dual_mov_b32 v185, v177 :: v_dual_mov_b32 v184, v176
	v_div_fixup_f64 v[180:181], v[170:171], v[168:169], 1.0
	s_delay_alu instid0(VALU_DEP_1)
	v_mul_f64 v[174:175], v[172:173], -v[180:181]
.LBB71_313:
	s_or_b32 exec_lo, exec_lo, s3
	ds_store_2addr_b64 v183, v[180:181], v[174:175] offset1:1
.LBB71_314:
	s_or_b32 exec_lo, exec_lo, s4
	s_waitcnt lgkmcnt(0)
	s_barrier
	buffer_gl0_inv
	ds_load_2addr_b64 v[168:171], v183 offset1:1
	s_mov_b32 s3, exec_lo
	v_cmpx_lt_u32_e32 34, v182
	s_cbranch_execz .LBB71_316
; %bb.315:
	s_waitcnt lgkmcnt(0)
	v_mul_f64 v[172:173], v[168:169], v[6:7]
	v_mul_f64 v[6:7], v[170:171], v[6:7]
	s_delay_alu instid0(VALU_DEP_2) | instskip(SKIP_4) | instid1(VALU_DEP_1)
	v_fma_f64 v[179:180], v[170:171], v[4:5], v[172:173]
	ds_load_2addr_b64 v[172:175], v178 offset0:70 offset1:71
	v_fma_f64 v[4:5], v[168:169], v[4:5], -v[6:7]
	s_waitcnt lgkmcnt(0)
	v_mul_f64 v[6:7], v[174:175], v[179:180]
	v_fma_f64 v[6:7], v[172:173], v[4:5], -v[6:7]
	v_mul_f64 v[172:173], v[172:173], v[179:180]
	s_delay_alu instid0(VALU_DEP_2) | instskip(NEXT) | instid1(VALU_DEP_2)
	v_add_f64 v[0:1], v[0:1], -v[6:7]
	v_fma_f64 v[172:173], v[174:175], v[4:5], v[172:173]
	v_dual_mov_b32 v6, v179 :: v_dual_mov_b32 v7, v180
	s_delay_alu instid0(VALU_DEP_2)
	v_add_f64 v[2:3], v[2:3], -v[172:173]
.LBB71_316:
	s_or_b32 exec_lo, exec_lo, s3
	s_delay_alu instid0(SALU_CYCLE_1)
	s_mov_b32 s4, exec_lo
	s_waitcnt lgkmcnt(0)
	s_barrier
	buffer_gl0_inv
	v_cmpx_eq_u32_e32 35, v182
	s_cbranch_execz .LBB71_323
; %bb.317:
	v_cmp_neq_f64_e32 vcc_lo, 0, v[0:1]
	v_cmp_neq_f64_e64 s3, 0, v[2:3]
	ds_store_2addr_b64 v183, v[0:1], v[2:3] offset1:1
	s_or_b32 s3, vcc_lo, s3
	s_delay_alu instid0(SALU_CYCLE_1)
	s_and_b32 exec_lo, exec_lo, s3
	s_cbranch_execz .LBB71_323
; %bb.318:
	v_cmp_gt_f64_e32 vcc_lo, 0, v[0:1]
	v_xor_b32_e32 v172, 0x80000000, v1
	v_xor_b32_e32 v174, 0x80000000, v3
	s_mov_b32 s3, exec_lo
                                        ; implicit-def: $vgpr180_vgpr181
	s_delay_alu instid0(VALU_DEP_2) | instskip(SKIP_4) | instid1(VALU_DEP_1)
	v_cndmask_b32_e32 v173, v1, v172, vcc_lo
	v_cndmask_b32_e32 v172, v0, v0, vcc_lo
	v_cmp_gt_f64_e32 vcc_lo, 0, v[2:3]
	v_cndmask_b32_e32 v175, v3, v174, vcc_lo
	v_cndmask_b32_e32 v174, v2, v2, vcc_lo
	v_cmpx_ngt_f64_e32 v[172:173], v[174:175]
	s_xor_b32 s3, exec_lo, s3
                                        ; implicit-def: $vgpr172_vgpr173_vgpr174_vgpr175
	s_cbranch_execz .LBB71_320
; %bb.319:
	v_div_scale_f64 v[172:173], null, v[2:3], v[2:3], v[0:1]
	v_div_scale_f64 v[180:181], vcc_lo, v[0:1], v[2:3], v[0:1]
	v_dual_mov_b32 v140, v254 :: v_dual_mov_b32 v141, v255
	v_dual_mov_b32 v255, v253 :: v_dual_mov_b32 v254, v252
	;; [unrolled: 1-line block ×17, first 2 shown]
	v_rcp_f64_e32 v[174:175], v[172:173]
	v_dual_mov_b32 v221, v219 :: v_dual_mov_b32 v220, v218
	v_dual_mov_b32 v219, v217 :: v_dual_mov_b32 v218, v216
	;; [unrolled: 1-line block ×17, first 2 shown]
	s_delay_alu instid0(TRANS32_DEP_1) | instskip(NEXT) | instid1(VALU_DEP_1)
	v_fma_f64 v[178:179], -v[172:173], v[174:175], 1.0
	v_fma_f64 v[174:175], v[174:175], v[178:179], v[174:175]
	s_delay_alu instid0(VALU_DEP_1) | instskip(NEXT) | instid1(VALU_DEP_1)
	v_fma_f64 v[178:179], -v[172:173], v[174:175], 1.0
	v_fma_f64 v[174:175], v[174:175], v[178:179], v[174:175]
	s_delay_alu instid0(VALU_DEP_1) | instskip(NEXT) | instid1(VALU_DEP_1)
	v_mul_f64 v[178:179], v[180:181], v[174:175]
	v_fma_f64 v[172:173], -v[172:173], v[178:179], v[180:181]
	s_delay_alu instid0(VALU_DEP_1) | instskip(NEXT) | instid1(VALU_DEP_1)
	v_div_fmas_f64 v[172:173], v[172:173], v[174:175], v[178:179]
	v_div_fixup_f64 v[172:173], v[172:173], v[2:3], v[0:1]
	s_delay_alu instid0(VALU_DEP_1) | instskip(NEXT) | instid1(VALU_DEP_1)
	v_fma_f64 v[174:175], v[0:1], v[172:173], v[2:3]
	v_div_scale_f64 v[178:179], null, v[174:175], v[174:175], 1.0
	s_delay_alu instid0(VALU_DEP_1) | instskip(SKIP_2) | instid1(VALU_DEP_1)
	v_rcp_f64_e32 v[180:181], v[178:179]
	s_waitcnt_depctr 0xfff
	v_fma_f64 v[184:185], -v[178:179], v[180:181], 1.0
	v_fma_f64 v[180:181], v[180:181], v[184:185], v[180:181]
	s_delay_alu instid0(VALU_DEP_1) | instskip(NEXT) | instid1(VALU_DEP_1)
	v_fma_f64 v[184:185], -v[178:179], v[180:181], 1.0
	v_fma_f64 v[180:181], v[180:181], v[184:185], v[180:181]
	v_div_scale_f64 v[184:185], vcc_lo, 1.0, v[174:175], 1.0
	s_delay_alu instid0(VALU_DEP_1) | instskip(NEXT) | instid1(VALU_DEP_1)
	v_mul_f64 v[176:177], v[184:185], v[180:181]
	v_fma_f64 v[178:179], -v[178:179], v[176:177], v[184:185]
	v_dual_mov_b32 v184, v188 :: v_dual_mov_b32 v185, v189
	v_dual_mov_b32 v188, v190 :: v_dual_mov_b32 v189, v191
	;; [unrolled: 1-line block ×19, first 2 shown]
	v_div_fmas_f64 v[178:179], v[178:179], v[180:181], v[176:177]
	v_dual_mov_b32 v226, v228 :: v_dual_mov_b32 v227, v229
	v_dual_mov_b32 v228, v230 :: v_dual_mov_b32 v229, v231
	;; [unrolled: 1-line block ×15, first 2 shown]
	v_div_fixup_f64 v[174:175], v[178:179], v[174:175], 1.0
	s_delay_alu instid0(VALU_DEP_1)
	v_mul_f64 v[180:181], v[172:173], v[174:175]
	v_xor_b32_e32 v175, 0x80000000, v175
.LBB71_320:
	s_and_not1_saveexec_b32 s3, s3
	s_cbranch_execz .LBB71_322
; %bb.321:
	v_div_scale_f64 v[172:173], null, v[0:1], v[0:1], v[2:3]
	v_div_scale_f64 v[180:181], vcc_lo, v[2:3], v[0:1], v[2:3]
	v_dual_mov_b32 v140, v254 :: v_dual_mov_b32 v141, v255
	v_dual_mov_b32 v255, v253 :: v_dual_mov_b32 v254, v252
	;; [unrolled: 1-line block ×17, first 2 shown]
	v_rcp_f64_e32 v[174:175], v[172:173]
	v_dual_mov_b32 v223, v221 :: v_dual_mov_b32 v222, v220
	v_dual_mov_b32 v221, v219 :: v_dual_mov_b32 v220, v218
	;; [unrolled: 1-line block ×18, first 2 shown]
	s_delay_alu instid0(TRANS32_DEP_1) | instskip(NEXT) | instid1(VALU_DEP_1)
	v_fma_f64 v[178:179], -v[172:173], v[174:175], 1.0
	v_fma_f64 v[174:175], v[174:175], v[178:179], v[174:175]
	s_delay_alu instid0(VALU_DEP_1) | instskip(NEXT) | instid1(VALU_DEP_1)
	v_fma_f64 v[178:179], -v[172:173], v[174:175], 1.0
	v_fma_f64 v[174:175], v[174:175], v[178:179], v[174:175]
	s_delay_alu instid0(VALU_DEP_1) | instskip(NEXT) | instid1(VALU_DEP_1)
	v_mul_f64 v[178:179], v[180:181], v[174:175]
	v_fma_f64 v[172:173], -v[172:173], v[178:179], v[180:181]
	s_delay_alu instid0(VALU_DEP_1) | instskip(NEXT) | instid1(VALU_DEP_1)
	v_div_fmas_f64 v[172:173], v[172:173], v[174:175], v[178:179]
	v_div_fixup_f64 v[172:173], v[172:173], v[0:1], v[2:3]
	s_delay_alu instid0(VALU_DEP_1) | instskip(NEXT) | instid1(VALU_DEP_1)
	v_fma_f64 v[174:175], v[2:3], v[172:173], v[0:1]
	v_div_scale_f64 v[178:179], null, v[174:175], v[174:175], 1.0
	s_delay_alu instid0(VALU_DEP_1) | instskip(SKIP_2) | instid1(VALU_DEP_1)
	v_rcp_f64_e32 v[180:181], v[178:179]
	s_waitcnt_depctr 0xfff
	v_fma_f64 v[184:185], -v[178:179], v[180:181], 1.0
	v_fma_f64 v[180:181], v[180:181], v[184:185], v[180:181]
	s_delay_alu instid0(VALU_DEP_1) | instskip(NEXT) | instid1(VALU_DEP_1)
	v_fma_f64 v[184:185], -v[178:179], v[180:181], 1.0
	v_fma_f64 v[180:181], v[180:181], v[184:185], v[180:181]
	v_div_scale_f64 v[184:185], vcc_lo, 1.0, v[174:175], 1.0
	s_delay_alu instid0(VALU_DEP_1) | instskip(NEXT) | instid1(VALU_DEP_1)
	v_mul_f64 v[176:177], v[184:185], v[180:181]
	v_fma_f64 v[178:179], -v[178:179], v[176:177], v[184:185]
	v_dual_mov_b32 v184, v188 :: v_dual_mov_b32 v185, v189
	v_dual_mov_b32 v188, v190 :: v_dual_mov_b32 v189, v191
	;; [unrolled: 1-line block ×19, first 2 shown]
	v_div_fmas_f64 v[178:179], v[178:179], v[180:181], v[176:177]
	v_dual_mov_b32 v224, v226 :: v_dual_mov_b32 v225, v227
	v_dual_mov_b32 v226, v228 :: v_dual_mov_b32 v227, v229
	;; [unrolled: 1-line block ×16, first 2 shown]
	v_div_fixup_f64 v[180:181], v[178:179], v[174:175], 1.0
	s_delay_alu instid0(VALU_DEP_1)
	v_mul_f64 v[174:175], v[172:173], -v[180:181]
.LBB71_322:
	s_or_b32 exec_lo, exec_lo, s3
	ds_store_2addr_b64 v183, v[180:181], v[174:175] offset1:1
.LBB71_323:
	s_or_b32 exec_lo, exec_lo, s4
	s_waitcnt lgkmcnt(0)
	s_barrier
	buffer_gl0_inv
	ds_load_2addr_b64 v[172:175], v183 offset1:1
	s_mov_b32 s3, exec_lo
	v_cmpx_lt_u32_e32 35, v182
	s_cbranch_execz .LBB71_325
; %bb.324:
	s_waitcnt lgkmcnt(0)
	v_mul_f64 v[178:179], v[174:175], v[2:3]
	v_mul_f64 v[2:3], v[172:173], v[2:3]
	s_delay_alu instid0(VALU_DEP_2) | instskip(NEXT) | instid1(VALU_DEP_2)
	v_fma_f64 v[178:179], v[172:173], v[0:1], -v[178:179]
	v_fma_f64 v[2:3], v[174:175], v[0:1], v[2:3]
	s_delay_alu instid0(VALU_DEP_2)
	v_dual_mov_b32 v0, v178 :: v_dual_mov_b32 v1, v179
.LBB71_325:
	s_or_b32 exec_lo, exec_lo, s3
	s_waitcnt lgkmcnt(0)
	s_barrier
	buffer_gl0_inv
	s_and_saveexec_b32 s12, s2
	s_cbranch_execz .LBB71_328
; %bb.326:
	scratch_load_b128 v[176:179], off, off offset:16 ; 16-byte Folded Reload
	s_waitcnt vmcnt(0)
	v_cmp_eq_f64_e32 vcc_lo, 0, v[176:177]
	v_cmp_eq_f64_e64 s2, 0, v[178:179]
	scratch_load_b128 v[176:179], off, off offset:32 ; 16-byte Folded Reload
	s_and_b32 s2, vcc_lo, s2
	s_waitcnt vmcnt(0)
	v_cmp_neq_f64_e64 s3, 0, v[176:177]
	v_cmp_neq_f64_e64 s4, 0, v[178:179]
	scratch_load_b128 v[176:179], off, off offset:48 ; 16-byte Folded Reload
	s_or_b32 s3, s3, s4
	s_delay_alu instid0(SALU_CYCLE_1)
	s_or_b32 vcc_lo, s3, s2
	s_waitcnt vmcnt(0)
	v_cmp_eq_f64_e64 s5, 0, v[176:177]
	v_cmp_eq_f64_e64 s6, 0, v[178:179]
	scratch_load_b128 v[176:179], off, off offset:64 ; 16-byte Folded Reload
	s_and_b32 s6, s5, s6
	s_waitcnt vmcnt(0)
	v_cmp_eq_f64_e64 s7, 0, v[176:177]
	v_cmp_eq_f64_e64 s8, 0, v[178:179]
	scratch_load_b128 v[176:179], off, off offset:80 ; 16-byte Folded Reload
	s_waitcnt vmcnt(0)
	v_cmp_eq_f64_e64 s10, 0, v[178:179]
	scratch_load_b128 v[179:182], off, off offset:96 ; 16-byte Folded Reload
	v_cndmask_b32_e64 v178, 0, 1, s2
	v_cmp_eq_f64_e64 s9, 0, v[176:177]
	v_lshlrev_b64 v[176:177], 2, v[222:223]
	s_delay_alu instid0(VALU_DEP_3) | instskip(NEXT) | instid1(VALU_DEP_1)
	v_cndmask_b32_e32 v178, 2, v178, vcc_lo
	v_cmp_eq_u32_e32 vcc_lo, 0, v178
	s_and_b32 s6, s6, vcc_lo
	s_delay_alu instid0(SALU_CYCLE_1) | instskip(SKIP_1) | instid1(VALU_DEP_1)
	v_cndmask_b32_e64 v178, v178, 3, s6
	s_and_b32 s6, s7, s8
	v_cmp_eq_u32_e32 vcc_lo, 0, v178
	s_and_b32 s6, s6, vcc_lo
	s_delay_alu instid0(SALU_CYCLE_1) | instskip(NEXT) | instid1(VALU_DEP_1)
	v_cndmask_b32_e64 v178, v178, 4, s6
	v_cmp_eq_u32_e32 vcc_lo, 0, v178
	s_and_b32 s10, s9, s10
	s_load_b64 s[8:9], s[0:1], 0x28
	s_and_b32 s0, s10, vcc_lo
	s_delay_alu instid0(SALU_CYCLE_1) | instskip(NEXT) | instid1(VALU_DEP_1)
	v_cndmask_b32_e64 v178, v178, 5, s0
	v_cmp_eq_u32_e64 s1, 0, v178
	s_waitcnt vmcnt(0)
	v_cmp_eq_f64_e64 s2, 0, v[179:180]
	v_cmp_eq_f64_e64 s3, 0, v[181:182]
	scratch_load_b128 v[179:182], off, off offset:112 ; 16-byte Folded Reload
	s_and_b32 s2, s2, s3
	s_delay_alu instid0(SALU_CYCLE_1) | instskip(NEXT) | instid1(SALU_CYCLE_1)
	s_and_b32 s1, s2, s1
	v_cndmask_b32_e64 v178, v178, 6, s1
	s_delay_alu instid0(VALU_DEP_1)
	v_cmp_eq_u32_e64 s3, 0, v178
	s_waitcnt vmcnt(0)
	v_cmp_eq_f64_e64 s4, 0, v[179:180]
	v_cmp_eq_f64_e64 s5, 0, v[181:182]
	scratch_load_b128 v[179:182], off, off offset:128 ; 16-byte Folded Reload
	s_and_b32 s5, s4, s5
	s_waitcnt lgkmcnt(0)
	v_add_co_u32 v176, s4, s8, v176
	s_and_b32 s3, s5, s3
	v_add_co_ci_u32_e64 v177, s4, s9, v177, s4
	s_waitcnt vmcnt(0)
	v_cmp_eq_f64_e64 s6, 0, v[179:180]
	v_cmp_eq_f64_e64 s7, 0, v[181:182]
	scratch_load_b128 v[179:182], off, off offset:144 ; 16-byte Folded Reload
	s_and_b32 s6, s6, s7
	s_waitcnt vmcnt(0)
	v_cmp_eq_f64_e32 vcc_lo, 0, v[179:180]
	v_cmp_eq_f64_e64 s0, 0, v[181:182]
	scratch_load_b128 v[179:182], off, off offset:160 ; 16-byte Folded Reload
	s_and_b32 s0, vcc_lo, s0
	s_waitcnt vmcnt(0)
	v_cmp_eq_f64_e64 s1, 0, v[179:180]
	v_cmp_eq_f64_e64 s2, 0, v[181:182]
	scratch_load_b128 v[180:183], off, off offset:176 ; 16-byte Folded Reload
	v_cndmask_b32_e64 v179, v178, 7, s3
	global_load_b32 v178, v[176:177], off
	v_cmp_eq_u32_e64 s5, 0, v179
	s_delay_alu instid0(VALU_DEP_1) | instskip(NEXT) | instid1(SALU_CYCLE_1)
	s_and_b32 s5, s6, s5
	v_cndmask_b32_e64 v179, v179, 8, s5
	s_delay_alu instid0(VALU_DEP_1) | instskip(NEXT) | instid1(VALU_DEP_1)
	v_cmp_eq_u32_e64 s7, 0, v179
	s_and_b32 s0, s0, s7
	s_delay_alu instid0(SALU_CYCLE_1) | instskip(NEXT) | instid1(VALU_DEP_1)
	v_cndmask_b32_e64 v179, v179, 9, s0
	v_cmp_eq_u32_e64 s7, 0, v179
	s_and_b32 s1, s1, s2
	s_delay_alu instid0(VALU_DEP_1) | instid1(SALU_CYCLE_1)
	s_and_b32 s1, s1, s7
	s_delay_alu instid0(SALU_CYCLE_1) | instskip(NEXT) | instid1(VALU_DEP_1)
	v_cndmask_b32_e64 v179, v179, 10, s1
	v_cmp_eq_u32_e64 s7, 0, v179
	s_waitcnt vmcnt(1)
	v_cmp_eq_f64_e64 s3, 0, v[180:181]
	v_cmp_eq_f64_e64 s4, 0, v[182:183]
	scratch_load_b128 v[180:183], off, off offset:192 ; 16-byte Folded Reload
	s_and_b32 s3, s3, s4
	s_delay_alu instid0(SALU_CYCLE_1) | instskip(NEXT) | instid1(SALU_CYCLE_1)
	s_and_b32 s3, s3, s7
	v_cndmask_b32_e64 v179, v179, 11, s3
	s_delay_alu instid0(VALU_DEP_1)
	v_cmp_eq_u32_e64 s7, 0, v179
	s_waitcnt vmcnt(0)
	v_cmp_eq_f64_e64 s5, 0, v[180:181]
	v_cmp_eq_f64_e64 s6, 0, v[182:183]
	scratch_load_b128 v[180:183], off, off offset:208 ; 16-byte Folded Reload
	s_and_b32 s5, s5, s6
	s_delay_alu instid0(SALU_CYCLE_1) | instskip(NEXT) | instid1(SALU_CYCLE_1)
	s_and_b32 s5, s5, s7
	v_cndmask_b32_e64 v179, v179, 12, s5
	s_delay_alu instid0(VALU_DEP_1)
	v_cmp_eq_u32_e64 s7, 0, v179
	s_waitcnt vmcnt(0)
	v_cmp_eq_f64_e32 vcc_lo, 0, v[180:181]
	v_cmp_eq_f64_e64 s0, 0, v[182:183]
	scratch_load_b128 v[180:183], off, off offset:224 ; 16-byte Folded Reload
	s_and_b32 s0, vcc_lo, s0
	s_delay_alu instid0(SALU_CYCLE_1) | instskip(NEXT) | instid1(SALU_CYCLE_1)
	s_and_b32 s0, s0, s7
	v_cndmask_b32_e64 v179, v179, 13, s0
	s_delay_alu instid0(VALU_DEP_1)
	v_cmp_eq_u32_e64 s7, 0, v179
	s_waitcnt vmcnt(0)
	v_cmp_eq_f64_e64 s1, 0, v[180:181]
	v_cmp_eq_f64_e64 s2, 0, v[182:183]
	scratch_load_b128 v[180:183], off, off offset:240 ; 16-byte Folded Reload
	s_and_b32 s1, s1, s2
	s_delay_alu instid0(SALU_CYCLE_1) | instskip(NEXT) | instid1(SALU_CYCLE_1)
	s_and_b32 s1, s1, s7
	v_cndmask_b32_e64 v179, v179, 14, s1
	s_delay_alu instid0(VALU_DEP_1)
	v_cmp_eq_u32_e64 s7, 0, v179
	s_waitcnt vmcnt(0)
	v_cmp_eq_f64_e64 s3, 0, v[180:181]
	v_cmp_eq_f64_e64 s4, 0, v[182:183]
	scratch_load_b128 v[180:183], off, off offset:256 ; 16-byte Folded Reload
	s_and_b32 s3, s3, s4
	s_delay_alu instid0(SALU_CYCLE_1) | instskip(NEXT) | instid1(SALU_CYCLE_1)
	s_and_b32 s3, s3, s7
	v_cndmask_b32_e64 v179, v179, 15, s3
	s_delay_alu instid0(VALU_DEP_1)
	v_cmp_eq_u32_e64 s7, 0, v179
	s_waitcnt vmcnt(0)
	v_cmp_eq_f64_e64 s5, 0, v[180:181]
	v_cmp_eq_f64_e64 s6, 0, v[182:183]
	scratch_load_b128 v[180:183], off, off offset:272 ; 16-byte Folded Reload
	s_and_b32 s5, s5, s6
	s_delay_alu instid0(SALU_CYCLE_1) | instskip(NEXT) | instid1(SALU_CYCLE_1)
	s_and_b32 s5, s5, s7
	v_cndmask_b32_e64 v179, v179, 16, s5
	s_delay_alu instid0(VALU_DEP_1)
	v_cmp_eq_u32_e64 s7, 0, v179
	s_waitcnt vmcnt(0)
	v_cmp_eq_f64_e32 vcc_lo, 0, v[180:181]
	v_cmp_eq_f64_e64 s0, 0, v[182:183]
	scratch_load_b128 v[180:183], off, off offset:288 ; 16-byte Folded Reload
	s_and_b32 s0, vcc_lo, s0
	s_delay_alu instid0(SALU_CYCLE_1) | instskip(NEXT) | instid1(SALU_CYCLE_1)
	s_and_b32 s0, s0, s7
	v_cndmask_b32_e64 v179, v179, 17, s0
	s_delay_alu instid0(VALU_DEP_1)
	v_cmp_eq_u32_e64 s7, 0, v179
	s_waitcnt vmcnt(0)
	v_cmp_eq_f64_e64 s1, 0, v[180:181]
	v_cmp_eq_f64_e64 s2, 0, v[182:183]
	scratch_load_b128 v[180:183], off, off offset:304 ; 16-byte Folded Reload
	s_and_b32 s1, s1, s2
	s_delay_alu instid0(SALU_CYCLE_1) | instskip(NEXT) | instid1(SALU_CYCLE_1)
	s_and_b32 s1, s1, s7
	v_cndmask_b32_e64 v179, v179, 18, s1
	s_delay_alu instid0(VALU_DEP_1)
	v_cmp_eq_u32_e64 s7, 0, v179
	s_waitcnt vmcnt(0)
	v_cmp_eq_f64_e64 s3, 0, v[180:181]
	v_cmp_eq_f64_e64 s4, 0, v[182:183]
	scratch_load_b128 v[180:183], off, off offset:320 ; 16-byte Folded Reload
	s_and_b32 s3, s3, s4
	s_delay_alu instid0(SALU_CYCLE_1) | instskip(NEXT) | instid1(SALU_CYCLE_1)
	s_and_b32 s3, s3, s7
	v_cndmask_b32_e64 v179, v179, 19, s3
	s_delay_alu instid0(VALU_DEP_1)
	v_cmp_eq_u32_e64 s7, 0, v179
	s_waitcnt vmcnt(0)
	v_cmp_eq_f64_e64 s5, 0, v[180:181]
	v_cmp_eq_f64_e64 s6, 0, v[182:183]
	scratch_load_b128 v[180:183], off, off offset:336 ; 16-byte Folded Reload
	s_and_b32 s5, s5, s6
	s_delay_alu instid0(SALU_CYCLE_1) | instskip(NEXT) | instid1(SALU_CYCLE_1)
	s_and_b32 s5, s5, s7
	v_cndmask_b32_e64 v179, v179, 20, s5
	s_delay_alu instid0(VALU_DEP_1)
	v_cmp_eq_u32_e64 s7, 0, v179
	s_waitcnt vmcnt(0)
	v_cmp_eq_f64_e32 vcc_lo, 0, v[180:181]
	v_cmp_eq_f64_e64 s0, 0, v[182:183]
	scratch_load_b128 v[180:183], off, off offset:352 ; 16-byte Folded Reload
	s_and_b32 s0, vcc_lo, s0
	s_delay_alu instid0(SALU_CYCLE_1) | instskip(NEXT) | instid1(SALU_CYCLE_1)
	s_and_b32 s0, s0, s7
	v_cndmask_b32_e64 v179, v179, 21, s0
	s_delay_alu instid0(VALU_DEP_1)
	v_cmp_eq_u32_e64 s7, 0, v179
	s_waitcnt vmcnt(0)
	v_cmp_eq_f64_e64 s1, 0, v[180:181]
	v_cmp_eq_f64_e64 s2, 0, v[182:183]
	scratch_load_b128 v[180:183], off, off offset:368 ; 16-byte Folded Reload
	s_and_b32 s1, s1, s2
	s_delay_alu instid0(SALU_CYCLE_1) | instskip(NEXT) | instid1(SALU_CYCLE_1)
	s_and_b32 s1, s1, s7
	v_cndmask_b32_e64 v179, v179, 22, s1
	s_delay_alu instid0(VALU_DEP_1)
	v_cmp_eq_u32_e64 s7, 0, v179
	s_waitcnt vmcnt(0)
	v_cmp_eq_f64_e64 s3, 0, v[180:181]
	v_cmp_eq_f64_e64 s4, 0, v[182:183]
	scratch_load_b128 v[180:183], off, off offset:384 ; 16-byte Folded Reload
	s_and_b32 s3, s3, s4
	s_delay_alu instid0(SALU_CYCLE_1) | instskip(NEXT) | instid1(SALU_CYCLE_1)
	s_and_b32 s3, s3, s7
	v_cndmask_b32_e64 v179, v179, 23, s3
	s_delay_alu instid0(VALU_DEP_1)
	v_cmp_eq_u32_e64 s7, 0, v179
	s_waitcnt vmcnt(0)
	v_cmp_eq_f64_e64 s5, 0, v[180:181]
	v_cmp_eq_f64_e64 s6, 0, v[182:183]
	scratch_load_b128 v[180:183], off, off offset:400 ; 16-byte Folded Reload
	s_and_b32 s5, s5, s6
	s_delay_alu instid0(SALU_CYCLE_1) | instskip(NEXT) | instid1(SALU_CYCLE_1)
	s_and_b32 s5, s5, s7
	v_cndmask_b32_e64 v179, v179, 24, s5
	s_delay_alu instid0(VALU_DEP_1)
	v_cmp_eq_u32_e64 s7, 0, v179
	s_waitcnt vmcnt(0)
	v_cmp_eq_f64_e32 vcc_lo, 0, v[180:181]
	v_cmp_eq_f64_e64 s0, 0, v[182:183]
	scratch_load_b128 v[180:183], off, off offset:416 ; 16-byte Folded Reload
	s_and_b32 s0, vcc_lo, s0
	v_cmp_eq_f64_e32 vcc_lo, 0, v[144:145]
	s_and_b32 s0, s0, s7
	s_delay_alu instid0(SALU_CYCLE_1) | instskip(SKIP_1) | instid1(VALU_DEP_2)
	v_cndmask_b32_e64 v179, v179, 25, s0
	v_cmp_eq_f64_e64 s0, 0, v[146:147]
	v_cmp_eq_u32_e64 s7, 0, v179
	s_delay_alu instid0(VALU_DEP_2)
	s_and_b32 s0, vcc_lo, s0
	v_cmp_eq_f64_e32 vcc_lo, 0, v[160:161]
	s_waitcnt vmcnt(0)
	v_cmp_eq_f64_e64 s1, 0, v[180:181]
	v_cmp_eq_f64_e64 s2, 0, v[182:183]
	scratch_load_b128 v[180:183], off, off offset:432 ; 16-byte Folded Reload
	s_and_b32 s1, s1, s2
	v_cmp_eq_f64_e64 s2, 0, v[150:151]
	s_and_b32 s1, s1, s7
	s_delay_alu instid0(SALU_CYCLE_1) | instskip(SKIP_1) | instid1(VALU_DEP_2)
	v_cndmask_b32_e64 v144, v179, 26, s1
	v_cmp_eq_f64_e64 s1, 0, v[148:149]
	v_cmp_eq_u32_e64 s7, 0, v144
	s_delay_alu instid0(VALU_DEP_2)
	s_and_b32 s1, s1, s2
	v_cmp_eq_f64_e64 s2, 0, v[166:167]
	s_waitcnt vmcnt(0)
	v_cmp_eq_f64_e64 s3, 0, v[180:181]
	v_cmp_eq_f64_e64 s4, 0, v[182:183]
	scratch_load_b128 v[180:183], off, off offset:448 ; 16-byte Folded Reload
	s_and_b32 s3, s3, s4
	v_cmp_eq_f64_e64 s4, 0, v[154:155]
	s_and_b32 s3, s3, s7
	s_delay_alu instid0(SALU_CYCLE_1) | instskip(SKIP_1) | instid1(VALU_DEP_2)
	v_cndmask_b32_e64 v144, v144, 27, s3
	v_cmp_eq_f64_e64 s3, 0, v[152:153]
	v_cmp_eq_u32_e64 s7, 0, v144
	s_delay_alu instid0(VALU_DEP_2) | instskip(SKIP_4) | instid1(VALU_DEP_1)
	s_and_b32 s3, s3, s4
	v_cmp_eq_f64_e64 s4, 0, v[170:171]
	s_waitcnt vmcnt(0)
	v_cmp_eq_f64_e64 s5, 0, v[180:181]
	v_cmp_eq_f64_e64 s6, 0, v[182:183]
	s_and_b32 s5, s5, s6
	v_cmp_eq_f64_e64 s6, 0, v[158:159]
	s_and_b32 s5, s5, s7
	s_delay_alu instid0(SALU_CYCLE_1) | instskip(SKIP_1) | instid1(VALU_DEP_2)
	v_cndmask_b32_e64 v144, v144, 28, s5
	v_cmp_eq_f64_e64 s5, 0, v[156:157]
	v_cmp_eq_u32_e64 s7, 0, v144
	s_delay_alu instid0(VALU_DEP_1) | instskip(NEXT) | instid1(SALU_CYCLE_1)
	s_and_b32 s0, s0, s7
	v_cndmask_b32_e64 v144, v144, 29, s0
	v_cmp_eq_f64_e64 s0, 0, v[162:163]
	s_delay_alu instid0(VALU_DEP_2) | instskip(NEXT) | instid1(VALU_DEP_1)
	v_cmp_eq_u32_e64 s7, 0, v144
	s_and_b32 s1, s1, s7
	s_delay_alu instid0(SALU_CYCLE_1) | instskip(SKIP_1) | instid1(VALU_DEP_2)
	v_cndmask_b32_e64 v144, v144, 30, s1
	v_cmp_eq_f64_e64 s1, 0, v[164:165]
	v_cmp_eq_u32_e64 s7, 0, v144
	s_delay_alu instid0(VALU_DEP_1) | instskip(NEXT) | instid1(SALU_CYCLE_1)
	s_and_b32 s3, s3, s7
	v_cndmask_b32_e64 v144, v144, 31, s3
	v_cmp_eq_f64_e64 s3, 0, v[168:169]
	s_and_b32 s5, s5, s6
	v_cmp_eq_f64_e64 s6, 0, v[174:175]
	s_delay_alu instid0(VALU_DEP_3) | instskip(NEXT) | instid1(VALU_DEP_1)
	v_cmp_eq_u32_e64 s7, 0, v144
	s_and_b32 s5, s5, s7
	s_delay_alu instid0(SALU_CYCLE_1) | instskip(SKIP_2) | instid1(VALU_DEP_2)
	v_cndmask_b32_e64 v144, v144, 32, s5
	v_cmp_eq_f64_e64 s5, 0, v[172:173]
	s_and_b32 s0, vcc_lo, s0
	v_cmp_eq_u32_e64 s7, 0, v144
	s_delay_alu instid0(VALU_DEP_1) | instskip(NEXT) | instid1(SALU_CYCLE_1)
	s_and_b32 s0, s0, s7
	v_cndmask_b32_e64 v144, v144, 33, s0
	s_and_b32 s0, s1, s2
	s_delay_alu instid0(VALU_DEP_1) | instskip(SKIP_1) | instid1(SALU_CYCLE_1)
	v_cmp_eq_u32_e32 vcc_lo, 0, v144
	s_and_b32 s0, s0, vcc_lo
	v_cndmask_b32_e64 v144, v144, 34, s0
	s_and_b32 s0, s3, s4
	s_delay_alu instid0(VALU_DEP_1) | instskip(SKIP_1) | instid1(SALU_CYCLE_1)
	v_cmp_eq_u32_e32 vcc_lo, 0, v144
	s_and_b32 s0, s0, vcc_lo
	v_cndmask_b32_e64 v144, v144, 35, s0
	s_and_b32 s0, s5, s6
	s_delay_alu instid0(VALU_DEP_1) | instskip(SKIP_3) | instid1(VALU_DEP_1)
	v_cmp_eq_u32_e32 vcc_lo, 0, v144
	s_and_b32 s0, s0, vcc_lo
	v_cmp_eq_u32_e32 vcc_lo, 0, v178
	v_cndmask_b32_e64 v144, v144, 36, s0
	v_cmp_ne_u32_e64 s0, 0, v144
	s_delay_alu instid0(VALU_DEP_1) | instskip(NEXT) | instid1(SALU_CYCLE_1)
	s_and_b32 s0, vcc_lo, s0
	s_and_b32 exec_lo, exec_lo, s0
	s_cbranch_execz .LBB71_328
; %bb.327:
	v_add_nc_u32_e32 v144, s11, v144
	global_store_b32 v[176:177], v144, off
.LBB71_328:
	s_or_b32 exec_lo, exec_lo, s12
	scratch_load_b128 v[144:147], off, off  ; 16-byte Folded Reload
	s_waitcnt vmcnt(0)
	s_clause 0x1f
	global_store_b128 v[252:253], v[144:147], off
	global_store_b128 v[142:143], v[136:139], off
	;; [unrolled: 1-line block ×32, first 2 shown]
	s_clause 0x3
	global_store_b128 v[188:189], v[12:15], off
	global_store_b128 v[190:191], v[8:11], off
	;; [unrolled: 1-line block ×4, first 2 shown]
.LBB71_329:
	s_nop 0
	s_sendmsg sendmsg(MSG_DEALLOC_VGPRS)
	s_endpgm
	.section	.rodata,"a",@progbits
	.p2align	6, 0x0
	.amdhsa_kernel _ZN9rocsolver6v33100L23getf2_npvt_small_kernelILi36E19rocblas_complex_numIdEiiPKPS3_EEvT1_T3_lS7_lPT2_S7_S7_
		.amdhsa_group_segment_fixed_size 0
		.amdhsa_private_segment_fixed_size 468
		.amdhsa_kernarg_size 312
		.amdhsa_user_sgpr_count 14
		.amdhsa_user_sgpr_dispatch_ptr 0
		.amdhsa_user_sgpr_queue_ptr 0
		.amdhsa_user_sgpr_kernarg_segment_ptr 1
		.amdhsa_user_sgpr_dispatch_id 0
		.amdhsa_user_sgpr_private_segment_size 0
		.amdhsa_wavefront_size32 1
		.amdhsa_uses_dynamic_stack 0
		.amdhsa_enable_private_segment 1
		.amdhsa_system_sgpr_workgroup_id_x 1
		.amdhsa_system_sgpr_workgroup_id_y 1
		.amdhsa_system_sgpr_workgroup_id_z 0
		.amdhsa_system_sgpr_workgroup_info 0
		.amdhsa_system_vgpr_workitem_id 1
		.amdhsa_next_free_vgpr 256
		.amdhsa_next_free_sgpr 16
		.amdhsa_reserve_vcc 1
		.amdhsa_float_round_mode_32 0
		.amdhsa_float_round_mode_16_64 0
		.amdhsa_float_denorm_mode_32 3
		.amdhsa_float_denorm_mode_16_64 3
		.amdhsa_dx10_clamp 1
		.amdhsa_ieee_mode 1
		.amdhsa_fp16_overflow 0
		.amdhsa_workgroup_processor_mode 1
		.amdhsa_memory_ordered 1
		.amdhsa_forward_progress 0
		.amdhsa_shared_vgpr_count 0
		.amdhsa_exception_fp_ieee_invalid_op 0
		.amdhsa_exception_fp_denorm_src 0
		.amdhsa_exception_fp_ieee_div_zero 0
		.amdhsa_exception_fp_ieee_overflow 0
		.amdhsa_exception_fp_ieee_underflow 0
		.amdhsa_exception_fp_ieee_inexact 0
		.amdhsa_exception_int_div_zero 0
	.end_amdhsa_kernel
	.section	.text._ZN9rocsolver6v33100L23getf2_npvt_small_kernelILi36E19rocblas_complex_numIdEiiPKPS3_EEvT1_T3_lS7_lPT2_S7_S7_,"axG",@progbits,_ZN9rocsolver6v33100L23getf2_npvt_small_kernelILi36E19rocblas_complex_numIdEiiPKPS3_EEvT1_T3_lS7_lPT2_S7_S7_,comdat
.Lfunc_end71:
	.size	_ZN9rocsolver6v33100L23getf2_npvt_small_kernelILi36E19rocblas_complex_numIdEiiPKPS3_EEvT1_T3_lS7_lPT2_S7_S7_, .Lfunc_end71-_ZN9rocsolver6v33100L23getf2_npvt_small_kernelILi36E19rocblas_complex_numIdEiiPKPS3_EEvT1_T3_lS7_lPT2_S7_S7_
                                        ; -- End function
	.section	.AMDGPU.csdata,"",@progbits
; Kernel info:
; codeLenInByte = 79740
; NumSgprs: 18
; NumVgprs: 256
; ScratchSize: 468
; MemoryBound: 1
; FloatMode: 240
; IeeeMode: 1
; LDSByteSize: 0 bytes/workgroup (compile time only)
; SGPRBlocks: 2
; VGPRBlocks: 31
; NumSGPRsForWavesPerEU: 18
; NumVGPRsForWavesPerEU: 256
; Occupancy: 5
; WaveLimiterHint : 1
; COMPUTE_PGM_RSRC2:SCRATCH_EN: 1
; COMPUTE_PGM_RSRC2:USER_SGPR: 14
; COMPUTE_PGM_RSRC2:TRAP_HANDLER: 0
; COMPUTE_PGM_RSRC2:TGID_X_EN: 1
; COMPUTE_PGM_RSRC2:TGID_Y_EN: 1
; COMPUTE_PGM_RSRC2:TGID_Z_EN: 0
; COMPUTE_PGM_RSRC2:TIDIG_COMP_CNT: 1
	.section	.text._ZN9rocsolver6v33100L18getf2_small_kernelILi37E19rocblas_complex_numIdEiiPKPS3_EEvT1_T3_lS7_lPS7_llPT2_S7_S7_S9_l,"axG",@progbits,_ZN9rocsolver6v33100L18getf2_small_kernelILi37E19rocblas_complex_numIdEiiPKPS3_EEvT1_T3_lS7_lPS7_llPT2_S7_S7_S9_l,comdat
	.globl	_ZN9rocsolver6v33100L18getf2_small_kernelILi37E19rocblas_complex_numIdEiiPKPS3_EEvT1_T3_lS7_lPS7_llPT2_S7_S7_S9_l ; -- Begin function _ZN9rocsolver6v33100L18getf2_small_kernelILi37E19rocblas_complex_numIdEiiPKPS3_EEvT1_T3_lS7_lPS7_llPT2_S7_S7_S9_l
	.p2align	8
	.type	_ZN9rocsolver6v33100L18getf2_small_kernelILi37E19rocblas_complex_numIdEiiPKPS3_EEvT1_T3_lS7_lPS7_llPT2_S7_S7_S9_l,@function
_ZN9rocsolver6v33100L18getf2_small_kernelILi37E19rocblas_complex_numIdEiiPKPS3_EEvT1_T3_lS7_lPS7_llPT2_S7_S7_S9_l: ; @_ZN9rocsolver6v33100L18getf2_small_kernelILi37E19rocblas_complex_numIdEiiPKPS3_EEvT1_T3_lS7_lPS7_llPT2_S7_S7_S9_l
; %bb.0:
	s_clause 0x1
	s_load_b32 s2, s[0:1], 0x6c
	s_load_b64 s[12:13], s[0:1], 0x48
	v_bfe_u32 v148, v0, 10, 10
	s_waitcnt lgkmcnt(0)
	s_lshr_b32 s2, s2, 16
	s_delay_alu instid0(VALU_DEP_1) | instid1(SALU_CYCLE_1)
	v_mad_u64_u32 v[152:153], null, s15, s2, v[148:149]
	s_mov_b32 s2, exec_lo
	s_delay_alu instid0(VALU_DEP_1)
	v_cmpx_gt_i32_e64 s12, v152
	s_cbranch_execz .LBB72_780
; %bb.1:
	s_clause 0x1
	s_load_b128 s[4:7], s[0:1], 0x8
	s_load_b128 s[8:11], s[0:1], 0x50
	v_ashrrev_i32_e32 v153, 31, v152
	v_mov_b32_e32 v154, 0
	v_mov_b32_e32 v155, 0
	s_delay_alu instid0(VALU_DEP_3) | instskip(SKIP_1) | instid1(VALU_DEP_1)
	v_lshlrev_b64 v[1:2], 3, v[152:153]
	s_waitcnt lgkmcnt(0)
	v_add_co_u32 v1, vcc_lo, s4, v1
	s_delay_alu instid0(VALU_DEP_2)
	v_add_co_ci_u32_e32 v2, vcc_lo, s5, v2, vcc_lo
	s_cmp_eq_u64 s[8:9], 0
	s_cselect_b32 s4, -1, 0
	global_load_b64 v[1:2], v[1:2], off
	s_and_b32 vcc_lo, exec_lo, s4
	s_cbranch_vccnz .LBB72_3
; %bb.2:
	v_mul_lo_u32 v5, v153, s10
	v_mul_lo_u32 v6, v152, s11
	v_mad_u64_u32 v[3:4], null, v152, s10, 0
	s_delay_alu instid0(VALU_DEP_1) | instskip(NEXT) | instid1(VALU_DEP_1)
	v_add3_u32 v4, v4, v6, v5
	v_lshlrev_b64 v[3:4], 2, v[3:4]
	s_delay_alu instid0(VALU_DEP_1) | instskip(NEXT) | instid1(VALU_DEP_2)
	v_add_co_u32 v154, vcc_lo, s8, v3
	v_add_co_ci_u32_e32 v155, vcc_lo, s9, v4, vcc_lo
.LBB72_3:
	s_clause 0x1
	s_load_b32 s8, s[0:1], 0x18
	s_load_b32 s5, s[0:1], 0x0
	v_and_b32_e32 v163, 0x3ff, v0
	s_lshl_b64 s[2:3], s[6:7], 4
	s_waitcnt vmcnt(0)
	v_add_co_u32 v159, vcc_lo, v1, s2
	s_delay_alu instid0(VALU_DEP_2) | instskip(SKIP_1) | instid1(VALU_DEP_2)
	v_lshlrev_b32_e32 v149, 4, v163
	v_add_co_ci_u32_e32 v160, vcc_lo, s3, v2, vcc_lo
	v_add_co_u32 v2, vcc_lo, v159, v149
	s_delay_alu instid0(VALU_DEP_2)
	v_add_co_ci_u32_e32 v3, vcc_lo, 0, v160, vcc_lo
	s_waitcnt lgkmcnt(0)
	v_add3_u32 v0, s8, s8, v163
	s_ashr_i32 s9, s8, 31
	s_max_i32 s2, s5, 37
	s_lshl_b64 s[10:11], s[8:9], 4
	s_cmp_lt_i32 s5, 2
	v_add_nc_u32_e32 v4, s8, v0
	v_add_co_u32 v6, vcc_lo, v2, s10
	v_ashrrev_i32_e32 v1, 31, v0
	v_add_co_ci_u32_e32 v7, vcc_lo, s11, v3, vcc_lo
	s_delay_alu instid0(VALU_DEP_4) | instskip(SKIP_1) | instid1(VALU_DEP_4)
	v_ashrrev_i32_e32 v5, 31, v4
	v_add_nc_u32_e32 v8, s8, v4
	v_lshlrev_b64 v[0:1], 4, v[0:1]
	s_clause 0x1
	global_load_b128 v[48:51], v[2:3], off
	global_load_b128 v[52:55], v[6:7], off
	v_lshlrev_b64 v[2:3], 4, v[4:5]
	v_ashrrev_i32_e32 v9, 31, v8
	v_add_nc_u32_e32 v4, s8, v8
	v_add_co_u32 v0, vcc_lo, v159, v0
	v_add_co_ci_u32_e32 v1, vcc_lo, v160, v1, vcc_lo
	s_delay_alu instid0(VALU_DEP_4) | instskip(NEXT) | instid1(VALU_DEP_4)
	v_lshlrev_b64 v[6:7], 4, v[8:9]
	v_add_nc_u32_e32 v8, s8, v4
	v_add_co_u32 v2, vcc_lo, v159, v2
	v_add_co_ci_u32_e32 v3, vcc_lo, v160, v3, vcc_lo
	s_delay_alu instid0(VALU_DEP_3)
	v_add_nc_u32_e32 v10, s8, v8
	v_ashrrev_i32_e32 v9, 31, v8
	s_clause 0x1
	global_load_b128 v[120:123], v[0:1], off
	global_load_b128 v[116:119], v[2:3], off
	v_add_co_u32 v0, vcc_lo, v159, v6
	v_ashrrev_i32_e32 v11, 31, v10
	v_add_nc_u32_e32 v6, s8, v10
	v_lshlrev_b64 v[2:3], 4, v[8:9]
	v_ashrrev_i32_e32 v5, 31, v4
	v_add_co_ci_u32_e32 v1, vcc_lo, v160, v7, vcc_lo
	v_lshlrev_b64 v[8:9], 4, v[10:11]
	v_add_nc_u32_e32 v10, s8, v6
	s_delay_alu instid0(VALU_DEP_4) | instskip(SKIP_1) | instid1(VALU_DEP_3)
	v_lshlrev_b64 v[4:5], 4, v[4:5]
	v_ashrrev_i32_e32 v7, 31, v6
	v_add_nc_u32_e32 v12, s8, v10
	v_ashrrev_i32_e32 v11, 31, v10
	s_delay_alu instid0(VALU_DEP_4) | instskip(SKIP_1) | instid1(VALU_DEP_4)
	v_add_co_u32 v4, vcc_lo, v159, v4
	v_add_co_ci_u32_e32 v5, vcc_lo, v160, v5, vcc_lo
	v_add_nc_u32_e32 v14, s8, v12
	v_add_co_u32 v2, vcc_lo, v159, v2
	v_lshlrev_b64 v[6:7], 4, v[6:7]
	v_ashrrev_i32_e32 v13, 31, v12
	s_delay_alu instid0(VALU_DEP_4) | instskip(SKIP_2) | instid1(VALU_DEP_3)
	v_add_nc_u32_e32 v16, s8, v14
	v_add_co_ci_u32_e32 v3, vcc_lo, v160, v3, vcc_lo
	v_add_co_u32 v8, vcc_lo, v159, v8
	v_add_nc_u32_e32 v18, s8, v16
	v_lshlrev_b64 v[10:11], 4, v[10:11]
	v_ashrrev_i32_e32 v15, 31, v14
	v_add_co_ci_u32_e32 v9, vcc_lo, v160, v9, vcc_lo
	s_delay_alu instid0(VALU_DEP_4) | instskip(SKIP_3) | instid1(VALU_DEP_4)
	v_add_nc_u32_e32 v20, s8, v18
	v_add_co_u32 v6, vcc_lo, v159, v6
	v_lshlrev_b64 v[12:13], 4, v[12:13]
	v_ashrrev_i32_e32 v17, 31, v16
	v_add_nc_u32_e32 v22, s8, v20
	v_add_co_ci_u32_e32 v7, vcc_lo, v160, v7, vcc_lo
	v_add_co_u32 v10, vcc_lo, v159, v10
	s_delay_alu instid0(VALU_DEP_3) | instskip(SKIP_3) | instid1(VALU_DEP_4)
	v_add_nc_u32_e32 v24, s8, v22
	v_lshlrev_b64 v[14:15], 4, v[14:15]
	v_ashrrev_i32_e32 v19, 31, v18
	v_add_co_ci_u32_e32 v11, vcc_lo, v160, v11, vcc_lo
	v_add_nc_u32_e32 v26, s8, v24
	v_add_co_u32 v12, vcc_lo, v159, v12
	v_lshlrev_b64 v[16:17], 4, v[16:17]
	v_ashrrev_i32_e32 v21, 31, v20
	s_delay_alu instid0(VALU_DEP_4) | instskip(SKIP_2) | instid1(VALU_DEP_3)
	v_add_nc_u32_e32 v28, s8, v26
	v_add_co_ci_u32_e32 v13, vcc_lo, v160, v13, vcc_lo
	v_add_co_u32 v14, vcc_lo, v159, v14
	v_add_nc_u32_e32 v30, s8, v28
	v_lshlrev_b64 v[18:19], 4, v[18:19]
	v_ashrrev_i32_e32 v23, 31, v22
	v_add_co_ci_u32_e32 v15, vcc_lo, v160, v15, vcc_lo
	s_delay_alu instid0(VALU_DEP_4) | instskip(SKIP_3) | instid1(VALU_DEP_4)
	v_add_nc_u32_e32 v32, s8, v30
	v_add_co_u32 v16, vcc_lo, v159, v16
	v_lshlrev_b64 v[20:21], 4, v[20:21]
	v_ashrrev_i32_e32 v25, 31, v24
	v_add_nc_u32_e32 v34, s8, v32
	v_add_co_ci_u32_e32 v17, vcc_lo, v160, v17, vcc_lo
	v_add_co_u32 v18, vcc_lo, v159, v18
	v_lshlrev_b64 v[22:23], 4, v[22:23]
	v_ashrrev_i32_e32 v27, 31, v26
	v_add_nc_u32_e32 v36, s8, v34
	v_add_co_ci_u32_e32 v19, vcc_lo, v160, v19, vcc_lo
	v_add_co_u32 v20, vcc_lo, v159, v20
	v_lshlrev_b64 v[24:25], 4, v[24:25]
	v_ashrrev_i32_e32 v29, 31, v28
	v_add_co_ci_u32_e32 v21, vcc_lo, v160, v21, vcc_lo
	v_add_co_u32 v22, vcc_lo, v159, v22
	v_lshlrev_b64 v[26:27], 4, v[26:27]
	v_add_nc_u32_e32 v38, s8, v36
	v_ashrrev_i32_e32 v31, 31, v30
	v_add_co_ci_u32_e32 v23, vcc_lo, v160, v23, vcc_lo
	v_add_co_u32 v24, vcc_lo, v159, v24
	v_lshlrev_b64 v[28:29], 4, v[28:29]
	v_ashrrev_i32_e32 v33, 31, v32
	v_add_co_ci_u32_e32 v25, vcc_lo, v160, v25, vcc_lo
	v_add_nc_u32_e32 v40, s8, v38
	v_add_co_u32 v26, vcc_lo, v159, v26
	v_lshlrev_b64 v[30:31], 4, v[30:31]
	v_ashrrev_i32_e32 v35, 31, v34
	v_add_co_ci_u32_e32 v27, vcc_lo, v160, v27, vcc_lo
	v_add_co_u32 v28, vcc_lo, v159, v28
	v_lshlrev_b64 v[32:33], 4, v[32:33]
	v_ashrrev_i32_e32 v37, 31, v36
	v_add_nc_u32_e32 v42, s8, v40
	v_add_co_ci_u32_e32 v29, vcc_lo, v160, v29, vcc_lo
	v_add_co_u32 v30, vcc_lo, v159, v30
	v_lshlrev_b64 v[34:35], 4, v[34:35]
	v_ashrrev_i32_e32 v39, 31, v38
	v_add_co_ci_u32_e32 v31, vcc_lo, v160, v31, vcc_lo
	v_add_co_u32 v32, vcc_lo, v159, v32
	v_lshlrev_b64 v[36:37], 4, v[36:37]
	v_add_nc_u32_e32 v44, s8, v42
	v_ashrrev_i32_e32 v41, 31, v40
	v_add_co_ci_u32_e32 v33, vcc_lo, v160, v33, vcc_lo
	v_add_co_u32 v34, vcc_lo, v159, v34
	v_lshlrev_b64 v[38:39], 4, v[38:39]
	v_ashrrev_i32_e32 v43, 31, v42
	v_add_co_ci_u32_e32 v35, vcc_lo, v160, v35, vcc_lo
	v_add_nc_u32_e32 v46, s8, v44
	v_add_co_u32 v36, vcc_lo, v159, v36
	v_lshlrev_b64 v[40:41], 4, v[40:41]
	v_ashrrev_i32_e32 v45, 31, v44
	v_add_co_ci_u32_e32 v37, vcc_lo, v160, v37, vcc_lo
	v_add_co_u32 v38, vcc_lo, v159, v38
	v_lshlrev_b64 v[42:43], 4, v[42:43]
	v_add_nc_u32_e32 v56, s8, v46
	v_add_co_ci_u32_e32 v39, vcc_lo, v160, v39, vcc_lo
	v_add_co_u32 v40, vcc_lo, v159, v40
	v_lshlrev_b64 v[44:45], 4, v[44:45]
	v_ashrrev_i32_e32 v47, 31, v46
	v_add_co_ci_u32_e32 v41, vcc_lo, v160, v41, vcc_lo
	v_add_co_u32 v42, vcc_lo, v159, v42
	v_ashrrev_i32_e32 v57, 31, v56
	v_add_nc_u32_e32 v58, s8, v56
	v_add_co_ci_u32_e32 v43, vcc_lo, v160, v43, vcc_lo
	v_lshlrev_b64 v[46:47], 4, v[46:47]
	v_add_co_u32 v150, vcc_lo, v159, v44
	v_add_co_ci_u32_e32 v151, vcc_lo, v160, v45, vcc_lo
	v_lshlrev_b64 v[44:45], 4, v[56:57]
	v_ashrrev_i32_e32 v59, 31, v58
	v_add_nc_u32_e32 v56, s8, v58
	v_add_co_u32 v156, vcc_lo, v159, v46
	v_add_co_ci_u32_e32 v157, vcc_lo, v160, v47, vcc_lo
	s_delay_alu instid0(VALU_DEP_4) | instskip(NEXT) | instid1(VALU_DEP_4)
	v_lshlrev_b64 v[46:47], 4, v[58:59]
	v_ashrrev_i32_e32 v57, 31, v56
	v_add_nc_u32_e32 v58, s8, v56
	v_add_co_u32 v161, vcc_lo, v159, v44
	v_add_co_ci_u32_e32 v162, vcc_lo, v160, v45, vcc_lo
	s_delay_alu instid0(VALU_DEP_4) | instskip(NEXT) | instid1(VALU_DEP_4)
	;; [unrolled: 6-line block ×6, first 2 shown]
	v_lshlrev_b64 v[44:45], 4, v[56:57]
	v_add_nc_u32_e32 v56, s8, v58
	v_ashrrev_i32_e32 v59, 31, v58
	v_add_co_u32 v172, vcc_lo, v159, v46
	v_add_co_ci_u32_e32 v173, vcc_lo, v160, v47, vcc_lo
	s_delay_alu instid0(VALU_DEP_4) | instskip(NEXT) | instid1(VALU_DEP_4)
	v_ashrrev_i32_e32 v57, 31, v56
	v_lshlrev_b64 v[46:47], 4, v[58:59]
	v_add_co_u32 v174, vcc_lo, v159, v44
	v_add_co_ci_u32_e32 v175, vcc_lo, v160, v45, vcc_lo
	s_delay_alu instid0(VALU_DEP_4) | instskip(NEXT) | instid1(VALU_DEP_4)
	v_lshlrev_b64 v[44:45], 4, v[56:57]
	v_add_co_u32 v176, vcc_lo, v159, v46
	v_add_co_ci_u32_e32 v177, vcc_lo, v160, v47, vcc_lo
	s_delay_alu instid0(VALU_DEP_3) | instskip(NEXT) | instid1(VALU_DEP_4)
	v_add_co_u32 v178, vcc_lo, v159, v44
	v_add_co_ci_u32_e32 v179, vcc_lo, v160, v45, vcc_lo
	s_clause 0x1f
	global_load_b128 v[144:147], v[0:1], off
	global_load_b128 v[136:139], v[4:5], off
	;; [unrolled: 1-line block ×33, first 2 shown]
	v_mul_lo_u32 v156, s2, v148
	s_delay_alu instid0(VALU_DEP_1) | instskip(SKIP_2) | instid1(VALU_DEP_3)
	v_lshl_add_u32 v158, v156, 4, 0
	v_lshlrev_b32_e32 v162, 4, v156
	v_mov_b32_e32 v156, 0
	v_add_nc_u32_e32 v148, v158, v149
	s_waitcnt vmcnt(36)
	ds_store_2addr_b64 v148, v[48:49], v[50:51] offset1:1
	s_waitcnt vmcnt(0) lgkmcnt(0)
	s_barrier
	buffer_gl0_inv
	ds_load_2addr_b64 v[148:151], v158 offset1:1
	s_cbranch_scc1 .LBB72_6
; %bb.4:
	v_add3_u32 v157, v162, 0, 16
	v_mov_b32_e32 v156, 0
	s_mov_b32 s6, 1
	s_set_inst_prefetch_distance 0x1
	.p2align	6
.LBB72_5:                               ; =>This Inner Loop Header: Depth=1
	ds_load_2addr_b64 v[164:167], v157 offset1:1
	s_waitcnt lgkmcnt(1)
	v_cmp_gt_f64_e32 vcc_lo, 0, v[148:149]
	v_xor_b32_e32 v161, 0x80000000, v149
	v_cmp_gt_f64_e64 s2, 0, v[150:151]
	v_xor_b32_e32 v168, 0x80000000, v151
	v_add_nc_u32_e32 v157, 16, v157
	s_waitcnt lgkmcnt(0)
	v_cmp_gt_f64_e64 s3, 0, v[164:165]
	v_mov_b32_e32 v172, v164
	v_dual_mov_b32 v174, v166 :: v_dual_cndmask_b32 v169, v149, v161
	v_xor_b32_e32 v161, 0x80000000, v165
	v_cndmask_b32_e64 v171, v151, v168, s2
	v_xor_b32_e32 v168, 0x80000000, v167
	v_cndmask_b32_e64 v170, v150, v150, s2
	s_delay_alu instid0(VALU_DEP_4) | instskip(SKIP_1) | instid1(VALU_DEP_1)
	v_cndmask_b32_e64 v173, v165, v161, s3
	v_cmp_gt_f64_e64 s3, 0, v[166:167]
	v_cndmask_b32_e64 v175, v167, v168, s3
	v_cndmask_b32_e32 v168, v148, v148, vcc_lo
	s_delay_alu instid0(VALU_DEP_2) | instskip(NEXT) | instid1(VALU_DEP_2)
	v_add_f64 v[172:173], v[172:173], v[174:175]
	v_add_f64 v[168:169], v[168:169], v[170:171]
	s_delay_alu instid0(VALU_DEP_1)
	v_cmp_lt_f64_e32 vcc_lo, v[168:169], v[172:173]
	v_cndmask_b32_e32 v151, v151, v167, vcc_lo
	v_dual_cndmask_b32 v149, v149, v165 :: v_dual_cndmask_b32 v148, v148, v164
	v_cndmask_b32_e32 v150, v150, v166, vcc_lo
	v_cndmask_b32_e64 v156, v156, s6, vcc_lo
	s_add_i32 s6, s6, 1
	s_delay_alu instid0(SALU_CYCLE_1)
	s_cmp_eq_u32 s5, s6
	s_cbranch_scc0 .LBB72_5
.LBB72_6:
	s_set_inst_prefetch_distance 0x2
	s_waitcnt lgkmcnt(0)
	v_cmp_neq_f64_e32 vcc_lo, 0, v[148:149]
	v_cmp_neq_f64_e64 s2, 0, v[150:151]
	v_mov_b32_e32 v161, 1
	v_mov_b32_e32 v165, 1
	s_delay_alu instid0(VALU_DEP_3) | instskip(NEXT) | instid1(SALU_CYCLE_1)
	s_or_b32 s2, vcc_lo, s2
	s_and_saveexec_b32 s3, s2
	s_cbranch_execz .LBB72_12
; %bb.7:
	v_cmp_gt_f64_e32 vcc_lo, 0, v[148:149]
	v_cmp_gt_f64_e64 s2, 0, v[150:151]
	v_xor_b32_e32 v157, 0x80000000, v149
	v_xor_b32_e32 v161, 0x80000000, v151
                                        ; implicit-def: $sgpr6
                                        ; implicit-def: $sgpr7
	s_delay_alu instid0(VALU_DEP_2) | instskip(NEXT) | instid1(VALU_DEP_2)
	v_dual_cndmask_b32 v165, v149, v157 :: v_dual_cndmask_b32 v164, v148, v148
	v_cndmask_b32_e64 v167, v151, v161, s2
	v_cndmask_b32_e64 v166, v150, v150, s2
	s_mov_b32 s2, exec_lo
	s_delay_alu instid0(VALU_DEP_1)
	v_cmpx_ngt_f64_e32 v[164:165], v[166:167]
	s_xor_b32 s2, exec_lo, s2
	s_cbranch_execz .LBB72_9
; %bb.8:
	v_div_scale_f64 v[164:165], null, v[150:151], v[150:151], v[148:149]
	v_div_scale_f64 v[170:171], vcc_lo, v[148:149], v[150:151], v[148:149]
	s_mov_b32 s7, 2
	s_mov_b32 s6, 0
	s_delay_alu instid0(VALU_DEP_2) | instskip(SKIP_2) | instid1(VALU_DEP_1)
	v_rcp_f64_e32 v[166:167], v[164:165]
	s_waitcnt_depctr 0xfff
	v_fma_f64 v[168:169], -v[164:165], v[166:167], 1.0
	v_fma_f64 v[166:167], v[166:167], v[168:169], v[166:167]
	s_delay_alu instid0(VALU_DEP_1) | instskip(NEXT) | instid1(VALU_DEP_1)
	v_fma_f64 v[168:169], -v[164:165], v[166:167], 1.0
	v_fma_f64 v[166:167], v[166:167], v[168:169], v[166:167]
	s_delay_alu instid0(VALU_DEP_1) | instskip(NEXT) | instid1(VALU_DEP_1)
	v_mul_f64 v[168:169], v[170:171], v[166:167]
	v_fma_f64 v[164:165], -v[164:165], v[168:169], v[170:171]
	s_delay_alu instid0(VALU_DEP_1) | instskip(NEXT) | instid1(VALU_DEP_1)
	v_div_fmas_f64 v[164:165], v[164:165], v[166:167], v[168:169]
	v_div_fixup_f64 v[164:165], v[164:165], v[150:151], v[148:149]
	s_delay_alu instid0(VALU_DEP_1) | instskip(NEXT) | instid1(VALU_DEP_1)
	v_fma_f64 v[148:149], v[148:149], v[164:165], v[150:151]
	v_div_scale_f64 v[150:151], null, v[148:149], v[148:149], 1.0
	s_delay_alu instid0(VALU_DEP_1) | instskip(SKIP_2) | instid1(VALU_DEP_1)
	v_rcp_f64_e32 v[166:167], v[150:151]
	s_waitcnt_depctr 0xfff
	v_fma_f64 v[168:169], -v[150:151], v[166:167], 1.0
	v_fma_f64 v[166:167], v[166:167], v[168:169], v[166:167]
	s_delay_alu instid0(VALU_DEP_1) | instskip(NEXT) | instid1(VALU_DEP_1)
	v_fma_f64 v[168:169], -v[150:151], v[166:167], 1.0
	v_fma_f64 v[166:167], v[166:167], v[168:169], v[166:167]
	v_div_scale_f64 v[168:169], vcc_lo, 1.0, v[148:149], 1.0
	s_delay_alu instid0(VALU_DEP_1) | instskip(NEXT) | instid1(VALU_DEP_1)
	v_mul_f64 v[170:171], v[168:169], v[166:167]
	v_fma_f64 v[150:151], -v[150:151], v[170:171], v[168:169]
	s_delay_alu instid0(VALU_DEP_1) | instskip(NEXT) | instid1(VALU_DEP_1)
	v_div_fmas_f64 v[150:151], v[150:151], v[166:167], v[170:171]
	v_div_fixup_f64 v[150:151], v[150:151], v[148:149], 1.0
	s_delay_alu instid0(VALU_DEP_1)
	v_mul_f64 v[148:149], v[164:165], v[150:151]
	v_xor_b32_e32 v151, 0x80000000, v151
.LBB72_9:
	s_or_saveexec_b32 s2, s2
	v_mov_b32_e32 v165, s6
	v_mov_b32_e32 v161, s7
	s_xor_b32 exec_lo, exec_lo, s2
	s_cbranch_execz .LBB72_11
; %bb.10:
	s_delay_alu instid0(VALU_DEP_4) | instskip(SKIP_2) | instid1(VALU_DEP_3)
	v_div_scale_f64 v[164:165], null, v[148:149], v[148:149], v[150:151]
	v_div_scale_f64 v[170:171], vcc_lo, v[150:151], v[148:149], v[150:151]
	v_mov_b32_e32 v161, 2
	v_rcp_f64_e32 v[166:167], v[164:165]
	s_waitcnt_depctr 0xfff
	v_fma_f64 v[168:169], -v[164:165], v[166:167], 1.0
	s_delay_alu instid0(VALU_DEP_1) | instskip(NEXT) | instid1(VALU_DEP_1)
	v_fma_f64 v[166:167], v[166:167], v[168:169], v[166:167]
	v_fma_f64 v[168:169], -v[164:165], v[166:167], 1.0
	s_delay_alu instid0(VALU_DEP_1) | instskip(NEXT) | instid1(VALU_DEP_1)
	v_fma_f64 v[166:167], v[166:167], v[168:169], v[166:167]
	v_mul_f64 v[168:169], v[170:171], v[166:167]
	s_delay_alu instid0(VALU_DEP_1) | instskip(NEXT) | instid1(VALU_DEP_1)
	v_fma_f64 v[164:165], -v[164:165], v[168:169], v[170:171]
	v_div_fmas_f64 v[164:165], v[164:165], v[166:167], v[168:169]
	s_delay_alu instid0(VALU_DEP_1) | instskip(NEXT) | instid1(VALU_DEP_1)
	v_div_fixup_f64 v[164:165], v[164:165], v[148:149], v[150:151]
	v_fma_f64 v[148:149], v[150:151], v[164:165], v[148:149]
	s_delay_alu instid0(VALU_DEP_1) | instskip(NEXT) | instid1(VALU_DEP_1)
	v_div_scale_f64 v[150:151], null, v[148:149], v[148:149], 1.0
	v_rcp_f64_e32 v[166:167], v[150:151]
	s_waitcnt_depctr 0xfff
	v_fma_f64 v[168:169], -v[150:151], v[166:167], 1.0
	s_delay_alu instid0(VALU_DEP_1) | instskip(NEXT) | instid1(VALU_DEP_1)
	v_fma_f64 v[166:167], v[166:167], v[168:169], v[166:167]
	v_fma_f64 v[168:169], -v[150:151], v[166:167], 1.0
	s_delay_alu instid0(VALU_DEP_1) | instskip(SKIP_1) | instid1(VALU_DEP_1)
	v_fma_f64 v[166:167], v[166:167], v[168:169], v[166:167]
	v_div_scale_f64 v[168:169], vcc_lo, 1.0, v[148:149], 1.0
	v_mul_f64 v[170:171], v[168:169], v[166:167]
	s_delay_alu instid0(VALU_DEP_1) | instskip(NEXT) | instid1(VALU_DEP_1)
	v_fma_f64 v[150:151], -v[150:151], v[170:171], v[168:169]
	v_div_fmas_f64 v[150:151], v[150:151], v[166:167], v[170:171]
	s_delay_alu instid0(VALU_DEP_1) | instskip(NEXT) | instid1(VALU_DEP_1)
	v_div_fixup_f64 v[148:149], v[150:151], v[148:149], 1.0
	v_mul_f64 v[150:151], v[164:165], -v[148:149]
	v_mov_b32_e32 v165, 0
.LBB72_11:
	s_or_b32 exec_lo, exec_lo, s2
.LBB72_12:
	s_delay_alu instid0(SALU_CYCLE_1) | instskip(NEXT) | instid1(SALU_CYCLE_1)
	s_or_b32 exec_lo, exec_lo, s3
	s_mov_b32 s2, exec_lo
	v_cmpx_ne_u32_e64 v163, v156
	s_xor_b32 s2, exec_lo, s2
	s_cbranch_execz .LBB72_18
; %bb.13:
	s_mov_b32 s3, exec_lo
	v_cmpx_eq_u32_e32 0, v163
	s_cbranch_execz .LBB72_17
; %bb.14:
	v_cmp_ne_u32_e32 vcc_lo, 0, v156
	s_xor_b32 s6, s4, -1
	s_delay_alu instid0(SALU_CYCLE_1) | instskip(NEXT) | instid1(SALU_CYCLE_1)
	s_and_b32 s7, s6, vcc_lo
	s_and_saveexec_b32 s6, s7
	s_cbranch_execz .LBB72_16
; %bb.15:
	v_ashrrev_i32_e32 v157, 31, v156
	s_delay_alu instid0(VALU_DEP_1) | instskip(NEXT) | instid1(VALU_DEP_1)
	v_lshlrev_b64 v[163:164], 2, v[156:157]
	v_add_co_u32 v163, vcc_lo, v154, v163
	s_delay_alu instid0(VALU_DEP_2)
	v_add_co_ci_u32_e32 v164, vcc_lo, v155, v164, vcc_lo
	s_clause 0x1
	flat_load_b32 v157, v[163:164]
	flat_load_b32 v166, v[154:155]
	s_waitcnt vmcnt(1) lgkmcnt(1)
	flat_store_b32 v[154:155], v157
	s_waitcnt vmcnt(0) lgkmcnt(1)
	flat_store_b32 v[163:164], v166
.LBB72_16:
	s_or_b32 exec_lo, exec_lo, s6
	v_mov_b32_e32 v163, v156
.LBB72_17:
	s_or_b32 exec_lo, exec_lo, s3
.LBB72_18:
	s_or_saveexec_b32 s2, s2
	s_delay_alu instid0(VALU_DEP_1)
	v_mov_b32_e32 v164, v163
	s_xor_b32 exec_lo, exec_lo, s2
	s_cbranch_execz .LBB72_20
; %bb.19:
	v_mov_b32_e32 v164, 0
	ds_store_2addr_b64 v158, v[52:53], v[54:55] offset0:2 offset1:3
	ds_store_2addr_b64 v158, v[120:121], v[122:123] offset0:4 offset1:5
	;; [unrolled: 1-line block ×36, first 2 shown]
.LBB72_20:
	s_or_b32 exec_lo, exec_lo, s2
	s_delay_alu instid0(SALU_CYCLE_1)
	s_mov_b32 s2, exec_lo
	s_waitcnt lgkmcnt(0)
	s_waitcnt_vscnt null, 0x0
	s_barrier
	buffer_gl0_inv
	v_cmpx_lt_i32_e32 0, v164
	s_cbranch_execz .LBB72_22
; %bb.21:
	v_mul_f64 v[156:157], v[150:151], v[50:51]
	v_mul_f64 v[50:51], v[148:149], v[50:51]
	s_delay_alu instid0(VALU_DEP_2) | instskip(NEXT) | instid1(VALU_DEP_2)
	v_fma_f64 v[156:157], v[148:149], v[48:49], -v[156:157]
	v_fma_f64 v[50:51], v[150:151], v[48:49], v[50:51]
	ds_load_2addr_b64 v[148:151], v158 offset0:2 offset1:3
	s_waitcnt lgkmcnt(0)
	v_mul_f64 v[48:49], v[150:151], v[50:51]
	s_delay_alu instid0(VALU_DEP_1) | instskip(SKIP_1) | instid1(VALU_DEP_2)
	v_fma_f64 v[48:49], v[148:149], v[156:157], -v[48:49]
	v_mul_f64 v[148:149], v[148:149], v[50:51]
	v_add_f64 v[52:53], v[52:53], -v[48:49]
	s_delay_alu instid0(VALU_DEP_2) | instskip(NEXT) | instid1(VALU_DEP_1)
	v_fma_f64 v[148:149], v[150:151], v[156:157], v[148:149]
	v_add_f64 v[54:55], v[54:55], -v[148:149]
	ds_load_2addr_b64 v[148:151], v158 offset0:4 offset1:5
	s_waitcnt lgkmcnt(0)
	v_mul_f64 v[48:49], v[150:151], v[50:51]
	s_delay_alu instid0(VALU_DEP_1) | instskip(SKIP_1) | instid1(VALU_DEP_2)
	v_fma_f64 v[48:49], v[148:149], v[156:157], -v[48:49]
	v_mul_f64 v[148:149], v[148:149], v[50:51]
	v_add_f64 v[120:121], v[120:121], -v[48:49]
	s_delay_alu instid0(VALU_DEP_2) | instskip(NEXT) | instid1(VALU_DEP_1)
	v_fma_f64 v[148:149], v[150:151], v[156:157], v[148:149]
	v_add_f64 v[122:123], v[122:123], -v[148:149]
	;; [unrolled: 10-line block ×35, first 2 shown]
	ds_load_2addr_b64 v[148:151], v158 offset0:72 offset1:73
	s_waitcnt lgkmcnt(0)
	v_mul_f64 v[48:49], v[150:151], v[50:51]
	s_delay_alu instid0(VALU_DEP_1) | instskip(SKIP_1) | instid1(VALU_DEP_2)
	v_fma_f64 v[48:49], v[148:149], v[156:157], -v[48:49]
	v_mul_f64 v[148:149], v[148:149], v[50:51]
	v_add_f64 v[0:1], v[0:1], -v[48:49]
	s_delay_alu instid0(VALU_DEP_2) | instskip(SKIP_1) | instid1(VALU_DEP_2)
	v_fma_f64 v[148:149], v[150:151], v[156:157], v[148:149]
	v_dual_mov_b32 v48, v156 :: v_dual_mov_b32 v49, v157
	v_add_f64 v[2:3], v[2:3], -v[148:149]
.LBB72_22:
	s_or_b32 exec_lo, exec_lo, s2
	v_lshl_add_u32 v148, v164, 4, v158
	s_barrier
	buffer_gl0_inv
	v_mov_b32_e32 v156, 1
	ds_store_2addr_b64 v148, v[52:53], v[54:55] offset1:1
	s_waitcnt lgkmcnt(0)
	s_barrier
	buffer_gl0_inv
	ds_load_2addr_b64 v[148:151], v158 offset0:2 offset1:3
	s_cmp_lt_i32 s5, 3
	s_cbranch_scc1 .LBB72_25
; %bb.23:
	v_add3_u32 v157, v162, 0, 32
	v_mov_b32_e32 v156, 1
	s_mov_b32 s6, 2
	s_set_inst_prefetch_distance 0x1
	.p2align	6
.LBB72_24:                              ; =>This Inner Loop Header: Depth=1
	ds_load_2addr_b64 v[166:169], v157 offset1:1
	s_waitcnt lgkmcnt(1)
	v_cmp_gt_f64_e32 vcc_lo, 0, v[148:149]
	v_xor_b32_e32 v170, 0x80000000, v149
	v_cmp_gt_f64_e64 s2, 0, v[150:151]
	v_xor_b32_e32 v172, 0x80000000, v151
	v_add_nc_u32_e32 v157, 16, v157
	s_waitcnt lgkmcnt(0)
	v_cmp_gt_f64_e64 s3, 0, v[166:167]
	v_mov_b32_e32 v174, v166
	v_dual_mov_b32 v176, v168 :: v_dual_cndmask_b32 v171, v149, v170
	v_xor_b32_e32 v170, 0x80000000, v167
	v_cndmask_b32_e64 v173, v151, v172, s2
	v_xor_b32_e32 v172, 0x80000000, v169
	s_delay_alu instid0(VALU_DEP_3) | instskip(SKIP_2) | instid1(VALU_DEP_2)
	v_cndmask_b32_e64 v175, v167, v170, s3
	v_cmp_gt_f64_e64 s3, 0, v[168:169]
	v_cndmask_b32_e32 v170, v148, v148, vcc_lo
	v_cndmask_b32_e64 v177, v169, v172, s3
	v_cndmask_b32_e64 v172, v150, v150, s2
	s_delay_alu instid0(VALU_DEP_2) | instskip(NEXT) | instid1(VALU_DEP_2)
	v_add_f64 v[174:175], v[174:175], v[176:177]
	v_add_f64 v[170:171], v[170:171], v[172:173]
	s_delay_alu instid0(VALU_DEP_1)
	v_cmp_lt_f64_e32 vcc_lo, v[170:171], v[174:175]
	v_cndmask_b32_e32 v151, v151, v169, vcc_lo
	v_dual_cndmask_b32 v149, v149, v167 :: v_dual_cndmask_b32 v148, v148, v166
	v_cndmask_b32_e32 v150, v150, v168, vcc_lo
	v_cndmask_b32_e64 v156, v156, s6, vcc_lo
	s_add_i32 s6, s6, 1
	s_delay_alu instid0(SALU_CYCLE_1)
	s_cmp_lg_u32 s5, s6
	s_cbranch_scc1 .LBB72_24
.LBB72_25:
	s_set_inst_prefetch_distance 0x2
	s_waitcnt lgkmcnt(0)
	v_cmp_neq_f64_e32 vcc_lo, 0, v[148:149]
	v_cmp_neq_f64_e64 s2, 0, v[150:151]
	s_delay_alu instid0(VALU_DEP_1) | instskip(NEXT) | instid1(SALU_CYCLE_1)
	s_or_b32 s2, vcc_lo, s2
	s_and_saveexec_b32 s3, s2
	s_cbranch_execz .LBB72_31
; %bb.26:
	v_cmp_gt_f64_e32 vcc_lo, 0, v[148:149]
	v_cmp_gt_f64_e64 s2, 0, v[150:151]
	v_xor_b32_e32 v157, 0x80000000, v149
	v_xor_b32_e32 v161, 0x80000000, v151
	s_delay_alu instid0(VALU_DEP_2) | instskip(NEXT) | instid1(VALU_DEP_2)
	v_dual_cndmask_b32 v167, v149, v157 :: v_dual_cndmask_b32 v166, v148, v148
	v_cndmask_b32_e64 v169, v151, v161, s2
	v_cndmask_b32_e64 v168, v150, v150, s2
	s_mov_b32 s2, exec_lo
	s_delay_alu instid0(VALU_DEP_1)
	v_cmpx_ngt_f64_e32 v[166:167], v[168:169]
	s_xor_b32 s2, exec_lo, s2
	s_cbranch_execz .LBB72_28
; %bb.27:
	v_div_scale_f64 v[166:167], null, v[150:151], v[150:151], v[148:149]
	v_div_scale_f64 v[172:173], vcc_lo, v[148:149], v[150:151], v[148:149]
	s_delay_alu instid0(VALU_DEP_2) | instskip(SKIP_2) | instid1(VALU_DEP_1)
	v_rcp_f64_e32 v[168:169], v[166:167]
	s_waitcnt_depctr 0xfff
	v_fma_f64 v[170:171], -v[166:167], v[168:169], 1.0
	v_fma_f64 v[168:169], v[168:169], v[170:171], v[168:169]
	s_delay_alu instid0(VALU_DEP_1) | instskip(NEXT) | instid1(VALU_DEP_1)
	v_fma_f64 v[170:171], -v[166:167], v[168:169], 1.0
	v_fma_f64 v[168:169], v[168:169], v[170:171], v[168:169]
	s_delay_alu instid0(VALU_DEP_1) | instskip(NEXT) | instid1(VALU_DEP_1)
	v_mul_f64 v[170:171], v[172:173], v[168:169]
	v_fma_f64 v[166:167], -v[166:167], v[170:171], v[172:173]
	s_delay_alu instid0(VALU_DEP_1) | instskip(NEXT) | instid1(VALU_DEP_1)
	v_div_fmas_f64 v[166:167], v[166:167], v[168:169], v[170:171]
	v_div_fixup_f64 v[166:167], v[166:167], v[150:151], v[148:149]
	s_delay_alu instid0(VALU_DEP_1) | instskip(NEXT) | instid1(VALU_DEP_1)
	v_fma_f64 v[148:149], v[148:149], v[166:167], v[150:151]
	v_div_scale_f64 v[150:151], null, v[148:149], v[148:149], 1.0
	s_delay_alu instid0(VALU_DEP_1) | instskip(SKIP_2) | instid1(VALU_DEP_1)
	v_rcp_f64_e32 v[168:169], v[150:151]
	s_waitcnt_depctr 0xfff
	v_fma_f64 v[170:171], -v[150:151], v[168:169], 1.0
	v_fma_f64 v[168:169], v[168:169], v[170:171], v[168:169]
	s_delay_alu instid0(VALU_DEP_1) | instskip(NEXT) | instid1(VALU_DEP_1)
	v_fma_f64 v[170:171], -v[150:151], v[168:169], 1.0
	v_fma_f64 v[168:169], v[168:169], v[170:171], v[168:169]
	v_div_scale_f64 v[170:171], vcc_lo, 1.0, v[148:149], 1.0
	s_delay_alu instid0(VALU_DEP_1) | instskip(NEXT) | instid1(VALU_DEP_1)
	v_mul_f64 v[172:173], v[170:171], v[168:169]
	v_fma_f64 v[150:151], -v[150:151], v[172:173], v[170:171]
	s_delay_alu instid0(VALU_DEP_1) | instskip(NEXT) | instid1(VALU_DEP_1)
	v_div_fmas_f64 v[150:151], v[150:151], v[168:169], v[172:173]
	v_div_fixup_f64 v[150:151], v[150:151], v[148:149], 1.0
	s_delay_alu instid0(VALU_DEP_1)
	v_mul_f64 v[148:149], v[166:167], v[150:151]
	v_xor_b32_e32 v151, 0x80000000, v151
.LBB72_28:
	s_and_not1_saveexec_b32 s2, s2
	s_cbranch_execz .LBB72_30
; %bb.29:
	s_delay_alu instid0(VALU_DEP_1) | instskip(SKIP_1) | instid1(VALU_DEP_2)
	v_div_scale_f64 v[166:167], null, v[148:149], v[148:149], v[150:151]
	v_div_scale_f64 v[172:173], vcc_lo, v[150:151], v[148:149], v[150:151]
	v_rcp_f64_e32 v[168:169], v[166:167]
	s_waitcnt_depctr 0xfff
	v_fma_f64 v[170:171], -v[166:167], v[168:169], 1.0
	s_delay_alu instid0(VALU_DEP_1) | instskip(NEXT) | instid1(VALU_DEP_1)
	v_fma_f64 v[168:169], v[168:169], v[170:171], v[168:169]
	v_fma_f64 v[170:171], -v[166:167], v[168:169], 1.0
	s_delay_alu instid0(VALU_DEP_1) | instskip(NEXT) | instid1(VALU_DEP_1)
	v_fma_f64 v[168:169], v[168:169], v[170:171], v[168:169]
	v_mul_f64 v[170:171], v[172:173], v[168:169]
	s_delay_alu instid0(VALU_DEP_1) | instskip(NEXT) | instid1(VALU_DEP_1)
	v_fma_f64 v[166:167], -v[166:167], v[170:171], v[172:173]
	v_div_fmas_f64 v[166:167], v[166:167], v[168:169], v[170:171]
	s_delay_alu instid0(VALU_DEP_1) | instskip(NEXT) | instid1(VALU_DEP_1)
	v_div_fixup_f64 v[166:167], v[166:167], v[148:149], v[150:151]
	v_fma_f64 v[148:149], v[150:151], v[166:167], v[148:149]
	s_delay_alu instid0(VALU_DEP_1) | instskip(NEXT) | instid1(VALU_DEP_1)
	v_div_scale_f64 v[150:151], null, v[148:149], v[148:149], 1.0
	v_rcp_f64_e32 v[168:169], v[150:151]
	s_waitcnt_depctr 0xfff
	v_fma_f64 v[170:171], -v[150:151], v[168:169], 1.0
	s_delay_alu instid0(VALU_DEP_1) | instskip(NEXT) | instid1(VALU_DEP_1)
	v_fma_f64 v[168:169], v[168:169], v[170:171], v[168:169]
	v_fma_f64 v[170:171], -v[150:151], v[168:169], 1.0
	s_delay_alu instid0(VALU_DEP_1) | instskip(SKIP_1) | instid1(VALU_DEP_1)
	v_fma_f64 v[168:169], v[168:169], v[170:171], v[168:169]
	v_div_scale_f64 v[170:171], vcc_lo, 1.0, v[148:149], 1.0
	v_mul_f64 v[172:173], v[170:171], v[168:169]
	s_delay_alu instid0(VALU_DEP_1) | instskip(NEXT) | instid1(VALU_DEP_1)
	v_fma_f64 v[150:151], -v[150:151], v[172:173], v[170:171]
	v_div_fmas_f64 v[150:151], v[150:151], v[168:169], v[172:173]
	s_delay_alu instid0(VALU_DEP_1) | instskip(NEXT) | instid1(VALU_DEP_1)
	v_div_fixup_f64 v[148:149], v[150:151], v[148:149], 1.0
	v_mul_f64 v[150:151], v[166:167], -v[148:149]
.LBB72_30:
	s_or_b32 exec_lo, exec_lo, s2
	v_mov_b32_e32 v161, v165
.LBB72_31:
	s_or_b32 exec_lo, exec_lo, s3
	s_delay_alu instid0(SALU_CYCLE_1)
	s_mov_b32 s2, exec_lo
	v_cmpx_ne_u32_e64 v164, v156
	s_xor_b32 s2, exec_lo, s2
	s_cbranch_execz .LBB72_37
; %bb.32:
	s_mov_b32 s3, exec_lo
	v_cmpx_eq_u32_e32 1, v164
	s_cbranch_execz .LBB72_36
; %bb.33:
	v_cmp_ne_u32_e32 vcc_lo, 1, v156
	s_xor_b32 s6, s4, -1
	s_delay_alu instid0(SALU_CYCLE_1) | instskip(NEXT) | instid1(SALU_CYCLE_1)
	s_and_b32 s7, s6, vcc_lo
	s_and_saveexec_b32 s6, s7
	s_cbranch_execz .LBB72_35
; %bb.34:
	v_ashrrev_i32_e32 v157, 31, v156
	s_delay_alu instid0(VALU_DEP_1) | instskip(NEXT) | instid1(VALU_DEP_1)
	v_lshlrev_b64 v[163:164], 2, v[156:157]
	v_add_co_u32 v163, vcc_lo, v154, v163
	s_delay_alu instid0(VALU_DEP_2)
	v_add_co_ci_u32_e32 v164, vcc_lo, v155, v164, vcc_lo
	s_clause 0x1
	flat_load_b32 v157, v[163:164]
	flat_load_b32 v165, v[154:155] offset:4
	s_waitcnt vmcnt(1) lgkmcnt(1)
	flat_store_b32 v[154:155], v157 offset:4
	s_waitcnt vmcnt(0) lgkmcnt(1)
	flat_store_b32 v[163:164], v165
.LBB72_35:
	s_or_b32 exec_lo, exec_lo, s6
	v_mov_b32_e32 v164, v156
	v_mov_b32_e32 v163, v156
.LBB72_36:
	s_or_b32 exec_lo, exec_lo, s3
.LBB72_37:
	s_and_not1_saveexec_b32 s2, s2
	s_cbranch_execz .LBB72_39
; %bb.38:
	v_mov_b32_e32 v164, 1
	ds_store_2addr_b64 v158, v[120:121], v[122:123] offset0:4 offset1:5
	ds_store_2addr_b64 v158, v[116:117], v[118:119] offset0:6 offset1:7
	;; [unrolled: 1-line block ×35, first 2 shown]
.LBB72_39:
	s_or_b32 exec_lo, exec_lo, s2
	s_delay_alu instid0(SALU_CYCLE_1)
	s_mov_b32 s2, exec_lo
	s_waitcnt lgkmcnt(0)
	s_waitcnt_vscnt null, 0x0
	s_barrier
	buffer_gl0_inv
	v_cmpx_lt_i32_e32 1, v164
	s_cbranch_execz .LBB72_41
; %bb.40:
	v_mul_f64 v[156:157], v[150:151], v[54:55]
	v_mul_f64 v[54:55], v[148:149], v[54:55]
	s_delay_alu instid0(VALU_DEP_2) | instskip(NEXT) | instid1(VALU_DEP_2)
	v_fma_f64 v[156:157], v[148:149], v[52:53], -v[156:157]
	v_fma_f64 v[54:55], v[150:151], v[52:53], v[54:55]
	ds_load_2addr_b64 v[148:151], v158 offset0:4 offset1:5
	s_waitcnt lgkmcnt(0)
	v_mul_f64 v[52:53], v[150:151], v[54:55]
	s_delay_alu instid0(VALU_DEP_1) | instskip(SKIP_1) | instid1(VALU_DEP_2)
	v_fma_f64 v[52:53], v[148:149], v[156:157], -v[52:53]
	v_mul_f64 v[148:149], v[148:149], v[54:55]
	v_add_f64 v[120:121], v[120:121], -v[52:53]
	s_delay_alu instid0(VALU_DEP_2) | instskip(NEXT) | instid1(VALU_DEP_1)
	v_fma_f64 v[148:149], v[150:151], v[156:157], v[148:149]
	v_add_f64 v[122:123], v[122:123], -v[148:149]
	ds_load_2addr_b64 v[148:151], v158 offset0:6 offset1:7
	s_waitcnt lgkmcnt(0)
	v_mul_f64 v[52:53], v[150:151], v[54:55]
	s_delay_alu instid0(VALU_DEP_1) | instskip(SKIP_1) | instid1(VALU_DEP_2)
	v_fma_f64 v[52:53], v[148:149], v[156:157], -v[52:53]
	v_mul_f64 v[148:149], v[148:149], v[54:55]
	v_add_f64 v[116:117], v[116:117], -v[52:53]
	s_delay_alu instid0(VALU_DEP_2) | instskip(NEXT) | instid1(VALU_DEP_1)
	v_fma_f64 v[148:149], v[150:151], v[156:157], v[148:149]
	v_add_f64 v[118:119], v[118:119], -v[148:149]
	;; [unrolled: 10-line block ×34, first 2 shown]
	ds_load_2addr_b64 v[148:151], v158 offset0:72 offset1:73
	s_waitcnt lgkmcnt(0)
	v_mul_f64 v[52:53], v[150:151], v[54:55]
	s_delay_alu instid0(VALU_DEP_1) | instskip(SKIP_1) | instid1(VALU_DEP_2)
	v_fma_f64 v[52:53], v[148:149], v[156:157], -v[52:53]
	v_mul_f64 v[148:149], v[148:149], v[54:55]
	v_add_f64 v[0:1], v[0:1], -v[52:53]
	s_delay_alu instid0(VALU_DEP_2) | instskip(SKIP_1) | instid1(VALU_DEP_2)
	v_fma_f64 v[148:149], v[150:151], v[156:157], v[148:149]
	v_dual_mov_b32 v52, v156 :: v_dual_mov_b32 v53, v157
	v_add_f64 v[2:3], v[2:3], -v[148:149]
.LBB72_41:
	s_or_b32 exec_lo, exec_lo, s2
	v_lshl_add_u32 v148, v164, 4, v158
	s_barrier
	buffer_gl0_inv
	v_mov_b32_e32 v156, 2
	ds_store_2addr_b64 v148, v[120:121], v[122:123] offset1:1
	s_waitcnt lgkmcnt(0)
	s_barrier
	buffer_gl0_inv
	ds_load_2addr_b64 v[148:151], v158 offset0:4 offset1:5
	s_cmp_lt_i32 s5, 4
	s_cbranch_scc1 .LBB72_44
; %bb.42:
	v_add3_u32 v157, v162, 0, 48
	v_mov_b32_e32 v156, 2
	s_mov_b32 s6, 3
	s_set_inst_prefetch_distance 0x1
	.p2align	6
.LBB72_43:                              ; =>This Inner Loop Header: Depth=1
	ds_load_2addr_b64 v[165:168], v157 offset1:1
	s_waitcnt lgkmcnt(1)
	v_cmp_gt_f64_e32 vcc_lo, 0, v[148:149]
	v_xor_b32_e32 v169, 0x80000000, v149
	v_cmp_gt_f64_e64 s2, 0, v[150:151]
	v_xor_b32_e32 v171, 0x80000000, v151
	v_add_nc_u32_e32 v157, 16, v157
	s_waitcnt lgkmcnt(0)
	v_cmp_gt_f64_e64 s3, 0, v[165:166]
	v_mov_b32_e32 v173, v165
	v_dual_mov_b32 v175, v167 :: v_dual_cndmask_b32 v170, v149, v169
	v_xor_b32_e32 v169, 0x80000000, v166
	v_cndmask_b32_e64 v172, v151, v171, s2
	v_xor_b32_e32 v171, 0x80000000, v168
	s_delay_alu instid0(VALU_DEP_3) | instskip(SKIP_2) | instid1(VALU_DEP_2)
	v_cndmask_b32_e64 v174, v166, v169, s3
	v_cmp_gt_f64_e64 s3, 0, v[167:168]
	v_cndmask_b32_e32 v169, v148, v148, vcc_lo
	v_cndmask_b32_e64 v176, v168, v171, s3
	v_cndmask_b32_e64 v171, v150, v150, s2
	s_delay_alu instid0(VALU_DEP_2) | instskip(NEXT) | instid1(VALU_DEP_2)
	v_add_f64 v[173:174], v[173:174], v[175:176]
	v_add_f64 v[169:170], v[169:170], v[171:172]
	s_delay_alu instid0(VALU_DEP_1) | instskip(SKIP_4) | instid1(SALU_CYCLE_1)
	v_cmp_lt_f64_e32 vcc_lo, v[169:170], v[173:174]
	v_dual_cndmask_b32 v150, v150, v167 :: v_dual_cndmask_b32 v149, v149, v166
	v_dual_cndmask_b32 v148, v148, v165 :: v_dual_cndmask_b32 v151, v151, v168
	v_cndmask_b32_e64 v156, v156, s6, vcc_lo
	s_add_i32 s6, s6, 1
	s_cmp_lg_u32 s5, s6
	s_cbranch_scc1 .LBB72_43
.LBB72_44:
	s_set_inst_prefetch_distance 0x2
	s_waitcnt lgkmcnt(0)
	v_cmp_eq_f64_e32 vcc_lo, 0, v[148:149]
	v_cmp_eq_f64_e64 s2, 0, v[150:151]
	s_delay_alu instid0(VALU_DEP_1) | instskip(NEXT) | instid1(SALU_CYCLE_1)
	s_and_b32 s2, vcc_lo, s2
	s_and_saveexec_b32 s3, s2
	s_delay_alu instid0(SALU_CYCLE_1)
	s_xor_b32 s2, exec_lo, s3
; %bb.45:
	v_cmp_ne_u32_e32 vcc_lo, 0, v161
	v_cndmask_b32_e32 v161, 3, v161, vcc_lo
; %bb.46:
	s_and_not1_saveexec_b32 s3, s2
	s_cbranch_execz .LBB72_52
; %bb.47:
	v_cmp_gt_f64_e32 vcc_lo, 0, v[148:149]
	v_cmp_gt_f64_e64 s2, 0, v[150:151]
	v_xor_b32_e32 v157, 0x80000000, v149
	v_xor_b32_e32 v165, 0x80000000, v151
	s_delay_alu instid0(VALU_DEP_2) | instskip(NEXT) | instid1(VALU_DEP_2)
	v_cndmask_b32_e32 v166, v149, v157, vcc_lo
	v_cndmask_b32_e64 v168, v151, v165, s2
	v_cndmask_b32_e32 v165, v148, v148, vcc_lo
	v_cndmask_b32_e64 v167, v150, v150, s2
	s_mov_b32 s2, exec_lo
	s_delay_alu instid0(VALU_DEP_1)
	v_cmpx_ngt_f64_e32 v[165:166], v[167:168]
	s_xor_b32 s2, exec_lo, s2
	s_cbranch_execz .LBB72_49
; %bb.48:
	v_div_scale_f64 v[165:166], null, v[150:151], v[150:151], v[148:149]
	v_div_scale_f64 v[171:172], vcc_lo, v[148:149], v[150:151], v[148:149]
	s_delay_alu instid0(VALU_DEP_2) | instskip(SKIP_2) | instid1(VALU_DEP_1)
	v_rcp_f64_e32 v[167:168], v[165:166]
	s_waitcnt_depctr 0xfff
	v_fma_f64 v[169:170], -v[165:166], v[167:168], 1.0
	v_fma_f64 v[167:168], v[167:168], v[169:170], v[167:168]
	s_delay_alu instid0(VALU_DEP_1) | instskip(NEXT) | instid1(VALU_DEP_1)
	v_fma_f64 v[169:170], -v[165:166], v[167:168], 1.0
	v_fma_f64 v[167:168], v[167:168], v[169:170], v[167:168]
	s_delay_alu instid0(VALU_DEP_1) | instskip(NEXT) | instid1(VALU_DEP_1)
	v_mul_f64 v[169:170], v[171:172], v[167:168]
	v_fma_f64 v[165:166], -v[165:166], v[169:170], v[171:172]
	s_delay_alu instid0(VALU_DEP_1) | instskip(NEXT) | instid1(VALU_DEP_1)
	v_div_fmas_f64 v[165:166], v[165:166], v[167:168], v[169:170]
	v_div_fixup_f64 v[165:166], v[165:166], v[150:151], v[148:149]
	s_delay_alu instid0(VALU_DEP_1) | instskip(NEXT) | instid1(VALU_DEP_1)
	v_fma_f64 v[148:149], v[148:149], v[165:166], v[150:151]
	v_div_scale_f64 v[150:151], null, v[148:149], v[148:149], 1.0
	s_delay_alu instid0(VALU_DEP_1) | instskip(SKIP_2) | instid1(VALU_DEP_1)
	v_rcp_f64_e32 v[167:168], v[150:151]
	s_waitcnt_depctr 0xfff
	v_fma_f64 v[169:170], -v[150:151], v[167:168], 1.0
	v_fma_f64 v[167:168], v[167:168], v[169:170], v[167:168]
	s_delay_alu instid0(VALU_DEP_1) | instskip(NEXT) | instid1(VALU_DEP_1)
	v_fma_f64 v[169:170], -v[150:151], v[167:168], 1.0
	v_fma_f64 v[167:168], v[167:168], v[169:170], v[167:168]
	v_div_scale_f64 v[169:170], vcc_lo, 1.0, v[148:149], 1.0
	s_delay_alu instid0(VALU_DEP_1) | instskip(NEXT) | instid1(VALU_DEP_1)
	v_mul_f64 v[171:172], v[169:170], v[167:168]
	v_fma_f64 v[150:151], -v[150:151], v[171:172], v[169:170]
	s_delay_alu instid0(VALU_DEP_1) | instskip(NEXT) | instid1(VALU_DEP_1)
	v_div_fmas_f64 v[150:151], v[150:151], v[167:168], v[171:172]
	v_div_fixup_f64 v[150:151], v[150:151], v[148:149], 1.0
	s_delay_alu instid0(VALU_DEP_1)
	v_mul_f64 v[148:149], v[165:166], v[150:151]
	v_xor_b32_e32 v151, 0x80000000, v151
.LBB72_49:
	s_and_not1_saveexec_b32 s2, s2
	s_cbranch_execz .LBB72_51
; %bb.50:
	s_delay_alu instid0(VALU_DEP_1) | instskip(SKIP_1) | instid1(VALU_DEP_2)
	v_div_scale_f64 v[165:166], null, v[148:149], v[148:149], v[150:151]
	v_div_scale_f64 v[171:172], vcc_lo, v[150:151], v[148:149], v[150:151]
	v_rcp_f64_e32 v[167:168], v[165:166]
	s_waitcnt_depctr 0xfff
	v_fma_f64 v[169:170], -v[165:166], v[167:168], 1.0
	s_delay_alu instid0(VALU_DEP_1) | instskip(NEXT) | instid1(VALU_DEP_1)
	v_fma_f64 v[167:168], v[167:168], v[169:170], v[167:168]
	v_fma_f64 v[169:170], -v[165:166], v[167:168], 1.0
	s_delay_alu instid0(VALU_DEP_1) | instskip(NEXT) | instid1(VALU_DEP_1)
	v_fma_f64 v[167:168], v[167:168], v[169:170], v[167:168]
	v_mul_f64 v[169:170], v[171:172], v[167:168]
	s_delay_alu instid0(VALU_DEP_1) | instskip(NEXT) | instid1(VALU_DEP_1)
	v_fma_f64 v[165:166], -v[165:166], v[169:170], v[171:172]
	v_div_fmas_f64 v[165:166], v[165:166], v[167:168], v[169:170]
	s_delay_alu instid0(VALU_DEP_1) | instskip(NEXT) | instid1(VALU_DEP_1)
	v_div_fixup_f64 v[165:166], v[165:166], v[148:149], v[150:151]
	v_fma_f64 v[148:149], v[150:151], v[165:166], v[148:149]
	s_delay_alu instid0(VALU_DEP_1) | instskip(NEXT) | instid1(VALU_DEP_1)
	v_div_scale_f64 v[150:151], null, v[148:149], v[148:149], 1.0
	v_rcp_f64_e32 v[167:168], v[150:151]
	s_waitcnt_depctr 0xfff
	v_fma_f64 v[169:170], -v[150:151], v[167:168], 1.0
	s_delay_alu instid0(VALU_DEP_1) | instskip(NEXT) | instid1(VALU_DEP_1)
	v_fma_f64 v[167:168], v[167:168], v[169:170], v[167:168]
	v_fma_f64 v[169:170], -v[150:151], v[167:168], 1.0
	s_delay_alu instid0(VALU_DEP_1) | instskip(SKIP_1) | instid1(VALU_DEP_1)
	v_fma_f64 v[167:168], v[167:168], v[169:170], v[167:168]
	v_div_scale_f64 v[169:170], vcc_lo, 1.0, v[148:149], 1.0
	v_mul_f64 v[171:172], v[169:170], v[167:168]
	s_delay_alu instid0(VALU_DEP_1) | instskip(NEXT) | instid1(VALU_DEP_1)
	v_fma_f64 v[150:151], -v[150:151], v[171:172], v[169:170]
	v_div_fmas_f64 v[150:151], v[150:151], v[167:168], v[171:172]
	s_delay_alu instid0(VALU_DEP_1) | instskip(NEXT) | instid1(VALU_DEP_1)
	v_div_fixup_f64 v[148:149], v[150:151], v[148:149], 1.0
	v_mul_f64 v[150:151], v[165:166], -v[148:149]
.LBB72_51:
	s_or_b32 exec_lo, exec_lo, s2
.LBB72_52:
	s_delay_alu instid0(SALU_CYCLE_1) | instskip(NEXT) | instid1(SALU_CYCLE_1)
	s_or_b32 exec_lo, exec_lo, s3
	s_mov_b32 s2, exec_lo
	v_cmpx_ne_u32_e64 v164, v156
	s_xor_b32 s2, exec_lo, s2
	s_cbranch_execz .LBB72_58
; %bb.53:
	s_mov_b32 s3, exec_lo
	v_cmpx_eq_u32_e32 2, v164
	s_cbranch_execz .LBB72_57
; %bb.54:
	v_cmp_ne_u32_e32 vcc_lo, 2, v156
	s_xor_b32 s6, s4, -1
	s_delay_alu instid0(SALU_CYCLE_1) | instskip(NEXT) | instid1(SALU_CYCLE_1)
	s_and_b32 s7, s6, vcc_lo
	s_and_saveexec_b32 s6, s7
	s_cbranch_execz .LBB72_56
; %bb.55:
	v_ashrrev_i32_e32 v157, 31, v156
	s_delay_alu instid0(VALU_DEP_1) | instskip(NEXT) | instid1(VALU_DEP_1)
	v_lshlrev_b64 v[163:164], 2, v[156:157]
	v_add_co_u32 v163, vcc_lo, v154, v163
	s_delay_alu instid0(VALU_DEP_2)
	v_add_co_ci_u32_e32 v164, vcc_lo, v155, v164, vcc_lo
	s_clause 0x1
	flat_load_b32 v157, v[163:164]
	flat_load_b32 v165, v[154:155] offset:8
	s_waitcnt vmcnt(1) lgkmcnt(1)
	flat_store_b32 v[154:155], v157 offset:8
	s_waitcnt vmcnt(0) lgkmcnt(1)
	flat_store_b32 v[163:164], v165
.LBB72_56:
	s_or_b32 exec_lo, exec_lo, s6
	v_mov_b32_e32 v164, v156
	v_mov_b32_e32 v163, v156
.LBB72_57:
	s_or_b32 exec_lo, exec_lo, s3
.LBB72_58:
	s_and_not1_saveexec_b32 s2, s2
	s_cbranch_execz .LBB72_60
; %bb.59:
	v_mov_b32_e32 v164, 2
	ds_store_2addr_b64 v158, v[116:117], v[118:119] offset0:6 offset1:7
	ds_store_2addr_b64 v158, v[144:145], v[146:147] offset0:8 offset1:9
	;; [unrolled: 1-line block ×34, first 2 shown]
.LBB72_60:
	s_or_b32 exec_lo, exec_lo, s2
	s_delay_alu instid0(SALU_CYCLE_1)
	s_mov_b32 s2, exec_lo
	s_waitcnt lgkmcnt(0)
	s_waitcnt_vscnt null, 0x0
	s_barrier
	buffer_gl0_inv
	v_cmpx_lt_i32_e32 2, v164
	s_cbranch_execz .LBB72_62
; %bb.61:
	v_mul_f64 v[156:157], v[150:151], v[122:123]
	v_mul_f64 v[122:123], v[148:149], v[122:123]
	s_delay_alu instid0(VALU_DEP_2) | instskip(NEXT) | instid1(VALU_DEP_2)
	v_fma_f64 v[156:157], v[148:149], v[120:121], -v[156:157]
	v_fma_f64 v[122:123], v[150:151], v[120:121], v[122:123]
	ds_load_2addr_b64 v[148:151], v158 offset0:6 offset1:7
	s_waitcnt lgkmcnt(0)
	v_mul_f64 v[120:121], v[150:151], v[122:123]
	s_delay_alu instid0(VALU_DEP_1) | instskip(SKIP_1) | instid1(VALU_DEP_2)
	v_fma_f64 v[120:121], v[148:149], v[156:157], -v[120:121]
	v_mul_f64 v[148:149], v[148:149], v[122:123]
	v_add_f64 v[116:117], v[116:117], -v[120:121]
	s_delay_alu instid0(VALU_DEP_2) | instskip(NEXT) | instid1(VALU_DEP_1)
	v_fma_f64 v[148:149], v[150:151], v[156:157], v[148:149]
	v_add_f64 v[118:119], v[118:119], -v[148:149]
	ds_load_2addr_b64 v[148:151], v158 offset0:8 offset1:9
	s_waitcnt lgkmcnt(0)
	v_mul_f64 v[120:121], v[150:151], v[122:123]
	s_delay_alu instid0(VALU_DEP_1) | instskip(SKIP_1) | instid1(VALU_DEP_2)
	v_fma_f64 v[120:121], v[148:149], v[156:157], -v[120:121]
	v_mul_f64 v[148:149], v[148:149], v[122:123]
	v_add_f64 v[144:145], v[144:145], -v[120:121]
	s_delay_alu instid0(VALU_DEP_2) | instskip(NEXT) | instid1(VALU_DEP_1)
	v_fma_f64 v[148:149], v[150:151], v[156:157], v[148:149]
	v_add_f64 v[146:147], v[146:147], -v[148:149]
	;; [unrolled: 10-line block ×33, first 2 shown]
	ds_load_2addr_b64 v[148:151], v158 offset0:72 offset1:73
	s_waitcnt lgkmcnt(0)
	v_mul_f64 v[120:121], v[150:151], v[122:123]
	s_delay_alu instid0(VALU_DEP_1) | instskip(SKIP_1) | instid1(VALU_DEP_2)
	v_fma_f64 v[120:121], v[148:149], v[156:157], -v[120:121]
	v_mul_f64 v[148:149], v[148:149], v[122:123]
	v_add_f64 v[0:1], v[0:1], -v[120:121]
	s_delay_alu instid0(VALU_DEP_2) | instskip(SKIP_1) | instid1(VALU_DEP_2)
	v_fma_f64 v[148:149], v[150:151], v[156:157], v[148:149]
	v_dual_mov_b32 v120, v156 :: v_dual_mov_b32 v121, v157
	v_add_f64 v[2:3], v[2:3], -v[148:149]
.LBB72_62:
	s_or_b32 exec_lo, exec_lo, s2
	v_lshl_add_u32 v148, v164, 4, v158
	s_barrier
	buffer_gl0_inv
	v_mov_b32_e32 v156, 3
	ds_store_2addr_b64 v148, v[116:117], v[118:119] offset1:1
	s_waitcnt lgkmcnt(0)
	s_barrier
	buffer_gl0_inv
	ds_load_2addr_b64 v[148:151], v158 offset0:6 offset1:7
	s_cmp_lt_i32 s5, 5
	s_mov_b32 s6, 4
	s_cbranch_scc1 .LBB72_65
; %bb.63:
	v_add3_u32 v157, v162, 0, 64
	v_mov_b32_e32 v156, 3
	s_set_inst_prefetch_distance 0x1
	.p2align	6
.LBB72_64:                              ; =>This Inner Loop Header: Depth=1
	ds_load_2addr_b64 v[165:168], v157 offset1:1
	s_waitcnt lgkmcnt(1)
	v_cmp_gt_f64_e32 vcc_lo, 0, v[148:149]
	v_xor_b32_e32 v169, 0x80000000, v149
	v_cmp_gt_f64_e64 s2, 0, v[150:151]
	v_xor_b32_e32 v171, 0x80000000, v151
	v_add_nc_u32_e32 v157, 16, v157
	s_waitcnt lgkmcnt(0)
	v_cmp_gt_f64_e64 s3, 0, v[165:166]
	v_mov_b32_e32 v173, v165
	v_dual_mov_b32 v175, v167 :: v_dual_cndmask_b32 v170, v149, v169
	v_xor_b32_e32 v169, 0x80000000, v166
	v_cndmask_b32_e64 v172, v151, v171, s2
	v_xor_b32_e32 v171, 0x80000000, v168
	s_delay_alu instid0(VALU_DEP_3) | instskip(SKIP_2) | instid1(VALU_DEP_2)
	v_cndmask_b32_e64 v174, v166, v169, s3
	v_cmp_gt_f64_e64 s3, 0, v[167:168]
	v_cndmask_b32_e32 v169, v148, v148, vcc_lo
	v_cndmask_b32_e64 v176, v168, v171, s3
	v_cndmask_b32_e64 v171, v150, v150, s2
	s_delay_alu instid0(VALU_DEP_2) | instskip(NEXT) | instid1(VALU_DEP_2)
	v_add_f64 v[173:174], v[173:174], v[175:176]
	v_add_f64 v[169:170], v[169:170], v[171:172]
	s_delay_alu instid0(VALU_DEP_1) | instskip(SKIP_4) | instid1(SALU_CYCLE_1)
	v_cmp_lt_f64_e32 vcc_lo, v[169:170], v[173:174]
	v_dual_cndmask_b32 v150, v150, v167 :: v_dual_cndmask_b32 v149, v149, v166
	v_dual_cndmask_b32 v148, v148, v165 :: v_dual_cndmask_b32 v151, v151, v168
	v_cndmask_b32_e64 v156, v156, s6, vcc_lo
	s_add_i32 s6, s6, 1
	s_cmp_lg_u32 s5, s6
	s_cbranch_scc1 .LBB72_64
.LBB72_65:
	s_set_inst_prefetch_distance 0x2
	s_waitcnt lgkmcnt(0)
	v_cmp_eq_f64_e32 vcc_lo, 0, v[148:149]
	v_cmp_eq_f64_e64 s2, 0, v[150:151]
	s_delay_alu instid0(VALU_DEP_1) | instskip(NEXT) | instid1(SALU_CYCLE_1)
	s_and_b32 s2, vcc_lo, s2
	s_and_saveexec_b32 s3, s2
	s_delay_alu instid0(SALU_CYCLE_1)
	s_xor_b32 s2, exec_lo, s3
; %bb.66:
	v_cmp_ne_u32_e32 vcc_lo, 0, v161
	v_cndmask_b32_e32 v161, 4, v161, vcc_lo
; %bb.67:
	s_and_not1_saveexec_b32 s3, s2
	s_cbranch_execz .LBB72_73
; %bb.68:
	v_cmp_gt_f64_e32 vcc_lo, 0, v[148:149]
	v_cmp_gt_f64_e64 s2, 0, v[150:151]
	v_xor_b32_e32 v157, 0x80000000, v149
	v_xor_b32_e32 v165, 0x80000000, v151
	s_delay_alu instid0(VALU_DEP_2) | instskip(NEXT) | instid1(VALU_DEP_2)
	v_cndmask_b32_e32 v166, v149, v157, vcc_lo
	v_cndmask_b32_e64 v168, v151, v165, s2
	v_cndmask_b32_e32 v165, v148, v148, vcc_lo
	v_cndmask_b32_e64 v167, v150, v150, s2
	s_mov_b32 s2, exec_lo
	s_delay_alu instid0(VALU_DEP_1)
	v_cmpx_ngt_f64_e32 v[165:166], v[167:168]
	s_xor_b32 s2, exec_lo, s2
	s_cbranch_execz .LBB72_70
; %bb.69:
	v_div_scale_f64 v[165:166], null, v[150:151], v[150:151], v[148:149]
	v_div_scale_f64 v[171:172], vcc_lo, v[148:149], v[150:151], v[148:149]
	s_delay_alu instid0(VALU_DEP_2) | instskip(SKIP_2) | instid1(VALU_DEP_1)
	v_rcp_f64_e32 v[167:168], v[165:166]
	s_waitcnt_depctr 0xfff
	v_fma_f64 v[169:170], -v[165:166], v[167:168], 1.0
	v_fma_f64 v[167:168], v[167:168], v[169:170], v[167:168]
	s_delay_alu instid0(VALU_DEP_1) | instskip(NEXT) | instid1(VALU_DEP_1)
	v_fma_f64 v[169:170], -v[165:166], v[167:168], 1.0
	v_fma_f64 v[167:168], v[167:168], v[169:170], v[167:168]
	s_delay_alu instid0(VALU_DEP_1) | instskip(NEXT) | instid1(VALU_DEP_1)
	v_mul_f64 v[169:170], v[171:172], v[167:168]
	v_fma_f64 v[165:166], -v[165:166], v[169:170], v[171:172]
	s_delay_alu instid0(VALU_DEP_1) | instskip(NEXT) | instid1(VALU_DEP_1)
	v_div_fmas_f64 v[165:166], v[165:166], v[167:168], v[169:170]
	v_div_fixup_f64 v[165:166], v[165:166], v[150:151], v[148:149]
	s_delay_alu instid0(VALU_DEP_1) | instskip(NEXT) | instid1(VALU_DEP_1)
	v_fma_f64 v[148:149], v[148:149], v[165:166], v[150:151]
	v_div_scale_f64 v[150:151], null, v[148:149], v[148:149], 1.0
	s_delay_alu instid0(VALU_DEP_1) | instskip(SKIP_2) | instid1(VALU_DEP_1)
	v_rcp_f64_e32 v[167:168], v[150:151]
	s_waitcnt_depctr 0xfff
	v_fma_f64 v[169:170], -v[150:151], v[167:168], 1.0
	v_fma_f64 v[167:168], v[167:168], v[169:170], v[167:168]
	s_delay_alu instid0(VALU_DEP_1) | instskip(NEXT) | instid1(VALU_DEP_1)
	v_fma_f64 v[169:170], -v[150:151], v[167:168], 1.0
	v_fma_f64 v[167:168], v[167:168], v[169:170], v[167:168]
	v_div_scale_f64 v[169:170], vcc_lo, 1.0, v[148:149], 1.0
	s_delay_alu instid0(VALU_DEP_1) | instskip(NEXT) | instid1(VALU_DEP_1)
	v_mul_f64 v[171:172], v[169:170], v[167:168]
	v_fma_f64 v[150:151], -v[150:151], v[171:172], v[169:170]
	s_delay_alu instid0(VALU_DEP_1) | instskip(NEXT) | instid1(VALU_DEP_1)
	v_div_fmas_f64 v[150:151], v[150:151], v[167:168], v[171:172]
	v_div_fixup_f64 v[150:151], v[150:151], v[148:149], 1.0
	s_delay_alu instid0(VALU_DEP_1)
	v_mul_f64 v[148:149], v[165:166], v[150:151]
	v_xor_b32_e32 v151, 0x80000000, v151
.LBB72_70:
	s_and_not1_saveexec_b32 s2, s2
	s_cbranch_execz .LBB72_72
; %bb.71:
	s_delay_alu instid0(VALU_DEP_1) | instskip(SKIP_1) | instid1(VALU_DEP_2)
	v_div_scale_f64 v[165:166], null, v[148:149], v[148:149], v[150:151]
	v_div_scale_f64 v[171:172], vcc_lo, v[150:151], v[148:149], v[150:151]
	v_rcp_f64_e32 v[167:168], v[165:166]
	s_waitcnt_depctr 0xfff
	v_fma_f64 v[169:170], -v[165:166], v[167:168], 1.0
	s_delay_alu instid0(VALU_DEP_1) | instskip(NEXT) | instid1(VALU_DEP_1)
	v_fma_f64 v[167:168], v[167:168], v[169:170], v[167:168]
	v_fma_f64 v[169:170], -v[165:166], v[167:168], 1.0
	s_delay_alu instid0(VALU_DEP_1) | instskip(NEXT) | instid1(VALU_DEP_1)
	v_fma_f64 v[167:168], v[167:168], v[169:170], v[167:168]
	v_mul_f64 v[169:170], v[171:172], v[167:168]
	s_delay_alu instid0(VALU_DEP_1) | instskip(NEXT) | instid1(VALU_DEP_1)
	v_fma_f64 v[165:166], -v[165:166], v[169:170], v[171:172]
	v_div_fmas_f64 v[165:166], v[165:166], v[167:168], v[169:170]
	s_delay_alu instid0(VALU_DEP_1) | instskip(NEXT) | instid1(VALU_DEP_1)
	v_div_fixup_f64 v[165:166], v[165:166], v[148:149], v[150:151]
	v_fma_f64 v[148:149], v[150:151], v[165:166], v[148:149]
	s_delay_alu instid0(VALU_DEP_1) | instskip(NEXT) | instid1(VALU_DEP_1)
	v_div_scale_f64 v[150:151], null, v[148:149], v[148:149], 1.0
	v_rcp_f64_e32 v[167:168], v[150:151]
	s_waitcnt_depctr 0xfff
	v_fma_f64 v[169:170], -v[150:151], v[167:168], 1.0
	s_delay_alu instid0(VALU_DEP_1) | instskip(NEXT) | instid1(VALU_DEP_1)
	v_fma_f64 v[167:168], v[167:168], v[169:170], v[167:168]
	v_fma_f64 v[169:170], -v[150:151], v[167:168], 1.0
	s_delay_alu instid0(VALU_DEP_1) | instskip(SKIP_1) | instid1(VALU_DEP_1)
	v_fma_f64 v[167:168], v[167:168], v[169:170], v[167:168]
	v_div_scale_f64 v[169:170], vcc_lo, 1.0, v[148:149], 1.0
	v_mul_f64 v[171:172], v[169:170], v[167:168]
	s_delay_alu instid0(VALU_DEP_1) | instskip(NEXT) | instid1(VALU_DEP_1)
	v_fma_f64 v[150:151], -v[150:151], v[171:172], v[169:170]
	v_div_fmas_f64 v[150:151], v[150:151], v[167:168], v[171:172]
	s_delay_alu instid0(VALU_DEP_1) | instskip(NEXT) | instid1(VALU_DEP_1)
	v_div_fixup_f64 v[148:149], v[150:151], v[148:149], 1.0
	v_mul_f64 v[150:151], v[165:166], -v[148:149]
.LBB72_72:
	s_or_b32 exec_lo, exec_lo, s2
.LBB72_73:
	s_delay_alu instid0(SALU_CYCLE_1) | instskip(NEXT) | instid1(SALU_CYCLE_1)
	s_or_b32 exec_lo, exec_lo, s3
	s_mov_b32 s2, exec_lo
	v_cmpx_ne_u32_e64 v164, v156
	s_xor_b32 s2, exec_lo, s2
	s_cbranch_execz .LBB72_79
; %bb.74:
	s_mov_b32 s3, exec_lo
	v_cmpx_eq_u32_e32 3, v164
	s_cbranch_execz .LBB72_78
; %bb.75:
	v_cmp_ne_u32_e32 vcc_lo, 3, v156
	s_xor_b32 s6, s4, -1
	s_delay_alu instid0(SALU_CYCLE_1) | instskip(NEXT) | instid1(SALU_CYCLE_1)
	s_and_b32 s7, s6, vcc_lo
	s_and_saveexec_b32 s6, s7
	s_cbranch_execz .LBB72_77
; %bb.76:
	v_ashrrev_i32_e32 v157, 31, v156
	s_delay_alu instid0(VALU_DEP_1) | instskip(NEXT) | instid1(VALU_DEP_1)
	v_lshlrev_b64 v[163:164], 2, v[156:157]
	v_add_co_u32 v163, vcc_lo, v154, v163
	s_delay_alu instid0(VALU_DEP_2)
	v_add_co_ci_u32_e32 v164, vcc_lo, v155, v164, vcc_lo
	s_clause 0x1
	flat_load_b32 v157, v[163:164]
	flat_load_b32 v165, v[154:155] offset:12
	s_waitcnt vmcnt(1) lgkmcnt(1)
	flat_store_b32 v[154:155], v157 offset:12
	s_waitcnt vmcnt(0) lgkmcnt(1)
	flat_store_b32 v[163:164], v165
.LBB72_77:
	s_or_b32 exec_lo, exec_lo, s6
	v_mov_b32_e32 v164, v156
	v_mov_b32_e32 v163, v156
.LBB72_78:
	s_or_b32 exec_lo, exec_lo, s3
.LBB72_79:
	s_and_not1_saveexec_b32 s2, s2
	s_cbranch_execz .LBB72_81
; %bb.80:
	v_mov_b32_e32 v164, 3
	ds_store_2addr_b64 v158, v[144:145], v[146:147] offset0:8 offset1:9
	ds_store_2addr_b64 v158, v[136:137], v[138:139] offset0:10 offset1:11
	;; [unrolled: 1-line block ×33, first 2 shown]
.LBB72_81:
	s_or_b32 exec_lo, exec_lo, s2
	s_delay_alu instid0(SALU_CYCLE_1)
	s_mov_b32 s2, exec_lo
	s_waitcnt lgkmcnt(0)
	s_waitcnt_vscnt null, 0x0
	s_barrier
	buffer_gl0_inv
	v_cmpx_lt_i32_e32 3, v164
	s_cbranch_execz .LBB72_83
; %bb.82:
	v_mul_f64 v[156:157], v[150:151], v[118:119]
	v_mul_f64 v[118:119], v[148:149], v[118:119]
	s_delay_alu instid0(VALU_DEP_2) | instskip(NEXT) | instid1(VALU_DEP_2)
	v_fma_f64 v[156:157], v[148:149], v[116:117], -v[156:157]
	v_fma_f64 v[118:119], v[150:151], v[116:117], v[118:119]
	ds_load_2addr_b64 v[148:151], v158 offset0:8 offset1:9
	s_waitcnt lgkmcnt(0)
	v_mul_f64 v[116:117], v[150:151], v[118:119]
	s_delay_alu instid0(VALU_DEP_1) | instskip(SKIP_1) | instid1(VALU_DEP_2)
	v_fma_f64 v[116:117], v[148:149], v[156:157], -v[116:117]
	v_mul_f64 v[148:149], v[148:149], v[118:119]
	v_add_f64 v[144:145], v[144:145], -v[116:117]
	s_delay_alu instid0(VALU_DEP_2) | instskip(NEXT) | instid1(VALU_DEP_1)
	v_fma_f64 v[148:149], v[150:151], v[156:157], v[148:149]
	v_add_f64 v[146:147], v[146:147], -v[148:149]
	ds_load_2addr_b64 v[148:151], v158 offset0:10 offset1:11
	s_waitcnt lgkmcnt(0)
	v_mul_f64 v[116:117], v[150:151], v[118:119]
	s_delay_alu instid0(VALU_DEP_1) | instskip(SKIP_1) | instid1(VALU_DEP_2)
	v_fma_f64 v[116:117], v[148:149], v[156:157], -v[116:117]
	v_mul_f64 v[148:149], v[148:149], v[118:119]
	v_add_f64 v[136:137], v[136:137], -v[116:117]
	s_delay_alu instid0(VALU_DEP_2) | instskip(NEXT) | instid1(VALU_DEP_1)
	v_fma_f64 v[148:149], v[150:151], v[156:157], v[148:149]
	v_add_f64 v[138:139], v[138:139], -v[148:149]
	;; [unrolled: 10-line block ×32, first 2 shown]
	ds_load_2addr_b64 v[148:151], v158 offset0:72 offset1:73
	s_waitcnt lgkmcnt(0)
	v_mul_f64 v[116:117], v[150:151], v[118:119]
	s_delay_alu instid0(VALU_DEP_1) | instskip(SKIP_1) | instid1(VALU_DEP_2)
	v_fma_f64 v[116:117], v[148:149], v[156:157], -v[116:117]
	v_mul_f64 v[148:149], v[148:149], v[118:119]
	v_add_f64 v[0:1], v[0:1], -v[116:117]
	s_delay_alu instid0(VALU_DEP_2) | instskip(SKIP_1) | instid1(VALU_DEP_2)
	v_fma_f64 v[148:149], v[150:151], v[156:157], v[148:149]
	v_dual_mov_b32 v116, v156 :: v_dual_mov_b32 v117, v157
	v_add_f64 v[2:3], v[2:3], -v[148:149]
.LBB72_83:
	s_or_b32 exec_lo, exec_lo, s2
	v_lshl_add_u32 v148, v164, 4, v158
	s_barrier
	buffer_gl0_inv
	v_mov_b32_e32 v156, 4
	ds_store_2addr_b64 v148, v[144:145], v[146:147] offset1:1
	s_waitcnt lgkmcnt(0)
	s_barrier
	buffer_gl0_inv
	ds_load_2addr_b64 v[148:151], v158 offset0:8 offset1:9
	s_cmp_lt_i32 s5, 6
	s_cbranch_scc1 .LBB72_86
; %bb.84:
	v_add3_u32 v157, v162, 0, 0x50
	v_mov_b32_e32 v156, 4
	s_mov_b32 s6, 5
	s_set_inst_prefetch_distance 0x1
	.p2align	6
.LBB72_85:                              ; =>This Inner Loop Header: Depth=1
	ds_load_2addr_b64 v[165:168], v157 offset1:1
	s_waitcnt lgkmcnt(1)
	v_cmp_gt_f64_e32 vcc_lo, 0, v[148:149]
	v_xor_b32_e32 v169, 0x80000000, v149
	v_cmp_gt_f64_e64 s2, 0, v[150:151]
	v_xor_b32_e32 v171, 0x80000000, v151
	v_add_nc_u32_e32 v157, 16, v157
	s_waitcnt lgkmcnt(0)
	v_cmp_gt_f64_e64 s3, 0, v[165:166]
	v_mov_b32_e32 v173, v165
	v_dual_mov_b32 v175, v167 :: v_dual_cndmask_b32 v170, v149, v169
	v_xor_b32_e32 v169, 0x80000000, v166
	v_cndmask_b32_e64 v172, v151, v171, s2
	v_xor_b32_e32 v171, 0x80000000, v168
	s_delay_alu instid0(VALU_DEP_3) | instskip(SKIP_2) | instid1(VALU_DEP_2)
	v_cndmask_b32_e64 v174, v166, v169, s3
	v_cmp_gt_f64_e64 s3, 0, v[167:168]
	v_cndmask_b32_e32 v169, v148, v148, vcc_lo
	v_cndmask_b32_e64 v176, v168, v171, s3
	v_cndmask_b32_e64 v171, v150, v150, s2
	s_delay_alu instid0(VALU_DEP_2) | instskip(NEXT) | instid1(VALU_DEP_2)
	v_add_f64 v[173:174], v[173:174], v[175:176]
	v_add_f64 v[169:170], v[169:170], v[171:172]
	s_delay_alu instid0(VALU_DEP_1) | instskip(SKIP_4) | instid1(SALU_CYCLE_1)
	v_cmp_lt_f64_e32 vcc_lo, v[169:170], v[173:174]
	v_dual_cndmask_b32 v150, v150, v167 :: v_dual_cndmask_b32 v149, v149, v166
	v_dual_cndmask_b32 v148, v148, v165 :: v_dual_cndmask_b32 v151, v151, v168
	v_cndmask_b32_e64 v156, v156, s6, vcc_lo
	s_add_i32 s6, s6, 1
	s_cmp_lg_u32 s5, s6
	s_cbranch_scc1 .LBB72_85
.LBB72_86:
	s_set_inst_prefetch_distance 0x2
	s_waitcnt lgkmcnt(0)
	v_cmp_eq_f64_e32 vcc_lo, 0, v[148:149]
	v_cmp_eq_f64_e64 s2, 0, v[150:151]
	s_delay_alu instid0(VALU_DEP_1) | instskip(NEXT) | instid1(SALU_CYCLE_1)
	s_and_b32 s2, vcc_lo, s2
	s_and_saveexec_b32 s3, s2
	s_delay_alu instid0(SALU_CYCLE_1)
	s_xor_b32 s2, exec_lo, s3
; %bb.87:
	v_cmp_ne_u32_e32 vcc_lo, 0, v161
	v_cndmask_b32_e32 v161, 5, v161, vcc_lo
; %bb.88:
	s_and_not1_saveexec_b32 s3, s2
	s_cbranch_execz .LBB72_94
; %bb.89:
	v_cmp_gt_f64_e32 vcc_lo, 0, v[148:149]
	v_cmp_gt_f64_e64 s2, 0, v[150:151]
	v_xor_b32_e32 v157, 0x80000000, v149
	v_xor_b32_e32 v165, 0x80000000, v151
	s_delay_alu instid0(VALU_DEP_2) | instskip(NEXT) | instid1(VALU_DEP_2)
	v_cndmask_b32_e32 v166, v149, v157, vcc_lo
	v_cndmask_b32_e64 v168, v151, v165, s2
	v_cndmask_b32_e32 v165, v148, v148, vcc_lo
	v_cndmask_b32_e64 v167, v150, v150, s2
	s_mov_b32 s2, exec_lo
	s_delay_alu instid0(VALU_DEP_1)
	v_cmpx_ngt_f64_e32 v[165:166], v[167:168]
	s_xor_b32 s2, exec_lo, s2
	s_cbranch_execz .LBB72_91
; %bb.90:
	v_div_scale_f64 v[165:166], null, v[150:151], v[150:151], v[148:149]
	v_div_scale_f64 v[171:172], vcc_lo, v[148:149], v[150:151], v[148:149]
	s_delay_alu instid0(VALU_DEP_2) | instskip(SKIP_2) | instid1(VALU_DEP_1)
	v_rcp_f64_e32 v[167:168], v[165:166]
	s_waitcnt_depctr 0xfff
	v_fma_f64 v[169:170], -v[165:166], v[167:168], 1.0
	v_fma_f64 v[167:168], v[167:168], v[169:170], v[167:168]
	s_delay_alu instid0(VALU_DEP_1) | instskip(NEXT) | instid1(VALU_DEP_1)
	v_fma_f64 v[169:170], -v[165:166], v[167:168], 1.0
	v_fma_f64 v[167:168], v[167:168], v[169:170], v[167:168]
	s_delay_alu instid0(VALU_DEP_1) | instskip(NEXT) | instid1(VALU_DEP_1)
	v_mul_f64 v[169:170], v[171:172], v[167:168]
	v_fma_f64 v[165:166], -v[165:166], v[169:170], v[171:172]
	s_delay_alu instid0(VALU_DEP_1) | instskip(NEXT) | instid1(VALU_DEP_1)
	v_div_fmas_f64 v[165:166], v[165:166], v[167:168], v[169:170]
	v_div_fixup_f64 v[165:166], v[165:166], v[150:151], v[148:149]
	s_delay_alu instid0(VALU_DEP_1) | instskip(NEXT) | instid1(VALU_DEP_1)
	v_fma_f64 v[148:149], v[148:149], v[165:166], v[150:151]
	v_div_scale_f64 v[150:151], null, v[148:149], v[148:149], 1.0
	s_delay_alu instid0(VALU_DEP_1) | instskip(SKIP_2) | instid1(VALU_DEP_1)
	v_rcp_f64_e32 v[167:168], v[150:151]
	s_waitcnt_depctr 0xfff
	v_fma_f64 v[169:170], -v[150:151], v[167:168], 1.0
	v_fma_f64 v[167:168], v[167:168], v[169:170], v[167:168]
	s_delay_alu instid0(VALU_DEP_1) | instskip(NEXT) | instid1(VALU_DEP_1)
	v_fma_f64 v[169:170], -v[150:151], v[167:168], 1.0
	v_fma_f64 v[167:168], v[167:168], v[169:170], v[167:168]
	v_div_scale_f64 v[169:170], vcc_lo, 1.0, v[148:149], 1.0
	s_delay_alu instid0(VALU_DEP_1) | instskip(NEXT) | instid1(VALU_DEP_1)
	v_mul_f64 v[171:172], v[169:170], v[167:168]
	v_fma_f64 v[150:151], -v[150:151], v[171:172], v[169:170]
	s_delay_alu instid0(VALU_DEP_1) | instskip(NEXT) | instid1(VALU_DEP_1)
	v_div_fmas_f64 v[150:151], v[150:151], v[167:168], v[171:172]
	v_div_fixup_f64 v[150:151], v[150:151], v[148:149], 1.0
	s_delay_alu instid0(VALU_DEP_1)
	v_mul_f64 v[148:149], v[165:166], v[150:151]
	v_xor_b32_e32 v151, 0x80000000, v151
.LBB72_91:
	s_and_not1_saveexec_b32 s2, s2
	s_cbranch_execz .LBB72_93
; %bb.92:
	s_delay_alu instid0(VALU_DEP_1) | instskip(SKIP_1) | instid1(VALU_DEP_2)
	v_div_scale_f64 v[165:166], null, v[148:149], v[148:149], v[150:151]
	v_div_scale_f64 v[171:172], vcc_lo, v[150:151], v[148:149], v[150:151]
	v_rcp_f64_e32 v[167:168], v[165:166]
	s_waitcnt_depctr 0xfff
	v_fma_f64 v[169:170], -v[165:166], v[167:168], 1.0
	s_delay_alu instid0(VALU_DEP_1) | instskip(NEXT) | instid1(VALU_DEP_1)
	v_fma_f64 v[167:168], v[167:168], v[169:170], v[167:168]
	v_fma_f64 v[169:170], -v[165:166], v[167:168], 1.0
	s_delay_alu instid0(VALU_DEP_1) | instskip(NEXT) | instid1(VALU_DEP_1)
	v_fma_f64 v[167:168], v[167:168], v[169:170], v[167:168]
	v_mul_f64 v[169:170], v[171:172], v[167:168]
	s_delay_alu instid0(VALU_DEP_1) | instskip(NEXT) | instid1(VALU_DEP_1)
	v_fma_f64 v[165:166], -v[165:166], v[169:170], v[171:172]
	v_div_fmas_f64 v[165:166], v[165:166], v[167:168], v[169:170]
	s_delay_alu instid0(VALU_DEP_1) | instskip(NEXT) | instid1(VALU_DEP_1)
	v_div_fixup_f64 v[165:166], v[165:166], v[148:149], v[150:151]
	v_fma_f64 v[148:149], v[150:151], v[165:166], v[148:149]
	s_delay_alu instid0(VALU_DEP_1) | instskip(NEXT) | instid1(VALU_DEP_1)
	v_div_scale_f64 v[150:151], null, v[148:149], v[148:149], 1.0
	v_rcp_f64_e32 v[167:168], v[150:151]
	s_waitcnt_depctr 0xfff
	v_fma_f64 v[169:170], -v[150:151], v[167:168], 1.0
	s_delay_alu instid0(VALU_DEP_1) | instskip(NEXT) | instid1(VALU_DEP_1)
	v_fma_f64 v[167:168], v[167:168], v[169:170], v[167:168]
	v_fma_f64 v[169:170], -v[150:151], v[167:168], 1.0
	s_delay_alu instid0(VALU_DEP_1) | instskip(SKIP_1) | instid1(VALU_DEP_1)
	v_fma_f64 v[167:168], v[167:168], v[169:170], v[167:168]
	v_div_scale_f64 v[169:170], vcc_lo, 1.0, v[148:149], 1.0
	v_mul_f64 v[171:172], v[169:170], v[167:168]
	s_delay_alu instid0(VALU_DEP_1) | instskip(NEXT) | instid1(VALU_DEP_1)
	v_fma_f64 v[150:151], -v[150:151], v[171:172], v[169:170]
	v_div_fmas_f64 v[150:151], v[150:151], v[167:168], v[171:172]
	s_delay_alu instid0(VALU_DEP_1) | instskip(NEXT) | instid1(VALU_DEP_1)
	v_div_fixup_f64 v[148:149], v[150:151], v[148:149], 1.0
	v_mul_f64 v[150:151], v[165:166], -v[148:149]
.LBB72_93:
	s_or_b32 exec_lo, exec_lo, s2
.LBB72_94:
	s_delay_alu instid0(SALU_CYCLE_1) | instskip(NEXT) | instid1(SALU_CYCLE_1)
	s_or_b32 exec_lo, exec_lo, s3
	s_mov_b32 s2, exec_lo
	v_cmpx_ne_u32_e64 v164, v156
	s_xor_b32 s2, exec_lo, s2
	s_cbranch_execz .LBB72_100
; %bb.95:
	s_mov_b32 s3, exec_lo
	v_cmpx_eq_u32_e32 4, v164
	s_cbranch_execz .LBB72_99
; %bb.96:
	v_cmp_ne_u32_e32 vcc_lo, 4, v156
	s_xor_b32 s6, s4, -1
	s_delay_alu instid0(SALU_CYCLE_1) | instskip(NEXT) | instid1(SALU_CYCLE_1)
	s_and_b32 s7, s6, vcc_lo
	s_and_saveexec_b32 s6, s7
	s_cbranch_execz .LBB72_98
; %bb.97:
	v_ashrrev_i32_e32 v157, 31, v156
	s_delay_alu instid0(VALU_DEP_1) | instskip(NEXT) | instid1(VALU_DEP_1)
	v_lshlrev_b64 v[163:164], 2, v[156:157]
	v_add_co_u32 v163, vcc_lo, v154, v163
	s_delay_alu instid0(VALU_DEP_2)
	v_add_co_ci_u32_e32 v164, vcc_lo, v155, v164, vcc_lo
	s_clause 0x1
	flat_load_b32 v157, v[163:164]
	flat_load_b32 v165, v[154:155] offset:16
	s_waitcnt vmcnt(1) lgkmcnt(1)
	flat_store_b32 v[154:155], v157 offset:16
	s_waitcnt vmcnt(0) lgkmcnt(1)
	flat_store_b32 v[163:164], v165
.LBB72_98:
	s_or_b32 exec_lo, exec_lo, s6
	v_mov_b32_e32 v164, v156
	v_mov_b32_e32 v163, v156
.LBB72_99:
	s_or_b32 exec_lo, exec_lo, s3
.LBB72_100:
	s_and_not1_saveexec_b32 s2, s2
	s_cbranch_execz .LBB72_102
; %bb.101:
	v_mov_b32_e32 v164, 4
	ds_store_2addr_b64 v158, v[136:137], v[138:139] offset0:10 offset1:11
	ds_store_2addr_b64 v158, v[140:141], v[142:143] offset0:12 offset1:13
	;; [unrolled: 1-line block ×32, first 2 shown]
.LBB72_102:
	s_or_b32 exec_lo, exec_lo, s2
	s_delay_alu instid0(SALU_CYCLE_1)
	s_mov_b32 s2, exec_lo
	s_waitcnt lgkmcnt(0)
	s_waitcnt_vscnt null, 0x0
	s_barrier
	buffer_gl0_inv
	v_cmpx_lt_i32_e32 4, v164
	s_cbranch_execz .LBB72_104
; %bb.103:
	v_mul_f64 v[156:157], v[150:151], v[146:147]
	v_mul_f64 v[146:147], v[148:149], v[146:147]
	s_delay_alu instid0(VALU_DEP_2) | instskip(NEXT) | instid1(VALU_DEP_2)
	v_fma_f64 v[156:157], v[148:149], v[144:145], -v[156:157]
	v_fma_f64 v[146:147], v[150:151], v[144:145], v[146:147]
	ds_load_2addr_b64 v[148:151], v158 offset0:10 offset1:11
	s_waitcnt lgkmcnt(0)
	v_mul_f64 v[144:145], v[150:151], v[146:147]
	s_delay_alu instid0(VALU_DEP_1) | instskip(SKIP_1) | instid1(VALU_DEP_2)
	v_fma_f64 v[144:145], v[148:149], v[156:157], -v[144:145]
	v_mul_f64 v[148:149], v[148:149], v[146:147]
	v_add_f64 v[136:137], v[136:137], -v[144:145]
	s_delay_alu instid0(VALU_DEP_2) | instskip(NEXT) | instid1(VALU_DEP_1)
	v_fma_f64 v[148:149], v[150:151], v[156:157], v[148:149]
	v_add_f64 v[138:139], v[138:139], -v[148:149]
	ds_load_2addr_b64 v[148:151], v158 offset0:12 offset1:13
	s_waitcnt lgkmcnt(0)
	v_mul_f64 v[144:145], v[150:151], v[146:147]
	s_delay_alu instid0(VALU_DEP_1) | instskip(SKIP_1) | instid1(VALU_DEP_2)
	v_fma_f64 v[144:145], v[148:149], v[156:157], -v[144:145]
	v_mul_f64 v[148:149], v[148:149], v[146:147]
	v_add_f64 v[140:141], v[140:141], -v[144:145]
	s_delay_alu instid0(VALU_DEP_2) | instskip(NEXT) | instid1(VALU_DEP_1)
	v_fma_f64 v[148:149], v[150:151], v[156:157], v[148:149]
	v_add_f64 v[142:143], v[142:143], -v[148:149]
	;; [unrolled: 10-line block ×31, first 2 shown]
	ds_load_2addr_b64 v[148:151], v158 offset0:72 offset1:73
	s_waitcnt lgkmcnt(0)
	v_mul_f64 v[144:145], v[150:151], v[146:147]
	s_delay_alu instid0(VALU_DEP_1) | instskip(SKIP_1) | instid1(VALU_DEP_2)
	v_fma_f64 v[144:145], v[148:149], v[156:157], -v[144:145]
	v_mul_f64 v[148:149], v[148:149], v[146:147]
	v_add_f64 v[0:1], v[0:1], -v[144:145]
	s_delay_alu instid0(VALU_DEP_2) | instskip(SKIP_1) | instid1(VALU_DEP_2)
	v_fma_f64 v[148:149], v[150:151], v[156:157], v[148:149]
	v_dual_mov_b32 v144, v156 :: v_dual_mov_b32 v145, v157
	v_add_f64 v[2:3], v[2:3], -v[148:149]
.LBB72_104:
	s_or_b32 exec_lo, exec_lo, s2
	v_lshl_add_u32 v148, v164, 4, v158
	s_barrier
	buffer_gl0_inv
	v_mov_b32_e32 v156, 5
	ds_store_2addr_b64 v148, v[136:137], v[138:139] offset1:1
	s_waitcnt lgkmcnt(0)
	s_barrier
	buffer_gl0_inv
	ds_load_2addr_b64 v[148:151], v158 offset0:10 offset1:11
	s_cmp_lt_i32 s5, 7
	s_cbranch_scc1 .LBB72_107
; %bb.105:
	v_add3_u32 v157, v162, 0, 0x60
	v_mov_b32_e32 v156, 5
	s_mov_b32 s6, 6
	s_set_inst_prefetch_distance 0x1
	.p2align	6
.LBB72_106:                             ; =>This Inner Loop Header: Depth=1
	ds_load_2addr_b64 v[165:168], v157 offset1:1
	s_waitcnt lgkmcnt(1)
	v_cmp_gt_f64_e32 vcc_lo, 0, v[148:149]
	v_xor_b32_e32 v169, 0x80000000, v149
	v_cmp_gt_f64_e64 s2, 0, v[150:151]
	v_xor_b32_e32 v171, 0x80000000, v151
	v_add_nc_u32_e32 v157, 16, v157
	s_waitcnt lgkmcnt(0)
	v_cmp_gt_f64_e64 s3, 0, v[165:166]
	v_mov_b32_e32 v173, v165
	v_dual_mov_b32 v175, v167 :: v_dual_cndmask_b32 v170, v149, v169
	v_xor_b32_e32 v169, 0x80000000, v166
	v_cndmask_b32_e64 v172, v151, v171, s2
	v_xor_b32_e32 v171, 0x80000000, v168
	s_delay_alu instid0(VALU_DEP_3) | instskip(SKIP_2) | instid1(VALU_DEP_2)
	v_cndmask_b32_e64 v174, v166, v169, s3
	v_cmp_gt_f64_e64 s3, 0, v[167:168]
	v_cndmask_b32_e32 v169, v148, v148, vcc_lo
	v_cndmask_b32_e64 v176, v168, v171, s3
	v_cndmask_b32_e64 v171, v150, v150, s2
	s_delay_alu instid0(VALU_DEP_2) | instskip(NEXT) | instid1(VALU_DEP_2)
	v_add_f64 v[173:174], v[173:174], v[175:176]
	v_add_f64 v[169:170], v[169:170], v[171:172]
	s_delay_alu instid0(VALU_DEP_1) | instskip(SKIP_4) | instid1(SALU_CYCLE_1)
	v_cmp_lt_f64_e32 vcc_lo, v[169:170], v[173:174]
	v_dual_cndmask_b32 v150, v150, v167 :: v_dual_cndmask_b32 v149, v149, v166
	v_dual_cndmask_b32 v148, v148, v165 :: v_dual_cndmask_b32 v151, v151, v168
	v_cndmask_b32_e64 v156, v156, s6, vcc_lo
	s_add_i32 s6, s6, 1
	s_cmp_lg_u32 s5, s6
	s_cbranch_scc1 .LBB72_106
.LBB72_107:
	s_set_inst_prefetch_distance 0x2
	s_waitcnt lgkmcnt(0)
	v_cmp_eq_f64_e32 vcc_lo, 0, v[148:149]
	v_cmp_eq_f64_e64 s2, 0, v[150:151]
	s_delay_alu instid0(VALU_DEP_1) | instskip(NEXT) | instid1(SALU_CYCLE_1)
	s_and_b32 s2, vcc_lo, s2
	s_and_saveexec_b32 s3, s2
	s_delay_alu instid0(SALU_CYCLE_1)
	s_xor_b32 s2, exec_lo, s3
; %bb.108:
	v_cmp_ne_u32_e32 vcc_lo, 0, v161
	v_cndmask_b32_e32 v161, 6, v161, vcc_lo
; %bb.109:
	s_and_not1_saveexec_b32 s3, s2
	s_cbranch_execz .LBB72_115
; %bb.110:
	v_cmp_gt_f64_e32 vcc_lo, 0, v[148:149]
	v_cmp_gt_f64_e64 s2, 0, v[150:151]
	v_xor_b32_e32 v157, 0x80000000, v149
	v_xor_b32_e32 v165, 0x80000000, v151
	s_delay_alu instid0(VALU_DEP_2) | instskip(NEXT) | instid1(VALU_DEP_2)
	v_cndmask_b32_e32 v166, v149, v157, vcc_lo
	v_cndmask_b32_e64 v168, v151, v165, s2
	v_cndmask_b32_e32 v165, v148, v148, vcc_lo
	v_cndmask_b32_e64 v167, v150, v150, s2
	s_mov_b32 s2, exec_lo
	s_delay_alu instid0(VALU_DEP_1)
	v_cmpx_ngt_f64_e32 v[165:166], v[167:168]
	s_xor_b32 s2, exec_lo, s2
	s_cbranch_execz .LBB72_112
; %bb.111:
	v_div_scale_f64 v[165:166], null, v[150:151], v[150:151], v[148:149]
	v_div_scale_f64 v[171:172], vcc_lo, v[148:149], v[150:151], v[148:149]
	s_delay_alu instid0(VALU_DEP_2) | instskip(SKIP_2) | instid1(VALU_DEP_1)
	v_rcp_f64_e32 v[167:168], v[165:166]
	s_waitcnt_depctr 0xfff
	v_fma_f64 v[169:170], -v[165:166], v[167:168], 1.0
	v_fma_f64 v[167:168], v[167:168], v[169:170], v[167:168]
	s_delay_alu instid0(VALU_DEP_1) | instskip(NEXT) | instid1(VALU_DEP_1)
	v_fma_f64 v[169:170], -v[165:166], v[167:168], 1.0
	v_fma_f64 v[167:168], v[167:168], v[169:170], v[167:168]
	s_delay_alu instid0(VALU_DEP_1) | instskip(NEXT) | instid1(VALU_DEP_1)
	v_mul_f64 v[169:170], v[171:172], v[167:168]
	v_fma_f64 v[165:166], -v[165:166], v[169:170], v[171:172]
	s_delay_alu instid0(VALU_DEP_1) | instskip(NEXT) | instid1(VALU_DEP_1)
	v_div_fmas_f64 v[165:166], v[165:166], v[167:168], v[169:170]
	v_div_fixup_f64 v[165:166], v[165:166], v[150:151], v[148:149]
	s_delay_alu instid0(VALU_DEP_1) | instskip(NEXT) | instid1(VALU_DEP_1)
	v_fma_f64 v[148:149], v[148:149], v[165:166], v[150:151]
	v_div_scale_f64 v[150:151], null, v[148:149], v[148:149], 1.0
	s_delay_alu instid0(VALU_DEP_1) | instskip(SKIP_2) | instid1(VALU_DEP_1)
	v_rcp_f64_e32 v[167:168], v[150:151]
	s_waitcnt_depctr 0xfff
	v_fma_f64 v[169:170], -v[150:151], v[167:168], 1.0
	v_fma_f64 v[167:168], v[167:168], v[169:170], v[167:168]
	s_delay_alu instid0(VALU_DEP_1) | instskip(NEXT) | instid1(VALU_DEP_1)
	v_fma_f64 v[169:170], -v[150:151], v[167:168], 1.0
	v_fma_f64 v[167:168], v[167:168], v[169:170], v[167:168]
	v_div_scale_f64 v[169:170], vcc_lo, 1.0, v[148:149], 1.0
	s_delay_alu instid0(VALU_DEP_1) | instskip(NEXT) | instid1(VALU_DEP_1)
	v_mul_f64 v[171:172], v[169:170], v[167:168]
	v_fma_f64 v[150:151], -v[150:151], v[171:172], v[169:170]
	s_delay_alu instid0(VALU_DEP_1) | instskip(NEXT) | instid1(VALU_DEP_1)
	v_div_fmas_f64 v[150:151], v[150:151], v[167:168], v[171:172]
	v_div_fixup_f64 v[150:151], v[150:151], v[148:149], 1.0
	s_delay_alu instid0(VALU_DEP_1)
	v_mul_f64 v[148:149], v[165:166], v[150:151]
	v_xor_b32_e32 v151, 0x80000000, v151
.LBB72_112:
	s_and_not1_saveexec_b32 s2, s2
	s_cbranch_execz .LBB72_114
; %bb.113:
	s_delay_alu instid0(VALU_DEP_1) | instskip(SKIP_1) | instid1(VALU_DEP_2)
	v_div_scale_f64 v[165:166], null, v[148:149], v[148:149], v[150:151]
	v_div_scale_f64 v[171:172], vcc_lo, v[150:151], v[148:149], v[150:151]
	v_rcp_f64_e32 v[167:168], v[165:166]
	s_waitcnt_depctr 0xfff
	v_fma_f64 v[169:170], -v[165:166], v[167:168], 1.0
	s_delay_alu instid0(VALU_DEP_1) | instskip(NEXT) | instid1(VALU_DEP_1)
	v_fma_f64 v[167:168], v[167:168], v[169:170], v[167:168]
	v_fma_f64 v[169:170], -v[165:166], v[167:168], 1.0
	s_delay_alu instid0(VALU_DEP_1) | instskip(NEXT) | instid1(VALU_DEP_1)
	v_fma_f64 v[167:168], v[167:168], v[169:170], v[167:168]
	v_mul_f64 v[169:170], v[171:172], v[167:168]
	s_delay_alu instid0(VALU_DEP_1) | instskip(NEXT) | instid1(VALU_DEP_1)
	v_fma_f64 v[165:166], -v[165:166], v[169:170], v[171:172]
	v_div_fmas_f64 v[165:166], v[165:166], v[167:168], v[169:170]
	s_delay_alu instid0(VALU_DEP_1) | instskip(NEXT) | instid1(VALU_DEP_1)
	v_div_fixup_f64 v[165:166], v[165:166], v[148:149], v[150:151]
	v_fma_f64 v[148:149], v[150:151], v[165:166], v[148:149]
	s_delay_alu instid0(VALU_DEP_1) | instskip(NEXT) | instid1(VALU_DEP_1)
	v_div_scale_f64 v[150:151], null, v[148:149], v[148:149], 1.0
	v_rcp_f64_e32 v[167:168], v[150:151]
	s_waitcnt_depctr 0xfff
	v_fma_f64 v[169:170], -v[150:151], v[167:168], 1.0
	s_delay_alu instid0(VALU_DEP_1) | instskip(NEXT) | instid1(VALU_DEP_1)
	v_fma_f64 v[167:168], v[167:168], v[169:170], v[167:168]
	v_fma_f64 v[169:170], -v[150:151], v[167:168], 1.0
	s_delay_alu instid0(VALU_DEP_1) | instskip(SKIP_1) | instid1(VALU_DEP_1)
	v_fma_f64 v[167:168], v[167:168], v[169:170], v[167:168]
	v_div_scale_f64 v[169:170], vcc_lo, 1.0, v[148:149], 1.0
	v_mul_f64 v[171:172], v[169:170], v[167:168]
	s_delay_alu instid0(VALU_DEP_1) | instskip(NEXT) | instid1(VALU_DEP_1)
	v_fma_f64 v[150:151], -v[150:151], v[171:172], v[169:170]
	v_div_fmas_f64 v[150:151], v[150:151], v[167:168], v[171:172]
	s_delay_alu instid0(VALU_DEP_1) | instskip(NEXT) | instid1(VALU_DEP_1)
	v_div_fixup_f64 v[148:149], v[150:151], v[148:149], 1.0
	v_mul_f64 v[150:151], v[165:166], -v[148:149]
.LBB72_114:
	s_or_b32 exec_lo, exec_lo, s2
.LBB72_115:
	s_delay_alu instid0(SALU_CYCLE_1) | instskip(NEXT) | instid1(SALU_CYCLE_1)
	s_or_b32 exec_lo, exec_lo, s3
	s_mov_b32 s2, exec_lo
	v_cmpx_ne_u32_e64 v164, v156
	s_xor_b32 s2, exec_lo, s2
	s_cbranch_execz .LBB72_121
; %bb.116:
	s_mov_b32 s3, exec_lo
	v_cmpx_eq_u32_e32 5, v164
	s_cbranch_execz .LBB72_120
; %bb.117:
	v_cmp_ne_u32_e32 vcc_lo, 5, v156
	s_xor_b32 s6, s4, -1
	s_delay_alu instid0(SALU_CYCLE_1) | instskip(NEXT) | instid1(SALU_CYCLE_1)
	s_and_b32 s7, s6, vcc_lo
	s_and_saveexec_b32 s6, s7
	s_cbranch_execz .LBB72_119
; %bb.118:
	v_ashrrev_i32_e32 v157, 31, v156
	s_delay_alu instid0(VALU_DEP_1) | instskip(NEXT) | instid1(VALU_DEP_1)
	v_lshlrev_b64 v[163:164], 2, v[156:157]
	v_add_co_u32 v163, vcc_lo, v154, v163
	s_delay_alu instid0(VALU_DEP_2)
	v_add_co_ci_u32_e32 v164, vcc_lo, v155, v164, vcc_lo
	s_clause 0x1
	flat_load_b32 v157, v[163:164]
	flat_load_b32 v165, v[154:155] offset:20
	s_waitcnt vmcnt(1) lgkmcnt(1)
	flat_store_b32 v[154:155], v157 offset:20
	s_waitcnt vmcnt(0) lgkmcnt(1)
	flat_store_b32 v[163:164], v165
.LBB72_119:
	s_or_b32 exec_lo, exec_lo, s6
	v_mov_b32_e32 v164, v156
	v_mov_b32_e32 v163, v156
.LBB72_120:
	s_or_b32 exec_lo, exec_lo, s3
.LBB72_121:
	s_and_not1_saveexec_b32 s2, s2
	s_cbranch_execz .LBB72_123
; %bb.122:
	v_mov_b32_e32 v164, 5
	ds_store_2addr_b64 v158, v[140:141], v[142:143] offset0:12 offset1:13
	ds_store_2addr_b64 v158, v[132:133], v[134:135] offset0:14 offset1:15
	;; [unrolled: 1-line block ×31, first 2 shown]
.LBB72_123:
	s_or_b32 exec_lo, exec_lo, s2
	s_delay_alu instid0(SALU_CYCLE_1)
	s_mov_b32 s2, exec_lo
	s_waitcnt lgkmcnt(0)
	s_waitcnt_vscnt null, 0x0
	s_barrier
	buffer_gl0_inv
	v_cmpx_lt_i32_e32 5, v164
	s_cbranch_execz .LBB72_125
; %bb.124:
	v_mul_f64 v[156:157], v[150:151], v[138:139]
	v_mul_f64 v[138:139], v[148:149], v[138:139]
	s_delay_alu instid0(VALU_DEP_2) | instskip(NEXT) | instid1(VALU_DEP_2)
	v_fma_f64 v[156:157], v[148:149], v[136:137], -v[156:157]
	v_fma_f64 v[138:139], v[150:151], v[136:137], v[138:139]
	ds_load_2addr_b64 v[148:151], v158 offset0:12 offset1:13
	s_waitcnt lgkmcnt(0)
	v_mul_f64 v[136:137], v[150:151], v[138:139]
	s_delay_alu instid0(VALU_DEP_1) | instskip(SKIP_1) | instid1(VALU_DEP_2)
	v_fma_f64 v[136:137], v[148:149], v[156:157], -v[136:137]
	v_mul_f64 v[148:149], v[148:149], v[138:139]
	v_add_f64 v[140:141], v[140:141], -v[136:137]
	s_delay_alu instid0(VALU_DEP_2) | instskip(NEXT) | instid1(VALU_DEP_1)
	v_fma_f64 v[148:149], v[150:151], v[156:157], v[148:149]
	v_add_f64 v[142:143], v[142:143], -v[148:149]
	ds_load_2addr_b64 v[148:151], v158 offset0:14 offset1:15
	s_waitcnt lgkmcnt(0)
	v_mul_f64 v[136:137], v[150:151], v[138:139]
	s_delay_alu instid0(VALU_DEP_1) | instskip(SKIP_1) | instid1(VALU_DEP_2)
	v_fma_f64 v[136:137], v[148:149], v[156:157], -v[136:137]
	v_mul_f64 v[148:149], v[148:149], v[138:139]
	v_add_f64 v[132:133], v[132:133], -v[136:137]
	s_delay_alu instid0(VALU_DEP_2) | instskip(NEXT) | instid1(VALU_DEP_1)
	v_fma_f64 v[148:149], v[150:151], v[156:157], v[148:149]
	v_add_f64 v[134:135], v[134:135], -v[148:149]
	;; [unrolled: 10-line block ×30, first 2 shown]
	ds_load_2addr_b64 v[148:151], v158 offset0:72 offset1:73
	s_waitcnt lgkmcnt(0)
	v_mul_f64 v[136:137], v[150:151], v[138:139]
	s_delay_alu instid0(VALU_DEP_1) | instskip(SKIP_1) | instid1(VALU_DEP_2)
	v_fma_f64 v[136:137], v[148:149], v[156:157], -v[136:137]
	v_mul_f64 v[148:149], v[148:149], v[138:139]
	v_add_f64 v[0:1], v[0:1], -v[136:137]
	s_delay_alu instid0(VALU_DEP_2) | instskip(SKIP_1) | instid1(VALU_DEP_2)
	v_fma_f64 v[148:149], v[150:151], v[156:157], v[148:149]
	v_dual_mov_b32 v136, v156 :: v_dual_mov_b32 v137, v157
	v_add_f64 v[2:3], v[2:3], -v[148:149]
.LBB72_125:
	s_or_b32 exec_lo, exec_lo, s2
	v_lshl_add_u32 v148, v164, 4, v158
	s_barrier
	buffer_gl0_inv
	v_mov_b32_e32 v156, 6
	ds_store_2addr_b64 v148, v[140:141], v[142:143] offset1:1
	s_waitcnt lgkmcnt(0)
	s_barrier
	buffer_gl0_inv
	ds_load_2addr_b64 v[148:151], v158 offset0:12 offset1:13
	s_cmp_lt_i32 s5, 8
	s_cbranch_scc1 .LBB72_128
; %bb.126:
	v_add3_u32 v157, v162, 0, 0x70
	v_mov_b32_e32 v156, 6
	s_mov_b32 s6, 7
	s_set_inst_prefetch_distance 0x1
	.p2align	6
.LBB72_127:                             ; =>This Inner Loop Header: Depth=1
	ds_load_2addr_b64 v[165:168], v157 offset1:1
	s_waitcnt lgkmcnt(1)
	v_cmp_gt_f64_e32 vcc_lo, 0, v[148:149]
	v_xor_b32_e32 v169, 0x80000000, v149
	v_cmp_gt_f64_e64 s2, 0, v[150:151]
	v_xor_b32_e32 v171, 0x80000000, v151
	v_add_nc_u32_e32 v157, 16, v157
	s_waitcnt lgkmcnt(0)
	v_cmp_gt_f64_e64 s3, 0, v[165:166]
	v_mov_b32_e32 v173, v165
	v_dual_mov_b32 v175, v167 :: v_dual_cndmask_b32 v170, v149, v169
	v_xor_b32_e32 v169, 0x80000000, v166
	v_cndmask_b32_e64 v172, v151, v171, s2
	v_xor_b32_e32 v171, 0x80000000, v168
	s_delay_alu instid0(VALU_DEP_3) | instskip(SKIP_2) | instid1(VALU_DEP_2)
	v_cndmask_b32_e64 v174, v166, v169, s3
	v_cmp_gt_f64_e64 s3, 0, v[167:168]
	v_cndmask_b32_e32 v169, v148, v148, vcc_lo
	v_cndmask_b32_e64 v176, v168, v171, s3
	v_cndmask_b32_e64 v171, v150, v150, s2
	s_delay_alu instid0(VALU_DEP_2) | instskip(NEXT) | instid1(VALU_DEP_2)
	v_add_f64 v[173:174], v[173:174], v[175:176]
	v_add_f64 v[169:170], v[169:170], v[171:172]
	s_delay_alu instid0(VALU_DEP_1) | instskip(SKIP_4) | instid1(SALU_CYCLE_1)
	v_cmp_lt_f64_e32 vcc_lo, v[169:170], v[173:174]
	v_dual_cndmask_b32 v150, v150, v167 :: v_dual_cndmask_b32 v149, v149, v166
	v_dual_cndmask_b32 v148, v148, v165 :: v_dual_cndmask_b32 v151, v151, v168
	v_cndmask_b32_e64 v156, v156, s6, vcc_lo
	s_add_i32 s6, s6, 1
	s_cmp_lg_u32 s5, s6
	s_cbranch_scc1 .LBB72_127
.LBB72_128:
	s_set_inst_prefetch_distance 0x2
	s_waitcnt lgkmcnt(0)
	v_cmp_eq_f64_e32 vcc_lo, 0, v[148:149]
	v_cmp_eq_f64_e64 s2, 0, v[150:151]
	s_delay_alu instid0(VALU_DEP_1) | instskip(NEXT) | instid1(SALU_CYCLE_1)
	s_and_b32 s2, vcc_lo, s2
	s_and_saveexec_b32 s3, s2
	s_delay_alu instid0(SALU_CYCLE_1)
	s_xor_b32 s2, exec_lo, s3
; %bb.129:
	v_cmp_ne_u32_e32 vcc_lo, 0, v161
	v_cndmask_b32_e32 v161, 7, v161, vcc_lo
; %bb.130:
	s_and_not1_saveexec_b32 s3, s2
	s_cbranch_execz .LBB72_136
; %bb.131:
	v_cmp_gt_f64_e32 vcc_lo, 0, v[148:149]
	v_cmp_gt_f64_e64 s2, 0, v[150:151]
	v_xor_b32_e32 v157, 0x80000000, v149
	v_xor_b32_e32 v165, 0x80000000, v151
	s_delay_alu instid0(VALU_DEP_2) | instskip(NEXT) | instid1(VALU_DEP_2)
	v_cndmask_b32_e32 v166, v149, v157, vcc_lo
	v_cndmask_b32_e64 v168, v151, v165, s2
	v_cndmask_b32_e32 v165, v148, v148, vcc_lo
	v_cndmask_b32_e64 v167, v150, v150, s2
	s_mov_b32 s2, exec_lo
	s_delay_alu instid0(VALU_DEP_1)
	v_cmpx_ngt_f64_e32 v[165:166], v[167:168]
	s_xor_b32 s2, exec_lo, s2
	s_cbranch_execz .LBB72_133
; %bb.132:
	v_div_scale_f64 v[165:166], null, v[150:151], v[150:151], v[148:149]
	v_div_scale_f64 v[171:172], vcc_lo, v[148:149], v[150:151], v[148:149]
	s_delay_alu instid0(VALU_DEP_2) | instskip(SKIP_2) | instid1(VALU_DEP_1)
	v_rcp_f64_e32 v[167:168], v[165:166]
	s_waitcnt_depctr 0xfff
	v_fma_f64 v[169:170], -v[165:166], v[167:168], 1.0
	v_fma_f64 v[167:168], v[167:168], v[169:170], v[167:168]
	s_delay_alu instid0(VALU_DEP_1) | instskip(NEXT) | instid1(VALU_DEP_1)
	v_fma_f64 v[169:170], -v[165:166], v[167:168], 1.0
	v_fma_f64 v[167:168], v[167:168], v[169:170], v[167:168]
	s_delay_alu instid0(VALU_DEP_1) | instskip(NEXT) | instid1(VALU_DEP_1)
	v_mul_f64 v[169:170], v[171:172], v[167:168]
	v_fma_f64 v[165:166], -v[165:166], v[169:170], v[171:172]
	s_delay_alu instid0(VALU_DEP_1) | instskip(NEXT) | instid1(VALU_DEP_1)
	v_div_fmas_f64 v[165:166], v[165:166], v[167:168], v[169:170]
	v_div_fixup_f64 v[165:166], v[165:166], v[150:151], v[148:149]
	s_delay_alu instid0(VALU_DEP_1) | instskip(NEXT) | instid1(VALU_DEP_1)
	v_fma_f64 v[148:149], v[148:149], v[165:166], v[150:151]
	v_div_scale_f64 v[150:151], null, v[148:149], v[148:149], 1.0
	s_delay_alu instid0(VALU_DEP_1) | instskip(SKIP_2) | instid1(VALU_DEP_1)
	v_rcp_f64_e32 v[167:168], v[150:151]
	s_waitcnt_depctr 0xfff
	v_fma_f64 v[169:170], -v[150:151], v[167:168], 1.0
	v_fma_f64 v[167:168], v[167:168], v[169:170], v[167:168]
	s_delay_alu instid0(VALU_DEP_1) | instskip(NEXT) | instid1(VALU_DEP_1)
	v_fma_f64 v[169:170], -v[150:151], v[167:168], 1.0
	v_fma_f64 v[167:168], v[167:168], v[169:170], v[167:168]
	v_div_scale_f64 v[169:170], vcc_lo, 1.0, v[148:149], 1.0
	s_delay_alu instid0(VALU_DEP_1) | instskip(NEXT) | instid1(VALU_DEP_1)
	v_mul_f64 v[171:172], v[169:170], v[167:168]
	v_fma_f64 v[150:151], -v[150:151], v[171:172], v[169:170]
	s_delay_alu instid0(VALU_DEP_1) | instskip(NEXT) | instid1(VALU_DEP_1)
	v_div_fmas_f64 v[150:151], v[150:151], v[167:168], v[171:172]
	v_div_fixup_f64 v[150:151], v[150:151], v[148:149], 1.0
	s_delay_alu instid0(VALU_DEP_1)
	v_mul_f64 v[148:149], v[165:166], v[150:151]
	v_xor_b32_e32 v151, 0x80000000, v151
.LBB72_133:
	s_and_not1_saveexec_b32 s2, s2
	s_cbranch_execz .LBB72_135
; %bb.134:
	s_delay_alu instid0(VALU_DEP_1) | instskip(SKIP_1) | instid1(VALU_DEP_2)
	v_div_scale_f64 v[165:166], null, v[148:149], v[148:149], v[150:151]
	v_div_scale_f64 v[171:172], vcc_lo, v[150:151], v[148:149], v[150:151]
	v_rcp_f64_e32 v[167:168], v[165:166]
	s_waitcnt_depctr 0xfff
	v_fma_f64 v[169:170], -v[165:166], v[167:168], 1.0
	s_delay_alu instid0(VALU_DEP_1) | instskip(NEXT) | instid1(VALU_DEP_1)
	v_fma_f64 v[167:168], v[167:168], v[169:170], v[167:168]
	v_fma_f64 v[169:170], -v[165:166], v[167:168], 1.0
	s_delay_alu instid0(VALU_DEP_1) | instskip(NEXT) | instid1(VALU_DEP_1)
	v_fma_f64 v[167:168], v[167:168], v[169:170], v[167:168]
	v_mul_f64 v[169:170], v[171:172], v[167:168]
	s_delay_alu instid0(VALU_DEP_1) | instskip(NEXT) | instid1(VALU_DEP_1)
	v_fma_f64 v[165:166], -v[165:166], v[169:170], v[171:172]
	v_div_fmas_f64 v[165:166], v[165:166], v[167:168], v[169:170]
	s_delay_alu instid0(VALU_DEP_1) | instskip(NEXT) | instid1(VALU_DEP_1)
	v_div_fixup_f64 v[165:166], v[165:166], v[148:149], v[150:151]
	v_fma_f64 v[148:149], v[150:151], v[165:166], v[148:149]
	s_delay_alu instid0(VALU_DEP_1) | instskip(NEXT) | instid1(VALU_DEP_1)
	v_div_scale_f64 v[150:151], null, v[148:149], v[148:149], 1.0
	v_rcp_f64_e32 v[167:168], v[150:151]
	s_waitcnt_depctr 0xfff
	v_fma_f64 v[169:170], -v[150:151], v[167:168], 1.0
	s_delay_alu instid0(VALU_DEP_1) | instskip(NEXT) | instid1(VALU_DEP_1)
	v_fma_f64 v[167:168], v[167:168], v[169:170], v[167:168]
	v_fma_f64 v[169:170], -v[150:151], v[167:168], 1.0
	s_delay_alu instid0(VALU_DEP_1) | instskip(SKIP_1) | instid1(VALU_DEP_1)
	v_fma_f64 v[167:168], v[167:168], v[169:170], v[167:168]
	v_div_scale_f64 v[169:170], vcc_lo, 1.0, v[148:149], 1.0
	v_mul_f64 v[171:172], v[169:170], v[167:168]
	s_delay_alu instid0(VALU_DEP_1) | instskip(NEXT) | instid1(VALU_DEP_1)
	v_fma_f64 v[150:151], -v[150:151], v[171:172], v[169:170]
	v_div_fmas_f64 v[150:151], v[150:151], v[167:168], v[171:172]
	s_delay_alu instid0(VALU_DEP_1) | instskip(NEXT) | instid1(VALU_DEP_1)
	v_div_fixup_f64 v[148:149], v[150:151], v[148:149], 1.0
	v_mul_f64 v[150:151], v[165:166], -v[148:149]
.LBB72_135:
	s_or_b32 exec_lo, exec_lo, s2
.LBB72_136:
	s_delay_alu instid0(SALU_CYCLE_1) | instskip(NEXT) | instid1(SALU_CYCLE_1)
	s_or_b32 exec_lo, exec_lo, s3
	s_mov_b32 s2, exec_lo
	v_cmpx_ne_u32_e64 v164, v156
	s_xor_b32 s2, exec_lo, s2
	s_cbranch_execz .LBB72_142
; %bb.137:
	s_mov_b32 s3, exec_lo
	v_cmpx_eq_u32_e32 6, v164
	s_cbranch_execz .LBB72_141
; %bb.138:
	v_cmp_ne_u32_e32 vcc_lo, 6, v156
	s_xor_b32 s6, s4, -1
	s_delay_alu instid0(SALU_CYCLE_1) | instskip(NEXT) | instid1(SALU_CYCLE_1)
	s_and_b32 s7, s6, vcc_lo
	s_and_saveexec_b32 s6, s7
	s_cbranch_execz .LBB72_140
; %bb.139:
	v_ashrrev_i32_e32 v157, 31, v156
	s_delay_alu instid0(VALU_DEP_1) | instskip(NEXT) | instid1(VALU_DEP_1)
	v_lshlrev_b64 v[163:164], 2, v[156:157]
	v_add_co_u32 v163, vcc_lo, v154, v163
	s_delay_alu instid0(VALU_DEP_2)
	v_add_co_ci_u32_e32 v164, vcc_lo, v155, v164, vcc_lo
	s_clause 0x1
	flat_load_b32 v157, v[163:164]
	flat_load_b32 v165, v[154:155] offset:24
	s_waitcnt vmcnt(1) lgkmcnt(1)
	flat_store_b32 v[154:155], v157 offset:24
	s_waitcnt vmcnt(0) lgkmcnt(1)
	flat_store_b32 v[163:164], v165
.LBB72_140:
	s_or_b32 exec_lo, exec_lo, s6
	v_mov_b32_e32 v164, v156
	v_mov_b32_e32 v163, v156
.LBB72_141:
	s_or_b32 exec_lo, exec_lo, s3
.LBB72_142:
	s_and_not1_saveexec_b32 s2, s2
	s_cbranch_execz .LBB72_144
; %bb.143:
	v_mov_b32_e32 v164, 6
	ds_store_2addr_b64 v158, v[132:133], v[134:135] offset0:14 offset1:15
	ds_store_2addr_b64 v158, v[128:129], v[130:131] offset0:16 offset1:17
	;; [unrolled: 1-line block ×30, first 2 shown]
.LBB72_144:
	s_or_b32 exec_lo, exec_lo, s2
	s_delay_alu instid0(SALU_CYCLE_1)
	s_mov_b32 s2, exec_lo
	s_waitcnt lgkmcnt(0)
	s_waitcnt_vscnt null, 0x0
	s_barrier
	buffer_gl0_inv
	v_cmpx_lt_i32_e32 6, v164
	s_cbranch_execz .LBB72_146
; %bb.145:
	v_mul_f64 v[156:157], v[150:151], v[142:143]
	v_mul_f64 v[142:143], v[148:149], v[142:143]
	s_delay_alu instid0(VALU_DEP_2) | instskip(NEXT) | instid1(VALU_DEP_2)
	v_fma_f64 v[156:157], v[148:149], v[140:141], -v[156:157]
	v_fma_f64 v[142:143], v[150:151], v[140:141], v[142:143]
	ds_load_2addr_b64 v[148:151], v158 offset0:14 offset1:15
	s_waitcnt lgkmcnt(0)
	v_mul_f64 v[140:141], v[150:151], v[142:143]
	s_delay_alu instid0(VALU_DEP_1) | instskip(SKIP_1) | instid1(VALU_DEP_2)
	v_fma_f64 v[140:141], v[148:149], v[156:157], -v[140:141]
	v_mul_f64 v[148:149], v[148:149], v[142:143]
	v_add_f64 v[132:133], v[132:133], -v[140:141]
	s_delay_alu instid0(VALU_DEP_2) | instskip(NEXT) | instid1(VALU_DEP_1)
	v_fma_f64 v[148:149], v[150:151], v[156:157], v[148:149]
	v_add_f64 v[134:135], v[134:135], -v[148:149]
	ds_load_2addr_b64 v[148:151], v158 offset0:16 offset1:17
	s_waitcnt lgkmcnt(0)
	v_mul_f64 v[140:141], v[150:151], v[142:143]
	s_delay_alu instid0(VALU_DEP_1) | instskip(SKIP_1) | instid1(VALU_DEP_2)
	v_fma_f64 v[140:141], v[148:149], v[156:157], -v[140:141]
	v_mul_f64 v[148:149], v[148:149], v[142:143]
	v_add_f64 v[128:129], v[128:129], -v[140:141]
	s_delay_alu instid0(VALU_DEP_2) | instskip(NEXT) | instid1(VALU_DEP_1)
	v_fma_f64 v[148:149], v[150:151], v[156:157], v[148:149]
	v_add_f64 v[130:131], v[130:131], -v[148:149]
	ds_load_2addr_b64 v[148:151], v158 offset0:18 offset1:19
	s_waitcnt lgkmcnt(0)
	v_mul_f64 v[140:141], v[150:151], v[142:143]
	s_delay_alu instid0(VALU_DEP_1) | instskip(SKIP_1) | instid1(VALU_DEP_2)
	v_fma_f64 v[140:141], v[148:149], v[156:157], -v[140:141]
	v_mul_f64 v[148:149], v[148:149], v[142:143]
	v_add_f64 v[124:125], v[124:125], -v[140:141]
	s_delay_alu instid0(VALU_DEP_2) | instskip(NEXT) | instid1(VALU_DEP_1)
	v_fma_f64 v[148:149], v[150:151], v[156:157], v[148:149]
	v_add_f64 v[126:127], v[126:127], -v[148:149]
	ds_load_2addr_b64 v[148:151], v158 offset0:20 offset1:21
	s_waitcnt lgkmcnt(0)
	v_mul_f64 v[140:141], v[150:151], v[142:143]
	s_delay_alu instid0(VALU_DEP_1) | instskip(SKIP_1) | instid1(VALU_DEP_2)
	v_fma_f64 v[140:141], v[148:149], v[156:157], -v[140:141]
	v_mul_f64 v[148:149], v[148:149], v[142:143]
	v_add_f64 v[112:113], v[112:113], -v[140:141]
	s_delay_alu instid0(VALU_DEP_2) | instskip(NEXT) | instid1(VALU_DEP_1)
	v_fma_f64 v[148:149], v[150:151], v[156:157], v[148:149]
	v_add_f64 v[114:115], v[114:115], -v[148:149]
	ds_load_2addr_b64 v[148:151], v158 offset0:22 offset1:23
	s_waitcnt lgkmcnt(0)
	v_mul_f64 v[140:141], v[150:151], v[142:143]
	s_delay_alu instid0(VALU_DEP_1) | instskip(SKIP_1) | instid1(VALU_DEP_2)
	v_fma_f64 v[140:141], v[148:149], v[156:157], -v[140:141]
	v_mul_f64 v[148:149], v[148:149], v[142:143]
	v_add_f64 v[108:109], v[108:109], -v[140:141]
	s_delay_alu instid0(VALU_DEP_2) | instskip(NEXT) | instid1(VALU_DEP_1)
	v_fma_f64 v[148:149], v[150:151], v[156:157], v[148:149]
	v_add_f64 v[110:111], v[110:111], -v[148:149]
	ds_load_2addr_b64 v[148:151], v158 offset0:24 offset1:25
	s_waitcnt lgkmcnt(0)
	v_mul_f64 v[140:141], v[150:151], v[142:143]
	s_delay_alu instid0(VALU_DEP_1) | instskip(SKIP_1) | instid1(VALU_DEP_2)
	v_fma_f64 v[140:141], v[148:149], v[156:157], -v[140:141]
	v_mul_f64 v[148:149], v[148:149], v[142:143]
	v_add_f64 v[104:105], v[104:105], -v[140:141]
	s_delay_alu instid0(VALU_DEP_2) | instskip(NEXT) | instid1(VALU_DEP_1)
	v_fma_f64 v[148:149], v[150:151], v[156:157], v[148:149]
	v_add_f64 v[106:107], v[106:107], -v[148:149]
	ds_load_2addr_b64 v[148:151], v158 offset0:26 offset1:27
	s_waitcnt lgkmcnt(0)
	v_mul_f64 v[140:141], v[150:151], v[142:143]
	s_delay_alu instid0(VALU_DEP_1) | instskip(SKIP_1) | instid1(VALU_DEP_2)
	v_fma_f64 v[140:141], v[148:149], v[156:157], -v[140:141]
	v_mul_f64 v[148:149], v[148:149], v[142:143]
	v_add_f64 v[100:101], v[100:101], -v[140:141]
	s_delay_alu instid0(VALU_DEP_2) | instskip(NEXT) | instid1(VALU_DEP_1)
	v_fma_f64 v[148:149], v[150:151], v[156:157], v[148:149]
	v_add_f64 v[102:103], v[102:103], -v[148:149]
	ds_load_2addr_b64 v[148:151], v158 offset0:28 offset1:29
	s_waitcnt lgkmcnt(0)
	v_mul_f64 v[140:141], v[150:151], v[142:143]
	s_delay_alu instid0(VALU_DEP_1) | instskip(SKIP_1) | instid1(VALU_DEP_2)
	v_fma_f64 v[140:141], v[148:149], v[156:157], -v[140:141]
	v_mul_f64 v[148:149], v[148:149], v[142:143]
	v_add_f64 v[96:97], v[96:97], -v[140:141]
	s_delay_alu instid0(VALU_DEP_2) | instskip(NEXT) | instid1(VALU_DEP_1)
	v_fma_f64 v[148:149], v[150:151], v[156:157], v[148:149]
	v_add_f64 v[98:99], v[98:99], -v[148:149]
	ds_load_2addr_b64 v[148:151], v158 offset0:30 offset1:31
	s_waitcnt lgkmcnt(0)
	v_mul_f64 v[140:141], v[150:151], v[142:143]
	s_delay_alu instid0(VALU_DEP_1) | instskip(SKIP_1) | instid1(VALU_DEP_2)
	v_fma_f64 v[140:141], v[148:149], v[156:157], -v[140:141]
	v_mul_f64 v[148:149], v[148:149], v[142:143]
	v_add_f64 v[92:93], v[92:93], -v[140:141]
	s_delay_alu instid0(VALU_DEP_2) | instskip(NEXT) | instid1(VALU_DEP_1)
	v_fma_f64 v[148:149], v[150:151], v[156:157], v[148:149]
	v_add_f64 v[94:95], v[94:95], -v[148:149]
	ds_load_2addr_b64 v[148:151], v158 offset0:32 offset1:33
	s_waitcnt lgkmcnt(0)
	v_mul_f64 v[140:141], v[150:151], v[142:143]
	s_delay_alu instid0(VALU_DEP_1) | instskip(SKIP_1) | instid1(VALU_DEP_2)
	v_fma_f64 v[140:141], v[148:149], v[156:157], -v[140:141]
	v_mul_f64 v[148:149], v[148:149], v[142:143]
	v_add_f64 v[88:89], v[88:89], -v[140:141]
	s_delay_alu instid0(VALU_DEP_2) | instskip(NEXT) | instid1(VALU_DEP_1)
	v_fma_f64 v[148:149], v[150:151], v[156:157], v[148:149]
	v_add_f64 v[90:91], v[90:91], -v[148:149]
	ds_load_2addr_b64 v[148:151], v158 offset0:34 offset1:35
	s_waitcnt lgkmcnt(0)
	v_mul_f64 v[140:141], v[150:151], v[142:143]
	s_delay_alu instid0(VALU_DEP_1) | instskip(SKIP_1) | instid1(VALU_DEP_2)
	v_fma_f64 v[140:141], v[148:149], v[156:157], -v[140:141]
	v_mul_f64 v[148:149], v[148:149], v[142:143]
	v_add_f64 v[84:85], v[84:85], -v[140:141]
	s_delay_alu instid0(VALU_DEP_2) | instskip(NEXT) | instid1(VALU_DEP_1)
	v_fma_f64 v[148:149], v[150:151], v[156:157], v[148:149]
	v_add_f64 v[86:87], v[86:87], -v[148:149]
	ds_load_2addr_b64 v[148:151], v158 offset0:36 offset1:37
	s_waitcnt lgkmcnt(0)
	v_mul_f64 v[140:141], v[150:151], v[142:143]
	s_delay_alu instid0(VALU_DEP_1) | instskip(SKIP_1) | instid1(VALU_DEP_2)
	v_fma_f64 v[140:141], v[148:149], v[156:157], -v[140:141]
	v_mul_f64 v[148:149], v[148:149], v[142:143]
	v_add_f64 v[80:81], v[80:81], -v[140:141]
	s_delay_alu instid0(VALU_DEP_2) | instskip(NEXT) | instid1(VALU_DEP_1)
	v_fma_f64 v[148:149], v[150:151], v[156:157], v[148:149]
	v_add_f64 v[82:83], v[82:83], -v[148:149]
	ds_load_2addr_b64 v[148:151], v158 offset0:38 offset1:39
	s_waitcnt lgkmcnt(0)
	v_mul_f64 v[140:141], v[150:151], v[142:143]
	s_delay_alu instid0(VALU_DEP_1) | instskip(SKIP_1) | instid1(VALU_DEP_2)
	v_fma_f64 v[140:141], v[148:149], v[156:157], -v[140:141]
	v_mul_f64 v[148:149], v[148:149], v[142:143]
	v_add_f64 v[76:77], v[76:77], -v[140:141]
	s_delay_alu instid0(VALU_DEP_2) | instskip(NEXT) | instid1(VALU_DEP_1)
	v_fma_f64 v[148:149], v[150:151], v[156:157], v[148:149]
	v_add_f64 v[78:79], v[78:79], -v[148:149]
	ds_load_2addr_b64 v[148:151], v158 offset0:40 offset1:41
	s_waitcnt lgkmcnt(0)
	v_mul_f64 v[140:141], v[150:151], v[142:143]
	s_delay_alu instid0(VALU_DEP_1) | instskip(SKIP_1) | instid1(VALU_DEP_2)
	v_fma_f64 v[140:141], v[148:149], v[156:157], -v[140:141]
	v_mul_f64 v[148:149], v[148:149], v[142:143]
	v_add_f64 v[72:73], v[72:73], -v[140:141]
	s_delay_alu instid0(VALU_DEP_2) | instskip(NEXT) | instid1(VALU_DEP_1)
	v_fma_f64 v[148:149], v[150:151], v[156:157], v[148:149]
	v_add_f64 v[74:75], v[74:75], -v[148:149]
	ds_load_2addr_b64 v[148:151], v158 offset0:42 offset1:43
	s_waitcnt lgkmcnt(0)
	v_mul_f64 v[140:141], v[150:151], v[142:143]
	s_delay_alu instid0(VALU_DEP_1) | instskip(SKIP_1) | instid1(VALU_DEP_2)
	v_fma_f64 v[140:141], v[148:149], v[156:157], -v[140:141]
	v_mul_f64 v[148:149], v[148:149], v[142:143]
	v_add_f64 v[68:69], v[68:69], -v[140:141]
	s_delay_alu instid0(VALU_DEP_2) | instskip(NEXT) | instid1(VALU_DEP_1)
	v_fma_f64 v[148:149], v[150:151], v[156:157], v[148:149]
	v_add_f64 v[70:71], v[70:71], -v[148:149]
	ds_load_2addr_b64 v[148:151], v158 offset0:44 offset1:45
	s_waitcnt lgkmcnt(0)
	v_mul_f64 v[140:141], v[150:151], v[142:143]
	s_delay_alu instid0(VALU_DEP_1) | instskip(SKIP_1) | instid1(VALU_DEP_2)
	v_fma_f64 v[140:141], v[148:149], v[156:157], -v[140:141]
	v_mul_f64 v[148:149], v[148:149], v[142:143]
	v_add_f64 v[64:65], v[64:65], -v[140:141]
	s_delay_alu instid0(VALU_DEP_2) | instskip(NEXT) | instid1(VALU_DEP_1)
	v_fma_f64 v[148:149], v[150:151], v[156:157], v[148:149]
	v_add_f64 v[66:67], v[66:67], -v[148:149]
	ds_load_2addr_b64 v[148:151], v158 offset0:46 offset1:47
	s_waitcnt lgkmcnt(0)
	v_mul_f64 v[140:141], v[150:151], v[142:143]
	s_delay_alu instid0(VALU_DEP_1) | instskip(SKIP_1) | instid1(VALU_DEP_2)
	v_fma_f64 v[140:141], v[148:149], v[156:157], -v[140:141]
	v_mul_f64 v[148:149], v[148:149], v[142:143]
	v_add_f64 v[60:61], v[60:61], -v[140:141]
	s_delay_alu instid0(VALU_DEP_2) | instskip(NEXT) | instid1(VALU_DEP_1)
	v_fma_f64 v[148:149], v[150:151], v[156:157], v[148:149]
	v_add_f64 v[62:63], v[62:63], -v[148:149]
	ds_load_2addr_b64 v[148:151], v158 offset0:48 offset1:49
	s_waitcnt lgkmcnt(0)
	v_mul_f64 v[140:141], v[150:151], v[142:143]
	s_delay_alu instid0(VALU_DEP_1) | instskip(SKIP_1) | instid1(VALU_DEP_2)
	v_fma_f64 v[140:141], v[148:149], v[156:157], -v[140:141]
	v_mul_f64 v[148:149], v[148:149], v[142:143]
	v_add_f64 v[56:57], v[56:57], -v[140:141]
	s_delay_alu instid0(VALU_DEP_2) | instskip(NEXT) | instid1(VALU_DEP_1)
	v_fma_f64 v[148:149], v[150:151], v[156:157], v[148:149]
	v_add_f64 v[58:59], v[58:59], -v[148:149]
	ds_load_2addr_b64 v[148:151], v158 offset0:50 offset1:51
	s_waitcnt lgkmcnt(0)
	v_mul_f64 v[140:141], v[150:151], v[142:143]
	s_delay_alu instid0(VALU_DEP_1) | instskip(SKIP_1) | instid1(VALU_DEP_2)
	v_fma_f64 v[140:141], v[148:149], v[156:157], -v[140:141]
	v_mul_f64 v[148:149], v[148:149], v[142:143]
	v_add_f64 v[44:45], v[44:45], -v[140:141]
	s_delay_alu instid0(VALU_DEP_2) | instskip(NEXT) | instid1(VALU_DEP_1)
	v_fma_f64 v[148:149], v[150:151], v[156:157], v[148:149]
	v_add_f64 v[46:47], v[46:47], -v[148:149]
	ds_load_2addr_b64 v[148:151], v158 offset0:52 offset1:53
	s_waitcnt lgkmcnt(0)
	v_mul_f64 v[140:141], v[150:151], v[142:143]
	s_delay_alu instid0(VALU_DEP_1) | instskip(SKIP_1) | instid1(VALU_DEP_2)
	v_fma_f64 v[140:141], v[148:149], v[156:157], -v[140:141]
	v_mul_f64 v[148:149], v[148:149], v[142:143]
	v_add_f64 v[40:41], v[40:41], -v[140:141]
	s_delay_alu instid0(VALU_DEP_2) | instskip(NEXT) | instid1(VALU_DEP_1)
	v_fma_f64 v[148:149], v[150:151], v[156:157], v[148:149]
	v_add_f64 v[42:43], v[42:43], -v[148:149]
	ds_load_2addr_b64 v[148:151], v158 offset0:54 offset1:55
	s_waitcnt lgkmcnt(0)
	v_mul_f64 v[140:141], v[150:151], v[142:143]
	s_delay_alu instid0(VALU_DEP_1) | instskip(SKIP_1) | instid1(VALU_DEP_2)
	v_fma_f64 v[140:141], v[148:149], v[156:157], -v[140:141]
	v_mul_f64 v[148:149], v[148:149], v[142:143]
	v_add_f64 v[36:37], v[36:37], -v[140:141]
	s_delay_alu instid0(VALU_DEP_2) | instskip(NEXT) | instid1(VALU_DEP_1)
	v_fma_f64 v[148:149], v[150:151], v[156:157], v[148:149]
	v_add_f64 v[38:39], v[38:39], -v[148:149]
	ds_load_2addr_b64 v[148:151], v158 offset0:56 offset1:57
	s_waitcnt lgkmcnt(0)
	v_mul_f64 v[140:141], v[150:151], v[142:143]
	s_delay_alu instid0(VALU_DEP_1) | instskip(SKIP_1) | instid1(VALU_DEP_2)
	v_fma_f64 v[140:141], v[148:149], v[156:157], -v[140:141]
	v_mul_f64 v[148:149], v[148:149], v[142:143]
	v_add_f64 v[32:33], v[32:33], -v[140:141]
	s_delay_alu instid0(VALU_DEP_2) | instskip(NEXT) | instid1(VALU_DEP_1)
	v_fma_f64 v[148:149], v[150:151], v[156:157], v[148:149]
	v_add_f64 v[34:35], v[34:35], -v[148:149]
	ds_load_2addr_b64 v[148:151], v158 offset0:58 offset1:59
	s_waitcnt lgkmcnt(0)
	v_mul_f64 v[140:141], v[150:151], v[142:143]
	s_delay_alu instid0(VALU_DEP_1) | instskip(SKIP_1) | instid1(VALU_DEP_2)
	v_fma_f64 v[140:141], v[148:149], v[156:157], -v[140:141]
	v_mul_f64 v[148:149], v[148:149], v[142:143]
	v_add_f64 v[28:29], v[28:29], -v[140:141]
	s_delay_alu instid0(VALU_DEP_2) | instskip(NEXT) | instid1(VALU_DEP_1)
	v_fma_f64 v[148:149], v[150:151], v[156:157], v[148:149]
	v_add_f64 v[30:31], v[30:31], -v[148:149]
	ds_load_2addr_b64 v[148:151], v158 offset0:60 offset1:61
	s_waitcnt lgkmcnt(0)
	v_mul_f64 v[140:141], v[150:151], v[142:143]
	s_delay_alu instid0(VALU_DEP_1) | instskip(SKIP_1) | instid1(VALU_DEP_2)
	v_fma_f64 v[140:141], v[148:149], v[156:157], -v[140:141]
	v_mul_f64 v[148:149], v[148:149], v[142:143]
	v_add_f64 v[24:25], v[24:25], -v[140:141]
	s_delay_alu instid0(VALU_DEP_2) | instskip(NEXT) | instid1(VALU_DEP_1)
	v_fma_f64 v[148:149], v[150:151], v[156:157], v[148:149]
	v_add_f64 v[26:27], v[26:27], -v[148:149]
	ds_load_2addr_b64 v[148:151], v158 offset0:62 offset1:63
	s_waitcnt lgkmcnt(0)
	v_mul_f64 v[140:141], v[150:151], v[142:143]
	s_delay_alu instid0(VALU_DEP_1) | instskip(SKIP_1) | instid1(VALU_DEP_2)
	v_fma_f64 v[140:141], v[148:149], v[156:157], -v[140:141]
	v_mul_f64 v[148:149], v[148:149], v[142:143]
	v_add_f64 v[20:21], v[20:21], -v[140:141]
	s_delay_alu instid0(VALU_DEP_2) | instskip(NEXT) | instid1(VALU_DEP_1)
	v_fma_f64 v[148:149], v[150:151], v[156:157], v[148:149]
	v_add_f64 v[22:23], v[22:23], -v[148:149]
	ds_load_2addr_b64 v[148:151], v158 offset0:64 offset1:65
	s_waitcnt lgkmcnt(0)
	v_mul_f64 v[140:141], v[150:151], v[142:143]
	s_delay_alu instid0(VALU_DEP_1) | instskip(SKIP_1) | instid1(VALU_DEP_2)
	v_fma_f64 v[140:141], v[148:149], v[156:157], -v[140:141]
	v_mul_f64 v[148:149], v[148:149], v[142:143]
	v_add_f64 v[16:17], v[16:17], -v[140:141]
	s_delay_alu instid0(VALU_DEP_2) | instskip(NEXT) | instid1(VALU_DEP_1)
	v_fma_f64 v[148:149], v[150:151], v[156:157], v[148:149]
	v_add_f64 v[18:19], v[18:19], -v[148:149]
	ds_load_2addr_b64 v[148:151], v158 offset0:66 offset1:67
	s_waitcnt lgkmcnt(0)
	v_mul_f64 v[140:141], v[150:151], v[142:143]
	s_delay_alu instid0(VALU_DEP_1) | instskip(SKIP_1) | instid1(VALU_DEP_2)
	v_fma_f64 v[140:141], v[148:149], v[156:157], -v[140:141]
	v_mul_f64 v[148:149], v[148:149], v[142:143]
	v_add_f64 v[12:13], v[12:13], -v[140:141]
	s_delay_alu instid0(VALU_DEP_2) | instskip(NEXT) | instid1(VALU_DEP_1)
	v_fma_f64 v[148:149], v[150:151], v[156:157], v[148:149]
	v_add_f64 v[14:15], v[14:15], -v[148:149]
	ds_load_2addr_b64 v[148:151], v158 offset0:68 offset1:69
	s_waitcnt lgkmcnt(0)
	v_mul_f64 v[140:141], v[150:151], v[142:143]
	s_delay_alu instid0(VALU_DEP_1) | instskip(SKIP_1) | instid1(VALU_DEP_2)
	v_fma_f64 v[140:141], v[148:149], v[156:157], -v[140:141]
	v_mul_f64 v[148:149], v[148:149], v[142:143]
	v_add_f64 v[8:9], v[8:9], -v[140:141]
	s_delay_alu instid0(VALU_DEP_2) | instskip(NEXT) | instid1(VALU_DEP_1)
	v_fma_f64 v[148:149], v[150:151], v[156:157], v[148:149]
	v_add_f64 v[10:11], v[10:11], -v[148:149]
	ds_load_2addr_b64 v[148:151], v158 offset0:70 offset1:71
	s_waitcnt lgkmcnt(0)
	v_mul_f64 v[140:141], v[150:151], v[142:143]
	s_delay_alu instid0(VALU_DEP_1) | instskip(SKIP_1) | instid1(VALU_DEP_2)
	v_fma_f64 v[140:141], v[148:149], v[156:157], -v[140:141]
	v_mul_f64 v[148:149], v[148:149], v[142:143]
	v_add_f64 v[4:5], v[4:5], -v[140:141]
	s_delay_alu instid0(VALU_DEP_2) | instskip(NEXT) | instid1(VALU_DEP_1)
	v_fma_f64 v[148:149], v[150:151], v[156:157], v[148:149]
	v_add_f64 v[6:7], v[6:7], -v[148:149]
	ds_load_2addr_b64 v[148:151], v158 offset0:72 offset1:73
	s_waitcnt lgkmcnt(0)
	v_mul_f64 v[140:141], v[150:151], v[142:143]
	s_delay_alu instid0(VALU_DEP_1) | instskip(SKIP_1) | instid1(VALU_DEP_2)
	v_fma_f64 v[140:141], v[148:149], v[156:157], -v[140:141]
	v_mul_f64 v[148:149], v[148:149], v[142:143]
	v_add_f64 v[0:1], v[0:1], -v[140:141]
	s_delay_alu instid0(VALU_DEP_2) | instskip(SKIP_1) | instid1(VALU_DEP_2)
	v_fma_f64 v[148:149], v[150:151], v[156:157], v[148:149]
	v_dual_mov_b32 v140, v156 :: v_dual_mov_b32 v141, v157
	v_add_f64 v[2:3], v[2:3], -v[148:149]
.LBB72_146:
	s_or_b32 exec_lo, exec_lo, s2
	v_lshl_add_u32 v148, v164, 4, v158
	s_barrier
	buffer_gl0_inv
	v_mov_b32_e32 v156, 7
	ds_store_2addr_b64 v148, v[132:133], v[134:135] offset1:1
	s_waitcnt lgkmcnt(0)
	s_barrier
	buffer_gl0_inv
	ds_load_2addr_b64 v[148:151], v158 offset0:14 offset1:15
	s_cmp_lt_i32 s5, 9
	s_cbranch_scc1 .LBB72_149
; %bb.147:
	v_add3_u32 v157, v162, 0, 0x80
	v_mov_b32_e32 v156, 7
	s_mov_b32 s6, 8
	s_set_inst_prefetch_distance 0x1
	.p2align	6
.LBB72_148:                             ; =>This Inner Loop Header: Depth=1
	ds_load_2addr_b64 v[165:168], v157 offset1:1
	s_waitcnt lgkmcnt(1)
	v_cmp_gt_f64_e32 vcc_lo, 0, v[148:149]
	v_xor_b32_e32 v169, 0x80000000, v149
	v_cmp_gt_f64_e64 s2, 0, v[150:151]
	v_xor_b32_e32 v171, 0x80000000, v151
	v_add_nc_u32_e32 v157, 16, v157
	s_waitcnt lgkmcnt(0)
	v_cmp_gt_f64_e64 s3, 0, v[165:166]
	v_mov_b32_e32 v173, v165
	v_dual_mov_b32 v175, v167 :: v_dual_cndmask_b32 v170, v149, v169
	v_xor_b32_e32 v169, 0x80000000, v166
	v_cndmask_b32_e64 v172, v151, v171, s2
	v_xor_b32_e32 v171, 0x80000000, v168
	s_delay_alu instid0(VALU_DEP_3) | instskip(SKIP_2) | instid1(VALU_DEP_2)
	v_cndmask_b32_e64 v174, v166, v169, s3
	v_cmp_gt_f64_e64 s3, 0, v[167:168]
	v_cndmask_b32_e32 v169, v148, v148, vcc_lo
	v_cndmask_b32_e64 v176, v168, v171, s3
	v_cndmask_b32_e64 v171, v150, v150, s2
	s_delay_alu instid0(VALU_DEP_2) | instskip(NEXT) | instid1(VALU_DEP_2)
	v_add_f64 v[173:174], v[173:174], v[175:176]
	v_add_f64 v[169:170], v[169:170], v[171:172]
	s_delay_alu instid0(VALU_DEP_1) | instskip(SKIP_4) | instid1(SALU_CYCLE_1)
	v_cmp_lt_f64_e32 vcc_lo, v[169:170], v[173:174]
	v_dual_cndmask_b32 v150, v150, v167 :: v_dual_cndmask_b32 v149, v149, v166
	v_dual_cndmask_b32 v148, v148, v165 :: v_dual_cndmask_b32 v151, v151, v168
	v_cndmask_b32_e64 v156, v156, s6, vcc_lo
	s_add_i32 s6, s6, 1
	s_cmp_lg_u32 s5, s6
	s_cbranch_scc1 .LBB72_148
.LBB72_149:
	s_set_inst_prefetch_distance 0x2
	s_waitcnt lgkmcnt(0)
	v_cmp_eq_f64_e32 vcc_lo, 0, v[148:149]
	v_cmp_eq_f64_e64 s2, 0, v[150:151]
	s_delay_alu instid0(VALU_DEP_1) | instskip(NEXT) | instid1(SALU_CYCLE_1)
	s_and_b32 s2, vcc_lo, s2
	s_and_saveexec_b32 s3, s2
	s_delay_alu instid0(SALU_CYCLE_1)
	s_xor_b32 s2, exec_lo, s3
; %bb.150:
	v_cmp_ne_u32_e32 vcc_lo, 0, v161
	v_cndmask_b32_e32 v161, 8, v161, vcc_lo
; %bb.151:
	s_and_not1_saveexec_b32 s3, s2
	s_cbranch_execz .LBB72_157
; %bb.152:
	v_cmp_gt_f64_e32 vcc_lo, 0, v[148:149]
	v_cmp_gt_f64_e64 s2, 0, v[150:151]
	v_xor_b32_e32 v157, 0x80000000, v149
	v_xor_b32_e32 v165, 0x80000000, v151
	s_delay_alu instid0(VALU_DEP_2) | instskip(NEXT) | instid1(VALU_DEP_2)
	v_cndmask_b32_e32 v166, v149, v157, vcc_lo
	v_cndmask_b32_e64 v168, v151, v165, s2
	v_cndmask_b32_e32 v165, v148, v148, vcc_lo
	v_cndmask_b32_e64 v167, v150, v150, s2
	s_mov_b32 s2, exec_lo
	s_delay_alu instid0(VALU_DEP_1)
	v_cmpx_ngt_f64_e32 v[165:166], v[167:168]
	s_xor_b32 s2, exec_lo, s2
	s_cbranch_execz .LBB72_154
; %bb.153:
	v_div_scale_f64 v[165:166], null, v[150:151], v[150:151], v[148:149]
	v_div_scale_f64 v[171:172], vcc_lo, v[148:149], v[150:151], v[148:149]
	s_delay_alu instid0(VALU_DEP_2) | instskip(SKIP_2) | instid1(VALU_DEP_1)
	v_rcp_f64_e32 v[167:168], v[165:166]
	s_waitcnt_depctr 0xfff
	v_fma_f64 v[169:170], -v[165:166], v[167:168], 1.0
	v_fma_f64 v[167:168], v[167:168], v[169:170], v[167:168]
	s_delay_alu instid0(VALU_DEP_1) | instskip(NEXT) | instid1(VALU_DEP_1)
	v_fma_f64 v[169:170], -v[165:166], v[167:168], 1.0
	v_fma_f64 v[167:168], v[167:168], v[169:170], v[167:168]
	s_delay_alu instid0(VALU_DEP_1) | instskip(NEXT) | instid1(VALU_DEP_1)
	v_mul_f64 v[169:170], v[171:172], v[167:168]
	v_fma_f64 v[165:166], -v[165:166], v[169:170], v[171:172]
	s_delay_alu instid0(VALU_DEP_1) | instskip(NEXT) | instid1(VALU_DEP_1)
	v_div_fmas_f64 v[165:166], v[165:166], v[167:168], v[169:170]
	v_div_fixup_f64 v[165:166], v[165:166], v[150:151], v[148:149]
	s_delay_alu instid0(VALU_DEP_1) | instskip(NEXT) | instid1(VALU_DEP_1)
	v_fma_f64 v[148:149], v[148:149], v[165:166], v[150:151]
	v_div_scale_f64 v[150:151], null, v[148:149], v[148:149], 1.0
	s_delay_alu instid0(VALU_DEP_1) | instskip(SKIP_2) | instid1(VALU_DEP_1)
	v_rcp_f64_e32 v[167:168], v[150:151]
	s_waitcnt_depctr 0xfff
	v_fma_f64 v[169:170], -v[150:151], v[167:168], 1.0
	v_fma_f64 v[167:168], v[167:168], v[169:170], v[167:168]
	s_delay_alu instid0(VALU_DEP_1) | instskip(NEXT) | instid1(VALU_DEP_1)
	v_fma_f64 v[169:170], -v[150:151], v[167:168], 1.0
	v_fma_f64 v[167:168], v[167:168], v[169:170], v[167:168]
	v_div_scale_f64 v[169:170], vcc_lo, 1.0, v[148:149], 1.0
	s_delay_alu instid0(VALU_DEP_1) | instskip(NEXT) | instid1(VALU_DEP_1)
	v_mul_f64 v[171:172], v[169:170], v[167:168]
	v_fma_f64 v[150:151], -v[150:151], v[171:172], v[169:170]
	s_delay_alu instid0(VALU_DEP_1) | instskip(NEXT) | instid1(VALU_DEP_1)
	v_div_fmas_f64 v[150:151], v[150:151], v[167:168], v[171:172]
	v_div_fixup_f64 v[150:151], v[150:151], v[148:149], 1.0
	s_delay_alu instid0(VALU_DEP_1)
	v_mul_f64 v[148:149], v[165:166], v[150:151]
	v_xor_b32_e32 v151, 0x80000000, v151
.LBB72_154:
	s_and_not1_saveexec_b32 s2, s2
	s_cbranch_execz .LBB72_156
; %bb.155:
	s_delay_alu instid0(VALU_DEP_1) | instskip(SKIP_1) | instid1(VALU_DEP_2)
	v_div_scale_f64 v[165:166], null, v[148:149], v[148:149], v[150:151]
	v_div_scale_f64 v[171:172], vcc_lo, v[150:151], v[148:149], v[150:151]
	v_rcp_f64_e32 v[167:168], v[165:166]
	s_waitcnt_depctr 0xfff
	v_fma_f64 v[169:170], -v[165:166], v[167:168], 1.0
	s_delay_alu instid0(VALU_DEP_1) | instskip(NEXT) | instid1(VALU_DEP_1)
	v_fma_f64 v[167:168], v[167:168], v[169:170], v[167:168]
	v_fma_f64 v[169:170], -v[165:166], v[167:168], 1.0
	s_delay_alu instid0(VALU_DEP_1) | instskip(NEXT) | instid1(VALU_DEP_1)
	v_fma_f64 v[167:168], v[167:168], v[169:170], v[167:168]
	v_mul_f64 v[169:170], v[171:172], v[167:168]
	s_delay_alu instid0(VALU_DEP_1) | instskip(NEXT) | instid1(VALU_DEP_1)
	v_fma_f64 v[165:166], -v[165:166], v[169:170], v[171:172]
	v_div_fmas_f64 v[165:166], v[165:166], v[167:168], v[169:170]
	s_delay_alu instid0(VALU_DEP_1) | instskip(NEXT) | instid1(VALU_DEP_1)
	v_div_fixup_f64 v[165:166], v[165:166], v[148:149], v[150:151]
	v_fma_f64 v[148:149], v[150:151], v[165:166], v[148:149]
	s_delay_alu instid0(VALU_DEP_1) | instskip(NEXT) | instid1(VALU_DEP_1)
	v_div_scale_f64 v[150:151], null, v[148:149], v[148:149], 1.0
	v_rcp_f64_e32 v[167:168], v[150:151]
	s_waitcnt_depctr 0xfff
	v_fma_f64 v[169:170], -v[150:151], v[167:168], 1.0
	s_delay_alu instid0(VALU_DEP_1) | instskip(NEXT) | instid1(VALU_DEP_1)
	v_fma_f64 v[167:168], v[167:168], v[169:170], v[167:168]
	v_fma_f64 v[169:170], -v[150:151], v[167:168], 1.0
	s_delay_alu instid0(VALU_DEP_1) | instskip(SKIP_1) | instid1(VALU_DEP_1)
	v_fma_f64 v[167:168], v[167:168], v[169:170], v[167:168]
	v_div_scale_f64 v[169:170], vcc_lo, 1.0, v[148:149], 1.0
	v_mul_f64 v[171:172], v[169:170], v[167:168]
	s_delay_alu instid0(VALU_DEP_1) | instskip(NEXT) | instid1(VALU_DEP_1)
	v_fma_f64 v[150:151], -v[150:151], v[171:172], v[169:170]
	v_div_fmas_f64 v[150:151], v[150:151], v[167:168], v[171:172]
	s_delay_alu instid0(VALU_DEP_1) | instskip(NEXT) | instid1(VALU_DEP_1)
	v_div_fixup_f64 v[148:149], v[150:151], v[148:149], 1.0
	v_mul_f64 v[150:151], v[165:166], -v[148:149]
.LBB72_156:
	s_or_b32 exec_lo, exec_lo, s2
.LBB72_157:
	s_delay_alu instid0(SALU_CYCLE_1) | instskip(NEXT) | instid1(SALU_CYCLE_1)
	s_or_b32 exec_lo, exec_lo, s3
	s_mov_b32 s2, exec_lo
	v_cmpx_ne_u32_e64 v164, v156
	s_xor_b32 s2, exec_lo, s2
	s_cbranch_execz .LBB72_163
; %bb.158:
	s_mov_b32 s3, exec_lo
	v_cmpx_eq_u32_e32 7, v164
	s_cbranch_execz .LBB72_162
; %bb.159:
	v_cmp_ne_u32_e32 vcc_lo, 7, v156
	s_xor_b32 s6, s4, -1
	s_delay_alu instid0(SALU_CYCLE_1) | instskip(NEXT) | instid1(SALU_CYCLE_1)
	s_and_b32 s7, s6, vcc_lo
	s_and_saveexec_b32 s6, s7
	s_cbranch_execz .LBB72_161
; %bb.160:
	v_ashrrev_i32_e32 v157, 31, v156
	s_delay_alu instid0(VALU_DEP_1) | instskip(NEXT) | instid1(VALU_DEP_1)
	v_lshlrev_b64 v[163:164], 2, v[156:157]
	v_add_co_u32 v163, vcc_lo, v154, v163
	s_delay_alu instid0(VALU_DEP_2)
	v_add_co_ci_u32_e32 v164, vcc_lo, v155, v164, vcc_lo
	s_clause 0x1
	flat_load_b32 v157, v[163:164]
	flat_load_b32 v165, v[154:155] offset:28
	s_waitcnt vmcnt(1) lgkmcnt(1)
	flat_store_b32 v[154:155], v157 offset:28
	s_waitcnt vmcnt(0) lgkmcnt(1)
	flat_store_b32 v[163:164], v165
.LBB72_161:
	s_or_b32 exec_lo, exec_lo, s6
	v_mov_b32_e32 v164, v156
	v_mov_b32_e32 v163, v156
.LBB72_162:
	s_or_b32 exec_lo, exec_lo, s3
.LBB72_163:
	s_and_not1_saveexec_b32 s2, s2
	s_cbranch_execz .LBB72_165
; %bb.164:
	v_mov_b32_e32 v164, 7
	ds_store_2addr_b64 v158, v[128:129], v[130:131] offset0:16 offset1:17
	ds_store_2addr_b64 v158, v[124:125], v[126:127] offset0:18 offset1:19
	;; [unrolled: 1-line block ×29, first 2 shown]
.LBB72_165:
	s_or_b32 exec_lo, exec_lo, s2
	s_delay_alu instid0(SALU_CYCLE_1)
	s_mov_b32 s2, exec_lo
	s_waitcnt lgkmcnt(0)
	s_waitcnt_vscnt null, 0x0
	s_barrier
	buffer_gl0_inv
	v_cmpx_lt_i32_e32 7, v164
	s_cbranch_execz .LBB72_167
; %bb.166:
	v_mul_f64 v[156:157], v[150:151], v[134:135]
	v_mul_f64 v[134:135], v[148:149], v[134:135]
	s_delay_alu instid0(VALU_DEP_2) | instskip(NEXT) | instid1(VALU_DEP_2)
	v_fma_f64 v[156:157], v[148:149], v[132:133], -v[156:157]
	v_fma_f64 v[134:135], v[150:151], v[132:133], v[134:135]
	ds_load_2addr_b64 v[148:151], v158 offset0:16 offset1:17
	s_waitcnt lgkmcnt(0)
	v_mul_f64 v[132:133], v[150:151], v[134:135]
	s_delay_alu instid0(VALU_DEP_1) | instskip(SKIP_1) | instid1(VALU_DEP_2)
	v_fma_f64 v[132:133], v[148:149], v[156:157], -v[132:133]
	v_mul_f64 v[148:149], v[148:149], v[134:135]
	v_add_f64 v[128:129], v[128:129], -v[132:133]
	s_delay_alu instid0(VALU_DEP_2) | instskip(NEXT) | instid1(VALU_DEP_1)
	v_fma_f64 v[148:149], v[150:151], v[156:157], v[148:149]
	v_add_f64 v[130:131], v[130:131], -v[148:149]
	ds_load_2addr_b64 v[148:151], v158 offset0:18 offset1:19
	s_waitcnt lgkmcnt(0)
	v_mul_f64 v[132:133], v[150:151], v[134:135]
	s_delay_alu instid0(VALU_DEP_1) | instskip(SKIP_1) | instid1(VALU_DEP_2)
	v_fma_f64 v[132:133], v[148:149], v[156:157], -v[132:133]
	v_mul_f64 v[148:149], v[148:149], v[134:135]
	v_add_f64 v[124:125], v[124:125], -v[132:133]
	s_delay_alu instid0(VALU_DEP_2) | instskip(NEXT) | instid1(VALU_DEP_1)
	v_fma_f64 v[148:149], v[150:151], v[156:157], v[148:149]
	v_add_f64 v[126:127], v[126:127], -v[148:149]
	;; [unrolled: 10-line block ×28, first 2 shown]
	ds_load_2addr_b64 v[148:151], v158 offset0:72 offset1:73
	s_waitcnt lgkmcnt(0)
	v_mul_f64 v[132:133], v[150:151], v[134:135]
	s_delay_alu instid0(VALU_DEP_1) | instskip(SKIP_1) | instid1(VALU_DEP_2)
	v_fma_f64 v[132:133], v[148:149], v[156:157], -v[132:133]
	v_mul_f64 v[148:149], v[148:149], v[134:135]
	v_add_f64 v[0:1], v[0:1], -v[132:133]
	s_delay_alu instid0(VALU_DEP_2) | instskip(SKIP_1) | instid1(VALU_DEP_2)
	v_fma_f64 v[148:149], v[150:151], v[156:157], v[148:149]
	v_dual_mov_b32 v132, v156 :: v_dual_mov_b32 v133, v157
	v_add_f64 v[2:3], v[2:3], -v[148:149]
.LBB72_167:
	s_or_b32 exec_lo, exec_lo, s2
	v_lshl_add_u32 v148, v164, 4, v158
	s_barrier
	buffer_gl0_inv
	v_mov_b32_e32 v156, 8
	ds_store_2addr_b64 v148, v[128:129], v[130:131] offset1:1
	s_waitcnt lgkmcnt(0)
	s_barrier
	buffer_gl0_inv
	ds_load_2addr_b64 v[148:151], v158 offset0:16 offset1:17
	s_cmp_lt_i32 s5, 10
	s_cbranch_scc1 .LBB72_170
; %bb.168:
	v_add3_u32 v157, v162, 0, 0x90
	v_mov_b32_e32 v156, 8
	s_mov_b32 s6, 9
	s_set_inst_prefetch_distance 0x1
	.p2align	6
.LBB72_169:                             ; =>This Inner Loop Header: Depth=1
	ds_load_2addr_b64 v[165:168], v157 offset1:1
	s_waitcnt lgkmcnt(1)
	v_cmp_gt_f64_e32 vcc_lo, 0, v[148:149]
	v_xor_b32_e32 v169, 0x80000000, v149
	v_cmp_gt_f64_e64 s2, 0, v[150:151]
	v_xor_b32_e32 v171, 0x80000000, v151
	v_add_nc_u32_e32 v157, 16, v157
	s_waitcnt lgkmcnt(0)
	v_cmp_gt_f64_e64 s3, 0, v[165:166]
	v_mov_b32_e32 v173, v165
	v_dual_mov_b32 v175, v167 :: v_dual_cndmask_b32 v170, v149, v169
	v_xor_b32_e32 v169, 0x80000000, v166
	v_cndmask_b32_e64 v172, v151, v171, s2
	v_xor_b32_e32 v171, 0x80000000, v168
	s_delay_alu instid0(VALU_DEP_3) | instskip(SKIP_2) | instid1(VALU_DEP_2)
	v_cndmask_b32_e64 v174, v166, v169, s3
	v_cmp_gt_f64_e64 s3, 0, v[167:168]
	v_cndmask_b32_e32 v169, v148, v148, vcc_lo
	v_cndmask_b32_e64 v176, v168, v171, s3
	v_cndmask_b32_e64 v171, v150, v150, s2
	s_delay_alu instid0(VALU_DEP_2) | instskip(NEXT) | instid1(VALU_DEP_2)
	v_add_f64 v[173:174], v[173:174], v[175:176]
	v_add_f64 v[169:170], v[169:170], v[171:172]
	s_delay_alu instid0(VALU_DEP_1) | instskip(SKIP_4) | instid1(SALU_CYCLE_1)
	v_cmp_lt_f64_e32 vcc_lo, v[169:170], v[173:174]
	v_dual_cndmask_b32 v150, v150, v167 :: v_dual_cndmask_b32 v149, v149, v166
	v_dual_cndmask_b32 v148, v148, v165 :: v_dual_cndmask_b32 v151, v151, v168
	v_cndmask_b32_e64 v156, v156, s6, vcc_lo
	s_add_i32 s6, s6, 1
	s_cmp_lg_u32 s5, s6
	s_cbranch_scc1 .LBB72_169
.LBB72_170:
	s_set_inst_prefetch_distance 0x2
	s_waitcnt lgkmcnt(0)
	v_cmp_eq_f64_e32 vcc_lo, 0, v[148:149]
	v_cmp_eq_f64_e64 s2, 0, v[150:151]
	s_delay_alu instid0(VALU_DEP_1) | instskip(NEXT) | instid1(SALU_CYCLE_1)
	s_and_b32 s2, vcc_lo, s2
	s_and_saveexec_b32 s3, s2
	s_delay_alu instid0(SALU_CYCLE_1)
	s_xor_b32 s2, exec_lo, s3
; %bb.171:
	v_cmp_ne_u32_e32 vcc_lo, 0, v161
	v_cndmask_b32_e32 v161, 9, v161, vcc_lo
; %bb.172:
	s_and_not1_saveexec_b32 s3, s2
	s_cbranch_execz .LBB72_178
; %bb.173:
	v_cmp_gt_f64_e32 vcc_lo, 0, v[148:149]
	v_cmp_gt_f64_e64 s2, 0, v[150:151]
	v_xor_b32_e32 v157, 0x80000000, v149
	v_xor_b32_e32 v165, 0x80000000, v151
	s_delay_alu instid0(VALU_DEP_2) | instskip(NEXT) | instid1(VALU_DEP_2)
	v_cndmask_b32_e32 v166, v149, v157, vcc_lo
	v_cndmask_b32_e64 v168, v151, v165, s2
	v_cndmask_b32_e32 v165, v148, v148, vcc_lo
	v_cndmask_b32_e64 v167, v150, v150, s2
	s_mov_b32 s2, exec_lo
	s_delay_alu instid0(VALU_DEP_1)
	v_cmpx_ngt_f64_e32 v[165:166], v[167:168]
	s_xor_b32 s2, exec_lo, s2
	s_cbranch_execz .LBB72_175
; %bb.174:
	v_div_scale_f64 v[165:166], null, v[150:151], v[150:151], v[148:149]
	v_div_scale_f64 v[171:172], vcc_lo, v[148:149], v[150:151], v[148:149]
	s_delay_alu instid0(VALU_DEP_2) | instskip(SKIP_2) | instid1(VALU_DEP_1)
	v_rcp_f64_e32 v[167:168], v[165:166]
	s_waitcnt_depctr 0xfff
	v_fma_f64 v[169:170], -v[165:166], v[167:168], 1.0
	v_fma_f64 v[167:168], v[167:168], v[169:170], v[167:168]
	s_delay_alu instid0(VALU_DEP_1) | instskip(NEXT) | instid1(VALU_DEP_1)
	v_fma_f64 v[169:170], -v[165:166], v[167:168], 1.0
	v_fma_f64 v[167:168], v[167:168], v[169:170], v[167:168]
	s_delay_alu instid0(VALU_DEP_1) | instskip(NEXT) | instid1(VALU_DEP_1)
	v_mul_f64 v[169:170], v[171:172], v[167:168]
	v_fma_f64 v[165:166], -v[165:166], v[169:170], v[171:172]
	s_delay_alu instid0(VALU_DEP_1) | instskip(NEXT) | instid1(VALU_DEP_1)
	v_div_fmas_f64 v[165:166], v[165:166], v[167:168], v[169:170]
	v_div_fixup_f64 v[165:166], v[165:166], v[150:151], v[148:149]
	s_delay_alu instid0(VALU_DEP_1) | instskip(NEXT) | instid1(VALU_DEP_1)
	v_fma_f64 v[148:149], v[148:149], v[165:166], v[150:151]
	v_div_scale_f64 v[150:151], null, v[148:149], v[148:149], 1.0
	s_delay_alu instid0(VALU_DEP_1) | instskip(SKIP_2) | instid1(VALU_DEP_1)
	v_rcp_f64_e32 v[167:168], v[150:151]
	s_waitcnt_depctr 0xfff
	v_fma_f64 v[169:170], -v[150:151], v[167:168], 1.0
	v_fma_f64 v[167:168], v[167:168], v[169:170], v[167:168]
	s_delay_alu instid0(VALU_DEP_1) | instskip(NEXT) | instid1(VALU_DEP_1)
	v_fma_f64 v[169:170], -v[150:151], v[167:168], 1.0
	v_fma_f64 v[167:168], v[167:168], v[169:170], v[167:168]
	v_div_scale_f64 v[169:170], vcc_lo, 1.0, v[148:149], 1.0
	s_delay_alu instid0(VALU_DEP_1) | instskip(NEXT) | instid1(VALU_DEP_1)
	v_mul_f64 v[171:172], v[169:170], v[167:168]
	v_fma_f64 v[150:151], -v[150:151], v[171:172], v[169:170]
	s_delay_alu instid0(VALU_DEP_1) | instskip(NEXT) | instid1(VALU_DEP_1)
	v_div_fmas_f64 v[150:151], v[150:151], v[167:168], v[171:172]
	v_div_fixup_f64 v[150:151], v[150:151], v[148:149], 1.0
	s_delay_alu instid0(VALU_DEP_1)
	v_mul_f64 v[148:149], v[165:166], v[150:151]
	v_xor_b32_e32 v151, 0x80000000, v151
.LBB72_175:
	s_and_not1_saveexec_b32 s2, s2
	s_cbranch_execz .LBB72_177
; %bb.176:
	s_delay_alu instid0(VALU_DEP_1) | instskip(SKIP_1) | instid1(VALU_DEP_2)
	v_div_scale_f64 v[165:166], null, v[148:149], v[148:149], v[150:151]
	v_div_scale_f64 v[171:172], vcc_lo, v[150:151], v[148:149], v[150:151]
	v_rcp_f64_e32 v[167:168], v[165:166]
	s_waitcnt_depctr 0xfff
	v_fma_f64 v[169:170], -v[165:166], v[167:168], 1.0
	s_delay_alu instid0(VALU_DEP_1) | instskip(NEXT) | instid1(VALU_DEP_1)
	v_fma_f64 v[167:168], v[167:168], v[169:170], v[167:168]
	v_fma_f64 v[169:170], -v[165:166], v[167:168], 1.0
	s_delay_alu instid0(VALU_DEP_1) | instskip(NEXT) | instid1(VALU_DEP_1)
	v_fma_f64 v[167:168], v[167:168], v[169:170], v[167:168]
	v_mul_f64 v[169:170], v[171:172], v[167:168]
	s_delay_alu instid0(VALU_DEP_1) | instskip(NEXT) | instid1(VALU_DEP_1)
	v_fma_f64 v[165:166], -v[165:166], v[169:170], v[171:172]
	v_div_fmas_f64 v[165:166], v[165:166], v[167:168], v[169:170]
	s_delay_alu instid0(VALU_DEP_1) | instskip(NEXT) | instid1(VALU_DEP_1)
	v_div_fixup_f64 v[165:166], v[165:166], v[148:149], v[150:151]
	v_fma_f64 v[148:149], v[150:151], v[165:166], v[148:149]
	s_delay_alu instid0(VALU_DEP_1) | instskip(NEXT) | instid1(VALU_DEP_1)
	v_div_scale_f64 v[150:151], null, v[148:149], v[148:149], 1.0
	v_rcp_f64_e32 v[167:168], v[150:151]
	s_waitcnt_depctr 0xfff
	v_fma_f64 v[169:170], -v[150:151], v[167:168], 1.0
	s_delay_alu instid0(VALU_DEP_1) | instskip(NEXT) | instid1(VALU_DEP_1)
	v_fma_f64 v[167:168], v[167:168], v[169:170], v[167:168]
	v_fma_f64 v[169:170], -v[150:151], v[167:168], 1.0
	s_delay_alu instid0(VALU_DEP_1) | instskip(SKIP_1) | instid1(VALU_DEP_1)
	v_fma_f64 v[167:168], v[167:168], v[169:170], v[167:168]
	v_div_scale_f64 v[169:170], vcc_lo, 1.0, v[148:149], 1.0
	v_mul_f64 v[171:172], v[169:170], v[167:168]
	s_delay_alu instid0(VALU_DEP_1) | instskip(NEXT) | instid1(VALU_DEP_1)
	v_fma_f64 v[150:151], -v[150:151], v[171:172], v[169:170]
	v_div_fmas_f64 v[150:151], v[150:151], v[167:168], v[171:172]
	s_delay_alu instid0(VALU_DEP_1) | instskip(NEXT) | instid1(VALU_DEP_1)
	v_div_fixup_f64 v[148:149], v[150:151], v[148:149], 1.0
	v_mul_f64 v[150:151], v[165:166], -v[148:149]
.LBB72_177:
	s_or_b32 exec_lo, exec_lo, s2
.LBB72_178:
	s_delay_alu instid0(SALU_CYCLE_1) | instskip(NEXT) | instid1(SALU_CYCLE_1)
	s_or_b32 exec_lo, exec_lo, s3
	s_mov_b32 s2, exec_lo
	v_cmpx_ne_u32_e64 v164, v156
	s_xor_b32 s2, exec_lo, s2
	s_cbranch_execz .LBB72_184
; %bb.179:
	s_mov_b32 s3, exec_lo
	v_cmpx_eq_u32_e32 8, v164
	s_cbranch_execz .LBB72_183
; %bb.180:
	v_cmp_ne_u32_e32 vcc_lo, 8, v156
	s_xor_b32 s6, s4, -1
	s_delay_alu instid0(SALU_CYCLE_1) | instskip(NEXT) | instid1(SALU_CYCLE_1)
	s_and_b32 s7, s6, vcc_lo
	s_and_saveexec_b32 s6, s7
	s_cbranch_execz .LBB72_182
; %bb.181:
	v_ashrrev_i32_e32 v157, 31, v156
	s_delay_alu instid0(VALU_DEP_1) | instskip(NEXT) | instid1(VALU_DEP_1)
	v_lshlrev_b64 v[163:164], 2, v[156:157]
	v_add_co_u32 v163, vcc_lo, v154, v163
	s_delay_alu instid0(VALU_DEP_2)
	v_add_co_ci_u32_e32 v164, vcc_lo, v155, v164, vcc_lo
	s_clause 0x1
	flat_load_b32 v157, v[163:164]
	flat_load_b32 v165, v[154:155] offset:32
	s_waitcnt vmcnt(1) lgkmcnt(1)
	flat_store_b32 v[154:155], v157 offset:32
	s_waitcnt vmcnt(0) lgkmcnt(1)
	flat_store_b32 v[163:164], v165
.LBB72_182:
	s_or_b32 exec_lo, exec_lo, s6
	v_mov_b32_e32 v164, v156
	v_mov_b32_e32 v163, v156
.LBB72_183:
	s_or_b32 exec_lo, exec_lo, s3
.LBB72_184:
	s_and_not1_saveexec_b32 s2, s2
	s_cbranch_execz .LBB72_186
; %bb.185:
	v_mov_b32_e32 v164, 8
	ds_store_2addr_b64 v158, v[124:125], v[126:127] offset0:18 offset1:19
	ds_store_2addr_b64 v158, v[112:113], v[114:115] offset0:20 offset1:21
	;; [unrolled: 1-line block ×28, first 2 shown]
.LBB72_186:
	s_or_b32 exec_lo, exec_lo, s2
	s_delay_alu instid0(SALU_CYCLE_1)
	s_mov_b32 s2, exec_lo
	s_waitcnt lgkmcnt(0)
	s_waitcnt_vscnt null, 0x0
	s_barrier
	buffer_gl0_inv
	v_cmpx_lt_i32_e32 8, v164
	s_cbranch_execz .LBB72_188
; %bb.187:
	v_mul_f64 v[156:157], v[150:151], v[130:131]
	v_mul_f64 v[130:131], v[148:149], v[130:131]
	s_delay_alu instid0(VALU_DEP_2) | instskip(NEXT) | instid1(VALU_DEP_2)
	v_fma_f64 v[156:157], v[148:149], v[128:129], -v[156:157]
	v_fma_f64 v[130:131], v[150:151], v[128:129], v[130:131]
	ds_load_2addr_b64 v[148:151], v158 offset0:18 offset1:19
	s_waitcnt lgkmcnt(0)
	v_mul_f64 v[128:129], v[150:151], v[130:131]
	s_delay_alu instid0(VALU_DEP_1) | instskip(SKIP_1) | instid1(VALU_DEP_2)
	v_fma_f64 v[128:129], v[148:149], v[156:157], -v[128:129]
	v_mul_f64 v[148:149], v[148:149], v[130:131]
	v_add_f64 v[124:125], v[124:125], -v[128:129]
	s_delay_alu instid0(VALU_DEP_2) | instskip(NEXT) | instid1(VALU_DEP_1)
	v_fma_f64 v[148:149], v[150:151], v[156:157], v[148:149]
	v_add_f64 v[126:127], v[126:127], -v[148:149]
	ds_load_2addr_b64 v[148:151], v158 offset0:20 offset1:21
	s_waitcnt lgkmcnt(0)
	v_mul_f64 v[128:129], v[150:151], v[130:131]
	s_delay_alu instid0(VALU_DEP_1) | instskip(SKIP_1) | instid1(VALU_DEP_2)
	v_fma_f64 v[128:129], v[148:149], v[156:157], -v[128:129]
	v_mul_f64 v[148:149], v[148:149], v[130:131]
	v_add_f64 v[112:113], v[112:113], -v[128:129]
	s_delay_alu instid0(VALU_DEP_2) | instskip(NEXT) | instid1(VALU_DEP_1)
	v_fma_f64 v[148:149], v[150:151], v[156:157], v[148:149]
	v_add_f64 v[114:115], v[114:115], -v[148:149]
	;; [unrolled: 10-line block ×27, first 2 shown]
	ds_load_2addr_b64 v[148:151], v158 offset0:72 offset1:73
	s_waitcnt lgkmcnt(0)
	v_mul_f64 v[128:129], v[150:151], v[130:131]
	s_delay_alu instid0(VALU_DEP_1) | instskip(SKIP_1) | instid1(VALU_DEP_2)
	v_fma_f64 v[128:129], v[148:149], v[156:157], -v[128:129]
	v_mul_f64 v[148:149], v[148:149], v[130:131]
	v_add_f64 v[0:1], v[0:1], -v[128:129]
	s_delay_alu instid0(VALU_DEP_2) | instskip(SKIP_1) | instid1(VALU_DEP_2)
	v_fma_f64 v[148:149], v[150:151], v[156:157], v[148:149]
	v_dual_mov_b32 v128, v156 :: v_dual_mov_b32 v129, v157
	v_add_f64 v[2:3], v[2:3], -v[148:149]
.LBB72_188:
	s_or_b32 exec_lo, exec_lo, s2
	v_lshl_add_u32 v148, v164, 4, v158
	s_barrier
	buffer_gl0_inv
	v_mov_b32_e32 v156, 9
	ds_store_2addr_b64 v148, v[124:125], v[126:127] offset1:1
	s_waitcnt lgkmcnt(0)
	s_barrier
	buffer_gl0_inv
	ds_load_2addr_b64 v[148:151], v158 offset0:18 offset1:19
	s_cmp_lt_i32 s5, 11
	s_cbranch_scc1 .LBB72_191
; %bb.189:
	v_add3_u32 v157, v162, 0, 0xa0
	v_mov_b32_e32 v156, 9
	s_mov_b32 s6, 10
	s_set_inst_prefetch_distance 0x1
	.p2align	6
.LBB72_190:                             ; =>This Inner Loop Header: Depth=1
	ds_load_2addr_b64 v[165:168], v157 offset1:1
	s_waitcnt lgkmcnt(1)
	v_cmp_gt_f64_e32 vcc_lo, 0, v[148:149]
	v_xor_b32_e32 v169, 0x80000000, v149
	v_cmp_gt_f64_e64 s2, 0, v[150:151]
	v_xor_b32_e32 v171, 0x80000000, v151
	v_add_nc_u32_e32 v157, 16, v157
	s_waitcnt lgkmcnt(0)
	v_cmp_gt_f64_e64 s3, 0, v[165:166]
	v_mov_b32_e32 v173, v165
	v_dual_mov_b32 v175, v167 :: v_dual_cndmask_b32 v170, v149, v169
	v_xor_b32_e32 v169, 0x80000000, v166
	v_cndmask_b32_e64 v172, v151, v171, s2
	v_xor_b32_e32 v171, 0x80000000, v168
	s_delay_alu instid0(VALU_DEP_3) | instskip(SKIP_2) | instid1(VALU_DEP_2)
	v_cndmask_b32_e64 v174, v166, v169, s3
	v_cmp_gt_f64_e64 s3, 0, v[167:168]
	v_cndmask_b32_e32 v169, v148, v148, vcc_lo
	v_cndmask_b32_e64 v176, v168, v171, s3
	v_cndmask_b32_e64 v171, v150, v150, s2
	s_delay_alu instid0(VALU_DEP_2) | instskip(NEXT) | instid1(VALU_DEP_2)
	v_add_f64 v[173:174], v[173:174], v[175:176]
	v_add_f64 v[169:170], v[169:170], v[171:172]
	s_delay_alu instid0(VALU_DEP_1) | instskip(SKIP_4) | instid1(SALU_CYCLE_1)
	v_cmp_lt_f64_e32 vcc_lo, v[169:170], v[173:174]
	v_dual_cndmask_b32 v150, v150, v167 :: v_dual_cndmask_b32 v149, v149, v166
	v_dual_cndmask_b32 v148, v148, v165 :: v_dual_cndmask_b32 v151, v151, v168
	v_cndmask_b32_e64 v156, v156, s6, vcc_lo
	s_add_i32 s6, s6, 1
	s_cmp_lg_u32 s5, s6
	s_cbranch_scc1 .LBB72_190
.LBB72_191:
	s_set_inst_prefetch_distance 0x2
	s_waitcnt lgkmcnt(0)
	v_cmp_eq_f64_e32 vcc_lo, 0, v[148:149]
	v_cmp_eq_f64_e64 s2, 0, v[150:151]
	s_delay_alu instid0(VALU_DEP_1) | instskip(NEXT) | instid1(SALU_CYCLE_1)
	s_and_b32 s2, vcc_lo, s2
	s_and_saveexec_b32 s3, s2
	s_delay_alu instid0(SALU_CYCLE_1)
	s_xor_b32 s2, exec_lo, s3
; %bb.192:
	v_cmp_ne_u32_e32 vcc_lo, 0, v161
	v_cndmask_b32_e32 v161, 10, v161, vcc_lo
; %bb.193:
	s_and_not1_saveexec_b32 s3, s2
	s_cbranch_execz .LBB72_199
; %bb.194:
	v_cmp_gt_f64_e32 vcc_lo, 0, v[148:149]
	v_cmp_gt_f64_e64 s2, 0, v[150:151]
	v_xor_b32_e32 v157, 0x80000000, v149
	v_xor_b32_e32 v165, 0x80000000, v151
	s_delay_alu instid0(VALU_DEP_2) | instskip(NEXT) | instid1(VALU_DEP_2)
	v_cndmask_b32_e32 v166, v149, v157, vcc_lo
	v_cndmask_b32_e64 v168, v151, v165, s2
	v_cndmask_b32_e32 v165, v148, v148, vcc_lo
	v_cndmask_b32_e64 v167, v150, v150, s2
	s_mov_b32 s2, exec_lo
	s_delay_alu instid0(VALU_DEP_1)
	v_cmpx_ngt_f64_e32 v[165:166], v[167:168]
	s_xor_b32 s2, exec_lo, s2
	s_cbranch_execz .LBB72_196
; %bb.195:
	v_div_scale_f64 v[165:166], null, v[150:151], v[150:151], v[148:149]
	v_div_scale_f64 v[171:172], vcc_lo, v[148:149], v[150:151], v[148:149]
	s_delay_alu instid0(VALU_DEP_2) | instskip(SKIP_2) | instid1(VALU_DEP_1)
	v_rcp_f64_e32 v[167:168], v[165:166]
	s_waitcnt_depctr 0xfff
	v_fma_f64 v[169:170], -v[165:166], v[167:168], 1.0
	v_fma_f64 v[167:168], v[167:168], v[169:170], v[167:168]
	s_delay_alu instid0(VALU_DEP_1) | instskip(NEXT) | instid1(VALU_DEP_1)
	v_fma_f64 v[169:170], -v[165:166], v[167:168], 1.0
	v_fma_f64 v[167:168], v[167:168], v[169:170], v[167:168]
	s_delay_alu instid0(VALU_DEP_1) | instskip(NEXT) | instid1(VALU_DEP_1)
	v_mul_f64 v[169:170], v[171:172], v[167:168]
	v_fma_f64 v[165:166], -v[165:166], v[169:170], v[171:172]
	s_delay_alu instid0(VALU_DEP_1) | instskip(NEXT) | instid1(VALU_DEP_1)
	v_div_fmas_f64 v[165:166], v[165:166], v[167:168], v[169:170]
	v_div_fixup_f64 v[165:166], v[165:166], v[150:151], v[148:149]
	s_delay_alu instid0(VALU_DEP_1) | instskip(NEXT) | instid1(VALU_DEP_1)
	v_fma_f64 v[148:149], v[148:149], v[165:166], v[150:151]
	v_div_scale_f64 v[150:151], null, v[148:149], v[148:149], 1.0
	s_delay_alu instid0(VALU_DEP_1) | instskip(SKIP_2) | instid1(VALU_DEP_1)
	v_rcp_f64_e32 v[167:168], v[150:151]
	s_waitcnt_depctr 0xfff
	v_fma_f64 v[169:170], -v[150:151], v[167:168], 1.0
	v_fma_f64 v[167:168], v[167:168], v[169:170], v[167:168]
	s_delay_alu instid0(VALU_DEP_1) | instskip(NEXT) | instid1(VALU_DEP_1)
	v_fma_f64 v[169:170], -v[150:151], v[167:168], 1.0
	v_fma_f64 v[167:168], v[167:168], v[169:170], v[167:168]
	v_div_scale_f64 v[169:170], vcc_lo, 1.0, v[148:149], 1.0
	s_delay_alu instid0(VALU_DEP_1) | instskip(NEXT) | instid1(VALU_DEP_1)
	v_mul_f64 v[171:172], v[169:170], v[167:168]
	v_fma_f64 v[150:151], -v[150:151], v[171:172], v[169:170]
	s_delay_alu instid0(VALU_DEP_1) | instskip(NEXT) | instid1(VALU_DEP_1)
	v_div_fmas_f64 v[150:151], v[150:151], v[167:168], v[171:172]
	v_div_fixup_f64 v[150:151], v[150:151], v[148:149], 1.0
	s_delay_alu instid0(VALU_DEP_1)
	v_mul_f64 v[148:149], v[165:166], v[150:151]
	v_xor_b32_e32 v151, 0x80000000, v151
.LBB72_196:
	s_and_not1_saveexec_b32 s2, s2
	s_cbranch_execz .LBB72_198
; %bb.197:
	s_delay_alu instid0(VALU_DEP_1) | instskip(SKIP_1) | instid1(VALU_DEP_2)
	v_div_scale_f64 v[165:166], null, v[148:149], v[148:149], v[150:151]
	v_div_scale_f64 v[171:172], vcc_lo, v[150:151], v[148:149], v[150:151]
	v_rcp_f64_e32 v[167:168], v[165:166]
	s_waitcnt_depctr 0xfff
	v_fma_f64 v[169:170], -v[165:166], v[167:168], 1.0
	s_delay_alu instid0(VALU_DEP_1) | instskip(NEXT) | instid1(VALU_DEP_1)
	v_fma_f64 v[167:168], v[167:168], v[169:170], v[167:168]
	v_fma_f64 v[169:170], -v[165:166], v[167:168], 1.0
	s_delay_alu instid0(VALU_DEP_1) | instskip(NEXT) | instid1(VALU_DEP_1)
	v_fma_f64 v[167:168], v[167:168], v[169:170], v[167:168]
	v_mul_f64 v[169:170], v[171:172], v[167:168]
	s_delay_alu instid0(VALU_DEP_1) | instskip(NEXT) | instid1(VALU_DEP_1)
	v_fma_f64 v[165:166], -v[165:166], v[169:170], v[171:172]
	v_div_fmas_f64 v[165:166], v[165:166], v[167:168], v[169:170]
	s_delay_alu instid0(VALU_DEP_1) | instskip(NEXT) | instid1(VALU_DEP_1)
	v_div_fixup_f64 v[165:166], v[165:166], v[148:149], v[150:151]
	v_fma_f64 v[148:149], v[150:151], v[165:166], v[148:149]
	s_delay_alu instid0(VALU_DEP_1) | instskip(NEXT) | instid1(VALU_DEP_1)
	v_div_scale_f64 v[150:151], null, v[148:149], v[148:149], 1.0
	v_rcp_f64_e32 v[167:168], v[150:151]
	s_waitcnt_depctr 0xfff
	v_fma_f64 v[169:170], -v[150:151], v[167:168], 1.0
	s_delay_alu instid0(VALU_DEP_1) | instskip(NEXT) | instid1(VALU_DEP_1)
	v_fma_f64 v[167:168], v[167:168], v[169:170], v[167:168]
	v_fma_f64 v[169:170], -v[150:151], v[167:168], 1.0
	s_delay_alu instid0(VALU_DEP_1) | instskip(SKIP_1) | instid1(VALU_DEP_1)
	v_fma_f64 v[167:168], v[167:168], v[169:170], v[167:168]
	v_div_scale_f64 v[169:170], vcc_lo, 1.0, v[148:149], 1.0
	v_mul_f64 v[171:172], v[169:170], v[167:168]
	s_delay_alu instid0(VALU_DEP_1) | instskip(NEXT) | instid1(VALU_DEP_1)
	v_fma_f64 v[150:151], -v[150:151], v[171:172], v[169:170]
	v_div_fmas_f64 v[150:151], v[150:151], v[167:168], v[171:172]
	s_delay_alu instid0(VALU_DEP_1) | instskip(NEXT) | instid1(VALU_DEP_1)
	v_div_fixup_f64 v[148:149], v[150:151], v[148:149], 1.0
	v_mul_f64 v[150:151], v[165:166], -v[148:149]
.LBB72_198:
	s_or_b32 exec_lo, exec_lo, s2
.LBB72_199:
	s_delay_alu instid0(SALU_CYCLE_1) | instskip(NEXT) | instid1(SALU_CYCLE_1)
	s_or_b32 exec_lo, exec_lo, s3
	s_mov_b32 s2, exec_lo
	v_cmpx_ne_u32_e64 v164, v156
	s_xor_b32 s2, exec_lo, s2
	s_cbranch_execz .LBB72_205
; %bb.200:
	s_mov_b32 s3, exec_lo
	v_cmpx_eq_u32_e32 9, v164
	s_cbranch_execz .LBB72_204
; %bb.201:
	v_cmp_ne_u32_e32 vcc_lo, 9, v156
	s_xor_b32 s6, s4, -1
	s_delay_alu instid0(SALU_CYCLE_1) | instskip(NEXT) | instid1(SALU_CYCLE_1)
	s_and_b32 s7, s6, vcc_lo
	s_and_saveexec_b32 s6, s7
	s_cbranch_execz .LBB72_203
; %bb.202:
	v_ashrrev_i32_e32 v157, 31, v156
	s_delay_alu instid0(VALU_DEP_1) | instskip(NEXT) | instid1(VALU_DEP_1)
	v_lshlrev_b64 v[163:164], 2, v[156:157]
	v_add_co_u32 v163, vcc_lo, v154, v163
	s_delay_alu instid0(VALU_DEP_2)
	v_add_co_ci_u32_e32 v164, vcc_lo, v155, v164, vcc_lo
	s_clause 0x1
	flat_load_b32 v157, v[163:164]
	flat_load_b32 v165, v[154:155] offset:36
	s_waitcnt vmcnt(1) lgkmcnt(1)
	flat_store_b32 v[154:155], v157 offset:36
	s_waitcnt vmcnt(0) lgkmcnt(1)
	flat_store_b32 v[163:164], v165
.LBB72_203:
	s_or_b32 exec_lo, exec_lo, s6
	v_mov_b32_e32 v164, v156
	v_mov_b32_e32 v163, v156
.LBB72_204:
	s_or_b32 exec_lo, exec_lo, s3
.LBB72_205:
	s_and_not1_saveexec_b32 s2, s2
	s_cbranch_execz .LBB72_207
; %bb.206:
	v_mov_b32_e32 v164, 9
	ds_store_2addr_b64 v158, v[112:113], v[114:115] offset0:20 offset1:21
	ds_store_2addr_b64 v158, v[108:109], v[110:111] offset0:22 offset1:23
	;; [unrolled: 1-line block ×27, first 2 shown]
.LBB72_207:
	s_or_b32 exec_lo, exec_lo, s2
	s_delay_alu instid0(SALU_CYCLE_1)
	s_mov_b32 s2, exec_lo
	s_waitcnt lgkmcnt(0)
	s_waitcnt_vscnt null, 0x0
	s_barrier
	buffer_gl0_inv
	v_cmpx_lt_i32_e32 9, v164
	s_cbranch_execz .LBB72_209
; %bb.208:
	v_mul_f64 v[156:157], v[150:151], v[126:127]
	v_mul_f64 v[126:127], v[148:149], v[126:127]
	s_delay_alu instid0(VALU_DEP_2) | instskip(NEXT) | instid1(VALU_DEP_2)
	v_fma_f64 v[156:157], v[148:149], v[124:125], -v[156:157]
	v_fma_f64 v[126:127], v[150:151], v[124:125], v[126:127]
	ds_load_2addr_b64 v[148:151], v158 offset0:20 offset1:21
	s_waitcnt lgkmcnt(0)
	v_mul_f64 v[124:125], v[150:151], v[126:127]
	s_delay_alu instid0(VALU_DEP_1) | instskip(SKIP_1) | instid1(VALU_DEP_2)
	v_fma_f64 v[124:125], v[148:149], v[156:157], -v[124:125]
	v_mul_f64 v[148:149], v[148:149], v[126:127]
	v_add_f64 v[112:113], v[112:113], -v[124:125]
	s_delay_alu instid0(VALU_DEP_2) | instskip(NEXT) | instid1(VALU_DEP_1)
	v_fma_f64 v[148:149], v[150:151], v[156:157], v[148:149]
	v_add_f64 v[114:115], v[114:115], -v[148:149]
	ds_load_2addr_b64 v[148:151], v158 offset0:22 offset1:23
	s_waitcnt lgkmcnt(0)
	v_mul_f64 v[124:125], v[150:151], v[126:127]
	s_delay_alu instid0(VALU_DEP_1) | instskip(SKIP_1) | instid1(VALU_DEP_2)
	v_fma_f64 v[124:125], v[148:149], v[156:157], -v[124:125]
	v_mul_f64 v[148:149], v[148:149], v[126:127]
	v_add_f64 v[108:109], v[108:109], -v[124:125]
	s_delay_alu instid0(VALU_DEP_2) | instskip(NEXT) | instid1(VALU_DEP_1)
	v_fma_f64 v[148:149], v[150:151], v[156:157], v[148:149]
	v_add_f64 v[110:111], v[110:111], -v[148:149]
	;; [unrolled: 10-line block ×26, first 2 shown]
	ds_load_2addr_b64 v[148:151], v158 offset0:72 offset1:73
	s_waitcnt lgkmcnt(0)
	v_mul_f64 v[124:125], v[150:151], v[126:127]
	s_delay_alu instid0(VALU_DEP_1) | instskip(SKIP_1) | instid1(VALU_DEP_2)
	v_fma_f64 v[124:125], v[148:149], v[156:157], -v[124:125]
	v_mul_f64 v[148:149], v[148:149], v[126:127]
	v_add_f64 v[0:1], v[0:1], -v[124:125]
	s_delay_alu instid0(VALU_DEP_2) | instskip(SKIP_1) | instid1(VALU_DEP_2)
	v_fma_f64 v[148:149], v[150:151], v[156:157], v[148:149]
	v_dual_mov_b32 v124, v156 :: v_dual_mov_b32 v125, v157
	v_add_f64 v[2:3], v[2:3], -v[148:149]
.LBB72_209:
	s_or_b32 exec_lo, exec_lo, s2
	v_lshl_add_u32 v148, v164, 4, v158
	s_barrier
	buffer_gl0_inv
	v_mov_b32_e32 v156, 10
	ds_store_2addr_b64 v148, v[112:113], v[114:115] offset1:1
	s_waitcnt lgkmcnt(0)
	s_barrier
	buffer_gl0_inv
	ds_load_2addr_b64 v[148:151], v158 offset0:20 offset1:21
	s_cmp_lt_i32 s5, 12
	s_cbranch_scc1 .LBB72_212
; %bb.210:
	v_add3_u32 v157, v162, 0, 0xb0
	v_mov_b32_e32 v156, 10
	s_mov_b32 s6, 11
	s_set_inst_prefetch_distance 0x1
	.p2align	6
.LBB72_211:                             ; =>This Inner Loop Header: Depth=1
	ds_load_2addr_b64 v[165:168], v157 offset1:1
	s_waitcnt lgkmcnt(1)
	v_cmp_gt_f64_e32 vcc_lo, 0, v[148:149]
	v_xor_b32_e32 v169, 0x80000000, v149
	v_cmp_gt_f64_e64 s2, 0, v[150:151]
	v_xor_b32_e32 v171, 0x80000000, v151
	v_add_nc_u32_e32 v157, 16, v157
	s_waitcnt lgkmcnt(0)
	v_cmp_gt_f64_e64 s3, 0, v[165:166]
	v_mov_b32_e32 v173, v165
	v_dual_mov_b32 v175, v167 :: v_dual_cndmask_b32 v170, v149, v169
	v_xor_b32_e32 v169, 0x80000000, v166
	v_cndmask_b32_e64 v172, v151, v171, s2
	v_xor_b32_e32 v171, 0x80000000, v168
	s_delay_alu instid0(VALU_DEP_3) | instskip(SKIP_2) | instid1(VALU_DEP_2)
	v_cndmask_b32_e64 v174, v166, v169, s3
	v_cmp_gt_f64_e64 s3, 0, v[167:168]
	v_cndmask_b32_e32 v169, v148, v148, vcc_lo
	v_cndmask_b32_e64 v176, v168, v171, s3
	v_cndmask_b32_e64 v171, v150, v150, s2
	s_delay_alu instid0(VALU_DEP_2) | instskip(NEXT) | instid1(VALU_DEP_2)
	v_add_f64 v[173:174], v[173:174], v[175:176]
	v_add_f64 v[169:170], v[169:170], v[171:172]
	s_delay_alu instid0(VALU_DEP_1) | instskip(SKIP_4) | instid1(SALU_CYCLE_1)
	v_cmp_lt_f64_e32 vcc_lo, v[169:170], v[173:174]
	v_dual_cndmask_b32 v150, v150, v167 :: v_dual_cndmask_b32 v149, v149, v166
	v_dual_cndmask_b32 v148, v148, v165 :: v_dual_cndmask_b32 v151, v151, v168
	v_cndmask_b32_e64 v156, v156, s6, vcc_lo
	s_add_i32 s6, s6, 1
	s_cmp_lg_u32 s5, s6
	s_cbranch_scc1 .LBB72_211
.LBB72_212:
	s_set_inst_prefetch_distance 0x2
	s_waitcnt lgkmcnt(0)
	v_cmp_eq_f64_e32 vcc_lo, 0, v[148:149]
	v_cmp_eq_f64_e64 s2, 0, v[150:151]
	s_delay_alu instid0(VALU_DEP_1) | instskip(NEXT) | instid1(SALU_CYCLE_1)
	s_and_b32 s2, vcc_lo, s2
	s_and_saveexec_b32 s3, s2
	s_delay_alu instid0(SALU_CYCLE_1)
	s_xor_b32 s2, exec_lo, s3
; %bb.213:
	v_cmp_ne_u32_e32 vcc_lo, 0, v161
	v_cndmask_b32_e32 v161, 11, v161, vcc_lo
; %bb.214:
	s_and_not1_saveexec_b32 s3, s2
	s_cbranch_execz .LBB72_220
; %bb.215:
	v_cmp_gt_f64_e32 vcc_lo, 0, v[148:149]
	v_cmp_gt_f64_e64 s2, 0, v[150:151]
	v_xor_b32_e32 v157, 0x80000000, v149
	v_xor_b32_e32 v165, 0x80000000, v151
	s_delay_alu instid0(VALU_DEP_2) | instskip(NEXT) | instid1(VALU_DEP_2)
	v_cndmask_b32_e32 v166, v149, v157, vcc_lo
	v_cndmask_b32_e64 v168, v151, v165, s2
	v_cndmask_b32_e32 v165, v148, v148, vcc_lo
	v_cndmask_b32_e64 v167, v150, v150, s2
	s_mov_b32 s2, exec_lo
	s_delay_alu instid0(VALU_DEP_1)
	v_cmpx_ngt_f64_e32 v[165:166], v[167:168]
	s_xor_b32 s2, exec_lo, s2
	s_cbranch_execz .LBB72_217
; %bb.216:
	v_div_scale_f64 v[165:166], null, v[150:151], v[150:151], v[148:149]
	v_div_scale_f64 v[171:172], vcc_lo, v[148:149], v[150:151], v[148:149]
	s_delay_alu instid0(VALU_DEP_2) | instskip(SKIP_2) | instid1(VALU_DEP_1)
	v_rcp_f64_e32 v[167:168], v[165:166]
	s_waitcnt_depctr 0xfff
	v_fma_f64 v[169:170], -v[165:166], v[167:168], 1.0
	v_fma_f64 v[167:168], v[167:168], v[169:170], v[167:168]
	s_delay_alu instid0(VALU_DEP_1) | instskip(NEXT) | instid1(VALU_DEP_1)
	v_fma_f64 v[169:170], -v[165:166], v[167:168], 1.0
	v_fma_f64 v[167:168], v[167:168], v[169:170], v[167:168]
	s_delay_alu instid0(VALU_DEP_1) | instskip(NEXT) | instid1(VALU_DEP_1)
	v_mul_f64 v[169:170], v[171:172], v[167:168]
	v_fma_f64 v[165:166], -v[165:166], v[169:170], v[171:172]
	s_delay_alu instid0(VALU_DEP_1) | instskip(NEXT) | instid1(VALU_DEP_1)
	v_div_fmas_f64 v[165:166], v[165:166], v[167:168], v[169:170]
	v_div_fixup_f64 v[165:166], v[165:166], v[150:151], v[148:149]
	s_delay_alu instid0(VALU_DEP_1) | instskip(NEXT) | instid1(VALU_DEP_1)
	v_fma_f64 v[148:149], v[148:149], v[165:166], v[150:151]
	v_div_scale_f64 v[150:151], null, v[148:149], v[148:149], 1.0
	s_delay_alu instid0(VALU_DEP_1) | instskip(SKIP_2) | instid1(VALU_DEP_1)
	v_rcp_f64_e32 v[167:168], v[150:151]
	s_waitcnt_depctr 0xfff
	v_fma_f64 v[169:170], -v[150:151], v[167:168], 1.0
	v_fma_f64 v[167:168], v[167:168], v[169:170], v[167:168]
	s_delay_alu instid0(VALU_DEP_1) | instskip(NEXT) | instid1(VALU_DEP_1)
	v_fma_f64 v[169:170], -v[150:151], v[167:168], 1.0
	v_fma_f64 v[167:168], v[167:168], v[169:170], v[167:168]
	v_div_scale_f64 v[169:170], vcc_lo, 1.0, v[148:149], 1.0
	s_delay_alu instid0(VALU_DEP_1) | instskip(NEXT) | instid1(VALU_DEP_1)
	v_mul_f64 v[171:172], v[169:170], v[167:168]
	v_fma_f64 v[150:151], -v[150:151], v[171:172], v[169:170]
	s_delay_alu instid0(VALU_DEP_1) | instskip(NEXT) | instid1(VALU_DEP_1)
	v_div_fmas_f64 v[150:151], v[150:151], v[167:168], v[171:172]
	v_div_fixup_f64 v[150:151], v[150:151], v[148:149], 1.0
	s_delay_alu instid0(VALU_DEP_1)
	v_mul_f64 v[148:149], v[165:166], v[150:151]
	v_xor_b32_e32 v151, 0x80000000, v151
.LBB72_217:
	s_and_not1_saveexec_b32 s2, s2
	s_cbranch_execz .LBB72_219
; %bb.218:
	s_delay_alu instid0(VALU_DEP_1) | instskip(SKIP_1) | instid1(VALU_DEP_2)
	v_div_scale_f64 v[165:166], null, v[148:149], v[148:149], v[150:151]
	v_div_scale_f64 v[171:172], vcc_lo, v[150:151], v[148:149], v[150:151]
	v_rcp_f64_e32 v[167:168], v[165:166]
	s_waitcnt_depctr 0xfff
	v_fma_f64 v[169:170], -v[165:166], v[167:168], 1.0
	s_delay_alu instid0(VALU_DEP_1) | instskip(NEXT) | instid1(VALU_DEP_1)
	v_fma_f64 v[167:168], v[167:168], v[169:170], v[167:168]
	v_fma_f64 v[169:170], -v[165:166], v[167:168], 1.0
	s_delay_alu instid0(VALU_DEP_1) | instskip(NEXT) | instid1(VALU_DEP_1)
	v_fma_f64 v[167:168], v[167:168], v[169:170], v[167:168]
	v_mul_f64 v[169:170], v[171:172], v[167:168]
	s_delay_alu instid0(VALU_DEP_1) | instskip(NEXT) | instid1(VALU_DEP_1)
	v_fma_f64 v[165:166], -v[165:166], v[169:170], v[171:172]
	v_div_fmas_f64 v[165:166], v[165:166], v[167:168], v[169:170]
	s_delay_alu instid0(VALU_DEP_1) | instskip(NEXT) | instid1(VALU_DEP_1)
	v_div_fixup_f64 v[165:166], v[165:166], v[148:149], v[150:151]
	v_fma_f64 v[148:149], v[150:151], v[165:166], v[148:149]
	s_delay_alu instid0(VALU_DEP_1) | instskip(NEXT) | instid1(VALU_DEP_1)
	v_div_scale_f64 v[150:151], null, v[148:149], v[148:149], 1.0
	v_rcp_f64_e32 v[167:168], v[150:151]
	s_waitcnt_depctr 0xfff
	v_fma_f64 v[169:170], -v[150:151], v[167:168], 1.0
	s_delay_alu instid0(VALU_DEP_1) | instskip(NEXT) | instid1(VALU_DEP_1)
	v_fma_f64 v[167:168], v[167:168], v[169:170], v[167:168]
	v_fma_f64 v[169:170], -v[150:151], v[167:168], 1.0
	s_delay_alu instid0(VALU_DEP_1) | instskip(SKIP_1) | instid1(VALU_DEP_1)
	v_fma_f64 v[167:168], v[167:168], v[169:170], v[167:168]
	v_div_scale_f64 v[169:170], vcc_lo, 1.0, v[148:149], 1.0
	v_mul_f64 v[171:172], v[169:170], v[167:168]
	s_delay_alu instid0(VALU_DEP_1) | instskip(NEXT) | instid1(VALU_DEP_1)
	v_fma_f64 v[150:151], -v[150:151], v[171:172], v[169:170]
	v_div_fmas_f64 v[150:151], v[150:151], v[167:168], v[171:172]
	s_delay_alu instid0(VALU_DEP_1) | instskip(NEXT) | instid1(VALU_DEP_1)
	v_div_fixup_f64 v[148:149], v[150:151], v[148:149], 1.0
	v_mul_f64 v[150:151], v[165:166], -v[148:149]
.LBB72_219:
	s_or_b32 exec_lo, exec_lo, s2
.LBB72_220:
	s_delay_alu instid0(SALU_CYCLE_1) | instskip(NEXT) | instid1(SALU_CYCLE_1)
	s_or_b32 exec_lo, exec_lo, s3
	s_mov_b32 s2, exec_lo
	v_cmpx_ne_u32_e64 v164, v156
	s_xor_b32 s2, exec_lo, s2
	s_cbranch_execz .LBB72_226
; %bb.221:
	s_mov_b32 s3, exec_lo
	v_cmpx_eq_u32_e32 10, v164
	s_cbranch_execz .LBB72_225
; %bb.222:
	v_cmp_ne_u32_e32 vcc_lo, 10, v156
	s_xor_b32 s6, s4, -1
	s_delay_alu instid0(SALU_CYCLE_1) | instskip(NEXT) | instid1(SALU_CYCLE_1)
	s_and_b32 s7, s6, vcc_lo
	s_and_saveexec_b32 s6, s7
	s_cbranch_execz .LBB72_224
; %bb.223:
	v_ashrrev_i32_e32 v157, 31, v156
	s_delay_alu instid0(VALU_DEP_1) | instskip(NEXT) | instid1(VALU_DEP_1)
	v_lshlrev_b64 v[163:164], 2, v[156:157]
	v_add_co_u32 v163, vcc_lo, v154, v163
	s_delay_alu instid0(VALU_DEP_2)
	v_add_co_ci_u32_e32 v164, vcc_lo, v155, v164, vcc_lo
	s_clause 0x1
	flat_load_b32 v157, v[163:164]
	flat_load_b32 v165, v[154:155] offset:40
	s_waitcnt vmcnt(1) lgkmcnt(1)
	flat_store_b32 v[154:155], v157 offset:40
	s_waitcnt vmcnt(0) lgkmcnt(1)
	flat_store_b32 v[163:164], v165
.LBB72_224:
	s_or_b32 exec_lo, exec_lo, s6
	v_mov_b32_e32 v164, v156
	v_mov_b32_e32 v163, v156
.LBB72_225:
	s_or_b32 exec_lo, exec_lo, s3
.LBB72_226:
	s_and_not1_saveexec_b32 s2, s2
	s_cbranch_execz .LBB72_228
; %bb.227:
	v_mov_b32_e32 v164, 10
	ds_store_2addr_b64 v158, v[108:109], v[110:111] offset0:22 offset1:23
	ds_store_2addr_b64 v158, v[104:105], v[106:107] offset0:24 offset1:25
	;; [unrolled: 1-line block ×26, first 2 shown]
.LBB72_228:
	s_or_b32 exec_lo, exec_lo, s2
	s_delay_alu instid0(SALU_CYCLE_1)
	s_mov_b32 s2, exec_lo
	s_waitcnt lgkmcnt(0)
	s_waitcnt_vscnt null, 0x0
	s_barrier
	buffer_gl0_inv
	v_cmpx_lt_i32_e32 10, v164
	s_cbranch_execz .LBB72_230
; %bb.229:
	v_mul_f64 v[156:157], v[150:151], v[114:115]
	v_mul_f64 v[114:115], v[148:149], v[114:115]
	s_delay_alu instid0(VALU_DEP_2) | instskip(NEXT) | instid1(VALU_DEP_2)
	v_fma_f64 v[156:157], v[148:149], v[112:113], -v[156:157]
	v_fma_f64 v[114:115], v[150:151], v[112:113], v[114:115]
	ds_load_2addr_b64 v[148:151], v158 offset0:22 offset1:23
	s_waitcnt lgkmcnt(0)
	v_mul_f64 v[112:113], v[150:151], v[114:115]
	s_delay_alu instid0(VALU_DEP_1) | instskip(SKIP_1) | instid1(VALU_DEP_2)
	v_fma_f64 v[112:113], v[148:149], v[156:157], -v[112:113]
	v_mul_f64 v[148:149], v[148:149], v[114:115]
	v_add_f64 v[108:109], v[108:109], -v[112:113]
	s_delay_alu instid0(VALU_DEP_2) | instskip(NEXT) | instid1(VALU_DEP_1)
	v_fma_f64 v[148:149], v[150:151], v[156:157], v[148:149]
	v_add_f64 v[110:111], v[110:111], -v[148:149]
	ds_load_2addr_b64 v[148:151], v158 offset0:24 offset1:25
	s_waitcnt lgkmcnt(0)
	v_mul_f64 v[112:113], v[150:151], v[114:115]
	s_delay_alu instid0(VALU_DEP_1) | instskip(SKIP_1) | instid1(VALU_DEP_2)
	v_fma_f64 v[112:113], v[148:149], v[156:157], -v[112:113]
	v_mul_f64 v[148:149], v[148:149], v[114:115]
	v_add_f64 v[104:105], v[104:105], -v[112:113]
	s_delay_alu instid0(VALU_DEP_2) | instskip(NEXT) | instid1(VALU_DEP_1)
	v_fma_f64 v[148:149], v[150:151], v[156:157], v[148:149]
	v_add_f64 v[106:107], v[106:107], -v[148:149]
	ds_load_2addr_b64 v[148:151], v158 offset0:26 offset1:27
	s_waitcnt lgkmcnt(0)
	v_mul_f64 v[112:113], v[150:151], v[114:115]
	s_delay_alu instid0(VALU_DEP_1) | instskip(SKIP_1) | instid1(VALU_DEP_2)
	v_fma_f64 v[112:113], v[148:149], v[156:157], -v[112:113]
	v_mul_f64 v[148:149], v[148:149], v[114:115]
	v_add_f64 v[100:101], v[100:101], -v[112:113]
	s_delay_alu instid0(VALU_DEP_2) | instskip(NEXT) | instid1(VALU_DEP_1)
	v_fma_f64 v[148:149], v[150:151], v[156:157], v[148:149]
	v_add_f64 v[102:103], v[102:103], -v[148:149]
	ds_load_2addr_b64 v[148:151], v158 offset0:28 offset1:29
	s_waitcnt lgkmcnt(0)
	v_mul_f64 v[112:113], v[150:151], v[114:115]
	s_delay_alu instid0(VALU_DEP_1) | instskip(SKIP_1) | instid1(VALU_DEP_2)
	v_fma_f64 v[112:113], v[148:149], v[156:157], -v[112:113]
	v_mul_f64 v[148:149], v[148:149], v[114:115]
	v_add_f64 v[96:97], v[96:97], -v[112:113]
	s_delay_alu instid0(VALU_DEP_2) | instskip(NEXT) | instid1(VALU_DEP_1)
	v_fma_f64 v[148:149], v[150:151], v[156:157], v[148:149]
	v_add_f64 v[98:99], v[98:99], -v[148:149]
	ds_load_2addr_b64 v[148:151], v158 offset0:30 offset1:31
	s_waitcnt lgkmcnt(0)
	v_mul_f64 v[112:113], v[150:151], v[114:115]
	s_delay_alu instid0(VALU_DEP_1) | instskip(SKIP_1) | instid1(VALU_DEP_2)
	v_fma_f64 v[112:113], v[148:149], v[156:157], -v[112:113]
	v_mul_f64 v[148:149], v[148:149], v[114:115]
	v_add_f64 v[92:93], v[92:93], -v[112:113]
	s_delay_alu instid0(VALU_DEP_2) | instskip(NEXT) | instid1(VALU_DEP_1)
	v_fma_f64 v[148:149], v[150:151], v[156:157], v[148:149]
	v_add_f64 v[94:95], v[94:95], -v[148:149]
	ds_load_2addr_b64 v[148:151], v158 offset0:32 offset1:33
	s_waitcnt lgkmcnt(0)
	v_mul_f64 v[112:113], v[150:151], v[114:115]
	s_delay_alu instid0(VALU_DEP_1) | instskip(SKIP_1) | instid1(VALU_DEP_2)
	v_fma_f64 v[112:113], v[148:149], v[156:157], -v[112:113]
	v_mul_f64 v[148:149], v[148:149], v[114:115]
	v_add_f64 v[88:89], v[88:89], -v[112:113]
	s_delay_alu instid0(VALU_DEP_2) | instskip(NEXT) | instid1(VALU_DEP_1)
	v_fma_f64 v[148:149], v[150:151], v[156:157], v[148:149]
	v_add_f64 v[90:91], v[90:91], -v[148:149]
	ds_load_2addr_b64 v[148:151], v158 offset0:34 offset1:35
	s_waitcnt lgkmcnt(0)
	v_mul_f64 v[112:113], v[150:151], v[114:115]
	s_delay_alu instid0(VALU_DEP_1) | instskip(SKIP_1) | instid1(VALU_DEP_2)
	v_fma_f64 v[112:113], v[148:149], v[156:157], -v[112:113]
	v_mul_f64 v[148:149], v[148:149], v[114:115]
	v_add_f64 v[84:85], v[84:85], -v[112:113]
	s_delay_alu instid0(VALU_DEP_2) | instskip(NEXT) | instid1(VALU_DEP_1)
	v_fma_f64 v[148:149], v[150:151], v[156:157], v[148:149]
	v_add_f64 v[86:87], v[86:87], -v[148:149]
	ds_load_2addr_b64 v[148:151], v158 offset0:36 offset1:37
	s_waitcnt lgkmcnt(0)
	v_mul_f64 v[112:113], v[150:151], v[114:115]
	s_delay_alu instid0(VALU_DEP_1) | instskip(SKIP_1) | instid1(VALU_DEP_2)
	v_fma_f64 v[112:113], v[148:149], v[156:157], -v[112:113]
	v_mul_f64 v[148:149], v[148:149], v[114:115]
	v_add_f64 v[80:81], v[80:81], -v[112:113]
	s_delay_alu instid0(VALU_DEP_2) | instskip(NEXT) | instid1(VALU_DEP_1)
	v_fma_f64 v[148:149], v[150:151], v[156:157], v[148:149]
	v_add_f64 v[82:83], v[82:83], -v[148:149]
	ds_load_2addr_b64 v[148:151], v158 offset0:38 offset1:39
	s_waitcnt lgkmcnt(0)
	v_mul_f64 v[112:113], v[150:151], v[114:115]
	s_delay_alu instid0(VALU_DEP_1) | instskip(SKIP_1) | instid1(VALU_DEP_2)
	v_fma_f64 v[112:113], v[148:149], v[156:157], -v[112:113]
	v_mul_f64 v[148:149], v[148:149], v[114:115]
	v_add_f64 v[76:77], v[76:77], -v[112:113]
	s_delay_alu instid0(VALU_DEP_2) | instskip(NEXT) | instid1(VALU_DEP_1)
	v_fma_f64 v[148:149], v[150:151], v[156:157], v[148:149]
	v_add_f64 v[78:79], v[78:79], -v[148:149]
	ds_load_2addr_b64 v[148:151], v158 offset0:40 offset1:41
	s_waitcnt lgkmcnt(0)
	v_mul_f64 v[112:113], v[150:151], v[114:115]
	s_delay_alu instid0(VALU_DEP_1) | instskip(SKIP_1) | instid1(VALU_DEP_2)
	v_fma_f64 v[112:113], v[148:149], v[156:157], -v[112:113]
	v_mul_f64 v[148:149], v[148:149], v[114:115]
	v_add_f64 v[72:73], v[72:73], -v[112:113]
	s_delay_alu instid0(VALU_DEP_2) | instskip(NEXT) | instid1(VALU_DEP_1)
	v_fma_f64 v[148:149], v[150:151], v[156:157], v[148:149]
	v_add_f64 v[74:75], v[74:75], -v[148:149]
	ds_load_2addr_b64 v[148:151], v158 offset0:42 offset1:43
	s_waitcnt lgkmcnt(0)
	v_mul_f64 v[112:113], v[150:151], v[114:115]
	s_delay_alu instid0(VALU_DEP_1) | instskip(SKIP_1) | instid1(VALU_DEP_2)
	v_fma_f64 v[112:113], v[148:149], v[156:157], -v[112:113]
	v_mul_f64 v[148:149], v[148:149], v[114:115]
	v_add_f64 v[68:69], v[68:69], -v[112:113]
	s_delay_alu instid0(VALU_DEP_2) | instskip(NEXT) | instid1(VALU_DEP_1)
	v_fma_f64 v[148:149], v[150:151], v[156:157], v[148:149]
	v_add_f64 v[70:71], v[70:71], -v[148:149]
	ds_load_2addr_b64 v[148:151], v158 offset0:44 offset1:45
	s_waitcnt lgkmcnt(0)
	v_mul_f64 v[112:113], v[150:151], v[114:115]
	s_delay_alu instid0(VALU_DEP_1) | instskip(SKIP_1) | instid1(VALU_DEP_2)
	v_fma_f64 v[112:113], v[148:149], v[156:157], -v[112:113]
	v_mul_f64 v[148:149], v[148:149], v[114:115]
	v_add_f64 v[64:65], v[64:65], -v[112:113]
	s_delay_alu instid0(VALU_DEP_2) | instskip(NEXT) | instid1(VALU_DEP_1)
	v_fma_f64 v[148:149], v[150:151], v[156:157], v[148:149]
	v_add_f64 v[66:67], v[66:67], -v[148:149]
	ds_load_2addr_b64 v[148:151], v158 offset0:46 offset1:47
	s_waitcnt lgkmcnt(0)
	v_mul_f64 v[112:113], v[150:151], v[114:115]
	s_delay_alu instid0(VALU_DEP_1) | instskip(SKIP_1) | instid1(VALU_DEP_2)
	v_fma_f64 v[112:113], v[148:149], v[156:157], -v[112:113]
	v_mul_f64 v[148:149], v[148:149], v[114:115]
	v_add_f64 v[60:61], v[60:61], -v[112:113]
	s_delay_alu instid0(VALU_DEP_2) | instskip(NEXT) | instid1(VALU_DEP_1)
	v_fma_f64 v[148:149], v[150:151], v[156:157], v[148:149]
	v_add_f64 v[62:63], v[62:63], -v[148:149]
	ds_load_2addr_b64 v[148:151], v158 offset0:48 offset1:49
	s_waitcnt lgkmcnt(0)
	v_mul_f64 v[112:113], v[150:151], v[114:115]
	s_delay_alu instid0(VALU_DEP_1) | instskip(SKIP_1) | instid1(VALU_DEP_2)
	v_fma_f64 v[112:113], v[148:149], v[156:157], -v[112:113]
	v_mul_f64 v[148:149], v[148:149], v[114:115]
	v_add_f64 v[56:57], v[56:57], -v[112:113]
	s_delay_alu instid0(VALU_DEP_2) | instskip(NEXT) | instid1(VALU_DEP_1)
	v_fma_f64 v[148:149], v[150:151], v[156:157], v[148:149]
	v_add_f64 v[58:59], v[58:59], -v[148:149]
	ds_load_2addr_b64 v[148:151], v158 offset0:50 offset1:51
	s_waitcnt lgkmcnt(0)
	v_mul_f64 v[112:113], v[150:151], v[114:115]
	s_delay_alu instid0(VALU_DEP_1) | instskip(SKIP_1) | instid1(VALU_DEP_2)
	v_fma_f64 v[112:113], v[148:149], v[156:157], -v[112:113]
	v_mul_f64 v[148:149], v[148:149], v[114:115]
	v_add_f64 v[44:45], v[44:45], -v[112:113]
	s_delay_alu instid0(VALU_DEP_2) | instskip(NEXT) | instid1(VALU_DEP_1)
	v_fma_f64 v[148:149], v[150:151], v[156:157], v[148:149]
	v_add_f64 v[46:47], v[46:47], -v[148:149]
	ds_load_2addr_b64 v[148:151], v158 offset0:52 offset1:53
	s_waitcnt lgkmcnt(0)
	v_mul_f64 v[112:113], v[150:151], v[114:115]
	s_delay_alu instid0(VALU_DEP_1) | instskip(SKIP_1) | instid1(VALU_DEP_2)
	v_fma_f64 v[112:113], v[148:149], v[156:157], -v[112:113]
	v_mul_f64 v[148:149], v[148:149], v[114:115]
	v_add_f64 v[40:41], v[40:41], -v[112:113]
	s_delay_alu instid0(VALU_DEP_2) | instskip(NEXT) | instid1(VALU_DEP_1)
	v_fma_f64 v[148:149], v[150:151], v[156:157], v[148:149]
	v_add_f64 v[42:43], v[42:43], -v[148:149]
	ds_load_2addr_b64 v[148:151], v158 offset0:54 offset1:55
	s_waitcnt lgkmcnt(0)
	v_mul_f64 v[112:113], v[150:151], v[114:115]
	s_delay_alu instid0(VALU_DEP_1) | instskip(SKIP_1) | instid1(VALU_DEP_2)
	v_fma_f64 v[112:113], v[148:149], v[156:157], -v[112:113]
	v_mul_f64 v[148:149], v[148:149], v[114:115]
	v_add_f64 v[36:37], v[36:37], -v[112:113]
	s_delay_alu instid0(VALU_DEP_2) | instskip(NEXT) | instid1(VALU_DEP_1)
	v_fma_f64 v[148:149], v[150:151], v[156:157], v[148:149]
	v_add_f64 v[38:39], v[38:39], -v[148:149]
	ds_load_2addr_b64 v[148:151], v158 offset0:56 offset1:57
	s_waitcnt lgkmcnt(0)
	v_mul_f64 v[112:113], v[150:151], v[114:115]
	s_delay_alu instid0(VALU_DEP_1) | instskip(SKIP_1) | instid1(VALU_DEP_2)
	v_fma_f64 v[112:113], v[148:149], v[156:157], -v[112:113]
	v_mul_f64 v[148:149], v[148:149], v[114:115]
	v_add_f64 v[32:33], v[32:33], -v[112:113]
	s_delay_alu instid0(VALU_DEP_2) | instskip(NEXT) | instid1(VALU_DEP_1)
	v_fma_f64 v[148:149], v[150:151], v[156:157], v[148:149]
	v_add_f64 v[34:35], v[34:35], -v[148:149]
	ds_load_2addr_b64 v[148:151], v158 offset0:58 offset1:59
	s_waitcnt lgkmcnt(0)
	v_mul_f64 v[112:113], v[150:151], v[114:115]
	s_delay_alu instid0(VALU_DEP_1) | instskip(SKIP_1) | instid1(VALU_DEP_2)
	v_fma_f64 v[112:113], v[148:149], v[156:157], -v[112:113]
	v_mul_f64 v[148:149], v[148:149], v[114:115]
	v_add_f64 v[28:29], v[28:29], -v[112:113]
	s_delay_alu instid0(VALU_DEP_2) | instskip(NEXT) | instid1(VALU_DEP_1)
	v_fma_f64 v[148:149], v[150:151], v[156:157], v[148:149]
	v_add_f64 v[30:31], v[30:31], -v[148:149]
	ds_load_2addr_b64 v[148:151], v158 offset0:60 offset1:61
	s_waitcnt lgkmcnt(0)
	v_mul_f64 v[112:113], v[150:151], v[114:115]
	s_delay_alu instid0(VALU_DEP_1) | instskip(SKIP_1) | instid1(VALU_DEP_2)
	v_fma_f64 v[112:113], v[148:149], v[156:157], -v[112:113]
	v_mul_f64 v[148:149], v[148:149], v[114:115]
	v_add_f64 v[24:25], v[24:25], -v[112:113]
	s_delay_alu instid0(VALU_DEP_2) | instskip(NEXT) | instid1(VALU_DEP_1)
	v_fma_f64 v[148:149], v[150:151], v[156:157], v[148:149]
	v_add_f64 v[26:27], v[26:27], -v[148:149]
	ds_load_2addr_b64 v[148:151], v158 offset0:62 offset1:63
	s_waitcnt lgkmcnt(0)
	v_mul_f64 v[112:113], v[150:151], v[114:115]
	s_delay_alu instid0(VALU_DEP_1) | instskip(SKIP_1) | instid1(VALU_DEP_2)
	v_fma_f64 v[112:113], v[148:149], v[156:157], -v[112:113]
	v_mul_f64 v[148:149], v[148:149], v[114:115]
	v_add_f64 v[20:21], v[20:21], -v[112:113]
	s_delay_alu instid0(VALU_DEP_2) | instskip(NEXT) | instid1(VALU_DEP_1)
	v_fma_f64 v[148:149], v[150:151], v[156:157], v[148:149]
	v_add_f64 v[22:23], v[22:23], -v[148:149]
	ds_load_2addr_b64 v[148:151], v158 offset0:64 offset1:65
	s_waitcnt lgkmcnt(0)
	v_mul_f64 v[112:113], v[150:151], v[114:115]
	s_delay_alu instid0(VALU_DEP_1) | instskip(SKIP_1) | instid1(VALU_DEP_2)
	v_fma_f64 v[112:113], v[148:149], v[156:157], -v[112:113]
	v_mul_f64 v[148:149], v[148:149], v[114:115]
	v_add_f64 v[16:17], v[16:17], -v[112:113]
	s_delay_alu instid0(VALU_DEP_2) | instskip(NEXT) | instid1(VALU_DEP_1)
	v_fma_f64 v[148:149], v[150:151], v[156:157], v[148:149]
	v_add_f64 v[18:19], v[18:19], -v[148:149]
	ds_load_2addr_b64 v[148:151], v158 offset0:66 offset1:67
	s_waitcnt lgkmcnt(0)
	v_mul_f64 v[112:113], v[150:151], v[114:115]
	s_delay_alu instid0(VALU_DEP_1) | instskip(SKIP_1) | instid1(VALU_DEP_2)
	v_fma_f64 v[112:113], v[148:149], v[156:157], -v[112:113]
	v_mul_f64 v[148:149], v[148:149], v[114:115]
	v_add_f64 v[12:13], v[12:13], -v[112:113]
	s_delay_alu instid0(VALU_DEP_2) | instskip(NEXT) | instid1(VALU_DEP_1)
	v_fma_f64 v[148:149], v[150:151], v[156:157], v[148:149]
	v_add_f64 v[14:15], v[14:15], -v[148:149]
	ds_load_2addr_b64 v[148:151], v158 offset0:68 offset1:69
	s_waitcnt lgkmcnt(0)
	v_mul_f64 v[112:113], v[150:151], v[114:115]
	s_delay_alu instid0(VALU_DEP_1) | instskip(SKIP_1) | instid1(VALU_DEP_2)
	v_fma_f64 v[112:113], v[148:149], v[156:157], -v[112:113]
	v_mul_f64 v[148:149], v[148:149], v[114:115]
	v_add_f64 v[8:9], v[8:9], -v[112:113]
	s_delay_alu instid0(VALU_DEP_2) | instskip(NEXT) | instid1(VALU_DEP_1)
	v_fma_f64 v[148:149], v[150:151], v[156:157], v[148:149]
	v_add_f64 v[10:11], v[10:11], -v[148:149]
	ds_load_2addr_b64 v[148:151], v158 offset0:70 offset1:71
	s_waitcnt lgkmcnt(0)
	v_mul_f64 v[112:113], v[150:151], v[114:115]
	s_delay_alu instid0(VALU_DEP_1) | instskip(SKIP_1) | instid1(VALU_DEP_2)
	v_fma_f64 v[112:113], v[148:149], v[156:157], -v[112:113]
	v_mul_f64 v[148:149], v[148:149], v[114:115]
	v_add_f64 v[4:5], v[4:5], -v[112:113]
	s_delay_alu instid0(VALU_DEP_2) | instskip(NEXT) | instid1(VALU_DEP_1)
	v_fma_f64 v[148:149], v[150:151], v[156:157], v[148:149]
	v_add_f64 v[6:7], v[6:7], -v[148:149]
	ds_load_2addr_b64 v[148:151], v158 offset0:72 offset1:73
	s_waitcnt lgkmcnt(0)
	v_mul_f64 v[112:113], v[150:151], v[114:115]
	s_delay_alu instid0(VALU_DEP_1) | instskip(SKIP_1) | instid1(VALU_DEP_2)
	v_fma_f64 v[112:113], v[148:149], v[156:157], -v[112:113]
	v_mul_f64 v[148:149], v[148:149], v[114:115]
	v_add_f64 v[0:1], v[0:1], -v[112:113]
	s_delay_alu instid0(VALU_DEP_2) | instskip(SKIP_1) | instid1(VALU_DEP_2)
	v_fma_f64 v[148:149], v[150:151], v[156:157], v[148:149]
	v_dual_mov_b32 v112, v156 :: v_dual_mov_b32 v113, v157
	v_add_f64 v[2:3], v[2:3], -v[148:149]
.LBB72_230:
	s_or_b32 exec_lo, exec_lo, s2
	v_lshl_add_u32 v148, v164, 4, v158
	s_barrier
	buffer_gl0_inv
	v_mov_b32_e32 v156, 11
	ds_store_2addr_b64 v148, v[108:109], v[110:111] offset1:1
	s_waitcnt lgkmcnt(0)
	s_barrier
	buffer_gl0_inv
	ds_load_2addr_b64 v[148:151], v158 offset0:22 offset1:23
	s_cmp_lt_i32 s5, 13
	s_cbranch_scc1 .LBB72_233
; %bb.231:
	v_add3_u32 v157, v162, 0, 0xc0
	v_mov_b32_e32 v156, 11
	s_mov_b32 s6, 12
	s_set_inst_prefetch_distance 0x1
	.p2align	6
.LBB72_232:                             ; =>This Inner Loop Header: Depth=1
	ds_load_2addr_b64 v[165:168], v157 offset1:1
	s_waitcnt lgkmcnt(1)
	v_cmp_gt_f64_e32 vcc_lo, 0, v[148:149]
	v_xor_b32_e32 v169, 0x80000000, v149
	v_cmp_gt_f64_e64 s2, 0, v[150:151]
	v_xor_b32_e32 v171, 0x80000000, v151
	v_add_nc_u32_e32 v157, 16, v157
	s_waitcnt lgkmcnt(0)
	v_cmp_gt_f64_e64 s3, 0, v[165:166]
	v_mov_b32_e32 v173, v165
	v_dual_mov_b32 v175, v167 :: v_dual_cndmask_b32 v170, v149, v169
	v_xor_b32_e32 v169, 0x80000000, v166
	v_cndmask_b32_e64 v172, v151, v171, s2
	v_xor_b32_e32 v171, 0x80000000, v168
	s_delay_alu instid0(VALU_DEP_3) | instskip(SKIP_2) | instid1(VALU_DEP_2)
	v_cndmask_b32_e64 v174, v166, v169, s3
	v_cmp_gt_f64_e64 s3, 0, v[167:168]
	v_cndmask_b32_e32 v169, v148, v148, vcc_lo
	v_cndmask_b32_e64 v176, v168, v171, s3
	v_cndmask_b32_e64 v171, v150, v150, s2
	s_delay_alu instid0(VALU_DEP_2) | instskip(NEXT) | instid1(VALU_DEP_2)
	v_add_f64 v[173:174], v[173:174], v[175:176]
	v_add_f64 v[169:170], v[169:170], v[171:172]
	s_delay_alu instid0(VALU_DEP_1) | instskip(SKIP_4) | instid1(SALU_CYCLE_1)
	v_cmp_lt_f64_e32 vcc_lo, v[169:170], v[173:174]
	v_dual_cndmask_b32 v150, v150, v167 :: v_dual_cndmask_b32 v149, v149, v166
	v_dual_cndmask_b32 v148, v148, v165 :: v_dual_cndmask_b32 v151, v151, v168
	v_cndmask_b32_e64 v156, v156, s6, vcc_lo
	s_add_i32 s6, s6, 1
	s_cmp_lg_u32 s5, s6
	s_cbranch_scc1 .LBB72_232
.LBB72_233:
	s_set_inst_prefetch_distance 0x2
	s_waitcnt lgkmcnt(0)
	v_cmp_eq_f64_e32 vcc_lo, 0, v[148:149]
	v_cmp_eq_f64_e64 s2, 0, v[150:151]
	s_delay_alu instid0(VALU_DEP_1) | instskip(NEXT) | instid1(SALU_CYCLE_1)
	s_and_b32 s2, vcc_lo, s2
	s_and_saveexec_b32 s3, s2
	s_delay_alu instid0(SALU_CYCLE_1)
	s_xor_b32 s2, exec_lo, s3
; %bb.234:
	v_cmp_ne_u32_e32 vcc_lo, 0, v161
	v_cndmask_b32_e32 v161, 12, v161, vcc_lo
; %bb.235:
	s_and_not1_saveexec_b32 s3, s2
	s_cbranch_execz .LBB72_241
; %bb.236:
	v_cmp_gt_f64_e32 vcc_lo, 0, v[148:149]
	v_cmp_gt_f64_e64 s2, 0, v[150:151]
	v_xor_b32_e32 v157, 0x80000000, v149
	v_xor_b32_e32 v165, 0x80000000, v151
	s_delay_alu instid0(VALU_DEP_2) | instskip(NEXT) | instid1(VALU_DEP_2)
	v_cndmask_b32_e32 v166, v149, v157, vcc_lo
	v_cndmask_b32_e64 v168, v151, v165, s2
	v_cndmask_b32_e32 v165, v148, v148, vcc_lo
	v_cndmask_b32_e64 v167, v150, v150, s2
	s_mov_b32 s2, exec_lo
	s_delay_alu instid0(VALU_DEP_1)
	v_cmpx_ngt_f64_e32 v[165:166], v[167:168]
	s_xor_b32 s2, exec_lo, s2
	s_cbranch_execz .LBB72_238
; %bb.237:
	v_div_scale_f64 v[165:166], null, v[150:151], v[150:151], v[148:149]
	v_div_scale_f64 v[171:172], vcc_lo, v[148:149], v[150:151], v[148:149]
	s_delay_alu instid0(VALU_DEP_2) | instskip(SKIP_2) | instid1(VALU_DEP_1)
	v_rcp_f64_e32 v[167:168], v[165:166]
	s_waitcnt_depctr 0xfff
	v_fma_f64 v[169:170], -v[165:166], v[167:168], 1.0
	v_fma_f64 v[167:168], v[167:168], v[169:170], v[167:168]
	s_delay_alu instid0(VALU_DEP_1) | instskip(NEXT) | instid1(VALU_DEP_1)
	v_fma_f64 v[169:170], -v[165:166], v[167:168], 1.0
	v_fma_f64 v[167:168], v[167:168], v[169:170], v[167:168]
	s_delay_alu instid0(VALU_DEP_1) | instskip(NEXT) | instid1(VALU_DEP_1)
	v_mul_f64 v[169:170], v[171:172], v[167:168]
	v_fma_f64 v[165:166], -v[165:166], v[169:170], v[171:172]
	s_delay_alu instid0(VALU_DEP_1) | instskip(NEXT) | instid1(VALU_DEP_1)
	v_div_fmas_f64 v[165:166], v[165:166], v[167:168], v[169:170]
	v_div_fixup_f64 v[165:166], v[165:166], v[150:151], v[148:149]
	s_delay_alu instid0(VALU_DEP_1) | instskip(NEXT) | instid1(VALU_DEP_1)
	v_fma_f64 v[148:149], v[148:149], v[165:166], v[150:151]
	v_div_scale_f64 v[150:151], null, v[148:149], v[148:149], 1.0
	s_delay_alu instid0(VALU_DEP_1) | instskip(SKIP_2) | instid1(VALU_DEP_1)
	v_rcp_f64_e32 v[167:168], v[150:151]
	s_waitcnt_depctr 0xfff
	v_fma_f64 v[169:170], -v[150:151], v[167:168], 1.0
	v_fma_f64 v[167:168], v[167:168], v[169:170], v[167:168]
	s_delay_alu instid0(VALU_DEP_1) | instskip(NEXT) | instid1(VALU_DEP_1)
	v_fma_f64 v[169:170], -v[150:151], v[167:168], 1.0
	v_fma_f64 v[167:168], v[167:168], v[169:170], v[167:168]
	v_div_scale_f64 v[169:170], vcc_lo, 1.0, v[148:149], 1.0
	s_delay_alu instid0(VALU_DEP_1) | instskip(NEXT) | instid1(VALU_DEP_1)
	v_mul_f64 v[171:172], v[169:170], v[167:168]
	v_fma_f64 v[150:151], -v[150:151], v[171:172], v[169:170]
	s_delay_alu instid0(VALU_DEP_1) | instskip(NEXT) | instid1(VALU_DEP_1)
	v_div_fmas_f64 v[150:151], v[150:151], v[167:168], v[171:172]
	v_div_fixup_f64 v[150:151], v[150:151], v[148:149], 1.0
	s_delay_alu instid0(VALU_DEP_1)
	v_mul_f64 v[148:149], v[165:166], v[150:151]
	v_xor_b32_e32 v151, 0x80000000, v151
.LBB72_238:
	s_and_not1_saveexec_b32 s2, s2
	s_cbranch_execz .LBB72_240
; %bb.239:
	s_delay_alu instid0(VALU_DEP_1) | instskip(SKIP_1) | instid1(VALU_DEP_2)
	v_div_scale_f64 v[165:166], null, v[148:149], v[148:149], v[150:151]
	v_div_scale_f64 v[171:172], vcc_lo, v[150:151], v[148:149], v[150:151]
	v_rcp_f64_e32 v[167:168], v[165:166]
	s_waitcnt_depctr 0xfff
	v_fma_f64 v[169:170], -v[165:166], v[167:168], 1.0
	s_delay_alu instid0(VALU_DEP_1) | instskip(NEXT) | instid1(VALU_DEP_1)
	v_fma_f64 v[167:168], v[167:168], v[169:170], v[167:168]
	v_fma_f64 v[169:170], -v[165:166], v[167:168], 1.0
	s_delay_alu instid0(VALU_DEP_1) | instskip(NEXT) | instid1(VALU_DEP_1)
	v_fma_f64 v[167:168], v[167:168], v[169:170], v[167:168]
	v_mul_f64 v[169:170], v[171:172], v[167:168]
	s_delay_alu instid0(VALU_DEP_1) | instskip(NEXT) | instid1(VALU_DEP_1)
	v_fma_f64 v[165:166], -v[165:166], v[169:170], v[171:172]
	v_div_fmas_f64 v[165:166], v[165:166], v[167:168], v[169:170]
	s_delay_alu instid0(VALU_DEP_1) | instskip(NEXT) | instid1(VALU_DEP_1)
	v_div_fixup_f64 v[165:166], v[165:166], v[148:149], v[150:151]
	v_fma_f64 v[148:149], v[150:151], v[165:166], v[148:149]
	s_delay_alu instid0(VALU_DEP_1) | instskip(NEXT) | instid1(VALU_DEP_1)
	v_div_scale_f64 v[150:151], null, v[148:149], v[148:149], 1.0
	v_rcp_f64_e32 v[167:168], v[150:151]
	s_waitcnt_depctr 0xfff
	v_fma_f64 v[169:170], -v[150:151], v[167:168], 1.0
	s_delay_alu instid0(VALU_DEP_1) | instskip(NEXT) | instid1(VALU_DEP_1)
	v_fma_f64 v[167:168], v[167:168], v[169:170], v[167:168]
	v_fma_f64 v[169:170], -v[150:151], v[167:168], 1.0
	s_delay_alu instid0(VALU_DEP_1) | instskip(SKIP_1) | instid1(VALU_DEP_1)
	v_fma_f64 v[167:168], v[167:168], v[169:170], v[167:168]
	v_div_scale_f64 v[169:170], vcc_lo, 1.0, v[148:149], 1.0
	v_mul_f64 v[171:172], v[169:170], v[167:168]
	s_delay_alu instid0(VALU_DEP_1) | instskip(NEXT) | instid1(VALU_DEP_1)
	v_fma_f64 v[150:151], -v[150:151], v[171:172], v[169:170]
	v_div_fmas_f64 v[150:151], v[150:151], v[167:168], v[171:172]
	s_delay_alu instid0(VALU_DEP_1) | instskip(NEXT) | instid1(VALU_DEP_1)
	v_div_fixup_f64 v[148:149], v[150:151], v[148:149], 1.0
	v_mul_f64 v[150:151], v[165:166], -v[148:149]
.LBB72_240:
	s_or_b32 exec_lo, exec_lo, s2
.LBB72_241:
	s_delay_alu instid0(SALU_CYCLE_1) | instskip(NEXT) | instid1(SALU_CYCLE_1)
	s_or_b32 exec_lo, exec_lo, s3
	s_mov_b32 s2, exec_lo
	v_cmpx_ne_u32_e64 v164, v156
	s_xor_b32 s2, exec_lo, s2
	s_cbranch_execz .LBB72_247
; %bb.242:
	s_mov_b32 s3, exec_lo
	v_cmpx_eq_u32_e32 11, v164
	s_cbranch_execz .LBB72_246
; %bb.243:
	v_cmp_ne_u32_e32 vcc_lo, 11, v156
	s_xor_b32 s6, s4, -1
	s_delay_alu instid0(SALU_CYCLE_1) | instskip(NEXT) | instid1(SALU_CYCLE_1)
	s_and_b32 s7, s6, vcc_lo
	s_and_saveexec_b32 s6, s7
	s_cbranch_execz .LBB72_245
; %bb.244:
	v_ashrrev_i32_e32 v157, 31, v156
	s_delay_alu instid0(VALU_DEP_1) | instskip(NEXT) | instid1(VALU_DEP_1)
	v_lshlrev_b64 v[163:164], 2, v[156:157]
	v_add_co_u32 v163, vcc_lo, v154, v163
	s_delay_alu instid0(VALU_DEP_2)
	v_add_co_ci_u32_e32 v164, vcc_lo, v155, v164, vcc_lo
	s_clause 0x1
	flat_load_b32 v157, v[163:164]
	flat_load_b32 v165, v[154:155] offset:44
	s_waitcnt vmcnt(1) lgkmcnt(1)
	flat_store_b32 v[154:155], v157 offset:44
	s_waitcnt vmcnt(0) lgkmcnt(1)
	flat_store_b32 v[163:164], v165
.LBB72_245:
	s_or_b32 exec_lo, exec_lo, s6
	v_mov_b32_e32 v164, v156
	v_mov_b32_e32 v163, v156
.LBB72_246:
	s_or_b32 exec_lo, exec_lo, s3
.LBB72_247:
	s_and_not1_saveexec_b32 s2, s2
	s_cbranch_execz .LBB72_249
; %bb.248:
	v_mov_b32_e32 v164, 11
	ds_store_2addr_b64 v158, v[104:105], v[106:107] offset0:24 offset1:25
	ds_store_2addr_b64 v158, v[100:101], v[102:103] offset0:26 offset1:27
	;; [unrolled: 1-line block ×25, first 2 shown]
.LBB72_249:
	s_or_b32 exec_lo, exec_lo, s2
	s_delay_alu instid0(SALU_CYCLE_1)
	s_mov_b32 s2, exec_lo
	s_waitcnt lgkmcnt(0)
	s_waitcnt_vscnt null, 0x0
	s_barrier
	buffer_gl0_inv
	v_cmpx_lt_i32_e32 11, v164
	s_cbranch_execz .LBB72_251
; %bb.250:
	v_mul_f64 v[156:157], v[150:151], v[110:111]
	v_mul_f64 v[110:111], v[148:149], v[110:111]
	s_delay_alu instid0(VALU_DEP_2) | instskip(NEXT) | instid1(VALU_DEP_2)
	v_fma_f64 v[156:157], v[148:149], v[108:109], -v[156:157]
	v_fma_f64 v[110:111], v[150:151], v[108:109], v[110:111]
	ds_load_2addr_b64 v[148:151], v158 offset0:24 offset1:25
	s_waitcnt lgkmcnt(0)
	v_mul_f64 v[108:109], v[150:151], v[110:111]
	s_delay_alu instid0(VALU_DEP_1) | instskip(SKIP_1) | instid1(VALU_DEP_2)
	v_fma_f64 v[108:109], v[148:149], v[156:157], -v[108:109]
	v_mul_f64 v[148:149], v[148:149], v[110:111]
	v_add_f64 v[104:105], v[104:105], -v[108:109]
	s_delay_alu instid0(VALU_DEP_2) | instskip(NEXT) | instid1(VALU_DEP_1)
	v_fma_f64 v[148:149], v[150:151], v[156:157], v[148:149]
	v_add_f64 v[106:107], v[106:107], -v[148:149]
	ds_load_2addr_b64 v[148:151], v158 offset0:26 offset1:27
	s_waitcnt lgkmcnt(0)
	v_mul_f64 v[108:109], v[150:151], v[110:111]
	s_delay_alu instid0(VALU_DEP_1) | instskip(SKIP_1) | instid1(VALU_DEP_2)
	v_fma_f64 v[108:109], v[148:149], v[156:157], -v[108:109]
	v_mul_f64 v[148:149], v[148:149], v[110:111]
	v_add_f64 v[100:101], v[100:101], -v[108:109]
	s_delay_alu instid0(VALU_DEP_2) | instskip(NEXT) | instid1(VALU_DEP_1)
	v_fma_f64 v[148:149], v[150:151], v[156:157], v[148:149]
	v_add_f64 v[102:103], v[102:103], -v[148:149]
	ds_load_2addr_b64 v[148:151], v158 offset0:28 offset1:29
	s_waitcnt lgkmcnt(0)
	v_mul_f64 v[108:109], v[150:151], v[110:111]
	s_delay_alu instid0(VALU_DEP_1) | instskip(SKIP_1) | instid1(VALU_DEP_2)
	v_fma_f64 v[108:109], v[148:149], v[156:157], -v[108:109]
	v_mul_f64 v[148:149], v[148:149], v[110:111]
	v_add_f64 v[96:97], v[96:97], -v[108:109]
	s_delay_alu instid0(VALU_DEP_2) | instskip(NEXT) | instid1(VALU_DEP_1)
	v_fma_f64 v[148:149], v[150:151], v[156:157], v[148:149]
	v_add_f64 v[98:99], v[98:99], -v[148:149]
	ds_load_2addr_b64 v[148:151], v158 offset0:30 offset1:31
	s_waitcnt lgkmcnt(0)
	v_mul_f64 v[108:109], v[150:151], v[110:111]
	s_delay_alu instid0(VALU_DEP_1) | instskip(SKIP_1) | instid1(VALU_DEP_2)
	v_fma_f64 v[108:109], v[148:149], v[156:157], -v[108:109]
	v_mul_f64 v[148:149], v[148:149], v[110:111]
	v_add_f64 v[92:93], v[92:93], -v[108:109]
	s_delay_alu instid0(VALU_DEP_2) | instskip(NEXT) | instid1(VALU_DEP_1)
	v_fma_f64 v[148:149], v[150:151], v[156:157], v[148:149]
	v_add_f64 v[94:95], v[94:95], -v[148:149]
	ds_load_2addr_b64 v[148:151], v158 offset0:32 offset1:33
	s_waitcnt lgkmcnt(0)
	v_mul_f64 v[108:109], v[150:151], v[110:111]
	s_delay_alu instid0(VALU_DEP_1) | instskip(SKIP_1) | instid1(VALU_DEP_2)
	v_fma_f64 v[108:109], v[148:149], v[156:157], -v[108:109]
	v_mul_f64 v[148:149], v[148:149], v[110:111]
	v_add_f64 v[88:89], v[88:89], -v[108:109]
	s_delay_alu instid0(VALU_DEP_2) | instskip(NEXT) | instid1(VALU_DEP_1)
	v_fma_f64 v[148:149], v[150:151], v[156:157], v[148:149]
	v_add_f64 v[90:91], v[90:91], -v[148:149]
	ds_load_2addr_b64 v[148:151], v158 offset0:34 offset1:35
	s_waitcnt lgkmcnt(0)
	v_mul_f64 v[108:109], v[150:151], v[110:111]
	s_delay_alu instid0(VALU_DEP_1) | instskip(SKIP_1) | instid1(VALU_DEP_2)
	v_fma_f64 v[108:109], v[148:149], v[156:157], -v[108:109]
	v_mul_f64 v[148:149], v[148:149], v[110:111]
	v_add_f64 v[84:85], v[84:85], -v[108:109]
	s_delay_alu instid0(VALU_DEP_2) | instskip(NEXT) | instid1(VALU_DEP_1)
	v_fma_f64 v[148:149], v[150:151], v[156:157], v[148:149]
	v_add_f64 v[86:87], v[86:87], -v[148:149]
	ds_load_2addr_b64 v[148:151], v158 offset0:36 offset1:37
	s_waitcnt lgkmcnt(0)
	v_mul_f64 v[108:109], v[150:151], v[110:111]
	s_delay_alu instid0(VALU_DEP_1) | instskip(SKIP_1) | instid1(VALU_DEP_2)
	v_fma_f64 v[108:109], v[148:149], v[156:157], -v[108:109]
	v_mul_f64 v[148:149], v[148:149], v[110:111]
	v_add_f64 v[80:81], v[80:81], -v[108:109]
	s_delay_alu instid0(VALU_DEP_2) | instskip(NEXT) | instid1(VALU_DEP_1)
	v_fma_f64 v[148:149], v[150:151], v[156:157], v[148:149]
	v_add_f64 v[82:83], v[82:83], -v[148:149]
	ds_load_2addr_b64 v[148:151], v158 offset0:38 offset1:39
	s_waitcnt lgkmcnt(0)
	v_mul_f64 v[108:109], v[150:151], v[110:111]
	s_delay_alu instid0(VALU_DEP_1) | instskip(SKIP_1) | instid1(VALU_DEP_2)
	v_fma_f64 v[108:109], v[148:149], v[156:157], -v[108:109]
	v_mul_f64 v[148:149], v[148:149], v[110:111]
	v_add_f64 v[76:77], v[76:77], -v[108:109]
	s_delay_alu instid0(VALU_DEP_2) | instskip(NEXT) | instid1(VALU_DEP_1)
	v_fma_f64 v[148:149], v[150:151], v[156:157], v[148:149]
	v_add_f64 v[78:79], v[78:79], -v[148:149]
	ds_load_2addr_b64 v[148:151], v158 offset0:40 offset1:41
	s_waitcnt lgkmcnt(0)
	v_mul_f64 v[108:109], v[150:151], v[110:111]
	s_delay_alu instid0(VALU_DEP_1) | instskip(SKIP_1) | instid1(VALU_DEP_2)
	v_fma_f64 v[108:109], v[148:149], v[156:157], -v[108:109]
	v_mul_f64 v[148:149], v[148:149], v[110:111]
	v_add_f64 v[72:73], v[72:73], -v[108:109]
	s_delay_alu instid0(VALU_DEP_2) | instskip(NEXT) | instid1(VALU_DEP_1)
	v_fma_f64 v[148:149], v[150:151], v[156:157], v[148:149]
	v_add_f64 v[74:75], v[74:75], -v[148:149]
	ds_load_2addr_b64 v[148:151], v158 offset0:42 offset1:43
	s_waitcnt lgkmcnt(0)
	v_mul_f64 v[108:109], v[150:151], v[110:111]
	s_delay_alu instid0(VALU_DEP_1) | instskip(SKIP_1) | instid1(VALU_DEP_2)
	v_fma_f64 v[108:109], v[148:149], v[156:157], -v[108:109]
	v_mul_f64 v[148:149], v[148:149], v[110:111]
	v_add_f64 v[68:69], v[68:69], -v[108:109]
	s_delay_alu instid0(VALU_DEP_2) | instskip(NEXT) | instid1(VALU_DEP_1)
	v_fma_f64 v[148:149], v[150:151], v[156:157], v[148:149]
	v_add_f64 v[70:71], v[70:71], -v[148:149]
	ds_load_2addr_b64 v[148:151], v158 offset0:44 offset1:45
	s_waitcnt lgkmcnt(0)
	v_mul_f64 v[108:109], v[150:151], v[110:111]
	s_delay_alu instid0(VALU_DEP_1) | instskip(SKIP_1) | instid1(VALU_DEP_2)
	v_fma_f64 v[108:109], v[148:149], v[156:157], -v[108:109]
	v_mul_f64 v[148:149], v[148:149], v[110:111]
	v_add_f64 v[64:65], v[64:65], -v[108:109]
	s_delay_alu instid0(VALU_DEP_2) | instskip(NEXT) | instid1(VALU_DEP_1)
	v_fma_f64 v[148:149], v[150:151], v[156:157], v[148:149]
	v_add_f64 v[66:67], v[66:67], -v[148:149]
	ds_load_2addr_b64 v[148:151], v158 offset0:46 offset1:47
	s_waitcnt lgkmcnt(0)
	v_mul_f64 v[108:109], v[150:151], v[110:111]
	s_delay_alu instid0(VALU_DEP_1) | instskip(SKIP_1) | instid1(VALU_DEP_2)
	v_fma_f64 v[108:109], v[148:149], v[156:157], -v[108:109]
	v_mul_f64 v[148:149], v[148:149], v[110:111]
	v_add_f64 v[60:61], v[60:61], -v[108:109]
	s_delay_alu instid0(VALU_DEP_2) | instskip(NEXT) | instid1(VALU_DEP_1)
	v_fma_f64 v[148:149], v[150:151], v[156:157], v[148:149]
	v_add_f64 v[62:63], v[62:63], -v[148:149]
	ds_load_2addr_b64 v[148:151], v158 offset0:48 offset1:49
	s_waitcnt lgkmcnt(0)
	v_mul_f64 v[108:109], v[150:151], v[110:111]
	s_delay_alu instid0(VALU_DEP_1) | instskip(SKIP_1) | instid1(VALU_DEP_2)
	v_fma_f64 v[108:109], v[148:149], v[156:157], -v[108:109]
	v_mul_f64 v[148:149], v[148:149], v[110:111]
	v_add_f64 v[56:57], v[56:57], -v[108:109]
	s_delay_alu instid0(VALU_DEP_2) | instskip(NEXT) | instid1(VALU_DEP_1)
	v_fma_f64 v[148:149], v[150:151], v[156:157], v[148:149]
	v_add_f64 v[58:59], v[58:59], -v[148:149]
	ds_load_2addr_b64 v[148:151], v158 offset0:50 offset1:51
	s_waitcnt lgkmcnt(0)
	v_mul_f64 v[108:109], v[150:151], v[110:111]
	s_delay_alu instid0(VALU_DEP_1) | instskip(SKIP_1) | instid1(VALU_DEP_2)
	v_fma_f64 v[108:109], v[148:149], v[156:157], -v[108:109]
	v_mul_f64 v[148:149], v[148:149], v[110:111]
	v_add_f64 v[44:45], v[44:45], -v[108:109]
	s_delay_alu instid0(VALU_DEP_2) | instskip(NEXT) | instid1(VALU_DEP_1)
	v_fma_f64 v[148:149], v[150:151], v[156:157], v[148:149]
	v_add_f64 v[46:47], v[46:47], -v[148:149]
	ds_load_2addr_b64 v[148:151], v158 offset0:52 offset1:53
	s_waitcnt lgkmcnt(0)
	v_mul_f64 v[108:109], v[150:151], v[110:111]
	s_delay_alu instid0(VALU_DEP_1) | instskip(SKIP_1) | instid1(VALU_DEP_2)
	v_fma_f64 v[108:109], v[148:149], v[156:157], -v[108:109]
	v_mul_f64 v[148:149], v[148:149], v[110:111]
	v_add_f64 v[40:41], v[40:41], -v[108:109]
	s_delay_alu instid0(VALU_DEP_2) | instskip(NEXT) | instid1(VALU_DEP_1)
	v_fma_f64 v[148:149], v[150:151], v[156:157], v[148:149]
	v_add_f64 v[42:43], v[42:43], -v[148:149]
	ds_load_2addr_b64 v[148:151], v158 offset0:54 offset1:55
	s_waitcnt lgkmcnt(0)
	v_mul_f64 v[108:109], v[150:151], v[110:111]
	s_delay_alu instid0(VALU_DEP_1) | instskip(SKIP_1) | instid1(VALU_DEP_2)
	v_fma_f64 v[108:109], v[148:149], v[156:157], -v[108:109]
	v_mul_f64 v[148:149], v[148:149], v[110:111]
	v_add_f64 v[36:37], v[36:37], -v[108:109]
	s_delay_alu instid0(VALU_DEP_2) | instskip(NEXT) | instid1(VALU_DEP_1)
	v_fma_f64 v[148:149], v[150:151], v[156:157], v[148:149]
	v_add_f64 v[38:39], v[38:39], -v[148:149]
	ds_load_2addr_b64 v[148:151], v158 offset0:56 offset1:57
	s_waitcnt lgkmcnt(0)
	v_mul_f64 v[108:109], v[150:151], v[110:111]
	s_delay_alu instid0(VALU_DEP_1) | instskip(SKIP_1) | instid1(VALU_DEP_2)
	v_fma_f64 v[108:109], v[148:149], v[156:157], -v[108:109]
	v_mul_f64 v[148:149], v[148:149], v[110:111]
	v_add_f64 v[32:33], v[32:33], -v[108:109]
	s_delay_alu instid0(VALU_DEP_2) | instskip(NEXT) | instid1(VALU_DEP_1)
	v_fma_f64 v[148:149], v[150:151], v[156:157], v[148:149]
	v_add_f64 v[34:35], v[34:35], -v[148:149]
	ds_load_2addr_b64 v[148:151], v158 offset0:58 offset1:59
	s_waitcnt lgkmcnt(0)
	v_mul_f64 v[108:109], v[150:151], v[110:111]
	s_delay_alu instid0(VALU_DEP_1) | instskip(SKIP_1) | instid1(VALU_DEP_2)
	v_fma_f64 v[108:109], v[148:149], v[156:157], -v[108:109]
	v_mul_f64 v[148:149], v[148:149], v[110:111]
	v_add_f64 v[28:29], v[28:29], -v[108:109]
	s_delay_alu instid0(VALU_DEP_2) | instskip(NEXT) | instid1(VALU_DEP_1)
	v_fma_f64 v[148:149], v[150:151], v[156:157], v[148:149]
	v_add_f64 v[30:31], v[30:31], -v[148:149]
	ds_load_2addr_b64 v[148:151], v158 offset0:60 offset1:61
	s_waitcnt lgkmcnt(0)
	v_mul_f64 v[108:109], v[150:151], v[110:111]
	s_delay_alu instid0(VALU_DEP_1) | instskip(SKIP_1) | instid1(VALU_DEP_2)
	v_fma_f64 v[108:109], v[148:149], v[156:157], -v[108:109]
	v_mul_f64 v[148:149], v[148:149], v[110:111]
	v_add_f64 v[24:25], v[24:25], -v[108:109]
	s_delay_alu instid0(VALU_DEP_2) | instskip(NEXT) | instid1(VALU_DEP_1)
	v_fma_f64 v[148:149], v[150:151], v[156:157], v[148:149]
	v_add_f64 v[26:27], v[26:27], -v[148:149]
	ds_load_2addr_b64 v[148:151], v158 offset0:62 offset1:63
	s_waitcnt lgkmcnt(0)
	v_mul_f64 v[108:109], v[150:151], v[110:111]
	s_delay_alu instid0(VALU_DEP_1) | instskip(SKIP_1) | instid1(VALU_DEP_2)
	v_fma_f64 v[108:109], v[148:149], v[156:157], -v[108:109]
	v_mul_f64 v[148:149], v[148:149], v[110:111]
	v_add_f64 v[20:21], v[20:21], -v[108:109]
	s_delay_alu instid0(VALU_DEP_2) | instskip(NEXT) | instid1(VALU_DEP_1)
	v_fma_f64 v[148:149], v[150:151], v[156:157], v[148:149]
	v_add_f64 v[22:23], v[22:23], -v[148:149]
	ds_load_2addr_b64 v[148:151], v158 offset0:64 offset1:65
	s_waitcnt lgkmcnt(0)
	v_mul_f64 v[108:109], v[150:151], v[110:111]
	s_delay_alu instid0(VALU_DEP_1) | instskip(SKIP_1) | instid1(VALU_DEP_2)
	v_fma_f64 v[108:109], v[148:149], v[156:157], -v[108:109]
	v_mul_f64 v[148:149], v[148:149], v[110:111]
	v_add_f64 v[16:17], v[16:17], -v[108:109]
	s_delay_alu instid0(VALU_DEP_2) | instskip(NEXT) | instid1(VALU_DEP_1)
	v_fma_f64 v[148:149], v[150:151], v[156:157], v[148:149]
	v_add_f64 v[18:19], v[18:19], -v[148:149]
	ds_load_2addr_b64 v[148:151], v158 offset0:66 offset1:67
	s_waitcnt lgkmcnt(0)
	v_mul_f64 v[108:109], v[150:151], v[110:111]
	s_delay_alu instid0(VALU_DEP_1) | instskip(SKIP_1) | instid1(VALU_DEP_2)
	v_fma_f64 v[108:109], v[148:149], v[156:157], -v[108:109]
	v_mul_f64 v[148:149], v[148:149], v[110:111]
	v_add_f64 v[12:13], v[12:13], -v[108:109]
	s_delay_alu instid0(VALU_DEP_2) | instskip(NEXT) | instid1(VALU_DEP_1)
	v_fma_f64 v[148:149], v[150:151], v[156:157], v[148:149]
	v_add_f64 v[14:15], v[14:15], -v[148:149]
	ds_load_2addr_b64 v[148:151], v158 offset0:68 offset1:69
	s_waitcnt lgkmcnt(0)
	v_mul_f64 v[108:109], v[150:151], v[110:111]
	s_delay_alu instid0(VALU_DEP_1) | instskip(SKIP_1) | instid1(VALU_DEP_2)
	v_fma_f64 v[108:109], v[148:149], v[156:157], -v[108:109]
	v_mul_f64 v[148:149], v[148:149], v[110:111]
	v_add_f64 v[8:9], v[8:9], -v[108:109]
	s_delay_alu instid0(VALU_DEP_2) | instskip(NEXT) | instid1(VALU_DEP_1)
	v_fma_f64 v[148:149], v[150:151], v[156:157], v[148:149]
	v_add_f64 v[10:11], v[10:11], -v[148:149]
	ds_load_2addr_b64 v[148:151], v158 offset0:70 offset1:71
	s_waitcnt lgkmcnt(0)
	v_mul_f64 v[108:109], v[150:151], v[110:111]
	s_delay_alu instid0(VALU_DEP_1) | instskip(SKIP_1) | instid1(VALU_DEP_2)
	v_fma_f64 v[108:109], v[148:149], v[156:157], -v[108:109]
	v_mul_f64 v[148:149], v[148:149], v[110:111]
	v_add_f64 v[4:5], v[4:5], -v[108:109]
	s_delay_alu instid0(VALU_DEP_2) | instskip(NEXT) | instid1(VALU_DEP_1)
	v_fma_f64 v[148:149], v[150:151], v[156:157], v[148:149]
	v_add_f64 v[6:7], v[6:7], -v[148:149]
	ds_load_2addr_b64 v[148:151], v158 offset0:72 offset1:73
	s_waitcnt lgkmcnt(0)
	v_mul_f64 v[108:109], v[150:151], v[110:111]
	s_delay_alu instid0(VALU_DEP_1) | instskip(SKIP_1) | instid1(VALU_DEP_2)
	v_fma_f64 v[108:109], v[148:149], v[156:157], -v[108:109]
	v_mul_f64 v[148:149], v[148:149], v[110:111]
	v_add_f64 v[0:1], v[0:1], -v[108:109]
	s_delay_alu instid0(VALU_DEP_2) | instskip(SKIP_1) | instid1(VALU_DEP_2)
	v_fma_f64 v[148:149], v[150:151], v[156:157], v[148:149]
	v_dual_mov_b32 v108, v156 :: v_dual_mov_b32 v109, v157
	v_add_f64 v[2:3], v[2:3], -v[148:149]
.LBB72_251:
	s_or_b32 exec_lo, exec_lo, s2
	v_lshl_add_u32 v148, v164, 4, v158
	s_barrier
	buffer_gl0_inv
	v_mov_b32_e32 v156, 12
	ds_store_2addr_b64 v148, v[104:105], v[106:107] offset1:1
	s_waitcnt lgkmcnt(0)
	s_barrier
	buffer_gl0_inv
	ds_load_2addr_b64 v[148:151], v158 offset0:24 offset1:25
	s_cmp_lt_i32 s5, 14
	s_cbranch_scc1 .LBB72_254
; %bb.252:
	v_add3_u32 v157, v162, 0, 0xd0
	v_mov_b32_e32 v156, 12
	s_mov_b32 s6, 13
	s_set_inst_prefetch_distance 0x1
	.p2align	6
.LBB72_253:                             ; =>This Inner Loop Header: Depth=1
	ds_load_2addr_b64 v[165:168], v157 offset1:1
	s_waitcnt lgkmcnt(1)
	v_cmp_gt_f64_e32 vcc_lo, 0, v[148:149]
	v_xor_b32_e32 v169, 0x80000000, v149
	v_cmp_gt_f64_e64 s2, 0, v[150:151]
	v_xor_b32_e32 v171, 0x80000000, v151
	v_add_nc_u32_e32 v157, 16, v157
	s_waitcnt lgkmcnt(0)
	v_cmp_gt_f64_e64 s3, 0, v[165:166]
	v_mov_b32_e32 v173, v165
	v_dual_mov_b32 v175, v167 :: v_dual_cndmask_b32 v170, v149, v169
	v_xor_b32_e32 v169, 0x80000000, v166
	v_cndmask_b32_e64 v172, v151, v171, s2
	v_xor_b32_e32 v171, 0x80000000, v168
	s_delay_alu instid0(VALU_DEP_3) | instskip(SKIP_2) | instid1(VALU_DEP_2)
	v_cndmask_b32_e64 v174, v166, v169, s3
	v_cmp_gt_f64_e64 s3, 0, v[167:168]
	v_cndmask_b32_e32 v169, v148, v148, vcc_lo
	v_cndmask_b32_e64 v176, v168, v171, s3
	v_cndmask_b32_e64 v171, v150, v150, s2
	s_delay_alu instid0(VALU_DEP_2) | instskip(NEXT) | instid1(VALU_DEP_2)
	v_add_f64 v[173:174], v[173:174], v[175:176]
	v_add_f64 v[169:170], v[169:170], v[171:172]
	s_delay_alu instid0(VALU_DEP_1) | instskip(SKIP_4) | instid1(SALU_CYCLE_1)
	v_cmp_lt_f64_e32 vcc_lo, v[169:170], v[173:174]
	v_dual_cndmask_b32 v150, v150, v167 :: v_dual_cndmask_b32 v149, v149, v166
	v_dual_cndmask_b32 v148, v148, v165 :: v_dual_cndmask_b32 v151, v151, v168
	v_cndmask_b32_e64 v156, v156, s6, vcc_lo
	s_add_i32 s6, s6, 1
	s_cmp_lg_u32 s5, s6
	s_cbranch_scc1 .LBB72_253
.LBB72_254:
	s_set_inst_prefetch_distance 0x2
	s_waitcnt lgkmcnt(0)
	v_cmp_eq_f64_e32 vcc_lo, 0, v[148:149]
	v_cmp_eq_f64_e64 s2, 0, v[150:151]
	s_delay_alu instid0(VALU_DEP_1) | instskip(NEXT) | instid1(SALU_CYCLE_1)
	s_and_b32 s2, vcc_lo, s2
	s_and_saveexec_b32 s3, s2
	s_delay_alu instid0(SALU_CYCLE_1)
	s_xor_b32 s2, exec_lo, s3
; %bb.255:
	v_cmp_ne_u32_e32 vcc_lo, 0, v161
	v_cndmask_b32_e32 v161, 13, v161, vcc_lo
; %bb.256:
	s_and_not1_saveexec_b32 s3, s2
	s_cbranch_execz .LBB72_262
; %bb.257:
	v_cmp_gt_f64_e32 vcc_lo, 0, v[148:149]
	v_cmp_gt_f64_e64 s2, 0, v[150:151]
	v_xor_b32_e32 v157, 0x80000000, v149
	v_xor_b32_e32 v165, 0x80000000, v151
	s_delay_alu instid0(VALU_DEP_2) | instskip(NEXT) | instid1(VALU_DEP_2)
	v_cndmask_b32_e32 v166, v149, v157, vcc_lo
	v_cndmask_b32_e64 v168, v151, v165, s2
	v_cndmask_b32_e32 v165, v148, v148, vcc_lo
	v_cndmask_b32_e64 v167, v150, v150, s2
	s_mov_b32 s2, exec_lo
	s_delay_alu instid0(VALU_DEP_1)
	v_cmpx_ngt_f64_e32 v[165:166], v[167:168]
	s_xor_b32 s2, exec_lo, s2
	s_cbranch_execz .LBB72_259
; %bb.258:
	v_div_scale_f64 v[165:166], null, v[150:151], v[150:151], v[148:149]
	v_div_scale_f64 v[171:172], vcc_lo, v[148:149], v[150:151], v[148:149]
	s_delay_alu instid0(VALU_DEP_2) | instskip(SKIP_2) | instid1(VALU_DEP_1)
	v_rcp_f64_e32 v[167:168], v[165:166]
	s_waitcnt_depctr 0xfff
	v_fma_f64 v[169:170], -v[165:166], v[167:168], 1.0
	v_fma_f64 v[167:168], v[167:168], v[169:170], v[167:168]
	s_delay_alu instid0(VALU_DEP_1) | instskip(NEXT) | instid1(VALU_DEP_1)
	v_fma_f64 v[169:170], -v[165:166], v[167:168], 1.0
	v_fma_f64 v[167:168], v[167:168], v[169:170], v[167:168]
	s_delay_alu instid0(VALU_DEP_1) | instskip(NEXT) | instid1(VALU_DEP_1)
	v_mul_f64 v[169:170], v[171:172], v[167:168]
	v_fma_f64 v[165:166], -v[165:166], v[169:170], v[171:172]
	s_delay_alu instid0(VALU_DEP_1) | instskip(NEXT) | instid1(VALU_DEP_1)
	v_div_fmas_f64 v[165:166], v[165:166], v[167:168], v[169:170]
	v_div_fixup_f64 v[165:166], v[165:166], v[150:151], v[148:149]
	s_delay_alu instid0(VALU_DEP_1) | instskip(NEXT) | instid1(VALU_DEP_1)
	v_fma_f64 v[148:149], v[148:149], v[165:166], v[150:151]
	v_div_scale_f64 v[150:151], null, v[148:149], v[148:149], 1.0
	s_delay_alu instid0(VALU_DEP_1) | instskip(SKIP_2) | instid1(VALU_DEP_1)
	v_rcp_f64_e32 v[167:168], v[150:151]
	s_waitcnt_depctr 0xfff
	v_fma_f64 v[169:170], -v[150:151], v[167:168], 1.0
	v_fma_f64 v[167:168], v[167:168], v[169:170], v[167:168]
	s_delay_alu instid0(VALU_DEP_1) | instskip(NEXT) | instid1(VALU_DEP_1)
	v_fma_f64 v[169:170], -v[150:151], v[167:168], 1.0
	v_fma_f64 v[167:168], v[167:168], v[169:170], v[167:168]
	v_div_scale_f64 v[169:170], vcc_lo, 1.0, v[148:149], 1.0
	s_delay_alu instid0(VALU_DEP_1) | instskip(NEXT) | instid1(VALU_DEP_1)
	v_mul_f64 v[171:172], v[169:170], v[167:168]
	v_fma_f64 v[150:151], -v[150:151], v[171:172], v[169:170]
	s_delay_alu instid0(VALU_DEP_1) | instskip(NEXT) | instid1(VALU_DEP_1)
	v_div_fmas_f64 v[150:151], v[150:151], v[167:168], v[171:172]
	v_div_fixup_f64 v[150:151], v[150:151], v[148:149], 1.0
	s_delay_alu instid0(VALU_DEP_1)
	v_mul_f64 v[148:149], v[165:166], v[150:151]
	v_xor_b32_e32 v151, 0x80000000, v151
.LBB72_259:
	s_and_not1_saveexec_b32 s2, s2
	s_cbranch_execz .LBB72_261
; %bb.260:
	s_delay_alu instid0(VALU_DEP_1) | instskip(SKIP_1) | instid1(VALU_DEP_2)
	v_div_scale_f64 v[165:166], null, v[148:149], v[148:149], v[150:151]
	v_div_scale_f64 v[171:172], vcc_lo, v[150:151], v[148:149], v[150:151]
	v_rcp_f64_e32 v[167:168], v[165:166]
	s_waitcnt_depctr 0xfff
	v_fma_f64 v[169:170], -v[165:166], v[167:168], 1.0
	s_delay_alu instid0(VALU_DEP_1) | instskip(NEXT) | instid1(VALU_DEP_1)
	v_fma_f64 v[167:168], v[167:168], v[169:170], v[167:168]
	v_fma_f64 v[169:170], -v[165:166], v[167:168], 1.0
	s_delay_alu instid0(VALU_DEP_1) | instskip(NEXT) | instid1(VALU_DEP_1)
	v_fma_f64 v[167:168], v[167:168], v[169:170], v[167:168]
	v_mul_f64 v[169:170], v[171:172], v[167:168]
	s_delay_alu instid0(VALU_DEP_1) | instskip(NEXT) | instid1(VALU_DEP_1)
	v_fma_f64 v[165:166], -v[165:166], v[169:170], v[171:172]
	v_div_fmas_f64 v[165:166], v[165:166], v[167:168], v[169:170]
	s_delay_alu instid0(VALU_DEP_1) | instskip(NEXT) | instid1(VALU_DEP_1)
	v_div_fixup_f64 v[165:166], v[165:166], v[148:149], v[150:151]
	v_fma_f64 v[148:149], v[150:151], v[165:166], v[148:149]
	s_delay_alu instid0(VALU_DEP_1) | instskip(NEXT) | instid1(VALU_DEP_1)
	v_div_scale_f64 v[150:151], null, v[148:149], v[148:149], 1.0
	v_rcp_f64_e32 v[167:168], v[150:151]
	s_waitcnt_depctr 0xfff
	v_fma_f64 v[169:170], -v[150:151], v[167:168], 1.0
	s_delay_alu instid0(VALU_DEP_1) | instskip(NEXT) | instid1(VALU_DEP_1)
	v_fma_f64 v[167:168], v[167:168], v[169:170], v[167:168]
	v_fma_f64 v[169:170], -v[150:151], v[167:168], 1.0
	s_delay_alu instid0(VALU_DEP_1) | instskip(SKIP_1) | instid1(VALU_DEP_1)
	v_fma_f64 v[167:168], v[167:168], v[169:170], v[167:168]
	v_div_scale_f64 v[169:170], vcc_lo, 1.0, v[148:149], 1.0
	v_mul_f64 v[171:172], v[169:170], v[167:168]
	s_delay_alu instid0(VALU_DEP_1) | instskip(NEXT) | instid1(VALU_DEP_1)
	v_fma_f64 v[150:151], -v[150:151], v[171:172], v[169:170]
	v_div_fmas_f64 v[150:151], v[150:151], v[167:168], v[171:172]
	s_delay_alu instid0(VALU_DEP_1) | instskip(NEXT) | instid1(VALU_DEP_1)
	v_div_fixup_f64 v[148:149], v[150:151], v[148:149], 1.0
	v_mul_f64 v[150:151], v[165:166], -v[148:149]
.LBB72_261:
	s_or_b32 exec_lo, exec_lo, s2
.LBB72_262:
	s_delay_alu instid0(SALU_CYCLE_1) | instskip(NEXT) | instid1(SALU_CYCLE_1)
	s_or_b32 exec_lo, exec_lo, s3
	s_mov_b32 s2, exec_lo
	v_cmpx_ne_u32_e64 v164, v156
	s_xor_b32 s2, exec_lo, s2
	s_cbranch_execz .LBB72_268
; %bb.263:
	s_mov_b32 s3, exec_lo
	v_cmpx_eq_u32_e32 12, v164
	s_cbranch_execz .LBB72_267
; %bb.264:
	v_cmp_ne_u32_e32 vcc_lo, 12, v156
	s_xor_b32 s6, s4, -1
	s_delay_alu instid0(SALU_CYCLE_1) | instskip(NEXT) | instid1(SALU_CYCLE_1)
	s_and_b32 s7, s6, vcc_lo
	s_and_saveexec_b32 s6, s7
	s_cbranch_execz .LBB72_266
; %bb.265:
	v_ashrrev_i32_e32 v157, 31, v156
	s_delay_alu instid0(VALU_DEP_1) | instskip(NEXT) | instid1(VALU_DEP_1)
	v_lshlrev_b64 v[163:164], 2, v[156:157]
	v_add_co_u32 v163, vcc_lo, v154, v163
	s_delay_alu instid0(VALU_DEP_2)
	v_add_co_ci_u32_e32 v164, vcc_lo, v155, v164, vcc_lo
	s_clause 0x1
	flat_load_b32 v157, v[163:164]
	flat_load_b32 v165, v[154:155] offset:48
	s_waitcnt vmcnt(1) lgkmcnt(1)
	flat_store_b32 v[154:155], v157 offset:48
	s_waitcnt vmcnt(0) lgkmcnt(1)
	flat_store_b32 v[163:164], v165
.LBB72_266:
	s_or_b32 exec_lo, exec_lo, s6
	v_mov_b32_e32 v164, v156
	v_mov_b32_e32 v163, v156
.LBB72_267:
	s_or_b32 exec_lo, exec_lo, s3
.LBB72_268:
	s_and_not1_saveexec_b32 s2, s2
	s_cbranch_execz .LBB72_270
; %bb.269:
	v_mov_b32_e32 v164, 12
	ds_store_2addr_b64 v158, v[100:101], v[102:103] offset0:26 offset1:27
	ds_store_2addr_b64 v158, v[96:97], v[98:99] offset0:28 offset1:29
	;; [unrolled: 1-line block ×24, first 2 shown]
.LBB72_270:
	s_or_b32 exec_lo, exec_lo, s2
	s_delay_alu instid0(SALU_CYCLE_1)
	s_mov_b32 s2, exec_lo
	s_waitcnt lgkmcnt(0)
	s_waitcnt_vscnt null, 0x0
	s_barrier
	buffer_gl0_inv
	v_cmpx_lt_i32_e32 12, v164
	s_cbranch_execz .LBB72_272
; %bb.271:
	v_mul_f64 v[156:157], v[150:151], v[106:107]
	v_mul_f64 v[106:107], v[148:149], v[106:107]
	s_delay_alu instid0(VALU_DEP_2) | instskip(NEXT) | instid1(VALU_DEP_2)
	v_fma_f64 v[156:157], v[148:149], v[104:105], -v[156:157]
	v_fma_f64 v[106:107], v[150:151], v[104:105], v[106:107]
	ds_load_2addr_b64 v[148:151], v158 offset0:26 offset1:27
	s_waitcnt lgkmcnt(0)
	v_mul_f64 v[104:105], v[150:151], v[106:107]
	s_delay_alu instid0(VALU_DEP_1) | instskip(SKIP_1) | instid1(VALU_DEP_2)
	v_fma_f64 v[104:105], v[148:149], v[156:157], -v[104:105]
	v_mul_f64 v[148:149], v[148:149], v[106:107]
	v_add_f64 v[100:101], v[100:101], -v[104:105]
	s_delay_alu instid0(VALU_DEP_2) | instskip(NEXT) | instid1(VALU_DEP_1)
	v_fma_f64 v[148:149], v[150:151], v[156:157], v[148:149]
	v_add_f64 v[102:103], v[102:103], -v[148:149]
	ds_load_2addr_b64 v[148:151], v158 offset0:28 offset1:29
	s_waitcnt lgkmcnt(0)
	v_mul_f64 v[104:105], v[150:151], v[106:107]
	s_delay_alu instid0(VALU_DEP_1) | instskip(SKIP_1) | instid1(VALU_DEP_2)
	v_fma_f64 v[104:105], v[148:149], v[156:157], -v[104:105]
	v_mul_f64 v[148:149], v[148:149], v[106:107]
	v_add_f64 v[96:97], v[96:97], -v[104:105]
	s_delay_alu instid0(VALU_DEP_2) | instskip(NEXT) | instid1(VALU_DEP_1)
	v_fma_f64 v[148:149], v[150:151], v[156:157], v[148:149]
	v_add_f64 v[98:99], v[98:99], -v[148:149]
	;; [unrolled: 10-line block ×23, first 2 shown]
	ds_load_2addr_b64 v[148:151], v158 offset0:72 offset1:73
	s_waitcnt lgkmcnt(0)
	v_mul_f64 v[104:105], v[150:151], v[106:107]
	s_delay_alu instid0(VALU_DEP_1) | instskip(SKIP_1) | instid1(VALU_DEP_2)
	v_fma_f64 v[104:105], v[148:149], v[156:157], -v[104:105]
	v_mul_f64 v[148:149], v[148:149], v[106:107]
	v_add_f64 v[0:1], v[0:1], -v[104:105]
	s_delay_alu instid0(VALU_DEP_2) | instskip(SKIP_1) | instid1(VALU_DEP_2)
	v_fma_f64 v[148:149], v[150:151], v[156:157], v[148:149]
	v_dual_mov_b32 v104, v156 :: v_dual_mov_b32 v105, v157
	v_add_f64 v[2:3], v[2:3], -v[148:149]
.LBB72_272:
	s_or_b32 exec_lo, exec_lo, s2
	v_lshl_add_u32 v148, v164, 4, v158
	s_barrier
	buffer_gl0_inv
	v_mov_b32_e32 v156, 13
	ds_store_2addr_b64 v148, v[100:101], v[102:103] offset1:1
	s_waitcnt lgkmcnt(0)
	s_barrier
	buffer_gl0_inv
	ds_load_2addr_b64 v[148:151], v158 offset0:26 offset1:27
	s_cmp_lt_i32 s5, 15
	s_cbranch_scc1 .LBB72_275
; %bb.273:
	v_add3_u32 v157, v162, 0, 0xe0
	v_mov_b32_e32 v156, 13
	s_mov_b32 s6, 14
	s_set_inst_prefetch_distance 0x1
	.p2align	6
.LBB72_274:                             ; =>This Inner Loop Header: Depth=1
	ds_load_2addr_b64 v[165:168], v157 offset1:1
	s_waitcnt lgkmcnt(1)
	v_cmp_gt_f64_e32 vcc_lo, 0, v[148:149]
	v_xor_b32_e32 v169, 0x80000000, v149
	v_cmp_gt_f64_e64 s2, 0, v[150:151]
	v_xor_b32_e32 v171, 0x80000000, v151
	v_add_nc_u32_e32 v157, 16, v157
	s_waitcnt lgkmcnt(0)
	v_cmp_gt_f64_e64 s3, 0, v[165:166]
	v_mov_b32_e32 v173, v165
	v_dual_mov_b32 v175, v167 :: v_dual_cndmask_b32 v170, v149, v169
	v_xor_b32_e32 v169, 0x80000000, v166
	v_cndmask_b32_e64 v172, v151, v171, s2
	v_xor_b32_e32 v171, 0x80000000, v168
	s_delay_alu instid0(VALU_DEP_3) | instskip(SKIP_2) | instid1(VALU_DEP_2)
	v_cndmask_b32_e64 v174, v166, v169, s3
	v_cmp_gt_f64_e64 s3, 0, v[167:168]
	v_cndmask_b32_e32 v169, v148, v148, vcc_lo
	v_cndmask_b32_e64 v176, v168, v171, s3
	v_cndmask_b32_e64 v171, v150, v150, s2
	s_delay_alu instid0(VALU_DEP_2) | instskip(NEXT) | instid1(VALU_DEP_2)
	v_add_f64 v[173:174], v[173:174], v[175:176]
	v_add_f64 v[169:170], v[169:170], v[171:172]
	s_delay_alu instid0(VALU_DEP_1) | instskip(SKIP_4) | instid1(SALU_CYCLE_1)
	v_cmp_lt_f64_e32 vcc_lo, v[169:170], v[173:174]
	v_dual_cndmask_b32 v150, v150, v167 :: v_dual_cndmask_b32 v149, v149, v166
	v_dual_cndmask_b32 v148, v148, v165 :: v_dual_cndmask_b32 v151, v151, v168
	v_cndmask_b32_e64 v156, v156, s6, vcc_lo
	s_add_i32 s6, s6, 1
	s_cmp_lg_u32 s5, s6
	s_cbranch_scc1 .LBB72_274
.LBB72_275:
	s_set_inst_prefetch_distance 0x2
	s_waitcnt lgkmcnt(0)
	v_cmp_eq_f64_e32 vcc_lo, 0, v[148:149]
	v_cmp_eq_f64_e64 s2, 0, v[150:151]
	s_delay_alu instid0(VALU_DEP_1) | instskip(NEXT) | instid1(SALU_CYCLE_1)
	s_and_b32 s2, vcc_lo, s2
	s_and_saveexec_b32 s3, s2
	s_delay_alu instid0(SALU_CYCLE_1)
	s_xor_b32 s2, exec_lo, s3
; %bb.276:
	v_cmp_ne_u32_e32 vcc_lo, 0, v161
	v_cndmask_b32_e32 v161, 14, v161, vcc_lo
; %bb.277:
	s_and_not1_saveexec_b32 s3, s2
	s_cbranch_execz .LBB72_283
; %bb.278:
	v_cmp_gt_f64_e32 vcc_lo, 0, v[148:149]
	v_cmp_gt_f64_e64 s2, 0, v[150:151]
	v_xor_b32_e32 v157, 0x80000000, v149
	v_xor_b32_e32 v165, 0x80000000, v151
	s_delay_alu instid0(VALU_DEP_2) | instskip(NEXT) | instid1(VALU_DEP_2)
	v_cndmask_b32_e32 v166, v149, v157, vcc_lo
	v_cndmask_b32_e64 v168, v151, v165, s2
	v_cndmask_b32_e32 v165, v148, v148, vcc_lo
	v_cndmask_b32_e64 v167, v150, v150, s2
	s_mov_b32 s2, exec_lo
	s_delay_alu instid0(VALU_DEP_1)
	v_cmpx_ngt_f64_e32 v[165:166], v[167:168]
	s_xor_b32 s2, exec_lo, s2
	s_cbranch_execz .LBB72_280
; %bb.279:
	v_div_scale_f64 v[165:166], null, v[150:151], v[150:151], v[148:149]
	v_div_scale_f64 v[171:172], vcc_lo, v[148:149], v[150:151], v[148:149]
	s_delay_alu instid0(VALU_DEP_2) | instskip(SKIP_2) | instid1(VALU_DEP_1)
	v_rcp_f64_e32 v[167:168], v[165:166]
	s_waitcnt_depctr 0xfff
	v_fma_f64 v[169:170], -v[165:166], v[167:168], 1.0
	v_fma_f64 v[167:168], v[167:168], v[169:170], v[167:168]
	s_delay_alu instid0(VALU_DEP_1) | instskip(NEXT) | instid1(VALU_DEP_1)
	v_fma_f64 v[169:170], -v[165:166], v[167:168], 1.0
	v_fma_f64 v[167:168], v[167:168], v[169:170], v[167:168]
	s_delay_alu instid0(VALU_DEP_1) | instskip(NEXT) | instid1(VALU_DEP_1)
	v_mul_f64 v[169:170], v[171:172], v[167:168]
	v_fma_f64 v[165:166], -v[165:166], v[169:170], v[171:172]
	s_delay_alu instid0(VALU_DEP_1) | instskip(NEXT) | instid1(VALU_DEP_1)
	v_div_fmas_f64 v[165:166], v[165:166], v[167:168], v[169:170]
	v_div_fixup_f64 v[165:166], v[165:166], v[150:151], v[148:149]
	s_delay_alu instid0(VALU_DEP_1) | instskip(NEXT) | instid1(VALU_DEP_1)
	v_fma_f64 v[148:149], v[148:149], v[165:166], v[150:151]
	v_div_scale_f64 v[150:151], null, v[148:149], v[148:149], 1.0
	s_delay_alu instid0(VALU_DEP_1) | instskip(SKIP_2) | instid1(VALU_DEP_1)
	v_rcp_f64_e32 v[167:168], v[150:151]
	s_waitcnt_depctr 0xfff
	v_fma_f64 v[169:170], -v[150:151], v[167:168], 1.0
	v_fma_f64 v[167:168], v[167:168], v[169:170], v[167:168]
	s_delay_alu instid0(VALU_DEP_1) | instskip(NEXT) | instid1(VALU_DEP_1)
	v_fma_f64 v[169:170], -v[150:151], v[167:168], 1.0
	v_fma_f64 v[167:168], v[167:168], v[169:170], v[167:168]
	v_div_scale_f64 v[169:170], vcc_lo, 1.0, v[148:149], 1.0
	s_delay_alu instid0(VALU_DEP_1) | instskip(NEXT) | instid1(VALU_DEP_1)
	v_mul_f64 v[171:172], v[169:170], v[167:168]
	v_fma_f64 v[150:151], -v[150:151], v[171:172], v[169:170]
	s_delay_alu instid0(VALU_DEP_1) | instskip(NEXT) | instid1(VALU_DEP_1)
	v_div_fmas_f64 v[150:151], v[150:151], v[167:168], v[171:172]
	v_div_fixup_f64 v[150:151], v[150:151], v[148:149], 1.0
	s_delay_alu instid0(VALU_DEP_1)
	v_mul_f64 v[148:149], v[165:166], v[150:151]
	v_xor_b32_e32 v151, 0x80000000, v151
.LBB72_280:
	s_and_not1_saveexec_b32 s2, s2
	s_cbranch_execz .LBB72_282
; %bb.281:
	s_delay_alu instid0(VALU_DEP_1) | instskip(SKIP_1) | instid1(VALU_DEP_2)
	v_div_scale_f64 v[165:166], null, v[148:149], v[148:149], v[150:151]
	v_div_scale_f64 v[171:172], vcc_lo, v[150:151], v[148:149], v[150:151]
	v_rcp_f64_e32 v[167:168], v[165:166]
	s_waitcnt_depctr 0xfff
	v_fma_f64 v[169:170], -v[165:166], v[167:168], 1.0
	s_delay_alu instid0(VALU_DEP_1) | instskip(NEXT) | instid1(VALU_DEP_1)
	v_fma_f64 v[167:168], v[167:168], v[169:170], v[167:168]
	v_fma_f64 v[169:170], -v[165:166], v[167:168], 1.0
	s_delay_alu instid0(VALU_DEP_1) | instskip(NEXT) | instid1(VALU_DEP_1)
	v_fma_f64 v[167:168], v[167:168], v[169:170], v[167:168]
	v_mul_f64 v[169:170], v[171:172], v[167:168]
	s_delay_alu instid0(VALU_DEP_1) | instskip(NEXT) | instid1(VALU_DEP_1)
	v_fma_f64 v[165:166], -v[165:166], v[169:170], v[171:172]
	v_div_fmas_f64 v[165:166], v[165:166], v[167:168], v[169:170]
	s_delay_alu instid0(VALU_DEP_1) | instskip(NEXT) | instid1(VALU_DEP_1)
	v_div_fixup_f64 v[165:166], v[165:166], v[148:149], v[150:151]
	v_fma_f64 v[148:149], v[150:151], v[165:166], v[148:149]
	s_delay_alu instid0(VALU_DEP_1) | instskip(NEXT) | instid1(VALU_DEP_1)
	v_div_scale_f64 v[150:151], null, v[148:149], v[148:149], 1.0
	v_rcp_f64_e32 v[167:168], v[150:151]
	s_waitcnt_depctr 0xfff
	v_fma_f64 v[169:170], -v[150:151], v[167:168], 1.0
	s_delay_alu instid0(VALU_DEP_1) | instskip(NEXT) | instid1(VALU_DEP_1)
	v_fma_f64 v[167:168], v[167:168], v[169:170], v[167:168]
	v_fma_f64 v[169:170], -v[150:151], v[167:168], 1.0
	s_delay_alu instid0(VALU_DEP_1) | instskip(SKIP_1) | instid1(VALU_DEP_1)
	v_fma_f64 v[167:168], v[167:168], v[169:170], v[167:168]
	v_div_scale_f64 v[169:170], vcc_lo, 1.0, v[148:149], 1.0
	v_mul_f64 v[171:172], v[169:170], v[167:168]
	s_delay_alu instid0(VALU_DEP_1) | instskip(NEXT) | instid1(VALU_DEP_1)
	v_fma_f64 v[150:151], -v[150:151], v[171:172], v[169:170]
	v_div_fmas_f64 v[150:151], v[150:151], v[167:168], v[171:172]
	s_delay_alu instid0(VALU_DEP_1) | instskip(NEXT) | instid1(VALU_DEP_1)
	v_div_fixup_f64 v[148:149], v[150:151], v[148:149], 1.0
	v_mul_f64 v[150:151], v[165:166], -v[148:149]
.LBB72_282:
	s_or_b32 exec_lo, exec_lo, s2
.LBB72_283:
	s_delay_alu instid0(SALU_CYCLE_1) | instskip(NEXT) | instid1(SALU_CYCLE_1)
	s_or_b32 exec_lo, exec_lo, s3
	s_mov_b32 s2, exec_lo
	v_cmpx_ne_u32_e64 v164, v156
	s_xor_b32 s2, exec_lo, s2
	s_cbranch_execz .LBB72_289
; %bb.284:
	s_mov_b32 s3, exec_lo
	v_cmpx_eq_u32_e32 13, v164
	s_cbranch_execz .LBB72_288
; %bb.285:
	v_cmp_ne_u32_e32 vcc_lo, 13, v156
	s_xor_b32 s6, s4, -1
	s_delay_alu instid0(SALU_CYCLE_1) | instskip(NEXT) | instid1(SALU_CYCLE_1)
	s_and_b32 s7, s6, vcc_lo
	s_and_saveexec_b32 s6, s7
	s_cbranch_execz .LBB72_287
; %bb.286:
	v_ashrrev_i32_e32 v157, 31, v156
	s_delay_alu instid0(VALU_DEP_1) | instskip(NEXT) | instid1(VALU_DEP_1)
	v_lshlrev_b64 v[163:164], 2, v[156:157]
	v_add_co_u32 v163, vcc_lo, v154, v163
	s_delay_alu instid0(VALU_DEP_2)
	v_add_co_ci_u32_e32 v164, vcc_lo, v155, v164, vcc_lo
	s_clause 0x1
	flat_load_b32 v157, v[163:164]
	flat_load_b32 v165, v[154:155] offset:52
	s_waitcnt vmcnt(1) lgkmcnt(1)
	flat_store_b32 v[154:155], v157 offset:52
	s_waitcnt vmcnt(0) lgkmcnt(1)
	flat_store_b32 v[163:164], v165
.LBB72_287:
	s_or_b32 exec_lo, exec_lo, s6
	v_mov_b32_e32 v164, v156
	v_mov_b32_e32 v163, v156
.LBB72_288:
	s_or_b32 exec_lo, exec_lo, s3
.LBB72_289:
	s_and_not1_saveexec_b32 s2, s2
	s_cbranch_execz .LBB72_291
; %bb.290:
	v_mov_b32_e32 v164, 13
	ds_store_2addr_b64 v158, v[96:97], v[98:99] offset0:28 offset1:29
	ds_store_2addr_b64 v158, v[92:93], v[94:95] offset0:30 offset1:31
	;; [unrolled: 1-line block ×23, first 2 shown]
.LBB72_291:
	s_or_b32 exec_lo, exec_lo, s2
	s_delay_alu instid0(SALU_CYCLE_1)
	s_mov_b32 s2, exec_lo
	s_waitcnt lgkmcnt(0)
	s_waitcnt_vscnt null, 0x0
	s_barrier
	buffer_gl0_inv
	v_cmpx_lt_i32_e32 13, v164
	s_cbranch_execz .LBB72_293
; %bb.292:
	v_mul_f64 v[156:157], v[150:151], v[102:103]
	v_mul_f64 v[102:103], v[148:149], v[102:103]
	s_delay_alu instid0(VALU_DEP_2) | instskip(NEXT) | instid1(VALU_DEP_2)
	v_fma_f64 v[156:157], v[148:149], v[100:101], -v[156:157]
	v_fma_f64 v[102:103], v[150:151], v[100:101], v[102:103]
	ds_load_2addr_b64 v[148:151], v158 offset0:28 offset1:29
	s_waitcnt lgkmcnt(0)
	v_mul_f64 v[100:101], v[150:151], v[102:103]
	s_delay_alu instid0(VALU_DEP_1) | instskip(SKIP_1) | instid1(VALU_DEP_2)
	v_fma_f64 v[100:101], v[148:149], v[156:157], -v[100:101]
	v_mul_f64 v[148:149], v[148:149], v[102:103]
	v_add_f64 v[96:97], v[96:97], -v[100:101]
	s_delay_alu instid0(VALU_DEP_2) | instskip(NEXT) | instid1(VALU_DEP_1)
	v_fma_f64 v[148:149], v[150:151], v[156:157], v[148:149]
	v_add_f64 v[98:99], v[98:99], -v[148:149]
	ds_load_2addr_b64 v[148:151], v158 offset0:30 offset1:31
	s_waitcnt lgkmcnt(0)
	v_mul_f64 v[100:101], v[150:151], v[102:103]
	s_delay_alu instid0(VALU_DEP_1) | instskip(SKIP_1) | instid1(VALU_DEP_2)
	v_fma_f64 v[100:101], v[148:149], v[156:157], -v[100:101]
	v_mul_f64 v[148:149], v[148:149], v[102:103]
	v_add_f64 v[92:93], v[92:93], -v[100:101]
	s_delay_alu instid0(VALU_DEP_2) | instskip(NEXT) | instid1(VALU_DEP_1)
	v_fma_f64 v[148:149], v[150:151], v[156:157], v[148:149]
	v_add_f64 v[94:95], v[94:95], -v[148:149]
	;; [unrolled: 10-line block ×22, first 2 shown]
	ds_load_2addr_b64 v[148:151], v158 offset0:72 offset1:73
	s_waitcnt lgkmcnt(0)
	v_mul_f64 v[100:101], v[150:151], v[102:103]
	s_delay_alu instid0(VALU_DEP_1) | instskip(SKIP_1) | instid1(VALU_DEP_2)
	v_fma_f64 v[100:101], v[148:149], v[156:157], -v[100:101]
	v_mul_f64 v[148:149], v[148:149], v[102:103]
	v_add_f64 v[0:1], v[0:1], -v[100:101]
	s_delay_alu instid0(VALU_DEP_2) | instskip(SKIP_1) | instid1(VALU_DEP_2)
	v_fma_f64 v[148:149], v[150:151], v[156:157], v[148:149]
	v_dual_mov_b32 v100, v156 :: v_dual_mov_b32 v101, v157
	v_add_f64 v[2:3], v[2:3], -v[148:149]
.LBB72_293:
	s_or_b32 exec_lo, exec_lo, s2
	v_lshl_add_u32 v148, v164, 4, v158
	s_barrier
	buffer_gl0_inv
	v_mov_b32_e32 v156, 14
	ds_store_2addr_b64 v148, v[96:97], v[98:99] offset1:1
	s_waitcnt lgkmcnt(0)
	s_barrier
	buffer_gl0_inv
	ds_load_2addr_b64 v[148:151], v158 offset0:28 offset1:29
	s_cmp_lt_i32 s5, 16
	s_cbranch_scc1 .LBB72_296
; %bb.294:
	v_add3_u32 v157, v162, 0, 0xf0
	v_mov_b32_e32 v156, 14
	s_mov_b32 s6, 15
	s_set_inst_prefetch_distance 0x1
	.p2align	6
.LBB72_295:                             ; =>This Inner Loop Header: Depth=1
	ds_load_2addr_b64 v[165:168], v157 offset1:1
	s_waitcnt lgkmcnt(1)
	v_cmp_gt_f64_e32 vcc_lo, 0, v[148:149]
	v_xor_b32_e32 v169, 0x80000000, v149
	v_cmp_gt_f64_e64 s2, 0, v[150:151]
	v_xor_b32_e32 v171, 0x80000000, v151
	v_add_nc_u32_e32 v157, 16, v157
	s_waitcnt lgkmcnt(0)
	v_cmp_gt_f64_e64 s3, 0, v[165:166]
	v_mov_b32_e32 v173, v165
	v_dual_mov_b32 v175, v167 :: v_dual_cndmask_b32 v170, v149, v169
	v_xor_b32_e32 v169, 0x80000000, v166
	v_cndmask_b32_e64 v172, v151, v171, s2
	v_xor_b32_e32 v171, 0x80000000, v168
	s_delay_alu instid0(VALU_DEP_3) | instskip(SKIP_2) | instid1(VALU_DEP_2)
	v_cndmask_b32_e64 v174, v166, v169, s3
	v_cmp_gt_f64_e64 s3, 0, v[167:168]
	v_cndmask_b32_e32 v169, v148, v148, vcc_lo
	v_cndmask_b32_e64 v176, v168, v171, s3
	v_cndmask_b32_e64 v171, v150, v150, s2
	s_delay_alu instid0(VALU_DEP_2) | instskip(NEXT) | instid1(VALU_DEP_2)
	v_add_f64 v[173:174], v[173:174], v[175:176]
	v_add_f64 v[169:170], v[169:170], v[171:172]
	s_delay_alu instid0(VALU_DEP_1) | instskip(SKIP_4) | instid1(SALU_CYCLE_1)
	v_cmp_lt_f64_e32 vcc_lo, v[169:170], v[173:174]
	v_dual_cndmask_b32 v150, v150, v167 :: v_dual_cndmask_b32 v149, v149, v166
	v_dual_cndmask_b32 v148, v148, v165 :: v_dual_cndmask_b32 v151, v151, v168
	v_cndmask_b32_e64 v156, v156, s6, vcc_lo
	s_add_i32 s6, s6, 1
	s_cmp_lg_u32 s5, s6
	s_cbranch_scc1 .LBB72_295
.LBB72_296:
	s_set_inst_prefetch_distance 0x2
	s_waitcnt lgkmcnt(0)
	v_cmp_eq_f64_e32 vcc_lo, 0, v[148:149]
	v_cmp_eq_f64_e64 s2, 0, v[150:151]
	s_delay_alu instid0(VALU_DEP_1) | instskip(NEXT) | instid1(SALU_CYCLE_1)
	s_and_b32 s2, vcc_lo, s2
	s_and_saveexec_b32 s3, s2
	s_delay_alu instid0(SALU_CYCLE_1)
	s_xor_b32 s2, exec_lo, s3
; %bb.297:
	v_cmp_ne_u32_e32 vcc_lo, 0, v161
	v_cndmask_b32_e32 v161, 15, v161, vcc_lo
; %bb.298:
	s_and_not1_saveexec_b32 s3, s2
	s_cbranch_execz .LBB72_304
; %bb.299:
	v_cmp_gt_f64_e32 vcc_lo, 0, v[148:149]
	v_cmp_gt_f64_e64 s2, 0, v[150:151]
	v_xor_b32_e32 v157, 0x80000000, v149
	v_xor_b32_e32 v165, 0x80000000, v151
	s_delay_alu instid0(VALU_DEP_2) | instskip(NEXT) | instid1(VALU_DEP_2)
	v_cndmask_b32_e32 v166, v149, v157, vcc_lo
	v_cndmask_b32_e64 v168, v151, v165, s2
	v_cndmask_b32_e32 v165, v148, v148, vcc_lo
	v_cndmask_b32_e64 v167, v150, v150, s2
	s_mov_b32 s2, exec_lo
	s_delay_alu instid0(VALU_DEP_1)
	v_cmpx_ngt_f64_e32 v[165:166], v[167:168]
	s_xor_b32 s2, exec_lo, s2
	s_cbranch_execz .LBB72_301
; %bb.300:
	v_div_scale_f64 v[165:166], null, v[150:151], v[150:151], v[148:149]
	v_div_scale_f64 v[171:172], vcc_lo, v[148:149], v[150:151], v[148:149]
	s_delay_alu instid0(VALU_DEP_2) | instskip(SKIP_2) | instid1(VALU_DEP_1)
	v_rcp_f64_e32 v[167:168], v[165:166]
	s_waitcnt_depctr 0xfff
	v_fma_f64 v[169:170], -v[165:166], v[167:168], 1.0
	v_fma_f64 v[167:168], v[167:168], v[169:170], v[167:168]
	s_delay_alu instid0(VALU_DEP_1) | instskip(NEXT) | instid1(VALU_DEP_1)
	v_fma_f64 v[169:170], -v[165:166], v[167:168], 1.0
	v_fma_f64 v[167:168], v[167:168], v[169:170], v[167:168]
	s_delay_alu instid0(VALU_DEP_1) | instskip(NEXT) | instid1(VALU_DEP_1)
	v_mul_f64 v[169:170], v[171:172], v[167:168]
	v_fma_f64 v[165:166], -v[165:166], v[169:170], v[171:172]
	s_delay_alu instid0(VALU_DEP_1) | instskip(NEXT) | instid1(VALU_DEP_1)
	v_div_fmas_f64 v[165:166], v[165:166], v[167:168], v[169:170]
	v_div_fixup_f64 v[165:166], v[165:166], v[150:151], v[148:149]
	s_delay_alu instid0(VALU_DEP_1) | instskip(NEXT) | instid1(VALU_DEP_1)
	v_fma_f64 v[148:149], v[148:149], v[165:166], v[150:151]
	v_div_scale_f64 v[150:151], null, v[148:149], v[148:149], 1.0
	s_delay_alu instid0(VALU_DEP_1) | instskip(SKIP_2) | instid1(VALU_DEP_1)
	v_rcp_f64_e32 v[167:168], v[150:151]
	s_waitcnt_depctr 0xfff
	v_fma_f64 v[169:170], -v[150:151], v[167:168], 1.0
	v_fma_f64 v[167:168], v[167:168], v[169:170], v[167:168]
	s_delay_alu instid0(VALU_DEP_1) | instskip(NEXT) | instid1(VALU_DEP_1)
	v_fma_f64 v[169:170], -v[150:151], v[167:168], 1.0
	v_fma_f64 v[167:168], v[167:168], v[169:170], v[167:168]
	v_div_scale_f64 v[169:170], vcc_lo, 1.0, v[148:149], 1.0
	s_delay_alu instid0(VALU_DEP_1) | instskip(NEXT) | instid1(VALU_DEP_1)
	v_mul_f64 v[171:172], v[169:170], v[167:168]
	v_fma_f64 v[150:151], -v[150:151], v[171:172], v[169:170]
	s_delay_alu instid0(VALU_DEP_1) | instskip(NEXT) | instid1(VALU_DEP_1)
	v_div_fmas_f64 v[150:151], v[150:151], v[167:168], v[171:172]
	v_div_fixup_f64 v[150:151], v[150:151], v[148:149], 1.0
	s_delay_alu instid0(VALU_DEP_1)
	v_mul_f64 v[148:149], v[165:166], v[150:151]
	v_xor_b32_e32 v151, 0x80000000, v151
.LBB72_301:
	s_and_not1_saveexec_b32 s2, s2
	s_cbranch_execz .LBB72_303
; %bb.302:
	s_delay_alu instid0(VALU_DEP_1) | instskip(SKIP_1) | instid1(VALU_DEP_2)
	v_div_scale_f64 v[165:166], null, v[148:149], v[148:149], v[150:151]
	v_div_scale_f64 v[171:172], vcc_lo, v[150:151], v[148:149], v[150:151]
	v_rcp_f64_e32 v[167:168], v[165:166]
	s_waitcnt_depctr 0xfff
	v_fma_f64 v[169:170], -v[165:166], v[167:168], 1.0
	s_delay_alu instid0(VALU_DEP_1) | instskip(NEXT) | instid1(VALU_DEP_1)
	v_fma_f64 v[167:168], v[167:168], v[169:170], v[167:168]
	v_fma_f64 v[169:170], -v[165:166], v[167:168], 1.0
	s_delay_alu instid0(VALU_DEP_1) | instskip(NEXT) | instid1(VALU_DEP_1)
	v_fma_f64 v[167:168], v[167:168], v[169:170], v[167:168]
	v_mul_f64 v[169:170], v[171:172], v[167:168]
	s_delay_alu instid0(VALU_DEP_1) | instskip(NEXT) | instid1(VALU_DEP_1)
	v_fma_f64 v[165:166], -v[165:166], v[169:170], v[171:172]
	v_div_fmas_f64 v[165:166], v[165:166], v[167:168], v[169:170]
	s_delay_alu instid0(VALU_DEP_1) | instskip(NEXT) | instid1(VALU_DEP_1)
	v_div_fixup_f64 v[165:166], v[165:166], v[148:149], v[150:151]
	v_fma_f64 v[148:149], v[150:151], v[165:166], v[148:149]
	s_delay_alu instid0(VALU_DEP_1) | instskip(NEXT) | instid1(VALU_DEP_1)
	v_div_scale_f64 v[150:151], null, v[148:149], v[148:149], 1.0
	v_rcp_f64_e32 v[167:168], v[150:151]
	s_waitcnt_depctr 0xfff
	v_fma_f64 v[169:170], -v[150:151], v[167:168], 1.0
	s_delay_alu instid0(VALU_DEP_1) | instskip(NEXT) | instid1(VALU_DEP_1)
	v_fma_f64 v[167:168], v[167:168], v[169:170], v[167:168]
	v_fma_f64 v[169:170], -v[150:151], v[167:168], 1.0
	s_delay_alu instid0(VALU_DEP_1) | instskip(SKIP_1) | instid1(VALU_DEP_1)
	v_fma_f64 v[167:168], v[167:168], v[169:170], v[167:168]
	v_div_scale_f64 v[169:170], vcc_lo, 1.0, v[148:149], 1.0
	v_mul_f64 v[171:172], v[169:170], v[167:168]
	s_delay_alu instid0(VALU_DEP_1) | instskip(NEXT) | instid1(VALU_DEP_1)
	v_fma_f64 v[150:151], -v[150:151], v[171:172], v[169:170]
	v_div_fmas_f64 v[150:151], v[150:151], v[167:168], v[171:172]
	s_delay_alu instid0(VALU_DEP_1) | instskip(NEXT) | instid1(VALU_DEP_1)
	v_div_fixup_f64 v[148:149], v[150:151], v[148:149], 1.0
	v_mul_f64 v[150:151], v[165:166], -v[148:149]
.LBB72_303:
	s_or_b32 exec_lo, exec_lo, s2
.LBB72_304:
	s_delay_alu instid0(SALU_CYCLE_1) | instskip(NEXT) | instid1(SALU_CYCLE_1)
	s_or_b32 exec_lo, exec_lo, s3
	s_mov_b32 s2, exec_lo
	v_cmpx_ne_u32_e64 v164, v156
	s_xor_b32 s2, exec_lo, s2
	s_cbranch_execz .LBB72_310
; %bb.305:
	s_mov_b32 s3, exec_lo
	v_cmpx_eq_u32_e32 14, v164
	s_cbranch_execz .LBB72_309
; %bb.306:
	v_cmp_ne_u32_e32 vcc_lo, 14, v156
	s_xor_b32 s6, s4, -1
	s_delay_alu instid0(SALU_CYCLE_1) | instskip(NEXT) | instid1(SALU_CYCLE_1)
	s_and_b32 s7, s6, vcc_lo
	s_and_saveexec_b32 s6, s7
	s_cbranch_execz .LBB72_308
; %bb.307:
	v_ashrrev_i32_e32 v157, 31, v156
	s_delay_alu instid0(VALU_DEP_1) | instskip(NEXT) | instid1(VALU_DEP_1)
	v_lshlrev_b64 v[163:164], 2, v[156:157]
	v_add_co_u32 v163, vcc_lo, v154, v163
	s_delay_alu instid0(VALU_DEP_2)
	v_add_co_ci_u32_e32 v164, vcc_lo, v155, v164, vcc_lo
	s_clause 0x1
	flat_load_b32 v157, v[163:164]
	flat_load_b32 v165, v[154:155] offset:56
	s_waitcnt vmcnt(1) lgkmcnt(1)
	flat_store_b32 v[154:155], v157 offset:56
	s_waitcnt vmcnt(0) lgkmcnt(1)
	flat_store_b32 v[163:164], v165
.LBB72_308:
	s_or_b32 exec_lo, exec_lo, s6
	v_mov_b32_e32 v164, v156
	v_mov_b32_e32 v163, v156
.LBB72_309:
	s_or_b32 exec_lo, exec_lo, s3
.LBB72_310:
	s_and_not1_saveexec_b32 s2, s2
	s_cbranch_execz .LBB72_312
; %bb.311:
	v_mov_b32_e32 v164, 14
	ds_store_2addr_b64 v158, v[92:93], v[94:95] offset0:30 offset1:31
	ds_store_2addr_b64 v158, v[88:89], v[90:91] offset0:32 offset1:33
	;; [unrolled: 1-line block ×22, first 2 shown]
.LBB72_312:
	s_or_b32 exec_lo, exec_lo, s2
	s_delay_alu instid0(SALU_CYCLE_1)
	s_mov_b32 s2, exec_lo
	s_waitcnt lgkmcnt(0)
	s_waitcnt_vscnt null, 0x0
	s_barrier
	buffer_gl0_inv
	v_cmpx_lt_i32_e32 14, v164
	s_cbranch_execz .LBB72_314
; %bb.313:
	v_mul_f64 v[156:157], v[150:151], v[98:99]
	v_mul_f64 v[98:99], v[148:149], v[98:99]
	s_delay_alu instid0(VALU_DEP_2) | instskip(NEXT) | instid1(VALU_DEP_2)
	v_fma_f64 v[156:157], v[148:149], v[96:97], -v[156:157]
	v_fma_f64 v[98:99], v[150:151], v[96:97], v[98:99]
	ds_load_2addr_b64 v[148:151], v158 offset0:30 offset1:31
	s_waitcnt lgkmcnt(0)
	v_mul_f64 v[96:97], v[150:151], v[98:99]
	s_delay_alu instid0(VALU_DEP_1) | instskip(SKIP_1) | instid1(VALU_DEP_2)
	v_fma_f64 v[96:97], v[148:149], v[156:157], -v[96:97]
	v_mul_f64 v[148:149], v[148:149], v[98:99]
	v_add_f64 v[92:93], v[92:93], -v[96:97]
	s_delay_alu instid0(VALU_DEP_2) | instskip(NEXT) | instid1(VALU_DEP_1)
	v_fma_f64 v[148:149], v[150:151], v[156:157], v[148:149]
	v_add_f64 v[94:95], v[94:95], -v[148:149]
	ds_load_2addr_b64 v[148:151], v158 offset0:32 offset1:33
	s_waitcnt lgkmcnt(0)
	v_mul_f64 v[96:97], v[150:151], v[98:99]
	s_delay_alu instid0(VALU_DEP_1) | instskip(SKIP_1) | instid1(VALU_DEP_2)
	v_fma_f64 v[96:97], v[148:149], v[156:157], -v[96:97]
	v_mul_f64 v[148:149], v[148:149], v[98:99]
	v_add_f64 v[88:89], v[88:89], -v[96:97]
	s_delay_alu instid0(VALU_DEP_2) | instskip(NEXT) | instid1(VALU_DEP_1)
	v_fma_f64 v[148:149], v[150:151], v[156:157], v[148:149]
	v_add_f64 v[90:91], v[90:91], -v[148:149]
	;; [unrolled: 10-line block ×21, first 2 shown]
	ds_load_2addr_b64 v[148:151], v158 offset0:72 offset1:73
	s_waitcnt lgkmcnt(0)
	v_mul_f64 v[96:97], v[150:151], v[98:99]
	s_delay_alu instid0(VALU_DEP_1) | instskip(SKIP_1) | instid1(VALU_DEP_2)
	v_fma_f64 v[96:97], v[148:149], v[156:157], -v[96:97]
	v_mul_f64 v[148:149], v[148:149], v[98:99]
	v_add_f64 v[0:1], v[0:1], -v[96:97]
	s_delay_alu instid0(VALU_DEP_2) | instskip(SKIP_1) | instid1(VALU_DEP_2)
	v_fma_f64 v[148:149], v[150:151], v[156:157], v[148:149]
	v_dual_mov_b32 v96, v156 :: v_dual_mov_b32 v97, v157
	v_add_f64 v[2:3], v[2:3], -v[148:149]
.LBB72_314:
	s_or_b32 exec_lo, exec_lo, s2
	v_lshl_add_u32 v148, v164, 4, v158
	s_barrier
	buffer_gl0_inv
	v_mov_b32_e32 v156, 15
	ds_store_2addr_b64 v148, v[92:93], v[94:95] offset1:1
	s_waitcnt lgkmcnt(0)
	s_barrier
	buffer_gl0_inv
	ds_load_2addr_b64 v[148:151], v158 offset0:30 offset1:31
	s_cmp_lt_i32 s5, 17
	s_cbranch_scc1 .LBB72_317
; %bb.315:
	v_add3_u32 v157, v162, 0, 0x100
	v_mov_b32_e32 v156, 15
	s_mov_b32 s6, 16
	s_set_inst_prefetch_distance 0x1
	.p2align	6
.LBB72_316:                             ; =>This Inner Loop Header: Depth=1
	ds_load_2addr_b64 v[165:168], v157 offset1:1
	s_waitcnt lgkmcnt(1)
	v_cmp_gt_f64_e32 vcc_lo, 0, v[148:149]
	v_xor_b32_e32 v169, 0x80000000, v149
	v_cmp_gt_f64_e64 s2, 0, v[150:151]
	v_xor_b32_e32 v171, 0x80000000, v151
	v_add_nc_u32_e32 v157, 16, v157
	s_waitcnt lgkmcnt(0)
	v_cmp_gt_f64_e64 s3, 0, v[165:166]
	v_mov_b32_e32 v173, v165
	v_dual_mov_b32 v175, v167 :: v_dual_cndmask_b32 v170, v149, v169
	v_xor_b32_e32 v169, 0x80000000, v166
	v_cndmask_b32_e64 v172, v151, v171, s2
	v_xor_b32_e32 v171, 0x80000000, v168
	s_delay_alu instid0(VALU_DEP_3) | instskip(SKIP_2) | instid1(VALU_DEP_2)
	v_cndmask_b32_e64 v174, v166, v169, s3
	v_cmp_gt_f64_e64 s3, 0, v[167:168]
	v_cndmask_b32_e32 v169, v148, v148, vcc_lo
	v_cndmask_b32_e64 v176, v168, v171, s3
	v_cndmask_b32_e64 v171, v150, v150, s2
	s_delay_alu instid0(VALU_DEP_2) | instskip(NEXT) | instid1(VALU_DEP_2)
	v_add_f64 v[173:174], v[173:174], v[175:176]
	v_add_f64 v[169:170], v[169:170], v[171:172]
	s_delay_alu instid0(VALU_DEP_1) | instskip(SKIP_4) | instid1(SALU_CYCLE_1)
	v_cmp_lt_f64_e32 vcc_lo, v[169:170], v[173:174]
	v_dual_cndmask_b32 v150, v150, v167 :: v_dual_cndmask_b32 v149, v149, v166
	v_dual_cndmask_b32 v148, v148, v165 :: v_dual_cndmask_b32 v151, v151, v168
	v_cndmask_b32_e64 v156, v156, s6, vcc_lo
	s_add_i32 s6, s6, 1
	s_cmp_lg_u32 s5, s6
	s_cbranch_scc1 .LBB72_316
.LBB72_317:
	s_set_inst_prefetch_distance 0x2
	s_waitcnt lgkmcnt(0)
	v_cmp_eq_f64_e32 vcc_lo, 0, v[148:149]
	v_cmp_eq_f64_e64 s2, 0, v[150:151]
	s_delay_alu instid0(VALU_DEP_1) | instskip(NEXT) | instid1(SALU_CYCLE_1)
	s_and_b32 s2, vcc_lo, s2
	s_and_saveexec_b32 s3, s2
	s_delay_alu instid0(SALU_CYCLE_1)
	s_xor_b32 s2, exec_lo, s3
; %bb.318:
	v_cmp_ne_u32_e32 vcc_lo, 0, v161
	v_cndmask_b32_e32 v161, 16, v161, vcc_lo
; %bb.319:
	s_and_not1_saveexec_b32 s3, s2
	s_cbranch_execz .LBB72_325
; %bb.320:
	v_cmp_gt_f64_e32 vcc_lo, 0, v[148:149]
	v_cmp_gt_f64_e64 s2, 0, v[150:151]
	v_xor_b32_e32 v157, 0x80000000, v149
	v_xor_b32_e32 v165, 0x80000000, v151
	s_delay_alu instid0(VALU_DEP_2) | instskip(NEXT) | instid1(VALU_DEP_2)
	v_cndmask_b32_e32 v166, v149, v157, vcc_lo
	v_cndmask_b32_e64 v168, v151, v165, s2
	v_cndmask_b32_e32 v165, v148, v148, vcc_lo
	v_cndmask_b32_e64 v167, v150, v150, s2
	s_mov_b32 s2, exec_lo
	s_delay_alu instid0(VALU_DEP_1)
	v_cmpx_ngt_f64_e32 v[165:166], v[167:168]
	s_xor_b32 s2, exec_lo, s2
	s_cbranch_execz .LBB72_322
; %bb.321:
	v_div_scale_f64 v[165:166], null, v[150:151], v[150:151], v[148:149]
	v_div_scale_f64 v[171:172], vcc_lo, v[148:149], v[150:151], v[148:149]
	s_delay_alu instid0(VALU_DEP_2) | instskip(SKIP_2) | instid1(VALU_DEP_1)
	v_rcp_f64_e32 v[167:168], v[165:166]
	s_waitcnt_depctr 0xfff
	v_fma_f64 v[169:170], -v[165:166], v[167:168], 1.0
	v_fma_f64 v[167:168], v[167:168], v[169:170], v[167:168]
	s_delay_alu instid0(VALU_DEP_1) | instskip(NEXT) | instid1(VALU_DEP_1)
	v_fma_f64 v[169:170], -v[165:166], v[167:168], 1.0
	v_fma_f64 v[167:168], v[167:168], v[169:170], v[167:168]
	s_delay_alu instid0(VALU_DEP_1) | instskip(NEXT) | instid1(VALU_DEP_1)
	v_mul_f64 v[169:170], v[171:172], v[167:168]
	v_fma_f64 v[165:166], -v[165:166], v[169:170], v[171:172]
	s_delay_alu instid0(VALU_DEP_1) | instskip(NEXT) | instid1(VALU_DEP_1)
	v_div_fmas_f64 v[165:166], v[165:166], v[167:168], v[169:170]
	v_div_fixup_f64 v[165:166], v[165:166], v[150:151], v[148:149]
	s_delay_alu instid0(VALU_DEP_1) | instskip(NEXT) | instid1(VALU_DEP_1)
	v_fma_f64 v[148:149], v[148:149], v[165:166], v[150:151]
	v_div_scale_f64 v[150:151], null, v[148:149], v[148:149], 1.0
	s_delay_alu instid0(VALU_DEP_1) | instskip(SKIP_2) | instid1(VALU_DEP_1)
	v_rcp_f64_e32 v[167:168], v[150:151]
	s_waitcnt_depctr 0xfff
	v_fma_f64 v[169:170], -v[150:151], v[167:168], 1.0
	v_fma_f64 v[167:168], v[167:168], v[169:170], v[167:168]
	s_delay_alu instid0(VALU_DEP_1) | instskip(NEXT) | instid1(VALU_DEP_1)
	v_fma_f64 v[169:170], -v[150:151], v[167:168], 1.0
	v_fma_f64 v[167:168], v[167:168], v[169:170], v[167:168]
	v_div_scale_f64 v[169:170], vcc_lo, 1.0, v[148:149], 1.0
	s_delay_alu instid0(VALU_DEP_1) | instskip(NEXT) | instid1(VALU_DEP_1)
	v_mul_f64 v[171:172], v[169:170], v[167:168]
	v_fma_f64 v[150:151], -v[150:151], v[171:172], v[169:170]
	s_delay_alu instid0(VALU_DEP_1) | instskip(NEXT) | instid1(VALU_DEP_1)
	v_div_fmas_f64 v[150:151], v[150:151], v[167:168], v[171:172]
	v_div_fixup_f64 v[150:151], v[150:151], v[148:149], 1.0
	s_delay_alu instid0(VALU_DEP_1)
	v_mul_f64 v[148:149], v[165:166], v[150:151]
	v_xor_b32_e32 v151, 0x80000000, v151
.LBB72_322:
	s_and_not1_saveexec_b32 s2, s2
	s_cbranch_execz .LBB72_324
; %bb.323:
	s_delay_alu instid0(VALU_DEP_1) | instskip(SKIP_1) | instid1(VALU_DEP_2)
	v_div_scale_f64 v[165:166], null, v[148:149], v[148:149], v[150:151]
	v_div_scale_f64 v[171:172], vcc_lo, v[150:151], v[148:149], v[150:151]
	v_rcp_f64_e32 v[167:168], v[165:166]
	s_waitcnt_depctr 0xfff
	v_fma_f64 v[169:170], -v[165:166], v[167:168], 1.0
	s_delay_alu instid0(VALU_DEP_1) | instskip(NEXT) | instid1(VALU_DEP_1)
	v_fma_f64 v[167:168], v[167:168], v[169:170], v[167:168]
	v_fma_f64 v[169:170], -v[165:166], v[167:168], 1.0
	s_delay_alu instid0(VALU_DEP_1) | instskip(NEXT) | instid1(VALU_DEP_1)
	v_fma_f64 v[167:168], v[167:168], v[169:170], v[167:168]
	v_mul_f64 v[169:170], v[171:172], v[167:168]
	s_delay_alu instid0(VALU_DEP_1) | instskip(NEXT) | instid1(VALU_DEP_1)
	v_fma_f64 v[165:166], -v[165:166], v[169:170], v[171:172]
	v_div_fmas_f64 v[165:166], v[165:166], v[167:168], v[169:170]
	s_delay_alu instid0(VALU_DEP_1) | instskip(NEXT) | instid1(VALU_DEP_1)
	v_div_fixup_f64 v[165:166], v[165:166], v[148:149], v[150:151]
	v_fma_f64 v[148:149], v[150:151], v[165:166], v[148:149]
	s_delay_alu instid0(VALU_DEP_1) | instskip(NEXT) | instid1(VALU_DEP_1)
	v_div_scale_f64 v[150:151], null, v[148:149], v[148:149], 1.0
	v_rcp_f64_e32 v[167:168], v[150:151]
	s_waitcnt_depctr 0xfff
	v_fma_f64 v[169:170], -v[150:151], v[167:168], 1.0
	s_delay_alu instid0(VALU_DEP_1) | instskip(NEXT) | instid1(VALU_DEP_1)
	v_fma_f64 v[167:168], v[167:168], v[169:170], v[167:168]
	v_fma_f64 v[169:170], -v[150:151], v[167:168], 1.0
	s_delay_alu instid0(VALU_DEP_1) | instskip(SKIP_1) | instid1(VALU_DEP_1)
	v_fma_f64 v[167:168], v[167:168], v[169:170], v[167:168]
	v_div_scale_f64 v[169:170], vcc_lo, 1.0, v[148:149], 1.0
	v_mul_f64 v[171:172], v[169:170], v[167:168]
	s_delay_alu instid0(VALU_DEP_1) | instskip(NEXT) | instid1(VALU_DEP_1)
	v_fma_f64 v[150:151], -v[150:151], v[171:172], v[169:170]
	v_div_fmas_f64 v[150:151], v[150:151], v[167:168], v[171:172]
	s_delay_alu instid0(VALU_DEP_1) | instskip(NEXT) | instid1(VALU_DEP_1)
	v_div_fixup_f64 v[148:149], v[150:151], v[148:149], 1.0
	v_mul_f64 v[150:151], v[165:166], -v[148:149]
.LBB72_324:
	s_or_b32 exec_lo, exec_lo, s2
.LBB72_325:
	s_delay_alu instid0(SALU_CYCLE_1) | instskip(NEXT) | instid1(SALU_CYCLE_1)
	s_or_b32 exec_lo, exec_lo, s3
	s_mov_b32 s2, exec_lo
	v_cmpx_ne_u32_e64 v164, v156
	s_xor_b32 s2, exec_lo, s2
	s_cbranch_execz .LBB72_331
; %bb.326:
	s_mov_b32 s3, exec_lo
	v_cmpx_eq_u32_e32 15, v164
	s_cbranch_execz .LBB72_330
; %bb.327:
	v_cmp_ne_u32_e32 vcc_lo, 15, v156
	s_xor_b32 s6, s4, -1
	s_delay_alu instid0(SALU_CYCLE_1) | instskip(NEXT) | instid1(SALU_CYCLE_1)
	s_and_b32 s7, s6, vcc_lo
	s_and_saveexec_b32 s6, s7
	s_cbranch_execz .LBB72_329
; %bb.328:
	v_ashrrev_i32_e32 v157, 31, v156
	s_delay_alu instid0(VALU_DEP_1) | instskip(NEXT) | instid1(VALU_DEP_1)
	v_lshlrev_b64 v[163:164], 2, v[156:157]
	v_add_co_u32 v163, vcc_lo, v154, v163
	s_delay_alu instid0(VALU_DEP_2)
	v_add_co_ci_u32_e32 v164, vcc_lo, v155, v164, vcc_lo
	s_clause 0x1
	flat_load_b32 v157, v[163:164]
	flat_load_b32 v165, v[154:155] offset:60
	s_waitcnt vmcnt(1) lgkmcnt(1)
	flat_store_b32 v[154:155], v157 offset:60
	s_waitcnt vmcnt(0) lgkmcnt(1)
	flat_store_b32 v[163:164], v165
.LBB72_329:
	s_or_b32 exec_lo, exec_lo, s6
	v_mov_b32_e32 v164, v156
	v_mov_b32_e32 v163, v156
.LBB72_330:
	s_or_b32 exec_lo, exec_lo, s3
.LBB72_331:
	s_and_not1_saveexec_b32 s2, s2
	s_cbranch_execz .LBB72_333
; %bb.332:
	v_mov_b32_e32 v164, 15
	ds_store_2addr_b64 v158, v[88:89], v[90:91] offset0:32 offset1:33
	ds_store_2addr_b64 v158, v[84:85], v[86:87] offset0:34 offset1:35
	;; [unrolled: 1-line block ×21, first 2 shown]
.LBB72_333:
	s_or_b32 exec_lo, exec_lo, s2
	s_delay_alu instid0(SALU_CYCLE_1)
	s_mov_b32 s2, exec_lo
	s_waitcnt lgkmcnt(0)
	s_waitcnt_vscnt null, 0x0
	s_barrier
	buffer_gl0_inv
	v_cmpx_lt_i32_e32 15, v164
	s_cbranch_execz .LBB72_335
; %bb.334:
	v_mul_f64 v[156:157], v[150:151], v[94:95]
	v_mul_f64 v[94:95], v[148:149], v[94:95]
	s_delay_alu instid0(VALU_DEP_2) | instskip(NEXT) | instid1(VALU_DEP_2)
	v_fma_f64 v[156:157], v[148:149], v[92:93], -v[156:157]
	v_fma_f64 v[94:95], v[150:151], v[92:93], v[94:95]
	ds_load_2addr_b64 v[148:151], v158 offset0:32 offset1:33
	s_waitcnt lgkmcnt(0)
	v_mul_f64 v[92:93], v[150:151], v[94:95]
	s_delay_alu instid0(VALU_DEP_1) | instskip(SKIP_1) | instid1(VALU_DEP_2)
	v_fma_f64 v[92:93], v[148:149], v[156:157], -v[92:93]
	v_mul_f64 v[148:149], v[148:149], v[94:95]
	v_add_f64 v[88:89], v[88:89], -v[92:93]
	s_delay_alu instid0(VALU_DEP_2) | instskip(NEXT) | instid1(VALU_DEP_1)
	v_fma_f64 v[148:149], v[150:151], v[156:157], v[148:149]
	v_add_f64 v[90:91], v[90:91], -v[148:149]
	ds_load_2addr_b64 v[148:151], v158 offset0:34 offset1:35
	s_waitcnt lgkmcnt(0)
	v_mul_f64 v[92:93], v[150:151], v[94:95]
	s_delay_alu instid0(VALU_DEP_1) | instskip(SKIP_1) | instid1(VALU_DEP_2)
	v_fma_f64 v[92:93], v[148:149], v[156:157], -v[92:93]
	v_mul_f64 v[148:149], v[148:149], v[94:95]
	v_add_f64 v[84:85], v[84:85], -v[92:93]
	s_delay_alu instid0(VALU_DEP_2) | instskip(NEXT) | instid1(VALU_DEP_1)
	v_fma_f64 v[148:149], v[150:151], v[156:157], v[148:149]
	v_add_f64 v[86:87], v[86:87], -v[148:149]
	;; [unrolled: 10-line block ×20, first 2 shown]
	ds_load_2addr_b64 v[148:151], v158 offset0:72 offset1:73
	s_waitcnt lgkmcnt(0)
	v_mul_f64 v[92:93], v[150:151], v[94:95]
	s_delay_alu instid0(VALU_DEP_1) | instskip(SKIP_1) | instid1(VALU_DEP_2)
	v_fma_f64 v[92:93], v[148:149], v[156:157], -v[92:93]
	v_mul_f64 v[148:149], v[148:149], v[94:95]
	v_add_f64 v[0:1], v[0:1], -v[92:93]
	s_delay_alu instid0(VALU_DEP_2) | instskip(SKIP_1) | instid1(VALU_DEP_2)
	v_fma_f64 v[148:149], v[150:151], v[156:157], v[148:149]
	v_dual_mov_b32 v92, v156 :: v_dual_mov_b32 v93, v157
	v_add_f64 v[2:3], v[2:3], -v[148:149]
.LBB72_335:
	s_or_b32 exec_lo, exec_lo, s2
	v_lshl_add_u32 v148, v164, 4, v158
	s_barrier
	buffer_gl0_inv
	v_mov_b32_e32 v156, 16
	ds_store_2addr_b64 v148, v[88:89], v[90:91] offset1:1
	s_waitcnt lgkmcnt(0)
	s_barrier
	buffer_gl0_inv
	ds_load_2addr_b64 v[148:151], v158 offset0:32 offset1:33
	s_cmp_lt_i32 s5, 18
	s_cbranch_scc1 .LBB72_338
; %bb.336:
	v_add3_u32 v157, v162, 0, 0x110
	v_mov_b32_e32 v156, 16
	s_mov_b32 s6, 17
	s_set_inst_prefetch_distance 0x1
	.p2align	6
.LBB72_337:                             ; =>This Inner Loop Header: Depth=1
	ds_load_2addr_b64 v[165:168], v157 offset1:1
	s_waitcnt lgkmcnt(1)
	v_cmp_gt_f64_e32 vcc_lo, 0, v[148:149]
	v_xor_b32_e32 v169, 0x80000000, v149
	v_cmp_gt_f64_e64 s2, 0, v[150:151]
	v_xor_b32_e32 v171, 0x80000000, v151
	v_add_nc_u32_e32 v157, 16, v157
	s_waitcnt lgkmcnt(0)
	v_cmp_gt_f64_e64 s3, 0, v[165:166]
	v_mov_b32_e32 v173, v165
	v_dual_mov_b32 v175, v167 :: v_dual_cndmask_b32 v170, v149, v169
	v_xor_b32_e32 v169, 0x80000000, v166
	v_cndmask_b32_e64 v172, v151, v171, s2
	v_xor_b32_e32 v171, 0x80000000, v168
	s_delay_alu instid0(VALU_DEP_3) | instskip(SKIP_2) | instid1(VALU_DEP_2)
	v_cndmask_b32_e64 v174, v166, v169, s3
	v_cmp_gt_f64_e64 s3, 0, v[167:168]
	v_cndmask_b32_e32 v169, v148, v148, vcc_lo
	v_cndmask_b32_e64 v176, v168, v171, s3
	v_cndmask_b32_e64 v171, v150, v150, s2
	s_delay_alu instid0(VALU_DEP_2) | instskip(NEXT) | instid1(VALU_DEP_2)
	v_add_f64 v[173:174], v[173:174], v[175:176]
	v_add_f64 v[169:170], v[169:170], v[171:172]
	s_delay_alu instid0(VALU_DEP_1) | instskip(SKIP_4) | instid1(SALU_CYCLE_1)
	v_cmp_lt_f64_e32 vcc_lo, v[169:170], v[173:174]
	v_dual_cndmask_b32 v150, v150, v167 :: v_dual_cndmask_b32 v149, v149, v166
	v_dual_cndmask_b32 v148, v148, v165 :: v_dual_cndmask_b32 v151, v151, v168
	v_cndmask_b32_e64 v156, v156, s6, vcc_lo
	s_add_i32 s6, s6, 1
	s_cmp_lg_u32 s5, s6
	s_cbranch_scc1 .LBB72_337
.LBB72_338:
	s_set_inst_prefetch_distance 0x2
	s_waitcnt lgkmcnt(0)
	v_cmp_eq_f64_e32 vcc_lo, 0, v[148:149]
	v_cmp_eq_f64_e64 s2, 0, v[150:151]
	s_delay_alu instid0(VALU_DEP_1) | instskip(NEXT) | instid1(SALU_CYCLE_1)
	s_and_b32 s2, vcc_lo, s2
	s_and_saveexec_b32 s3, s2
	s_delay_alu instid0(SALU_CYCLE_1)
	s_xor_b32 s2, exec_lo, s3
; %bb.339:
	v_cmp_ne_u32_e32 vcc_lo, 0, v161
	v_cndmask_b32_e32 v161, 17, v161, vcc_lo
; %bb.340:
	s_and_not1_saveexec_b32 s3, s2
	s_cbranch_execz .LBB72_346
; %bb.341:
	v_cmp_gt_f64_e32 vcc_lo, 0, v[148:149]
	v_cmp_gt_f64_e64 s2, 0, v[150:151]
	v_xor_b32_e32 v157, 0x80000000, v149
	v_xor_b32_e32 v165, 0x80000000, v151
	s_delay_alu instid0(VALU_DEP_2) | instskip(NEXT) | instid1(VALU_DEP_2)
	v_cndmask_b32_e32 v166, v149, v157, vcc_lo
	v_cndmask_b32_e64 v168, v151, v165, s2
	v_cndmask_b32_e32 v165, v148, v148, vcc_lo
	v_cndmask_b32_e64 v167, v150, v150, s2
	s_mov_b32 s2, exec_lo
	s_delay_alu instid0(VALU_DEP_1)
	v_cmpx_ngt_f64_e32 v[165:166], v[167:168]
	s_xor_b32 s2, exec_lo, s2
	s_cbranch_execz .LBB72_343
; %bb.342:
	v_div_scale_f64 v[165:166], null, v[150:151], v[150:151], v[148:149]
	v_div_scale_f64 v[171:172], vcc_lo, v[148:149], v[150:151], v[148:149]
	s_delay_alu instid0(VALU_DEP_2) | instskip(SKIP_2) | instid1(VALU_DEP_1)
	v_rcp_f64_e32 v[167:168], v[165:166]
	s_waitcnt_depctr 0xfff
	v_fma_f64 v[169:170], -v[165:166], v[167:168], 1.0
	v_fma_f64 v[167:168], v[167:168], v[169:170], v[167:168]
	s_delay_alu instid0(VALU_DEP_1) | instskip(NEXT) | instid1(VALU_DEP_1)
	v_fma_f64 v[169:170], -v[165:166], v[167:168], 1.0
	v_fma_f64 v[167:168], v[167:168], v[169:170], v[167:168]
	s_delay_alu instid0(VALU_DEP_1) | instskip(NEXT) | instid1(VALU_DEP_1)
	v_mul_f64 v[169:170], v[171:172], v[167:168]
	v_fma_f64 v[165:166], -v[165:166], v[169:170], v[171:172]
	s_delay_alu instid0(VALU_DEP_1) | instskip(NEXT) | instid1(VALU_DEP_1)
	v_div_fmas_f64 v[165:166], v[165:166], v[167:168], v[169:170]
	v_div_fixup_f64 v[165:166], v[165:166], v[150:151], v[148:149]
	s_delay_alu instid0(VALU_DEP_1) | instskip(NEXT) | instid1(VALU_DEP_1)
	v_fma_f64 v[148:149], v[148:149], v[165:166], v[150:151]
	v_div_scale_f64 v[150:151], null, v[148:149], v[148:149], 1.0
	s_delay_alu instid0(VALU_DEP_1) | instskip(SKIP_2) | instid1(VALU_DEP_1)
	v_rcp_f64_e32 v[167:168], v[150:151]
	s_waitcnt_depctr 0xfff
	v_fma_f64 v[169:170], -v[150:151], v[167:168], 1.0
	v_fma_f64 v[167:168], v[167:168], v[169:170], v[167:168]
	s_delay_alu instid0(VALU_DEP_1) | instskip(NEXT) | instid1(VALU_DEP_1)
	v_fma_f64 v[169:170], -v[150:151], v[167:168], 1.0
	v_fma_f64 v[167:168], v[167:168], v[169:170], v[167:168]
	v_div_scale_f64 v[169:170], vcc_lo, 1.0, v[148:149], 1.0
	s_delay_alu instid0(VALU_DEP_1) | instskip(NEXT) | instid1(VALU_DEP_1)
	v_mul_f64 v[171:172], v[169:170], v[167:168]
	v_fma_f64 v[150:151], -v[150:151], v[171:172], v[169:170]
	s_delay_alu instid0(VALU_DEP_1) | instskip(NEXT) | instid1(VALU_DEP_1)
	v_div_fmas_f64 v[150:151], v[150:151], v[167:168], v[171:172]
	v_div_fixup_f64 v[150:151], v[150:151], v[148:149], 1.0
	s_delay_alu instid0(VALU_DEP_1)
	v_mul_f64 v[148:149], v[165:166], v[150:151]
	v_xor_b32_e32 v151, 0x80000000, v151
.LBB72_343:
	s_and_not1_saveexec_b32 s2, s2
	s_cbranch_execz .LBB72_345
; %bb.344:
	s_delay_alu instid0(VALU_DEP_1) | instskip(SKIP_1) | instid1(VALU_DEP_2)
	v_div_scale_f64 v[165:166], null, v[148:149], v[148:149], v[150:151]
	v_div_scale_f64 v[171:172], vcc_lo, v[150:151], v[148:149], v[150:151]
	v_rcp_f64_e32 v[167:168], v[165:166]
	s_waitcnt_depctr 0xfff
	v_fma_f64 v[169:170], -v[165:166], v[167:168], 1.0
	s_delay_alu instid0(VALU_DEP_1) | instskip(NEXT) | instid1(VALU_DEP_1)
	v_fma_f64 v[167:168], v[167:168], v[169:170], v[167:168]
	v_fma_f64 v[169:170], -v[165:166], v[167:168], 1.0
	s_delay_alu instid0(VALU_DEP_1) | instskip(NEXT) | instid1(VALU_DEP_1)
	v_fma_f64 v[167:168], v[167:168], v[169:170], v[167:168]
	v_mul_f64 v[169:170], v[171:172], v[167:168]
	s_delay_alu instid0(VALU_DEP_1) | instskip(NEXT) | instid1(VALU_DEP_1)
	v_fma_f64 v[165:166], -v[165:166], v[169:170], v[171:172]
	v_div_fmas_f64 v[165:166], v[165:166], v[167:168], v[169:170]
	s_delay_alu instid0(VALU_DEP_1) | instskip(NEXT) | instid1(VALU_DEP_1)
	v_div_fixup_f64 v[165:166], v[165:166], v[148:149], v[150:151]
	v_fma_f64 v[148:149], v[150:151], v[165:166], v[148:149]
	s_delay_alu instid0(VALU_DEP_1) | instskip(NEXT) | instid1(VALU_DEP_1)
	v_div_scale_f64 v[150:151], null, v[148:149], v[148:149], 1.0
	v_rcp_f64_e32 v[167:168], v[150:151]
	s_waitcnt_depctr 0xfff
	v_fma_f64 v[169:170], -v[150:151], v[167:168], 1.0
	s_delay_alu instid0(VALU_DEP_1) | instskip(NEXT) | instid1(VALU_DEP_1)
	v_fma_f64 v[167:168], v[167:168], v[169:170], v[167:168]
	v_fma_f64 v[169:170], -v[150:151], v[167:168], 1.0
	s_delay_alu instid0(VALU_DEP_1) | instskip(SKIP_1) | instid1(VALU_DEP_1)
	v_fma_f64 v[167:168], v[167:168], v[169:170], v[167:168]
	v_div_scale_f64 v[169:170], vcc_lo, 1.0, v[148:149], 1.0
	v_mul_f64 v[171:172], v[169:170], v[167:168]
	s_delay_alu instid0(VALU_DEP_1) | instskip(NEXT) | instid1(VALU_DEP_1)
	v_fma_f64 v[150:151], -v[150:151], v[171:172], v[169:170]
	v_div_fmas_f64 v[150:151], v[150:151], v[167:168], v[171:172]
	s_delay_alu instid0(VALU_DEP_1) | instskip(NEXT) | instid1(VALU_DEP_1)
	v_div_fixup_f64 v[148:149], v[150:151], v[148:149], 1.0
	v_mul_f64 v[150:151], v[165:166], -v[148:149]
.LBB72_345:
	s_or_b32 exec_lo, exec_lo, s2
.LBB72_346:
	s_delay_alu instid0(SALU_CYCLE_1) | instskip(NEXT) | instid1(SALU_CYCLE_1)
	s_or_b32 exec_lo, exec_lo, s3
	s_mov_b32 s2, exec_lo
	v_cmpx_ne_u32_e64 v164, v156
	s_xor_b32 s2, exec_lo, s2
	s_cbranch_execz .LBB72_352
; %bb.347:
	s_mov_b32 s3, exec_lo
	v_cmpx_eq_u32_e32 16, v164
	s_cbranch_execz .LBB72_351
; %bb.348:
	v_cmp_ne_u32_e32 vcc_lo, 16, v156
	s_xor_b32 s6, s4, -1
	s_delay_alu instid0(SALU_CYCLE_1) | instskip(NEXT) | instid1(SALU_CYCLE_1)
	s_and_b32 s7, s6, vcc_lo
	s_and_saveexec_b32 s6, s7
	s_cbranch_execz .LBB72_350
; %bb.349:
	v_ashrrev_i32_e32 v157, 31, v156
	s_delay_alu instid0(VALU_DEP_1) | instskip(NEXT) | instid1(VALU_DEP_1)
	v_lshlrev_b64 v[163:164], 2, v[156:157]
	v_add_co_u32 v163, vcc_lo, v154, v163
	s_delay_alu instid0(VALU_DEP_2)
	v_add_co_ci_u32_e32 v164, vcc_lo, v155, v164, vcc_lo
	s_clause 0x1
	flat_load_b32 v157, v[163:164]
	flat_load_b32 v165, v[154:155] offset:64
	s_waitcnt vmcnt(1) lgkmcnt(1)
	flat_store_b32 v[154:155], v157 offset:64
	s_waitcnt vmcnt(0) lgkmcnt(1)
	flat_store_b32 v[163:164], v165
.LBB72_350:
	s_or_b32 exec_lo, exec_lo, s6
	v_mov_b32_e32 v164, v156
	v_mov_b32_e32 v163, v156
.LBB72_351:
	s_or_b32 exec_lo, exec_lo, s3
.LBB72_352:
	s_and_not1_saveexec_b32 s2, s2
	s_cbranch_execz .LBB72_354
; %bb.353:
	v_mov_b32_e32 v164, 16
	ds_store_2addr_b64 v158, v[84:85], v[86:87] offset0:34 offset1:35
	ds_store_2addr_b64 v158, v[80:81], v[82:83] offset0:36 offset1:37
	;; [unrolled: 1-line block ×20, first 2 shown]
.LBB72_354:
	s_or_b32 exec_lo, exec_lo, s2
	s_delay_alu instid0(SALU_CYCLE_1)
	s_mov_b32 s2, exec_lo
	s_waitcnt lgkmcnt(0)
	s_waitcnt_vscnt null, 0x0
	s_barrier
	buffer_gl0_inv
	v_cmpx_lt_i32_e32 16, v164
	s_cbranch_execz .LBB72_356
; %bb.355:
	v_mul_f64 v[156:157], v[150:151], v[90:91]
	v_mul_f64 v[90:91], v[148:149], v[90:91]
	s_delay_alu instid0(VALU_DEP_2) | instskip(NEXT) | instid1(VALU_DEP_2)
	v_fma_f64 v[156:157], v[148:149], v[88:89], -v[156:157]
	v_fma_f64 v[90:91], v[150:151], v[88:89], v[90:91]
	ds_load_2addr_b64 v[148:151], v158 offset0:34 offset1:35
	s_waitcnt lgkmcnt(0)
	v_mul_f64 v[88:89], v[150:151], v[90:91]
	s_delay_alu instid0(VALU_DEP_1) | instskip(SKIP_1) | instid1(VALU_DEP_2)
	v_fma_f64 v[88:89], v[148:149], v[156:157], -v[88:89]
	v_mul_f64 v[148:149], v[148:149], v[90:91]
	v_add_f64 v[84:85], v[84:85], -v[88:89]
	s_delay_alu instid0(VALU_DEP_2) | instskip(NEXT) | instid1(VALU_DEP_1)
	v_fma_f64 v[148:149], v[150:151], v[156:157], v[148:149]
	v_add_f64 v[86:87], v[86:87], -v[148:149]
	ds_load_2addr_b64 v[148:151], v158 offset0:36 offset1:37
	s_waitcnt lgkmcnt(0)
	v_mul_f64 v[88:89], v[150:151], v[90:91]
	s_delay_alu instid0(VALU_DEP_1) | instskip(SKIP_1) | instid1(VALU_DEP_2)
	v_fma_f64 v[88:89], v[148:149], v[156:157], -v[88:89]
	v_mul_f64 v[148:149], v[148:149], v[90:91]
	v_add_f64 v[80:81], v[80:81], -v[88:89]
	s_delay_alu instid0(VALU_DEP_2) | instskip(NEXT) | instid1(VALU_DEP_1)
	v_fma_f64 v[148:149], v[150:151], v[156:157], v[148:149]
	v_add_f64 v[82:83], v[82:83], -v[148:149]
	ds_load_2addr_b64 v[148:151], v158 offset0:38 offset1:39
	s_waitcnt lgkmcnt(0)
	v_mul_f64 v[88:89], v[150:151], v[90:91]
	s_delay_alu instid0(VALU_DEP_1) | instskip(SKIP_1) | instid1(VALU_DEP_2)
	v_fma_f64 v[88:89], v[148:149], v[156:157], -v[88:89]
	v_mul_f64 v[148:149], v[148:149], v[90:91]
	v_add_f64 v[76:77], v[76:77], -v[88:89]
	s_delay_alu instid0(VALU_DEP_2) | instskip(NEXT) | instid1(VALU_DEP_1)
	v_fma_f64 v[148:149], v[150:151], v[156:157], v[148:149]
	v_add_f64 v[78:79], v[78:79], -v[148:149]
	ds_load_2addr_b64 v[148:151], v158 offset0:40 offset1:41
	s_waitcnt lgkmcnt(0)
	v_mul_f64 v[88:89], v[150:151], v[90:91]
	s_delay_alu instid0(VALU_DEP_1) | instskip(SKIP_1) | instid1(VALU_DEP_2)
	v_fma_f64 v[88:89], v[148:149], v[156:157], -v[88:89]
	v_mul_f64 v[148:149], v[148:149], v[90:91]
	v_add_f64 v[72:73], v[72:73], -v[88:89]
	s_delay_alu instid0(VALU_DEP_2) | instskip(NEXT) | instid1(VALU_DEP_1)
	v_fma_f64 v[148:149], v[150:151], v[156:157], v[148:149]
	v_add_f64 v[74:75], v[74:75], -v[148:149]
	ds_load_2addr_b64 v[148:151], v158 offset0:42 offset1:43
	s_waitcnt lgkmcnt(0)
	v_mul_f64 v[88:89], v[150:151], v[90:91]
	s_delay_alu instid0(VALU_DEP_1) | instskip(SKIP_1) | instid1(VALU_DEP_2)
	v_fma_f64 v[88:89], v[148:149], v[156:157], -v[88:89]
	v_mul_f64 v[148:149], v[148:149], v[90:91]
	v_add_f64 v[68:69], v[68:69], -v[88:89]
	s_delay_alu instid0(VALU_DEP_2) | instskip(NEXT) | instid1(VALU_DEP_1)
	v_fma_f64 v[148:149], v[150:151], v[156:157], v[148:149]
	v_add_f64 v[70:71], v[70:71], -v[148:149]
	ds_load_2addr_b64 v[148:151], v158 offset0:44 offset1:45
	s_waitcnt lgkmcnt(0)
	v_mul_f64 v[88:89], v[150:151], v[90:91]
	s_delay_alu instid0(VALU_DEP_1) | instskip(SKIP_1) | instid1(VALU_DEP_2)
	v_fma_f64 v[88:89], v[148:149], v[156:157], -v[88:89]
	v_mul_f64 v[148:149], v[148:149], v[90:91]
	v_add_f64 v[64:65], v[64:65], -v[88:89]
	s_delay_alu instid0(VALU_DEP_2) | instskip(NEXT) | instid1(VALU_DEP_1)
	v_fma_f64 v[148:149], v[150:151], v[156:157], v[148:149]
	v_add_f64 v[66:67], v[66:67], -v[148:149]
	ds_load_2addr_b64 v[148:151], v158 offset0:46 offset1:47
	s_waitcnt lgkmcnt(0)
	v_mul_f64 v[88:89], v[150:151], v[90:91]
	s_delay_alu instid0(VALU_DEP_1) | instskip(SKIP_1) | instid1(VALU_DEP_2)
	v_fma_f64 v[88:89], v[148:149], v[156:157], -v[88:89]
	v_mul_f64 v[148:149], v[148:149], v[90:91]
	v_add_f64 v[60:61], v[60:61], -v[88:89]
	s_delay_alu instid0(VALU_DEP_2) | instskip(NEXT) | instid1(VALU_DEP_1)
	v_fma_f64 v[148:149], v[150:151], v[156:157], v[148:149]
	v_add_f64 v[62:63], v[62:63], -v[148:149]
	ds_load_2addr_b64 v[148:151], v158 offset0:48 offset1:49
	s_waitcnt lgkmcnt(0)
	v_mul_f64 v[88:89], v[150:151], v[90:91]
	s_delay_alu instid0(VALU_DEP_1) | instskip(SKIP_1) | instid1(VALU_DEP_2)
	v_fma_f64 v[88:89], v[148:149], v[156:157], -v[88:89]
	v_mul_f64 v[148:149], v[148:149], v[90:91]
	v_add_f64 v[56:57], v[56:57], -v[88:89]
	s_delay_alu instid0(VALU_DEP_2) | instskip(NEXT) | instid1(VALU_DEP_1)
	v_fma_f64 v[148:149], v[150:151], v[156:157], v[148:149]
	v_add_f64 v[58:59], v[58:59], -v[148:149]
	ds_load_2addr_b64 v[148:151], v158 offset0:50 offset1:51
	s_waitcnt lgkmcnt(0)
	v_mul_f64 v[88:89], v[150:151], v[90:91]
	s_delay_alu instid0(VALU_DEP_1) | instskip(SKIP_1) | instid1(VALU_DEP_2)
	v_fma_f64 v[88:89], v[148:149], v[156:157], -v[88:89]
	v_mul_f64 v[148:149], v[148:149], v[90:91]
	v_add_f64 v[44:45], v[44:45], -v[88:89]
	s_delay_alu instid0(VALU_DEP_2) | instskip(NEXT) | instid1(VALU_DEP_1)
	v_fma_f64 v[148:149], v[150:151], v[156:157], v[148:149]
	v_add_f64 v[46:47], v[46:47], -v[148:149]
	ds_load_2addr_b64 v[148:151], v158 offset0:52 offset1:53
	s_waitcnt lgkmcnt(0)
	v_mul_f64 v[88:89], v[150:151], v[90:91]
	s_delay_alu instid0(VALU_DEP_1) | instskip(SKIP_1) | instid1(VALU_DEP_2)
	v_fma_f64 v[88:89], v[148:149], v[156:157], -v[88:89]
	v_mul_f64 v[148:149], v[148:149], v[90:91]
	v_add_f64 v[40:41], v[40:41], -v[88:89]
	s_delay_alu instid0(VALU_DEP_2) | instskip(NEXT) | instid1(VALU_DEP_1)
	v_fma_f64 v[148:149], v[150:151], v[156:157], v[148:149]
	v_add_f64 v[42:43], v[42:43], -v[148:149]
	ds_load_2addr_b64 v[148:151], v158 offset0:54 offset1:55
	s_waitcnt lgkmcnt(0)
	v_mul_f64 v[88:89], v[150:151], v[90:91]
	s_delay_alu instid0(VALU_DEP_1) | instskip(SKIP_1) | instid1(VALU_DEP_2)
	v_fma_f64 v[88:89], v[148:149], v[156:157], -v[88:89]
	v_mul_f64 v[148:149], v[148:149], v[90:91]
	v_add_f64 v[36:37], v[36:37], -v[88:89]
	s_delay_alu instid0(VALU_DEP_2) | instskip(NEXT) | instid1(VALU_DEP_1)
	v_fma_f64 v[148:149], v[150:151], v[156:157], v[148:149]
	v_add_f64 v[38:39], v[38:39], -v[148:149]
	ds_load_2addr_b64 v[148:151], v158 offset0:56 offset1:57
	s_waitcnt lgkmcnt(0)
	v_mul_f64 v[88:89], v[150:151], v[90:91]
	s_delay_alu instid0(VALU_DEP_1) | instskip(SKIP_1) | instid1(VALU_DEP_2)
	v_fma_f64 v[88:89], v[148:149], v[156:157], -v[88:89]
	v_mul_f64 v[148:149], v[148:149], v[90:91]
	v_add_f64 v[32:33], v[32:33], -v[88:89]
	s_delay_alu instid0(VALU_DEP_2) | instskip(NEXT) | instid1(VALU_DEP_1)
	v_fma_f64 v[148:149], v[150:151], v[156:157], v[148:149]
	v_add_f64 v[34:35], v[34:35], -v[148:149]
	ds_load_2addr_b64 v[148:151], v158 offset0:58 offset1:59
	s_waitcnt lgkmcnt(0)
	v_mul_f64 v[88:89], v[150:151], v[90:91]
	s_delay_alu instid0(VALU_DEP_1) | instskip(SKIP_1) | instid1(VALU_DEP_2)
	v_fma_f64 v[88:89], v[148:149], v[156:157], -v[88:89]
	v_mul_f64 v[148:149], v[148:149], v[90:91]
	v_add_f64 v[28:29], v[28:29], -v[88:89]
	s_delay_alu instid0(VALU_DEP_2) | instskip(NEXT) | instid1(VALU_DEP_1)
	v_fma_f64 v[148:149], v[150:151], v[156:157], v[148:149]
	v_add_f64 v[30:31], v[30:31], -v[148:149]
	ds_load_2addr_b64 v[148:151], v158 offset0:60 offset1:61
	s_waitcnt lgkmcnt(0)
	v_mul_f64 v[88:89], v[150:151], v[90:91]
	s_delay_alu instid0(VALU_DEP_1) | instskip(SKIP_1) | instid1(VALU_DEP_2)
	v_fma_f64 v[88:89], v[148:149], v[156:157], -v[88:89]
	v_mul_f64 v[148:149], v[148:149], v[90:91]
	v_add_f64 v[24:25], v[24:25], -v[88:89]
	s_delay_alu instid0(VALU_DEP_2) | instskip(NEXT) | instid1(VALU_DEP_1)
	v_fma_f64 v[148:149], v[150:151], v[156:157], v[148:149]
	v_add_f64 v[26:27], v[26:27], -v[148:149]
	ds_load_2addr_b64 v[148:151], v158 offset0:62 offset1:63
	s_waitcnt lgkmcnt(0)
	v_mul_f64 v[88:89], v[150:151], v[90:91]
	s_delay_alu instid0(VALU_DEP_1) | instskip(SKIP_1) | instid1(VALU_DEP_2)
	v_fma_f64 v[88:89], v[148:149], v[156:157], -v[88:89]
	v_mul_f64 v[148:149], v[148:149], v[90:91]
	v_add_f64 v[20:21], v[20:21], -v[88:89]
	s_delay_alu instid0(VALU_DEP_2) | instskip(NEXT) | instid1(VALU_DEP_1)
	v_fma_f64 v[148:149], v[150:151], v[156:157], v[148:149]
	v_add_f64 v[22:23], v[22:23], -v[148:149]
	ds_load_2addr_b64 v[148:151], v158 offset0:64 offset1:65
	s_waitcnt lgkmcnt(0)
	v_mul_f64 v[88:89], v[150:151], v[90:91]
	s_delay_alu instid0(VALU_DEP_1) | instskip(SKIP_1) | instid1(VALU_DEP_2)
	v_fma_f64 v[88:89], v[148:149], v[156:157], -v[88:89]
	v_mul_f64 v[148:149], v[148:149], v[90:91]
	v_add_f64 v[16:17], v[16:17], -v[88:89]
	s_delay_alu instid0(VALU_DEP_2) | instskip(NEXT) | instid1(VALU_DEP_1)
	v_fma_f64 v[148:149], v[150:151], v[156:157], v[148:149]
	v_add_f64 v[18:19], v[18:19], -v[148:149]
	ds_load_2addr_b64 v[148:151], v158 offset0:66 offset1:67
	s_waitcnt lgkmcnt(0)
	v_mul_f64 v[88:89], v[150:151], v[90:91]
	s_delay_alu instid0(VALU_DEP_1) | instskip(SKIP_1) | instid1(VALU_DEP_2)
	v_fma_f64 v[88:89], v[148:149], v[156:157], -v[88:89]
	v_mul_f64 v[148:149], v[148:149], v[90:91]
	v_add_f64 v[12:13], v[12:13], -v[88:89]
	s_delay_alu instid0(VALU_DEP_2) | instskip(NEXT) | instid1(VALU_DEP_1)
	v_fma_f64 v[148:149], v[150:151], v[156:157], v[148:149]
	v_add_f64 v[14:15], v[14:15], -v[148:149]
	ds_load_2addr_b64 v[148:151], v158 offset0:68 offset1:69
	s_waitcnt lgkmcnt(0)
	v_mul_f64 v[88:89], v[150:151], v[90:91]
	s_delay_alu instid0(VALU_DEP_1) | instskip(SKIP_1) | instid1(VALU_DEP_2)
	v_fma_f64 v[88:89], v[148:149], v[156:157], -v[88:89]
	v_mul_f64 v[148:149], v[148:149], v[90:91]
	v_add_f64 v[8:9], v[8:9], -v[88:89]
	s_delay_alu instid0(VALU_DEP_2) | instskip(NEXT) | instid1(VALU_DEP_1)
	v_fma_f64 v[148:149], v[150:151], v[156:157], v[148:149]
	v_add_f64 v[10:11], v[10:11], -v[148:149]
	ds_load_2addr_b64 v[148:151], v158 offset0:70 offset1:71
	s_waitcnt lgkmcnt(0)
	v_mul_f64 v[88:89], v[150:151], v[90:91]
	s_delay_alu instid0(VALU_DEP_1) | instskip(SKIP_1) | instid1(VALU_DEP_2)
	v_fma_f64 v[88:89], v[148:149], v[156:157], -v[88:89]
	v_mul_f64 v[148:149], v[148:149], v[90:91]
	v_add_f64 v[4:5], v[4:5], -v[88:89]
	s_delay_alu instid0(VALU_DEP_2) | instskip(NEXT) | instid1(VALU_DEP_1)
	v_fma_f64 v[148:149], v[150:151], v[156:157], v[148:149]
	v_add_f64 v[6:7], v[6:7], -v[148:149]
	ds_load_2addr_b64 v[148:151], v158 offset0:72 offset1:73
	s_waitcnt lgkmcnt(0)
	v_mul_f64 v[88:89], v[150:151], v[90:91]
	s_delay_alu instid0(VALU_DEP_1) | instskip(SKIP_1) | instid1(VALU_DEP_2)
	v_fma_f64 v[88:89], v[148:149], v[156:157], -v[88:89]
	v_mul_f64 v[148:149], v[148:149], v[90:91]
	v_add_f64 v[0:1], v[0:1], -v[88:89]
	s_delay_alu instid0(VALU_DEP_2) | instskip(SKIP_1) | instid1(VALU_DEP_2)
	v_fma_f64 v[148:149], v[150:151], v[156:157], v[148:149]
	v_dual_mov_b32 v88, v156 :: v_dual_mov_b32 v89, v157
	v_add_f64 v[2:3], v[2:3], -v[148:149]
.LBB72_356:
	s_or_b32 exec_lo, exec_lo, s2
	v_lshl_add_u32 v148, v164, 4, v158
	s_barrier
	buffer_gl0_inv
	v_mov_b32_e32 v156, 17
	ds_store_2addr_b64 v148, v[84:85], v[86:87] offset1:1
	s_waitcnt lgkmcnt(0)
	s_barrier
	buffer_gl0_inv
	ds_load_2addr_b64 v[148:151], v158 offset0:34 offset1:35
	s_cmp_lt_i32 s5, 19
	s_cbranch_scc1 .LBB72_359
; %bb.357:
	v_add3_u32 v157, v162, 0, 0x120
	v_mov_b32_e32 v156, 17
	s_mov_b32 s6, 18
	s_set_inst_prefetch_distance 0x1
	.p2align	6
.LBB72_358:                             ; =>This Inner Loop Header: Depth=1
	ds_load_2addr_b64 v[165:168], v157 offset1:1
	s_waitcnt lgkmcnt(1)
	v_cmp_gt_f64_e32 vcc_lo, 0, v[148:149]
	v_xor_b32_e32 v169, 0x80000000, v149
	v_cmp_gt_f64_e64 s2, 0, v[150:151]
	v_xor_b32_e32 v171, 0x80000000, v151
	v_add_nc_u32_e32 v157, 16, v157
	s_waitcnt lgkmcnt(0)
	v_cmp_gt_f64_e64 s3, 0, v[165:166]
	v_mov_b32_e32 v173, v165
	v_dual_mov_b32 v175, v167 :: v_dual_cndmask_b32 v170, v149, v169
	v_xor_b32_e32 v169, 0x80000000, v166
	v_cndmask_b32_e64 v172, v151, v171, s2
	v_xor_b32_e32 v171, 0x80000000, v168
	s_delay_alu instid0(VALU_DEP_3) | instskip(SKIP_2) | instid1(VALU_DEP_2)
	v_cndmask_b32_e64 v174, v166, v169, s3
	v_cmp_gt_f64_e64 s3, 0, v[167:168]
	v_cndmask_b32_e32 v169, v148, v148, vcc_lo
	v_cndmask_b32_e64 v176, v168, v171, s3
	v_cndmask_b32_e64 v171, v150, v150, s2
	s_delay_alu instid0(VALU_DEP_2) | instskip(NEXT) | instid1(VALU_DEP_2)
	v_add_f64 v[173:174], v[173:174], v[175:176]
	v_add_f64 v[169:170], v[169:170], v[171:172]
	s_delay_alu instid0(VALU_DEP_1) | instskip(SKIP_4) | instid1(SALU_CYCLE_1)
	v_cmp_lt_f64_e32 vcc_lo, v[169:170], v[173:174]
	v_dual_cndmask_b32 v150, v150, v167 :: v_dual_cndmask_b32 v149, v149, v166
	v_dual_cndmask_b32 v148, v148, v165 :: v_dual_cndmask_b32 v151, v151, v168
	v_cndmask_b32_e64 v156, v156, s6, vcc_lo
	s_add_i32 s6, s6, 1
	s_cmp_lg_u32 s5, s6
	s_cbranch_scc1 .LBB72_358
.LBB72_359:
	s_set_inst_prefetch_distance 0x2
	s_waitcnt lgkmcnt(0)
	v_cmp_eq_f64_e32 vcc_lo, 0, v[148:149]
	v_cmp_eq_f64_e64 s2, 0, v[150:151]
	s_delay_alu instid0(VALU_DEP_1) | instskip(NEXT) | instid1(SALU_CYCLE_1)
	s_and_b32 s2, vcc_lo, s2
	s_and_saveexec_b32 s3, s2
	s_delay_alu instid0(SALU_CYCLE_1)
	s_xor_b32 s2, exec_lo, s3
; %bb.360:
	v_cmp_ne_u32_e32 vcc_lo, 0, v161
	v_cndmask_b32_e32 v161, 18, v161, vcc_lo
; %bb.361:
	s_and_not1_saveexec_b32 s3, s2
	s_cbranch_execz .LBB72_367
; %bb.362:
	v_cmp_gt_f64_e32 vcc_lo, 0, v[148:149]
	v_cmp_gt_f64_e64 s2, 0, v[150:151]
	v_xor_b32_e32 v157, 0x80000000, v149
	v_xor_b32_e32 v165, 0x80000000, v151
	s_delay_alu instid0(VALU_DEP_2) | instskip(NEXT) | instid1(VALU_DEP_2)
	v_cndmask_b32_e32 v166, v149, v157, vcc_lo
	v_cndmask_b32_e64 v168, v151, v165, s2
	v_cndmask_b32_e32 v165, v148, v148, vcc_lo
	v_cndmask_b32_e64 v167, v150, v150, s2
	s_mov_b32 s2, exec_lo
	s_delay_alu instid0(VALU_DEP_1)
	v_cmpx_ngt_f64_e32 v[165:166], v[167:168]
	s_xor_b32 s2, exec_lo, s2
	s_cbranch_execz .LBB72_364
; %bb.363:
	v_div_scale_f64 v[165:166], null, v[150:151], v[150:151], v[148:149]
	v_div_scale_f64 v[171:172], vcc_lo, v[148:149], v[150:151], v[148:149]
	s_delay_alu instid0(VALU_DEP_2) | instskip(SKIP_2) | instid1(VALU_DEP_1)
	v_rcp_f64_e32 v[167:168], v[165:166]
	s_waitcnt_depctr 0xfff
	v_fma_f64 v[169:170], -v[165:166], v[167:168], 1.0
	v_fma_f64 v[167:168], v[167:168], v[169:170], v[167:168]
	s_delay_alu instid0(VALU_DEP_1) | instskip(NEXT) | instid1(VALU_DEP_1)
	v_fma_f64 v[169:170], -v[165:166], v[167:168], 1.0
	v_fma_f64 v[167:168], v[167:168], v[169:170], v[167:168]
	s_delay_alu instid0(VALU_DEP_1) | instskip(NEXT) | instid1(VALU_DEP_1)
	v_mul_f64 v[169:170], v[171:172], v[167:168]
	v_fma_f64 v[165:166], -v[165:166], v[169:170], v[171:172]
	s_delay_alu instid0(VALU_DEP_1) | instskip(NEXT) | instid1(VALU_DEP_1)
	v_div_fmas_f64 v[165:166], v[165:166], v[167:168], v[169:170]
	v_div_fixup_f64 v[165:166], v[165:166], v[150:151], v[148:149]
	s_delay_alu instid0(VALU_DEP_1) | instskip(NEXT) | instid1(VALU_DEP_1)
	v_fma_f64 v[148:149], v[148:149], v[165:166], v[150:151]
	v_div_scale_f64 v[150:151], null, v[148:149], v[148:149], 1.0
	s_delay_alu instid0(VALU_DEP_1) | instskip(SKIP_2) | instid1(VALU_DEP_1)
	v_rcp_f64_e32 v[167:168], v[150:151]
	s_waitcnt_depctr 0xfff
	v_fma_f64 v[169:170], -v[150:151], v[167:168], 1.0
	v_fma_f64 v[167:168], v[167:168], v[169:170], v[167:168]
	s_delay_alu instid0(VALU_DEP_1) | instskip(NEXT) | instid1(VALU_DEP_1)
	v_fma_f64 v[169:170], -v[150:151], v[167:168], 1.0
	v_fma_f64 v[167:168], v[167:168], v[169:170], v[167:168]
	v_div_scale_f64 v[169:170], vcc_lo, 1.0, v[148:149], 1.0
	s_delay_alu instid0(VALU_DEP_1) | instskip(NEXT) | instid1(VALU_DEP_1)
	v_mul_f64 v[171:172], v[169:170], v[167:168]
	v_fma_f64 v[150:151], -v[150:151], v[171:172], v[169:170]
	s_delay_alu instid0(VALU_DEP_1) | instskip(NEXT) | instid1(VALU_DEP_1)
	v_div_fmas_f64 v[150:151], v[150:151], v[167:168], v[171:172]
	v_div_fixup_f64 v[150:151], v[150:151], v[148:149], 1.0
	s_delay_alu instid0(VALU_DEP_1)
	v_mul_f64 v[148:149], v[165:166], v[150:151]
	v_xor_b32_e32 v151, 0x80000000, v151
.LBB72_364:
	s_and_not1_saveexec_b32 s2, s2
	s_cbranch_execz .LBB72_366
; %bb.365:
	s_delay_alu instid0(VALU_DEP_1) | instskip(SKIP_1) | instid1(VALU_DEP_2)
	v_div_scale_f64 v[165:166], null, v[148:149], v[148:149], v[150:151]
	v_div_scale_f64 v[171:172], vcc_lo, v[150:151], v[148:149], v[150:151]
	v_rcp_f64_e32 v[167:168], v[165:166]
	s_waitcnt_depctr 0xfff
	v_fma_f64 v[169:170], -v[165:166], v[167:168], 1.0
	s_delay_alu instid0(VALU_DEP_1) | instskip(NEXT) | instid1(VALU_DEP_1)
	v_fma_f64 v[167:168], v[167:168], v[169:170], v[167:168]
	v_fma_f64 v[169:170], -v[165:166], v[167:168], 1.0
	s_delay_alu instid0(VALU_DEP_1) | instskip(NEXT) | instid1(VALU_DEP_1)
	v_fma_f64 v[167:168], v[167:168], v[169:170], v[167:168]
	v_mul_f64 v[169:170], v[171:172], v[167:168]
	s_delay_alu instid0(VALU_DEP_1) | instskip(NEXT) | instid1(VALU_DEP_1)
	v_fma_f64 v[165:166], -v[165:166], v[169:170], v[171:172]
	v_div_fmas_f64 v[165:166], v[165:166], v[167:168], v[169:170]
	s_delay_alu instid0(VALU_DEP_1) | instskip(NEXT) | instid1(VALU_DEP_1)
	v_div_fixup_f64 v[165:166], v[165:166], v[148:149], v[150:151]
	v_fma_f64 v[148:149], v[150:151], v[165:166], v[148:149]
	s_delay_alu instid0(VALU_DEP_1) | instskip(NEXT) | instid1(VALU_DEP_1)
	v_div_scale_f64 v[150:151], null, v[148:149], v[148:149], 1.0
	v_rcp_f64_e32 v[167:168], v[150:151]
	s_waitcnt_depctr 0xfff
	v_fma_f64 v[169:170], -v[150:151], v[167:168], 1.0
	s_delay_alu instid0(VALU_DEP_1) | instskip(NEXT) | instid1(VALU_DEP_1)
	v_fma_f64 v[167:168], v[167:168], v[169:170], v[167:168]
	v_fma_f64 v[169:170], -v[150:151], v[167:168], 1.0
	s_delay_alu instid0(VALU_DEP_1) | instskip(SKIP_1) | instid1(VALU_DEP_1)
	v_fma_f64 v[167:168], v[167:168], v[169:170], v[167:168]
	v_div_scale_f64 v[169:170], vcc_lo, 1.0, v[148:149], 1.0
	v_mul_f64 v[171:172], v[169:170], v[167:168]
	s_delay_alu instid0(VALU_DEP_1) | instskip(NEXT) | instid1(VALU_DEP_1)
	v_fma_f64 v[150:151], -v[150:151], v[171:172], v[169:170]
	v_div_fmas_f64 v[150:151], v[150:151], v[167:168], v[171:172]
	s_delay_alu instid0(VALU_DEP_1) | instskip(NEXT) | instid1(VALU_DEP_1)
	v_div_fixup_f64 v[148:149], v[150:151], v[148:149], 1.0
	v_mul_f64 v[150:151], v[165:166], -v[148:149]
.LBB72_366:
	s_or_b32 exec_lo, exec_lo, s2
.LBB72_367:
	s_delay_alu instid0(SALU_CYCLE_1) | instskip(NEXT) | instid1(SALU_CYCLE_1)
	s_or_b32 exec_lo, exec_lo, s3
	s_mov_b32 s2, exec_lo
	v_cmpx_ne_u32_e64 v164, v156
	s_xor_b32 s2, exec_lo, s2
	s_cbranch_execz .LBB72_373
; %bb.368:
	s_mov_b32 s3, exec_lo
	v_cmpx_eq_u32_e32 17, v164
	s_cbranch_execz .LBB72_372
; %bb.369:
	v_cmp_ne_u32_e32 vcc_lo, 17, v156
	s_xor_b32 s6, s4, -1
	s_delay_alu instid0(SALU_CYCLE_1) | instskip(NEXT) | instid1(SALU_CYCLE_1)
	s_and_b32 s7, s6, vcc_lo
	s_and_saveexec_b32 s6, s7
	s_cbranch_execz .LBB72_371
; %bb.370:
	v_ashrrev_i32_e32 v157, 31, v156
	s_delay_alu instid0(VALU_DEP_1) | instskip(NEXT) | instid1(VALU_DEP_1)
	v_lshlrev_b64 v[163:164], 2, v[156:157]
	v_add_co_u32 v163, vcc_lo, v154, v163
	s_delay_alu instid0(VALU_DEP_2)
	v_add_co_ci_u32_e32 v164, vcc_lo, v155, v164, vcc_lo
	s_clause 0x1
	flat_load_b32 v157, v[163:164]
	flat_load_b32 v165, v[154:155] offset:68
	s_waitcnt vmcnt(1) lgkmcnt(1)
	flat_store_b32 v[154:155], v157 offset:68
	s_waitcnt vmcnt(0) lgkmcnt(1)
	flat_store_b32 v[163:164], v165
.LBB72_371:
	s_or_b32 exec_lo, exec_lo, s6
	v_mov_b32_e32 v164, v156
	v_mov_b32_e32 v163, v156
.LBB72_372:
	s_or_b32 exec_lo, exec_lo, s3
.LBB72_373:
	s_and_not1_saveexec_b32 s2, s2
	s_cbranch_execz .LBB72_375
; %bb.374:
	v_mov_b32_e32 v164, 17
	ds_store_2addr_b64 v158, v[80:81], v[82:83] offset0:36 offset1:37
	ds_store_2addr_b64 v158, v[76:77], v[78:79] offset0:38 offset1:39
	;; [unrolled: 1-line block ×19, first 2 shown]
.LBB72_375:
	s_or_b32 exec_lo, exec_lo, s2
	s_delay_alu instid0(SALU_CYCLE_1)
	s_mov_b32 s2, exec_lo
	s_waitcnt lgkmcnt(0)
	s_waitcnt_vscnt null, 0x0
	s_barrier
	buffer_gl0_inv
	v_cmpx_lt_i32_e32 17, v164
	s_cbranch_execz .LBB72_377
; %bb.376:
	v_mul_f64 v[156:157], v[150:151], v[86:87]
	v_mul_f64 v[86:87], v[148:149], v[86:87]
	s_delay_alu instid0(VALU_DEP_2) | instskip(NEXT) | instid1(VALU_DEP_2)
	v_fma_f64 v[156:157], v[148:149], v[84:85], -v[156:157]
	v_fma_f64 v[86:87], v[150:151], v[84:85], v[86:87]
	ds_load_2addr_b64 v[148:151], v158 offset0:36 offset1:37
	s_waitcnt lgkmcnt(0)
	v_mul_f64 v[84:85], v[150:151], v[86:87]
	s_delay_alu instid0(VALU_DEP_1) | instskip(SKIP_1) | instid1(VALU_DEP_2)
	v_fma_f64 v[84:85], v[148:149], v[156:157], -v[84:85]
	v_mul_f64 v[148:149], v[148:149], v[86:87]
	v_add_f64 v[80:81], v[80:81], -v[84:85]
	s_delay_alu instid0(VALU_DEP_2) | instskip(NEXT) | instid1(VALU_DEP_1)
	v_fma_f64 v[148:149], v[150:151], v[156:157], v[148:149]
	v_add_f64 v[82:83], v[82:83], -v[148:149]
	ds_load_2addr_b64 v[148:151], v158 offset0:38 offset1:39
	s_waitcnt lgkmcnt(0)
	v_mul_f64 v[84:85], v[150:151], v[86:87]
	s_delay_alu instid0(VALU_DEP_1) | instskip(SKIP_1) | instid1(VALU_DEP_2)
	v_fma_f64 v[84:85], v[148:149], v[156:157], -v[84:85]
	v_mul_f64 v[148:149], v[148:149], v[86:87]
	v_add_f64 v[76:77], v[76:77], -v[84:85]
	s_delay_alu instid0(VALU_DEP_2) | instskip(NEXT) | instid1(VALU_DEP_1)
	v_fma_f64 v[148:149], v[150:151], v[156:157], v[148:149]
	v_add_f64 v[78:79], v[78:79], -v[148:149]
	;; [unrolled: 10-line block ×18, first 2 shown]
	ds_load_2addr_b64 v[148:151], v158 offset0:72 offset1:73
	s_waitcnt lgkmcnt(0)
	v_mul_f64 v[84:85], v[150:151], v[86:87]
	s_delay_alu instid0(VALU_DEP_1) | instskip(SKIP_1) | instid1(VALU_DEP_2)
	v_fma_f64 v[84:85], v[148:149], v[156:157], -v[84:85]
	v_mul_f64 v[148:149], v[148:149], v[86:87]
	v_add_f64 v[0:1], v[0:1], -v[84:85]
	s_delay_alu instid0(VALU_DEP_2) | instskip(SKIP_1) | instid1(VALU_DEP_2)
	v_fma_f64 v[148:149], v[150:151], v[156:157], v[148:149]
	v_dual_mov_b32 v84, v156 :: v_dual_mov_b32 v85, v157
	v_add_f64 v[2:3], v[2:3], -v[148:149]
.LBB72_377:
	s_or_b32 exec_lo, exec_lo, s2
	v_lshl_add_u32 v148, v164, 4, v158
	s_barrier
	buffer_gl0_inv
	v_mov_b32_e32 v156, 18
	ds_store_2addr_b64 v148, v[80:81], v[82:83] offset1:1
	s_waitcnt lgkmcnt(0)
	s_barrier
	buffer_gl0_inv
	ds_load_2addr_b64 v[148:151], v158 offset0:36 offset1:37
	s_cmp_lt_i32 s5, 20
	s_cbranch_scc1 .LBB72_380
; %bb.378:
	v_add3_u32 v157, v162, 0, 0x130
	v_mov_b32_e32 v156, 18
	s_mov_b32 s6, 19
	s_set_inst_prefetch_distance 0x1
	.p2align	6
.LBB72_379:                             ; =>This Inner Loop Header: Depth=1
	ds_load_2addr_b64 v[165:168], v157 offset1:1
	s_waitcnt lgkmcnt(1)
	v_cmp_gt_f64_e32 vcc_lo, 0, v[148:149]
	v_xor_b32_e32 v169, 0x80000000, v149
	v_cmp_gt_f64_e64 s2, 0, v[150:151]
	v_xor_b32_e32 v171, 0x80000000, v151
	v_add_nc_u32_e32 v157, 16, v157
	s_waitcnt lgkmcnt(0)
	v_cmp_gt_f64_e64 s3, 0, v[165:166]
	v_mov_b32_e32 v173, v165
	v_dual_mov_b32 v175, v167 :: v_dual_cndmask_b32 v170, v149, v169
	v_xor_b32_e32 v169, 0x80000000, v166
	v_cndmask_b32_e64 v172, v151, v171, s2
	v_xor_b32_e32 v171, 0x80000000, v168
	s_delay_alu instid0(VALU_DEP_3) | instskip(SKIP_2) | instid1(VALU_DEP_2)
	v_cndmask_b32_e64 v174, v166, v169, s3
	v_cmp_gt_f64_e64 s3, 0, v[167:168]
	v_cndmask_b32_e32 v169, v148, v148, vcc_lo
	v_cndmask_b32_e64 v176, v168, v171, s3
	v_cndmask_b32_e64 v171, v150, v150, s2
	s_delay_alu instid0(VALU_DEP_2) | instskip(NEXT) | instid1(VALU_DEP_2)
	v_add_f64 v[173:174], v[173:174], v[175:176]
	v_add_f64 v[169:170], v[169:170], v[171:172]
	s_delay_alu instid0(VALU_DEP_1) | instskip(SKIP_4) | instid1(SALU_CYCLE_1)
	v_cmp_lt_f64_e32 vcc_lo, v[169:170], v[173:174]
	v_dual_cndmask_b32 v150, v150, v167 :: v_dual_cndmask_b32 v149, v149, v166
	v_dual_cndmask_b32 v148, v148, v165 :: v_dual_cndmask_b32 v151, v151, v168
	v_cndmask_b32_e64 v156, v156, s6, vcc_lo
	s_add_i32 s6, s6, 1
	s_cmp_lg_u32 s5, s6
	s_cbranch_scc1 .LBB72_379
.LBB72_380:
	s_set_inst_prefetch_distance 0x2
	s_waitcnt lgkmcnt(0)
	v_cmp_eq_f64_e32 vcc_lo, 0, v[148:149]
	v_cmp_eq_f64_e64 s2, 0, v[150:151]
	s_delay_alu instid0(VALU_DEP_1) | instskip(NEXT) | instid1(SALU_CYCLE_1)
	s_and_b32 s2, vcc_lo, s2
	s_and_saveexec_b32 s3, s2
	s_delay_alu instid0(SALU_CYCLE_1)
	s_xor_b32 s2, exec_lo, s3
; %bb.381:
	v_cmp_ne_u32_e32 vcc_lo, 0, v161
	v_cndmask_b32_e32 v161, 19, v161, vcc_lo
; %bb.382:
	s_and_not1_saveexec_b32 s3, s2
	s_cbranch_execz .LBB72_388
; %bb.383:
	v_cmp_gt_f64_e32 vcc_lo, 0, v[148:149]
	v_cmp_gt_f64_e64 s2, 0, v[150:151]
	v_xor_b32_e32 v157, 0x80000000, v149
	v_xor_b32_e32 v165, 0x80000000, v151
	s_delay_alu instid0(VALU_DEP_2) | instskip(NEXT) | instid1(VALU_DEP_2)
	v_cndmask_b32_e32 v166, v149, v157, vcc_lo
	v_cndmask_b32_e64 v168, v151, v165, s2
	v_cndmask_b32_e32 v165, v148, v148, vcc_lo
	v_cndmask_b32_e64 v167, v150, v150, s2
	s_mov_b32 s2, exec_lo
	s_delay_alu instid0(VALU_DEP_1)
	v_cmpx_ngt_f64_e32 v[165:166], v[167:168]
	s_xor_b32 s2, exec_lo, s2
	s_cbranch_execz .LBB72_385
; %bb.384:
	v_div_scale_f64 v[165:166], null, v[150:151], v[150:151], v[148:149]
	v_div_scale_f64 v[171:172], vcc_lo, v[148:149], v[150:151], v[148:149]
	s_delay_alu instid0(VALU_DEP_2) | instskip(SKIP_2) | instid1(VALU_DEP_1)
	v_rcp_f64_e32 v[167:168], v[165:166]
	s_waitcnt_depctr 0xfff
	v_fma_f64 v[169:170], -v[165:166], v[167:168], 1.0
	v_fma_f64 v[167:168], v[167:168], v[169:170], v[167:168]
	s_delay_alu instid0(VALU_DEP_1) | instskip(NEXT) | instid1(VALU_DEP_1)
	v_fma_f64 v[169:170], -v[165:166], v[167:168], 1.0
	v_fma_f64 v[167:168], v[167:168], v[169:170], v[167:168]
	s_delay_alu instid0(VALU_DEP_1) | instskip(NEXT) | instid1(VALU_DEP_1)
	v_mul_f64 v[169:170], v[171:172], v[167:168]
	v_fma_f64 v[165:166], -v[165:166], v[169:170], v[171:172]
	s_delay_alu instid0(VALU_DEP_1) | instskip(NEXT) | instid1(VALU_DEP_1)
	v_div_fmas_f64 v[165:166], v[165:166], v[167:168], v[169:170]
	v_div_fixup_f64 v[165:166], v[165:166], v[150:151], v[148:149]
	s_delay_alu instid0(VALU_DEP_1) | instskip(NEXT) | instid1(VALU_DEP_1)
	v_fma_f64 v[148:149], v[148:149], v[165:166], v[150:151]
	v_div_scale_f64 v[150:151], null, v[148:149], v[148:149], 1.0
	s_delay_alu instid0(VALU_DEP_1) | instskip(SKIP_2) | instid1(VALU_DEP_1)
	v_rcp_f64_e32 v[167:168], v[150:151]
	s_waitcnt_depctr 0xfff
	v_fma_f64 v[169:170], -v[150:151], v[167:168], 1.0
	v_fma_f64 v[167:168], v[167:168], v[169:170], v[167:168]
	s_delay_alu instid0(VALU_DEP_1) | instskip(NEXT) | instid1(VALU_DEP_1)
	v_fma_f64 v[169:170], -v[150:151], v[167:168], 1.0
	v_fma_f64 v[167:168], v[167:168], v[169:170], v[167:168]
	v_div_scale_f64 v[169:170], vcc_lo, 1.0, v[148:149], 1.0
	s_delay_alu instid0(VALU_DEP_1) | instskip(NEXT) | instid1(VALU_DEP_1)
	v_mul_f64 v[171:172], v[169:170], v[167:168]
	v_fma_f64 v[150:151], -v[150:151], v[171:172], v[169:170]
	s_delay_alu instid0(VALU_DEP_1) | instskip(NEXT) | instid1(VALU_DEP_1)
	v_div_fmas_f64 v[150:151], v[150:151], v[167:168], v[171:172]
	v_div_fixup_f64 v[150:151], v[150:151], v[148:149], 1.0
	s_delay_alu instid0(VALU_DEP_1)
	v_mul_f64 v[148:149], v[165:166], v[150:151]
	v_xor_b32_e32 v151, 0x80000000, v151
.LBB72_385:
	s_and_not1_saveexec_b32 s2, s2
	s_cbranch_execz .LBB72_387
; %bb.386:
	s_delay_alu instid0(VALU_DEP_1) | instskip(SKIP_1) | instid1(VALU_DEP_2)
	v_div_scale_f64 v[165:166], null, v[148:149], v[148:149], v[150:151]
	v_div_scale_f64 v[171:172], vcc_lo, v[150:151], v[148:149], v[150:151]
	v_rcp_f64_e32 v[167:168], v[165:166]
	s_waitcnt_depctr 0xfff
	v_fma_f64 v[169:170], -v[165:166], v[167:168], 1.0
	s_delay_alu instid0(VALU_DEP_1) | instskip(NEXT) | instid1(VALU_DEP_1)
	v_fma_f64 v[167:168], v[167:168], v[169:170], v[167:168]
	v_fma_f64 v[169:170], -v[165:166], v[167:168], 1.0
	s_delay_alu instid0(VALU_DEP_1) | instskip(NEXT) | instid1(VALU_DEP_1)
	v_fma_f64 v[167:168], v[167:168], v[169:170], v[167:168]
	v_mul_f64 v[169:170], v[171:172], v[167:168]
	s_delay_alu instid0(VALU_DEP_1) | instskip(NEXT) | instid1(VALU_DEP_1)
	v_fma_f64 v[165:166], -v[165:166], v[169:170], v[171:172]
	v_div_fmas_f64 v[165:166], v[165:166], v[167:168], v[169:170]
	s_delay_alu instid0(VALU_DEP_1) | instskip(NEXT) | instid1(VALU_DEP_1)
	v_div_fixup_f64 v[165:166], v[165:166], v[148:149], v[150:151]
	v_fma_f64 v[148:149], v[150:151], v[165:166], v[148:149]
	s_delay_alu instid0(VALU_DEP_1) | instskip(NEXT) | instid1(VALU_DEP_1)
	v_div_scale_f64 v[150:151], null, v[148:149], v[148:149], 1.0
	v_rcp_f64_e32 v[167:168], v[150:151]
	s_waitcnt_depctr 0xfff
	v_fma_f64 v[169:170], -v[150:151], v[167:168], 1.0
	s_delay_alu instid0(VALU_DEP_1) | instskip(NEXT) | instid1(VALU_DEP_1)
	v_fma_f64 v[167:168], v[167:168], v[169:170], v[167:168]
	v_fma_f64 v[169:170], -v[150:151], v[167:168], 1.0
	s_delay_alu instid0(VALU_DEP_1) | instskip(SKIP_1) | instid1(VALU_DEP_1)
	v_fma_f64 v[167:168], v[167:168], v[169:170], v[167:168]
	v_div_scale_f64 v[169:170], vcc_lo, 1.0, v[148:149], 1.0
	v_mul_f64 v[171:172], v[169:170], v[167:168]
	s_delay_alu instid0(VALU_DEP_1) | instskip(NEXT) | instid1(VALU_DEP_1)
	v_fma_f64 v[150:151], -v[150:151], v[171:172], v[169:170]
	v_div_fmas_f64 v[150:151], v[150:151], v[167:168], v[171:172]
	s_delay_alu instid0(VALU_DEP_1) | instskip(NEXT) | instid1(VALU_DEP_1)
	v_div_fixup_f64 v[148:149], v[150:151], v[148:149], 1.0
	v_mul_f64 v[150:151], v[165:166], -v[148:149]
.LBB72_387:
	s_or_b32 exec_lo, exec_lo, s2
.LBB72_388:
	s_delay_alu instid0(SALU_CYCLE_1) | instskip(NEXT) | instid1(SALU_CYCLE_1)
	s_or_b32 exec_lo, exec_lo, s3
	s_mov_b32 s2, exec_lo
	v_cmpx_ne_u32_e64 v164, v156
	s_xor_b32 s2, exec_lo, s2
	s_cbranch_execz .LBB72_394
; %bb.389:
	s_mov_b32 s3, exec_lo
	v_cmpx_eq_u32_e32 18, v164
	s_cbranch_execz .LBB72_393
; %bb.390:
	v_cmp_ne_u32_e32 vcc_lo, 18, v156
	s_xor_b32 s6, s4, -1
	s_delay_alu instid0(SALU_CYCLE_1) | instskip(NEXT) | instid1(SALU_CYCLE_1)
	s_and_b32 s7, s6, vcc_lo
	s_and_saveexec_b32 s6, s7
	s_cbranch_execz .LBB72_392
; %bb.391:
	v_ashrrev_i32_e32 v157, 31, v156
	s_delay_alu instid0(VALU_DEP_1) | instskip(NEXT) | instid1(VALU_DEP_1)
	v_lshlrev_b64 v[163:164], 2, v[156:157]
	v_add_co_u32 v163, vcc_lo, v154, v163
	s_delay_alu instid0(VALU_DEP_2)
	v_add_co_ci_u32_e32 v164, vcc_lo, v155, v164, vcc_lo
	s_clause 0x1
	flat_load_b32 v157, v[163:164]
	flat_load_b32 v165, v[154:155] offset:72
	s_waitcnt vmcnt(1) lgkmcnt(1)
	flat_store_b32 v[154:155], v157 offset:72
	s_waitcnt vmcnt(0) lgkmcnt(1)
	flat_store_b32 v[163:164], v165
.LBB72_392:
	s_or_b32 exec_lo, exec_lo, s6
	v_mov_b32_e32 v164, v156
	v_mov_b32_e32 v163, v156
.LBB72_393:
	s_or_b32 exec_lo, exec_lo, s3
.LBB72_394:
	s_and_not1_saveexec_b32 s2, s2
	s_cbranch_execz .LBB72_396
; %bb.395:
	v_mov_b32_e32 v164, 18
	ds_store_2addr_b64 v158, v[76:77], v[78:79] offset0:38 offset1:39
	ds_store_2addr_b64 v158, v[72:73], v[74:75] offset0:40 offset1:41
	;; [unrolled: 1-line block ×18, first 2 shown]
.LBB72_396:
	s_or_b32 exec_lo, exec_lo, s2
	s_delay_alu instid0(SALU_CYCLE_1)
	s_mov_b32 s2, exec_lo
	s_waitcnt lgkmcnt(0)
	s_waitcnt_vscnt null, 0x0
	s_barrier
	buffer_gl0_inv
	v_cmpx_lt_i32_e32 18, v164
	s_cbranch_execz .LBB72_398
; %bb.397:
	v_mul_f64 v[156:157], v[150:151], v[82:83]
	v_mul_f64 v[82:83], v[148:149], v[82:83]
	s_delay_alu instid0(VALU_DEP_2) | instskip(NEXT) | instid1(VALU_DEP_2)
	v_fma_f64 v[156:157], v[148:149], v[80:81], -v[156:157]
	v_fma_f64 v[82:83], v[150:151], v[80:81], v[82:83]
	ds_load_2addr_b64 v[148:151], v158 offset0:38 offset1:39
	s_waitcnt lgkmcnt(0)
	v_mul_f64 v[80:81], v[150:151], v[82:83]
	s_delay_alu instid0(VALU_DEP_1) | instskip(SKIP_1) | instid1(VALU_DEP_2)
	v_fma_f64 v[80:81], v[148:149], v[156:157], -v[80:81]
	v_mul_f64 v[148:149], v[148:149], v[82:83]
	v_add_f64 v[76:77], v[76:77], -v[80:81]
	s_delay_alu instid0(VALU_DEP_2) | instskip(NEXT) | instid1(VALU_DEP_1)
	v_fma_f64 v[148:149], v[150:151], v[156:157], v[148:149]
	v_add_f64 v[78:79], v[78:79], -v[148:149]
	ds_load_2addr_b64 v[148:151], v158 offset0:40 offset1:41
	s_waitcnt lgkmcnt(0)
	v_mul_f64 v[80:81], v[150:151], v[82:83]
	s_delay_alu instid0(VALU_DEP_1) | instskip(SKIP_1) | instid1(VALU_DEP_2)
	v_fma_f64 v[80:81], v[148:149], v[156:157], -v[80:81]
	v_mul_f64 v[148:149], v[148:149], v[82:83]
	v_add_f64 v[72:73], v[72:73], -v[80:81]
	s_delay_alu instid0(VALU_DEP_2) | instskip(NEXT) | instid1(VALU_DEP_1)
	v_fma_f64 v[148:149], v[150:151], v[156:157], v[148:149]
	v_add_f64 v[74:75], v[74:75], -v[148:149]
	;; [unrolled: 10-line block ×17, first 2 shown]
	ds_load_2addr_b64 v[148:151], v158 offset0:72 offset1:73
	s_waitcnt lgkmcnt(0)
	v_mul_f64 v[80:81], v[150:151], v[82:83]
	s_delay_alu instid0(VALU_DEP_1) | instskip(SKIP_1) | instid1(VALU_DEP_2)
	v_fma_f64 v[80:81], v[148:149], v[156:157], -v[80:81]
	v_mul_f64 v[148:149], v[148:149], v[82:83]
	v_add_f64 v[0:1], v[0:1], -v[80:81]
	s_delay_alu instid0(VALU_DEP_2) | instskip(SKIP_1) | instid1(VALU_DEP_2)
	v_fma_f64 v[148:149], v[150:151], v[156:157], v[148:149]
	v_dual_mov_b32 v80, v156 :: v_dual_mov_b32 v81, v157
	v_add_f64 v[2:3], v[2:3], -v[148:149]
.LBB72_398:
	s_or_b32 exec_lo, exec_lo, s2
	v_lshl_add_u32 v148, v164, 4, v158
	s_barrier
	buffer_gl0_inv
	v_mov_b32_e32 v156, 19
	ds_store_2addr_b64 v148, v[76:77], v[78:79] offset1:1
	s_waitcnt lgkmcnt(0)
	s_barrier
	buffer_gl0_inv
	ds_load_2addr_b64 v[148:151], v158 offset0:38 offset1:39
	s_cmp_lt_i32 s5, 21
	s_cbranch_scc1 .LBB72_401
; %bb.399:
	v_add3_u32 v157, v162, 0, 0x140
	v_mov_b32_e32 v156, 19
	s_mov_b32 s6, 20
	s_set_inst_prefetch_distance 0x1
	.p2align	6
.LBB72_400:                             ; =>This Inner Loop Header: Depth=1
	ds_load_2addr_b64 v[165:168], v157 offset1:1
	s_waitcnt lgkmcnt(1)
	v_cmp_gt_f64_e32 vcc_lo, 0, v[148:149]
	v_xor_b32_e32 v169, 0x80000000, v149
	v_cmp_gt_f64_e64 s2, 0, v[150:151]
	v_xor_b32_e32 v171, 0x80000000, v151
	v_add_nc_u32_e32 v157, 16, v157
	s_waitcnt lgkmcnt(0)
	v_cmp_gt_f64_e64 s3, 0, v[165:166]
	v_mov_b32_e32 v173, v165
	v_dual_mov_b32 v175, v167 :: v_dual_cndmask_b32 v170, v149, v169
	v_xor_b32_e32 v169, 0x80000000, v166
	v_cndmask_b32_e64 v172, v151, v171, s2
	v_xor_b32_e32 v171, 0x80000000, v168
	s_delay_alu instid0(VALU_DEP_3) | instskip(SKIP_2) | instid1(VALU_DEP_2)
	v_cndmask_b32_e64 v174, v166, v169, s3
	v_cmp_gt_f64_e64 s3, 0, v[167:168]
	v_cndmask_b32_e32 v169, v148, v148, vcc_lo
	v_cndmask_b32_e64 v176, v168, v171, s3
	v_cndmask_b32_e64 v171, v150, v150, s2
	s_delay_alu instid0(VALU_DEP_2) | instskip(NEXT) | instid1(VALU_DEP_2)
	v_add_f64 v[173:174], v[173:174], v[175:176]
	v_add_f64 v[169:170], v[169:170], v[171:172]
	s_delay_alu instid0(VALU_DEP_1) | instskip(SKIP_4) | instid1(SALU_CYCLE_1)
	v_cmp_lt_f64_e32 vcc_lo, v[169:170], v[173:174]
	v_dual_cndmask_b32 v150, v150, v167 :: v_dual_cndmask_b32 v149, v149, v166
	v_dual_cndmask_b32 v148, v148, v165 :: v_dual_cndmask_b32 v151, v151, v168
	v_cndmask_b32_e64 v156, v156, s6, vcc_lo
	s_add_i32 s6, s6, 1
	s_cmp_lg_u32 s5, s6
	s_cbranch_scc1 .LBB72_400
.LBB72_401:
	s_set_inst_prefetch_distance 0x2
	s_waitcnt lgkmcnt(0)
	v_cmp_eq_f64_e32 vcc_lo, 0, v[148:149]
	v_cmp_eq_f64_e64 s2, 0, v[150:151]
	s_delay_alu instid0(VALU_DEP_1) | instskip(NEXT) | instid1(SALU_CYCLE_1)
	s_and_b32 s2, vcc_lo, s2
	s_and_saveexec_b32 s3, s2
	s_delay_alu instid0(SALU_CYCLE_1)
	s_xor_b32 s2, exec_lo, s3
; %bb.402:
	v_cmp_ne_u32_e32 vcc_lo, 0, v161
	v_cndmask_b32_e32 v161, 20, v161, vcc_lo
; %bb.403:
	s_and_not1_saveexec_b32 s3, s2
	s_cbranch_execz .LBB72_409
; %bb.404:
	v_cmp_gt_f64_e32 vcc_lo, 0, v[148:149]
	v_cmp_gt_f64_e64 s2, 0, v[150:151]
	v_xor_b32_e32 v157, 0x80000000, v149
	v_xor_b32_e32 v165, 0x80000000, v151
	s_delay_alu instid0(VALU_DEP_2) | instskip(NEXT) | instid1(VALU_DEP_2)
	v_cndmask_b32_e32 v166, v149, v157, vcc_lo
	v_cndmask_b32_e64 v168, v151, v165, s2
	v_cndmask_b32_e32 v165, v148, v148, vcc_lo
	v_cndmask_b32_e64 v167, v150, v150, s2
	s_mov_b32 s2, exec_lo
	s_delay_alu instid0(VALU_DEP_1)
	v_cmpx_ngt_f64_e32 v[165:166], v[167:168]
	s_xor_b32 s2, exec_lo, s2
	s_cbranch_execz .LBB72_406
; %bb.405:
	v_div_scale_f64 v[165:166], null, v[150:151], v[150:151], v[148:149]
	v_div_scale_f64 v[171:172], vcc_lo, v[148:149], v[150:151], v[148:149]
	s_delay_alu instid0(VALU_DEP_2) | instskip(SKIP_2) | instid1(VALU_DEP_1)
	v_rcp_f64_e32 v[167:168], v[165:166]
	s_waitcnt_depctr 0xfff
	v_fma_f64 v[169:170], -v[165:166], v[167:168], 1.0
	v_fma_f64 v[167:168], v[167:168], v[169:170], v[167:168]
	s_delay_alu instid0(VALU_DEP_1) | instskip(NEXT) | instid1(VALU_DEP_1)
	v_fma_f64 v[169:170], -v[165:166], v[167:168], 1.0
	v_fma_f64 v[167:168], v[167:168], v[169:170], v[167:168]
	s_delay_alu instid0(VALU_DEP_1) | instskip(NEXT) | instid1(VALU_DEP_1)
	v_mul_f64 v[169:170], v[171:172], v[167:168]
	v_fma_f64 v[165:166], -v[165:166], v[169:170], v[171:172]
	s_delay_alu instid0(VALU_DEP_1) | instskip(NEXT) | instid1(VALU_DEP_1)
	v_div_fmas_f64 v[165:166], v[165:166], v[167:168], v[169:170]
	v_div_fixup_f64 v[165:166], v[165:166], v[150:151], v[148:149]
	s_delay_alu instid0(VALU_DEP_1) | instskip(NEXT) | instid1(VALU_DEP_1)
	v_fma_f64 v[148:149], v[148:149], v[165:166], v[150:151]
	v_div_scale_f64 v[150:151], null, v[148:149], v[148:149], 1.0
	s_delay_alu instid0(VALU_DEP_1) | instskip(SKIP_2) | instid1(VALU_DEP_1)
	v_rcp_f64_e32 v[167:168], v[150:151]
	s_waitcnt_depctr 0xfff
	v_fma_f64 v[169:170], -v[150:151], v[167:168], 1.0
	v_fma_f64 v[167:168], v[167:168], v[169:170], v[167:168]
	s_delay_alu instid0(VALU_DEP_1) | instskip(NEXT) | instid1(VALU_DEP_1)
	v_fma_f64 v[169:170], -v[150:151], v[167:168], 1.0
	v_fma_f64 v[167:168], v[167:168], v[169:170], v[167:168]
	v_div_scale_f64 v[169:170], vcc_lo, 1.0, v[148:149], 1.0
	s_delay_alu instid0(VALU_DEP_1) | instskip(NEXT) | instid1(VALU_DEP_1)
	v_mul_f64 v[171:172], v[169:170], v[167:168]
	v_fma_f64 v[150:151], -v[150:151], v[171:172], v[169:170]
	s_delay_alu instid0(VALU_DEP_1) | instskip(NEXT) | instid1(VALU_DEP_1)
	v_div_fmas_f64 v[150:151], v[150:151], v[167:168], v[171:172]
	v_div_fixup_f64 v[150:151], v[150:151], v[148:149], 1.0
	s_delay_alu instid0(VALU_DEP_1)
	v_mul_f64 v[148:149], v[165:166], v[150:151]
	v_xor_b32_e32 v151, 0x80000000, v151
.LBB72_406:
	s_and_not1_saveexec_b32 s2, s2
	s_cbranch_execz .LBB72_408
; %bb.407:
	s_delay_alu instid0(VALU_DEP_1) | instskip(SKIP_1) | instid1(VALU_DEP_2)
	v_div_scale_f64 v[165:166], null, v[148:149], v[148:149], v[150:151]
	v_div_scale_f64 v[171:172], vcc_lo, v[150:151], v[148:149], v[150:151]
	v_rcp_f64_e32 v[167:168], v[165:166]
	s_waitcnt_depctr 0xfff
	v_fma_f64 v[169:170], -v[165:166], v[167:168], 1.0
	s_delay_alu instid0(VALU_DEP_1) | instskip(NEXT) | instid1(VALU_DEP_1)
	v_fma_f64 v[167:168], v[167:168], v[169:170], v[167:168]
	v_fma_f64 v[169:170], -v[165:166], v[167:168], 1.0
	s_delay_alu instid0(VALU_DEP_1) | instskip(NEXT) | instid1(VALU_DEP_1)
	v_fma_f64 v[167:168], v[167:168], v[169:170], v[167:168]
	v_mul_f64 v[169:170], v[171:172], v[167:168]
	s_delay_alu instid0(VALU_DEP_1) | instskip(NEXT) | instid1(VALU_DEP_1)
	v_fma_f64 v[165:166], -v[165:166], v[169:170], v[171:172]
	v_div_fmas_f64 v[165:166], v[165:166], v[167:168], v[169:170]
	s_delay_alu instid0(VALU_DEP_1) | instskip(NEXT) | instid1(VALU_DEP_1)
	v_div_fixup_f64 v[165:166], v[165:166], v[148:149], v[150:151]
	v_fma_f64 v[148:149], v[150:151], v[165:166], v[148:149]
	s_delay_alu instid0(VALU_DEP_1) | instskip(NEXT) | instid1(VALU_DEP_1)
	v_div_scale_f64 v[150:151], null, v[148:149], v[148:149], 1.0
	v_rcp_f64_e32 v[167:168], v[150:151]
	s_waitcnt_depctr 0xfff
	v_fma_f64 v[169:170], -v[150:151], v[167:168], 1.0
	s_delay_alu instid0(VALU_DEP_1) | instskip(NEXT) | instid1(VALU_DEP_1)
	v_fma_f64 v[167:168], v[167:168], v[169:170], v[167:168]
	v_fma_f64 v[169:170], -v[150:151], v[167:168], 1.0
	s_delay_alu instid0(VALU_DEP_1) | instskip(SKIP_1) | instid1(VALU_DEP_1)
	v_fma_f64 v[167:168], v[167:168], v[169:170], v[167:168]
	v_div_scale_f64 v[169:170], vcc_lo, 1.0, v[148:149], 1.0
	v_mul_f64 v[171:172], v[169:170], v[167:168]
	s_delay_alu instid0(VALU_DEP_1) | instskip(NEXT) | instid1(VALU_DEP_1)
	v_fma_f64 v[150:151], -v[150:151], v[171:172], v[169:170]
	v_div_fmas_f64 v[150:151], v[150:151], v[167:168], v[171:172]
	s_delay_alu instid0(VALU_DEP_1) | instskip(NEXT) | instid1(VALU_DEP_1)
	v_div_fixup_f64 v[148:149], v[150:151], v[148:149], 1.0
	v_mul_f64 v[150:151], v[165:166], -v[148:149]
.LBB72_408:
	s_or_b32 exec_lo, exec_lo, s2
.LBB72_409:
	s_delay_alu instid0(SALU_CYCLE_1) | instskip(NEXT) | instid1(SALU_CYCLE_1)
	s_or_b32 exec_lo, exec_lo, s3
	s_mov_b32 s2, exec_lo
	v_cmpx_ne_u32_e64 v164, v156
	s_xor_b32 s2, exec_lo, s2
	s_cbranch_execz .LBB72_415
; %bb.410:
	s_mov_b32 s3, exec_lo
	v_cmpx_eq_u32_e32 19, v164
	s_cbranch_execz .LBB72_414
; %bb.411:
	v_cmp_ne_u32_e32 vcc_lo, 19, v156
	s_xor_b32 s6, s4, -1
	s_delay_alu instid0(SALU_CYCLE_1) | instskip(NEXT) | instid1(SALU_CYCLE_1)
	s_and_b32 s7, s6, vcc_lo
	s_and_saveexec_b32 s6, s7
	s_cbranch_execz .LBB72_413
; %bb.412:
	v_ashrrev_i32_e32 v157, 31, v156
	s_delay_alu instid0(VALU_DEP_1) | instskip(NEXT) | instid1(VALU_DEP_1)
	v_lshlrev_b64 v[163:164], 2, v[156:157]
	v_add_co_u32 v163, vcc_lo, v154, v163
	s_delay_alu instid0(VALU_DEP_2)
	v_add_co_ci_u32_e32 v164, vcc_lo, v155, v164, vcc_lo
	s_clause 0x1
	flat_load_b32 v157, v[163:164]
	flat_load_b32 v165, v[154:155] offset:76
	s_waitcnt vmcnt(1) lgkmcnt(1)
	flat_store_b32 v[154:155], v157 offset:76
	s_waitcnt vmcnt(0) lgkmcnt(1)
	flat_store_b32 v[163:164], v165
.LBB72_413:
	s_or_b32 exec_lo, exec_lo, s6
	v_mov_b32_e32 v164, v156
	v_mov_b32_e32 v163, v156
.LBB72_414:
	s_or_b32 exec_lo, exec_lo, s3
.LBB72_415:
	s_and_not1_saveexec_b32 s2, s2
	s_cbranch_execz .LBB72_417
; %bb.416:
	v_mov_b32_e32 v164, 19
	ds_store_2addr_b64 v158, v[72:73], v[74:75] offset0:40 offset1:41
	ds_store_2addr_b64 v158, v[68:69], v[70:71] offset0:42 offset1:43
	;; [unrolled: 1-line block ×17, first 2 shown]
.LBB72_417:
	s_or_b32 exec_lo, exec_lo, s2
	s_delay_alu instid0(SALU_CYCLE_1)
	s_mov_b32 s2, exec_lo
	s_waitcnt lgkmcnt(0)
	s_waitcnt_vscnt null, 0x0
	s_barrier
	buffer_gl0_inv
	v_cmpx_lt_i32_e32 19, v164
	s_cbranch_execz .LBB72_419
; %bb.418:
	v_mul_f64 v[156:157], v[150:151], v[78:79]
	v_mul_f64 v[78:79], v[148:149], v[78:79]
	s_delay_alu instid0(VALU_DEP_2) | instskip(NEXT) | instid1(VALU_DEP_2)
	v_fma_f64 v[156:157], v[148:149], v[76:77], -v[156:157]
	v_fma_f64 v[78:79], v[150:151], v[76:77], v[78:79]
	ds_load_2addr_b64 v[148:151], v158 offset0:40 offset1:41
	s_waitcnt lgkmcnt(0)
	v_mul_f64 v[76:77], v[150:151], v[78:79]
	s_delay_alu instid0(VALU_DEP_1) | instskip(SKIP_1) | instid1(VALU_DEP_2)
	v_fma_f64 v[76:77], v[148:149], v[156:157], -v[76:77]
	v_mul_f64 v[148:149], v[148:149], v[78:79]
	v_add_f64 v[72:73], v[72:73], -v[76:77]
	s_delay_alu instid0(VALU_DEP_2) | instskip(NEXT) | instid1(VALU_DEP_1)
	v_fma_f64 v[148:149], v[150:151], v[156:157], v[148:149]
	v_add_f64 v[74:75], v[74:75], -v[148:149]
	ds_load_2addr_b64 v[148:151], v158 offset0:42 offset1:43
	s_waitcnt lgkmcnt(0)
	v_mul_f64 v[76:77], v[150:151], v[78:79]
	s_delay_alu instid0(VALU_DEP_1) | instskip(SKIP_1) | instid1(VALU_DEP_2)
	v_fma_f64 v[76:77], v[148:149], v[156:157], -v[76:77]
	v_mul_f64 v[148:149], v[148:149], v[78:79]
	v_add_f64 v[68:69], v[68:69], -v[76:77]
	s_delay_alu instid0(VALU_DEP_2) | instskip(NEXT) | instid1(VALU_DEP_1)
	v_fma_f64 v[148:149], v[150:151], v[156:157], v[148:149]
	v_add_f64 v[70:71], v[70:71], -v[148:149]
	;; [unrolled: 10-line block ×16, first 2 shown]
	ds_load_2addr_b64 v[148:151], v158 offset0:72 offset1:73
	s_waitcnt lgkmcnt(0)
	v_mul_f64 v[76:77], v[150:151], v[78:79]
	s_delay_alu instid0(VALU_DEP_1) | instskip(SKIP_1) | instid1(VALU_DEP_2)
	v_fma_f64 v[76:77], v[148:149], v[156:157], -v[76:77]
	v_mul_f64 v[148:149], v[148:149], v[78:79]
	v_add_f64 v[0:1], v[0:1], -v[76:77]
	s_delay_alu instid0(VALU_DEP_2) | instskip(SKIP_1) | instid1(VALU_DEP_2)
	v_fma_f64 v[148:149], v[150:151], v[156:157], v[148:149]
	v_dual_mov_b32 v76, v156 :: v_dual_mov_b32 v77, v157
	v_add_f64 v[2:3], v[2:3], -v[148:149]
.LBB72_419:
	s_or_b32 exec_lo, exec_lo, s2
	v_lshl_add_u32 v148, v164, 4, v158
	s_barrier
	buffer_gl0_inv
	v_mov_b32_e32 v156, 20
	ds_store_2addr_b64 v148, v[72:73], v[74:75] offset1:1
	s_waitcnt lgkmcnt(0)
	s_barrier
	buffer_gl0_inv
	ds_load_2addr_b64 v[148:151], v158 offset0:40 offset1:41
	s_cmp_lt_i32 s5, 22
	s_cbranch_scc1 .LBB72_422
; %bb.420:
	v_add3_u32 v157, v162, 0, 0x150
	v_mov_b32_e32 v156, 20
	s_mov_b32 s6, 21
	s_set_inst_prefetch_distance 0x1
	.p2align	6
.LBB72_421:                             ; =>This Inner Loop Header: Depth=1
	ds_load_2addr_b64 v[165:168], v157 offset1:1
	s_waitcnt lgkmcnt(1)
	v_cmp_gt_f64_e32 vcc_lo, 0, v[148:149]
	v_xor_b32_e32 v169, 0x80000000, v149
	v_cmp_gt_f64_e64 s2, 0, v[150:151]
	v_xor_b32_e32 v171, 0x80000000, v151
	v_add_nc_u32_e32 v157, 16, v157
	s_waitcnt lgkmcnt(0)
	v_cmp_gt_f64_e64 s3, 0, v[165:166]
	v_mov_b32_e32 v173, v165
	v_dual_mov_b32 v175, v167 :: v_dual_cndmask_b32 v170, v149, v169
	v_xor_b32_e32 v169, 0x80000000, v166
	v_cndmask_b32_e64 v172, v151, v171, s2
	v_xor_b32_e32 v171, 0x80000000, v168
	s_delay_alu instid0(VALU_DEP_3) | instskip(SKIP_2) | instid1(VALU_DEP_2)
	v_cndmask_b32_e64 v174, v166, v169, s3
	v_cmp_gt_f64_e64 s3, 0, v[167:168]
	v_cndmask_b32_e32 v169, v148, v148, vcc_lo
	v_cndmask_b32_e64 v176, v168, v171, s3
	v_cndmask_b32_e64 v171, v150, v150, s2
	s_delay_alu instid0(VALU_DEP_2) | instskip(NEXT) | instid1(VALU_DEP_2)
	v_add_f64 v[173:174], v[173:174], v[175:176]
	v_add_f64 v[169:170], v[169:170], v[171:172]
	s_delay_alu instid0(VALU_DEP_1) | instskip(SKIP_4) | instid1(SALU_CYCLE_1)
	v_cmp_lt_f64_e32 vcc_lo, v[169:170], v[173:174]
	v_dual_cndmask_b32 v150, v150, v167 :: v_dual_cndmask_b32 v149, v149, v166
	v_dual_cndmask_b32 v148, v148, v165 :: v_dual_cndmask_b32 v151, v151, v168
	v_cndmask_b32_e64 v156, v156, s6, vcc_lo
	s_add_i32 s6, s6, 1
	s_cmp_lg_u32 s5, s6
	s_cbranch_scc1 .LBB72_421
.LBB72_422:
	s_set_inst_prefetch_distance 0x2
	s_waitcnt lgkmcnt(0)
	v_cmp_eq_f64_e32 vcc_lo, 0, v[148:149]
	v_cmp_eq_f64_e64 s2, 0, v[150:151]
	s_delay_alu instid0(VALU_DEP_1) | instskip(NEXT) | instid1(SALU_CYCLE_1)
	s_and_b32 s2, vcc_lo, s2
	s_and_saveexec_b32 s3, s2
	s_delay_alu instid0(SALU_CYCLE_1)
	s_xor_b32 s2, exec_lo, s3
; %bb.423:
	v_cmp_ne_u32_e32 vcc_lo, 0, v161
	v_cndmask_b32_e32 v161, 21, v161, vcc_lo
; %bb.424:
	s_and_not1_saveexec_b32 s3, s2
	s_cbranch_execz .LBB72_430
; %bb.425:
	v_cmp_gt_f64_e32 vcc_lo, 0, v[148:149]
	v_cmp_gt_f64_e64 s2, 0, v[150:151]
	v_xor_b32_e32 v157, 0x80000000, v149
	v_xor_b32_e32 v165, 0x80000000, v151
	s_delay_alu instid0(VALU_DEP_2) | instskip(NEXT) | instid1(VALU_DEP_2)
	v_cndmask_b32_e32 v166, v149, v157, vcc_lo
	v_cndmask_b32_e64 v168, v151, v165, s2
	v_cndmask_b32_e32 v165, v148, v148, vcc_lo
	v_cndmask_b32_e64 v167, v150, v150, s2
	s_mov_b32 s2, exec_lo
	s_delay_alu instid0(VALU_DEP_1)
	v_cmpx_ngt_f64_e32 v[165:166], v[167:168]
	s_xor_b32 s2, exec_lo, s2
	s_cbranch_execz .LBB72_427
; %bb.426:
	v_div_scale_f64 v[165:166], null, v[150:151], v[150:151], v[148:149]
	v_div_scale_f64 v[171:172], vcc_lo, v[148:149], v[150:151], v[148:149]
	s_delay_alu instid0(VALU_DEP_2) | instskip(SKIP_2) | instid1(VALU_DEP_1)
	v_rcp_f64_e32 v[167:168], v[165:166]
	s_waitcnt_depctr 0xfff
	v_fma_f64 v[169:170], -v[165:166], v[167:168], 1.0
	v_fma_f64 v[167:168], v[167:168], v[169:170], v[167:168]
	s_delay_alu instid0(VALU_DEP_1) | instskip(NEXT) | instid1(VALU_DEP_1)
	v_fma_f64 v[169:170], -v[165:166], v[167:168], 1.0
	v_fma_f64 v[167:168], v[167:168], v[169:170], v[167:168]
	s_delay_alu instid0(VALU_DEP_1) | instskip(NEXT) | instid1(VALU_DEP_1)
	v_mul_f64 v[169:170], v[171:172], v[167:168]
	v_fma_f64 v[165:166], -v[165:166], v[169:170], v[171:172]
	s_delay_alu instid0(VALU_DEP_1) | instskip(NEXT) | instid1(VALU_DEP_1)
	v_div_fmas_f64 v[165:166], v[165:166], v[167:168], v[169:170]
	v_div_fixup_f64 v[165:166], v[165:166], v[150:151], v[148:149]
	s_delay_alu instid0(VALU_DEP_1) | instskip(NEXT) | instid1(VALU_DEP_1)
	v_fma_f64 v[148:149], v[148:149], v[165:166], v[150:151]
	v_div_scale_f64 v[150:151], null, v[148:149], v[148:149], 1.0
	s_delay_alu instid0(VALU_DEP_1) | instskip(SKIP_2) | instid1(VALU_DEP_1)
	v_rcp_f64_e32 v[167:168], v[150:151]
	s_waitcnt_depctr 0xfff
	v_fma_f64 v[169:170], -v[150:151], v[167:168], 1.0
	v_fma_f64 v[167:168], v[167:168], v[169:170], v[167:168]
	s_delay_alu instid0(VALU_DEP_1) | instskip(NEXT) | instid1(VALU_DEP_1)
	v_fma_f64 v[169:170], -v[150:151], v[167:168], 1.0
	v_fma_f64 v[167:168], v[167:168], v[169:170], v[167:168]
	v_div_scale_f64 v[169:170], vcc_lo, 1.0, v[148:149], 1.0
	s_delay_alu instid0(VALU_DEP_1) | instskip(NEXT) | instid1(VALU_DEP_1)
	v_mul_f64 v[171:172], v[169:170], v[167:168]
	v_fma_f64 v[150:151], -v[150:151], v[171:172], v[169:170]
	s_delay_alu instid0(VALU_DEP_1) | instskip(NEXT) | instid1(VALU_DEP_1)
	v_div_fmas_f64 v[150:151], v[150:151], v[167:168], v[171:172]
	v_div_fixup_f64 v[150:151], v[150:151], v[148:149], 1.0
	s_delay_alu instid0(VALU_DEP_1)
	v_mul_f64 v[148:149], v[165:166], v[150:151]
	v_xor_b32_e32 v151, 0x80000000, v151
.LBB72_427:
	s_and_not1_saveexec_b32 s2, s2
	s_cbranch_execz .LBB72_429
; %bb.428:
	s_delay_alu instid0(VALU_DEP_1) | instskip(SKIP_1) | instid1(VALU_DEP_2)
	v_div_scale_f64 v[165:166], null, v[148:149], v[148:149], v[150:151]
	v_div_scale_f64 v[171:172], vcc_lo, v[150:151], v[148:149], v[150:151]
	v_rcp_f64_e32 v[167:168], v[165:166]
	s_waitcnt_depctr 0xfff
	v_fma_f64 v[169:170], -v[165:166], v[167:168], 1.0
	s_delay_alu instid0(VALU_DEP_1) | instskip(NEXT) | instid1(VALU_DEP_1)
	v_fma_f64 v[167:168], v[167:168], v[169:170], v[167:168]
	v_fma_f64 v[169:170], -v[165:166], v[167:168], 1.0
	s_delay_alu instid0(VALU_DEP_1) | instskip(NEXT) | instid1(VALU_DEP_1)
	v_fma_f64 v[167:168], v[167:168], v[169:170], v[167:168]
	v_mul_f64 v[169:170], v[171:172], v[167:168]
	s_delay_alu instid0(VALU_DEP_1) | instskip(NEXT) | instid1(VALU_DEP_1)
	v_fma_f64 v[165:166], -v[165:166], v[169:170], v[171:172]
	v_div_fmas_f64 v[165:166], v[165:166], v[167:168], v[169:170]
	s_delay_alu instid0(VALU_DEP_1) | instskip(NEXT) | instid1(VALU_DEP_1)
	v_div_fixup_f64 v[165:166], v[165:166], v[148:149], v[150:151]
	v_fma_f64 v[148:149], v[150:151], v[165:166], v[148:149]
	s_delay_alu instid0(VALU_DEP_1) | instskip(NEXT) | instid1(VALU_DEP_1)
	v_div_scale_f64 v[150:151], null, v[148:149], v[148:149], 1.0
	v_rcp_f64_e32 v[167:168], v[150:151]
	s_waitcnt_depctr 0xfff
	v_fma_f64 v[169:170], -v[150:151], v[167:168], 1.0
	s_delay_alu instid0(VALU_DEP_1) | instskip(NEXT) | instid1(VALU_DEP_1)
	v_fma_f64 v[167:168], v[167:168], v[169:170], v[167:168]
	v_fma_f64 v[169:170], -v[150:151], v[167:168], 1.0
	s_delay_alu instid0(VALU_DEP_1) | instskip(SKIP_1) | instid1(VALU_DEP_1)
	v_fma_f64 v[167:168], v[167:168], v[169:170], v[167:168]
	v_div_scale_f64 v[169:170], vcc_lo, 1.0, v[148:149], 1.0
	v_mul_f64 v[171:172], v[169:170], v[167:168]
	s_delay_alu instid0(VALU_DEP_1) | instskip(NEXT) | instid1(VALU_DEP_1)
	v_fma_f64 v[150:151], -v[150:151], v[171:172], v[169:170]
	v_div_fmas_f64 v[150:151], v[150:151], v[167:168], v[171:172]
	s_delay_alu instid0(VALU_DEP_1) | instskip(NEXT) | instid1(VALU_DEP_1)
	v_div_fixup_f64 v[148:149], v[150:151], v[148:149], 1.0
	v_mul_f64 v[150:151], v[165:166], -v[148:149]
.LBB72_429:
	s_or_b32 exec_lo, exec_lo, s2
.LBB72_430:
	s_delay_alu instid0(SALU_CYCLE_1) | instskip(NEXT) | instid1(SALU_CYCLE_1)
	s_or_b32 exec_lo, exec_lo, s3
	s_mov_b32 s2, exec_lo
	v_cmpx_ne_u32_e64 v164, v156
	s_xor_b32 s2, exec_lo, s2
	s_cbranch_execz .LBB72_436
; %bb.431:
	s_mov_b32 s3, exec_lo
	v_cmpx_eq_u32_e32 20, v164
	s_cbranch_execz .LBB72_435
; %bb.432:
	v_cmp_ne_u32_e32 vcc_lo, 20, v156
	s_xor_b32 s6, s4, -1
	s_delay_alu instid0(SALU_CYCLE_1) | instskip(NEXT) | instid1(SALU_CYCLE_1)
	s_and_b32 s7, s6, vcc_lo
	s_and_saveexec_b32 s6, s7
	s_cbranch_execz .LBB72_434
; %bb.433:
	v_ashrrev_i32_e32 v157, 31, v156
	s_delay_alu instid0(VALU_DEP_1) | instskip(NEXT) | instid1(VALU_DEP_1)
	v_lshlrev_b64 v[163:164], 2, v[156:157]
	v_add_co_u32 v163, vcc_lo, v154, v163
	s_delay_alu instid0(VALU_DEP_2)
	v_add_co_ci_u32_e32 v164, vcc_lo, v155, v164, vcc_lo
	s_clause 0x1
	flat_load_b32 v157, v[163:164]
	flat_load_b32 v165, v[154:155] offset:80
	s_waitcnt vmcnt(1) lgkmcnt(1)
	flat_store_b32 v[154:155], v157 offset:80
	s_waitcnt vmcnt(0) lgkmcnt(1)
	flat_store_b32 v[163:164], v165
.LBB72_434:
	s_or_b32 exec_lo, exec_lo, s6
	v_mov_b32_e32 v164, v156
	v_mov_b32_e32 v163, v156
.LBB72_435:
	s_or_b32 exec_lo, exec_lo, s3
.LBB72_436:
	s_and_not1_saveexec_b32 s2, s2
	s_cbranch_execz .LBB72_438
; %bb.437:
	v_mov_b32_e32 v164, 20
	ds_store_2addr_b64 v158, v[68:69], v[70:71] offset0:42 offset1:43
	ds_store_2addr_b64 v158, v[64:65], v[66:67] offset0:44 offset1:45
	;; [unrolled: 1-line block ×16, first 2 shown]
.LBB72_438:
	s_or_b32 exec_lo, exec_lo, s2
	s_delay_alu instid0(SALU_CYCLE_1)
	s_mov_b32 s2, exec_lo
	s_waitcnt lgkmcnt(0)
	s_waitcnt_vscnt null, 0x0
	s_barrier
	buffer_gl0_inv
	v_cmpx_lt_i32_e32 20, v164
	s_cbranch_execz .LBB72_440
; %bb.439:
	v_mul_f64 v[156:157], v[148:149], v[74:75]
	v_mul_f64 v[74:75], v[150:151], v[74:75]
	s_delay_alu instid0(VALU_DEP_2) | instskip(NEXT) | instid1(VALU_DEP_2)
	v_fma_f64 v[156:157], v[150:151], v[72:73], v[156:157]
	v_fma_f64 v[72:73], v[148:149], v[72:73], -v[74:75]
	ds_load_2addr_b64 v[148:151], v158 offset0:42 offset1:43
	s_waitcnt lgkmcnt(0)
	v_mul_f64 v[74:75], v[150:151], v[156:157]
	s_delay_alu instid0(VALU_DEP_1) | instskip(SKIP_1) | instid1(VALU_DEP_2)
	v_fma_f64 v[74:75], v[148:149], v[72:73], -v[74:75]
	v_mul_f64 v[148:149], v[148:149], v[156:157]
	v_add_f64 v[68:69], v[68:69], -v[74:75]
	s_delay_alu instid0(VALU_DEP_2) | instskip(NEXT) | instid1(VALU_DEP_1)
	v_fma_f64 v[148:149], v[150:151], v[72:73], v[148:149]
	v_add_f64 v[70:71], v[70:71], -v[148:149]
	ds_load_2addr_b64 v[148:151], v158 offset0:44 offset1:45
	s_waitcnt lgkmcnt(0)
	v_mul_f64 v[74:75], v[150:151], v[156:157]
	s_delay_alu instid0(VALU_DEP_1) | instskip(SKIP_1) | instid1(VALU_DEP_2)
	v_fma_f64 v[74:75], v[148:149], v[72:73], -v[74:75]
	v_mul_f64 v[148:149], v[148:149], v[156:157]
	v_add_f64 v[64:65], v[64:65], -v[74:75]
	s_delay_alu instid0(VALU_DEP_2) | instskip(NEXT) | instid1(VALU_DEP_1)
	v_fma_f64 v[148:149], v[150:151], v[72:73], v[148:149]
	v_add_f64 v[66:67], v[66:67], -v[148:149]
	;; [unrolled: 10-line block ×15, first 2 shown]
	ds_load_2addr_b64 v[148:151], v158 offset0:72 offset1:73
	s_waitcnt lgkmcnt(0)
	v_mul_f64 v[74:75], v[150:151], v[156:157]
	s_delay_alu instid0(VALU_DEP_1) | instskip(SKIP_1) | instid1(VALU_DEP_2)
	v_fma_f64 v[74:75], v[148:149], v[72:73], -v[74:75]
	v_mul_f64 v[148:149], v[148:149], v[156:157]
	v_add_f64 v[0:1], v[0:1], -v[74:75]
	s_delay_alu instid0(VALU_DEP_2) | instskip(SKIP_1) | instid1(VALU_DEP_2)
	v_fma_f64 v[148:149], v[150:151], v[72:73], v[148:149]
	v_dual_mov_b32 v74, v156 :: v_dual_mov_b32 v75, v157
	v_add_f64 v[2:3], v[2:3], -v[148:149]
.LBB72_440:
	s_or_b32 exec_lo, exec_lo, s2
	v_lshl_add_u32 v148, v164, 4, v158
	s_barrier
	buffer_gl0_inv
	v_mov_b32_e32 v156, 21
	ds_store_2addr_b64 v148, v[68:69], v[70:71] offset1:1
	s_waitcnt lgkmcnt(0)
	s_barrier
	buffer_gl0_inv
	ds_load_2addr_b64 v[148:151], v158 offset0:42 offset1:43
	s_cmp_lt_i32 s5, 23
	s_cbranch_scc1 .LBB72_443
; %bb.441:
	v_add3_u32 v157, v162, 0, 0x160
	v_mov_b32_e32 v156, 21
	s_mov_b32 s6, 22
	s_set_inst_prefetch_distance 0x1
	.p2align	6
.LBB72_442:                             ; =>This Inner Loop Header: Depth=1
	ds_load_2addr_b64 v[165:168], v157 offset1:1
	s_waitcnt lgkmcnt(1)
	v_cmp_gt_f64_e32 vcc_lo, 0, v[148:149]
	v_xor_b32_e32 v169, 0x80000000, v149
	v_cmp_gt_f64_e64 s2, 0, v[150:151]
	v_xor_b32_e32 v171, 0x80000000, v151
	v_add_nc_u32_e32 v157, 16, v157
	s_waitcnt lgkmcnt(0)
	v_cmp_gt_f64_e64 s3, 0, v[165:166]
	v_mov_b32_e32 v173, v165
	v_dual_mov_b32 v175, v167 :: v_dual_cndmask_b32 v170, v149, v169
	v_xor_b32_e32 v169, 0x80000000, v166
	v_cndmask_b32_e64 v172, v151, v171, s2
	v_xor_b32_e32 v171, 0x80000000, v168
	s_delay_alu instid0(VALU_DEP_3) | instskip(SKIP_2) | instid1(VALU_DEP_2)
	v_cndmask_b32_e64 v174, v166, v169, s3
	v_cmp_gt_f64_e64 s3, 0, v[167:168]
	v_cndmask_b32_e32 v169, v148, v148, vcc_lo
	v_cndmask_b32_e64 v176, v168, v171, s3
	v_cndmask_b32_e64 v171, v150, v150, s2
	s_delay_alu instid0(VALU_DEP_2) | instskip(NEXT) | instid1(VALU_DEP_2)
	v_add_f64 v[173:174], v[173:174], v[175:176]
	v_add_f64 v[169:170], v[169:170], v[171:172]
	s_delay_alu instid0(VALU_DEP_1) | instskip(SKIP_4) | instid1(SALU_CYCLE_1)
	v_cmp_lt_f64_e32 vcc_lo, v[169:170], v[173:174]
	v_dual_cndmask_b32 v150, v150, v167 :: v_dual_cndmask_b32 v149, v149, v166
	v_dual_cndmask_b32 v148, v148, v165 :: v_dual_cndmask_b32 v151, v151, v168
	v_cndmask_b32_e64 v156, v156, s6, vcc_lo
	s_add_i32 s6, s6, 1
	s_cmp_lg_u32 s5, s6
	s_cbranch_scc1 .LBB72_442
.LBB72_443:
	s_set_inst_prefetch_distance 0x2
	s_waitcnt lgkmcnt(0)
	v_cmp_eq_f64_e32 vcc_lo, 0, v[148:149]
	v_cmp_eq_f64_e64 s2, 0, v[150:151]
	s_delay_alu instid0(VALU_DEP_1) | instskip(NEXT) | instid1(SALU_CYCLE_1)
	s_and_b32 s2, vcc_lo, s2
	s_and_saveexec_b32 s3, s2
	s_delay_alu instid0(SALU_CYCLE_1)
	s_xor_b32 s2, exec_lo, s3
; %bb.444:
	v_cmp_ne_u32_e32 vcc_lo, 0, v161
	v_cndmask_b32_e32 v161, 22, v161, vcc_lo
; %bb.445:
	s_and_not1_saveexec_b32 s3, s2
	s_cbranch_execz .LBB72_451
; %bb.446:
	v_cmp_gt_f64_e32 vcc_lo, 0, v[148:149]
	v_cmp_gt_f64_e64 s2, 0, v[150:151]
	v_xor_b32_e32 v157, 0x80000000, v149
	v_xor_b32_e32 v165, 0x80000000, v151
	s_delay_alu instid0(VALU_DEP_2) | instskip(NEXT) | instid1(VALU_DEP_2)
	v_cndmask_b32_e32 v166, v149, v157, vcc_lo
	v_cndmask_b32_e64 v168, v151, v165, s2
	v_cndmask_b32_e32 v165, v148, v148, vcc_lo
	v_cndmask_b32_e64 v167, v150, v150, s2
	s_mov_b32 s2, exec_lo
	s_delay_alu instid0(VALU_DEP_1)
	v_cmpx_ngt_f64_e32 v[165:166], v[167:168]
	s_xor_b32 s2, exec_lo, s2
	s_cbranch_execz .LBB72_448
; %bb.447:
	v_div_scale_f64 v[165:166], null, v[150:151], v[150:151], v[148:149]
	v_div_scale_f64 v[171:172], vcc_lo, v[148:149], v[150:151], v[148:149]
	s_delay_alu instid0(VALU_DEP_2) | instskip(SKIP_2) | instid1(VALU_DEP_1)
	v_rcp_f64_e32 v[167:168], v[165:166]
	s_waitcnt_depctr 0xfff
	v_fma_f64 v[169:170], -v[165:166], v[167:168], 1.0
	v_fma_f64 v[167:168], v[167:168], v[169:170], v[167:168]
	s_delay_alu instid0(VALU_DEP_1) | instskip(NEXT) | instid1(VALU_DEP_1)
	v_fma_f64 v[169:170], -v[165:166], v[167:168], 1.0
	v_fma_f64 v[167:168], v[167:168], v[169:170], v[167:168]
	s_delay_alu instid0(VALU_DEP_1) | instskip(NEXT) | instid1(VALU_DEP_1)
	v_mul_f64 v[169:170], v[171:172], v[167:168]
	v_fma_f64 v[165:166], -v[165:166], v[169:170], v[171:172]
	s_delay_alu instid0(VALU_DEP_1) | instskip(NEXT) | instid1(VALU_DEP_1)
	v_div_fmas_f64 v[165:166], v[165:166], v[167:168], v[169:170]
	v_div_fixup_f64 v[165:166], v[165:166], v[150:151], v[148:149]
	s_delay_alu instid0(VALU_DEP_1) | instskip(NEXT) | instid1(VALU_DEP_1)
	v_fma_f64 v[148:149], v[148:149], v[165:166], v[150:151]
	v_div_scale_f64 v[150:151], null, v[148:149], v[148:149], 1.0
	s_delay_alu instid0(VALU_DEP_1) | instskip(SKIP_2) | instid1(VALU_DEP_1)
	v_rcp_f64_e32 v[167:168], v[150:151]
	s_waitcnt_depctr 0xfff
	v_fma_f64 v[169:170], -v[150:151], v[167:168], 1.0
	v_fma_f64 v[167:168], v[167:168], v[169:170], v[167:168]
	s_delay_alu instid0(VALU_DEP_1) | instskip(NEXT) | instid1(VALU_DEP_1)
	v_fma_f64 v[169:170], -v[150:151], v[167:168], 1.0
	v_fma_f64 v[167:168], v[167:168], v[169:170], v[167:168]
	v_div_scale_f64 v[169:170], vcc_lo, 1.0, v[148:149], 1.0
	s_delay_alu instid0(VALU_DEP_1) | instskip(NEXT) | instid1(VALU_DEP_1)
	v_mul_f64 v[171:172], v[169:170], v[167:168]
	v_fma_f64 v[150:151], -v[150:151], v[171:172], v[169:170]
	s_delay_alu instid0(VALU_DEP_1) | instskip(NEXT) | instid1(VALU_DEP_1)
	v_div_fmas_f64 v[150:151], v[150:151], v[167:168], v[171:172]
	v_div_fixup_f64 v[150:151], v[150:151], v[148:149], 1.0
	s_delay_alu instid0(VALU_DEP_1)
	v_mul_f64 v[148:149], v[165:166], v[150:151]
	v_xor_b32_e32 v151, 0x80000000, v151
.LBB72_448:
	s_and_not1_saveexec_b32 s2, s2
	s_cbranch_execz .LBB72_450
; %bb.449:
	s_delay_alu instid0(VALU_DEP_1) | instskip(SKIP_1) | instid1(VALU_DEP_2)
	v_div_scale_f64 v[165:166], null, v[148:149], v[148:149], v[150:151]
	v_div_scale_f64 v[171:172], vcc_lo, v[150:151], v[148:149], v[150:151]
	v_rcp_f64_e32 v[167:168], v[165:166]
	s_waitcnt_depctr 0xfff
	v_fma_f64 v[169:170], -v[165:166], v[167:168], 1.0
	s_delay_alu instid0(VALU_DEP_1) | instskip(NEXT) | instid1(VALU_DEP_1)
	v_fma_f64 v[167:168], v[167:168], v[169:170], v[167:168]
	v_fma_f64 v[169:170], -v[165:166], v[167:168], 1.0
	s_delay_alu instid0(VALU_DEP_1) | instskip(NEXT) | instid1(VALU_DEP_1)
	v_fma_f64 v[167:168], v[167:168], v[169:170], v[167:168]
	v_mul_f64 v[169:170], v[171:172], v[167:168]
	s_delay_alu instid0(VALU_DEP_1) | instskip(NEXT) | instid1(VALU_DEP_1)
	v_fma_f64 v[165:166], -v[165:166], v[169:170], v[171:172]
	v_div_fmas_f64 v[165:166], v[165:166], v[167:168], v[169:170]
	s_delay_alu instid0(VALU_DEP_1) | instskip(NEXT) | instid1(VALU_DEP_1)
	v_div_fixup_f64 v[165:166], v[165:166], v[148:149], v[150:151]
	v_fma_f64 v[148:149], v[150:151], v[165:166], v[148:149]
	s_delay_alu instid0(VALU_DEP_1) | instskip(NEXT) | instid1(VALU_DEP_1)
	v_div_scale_f64 v[150:151], null, v[148:149], v[148:149], 1.0
	v_rcp_f64_e32 v[167:168], v[150:151]
	s_waitcnt_depctr 0xfff
	v_fma_f64 v[169:170], -v[150:151], v[167:168], 1.0
	s_delay_alu instid0(VALU_DEP_1) | instskip(NEXT) | instid1(VALU_DEP_1)
	v_fma_f64 v[167:168], v[167:168], v[169:170], v[167:168]
	v_fma_f64 v[169:170], -v[150:151], v[167:168], 1.0
	s_delay_alu instid0(VALU_DEP_1) | instskip(SKIP_1) | instid1(VALU_DEP_1)
	v_fma_f64 v[167:168], v[167:168], v[169:170], v[167:168]
	v_div_scale_f64 v[169:170], vcc_lo, 1.0, v[148:149], 1.0
	v_mul_f64 v[171:172], v[169:170], v[167:168]
	s_delay_alu instid0(VALU_DEP_1) | instskip(NEXT) | instid1(VALU_DEP_1)
	v_fma_f64 v[150:151], -v[150:151], v[171:172], v[169:170]
	v_div_fmas_f64 v[150:151], v[150:151], v[167:168], v[171:172]
	s_delay_alu instid0(VALU_DEP_1) | instskip(NEXT) | instid1(VALU_DEP_1)
	v_div_fixup_f64 v[148:149], v[150:151], v[148:149], 1.0
	v_mul_f64 v[150:151], v[165:166], -v[148:149]
.LBB72_450:
	s_or_b32 exec_lo, exec_lo, s2
.LBB72_451:
	s_delay_alu instid0(SALU_CYCLE_1) | instskip(NEXT) | instid1(SALU_CYCLE_1)
	s_or_b32 exec_lo, exec_lo, s3
	s_mov_b32 s2, exec_lo
	v_cmpx_ne_u32_e64 v164, v156
	s_xor_b32 s2, exec_lo, s2
	s_cbranch_execz .LBB72_457
; %bb.452:
	s_mov_b32 s3, exec_lo
	v_cmpx_eq_u32_e32 21, v164
	s_cbranch_execz .LBB72_456
; %bb.453:
	v_cmp_ne_u32_e32 vcc_lo, 21, v156
	s_xor_b32 s6, s4, -1
	s_delay_alu instid0(SALU_CYCLE_1) | instskip(NEXT) | instid1(SALU_CYCLE_1)
	s_and_b32 s7, s6, vcc_lo
	s_and_saveexec_b32 s6, s7
	s_cbranch_execz .LBB72_455
; %bb.454:
	v_ashrrev_i32_e32 v157, 31, v156
	s_delay_alu instid0(VALU_DEP_1) | instskip(NEXT) | instid1(VALU_DEP_1)
	v_lshlrev_b64 v[163:164], 2, v[156:157]
	v_add_co_u32 v163, vcc_lo, v154, v163
	s_delay_alu instid0(VALU_DEP_2)
	v_add_co_ci_u32_e32 v164, vcc_lo, v155, v164, vcc_lo
	s_clause 0x1
	flat_load_b32 v157, v[163:164]
	flat_load_b32 v165, v[154:155] offset:84
	s_waitcnt vmcnt(1) lgkmcnt(1)
	flat_store_b32 v[154:155], v157 offset:84
	s_waitcnt vmcnt(0) lgkmcnt(1)
	flat_store_b32 v[163:164], v165
.LBB72_455:
	s_or_b32 exec_lo, exec_lo, s6
	v_mov_b32_e32 v164, v156
	v_mov_b32_e32 v163, v156
.LBB72_456:
	s_or_b32 exec_lo, exec_lo, s3
.LBB72_457:
	s_and_not1_saveexec_b32 s2, s2
	s_cbranch_execz .LBB72_459
; %bb.458:
	v_mov_b32_e32 v164, 21
	ds_store_2addr_b64 v158, v[64:65], v[66:67] offset0:44 offset1:45
	ds_store_2addr_b64 v158, v[60:61], v[62:63] offset0:46 offset1:47
	;; [unrolled: 1-line block ×15, first 2 shown]
.LBB72_459:
	s_or_b32 exec_lo, exec_lo, s2
	s_delay_alu instid0(SALU_CYCLE_1)
	s_mov_b32 s2, exec_lo
	s_waitcnt lgkmcnt(0)
	s_waitcnt_vscnt null, 0x0
	s_barrier
	buffer_gl0_inv
	v_cmpx_lt_i32_e32 21, v164
	s_cbranch_execz .LBB72_461
; %bb.460:
	v_mul_f64 v[156:157], v[148:149], v[70:71]
	v_mul_f64 v[70:71], v[150:151], v[70:71]
	s_delay_alu instid0(VALU_DEP_2) | instskip(NEXT) | instid1(VALU_DEP_2)
	v_fma_f64 v[156:157], v[150:151], v[68:69], v[156:157]
	v_fma_f64 v[68:69], v[148:149], v[68:69], -v[70:71]
	ds_load_2addr_b64 v[148:151], v158 offset0:44 offset1:45
	s_waitcnt lgkmcnt(0)
	v_mul_f64 v[70:71], v[150:151], v[156:157]
	s_delay_alu instid0(VALU_DEP_1) | instskip(SKIP_1) | instid1(VALU_DEP_2)
	v_fma_f64 v[70:71], v[148:149], v[68:69], -v[70:71]
	v_mul_f64 v[148:149], v[148:149], v[156:157]
	v_add_f64 v[64:65], v[64:65], -v[70:71]
	s_delay_alu instid0(VALU_DEP_2) | instskip(NEXT) | instid1(VALU_DEP_1)
	v_fma_f64 v[148:149], v[150:151], v[68:69], v[148:149]
	v_add_f64 v[66:67], v[66:67], -v[148:149]
	ds_load_2addr_b64 v[148:151], v158 offset0:46 offset1:47
	s_waitcnt lgkmcnt(0)
	v_mul_f64 v[70:71], v[150:151], v[156:157]
	s_delay_alu instid0(VALU_DEP_1) | instskip(SKIP_1) | instid1(VALU_DEP_2)
	v_fma_f64 v[70:71], v[148:149], v[68:69], -v[70:71]
	v_mul_f64 v[148:149], v[148:149], v[156:157]
	v_add_f64 v[60:61], v[60:61], -v[70:71]
	s_delay_alu instid0(VALU_DEP_2) | instskip(NEXT) | instid1(VALU_DEP_1)
	v_fma_f64 v[148:149], v[150:151], v[68:69], v[148:149]
	v_add_f64 v[62:63], v[62:63], -v[148:149]
	;; [unrolled: 10-line block ×14, first 2 shown]
	ds_load_2addr_b64 v[148:151], v158 offset0:72 offset1:73
	s_waitcnt lgkmcnt(0)
	v_mul_f64 v[70:71], v[150:151], v[156:157]
	s_delay_alu instid0(VALU_DEP_1) | instskip(SKIP_1) | instid1(VALU_DEP_2)
	v_fma_f64 v[70:71], v[148:149], v[68:69], -v[70:71]
	v_mul_f64 v[148:149], v[148:149], v[156:157]
	v_add_f64 v[0:1], v[0:1], -v[70:71]
	s_delay_alu instid0(VALU_DEP_2) | instskip(SKIP_1) | instid1(VALU_DEP_2)
	v_fma_f64 v[148:149], v[150:151], v[68:69], v[148:149]
	v_dual_mov_b32 v70, v156 :: v_dual_mov_b32 v71, v157
	v_add_f64 v[2:3], v[2:3], -v[148:149]
.LBB72_461:
	s_or_b32 exec_lo, exec_lo, s2
	v_lshl_add_u32 v148, v164, 4, v158
	s_barrier
	buffer_gl0_inv
	v_mov_b32_e32 v156, 22
	ds_store_2addr_b64 v148, v[64:65], v[66:67] offset1:1
	s_waitcnt lgkmcnt(0)
	s_barrier
	buffer_gl0_inv
	ds_load_2addr_b64 v[148:151], v158 offset0:44 offset1:45
	s_cmp_lt_i32 s5, 24
	s_cbranch_scc1 .LBB72_464
; %bb.462:
	v_add3_u32 v157, v162, 0, 0x170
	v_mov_b32_e32 v156, 22
	s_mov_b32 s6, 23
	s_set_inst_prefetch_distance 0x1
	.p2align	6
.LBB72_463:                             ; =>This Inner Loop Header: Depth=1
	ds_load_2addr_b64 v[165:168], v157 offset1:1
	s_waitcnt lgkmcnt(1)
	v_cmp_gt_f64_e32 vcc_lo, 0, v[148:149]
	v_xor_b32_e32 v169, 0x80000000, v149
	v_cmp_gt_f64_e64 s2, 0, v[150:151]
	v_xor_b32_e32 v171, 0x80000000, v151
	v_add_nc_u32_e32 v157, 16, v157
	s_waitcnt lgkmcnt(0)
	v_cmp_gt_f64_e64 s3, 0, v[165:166]
	v_mov_b32_e32 v173, v165
	v_dual_mov_b32 v175, v167 :: v_dual_cndmask_b32 v170, v149, v169
	v_xor_b32_e32 v169, 0x80000000, v166
	v_cndmask_b32_e64 v172, v151, v171, s2
	v_xor_b32_e32 v171, 0x80000000, v168
	s_delay_alu instid0(VALU_DEP_3) | instskip(SKIP_2) | instid1(VALU_DEP_2)
	v_cndmask_b32_e64 v174, v166, v169, s3
	v_cmp_gt_f64_e64 s3, 0, v[167:168]
	v_cndmask_b32_e32 v169, v148, v148, vcc_lo
	v_cndmask_b32_e64 v176, v168, v171, s3
	v_cndmask_b32_e64 v171, v150, v150, s2
	s_delay_alu instid0(VALU_DEP_2) | instskip(NEXT) | instid1(VALU_DEP_2)
	v_add_f64 v[173:174], v[173:174], v[175:176]
	v_add_f64 v[169:170], v[169:170], v[171:172]
	s_delay_alu instid0(VALU_DEP_1) | instskip(SKIP_4) | instid1(SALU_CYCLE_1)
	v_cmp_lt_f64_e32 vcc_lo, v[169:170], v[173:174]
	v_dual_cndmask_b32 v150, v150, v167 :: v_dual_cndmask_b32 v149, v149, v166
	v_dual_cndmask_b32 v148, v148, v165 :: v_dual_cndmask_b32 v151, v151, v168
	v_cndmask_b32_e64 v156, v156, s6, vcc_lo
	s_add_i32 s6, s6, 1
	s_cmp_lg_u32 s5, s6
	s_cbranch_scc1 .LBB72_463
.LBB72_464:
	s_set_inst_prefetch_distance 0x2
	s_waitcnt lgkmcnt(0)
	v_cmp_eq_f64_e32 vcc_lo, 0, v[148:149]
	v_cmp_eq_f64_e64 s2, 0, v[150:151]
	s_delay_alu instid0(VALU_DEP_1) | instskip(NEXT) | instid1(SALU_CYCLE_1)
	s_and_b32 s2, vcc_lo, s2
	s_and_saveexec_b32 s3, s2
	s_delay_alu instid0(SALU_CYCLE_1)
	s_xor_b32 s2, exec_lo, s3
; %bb.465:
	v_cmp_ne_u32_e32 vcc_lo, 0, v161
	v_cndmask_b32_e32 v161, 23, v161, vcc_lo
; %bb.466:
	s_and_not1_saveexec_b32 s3, s2
	s_cbranch_execz .LBB72_472
; %bb.467:
	v_cmp_gt_f64_e32 vcc_lo, 0, v[148:149]
	v_cmp_gt_f64_e64 s2, 0, v[150:151]
	v_xor_b32_e32 v157, 0x80000000, v149
	v_xor_b32_e32 v165, 0x80000000, v151
	s_delay_alu instid0(VALU_DEP_2) | instskip(NEXT) | instid1(VALU_DEP_2)
	v_cndmask_b32_e32 v166, v149, v157, vcc_lo
	v_cndmask_b32_e64 v168, v151, v165, s2
	v_cndmask_b32_e32 v165, v148, v148, vcc_lo
	v_cndmask_b32_e64 v167, v150, v150, s2
	s_mov_b32 s2, exec_lo
	s_delay_alu instid0(VALU_DEP_1)
	v_cmpx_ngt_f64_e32 v[165:166], v[167:168]
	s_xor_b32 s2, exec_lo, s2
	s_cbranch_execz .LBB72_469
; %bb.468:
	v_div_scale_f64 v[165:166], null, v[150:151], v[150:151], v[148:149]
	v_div_scale_f64 v[171:172], vcc_lo, v[148:149], v[150:151], v[148:149]
	s_delay_alu instid0(VALU_DEP_2) | instskip(SKIP_2) | instid1(VALU_DEP_1)
	v_rcp_f64_e32 v[167:168], v[165:166]
	s_waitcnt_depctr 0xfff
	v_fma_f64 v[169:170], -v[165:166], v[167:168], 1.0
	v_fma_f64 v[167:168], v[167:168], v[169:170], v[167:168]
	s_delay_alu instid0(VALU_DEP_1) | instskip(NEXT) | instid1(VALU_DEP_1)
	v_fma_f64 v[169:170], -v[165:166], v[167:168], 1.0
	v_fma_f64 v[167:168], v[167:168], v[169:170], v[167:168]
	s_delay_alu instid0(VALU_DEP_1) | instskip(NEXT) | instid1(VALU_DEP_1)
	v_mul_f64 v[169:170], v[171:172], v[167:168]
	v_fma_f64 v[165:166], -v[165:166], v[169:170], v[171:172]
	s_delay_alu instid0(VALU_DEP_1) | instskip(NEXT) | instid1(VALU_DEP_1)
	v_div_fmas_f64 v[165:166], v[165:166], v[167:168], v[169:170]
	v_div_fixup_f64 v[165:166], v[165:166], v[150:151], v[148:149]
	s_delay_alu instid0(VALU_DEP_1) | instskip(NEXT) | instid1(VALU_DEP_1)
	v_fma_f64 v[148:149], v[148:149], v[165:166], v[150:151]
	v_div_scale_f64 v[150:151], null, v[148:149], v[148:149], 1.0
	s_delay_alu instid0(VALU_DEP_1) | instskip(SKIP_2) | instid1(VALU_DEP_1)
	v_rcp_f64_e32 v[167:168], v[150:151]
	s_waitcnt_depctr 0xfff
	v_fma_f64 v[169:170], -v[150:151], v[167:168], 1.0
	v_fma_f64 v[167:168], v[167:168], v[169:170], v[167:168]
	s_delay_alu instid0(VALU_DEP_1) | instskip(NEXT) | instid1(VALU_DEP_1)
	v_fma_f64 v[169:170], -v[150:151], v[167:168], 1.0
	v_fma_f64 v[167:168], v[167:168], v[169:170], v[167:168]
	v_div_scale_f64 v[169:170], vcc_lo, 1.0, v[148:149], 1.0
	s_delay_alu instid0(VALU_DEP_1) | instskip(NEXT) | instid1(VALU_DEP_1)
	v_mul_f64 v[171:172], v[169:170], v[167:168]
	v_fma_f64 v[150:151], -v[150:151], v[171:172], v[169:170]
	s_delay_alu instid0(VALU_DEP_1) | instskip(NEXT) | instid1(VALU_DEP_1)
	v_div_fmas_f64 v[150:151], v[150:151], v[167:168], v[171:172]
	v_div_fixup_f64 v[150:151], v[150:151], v[148:149], 1.0
	s_delay_alu instid0(VALU_DEP_1)
	v_mul_f64 v[148:149], v[165:166], v[150:151]
	v_xor_b32_e32 v151, 0x80000000, v151
.LBB72_469:
	s_and_not1_saveexec_b32 s2, s2
	s_cbranch_execz .LBB72_471
; %bb.470:
	s_delay_alu instid0(VALU_DEP_1) | instskip(SKIP_1) | instid1(VALU_DEP_2)
	v_div_scale_f64 v[165:166], null, v[148:149], v[148:149], v[150:151]
	v_div_scale_f64 v[171:172], vcc_lo, v[150:151], v[148:149], v[150:151]
	v_rcp_f64_e32 v[167:168], v[165:166]
	s_waitcnt_depctr 0xfff
	v_fma_f64 v[169:170], -v[165:166], v[167:168], 1.0
	s_delay_alu instid0(VALU_DEP_1) | instskip(NEXT) | instid1(VALU_DEP_1)
	v_fma_f64 v[167:168], v[167:168], v[169:170], v[167:168]
	v_fma_f64 v[169:170], -v[165:166], v[167:168], 1.0
	s_delay_alu instid0(VALU_DEP_1) | instskip(NEXT) | instid1(VALU_DEP_1)
	v_fma_f64 v[167:168], v[167:168], v[169:170], v[167:168]
	v_mul_f64 v[169:170], v[171:172], v[167:168]
	s_delay_alu instid0(VALU_DEP_1) | instskip(NEXT) | instid1(VALU_DEP_1)
	v_fma_f64 v[165:166], -v[165:166], v[169:170], v[171:172]
	v_div_fmas_f64 v[165:166], v[165:166], v[167:168], v[169:170]
	s_delay_alu instid0(VALU_DEP_1) | instskip(NEXT) | instid1(VALU_DEP_1)
	v_div_fixup_f64 v[165:166], v[165:166], v[148:149], v[150:151]
	v_fma_f64 v[148:149], v[150:151], v[165:166], v[148:149]
	s_delay_alu instid0(VALU_DEP_1) | instskip(NEXT) | instid1(VALU_DEP_1)
	v_div_scale_f64 v[150:151], null, v[148:149], v[148:149], 1.0
	v_rcp_f64_e32 v[167:168], v[150:151]
	s_waitcnt_depctr 0xfff
	v_fma_f64 v[169:170], -v[150:151], v[167:168], 1.0
	s_delay_alu instid0(VALU_DEP_1) | instskip(NEXT) | instid1(VALU_DEP_1)
	v_fma_f64 v[167:168], v[167:168], v[169:170], v[167:168]
	v_fma_f64 v[169:170], -v[150:151], v[167:168], 1.0
	s_delay_alu instid0(VALU_DEP_1) | instskip(SKIP_1) | instid1(VALU_DEP_1)
	v_fma_f64 v[167:168], v[167:168], v[169:170], v[167:168]
	v_div_scale_f64 v[169:170], vcc_lo, 1.0, v[148:149], 1.0
	v_mul_f64 v[171:172], v[169:170], v[167:168]
	s_delay_alu instid0(VALU_DEP_1) | instskip(NEXT) | instid1(VALU_DEP_1)
	v_fma_f64 v[150:151], -v[150:151], v[171:172], v[169:170]
	v_div_fmas_f64 v[150:151], v[150:151], v[167:168], v[171:172]
	s_delay_alu instid0(VALU_DEP_1) | instskip(NEXT) | instid1(VALU_DEP_1)
	v_div_fixup_f64 v[148:149], v[150:151], v[148:149], 1.0
	v_mul_f64 v[150:151], v[165:166], -v[148:149]
.LBB72_471:
	s_or_b32 exec_lo, exec_lo, s2
.LBB72_472:
	s_delay_alu instid0(SALU_CYCLE_1) | instskip(NEXT) | instid1(SALU_CYCLE_1)
	s_or_b32 exec_lo, exec_lo, s3
	s_mov_b32 s2, exec_lo
	v_cmpx_ne_u32_e64 v164, v156
	s_xor_b32 s2, exec_lo, s2
	s_cbranch_execz .LBB72_478
; %bb.473:
	s_mov_b32 s3, exec_lo
	v_cmpx_eq_u32_e32 22, v164
	s_cbranch_execz .LBB72_477
; %bb.474:
	v_cmp_ne_u32_e32 vcc_lo, 22, v156
	s_xor_b32 s6, s4, -1
	s_delay_alu instid0(SALU_CYCLE_1) | instskip(NEXT) | instid1(SALU_CYCLE_1)
	s_and_b32 s7, s6, vcc_lo
	s_and_saveexec_b32 s6, s7
	s_cbranch_execz .LBB72_476
; %bb.475:
	v_ashrrev_i32_e32 v157, 31, v156
	s_delay_alu instid0(VALU_DEP_1) | instskip(NEXT) | instid1(VALU_DEP_1)
	v_lshlrev_b64 v[163:164], 2, v[156:157]
	v_add_co_u32 v163, vcc_lo, v154, v163
	s_delay_alu instid0(VALU_DEP_2)
	v_add_co_ci_u32_e32 v164, vcc_lo, v155, v164, vcc_lo
	s_clause 0x1
	flat_load_b32 v157, v[163:164]
	flat_load_b32 v165, v[154:155] offset:88
	s_waitcnt vmcnt(1) lgkmcnt(1)
	flat_store_b32 v[154:155], v157 offset:88
	s_waitcnt vmcnt(0) lgkmcnt(1)
	flat_store_b32 v[163:164], v165
.LBB72_476:
	s_or_b32 exec_lo, exec_lo, s6
	v_mov_b32_e32 v164, v156
	v_mov_b32_e32 v163, v156
.LBB72_477:
	s_or_b32 exec_lo, exec_lo, s3
.LBB72_478:
	s_and_not1_saveexec_b32 s2, s2
	s_cbranch_execz .LBB72_480
; %bb.479:
	v_mov_b32_e32 v164, 22
	ds_store_2addr_b64 v158, v[60:61], v[62:63] offset0:46 offset1:47
	ds_store_2addr_b64 v158, v[56:57], v[58:59] offset0:48 offset1:49
	;; [unrolled: 1-line block ×14, first 2 shown]
.LBB72_480:
	s_or_b32 exec_lo, exec_lo, s2
	s_delay_alu instid0(SALU_CYCLE_1)
	s_mov_b32 s2, exec_lo
	s_waitcnt lgkmcnt(0)
	s_waitcnt_vscnt null, 0x0
	s_barrier
	buffer_gl0_inv
	v_cmpx_lt_i32_e32 22, v164
	s_cbranch_execz .LBB72_482
; %bb.481:
	v_mul_f64 v[156:157], v[148:149], v[66:67]
	v_mul_f64 v[66:67], v[150:151], v[66:67]
	s_delay_alu instid0(VALU_DEP_2) | instskip(NEXT) | instid1(VALU_DEP_2)
	v_fma_f64 v[156:157], v[150:151], v[64:65], v[156:157]
	v_fma_f64 v[64:65], v[148:149], v[64:65], -v[66:67]
	ds_load_2addr_b64 v[148:151], v158 offset0:46 offset1:47
	s_waitcnt lgkmcnt(0)
	v_mul_f64 v[66:67], v[150:151], v[156:157]
	s_delay_alu instid0(VALU_DEP_1) | instskip(SKIP_1) | instid1(VALU_DEP_2)
	v_fma_f64 v[66:67], v[148:149], v[64:65], -v[66:67]
	v_mul_f64 v[148:149], v[148:149], v[156:157]
	v_add_f64 v[60:61], v[60:61], -v[66:67]
	s_delay_alu instid0(VALU_DEP_2) | instskip(NEXT) | instid1(VALU_DEP_1)
	v_fma_f64 v[148:149], v[150:151], v[64:65], v[148:149]
	v_add_f64 v[62:63], v[62:63], -v[148:149]
	ds_load_2addr_b64 v[148:151], v158 offset0:48 offset1:49
	s_waitcnt lgkmcnt(0)
	v_mul_f64 v[66:67], v[150:151], v[156:157]
	s_delay_alu instid0(VALU_DEP_1) | instskip(SKIP_1) | instid1(VALU_DEP_2)
	v_fma_f64 v[66:67], v[148:149], v[64:65], -v[66:67]
	v_mul_f64 v[148:149], v[148:149], v[156:157]
	v_add_f64 v[56:57], v[56:57], -v[66:67]
	s_delay_alu instid0(VALU_DEP_2) | instskip(NEXT) | instid1(VALU_DEP_1)
	v_fma_f64 v[148:149], v[150:151], v[64:65], v[148:149]
	v_add_f64 v[58:59], v[58:59], -v[148:149]
	;; [unrolled: 10-line block ×13, first 2 shown]
	ds_load_2addr_b64 v[148:151], v158 offset0:72 offset1:73
	s_waitcnt lgkmcnt(0)
	v_mul_f64 v[66:67], v[150:151], v[156:157]
	s_delay_alu instid0(VALU_DEP_1) | instskip(SKIP_1) | instid1(VALU_DEP_2)
	v_fma_f64 v[66:67], v[148:149], v[64:65], -v[66:67]
	v_mul_f64 v[148:149], v[148:149], v[156:157]
	v_add_f64 v[0:1], v[0:1], -v[66:67]
	s_delay_alu instid0(VALU_DEP_2) | instskip(SKIP_1) | instid1(VALU_DEP_2)
	v_fma_f64 v[148:149], v[150:151], v[64:65], v[148:149]
	v_dual_mov_b32 v66, v156 :: v_dual_mov_b32 v67, v157
	v_add_f64 v[2:3], v[2:3], -v[148:149]
.LBB72_482:
	s_or_b32 exec_lo, exec_lo, s2
	v_lshl_add_u32 v148, v164, 4, v158
	s_barrier
	buffer_gl0_inv
	v_mov_b32_e32 v156, 23
	ds_store_2addr_b64 v148, v[60:61], v[62:63] offset1:1
	s_waitcnt lgkmcnt(0)
	s_barrier
	buffer_gl0_inv
	ds_load_2addr_b64 v[148:151], v158 offset0:46 offset1:47
	s_cmp_lt_i32 s5, 25
	s_cbranch_scc1 .LBB72_485
; %bb.483:
	v_add3_u32 v157, v162, 0, 0x180
	v_mov_b32_e32 v156, 23
	s_mov_b32 s6, 24
	s_set_inst_prefetch_distance 0x1
	.p2align	6
.LBB72_484:                             ; =>This Inner Loop Header: Depth=1
	ds_load_2addr_b64 v[165:168], v157 offset1:1
	s_waitcnt lgkmcnt(1)
	v_cmp_gt_f64_e32 vcc_lo, 0, v[148:149]
	v_xor_b32_e32 v169, 0x80000000, v149
	v_cmp_gt_f64_e64 s2, 0, v[150:151]
	v_xor_b32_e32 v171, 0x80000000, v151
	v_add_nc_u32_e32 v157, 16, v157
	s_waitcnt lgkmcnt(0)
	v_cmp_gt_f64_e64 s3, 0, v[165:166]
	v_mov_b32_e32 v173, v165
	v_dual_mov_b32 v175, v167 :: v_dual_cndmask_b32 v170, v149, v169
	v_xor_b32_e32 v169, 0x80000000, v166
	v_cndmask_b32_e64 v172, v151, v171, s2
	v_xor_b32_e32 v171, 0x80000000, v168
	s_delay_alu instid0(VALU_DEP_3) | instskip(SKIP_2) | instid1(VALU_DEP_2)
	v_cndmask_b32_e64 v174, v166, v169, s3
	v_cmp_gt_f64_e64 s3, 0, v[167:168]
	v_cndmask_b32_e32 v169, v148, v148, vcc_lo
	v_cndmask_b32_e64 v176, v168, v171, s3
	v_cndmask_b32_e64 v171, v150, v150, s2
	s_delay_alu instid0(VALU_DEP_2) | instskip(NEXT) | instid1(VALU_DEP_2)
	v_add_f64 v[173:174], v[173:174], v[175:176]
	v_add_f64 v[169:170], v[169:170], v[171:172]
	s_delay_alu instid0(VALU_DEP_1) | instskip(SKIP_4) | instid1(SALU_CYCLE_1)
	v_cmp_lt_f64_e32 vcc_lo, v[169:170], v[173:174]
	v_dual_cndmask_b32 v150, v150, v167 :: v_dual_cndmask_b32 v149, v149, v166
	v_dual_cndmask_b32 v148, v148, v165 :: v_dual_cndmask_b32 v151, v151, v168
	v_cndmask_b32_e64 v156, v156, s6, vcc_lo
	s_add_i32 s6, s6, 1
	s_cmp_lg_u32 s5, s6
	s_cbranch_scc1 .LBB72_484
.LBB72_485:
	s_set_inst_prefetch_distance 0x2
	s_waitcnt lgkmcnt(0)
	v_cmp_eq_f64_e32 vcc_lo, 0, v[148:149]
	v_cmp_eq_f64_e64 s2, 0, v[150:151]
	s_delay_alu instid0(VALU_DEP_1) | instskip(NEXT) | instid1(SALU_CYCLE_1)
	s_and_b32 s2, vcc_lo, s2
	s_and_saveexec_b32 s3, s2
	s_delay_alu instid0(SALU_CYCLE_1)
	s_xor_b32 s2, exec_lo, s3
; %bb.486:
	v_cmp_ne_u32_e32 vcc_lo, 0, v161
	v_cndmask_b32_e32 v161, 24, v161, vcc_lo
; %bb.487:
	s_and_not1_saveexec_b32 s3, s2
	s_cbranch_execz .LBB72_493
; %bb.488:
	v_cmp_gt_f64_e32 vcc_lo, 0, v[148:149]
	v_cmp_gt_f64_e64 s2, 0, v[150:151]
	v_xor_b32_e32 v157, 0x80000000, v149
	v_xor_b32_e32 v165, 0x80000000, v151
	s_delay_alu instid0(VALU_DEP_2) | instskip(NEXT) | instid1(VALU_DEP_2)
	v_cndmask_b32_e32 v166, v149, v157, vcc_lo
	v_cndmask_b32_e64 v168, v151, v165, s2
	v_cndmask_b32_e32 v165, v148, v148, vcc_lo
	v_cndmask_b32_e64 v167, v150, v150, s2
	s_mov_b32 s2, exec_lo
	s_delay_alu instid0(VALU_DEP_1)
	v_cmpx_ngt_f64_e32 v[165:166], v[167:168]
	s_xor_b32 s2, exec_lo, s2
	s_cbranch_execz .LBB72_490
; %bb.489:
	v_div_scale_f64 v[165:166], null, v[150:151], v[150:151], v[148:149]
	v_div_scale_f64 v[171:172], vcc_lo, v[148:149], v[150:151], v[148:149]
	s_delay_alu instid0(VALU_DEP_2) | instskip(SKIP_2) | instid1(VALU_DEP_1)
	v_rcp_f64_e32 v[167:168], v[165:166]
	s_waitcnt_depctr 0xfff
	v_fma_f64 v[169:170], -v[165:166], v[167:168], 1.0
	v_fma_f64 v[167:168], v[167:168], v[169:170], v[167:168]
	s_delay_alu instid0(VALU_DEP_1) | instskip(NEXT) | instid1(VALU_DEP_1)
	v_fma_f64 v[169:170], -v[165:166], v[167:168], 1.0
	v_fma_f64 v[167:168], v[167:168], v[169:170], v[167:168]
	s_delay_alu instid0(VALU_DEP_1) | instskip(NEXT) | instid1(VALU_DEP_1)
	v_mul_f64 v[169:170], v[171:172], v[167:168]
	v_fma_f64 v[165:166], -v[165:166], v[169:170], v[171:172]
	s_delay_alu instid0(VALU_DEP_1) | instskip(NEXT) | instid1(VALU_DEP_1)
	v_div_fmas_f64 v[165:166], v[165:166], v[167:168], v[169:170]
	v_div_fixup_f64 v[165:166], v[165:166], v[150:151], v[148:149]
	s_delay_alu instid0(VALU_DEP_1) | instskip(NEXT) | instid1(VALU_DEP_1)
	v_fma_f64 v[148:149], v[148:149], v[165:166], v[150:151]
	v_div_scale_f64 v[150:151], null, v[148:149], v[148:149], 1.0
	s_delay_alu instid0(VALU_DEP_1) | instskip(SKIP_2) | instid1(VALU_DEP_1)
	v_rcp_f64_e32 v[167:168], v[150:151]
	s_waitcnt_depctr 0xfff
	v_fma_f64 v[169:170], -v[150:151], v[167:168], 1.0
	v_fma_f64 v[167:168], v[167:168], v[169:170], v[167:168]
	s_delay_alu instid0(VALU_DEP_1) | instskip(NEXT) | instid1(VALU_DEP_1)
	v_fma_f64 v[169:170], -v[150:151], v[167:168], 1.0
	v_fma_f64 v[167:168], v[167:168], v[169:170], v[167:168]
	v_div_scale_f64 v[169:170], vcc_lo, 1.0, v[148:149], 1.0
	s_delay_alu instid0(VALU_DEP_1) | instskip(NEXT) | instid1(VALU_DEP_1)
	v_mul_f64 v[171:172], v[169:170], v[167:168]
	v_fma_f64 v[150:151], -v[150:151], v[171:172], v[169:170]
	s_delay_alu instid0(VALU_DEP_1) | instskip(NEXT) | instid1(VALU_DEP_1)
	v_div_fmas_f64 v[150:151], v[150:151], v[167:168], v[171:172]
	v_div_fixup_f64 v[150:151], v[150:151], v[148:149], 1.0
	s_delay_alu instid0(VALU_DEP_1)
	v_mul_f64 v[148:149], v[165:166], v[150:151]
	v_xor_b32_e32 v151, 0x80000000, v151
.LBB72_490:
	s_and_not1_saveexec_b32 s2, s2
	s_cbranch_execz .LBB72_492
; %bb.491:
	s_delay_alu instid0(VALU_DEP_1) | instskip(SKIP_1) | instid1(VALU_DEP_2)
	v_div_scale_f64 v[165:166], null, v[148:149], v[148:149], v[150:151]
	v_div_scale_f64 v[171:172], vcc_lo, v[150:151], v[148:149], v[150:151]
	v_rcp_f64_e32 v[167:168], v[165:166]
	s_waitcnt_depctr 0xfff
	v_fma_f64 v[169:170], -v[165:166], v[167:168], 1.0
	s_delay_alu instid0(VALU_DEP_1) | instskip(NEXT) | instid1(VALU_DEP_1)
	v_fma_f64 v[167:168], v[167:168], v[169:170], v[167:168]
	v_fma_f64 v[169:170], -v[165:166], v[167:168], 1.0
	s_delay_alu instid0(VALU_DEP_1) | instskip(NEXT) | instid1(VALU_DEP_1)
	v_fma_f64 v[167:168], v[167:168], v[169:170], v[167:168]
	v_mul_f64 v[169:170], v[171:172], v[167:168]
	s_delay_alu instid0(VALU_DEP_1) | instskip(NEXT) | instid1(VALU_DEP_1)
	v_fma_f64 v[165:166], -v[165:166], v[169:170], v[171:172]
	v_div_fmas_f64 v[165:166], v[165:166], v[167:168], v[169:170]
	s_delay_alu instid0(VALU_DEP_1) | instskip(NEXT) | instid1(VALU_DEP_1)
	v_div_fixup_f64 v[165:166], v[165:166], v[148:149], v[150:151]
	v_fma_f64 v[148:149], v[150:151], v[165:166], v[148:149]
	s_delay_alu instid0(VALU_DEP_1) | instskip(NEXT) | instid1(VALU_DEP_1)
	v_div_scale_f64 v[150:151], null, v[148:149], v[148:149], 1.0
	v_rcp_f64_e32 v[167:168], v[150:151]
	s_waitcnt_depctr 0xfff
	v_fma_f64 v[169:170], -v[150:151], v[167:168], 1.0
	s_delay_alu instid0(VALU_DEP_1) | instskip(NEXT) | instid1(VALU_DEP_1)
	v_fma_f64 v[167:168], v[167:168], v[169:170], v[167:168]
	v_fma_f64 v[169:170], -v[150:151], v[167:168], 1.0
	s_delay_alu instid0(VALU_DEP_1) | instskip(SKIP_1) | instid1(VALU_DEP_1)
	v_fma_f64 v[167:168], v[167:168], v[169:170], v[167:168]
	v_div_scale_f64 v[169:170], vcc_lo, 1.0, v[148:149], 1.0
	v_mul_f64 v[171:172], v[169:170], v[167:168]
	s_delay_alu instid0(VALU_DEP_1) | instskip(NEXT) | instid1(VALU_DEP_1)
	v_fma_f64 v[150:151], -v[150:151], v[171:172], v[169:170]
	v_div_fmas_f64 v[150:151], v[150:151], v[167:168], v[171:172]
	s_delay_alu instid0(VALU_DEP_1) | instskip(NEXT) | instid1(VALU_DEP_1)
	v_div_fixup_f64 v[148:149], v[150:151], v[148:149], 1.0
	v_mul_f64 v[150:151], v[165:166], -v[148:149]
.LBB72_492:
	s_or_b32 exec_lo, exec_lo, s2
.LBB72_493:
	s_delay_alu instid0(SALU_CYCLE_1) | instskip(NEXT) | instid1(SALU_CYCLE_1)
	s_or_b32 exec_lo, exec_lo, s3
	s_mov_b32 s2, exec_lo
	v_cmpx_ne_u32_e64 v164, v156
	s_xor_b32 s2, exec_lo, s2
	s_cbranch_execz .LBB72_499
; %bb.494:
	s_mov_b32 s3, exec_lo
	v_cmpx_eq_u32_e32 23, v164
	s_cbranch_execz .LBB72_498
; %bb.495:
	v_cmp_ne_u32_e32 vcc_lo, 23, v156
	s_xor_b32 s6, s4, -1
	s_delay_alu instid0(SALU_CYCLE_1) | instskip(NEXT) | instid1(SALU_CYCLE_1)
	s_and_b32 s7, s6, vcc_lo
	s_and_saveexec_b32 s6, s7
	s_cbranch_execz .LBB72_497
; %bb.496:
	v_ashrrev_i32_e32 v157, 31, v156
	s_delay_alu instid0(VALU_DEP_1) | instskip(NEXT) | instid1(VALU_DEP_1)
	v_lshlrev_b64 v[163:164], 2, v[156:157]
	v_add_co_u32 v163, vcc_lo, v154, v163
	s_delay_alu instid0(VALU_DEP_2)
	v_add_co_ci_u32_e32 v164, vcc_lo, v155, v164, vcc_lo
	s_clause 0x1
	flat_load_b32 v157, v[163:164]
	flat_load_b32 v165, v[154:155] offset:92
	s_waitcnt vmcnt(1) lgkmcnt(1)
	flat_store_b32 v[154:155], v157 offset:92
	s_waitcnt vmcnt(0) lgkmcnt(1)
	flat_store_b32 v[163:164], v165
.LBB72_497:
	s_or_b32 exec_lo, exec_lo, s6
	v_mov_b32_e32 v164, v156
	v_mov_b32_e32 v163, v156
.LBB72_498:
	s_or_b32 exec_lo, exec_lo, s3
.LBB72_499:
	s_and_not1_saveexec_b32 s2, s2
	s_cbranch_execz .LBB72_501
; %bb.500:
	v_mov_b32_e32 v164, 23
	ds_store_2addr_b64 v158, v[56:57], v[58:59] offset0:48 offset1:49
	ds_store_2addr_b64 v158, v[44:45], v[46:47] offset0:50 offset1:51
	ds_store_2addr_b64 v158, v[40:41], v[42:43] offset0:52 offset1:53
	ds_store_2addr_b64 v158, v[36:37], v[38:39] offset0:54 offset1:55
	ds_store_2addr_b64 v158, v[32:33], v[34:35] offset0:56 offset1:57
	ds_store_2addr_b64 v158, v[28:29], v[30:31] offset0:58 offset1:59
	ds_store_2addr_b64 v158, v[24:25], v[26:27] offset0:60 offset1:61
	ds_store_2addr_b64 v158, v[20:21], v[22:23] offset0:62 offset1:63
	ds_store_2addr_b64 v158, v[16:17], v[18:19] offset0:64 offset1:65
	ds_store_2addr_b64 v158, v[12:13], v[14:15] offset0:66 offset1:67
	ds_store_2addr_b64 v158, v[8:9], v[10:11] offset0:68 offset1:69
	ds_store_2addr_b64 v158, v[4:5], v[6:7] offset0:70 offset1:71
	ds_store_2addr_b64 v158, v[0:1], v[2:3] offset0:72 offset1:73
.LBB72_501:
	s_or_b32 exec_lo, exec_lo, s2
	s_delay_alu instid0(SALU_CYCLE_1)
	s_mov_b32 s2, exec_lo
	s_waitcnt lgkmcnt(0)
	s_waitcnt_vscnt null, 0x0
	s_barrier
	buffer_gl0_inv
	v_cmpx_lt_i32_e32 23, v164
	s_cbranch_execz .LBB72_503
; %bb.502:
	v_mul_f64 v[156:157], v[148:149], v[62:63]
	v_mul_f64 v[62:63], v[150:151], v[62:63]
	s_delay_alu instid0(VALU_DEP_2) | instskip(NEXT) | instid1(VALU_DEP_2)
	v_fma_f64 v[156:157], v[150:151], v[60:61], v[156:157]
	v_fma_f64 v[60:61], v[148:149], v[60:61], -v[62:63]
	ds_load_2addr_b64 v[148:151], v158 offset0:48 offset1:49
	s_waitcnt lgkmcnt(0)
	v_mul_f64 v[62:63], v[150:151], v[156:157]
	s_delay_alu instid0(VALU_DEP_1) | instskip(SKIP_1) | instid1(VALU_DEP_2)
	v_fma_f64 v[62:63], v[148:149], v[60:61], -v[62:63]
	v_mul_f64 v[148:149], v[148:149], v[156:157]
	v_add_f64 v[56:57], v[56:57], -v[62:63]
	s_delay_alu instid0(VALU_DEP_2) | instskip(NEXT) | instid1(VALU_DEP_1)
	v_fma_f64 v[148:149], v[150:151], v[60:61], v[148:149]
	v_add_f64 v[58:59], v[58:59], -v[148:149]
	ds_load_2addr_b64 v[148:151], v158 offset0:50 offset1:51
	s_waitcnt lgkmcnt(0)
	v_mul_f64 v[62:63], v[150:151], v[156:157]
	s_delay_alu instid0(VALU_DEP_1) | instskip(SKIP_1) | instid1(VALU_DEP_2)
	v_fma_f64 v[62:63], v[148:149], v[60:61], -v[62:63]
	v_mul_f64 v[148:149], v[148:149], v[156:157]
	v_add_f64 v[44:45], v[44:45], -v[62:63]
	s_delay_alu instid0(VALU_DEP_2) | instskip(NEXT) | instid1(VALU_DEP_1)
	v_fma_f64 v[148:149], v[150:151], v[60:61], v[148:149]
	v_add_f64 v[46:47], v[46:47], -v[148:149]
	;; [unrolled: 10-line block ×12, first 2 shown]
	ds_load_2addr_b64 v[148:151], v158 offset0:72 offset1:73
	s_waitcnt lgkmcnt(0)
	v_mul_f64 v[62:63], v[150:151], v[156:157]
	s_delay_alu instid0(VALU_DEP_1) | instskip(SKIP_1) | instid1(VALU_DEP_2)
	v_fma_f64 v[62:63], v[148:149], v[60:61], -v[62:63]
	v_mul_f64 v[148:149], v[148:149], v[156:157]
	v_add_f64 v[0:1], v[0:1], -v[62:63]
	s_delay_alu instid0(VALU_DEP_2) | instskip(SKIP_1) | instid1(VALU_DEP_2)
	v_fma_f64 v[148:149], v[150:151], v[60:61], v[148:149]
	v_dual_mov_b32 v62, v156 :: v_dual_mov_b32 v63, v157
	v_add_f64 v[2:3], v[2:3], -v[148:149]
.LBB72_503:
	s_or_b32 exec_lo, exec_lo, s2
	v_lshl_add_u32 v148, v164, 4, v158
	s_barrier
	buffer_gl0_inv
	v_mov_b32_e32 v156, 24
	ds_store_2addr_b64 v148, v[56:57], v[58:59] offset1:1
	s_waitcnt lgkmcnt(0)
	s_barrier
	buffer_gl0_inv
	ds_load_2addr_b64 v[148:151], v158 offset0:48 offset1:49
	s_cmp_lt_i32 s5, 26
	s_cbranch_scc1 .LBB72_506
; %bb.504:
	v_add3_u32 v157, v162, 0, 0x190
	v_mov_b32_e32 v156, 24
	s_mov_b32 s6, 25
	s_set_inst_prefetch_distance 0x1
	.p2align	6
.LBB72_505:                             ; =>This Inner Loop Header: Depth=1
	ds_load_2addr_b64 v[165:168], v157 offset1:1
	s_waitcnt lgkmcnt(1)
	v_cmp_gt_f64_e32 vcc_lo, 0, v[148:149]
	v_xor_b32_e32 v169, 0x80000000, v149
	v_cmp_gt_f64_e64 s2, 0, v[150:151]
	v_xor_b32_e32 v171, 0x80000000, v151
	v_add_nc_u32_e32 v157, 16, v157
	s_waitcnt lgkmcnt(0)
	v_cmp_gt_f64_e64 s3, 0, v[165:166]
	v_mov_b32_e32 v173, v165
	v_dual_mov_b32 v175, v167 :: v_dual_cndmask_b32 v170, v149, v169
	v_xor_b32_e32 v169, 0x80000000, v166
	v_cndmask_b32_e64 v172, v151, v171, s2
	v_xor_b32_e32 v171, 0x80000000, v168
	s_delay_alu instid0(VALU_DEP_3) | instskip(SKIP_2) | instid1(VALU_DEP_2)
	v_cndmask_b32_e64 v174, v166, v169, s3
	v_cmp_gt_f64_e64 s3, 0, v[167:168]
	v_cndmask_b32_e32 v169, v148, v148, vcc_lo
	v_cndmask_b32_e64 v176, v168, v171, s3
	v_cndmask_b32_e64 v171, v150, v150, s2
	s_delay_alu instid0(VALU_DEP_2) | instskip(NEXT) | instid1(VALU_DEP_2)
	v_add_f64 v[173:174], v[173:174], v[175:176]
	v_add_f64 v[169:170], v[169:170], v[171:172]
	s_delay_alu instid0(VALU_DEP_1) | instskip(SKIP_4) | instid1(SALU_CYCLE_1)
	v_cmp_lt_f64_e32 vcc_lo, v[169:170], v[173:174]
	v_dual_cndmask_b32 v150, v150, v167 :: v_dual_cndmask_b32 v149, v149, v166
	v_dual_cndmask_b32 v148, v148, v165 :: v_dual_cndmask_b32 v151, v151, v168
	v_cndmask_b32_e64 v156, v156, s6, vcc_lo
	s_add_i32 s6, s6, 1
	s_cmp_lg_u32 s5, s6
	s_cbranch_scc1 .LBB72_505
.LBB72_506:
	s_set_inst_prefetch_distance 0x2
	s_waitcnt lgkmcnt(0)
	v_cmp_eq_f64_e32 vcc_lo, 0, v[148:149]
	v_cmp_eq_f64_e64 s2, 0, v[150:151]
	s_delay_alu instid0(VALU_DEP_1) | instskip(NEXT) | instid1(SALU_CYCLE_1)
	s_and_b32 s2, vcc_lo, s2
	s_and_saveexec_b32 s3, s2
	s_delay_alu instid0(SALU_CYCLE_1)
	s_xor_b32 s2, exec_lo, s3
; %bb.507:
	v_cmp_ne_u32_e32 vcc_lo, 0, v161
	v_cndmask_b32_e32 v161, 25, v161, vcc_lo
; %bb.508:
	s_and_not1_saveexec_b32 s3, s2
	s_cbranch_execz .LBB72_514
; %bb.509:
	v_cmp_gt_f64_e32 vcc_lo, 0, v[148:149]
	v_cmp_gt_f64_e64 s2, 0, v[150:151]
	v_xor_b32_e32 v157, 0x80000000, v149
	v_xor_b32_e32 v165, 0x80000000, v151
	s_delay_alu instid0(VALU_DEP_2) | instskip(NEXT) | instid1(VALU_DEP_2)
	v_cndmask_b32_e32 v166, v149, v157, vcc_lo
	v_cndmask_b32_e64 v168, v151, v165, s2
	v_cndmask_b32_e32 v165, v148, v148, vcc_lo
	v_cndmask_b32_e64 v167, v150, v150, s2
	s_mov_b32 s2, exec_lo
	s_delay_alu instid0(VALU_DEP_1)
	v_cmpx_ngt_f64_e32 v[165:166], v[167:168]
	s_xor_b32 s2, exec_lo, s2
	s_cbranch_execz .LBB72_511
; %bb.510:
	v_div_scale_f64 v[165:166], null, v[150:151], v[150:151], v[148:149]
	v_div_scale_f64 v[171:172], vcc_lo, v[148:149], v[150:151], v[148:149]
	s_delay_alu instid0(VALU_DEP_2) | instskip(SKIP_2) | instid1(VALU_DEP_1)
	v_rcp_f64_e32 v[167:168], v[165:166]
	s_waitcnt_depctr 0xfff
	v_fma_f64 v[169:170], -v[165:166], v[167:168], 1.0
	v_fma_f64 v[167:168], v[167:168], v[169:170], v[167:168]
	s_delay_alu instid0(VALU_DEP_1) | instskip(NEXT) | instid1(VALU_DEP_1)
	v_fma_f64 v[169:170], -v[165:166], v[167:168], 1.0
	v_fma_f64 v[167:168], v[167:168], v[169:170], v[167:168]
	s_delay_alu instid0(VALU_DEP_1) | instskip(NEXT) | instid1(VALU_DEP_1)
	v_mul_f64 v[169:170], v[171:172], v[167:168]
	v_fma_f64 v[165:166], -v[165:166], v[169:170], v[171:172]
	s_delay_alu instid0(VALU_DEP_1) | instskip(NEXT) | instid1(VALU_DEP_1)
	v_div_fmas_f64 v[165:166], v[165:166], v[167:168], v[169:170]
	v_div_fixup_f64 v[165:166], v[165:166], v[150:151], v[148:149]
	s_delay_alu instid0(VALU_DEP_1) | instskip(NEXT) | instid1(VALU_DEP_1)
	v_fma_f64 v[148:149], v[148:149], v[165:166], v[150:151]
	v_div_scale_f64 v[150:151], null, v[148:149], v[148:149], 1.0
	s_delay_alu instid0(VALU_DEP_1) | instskip(SKIP_2) | instid1(VALU_DEP_1)
	v_rcp_f64_e32 v[167:168], v[150:151]
	s_waitcnt_depctr 0xfff
	v_fma_f64 v[169:170], -v[150:151], v[167:168], 1.0
	v_fma_f64 v[167:168], v[167:168], v[169:170], v[167:168]
	s_delay_alu instid0(VALU_DEP_1) | instskip(NEXT) | instid1(VALU_DEP_1)
	v_fma_f64 v[169:170], -v[150:151], v[167:168], 1.0
	v_fma_f64 v[167:168], v[167:168], v[169:170], v[167:168]
	v_div_scale_f64 v[169:170], vcc_lo, 1.0, v[148:149], 1.0
	s_delay_alu instid0(VALU_DEP_1) | instskip(NEXT) | instid1(VALU_DEP_1)
	v_mul_f64 v[171:172], v[169:170], v[167:168]
	v_fma_f64 v[150:151], -v[150:151], v[171:172], v[169:170]
	s_delay_alu instid0(VALU_DEP_1) | instskip(NEXT) | instid1(VALU_DEP_1)
	v_div_fmas_f64 v[150:151], v[150:151], v[167:168], v[171:172]
	v_div_fixup_f64 v[150:151], v[150:151], v[148:149], 1.0
	s_delay_alu instid0(VALU_DEP_1)
	v_mul_f64 v[148:149], v[165:166], v[150:151]
	v_xor_b32_e32 v151, 0x80000000, v151
.LBB72_511:
	s_and_not1_saveexec_b32 s2, s2
	s_cbranch_execz .LBB72_513
; %bb.512:
	s_delay_alu instid0(VALU_DEP_1) | instskip(SKIP_1) | instid1(VALU_DEP_2)
	v_div_scale_f64 v[165:166], null, v[148:149], v[148:149], v[150:151]
	v_div_scale_f64 v[171:172], vcc_lo, v[150:151], v[148:149], v[150:151]
	v_rcp_f64_e32 v[167:168], v[165:166]
	s_waitcnt_depctr 0xfff
	v_fma_f64 v[169:170], -v[165:166], v[167:168], 1.0
	s_delay_alu instid0(VALU_DEP_1) | instskip(NEXT) | instid1(VALU_DEP_1)
	v_fma_f64 v[167:168], v[167:168], v[169:170], v[167:168]
	v_fma_f64 v[169:170], -v[165:166], v[167:168], 1.0
	s_delay_alu instid0(VALU_DEP_1) | instskip(NEXT) | instid1(VALU_DEP_1)
	v_fma_f64 v[167:168], v[167:168], v[169:170], v[167:168]
	v_mul_f64 v[169:170], v[171:172], v[167:168]
	s_delay_alu instid0(VALU_DEP_1) | instskip(NEXT) | instid1(VALU_DEP_1)
	v_fma_f64 v[165:166], -v[165:166], v[169:170], v[171:172]
	v_div_fmas_f64 v[165:166], v[165:166], v[167:168], v[169:170]
	s_delay_alu instid0(VALU_DEP_1) | instskip(NEXT) | instid1(VALU_DEP_1)
	v_div_fixup_f64 v[165:166], v[165:166], v[148:149], v[150:151]
	v_fma_f64 v[148:149], v[150:151], v[165:166], v[148:149]
	s_delay_alu instid0(VALU_DEP_1) | instskip(NEXT) | instid1(VALU_DEP_1)
	v_div_scale_f64 v[150:151], null, v[148:149], v[148:149], 1.0
	v_rcp_f64_e32 v[167:168], v[150:151]
	s_waitcnt_depctr 0xfff
	v_fma_f64 v[169:170], -v[150:151], v[167:168], 1.0
	s_delay_alu instid0(VALU_DEP_1) | instskip(NEXT) | instid1(VALU_DEP_1)
	v_fma_f64 v[167:168], v[167:168], v[169:170], v[167:168]
	v_fma_f64 v[169:170], -v[150:151], v[167:168], 1.0
	s_delay_alu instid0(VALU_DEP_1) | instskip(SKIP_1) | instid1(VALU_DEP_1)
	v_fma_f64 v[167:168], v[167:168], v[169:170], v[167:168]
	v_div_scale_f64 v[169:170], vcc_lo, 1.0, v[148:149], 1.0
	v_mul_f64 v[171:172], v[169:170], v[167:168]
	s_delay_alu instid0(VALU_DEP_1) | instskip(NEXT) | instid1(VALU_DEP_1)
	v_fma_f64 v[150:151], -v[150:151], v[171:172], v[169:170]
	v_div_fmas_f64 v[150:151], v[150:151], v[167:168], v[171:172]
	s_delay_alu instid0(VALU_DEP_1) | instskip(NEXT) | instid1(VALU_DEP_1)
	v_div_fixup_f64 v[148:149], v[150:151], v[148:149], 1.0
	v_mul_f64 v[150:151], v[165:166], -v[148:149]
.LBB72_513:
	s_or_b32 exec_lo, exec_lo, s2
.LBB72_514:
	s_delay_alu instid0(SALU_CYCLE_1) | instskip(NEXT) | instid1(SALU_CYCLE_1)
	s_or_b32 exec_lo, exec_lo, s3
	s_mov_b32 s2, exec_lo
	v_cmpx_ne_u32_e64 v164, v156
	s_xor_b32 s2, exec_lo, s2
	s_cbranch_execz .LBB72_520
; %bb.515:
	s_mov_b32 s3, exec_lo
	v_cmpx_eq_u32_e32 24, v164
	s_cbranch_execz .LBB72_519
; %bb.516:
	v_cmp_ne_u32_e32 vcc_lo, 24, v156
	s_xor_b32 s6, s4, -1
	s_delay_alu instid0(SALU_CYCLE_1) | instskip(NEXT) | instid1(SALU_CYCLE_1)
	s_and_b32 s7, s6, vcc_lo
	s_and_saveexec_b32 s6, s7
	s_cbranch_execz .LBB72_518
; %bb.517:
	v_ashrrev_i32_e32 v157, 31, v156
	s_delay_alu instid0(VALU_DEP_1) | instskip(NEXT) | instid1(VALU_DEP_1)
	v_lshlrev_b64 v[163:164], 2, v[156:157]
	v_add_co_u32 v163, vcc_lo, v154, v163
	s_delay_alu instid0(VALU_DEP_2)
	v_add_co_ci_u32_e32 v164, vcc_lo, v155, v164, vcc_lo
	s_clause 0x1
	flat_load_b32 v157, v[163:164]
	flat_load_b32 v165, v[154:155] offset:96
	s_waitcnt vmcnt(1) lgkmcnt(1)
	flat_store_b32 v[154:155], v157 offset:96
	s_waitcnt vmcnt(0) lgkmcnt(1)
	flat_store_b32 v[163:164], v165
.LBB72_518:
	s_or_b32 exec_lo, exec_lo, s6
	v_mov_b32_e32 v164, v156
	v_mov_b32_e32 v163, v156
.LBB72_519:
	s_or_b32 exec_lo, exec_lo, s3
.LBB72_520:
	s_and_not1_saveexec_b32 s2, s2
	s_cbranch_execz .LBB72_522
; %bb.521:
	v_mov_b32_e32 v164, 24
	ds_store_2addr_b64 v158, v[44:45], v[46:47] offset0:50 offset1:51
	ds_store_2addr_b64 v158, v[40:41], v[42:43] offset0:52 offset1:53
	;; [unrolled: 1-line block ×12, first 2 shown]
.LBB72_522:
	s_or_b32 exec_lo, exec_lo, s2
	s_delay_alu instid0(SALU_CYCLE_1)
	s_mov_b32 s2, exec_lo
	s_waitcnt lgkmcnt(0)
	s_waitcnt_vscnt null, 0x0
	s_barrier
	buffer_gl0_inv
	v_cmpx_lt_i32_e32 24, v164
	s_cbranch_execz .LBB72_524
; %bb.523:
	v_mul_f64 v[156:157], v[148:149], v[58:59]
	v_mul_f64 v[58:59], v[150:151], v[58:59]
	s_delay_alu instid0(VALU_DEP_2) | instskip(NEXT) | instid1(VALU_DEP_2)
	v_fma_f64 v[156:157], v[150:151], v[56:57], v[156:157]
	v_fma_f64 v[56:57], v[148:149], v[56:57], -v[58:59]
	ds_load_2addr_b64 v[148:151], v158 offset0:50 offset1:51
	s_waitcnt lgkmcnt(0)
	v_mul_f64 v[58:59], v[150:151], v[156:157]
	s_delay_alu instid0(VALU_DEP_1) | instskip(SKIP_1) | instid1(VALU_DEP_2)
	v_fma_f64 v[58:59], v[148:149], v[56:57], -v[58:59]
	v_mul_f64 v[148:149], v[148:149], v[156:157]
	v_add_f64 v[44:45], v[44:45], -v[58:59]
	s_delay_alu instid0(VALU_DEP_2) | instskip(NEXT) | instid1(VALU_DEP_1)
	v_fma_f64 v[148:149], v[150:151], v[56:57], v[148:149]
	v_add_f64 v[46:47], v[46:47], -v[148:149]
	ds_load_2addr_b64 v[148:151], v158 offset0:52 offset1:53
	s_waitcnt lgkmcnt(0)
	v_mul_f64 v[58:59], v[150:151], v[156:157]
	s_delay_alu instid0(VALU_DEP_1) | instskip(SKIP_1) | instid1(VALU_DEP_2)
	v_fma_f64 v[58:59], v[148:149], v[56:57], -v[58:59]
	v_mul_f64 v[148:149], v[148:149], v[156:157]
	v_add_f64 v[40:41], v[40:41], -v[58:59]
	s_delay_alu instid0(VALU_DEP_2) | instskip(NEXT) | instid1(VALU_DEP_1)
	v_fma_f64 v[148:149], v[150:151], v[56:57], v[148:149]
	v_add_f64 v[42:43], v[42:43], -v[148:149]
	;; [unrolled: 10-line block ×11, first 2 shown]
	ds_load_2addr_b64 v[148:151], v158 offset0:72 offset1:73
	s_waitcnt lgkmcnt(0)
	v_mul_f64 v[58:59], v[150:151], v[156:157]
	s_delay_alu instid0(VALU_DEP_1) | instskip(SKIP_1) | instid1(VALU_DEP_2)
	v_fma_f64 v[58:59], v[148:149], v[56:57], -v[58:59]
	v_mul_f64 v[148:149], v[148:149], v[156:157]
	v_add_f64 v[0:1], v[0:1], -v[58:59]
	s_delay_alu instid0(VALU_DEP_2) | instskip(SKIP_1) | instid1(VALU_DEP_2)
	v_fma_f64 v[148:149], v[150:151], v[56:57], v[148:149]
	v_dual_mov_b32 v58, v156 :: v_dual_mov_b32 v59, v157
	v_add_f64 v[2:3], v[2:3], -v[148:149]
.LBB72_524:
	s_or_b32 exec_lo, exec_lo, s2
	v_lshl_add_u32 v148, v164, 4, v158
	s_barrier
	buffer_gl0_inv
	v_mov_b32_e32 v156, 25
	ds_store_2addr_b64 v148, v[44:45], v[46:47] offset1:1
	s_waitcnt lgkmcnt(0)
	s_barrier
	buffer_gl0_inv
	ds_load_2addr_b64 v[148:151], v158 offset0:50 offset1:51
	s_cmp_lt_i32 s5, 27
	s_cbranch_scc1 .LBB72_527
; %bb.525:
	v_add3_u32 v157, v162, 0, 0x1a0
	v_mov_b32_e32 v156, 25
	s_mov_b32 s6, 26
	s_set_inst_prefetch_distance 0x1
	.p2align	6
.LBB72_526:                             ; =>This Inner Loop Header: Depth=1
	ds_load_2addr_b64 v[165:168], v157 offset1:1
	s_waitcnt lgkmcnt(1)
	v_cmp_gt_f64_e32 vcc_lo, 0, v[148:149]
	v_xor_b32_e32 v169, 0x80000000, v149
	v_cmp_gt_f64_e64 s2, 0, v[150:151]
	v_xor_b32_e32 v171, 0x80000000, v151
	v_add_nc_u32_e32 v157, 16, v157
	s_waitcnt lgkmcnt(0)
	v_cmp_gt_f64_e64 s3, 0, v[165:166]
	v_mov_b32_e32 v173, v165
	v_dual_mov_b32 v175, v167 :: v_dual_cndmask_b32 v170, v149, v169
	v_xor_b32_e32 v169, 0x80000000, v166
	v_cndmask_b32_e64 v172, v151, v171, s2
	v_xor_b32_e32 v171, 0x80000000, v168
	s_delay_alu instid0(VALU_DEP_3) | instskip(SKIP_2) | instid1(VALU_DEP_2)
	v_cndmask_b32_e64 v174, v166, v169, s3
	v_cmp_gt_f64_e64 s3, 0, v[167:168]
	v_cndmask_b32_e32 v169, v148, v148, vcc_lo
	v_cndmask_b32_e64 v176, v168, v171, s3
	v_cndmask_b32_e64 v171, v150, v150, s2
	s_delay_alu instid0(VALU_DEP_2) | instskip(NEXT) | instid1(VALU_DEP_2)
	v_add_f64 v[173:174], v[173:174], v[175:176]
	v_add_f64 v[169:170], v[169:170], v[171:172]
	s_delay_alu instid0(VALU_DEP_1) | instskip(SKIP_4) | instid1(SALU_CYCLE_1)
	v_cmp_lt_f64_e32 vcc_lo, v[169:170], v[173:174]
	v_dual_cndmask_b32 v150, v150, v167 :: v_dual_cndmask_b32 v149, v149, v166
	v_dual_cndmask_b32 v148, v148, v165 :: v_dual_cndmask_b32 v151, v151, v168
	v_cndmask_b32_e64 v156, v156, s6, vcc_lo
	s_add_i32 s6, s6, 1
	s_cmp_lg_u32 s5, s6
	s_cbranch_scc1 .LBB72_526
.LBB72_527:
	s_set_inst_prefetch_distance 0x2
	s_waitcnt lgkmcnt(0)
	v_cmp_eq_f64_e32 vcc_lo, 0, v[148:149]
	v_cmp_eq_f64_e64 s2, 0, v[150:151]
	s_delay_alu instid0(VALU_DEP_1) | instskip(NEXT) | instid1(SALU_CYCLE_1)
	s_and_b32 s2, vcc_lo, s2
	s_and_saveexec_b32 s3, s2
	s_delay_alu instid0(SALU_CYCLE_1)
	s_xor_b32 s2, exec_lo, s3
; %bb.528:
	v_cmp_ne_u32_e32 vcc_lo, 0, v161
	v_cndmask_b32_e32 v161, 26, v161, vcc_lo
; %bb.529:
	s_and_not1_saveexec_b32 s3, s2
	s_cbranch_execz .LBB72_535
; %bb.530:
	v_cmp_gt_f64_e32 vcc_lo, 0, v[148:149]
	v_cmp_gt_f64_e64 s2, 0, v[150:151]
	v_xor_b32_e32 v157, 0x80000000, v149
	v_xor_b32_e32 v165, 0x80000000, v151
	s_delay_alu instid0(VALU_DEP_2) | instskip(NEXT) | instid1(VALU_DEP_2)
	v_cndmask_b32_e32 v166, v149, v157, vcc_lo
	v_cndmask_b32_e64 v168, v151, v165, s2
	v_cndmask_b32_e32 v165, v148, v148, vcc_lo
	v_cndmask_b32_e64 v167, v150, v150, s2
	s_mov_b32 s2, exec_lo
	s_delay_alu instid0(VALU_DEP_1)
	v_cmpx_ngt_f64_e32 v[165:166], v[167:168]
	s_xor_b32 s2, exec_lo, s2
	s_cbranch_execz .LBB72_532
; %bb.531:
	v_div_scale_f64 v[165:166], null, v[150:151], v[150:151], v[148:149]
	v_div_scale_f64 v[171:172], vcc_lo, v[148:149], v[150:151], v[148:149]
	s_delay_alu instid0(VALU_DEP_2) | instskip(SKIP_2) | instid1(VALU_DEP_1)
	v_rcp_f64_e32 v[167:168], v[165:166]
	s_waitcnt_depctr 0xfff
	v_fma_f64 v[169:170], -v[165:166], v[167:168], 1.0
	v_fma_f64 v[167:168], v[167:168], v[169:170], v[167:168]
	s_delay_alu instid0(VALU_DEP_1) | instskip(NEXT) | instid1(VALU_DEP_1)
	v_fma_f64 v[169:170], -v[165:166], v[167:168], 1.0
	v_fma_f64 v[167:168], v[167:168], v[169:170], v[167:168]
	s_delay_alu instid0(VALU_DEP_1) | instskip(NEXT) | instid1(VALU_DEP_1)
	v_mul_f64 v[169:170], v[171:172], v[167:168]
	v_fma_f64 v[165:166], -v[165:166], v[169:170], v[171:172]
	s_delay_alu instid0(VALU_DEP_1) | instskip(NEXT) | instid1(VALU_DEP_1)
	v_div_fmas_f64 v[165:166], v[165:166], v[167:168], v[169:170]
	v_div_fixup_f64 v[165:166], v[165:166], v[150:151], v[148:149]
	s_delay_alu instid0(VALU_DEP_1) | instskip(NEXT) | instid1(VALU_DEP_1)
	v_fma_f64 v[148:149], v[148:149], v[165:166], v[150:151]
	v_div_scale_f64 v[150:151], null, v[148:149], v[148:149], 1.0
	s_delay_alu instid0(VALU_DEP_1) | instskip(SKIP_2) | instid1(VALU_DEP_1)
	v_rcp_f64_e32 v[167:168], v[150:151]
	s_waitcnt_depctr 0xfff
	v_fma_f64 v[169:170], -v[150:151], v[167:168], 1.0
	v_fma_f64 v[167:168], v[167:168], v[169:170], v[167:168]
	s_delay_alu instid0(VALU_DEP_1) | instskip(NEXT) | instid1(VALU_DEP_1)
	v_fma_f64 v[169:170], -v[150:151], v[167:168], 1.0
	v_fma_f64 v[167:168], v[167:168], v[169:170], v[167:168]
	v_div_scale_f64 v[169:170], vcc_lo, 1.0, v[148:149], 1.0
	s_delay_alu instid0(VALU_DEP_1) | instskip(NEXT) | instid1(VALU_DEP_1)
	v_mul_f64 v[171:172], v[169:170], v[167:168]
	v_fma_f64 v[150:151], -v[150:151], v[171:172], v[169:170]
	s_delay_alu instid0(VALU_DEP_1) | instskip(NEXT) | instid1(VALU_DEP_1)
	v_div_fmas_f64 v[150:151], v[150:151], v[167:168], v[171:172]
	v_div_fixup_f64 v[150:151], v[150:151], v[148:149], 1.0
	s_delay_alu instid0(VALU_DEP_1)
	v_mul_f64 v[148:149], v[165:166], v[150:151]
	v_xor_b32_e32 v151, 0x80000000, v151
.LBB72_532:
	s_and_not1_saveexec_b32 s2, s2
	s_cbranch_execz .LBB72_534
; %bb.533:
	s_delay_alu instid0(VALU_DEP_1) | instskip(SKIP_1) | instid1(VALU_DEP_2)
	v_div_scale_f64 v[165:166], null, v[148:149], v[148:149], v[150:151]
	v_div_scale_f64 v[171:172], vcc_lo, v[150:151], v[148:149], v[150:151]
	v_rcp_f64_e32 v[167:168], v[165:166]
	s_waitcnt_depctr 0xfff
	v_fma_f64 v[169:170], -v[165:166], v[167:168], 1.0
	s_delay_alu instid0(VALU_DEP_1) | instskip(NEXT) | instid1(VALU_DEP_1)
	v_fma_f64 v[167:168], v[167:168], v[169:170], v[167:168]
	v_fma_f64 v[169:170], -v[165:166], v[167:168], 1.0
	s_delay_alu instid0(VALU_DEP_1) | instskip(NEXT) | instid1(VALU_DEP_1)
	v_fma_f64 v[167:168], v[167:168], v[169:170], v[167:168]
	v_mul_f64 v[169:170], v[171:172], v[167:168]
	s_delay_alu instid0(VALU_DEP_1) | instskip(NEXT) | instid1(VALU_DEP_1)
	v_fma_f64 v[165:166], -v[165:166], v[169:170], v[171:172]
	v_div_fmas_f64 v[165:166], v[165:166], v[167:168], v[169:170]
	s_delay_alu instid0(VALU_DEP_1) | instskip(NEXT) | instid1(VALU_DEP_1)
	v_div_fixup_f64 v[165:166], v[165:166], v[148:149], v[150:151]
	v_fma_f64 v[148:149], v[150:151], v[165:166], v[148:149]
	s_delay_alu instid0(VALU_DEP_1) | instskip(NEXT) | instid1(VALU_DEP_1)
	v_div_scale_f64 v[150:151], null, v[148:149], v[148:149], 1.0
	v_rcp_f64_e32 v[167:168], v[150:151]
	s_waitcnt_depctr 0xfff
	v_fma_f64 v[169:170], -v[150:151], v[167:168], 1.0
	s_delay_alu instid0(VALU_DEP_1) | instskip(NEXT) | instid1(VALU_DEP_1)
	v_fma_f64 v[167:168], v[167:168], v[169:170], v[167:168]
	v_fma_f64 v[169:170], -v[150:151], v[167:168], 1.0
	s_delay_alu instid0(VALU_DEP_1) | instskip(SKIP_1) | instid1(VALU_DEP_1)
	v_fma_f64 v[167:168], v[167:168], v[169:170], v[167:168]
	v_div_scale_f64 v[169:170], vcc_lo, 1.0, v[148:149], 1.0
	v_mul_f64 v[171:172], v[169:170], v[167:168]
	s_delay_alu instid0(VALU_DEP_1) | instskip(NEXT) | instid1(VALU_DEP_1)
	v_fma_f64 v[150:151], -v[150:151], v[171:172], v[169:170]
	v_div_fmas_f64 v[150:151], v[150:151], v[167:168], v[171:172]
	s_delay_alu instid0(VALU_DEP_1) | instskip(NEXT) | instid1(VALU_DEP_1)
	v_div_fixup_f64 v[148:149], v[150:151], v[148:149], 1.0
	v_mul_f64 v[150:151], v[165:166], -v[148:149]
.LBB72_534:
	s_or_b32 exec_lo, exec_lo, s2
.LBB72_535:
	s_delay_alu instid0(SALU_CYCLE_1) | instskip(NEXT) | instid1(SALU_CYCLE_1)
	s_or_b32 exec_lo, exec_lo, s3
	s_mov_b32 s2, exec_lo
	v_cmpx_ne_u32_e64 v164, v156
	s_xor_b32 s2, exec_lo, s2
	s_cbranch_execz .LBB72_541
; %bb.536:
	s_mov_b32 s3, exec_lo
	v_cmpx_eq_u32_e32 25, v164
	s_cbranch_execz .LBB72_540
; %bb.537:
	v_cmp_ne_u32_e32 vcc_lo, 25, v156
	s_xor_b32 s6, s4, -1
	s_delay_alu instid0(SALU_CYCLE_1) | instskip(NEXT) | instid1(SALU_CYCLE_1)
	s_and_b32 s7, s6, vcc_lo
	s_and_saveexec_b32 s6, s7
	s_cbranch_execz .LBB72_539
; %bb.538:
	v_ashrrev_i32_e32 v157, 31, v156
	s_delay_alu instid0(VALU_DEP_1) | instskip(NEXT) | instid1(VALU_DEP_1)
	v_lshlrev_b64 v[163:164], 2, v[156:157]
	v_add_co_u32 v163, vcc_lo, v154, v163
	s_delay_alu instid0(VALU_DEP_2)
	v_add_co_ci_u32_e32 v164, vcc_lo, v155, v164, vcc_lo
	s_clause 0x1
	flat_load_b32 v157, v[163:164]
	flat_load_b32 v165, v[154:155] offset:100
	s_waitcnt vmcnt(1) lgkmcnt(1)
	flat_store_b32 v[154:155], v157 offset:100
	s_waitcnt vmcnt(0) lgkmcnt(1)
	flat_store_b32 v[163:164], v165
.LBB72_539:
	s_or_b32 exec_lo, exec_lo, s6
	v_mov_b32_e32 v164, v156
	v_mov_b32_e32 v163, v156
.LBB72_540:
	s_or_b32 exec_lo, exec_lo, s3
.LBB72_541:
	s_and_not1_saveexec_b32 s2, s2
	s_cbranch_execz .LBB72_543
; %bb.542:
	v_mov_b32_e32 v164, 25
	ds_store_2addr_b64 v158, v[40:41], v[42:43] offset0:52 offset1:53
	ds_store_2addr_b64 v158, v[36:37], v[38:39] offset0:54 offset1:55
	;; [unrolled: 1-line block ×11, first 2 shown]
.LBB72_543:
	s_or_b32 exec_lo, exec_lo, s2
	s_delay_alu instid0(SALU_CYCLE_1)
	s_mov_b32 s2, exec_lo
	s_waitcnt lgkmcnt(0)
	s_waitcnt_vscnt null, 0x0
	s_barrier
	buffer_gl0_inv
	v_cmpx_lt_i32_e32 25, v164
	s_cbranch_execz .LBB72_545
; %bb.544:
	v_mul_f64 v[156:157], v[148:149], v[46:47]
	v_mul_f64 v[46:47], v[150:151], v[46:47]
	ds_load_2addr_b64 v[165:168], v158 offset0:52 offset1:53
	ds_load_2addr_b64 v[169:172], v158 offset0:54 offset1:55
	;; [unrolled: 1-line block ×11, first 2 shown]
	v_fma_f64 v[150:151], v[150:151], v[44:45], v[156:157]
	v_fma_f64 v[44:45], v[148:149], v[44:45], -v[46:47]
	s_waitcnt lgkmcnt(10)
	s_delay_alu instid0(VALU_DEP_2)
	v_mul_f64 v[46:47], v[167:168], v[150:151]
	v_mul_f64 v[148:149], v[165:166], v[150:151]
	s_waitcnt lgkmcnt(9)
	v_mul_f64 v[156:157], v[171:172], v[150:151]
	v_mul_f64 v[209:210], v[169:170], v[150:151]
	s_waitcnt lgkmcnt(8)
	;; [unrolled: 3-line block ×10, first 2 shown]
	v_mul_f64 v[243:244], v[207:208], v[150:151]
	v_mul_f64 v[245:246], v[205:206], v[150:151]
	v_fma_f64 v[46:47], v[165:166], v[44:45], -v[46:47]
	v_fma_f64 v[148:149], v[167:168], v[44:45], v[148:149]
	v_fma_f64 v[156:157], v[169:170], v[44:45], -v[156:157]
	v_fma_f64 v[165:166], v[171:172], v[44:45], v[209:210]
	;; [unrolled: 2-line block ×11, first 2 shown]
	v_add_f64 v[40:41], v[40:41], -v[46:47]
	v_add_f64 v[42:43], v[42:43], -v[148:149]
	;; [unrolled: 1-line block ×22, first 2 shown]
	v_dual_mov_b32 v46, v150 :: v_dual_mov_b32 v47, v151
.LBB72_545:
	s_or_b32 exec_lo, exec_lo, s2
	v_lshl_add_u32 v148, v164, 4, v158
	s_barrier
	buffer_gl0_inv
	v_mov_b32_e32 v156, 26
	ds_store_2addr_b64 v148, v[40:41], v[42:43] offset1:1
	s_waitcnt lgkmcnt(0)
	s_barrier
	buffer_gl0_inv
	ds_load_2addr_b64 v[148:151], v158 offset0:52 offset1:53
	s_cmp_lt_i32 s5, 28
	s_cbranch_scc1 .LBB72_548
; %bb.546:
	v_add3_u32 v157, v162, 0, 0x1b0
	v_mov_b32_e32 v156, 26
	s_mov_b32 s6, 27
	s_set_inst_prefetch_distance 0x1
	.p2align	6
.LBB72_547:                             ; =>This Inner Loop Header: Depth=1
	ds_load_2addr_b64 v[165:168], v157 offset1:1
	s_waitcnt lgkmcnt(1)
	v_cmp_gt_f64_e32 vcc_lo, 0, v[148:149]
	v_xor_b32_e32 v169, 0x80000000, v149
	v_cmp_gt_f64_e64 s2, 0, v[150:151]
	v_xor_b32_e32 v171, 0x80000000, v151
	v_add_nc_u32_e32 v157, 16, v157
	s_waitcnt lgkmcnt(0)
	v_cmp_gt_f64_e64 s3, 0, v[165:166]
	v_mov_b32_e32 v173, v165
	v_dual_mov_b32 v175, v167 :: v_dual_cndmask_b32 v170, v149, v169
	v_xor_b32_e32 v169, 0x80000000, v166
	v_cndmask_b32_e64 v172, v151, v171, s2
	v_xor_b32_e32 v171, 0x80000000, v168
	s_delay_alu instid0(VALU_DEP_3) | instskip(SKIP_2) | instid1(VALU_DEP_2)
	v_cndmask_b32_e64 v174, v166, v169, s3
	v_cmp_gt_f64_e64 s3, 0, v[167:168]
	v_cndmask_b32_e32 v169, v148, v148, vcc_lo
	v_cndmask_b32_e64 v176, v168, v171, s3
	v_cndmask_b32_e64 v171, v150, v150, s2
	s_delay_alu instid0(VALU_DEP_2) | instskip(NEXT) | instid1(VALU_DEP_2)
	v_add_f64 v[173:174], v[173:174], v[175:176]
	v_add_f64 v[169:170], v[169:170], v[171:172]
	s_delay_alu instid0(VALU_DEP_1) | instskip(SKIP_4) | instid1(SALU_CYCLE_1)
	v_cmp_lt_f64_e32 vcc_lo, v[169:170], v[173:174]
	v_dual_cndmask_b32 v150, v150, v167 :: v_dual_cndmask_b32 v149, v149, v166
	v_dual_cndmask_b32 v148, v148, v165 :: v_dual_cndmask_b32 v151, v151, v168
	v_cndmask_b32_e64 v156, v156, s6, vcc_lo
	s_add_i32 s6, s6, 1
	s_cmp_lg_u32 s5, s6
	s_cbranch_scc1 .LBB72_547
.LBB72_548:
	s_set_inst_prefetch_distance 0x2
	s_waitcnt lgkmcnt(0)
	v_cmp_eq_f64_e32 vcc_lo, 0, v[148:149]
	v_cmp_eq_f64_e64 s2, 0, v[150:151]
	s_delay_alu instid0(VALU_DEP_1) | instskip(NEXT) | instid1(SALU_CYCLE_1)
	s_and_b32 s2, vcc_lo, s2
	s_and_saveexec_b32 s3, s2
	s_delay_alu instid0(SALU_CYCLE_1)
	s_xor_b32 s2, exec_lo, s3
; %bb.549:
	v_cmp_ne_u32_e32 vcc_lo, 0, v161
	v_cndmask_b32_e32 v161, 27, v161, vcc_lo
; %bb.550:
	s_and_not1_saveexec_b32 s3, s2
	s_cbranch_execz .LBB72_556
; %bb.551:
	v_cmp_gt_f64_e32 vcc_lo, 0, v[148:149]
	v_cmp_gt_f64_e64 s2, 0, v[150:151]
	v_xor_b32_e32 v157, 0x80000000, v149
	v_xor_b32_e32 v165, 0x80000000, v151
	s_delay_alu instid0(VALU_DEP_2) | instskip(NEXT) | instid1(VALU_DEP_2)
	v_cndmask_b32_e32 v166, v149, v157, vcc_lo
	v_cndmask_b32_e64 v168, v151, v165, s2
	v_cndmask_b32_e32 v165, v148, v148, vcc_lo
	v_cndmask_b32_e64 v167, v150, v150, s2
	s_mov_b32 s2, exec_lo
	s_delay_alu instid0(VALU_DEP_1)
	v_cmpx_ngt_f64_e32 v[165:166], v[167:168]
	s_xor_b32 s2, exec_lo, s2
	s_cbranch_execz .LBB72_553
; %bb.552:
	v_div_scale_f64 v[165:166], null, v[150:151], v[150:151], v[148:149]
	v_div_scale_f64 v[171:172], vcc_lo, v[148:149], v[150:151], v[148:149]
	s_delay_alu instid0(VALU_DEP_2) | instskip(SKIP_2) | instid1(VALU_DEP_1)
	v_rcp_f64_e32 v[167:168], v[165:166]
	s_waitcnt_depctr 0xfff
	v_fma_f64 v[169:170], -v[165:166], v[167:168], 1.0
	v_fma_f64 v[167:168], v[167:168], v[169:170], v[167:168]
	s_delay_alu instid0(VALU_DEP_1) | instskip(NEXT) | instid1(VALU_DEP_1)
	v_fma_f64 v[169:170], -v[165:166], v[167:168], 1.0
	v_fma_f64 v[167:168], v[167:168], v[169:170], v[167:168]
	s_delay_alu instid0(VALU_DEP_1) | instskip(NEXT) | instid1(VALU_DEP_1)
	v_mul_f64 v[169:170], v[171:172], v[167:168]
	v_fma_f64 v[165:166], -v[165:166], v[169:170], v[171:172]
	s_delay_alu instid0(VALU_DEP_1) | instskip(NEXT) | instid1(VALU_DEP_1)
	v_div_fmas_f64 v[165:166], v[165:166], v[167:168], v[169:170]
	v_div_fixup_f64 v[165:166], v[165:166], v[150:151], v[148:149]
	s_delay_alu instid0(VALU_DEP_1) | instskip(NEXT) | instid1(VALU_DEP_1)
	v_fma_f64 v[148:149], v[148:149], v[165:166], v[150:151]
	v_div_scale_f64 v[150:151], null, v[148:149], v[148:149], 1.0
	s_delay_alu instid0(VALU_DEP_1) | instskip(SKIP_2) | instid1(VALU_DEP_1)
	v_rcp_f64_e32 v[167:168], v[150:151]
	s_waitcnt_depctr 0xfff
	v_fma_f64 v[169:170], -v[150:151], v[167:168], 1.0
	v_fma_f64 v[167:168], v[167:168], v[169:170], v[167:168]
	s_delay_alu instid0(VALU_DEP_1) | instskip(NEXT) | instid1(VALU_DEP_1)
	v_fma_f64 v[169:170], -v[150:151], v[167:168], 1.0
	v_fma_f64 v[167:168], v[167:168], v[169:170], v[167:168]
	v_div_scale_f64 v[169:170], vcc_lo, 1.0, v[148:149], 1.0
	s_delay_alu instid0(VALU_DEP_1) | instskip(NEXT) | instid1(VALU_DEP_1)
	v_mul_f64 v[171:172], v[169:170], v[167:168]
	v_fma_f64 v[150:151], -v[150:151], v[171:172], v[169:170]
	s_delay_alu instid0(VALU_DEP_1) | instskip(NEXT) | instid1(VALU_DEP_1)
	v_div_fmas_f64 v[150:151], v[150:151], v[167:168], v[171:172]
	v_div_fixup_f64 v[150:151], v[150:151], v[148:149], 1.0
	s_delay_alu instid0(VALU_DEP_1)
	v_mul_f64 v[148:149], v[165:166], v[150:151]
	v_xor_b32_e32 v151, 0x80000000, v151
.LBB72_553:
	s_and_not1_saveexec_b32 s2, s2
	s_cbranch_execz .LBB72_555
; %bb.554:
	s_delay_alu instid0(VALU_DEP_1) | instskip(SKIP_1) | instid1(VALU_DEP_2)
	v_div_scale_f64 v[165:166], null, v[148:149], v[148:149], v[150:151]
	v_div_scale_f64 v[171:172], vcc_lo, v[150:151], v[148:149], v[150:151]
	v_rcp_f64_e32 v[167:168], v[165:166]
	s_waitcnt_depctr 0xfff
	v_fma_f64 v[169:170], -v[165:166], v[167:168], 1.0
	s_delay_alu instid0(VALU_DEP_1) | instskip(NEXT) | instid1(VALU_DEP_1)
	v_fma_f64 v[167:168], v[167:168], v[169:170], v[167:168]
	v_fma_f64 v[169:170], -v[165:166], v[167:168], 1.0
	s_delay_alu instid0(VALU_DEP_1) | instskip(NEXT) | instid1(VALU_DEP_1)
	v_fma_f64 v[167:168], v[167:168], v[169:170], v[167:168]
	v_mul_f64 v[169:170], v[171:172], v[167:168]
	s_delay_alu instid0(VALU_DEP_1) | instskip(NEXT) | instid1(VALU_DEP_1)
	v_fma_f64 v[165:166], -v[165:166], v[169:170], v[171:172]
	v_div_fmas_f64 v[165:166], v[165:166], v[167:168], v[169:170]
	s_delay_alu instid0(VALU_DEP_1) | instskip(NEXT) | instid1(VALU_DEP_1)
	v_div_fixup_f64 v[165:166], v[165:166], v[148:149], v[150:151]
	v_fma_f64 v[148:149], v[150:151], v[165:166], v[148:149]
	s_delay_alu instid0(VALU_DEP_1) | instskip(NEXT) | instid1(VALU_DEP_1)
	v_div_scale_f64 v[150:151], null, v[148:149], v[148:149], 1.0
	v_rcp_f64_e32 v[167:168], v[150:151]
	s_waitcnt_depctr 0xfff
	v_fma_f64 v[169:170], -v[150:151], v[167:168], 1.0
	s_delay_alu instid0(VALU_DEP_1) | instskip(NEXT) | instid1(VALU_DEP_1)
	v_fma_f64 v[167:168], v[167:168], v[169:170], v[167:168]
	v_fma_f64 v[169:170], -v[150:151], v[167:168], 1.0
	s_delay_alu instid0(VALU_DEP_1) | instskip(SKIP_1) | instid1(VALU_DEP_1)
	v_fma_f64 v[167:168], v[167:168], v[169:170], v[167:168]
	v_div_scale_f64 v[169:170], vcc_lo, 1.0, v[148:149], 1.0
	v_mul_f64 v[171:172], v[169:170], v[167:168]
	s_delay_alu instid0(VALU_DEP_1) | instskip(NEXT) | instid1(VALU_DEP_1)
	v_fma_f64 v[150:151], -v[150:151], v[171:172], v[169:170]
	v_div_fmas_f64 v[150:151], v[150:151], v[167:168], v[171:172]
	s_delay_alu instid0(VALU_DEP_1) | instskip(NEXT) | instid1(VALU_DEP_1)
	v_div_fixup_f64 v[148:149], v[150:151], v[148:149], 1.0
	v_mul_f64 v[150:151], v[165:166], -v[148:149]
.LBB72_555:
	s_or_b32 exec_lo, exec_lo, s2
.LBB72_556:
	s_delay_alu instid0(SALU_CYCLE_1) | instskip(NEXT) | instid1(SALU_CYCLE_1)
	s_or_b32 exec_lo, exec_lo, s3
	s_mov_b32 s2, exec_lo
	v_cmpx_ne_u32_e64 v164, v156
	s_xor_b32 s2, exec_lo, s2
	s_cbranch_execz .LBB72_562
; %bb.557:
	s_mov_b32 s3, exec_lo
	v_cmpx_eq_u32_e32 26, v164
	s_cbranch_execz .LBB72_561
; %bb.558:
	v_cmp_ne_u32_e32 vcc_lo, 26, v156
	s_xor_b32 s6, s4, -1
	s_delay_alu instid0(SALU_CYCLE_1) | instskip(NEXT) | instid1(SALU_CYCLE_1)
	s_and_b32 s7, s6, vcc_lo
	s_and_saveexec_b32 s6, s7
	s_cbranch_execz .LBB72_560
; %bb.559:
	v_ashrrev_i32_e32 v157, 31, v156
	s_delay_alu instid0(VALU_DEP_1) | instskip(NEXT) | instid1(VALU_DEP_1)
	v_lshlrev_b64 v[163:164], 2, v[156:157]
	v_add_co_u32 v163, vcc_lo, v154, v163
	s_delay_alu instid0(VALU_DEP_2)
	v_add_co_ci_u32_e32 v164, vcc_lo, v155, v164, vcc_lo
	s_clause 0x1
	flat_load_b32 v157, v[163:164]
	flat_load_b32 v165, v[154:155] offset:104
	s_waitcnt vmcnt(1) lgkmcnt(1)
	flat_store_b32 v[154:155], v157 offset:104
	s_waitcnt vmcnt(0) lgkmcnt(1)
	flat_store_b32 v[163:164], v165
.LBB72_560:
	s_or_b32 exec_lo, exec_lo, s6
	v_mov_b32_e32 v164, v156
	v_mov_b32_e32 v163, v156
.LBB72_561:
	s_or_b32 exec_lo, exec_lo, s3
.LBB72_562:
	s_and_not1_saveexec_b32 s2, s2
	s_cbranch_execz .LBB72_564
; %bb.563:
	v_mov_b32_e32 v164, 26
	ds_store_2addr_b64 v158, v[36:37], v[38:39] offset0:54 offset1:55
	ds_store_2addr_b64 v158, v[32:33], v[34:35] offset0:56 offset1:57
	;; [unrolled: 1-line block ×10, first 2 shown]
.LBB72_564:
	s_or_b32 exec_lo, exec_lo, s2
	s_delay_alu instid0(SALU_CYCLE_1)
	s_mov_b32 s2, exec_lo
	s_waitcnt lgkmcnt(0)
	s_waitcnt_vscnt null, 0x0
	s_barrier
	buffer_gl0_inv
	v_cmpx_lt_i32_e32 26, v164
	s_cbranch_execz .LBB72_566
; %bb.565:
	v_mul_f64 v[156:157], v[148:149], v[42:43]
	v_mul_f64 v[42:43], v[150:151], v[42:43]
	ds_load_2addr_b64 v[165:168], v158 offset0:54 offset1:55
	ds_load_2addr_b64 v[169:172], v158 offset0:56 offset1:57
	;; [unrolled: 1-line block ×10, first 2 shown]
	v_fma_f64 v[150:151], v[150:151], v[40:41], v[156:157]
	v_fma_f64 v[40:41], v[148:149], v[40:41], -v[42:43]
	s_waitcnt lgkmcnt(9)
	s_delay_alu instid0(VALU_DEP_2)
	v_mul_f64 v[42:43], v[167:168], v[150:151]
	v_mul_f64 v[148:149], v[165:166], v[150:151]
	s_waitcnt lgkmcnt(8)
	v_mul_f64 v[156:157], v[171:172], v[150:151]
	v_mul_f64 v[205:206], v[169:170], v[150:151]
	s_waitcnt lgkmcnt(7)
	;; [unrolled: 3-line block ×9, first 2 shown]
	v_mul_f64 v[235:236], v[203:204], v[150:151]
	v_mul_f64 v[237:238], v[201:202], v[150:151]
	v_fma_f64 v[42:43], v[165:166], v[40:41], -v[42:43]
	v_fma_f64 v[148:149], v[167:168], v[40:41], v[148:149]
	v_fma_f64 v[156:157], v[169:170], v[40:41], -v[156:157]
	v_fma_f64 v[165:166], v[171:172], v[40:41], v[205:206]
	;; [unrolled: 2-line block ×10, first 2 shown]
	v_add_f64 v[36:37], v[36:37], -v[42:43]
	v_add_f64 v[38:39], v[38:39], -v[148:149]
	;; [unrolled: 1-line block ×20, first 2 shown]
	v_dual_mov_b32 v42, v150 :: v_dual_mov_b32 v43, v151
.LBB72_566:
	s_or_b32 exec_lo, exec_lo, s2
	v_lshl_add_u32 v148, v164, 4, v158
	s_barrier
	buffer_gl0_inv
	v_mov_b32_e32 v156, 27
	ds_store_2addr_b64 v148, v[36:37], v[38:39] offset1:1
	s_waitcnt lgkmcnt(0)
	s_barrier
	buffer_gl0_inv
	ds_load_2addr_b64 v[148:151], v158 offset0:54 offset1:55
	s_cmp_lt_i32 s5, 29
	s_cbranch_scc1 .LBB72_569
; %bb.567:
	v_add3_u32 v157, v162, 0, 0x1c0
	v_mov_b32_e32 v156, 27
	s_mov_b32 s6, 28
	s_set_inst_prefetch_distance 0x1
	.p2align	6
.LBB72_568:                             ; =>This Inner Loop Header: Depth=1
	ds_load_2addr_b64 v[165:168], v157 offset1:1
	s_waitcnt lgkmcnt(1)
	v_cmp_gt_f64_e32 vcc_lo, 0, v[148:149]
	v_xor_b32_e32 v169, 0x80000000, v149
	v_cmp_gt_f64_e64 s2, 0, v[150:151]
	v_xor_b32_e32 v171, 0x80000000, v151
	v_add_nc_u32_e32 v157, 16, v157
	s_waitcnt lgkmcnt(0)
	v_cmp_gt_f64_e64 s3, 0, v[165:166]
	v_mov_b32_e32 v173, v165
	v_dual_mov_b32 v175, v167 :: v_dual_cndmask_b32 v170, v149, v169
	v_xor_b32_e32 v169, 0x80000000, v166
	v_cndmask_b32_e64 v172, v151, v171, s2
	v_xor_b32_e32 v171, 0x80000000, v168
	s_delay_alu instid0(VALU_DEP_3) | instskip(SKIP_2) | instid1(VALU_DEP_2)
	v_cndmask_b32_e64 v174, v166, v169, s3
	v_cmp_gt_f64_e64 s3, 0, v[167:168]
	v_cndmask_b32_e32 v169, v148, v148, vcc_lo
	v_cndmask_b32_e64 v176, v168, v171, s3
	v_cndmask_b32_e64 v171, v150, v150, s2
	s_delay_alu instid0(VALU_DEP_2) | instskip(NEXT) | instid1(VALU_DEP_2)
	v_add_f64 v[173:174], v[173:174], v[175:176]
	v_add_f64 v[169:170], v[169:170], v[171:172]
	s_delay_alu instid0(VALU_DEP_1) | instskip(SKIP_4) | instid1(SALU_CYCLE_1)
	v_cmp_lt_f64_e32 vcc_lo, v[169:170], v[173:174]
	v_dual_cndmask_b32 v150, v150, v167 :: v_dual_cndmask_b32 v149, v149, v166
	v_dual_cndmask_b32 v148, v148, v165 :: v_dual_cndmask_b32 v151, v151, v168
	v_cndmask_b32_e64 v156, v156, s6, vcc_lo
	s_add_i32 s6, s6, 1
	s_cmp_lg_u32 s5, s6
	s_cbranch_scc1 .LBB72_568
.LBB72_569:
	s_set_inst_prefetch_distance 0x2
	s_waitcnt lgkmcnt(0)
	v_cmp_eq_f64_e32 vcc_lo, 0, v[148:149]
	v_cmp_eq_f64_e64 s2, 0, v[150:151]
	s_delay_alu instid0(VALU_DEP_1) | instskip(NEXT) | instid1(SALU_CYCLE_1)
	s_and_b32 s2, vcc_lo, s2
	s_and_saveexec_b32 s3, s2
	s_delay_alu instid0(SALU_CYCLE_1)
	s_xor_b32 s2, exec_lo, s3
; %bb.570:
	v_cmp_ne_u32_e32 vcc_lo, 0, v161
	v_cndmask_b32_e32 v161, 28, v161, vcc_lo
; %bb.571:
	s_and_not1_saveexec_b32 s3, s2
	s_cbranch_execz .LBB72_577
; %bb.572:
	v_cmp_gt_f64_e32 vcc_lo, 0, v[148:149]
	v_cmp_gt_f64_e64 s2, 0, v[150:151]
	v_xor_b32_e32 v157, 0x80000000, v149
	v_xor_b32_e32 v165, 0x80000000, v151
	s_delay_alu instid0(VALU_DEP_2) | instskip(NEXT) | instid1(VALU_DEP_2)
	v_cndmask_b32_e32 v166, v149, v157, vcc_lo
	v_cndmask_b32_e64 v168, v151, v165, s2
	v_cndmask_b32_e32 v165, v148, v148, vcc_lo
	v_cndmask_b32_e64 v167, v150, v150, s2
	s_mov_b32 s2, exec_lo
	s_delay_alu instid0(VALU_DEP_1)
	v_cmpx_ngt_f64_e32 v[165:166], v[167:168]
	s_xor_b32 s2, exec_lo, s2
	s_cbranch_execz .LBB72_574
; %bb.573:
	v_div_scale_f64 v[165:166], null, v[150:151], v[150:151], v[148:149]
	v_div_scale_f64 v[171:172], vcc_lo, v[148:149], v[150:151], v[148:149]
	s_delay_alu instid0(VALU_DEP_2) | instskip(SKIP_2) | instid1(VALU_DEP_1)
	v_rcp_f64_e32 v[167:168], v[165:166]
	s_waitcnt_depctr 0xfff
	v_fma_f64 v[169:170], -v[165:166], v[167:168], 1.0
	v_fma_f64 v[167:168], v[167:168], v[169:170], v[167:168]
	s_delay_alu instid0(VALU_DEP_1) | instskip(NEXT) | instid1(VALU_DEP_1)
	v_fma_f64 v[169:170], -v[165:166], v[167:168], 1.0
	v_fma_f64 v[167:168], v[167:168], v[169:170], v[167:168]
	s_delay_alu instid0(VALU_DEP_1) | instskip(NEXT) | instid1(VALU_DEP_1)
	v_mul_f64 v[169:170], v[171:172], v[167:168]
	v_fma_f64 v[165:166], -v[165:166], v[169:170], v[171:172]
	s_delay_alu instid0(VALU_DEP_1) | instskip(NEXT) | instid1(VALU_DEP_1)
	v_div_fmas_f64 v[165:166], v[165:166], v[167:168], v[169:170]
	v_div_fixup_f64 v[165:166], v[165:166], v[150:151], v[148:149]
	s_delay_alu instid0(VALU_DEP_1) | instskip(NEXT) | instid1(VALU_DEP_1)
	v_fma_f64 v[148:149], v[148:149], v[165:166], v[150:151]
	v_div_scale_f64 v[150:151], null, v[148:149], v[148:149], 1.0
	s_delay_alu instid0(VALU_DEP_1) | instskip(SKIP_2) | instid1(VALU_DEP_1)
	v_rcp_f64_e32 v[167:168], v[150:151]
	s_waitcnt_depctr 0xfff
	v_fma_f64 v[169:170], -v[150:151], v[167:168], 1.0
	v_fma_f64 v[167:168], v[167:168], v[169:170], v[167:168]
	s_delay_alu instid0(VALU_DEP_1) | instskip(NEXT) | instid1(VALU_DEP_1)
	v_fma_f64 v[169:170], -v[150:151], v[167:168], 1.0
	v_fma_f64 v[167:168], v[167:168], v[169:170], v[167:168]
	v_div_scale_f64 v[169:170], vcc_lo, 1.0, v[148:149], 1.0
	s_delay_alu instid0(VALU_DEP_1) | instskip(NEXT) | instid1(VALU_DEP_1)
	v_mul_f64 v[171:172], v[169:170], v[167:168]
	v_fma_f64 v[150:151], -v[150:151], v[171:172], v[169:170]
	s_delay_alu instid0(VALU_DEP_1) | instskip(NEXT) | instid1(VALU_DEP_1)
	v_div_fmas_f64 v[150:151], v[150:151], v[167:168], v[171:172]
	v_div_fixup_f64 v[150:151], v[150:151], v[148:149], 1.0
	s_delay_alu instid0(VALU_DEP_1)
	v_mul_f64 v[148:149], v[165:166], v[150:151]
	v_xor_b32_e32 v151, 0x80000000, v151
.LBB72_574:
	s_and_not1_saveexec_b32 s2, s2
	s_cbranch_execz .LBB72_576
; %bb.575:
	s_delay_alu instid0(VALU_DEP_1) | instskip(SKIP_1) | instid1(VALU_DEP_2)
	v_div_scale_f64 v[165:166], null, v[148:149], v[148:149], v[150:151]
	v_div_scale_f64 v[171:172], vcc_lo, v[150:151], v[148:149], v[150:151]
	v_rcp_f64_e32 v[167:168], v[165:166]
	s_waitcnt_depctr 0xfff
	v_fma_f64 v[169:170], -v[165:166], v[167:168], 1.0
	s_delay_alu instid0(VALU_DEP_1) | instskip(NEXT) | instid1(VALU_DEP_1)
	v_fma_f64 v[167:168], v[167:168], v[169:170], v[167:168]
	v_fma_f64 v[169:170], -v[165:166], v[167:168], 1.0
	s_delay_alu instid0(VALU_DEP_1) | instskip(NEXT) | instid1(VALU_DEP_1)
	v_fma_f64 v[167:168], v[167:168], v[169:170], v[167:168]
	v_mul_f64 v[169:170], v[171:172], v[167:168]
	s_delay_alu instid0(VALU_DEP_1) | instskip(NEXT) | instid1(VALU_DEP_1)
	v_fma_f64 v[165:166], -v[165:166], v[169:170], v[171:172]
	v_div_fmas_f64 v[165:166], v[165:166], v[167:168], v[169:170]
	s_delay_alu instid0(VALU_DEP_1) | instskip(NEXT) | instid1(VALU_DEP_1)
	v_div_fixup_f64 v[165:166], v[165:166], v[148:149], v[150:151]
	v_fma_f64 v[148:149], v[150:151], v[165:166], v[148:149]
	s_delay_alu instid0(VALU_DEP_1) | instskip(NEXT) | instid1(VALU_DEP_1)
	v_div_scale_f64 v[150:151], null, v[148:149], v[148:149], 1.0
	v_rcp_f64_e32 v[167:168], v[150:151]
	s_waitcnt_depctr 0xfff
	v_fma_f64 v[169:170], -v[150:151], v[167:168], 1.0
	s_delay_alu instid0(VALU_DEP_1) | instskip(NEXT) | instid1(VALU_DEP_1)
	v_fma_f64 v[167:168], v[167:168], v[169:170], v[167:168]
	v_fma_f64 v[169:170], -v[150:151], v[167:168], 1.0
	s_delay_alu instid0(VALU_DEP_1) | instskip(SKIP_1) | instid1(VALU_DEP_1)
	v_fma_f64 v[167:168], v[167:168], v[169:170], v[167:168]
	v_div_scale_f64 v[169:170], vcc_lo, 1.0, v[148:149], 1.0
	v_mul_f64 v[171:172], v[169:170], v[167:168]
	s_delay_alu instid0(VALU_DEP_1) | instskip(NEXT) | instid1(VALU_DEP_1)
	v_fma_f64 v[150:151], -v[150:151], v[171:172], v[169:170]
	v_div_fmas_f64 v[150:151], v[150:151], v[167:168], v[171:172]
	s_delay_alu instid0(VALU_DEP_1) | instskip(NEXT) | instid1(VALU_DEP_1)
	v_div_fixup_f64 v[148:149], v[150:151], v[148:149], 1.0
	v_mul_f64 v[150:151], v[165:166], -v[148:149]
.LBB72_576:
	s_or_b32 exec_lo, exec_lo, s2
.LBB72_577:
	s_delay_alu instid0(SALU_CYCLE_1) | instskip(NEXT) | instid1(SALU_CYCLE_1)
	s_or_b32 exec_lo, exec_lo, s3
	s_mov_b32 s2, exec_lo
	v_cmpx_ne_u32_e64 v164, v156
	s_xor_b32 s2, exec_lo, s2
	s_cbranch_execz .LBB72_583
; %bb.578:
	s_mov_b32 s3, exec_lo
	v_cmpx_eq_u32_e32 27, v164
	s_cbranch_execz .LBB72_582
; %bb.579:
	v_cmp_ne_u32_e32 vcc_lo, 27, v156
	s_xor_b32 s6, s4, -1
	s_delay_alu instid0(SALU_CYCLE_1) | instskip(NEXT) | instid1(SALU_CYCLE_1)
	s_and_b32 s7, s6, vcc_lo
	s_and_saveexec_b32 s6, s7
	s_cbranch_execz .LBB72_581
; %bb.580:
	v_ashrrev_i32_e32 v157, 31, v156
	s_delay_alu instid0(VALU_DEP_1) | instskip(NEXT) | instid1(VALU_DEP_1)
	v_lshlrev_b64 v[163:164], 2, v[156:157]
	v_add_co_u32 v163, vcc_lo, v154, v163
	s_delay_alu instid0(VALU_DEP_2)
	v_add_co_ci_u32_e32 v164, vcc_lo, v155, v164, vcc_lo
	s_clause 0x1
	flat_load_b32 v157, v[163:164]
	flat_load_b32 v165, v[154:155] offset:108
	s_waitcnt vmcnt(1) lgkmcnt(1)
	flat_store_b32 v[154:155], v157 offset:108
	s_waitcnt vmcnt(0) lgkmcnt(1)
	flat_store_b32 v[163:164], v165
.LBB72_581:
	s_or_b32 exec_lo, exec_lo, s6
	v_mov_b32_e32 v164, v156
	v_mov_b32_e32 v163, v156
.LBB72_582:
	s_or_b32 exec_lo, exec_lo, s3
.LBB72_583:
	s_and_not1_saveexec_b32 s2, s2
	s_cbranch_execz .LBB72_585
; %bb.584:
	v_mov_b32_e32 v164, 27
	ds_store_2addr_b64 v158, v[32:33], v[34:35] offset0:56 offset1:57
	ds_store_2addr_b64 v158, v[28:29], v[30:31] offset0:58 offset1:59
	;; [unrolled: 1-line block ×9, first 2 shown]
.LBB72_585:
	s_or_b32 exec_lo, exec_lo, s2
	s_delay_alu instid0(SALU_CYCLE_1)
	s_mov_b32 s2, exec_lo
	s_waitcnt lgkmcnt(0)
	s_waitcnt_vscnt null, 0x0
	s_barrier
	buffer_gl0_inv
	v_cmpx_lt_i32_e32 27, v164
	s_cbranch_execz .LBB72_587
; %bb.586:
	v_mul_f64 v[156:157], v[148:149], v[38:39]
	v_mul_f64 v[38:39], v[150:151], v[38:39]
	ds_load_2addr_b64 v[165:168], v158 offset0:56 offset1:57
	ds_load_2addr_b64 v[169:172], v158 offset0:58 offset1:59
	;; [unrolled: 1-line block ×9, first 2 shown]
	v_fma_f64 v[150:151], v[150:151], v[36:37], v[156:157]
	v_fma_f64 v[36:37], v[148:149], v[36:37], -v[38:39]
	s_waitcnt lgkmcnt(8)
	s_delay_alu instid0(VALU_DEP_2)
	v_mul_f64 v[38:39], v[167:168], v[150:151]
	v_mul_f64 v[148:149], v[165:166], v[150:151]
	s_waitcnt lgkmcnt(7)
	v_mul_f64 v[156:157], v[171:172], v[150:151]
	v_mul_f64 v[201:202], v[169:170], v[150:151]
	s_waitcnt lgkmcnt(6)
	;; [unrolled: 3-line block ×8, first 2 shown]
	v_mul_f64 v[227:228], v[199:200], v[150:151]
	v_mul_f64 v[229:230], v[197:198], v[150:151]
	v_fma_f64 v[38:39], v[165:166], v[36:37], -v[38:39]
	v_fma_f64 v[148:149], v[167:168], v[36:37], v[148:149]
	v_fma_f64 v[156:157], v[169:170], v[36:37], -v[156:157]
	v_fma_f64 v[165:166], v[171:172], v[36:37], v[201:202]
	;; [unrolled: 2-line block ×9, first 2 shown]
	v_add_f64 v[32:33], v[32:33], -v[38:39]
	v_add_f64 v[34:35], v[34:35], -v[148:149]
	;; [unrolled: 1-line block ×18, first 2 shown]
	v_dual_mov_b32 v38, v150 :: v_dual_mov_b32 v39, v151
.LBB72_587:
	s_or_b32 exec_lo, exec_lo, s2
	v_lshl_add_u32 v148, v164, 4, v158
	s_barrier
	buffer_gl0_inv
	v_mov_b32_e32 v156, 28
	ds_store_2addr_b64 v148, v[32:33], v[34:35] offset1:1
	s_waitcnt lgkmcnt(0)
	s_barrier
	buffer_gl0_inv
	ds_load_2addr_b64 v[148:151], v158 offset0:56 offset1:57
	s_cmp_lt_i32 s5, 30
	s_cbranch_scc1 .LBB72_590
; %bb.588:
	v_add3_u32 v157, v162, 0, 0x1d0
	v_mov_b32_e32 v156, 28
	s_mov_b32 s6, 29
	s_set_inst_prefetch_distance 0x1
	.p2align	6
.LBB72_589:                             ; =>This Inner Loop Header: Depth=1
	ds_load_2addr_b64 v[165:168], v157 offset1:1
	s_waitcnt lgkmcnt(1)
	v_cmp_gt_f64_e32 vcc_lo, 0, v[148:149]
	v_xor_b32_e32 v169, 0x80000000, v149
	v_cmp_gt_f64_e64 s2, 0, v[150:151]
	v_xor_b32_e32 v171, 0x80000000, v151
	v_add_nc_u32_e32 v157, 16, v157
	s_waitcnt lgkmcnt(0)
	v_cmp_gt_f64_e64 s3, 0, v[165:166]
	v_mov_b32_e32 v173, v165
	v_dual_mov_b32 v175, v167 :: v_dual_cndmask_b32 v170, v149, v169
	v_xor_b32_e32 v169, 0x80000000, v166
	v_cndmask_b32_e64 v172, v151, v171, s2
	v_xor_b32_e32 v171, 0x80000000, v168
	s_delay_alu instid0(VALU_DEP_3) | instskip(SKIP_2) | instid1(VALU_DEP_2)
	v_cndmask_b32_e64 v174, v166, v169, s3
	v_cmp_gt_f64_e64 s3, 0, v[167:168]
	v_cndmask_b32_e32 v169, v148, v148, vcc_lo
	v_cndmask_b32_e64 v176, v168, v171, s3
	v_cndmask_b32_e64 v171, v150, v150, s2
	s_delay_alu instid0(VALU_DEP_2) | instskip(NEXT) | instid1(VALU_DEP_2)
	v_add_f64 v[173:174], v[173:174], v[175:176]
	v_add_f64 v[169:170], v[169:170], v[171:172]
	s_delay_alu instid0(VALU_DEP_1) | instskip(SKIP_4) | instid1(SALU_CYCLE_1)
	v_cmp_lt_f64_e32 vcc_lo, v[169:170], v[173:174]
	v_dual_cndmask_b32 v150, v150, v167 :: v_dual_cndmask_b32 v149, v149, v166
	v_dual_cndmask_b32 v148, v148, v165 :: v_dual_cndmask_b32 v151, v151, v168
	v_cndmask_b32_e64 v156, v156, s6, vcc_lo
	s_add_i32 s6, s6, 1
	s_cmp_lg_u32 s5, s6
	s_cbranch_scc1 .LBB72_589
.LBB72_590:
	s_set_inst_prefetch_distance 0x2
	s_waitcnt lgkmcnt(0)
	v_cmp_eq_f64_e32 vcc_lo, 0, v[148:149]
	v_cmp_eq_f64_e64 s2, 0, v[150:151]
	s_delay_alu instid0(VALU_DEP_1) | instskip(NEXT) | instid1(SALU_CYCLE_1)
	s_and_b32 s2, vcc_lo, s2
	s_and_saveexec_b32 s3, s2
	s_delay_alu instid0(SALU_CYCLE_1)
	s_xor_b32 s2, exec_lo, s3
; %bb.591:
	v_cmp_ne_u32_e32 vcc_lo, 0, v161
	v_cndmask_b32_e32 v161, 29, v161, vcc_lo
; %bb.592:
	s_and_not1_saveexec_b32 s3, s2
	s_cbranch_execz .LBB72_598
; %bb.593:
	v_cmp_gt_f64_e32 vcc_lo, 0, v[148:149]
	v_cmp_gt_f64_e64 s2, 0, v[150:151]
	v_xor_b32_e32 v157, 0x80000000, v149
	v_xor_b32_e32 v165, 0x80000000, v151
	s_delay_alu instid0(VALU_DEP_2) | instskip(NEXT) | instid1(VALU_DEP_2)
	v_cndmask_b32_e32 v166, v149, v157, vcc_lo
	v_cndmask_b32_e64 v168, v151, v165, s2
	v_cndmask_b32_e32 v165, v148, v148, vcc_lo
	v_cndmask_b32_e64 v167, v150, v150, s2
	s_mov_b32 s2, exec_lo
	s_delay_alu instid0(VALU_DEP_1)
	v_cmpx_ngt_f64_e32 v[165:166], v[167:168]
	s_xor_b32 s2, exec_lo, s2
	s_cbranch_execz .LBB72_595
; %bb.594:
	v_div_scale_f64 v[165:166], null, v[150:151], v[150:151], v[148:149]
	v_div_scale_f64 v[171:172], vcc_lo, v[148:149], v[150:151], v[148:149]
	s_delay_alu instid0(VALU_DEP_2) | instskip(SKIP_2) | instid1(VALU_DEP_1)
	v_rcp_f64_e32 v[167:168], v[165:166]
	s_waitcnt_depctr 0xfff
	v_fma_f64 v[169:170], -v[165:166], v[167:168], 1.0
	v_fma_f64 v[167:168], v[167:168], v[169:170], v[167:168]
	s_delay_alu instid0(VALU_DEP_1) | instskip(NEXT) | instid1(VALU_DEP_1)
	v_fma_f64 v[169:170], -v[165:166], v[167:168], 1.0
	v_fma_f64 v[167:168], v[167:168], v[169:170], v[167:168]
	s_delay_alu instid0(VALU_DEP_1) | instskip(NEXT) | instid1(VALU_DEP_1)
	v_mul_f64 v[169:170], v[171:172], v[167:168]
	v_fma_f64 v[165:166], -v[165:166], v[169:170], v[171:172]
	s_delay_alu instid0(VALU_DEP_1) | instskip(NEXT) | instid1(VALU_DEP_1)
	v_div_fmas_f64 v[165:166], v[165:166], v[167:168], v[169:170]
	v_div_fixup_f64 v[165:166], v[165:166], v[150:151], v[148:149]
	s_delay_alu instid0(VALU_DEP_1) | instskip(NEXT) | instid1(VALU_DEP_1)
	v_fma_f64 v[148:149], v[148:149], v[165:166], v[150:151]
	v_div_scale_f64 v[150:151], null, v[148:149], v[148:149], 1.0
	s_delay_alu instid0(VALU_DEP_1) | instskip(SKIP_2) | instid1(VALU_DEP_1)
	v_rcp_f64_e32 v[167:168], v[150:151]
	s_waitcnt_depctr 0xfff
	v_fma_f64 v[169:170], -v[150:151], v[167:168], 1.0
	v_fma_f64 v[167:168], v[167:168], v[169:170], v[167:168]
	s_delay_alu instid0(VALU_DEP_1) | instskip(NEXT) | instid1(VALU_DEP_1)
	v_fma_f64 v[169:170], -v[150:151], v[167:168], 1.0
	v_fma_f64 v[167:168], v[167:168], v[169:170], v[167:168]
	v_div_scale_f64 v[169:170], vcc_lo, 1.0, v[148:149], 1.0
	s_delay_alu instid0(VALU_DEP_1) | instskip(NEXT) | instid1(VALU_DEP_1)
	v_mul_f64 v[171:172], v[169:170], v[167:168]
	v_fma_f64 v[150:151], -v[150:151], v[171:172], v[169:170]
	s_delay_alu instid0(VALU_DEP_1) | instskip(NEXT) | instid1(VALU_DEP_1)
	v_div_fmas_f64 v[150:151], v[150:151], v[167:168], v[171:172]
	v_div_fixup_f64 v[150:151], v[150:151], v[148:149], 1.0
	s_delay_alu instid0(VALU_DEP_1)
	v_mul_f64 v[148:149], v[165:166], v[150:151]
	v_xor_b32_e32 v151, 0x80000000, v151
.LBB72_595:
	s_and_not1_saveexec_b32 s2, s2
	s_cbranch_execz .LBB72_597
; %bb.596:
	s_delay_alu instid0(VALU_DEP_1) | instskip(SKIP_1) | instid1(VALU_DEP_2)
	v_div_scale_f64 v[165:166], null, v[148:149], v[148:149], v[150:151]
	v_div_scale_f64 v[171:172], vcc_lo, v[150:151], v[148:149], v[150:151]
	v_rcp_f64_e32 v[167:168], v[165:166]
	s_waitcnt_depctr 0xfff
	v_fma_f64 v[169:170], -v[165:166], v[167:168], 1.0
	s_delay_alu instid0(VALU_DEP_1) | instskip(NEXT) | instid1(VALU_DEP_1)
	v_fma_f64 v[167:168], v[167:168], v[169:170], v[167:168]
	v_fma_f64 v[169:170], -v[165:166], v[167:168], 1.0
	s_delay_alu instid0(VALU_DEP_1) | instskip(NEXT) | instid1(VALU_DEP_1)
	v_fma_f64 v[167:168], v[167:168], v[169:170], v[167:168]
	v_mul_f64 v[169:170], v[171:172], v[167:168]
	s_delay_alu instid0(VALU_DEP_1) | instskip(NEXT) | instid1(VALU_DEP_1)
	v_fma_f64 v[165:166], -v[165:166], v[169:170], v[171:172]
	v_div_fmas_f64 v[165:166], v[165:166], v[167:168], v[169:170]
	s_delay_alu instid0(VALU_DEP_1) | instskip(NEXT) | instid1(VALU_DEP_1)
	v_div_fixup_f64 v[165:166], v[165:166], v[148:149], v[150:151]
	v_fma_f64 v[148:149], v[150:151], v[165:166], v[148:149]
	s_delay_alu instid0(VALU_DEP_1) | instskip(NEXT) | instid1(VALU_DEP_1)
	v_div_scale_f64 v[150:151], null, v[148:149], v[148:149], 1.0
	v_rcp_f64_e32 v[167:168], v[150:151]
	s_waitcnt_depctr 0xfff
	v_fma_f64 v[169:170], -v[150:151], v[167:168], 1.0
	s_delay_alu instid0(VALU_DEP_1) | instskip(NEXT) | instid1(VALU_DEP_1)
	v_fma_f64 v[167:168], v[167:168], v[169:170], v[167:168]
	v_fma_f64 v[169:170], -v[150:151], v[167:168], 1.0
	s_delay_alu instid0(VALU_DEP_1) | instskip(SKIP_1) | instid1(VALU_DEP_1)
	v_fma_f64 v[167:168], v[167:168], v[169:170], v[167:168]
	v_div_scale_f64 v[169:170], vcc_lo, 1.0, v[148:149], 1.0
	v_mul_f64 v[171:172], v[169:170], v[167:168]
	s_delay_alu instid0(VALU_DEP_1) | instskip(NEXT) | instid1(VALU_DEP_1)
	v_fma_f64 v[150:151], -v[150:151], v[171:172], v[169:170]
	v_div_fmas_f64 v[150:151], v[150:151], v[167:168], v[171:172]
	s_delay_alu instid0(VALU_DEP_1) | instskip(NEXT) | instid1(VALU_DEP_1)
	v_div_fixup_f64 v[148:149], v[150:151], v[148:149], 1.0
	v_mul_f64 v[150:151], v[165:166], -v[148:149]
.LBB72_597:
	s_or_b32 exec_lo, exec_lo, s2
.LBB72_598:
	s_delay_alu instid0(SALU_CYCLE_1) | instskip(NEXT) | instid1(SALU_CYCLE_1)
	s_or_b32 exec_lo, exec_lo, s3
	s_mov_b32 s2, exec_lo
	v_cmpx_ne_u32_e64 v164, v156
	s_xor_b32 s2, exec_lo, s2
	s_cbranch_execz .LBB72_604
; %bb.599:
	s_mov_b32 s3, exec_lo
	v_cmpx_eq_u32_e32 28, v164
	s_cbranch_execz .LBB72_603
; %bb.600:
	v_cmp_ne_u32_e32 vcc_lo, 28, v156
	s_xor_b32 s6, s4, -1
	s_delay_alu instid0(SALU_CYCLE_1) | instskip(NEXT) | instid1(SALU_CYCLE_1)
	s_and_b32 s7, s6, vcc_lo
	s_and_saveexec_b32 s6, s7
	s_cbranch_execz .LBB72_602
; %bb.601:
	v_ashrrev_i32_e32 v157, 31, v156
	s_delay_alu instid0(VALU_DEP_1) | instskip(NEXT) | instid1(VALU_DEP_1)
	v_lshlrev_b64 v[163:164], 2, v[156:157]
	v_add_co_u32 v163, vcc_lo, v154, v163
	s_delay_alu instid0(VALU_DEP_2)
	v_add_co_ci_u32_e32 v164, vcc_lo, v155, v164, vcc_lo
	s_clause 0x1
	flat_load_b32 v157, v[163:164]
	flat_load_b32 v165, v[154:155] offset:112
	s_waitcnt vmcnt(1) lgkmcnt(1)
	flat_store_b32 v[154:155], v157 offset:112
	s_waitcnt vmcnt(0) lgkmcnt(1)
	flat_store_b32 v[163:164], v165
.LBB72_602:
	s_or_b32 exec_lo, exec_lo, s6
	v_mov_b32_e32 v164, v156
	v_mov_b32_e32 v163, v156
.LBB72_603:
	s_or_b32 exec_lo, exec_lo, s3
.LBB72_604:
	s_and_not1_saveexec_b32 s2, s2
	s_cbranch_execz .LBB72_606
; %bb.605:
	v_mov_b32_e32 v164, 28
	ds_store_2addr_b64 v158, v[28:29], v[30:31] offset0:58 offset1:59
	ds_store_2addr_b64 v158, v[24:25], v[26:27] offset0:60 offset1:61
	ds_store_2addr_b64 v158, v[20:21], v[22:23] offset0:62 offset1:63
	ds_store_2addr_b64 v158, v[16:17], v[18:19] offset0:64 offset1:65
	ds_store_2addr_b64 v158, v[12:13], v[14:15] offset0:66 offset1:67
	ds_store_2addr_b64 v158, v[8:9], v[10:11] offset0:68 offset1:69
	ds_store_2addr_b64 v158, v[4:5], v[6:7] offset0:70 offset1:71
	ds_store_2addr_b64 v158, v[0:1], v[2:3] offset0:72 offset1:73
.LBB72_606:
	s_or_b32 exec_lo, exec_lo, s2
	s_delay_alu instid0(SALU_CYCLE_1)
	s_mov_b32 s2, exec_lo
	s_waitcnt lgkmcnt(0)
	s_waitcnt_vscnt null, 0x0
	s_barrier
	buffer_gl0_inv
	v_cmpx_lt_i32_e32 28, v164
	s_cbranch_execz .LBB72_608
; %bb.607:
	v_mul_f64 v[156:157], v[148:149], v[34:35]
	v_mul_f64 v[34:35], v[150:151], v[34:35]
	ds_load_2addr_b64 v[165:168], v158 offset0:58 offset1:59
	ds_load_2addr_b64 v[169:172], v158 offset0:60 offset1:61
	;; [unrolled: 1-line block ×8, first 2 shown]
	v_fma_f64 v[150:151], v[150:151], v[32:33], v[156:157]
	v_fma_f64 v[32:33], v[148:149], v[32:33], -v[34:35]
	s_waitcnt lgkmcnt(7)
	s_delay_alu instid0(VALU_DEP_2)
	v_mul_f64 v[34:35], v[167:168], v[150:151]
	v_mul_f64 v[148:149], v[165:166], v[150:151]
	s_waitcnt lgkmcnt(6)
	v_mul_f64 v[156:157], v[171:172], v[150:151]
	v_mul_f64 v[197:198], v[169:170], v[150:151]
	s_waitcnt lgkmcnt(5)
	;; [unrolled: 3-line block ×7, first 2 shown]
	v_mul_f64 v[219:220], v[195:196], v[150:151]
	v_mul_f64 v[221:222], v[193:194], v[150:151]
	v_fma_f64 v[34:35], v[165:166], v[32:33], -v[34:35]
	v_fma_f64 v[148:149], v[167:168], v[32:33], v[148:149]
	v_fma_f64 v[156:157], v[169:170], v[32:33], -v[156:157]
	v_fma_f64 v[165:166], v[171:172], v[32:33], v[197:198]
	v_fma_f64 v[167:168], v[173:174], v[32:33], -v[199:200]
	v_fma_f64 v[169:170], v[175:176], v[32:33], v[201:202]
	v_fma_f64 v[171:172], v[177:178], v[32:33], -v[203:204]
	v_fma_f64 v[173:174], v[179:180], v[32:33], v[205:206]
	v_fma_f64 v[175:176], v[181:182], v[32:33], -v[207:208]
	v_fma_f64 v[177:178], v[183:184], v[32:33], v[209:210]
	v_fma_f64 v[179:180], v[185:186], v[32:33], -v[211:212]
	v_fma_f64 v[181:182], v[187:188], v[32:33], v[213:214]
	v_fma_f64 v[183:184], v[189:190], v[32:33], -v[215:216]
	v_fma_f64 v[185:186], v[191:192], v[32:33], v[217:218]
	v_fma_f64 v[187:188], v[193:194], v[32:33], -v[219:220]
	v_fma_f64 v[189:190], v[195:196], v[32:33], v[221:222]
	v_add_f64 v[28:29], v[28:29], -v[34:35]
	v_add_f64 v[30:31], v[30:31], -v[148:149]
	;; [unrolled: 1-line block ×16, first 2 shown]
	v_dual_mov_b32 v34, v150 :: v_dual_mov_b32 v35, v151
.LBB72_608:
	s_or_b32 exec_lo, exec_lo, s2
	v_lshl_add_u32 v148, v164, 4, v158
	s_barrier
	buffer_gl0_inv
	v_mov_b32_e32 v156, 29
	ds_store_2addr_b64 v148, v[28:29], v[30:31] offset1:1
	s_waitcnt lgkmcnt(0)
	s_barrier
	buffer_gl0_inv
	ds_load_2addr_b64 v[148:151], v158 offset0:58 offset1:59
	s_cmp_lt_i32 s5, 31
	s_cbranch_scc1 .LBB72_611
; %bb.609:
	v_add3_u32 v157, v162, 0, 0x1e0
	v_mov_b32_e32 v156, 29
	s_mov_b32 s6, 30
	s_set_inst_prefetch_distance 0x1
	.p2align	6
.LBB72_610:                             ; =>This Inner Loop Header: Depth=1
	ds_load_2addr_b64 v[165:168], v157 offset1:1
	s_waitcnt lgkmcnt(1)
	v_cmp_gt_f64_e32 vcc_lo, 0, v[148:149]
	v_xor_b32_e32 v169, 0x80000000, v149
	v_cmp_gt_f64_e64 s2, 0, v[150:151]
	v_xor_b32_e32 v171, 0x80000000, v151
	v_add_nc_u32_e32 v157, 16, v157
	s_waitcnt lgkmcnt(0)
	v_cmp_gt_f64_e64 s3, 0, v[165:166]
	v_mov_b32_e32 v173, v165
	v_dual_mov_b32 v175, v167 :: v_dual_cndmask_b32 v170, v149, v169
	v_xor_b32_e32 v169, 0x80000000, v166
	v_cndmask_b32_e64 v172, v151, v171, s2
	v_xor_b32_e32 v171, 0x80000000, v168
	s_delay_alu instid0(VALU_DEP_3) | instskip(SKIP_2) | instid1(VALU_DEP_2)
	v_cndmask_b32_e64 v174, v166, v169, s3
	v_cmp_gt_f64_e64 s3, 0, v[167:168]
	v_cndmask_b32_e32 v169, v148, v148, vcc_lo
	v_cndmask_b32_e64 v176, v168, v171, s3
	v_cndmask_b32_e64 v171, v150, v150, s2
	s_delay_alu instid0(VALU_DEP_2) | instskip(NEXT) | instid1(VALU_DEP_2)
	v_add_f64 v[173:174], v[173:174], v[175:176]
	v_add_f64 v[169:170], v[169:170], v[171:172]
	s_delay_alu instid0(VALU_DEP_1) | instskip(SKIP_4) | instid1(SALU_CYCLE_1)
	v_cmp_lt_f64_e32 vcc_lo, v[169:170], v[173:174]
	v_dual_cndmask_b32 v150, v150, v167 :: v_dual_cndmask_b32 v149, v149, v166
	v_dual_cndmask_b32 v148, v148, v165 :: v_dual_cndmask_b32 v151, v151, v168
	v_cndmask_b32_e64 v156, v156, s6, vcc_lo
	s_add_i32 s6, s6, 1
	s_cmp_lg_u32 s5, s6
	s_cbranch_scc1 .LBB72_610
.LBB72_611:
	s_set_inst_prefetch_distance 0x2
	s_waitcnt lgkmcnt(0)
	v_cmp_eq_f64_e32 vcc_lo, 0, v[148:149]
	v_cmp_eq_f64_e64 s2, 0, v[150:151]
	s_delay_alu instid0(VALU_DEP_1) | instskip(NEXT) | instid1(SALU_CYCLE_1)
	s_and_b32 s2, vcc_lo, s2
	s_and_saveexec_b32 s3, s2
	s_delay_alu instid0(SALU_CYCLE_1)
	s_xor_b32 s2, exec_lo, s3
; %bb.612:
	v_cmp_ne_u32_e32 vcc_lo, 0, v161
	v_cndmask_b32_e32 v161, 30, v161, vcc_lo
; %bb.613:
	s_and_not1_saveexec_b32 s3, s2
	s_cbranch_execz .LBB72_619
; %bb.614:
	v_cmp_gt_f64_e32 vcc_lo, 0, v[148:149]
	v_cmp_gt_f64_e64 s2, 0, v[150:151]
	v_xor_b32_e32 v157, 0x80000000, v149
	v_xor_b32_e32 v165, 0x80000000, v151
	s_delay_alu instid0(VALU_DEP_2) | instskip(NEXT) | instid1(VALU_DEP_2)
	v_cndmask_b32_e32 v166, v149, v157, vcc_lo
	v_cndmask_b32_e64 v168, v151, v165, s2
	v_cndmask_b32_e32 v165, v148, v148, vcc_lo
	v_cndmask_b32_e64 v167, v150, v150, s2
	s_mov_b32 s2, exec_lo
	s_delay_alu instid0(VALU_DEP_1)
	v_cmpx_ngt_f64_e32 v[165:166], v[167:168]
	s_xor_b32 s2, exec_lo, s2
	s_cbranch_execz .LBB72_616
; %bb.615:
	v_div_scale_f64 v[165:166], null, v[150:151], v[150:151], v[148:149]
	v_div_scale_f64 v[171:172], vcc_lo, v[148:149], v[150:151], v[148:149]
	s_delay_alu instid0(VALU_DEP_2) | instskip(SKIP_2) | instid1(VALU_DEP_1)
	v_rcp_f64_e32 v[167:168], v[165:166]
	s_waitcnt_depctr 0xfff
	v_fma_f64 v[169:170], -v[165:166], v[167:168], 1.0
	v_fma_f64 v[167:168], v[167:168], v[169:170], v[167:168]
	s_delay_alu instid0(VALU_DEP_1) | instskip(NEXT) | instid1(VALU_DEP_1)
	v_fma_f64 v[169:170], -v[165:166], v[167:168], 1.0
	v_fma_f64 v[167:168], v[167:168], v[169:170], v[167:168]
	s_delay_alu instid0(VALU_DEP_1) | instskip(NEXT) | instid1(VALU_DEP_1)
	v_mul_f64 v[169:170], v[171:172], v[167:168]
	v_fma_f64 v[165:166], -v[165:166], v[169:170], v[171:172]
	s_delay_alu instid0(VALU_DEP_1) | instskip(NEXT) | instid1(VALU_DEP_1)
	v_div_fmas_f64 v[165:166], v[165:166], v[167:168], v[169:170]
	v_div_fixup_f64 v[165:166], v[165:166], v[150:151], v[148:149]
	s_delay_alu instid0(VALU_DEP_1) | instskip(NEXT) | instid1(VALU_DEP_1)
	v_fma_f64 v[148:149], v[148:149], v[165:166], v[150:151]
	v_div_scale_f64 v[150:151], null, v[148:149], v[148:149], 1.0
	s_delay_alu instid0(VALU_DEP_1) | instskip(SKIP_2) | instid1(VALU_DEP_1)
	v_rcp_f64_e32 v[167:168], v[150:151]
	s_waitcnt_depctr 0xfff
	v_fma_f64 v[169:170], -v[150:151], v[167:168], 1.0
	v_fma_f64 v[167:168], v[167:168], v[169:170], v[167:168]
	s_delay_alu instid0(VALU_DEP_1) | instskip(NEXT) | instid1(VALU_DEP_1)
	v_fma_f64 v[169:170], -v[150:151], v[167:168], 1.0
	v_fma_f64 v[167:168], v[167:168], v[169:170], v[167:168]
	v_div_scale_f64 v[169:170], vcc_lo, 1.0, v[148:149], 1.0
	s_delay_alu instid0(VALU_DEP_1) | instskip(NEXT) | instid1(VALU_DEP_1)
	v_mul_f64 v[171:172], v[169:170], v[167:168]
	v_fma_f64 v[150:151], -v[150:151], v[171:172], v[169:170]
	s_delay_alu instid0(VALU_DEP_1) | instskip(NEXT) | instid1(VALU_DEP_1)
	v_div_fmas_f64 v[150:151], v[150:151], v[167:168], v[171:172]
	v_div_fixup_f64 v[150:151], v[150:151], v[148:149], 1.0
	s_delay_alu instid0(VALU_DEP_1)
	v_mul_f64 v[148:149], v[165:166], v[150:151]
	v_xor_b32_e32 v151, 0x80000000, v151
.LBB72_616:
	s_and_not1_saveexec_b32 s2, s2
	s_cbranch_execz .LBB72_618
; %bb.617:
	s_delay_alu instid0(VALU_DEP_1) | instskip(SKIP_1) | instid1(VALU_DEP_2)
	v_div_scale_f64 v[165:166], null, v[148:149], v[148:149], v[150:151]
	v_div_scale_f64 v[171:172], vcc_lo, v[150:151], v[148:149], v[150:151]
	v_rcp_f64_e32 v[167:168], v[165:166]
	s_waitcnt_depctr 0xfff
	v_fma_f64 v[169:170], -v[165:166], v[167:168], 1.0
	s_delay_alu instid0(VALU_DEP_1) | instskip(NEXT) | instid1(VALU_DEP_1)
	v_fma_f64 v[167:168], v[167:168], v[169:170], v[167:168]
	v_fma_f64 v[169:170], -v[165:166], v[167:168], 1.0
	s_delay_alu instid0(VALU_DEP_1) | instskip(NEXT) | instid1(VALU_DEP_1)
	v_fma_f64 v[167:168], v[167:168], v[169:170], v[167:168]
	v_mul_f64 v[169:170], v[171:172], v[167:168]
	s_delay_alu instid0(VALU_DEP_1) | instskip(NEXT) | instid1(VALU_DEP_1)
	v_fma_f64 v[165:166], -v[165:166], v[169:170], v[171:172]
	v_div_fmas_f64 v[165:166], v[165:166], v[167:168], v[169:170]
	s_delay_alu instid0(VALU_DEP_1) | instskip(NEXT) | instid1(VALU_DEP_1)
	v_div_fixup_f64 v[165:166], v[165:166], v[148:149], v[150:151]
	v_fma_f64 v[148:149], v[150:151], v[165:166], v[148:149]
	s_delay_alu instid0(VALU_DEP_1) | instskip(NEXT) | instid1(VALU_DEP_1)
	v_div_scale_f64 v[150:151], null, v[148:149], v[148:149], 1.0
	v_rcp_f64_e32 v[167:168], v[150:151]
	s_waitcnt_depctr 0xfff
	v_fma_f64 v[169:170], -v[150:151], v[167:168], 1.0
	s_delay_alu instid0(VALU_DEP_1) | instskip(NEXT) | instid1(VALU_DEP_1)
	v_fma_f64 v[167:168], v[167:168], v[169:170], v[167:168]
	v_fma_f64 v[169:170], -v[150:151], v[167:168], 1.0
	s_delay_alu instid0(VALU_DEP_1) | instskip(SKIP_1) | instid1(VALU_DEP_1)
	v_fma_f64 v[167:168], v[167:168], v[169:170], v[167:168]
	v_div_scale_f64 v[169:170], vcc_lo, 1.0, v[148:149], 1.0
	v_mul_f64 v[171:172], v[169:170], v[167:168]
	s_delay_alu instid0(VALU_DEP_1) | instskip(NEXT) | instid1(VALU_DEP_1)
	v_fma_f64 v[150:151], -v[150:151], v[171:172], v[169:170]
	v_div_fmas_f64 v[150:151], v[150:151], v[167:168], v[171:172]
	s_delay_alu instid0(VALU_DEP_1) | instskip(NEXT) | instid1(VALU_DEP_1)
	v_div_fixup_f64 v[148:149], v[150:151], v[148:149], 1.0
	v_mul_f64 v[150:151], v[165:166], -v[148:149]
.LBB72_618:
	s_or_b32 exec_lo, exec_lo, s2
.LBB72_619:
	s_delay_alu instid0(SALU_CYCLE_1) | instskip(NEXT) | instid1(SALU_CYCLE_1)
	s_or_b32 exec_lo, exec_lo, s3
	s_mov_b32 s2, exec_lo
	v_cmpx_ne_u32_e64 v164, v156
	s_xor_b32 s2, exec_lo, s2
	s_cbranch_execz .LBB72_625
; %bb.620:
	s_mov_b32 s3, exec_lo
	v_cmpx_eq_u32_e32 29, v164
	s_cbranch_execz .LBB72_624
; %bb.621:
	v_cmp_ne_u32_e32 vcc_lo, 29, v156
	s_xor_b32 s6, s4, -1
	s_delay_alu instid0(SALU_CYCLE_1) | instskip(NEXT) | instid1(SALU_CYCLE_1)
	s_and_b32 s7, s6, vcc_lo
	s_and_saveexec_b32 s6, s7
	s_cbranch_execz .LBB72_623
; %bb.622:
	v_ashrrev_i32_e32 v157, 31, v156
	s_delay_alu instid0(VALU_DEP_1) | instskip(NEXT) | instid1(VALU_DEP_1)
	v_lshlrev_b64 v[163:164], 2, v[156:157]
	v_add_co_u32 v163, vcc_lo, v154, v163
	s_delay_alu instid0(VALU_DEP_2)
	v_add_co_ci_u32_e32 v164, vcc_lo, v155, v164, vcc_lo
	s_clause 0x1
	flat_load_b32 v157, v[163:164]
	flat_load_b32 v165, v[154:155] offset:116
	s_waitcnt vmcnt(1) lgkmcnt(1)
	flat_store_b32 v[154:155], v157 offset:116
	s_waitcnt vmcnt(0) lgkmcnt(1)
	flat_store_b32 v[163:164], v165
.LBB72_623:
	s_or_b32 exec_lo, exec_lo, s6
	v_mov_b32_e32 v164, v156
	v_mov_b32_e32 v163, v156
.LBB72_624:
	s_or_b32 exec_lo, exec_lo, s3
.LBB72_625:
	s_and_not1_saveexec_b32 s2, s2
	s_cbranch_execz .LBB72_627
; %bb.626:
	v_mov_b32_e32 v164, 29
	ds_store_2addr_b64 v158, v[24:25], v[26:27] offset0:60 offset1:61
	ds_store_2addr_b64 v158, v[20:21], v[22:23] offset0:62 offset1:63
	ds_store_2addr_b64 v158, v[16:17], v[18:19] offset0:64 offset1:65
	ds_store_2addr_b64 v158, v[12:13], v[14:15] offset0:66 offset1:67
	ds_store_2addr_b64 v158, v[8:9], v[10:11] offset0:68 offset1:69
	ds_store_2addr_b64 v158, v[4:5], v[6:7] offset0:70 offset1:71
	ds_store_2addr_b64 v158, v[0:1], v[2:3] offset0:72 offset1:73
.LBB72_627:
	s_or_b32 exec_lo, exec_lo, s2
	s_delay_alu instid0(SALU_CYCLE_1)
	s_mov_b32 s2, exec_lo
	s_waitcnt lgkmcnt(0)
	s_waitcnt_vscnt null, 0x0
	s_barrier
	buffer_gl0_inv
	v_cmpx_lt_i32_e32 29, v164
	s_cbranch_execz .LBB72_629
; %bb.628:
	v_mul_f64 v[156:157], v[148:149], v[30:31]
	v_mul_f64 v[30:31], v[150:151], v[30:31]
	ds_load_2addr_b64 v[165:168], v158 offset0:60 offset1:61
	ds_load_2addr_b64 v[169:172], v158 offset0:62 offset1:63
	;; [unrolled: 1-line block ×7, first 2 shown]
	v_fma_f64 v[150:151], v[150:151], v[28:29], v[156:157]
	v_fma_f64 v[28:29], v[148:149], v[28:29], -v[30:31]
	s_waitcnt lgkmcnt(6)
	s_delay_alu instid0(VALU_DEP_2)
	v_mul_f64 v[30:31], v[167:168], v[150:151]
	v_mul_f64 v[148:149], v[165:166], v[150:151]
	s_waitcnt lgkmcnt(5)
	v_mul_f64 v[156:157], v[171:172], v[150:151]
	v_mul_f64 v[193:194], v[169:170], v[150:151]
	s_waitcnt lgkmcnt(4)
	;; [unrolled: 3-line block ×6, first 2 shown]
	v_mul_f64 v[211:212], v[191:192], v[150:151]
	v_mul_f64 v[213:214], v[189:190], v[150:151]
	v_fma_f64 v[30:31], v[165:166], v[28:29], -v[30:31]
	v_fma_f64 v[148:149], v[167:168], v[28:29], v[148:149]
	v_fma_f64 v[156:157], v[169:170], v[28:29], -v[156:157]
	v_fma_f64 v[165:166], v[171:172], v[28:29], v[193:194]
	;; [unrolled: 2-line block ×7, first 2 shown]
	v_add_f64 v[24:25], v[24:25], -v[30:31]
	v_add_f64 v[26:27], v[26:27], -v[148:149]
	;; [unrolled: 1-line block ×14, first 2 shown]
	v_dual_mov_b32 v30, v150 :: v_dual_mov_b32 v31, v151
.LBB72_629:
	s_or_b32 exec_lo, exec_lo, s2
	v_lshl_add_u32 v148, v164, 4, v158
	s_barrier
	buffer_gl0_inv
	v_mov_b32_e32 v156, 30
	ds_store_2addr_b64 v148, v[24:25], v[26:27] offset1:1
	s_waitcnt lgkmcnt(0)
	s_barrier
	buffer_gl0_inv
	ds_load_2addr_b64 v[148:151], v158 offset0:60 offset1:61
	s_cmp_lt_i32 s5, 32
	s_cbranch_scc1 .LBB72_632
; %bb.630:
	v_add3_u32 v157, v162, 0, 0x1f0
	v_mov_b32_e32 v156, 30
	s_mov_b32 s6, 31
	s_set_inst_prefetch_distance 0x1
	.p2align	6
.LBB72_631:                             ; =>This Inner Loop Header: Depth=1
	ds_load_2addr_b64 v[165:168], v157 offset1:1
	s_waitcnt lgkmcnt(1)
	v_cmp_gt_f64_e32 vcc_lo, 0, v[148:149]
	v_xor_b32_e32 v169, 0x80000000, v149
	v_cmp_gt_f64_e64 s2, 0, v[150:151]
	v_xor_b32_e32 v171, 0x80000000, v151
	v_add_nc_u32_e32 v157, 16, v157
	s_waitcnt lgkmcnt(0)
	v_cmp_gt_f64_e64 s3, 0, v[165:166]
	v_mov_b32_e32 v173, v165
	v_dual_mov_b32 v175, v167 :: v_dual_cndmask_b32 v170, v149, v169
	v_xor_b32_e32 v169, 0x80000000, v166
	v_cndmask_b32_e64 v172, v151, v171, s2
	v_xor_b32_e32 v171, 0x80000000, v168
	s_delay_alu instid0(VALU_DEP_3) | instskip(SKIP_2) | instid1(VALU_DEP_2)
	v_cndmask_b32_e64 v174, v166, v169, s3
	v_cmp_gt_f64_e64 s3, 0, v[167:168]
	v_cndmask_b32_e32 v169, v148, v148, vcc_lo
	v_cndmask_b32_e64 v176, v168, v171, s3
	v_cndmask_b32_e64 v171, v150, v150, s2
	s_delay_alu instid0(VALU_DEP_2) | instskip(NEXT) | instid1(VALU_DEP_2)
	v_add_f64 v[173:174], v[173:174], v[175:176]
	v_add_f64 v[169:170], v[169:170], v[171:172]
	s_delay_alu instid0(VALU_DEP_1) | instskip(SKIP_4) | instid1(SALU_CYCLE_1)
	v_cmp_lt_f64_e32 vcc_lo, v[169:170], v[173:174]
	v_dual_cndmask_b32 v150, v150, v167 :: v_dual_cndmask_b32 v149, v149, v166
	v_dual_cndmask_b32 v148, v148, v165 :: v_dual_cndmask_b32 v151, v151, v168
	v_cndmask_b32_e64 v156, v156, s6, vcc_lo
	s_add_i32 s6, s6, 1
	s_cmp_lg_u32 s5, s6
	s_cbranch_scc1 .LBB72_631
.LBB72_632:
	s_set_inst_prefetch_distance 0x2
	s_waitcnt lgkmcnt(0)
	v_cmp_eq_f64_e32 vcc_lo, 0, v[148:149]
	v_cmp_eq_f64_e64 s2, 0, v[150:151]
	s_delay_alu instid0(VALU_DEP_1) | instskip(NEXT) | instid1(SALU_CYCLE_1)
	s_and_b32 s2, vcc_lo, s2
	s_and_saveexec_b32 s3, s2
	s_delay_alu instid0(SALU_CYCLE_1)
	s_xor_b32 s2, exec_lo, s3
; %bb.633:
	v_cmp_ne_u32_e32 vcc_lo, 0, v161
	v_cndmask_b32_e32 v161, 31, v161, vcc_lo
; %bb.634:
	s_and_not1_saveexec_b32 s3, s2
	s_cbranch_execz .LBB72_640
; %bb.635:
	v_cmp_gt_f64_e32 vcc_lo, 0, v[148:149]
	v_cmp_gt_f64_e64 s2, 0, v[150:151]
	v_xor_b32_e32 v157, 0x80000000, v149
	v_xor_b32_e32 v165, 0x80000000, v151
	s_delay_alu instid0(VALU_DEP_2) | instskip(NEXT) | instid1(VALU_DEP_2)
	v_cndmask_b32_e32 v166, v149, v157, vcc_lo
	v_cndmask_b32_e64 v168, v151, v165, s2
	v_cndmask_b32_e32 v165, v148, v148, vcc_lo
	v_cndmask_b32_e64 v167, v150, v150, s2
	s_mov_b32 s2, exec_lo
	s_delay_alu instid0(VALU_DEP_1)
	v_cmpx_ngt_f64_e32 v[165:166], v[167:168]
	s_xor_b32 s2, exec_lo, s2
	s_cbranch_execz .LBB72_637
; %bb.636:
	v_div_scale_f64 v[165:166], null, v[150:151], v[150:151], v[148:149]
	v_div_scale_f64 v[171:172], vcc_lo, v[148:149], v[150:151], v[148:149]
	s_delay_alu instid0(VALU_DEP_2) | instskip(SKIP_2) | instid1(VALU_DEP_1)
	v_rcp_f64_e32 v[167:168], v[165:166]
	s_waitcnt_depctr 0xfff
	v_fma_f64 v[169:170], -v[165:166], v[167:168], 1.0
	v_fma_f64 v[167:168], v[167:168], v[169:170], v[167:168]
	s_delay_alu instid0(VALU_DEP_1) | instskip(NEXT) | instid1(VALU_DEP_1)
	v_fma_f64 v[169:170], -v[165:166], v[167:168], 1.0
	v_fma_f64 v[167:168], v[167:168], v[169:170], v[167:168]
	s_delay_alu instid0(VALU_DEP_1) | instskip(NEXT) | instid1(VALU_DEP_1)
	v_mul_f64 v[169:170], v[171:172], v[167:168]
	v_fma_f64 v[165:166], -v[165:166], v[169:170], v[171:172]
	s_delay_alu instid0(VALU_DEP_1) | instskip(NEXT) | instid1(VALU_DEP_1)
	v_div_fmas_f64 v[165:166], v[165:166], v[167:168], v[169:170]
	v_div_fixup_f64 v[165:166], v[165:166], v[150:151], v[148:149]
	s_delay_alu instid0(VALU_DEP_1) | instskip(NEXT) | instid1(VALU_DEP_1)
	v_fma_f64 v[148:149], v[148:149], v[165:166], v[150:151]
	v_div_scale_f64 v[150:151], null, v[148:149], v[148:149], 1.0
	s_delay_alu instid0(VALU_DEP_1) | instskip(SKIP_2) | instid1(VALU_DEP_1)
	v_rcp_f64_e32 v[167:168], v[150:151]
	s_waitcnt_depctr 0xfff
	v_fma_f64 v[169:170], -v[150:151], v[167:168], 1.0
	v_fma_f64 v[167:168], v[167:168], v[169:170], v[167:168]
	s_delay_alu instid0(VALU_DEP_1) | instskip(NEXT) | instid1(VALU_DEP_1)
	v_fma_f64 v[169:170], -v[150:151], v[167:168], 1.0
	v_fma_f64 v[167:168], v[167:168], v[169:170], v[167:168]
	v_div_scale_f64 v[169:170], vcc_lo, 1.0, v[148:149], 1.0
	s_delay_alu instid0(VALU_DEP_1) | instskip(NEXT) | instid1(VALU_DEP_1)
	v_mul_f64 v[171:172], v[169:170], v[167:168]
	v_fma_f64 v[150:151], -v[150:151], v[171:172], v[169:170]
	s_delay_alu instid0(VALU_DEP_1) | instskip(NEXT) | instid1(VALU_DEP_1)
	v_div_fmas_f64 v[150:151], v[150:151], v[167:168], v[171:172]
	v_div_fixup_f64 v[150:151], v[150:151], v[148:149], 1.0
	s_delay_alu instid0(VALU_DEP_1)
	v_mul_f64 v[148:149], v[165:166], v[150:151]
	v_xor_b32_e32 v151, 0x80000000, v151
.LBB72_637:
	s_and_not1_saveexec_b32 s2, s2
	s_cbranch_execz .LBB72_639
; %bb.638:
	s_delay_alu instid0(VALU_DEP_1) | instskip(SKIP_1) | instid1(VALU_DEP_2)
	v_div_scale_f64 v[165:166], null, v[148:149], v[148:149], v[150:151]
	v_div_scale_f64 v[171:172], vcc_lo, v[150:151], v[148:149], v[150:151]
	v_rcp_f64_e32 v[167:168], v[165:166]
	s_waitcnt_depctr 0xfff
	v_fma_f64 v[169:170], -v[165:166], v[167:168], 1.0
	s_delay_alu instid0(VALU_DEP_1) | instskip(NEXT) | instid1(VALU_DEP_1)
	v_fma_f64 v[167:168], v[167:168], v[169:170], v[167:168]
	v_fma_f64 v[169:170], -v[165:166], v[167:168], 1.0
	s_delay_alu instid0(VALU_DEP_1) | instskip(NEXT) | instid1(VALU_DEP_1)
	v_fma_f64 v[167:168], v[167:168], v[169:170], v[167:168]
	v_mul_f64 v[169:170], v[171:172], v[167:168]
	s_delay_alu instid0(VALU_DEP_1) | instskip(NEXT) | instid1(VALU_DEP_1)
	v_fma_f64 v[165:166], -v[165:166], v[169:170], v[171:172]
	v_div_fmas_f64 v[165:166], v[165:166], v[167:168], v[169:170]
	s_delay_alu instid0(VALU_DEP_1) | instskip(NEXT) | instid1(VALU_DEP_1)
	v_div_fixup_f64 v[165:166], v[165:166], v[148:149], v[150:151]
	v_fma_f64 v[148:149], v[150:151], v[165:166], v[148:149]
	s_delay_alu instid0(VALU_DEP_1) | instskip(NEXT) | instid1(VALU_DEP_1)
	v_div_scale_f64 v[150:151], null, v[148:149], v[148:149], 1.0
	v_rcp_f64_e32 v[167:168], v[150:151]
	s_waitcnt_depctr 0xfff
	v_fma_f64 v[169:170], -v[150:151], v[167:168], 1.0
	s_delay_alu instid0(VALU_DEP_1) | instskip(NEXT) | instid1(VALU_DEP_1)
	v_fma_f64 v[167:168], v[167:168], v[169:170], v[167:168]
	v_fma_f64 v[169:170], -v[150:151], v[167:168], 1.0
	s_delay_alu instid0(VALU_DEP_1) | instskip(SKIP_1) | instid1(VALU_DEP_1)
	v_fma_f64 v[167:168], v[167:168], v[169:170], v[167:168]
	v_div_scale_f64 v[169:170], vcc_lo, 1.0, v[148:149], 1.0
	v_mul_f64 v[171:172], v[169:170], v[167:168]
	s_delay_alu instid0(VALU_DEP_1) | instskip(NEXT) | instid1(VALU_DEP_1)
	v_fma_f64 v[150:151], -v[150:151], v[171:172], v[169:170]
	v_div_fmas_f64 v[150:151], v[150:151], v[167:168], v[171:172]
	s_delay_alu instid0(VALU_DEP_1) | instskip(NEXT) | instid1(VALU_DEP_1)
	v_div_fixup_f64 v[148:149], v[150:151], v[148:149], 1.0
	v_mul_f64 v[150:151], v[165:166], -v[148:149]
.LBB72_639:
	s_or_b32 exec_lo, exec_lo, s2
.LBB72_640:
	s_delay_alu instid0(SALU_CYCLE_1) | instskip(NEXT) | instid1(SALU_CYCLE_1)
	s_or_b32 exec_lo, exec_lo, s3
	s_mov_b32 s2, exec_lo
	v_cmpx_ne_u32_e64 v164, v156
	s_xor_b32 s2, exec_lo, s2
	s_cbranch_execz .LBB72_646
; %bb.641:
	s_mov_b32 s3, exec_lo
	v_cmpx_eq_u32_e32 30, v164
	s_cbranch_execz .LBB72_645
; %bb.642:
	v_cmp_ne_u32_e32 vcc_lo, 30, v156
	s_xor_b32 s6, s4, -1
	s_delay_alu instid0(SALU_CYCLE_1) | instskip(NEXT) | instid1(SALU_CYCLE_1)
	s_and_b32 s7, s6, vcc_lo
	s_and_saveexec_b32 s6, s7
	s_cbranch_execz .LBB72_644
; %bb.643:
	v_ashrrev_i32_e32 v157, 31, v156
	s_delay_alu instid0(VALU_DEP_1) | instskip(NEXT) | instid1(VALU_DEP_1)
	v_lshlrev_b64 v[163:164], 2, v[156:157]
	v_add_co_u32 v163, vcc_lo, v154, v163
	s_delay_alu instid0(VALU_DEP_2)
	v_add_co_ci_u32_e32 v164, vcc_lo, v155, v164, vcc_lo
	s_clause 0x1
	flat_load_b32 v157, v[163:164]
	flat_load_b32 v165, v[154:155] offset:120
	s_waitcnt vmcnt(1) lgkmcnt(1)
	flat_store_b32 v[154:155], v157 offset:120
	s_waitcnt vmcnt(0) lgkmcnt(1)
	flat_store_b32 v[163:164], v165
.LBB72_644:
	s_or_b32 exec_lo, exec_lo, s6
	v_mov_b32_e32 v164, v156
	v_mov_b32_e32 v163, v156
.LBB72_645:
	s_or_b32 exec_lo, exec_lo, s3
.LBB72_646:
	s_and_not1_saveexec_b32 s2, s2
	s_cbranch_execz .LBB72_648
; %bb.647:
	v_mov_b32_e32 v164, 30
	ds_store_2addr_b64 v158, v[20:21], v[22:23] offset0:62 offset1:63
	ds_store_2addr_b64 v158, v[16:17], v[18:19] offset0:64 offset1:65
	;; [unrolled: 1-line block ×6, first 2 shown]
.LBB72_648:
	s_or_b32 exec_lo, exec_lo, s2
	s_delay_alu instid0(SALU_CYCLE_1)
	s_mov_b32 s2, exec_lo
	s_waitcnt lgkmcnt(0)
	s_waitcnt_vscnt null, 0x0
	s_barrier
	buffer_gl0_inv
	v_cmpx_lt_i32_e32 30, v164
	s_cbranch_execz .LBB72_650
; %bb.649:
	v_mul_f64 v[156:157], v[148:149], v[26:27]
	v_mul_f64 v[26:27], v[150:151], v[26:27]
	ds_load_2addr_b64 v[165:168], v158 offset0:62 offset1:63
	ds_load_2addr_b64 v[169:172], v158 offset0:64 offset1:65
	;; [unrolled: 1-line block ×6, first 2 shown]
	v_fma_f64 v[150:151], v[150:151], v[24:25], v[156:157]
	v_fma_f64 v[24:25], v[148:149], v[24:25], -v[26:27]
	s_waitcnt lgkmcnt(5)
	s_delay_alu instid0(VALU_DEP_2)
	v_mul_f64 v[26:27], v[167:168], v[150:151]
	v_mul_f64 v[148:149], v[165:166], v[150:151]
	s_waitcnt lgkmcnt(4)
	v_mul_f64 v[156:157], v[171:172], v[150:151]
	v_mul_f64 v[189:190], v[169:170], v[150:151]
	s_waitcnt lgkmcnt(3)
	;; [unrolled: 3-line block ×5, first 2 shown]
	v_mul_f64 v[203:204], v[187:188], v[150:151]
	v_mul_f64 v[205:206], v[185:186], v[150:151]
	v_fma_f64 v[26:27], v[165:166], v[24:25], -v[26:27]
	v_fma_f64 v[148:149], v[167:168], v[24:25], v[148:149]
	v_fma_f64 v[156:157], v[169:170], v[24:25], -v[156:157]
	v_fma_f64 v[165:166], v[171:172], v[24:25], v[189:190]
	;; [unrolled: 2-line block ×6, first 2 shown]
	v_add_f64 v[20:21], v[20:21], -v[26:27]
	v_add_f64 v[22:23], v[22:23], -v[148:149]
	;; [unrolled: 1-line block ×12, first 2 shown]
	v_dual_mov_b32 v26, v150 :: v_dual_mov_b32 v27, v151
.LBB72_650:
	s_or_b32 exec_lo, exec_lo, s2
	v_lshl_add_u32 v148, v164, 4, v158
	s_barrier
	buffer_gl0_inv
	v_mov_b32_e32 v156, 31
	ds_store_2addr_b64 v148, v[20:21], v[22:23] offset1:1
	s_waitcnt lgkmcnt(0)
	s_barrier
	buffer_gl0_inv
	ds_load_2addr_b64 v[148:151], v158 offset0:62 offset1:63
	s_cmp_lt_i32 s5, 33
	s_cbranch_scc1 .LBB72_653
; %bb.651:
	v_add3_u32 v157, v162, 0, 0x200
	v_mov_b32_e32 v156, 31
	s_mov_b32 s6, 32
	s_set_inst_prefetch_distance 0x1
	.p2align	6
.LBB72_652:                             ; =>This Inner Loop Header: Depth=1
	ds_load_2addr_b64 v[165:168], v157 offset1:1
	s_waitcnt lgkmcnt(1)
	v_cmp_gt_f64_e32 vcc_lo, 0, v[148:149]
	v_xor_b32_e32 v169, 0x80000000, v149
	v_cmp_gt_f64_e64 s2, 0, v[150:151]
	v_xor_b32_e32 v171, 0x80000000, v151
	v_add_nc_u32_e32 v157, 16, v157
	s_waitcnt lgkmcnt(0)
	v_cmp_gt_f64_e64 s3, 0, v[165:166]
	v_mov_b32_e32 v173, v165
	v_dual_mov_b32 v175, v167 :: v_dual_cndmask_b32 v170, v149, v169
	v_xor_b32_e32 v169, 0x80000000, v166
	v_cndmask_b32_e64 v172, v151, v171, s2
	v_xor_b32_e32 v171, 0x80000000, v168
	s_delay_alu instid0(VALU_DEP_3) | instskip(SKIP_2) | instid1(VALU_DEP_2)
	v_cndmask_b32_e64 v174, v166, v169, s3
	v_cmp_gt_f64_e64 s3, 0, v[167:168]
	v_cndmask_b32_e32 v169, v148, v148, vcc_lo
	v_cndmask_b32_e64 v176, v168, v171, s3
	v_cndmask_b32_e64 v171, v150, v150, s2
	s_delay_alu instid0(VALU_DEP_2) | instskip(NEXT) | instid1(VALU_DEP_2)
	v_add_f64 v[173:174], v[173:174], v[175:176]
	v_add_f64 v[169:170], v[169:170], v[171:172]
	s_delay_alu instid0(VALU_DEP_1) | instskip(SKIP_4) | instid1(SALU_CYCLE_1)
	v_cmp_lt_f64_e32 vcc_lo, v[169:170], v[173:174]
	v_dual_cndmask_b32 v150, v150, v167 :: v_dual_cndmask_b32 v149, v149, v166
	v_dual_cndmask_b32 v148, v148, v165 :: v_dual_cndmask_b32 v151, v151, v168
	v_cndmask_b32_e64 v156, v156, s6, vcc_lo
	s_add_i32 s6, s6, 1
	s_cmp_lg_u32 s5, s6
	s_cbranch_scc1 .LBB72_652
.LBB72_653:
	s_set_inst_prefetch_distance 0x2
	s_waitcnt lgkmcnt(0)
	v_cmp_eq_f64_e32 vcc_lo, 0, v[148:149]
	v_cmp_eq_f64_e64 s2, 0, v[150:151]
	s_delay_alu instid0(VALU_DEP_1) | instskip(NEXT) | instid1(SALU_CYCLE_1)
	s_and_b32 s2, vcc_lo, s2
	s_and_saveexec_b32 s3, s2
	s_delay_alu instid0(SALU_CYCLE_1)
	s_xor_b32 s2, exec_lo, s3
; %bb.654:
	v_cmp_ne_u32_e32 vcc_lo, 0, v161
	v_cndmask_b32_e32 v161, 32, v161, vcc_lo
; %bb.655:
	s_and_not1_saveexec_b32 s3, s2
	s_cbranch_execz .LBB72_661
; %bb.656:
	v_cmp_gt_f64_e32 vcc_lo, 0, v[148:149]
	v_cmp_gt_f64_e64 s2, 0, v[150:151]
	v_xor_b32_e32 v157, 0x80000000, v149
	v_xor_b32_e32 v165, 0x80000000, v151
	s_delay_alu instid0(VALU_DEP_2) | instskip(NEXT) | instid1(VALU_DEP_2)
	v_cndmask_b32_e32 v166, v149, v157, vcc_lo
	v_cndmask_b32_e64 v168, v151, v165, s2
	v_cndmask_b32_e32 v165, v148, v148, vcc_lo
	v_cndmask_b32_e64 v167, v150, v150, s2
	s_mov_b32 s2, exec_lo
	s_delay_alu instid0(VALU_DEP_1)
	v_cmpx_ngt_f64_e32 v[165:166], v[167:168]
	s_xor_b32 s2, exec_lo, s2
	s_cbranch_execz .LBB72_658
; %bb.657:
	v_div_scale_f64 v[165:166], null, v[150:151], v[150:151], v[148:149]
	v_div_scale_f64 v[171:172], vcc_lo, v[148:149], v[150:151], v[148:149]
	s_delay_alu instid0(VALU_DEP_2) | instskip(SKIP_2) | instid1(VALU_DEP_1)
	v_rcp_f64_e32 v[167:168], v[165:166]
	s_waitcnt_depctr 0xfff
	v_fma_f64 v[169:170], -v[165:166], v[167:168], 1.0
	v_fma_f64 v[167:168], v[167:168], v[169:170], v[167:168]
	s_delay_alu instid0(VALU_DEP_1) | instskip(NEXT) | instid1(VALU_DEP_1)
	v_fma_f64 v[169:170], -v[165:166], v[167:168], 1.0
	v_fma_f64 v[167:168], v[167:168], v[169:170], v[167:168]
	s_delay_alu instid0(VALU_DEP_1) | instskip(NEXT) | instid1(VALU_DEP_1)
	v_mul_f64 v[169:170], v[171:172], v[167:168]
	v_fma_f64 v[165:166], -v[165:166], v[169:170], v[171:172]
	s_delay_alu instid0(VALU_DEP_1) | instskip(NEXT) | instid1(VALU_DEP_1)
	v_div_fmas_f64 v[165:166], v[165:166], v[167:168], v[169:170]
	v_div_fixup_f64 v[165:166], v[165:166], v[150:151], v[148:149]
	s_delay_alu instid0(VALU_DEP_1) | instskip(NEXT) | instid1(VALU_DEP_1)
	v_fma_f64 v[148:149], v[148:149], v[165:166], v[150:151]
	v_div_scale_f64 v[150:151], null, v[148:149], v[148:149], 1.0
	s_delay_alu instid0(VALU_DEP_1) | instskip(SKIP_2) | instid1(VALU_DEP_1)
	v_rcp_f64_e32 v[167:168], v[150:151]
	s_waitcnt_depctr 0xfff
	v_fma_f64 v[169:170], -v[150:151], v[167:168], 1.0
	v_fma_f64 v[167:168], v[167:168], v[169:170], v[167:168]
	s_delay_alu instid0(VALU_DEP_1) | instskip(NEXT) | instid1(VALU_DEP_1)
	v_fma_f64 v[169:170], -v[150:151], v[167:168], 1.0
	v_fma_f64 v[167:168], v[167:168], v[169:170], v[167:168]
	v_div_scale_f64 v[169:170], vcc_lo, 1.0, v[148:149], 1.0
	s_delay_alu instid0(VALU_DEP_1) | instskip(NEXT) | instid1(VALU_DEP_1)
	v_mul_f64 v[171:172], v[169:170], v[167:168]
	v_fma_f64 v[150:151], -v[150:151], v[171:172], v[169:170]
	s_delay_alu instid0(VALU_DEP_1) | instskip(NEXT) | instid1(VALU_DEP_1)
	v_div_fmas_f64 v[150:151], v[150:151], v[167:168], v[171:172]
	v_div_fixup_f64 v[150:151], v[150:151], v[148:149], 1.0
	s_delay_alu instid0(VALU_DEP_1)
	v_mul_f64 v[148:149], v[165:166], v[150:151]
	v_xor_b32_e32 v151, 0x80000000, v151
.LBB72_658:
	s_and_not1_saveexec_b32 s2, s2
	s_cbranch_execz .LBB72_660
; %bb.659:
	s_delay_alu instid0(VALU_DEP_1) | instskip(SKIP_1) | instid1(VALU_DEP_2)
	v_div_scale_f64 v[165:166], null, v[148:149], v[148:149], v[150:151]
	v_div_scale_f64 v[171:172], vcc_lo, v[150:151], v[148:149], v[150:151]
	v_rcp_f64_e32 v[167:168], v[165:166]
	s_waitcnt_depctr 0xfff
	v_fma_f64 v[169:170], -v[165:166], v[167:168], 1.0
	s_delay_alu instid0(VALU_DEP_1) | instskip(NEXT) | instid1(VALU_DEP_1)
	v_fma_f64 v[167:168], v[167:168], v[169:170], v[167:168]
	v_fma_f64 v[169:170], -v[165:166], v[167:168], 1.0
	s_delay_alu instid0(VALU_DEP_1) | instskip(NEXT) | instid1(VALU_DEP_1)
	v_fma_f64 v[167:168], v[167:168], v[169:170], v[167:168]
	v_mul_f64 v[169:170], v[171:172], v[167:168]
	s_delay_alu instid0(VALU_DEP_1) | instskip(NEXT) | instid1(VALU_DEP_1)
	v_fma_f64 v[165:166], -v[165:166], v[169:170], v[171:172]
	v_div_fmas_f64 v[165:166], v[165:166], v[167:168], v[169:170]
	s_delay_alu instid0(VALU_DEP_1) | instskip(NEXT) | instid1(VALU_DEP_1)
	v_div_fixup_f64 v[165:166], v[165:166], v[148:149], v[150:151]
	v_fma_f64 v[148:149], v[150:151], v[165:166], v[148:149]
	s_delay_alu instid0(VALU_DEP_1) | instskip(NEXT) | instid1(VALU_DEP_1)
	v_div_scale_f64 v[150:151], null, v[148:149], v[148:149], 1.0
	v_rcp_f64_e32 v[167:168], v[150:151]
	s_waitcnt_depctr 0xfff
	v_fma_f64 v[169:170], -v[150:151], v[167:168], 1.0
	s_delay_alu instid0(VALU_DEP_1) | instskip(NEXT) | instid1(VALU_DEP_1)
	v_fma_f64 v[167:168], v[167:168], v[169:170], v[167:168]
	v_fma_f64 v[169:170], -v[150:151], v[167:168], 1.0
	s_delay_alu instid0(VALU_DEP_1) | instskip(SKIP_1) | instid1(VALU_DEP_1)
	v_fma_f64 v[167:168], v[167:168], v[169:170], v[167:168]
	v_div_scale_f64 v[169:170], vcc_lo, 1.0, v[148:149], 1.0
	v_mul_f64 v[171:172], v[169:170], v[167:168]
	s_delay_alu instid0(VALU_DEP_1) | instskip(NEXT) | instid1(VALU_DEP_1)
	v_fma_f64 v[150:151], -v[150:151], v[171:172], v[169:170]
	v_div_fmas_f64 v[150:151], v[150:151], v[167:168], v[171:172]
	s_delay_alu instid0(VALU_DEP_1) | instskip(NEXT) | instid1(VALU_DEP_1)
	v_div_fixup_f64 v[148:149], v[150:151], v[148:149], 1.0
	v_mul_f64 v[150:151], v[165:166], -v[148:149]
.LBB72_660:
	s_or_b32 exec_lo, exec_lo, s2
.LBB72_661:
	s_delay_alu instid0(SALU_CYCLE_1) | instskip(NEXT) | instid1(SALU_CYCLE_1)
	s_or_b32 exec_lo, exec_lo, s3
	s_mov_b32 s2, exec_lo
	v_cmpx_ne_u32_e64 v164, v156
	s_xor_b32 s2, exec_lo, s2
	s_cbranch_execz .LBB72_667
; %bb.662:
	s_mov_b32 s3, exec_lo
	v_cmpx_eq_u32_e32 31, v164
	s_cbranch_execz .LBB72_666
; %bb.663:
	v_cmp_ne_u32_e32 vcc_lo, 31, v156
	s_xor_b32 s6, s4, -1
	s_delay_alu instid0(SALU_CYCLE_1) | instskip(NEXT) | instid1(SALU_CYCLE_1)
	s_and_b32 s7, s6, vcc_lo
	s_and_saveexec_b32 s6, s7
	s_cbranch_execz .LBB72_665
; %bb.664:
	v_ashrrev_i32_e32 v157, 31, v156
	s_delay_alu instid0(VALU_DEP_1) | instskip(NEXT) | instid1(VALU_DEP_1)
	v_lshlrev_b64 v[163:164], 2, v[156:157]
	v_add_co_u32 v163, vcc_lo, v154, v163
	s_delay_alu instid0(VALU_DEP_2)
	v_add_co_ci_u32_e32 v164, vcc_lo, v155, v164, vcc_lo
	s_clause 0x1
	flat_load_b32 v157, v[163:164]
	flat_load_b32 v165, v[154:155] offset:124
	s_waitcnt vmcnt(1) lgkmcnt(1)
	flat_store_b32 v[154:155], v157 offset:124
	s_waitcnt vmcnt(0) lgkmcnt(1)
	flat_store_b32 v[163:164], v165
.LBB72_665:
	s_or_b32 exec_lo, exec_lo, s6
	v_mov_b32_e32 v164, v156
	v_mov_b32_e32 v163, v156
.LBB72_666:
	s_or_b32 exec_lo, exec_lo, s3
.LBB72_667:
	s_and_not1_saveexec_b32 s2, s2
	s_cbranch_execz .LBB72_669
; %bb.668:
	v_mov_b32_e32 v164, 31
	ds_store_2addr_b64 v158, v[16:17], v[18:19] offset0:64 offset1:65
	ds_store_2addr_b64 v158, v[12:13], v[14:15] offset0:66 offset1:67
	;; [unrolled: 1-line block ×5, first 2 shown]
.LBB72_669:
	s_or_b32 exec_lo, exec_lo, s2
	s_delay_alu instid0(SALU_CYCLE_1)
	s_mov_b32 s2, exec_lo
	s_waitcnt lgkmcnt(0)
	s_waitcnt_vscnt null, 0x0
	s_barrier
	buffer_gl0_inv
	v_cmpx_lt_i32_e32 31, v164
	s_cbranch_execz .LBB72_671
; %bb.670:
	v_mul_f64 v[156:157], v[148:149], v[22:23]
	v_mul_f64 v[22:23], v[150:151], v[22:23]
	ds_load_2addr_b64 v[165:168], v158 offset0:64 offset1:65
	ds_load_2addr_b64 v[169:172], v158 offset0:66 offset1:67
	ds_load_2addr_b64 v[173:176], v158 offset0:68 offset1:69
	ds_load_2addr_b64 v[177:180], v158 offset0:70 offset1:71
	ds_load_2addr_b64 v[181:184], v158 offset0:72 offset1:73
	v_fma_f64 v[150:151], v[150:151], v[20:21], v[156:157]
	v_fma_f64 v[20:21], v[148:149], v[20:21], -v[22:23]
	s_waitcnt lgkmcnt(4)
	s_delay_alu instid0(VALU_DEP_2)
	v_mul_f64 v[22:23], v[167:168], v[150:151]
	v_mul_f64 v[148:149], v[165:166], v[150:151]
	s_waitcnt lgkmcnt(3)
	v_mul_f64 v[156:157], v[171:172], v[150:151]
	v_mul_f64 v[185:186], v[169:170], v[150:151]
	s_waitcnt lgkmcnt(2)
	;; [unrolled: 3-line block ×4, first 2 shown]
	v_mul_f64 v[195:196], v[183:184], v[150:151]
	v_mul_f64 v[197:198], v[181:182], v[150:151]
	v_fma_f64 v[22:23], v[165:166], v[20:21], -v[22:23]
	v_fma_f64 v[148:149], v[167:168], v[20:21], v[148:149]
	v_fma_f64 v[156:157], v[169:170], v[20:21], -v[156:157]
	v_fma_f64 v[165:166], v[171:172], v[20:21], v[185:186]
	;; [unrolled: 2-line block ×5, first 2 shown]
	v_add_f64 v[16:17], v[16:17], -v[22:23]
	v_add_f64 v[18:19], v[18:19], -v[148:149]
	;; [unrolled: 1-line block ×10, first 2 shown]
	v_dual_mov_b32 v22, v150 :: v_dual_mov_b32 v23, v151
.LBB72_671:
	s_or_b32 exec_lo, exec_lo, s2
	v_lshl_add_u32 v148, v164, 4, v158
	s_barrier
	buffer_gl0_inv
	v_mov_b32_e32 v156, 32
	ds_store_2addr_b64 v148, v[16:17], v[18:19] offset1:1
	s_waitcnt lgkmcnt(0)
	s_barrier
	buffer_gl0_inv
	ds_load_2addr_b64 v[148:151], v158 offset0:64 offset1:65
	s_cmp_lt_i32 s5, 34
	s_cbranch_scc1 .LBB72_674
; %bb.672:
	v_add3_u32 v157, v162, 0, 0x210
	v_mov_b32_e32 v156, 32
	s_mov_b32 s6, 33
	s_set_inst_prefetch_distance 0x1
	.p2align	6
.LBB72_673:                             ; =>This Inner Loop Header: Depth=1
	ds_load_2addr_b64 v[165:168], v157 offset1:1
	s_waitcnt lgkmcnt(1)
	v_cmp_gt_f64_e32 vcc_lo, 0, v[148:149]
	v_xor_b32_e32 v169, 0x80000000, v149
	v_cmp_gt_f64_e64 s2, 0, v[150:151]
	v_xor_b32_e32 v171, 0x80000000, v151
	v_add_nc_u32_e32 v157, 16, v157
	s_waitcnt lgkmcnt(0)
	v_cmp_gt_f64_e64 s3, 0, v[165:166]
	v_mov_b32_e32 v173, v165
	v_dual_mov_b32 v175, v167 :: v_dual_cndmask_b32 v170, v149, v169
	v_xor_b32_e32 v169, 0x80000000, v166
	v_cndmask_b32_e64 v172, v151, v171, s2
	v_xor_b32_e32 v171, 0x80000000, v168
	s_delay_alu instid0(VALU_DEP_3) | instskip(SKIP_2) | instid1(VALU_DEP_2)
	v_cndmask_b32_e64 v174, v166, v169, s3
	v_cmp_gt_f64_e64 s3, 0, v[167:168]
	v_cndmask_b32_e32 v169, v148, v148, vcc_lo
	v_cndmask_b32_e64 v176, v168, v171, s3
	v_cndmask_b32_e64 v171, v150, v150, s2
	s_delay_alu instid0(VALU_DEP_2) | instskip(NEXT) | instid1(VALU_DEP_2)
	v_add_f64 v[173:174], v[173:174], v[175:176]
	v_add_f64 v[169:170], v[169:170], v[171:172]
	s_delay_alu instid0(VALU_DEP_1) | instskip(SKIP_4) | instid1(SALU_CYCLE_1)
	v_cmp_lt_f64_e32 vcc_lo, v[169:170], v[173:174]
	v_dual_cndmask_b32 v150, v150, v167 :: v_dual_cndmask_b32 v149, v149, v166
	v_dual_cndmask_b32 v148, v148, v165 :: v_dual_cndmask_b32 v151, v151, v168
	v_cndmask_b32_e64 v156, v156, s6, vcc_lo
	s_add_i32 s6, s6, 1
	s_cmp_lg_u32 s5, s6
	s_cbranch_scc1 .LBB72_673
.LBB72_674:
	s_set_inst_prefetch_distance 0x2
	s_waitcnt lgkmcnt(0)
	v_cmp_eq_f64_e32 vcc_lo, 0, v[148:149]
	v_cmp_eq_f64_e64 s2, 0, v[150:151]
	s_delay_alu instid0(VALU_DEP_1) | instskip(NEXT) | instid1(SALU_CYCLE_1)
	s_and_b32 s2, vcc_lo, s2
	s_and_saveexec_b32 s3, s2
	s_delay_alu instid0(SALU_CYCLE_1)
	s_xor_b32 s2, exec_lo, s3
; %bb.675:
	v_cmp_ne_u32_e32 vcc_lo, 0, v161
	v_cndmask_b32_e32 v161, 33, v161, vcc_lo
; %bb.676:
	s_and_not1_saveexec_b32 s3, s2
	s_cbranch_execz .LBB72_682
; %bb.677:
	v_cmp_gt_f64_e32 vcc_lo, 0, v[148:149]
	v_cmp_gt_f64_e64 s2, 0, v[150:151]
	v_xor_b32_e32 v157, 0x80000000, v149
	v_xor_b32_e32 v165, 0x80000000, v151
	s_delay_alu instid0(VALU_DEP_2) | instskip(NEXT) | instid1(VALU_DEP_2)
	v_cndmask_b32_e32 v166, v149, v157, vcc_lo
	v_cndmask_b32_e64 v168, v151, v165, s2
	v_cndmask_b32_e32 v165, v148, v148, vcc_lo
	v_cndmask_b32_e64 v167, v150, v150, s2
	s_mov_b32 s2, exec_lo
	s_delay_alu instid0(VALU_DEP_1)
	v_cmpx_ngt_f64_e32 v[165:166], v[167:168]
	s_xor_b32 s2, exec_lo, s2
	s_cbranch_execz .LBB72_679
; %bb.678:
	v_div_scale_f64 v[165:166], null, v[150:151], v[150:151], v[148:149]
	v_div_scale_f64 v[171:172], vcc_lo, v[148:149], v[150:151], v[148:149]
	s_delay_alu instid0(VALU_DEP_2) | instskip(SKIP_2) | instid1(VALU_DEP_1)
	v_rcp_f64_e32 v[167:168], v[165:166]
	s_waitcnt_depctr 0xfff
	v_fma_f64 v[169:170], -v[165:166], v[167:168], 1.0
	v_fma_f64 v[167:168], v[167:168], v[169:170], v[167:168]
	s_delay_alu instid0(VALU_DEP_1) | instskip(NEXT) | instid1(VALU_DEP_1)
	v_fma_f64 v[169:170], -v[165:166], v[167:168], 1.0
	v_fma_f64 v[167:168], v[167:168], v[169:170], v[167:168]
	s_delay_alu instid0(VALU_DEP_1) | instskip(NEXT) | instid1(VALU_DEP_1)
	v_mul_f64 v[169:170], v[171:172], v[167:168]
	v_fma_f64 v[165:166], -v[165:166], v[169:170], v[171:172]
	s_delay_alu instid0(VALU_DEP_1) | instskip(NEXT) | instid1(VALU_DEP_1)
	v_div_fmas_f64 v[165:166], v[165:166], v[167:168], v[169:170]
	v_div_fixup_f64 v[165:166], v[165:166], v[150:151], v[148:149]
	s_delay_alu instid0(VALU_DEP_1) | instskip(NEXT) | instid1(VALU_DEP_1)
	v_fma_f64 v[148:149], v[148:149], v[165:166], v[150:151]
	v_div_scale_f64 v[150:151], null, v[148:149], v[148:149], 1.0
	s_delay_alu instid0(VALU_DEP_1) | instskip(SKIP_2) | instid1(VALU_DEP_1)
	v_rcp_f64_e32 v[167:168], v[150:151]
	s_waitcnt_depctr 0xfff
	v_fma_f64 v[169:170], -v[150:151], v[167:168], 1.0
	v_fma_f64 v[167:168], v[167:168], v[169:170], v[167:168]
	s_delay_alu instid0(VALU_DEP_1) | instskip(NEXT) | instid1(VALU_DEP_1)
	v_fma_f64 v[169:170], -v[150:151], v[167:168], 1.0
	v_fma_f64 v[167:168], v[167:168], v[169:170], v[167:168]
	v_div_scale_f64 v[169:170], vcc_lo, 1.0, v[148:149], 1.0
	s_delay_alu instid0(VALU_DEP_1) | instskip(NEXT) | instid1(VALU_DEP_1)
	v_mul_f64 v[171:172], v[169:170], v[167:168]
	v_fma_f64 v[150:151], -v[150:151], v[171:172], v[169:170]
	s_delay_alu instid0(VALU_DEP_1) | instskip(NEXT) | instid1(VALU_DEP_1)
	v_div_fmas_f64 v[150:151], v[150:151], v[167:168], v[171:172]
	v_div_fixup_f64 v[150:151], v[150:151], v[148:149], 1.0
	s_delay_alu instid0(VALU_DEP_1)
	v_mul_f64 v[148:149], v[165:166], v[150:151]
	v_xor_b32_e32 v151, 0x80000000, v151
.LBB72_679:
	s_and_not1_saveexec_b32 s2, s2
	s_cbranch_execz .LBB72_681
; %bb.680:
	s_delay_alu instid0(VALU_DEP_1) | instskip(SKIP_1) | instid1(VALU_DEP_2)
	v_div_scale_f64 v[165:166], null, v[148:149], v[148:149], v[150:151]
	v_div_scale_f64 v[171:172], vcc_lo, v[150:151], v[148:149], v[150:151]
	v_rcp_f64_e32 v[167:168], v[165:166]
	s_waitcnt_depctr 0xfff
	v_fma_f64 v[169:170], -v[165:166], v[167:168], 1.0
	s_delay_alu instid0(VALU_DEP_1) | instskip(NEXT) | instid1(VALU_DEP_1)
	v_fma_f64 v[167:168], v[167:168], v[169:170], v[167:168]
	v_fma_f64 v[169:170], -v[165:166], v[167:168], 1.0
	s_delay_alu instid0(VALU_DEP_1) | instskip(NEXT) | instid1(VALU_DEP_1)
	v_fma_f64 v[167:168], v[167:168], v[169:170], v[167:168]
	v_mul_f64 v[169:170], v[171:172], v[167:168]
	s_delay_alu instid0(VALU_DEP_1) | instskip(NEXT) | instid1(VALU_DEP_1)
	v_fma_f64 v[165:166], -v[165:166], v[169:170], v[171:172]
	v_div_fmas_f64 v[165:166], v[165:166], v[167:168], v[169:170]
	s_delay_alu instid0(VALU_DEP_1) | instskip(NEXT) | instid1(VALU_DEP_1)
	v_div_fixup_f64 v[165:166], v[165:166], v[148:149], v[150:151]
	v_fma_f64 v[148:149], v[150:151], v[165:166], v[148:149]
	s_delay_alu instid0(VALU_DEP_1) | instskip(NEXT) | instid1(VALU_DEP_1)
	v_div_scale_f64 v[150:151], null, v[148:149], v[148:149], 1.0
	v_rcp_f64_e32 v[167:168], v[150:151]
	s_waitcnt_depctr 0xfff
	v_fma_f64 v[169:170], -v[150:151], v[167:168], 1.0
	s_delay_alu instid0(VALU_DEP_1) | instskip(NEXT) | instid1(VALU_DEP_1)
	v_fma_f64 v[167:168], v[167:168], v[169:170], v[167:168]
	v_fma_f64 v[169:170], -v[150:151], v[167:168], 1.0
	s_delay_alu instid0(VALU_DEP_1) | instskip(SKIP_1) | instid1(VALU_DEP_1)
	v_fma_f64 v[167:168], v[167:168], v[169:170], v[167:168]
	v_div_scale_f64 v[169:170], vcc_lo, 1.0, v[148:149], 1.0
	v_mul_f64 v[171:172], v[169:170], v[167:168]
	s_delay_alu instid0(VALU_DEP_1) | instskip(NEXT) | instid1(VALU_DEP_1)
	v_fma_f64 v[150:151], -v[150:151], v[171:172], v[169:170]
	v_div_fmas_f64 v[150:151], v[150:151], v[167:168], v[171:172]
	s_delay_alu instid0(VALU_DEP_1) | instskip(NEXT) | instid1(VALU_DEP_1)
	v_div_fixup_f64 v[148:149], v[150:151], v[148:149], 1.0
	v_mul_f64 v[150:151], v[165:166], -v[148:149]
.LBB72_681:
	s_or_b32 exec_lo, exec_lo, s2
.LBB72_682:
	s_delay_alu instid0(SALU_CYCLE_1) | instskip(NEXT) | instid1(SALU_CYCLE_1)
	s_or_b32 exec_lo, exec_lo, s3
	s_mov_b32 s2, exec_lo
	v_cmpx_ne_u32_e64 v164, v156
	s_xor_b32 s2, exec_lo, s2
	s_cbranch_execz .LBB72_688
; %bb.683:
	s_mov_b32 s3, exec_lo
	v_cmpx_eq_u32_e32 32, v164
	s_cbranch_execz .LBB72_687
; %bb.684:
	v_cmp_ne_u32_e32 vcc_lo, 32, v156
	s_xor_b32 s6, s4, -1
	s_delay_alu instid0(SALU_CYCLE_1) | instskip(NEXT) | instid1(SALU_CYCLE_1)
	s_and_b32 s7, s6, vcc_lo
	s_and_saveexec_b32 s6, s7
	s_cbranch_execz .LBB72_686
; %bb.685:
	v_ashrrev_i32_e32 v157, 31, v156
	s_delay_alu instid0(VALU_DEP_1) | instskip(NEXT) | instid1(VALU_DEP_1)
	v_lshlrev_b64 v[163:164], 2, v[156:157]
	v_add_co_u32 v163, vcc_lo, v154, v163
	s_delay_alu instid0(VALU_DEP_2)
	v_add_co_ci_u32_e32 v164, vcc_lo, v155, v164, vcc_lo
	s_clause 0x1
	flat_load_b32 v157, v[163:164]
	flat_load_b32 v165, v[154:155] offset:128
	s_waitcnt vmcnt(1) lgkmcnt(1)
	flat_store_b32 v[154:155], v157 offset:128
	s_waitcnt vmcnt(0) lgkmcnt(1)
	flat_store_b32 v[163:164], v165
.LBB72_686:
	s_or_b32 exec_lo, exec_lo, s6
	v_mov_b32_e32 v164, v156
	v_mov_b32_e32 v163, v156
.LBB72_687:
	s_or_b32 exec_lo, exec_lo, s3
.LBB72_688:
	s_and_not1_saveexec_b32 s2, s2
	s_cbranch_execz .LBB72_690
; %bb.689:
	v_mov_b32_e32 v164, 32
	ds_store_2addr_b64 v158, v[12:13], v[14:15] offset0:66 offset1:67
	ds_store_2addr_b64 v158, v[8:9], v[10:11] offset0:68 offset1:69
	;; [unrolled: 1-line block ×4, first 2 shown]
.LBB72_690:
	s_or_b32 exec_lo, exec_lo, s2
	s_delay_alu instid0(SALU_CYCLE_1)
	s_mov_b32 s2, exec_lo
	s_waitcnt lgkmcnt(0)
	s_waitcnt_vscnt null, 0x0
	s_barrier
	buffer_gl0_inv
	v_cmpx_lt_i32_e32 32, v164
	s_cbranch_execz .LBB72_692
; %bb.691:
	v_mul_f64 v[156:157], v[148:149], v[18:19]
	v_mul_f64 v[18:19], v[150:151], v[18:19]
	ds_load_2addr_b64 v[165:168], v158 offset0:66 offset1:67
	ds_load_2addr_b64 v[169:172], v158 offset0:68 offset1:69
	ds_load_2addr_b64 v[173:176], v158 offset0:70 offset1:71
	ds_load_2addr_b64 v[177:180], v158 offset0:72 offset1:73
	v_fma_f64 v[150:151], v[150:151], v[16:17], v[156:157]
	v_fma_f64 v[16:17], v[148:149], v[16:17], -v[18:19]
	s_waitcnt lgkmcnt(3)
	s_delay_alu instid0(VALU_DEP_2)
	v_mul_f64 v[18:19], v[167:168], v[150:151]
	v_mul_f64 v[148:149], v[165:166], v[150:151]
	s_waitcnt lgkmcnt(2)
	v_mul_f64 v[156:157], v[171:172], v[150:151]
	v_mul_f64 v[181:182], v[169:170], v[150:151]
	s_waitcnt lgkmcnt(1)
	;; [unrolled: 3-line block ×3, first 2 shown]
	v_mul_f64 v[187:188], v[179:180], v[150:151]
	v_mul_f64 v[189:190], v[177:178], v[150:151]
	v_fma_f64 v[18:19], v[165:166], v[16:17], -v[18:19]
	v_fma_f64 v[148:149], v[167:168], v[16:17], v[148:149]
	v_fma_f64 v[156:157], v[169:170], v[16:17], -v[156:157]
	v_fma_f64 v[165:166], v[171:172], v[16:17], v[181:182]
	;; [unrolled: 2-line block ×4, first 2 shown]
	v_add_f64 v[12:13], v[12:13], -v[18:19]
	v_add_f64 v[14:15], v[14:15], -v[148:149]
	;; [unrolled: 1-line block ×8, first 2 shown]
	v_dual_mov_b32 v18, v150 :: v_dual_mov_b32 v19, v151
.LBB72_692:
	s_or_b32 exec_lo, exec_lo, s2
	v_lshl_add_u32 v148, v164, 4, v158
	s_barrier
	buffer_gl0_inv
	v_mov_b32_e32 v156, 33
	ds_store_2addr_b64 v148, v[12:13], v[14:15] offset1:1
	s_waitcnt lgkmcnt(0)
	s_barrier
	buffer_gl0_inv
	ds_load_2addr_b64 v[148:151], v158 offset0:66 offset1:67
	s_cmp_lt_i32 s5, 35
	s_cbranch_scc1 .LBB72_695
; %bb.693:
	v_add3_u32 v157, v162, 0, 0x220
	v_mov_b32_e32 v156, 33
	s_mov_b32 s6, 34
	s_set_inst_prefetch_distance 0x1
	.p2align	6
.LBB72_694:                             ; =>This Inner Loop Header: Depth=1
	ds_load_2addr_b64 v[165:168], v157 offset1:1
	s_waitcnt lgkmcnt(1)
	v_cmp_gt_f64_e32 vcc_lo, 0, v[148:149]
	v_xor_b32_e32 v169, 0x80000000, v149
	v_cmp_gt_f64_e64 s2, 0, v[150:151]
	v_xor_b32_e32 v171, 0x80000000, v151
	v_add_nc_u32_e32 v157, 16, v157
	s_waitcnt lgkmcnt(0)
	v_cmp_gt_f64_e64 s3, 0, v[165:166]
	v_mov_b32_e32 v173, v165
	v_dual_mov_b32 v175, v167 :: v_dual_cndmask_b32 v170, v149, v169
	v_xor_b32_e32 v169, 0x80000000, v166
	v_cndmask_b32_e64 v172, v151, v171, s2
	v_xor_b32_e32 v171, 0x80000000, v168
	s_delay_alu instid0(VALU_DEP_3) | instskip(SKIP_2) | instid1(VALU_DEP_2)
	v_cndmask_b32_e64 v174, v166, v169, s3
	v_cmp_gt_f64_e64 s3, 0, v[167:168]
	v_cndmask_b32_e32 v169, v148, v148, vcc_lo
	v_cndmask_b32_e64 v176, v168, v171, s3
	v_cndmask_b32_e64 v171, v150, v150, s2
	s_delay_alu instid0(VALU_DEP_2) | instskip(NEXT) | instid1(VALU_DEP_2)
	v_add_f64 v[173:174], v[173:174], v[175:176]
	v_add_f64 v[169:170], v[169:170], v[171:172]
	s_delay_alu instid0(VALU_DEP_1) | instskip(SKIP_4) | instid1(SALU_CYCLE_1)
	v_cmp_lt_f64_e32 vcc_lo, v[169:170], v[173:174]
	v_dual_cndmask_b32 v150, v150, v167 :: v_dual_cndmask_b32 v149, v149, v166
	v_dual_cndmask_b32 v148, v148, v165 :: v_dual_cndmask_b32 v151, v151, v168
	v_cndmask_b32_e64 v156, v156, s6, vcc_lo
	s_add_i32 s6, s6, 1
	s_cmp_lg_u32 s5, s6
	s_cbranch_scc1 .LBB72_694
.LBB72_695:
	s_set_inst_prefetch_distance 0x2
	s_waitcnt lgkmcnt(0)
	v_cmp_eq_f64_e32 vcc_lo, 0, v[148:149]
	v_cmp_eq_f64_e64 s2, 0, v[150:151]
	s_delay_alu instid0(VALU_DEP_1) | instskip(NEXT) | instid1(SALU_CYCLE_1)
	s_and_b32 s2, vcc_lo, s2
	s_and_saveexec_b32 s3, s2
	s_delay_alu instid0(SALU_CYCLE_1)
	s_xor_b32 s2, exec_lo, s3
; %bb.696:
	v_cmp_ne_u32_e32 vcc_lo, 0, v161
	v_cndmask_b32_e32 v161, 34, v161, vcc_lo
; %bb.697:
	s_and_not1_saveexec_b32 s3, s2
	s_cbranch_execz .LBB72_703
; %bb.698:
	v_cmp_gt_f64_e32 vcc_lo, 0, v[148:149]
	v_cmp_gt_f64_e64 s2, 0, v[150:151]
	v_xor_b32_e32 v157, 0x80000000, v149
	v_xor_b32_e32 v165, 0x80000000, v151
	s_delay_alu instid0(VALU_DEP_2) | instskip(NEXT) | instid1(VALU_DEP_2)
	v_cndmask_b32_e32 v166, v149, v157, vcc_lo
	v_cndmask_b32_e64 v168, v151, v165, s2
	v_cndmask_b32_e32 v165, v148, v148, vcc_lo
	v_cndmask_b32_e64 v167, v150, v150, s2
	s_mov_b32 s2, exec_lo
	s_delay_alu instid0(VALU_DEP_1)
	v_cmpx_ngt_f64_e32 v[165:166], v[167:168]
	s_xor_b32 s2, exec_lo, s2
	s_cbranch_execz .LBB72_700
; %bb.699:
	v_div_scale_f64 v[165:166], null, v[150:151], v[150:151], v[148:149]
	v_div_scale_f64 v[171:172], vcc_lo, v[148:149], v[150:151], v[148:149]
	s_delay_alu instid0(VALU_DEP_2) | instskip(SKIP_2) | instid1(VALU_DEP_1)
	v_rcp_f64_e32 v[167:168], v[165:166]
	s_waitcnt_depctr 0xfff
	v_fma_f64 v[169:170], -v[165:166], v[167:168], 1.0
	v_fma_f64 v[167:168], v[167:168], v[169:170], v[167:168]
	s_delay_alu instid0(VALU_DEP_1) | instskip(NEXT) | instid1(VALU_DEP_1)
	v_fma_f64 v[169:170], -v[165:166], v[167:168], 1.0
	v_fma_f64 v[167:168], v[167:168], v[169:170], v[167:168]
	s_delay_alu instid0(VALU_DEP_1) | instskip(NEXT) | instid1(VALU_DEP_1)
	v_mul_f64 v[169:170], v[171:172], v[167:168]
	v_fma_f64 v[165:166], -v[165:166], v[169:170], v[171:172]
	s_delay_alu instid0(VALU_DEP_1) | instskip(NEXT) | instid1(VALU_DEP_1)
	v_div_fmas_f64 v[165:166], v[165:166], v[167:168], v[169:170]
	v_div_fixup_f64 v[165:166], v[165:166], v[150:151], v[148:149]
	s_delay_alu instid0(VALU_DEP_1) | instskip(NEXT) | instid1(VALU_DEP_1)
	v_fma_f64 v[148:149], v[148:149], v[165:166], v[150:151]
	v_div_scale_f64 v[150:151], null, v[148:149], v[148:149], 1.0
	s_delay_alu instid0(VALU_DEP_1) | instskip(SKIP_2) | instid1(VALU_DEP_1)
	v_rcp_f64_e32 v[167:168], v[150:151]
	s_waitcnt_depctr 0xfff
	v_fma_f64 v[169:170], -v[150:151], v[167:168], 1.0
	v_fma_f64 v[167:168], v[167:168], v[169:170], v[167:168]
	s_delay_alu instid0(VALU_DEP_1) | instskip(NEXT) | instid1(VALU_DEP_1)
	v_fma_f64 v[169:170], -v[150:151], v[167:168], 1.0
	v_fma_f64 v[167:168], v[167:168], v[169:170], v[167:168]
	v_div_scale_f64 v[169:170], vcc_lo, 1.0, v[148:149], 1.0
	s_delay_alu instid0(VALU_DEP_1) | instskip(NEXT) | instid1(VALU_DEP_1)
	v_mul_f64 v[171:172], v[169:170], v[167:168]
	v_fma_f64 v[150:151], -v[150:151], v[171:172], v[169:170]
	s_delay_alu instid0(VALU_DEP_1) | instskip(NEXT) | instid1(VALU_DEP_1)
	v_div_fmas_f64 v[150:151], v[150:151], v[167:168], v[171:172]
	v_div_fixup_f64 v[150:151], v[150:151], v[148:149], 1.0
	s_delay_alu instid0(VALU_DEP_1)
	v_mul_f64 v[148:149], v[165:166], v[150:151]
	v_xor_b32_e32 v151, 0x80000000, v151
.LBB72_700:
	s_and_not1_saveexec_b32 s2, s2
	s_cbranch_execz .LBB72_702
; %bb.701:
	s_delay_alu instid0(VALU_DEP_1) | instskip(SKIP_1) | instid1(VALU_DEP_2)
	v_div_scale_f64 v[165:166], null, v[148:149], v[148:149], v[150:151]
	v_div_scale_f64 v[171:172], vcc_lo, v[150:151], v[148:149], v[150:151]
	v_rcp_f64_e32 v[167:168], v[165:166]
	s_waitcnt_depctr 0xfff
	v_fma_f64 v[169:170], -v[165:166], v[167:168], 1.0
	s_delay_alu instid0(VALU_DEP_1) | instskip(NEXT) | instid1(VALU_DEP_1)
	v_fma_f64 v[167:168], v[167:168], v[169:170], v[167:168]
	v_fma_f64 v[169:170], -v[165:166], v[167:168], 1.0
	s_delay_alu instid0(VALU_DEP_1) | instskip(NEXT) | instid1(VALU_DEP_1)
	v_fma_f64 v[167:168], v[167:168], v[169:170], v[167:168]
	v_mul_f64 v[169:170], v[171:172], v[167:168]
	s_delay_alu instid0(VALU_DEP_1) | instskip(NEXT) | instid1(VALU_DEP_1)
	v_fma_f64 v[165:166], -v[165:166], v[169:170], v[171:172]
	v_div_fmas_f64 v[165:166], v[165:166], v[167:168], v[169:170]
	s_delay_alu instid0(VALU_DEP_1) | instskip(NEXT) | instid1(VALU_DEP_1)
	v_div_fixup_f64 v[165:166], v[165:166], v[148:149], v[150:151]
	v_fma_f64 v[148:149], v[150:151], v[165:166], v[148:149]
	s_delay_alu instid0(VALU_DEP_1) | instskip(NEXT) | instid1(VALU_DEP_1)
	v_div_scale_f64 v[150:151], null, v[148:149], v[148:149], 1.0
	v_rcp_f64_e32 v[167:168], v[150:151]
	s_waitcnt_depctr 0xfff
	v_fma_f64 v[169:170], -v[150:151], v[167:168], 1.0
	s_delay_alu instid0(VALU_DEP_1) | instskip(NEXT) | instid1(VALU_DEP_1)
	v_fma_f64 v[167:168], v[167:168], v[169:170], v[167:168]
	v_fma_f64 v[169:170], -v[150:151], v[167:168], 1.0
	s_delay_alu instid0(VALU_DEP_1) | instskip(SKIP_1) | instid1(VALU_DEP_1)
	v_fma_f64 v[167:168], v[167:168], v[169:170], v[167:168]
	v_div_scale_f64 v[169:170], vcc_lo, 1.0, v[148:149], 1.0
	v_mul_f64 v[171:172], v[169:170], v[167:168]
	s_delay_alu instid0(VALU_DEP_1) | instskip(NEXT) | instid1(VALU_DEP_1)
	v_fma_f64 v[150:151], -v[150:151], v[171:172], v[169:170]
	v_div_fmas_f64 v[150:151], v[150:151], v[167:168], v[171:172]
	s_delay_alu instid0(VALU_DEP_1) | instskip(NEXT) | instid1(VALU_DEP_1)
	v_div_fixup_f64 v[148:149], v[150:151], v[148:149], 1.0
	v_mul_f64 v[150:151], v[165:166], -v[148:149]
.LBB72_702:
	s_or_b32 exec_lo, exec_lo, s2
.LBB72_703:
	s_delay_alu instid0(SALU_CYCLE_1) | instskip(NEXT) | instid1(SALU_CYCLE_1)
	s_or_b32 exec_lo, exec_lo, s3
	s_mov_b32 s2, exec_lo
	v_cmpx_ne_u32_e64 v164, v156
	s_xor_b32 s2, exec_lo, s2
	s_cbranch_execz .LBB72_709
; %bb.704:
	s_mov_b32 s3, exec_lo
	v_cmpx_eq_u32_e32 33, v164
	s_cbranch_execz .LBB72_708
; %bb.705:
	v_cmp_ne_u32_e32 vcc_lo, 33, v156
	s_xor_b32 s6, s4, -1
	s_delay_alu instid0(SALU_CYCLE_1) | instskip(NEXT) | instid1(SALU_CYCLE_1)
	s_and_b32 s7, s6, vcc_lo
	s_and_saveexec_b32 s6, s7
	s_cbranch_execz .LBB72_707
; %bb.706:
	v_ashrrev_i32_e32 v157, 31, v156
	s_delay_alu instid0(VALU_DEP_1) | instskip(NEXT) | instid1(VALU_DEP_1)
	v_lshlrev_b64 v[163:164], 2, v[156:157]
	v_add_co_u32 v163, vcc_lo, v154, v163
	s_delay_alu instid0(VALU_DEP_2)
	v_add_co_ci_u32_e32 v164, vcc_lo, v155, v164, vcc_lo
	s_clause 0x1
	flat_load_b32 v157, v[163:164]
	flat_load_b32 v165, v[154:155] offset:132
	s_waitcnt vmcnt(1) lgkmcnt(1)
	flat_store_b32 v[154:155], v157 offset:132
	s_waitcnt vmcnt(0) lgkmcnt(1)
	flat_store_b32 v[163:164], v165
.LBB72_707:
	s_or_b32 exec_lo, exec_lo, s6
	v_mov_b32_e32 v164, v156
	v_mov_b32_e32 v163, v156
.LBB72_708:
	s_or_b32 exec_lo, exec_lo, s3
.LBB72_709:
	s_and_not1_saveexec_b32 s2, s2
	s_cbranch_execz .LBB72_711
; %bb.710:
	v_mov_b32_e32 v164, 33
	ds_store_2addr_b64 v158, v[8:9], v[10:11] offset0:68 offset1:69
	ds_store_2addr_b64 v158, v[4:5], v[6:7] offset0:70 offset1:71
	;; [unrolled: 1-line block ×3, first 2 shown]
.LBB72_711:
	s_or_b32 exec_lo, exec_lo, s2
	s_delay_alu instid0(SALU_CYCLE_1)
	s_mov_b32 s2, exec_lo
	s_waitcnt lgkmcnt(0)
	s_waitcnt_vscnt null, 0x0
	s_barrier
	buffer_gl0_inv
	v_cmpx_lt_i32_e32 33, v164
	s_cbranch_execz .LBB72_713
; %bb.712:
	v_mul_f64 v[156:157], v[148:149], v[14:15]
	v_mul_f64 v[14:15], v[150:151], v[14:15]
	ds_load_2addr_b64 v[165:168], v158 offset0:68 offset1:69
	ds_load_2addr_b64 v[169:172], v158 offset0:70 offset1:71
	ds_load_2addr_b64 v[173:176], v158 offset0:72 offset1:73
	v_fma_f64 v[150:151], v[150:151], v[12:13], v[156:157]
	v_fma_f64 v[12:13], v[148:149], v[12:13], -v[14:15]
	s_waitcnt lgkmcnt(2)
	s_delay_alu instid0(VALU_DEP_2)
	v_mul_f64 v[14:15], v[167:168], v[150:151]
	v_mul_f64 v[148:149], v[165:166], v[150:151]
	s_waitcnt lgkmcnt(1)
	v_mul_f64 v[156:157], v[171:172], v[150:151]
	v_mul_f64 v[177:178], v[169:170], v[150:151]
	s_waitcnt lgkmcnt(0)
	v_mul_f64 v[179:180], v[175:176], v[150:151]
	v_mul_f64 v[181:182], v[173:174], v[150:151]
	v_fma_f64 v[14:15], v[165:166], v[12:13], -v[14:15]
	v_fma_f64 v[148:149], v[167:168], v[12:13], v[148:149]
	v_fma_f64 v[156:157], v[169:170], v[12:13], -v[156:157]
	v_fma_f64 v[165:166], v[171:172], v[12:13], v[177:178]
	;; [unrolled: 2-line block ×3, first 2 shown]
	v_add_f64 v[8:9], v[8:9], -v[14:15]
	v_add_f64 v[10:11], v[10:11], -v[148:149]
	;; [unrolled: 1-line block ×6, first 2 shown]
	v_dual_mov_b32 v14, v150 :: v_dual_mov_b32 v15, v151
.LBB72_713:
	s_or_b32 exec_lo, exec_lo, s2
	v_lshl_add_u32 v148, v164, 4, v158
	s_barrier
	buffer_gl0_inv
	v_mov_b32_e32 v156, 34
	ds_store_2addr_b64 v148, v[8:9], v[10:11] offset1:1
	s_waitcnt lgkmcnt(0)
	s_barrier
	buffer_gl0_inv
	ds_load_2addr_b64 v[148:151], v158 offset0:68 offset1:69
	s_cmp_lt_i32 s5, 36
	s_cbranch_scc1 .LBB72_716
; %bb.714:
	v_add3_u32 v157, v162, 0, 0x230
	v_mov_b32_e32 v156, 34
	s_mov_b32 s6, 35
	s_set_inst_prefetch_distance 0x1
	.p2align	6
.LBB72_715:                             ; =>This Inner Loop Header: Depth=1
	ds_load_2addr_b64 v[165:168], v157 offset1:1
	s_waitcnt lgkmcnt(1)
	v_cmp_gt_f64_e32 vcc_lo, 0, v[148:149]
	v_xor_b32_e32 v169, 0x80000000, v149
	v_cmp_gt_f64_e64 s2, 0, v[150:151]
	v_xor_b32_e32 v171, 0x80000000, v151
	v_add_nc_u32_e32 v157, 16, v157
	s_waitcnt lgkmcnt(0)
	v_cmp_gt_f64_e64 s3, 0, v[165:166]
	v_mov_b32_e32 v173, v165
	v_dual_mov_b32 v175, v167 :: v_dual_cndmask_b32 v170, v149, v169
	v_xor_b32_e32 v169, 0x80000000, v166
	v_cndmask_b32_e64 v172, v151, v171, s2
	v_xor_b32_e32 v171, 0x80000000, v168
	s_delay_alu instid0(VALU_DEP_3) | instskip(SKIP_2) | instid1(VALU_DEP_2)
	v_cndmask_b32_e64 v174, v166, v169, s3
	v_cmp_gt_f64_e64 s3, 0, v[167:168]
	v_cndmask_b32_e32 v169, v148, v148, vcc_lo
	v_cndmask_b32_e64 v176, v168, v171, s3
	v_cndmask_b32_e64 v171, v150, v150, s2
	s_delay_alu instid0(VALU_DEP_2) | instskip(NEXT) | instid1(VALU_DEP_2)
	v_add_f64 v[173:174], v[173:174], v[175:176]
	v_add_f64 v[169:170], v[169:170], v[171:172]
	s_delay_alu instid0(VALU_DEP_1) | instskip(SKIP_4) | instid1(SALU_CYCLE_1)
	v_cmp_lt_f64_e32 vcc_lo, v[169:170], v[173:174]
	v_dual_cndmask_b32 v150, v150, v167 :: v_dual_cndmask_b32 v149, v149, v166
	v_dual_cndmask_b32 v148, v148, v165 :: v_dual_cndmask_b32 v151, v151, v168
	v_cndmask_b32_e64 v156, v156, s6, vcc_lo
	s_add_i32 s6, s6, 1
	s_cmp_lg_u32 s5, s6
	s_cbranch_scc1 .LBB72_715
.LBB72_716:
	s_set_inst_prefetch_distance 0x2
	s_waitcnt lgkmcnt(0)
	v_cmp_eq_f64_e32 vcc_lo, 0, v[148:149]
	v_cmp_eq_f64_e64 s2, 0, v[150:151]
	s_delay_alu instid0(VALU_DEP_1) | instskip(NEXT) | instid1(SALU_CYCLE_1)
	s_and_b32 s2, vcc_lo, s2
	s_and_saveexec_b32 s3, s2
	s_delay_alu instid0(SALU_CYCLE_1)
	s_xor_b32 s2, exec_lo, s3
; %bb.717:
	v_cmp_ne_u32_e32 vcc_lo, 0, v161
	v_cndmask_b32_e32 v161, 35, v161, vcc_lo
; %bb.718:
	s_and_not1_saveexec_b32 s3, s2
	s_cbranch_execz .LBB72_724
; %bb.719:
	v_cmp_gt_f64_e32 vcc_lo, 0, v[148:149]
	v_cmp_gt_f64_e64 s2, 0, v[150:151]
	v_xor_b32_e32 v157, 0x80000000, v149
	v_xor_b32_e32 v165, 0x80000000, v151
	s_delay_alu instid0(VALU_DEP_2) | instskip(NEXT) | instid1(VALU_DEP_2)
	v_cndmask_b32_e32 v166, v149, v157, vcc_lo
	v_cndmask_b32_e64 v168, v151, v165, s2
	v_cndmask_b32_e32 v165, v148, v148, vcc_lo
	v_cndmask_b32_e64 v167, v150, v150, s2
	s_mov_b32 s2, exec_lo
	s_delay_alu instid0(VALU_DEP_1)
	v_cmpx_ngt_f64_e32 v[165:166], v[167:168]
	s_xor_b32 s2, exec_lo, s2
	s_cbranch_execz .LBB72_721
; %bb.720:
	v_div_scale_f64 v[165:166], null, v[150:151], v[150:151], v[148:149]
	v_div_scale_f64 v[171:172], vcc_lo, v[148:149], v[150:151], v[148:149]
	s_delay_alu instid0(VALU_DEP_2) | instskip(SKIP_2) | instid1(VALU_DEP_1)
	v_rcp_f64_e32 v[167:168], v[165:166]
	s_waitcnt_depctr 0xfff
	v_fma_f64 v[169:170], -v[165:166], v[167:168], 1.0
	v_fma_f64 v[167:168], v[167:168], v[169:170], v[167:168]
	s_delay_alu instid0(VALU_DEP_1) | instskip(NEXT) | instid1(VALU_DEP_1)
	v_fma_f64 v[169:170], -v[165:166], v[167:168], 1.0
	v_fma_f64 v[167:168], v[167:168], v[169:170], v[167:168]
	s_delay_alu instid0(VALU_DEP_1) | instskip(NEXT) | instid1(VALU_DEP_1)
	v_mul_f64 v[169:170], v[171:172], v[167:168]
	v_fma_f64 v[165:166], -v[165:166], v[169:170], v[171:172]
	s_delay_alu instid0(VALU_DEP_1) | instskip(NEXT) | instid1(VALU_DEP_1)
	v_div_fmas_f64 v[165:166], v[165:166], v[167:168], v[169:170]
	v_div_fixup_f64 v[165:166], v[165:166], v[150:151], v[148:149]
	s_delay_alu instid0(VALU_DEP_1) | instskip(NEXT) | instid1(VALU_DEP_1)
	v_fma_f64 v[148:149], v[148:149], v[165:166], v[150:151]
	v_div_scale_f64 v[150:151], null, v[148:149], v[148:149], 1.0
	s_delay_alu instid0(VALU_DEP_1) | instskip(SKIP_2) | instid1(VALU_DEP_1)
	v_rcp_f64_e32 v[167:168], v[150:151]
	s_waitcnt_depctr 0xfff
	v_fma_f64 v[169:170], -v[150:151], v[167:168], 1.0
	v_fma_f64 v[167:168], v[167:168], v[169:170], v[167:168]
	s_delay_alu instid0(VALU_DEP_1) | instskip(NEXT) | instid1(VALU_DEP_1)
	v_fma_f64 v[169:170], -v[150:151], v[167:168], 1.0
	v_fma_f64 v[167:168], v[167:168], v[169:170], v[167:168]
	v_div_scale_f64 v[169:170], vcc_lo, 1.0, v[148:149], 1.0
	s_delay_alu instid0(VALU_DEP_1) | instskip(NEXT) | instid1(VALU_DEP_1)
	v_mul_f64 v[171:172], v[169:170], v[167:168]
	v_fma_f64 v[150:151], -v[150:151], v[171:172], v[169:170]
	s_delay_alu instid0(VALU_DEP_1) | instskip(NEXT) | instid1(VALU_DEP_1)
	v_div_fmas_f64 v[150:151], v[150:151], v[167:168], v[171:172]
	v_div_fixup_f64 v[150:151], v[150:151], v[148:149], 1.0
	s_delay_alu instid0(VALU_DEP_1)
	v_mul_f64 v[148:149], v[165:166], v[150:151]
	v_xor_b32_e32 v151, 0x80000000, v151
.LBB72_721:
	s_and_not1_saveexec_b32 s2, s2
	s_cbranch_execz .LBB72_723
; %bb.722:
	s_delay_alu instid0(VALU_DEP_1) | instskip(SKIP_1) | instid1(VALU_DEP_2)
	v_div_scale_f64 v[165:166], null, v[148:149], v[148:149], v[150:151]
	v_div_scale_f64 v[171:172], vcc_lo, v[150:151], v[148:149], v[150:151]
	v_rcp_f64_e32 v[167:168], v[165:166]
	s_waitcnt_depctr 0xfff
	v_fma_f64 v[169:170], -v[165:166], v[167:168], 1.0
	s_delay_alu instid0(VALU_DEP_1) | instskip(NEXT) | instid1(VALU_DEP_1)
	v_fma_f64 v[167:168], v[167:168], v[169:170], v[167:168]
	v_fma_f64 v[169:170], -v[165:166], v[167:168], 1.0
	s_delay_alu instid0(VALU_DEP_1) | instskip(NEXT) | instid1(VALU_DEP_1)
	v_fma_f64 v[167:168], v[167:168], v[169:170], v[167:168]
	v_mul_f64 v[169:170], v[171:172], v[167:168]
	s_delay_alu instid0(VALU_DEP_1) | instskip(NEXT) | instid1(VALU_DEP_1)
	v_fma_f64 v[165:166], -v[165:166], v[169:170], v[171:172]
	v_div_fmas_f64 v[165:166], v[165:166], v[167:168], v[169:170]
	s_delay_alu instid0(VALU_DEP_1) | instskip(NEXT) | instid1(VALU_DEP_1)
	v_div_fixup_f64 v[165:166], v[165:166], v[148:149], v[150:151]
	v_fma_f64 v[148:149], v[150:151], v[165:166], v[148:149]
	s_delay_alu instid0(VALU_DEP_1) | instskip(NEXT) | instid1(VALU_DEP_1)
	v_div_scale_f64 v[150:151], null, v[148:149], v[148:149], 1.0
	v_rcp_f64_e32 v[167:168], v[150:151]
	s_waitcnt_depctr 0xfff
	v_fma_f64 v[169:170], -v[150:151], v[167:168], 1.0
	s_delay_alu instid0(VALU_DEP_1) | instskip(NEXT) | instid1(VALU_DEP_1)
	v_fma_f64 v[167:168], v[167:168], v[169:170], v[167:168]
	v_fma_f64 v[169:170], -v[150:151], v[167:168], 1.0
	s_delay_alu instid0(VALU_DEP_1) | instskip(SKIP_1) | instid1(VALU_DEP_1)
	v_fma_f64 v[167:168], v[167:168], v[169:170], v[167:168]
	v_div_scale_f64 v[169:170], vcc_lo, 1.0, v[148:149], 1.0
	v_mul_f64 v[171:172], v[169:170], v[167:168]
	s_delay_alu instid0(VALU_DEP_1) | instskip(NEXT) | instid1(VALU_DEP_1)
	v_fma_f64 v[150:151], -v[150:151], v[171:172], v[169:170]
	v_div_fmas_f64 v[150:151], v[150:151], v[167:168], v[171:172]
	s_delay_alu instid0(VALU_DEP_1) | instskip(NEXT) | instid1(VALU_DEP_1)
	v_div_fixup_f64 v[148:149], v[150:151], v[148:149], 1.0
	v_mul_f64 v[150:151], v[165:166], -v[148:149]
.LBB72_723:
	s_or_b32 exec_lo, exec_lo, s2
.LBB72_724:
	s_delay_alu instid0(SALU_CYCLE_1) | instskip(NEXT) | instid1(SALU_CYCLE_1)
	s_or_b32 exec_lo, exec_lo, s3
	s_mov_b32 s2, exec_lo
	v_cmpx_ne_u32_e64 v164, v156
	s_xor_b32 s2, exec_lo, s2
	s_cbranch_execz .LBB72_730
; %bb.725:
	s_mov_b32 s3, exec_lo
	v_cmpx_eq_u32_e32 34, v164
	s_cbranch_execz .LBB72_729
; %bb.726:
	v_cmp_ne_u32_e32 vcc_lo, 34, v156
	s_xor_b32 s6, s4, -1
	s_delay_alu instid0(SALU_CYCLE_1) | instskip(NEXT) | instid1(SALU_CYCLE_1)
	s_and_b32 s7, s6, vcc_lo
	s_and_saveexec_b32 s6, s7
	s_cbranch_execz .LBB72_728
; %bb.727:
	v_ashrrev_i32_e32 v157, 31, v156
	s_delay_alu instid0(VALU_DEP_1) | instskip(NEXT) | instid1(VALU_DEP_1)
	v_lshlrev_b64 v[163:164], 2, v[156:157]
	v_add_co_u32 v163, vcc_lo, v154, v163
	s_delay_alu instid0(VALU_DEP_2)
	v_add_co_ci_u32_e32 v164, vcc_lo, v155, v164, vcc_lo
	s_clause 0x1
	flat_load_b32 v157, v[163:164]
	flat_load_b32 v165, v[154:155] offset:136
	s_waitcnt vmcnt(1) lgkmcnt(1)
	flat_store_b32 v[154:155], v157 offset:136
	s_waitcnt vmcnt(0) lgkmcnt(1)
	flat_store_b32 v[163:164], v165
.LBB72_728:
	s_or_b32 exec_lo, exec_lo, s6
	v_mov_b32_e32 v164, v156
	v_mov_b32_e32 v163, v156
.LBB72_729:
	s_or_b32 exec_lo, exec_lo, s3
.LBB72_730:
	s_and_not1_saveexec_b32 s2, s2
	s_cbranch_execz .LBB72_732
; %bb.731:
	v_mov_b32_e32 v164, 34
	ds_store_2addr_b64 v158, v[4:5], v[6:7] offset0:70 offset1:71
	ds_store_2addr_b64 v158, v[0:1], v[2:3] offset0:72 offset1:73
.LBB72_732:
	s_or_b32 exec_lo, exec_lo, s2
	s_delay_alu instid0(SALU_CYCLE_1)
	s_mov_b32 s2, exec_lo
	s_waitcnt lgkmcnt(0)
	s_waitcnt_vscnt null, 0x0
	s_barrier
	buffer_gl0_inv
	v_cmpx_lt_i32_e32 34, v164
	s_cbranch_execz .LBB72_734
; %bb.733:
	v_mul_f64 v[156:157], v[148:149], v[10:11]
	v_mul_f64 v[10:11], v[150:151], v[10:11]
	ds_load_2addr_b64 v[165:168], v158 offset0:70 offset1:71
	ds_load_2addr_b64 v[169:172], v158 offset0:72 offset1:73
	v_fma_f64 v[150:151], v[150:151], v[8:9], v[156:157]
	v_fma_f64 v[8:9], v[148:149], v[8:9], -v[10:11]
	s_waitcnt lgkmcnt(1)
	s_delay_alu instid0(VALU_DEP_2) | instskip(SKIP_4) | instid1(VALU_DEP_4)
	v_mul_f64 v[10:11], v[167:168], v[150:151]
	v_mul_f64 v[148:149], v[165:166], v[150:151]
	s_waitcnt lgkmcnt(0)
	v_mul_f64 v[156:157], v[171:172], v[150:151]
	v_mul_f64 v[173:174], v[169:170], v[150:151]
	v_fma_f64 v[10:11], v[165:166], v[8:9], -v[10:11]
	s_delay_alu instid0(VALU_DEP_4) | instskip(NEXT) | instid1(VALU_DEP_4)
	v_fma_f64 v[148:149], v[167:168], v[8:9], v[148:149]
	v_fma_f64 v[156:157], v[169:170], v[8:9], -v[156:157]
	s_delay_alu instid0(VALU_DEP_4) | instskip(NEXT) | instid1(VALU_DEP_4)
	v_fma_f64 v[165:166], v[171:172], v[8:9], v[173:174]
	v_add_f64 v[4:5], v[4:5], -v[10:11]
	s_delay_alu instid0(VALU_DEP_4) | instskip(NEXT) | instid1(VALU_DEP_4)
	v_add_f64 v[6:7], v[6:7], -v[148:149]
	v_add_f64 v[0:1], v[0:1], -v[156:157]
	s_delay_alu instid0(VALU_DEP_4)
	v_add_f64 v[2:3], v[2:3], -v[165:166]
	v_dual_mov_b32 v10, v150 :: v_dual_mov_b32 v11, v151
.LBB72_734:
	s_or_b32 exec_lo, exec_lo, s2
	v_lshl_add_u32 v148, v164, 4, v158
	s_barrier
	buffer_gl0_inv
	v_mov_b32_e32 v156, 35
	ds_store_2addr_b64 v148, v[4:5], v[6:7] offset1:1
	s_waitcnt lgkmcnt(0)
	s_barrier
	buffer_gl0_inv
	ds_load_2addr_b64 v[148:151], v158 offset0:70 offset1:71
	s_cmp_lt_i32 s5, 37
	s_cbranch_scc1 .LBB72_737
; %bb.735:
	v_add3_u32 v157, v162, 0, 0x240
	v_mov_b32_e32 v156, 35
	s_mov_b32 s6, 36
	s_set_inst_prefetch_distance 0x1
	.p2align	6
.LBB72_736:                             ; =>This Inner Loop Header: Depth=1
	ds_load_2addr_b64 v[165:168], v157 offset1:1
	s_waitcnt lgkmcnt(1)
	v_cmp_gt_f64_e32 vcc_lo, 0, v[148:149]
	v_xor_b32_e32 v169, 0x80000000, v149
	v_cmp_gt_f64_e64 s2, 0, v[150:151]
	v_xor_b32_e32 v171, 0x80000000, v151
	v_add_nc_u32_e32 v157, 16, v157
	s_waitcnt lgkmcnt(0)
	v_cmp_gt_f64_e64 s3, 0, v[165:166]
	v_mov_b32_e32 v173, v165
	v_dual_mov_b32 v175, v167 :: v_dual_cndmask_b32 v170, v149, v169
	v_xor_b32_e32 v169, 0x80000000, v166
	v_cndmask_b32_e64 v172, v151, v171, s2
	v_xor_b32_e32 v171, 0x80000000, v168
	s_delay_alu instid0(VALU_DEP_3) | instskip(SKIP_2) | instid1(VALU_DEP_2)
	v_cndmask_b32_e64 v174, v166, v169, s3
	v_cmp_gt_f64_e64 s3, 0, v[167:168]
	v_cndmask_b32_e32 v169, v148, v148, vcc_lo
	v_cndmask_b32_e64 v176, v168, v171, s3
	v_cndmask_b32_e64 v171, v150, v150, s2
	s_delay_alu instid0(VALU_DEP_2) | instskip(NEXT) | instid1(VALU_DEP_2)
	v_add_f64 v[173:174], v[173:174], v[175:176]
	v_add_f64 v[169:170], v[169:170], v[171:172]
	s_delay_alu instid0(VALU_DEP_1) | instskip(SKIP_4) | instid1(SALU_CYCLE_1)
	v_cmp_lt_f64_e32 vcc_lo, v[169:170], v[173:174]
	v_dual_cndmask_b32 v150, v150, v167 :: v_dual_cndmask_b32 v149, v149, v166
	v_dual_cndmask_b32 v148, v148, v165 :: v_dual_cndmask_b32 v151, v151, v168
	v_cndmask_b32_e64 v156, v156, s6, vcc_lo
	s_add_i32 s6, s6, 1
	s_cmp_lg_u32 s5, s6
	s_cbranch_scc1 .LBB72_736
.LBB72_737:
	s_set_inst_prefetch_distance 0x2
	s_waitcnt lgkmcnt(0)
	v_cmp_eq_f64_e32 vcc_lo, 0, v[148:149]
	v_cmp_eq_f64_e64 s2, 0, v[150:151]
	s_delay_alu instid0(VALU_DEP_1) | instskip(NEXT) | instid1(SALU_CYCLE_1)
	s_and_b32 s2, vcc_lo, s2
	s_and_saveexec_b32 s3, s2
	s_delay_alu instid0(SALU_CYCLE_1)
	s_xor_b32 s2, exec_lo, s3
; %bb.738:
	v_cmp_ne_u32_e32 vcc_lo, 0, v161
	v_cndmask_b32_e32 v161, 36, v161, vcc_lo
; %bb.739:
	s_and_not1_saveexec_b32 s3, s2
	s_cbranch_execz .LBB72_745
; %bb.740:
	v_cmp_gt_f64_e32 vcc_lo, 0, v[148:149]
	v_cmp_gt_f64_e64 s2, 0, v[150:151]
	v_xor_b32_e32 v157, 0x80000000, v149
	v_xor_b32_e32 v165, 0x80000000, v151
	s_delay_alu instid0(VALU_DEP_2) | instskip(NEXT) | instid1(VALU_DEP_2)
	v_cndmask_b32_e32 v166, v149, v157, vcc_lo
	v_cndmask_b32_e64 v168, v151, v165, s2
	v_cndmask_b32_e32 v165, v148, v148, vcc_lo
	v_cndmask_b32_e64 v167, v150, v150, s2
	s_mov_b32 s2, exec_lo
	s_delay_alu instid0(VALU_DEP_1)
	v_cmpx_ngt_f64_e32 v[165:166], v[167:168]
	s_xor_b32 s2, exec_lo, s2
	s_cbranch_execz .LBB72_742
; %bb.741:
	v_div_scale_f64 v[165:166], null, v[150:151], v[150:151], v[148:149]
	v_div_scale_f64 v[171:172], vcc_lo, v[148:149], v[150:151], v[148:149]
	s_delay_alu instid0(VALU_DEP_2) | instskip(SKIP_2) | instid1(VALU_DEP_1)
	v_rcp_f64_e32 v[167:168], v[165:166]
	s_waitcnt_depctr 0xfff
	v_fma_f64 v[169:170], -v[165:166], v[167:168], 1.0
	v_fma_f64 v[167:168], v[167:168], v[169:170], v[167:168]
	s_delay_alu instid0(VALU_DEP_1) | instskip(NEXT) | instid1(VALU_DEP_1)
	v_fma_f64 v[169:170], -v[165:166], v[167:168], 1.0
	v_fma_f64 v[167:168], v[167:168], v[169:170], v[167:168]
	s_delay_alu instid0(VALU_DEP_1) | instskip(NEXT) | instid1(VALU_DEP_1)
	v_mul_f64 v[169:170], v[171:172], v[167:168]
	v_fma_f64 v[165:166], -v[165:166], v[169:170], v[171:172]
	s_delay_alu instid0(VALU_DEP_1) | instskip(NEXT) | instid1(VALU_DEP_1)
	v_div_fmas_f64 v[165:166], v[165:166], v[167:168], v[169:170]
	v_div_fixup_f64 v[165:166], v[165:166], v[150:151], v[148:149]
	s_delay_alu instid0(VALU_DEP_1) | instskip(NEXT) | instid1(VALU_DEP_1)
	v_fma_f64 v[148:149], v[148:149], v[165:166], v[150:151]
	v_div_scale_f64 v[150:151], null, v[148:149], v[148:149], 1.0
	s_delay_alu instid0(VALU_DEP_1) | instskip(SKIP_2) | instid1(VALU_DEP_1)
	v_rcp_f64_e32 v[167:168], v[150:151]
	s_waitcnt_depctr 0xfff
	v_fma_f64 v[169:170], -v[150:151], v[167:168], 1.0
	v_fma_f64 v[167:168], v[167:168], v[169:170], v[167:168]
	s_delay_alu instid0(VALU_DEP_1) | instskip(NEXT) | instid1(VALU_DEP_1)
	v_fma_f64 v[169:170], -v[150:151], v[167:168], 1.0
	v_fma_f64 v[167:168], v[167:168], v[169:170], v[167:168]
	v_div_scale_f64 v[169:170], vcc_lo, 1.0, v[148:149], 1.0
	s_delay_alu instid0(VALU_DEP_1) | instskip(NEXT) | instid1(VALU_DEP_1)
	v_mul_f64 v[171:172], v[169:170], v[167:168]
	v_fma_f64 v[150:151], -v[150:151], v[171:172], v[169:170]
	s_delay_alu instid0(VALU_DEP_1) | instskip(NEXT) | instid1(VALU_DEP_1)
	v_div_fmas_f64 v[150:151], v[150:151], v[167:168], v[171:172]
	v_div_fixup_f64 v[150:151], v[150:151], v[148:149], 1.0
	s_delay_alu instid0(VALU_DEP_1)
	v_mul_f64 v[148:149], v[165:166], v[150:151]
	v_xor_b32_e32 v151, 0x80000000, v151
.LBB72_742:
	s_and_not1_saveexec_b32 s2, s2
	s_cbranch_execz .LBB72_744
; %bb.743:
	s_delay_alu instid0(VALU_DEP_1) | instskip(SKIP_1) | instid1(VALU_DEP_2)
	v_div_scale_f64 v[165:166], null, v[148:149], v[148:149], v[150:151]
	v_div_scale_f64 v[171:172], vcc_lo, v[150:151], v[148:149], v[150:151]
	v_rcp_f64_e32 v[167:168], v[165:166]
	s_waitcnt_depctr 0xfff
	v_fma_f64 v[169:170], -v[165:166], v[167:168], 1.0
	s_delay_alu instid0(VALU_DEP_1) | instskip(NEXT) | instid1(VALU_DEP_1)
	v_fma_f64 v[167:168], v[167:168], v[169:170], v[167:168]
	v_fma_f64 v[169:170], -v[165:166], v[167:168], 1.0
	s_delay_alu instid0(VALU_DEP_1) | instskip(NEXT) | instid1(VALU_DEP_1)
	v_fma_f64 v[167:168], v[167:168], v[169:170], v[167:168]
	v_mul_f64 v[169:170], v[171:172], v[167:168]
	s_delay_alu instid0(VALU_DEP_1) | instskip(NEXT) | instid1(VALU_DEP_1)
	v_fma_f64 v[165:166], -v[165:166], v[169:170], v[171:172]
	v_div_fmas_f64 v[165:166], v[165:166], v[167:168], v[169:170]
	s_delay_alu instid0(VALU_DEP_1) | instskip(NEXT) | instid1(VALU_DEP_1)
	v_div_fixup_f64 v[165:166], v[165:166], v[148:149], v[150:151]
	v_fma_f64 v[148:149], v[150:151], v[165:166], v[148:149]
	s_delay_alu instid0(VALU_DEP_1) | instskip(NEXT) | instid1(VALU_DEP_1)
	v_div_scale_f64 v[150:151], null, v[148:149], v[148:149], 1.0
	v_rcp_f64_e32 v[167:168], v[150:151]
	s_waitcnt_depctr 0xfff
	v_fma_f64 v[169:170], -v[150:151], v[167:168], 1.0
	s_delay_alu instid0(VALU_DEP_1) | instskip(NEXT) | instid1(VALU_DEP_1)
	v_fma_f64 v[167:168], v[167:168], v[169:170], v[167:168]
	v_fma_f64 v[169:170], -v[150:151], v[167:168], 1.0
	s_delay_alu instid0(VALU_DEP_1) | instskip(SKIP_1) | instid1(VALU_DEP_1)
	v_fma_f64 v[167:168], v[167:168], v[169:170], v[167:168]
	v_div_scale_f64 v[169:170], vcc_lo, 1.0, v[148:149], 1.0
	v_mul_f64 v[171:172], v[169:170], v[167:168]
	s_delay_alu instid0(VALU_DEP_1) | instskip(NEXT) | instid1(VALU_DEP_1)
	v_fma_f64 v[150:151], -v[150:151], v[171:172], v[169:170]
	v_div_fmas_f64 v[150:151], v[150:151], v[167:168], v[171:172]
	s_delay_alu instid0(VALU_DEP_1) | instskip(NEXT) | instid1(VALU_DEP_1)
	v_div_fixup_f64 v[148:149], v[150:151], v[148:149], 1.0
	v_mul_f64 v[150:151], v[165:166], -v[148:149]
.LBB72_744:
	s_or_b32 exec_lo, exec_lo, s2
.LBB72_745:
	s_delay_alu instid0(SALU_CYCLE_1) | instskip(NEXT) | instid1(SALU_CYCLE_1)
	s_or_b32 exec_lo, exec_lo, s3
	s_mov_b32 s2, exec_lo
	v_cmpx_ne_u32_e64 v164, v156
	s_xor_b32 s2, exec_lo, s2
	s_cbranch_execz .LBB72_751
; %bb.746:
	s_mov_b32 s3, exec_lo
	v_cmpx_eq_u32_e32 35, v164
	s_cbranch_execz .LBB72_750
; %bb.747:
	v_cmp_ne_u32_e32 vcc_lo, 35, v156
	s_xor_b32 s6, s4, -1
	s_delay_alu instid0(SALU_CYCLE_1) | instskip(NEXT) | instid1(SALU_CYCLE_1)
	s_and_b32 s7, s6, vcc_lo
	s_and_saveexec_b32 s6, s7
	s_cbranch_execz .LBB72_749
; %bb.748:
	v_ashrrev_i32_e32 v157, 31, v156
	s_delay_alu instid0(VALU_DEP_1) | instskip(NEXT) | instid1(VALU_DEP_1)
	v_lshlrev_b64 v[163:164], 2, v[156:157]
	v_add_co_u32 v163, vcc_lo, v154, v163
	s_delay_alu instid0(VALU_DEP_2)
	v_add_co_ci_u32_e32 v164, vcc_lo, v155, v164, vcc_lo
	s_clause 0x1
	flat_load_b32 v157, v[163:164]
	flat_load_b32 v165, v[154:155] offset:140
	s_waitcnt vmcnt(1) lgkmcnt(1)
	flat_store_b32 v[154:155], v157 offset:140
	s_waitcnt vmcnt(0) lgkmcnt(1)
	flat_store_b32 v[163:164], v165
.LBB72_749:
	s_or_b32 exec_lo, exec_lo, s6
	v_mov_b32_e32 v164, v156
	v_mov_b32_e32 v163, v156
.LBB72_750:
	s_or_b32 exec_lo, exec_lo, s3
.LBB72_751:
	s_and_not1_saveexec_b32 s2, s2
	s_cbranch_execz .LBB72_753
; %bb.752:
	v_mov_b32_e32 v164, 35
	ds_store_2addr_b64 v158, v[0:1], v[2:3] offset0:72 offset1:73
.LBB72_753:
	s_or_b32 exec_lo, exec_lo, s2
	s_delay_alu instid0(SALU_CYCLE_1)
	s_mov_b32 s2, exec_lo
	s_waitcnt lgkmcnt(0)
	s_waitcnt_vscnt null, 0x0
	s_barrier
	buffer_gl0_inv
	v_cmpx_lt_i32_e32 35, v164
	s_cbranch_execz .LBB72_755
; %bb.754:
	v_mul_f64 v[156:157], v[148:149], v[6:7]
	v_mul_f64 v[6:7], v[150:151], v[6:7]
	ds_load_2addr_b64 v[165:168], v158 offset0:72 offset1:73
	v_fma_f64 v[150:151], v[150:151], v[4:5], v[156:157]
	v_fma_f64 v[4:5], v[148:149], v[4:5], -v[6:7]
	s_waitcnt lgkmcnt(0)
	s_delay_alu instid0(VALU_DEP_2) | instskip(SKIP_1) | instid1(VALU_DEP_2)
	v_mul_f64 v[6:7], v[167:168], v[150:151]
	v_mul_f64 v[148:149], v[165:166], v[150:151]
	v_fma_f64 v[6:7], v[165:166], v[4:5], -v[6:7]
	s_delay_alu instid0(VALU_DEP_2) | instskip(NEXT) | instid1(VALU_DEP_2)
	v_fma_f64 v[148:149], v[167:168], v[4:5], v[148:149]
	v_add_f64 v[0:1], v[0:1], -v[6:7]
	s_delay_alu instid0(VALU_DEP_2)
	v_add_f64 v[2:3], v[2:3], -v[148:149]
	v_dual_mov_b32 v6, v150 :: v_dual_mov_b32 v7, v151
.LBB72_755:
	s_or_b32 exec_lo, exec_lo, s2
	v_lshl_add_u32 v148, v164, 4, v158
	s_barrier
	buffer_gl0_inv
	v_mov_b32_e32 v156, 36
	ds_store_2addr_b64 v148, v[0:1], v[2:3] offset1:1
	s_waitcnt lgkmcnt(0)
	s_barrier
	buffer_gl0_inv
	ds_load_2addr_b64 v[148:151], v158 offset0:72 offset1:73
	s_cmp_lt_i32 s5, 38
	s_cbranch_scc1 .LBB72_758
; %bb.756:
	v_add3_u32 v157, v162, 0, 0x250
	v_mov_b32_e32 v156, 36
	s_mov_b32 s6, 37
	s_set_inst_prefetch_distance 0x1
	.p2align	6
.LBB72_757:                             ; =>This Inner Loop Header: Depth=1
	ds_load_2addr_b64 v[165:168], v157 offset1:1
	s_waitcnt lgkmcnt(1)
	v_cmp_gt_f64_e32 vcc_lo, 0, v[148:149]
	v_xor_b32_e32 v158, 0x80000000, v149
	v_cmp_gt_f64_e64 s2, 0, v[150:151]
	v_xor_b32_e32 v162, 0x80000000, v151
	v_add_nc_u32_e32 v157, 16, v157
	s_waitcnt lgkmcnt(0)
	v_cmp_gt_f64_e64 s3, 0, v[165:166]
	v_mov_b32_e32 v173, v165
	v_dual_mov_b32 v175, v167 :: v_dual_cndmask_b32 v170, v149, v158
	v_xor_b32_e32 v158, 0x80000000, v166
	v_cndmask_b32_e64 v172, v151, v162, s2
	v_xor_b32_e32 v162, 0x80000000, v168
	v_cndmask_b32_e32 v169, v148, v148, vcc_lo
	v_cndmask_b32_e64 v171, v150, v150, s2
	s_delay_alu instid0(VALU_DEP_1) | instskip(SKIP_2) | instid1(VALU_DEP_1)
	v_add_f64 v[169:170], v[169:170], v[171:172]
	v_cndmask_b32_e64 v174, v166, v158, s3
	v_cmp_gt_f64_e64 s3, 0, v[167:168]
	v_cndmask_b32_e64 v176, v168, v162, s3
	s_delay_alu instid0(VALU_DEP_1) | instskip(NEXT) | instid1(VALU_DEP_1)
	v_add_f64 v[173:174], v[173:174], v[175:176]
	v_cmp_lt_f64_e32 vcc_lo, v[169:170], v[173:174]
	v_dual_cndmask_b32 v150, v150, v167 :: v_dual_cndmask_b32 v149, v149, v166
	v_dual_cndmask_b32 v148, v148, v165 :: v_dual_cndmask_b32 v151, v151, v168
	v_cndmask_b32_e64 v156, v156, s6, vcc_lo
	s_add_i32 s6, s6, 1
	s_delay_alu instid0(SALU_CYCLE_1)
	s_cmp_lg_u32 s5, s6
	s_cbranch_scc1 .LBB72_757
.LBB72_758:
	s_set_inst_prefetch_distance 0x2
	s_waitcnt lgkmcnt(0)
	v_cmp_eq_f64_e32 vcc_lo, 0, v[148:149]
	v_cmp_eq_f64_e64 s2, 0, v[150:151]
	s_delay_alu instid0(VALU_DEP_1) | instskip(NEXT) | instid1(SALU_CYCLE_1)
	s_and_b32 s2, vcc_lo, s2
	s_and_saveexec_b32 s3, s2
	s_delay_alu instid0(SALU_CYCLE_1)
	s_xor_b32 s2, exec_lo, s3
; %bb.759:
	v_cmp_ne_u32_e32 vcc_lo, 0, v161
	v_cndmask_b32_e32 v161, 37, v161, vcc_lo
; %bb.760:
	s_and_not1_saveexec_b32 s3, s2
	s_cbranch_execz .LBB72_766
; %bb.761:
	v_cmp_gt_f64_e32 vcc_lo, 0, v[148:149]
	v_cmp_gt_f64_e64 s2, 0, v[150:151]
	v_xor_b32_e32 v157, 0x80000000, v149
	v_xor_b32_e32 v162, 0x80000000, v151
	s_delay_alu instid0(VALU_DEP_2) | instskip(NEXT) | instid1(VALU_DEP_2)
	v_dual_cndmask_b32 v158, v149, v157 :: v_dual_cndmask_b32 v157, v148, v148
	v_cndmask_b32_e64 v166, v151, v162, s2
	v_cndmask_b32_e64 v165, v150, v150, s2
	s_mov_b32 s2, exec_lo
	s_delay_alu instid0(VALU_DEP_1)
	v_cmpx_ngt_f64_e32 v[157:158], v[165:166]
	s_xor_b32 s2, exec_lo, s2
	s_cbranch_execz .LBB72_763
; %bb.762:
	v_div_scale_f64 v[157:158], null, v[150:151], v[150:151], v[148:149]
	v_div_scale_f64 v[169:170], vcc_lo, v[148:149], v[150:151], v[148:149]
	s_delay_alu instid0(VALU_DEP_2) | instskip(SKIP_2) | instid1(VALU_DEP_1)
	v_rcp_f64_e32 v[165:166], v[157:158]
	s_waitcnt_depctr 0xfff
	v_fma_f64 v[167:168], -v[157:158], v[165:166], 1.0
	v_fma_f64 v[165:166], v[165:166], v[167:168], v[165:166]
	s_delay_alu instid0(VALU_DEP_1) | instskip(NEXT) | instid1(VALU_DEP_1)
	v_fma_f64 v[167:168], -v[157:158], v[165:166], 1.0
	v_fma_f64 v[165:166], v[165:166], v[167:168], v[165:166]
	s_delay_alu instid0(VALU_DEP_1) | instskip(NEXT) | instid1(VALU_DEP_1)
	v_mul_f64 v[167:168], v[169:170], v[165:166]
	v_fma_f64 v[157:158], -v[157:158], v[167:168], v[169:170]
	s_delay_alu instid0(VALU_DEP_1) | instskip(NEXT) | instid1(VALU_DEP_1)
	v_div_fmas_f64 v[157:158], v[157:158], v[165:166], v[167:168]
	v_div_fixup_f64 v[157:158], v[157:158], v[150:151], v[148:149]
	s_delay_alu instid0(VALU_DEP_1) | instskip(NEXT) | instid1(VALU_DEP_1)
	v_fma_f64 v[148:149], v[148:149], v[157:158], v[150:151]
	v_div_scale_f64 v[150:151], null, v[148:149], v[148:149], 1.0
	s_delay_alu instid0(VALU_DEP_1) | instskip(SKIP_2) | instid1(VALU_DEP_1)
	v_rcp_f64_e32 v[165:166], v[150:151]
	s_waitcnt_depctr 0xfff
	v_fma_f64 v[167:168], -v[150:151], v[165:166], 1.0
	v_fma_f64 v[165:166], v[165:166], v[167:168], v[165:166]
	s_delay_alu instid0(VALU_DEP_1) | instskip(NEXT) | instid1(VALU_DEP_1)
	v_fma_f64 v[167:168], -v[150:151], v[165:166], 1.0
	v_fma_f64 v[165:166], v[165:166], v[167:168], v[165:166]
	v_div_scale_f64 v[167:168], vcc_lo, 1.0, v[148:149], 1.0
	s_delay_alu instid0(VALU_DEP_1) | instskip(NEXT) | instid1(VALU_DEP_1)
	v_mul_f64 v[169:170], v[167:168], v[165:166]
	v_fma_f64 v[150:151], -v[150:151], v[169:170], v[167:168]
	s_delay_alu instid0(VALU_DEP_1) | instskip(NEXT) | instid1(VALU_DEP_1)
	v_div_fmas_f64 v[150:151], v[150:151], v[165:166], v[169:170]
	v_div_fixup_f64 v[150:151], v[150:151], v[148:149], 1.0
	s_delay_alu instid0(VALU_DEP_1)
	v_mul_f64 v[148:149], v[157:158], v[150:151]
	v_xor_b32_e32 v151, 0x80000000, v151
.LBB72_763:
	s_and_not1_saveexec_b32 s2, s2
	s_cbranch_execz .LBB72_765
; %bb.764:
	s_delay_alu instid0(VALU_DEP_1) | instskip(SKIP_1) | instid1(VALU_DEP_2)
	v_div_scale_f64 v[157:158], null, v[148:149], v[148:149], v[150:151]
	v_div_scale_f64 v[169:170], vcc_lo, v[150:151], v[148:149], v[150:151]
	v_rcp_f64_e32 v[165:166], v[157:158]
	s_waitcnt_depctr 0xfff
	v_fma_f64 v[167:168], -v[157:158], v[165:166], 1.0
	s_delay_alu instid0(VALU_DEP_1) | instskip(NEXT) | instid1(VALU_DEP_1)
	v_fma_f64 v[165:166], v[165:166], v[167:168], v[165:166]
	v_fma_f64 v[167:168], -v[157:158], v[165:166], 1.0
	s_delay_alu instid0(VALU_DEP_1) | instskip(NEXT) | instid1(VALU_DEP_1)
	v_fma_f64 v[165:166], v[165:166], v[167:168], v[165:166]
	v_mul_f64 v[167:168], v[169:170], v[165:166]
	s_delay_alu instid0(VALU_DEP_1) | instskip(NEXT) | instid1(VALU_DEP_1)
	v_fma_f64 v[157:158], -v[157:158], v[167:168], v[169:170]
	v_div_fmas_f64 v[157:158], v[157:158], v[165:166], v[167:168]
	s_delay_alu instid0(VALU_DEP_1) | instskip(NEXT) | instid1(VALU_DEP_1)
	v_div_fixup_f64 v[157:158], v[157:158], v[148:149], v[150:151]
	v_fma_f64 v[148:149], v[150:151], v[157:158], v[148:149]
	s_delay_alu instid0(VALU_DEP_1) | instskip(NEXT) | instid1(VALU_DEP_1)
	v_div_scale_f64 v[150:151], null, v[148:149], v[148:149], 1.0
	v_rcp_f64_e32 v[165:166], v[150:151]
	s_waitcnt_depctr 0xfff
	v_fma_f64 v[167:168], -v[150:151], v[165:166], 1.0
	s_delay_alu instid0(VALU_DEP_1) | instskip(NEXT) | instid1(VALU_DEP_1)
	v_fma_f64 v[165:166], v[165:166], v[167:168], v[165:166]
	v_fma_f64 v[167:168], -v[150:151], v[165:166], 1.0
	s_delay_alu instid0(VALU_DEP_1) | instskip(SKIP_1) | instid1(VALU_DEP_1)
	v_fma_f64 v[165:166], v[165:166], v[167:168], v[165:166]
	v_div_scale_f64 v[167:168], vcc_lo, 1.0, v[148:149], 1.0
	v_mul_f64 v[169:170], v[167:168], v[165:166]
	s_delay_alu instid0(VALU_DEP_1) | instskip(NEXT) | instid1(VALU_DEP_1)
	v_fma_f64 v[150:151], -v[150:151], v[169:170], v[167:168]
	v_div_fmas_f64 v[150:151], v[150:151], v[165:166], v[169:170]
	s_delay_alu instid0(VALU_DEP_1) | instskip(NEXT) | instid1(VALU_DEP_1)
	v_div_fixup_f64 v[148:149], v[150:151], v[148:149], 1.0
	v_mul_f64 v[150:151], v[157:158], -v[148:149]
.LBB72_765:
	s_or_b32 exec_lo, exec_lo, s2
.LBB72_766:
	s_delay_alu instid0(SALU_CYCLE_1)
	s_or_b32 exec_lo, exec_lo, s3
	v_mov_b32_e32 v157, 36
	s_mov_b32 s2, exec_lo
	v_cmpx_ne_u32_e64 v164, v156
	s_cbranch_execz .LBB72_772
; %bb.767:
	s_mov_b32 s3, exec_lo
	v_cmpx_eq_u32_e32 36, v164
	s_cbranch_execz .LBB72_771
; %bb.768:
	v_cmp_ne_u32_e32 vcc_lo, 36, v156
	s_xor_b32 s4, s4, -1
	s_delay_alu instid0(SALU_CYCLE_1) | instskip(NEXT) | instid1(SALU_CYCLE_1)
	s_and_b32 s5, s4, vcc_lo
	s_and_saveexec_b32 s4, s5
	s_cbranch_execz .LBB72_770
; %bb.769:
	v_ashrrev_i32_e32 v157, 31, v156
	s_delay_alu instid0(VALU_DEP_1) | instskip(NEXT) | instid1(VALU_DEP_1)
	v_lshlrev_b64 v[157:158], 2, v[156:157]
	v_add_co_u32 v157, vcc_lo, v154, v157
	s_delay_alu instid0(VALU_DEP_2)
	v_add_co_ci_u32_e32 v158, vcc_lo, v155, v158, vcc_lo
	s_clause 0x1
	flat_load_b32 v162, v[157:158]
	flat_load_b32 v163, v[154:155] offset:144
	s_waitcnt vmcnt(1) lgkmcnt(1)
	flat_store_b32 v[154:155], v162 offset:144
	s_waitcnt vmcnt(0) lgkmcnt(1)
	flat_store_b32 v[157:158], v163
.LBB72_770:
	s_or_b32 exec_lo, exec_lo, s4
	v_mov_b32_e32 v164, v156
	v_mov_b32_e32 v163, v156
.LBB72_771:
	s_or_b32 exec_lo, exec_lo, s3
	s_delay_alu instid0(VALU_DEP_2)
	v_mov_b32_e32 v157, v164
.LBB72_772:
	s_or_b32 exec_lo, exec_lo, s2
	s_delay_alu instid0(SALU_CYCLE_1)
	s_mov_b32 s2, exec_lo
	s_waitcnt lgkmcnt(0)
	s_waitcnt_vscnt null, 0x0
	s_barrier
	buffer_gl0_inv
	v_cmpx_lt_i32_e32 36, v157
; %bb.773:
	v_mul_f64 v[154:155], v[150:151], v[2:3]
	v_mul_f64 v[2:3], v[148:149], v[2:3]
	s_delay_alu instid0(VALU_DEP_2) | instskip(NEXT) | instid1(VALU_DEP_2)
	v_fma_f64 v[148:149], v[148:149], v[0:1], -v[154:155]
	v_fma_f64 v[2:3], v[150:151], v[0:1], v[2:3]
	s_delay_alu instid0(VALU_DEP_2)
	v_dual_mov_b32 v0, v148 :: v_dual_mov_b32 v1, v149
; %bb.774:
	s_or_b32 exec_lo, exec_lo, s2
	s_load_b256 s[0:7], s[0:1], 0x28
	v_ashrrev_i32_e32 v158, 31, v157
	s_mov_b32 s9, exec_lo
	s_waitcnt lgkmcnt(0)
	s_barrier
	buffer_gl0_inv
	v_cmpx_gt_i32_e32 37, v157
	s_cbranch_execz .LBB72_776
; %bb.775:
	v_mul_lo_u32 v150, v153, s4
	v_mul_lo_u32 v151, v152, s5
	v_mad_u64_u32 v[148:149], null, v152, s4, 0
	s_lshl_b64 s[2:3], s[2:3], 2
	s_delay_alu instid0(SALU_CYCLE_1) | instskip(SKIP_1) | instid1(VALU_DEP_1)
	s_add_u32 s0, s2, s0
	s_addc_u32 s1, s3, s1
	v_add3_u32 v149, v149, v151, v150
	v_lshlrev_b64 v[150:151], 2, v[157:158]
	s_delay_alu instid0(VALU_DEP_2) | instskip(NEXT) | instid1(VALU_DEP_1)
	v_lshlrev_b64 v[148:149], 2, v[148:149]
	v_add_co_u32 v148, vcc_lo, s0, v148
	s_delay_alu instid0(VALU_DEP_2) | instskip(NEXT) | instid1(VALU_DEP_2)
	v_add_co_ci_u32_e32 v149, vcc_lo, s1, v149, vcc_lo
	v_add_co_u32 v148, vcc_lo, v148, v150
	s_delay_alu instid0(VALU_DEP_2)
	v_add_co_ci_u32_e32 v149, vcc_lo, v149, v151, vcc_lo
	v_add3_u32 v150, v163, s13, 1
	global_store_b32 v[148:149], v150, off
.LBB72_776:
	s_or_b32 exec_lo, exec_lo, s9
	s_delay_alu instid0(SALU_CYCLE_1)
	s_mov_b32 s1, exec_lo
	v_cmpx_eq_u32_e32 0, v157
	s_cbranch_execz .LBB72_779
; %bb.777:
	v_lshlrev_b64 v[148:149], 2, v[152:153]
	v_cmp_lt_i32_e64 s0, 0, v161
	s_delay_alu instid0(VALU_DEP_2) | instskip(NEXT) | instid1(VALU_DEP_3)
	v_add_co_u32 v148, vcc_lo, s6, v148
	v_add_co_ci_u32_e32 v149, vcc_lo, s7, v149, vcc_lo
	global_load_b32 v150, v[148:149], off
	s_waitcnt vmcnt(0)
	v_cmp_eq_u32_e32 vcc_lo, 0, v150
	s_and_b32 s0, vcc_lo, s0
	s_delay_alu instid0(SALU_CYCLE_1)
	s_and_b32 exec_lo, exec_lo, s0
	s_cbranch_execz .LBB72_779
; %bb.778:
	v_add_nc_u32_e32 v150, s13, v161
	global_store_b32 v[148:149], v150, off
.LBB72_779:
	s_or_b32 exec_lo, exec_lo, s1
	v_add3_u32 v148, s8, s8, v157
	v_lshlrev_b64 v[150:151], 4, v[157:158]
	s_delay_alu instid0(VALU_DEP_2) | instskip(SKIP_1) | instid1(VALU_DEP_3)
	v_add_nc_u32_e32 v152, s8, v148
	v_ashrrev_i32_e32 v149, 31, v148
	v_add_co_u32 v150, vcc_lo, v159, v150
	s_delay_alu instid0(VALU_DEP_4) | instskip(NEXT) | instid1(VALU_DEP_4)
	v_add_co_ci_u32_e32 v151, vcc_lo, v160, v151, vcc_lo
	v_add_nc_u32_e32 v156, s8, v152
	s_delay_alu instid0(VALU_DEP_3) | instskip(SKIP_1) | instid1(VALU_DEP_4)
	v_add_co_u32 v154, vcc_lo, v150, s10
	v_ashrrev_i32_e32 v153, 31, v152
	v_add_co_ci_u32_e32 v155, vcc_lo, s11, v151, vcc_lo
	v_lshlrev_b64 v[148:149], 4, v[148:149]
	v_ashrrev_i32_e32 v157, 31, v156
	s_clause 0x1
	global_store_b128 v[150:151], v[48:51], off
	global_store_b128 v[154:155], v[52:55], off
	v_lshlrev_b64 v[48:49], 4, v[152:153]
	v_add_nc_u32_e32 v54, s8, v156
	v_add_co_u32 v50, vcc_lo, v159, v148
	v_lshlrev_b64 v[52:53], 4, v[156:157]
	v_add_co_ci_u32_e32 v51, vcc_lo, v160, v149, vcc_lo
	v_add_co_u32 v48, vcc_lo, v159, v48
	v_add_co_ci_u32_e32 v49, vcc_lo, v160, v49, vcc_lo
	s_delay_alu instid0(VALU_DEP_4)
	v_add_co_u32 v52, vcc_lo, v159, v52
	v_add_nc_u32_e32 v148, s8, v54
	v_add_co_ci_u32_e32 v53, vcc_lo, v160, v53, vcc_lo
	v_ashrrev_i32_e32 v55, 31, v54
	global_store_b128 v[50:51], v[120:123], off
	v_ashrrev_i32_e32 v149, 31, v148
	s_clause 0x1
	global_store_b128 v[48:49], v[116:119], off
	global_store_b128 v[52:53], v[144:147], off
	v_add_nc_u32_e32 v52, s8, v148
	v_lshlrev_b64 v[50:51], 4, v[54:55]
	v_lshlrev_b64 v[48:49], 4, v[148:149]
	s_delay_alu instid0(VALU_DEP_3) | instskip(SKIP_1) | instid1(VALU_DEP_4)
	v_add_nc_u32_e32 v54, s8, v52
	v_ashrrev_i32_e32 v53, 31, v52
	v_add_co_u32 v50, vcc_lo, v159, v50
	v_add_co_ci_u32_e32 v51, vcc_lo, v160, v51, vcc_lo
	s_delay_alu instid0(VALU_DEP_4)
	v_add_nc_u32_e32 v116, s8, v54
	v_add_co_u32 v48, vcc_lo, v159, v48
	v_ashrrev_i32_e32 v55, 31, v54
	v_lshlrev_b64 v[52:53], 4, v[52:53]
	v_add_co_ci_u32_e32 v49, vcc_lo, v160, v49, vcc_lo
	v_ashrrev_i32_e32 v117, 31, v116
	s_clause 0x1
	global_store_b128 v[50:51], v[136:139], off
	global_store_b128 v[48:49], v[140:143], off
	v_lshlrev_b64 v[48:49], 4, v[54:55]
	v_add_co_u32 v50, vcc_lo, v159, v52
	v_add_co_ci_u32_e32 v51, vcc_lo, v160, v53, vcc_lo
	v_lshlrev_b64 v[52:53], 4, v[116:117]
	v_add_nc_u32_e32 v54, s8, v116
	v_add_co_u32 v48, vcc_lo, v159, v48
	v_add_co_ci_u32_e32 v49, vcc_lo, v160, v49, vcc_lo
	s_delay_alu instid0(VALU_DEP_4) | instskip(NEXT) | instid1(VALU_DEP_4)
	v_add_co_u32 v52, vcc_lo, v159, v52
	v_add_nc_u32_e32 v116, s8, v54
	v_add_co_ci_u32_e32 v53, vcc_lo, v160, v53, vcc_lo
	v_ashrrev_i32_e32 v55, 31, v54
	global_store_b128 v[50:51], v[132:135], off
	v_ashrrev_i32_e32 v117, 31, v116
	s_clause 0x1
	global_store_b128 v[48:49], v[128:131], off
	global_store_b128 v[52:53], v[124:127], off
	v_add_nc_u32_e32 v52, s8, v116
	v_lshlrev_b64 v[50:51], 4, v[54:55]
	v_lshlrev_b64 v[48:49], 4, v[116:117]
	s_delay_alu instid0(VALU_DEP_3) | instskip(SKIP_1) | instid1(VALU_DEP_4)
	v_add_nc_u32_e32 v54, s8, v52
	v_ashrrev_i32_e32 v53, 31, v52
	v_add_co_u32 v50, vcc_lo, v159, v50
	v_add_co_ci_u32_e32 v51, vcc_lo, v160, v51, vcc_lo
	s_delay_alu instid0(VALU_DEP_4)
	v_add_nc_u32_e32 v116, s8, v54
	v_add_co_u32 v48, vcc_lo, v159, v48
	v_ashrrev_i32_e32 v55, 31, v54
	v_lshlrev_b64 v[52:53], 4, v[52:53]
	v_add_co_ci_u32_e32 v49, vcc_lo, v160, v49, vcc_lo
	v_ashrrev_i32_e32 v117, 31, v116
	s_clause 0x1
	global_store_b128 v[50:51], v[112:115], off
	global_store_b128 v[48:49], v[108:111], off
	v_lshlrev_b64 v[48:49], 4, v[54:55]
	v_add_co_u32 v50, vcc_lo, v159, v52
	v_add_co_ci_u32_e32 v51, vcc_lo, v160, v53, vcc_lo
	v_lshlrev_b64 v[52:53], 4, v[116:117]
	v_add_nc_u32_e32 v54, s8, v116
	v_add_co_u32 v48, vcc_lo, v159, v48
	v_add_co_ci_u32_e32 v49, vcc_lo, v160, v49, vcc_lo
	s_delay_alu instid0(VALU_DEP_4) | instskip(NEXT) | instid1(VALU_DEP_4)
	v_add_co_u32 v52, vcc_lo, v159, v52
	v_add_nc_u32_e32 v108, s8, v54
	v_add_co_ci_u32_e32 v53, vcc_lo, v160, v53, vcc_lo
	v_ashrrev_i32_e32 v55, 31, v54
	global_store_b128 v[50:51], v[104:107], off
	v_ashrrev_i32_e32 v109, 31, v108
	s_clause 0x1
	global_store_b128 v[48:49], v[100:103], off
	global_store_b128 v[52:53], v[96:99], off
	v_add_nc_u32_e32 v52, s8, v108
	v_lshlrev_b64 v[50:51], 4, v[54:55]
	v_lshlrev_b64 v[48:49], 4, v[108:109]
	s_delay_alu instid0(VALU_DEP_3) | instskip(SKIP_1) | instid1(VALU_DEP_4)
	v_add_nc_u32_e32 v54, s8, v52
	v_ashrrev_i32_e32 v53, 31, v52
	v_add_co_u32 v50, vcc_lo, v159, v50
	v_add_co_ci_u32_e32 v51, vcc_lo, v160, v51, vcc_lo
	s_delay_alu instid0(VALU_DEP_4)
	v_add_nc_u32_e32 v96, s8, v54
	v_add_co_u32 v48, vcc_lo, v159, v48
	v_ashrrev_i32_e32 v55, 31, v54
	v_lshlrev_b64 v[52:53], 4, v[52:53]
	v_add_co_ci_u32_e32 v49, vcc_lo, v160, v49, vcc_lo
	v_ashrrev_i32_e32 v97, 31, v96
	s_clause 0x1
	global_store_b128 v[50:51], v[92:95], off
	global_store_b128 v[48:49], v[88:91], off
	v_lshlrev_b64 v[48:49], 4, v[54:55]
	v_add_co_u32 v50, vcc_lo, v159, v52
	v_add_co_ci_u32_e32 v51, vcc_lo, v160, v53, vcc_lo
	v_lshlrev_b64 v[52:53], 4, v[96:97]
	v_add_nc_u32_e32 v54, s8, v96
	v_add_co_u32 v48, vcc_lo, v159, v48
	v_add_co_ci_u32_e32 v49, vcc_lo, v160, v49, vcc_lo
	s_delay_alu instid0(VALU_DEP_4) | instskip(NEXT) | instid1(VALU_DEP_4)
	v_add_co_u32 v52, vcc_lo, v159, v52
	v_add_nc_u32_e32 v88, s8, v54
	v_add_co_ci_u32_e32 v53, vcc_lo, v160, v53, vcc_lo
	v_ashrrev_i32_e32 v55, 31, v54
	global_store_b128 v[50:51], v[84:87], off
	v_ashrrev_i32_e32 v89, 31, v88
	s_clause 0x1
	global_store_b128 v[48:49], v[80:83], off
	global_store_b128 v[52:53], v[76:79], off
	v_add_nc_u32_e32 v52, s8, v88
	v_lshlrev_b64 v[50:51], 4, v[54:55]
	v_lshlrev_b64 v[48:49], 4, v[88:89]
	s_delay_alu instid0(VALU_DEP_3) | instskip(SKIP_1) | instid1(VALU_DEP_4)
	v_add_nc_u32_e32 v54, s8, v52
	v_ashrrev_i32_e32 v53, 31, v52
	v_add_co_u32 v50, vcc_lo, v159, v50
	v_add_co_ci_u32_e32 v51, vcc_lo, v160, v51, vcc_lo
	s_delay_alu instid0(VALU_DEP_4)
	v_add_nc_u32_e32 v76, s8, v54
	v_add_co_u32 v48, vcc_lo, v159, v48
	v_ashrrev_i32_e32 v55, 31, v54
	v_lshlrev_b64 v[52:53], 4, v[52:53]
	v_add_co_ci_u32_e32 v49, vcc_lo, v160, v49, vcc_lo
	v_ashrrev_i32_e32 v77, 31, v76
	s_clause 0x1
	global_store_b128 v[50:51], v[72:75], off
	global_store_b128 v[48:49], v[68:71], off
	v_lshlrev_b64 v[48:49], 4, v[54:55]
	v_add_co_u32 v50, vcc_lo, v159, v52
	v_add_co_ci_u32_e32 v51, vcc_lo, v160, v53, vcc_lo
	v_lshlrev_b64 v[52:53], 4, v[76:77]
	v_add_nc_u32_e32 v54, s8, v76
	v_add_co_u32 v48, vcc_lo, v159, v48
	v_add_co_ci_u32_e32 v49, vcc_lo, v160, v49, vcc_lo
	s_delay_alu instid0(VALU_DEP_4) | instskip(NEXT) | instid1(VALU_DEP_4)
	v_add_co_u32 v52, vcc_lo, v159, v52
	v_add_nc_u32_e32 v68, s8, v54
	v_add_co_ci_u32_e32 v53, vcc_lo, v160, v53, vcc_lo
	v_ashrrev_i32_e32 v55, 31, v54
	global_store_b128 v[50:51], v[64:67], off
	v_ashrrev_i32_e32 v69, 31, v68
	s_clause 0x1
	global_store_b128 v[48:49], v[60:63], off
	global_store_b128 v[52:53], v[56:59], off
	v_add_nc_u32_e32 v52, s8, v68
	v_lshlrev_b64 v[50:51], 4, v[54:55]
	v_lshlrev_b64 v[48:49], 4, v[68:69]
	s_delay_alu instid0(VALU_DEP_3) | instskip(SKIP_1) | instid1(VALU_DEP_4)
	v_add_nc_u32_e32 v54, s8, v52
	v_ashrrev_i32_e32 v53, 31, v52
	v_add_co_u32 v50, vcc_lo, v159, v50
	v_add_co_ci_u32_e32 v51, vcc_lo, v160, v51, vcc_lo
	s_delay_alu instid0(VALU_DEP_4)
	v_add_nc_u32_e32 v56, s8, v54
	v_add_co_u32 v48, vcc_lo, v159, v48
	v_ashrrev_i32_e32 v55, 31, v54
	v_add_co_ci_u32_e32 v49, vcc_lo, v160, v49, vcc_lo
	v_lshlrev_b64 v[52:53], 4, v[52:53]
	v_ashrrev_i32_e32 v57, 31, v56
	s_clause 0x1
	global_store_b128 v[50:51], v[44:47], off
	global_store_b128 v[48:49], v[40:43], off
	v_lshlrev_b64 v[40:41], 4, v[54:55]
	v_add_nc_u32_e32 v46, s8, v56
	v_add_co_u32 v42, vcc_lo, v159, v52
	v_lshlrev_b64 v[44:45], 4, v[56:57]
	v_add_co_ci_u32_e32 v43, vcc_lo, v160, v53, vcc_lo
	v_add_co_u32 v40, vcc_lo, v159, v40
	v_add_nc_u32_e32 v48, s8, v46
	v_add_co_ci_u32_e32 v41, vcc_lo, v160, v41, vcc_lo
	v_ashrrev_i32_e32 v47, 31, v46
	v_add_co_u32 v44, vcc_lo, v159, v44
	v_add_co_ci_u32_e32 v45, vcc_lo, v160, v45, vcc_lo
	v_ashrrev_i32_e32 v49, 31, v48
	global_store_b128 v[42:43], v[36:39], off
	v_lshlrev_b64 v[36:37], 4, v[46:47]
	s_clause 0x1
	global_store_b128 v[40:41], v[32:35], off
	global_store_b128 v[44:45], v[28:31], off
	v_add_nc_u32_e32 v30, s8, v48
	v_lshlrev_b64 v[28:29], 4, v[48:49]
	v_add_co_u32 v32, vcc_lo, v159, v36
	s_delay_alu instid0(VALU_DEP_3) | instskip(SKIP_1) | instid1(VALU_DEP_4)
	v_add_nc_u32_e32 v34, s8, v30
	v_add_co_ci_u32_e32 v33, vcc_lo, v160, v37, vcc_lo
	v_add_co_u32 v28, vcc_lo, v159, v28
	v_add_co_ci_u32_e32 v29, vcc_lo, v160, v29, vcc_lo
	s_delay_alu instid0(VALU_DEP_4)
	v_add_nc_u32_e32 v36, s8, v34
	v_ashrrev_i32_e32 v31, 31, v30
	s_clause 0x1
	global_store_b128 v[32:33], v[24:27], off
	global_store_b128 v[28:29], v[20:23], off
	v_ashrrev_i32_e32 v35, 31, v34
	v_add_nc_u32_e32 v22, s8, v36
	v_lshlrev_b64 v[24:25], 4, v[30:31]
	v_ashrrev_i32_e32 v37, 31, v36
	s_delay_alu instid0(VALU_DEP_4) | instskip(NEXT) | instid1(VALU_DEP_4)
	v_lshlrev_b64 v[20:21], 4, v[34:35]
	v_add_nc_u32_e32 v28, s8, v22
	v_ashrrev_i32_e32 v23, 31, v22
	v_add_co_u32 v24, vcc_lo, v159, v24
	v_lshlrev_b64 v[26:27], 4, v[36:37]
	s_delay_alu instid0(VALU_DEP_4)
	v_ashrrev_i32_e32 v29, 31, v28
	v_add_co_ci_u32_e32 v25, vcc_lo, v160, v25, vcc_lo
	v_add_co_u32 v20, vcc_lo, v159, v20
	v_lshlrev_b64 v[22:23], 4, v[22:23]
	v_add_co_ci_u32_e32 v21, vcc_lo, v160, v21, vcc_lo
	v_add_co_u32 v26, vcc_lo, v159, v26
	v_lshlrev_b64 v[28:29], 4, v[28:29]
	v_add_co_ci_u32_e32 v27, vcc_lo, v160, v27, vcc_lo
	v_add_co_u32 v22, vcc_lo, v159, v22
	v_add_co_ci_u32_e32 v23, vcc_lo, v160, v23, vcc_lo
	s_delay_alu instid0(VALU_DEP_4)
	v_add_co_u32 v28, vcc_lo, v159, v28
	v_add_co_ci_u32_e32 v29, vcc_lo, v160, v29, vcc_lo
	s_clause 0x4
	global_store_b128 v[24:25], v[16:19], off
	global_store_b128 v[20:21], v[12:15], off
	;; [unrolled: 1-line block ×5, first 2 shown]
.LBB72_780:
	s_nop 0
	s_sendmsg sendmsg(MSG_DEALLOC_VGPRS)
	s_endpgm
	.section	.rodata,"a",@progbits
	.p2align	6, 0x0
	.amdhsa_kernel _ZN9rocsolver6v33100L18getf2_small_kernelILi37E19rocblas_complex_numIdEiiPKPS3_EEvT1_T3_lS7_lPS7_llPT2_S7_S7_S9_l
		.amdhsa_group_segment_fixed_size 0
		.amdhsa_private_segment_fixed_size 0
		.amdhsa_kernarg_size 352
		.amdhsa_user_sgpr_count 14
		.amdhsa_user_sgpr_dispatch_ptr 0
		.amdhsa_user_sgpr_queue_ptr 0
		.amdhsa_user_sgpr_kernarg_segment_ptr 1
		.amdhsa_user_sgpr_dispatch_id 0
		.amdhsa_user_sgpr_private_segment_size 0
		.amdhsa_wavefront_size32 1
		.amdhsa_uses_dynamic_stack 0
		.amdhsa_enable_private_segment 0
		.amdhsa_system_sgpr_workgroup_id_x 1
		.amdhsa_system_sgpr_workgroup_id_y 1
		.amdhsa_system_sgpr_workgroup_id_z 0
		.amdhsa_system_sgpr_workgroup_info 0
		.amdhsa_system_vgpr_workitem_id 1
		.amdhsa_next_free_vgpr 247
		.amdhsa_next_free_sgpr 16
		.amdhsa_reserve_vcc 1
		.amdhsa_float_round_mode_32 0
		.amdhsa_float_round_mode_16_64 0
		.amdhsa_float_denorm_mode_32 3
		.amdhsa_float_denorm_mode_16_64 3
		.amdhsa_dx10_clamp 1
		.amdhsa_ieee_mode 1
		.amdhsa_fp16_overflow 0
		.amdhsa_workgroup_processor_mode 1
		.amdhsa_memory_ordered 1
		.amdhsa_forward_progress 0
		.amdhsa_shared_vgpr_count 0
		.amdhsa_exception_fp_ieee_invalid_op 0
		.amdhsa_exception_fp_denorm_src 0
		.amdhsa_exception_fp_ieee_div_zero 0
		.amdhsa_exception_fp_ieee_overflow 0
		.amdhsa_exception_fp_ieee_underflow 0
		.amdhsa_exception_fp_ieee_inexact 0
		.amdhsa_exception_int_div_zero 0
	.end_amdhsa_kernel
	.section	.text._ZN9rocsolver6v33100L18getf2_small_kernelILi37E19rocblas_complex_numIdEiiPKPS3_EEvT1_T3_lS7_lPS7_llPT2_S7_S7_S9_l,"axG",@progbits,_ZN9rocsolver6v33100L18getf2_small_kernelILi37E19rocblas_complex_numIdEiiPKPS3_EEvT1_T3_lS7_lPS7_llPT2_S7_S7_S9_l,comdat
.Lfunc_end72:
	.size	_ZN9rocsolver6v33100L18getf2_small_kernelILi37E19rocblas_complex_numIdEiiPKPS3_EEvT1_T3_lS7_lPS7_llPT2_S7_S7_S9_l, .Lfunc_end72-_ZN9rocsolver6v33100L18getf2_small_kernelILi37E19rocblas_complex_numIdEiiPKPS3_EEvT1_T3_lS7_lPS7_llPT2_S7_S7_S9_l
                                        ; -- End function
	.section	.AMDGPU.csdata,"",@progbits
; Kernel info:
; codeLenInByte = 96304
; NumSgprs: 18
; NumVgprs: 247
; ScratchSize: 0
; MemoryBound: 0
; FloatMode: 240
; IeeeMode: 1
; LDSByteSize: 0 bytes/workgroup (compile time only)
; SGPRBlocks: 2
; VGPRBlocks: 30
; NumSGPRsForWavesPerEU: 18
; NumVGPRsForWavesPerEU: 247
; Occupancy: 5
; WaveLimiterHint : 1
; COMPUTE_PGM_RSRC2:SCRATCH_EN: 0
; COMPUTE_PGM_RSRC2:USER_SGPR: 14
; COMPUTE_PGM_RSRC2:TRAP_HANDLER: 0
; COMPUTE_PGM_RSRC2:TGID_X_EN: 1
; COMPUTE_PGM_RSRC2:TGID_Y_EN: 1
; COMPUTE_PGM_RSRC2:TGID_Z_EN: 0
; COMPUTE_PGM_RSRC2:TIDIG_COMP_CNT: 1
	.section	.text._ZN9rocsolver6v33100L23getf2_npvt_small_kernelILi37E19rocblas_complex_numIdEiiPKPS3_EEvT1_T3_lS7_lPT2_S7_S7_,"axG",@progbits,_ZN9rocsolver6v33100L23getf2_npvt_small_kernelILi37E19rocblas_complex_numIdEiiPKPS3_EEvT1_T3_lS7_lPT2_S7_S7_,comdat
	.globl	_ZN9rocsolver6v33100L23getf2_npvt_small_kernelILi37E19rocblas_complex_numIdEiiPKPS3_EEvT1_T3_lS7_lPT2_S7_S7_ ; -- Begin function _ZN9rocsolver6v33100L23getf2_npvt_small_kernelILi37E19rocblas_complex_numIdEiiPKPS3_EEvT1_T3_lS7_lPT2_S7_S7_
	.p2align	8
	.type	_ZN9rocsolver6v33100L23getf2_npvt_small_kernelILi37E19rocblas_complex_numIdEiiPKPS3_EEvT1_T3_lS7_lPT2_S7_S7_,@function
_ZN9rocsolver6v33100L23getf2_npvt_small_kernelILi37E19rocblas_complex_numIdEiiPKPS3_EEvT1_T3_lS7_lPT2_S7_S7_: ; @_ZN9rocsolver6v33100L23getf2_npvt_small_kernelILi37E19rocblas_complex_numIdEiiPKPS3_EEvT1_T3_lS7_lPT2_S7_S7_
; %bb.0:
	s_clause 0x1
	s_load_b32 s2, s[0:1], 0x44
	s_load_b64 s[10:11], s[0:1], 0x30
	v_bfe_u32 v148, v0, 10, 10
	s_waitcnt lgkmcnt(0)
	s_lshr_b32 s8, s2, 16
	s_mov_b32 s2, exec_lo
	s_delay_alu instid0(VALU_DEP_1) | instskip(NEXT) | instid1(VALU_DEP_1)
	v_mad_u64_u32 v[229:230], null, s15, s8, v[148:149]
	v_cmpx_gt_i32_e64 s10, v229
	s_cbranch_execz .LBB73_338
; %bb.1:
	s_clause 0x1
	s_load_b128 s[4:7], s[0:1], 0x8
	s_load_b32 s2, s[0:1], 0x18
	v_ashrrev_i32_e32 v230, 31, v229
	v_and_b32_e32 v188, 0x3ff, v0
	v_lshlrev_b32_e32 v149, 4, v148
	s_mulk_i32 s8, 0x250
	v_mad_u32_u24 v192, 0x250, v148, 0
	v_lshlrev_b64 v[1:2], 3, v[229:230]
	v_lshlrev_b32_e32 v73, 4, v188
	v_add3_u32 v189, 0, s8, v149
	s_waitcnt lgkmcnt(0)
	s_delay_alu instid0(VALU_DEP_3) | instskip(NEXT) | instid1(VALU_DEP_4)
	v_add_co_u32 v1, vcc_lo, s4, v1
	v_add_co_ci_u32_e32 v2, vcc_lo, s5, v2, vcc_lo
	v_add3_u32 v3, s2, s2, v188
	s_lshl_b64 s[6:7], s[6:7], 4
	s_ashr_i32 s3, s2, 31
	global_load_b64 v[1:2], v[1:2], off
	s_lshl_b64 s[4:5], s[2:3], 4
	v_add_nc_u32_e32 v5, s2, v3
	v_ashrrev_i32_e32 v4, 31, v3
	v_cmp_ne_u32_e64 s3, 0, v188
	s_delay_alu instid0(VALU_DEP_3) | instskip(SKIP_1) | instid1(VALU_DEP_4)
	v_add_nc_u32_e32 v7, s2, v5
	v_ashrrev_i32_e32 v6, 31, v5
	v_lshlrev_b64 v[3:4], 4, v[3:4]
	s_delay_alu instid0(VALU_DEP_3) | instskip(SKIP_1) | instid1(VALU_DEP_4)
	v_add_nc_u32_e32 v9, s2, v7
	v_ashrrev_i32_e32 v8, 31, v7
	v_lshlrev_b64 v[5:6], 4, v[5:6]
	;; [unrolled: 4-line block ×33, first 2 shown]
	v_cmp_eq_u32_e64 s2, 0, v188
	s_delay_alu instid0(VALU_DEP_4) | instskip(NEXT) | instid1(VALU_DEP_4)
	v_ashrrev_i32_e32 v72, 31, v71
	v_lshlrev_b64 v[69:70], 4, v[69:70]
	s_waitcnt vmcnt(0)
	v_add_co_u32 v74, vcc_lo, v1, s6
	v_add_co_ci_u32_e32 v2, vcc_lo, s7, v2, vcc_lo
	v_lshlrev_b64 v[0:1], 4, v[71:72]
	s_delay_alu instid0(VALU_DEP_3) | instskip(NEXT) | instid1(VALU_DEP_3)
	v_add_co_u32 v140, vcc_lo, v74, v73
	v_add_co_ci_u32_e32 v141, vcc_lo, 0, v2, vcc_lo
	v_add_co_u32 v75, vcc_lo, v74, v3
	v_add_co_ci_u32_e32 v76, vcc_lo, v2, v4, vcc_lo
	v_add_co_u32 v71, vcc_lo, v74, v5
	v_add_co_ci_u32_e32 v72, vcc_lo, v2, v6, vcc_lo
	v_add_co_u32 v7, vcc_lo, v74, v7
	v_add_co_ci_u32_e32 v8, vcc_lo, v2, v8, vcc_lo
	v_add_co_u32 v5, vcc_lo, v74, v9
	v_add_co_ci_u32_e32 v6, vcc_lo, v2, v10, vcc_lo
	v_add_co_u32 v3, vcc_lo, v74, v11
	v_add_co_ci_u32_e32 v4, vcc_lo, v2, v12, vcc_lo
	v_add_co_u32 v193, vcc_lo, v74, v13
	v_add_co_ci_u32_e32 v194, vcc_lo, v2, v14, vcc_lo
	v_add_co_u32 v251, vcc_lo, v74, v15
	v_add_co_ci_u32_e32 v252, vcc_lo, v2, v16, vcc_lo
	v_add_co_u32 v253, vcc_lo, v74, v17
	v_add_co_ci_u32_e32 v254, vcc_lo, v2, v18, vcc_lo
	v_add_co_u32 v247, vcc_lo, v74, v19
	v_add_co_ci_u32_e32 v248, vcc_lo, v2, v20, vcc_lo
	v_add_co_u32 v249, vcc_lo, v74, v21
	v_add_co_ci_u32_e32 v250, vcc_lo, v2, v22, vcc_lo
	v_add_co_u32 v243, vcc_lo, v74, v23
	v_add_co_ci_u32_e32 v244, vcc_lo, v2, v24, vcc_lo
	v_add_co_u32 v245, vcc_lo, v74, v25
	v_add_co_ci_u32_e32 v246, vcc_lo, v2, v26, vcc_lo
	v_add_co_u32 v239, vcc_lo, v74, v27
	v_add_co_ci_u32_e32 v240, vcc_lo, v2, v28, vcc_lo
	v_add_co_u32 v241, vcc_lo, v74, v29
	v_add_co_ci_u32_e32 v242, vcc_lo, v2, v30, vcc_lo
	v_add_co_u32 v235, vcc_lo, v74, v31
	v_add_co_ci_u32_e32 v236, vcc_lo, v2, v32, vcc_lo
	v_add_co_u32 v237, vcc_lo, v74, v33
	v_add_co_ci_u32_e32 v238, vcc_lo, v2, v34, vcc_lo
	v_add_co_u32 v231, vcc_lo, v74, v35
	v_add_co_ci_u32_e32 v232, vcc_lo, v2, v36, vcc_lo
	v_add_co_u32 v233, vcc_lo, v74, v37
	v_add_co_ci_u32_e32 v234, vcc_lo, v2, v38, vcc_lo
	v_add_co_u32 v227, vcc_lo, v74, v39
	v_add_co_ci_u32_e32 v228, vcc_lo, v2, v40, vcc_lo
	v_add_co_u32 v223, vcc_lo, v74, v41
	v_add_co_ci_u32_e32 v224, vcc_lo, v2, v42, vcc_lo
	v_add_co_u32 v225, vcc_lo, v74, v43
	v_add_co_ci_u32_e32 v226, vcc_lo, v2, v44, vcc_lo
	v_add_co_u32 v219, vcc_lo, v74, v45
	v_add_co_ci_u32_e32 v220, vcc_lo, v2, v46, vcc_lo
	v_add_co_u32 v221, vcc_lo, v74, v47
	v_add_co_ci_u32_e32 v222, vcc_lo, v2, v48, vcc_lo
	v_add_co_u32 v215, vcc_lo, v74, v49
	v_add_co_ci_u32_e32 v216, vcc_lo, v2, v50, vcc_lo
	v_add_co_u32 v217, vcc_lo, v74, v51
	v_add_co_ci_u32_e32 v218, vcc_lo, v2, v52, vcc_lo
	v_add_co_u32 v211, vcc_lo, v74, v53
	v_add_co_ci_u32_e32 v212, vcc_lo, v2, v54, vcc_lo
	v_add_co_u32 v213, vcc_lo, v74, v55
	v_add_co_ci_u32_e32 v214, vcc_lo, v2, v56, vcc_lo
	v_add_co_u32 v207, vcc_lo, v74, v57
	v_add_co_ci_u32_e32 v208, vcc_lo, v2, v58, vcc_lo
	v_add_co_u32 v209, vcc_lo, v74, v59
	v_add_co_ci_u32_e32 v210, vcc_lo, v2, v60, vcc_lo
	v_add_co_u32 v203, vcc_lo, v74, v61
	v_add_co_ci_u32_e32 v204, vcc_lo, v2, v62, vcc_lo
	v_add_co_u32 v205, vcc_lo, v74, v63
	v_add_co_ci_u32_e32 v206, vcc_lo, v2, v64, vcc_lo
	v_add_co_u32 v199, vcc_lo, v74, v65
	v_add_co_ci_u32_e32 v200, vcc_lo, v2, v66, vcc_lo
	v_add_co_u32 v201, vcc_lo, v74, v67
	v_add_co_ci_u32_e32 v202, vcc_lo, v2, v68, vcc_lo
	v_add_co_u32 v195, vcc_lo, v74, v69
	v_add_co_ci_u32_e32 v196, vcc_lo, v2, v70, vcc_lo
	s_clause 0x4
	scratch_store_b64 off, v[75:76], off offset:32
	scratch_store_b64 off, v[71:72], off offset:24
	;; [unrolled: 1-line block ×4, first 2 shown]
	scratch_store_b64 off, v[3:4], off
	v_add_co_u32 v197, vcc_lo, v74, v0
	s_clause 0x1f
	global_load_b128 v[136:139], v[75:76], off
	global_load_b128 v[132:135], v[71:72], off
	;; [unrolled: 1-line block ×32, first 2 shown]
	s_clause 0x1
	global_load_b128 v[8:11], v[201:202], off
	global_load_b128 v[4:7], v[195:196], off
	v_add_co_ci_u32_e32 v198, vcc_lo, v2, v1, vcc_lo
	v_add_co_u32 v0, vcc_lo, v140, s4
	v_add_co_ci_u32_e32 v1, vcc_lo, s5, v141, vcc_lo
	scratch_store_b64 off, v[140:141], off offset:40 ; 8-byte Folded Spill
	global_load_b128 v[144:147], v[140:141], off
	scratch_store_b64 off, v[0:1], off offset:48 ; 8-byte Folded Spill
	s_clause 0x1
	global_load_b128 v[140:143], v[0:1], off
	global_load_b128 v[0:3], v[197:198], off
	s_and_saveexec_b32 s5, s2
	s_cbranch_execz .LBB73_8
; %bb.2:
	s_waitcnt vmcnt(2)
	ds_store_2addr_b64 v189, v[144:145], v[146:147] offset1:1
	s_waitcnt vmcnt(1)
	ds_store_2addr_b64 v192, v[140:141], v[142:143] offset0:2 offset1:3
	ds_store_2addr_b64 v192, v[136:137], v[138:139] offset0:4 offset1:5
	;; [unrolled: 1-line block ×35, first 2 shown]
	s_waitcnt vmcnt(0)
	ds_store_2addr_b64 v192, v[0:1], v[2:3] offset0:72 offset1:73
	ds_load_2addr_b64 v[148:151], v189 offset1:1
	s_waitcnt lgkmcnt(0)
	v_cmp_neq_f64_e32 vcc_lo, 0, v[148:149]
	v_cmp_neq_f64_e64 s4, 0, v[150:151]
	s_delay_alu instid0(VALU_DEP_1) | instskip(NEXT) | instid1(SALU_CYCLE_1)
	s_or_b32 s4, vcc_lo, s4
	s_and_b32 exec_lo, exec_lo, s4
	s_cbranch_execz .LBB73_8
; %bb.3:
	v_cmp_gt_f64_e32 vcc_lo, 0, v[148:149]
	v_cmp_gt_f64_e64 s4, 0, v[150:151]
	v_xor_b32_e32 v152, 0x80000000, v149
	v_xor_b32_e32 v154, 0x80000000, v151
                                        ; implicit-def: $vgpr156_vgpr157
	s_delay_alu instid0(VALU_DEP_2) | instskip(NEXT) | instid1(VALU_DEP_2)
	v_cndmask_b32_e32 v153, v149, v152, vcc_lo
	v_cndmask_b32_e64 v155, v151, v154, s4
	v_cndmask_b32_e32 v152, v148, v148, vcc_lo
	v_cndmask_b32_e64 v154, v150, v150, s4
	s_mov_b32 s4, exec_lo
	s_delay_alu instid0(VALU_DEP_1)
	v_cmpx_ngt_f64_e32 v[152:153], v[154:155]
	s_xor_b32 s4, exec_lo, s4
                                        ; implicit-def: $vgpr152_vgpr153_vgpr154_vgpr155
	s_cbranch_execz .LBB73_5
; %bb.4:
	v_div_scale_f64 v[152:153], null, v[150:151], v[150:151], v[148:149]
	v_div_scale_f64 v[158:159], vcc_lo, v[148:149], v[150:151], v[148:149]
	s_delay_alu instid0(VALU_DEP_2) | instskip(SKIP_2) | instid1(VALU_DEP_1)
	v_rcp_f64_e32 v[154:155], v[152:153]
	s_waitcnt_depctr 0xfff
	v_fma_f64 v[156:157], -v[152:153], v[154:155], 1.0
	v_fma_f64 v[154:155], v[154:155], v[156:157], v[154:155]
	s_delay_alu instid0(VALU_DEP_1) | instskip(NEXT) | instid1(VALU_DEP_1)
	v_fma_f64 v[156:157], -v[152:153], v[154:155], 1.0
	v_fma_f64 v[154:155], v[154:155], v[156:157], v[154:155]
	s_delay_alu instid0(VALU_DEP_1) | instskip(NEXT) | instid1(VALU_DEP_1)
	v_mul_f64 v[156:157], v[158:159], v[154:155]
	v_fma_f64 v[152:153], -v[152:153], v[156:157], v[158:159]
	s_delay_alu instid0(VALU_DEP_1) | instskip(NEXT) | instid1(VALU_DEP_1)
	v_div_fmas_f64 v[152:153], v[152:153], v[154:155], v[156:157]
	v_div_fixup_f64 v[152:153], v[152:153], v[150:151], v[148:149]
	s_delay_alu instid0(VALU_DEP_1) | instskip(NEXT) | instid1(VALU_DEP_1)
	v_fma_f64 v[148:149], v[148:149], v[152:153], v[150:151]
	v_div_scale_f64 v[150:151], null, v[148:149], v[148:149], 1.0
	s_delay_alu instid0(VALU_DEP_1) | instskip(SKIP_2) | instid1(VALU_DEP_1)
	v_rcp_f64_e32 v[154:155], v[150:151]
	s_waitcnt_depctr 0xfff
	v_fma_f64 v[156:157], -v[150:151], v[154:155], 1.0
	v_fma_f64 v[154:155], v[154:155], v[156:157], v[154:155]
	s_delay_alu instid0(VALU_DEP_1) | instskip(NEXT) | instid1(VALU_DEP_1)
	v_fma_f64 v[156:157], -v[150:151], v[154:155], 1.0
	v_fma_f64 v[154:155], v[154:155], v[156:157], v[154:155]
	v_div_scale_f64 v[156:157], vcc_lo, 1.0, v[148:149], 1.0
	s_delay_alu instid0(VALU_DEP_1) | instskip(NEXT) | instid1(VALU_DEP_1)
	v_mul_f64 v[158:159], v[156:157], v[154:155]
	v_fma_f64 v[150:151], -v[150:151], v[158:159], v[156:157]
	s_delay_alu instid0(VALU_DEP_1) | instskip(NEXT) | instid1(VALU_DEP_1)
	v_div_fmas_f64 v[150:151], v[150:151], v[154:155], v[158:159]
	v_div_fixup_f64 v[154:155], v[150:151], v[148:149], 1.0
                                        ; implicit-def: $vgpr148_vgpr149
	s_delay_alu instid0(VALU_DEP_1)
	v_mul_f64 v[156:157], v[152:153], v[154:155]
	v_xor_b32_e32 v155, 0x80000000, v155
.LBB73_5:
	s_and_not1_saveexec_b32 s4, s4
	s_cbranch_execz .LBB73_7
; %bb.6:
	v_div_scale_f64 v[152:153], null, v[148:149], v[148:149], v[150:151]
	v_div_scale_f64 v[158:159], vcc_lo, v[150:151], v[148:149], v[150:151]
	s_delay_alu instid0(VALU_DEP_2) | instskip(SKIP_2) | instid1(VALU_DEP_1)
	v_rcp_f64_e32 v[154:155], v[152:153]
	s_waitcnt_depctr 0xfff
	v_fma_f64 v[156:157], -v[152:153], v[154:155], 1.0
	v_fma_f64 v[154:155], v[154:155], v[156:157], v[154:155]
	s_delay_alu instid0(VALU_DEP_1) | instskip(NEXT) | instid1(VALU_DEP_1)
	v_fma_f64 v[156:157], -v[152:153], v[154:155], 1.0
	v_fma_f64 v[154:155], v[154:155], v[156:157], v[154:155]
	s_delay_alu instid0(VALU_DEP_1) | instskip(NEXT) | instid1(VALU_DEP_1)
	v_mul_f64 v[156:157], v[158:159], v[154:155]
	v_fma_f64 v[152:153], -v[152:153], v[156:157], v[158:159]
	s_delay_alu instid0(VALU_DEP_1) | instskip(NEXT) | instid1(VALU_DEP_1)
	v_div_fmas_f64 v[152:153], v[152:153], v[154:155], v[156:157]
	v_div_fixup_f64 v[152:153], v[152:153], v[148:149], v[150:151]
	s_delay_alu instid0(VALU_DEP_1) | instskip(NEXT) | instid1(VALU_DEP_1)
	v_fma_f64 v[148:149], v[150:151], v[152:153], v[148:149]
	v_div_scale_f64 v[150:151], null, v[148:149], v[148:149], 1.0
	s_delay_alu instid0(VALU_DEP_1) | instskip(SKIP_2) | instid1(VALU_DEP_1)
	v_rcp_f64_e32 v[154:155], v[150:151]
	s_waitcnt_depctr 0xfff
	v_fma_f64 v[156:157], -v[150:151], v[154:155], 1.0
	v_fma_f64 v[154:155], v[154:155], v[156:157], v[154:155]
	s_delay_alu instid0(VALU_DEP_1) | instskip(NEXT) | instid1(VALU_DEP_1)
	v_fma_f64 v[156:157], -v[150:151], v[154:155], 1.0
	v_fma_f64 v[154:155], v[154:155], v[156:157], v[154:155]
	v_div_scale_f64 v[156:157], vcc_lo, 1.0, v[148:149], 1.0
	s_delay_alu instid0(VALU_DEP_1) | instskip(NEXT) | instid1(VALU_DEP_1)
	v_mul_f64 v[158:159], v[156:157], v[154:155]
	v_fma_f64 v[150:151], -v[150:151], v[158:159], v[156:157]
	s_delay_alu instid0(VALU_DEP_1) | instskip(NEXT) | instid1(VALU_DEP_1)
	v_div_fmas_f64 v[150:151], v[150:151], v[154:155], v[158:159]
	v_div_fixup_f64 v[156:157], v[150:151], v[148:149], 1.0
	s_delay_alu instid0(VALU_DEP_1)
	v_mul_f64 v[154:155], v[152:153], -v[156:157]
.LBB73_7:
	s_or_b32 exec_lo, exec_lo, s4
	ds_store_2addr_b64 v189, v[156:157], v[154:155] offset1:1
.LBB73_8:
	s_or_b32 exec_lo, exec_lo, s5
	s_waitcnt vmcnt(0) lgkmcnt(0)
	s_waitcnt_vscnt null, 0x0
	s_barrier
	buffer_gl0_inv
	ds_load_2addr_b64 v[148:151], v189 offset1:1
	s_waitcnt lgkmcnt(0)
	scratch_store_b128 off, v[148:151], off offset:56 ; 16-byte Folded Spill
	s_and_saveexec_b32 s4, s3
	s_cbranch_execz .LBB73_10
; %bb.9:
	scratch_load_b128 v[150:153], off, off offset:56 ; 16-byte Folded Reload
	s_waitcnt vmcnt(0)
	v_mul_f64 v[148:149], v[152:153], v[146:147]
	v_mul_f64 v[146:147], v[150:151], v[146:147]
	s_delay_alu instid0(VALU_DEP_2) | instskip(NEXT) | instid1(VALU_DEP_2)
	v_fma_f64 v[148:149], v[150:151], v[144:145], -v[148:149]
	v_fma_f64 v[146:147], v[152:153], v[144:145], v[146:147]
	ds_load_2addr_b64 v[150:153], v192 offset0:2 offset1:3
	s_waitcnt lgkmcnt(0)
	v_mul_f64 v[144:145], v[152:153], v[146:147]
	s_delay_alu instid0(VALU_DEP_1) | instskip(SKIP_1) | instid1(VALU_DEP_2)
	v_fma_f64 v[144:145], v[150:151], v[148:149], -v[144:145]
	v_mul_f64 v[150:151], v[150:151], v[146:147]
	v_add_f64 v[140:141], v[140:141], -v[144:145]
	s_delay_alu instid0(VALU_DEP_2) | instskip(NEXT) | instid1(VALU_DEP_1)
	v_fma_f64 v[150:151], v[152:153], v[148:149], v[150:151]
	v_add_f64 v[142:143], v[142:143], -v[150:151]
	ds_load_2addr_b64 v[150:153], v192 offset0:4 offset1:5
	s_waitcnt lgkmcnt(0)
	v_mul_f64 v[144:145], v[152:153], v[146:147]
	s_delay_alu instid0(VALU_DEP_1) | instskip(SKIP_1) | instid1(VALU_DEP_2)
	v_fma_f64 v[144:145], v[150:151], v[148:149], -v[144:145]
	v_mul_f64 v[150:151], v[150:151], v[146:147]
	v_add_f64 v[136:137], v[136:137], -v[144:145]
	s_delay_alu instid0(VALU_DEP_2) | instskip(NEXT) | instid1(VALU_DEP_1)
	v_fma_f64 v[150:151], v[152:153], v[148:149], v[150:151]
	v_add_f64 v[138:139], v[138:139], -v[150:151]
	ds_load_2addr_b64 v[150:153], v192 offset0:6 offset1:7
	s_waitcnt lgkmcnt(0)
	v_mul_f64 v[144:145], v[152:153], v[146:147]
	s_delay_alu instid0(VALU_DEP_1) | instskip(SKIP_1) | instid1(VALU_DEP_2)
	v_fma_f64 v[144:145], v[150:151], v[148:149], -v[144:145]
	v_mul_f64 v[150:151], v[150:151], v[146:147]
	v_add_f64 v[132:133], v[132:133], -v[144:145]
	s_delay_alu instid0(VALU_DEP_2) | instskip(NEXT) | instid1(VALU_DEP_1)
	v_fma_f64 v[150:151], v[152:153], v[148:149], v[150:151]
	v_add_f64 v[134:135], v[134:135], -v[150:151]
	ds_load_2addr_b64 v[150:153], v192 offset0:8 offset1:9
	s_waitcnt lgkmcnt(0)
	v_mul_f64 v[144:145], v[152:153], v[146:147]
	s_delay_alu instid0(VALU_DEP_1) | instskip(SKIP_1) | instid1(VALU_DEP_2)
	v_fma_f64 v[144:145], v[150:151], v[148:149], -v[144:145]
	v_mul_f64 v[150:151], v[150:151], v[146:147]
	v_add_f64 v[128:129], v[128:129], -v[144:145]
	s_delay_alu instid0(VALU_DEP_2) | instskip(NEXT) | instid1(VALU_DEP_1)
	v_fma_f64 v[150:151], v[152:153], v[148:149], v[150:151]
	v_add_f64 v[130:131], v[130:131], -v[150:151]
	ds_load_2addr_b64 v[150:153], v192 offset0:10 offset1:11
	s_waitcnt lgkmcnt(0)
	v_mul_f64 v[144:145], v[152:153], v[146:147]
	s_delay_alu instid0(VALU_DEP_1) | instskip(SKIP_1) | instid1(VALU_DEP_2)
	v_fma_f64 v[144:145], v[150:151], v[148:149], -v[144:145]
	v_mul_f64 v[150:151], v[150:151], v[146:147]
	v_add_f64 v[124:125], v[124:125], -v[144:145]
	s_delay_alu instid0(VALU_DEP_2) | instskip(NEXT) | instid1(VALU_DEP_1)
	v_fma_f64 v[150:151], v[152:153], v[148:149], v[150:151]
	v_add_f64 v[126:127], v[126:127], -v[150:151]
	ds_load_2addr_b64 v[150:153], v192 offset0:12 offset1:13
	s_waitcnt lgkmcnt(0)
	v_mul_f64 v[144:145], v[152:153], v[146:147]
	s_delay_alu instid0(VALU_DEP_1) | instskip(SKIP_1) | instid1(VALU_DEP_2)
	v_fma_f64 v[144:145], v[150:151], v[148:149], -v[144:145]
	v_mul_f64 v[150:151], v[150:151], v[146:147]
	v_add_f64 v[120:121], v[120:121], -v[144:145]
	s_delay_alu instid0(VALU_DEP_2) | instskip(NEXT) | instid1(VALU_DEP_1)
	v_fma_f64 v[150:151], v[152:153], v[148:149], v[150:151]
	v_add_f64 v[122:123], v[122:123], -v[150:151]
	ds_load_2addr_b64 v[150:153], v192 offset0:14 offset1:15
	s_waitcnt lgkmcnt(0)
	v_mul_f64 v[144:145], v[152:153], v[146:147]
	s_delay_alu instid0(VALU_DEP_1) | instskip(SKIP_1) | instid1(VALU_DEP_2)
	v_fma_f64 v[144:145], v[150:151], v[148:149], -v[144:145]
	v_mul_f64 v[150:151], v[150:151], v[146:147]
	v_add_f64 v[116:117], v[116:117], -v[144:145]
	s_delay_alu instid0(VALU_DEP_2) | instskip(NEXT) | instid1(VALU_DEP_1)
	v_fma_f64 v[150:151], v[152:153], v[148:149], v[150:151]
	v_add_f64 v[118:119], v[118:119], -v[150:151]
	ds_load_2addr_b64 v[150:153], v192 offset0:16 offset1:17
	s_waitcnt lgkmcnt(0)
	v_mul_f64 v[144:145], v[152:153], v[146:147]
	s_delay_alu instid0(VALU_DEP_1) | instskip(SKIP_1) | instid1(VALU_DEP_2)
	v_fma_f64 v[144:145], v[150:151], v[148:149], -v[144:145]
	v_mul_f64 v[150:151], v[150:151], v[146:147]
	v_add_f64 v[112:113], v[112:113], -v[144:145]
	s_delay_alu instid0(VALU_DEP_2) | instskip(NEXT) | instid1(VALU_DEP_1)
	v_fma_f64 v[150:151], v[152:153], v[148:149], v[150:151]
	v_add_f64 v[114:115], v[114:115], -v[150:151]
	ds_load_2addr_b64 v[150:153], v192 offset0:18 offset1:19
	s_waitcnt lgkmcnt(0)
	v_mul_f64 v[144:145], v[152:153], v[146:147]
	s_delay_alu instid0(VALU_DEP_1) | instskip(SKIP_1) | instid1(VALU_DEP_2)
	v_fma_f64 v[144:145], v[150:151], v[148:149], -v[144:145]
	v_mul_f64 v[150:151], v[150:151], v[146:147]
	v_add_f64 v[108:109], v[108:109], -v[144:145]
	s_delay_alu instid0(VALU_DEP_2) | instskip(NEXT) | instid1(VALU_DEP_1)
	v_fma_f64 v[150:151], v[152:153], v[148:149], v[150:151]
	v_add_f64 v[110:111], v[110:111], -v[150:151]
	ds_load_2addr_b64 v[150:153], v192 offset0:20 offset1:21
	s_waitcnt lgkmcnt(0)
	v_mul_f64 v[144:145], v[152:153], v[146:147]
	s_delay_alu instid0(VALU_DEP_1) | instskip(SKIP_1) | instid1(VALU_DEP_2)
	v_fma_f64 v[144:145], v[150:151], v[148:149], -v[144:145]
	v_mul_f64 v[150:151], v[150:151], v[146:147]
	v_add_f64 v[104:105], v[104:105], -v[144:145]
	s_delay_alu instid0(VALU_DEP_2) | instskip(NEXT) | instid1(VALU_DEP_1)
	v_fma_f64 v[150:151], v[152:153], v[148:149], v[150:151]
	v_add_f64 v[106:107], v[106:107], -v[150:151]
	ds_load_2addr_b64 v[150:153], v192 offset0:22 offset1:23
	s_waitcnt lgkmcnt(0)
	v_mul_f64 v[144:145], v[152:153], v[146:147]
	s_delay_alu instid0(VALU_DEP_1) | instskip(SKIP_1) | instid1(VALU_DEP_2)
	v_fma_f64 v[144:145], v[150:151], v[148:149], -v[144:145]
	v_mul_f64 v[150:151], v[150:151], v[146:147]
	v_add_f64 v[100:101], v[100:101], -v[144:145]
	s_delay_alu instid0(VALU_DEP_2) | instskip(NEXT) | instid1(VALU_DEP_1)
	v_fma_f64 v[150:151], v[152:153], v[148:149], v[150:151]
	v_add_f64 v[102:103], v[102:103], -v[150:151]
	ds_load_2addr_b64 v[150:153], v192 offset0:24 offset1:25
	s_waitcnt lgkmcnt(0)
	v_mul_f64 v[144:145], v[152:153], v[146:147]
	s_delay_alu instid0(VALU_DEP_1) | instskip(SKIP_1) | instid1(VALU_DEP_2)
	v_fma_f64 v[144:145], v[150:151], v[148:149], -v[144:145]
	v_mul_f64 v[150:151], v[150:151], v[146:147]
	v_add_f64 v[96:97], v[96:97], -v[144:145]
	s_delay_alu instid0(VALU_DEP_2) | instskip(NEXT) | instid1(VALU_DEP_1)
	v_fma_f64 v[150:151], v[152:153], v[148:149], v[150:151]
	v_add_f64 v[98:99], v[98:99], -v[150:151]
	ds_load_2addr_b64 v[150:153], v192 offset0:26 offset1:27
	s_waitcnt lgkmcnt(0)
	v_mul_f64 v[144:145], v[152:153], v[146:147]
	s_delay_alu instid0(VALU_DEP_1) | instskip(SKIP_1) | instid1(VALU_DEP_2)
	v_fma_f64 v[144:145], v[150:151], v[148:149], -v[144:145]
	v_mul_f64 v[150:151], v[150:151], v[146:147]
	v_add_f64 v[92:93], v[92:93], -v[144:145]
	s_delay_alu instid0(VALU_DEP_2) | instskip(NEXT) | instid1(VALU_DEP_1)
	v_fma_f64 v[150:151], v[152:153], v[148:149], v[150:151]
	v_add_f64 v[94:95], v[94:95], -v[150:151]
	ds_load_2addr_b64 v[150:153], v192 offset0:28 offset1:29
	s_waitcnt lgkmcnt(0)
	v_mul_f64 v[144:145], v[152:153], v[146:147]
	s_delay_alu instid0(VALU_DEP_1) | instskip(SKIP_1) | instid1(VALU_DEP_2)
	v_fma_f64 v[144:145], v[150:151], v[148:149], -v[144:145]
	v_mul_f64 v[150:151], v[150:151], v[146:147]
	v_add_f64 v[88:89], v[88:89], -v[144:145]
	s_delay_alu instid0(VALU_DEP_2) | instskip(NEXT) | instid1(VALU_DEP_1)
	v_fma_f64 v[150:151], v[152:153], v[148:149], v[150:151]
	v_add_f64 v[90:91], v[90:91], -v[150:151]
	ds_load_2addr_b64 v[150:153], v192 offset0:30 offset1:31
	s_waitcnt lgkmcnt(0)
	v_mul_f64 v[144:145], v[152:153], v[146:147]
	s_delay_alu instid0(VALU_DEP_1) | instskip(SKIP_1) | instid1(VALU_DEP_2)
	v_fma_f64 v[144:145], v[150:151], v[148:149], -v[144:145]
	v_mul_f64 v[150:151], v[150:151], v[146:147]
	v_add_f64 v[84:85], v[84:85], -v[144:145]
	s_delay_alu instid0(VALU_DEP_2) | instskip(NEXT) | instid1(VALU_DEP_1)
	v_fma_f64 v[150:151], v[152:153], v[148:149], v[150:151]
	v_add_f64 v[86:87], v[86:87], -v[150:151]
	ds_load_2addr_b64 v[150:153], v192 offset0:32 offset1:33
	s_waitcnt lgkmcnt(0)
	v_mul_f64 v[144:145], v[152:153], v[146:147]
	s_delay_alu instid0(VALU_DEP_1) | instskip(SKIP_1) | instid1(VALU_DEP_2)
	v_fma_f64 v[144:145], v[150:151], v[148:149], -v[144:145]
	v_mul_f64 v[150:151], v[150:151], v[146:147]
	v_add_f64 v[80:81], v[80:81], -v[144:145]
	s_delay_alu instid0(VALU_DEP_2) | instskip(NEXT) | instid1(VALU_DEP_1)
	v_fma_f64 v[150:151], v[152:153], v[148:149], v[150:151]
	v_add_f64 v[82:83], v[82:83], -v[150:151]
	ds_load_2addr_b64 v[150:153], v192 offset0:34 offset1:35
	s_waitcnt lgkmcnt(0)
	v_mul_f64 v[144:145], v[152:153], v[146:147]
	s_delay_alu instid0(VALU_DEP_1) | instskip(SKIP_1) | instid1(VALU_DEP_2)
	v_fma_f64 v[144:145], v[150:151], v[148:149], -v[144:145]
	v_mul_f64 v[150:151], v[150:151], v[146:147]
	v_add_f64 v[76:77], v[76:77], -v[144:145]
	s_delay_alu instid0(VALU_DEP_2) | instskip(NEXT) | instid1(VALU_DEP_1)
	v_fma_f64 v[150:151], v[152:153], v[148:149], v[150:151]
	v_add_f64 v[78:79], v[78:79], -v[150:151]
	ds_load_2addr_b64 v[150:153], v192 offset0:36 offset1:37
	s_waitcnt lgkmcnt(0)
	v_mul_f64 v[144:145], v[152:153], v[146:147]
	s_delay_alu instid0(VALU_DEP_1) | instskip(SKIP_1) | instid1(VALU_DEP_2)
	v_fma_f64 v[144:145], v[150:151], v[148:149], -v[144:145]
	v_mul_f64 v[150:151], v[150:151], v[146:147]
	v_add_f64 v[72:73], v[72:73], -v[144:145]
	s_delay_alu instid0(VALU_DEP_2) | instskip(NEXT) | instid1(VALU_DEP_1)
	v_fma_f64 v[150:151], v[152:153], v[148:149], v[150:151]
	v_add_f64 v[74:75], v[74:75], -v[150:151]
	ds_load_2addr_b64 v[150:153], v192 offset0:38 offset1:39
	s_waitcnt lgkmcnt(0)
	v_mul_f64 v[144:145], v[152:153], v[146:147]
	s_delay_alu instid0(VALU_DEP_1) | instskip(SKIP_1) | instid1(VALU_DEP_2)
	v_fma_f64 v[144:145], v[150:151], v[148:149], -v[144:145]
	v_mul_f64 v[150:151], v[150:151], v[146:147]
	v_add_f64 v[68:69], v[68:69], -v[144:145]
	s_delay_alu instid0(VALU_DEP_2) | instskip(NEXT) | instid1(VALU_DEP_1)
	v_fma_f64 v[150:151], v[152:153], v[148:149], v[150:151]
	v_add_f64 v[70:71], v[70:71], -v[150:151]
	ds_load_2addr_b64 v[150:153], v192 offset0:40 offset1:41
	s_waitcnt lgkmcnt(0)
	v_mul_f64 v[144:145], v[152:153], v[146:147]
	s_delay_alu instid0(VALU_DEP_1) | instskip(SKIP_1) | instid1(VALU_DEP_2)
	v_fma_f64 v[144:145], v[150:151], v[148:149], -v[144:145]
	v_mul_f64 v[150:151], v[150:151], v[146:147]
	v_add_f64 v[64:65], v[64:65], -v[144:145]
	s_delay_alu instid0(VALU_DEP_2) | instskip(NEXT) | instid1(VALU_DEP_1)
	v_fma_f64 v[150:151], v[152:153], v[148:149], v[150:151]
	v_add_f64 v[66:67], v[66:67], -v[150:151]
	ds_load_2addr_b64 v[150:153], v192 offset0:42 offset1:43
	s_waitcnt lgkmcnt(0)
	v_mul_f64 v[144:145], v[152:153], v[146:147]
	s_delay_alu instid0(VALU_DEP_1) | instskip(SKIP_1) | instid1(VALU_DEP_2)
	v_fma_f64 v[144:145], v[150:151], v[148:149], -v[144:145]
	v_mul_f64 v[150:151], v[150:151], v[146:147]
	v_add_f64 v[60:61], v[60:61], -v[144:145]
	s_delay_alu instid0(VALU_DEP_2) | instskip(NEXT) | instid1(VALU_DEP_1)
	v_fma_f64 v[150:151], v[152:153], v[148:149], v[150:151]
	v_add_f64 v[62:63], v[62:63], -v[150:151]
	ds_load_2addr_b64 v[150:153], v192 offset0:44 offset1:45
	s_waitcnt lgkmcnt(0)
	v_mul_f64 v[144:145], v[152:153], v[146:147]
	s_delay_alu instid0(VALU_DEP_1) | instskip(SKIP_1) | instid1(VALU_DEP_2)
	v_fma_f64 v[144:145], v[150:151], v[148:149], -v[144:145]
	v_mul_f64 v[150:151], v[150:151], v[146:147]
	v_add_f64 v[56:57], v[56:57], -v[144:145]
	s_delay_alu instid0(VALU_DEP_2) | instskip(NEXT) | instid1(VALU_DEP_1)
	v_fma_f64 v[150:151], v[152:153], v[148:149], v[150:151]
	v_add_f64 v[58:59], v[58:59], -v[150:151]
	ds_load_2addr_b64 v[150:153], v192 offset0:46 offset1:47
	s_waitcnt lgkmcnt(0)
	v_mul_f64 v[144:145], v[152:153], v[146:147]
	s_delay_alu instid0(VALU_DEP_1) | instskip(SKIP_1) | instid1(VALU_DEP_2)
	v_fma_f64 v[144:145], v[150:151], v[148:149], -v[144:145]
	v_mul_f64 v[150:151], v[150:151], v[146:147]
	v_add_f64 v[52:53], v[52:53], -v[144:145]
	s_delay_alu instid0(VALU_DEP_2) | instskip(NEXT) | instid1(VALU_DEP_1)
	v_fma_f64 v[150:151], v[152:153], v[148:149], v[150:151]
	v_add_f64 v[54:55], v[54:55], -v[150:151]
	ds_load_2addr_b64 v[150:153], v192 offset0:48 offset1:49
	s_waitcnt lgkmcnt(0)
	v_mul_f64 v[144:145], v[152:153], v[146:147]
	s_delay_alu instid0(VALU_DEP_1) | instskip(SKIP_1) | instid1(VALU_DEP_2)
	v_fma_f64 v[144:145], v[150:151], v[148:149], -v[144:145]
	v_mul_f64 v[150:151], v[150:151], v[146:147]
	v_add_f64 v[48:49], v[48:49], -v[144:145]
	s_delay_alu instid0(VALU_DEP_2) | instskip(NEXT) | instid1(VALU_DEP_1)
	v_fma_f64 v[150:151], v[152:153], v[148:149], v[150:151]
	v_add_f64 v[50:51], v[50:51], -v[150:151]
	ds_load_2addr_b64 v[150:153], v192 offset0:50 offset1:51
	s_waitcnt lgkmcnt(0)
	v_mul_f64 v[144:145], v[152:153], v[146:147]
	s_delay_alu instid0(VALU_DEP_1) | instskip(SKIP_1) | instid1(VALU_DEP_2)
	v_fma_f64 v[144:145], v[150:151], v[148:149], -v[144:145]
	v_mul_f64 v[150:151], v[150:151], v[146:147]
	v_add_f64 v[44:45], v[44:45], -v[144:145]
	s_delay_alu instid0(VALU_DEP_2) | instskip(NEXT) | instid1(VALU_DEP_1)
	v_fma_f64 v[150:151], v[152:153], v[148:149], v[150:151]
	v_add_f64 v[46:47], v[46:47], -v[150:151]
	ds_load_2addr_b64 v[150:153], v192 offset0:52 offset1:53
	s_waitcnt lgkmcnt(0)
	v_mul_f64 v[144:145], v[152:153], v[146:147]
	s_delay_alu instid0(VALU_DEP_1) | instskip(SKIP_1) | instid1(VALU_DEP_2)
	v_fma_f64 v[144:145], v[150:151], v[148:149], -v[144:145]
	v_mul_f64 v[150:151], v[150:151], v[146:147]
	v_add_f64 v[40:41], v[40:41], -v[144:145]
	s_delay_alu instid0(VALU_DEP_2) | instskip(NEXT) | instid1(VALU_DEP_1)
	v_fma_f64 v[150:151], v[152:153], v[148:149], v[150:151]
	v_add_f64 v[42:43], v[42:43], -v[150:151]
	ds_load_2addr_b64 v[150:153], v192 offset0:54 offset1:55
	s_waitcnt lgkmcnt(0)
	v_mul_f64 v[144:145], v[152:153], v[146:147]
	s_delay_alu instid0(VALU_DEP_1) | instskip(SKIP_1) | instid1(VALU_DEP_2)
	v_fma_f64 v[144:145], v[150:151], v[148:149], -v[144:145]
	v_mul_f64 v[150:151], v[150:151], v[146:147]
	v_add_f64 v[36:37], v[36:37], -v[144:145]
	s_delay_alu instid0(VALU_DEP_2) | instskip(NEXT) | instid1(VALU_DEP_1)
	v_fma_f64 v[150:151], v[152:153], v[148:149], v[150:151]
	v_add_f64 v[38:39], v[38:39], -v[150:151]
	ds_load_2addr_b64 v[150:153], v192 offset0:56 offset1:57
	s_waitcnt lgkmcnt(0)
	v_mul_f64 v[144:145], v[152:153], v[146:147]
	s_delay_alu instid0(VALU_DEP_1) | instskip(SKIP_1) | instid1(VALU_DEP_2)
	v_fma_f64 v[144:145], v[150:151], v[148:149], -v[144:145]
	v_mul_f64 v[150:151], v[150:151], v[146:147]
	v_add_f64 v[32:33], v[32:33], -v[144:145]
	s_delay_alu instid0(VALU_DEP_2) | instskip(NEXT) | instid1(VALU_DEP_1)
	v_fma_f64 v[150:151], v[152:153], v[148:149], v[150:151]
	v_add_f64 v[34:35], v[34:35], -v[150:151]
	ds_load_2addr_b64 v[150:153], v192 offset0:58 offset1:59
	s_waitcnt lgkmcnt(0)
	v_mul_f64 v[144:145], v[152:153], v[146:147]
	s_delay_alu instid0(VALU_DEP_1) | instskip(SKIP_1) | instid1(VALU_DEP_2)
	v_fma_f64 v[144:145], v[150:151], v[148:149], -v[144:145]
	v_mul_f64 v[150:151], v[150:151], v[146:147]
	v_add_f64 v[28:29], v[28:29], -v[144:145]
	s_delay_alu instid0(VALU_DEP_2) | instskip(NEXT) | instid1(VALU_DEP_1)
	v_fma_f64 v[150:151], v[152:153], v[148:149], v[150:151]
	v_add_f64 v[30:31], v[30:31], -v[150:151]
	ds_load_2addr_b64 v[150:153], v192 offset0:60 offset1:61
	s_waitcnt lgkmcnt(0)
	v_mul_f64 v[144:145], v[152:153], v[146:147]
	s_delay_alu instid0(VALU_DEP_1) | instskip(SKIP_1) | instid1(VALU_DEP_2)
	v_fma_f64 v[144:145], v[150:151], v[148:149], -v[144:145]
	v_mul_f64 v[150:151], v[150:151], v[146:147]
	v_add_f64 v[24:25], v[24:25], -v[144:145]
	s_delay_alu instid0(VALU_DEP_2) | instskip(NEXT) | instid1(VALU_DEP_1)
	v_fma_f64 v[150:151], v[152:153], v[148:149], v[150:151]
	v_add_f64 v[26:27], v[26:27], -v[150:151]
	ds_load_2addr_b64 v[150:153], v192 offset0:62 offset1:63
	s_waitcnt lgkmcnt(0)
	v_mul_f64 v[144:145], v[152:153], v[146:147]
	s_delay_alu instid0(VALU_DEP_1) | instskip(SKIP_1) | instid1(VALU_DEP_2)
	v_fma_f64 v[144:145], v[150:151], v[148:149], -v[144:145]
	v_mul_f64 v[150:151], v[150:151], v[146:147]
	v_add_f64 v[20:21], v[20:21], -v[144:145]
	s_delay_alu instid0(VALU_DEP_2) | instskip(NEXT) | instid1(VALU_DEP_1)
	v_fma_f64 v[150:151], v[152:153], v[148:149], v[150:151]
	v_add_f64 v[22:23], v[22:23], -v[150:151]
	ds_load_2addr_b64 v[150:153], v192 offset0:64 offset1:65
	s_waitcnt lgkmcnt(0)
	v_mul_f64 v[144:145], v[152:153], v[146:147]
	s_delay_alu instid0(VALU_DEP_1) | instskip(SKIP_1) | instid1(VALU_DEP_2)
	v_fma_f64 v[144:145], v[150:151], v[148:149], -v[144:145]
	v_mul_f64 v[150:151], v[150:151], v[146:147]
	v_add_f64 v[16:17], v[16:17], -v[144:145]
	s_delay_alu instid0(VALU_DEP_2) | instskip(NEXT) | instid1(VALU_DEP_1)
	v_fma_f64 v[150:151], v[152:153], v[148:149], v[150:151]
	v_add_f64 v[18:19], v[18:19], -v[150:151]
	ds_load_2addr_b64 v[150:153], v192 offset0:66 offset1:67
	s_waitcnt lgkmcnt(0)
	v_mul_f64 v[144:145], v[152:153], v[146:147]
	s_delay_alu instid0(VALU_DEP_1) | instskip(SKIP_1) | instid1(VALU_DEP_2)
	v_fma_f64 v[144:145], v[150:151], v[148:149], -v[144:145]
	v_mul_f64 v[150:151], v[150:151], v[146:147]
	v_add_f64 v[12:13], v[12:13], -v[144:145]
	s_delay_alu instid0(VALU_DEP_2) | instskip(NEXT) | instid1(VALU_DEP_1)
	v_fma_f64 v[150:151], v[152:153], v[148:149], v[150:151]
	v_add_f64 v[14:15], v[14:15], -v[150:151]
	ds_load_2addr_b64 v[150:153], v192 offset0:68 offset1:69
	s_waitcnt lgkmcnt(0)
	v_mul_f64 v[144:145], v[152:153], v[146:147]
	s_delay_alu instid0(VALU_DEP_1) | instskip(SKIP_1) | instid1(VALU_DEP_2)
	v_fma_f64 v[144:145], v[150:151], v[148:149], -v[144:145]
	v_mul_f64 v[150:151], v[150:151], v[146:147]
	v_add_f64 v[8:9], v[8:9], -v[144:145]
	s_delay_alu instid0(VALU_DEP_2) | instskip(NEXT) | instid1(VALU_DEP_1)
	v_fma_f64 v[150:151], v[152:153], v[148:149], v[150:151]
	v_add_f64 v[10:11], v[10:11], -v[150:151]
	ds_load_2addr_b64 v[150:153], v192 offset0:70 offset1:71
	s_waitcnt lgkmcnt(0)
	v_mul_f64 v[144:145], v[152:153], v[146:147]
	s_delay_alu instid0(VALU_DEP_1) | instskip(SKIP_1) | instid1(VALU_DEP_2)
	v_fma_f64 v[144:145], v[150:151], v[148:149], -v[144:145]
	v_mul_f64 v[150:151], v[150:151], v[146:147]
	v_add_f64 v[4:5], v[4:5], -v[144:145]
	s_delay_alu instid0(VALU_DEP_2) | instskip(NEXT) | instid1(VALU_DEP_1)
	v_fma_f64 v[150:151], v[152:153], v[148:149], v[150:151]
	v_add_f64 v[6:7], v[6:7], -v[150:151]
	ds_load_2addr_b64 v[150:153], v192 offset0:72 offset1:73
	s_waitcnt lgkmcnt(0)
	v_mul_f64 v[144:145], v[152:153], v[146:147]
	s_delay_alu instid0(VALU_DEP_1) | instskip(SKIP_1) | instid1(VALU_DEP_2)
	v_fma_f64 v[144:145], v[150:151], v[148:149], -v[144:145]
	v_mul_f64 v[150:151], v[150:151], v[146:147]
	v_add_f64 v[0:1], v[0:1], -v[144:145]
	s_delay_alu instid0(VALU_DEP_2) | instskip(SKIP_1) | instid1(VALU_DEP_2)
	v_fma_f64 v[150:151], v[152:153], v[148:149], v[150:151]
	v_dual_mov_b32 v144, v148 :: v_dual_mov_b32 v145, v149
	v_add_f64 v[2:3], v[2:3], -v[150:151]
.LBB73_10:
	s_or_b32 exec_lo, exec_lo, s4
	s_delay_alu instid0(SALU_CYCLE_1)
	s_mov_b32 s4, exec_lo
	s_waitcnt_vscnt null, 0x0
	s_barrier
	buffer_gl0_inv
	v_cmpx_eq_u32_e32 1, v188
	s_cbranch_execz .LBB73_17
; %bb.11:
	ds_store_2addr_b64 v189, v[140:141], v[142:143] offset1:1
	ds_store_2addr_b64 v192, v[136:137], v[138:139] offset0:4 offset1:5
	ds_store_2addr_b64 v192, v[132:133], v[134:135] offset0:6 offset1:7
	;; [unrolled: 1-line block ×35, first 2 shown]
	ds_load_2addr_b64 v[148:151], v189 offset1:1
	s_waitcnt lgkmcnt(0)
	v_cmp_neq_f64_e32 vcc_lo, 0, v[148:149]
	v_cmp_neq_f64_e64 s3, 0, v[150:151]
	s_delay_alu instid0(VALU_DEP_1) | instskip(NEXT) | instid1(SALU_CYCLE_1)
	s_or_b32 s3, vcc_lo, s3
	s_and_b32 exec_lo, exec_lo, s3
	s_cbranch_execz .LBB73_17
; %bb.12:
	v_cmp_gt_f64_e32 vcc_lo, 0, v[148:149]
	v_cmp_gt_f64_e64 s3, 0, v[150:151]
	v_xor_b32_e32 v152, 0x80000000, v149
	v_xor_b32_e32 v154, 0x80000000, v151
                                        ; implicit-def: $vgpr156_vgpr157
	s_delay_alu instid0(VALU_DEP_2) | instskip(NEXT) | instid1(VALU_DEP_2)
	v_cndmask_b32_e32 v153, v149, v152, vcc_lo
	v_cndmask_b32_e64 v155, v151, v154, s3
	v_cndmask_b32_e32 v152, v148, v148, vcc_lo
	v_cndmask_b32_e64 v154, v150, v150, s3
	s_mov_b32 s3, exec_lo
	s_delay_alu instid0(VALU_DEP_1)
	v_cmpx_ngt_f64_e32 v[152:153], v[154:155]
	s_xor_b32 s3, exec_lo, s3
                                        ; implicit-def: $vgpr152_vgpr153_vgpr154_vgpr155
	s_cbranch_execz .LBB73_14
; %bb.13:
	v_div_scale_f64 v[152:153], null, v[150:151], v[150:151], v[148:149]
	v_div_scale_f64 v[158:159], vcc_lo, v[148:149], v[150:151], v[148:149]
	s_delay_alu instid0(VALU_DEP_2) | instskip(SKIP_2) | instid1(VALU_DEP_1)
	v_rcp_f64_e32 v[154:155], v[152:153]
	s_waitcnt_depctr 0xfff
	v_fma_f64 v[156:157], -v[152:153], v[154:155], 1.0
	v_fma_f64 v[154:155], v[154:155], v[156:157], v[154:155]
	s_delay_alu instid0(VALU_DEP_1) | instskip(NEXT) | instid1(VALU_DEP_1)
	v_fma_f64 v[156:157], -v[152:153], v[154:155], 1.0
	v_fma_f64 v[154:155], v[154:155], v[156:157], v[154:155]
	s_delay_alu instid0(VALU_DEP_1) | instskip(NEXT) | instid1(VALU_DEP_1)
	v_mul_f64 v[156:157], v[158:159], v[154:155]
	v_fma_f64 v[152:153], -v[152:153], v[156:157], v[158:159]
	s_delay_alu instid0(VALU_DEP_1) | instskip(NEXT) | instid1(VALU_DEP_1)
	v_div_fmas_f64 v[152:153], v[152:153], v[154:155], v[156:157]
	v_div_fixup_f64 v[152:153], v[152:153], v[150:151], v[148:149]
	s_delay_alu instid0(VALU_DEP_1) | instskip(NEXT) | instid1(VALU_DEP_1)
	v_fma_f64 v[148:149], v[148:149], v[152:153], v[150:151]
	v_div_scale_f64 v[150:151], null, v[148:149], v[148:149], 1.0
	s_delay_alu instid0(VALU_DEP_1) | instskip(SKIP_2) | instid1(VALU_DEP_1)
	v_rcp_f64_e32 v[154:155], v[150:151]
	s_waitcnt_depctr 0xfff
	v_fma_f64 v[156:157], -v[150:151], v[154:155], 1.0
	v_fma_f64 v[154:155], v[154:155], v[156:157], v[154:155]
	s_delay_alu instid0(VALU_DEP_1) | instskip(NEXT) | instid1(VALU_DEP_1)
	v_fma_f64 v[156:157], -v[150:151], v[154:155], 1.0
	v_fma_f64 v[154:155], v[154:155], v[156:157], v[154:155]
	v_div_scale_f64 v[156:157], vcc_lo, 1.0, v[148:149], 1.0
	s_delay_alu instid0(VALU_DEP_1) | instskip(NEXT) | instid1(VALU_DEP_1)
	v_mul_f64 v[158:159], v[156:157], v[154:155]
	v_fma_f64 v[150:151], -v[150:151], v[158:159], v[156:157]
	s_delay_alu instid0(VALU_DEP_1) | instskip(NEXT) | instid1(VALU_DEP_1)
	v_div_fmas_f64 v[150:151], v[150:151], v[154:155], v[158:159]
	v_div_fixup_f64 v[154:155], v[150:151], v[148:149], 1.0
                                        ; implicit-def: $vgpr148_vgpr149
	s_delay_alu instid0(VALU_DEP_1)
	v_mul_f64 v[156:157], v[152:153], v[154:155]
	v_xor_b32_e32 v155, 0x80000000, v155
.LBB73_14:
	s_and_not1_saveexec_b32 s3, s3
	s_cbranch_execz .LBB73_16
; %bb.15:
	v_div_scale_f64 v[152:153], null, v[148:149], v[148:149], v[150:151]
	v_div_scale_f64 v[158:159], vcc_lo, v[150:151], v[148:149], v[150:151]
	s_delay_alu instid0(VALU_DEP_2) | instskip(SKIP_2) | instid1(VALU_DEP_1)
	v_rcp_f64_e32 v[154:155], v[152:153]
	s_waitcnt_depctr 0xfff
	v_fma_f64 v[156:157], -v[152:153], v[154:155], 1.0
	v_fma_f64 v[154:155], v[154:155], v[156:157], v[154:155]
	s_delay_alu instid0(VALU_DEP_1) | instskip(NEXT) | instid1(VALU_DEP_1)
	v_fma_f64 v[156:157], -v[152:153], v[154:155], 1.0
	v_fma_f64 v[154:155], v[154:155], v[156:157], v[154:155]
	s_delay_alu instid0(VALU_DEP_1) | instskip(NEXT) | instid1(VALU_DEP_1)
	v_mul_f64 v[156:157], v[158:159], v[154:155]
	v_fma_f64 v[152:153], -v[152:153], v[156:157], v[158:159]
	s_delay_alu instid0(VALU_DEP_1) | instskip(NEXT) | instid1(VALU_DEP_1)
	v_div_fmas_f64 v[152:153], v[152:153], v[154:155], v[156:157]
	v_div_fixup_f64 v[152:153], v[152:153], v[148:149], v[150:151]
	s_delay_alu instid0(VALU_DEP_1) | instskip(NEXT) | instid1(VALU_DEP_1)
	v_fma_f64 v[148:149], v[150:151], v[152:153], v[148:149]
	v_div_scale_f64 v[150:151], null, v[148:149], v[148:149], 1.0
	s_delay_alu instid0(VALU_DEP_1) | instskip(SKIP_2) | instid1(VALU_DEP_1)
	v_rcp_f64_e32 v[154:155], v[150:151]
	s_waitcnt_depctr 0xfff
	v_fma_f64 v[156:157], -v[150:151], v[154:155], 1.0
	v_fma_f64 v[154:155], v[154:155], v[156:157], v[154:155]
	s_delay_alu instid0(VALU_DEP_1) | instskip(NEXT) | instid1(VALU_DEP_1)
	v_fma_f64 v[156:157], -v[150:151], v[154:155], 1.0
	v_fma_f64 v[154:155], v[154:155], v[156:157], v[154:155]
	v_div_scale_f64 v[156:157], vcc_lo, 1.0, v[148:149], 1.0
	s_delay_alu instid0(VALU_DEP_1) | instskip(NEXT) | instid1(VALU_DEP_1)
	v_mul_f64 v[158:159], v[156:157], v[154:155]
	v_fma_f64 v[150:151], -v[150:151], v[158:159], v[156:157]
	s_delay_alu instid0(VALU_DEP_1) | instskip(NEXT) | instid1(VALU_DEP_1)
	v_div_fmas_f64 v[150:151], v[150:151], v[154:155], v[158:159]
	v_div_fixup_f64 v[156:157], v[150:151], v[148:149], 1.0
	s_delay_alu instid0(VALU_DEP_1)
	v_mul_f64 v[154:155], v[152:153], -v[156:157]
.LBB73_16:
	s_or_b32 exec_lo, exec_lo, s3
	ds_store_2addr_b64 v189, v[156:157], v[154:155] offset1:1
.LBB73_17:
	s_or_b32 exec_lo, exec_lo, s4
	s_waitcnt lgkmcnt(0)
	s_barrier
	buffer_gl0_inv
	ds_load_2addr_b64 v[148:151], v189 offset1:1
	s_mov_b32 s3, exec_lo
	s_waitcnt lgkmcnt(0)
	scratch_store_b128 off, v[148:151], off offset:72 ; 16-byte Folded Spill
	v_cmpx_lt_u32_e32 1, v188
	s_cbranch_execz .LBB73_19
; %bb.18:
	scratch_load_b128 v[150:153], off, off offset:72 ; 16-byte Folded Reload
	s_waitcnt vmcnt(0)
	v_mul_f64 v[148:149], v[152:153], v[142:143]
	v_mul_f64 v[142:143], v[150:151], v[142:143]
	s_delay_alu instid0(VALU_DEP_2) | instskip(NEXT) | instid1(VALU_DEP_2)
	v_fma_f64 v[148:149], v[150:151], v[140:141], -v[148:149]
	v_fma_f64 v[142:143], v[152:153], v[140:141], v[142:143]
	ds_load_2addr_b64 v[150:153], v192 offset0:4 offset1:5
	s_waitcnt lgkmcnt(0)
	v_mul_f64 v[140:141], v[152:153], v[142:143]
	s_delay_alu instid0(VALU_DEP_1) | instskip(SKIP_1) | instid1(VALU_DEP_2)
	v_fma_f64 v[140:141], v[150:151], v[148:149], -v[140:141]
	v_mul_f64 v[150:151], v[150:151], v[142:143]
	v_add_f64 v[136:137], v[136:137], -v[140:141]
	s_delay_alu instid0(VALU_DEP_2) | instskip(NEXT) | instid1(VALU_DEP_1)
	v_fma_f64 v[150:151], v[152:153], v[148:149], v[150:151]
	v_add_f64 v[138:139], v[138:139], -v[150:151]
	ds_load_2addr_b64 v[150:153], v192 offset0:6 offset1:7
	s_waitcnt lgkmcnt(0)
	v_mul_f64 v[140:141], v[152:153], v[142:143]
	s_delay_alu instid0(VALU_DEP_1) | instskip(SKIP_1) | instid1(VALU_DEP_2)
	v_fma_f64 v[140:141], v[150:151], v[148:149], -v[140:141]
	v_mul_f64 v[150:151], v[150:151], v[142:143]
	v_add_f64 v[132:133], v[132:133], -v[140:141]
	s_delay_alu instid0(VALU_DEP_2) | instskip(NEXT) | instid1(VALU_DEP_1)
	v_fma_f64 v[150:151], v[152:153], v[148:149], v[150:151]
	v_add_f64 v[134:135], v[134:135], -v[150:151]
	;; [unrolled: 10-line block ×34, first 2 shown]
	ds_load_2addr_b64 v[150:153], v192 offset0:72 offset1:73
	s_waitcnt lgkmcnt(0)
	v_mul_f64 v[140:141], v[152:153], v[142:143]
	s_delay_alu instid0(VALU_DEP_1) | instskip(SKIP_1) | instid1(VALU_DEP_2)
	v_fma_f64 v[140:141], v[150:151], v[148:149], -v[140:141]
	v_mul_f64 v[150:151], v[150:151], v[142:143]
	v_add_f64 v[0:1], v[0:1], -v[140:141]
	s_delay_alu instid0(VALU_DEP_2) | instskip(SKIP_1) | instid1(VALU_DEP_2)
	v_fma_f64 v[150:151], v[152:153], v[148:149], v[150:151]
	v_dual_mov_b32 v140, v148 :: v_dual_mov_b32 v141, v149
	v_add_f64 v[2:3], v[2:3], -v[150:151]
.LBB73_19:
	s_or_b32 exec_lo, exec_lo, s3
	s_delay_alu instid0(SALU_CYCLE_1)
	s_mov_b32 s4, exec_lo
	s_waitcnt_vscnt null, 0x0
	s_barrier
	buffer_gl0_inv
	v_cmpx_eq_u32_e32 2, v188
	s_cbranch_execz .LBB73_26
; %bb.20:
	ds_store_2addr_b64 v189, v[136:137], v[138:139] offset1:1
	ds_store_2addr_b64 v192, v[132:133], v[134:135] offset0:6 offset1:7
	ds_store_2addr_b64 v192, v[128:129], v[130:131] offset0:8 offset1:9
	;; [unrolled: 1-line block ×34, first 2 shown]
	ds_load_2addr_b64 v[148:151], v189 offset1:1
	s_waitcnt lgkmcnt(0)
	v_cmp_neq_f64_e32 vcc_lo, 0, v[148:149]
	v_cmp_neq_f64_e64 s3, 0, v[150:151]
	s_delay_alu instid0(VALU_DEP_1) | instskip(NEXT) | instid1(SALU_CYCLE_1)
	s_or_b32 s3, vcc_lo, s3
	s_and_b32 exec_lo, exec_lo, s3
	s_cbranch_execz .LBB73_26
; %bb.21:
	v_cmp_gt_f64_e32 vcc_lo, 0, v[148:149]
	v_cmp_gt_f64_e64 s3, 0, v[150:151]
	v_xor_b32_e32 v152, 0x80000000, v149
	v_xor_b32_e32 v154, 0x80000000, v151
                                        ; implicit-def: $vgpr156_vgpr157
	s_delay_alu instid0(VALU_DEP_2) | instskip(NEXT) | instid1(VALU_DEP_2)
	v_cndmask_b32_e32 v153, v149, v152, vcc_lo
	v_cndmask_b32_e64 v155, v151, v154, s3
	v_cndmask_b32_e32 v152, v148, v148, vcc_lo
	v_cndmask_b32_e64 v154, v150, v150, s3
	s_mov_b32 s3, exec_lo
	s_delay_alu instid0(VALU_DEP_1)
	v_cmpx_ngt_f64_e32 v[152:153], v[154:155]
	s_xor_b32 s3, exec_lo, s3
                                        ; implicit-def: $vgpr152_vgpr153_vgpr154_vgpr155
	s_cbranch_execz .LBB73_23
; %bb.22:
	v_div_scale_f64 v[152:153], null, v[150:151], v[150:151], v[148:149]
	v_div_scale_f64 v[158:159], vcc_lo, v[148:149], v[150:151], v[148:149]
	s_delay_alu instid0(VALU_DEP_2) | instskip(SKIP_2) | instid1(VALU_DEP_1)
	v_rcp_f64_e32 v[154:155], v[152:153]
	s_waitcnt_depctr 0xfff
	v_fma_f64 v[156:157], -v[152:153], v[154:155], 1.0
	v_fma_f64 v[154:155], v[154:155], v[156:157], v[154:155]
	s_delay_alu instid0(VALU_DEP_1) | instskip(NEXT) | instid1(VALU_DEP_1)
	v_fma_f64 v[156:157], -v[152:153], v[154:155], 1.0
	v_fma_f64 v[154:155], v[154:155], v[156:157], v[154:155]
	s_delay_alu instid0(VALU_DEP_1) | instskip(NEXT) | instid1(VALU_DEP_1)
	v_mul_f64 v[156:157], v[158:159], v[154:155]
	v_fma_f64 v[152:153], -v[152:153], v[156:157], v[158:159]
	s_delay_alu instid0(VALU_DEP_1) | instskip(NEXT) | instid1(VALU_DEP_1)
	v_div_fmas_f64 v[152:153], v[152:153], v[154:155], v[156:157]
	v_div_fixup_f64 v[152:153], v[152:153], v[150:151], v[148:149]
	s_delay_alu instid0(VALU_DEP_1) | instskip(NEXT) | instid1(VALU_DEP_1)
	v_fma_f64 v[148:149], v[148:149], v[152:153], v[150:151]
	v_div_scale_f64 v[150:151], null, v[148:149], v[148:149], 1.0
	s_delay_alu instid0(VALU_DEP_1) | instskip(SKIP_2) | instid1(VALU_DEP_1)
	v_rcp_f64_e32 v[154:155], v[150:151]
	s_waitcnt_depctr 0xfff
	v_fma_f64 v[156:157], -v[150:151], v[154:155], 1.0
	v_fma_f64 v[154:155], v[154:155], v[156:157], v[154:155]
	s_delay_alu instid0(VALU_DEP_1) | instskip(NEXT) | instid1(VALU_DEP_1)
	v_fma_f64 v[156:157], -v[150:151], v[154:155], 1.0
	v_fma_f64 v[154:155], v[154:155], v[156:157], v[154:155]
	v_div_scale_f64 v[156:157], vcc_lo, 1.0, v[148:149], 1.0
	s_delay_alu instid0(VALU_DEP_1) | instskip(NEXT) | instid1(VALU_DEP_1)
	v_mul_f64 v[158:159], v[156:157], v[154:155]
	v_fma_f64 v[150:151], -v[150:151], v[158:159], v[156:157]
	s_delay_alu instid0(VALU_DEP_1) | instskip(NEXT) | instid1(VALU_DEP_1)
	v_div_fmas_f64 v[150:151], v[150:151], v[154:155], v[158:159]
	v_div_fixup_f64 v[154:155], v[150:151], v[148:149], 1.0
                                        ; implicit-def: $vgpr148_vgpr149
	s_delay_alu instid0(VALU_DEP_1)
	v_mul_f64 v[156:157], v[152:153], v[154:155]
	v_xor_b32_e32 v155, 0x80000000, v155
.LBB73_23:
	s_and_not1_saveexec_b32 s3, s3
	s_cbranch_execz .LBB73_25
; %bb.24:
	v_div_scale_f64 v[152:153], null, v[148:149], v[148:149], v[150:151]
	v_div_scale_f64 v[158:159], vcc_lo, v[150:151], v[148:149], v[150:151]
	s_delay_alu instid0(VALU_DEP_2) | instskip(SKIP_2) | instid1(VALU_DEP_1)
	v_rcp_f64_e32 v[154:155], v[152:153]
	s_waitcnt_depctr 0xfff
	v_fma_f64 v[156:157], -v[152:153], v[154:155], 1.0
	v_fma_f64 v[154:155], v[154:155], v[156:157], v[154:155]
	s_delay_alu instid0(VALU_DEP_1) | instskip(NEXT) | instid1(VALU_DEP_1)
	v_fma_f64 v[156:157], -v[152:153], v[154:155], 1.0
	v_fma_f64 v[154:155], v[154:155], v[156:157], v[154:155]
	s_delay_alu instid0(VALU_DEP_1) | instskip(NEXT) | instid1(VALU_DEP_1)
	v_mul_f64 v[156:157], v[158:159], v[154:155]
	v_fma_f64 v[152:153], -v[152:153], v[156:157], v[158:159]
	s_delay_alu instid0(VALU_DEP_1) | instskip(NEXT) | instid1(VALU_DEP_1)
	v_div_fmas_f64 v[152:153], v[152:153], v[154:155], v[156:157]
	v_div_fixup_f64 v[152:153], v[152:153], v[148:149], v[150:151]
	s_delay_alu instid0(VALU_DEP_1) | instskip(NEXT) | instid1(VALU_DEP_1)
	v_fma_f64 v[148:149], v[150:151], v[152:153], v[148:149]
	v_div_scale_f64 v[150:151], null, v[148:149], v[148:149], 1.0
	s_delay_alu instid0(VALU_DEP_1) | instskip(SKIP_2) | instid1(VALU_DEP_1)
	v_rcp_f64_e32 v[154:155], v[150:151]
	s_waitcnt_depctr 0xfff
	v_fma_f64 v[156:157], -v[150:151], v[154:155], 1.0
	v_fma_f64 v[154:155], v[154:155], v[156:157], v[154:155]
	s_delay_alu instid0(VALU_DEP_1) | instskip(NEXT) | instid1(VALU_DEP_1)
	v_fma_f64 v[156:157], -v[150:151], v[154:155], 1.0
	v_fma_f64 v[154:155], v[154:155], v[156:157], v[154:155]
	v_div_scale_f64 v[156:157], vcc_lo, 1.0, v[148:149], 1.0
	s_delay_alu instid0(VALU_DEP_1) | instskip(NEXT) | instid1(VALU_DEP_1)
	v_mul_f64 v[158:159], v[156:157], v[154:155]
	v_fma_f64 v[150:151], -v[150:151], v[158:159], v[156:157]
	s_delay_alu instid0(VALU_DEP_1) | instskip(NEXT) | instid1(VALU_DEP_1)
	v_div_fmas_f64 v[150:151], v[150:151], v[154:155], v[158:159]
	v_div_fixup_f64 v[156:157], v[150:151], v[148:149], 1.0
	s_delay_alu instid0(VALU_DEP_1)
	v_mul_f64 v[154:155], v[152:153], -v[156:157]
.LBB73_25:
	s_or_b32 exec_lo, exec_lo, s3
	ds_store_2addr_b64 v189, v[156:157], v[154:155] offset1:1
.LBB73_26:
	s_or_b32 exec_lo, exec_lo, s4
	s_waitcnt lgkmcnt(0)
	s_barrier
	buffer_gl0_inv
	ds_load_2addr_b64 v[148:151], v189 offset1:1
	s_mov_b32 s3, exec_lo
	s_waitcnt lgkmcnt(0)
	scratch_store_b128 off, v[148:151], off offset:88 ; 16-byte Folded Spill
	v_cmpx_lt_u32_e32 2, v188
	s_cbranch_execz .LBB73_28
; %bb.27:
	scratch_load_b128 v[150:153], off, off offset:88 ; 16-byte Folded Reload
	s_waitcnt vmcnt(0)
	v_mul_f64 v[148:149], v[152:153], v[138:139]
	v_mul_f64 v[138:139], v[150:151], v[138:139]
	s_delay_alu instid0(VALU_DEP_2) | instskip(NEXT) | instid1(VALU_DEP_2)
	v_fma_f64 v[148:149], v[150:151], v[136:137], -v[148:149]
	v_fma_f64 v[138:139], v[152:153], v[136:137], v[138:139]
	ds_load_2addr_b64 v[150:153], v192 offset0:6 offset1:7
	s_waitcnt lgkmcnt(0)
	v_mul_f64 v[136:137], v[152:153], v[138:139]
	s_delay_alu instid0(VALU_DEP_1) | instskip(SKIP_1) | instid1(VALU_DEP_2)
	v_fma_f64 v[136:137], v[150:151], v[148:149], -v[136:137]
	v_mul_f64 v[150:151], v[150:151], v[138:139]
	v_add_f64 v[132:133], v[132:133], -v[136:137]
	s_delay_alu instid0(VALU_DEP_2) | instskip(NEXT) | instid1(VALU_DEP_1)
	v_fma_f64 v[150:151], v[152:153], v[148:149], v[150:151]
	v_add_f64 v[134:135], v[134:135], -v[150:151]
	ds_load_2addr_b64 v[150:153], v192 offset0:8 offset1:9
	s_waitcnt lgkmcnt(0)
	v_mul_f64 v[136:137], v[152:153], v[138:139]
	s_delay_alu instid0(VALU_DEP_1) | instskip(SKIP_1) | instid1(VALU_DEP_2)
	v_fma_f64 v[136:137], v[150:151], v[148:149], -v[136:137]
	v_mul_f64 v[150:151], v[150:151], v[138:139]
	v_add_f64 v[128:129], v[128:129], -v[136:137]
	s_delay_alu instid0(VALU_DEP_2) | instskip(NEXT) | instid1(VALU_DEP_1)
	v_fma_f64 v[150:151], v[152:153], v[148:149], v[150:151]
	v_add_f64 v[130:131], v[130:131], -v[150:151]
	;; [unrolled: 10-line block ×33, first 2 shown]
	ds_load_2addr_b64 v[150:153], v192 offset0:72 offset1:73
	s_waitcnt lgkmcnt(0)
	v_mul_f64 v[136:137], v[152:153], v[138:139]
	s_delay_alu instid0(VALU_DEP_1) | instskip(SKIP_1) | instid1(VALU_DEP_2)
	v_fma_f64 v[136:137], v[150:151], v[148:149], -v[136:137]
	v_mul_f64 v[150:151], v[150:151], v[138:139]
	v_add_f64 v[0:1], v[0:1], -v[136:137]
	s_delay_alu instid0(VALU_DEP_2) | instskip(SKIP_1) | instid1(VALU_DEP_2)
	v_fma_f64 v[150:151], v[152:153], v[148:149], v[150:151]
	v_dual_mov_b32 v136, v148 :: v_dual_mov_b32 v137, v149
	v_add_f64 v[2:3], v[2:3], -v[150:151]
.LBB73_28:
	s_or_b32 exec_lo, exec_lo, s3
	s_delay_alu instid0(SALU_CYCLE_1)
	s_mov_b32 s4, exec_lo
	s_waitcnt_vscnt null, 0x0
	s_barrier
	buffer_gl0_inv
	v_cmpx_eq_u32_e32 3, v188
	s_cbranch_execz .LBB73_35
; %bb.29:
	ds_store_2addr_b64 v189, v[132:133], v[134:135] offset1:1
	ds_store_2addr_b64 v192, v[128:129], v[130:131] offset0:8 offset1:9
	ds_store_2addr_b64 v192, v[124:125], v[126:127] offset0:10 offset1:11
	;; [unrolled: 1-line block ×33, first 2 shown]
	ds_load_2addr_b64 v[148:151], v189 offset1:1
	s_waitcnt lgkmcnt(0)
	v_cmp_neq_f64_e32 vcc_lo, 0, v[148:149]
	v_cmp_neq_f64_e64 s3, 0, v[150:151]
	s_delay_alu instid0(VALU_DEP_1) | instskip(NEXT) | instid1(SALU_CYCLE_1)
	s_or_b32 s3, vcc_lo, s3
	s_and_b32 exec_lo, exec_lo, s3
	s_cbranch_execz .LBB73_35
; %bb.30:
	v_cmp_gt_f64_e32 vcc_lo, 0, v[148:149]
	v_cmp_gt_f64_e64 s3, 0, v[150:151]
	v_xor_b32_e32 v152, 0x80000000, v149
	v_xor_b32_e32 v154, 0x80000000, v151
                                        ; implicit-def: $vgpr156_vgpr157
	s_delay_alu instid0(VALU_DEP_2) | instskip(NEXT) | instid1(VALU_DEP_2)
	v_cndmask_b32_e32 v153, v149, v152, vcc_lo
	v_cndmask_b32_e64 v155, v151, v154, s3
	v_cndmask_b32_e32 v152, v148, v148, vcc_lo
	v_cndmask_b32_e64 v154, v150, v150, s3
	s_mov_b32 s3, exec_lo
	s_delay_alu instid0(VALU_DEP_1)
	v_cmpx_ngt_f64_e32 v[152:153], v[154:155]
	s_xor_b32 s3, exec_lo, s3
                                        ; implicit-def: $vgpr152_vgpr153_vgpr154_vgpr155
	s_cbranch_execz .LBB73_32
; %bb.31:
	v_div_scale_f64 v[152:153], null, v[150:151], v[150:151], v[148:149]
	v_div_scale_f64 v[158:159], vcc_lo, v[148:149], v[150:151], v[148:149]
	s_delay_alu instid0(VALU_DEP_2) | instskip(SKIP_2) | instid1(VALU_DEP_1)
	v_rcp_f64_e32 v[154:155], v[152:153]
	s_waitcnt_depctr 0xfff
	v_fma_f64 v[156:157], -v[152:153], v[154:155], 1.0
	v_fma_f64 v[154:155], v[154:155], v[156:157], v[154:155]
	s_delay_alu instid0(VALU_DEP_1) | instskip(NEXT) | instid1(VALU_DEP_1)
	v_fma_f64 v[156:157], -v[152:153], v[154:155], 1.0
	v_fma_f64 v[154:155], v[154:155], v[156:157], v[154:155]
	s_delay_alu instid0(VALU_DEP_1) | instskip(NEXT) | instid1(VALU_DEP_1)
	v_mul_f64 v[156:157], v[158:159], v[154:155]
	v_fma_f64 v[152:153], -v[152:153], v[156:157], v[158:159]
	s_delay_alu instid0(VALU_DEP_1) | instskip(NEXT) | instid1(VALU_DEP_1)
	v_div_fmas_f64 v[152:153], v[152:153], v[154:155], v[156:157]
	v_div_fixup_f64 v[152:153], v[152:153], v[150:151], v[148:149]
	s_delay_alu instid0(VALU_DEP_1) | instskip(NEXT) | instid1(VALU_DEP_1)
	v_fma_f64 v[148:149], v[148:149], v[152:153], v[150:151]
	v_div_scale_f64 v[150:151], null, v[148:149], v[148:149], 1.0
	s_delay_alu instid0(VALU_DEP_1) | instskip(SKIP_2) | instid1(VALU_DEP_1)
	v_rcp_f64_e32 v[154:155], v[150:151]
	s_waitcnt_depctr 0xfff
	v_fma_f64 v[156:157], -v[150:151], v[154:155], 1.0
	v_fma_f64 v[154:155], v[154:155], v[156:157], v[154:155]
	s_delay_alu instid0(VALU_DEP_1) | instskip(NEXT) | instid1(VALU_DEP_1)
	v_fma_f64 v[156:157], -v[150:151], v[154:155], 1.0
	v_fma_f64 v[154:155], v[154:155], v[156:157], v[154:155]
	v_div_scale_f64 v[156:157], vcc_lo, 1.0, v[148:149], 1.0
	s_delay_alu instid0(VALU_DEP_1) | instskip(NEXT) | instid1(VALU_DEP_1)
	v_mul_f64 v[158:159], v[156:157], v[154:155]
	v_fma_f64 v[150:151], -v[150:151], v[158:159], v[156:157]
	s_delay_alu instid0(VALU_DEP_1) | instskip(NEXT) | instid1(VALU_DEP_1)
	v_div_fmas_f64 v[150:151], v[150:151], v[154:155], v[158:159]
	v_div_fixup_f64 v[154:155], v[150:151], v[148:149], 1.0
                                        ; implicit-def: $vgpr148_vgpr149
	s_delay_alu instid0(VALU_DEP_1)
	v_mul_f64 v[156:157], v[152:153], v[154:155]
	v_xor_b32_e32 v155, 0x80000000, v155
.LBB73_32:
	s_and_not1_saveexec_b32 s3, s3
	s_cbranch_execz .LBB73_34
; %bb.33:
	v_div_scale_f64 v[152:153], null, v[148:149], v[148:149], v[150:151]
	v_div_scale_f64 v[158:159], vcc_lo, v[150:151], v[148:149], v[150:151]
	s_delay_alu instid0(VALU_DEP_2) | instskip(SKIP_2) | instid1(VALU_DEP_1)
	v_rcp_f64_e32 v[154:155], v[152:153]
	s_waitcnt_depctr 0xfff
	v_fma_f64 v[156:157], -v[152:153], v[154:155], 1.0
	v_fma_f64 v[154:155], v[154:155], v[156:157], v[154:155]
	s_delay_alu instid0(VALU_DEP_1) | instskip(NEXT) | instid1(VALU_DEP_1)
	v_fma_f64 v[156:157], -v[152:153], v[154:155], 1.0
	v_fma_f64 v[154:155], v[154:155], v[156:157], v[154:155]
	s_delay_alu instid0(VALU_DEP_1) | instskip(NEXT) | instid1(VALU_DEP_1)
	v_mul_f64 v[156:157], v[158:159], v[154:155]
	v_fma_f64 v[152:153], -v[152:153], v[156:157], v[158:159]
	s_delay_alu instid0(VALU_DEP_1) | instskip(NEXT) | instid1(VALU_DEP_1)
	v_div_fmas_f64 v[152:153], v[152:153], v[154:155], v[156:157]
	v_div_fixup_f64 v[152:153], v[152:153], v[148:149], v[150:151]
	s_delay_alu instid0(VALU_DEP_1) | instskip(NEXT) | instid1(VALU_DEP_1)
	v_fma_f64 v[148:149], v[150:151], v[152:153], v[148:149]
	v_div_scale_f64 v[150:151], null, v[148:149], v[148:149], 1.0
	s_delay_alu instid0(VALU_DEP_1) | instskip(SKIP_2) | instid1(VALU_DEP_1)
	v_rcp_f64_e32 v[154:155], v[150:151]
	s_waitcnt_depctr 0xfff
	v_fma_f64 v[156:157], -v[150:151], v[154:155], 1.0
	v_fma_f64 v[154:155], v[154:155], v[156:157], v[154:155]
	s_delay_alu instid0(VALU_DEP_1) | instskip(NEXT) | instid1(VALU_DEP_1)
	v_fma_f64 v[156:157], -v[150:151], v[154:155], 1.0
	v_fma_f64 v[154:155], v[154:155], v[156:157], v[154:155]
	v_div_scale_f64 v[156:157], vcc_lo, 1.0, v[148:149], 1.0
	s_delay_alu instid0(VALU_DEP_1) | instskip(NEXT) | instid1(VALU_DEP_1)
	v_mul_f64 v[158:159], v[156:157], v[154:155]
	v_fma_f64 v[150:151], -v[150:151], v[158:159], v[156:157]
	s_delay_alu instid0(VALU_DEP_1) | instskip(NEXT) | instid1(VALU_DEP_1)
	v_div_fmas_f64 v[150:151], v[150:151], v[154:155], v[158:159]
	v_div_fixup_f64 v[156:157], v[150:151], v[148:149], 1.0
	s_delay_alu instid0(VALU_DEP_1)
	v_mul_f64 v[154:155], v[152:153], -v[156:157]
.LBB73_34:
	s_or_b32 exec_lo, exec_lo, s3
	ds_store_2addr_b64 v189, v[156:157], v[154:155] offset1:1
.LBB73_35:
	s_or_b32 exec_lo, exec_lo, s4
	s_waitcnt lgkmcnt(0)
	s_barrier
	buffer_gl0_inv
	ds_load_2addr_b64 v[148:151], v189 offset1:1
	s_mov_b32 s3, exec_lo
	s_waitcnt lgkmcnt(0)
	scratch_store_b128 off, v[148:151], off offset:104 ; 16-byte Folded Spill
	v_cmpx_lt_u32_e32 3, v188
	s_cbranch_execz .LBB73_37
; %bb.36:
	scratch_load_b128 v[150:153], off, off offset:104 ; 16-byte Folded Reload
	s_waitcnt vmcnt(0)
	v_mul_f64 v[148:149], v[152:153], v[134:135]
	v_mul_f64 v[134:135], v[150:151], v[134:135]
	s_delay_alu instid0(VALU_DEP_2) | instskip(NEXT) | instid1(VALU_DEP_2)
	v_fma_f64 v[148:149], v[150:151], v[132:133], -v[148:149]
	v_fma_f64 v[134:135], v[152:153], v[132:133], v[134:135]
	ds_load_2addr_b64 v[150:153], v192 offset0:8 offset1:9
	s_waitcnt lgkmcnt(0)
	v_mul_f64 v[132:133], v[152:153], v[134:135]
	s_delay_alu instid0(VALU_DEP_1) | instskip(SKIP_1) | instid1(VALU_DEP_2)
	v_fma_f64 v[132:133], v[150:151], v[148:149], -v[132:133]
	v_mul_f64 v[150:151], v[150:151], v[134:135]
	v_add_f64 v[128:129], v[128:129], -v[132:133]
	s_delay_alu instid0(VALU_DEP_2) | instskip(NEXT) | instid1(VALU_DEP_1)
	v_fma_f64 v[150:151], v[152:153], v[148:149], v[150:151]
	v_add_f64 v[130:131], v[130:131], -v[150:151]
	ds_load_2addr_b64 v[150:153], v192 offset0:10 offset1:11
	s_waitcnt lgkmcnt(0)
	v_mul_f64 v[132:133], v[152:153], v[134:135]
	s_delay_alu instid0(VALU_DEP_1) | instskip(SKIP_1) | instid1(VALU_DEP_2)
	v_fma_f64 v[132:133], v[150:151], v[148:149], -v[132:133]
	v_mul_f64 v[150:151], v[150:151], v[134:135]
	v_add_f64 v[124:125], v[124:125], -v[132:133]
	s_delay_alu instid0(VALU_DEP_2) | instskip(NEXT) | instid1(VALU_DEP_1)
	v_fma_f64 v[150:151], v[152:153], v[148:149], v[150:151]
	v_add_f64 v[126:127], v[126:127], -v[150:151]
	;; [unrolled: 10-line block ×32, first 2 shown]
	ds_load_2addr_b64 v[150:153], v192 offset0:72 offset1:73
	s_waitcnt lgkmcnt(0)
	v_mul_f64 v[132:133], v[152:153], v[134:135]
	s_delay_alu instid0(VALU_DEP_1) | instskip(SKIP_1) | instid1(VALU_DEP_2)
	v_fma_f64 v[132:133], v[150:151], v[148:149], -v[132:133]
	v_mul_f64 v[150:151], v[150:151], v[134:135]
	v_add_f64 v[0:1], v[0:1], -v[132:133]
	s_delay_alu instid0(VALU_DEP_2) | instskip(SKIP_1) | instid1(VALU_DEP_2)
	v_fma_f64 v[150:151], v[152:153], v[148:149], v[150:151]
	v_dual_mov_b32 v132, v148 :: v_dual_mov_b32 v133, v149
	v_add_f64 v[2:3], v[2:3], -v[150:151]
.LBB73_37:
	s_or_b32 exec_lo, exec_lo, s3
	s_delay_alu instid0(SALU_CYCLE_1)
	s_mov_b32 s4, exec_lo
	s_waitcnt_vscnt null, 0x0
	s_barrier
	buffer_gl0_inv
	v_cmpx_eq_u32_e32 4, v188
	s_cbranch_execz .LBB73_44
; %bb.38:
	ds_store_2addr_b64 v189, v[128:129], v[130:131] offset1:1
	ds_store_2addr_b64 v192, v[124:125], v[126:127] offset0:10 offset1:11
	ds_store_2addr_b64 v192, v[120:121], v[122:123] offset0:12 offset1:13
	;; [unrolled: 1-line block ×32, first 2 shown]
	ds_load_2addr_b64 v[148:151], v189 offset1:1
	s_waitcnt lgkmcnt(0)
	v_cmp_neq_f64_e32 vcc_lo, 0, v[148:149]
	v_cmp_neq_f64_e64 s3, 0, v[150:151]
	s_delay_alu instid0(VALU_DEP_1) | instskip(NEXT) | instid1(SALU_CYCLE_1)
	s_or_b32 s3, vcc_lo, s3
	s_and_b32 exec_lo, exec_lo, s3
	s_cbranch_execz .LBB73_44
; %bb.39:
	v_cmp_gt_f64_e32 vcc_lo, 0, v[148:149]
	v_cmp_gt_f64_e64 s3, 0, v[150:151]
	v_xor_b32_e32 v152, 0x80000000, v149
	v_xor_b32_e32 v154, 0x80000000, v151
                                        ; implicit-def: $vgpr156_vgpr157
	s_delay_alu instid0(VALU_DEP_2) | instskip(NEXT) | instid1(VALU_DEP_2)
	v_cndmask_b32_e32 v153, v149, v152, vcc_lo
	v_cndmask_b32_e64 v155, v151, v154, s3
	v_cndmask_b32_e32 v152, v148, v148, vcc_lo
	v_cndmask_b32_e64 v154, v150, v150, s3
	s_mov_b32 s3, exec_lo
	s_delay_alu instid0(VALU_DEP_1)
	v_cmpx_ngt_f64_e32 v[152:153], v[154:155]
	s_xor_b32 s3, exec_lo, s3
                                        ; implicit-def: $vgpr152_vgpr153_vgpr154_vgpr155
	s_cbranch_execz .LBB73_41
; %bb.40:
	v_div_scale_f64 v[152:153], null, v[150:151], v[150:151], v[148:149]
	v_div_scale_f64 v[158:159], vcc_lo, v[148:149], v[150:151], v[148:149]
	s_delay_alu instid0(VALU_DEP_2) | instskip(SKIP_2) | instid1(VALU_DEP_1)
	v_rcp_f64_e32 v[154:155], v[152:153]
	s_waitcnt_depctr 0xfff
	v_fma_f64 v[156:157], -v[152:153], v[154:155], 1.0
	v_fma_f64 v[154:155], v[154:155], v[156:157], v[154:155]
	s_delay_alu instid0(VALU_DEP_1) | instskip(NEXT) | instid1(VALU_DEP_1)
	v_fma_f64 v[156:157], -v[152:153], v[154:155], 1.0
	v_fma_f64 v[154:155], v[154:155], v[156:157], v[154:155]
	s_delay_alu instid0(VALU_DEP_1) | instskip(NEXT) | instid1(VALU_DEP_1)
	v_mul_f64 v[156:157], v[158:159], v[154:155]
	v_fma_f64 v[152:153], -v[152:153], v[156:157], v[158:159]
	s_delay_alu instid0(VALU_DEP_1) | instskip(NEXT) | instid1(VALU_DEP_1)
	v_div_fmas_f64 v[152:153], v[152:153], v[154:155], v[156:157]
	v_div_fixup_f64 v[152:153], v[152:153], v[150:151], v[148:149]
	s_delay_alu instid0(VALU_DEP_1) | instskip(NEXT) | instid1(VALU_DEP_1)
	v_fma_f64 v[148:149], v[148:149], v[152:153], v[150:151]
	v_div_scale_f64 v[150:151], null, v[148:149], v[148:149], 1.0
	s_delay_alu instid0(VALU_DEP_1) | instskip(SKIP_2) | instid1(VALU_DEP_1)
	v_rcp_f64_e32 v[154:155], v[150:151]
	s_waitcnt_depctr 0xfff
	v_fma_f64 v[156:157], -v[150:151], v[154:155], 1.0
	v_fma_f64 v[154:155], v[154:155], v[156:157], v[154:155]
	s_delay_alu instid0(VALU_DEP_1) | instskip(NEXT) | instid1(VALU_DEP_1)
	v_fma_f64 v[156:157], -v[150:151], v[154:155], 1.0
	v_fma_f64 v[154:155], v[154:155], v[156:157], v[154:155]
	v_div_scale_f64 v[156:157], vcc_lo, 1.0, v[148:149], 1.0
	s_delay_alu instid0(VALU_DEP_1) | instskip(NEXT) | instid1(VALU_DEP_1)
	v_mul_f64 v[158:159], v[156:157], v[154:155]
	v_fma_f64 v[150:151], -v[150:151], v[158:159], v[156:157]
	s_delay_alu instid0(VALU_DEP_1) | instskip(NEXT) | instid1(VALU_DEP_1)
	v_div_fmas_f64 v[150:151], v[150:151], v[154:155], v[158:159]
	v_div_fixup_f64 v[154:155], v[150:151], v[148:149], 1.0
                                        ; implicit-def: $vgpr148_vgpr149
	s_delay_alu instid0(VALU_DEP_1)
	v_mul_f64 v[156:157], v[152:153], v[154:155]
	v_xor_b32_e32 v155, 0x80000000, v155
.LBB73_41:
	s_and_not1_saveexec_b32 s3, s3
	s_cbranch_execz .LBB73_43
; %bb.42:
	v_div_scale_f64 v[152:153], null, v[148:149], v[148:149], v[150:151]
	v_div_scale_f64 v[158:159], vcc_lo, v[150:151], v[148:149], v[150:151]
	s_delay_alu instid0(VALU_DEP_2) | instskip(SKIP_2) | instid1(VALU_DEP_1)
	v_rcp_f64_e32 v[154:155], v[152:153]
	s_waitcnt_depctr 0xfff
	v_fma_f64 v[156:157], -v[152:153], v[154:155], 1.0
	v_fma_f64 v[154:155], v[154:155], v[156:157], v[154:155]
	s_delay_alu instid0(VALU_DEP_1) | instskip(NEXT) | instid1(VALU_DEP_1)
	v_fma_f64 v[156:157], -v[152:153], v[154:155], 1.0
	v_fma_f64 v[154:155], v[154:155], v[156:157], v[154:155]
	s_delay_alu instid0(VALU_DEP_1) | instskip(NEXT) | instid1(VALU_DEP_1)
	v_mul_f64 v[156:157], v[158:159], v[154:155]
	v_fma_f64 v[152:153], -v[152:153], v[156:157], v[158:159]
	s_delay_alu instid0(VALU_DEP_1) | instskip(NEXT) | instid1(VALU_DEP_1)
	v_div_fmas_f64 v[152:153], v[152:153], v[154:155], v[156:157]
	v_div_fixup_f64 v[152:153], v[152:153], v[148:149], v[150:151]
	s_delay_alu instid0(VALU_DEP_1) | instskip(NEXT) | instid1(VALU_DEP_1)
	v_fma_f64 v[148:149], v[150:151], v[152:153], v[148:149]
	v_div_scale_f64 v[150:151], null, v[148:149], v[148:149], 1.0
	s_delay_alu instid0(VALU_DEP_1) | instskip(SKIP_2) | instid1(VALU_DEP_1)
	v_rcp_f64_e32 v[154:155], v[150:151]
	s_waitcnt_depctr 0xfff
	v_fma_f64 v[156:157], -v[150:151], v[154:155], 1.0
	v_fma_f64 v[154:155], v[154:155], v[156:157], v[154:155]
	s_delay_alu instid0(VALU_DEP_1) | instskip(NEXT) | instid1(VALU_DEP_1)
	v_fma_f64 v[156:157], -v[150:151], v[154:155], 1.0
	v_fma_f64 v[154:155], v[154:155], v[156:157], v[154:155]
	v_div_scale_f64 v[156:157], vcc_lo, 1.0, v[148:149], 1.0
	s_delay_alu instid0(VALU_DEP_1) | instskip(NEXT) | instid1(VALU_DEP_1)
	v_mul_f64 v[158:159], v[156:157], v[154:155]
	v_fma_f64 v[150:151], -v[150:151], v[158:159], v[156:157]
	s_delay_alu instid0(VALU_DEP_1) | instskip(NEXT) | instid1(VALU_DEP_1)
	v_div_fmas_f64 v[150:151], v[150:151], v[154:155], v[158:159]
	v_div_fixup_f64 v[156:157], v[150:151], v[148:149], 1.0
	s_delay_alu instid0(VALU_DEP_1)
	v_mul_f64 v[154:155], v[152:153], -v[156:157]
.LBB73_43:
	s_or_b32 exec_lo, exec_lo, s3
	ds_store_2addr_b64 v189, v[156:157], v[154:155] offset1:1
.LBB73_44:
	s_or_b32 exec_lo, exec_lo, s4
	s_waitcnt lgkmcnt(0)
	s_barrier
	buffer_gl0_inv
	ds_load_2addr_b64 v[148:151], v189 offset1:1
	s_mov_b32 s3, exec_lo
	s_waitcnt lgkmcnt(0)
	scratch_store_b128 off, v[148:151], off offset:120 ; 16-byte Folded Spill
	v_cmpx_lt_u32_e32 4, v188
	s_cbranch_execz .LBB73_46
; %bb.45:
	scratch_load_b128 v[150:153], off, off offset:120 ; 16-byte Folded Reload
	s_waitcnt vmcnt(0)
	v_mul_f64 v[148:149], v[152:153], v[130:131]
	v_mul_f64 v[130:131], v[150:151], v[130:131]
	s_delay_alu instid0(VALU_DEP_2) | instskip(NEXT) | instid1(VALU_DEP_2)
	v_fma_f64 v[148:149], v[150:151], v[128:129], -v[148:149]
	v_fma_f64 v[130:131], v[152:153], v[128:129], v[130:131]
	ds_load_2addr_b64 v[150:153], v192 offset0:10 offset1:11
	s_waitcnt lgkmcnt(0)
	v_mul_f64 v[128:129], v[152:153], v[130:131]
	s_delay_alu instid0(VALU_DEP_1) | instskip(SKIP_1) | instid1(VALU_DEP_2)
	v_fma_f64 v[128:129], v[150:151], v[148:149], -v[128:129]
	v_mul_f64 v[150:151], v[150:151], v[130:131]
	v_add_f64 v[124:125], v[124:125], -v[128:129]
	s_delay_alu instid0(VALU_DEP_2) | instskip(NEXT) | instid1(VALU_DEP_1)
	v_fma_f64 v[150:151], v[152:153], v[148:149], v[150:151]
	v_add_f64 v[126:127], v[126:127], -v[150:151]
	ds_load_2addr_b64 v[150:153], v192 offset0:12 offset1:13
	s_waitcnt lgkmcnt(0)
	v_mul_f64 v[128:129], v[152:153], v[130:131]
	s_delay_alu instid0(VALU_DEP_1) | instskip(SKIP_1) | instid1(VALU_DEP_2)
	v_fma_f64 v[128:129], v[150:151], v[148:149], -v[128:129]
	v_mul_f64 v[150:151], v[150:151], v[130:131]
	v_add_f64 v[120:121], v[120:121], -v[128:129]
	s_delay_alu instid0(VALU_DEP_2) | instskip(NEXT) | instid1(VALU_DEP_1)
	v_fma_f64 v[150:151], v[152:153], v[148:149], v[150:151]
	v_add_f64 v[122:123], v[122:123], -v[150:151]
	;; [unrolled: 10-line block ×31, first 2 shown]
	ds_load_2addr_b64 v[150:153], v192 offset0:72 offset1:73
	s_waitcnt lgkmcnt(0)
	v_mul_f64 v[128:129], v[152:153], v[130:131]
	s_delay_alu instid0(VALU_DEP_1) | instskip(SKIP_1) | instid1(VALU_DEP_2)
	v_fma_f64 v[128:129], v[150:151], v[148:149], -v[128:129]
	v_mul_f64 v[150:151], v[150:151], v[130:131]
	v_add_f64 v[0:1], v[0:1], -v[128:129]
	s_delay_alu instid0(VALU_DEP_2) | instskip(SKIP_1) | instid1(VALU_DEP_2)
	v_fma_f64 v[150:151], v[152:153], v[148:149], v[150:151]
	v_dual_mov_b32 v128, v148 :: v_dual_mov_b32 v129, v149
	v_add_f64 v[2:3], v[2:3], -v[150:151]
.LBB73_46:
	s_or_b32 exec_lo, exec_lo, s3
	s_delay_alu instid0(SALU_CYCLE_1)
	s_mov_b32 s4, exec_lo
	s_waitcnt_vscnt null, 0x0
	s_barrier
	buffer_gl0_inv
	v_cmpx_eq_u32_e32 5, v188
	s_cbranch_execz .LBB73_53
; %bb.47:
	ds_store_2addr_b64 v189, v[124:125], v[126:127] offset1:1
	ds_store_2addr_b64 v192, v[120:121], v[122:123] offset0:12 offset1:13
	ds_store_2addr_b64 v192, v[116:117], v[118:119] offset0:14 offset1:15
	;; [unrolled: 1-line block ×31, first 2 shown]
	ds_load_2addr_b64 v[148:151], v189 offset1:1
	s_waitcnt lgkmcnt(0)
	v_cmp_neq_f64_e32 vcc_lo, 0, v[148:149]
	v_cmp_neq_f64_e64 s3, 0, v[150:151]
	s_delay_alu instid0(VALU_DEP_1) | instskip(NEXT) | instid1(SALU_CYCLE_1)
	s_or_b32 s3, vcc_lo, s3
	s_and_b32 exec_lo, exec_lo, s3
	s_cbranch_execz .LBB73_53
; %bb.48:
	v_cmp_gt_f64_e32 vcc_lo, 0, v[148:149]
	v_cmp_gt_f64_e64 s3, 0, v[150:151]
	v_xor_b32_e32 v152, 0x80000000, v149
	v_xor_b32_e32 v154, 0x80000000, v151
                                        ; implicit-def: $vgpr156_vgpr157
	s_delay_alu instid0(VALU_DEP_2) | instskip(NEXT) | instid1(VALU_DEP_2)
	v_cndmask_b32_e32 v153, v149, v152, vcc_lo
	v_cndmask_b32_e64 v155, v151, v154, s3
	v_cndmask_b32_e32 v152, v148, v148, vcc_lo
	v_cndmask_b32_e64 v154, v150, v150, s3
	s_mov_b32 s3, exec_lo
	s_delay_alu instid0(VALU_DEP_1)
	v_cmpx_ngt_f64_e32 v[152:153], v[154:155]
	s_xor_b32 s3, exec_lo, s3
                                        ; implicit-def: $vgpr152_vgpr153_vgpr154_vgpr155
	s_cbranch_execz .LBB73_50
; %bb.49:
	v_div_scale_f64 v[152:153], null, v[150:151], v[150:151], v[148:149]
	v_div_scale_f64 v[158:159], vcc_lo, v[148:149], v[150:151], v[148:149]
	s_delay_alu instid0(VALU_DEP_2) | instskip(SKIP_2) | instid1(VALU_DEP_1)
	v_rcp_f64_e32 v[154:155], v[152:153]
	s_waitcnt_depctr 0xfff
	v_fma_f64 v[156:157], -v[152:153], v[154:155], 1.0
	v_fma_f64 v[154:155], v[154:155], v[156:157], v[154:155]
	s_delay_alu instid0(VALU_DEP_1) | instskip(NEXT) | instid1(VALU_DEP_1)
	v_fma_f64 v[156:157], -v[152:153], v[154:155], 1.0
	v_fma_f64 v[154:155], v[154:155], v[156:157], v[154:155]
	s_delay_alu instid0(VALU_DEP_1) | instskip(NEXT) | instid1(VALU_DEP_1)
	v_mul_f64 v[156:157], v[158:159], v[154:155]
	v_fma_f64 v[152:153], -v[152:153], v[156:157], v[158:159]
	s_delay_alu instid0(VALU_DEP_1) | instskip(NEXT) | instid1(VALU_DEP_1)
	v_div_fmas_f64 v[152:153], v[152:153], v[154:155], v[156:157]
	v_div_fixup_f64 v[152:153], v[152:153], v[150:151], v[148:149]
	s_delay_alu instid0(VALU_DEP_1) | instskip(NEXT) | instid1(VALU_DEP_1)
	v_fma_f64 v[148:149], v[148:149], v[152:153], v[150:151]
	v_div_scale_f64 v[150:151], null, v[148:149], v[148:149], 1.0
	s_delay_alu instid0(VALU_DEP_1) | instskip(SKIP_2) | instid1(VALU_DEP_1)
	v_rcp_f64_e32 v[154:155], v[150:151]
	s_waitcnt_depctr 0xfff
	v_fma_f64 v[156:157], -v[150:151], v[154:155], 1.0
	v_fma_f64 v[154:155], v[154:155], v[156:157], v[154:155]
	s_delay_alu instid0(VALU_DEP_1) | instskip(NEXT) | instid1(VALU_DEP_1)
	v_fma_f64 v[156:157], -v[150:151], v[154:155], 1.0
	v_fma_f64 v[154:155], v[154:155], v[156:157], v[154:155]
	v_div_scale_f64 v[156:157], vcc_lo, 1.0, v[148:149], 1.0
	s_delay_alu instid0(VALU_DEP_1) | instskip(NEXT) | instid1(VALU_DEP_1)
	v_mul_f64 v[158:159], v[156:157], v[154:155]
	v_fma_f64 v[150:151], -v[150:151], v[158:159], v[156:157]
	s_delay_alu instid0(VALU_DEP_1) | instskip(NEXT) | instid1(VALU_DEP_1)
	v_div_fmas_f64 v[150:151], v[150:151], v[154:155], v[158:159]
	v_div_fixup_f64 v[154:155], v[150:151], v[148:149], 1.0
                                        ; implicit-def: $vgpr148_vgpr149
	s_delay_alu instid0(VALU_DEP_1)
	v_mul_f64 v[156:157], v[152:153], v[154:155]
	v_xor_b32_e32 v155, 0x80000000, v155
.LBB73_50:
	s_and_not1_saveexec_b32 s3, s3
	s_cbranch_execz .LBB73_52
; %bb.51:
	v_div_scale_f64 v[152:153], null, v[148:149], v[148:149], v[150:151]
	v_div_scale_f64 v[158:159], vcc_lo, v[150:151], v[148:149], v[150:151]
	s_delay_alu instid0(VALU_DEP_2) | instskip(SKIP_2) | instid1(VALU_DEP_1)
	v_rcp_f64_e32 v[154:155], v[152:153]
	s_waitcnt_depctr 0xfff
	v_fma_f64 v[156:157], -v[152:153], v[154:155], 1.0
	v_fma_f64 v[154:155], v[154:155], v[156:157], v[154:155]
	s_delay_alu instid0(VALU_DEP_1) | instskip(NEXT) | instid1(VALU_DEP_1)
	v_fma_f64 v[156:157], -v[152:153], v[154:155], 1.0
	v_fma_f64 v[154:155], v[154:155], v[156:157], v[154:155]
	s_delay_alu instid0(VALU_DEP_1) | instskip(NEXT) | instid1(VALU_DEP_1)
	v_mul_f64 v[156:157], v[158:159], v[154:155]
	v_fma_f64 v[152:153], -v[152:153], v[156:157], v[158:159]
	s_delay_alu instid0(VALU_DEP_1) | instskip(NEXT) | instid1(VALU_DEP_1)
	v_div_fmas_f64 v[152:153], v[152:153], v[154:155], v[156:157]
	v_div_fixup_f64 v[152:153], v[152:153], v[148:149], v[150:151]
	s_delay_alu instid0(VALU_DEP_1) | instskip(NEXT) | instid1(VALU_DEP_1)
	v_fma_f64 v[148:149], v[150:151], v[152:153], v[148:149]
	v_div_scale_f64 v[150:151], null, v[148:149], v[148:149], 1.0
	s_delay_alu instid0(VALU_DEP_1) | instskip(SKIP_2) | instid1(VALU_DEP_1)
	v_rcp_f64_e32 v[154:155], v[150:151]
	s_waitcnt_depctr 0xfff
	v_fma_f64 v[156:157], -v[150:151], v[154:155], 1.0
	v_fma_f64 v[154:155], v[154:155], v[156:157], v[154:155]
	s_delay_alu instid0(VALU_DEP_1) | instskip(NEXT) | instid1(VALU_DEP_1)
	v_fma_f64 v[156:157], -v[150:151], v[154:155], 1.0
	v_fma_f64 v[154:155], v[154:155], v[156:157], v[154:155]
	v_div_scale_f64 v[156:157], vcc_lo, 1.0, v[148:149], 1.0
	s_delay_alu instid0(VALU_DEP_1) | instskip(NEXT) | instid1(VALU_DEP_1)
	v_mul_f64 v[158:159], v[156:157], v[154:155]
	v_fma_f64 v[150:151], -v[150:151], v[158:159], v[156:157]
	s_delay_alu instid0(VALU_DEP_1) | instskip(NEXT) | instid1(VALU_DEP_1)
	v_div_fmas_f64 v[150:151], v[150:151], v[154:155], v[158:159]
	v_div_fixup_f64 v[156:157], v[150:151], v[148:149], 1.0
	s_delay_alu instid0(VALU_DEP_1)
	v_mul_f64 v[154:155], v[152:153], -v[156:157]
.LBB73_52:
	s_or_b32 exec_lo, exec_lo, s3
	ds_store_2addr_b64 v189, v[156:157], v[154:155] offset1:1
.LBB73_53:
	s_or_b32 exec_lo, exec_lo, s4
	s_waitcnt lgkmcnt(0)
	s_barrier
	buffer_gl0_inv
	ds_load_2addr_b64 v[148:151], v189 offset1:1
	s_mov_b32 s3, exec_lo
	s_waitcnt lgkmcnt(0)
	scratch_store_b128 off, v[148:151], off offset:136 ; 16-byte Folded Spill
	v_cmpx_lt_u32_e32 5, v188
	s_cbranch_execz .LBB73_55
; %bb.54:
	scratch_load_b128 v[150:153], off, off offset:136 ; 16-byte Folded Reload
	s_waitcnt vmcnt(0)
	v_mul_f64 v[148:149], v[152:153], v[126:127]
	v_mul_f64 v[126:127], v[150:151], v[126:127]
	s_delay_alu instid0(VALU_DEP_2) | instskip(NEXT) | instid1(VALU_DEP_2)
	v_fma_f64 v[148:149], v[150:151], v[124:125], -v[148:149]
	v_fma_f64 v[126:127], v[152:153], v[124:125], v[126:127]
	ds_load_2addr_b64 v[150:153], v192 offset0:12 offset1:13
	s_waitcnt lgkmcnt(0)
	v_mul_f64 v[124:125], v[152:153], v[126:127]
	s_delay_alu instid0(VALU_DEP_1) | instskip(SKIP_1) | instid1(VALU_DEP_2)
	v_fma_f64 v[124:125], v[150:151], v[148:149], -v[124:125]
	v_mul_f64 v[150:151], v[150:151], v[126:127]
	v_add_f64 v[120:121], v[120:121], -v[124:125]
	s_delay_alu instid0(VALU_DEP_2) | instskip(NEXT) | instid1(VALU_DEP_1)
	v_fma_f64 v[150:151], v[152:153], v[148:149], v[150:151]
	v_add_f64 v[122:123], v[122:123], -v[150:151]
	ds_load_2addr_b64 v[150:153], v192 offset0:14 offset1:15
	s_waitcnt lgkmcnt(0)
	v_mul_f64 v[124:125], v[152:153], v[126:127]
	s_delay_alu instid0(VALU_DEP_1) | instskip(SKIP_1) | instid1(VALU_DEP_2)
	v_fma_f64 v[124:125], v[150:151], v[148:149], -v[124:125]
	v_mul_f64 v[150:151], v[150:151], v[126:127]
	v_add_f64 v[116:117], v[116:117], -v[124:125]
	s_delay_alu instid0(VALU_DEP_2) | instskip(NEXT) | instid1(VALU_DEP_1)
	v_fma_f64 v[150:151], v[152:153], v[148:149], v[150:151]
	v_add_f64 v[118:119], v[118:119], -v[150:151]
	;; [unrolled: 10-line block ×30, first 2 shown]
	ds_load_2addr_b64 v[150:153], v192 offset0:72 offset1:73
	s_waitcnt lgkmcnt(0)
	v_mul_f64 v[124:125], v[152:153], v[126:127]
	s_delay_alu instid0(VALU_DEP_1) | instskip(SKIP_1) | instid1(VALU_DEP_2)
	v_fma_f64 v[124:125], v[150:151], v[148:149], -v[124:125]
	v_mul_f64 v[150:151], v[150:151], v[126:127]
	v_add_f64 v[0:1], v[0:1], -v[124:125]
	s_delay_alu instid0(VALU_DEP_2) | instskip(SKIP_1) | instid1(VALU_DEP_2)
	v_fma_f64 v[150:151], v[152:153], v[148:149], v[150:151]
	v_dual_mov_b32 v124, v148 :: v_dual_mov_b32 v125, v149
	v_add_f64 v[2:3], v[2:3], -v[150:151]
.LBB73_55:
	s_or_b32 exec_lo, exec_lo, s3
	s_delay_alu instid0(SALU_CYCLE_1)
	s_mov_b32 s4, exec_lo
	s_waitcnt_vscnt null, 0x0
	s_barrier
	buffer_gl0_inv
	v_cmpx_eq_u32_e32 6, v188
	s_cbranch_execz .LBB73_62
; %bb.56:
	ds_store_2addr_b64 v189, v[120:121], v[122:123] offset1:1
	ds_store_2addr_b64 v192, v[116:117], v[118:119] offset0:14 offset1:15
	ds_store_2addr_b64 v192, v[112:113], v[114:115] offset0:16 offset1:17
	;; [unrolled: 1-line block ×30, first 2 shown]
	ds_load_2addr_b64 v[148:151], v189 offset1:1
	s_waitcnt lgkmcnt(0)
	v_cmp_neq_f64_e32 vcc_lo, 0, v[148:149]
	v_cmp_neq_f64_e64 s3, 0, v[150:151]
	s_delay_alu instid0(VALU_DEP_1) | instskip(NEXT) | instid1(SALU_CYCLE_1)
	s_or_b32 s3, vcc_lo, s3
	s_and_b32 exec_lo, exec_lo, s3
	s_cbranch_execz .LBB73_62
; %bb.57:
	v_cmp_gt_f64_e32 vcc_lo, 0, v[148:149]
	v_xor_b32_e32 v152, 0x80000000, v149
	v_xor_b32_e32 v154, 0x80000000, v151
	s_mov_b32 s3, exec_lo
                                        ; implicit-def: $vgpr156_vgpr157
	s_delay_alu instid0(VALU_DEP_2) | instskip(SKIP_4) | instid1(VALU_DEP_1)
	v_cndmask_b32_e32 v153, v149, v152, vcc_lo
	v_cndmask_b32_e32 v152, v148, v148, vcc_lo
	v_cmp_gt_f64_e32 vcc_lo, 0, v[150:151]
	v_cndmask_b32_e32 v155, v151, v154, vcc_lo
	v_cndmask_b32_e32 v154, v150, v150, vcc_lo
	v_cmpx_ngt_f64_e32 v[152:153], v[154:155]
	s_xor_b32 s3, exec_lo, s3
                                        ; implicit-def: $vgpr152_vgpr153_vgpr154_vgpr155
	s_cbranch_execz .LBB73_59
; %bb.58:
	v_div_scale_f64 v[152:153], null, v[150:151], v[150:151], v[148:149]
	v_div_scale_f64 v[158:159], vcc_lo, v[148:149], v[150:151], v[148:149]
	s_delay_alu instid0(VALU_DEP_2) | instskip(SKIP_2) | instid1(VALU_DEP_1)
	v_rcp_f64_e32 v[154:155], v[152:153]
	s_waitcnt_depctr 0xfff
	v_fma_f64 v[156:157], -v[152:153], v[154:155], 1.0
	v_fma_f64 v[154:155], v[154:155], v[156:157], v[154:155]
	s_delay_alu instid0(VALU_DEP_1) | instskip(NEXT) | instid1(VALU_DEP_1)
	v_fma_f64 v[156:157], -v[152:153], v[154:155], 1.0
	v_fma_f64 v[154:155], v[154:155], v[156:157], v[154:155]
	s_delay_alu instid0(VALU_DEP_1) | instskip(NEXT) | instid1(VALU_DEP_1)
	v_mul_f64 v[156:157], v[158:159], v[154:155]
	v_fma_f64 v[152:153], -v[152:153], v[156:157], v[158:159]
	s_delay_alu instid0(VALU_DEP_1) | instskip(NEXT) | instid1(VALU_DEP_1)
	v_div_fmas_f64 v[152:153], v[152:153], v[154:155], v[156:157]
	v_div_fixup_f64 v[152:153], v[152:153], v[150:151], v[148:149]
	s_delay_alu instid0(VALU_DEP_1) | instskip(NEXT) | instid1(VALU_DEP_1)
	v_fma_f64 v[148:149], v[148:149], v[152:153], v[150:151]
	v_div_scale_f64 v[150:151], null, v[148:149], v[148:149], 1.0
	s_delay_alu instid0(VALU_DEP_1) | instskip(SKIP_2) | instid1(VALU_DEP_1)
	v_rcp_f64_e32 v[154:155], v[150:151]
	s_waitcnt_depctr 0xfff
	v_fma_f64 v[156:157], -v[150:151], v[154:155], 1.0
	v_fma_f64 v[154:155], v[154:155], v[156:157], v[154:155]
	s_delay_alu instid0(VALU_DEP_1) | instskip(NEXT) | instid1(VALU_DEP_1)
	v_fma_f64 v[156:157], -v[150:151], v[154:155], 1.0
	v_fma_f64 v[154:155], v[154:155], v[156:157], v[154:155]
	v_div_scale_f64 v[156:157], vcc_lo, 1.0, v[148:149], 1.0
	s_delay_alu instid0(VALU_DEP_1) | instskip(NEXT) | instid1(VALU_DEP_1)
	v_mul_f64 v[158:159], v[156:157], v[154:155]
	v_fma_f64 v[150:151], -v[150:151], v[158:159], v[156:157]
	s_delay_alu instid0(VALU_DEP_1) | instskip(NEXT) | instid1(VALU_DEP_1)
	v_div_fmas_f64 v[150:151], v[150:151], v[154:155], v[158:159]
	v_div_fixup_f64 v[154:155], v[150:151], v[148:149], 1.0
                                        ; implicit-def: $vgpr148_vgpr149
	s_delay_alu instid0(VALU_DEP_1)
	v_mul_f64 v[156:157], v[152:153], v[154:155]
	v_xor_b32_e32 v155, 0x80000000, v155
.LBB73_59:
	s_and_not1_saveexec_b32 s3, s3
	s_cbranch_execz .LBB73_61
; %bb.60:
	v_div_scale_f64 v[152:153], null, v[148:149], v[148:149], v[150:151]
	v_div_scale_f64 v[158:159], vcc_lo, v[150:151], v[148:149], v[150:151]
	s_delay_alu instid0(VALU_DEP_2) | instskip(SKIP_2) | instid1(VALU_DEP_1)
	v_rcp_f64_e32 v[154:155], v[152:153]
	s_waitcnt_depctr 0xfff
	v_fma_f64 v[156:157], -v[152:153], v[154:155], 1.0
	v_fma_f64 v[154:155], v[154:155], v[156:157], v[154:155]
	s_delay_alu instid0(VALU_DEP_1) | instskip(NEXT) | instid1(VALU_DEP_1)
	v_fma_f64 v[156:157], -v[152:153], v[154:155], 1.0
	v_fma_f64 v[154:155], v[154:155], v[156:157], v[154:155]
	s_delay_alu instid0(VALU_DEP_1) | instskip(NEXT) | instid1(VALU_DEP_1)
	v_mul_f64 v[156:157], v[158:159], v[154:155]
	v_fma_f64 v[152:153], -v[152:153], v[156:157], v[158:159]
	s_delay_alu instid0(VALU_DEP_1) | instskip(NEXT) | instid1(VALU_DEP_1)
	v_div_fmas_f64 v[152:153], v[152:153], v[154:155], v[156:157]
	v_div_fixup_f64 v[152:153], v[152:153], v[148:149], v[150:151]
	s_delay_alu instid0(VALU_DEP_1) | instskip(NEXT) | instid1(VALU_DEP_1)
	v_fma_f64 v[148:149], v[150:151], v[152:153], v[148:149]
	v_div_scale_f64 v[150:151], null, v[148:149], v[148:149], 1.0
	s_delay_alu instid0(VALU_DEP_1) | instskip(SKIP_2) | instid1(VALU_DEP_1)
	v_rcp_f64_e32 v[154:155], v[150:151]
	s_waitcnt_depctr 0xfff
	v_fma_f64 v[156:157], -v[150:151], v[154:155], 1.0
	v_fma_f64 v[154:155], v[154:155], v[156:157], v[154:155]
	s_delay_alu instid0(VALU_DEP_1) | instskip(NEXT) | instid1(VALU_DEP_1)
	v_fma_f64 v[156:157], -v[150:151], v[154:155], 1.0
	v_fma_f64 v[154:155], v[154:155], v[156:157], v[154:155]
	v_div_scale_f64 v[156:157], vcc_lo, 1.0, v[148:149], 1.0
	s_delay_alu instid0(VALU_DEP_1) | instskip(NEXT) | instid1(VALU_DEP_1)
	v_mul_f64 v[158:159], v[156:157], v[154:155]
	v_fma_f64 v[150:151], -v[150:151], v[158:159], v[156:157]
	s_delay_alu instid0(VALU_DEP_1) | instskip(NEXT) | instid1(VALU_DEP_1)
	v_div_fmas_f64 v[150:151], v[150:151], v[154:155], v[158:159]
	v_div_fixup_f64 v[156:157], v[150:151], v[148:149], 1.0
	s_delay_alu instid0(VALU_DEP_1)
	v_mul_f64 v[154:155], v[152:153], -v[156:157]
.LBB73_61:
	s_or_b32 exec_lo, exec_lo, s3
	ds_store_2addr_b64 v189, v[156:157], v[154:155] offset1:1
.LBB73_62:
	s_or_b32 exec_lo, exec_lo, s4
	s_waitcnt lgkmcnt(0)
	s_barrier
	buffer_gl0_inv
	ds_load_2addr_b64 v[148:151], v189 offset1:1
	s_mov_b32 s3, exec_lo
	s_waitcnt lgkmcnt(0)
	scratch_store_b128 off, v[148:151], off offset:152 ; 16-byte Folded Spill
	v_cmpx_lt_u32_e32 6, v188
	s_cbranch_execz .LBB73_64
; %bb.63:
	scratch_load_b128 v[150:153], off, off offset:152 ; 16-byte Folded Reload
	s_waitcnt vmcnt(0)
	v_mul_f64 v[148:149], v[152:153], v[122:123]
	v_mul_f64 v[122:123], v[150:151], v[122:123]
	s_delay_alu instid0(VALU_DEP_2) | instskip(NEXT) | instid1(VALU_DEP_2)
	v_fma_f64 v[148:149], v[150:151], v[120:121], -v[148:149]
	v_fma_f64 v[122:123], v[152:153], v[120:121], v[122:123]
	ds_load_2addr_b64 v[150:153], v192 offset0:14 offset1:15
	s_waitcnt lgkmcnt(0)
	v_mul_f64 v[120:121], v[152:153], v[122:123]
	s_delay_alu instid0(VALU_DEP_1) | instskip(SKIP_1) | instid1(VALU_DEP_2)
	v_fma_f64 v[120:121], v[150:151], v[148:149], -v[120:121]
	v_mul_f64 v[150:151], v[150:151], v[122:123]
	v_add_f64 v[116:117], v[116:117], -v[120:121]
	s_delay_alu instid0(VALU_DEP_2) | instskip(NEXT) | instid1(VALU_DEP_1)
	v_fma_f64 v[150:151], v[152:153], v[148:149], v[150:151]
	v_add_f64 v[118:119], v[118:119], -v[150:151]
	ds_load_2addr_b64 v[150:153], v192 offset0:16 offset1:17
	s_waitcnt lgkmcnt(0)
	v_mul_f64 v[120:121], v[152:153], v[122:123]
	s_delay_alu instid0(VALU_DEP_1) | instskip(SKIP_1) | instid1(VALU_DEP_2)
	v_fma_f64 v[120:121], v[150:151], v[148:149], -v[120:121]
	v_mul_f64 v[150:151], v[150:151], v[122:123]
	v_add_f64 v[112:113], v[112:113], -v[120:121]
	s_delay_alu instid0(VALU_DEP_2) | instskip(NEXT) | instid1(VALU_DEP_1)
	v_fma_f64 v[150:151], v[152:153], v[148:149], v[150:151]
	v_add_f64 v[114:115], v[114:115], -v[150:151]
	;; [unrolled: 10-line block ×29, first 2 shown]
	ds_load_2addr_b64 v[150:153], v192 offset0:72 offset1:73
	s_waitcnt lgkmcnt(0)
	v_mul_f64 v[120:121], v[152:153], v[122:123]
	s_delay_alu instid0(VALU_DEP_1) | instskip(SKIP_1) | instid1(VALU_DEP_2)
	v_fma_f64 v[120:121], v[150:151], v[148:149], -v[120:121]
	v_mul_f64 v[150:151], v[150:151], v[122:123]
	v_add_f64 v[0:1], v[0:1], -v[120:121]
	s_delay_alu instid0(VALU_DEP_2) | instskip(SKIP_1) | instid1(VALU_DEP_2)
	v_fma_f64 v[150:151], v[152:153], v[148:149], v[150:151]
	v_dual_mov_b32 v120, v148 :: v_dual_mov_b32 v121, v149
	v_add_f64 v[2:3], v[2:3], -v[150:151]
.LBB73_64:
	s_or_b32 exec_lo, exec_lo, s3
	s_delay_alu instid0(SALU_CYCLE_1)
	s_mov_b32 s4, exec_lo
	s_waitcnt_vscnt null, 0x0
	s_barrier
	buffer_gl0_inv
	v_cmpx_eq_u32_e32 7, v188
	s_cbranch_execz .LBB73_71
; %bb.65:
	ds_store_2addr_b64 v189, v[116:117], v[118:119] offset1:1
	ds_store_2addr_b64 v192, v[112:113], v[114:115] offset0:16 offset1:17
	ds_store_2addr_b64 v192, v[108:109], v[110:111] offset0:18 offset1:19
	ds_store_2addr_b64 v192, v[104:105], v[106:107] offset0:20 offset1:21
	ds_store_2addr_b64 v192, v[100:101], v[102:103] offset0:22 offset1:23
	ds_store_2addr_b64 v192, v[96:97], v[98:99] offset0:24 offset1:25
	ds_store_2addr_b64 v192, v[92:93], v[94:95] offset0:26 offset1:27
	ds_store_2addr_b64 v192, v[88:89], v[90:91] offset0:28 offset1:29
	ds_store_2addr_b64 v192, v[84:85], v[86:87] offset0:30 offset1:31
	ds_store_2addr_b64 v192, v[80:81], v[82:83] offset0:32 offset1:33
	ds_store_2addr_b64 v192, v[76:77], v[78:79] offset0:34 offset1:35
	ds_store_2addr_b64 v192, v[72:73], v[74:75] offset0:36 offset1:37
	ds_store_2addr_b64 v192, v[68:69], v[70:71] offset0:38 offset1:39
	ds_store_2addr_b64 v192, v[64:65], v[66:67] offset0:40 offset1:41
	ds_store_2addr_b64 v192, v[60:61], v[62:63] offset0:42 offset1:43
	ds_store_2addr_b64 v192, v[56:57], v[58:59] offset0:44 offset1:45
	ds_store_2addr_b64 v192, v[52:53], v[54:55] offset0:46 offset1:47
	ds_store_2addr_b64 v192, v[48:49], v[50:51] offset0:48 offset1:49
	ds_store_2addr_b64 v192, v[44:45], v[46:47] offset0:50 offset1:51
	ds_store_2addr_b64 v192, v[40:41], v[42:43] offset0:52 offset1:53
	ds_store_2addr_b64 v192, v[36:37], v[38:39] offset0:54 offset1:55
	ds_store_2addr_b64 v192, v[32:33], v[34:35] offset0:56 offset1:57
	ds_store_2addr_b64 v192, v[28:29], v[30:31] offset0:58 offset1:59
	ds_store_2addr_b64 v192, v[24:25], v[26:27] offset0:60 offset1:61
	ds_store_2addr_b64 v192, v[20:21], v[22:23] offset0:62 offset1:63
	ds_store_2addr_b64 v192, v[16:17], v[18:19] offset0:64 offset1:65
	ds_store_2addr_b64 v192, v[12:13], v[14:15] offset0:66 offset1:67
	ds_store_2addr_b64 v192, v[8:9], v[10:11] offset0:68 offset1:69
	ds_store_2addr_b64 v192, v[4:5], v[6:7] offset0:70 offset1:71
	ds_store_2addr_b64 v192, v[0:1], v[2:3] offset0:72 offset1:73
	ds_load_2addr_b64 v[148:151], v189 offset1:1
	s_waitcnt lgkmcnt(0)
	v_cmp_neq_f64_e32 vcc_lo, 0, v[148:149]
	v_cmp_neq_f64_e64 s3, 0, v[150:151]
	s_delay_alu instid0(VALU_DEP_1) | instskip(NEXT) | instid1(SALU_CYCLE_1)
	s_or_b32 s3, vcc_lo, s3
	s_and_b32 exec_lo, exec_lo, s3
	s_cbranch_execz .LBB73_71
; %bb.66:
	v_cmp_gt_f64_e32 vcc_lo, 0, v[148:149]
	v_xor_b32_e32 v152, 0x80000000, v149
	v_xor_b32_e32 v154, 0x80000000, v151
	s_mov_b32 s3, exec_lo
                                        ; implicit-def: $vgpr156_vgpr157
	s_delay_alu instid0(VALU_DEP_2) | instskip(SKIP_4) | instid1(VALU_DEP_1)
	v_cndmask_b32_e32 v153, v149, v152, vcc_lo
	v_cndmask_b32_e32 v152, v148, v148, vcc_lo
	v_cmp_gt_f64_e32 vcc_lo, 0, v[150:151]
	v_cndmask_b32_e32 v155, v151, v154, vcc_lo
	v_cndmask_b32_e32 v154, v150, v150, vcc_lo
	v_cmpx_ngt_f64_e32 v[152:153], v[154:155]
	s_xor_b32 s3, exec_lo, s3
                                        ; implicit-def: $vgpr152_vgpr153_vgpr154_vgpr155
	s_cbranch_execz .LBB73_68
; %bb.67:
	v_div_scale_f64 v[152:153], null, v[150:151], v[150:151], v[148:149]
	v_div_scale_f64 v[158:159], vcc_lo, v[148:149], v[150:151], v[148:149]
	s_delay_alu instid0(VALU_DEP_2) | instskip(SKIP_2) | instid1(VALU_DEP_1)
	v_rcp_f64_e32 v[154:155], v[152:153]
	s_waitcnt_depctr 0xfff
	v_fma_f64 v[156:157], -v[152:153], v[154:155], 1.0
	v_fma_f64 v[154:155], v[154:155], v[156:157], v[154:155]
	s_delay_alu instid0(VALU_DEP_1) | instskip(NEXT) | instid1(VALU_DEP_1)
	v_fma_f64 v[156:157], -v[152:153], v[154:155], 1.0
	v_fma_f64 v[154:155], v[154:155], v[156:157], v[154:155]
	s_delay_alu instid0(VALU_DEP_1) | instskip(NEXT) | instid1(VALU_DEP_1)
	v_mul_f64 v[156:157], v[158:159], v[154:155]
	v_fma_f64 v[152:153], -v[152:153], v[156:157], v[158:159]
	s_delay_alu instid0(VALU_DEP_1) | instskip(NEXT) | instid1(VALU_DEP_1)
	v_div_fmas_f64 v[152:153], v[152:153], v[154:155], v[156:157]
	v_div_fixup_f64 v[152:153], v[152:153], v[150:151], v[148:149]
	s_delay_alu instid0(VALU_DEP_1) | instskip(NEXT) | instid1(VALU_DEP_1)
	v_fma_f64 v[148:149], v[148:149], v[152:153], v[150:151]
	v_div_scale_f64 v[150:151], null, v[148:149], v[148:149], 1.0
	s_delay_alu instid0(VALU_DEP_1) | instskip(SKIP_2) | instid1(VALU_DEP_1)
	v_rcp_f64_e32 v[154:155], v[150:151]
	s_waitcnt_depctr 0xfff
	v_fma_f64 v[156:157], -v[150:151], v[154:155], 1.0
	v_fma_f64 v[154:155], v[154:155], v[156:157], v[154:155]
	s_delay_alu instid0(VALU_DEP_1) | instskip(NEXT) | instid1(VALU_DEP_1)
	v_fma_f64 v[156:157], -v[150:151], v[154:155], 1.0
	v_fma_f64 v[154:155], v[154:155], v[156:157], v[154:155]
	v_div_scale_f64 v[156:157], vcc_lo, 1.0, v[148:149], 1.0
	s_delay_alu instid0(VALU_DEP_1) | instskip(NEXT) | instid1(VALU_DEP_1)
	v_mul_f64 v[158:159], v[156:157], v[154:155]
	v_fma_f64 v[150:151], -v[150:151], v[158:159], v[156:157]
	s_delay_alu instid0(VALU_DEP_1) | instskip(NEXT) | instid1(VALU_DEP_1)
	v_div_fmas_f64 v[150:151], v[150:151], v[154:155], v[158:159]
	v_div_fixup_f64 v[154:155], v[150:151], v[148:149], 1.0
                                        ; implicit-def: $vgpr148_vgpr149
	s_delay_alu instid0(VALU_DEP_1)
	v_mul_f64 v[156:157], v[152:153], v[154:155]
	v_xor_b32_e32 v155, 0x80000000, v155
.LBB73_68:
	s_and_not1_saveexec_b32 s3, s3
	s_cbranch_execz .LBB73_70
; %bb.69:
	v_div_scale_f64 v[152:153], null, v[148:149], v[148:149], v[150:151]
	v_div_scale_f64 v[158:159], vcc_lo, v[150:151], v[148:149], v[150:151]
	s_delay_alu instid0(VALU_DEP_2) | instskip(SKIP_2) | instid1(VALU_DEP_1)
	v_rcp_f64_e32 v[154:155], v[152:153]
	s_waitcnt_depctr 0xfff
	v_fma_f64 v[156:157], -v[152:153], v[154:155], 1.0
	v_fma_f64 v[154:155], v[154:155], v[156:157], v[154:155]
	s_delay_alu instid0(VALU_DEP_1) | instskip(NEXT) | instid1(VALU_DEP_1)
	v_fma_f64 v[156:157], -v[152:153], v[154:155], 1.0
	v_fma_f64 v[154:155], v[154:155], v[156:157], v[154:155]
	s_delay_alu instid0(VALU_DEP_1) | instskip(NEXT) | instid1(VALU_DEP_1)
	v_mul_f64 v[156:157], v[158:159], v[154:155]
	v_fma_f64 v[152:153], -v[152:153], v[156:157], v[158:159]
	s_delay_alu instid0(VALU_DEP_1) | instskip(NEXT) | instid1(VALU_DEP_1)
	v_div_fmas_f64 v[152:153], v[152:153], v[154:155], v[156:157]
	v_div_fixup_f64 v[152:153], v[152:153], v[148:149], v[150:151]
	s_delay_alu instid0(VALU_DEP_1) | instskip(NEXT) | instid1(VALU_DEP_1)
	v_fma_f64 v[148:149], v[150:151], v[152:153], v[148:149]
	v_div_scale_f64 v[150:151], null, v[148:149], v[148:149], 1.0
	s_delay_alu instid0(VALU_DEP_1) | instskip(SKIP_2) | instid1(VALU_DEP_1)
	v_rcp_f64_e32 v[154:155], v[150:151]
	s_waitcnt_depctr 0xfff
	v_fma_f64 v[156:157], -v[150:151], v[154:155], 1.0
	v_fma_f64 v[154:155], v[154:155], v[156:157], v[154:155]
	s_delay_alu instid0(VALU_DEP_1) | instskip(NEXT) | instid1(VALU_DEP_1)
	v_fma_f64 v[156:157], -v[150:151], v[154:155], 1.0
	v_fma_f64 v[154:155], v[154:155], v[156:157], v[154:155]
	v_div_scale_f64 v[156:157], vcc_lo, 1.0, v[148:149], 1.0
	s_delay_alu instid0(VALU_DEP_1) | instskip(NEXT) | instid1(VALU_DEP_1)
	v_mul_f64 v[158:159], v[156:157], v[154:155]
	v_fma_f64 v[150:151], -v[150:151], v[158:159], v[156:157]
	s_delay_alu instid0(VALU_DEP_1) | instskip(NEXT) | instid1(VALU_DEP_1)
	v_div_fmas_f64 v[150:151], v[150:151], v[154:155], v[158:159]
	v_div_fixup_f64 v[156:157], v[150:151], v[148:149], 1.0
	s_delay_alu instid0(VALU_DEP_1)
	v_mul_f64 v[154:155], v[152:153], -v[156:157]
.LBB73_70:
	s_or_b32 exec_lo, exec_lo, s3
	ds_store_2addr_b64 v189, v[156:157], v[154:155] offset1:1
.LBB73_71:
	s_or_b32 exec_lo, exec_lo, s4
	s_waitcnt lgkmcnt(0)
	s_barrier
	buffer_gl0_inv
	ds_load_2addr_b64 v[148:151], v189 offset1:1
	s_mov_b32 s3, exec_lo
	s_waitcnt lgkmcnt(0)
	scratch_store_b128 off, v[148:151], off offset:168 ; 16-byte Folded Spill
	v_cmpx_lt_u32_e32 7, v188
	s_cbranch_execz .LBB73_73
; %bb.72:
	scratch_load_b128 v[150:153], off, off offset:168 ; 16-byte Folded Reload
	s_waitcnt vmcnt(0)
	v_mul_f64 v[148:149], v[152:153], v[118:119]
	v_mul_f64 v[118:119], v[150:151], v[118:119]
	s_delay_alu instid0(VALU_DEP_2) | instskip(NEXT) | instid1(VALU_DEP_2)
	v_fma_f64 v[148:149], v[150:151], v[116:117], -v[148:149]
	v_fma_f64 v[118:119], v[152:153], v[116:117], v[118:119]
	ds_load_2addr_b64 v[150:153], v192 offset0:16 offset1:17
	s_waitcnt lgkmcnt(0)
	v_mul_f64 v[116:117], v[152:153], v[118:119]
	s_delay_alu instid0(VALU_DEP_1) | instskip(SKIP_1) | instid1(VALU_DEP_2)
	v_fma_f64 v[116:117], v[150:151], v[148:149], -v[116:117]
	v_mul_f64 v[150:151], v[150:151], v[118:119]
	v_add_f64 v[112:113], v[112:113], -v[116:117]
	s_delay_alu instid0(VALU_DEP_2) | instskip(NEXT) | instid1(VALU_DEP_1)
	v_fma_f64 v[150:151], v[152:153], v[148:149], v[150:151]
	v_add_f64 v[114:115], v[114:115], -v[150:151]
	ds_load_2addr_b64 v[150:153], v192 offset0:18 offset1:19
	s_waitcnt lgkmcnt(0)
	v_mul_f64 v[116:117], v[152:153], v[118:119]
	s_delay_alu instid0(VALU_DEP_1) | instskip(SKIP_1) | instid1(VALU_DEP_2)
	v_fma_f64 v[116:117], v[150:151], v[148:149], -v[116:117]
	v_mul_f64 v[150:151], v[150:151], v[118:119]
	v_add_f64 v[108:109], v[108:109], -v[116:117]
	s_delay_alu instid0(VALU_DEP_2) | instskip(NEXT) | instid1(VALU_DEP_1)
	v_fma_f64 v[150:151], v[152:153], v[148:149], v[150:151]
	v_add_f64 v[110:111], v[110:111], -v[150:151]
	ds_load_2addr_b64 v[150:153], v192 offset0:20 offset1:21
	s_waitcnt lgkmcnt(0)
	v_mul_f64 v[116:117], v[152:153], v[118:119]
	s_delay_alu instid0(VALU_DEP_1) | instskip(SKIP_1) | instid1(VALU_DEP_2)
	v_fma_f64 v[116:117], v[150:151], v[148:149], -v[116:117]
	v_mul_f64 v[150:151], v[150:151], v[118:119]
	v_add_f64 v[104:105], v[104:105], -v[116:117]
	s_delay_alu instid0(VALU_DEP_2) | instskip(NEXT) | instid1(VALU_DEP_1)
	v_fma_f64 v[150:151], v[152:153], v[148:149], v[150:151]
	v_add_f64 v[106:107], v[106:107], -v[150:151]
	ds_load_2addr_b64 v[150:153], v192 offset0:22 offset1:23
	s_waitcnt lgkmcnt(0)
	v_mul_f64 v[116:117], v[152:153], v[118:119]
	s_delay_alu instid0(VALU_DEP_1) | instskip(SKIP_1) | instid1(VALU_DEP_2)
	v_fma_f64 v[116:117], v[150:151], v[148:149], -v[116:117]
	v_mul_f64 v[150:151], v[150:151], v[118:119]
	v_add_f64 v[100:101], v[100:101], -v[116:117]
	s_delay_alu instid0(VALU_DEP_2) | instskip(NEXT) | instid1(VALU_DEP_1)
	v_fma_f64 v[150:151], v[152:153], v[148:149], v[150:151]
	v_add_f64 v[102:103], v[102:103], -v[150:151]
	ds_load_2addr_b64 v[150:153], v192 offset0:24 offset1:25
	s_waitcnt lgkmcnt(0)
	v_mul_f64 v[116:117], v[152:153], v[118:119]
	s_delay_alu instid0(VALU_DEP_1) | instskip(SKIP_1) | instid1(VALU_DEP_2)
	v_fma_f64 v[116:117], v[150:151], v[148:149], -v[116:117]
	v_mul_f64 v[150:151], v[150:151], v[118:119]
	v_add_f64 v[96:97], v[96:97], -v[116:117]
	s_delay_alu instid0(VALU_DEP_2) | instskip(NEXT) | instid1(VALU_DEP_1)
	v_fma_f64 v[150:151], v[152:153], v[148:149], v[150:151]
	v_add_f64 v[98:99], v[98:99], -v[150:151]
	ds_load_2addr_b64 v[150:153], v192 offset0:26 offset1:27
	s_waitcnt lgkmcnt(0)
	v_mul_f64 v[116:117], v[152:153], v[118:119]
	s_delay_alu instid0(VALU_DEP_1) | instskip(SKIP_1) | instid1(VALU_DEP_2)
	v_fma_f64 v[116:117], v[150:151], v[148:149], -v[116:117]
	v_mul_f64 v[150:151], v[150:151], v[118:119]
	v_add_f64 v[92:93], v[92:93], -v[116:117]
	s_delay_alu instid0(VALU_DEP_2) | instskip(NEXT) | instid1(VALU_DEP_1)
	v_fma_f64 v[150:151], v[152:153], v[148:149], v[150:151]
	v_add_f64 v[94:95], v[94:95], -v[150:151]
	ds_load_2addr_b64 v[150:153], v192 offset0:28 offset1:29
	s_waitcnt lgkmcnt(0)
	v_mul_f64 v[116:117], v[152:153], v[118:119]
	s_delay_alu instid0(VALU_DEP_1) | instskip(SKIP_1) | instid1(VALU_DEP_2)
	v_fma_f64 v[116:117], v[150:151], v[148:149], -v[116:117]
	v_mul_f64 v[150:151], v[150:151], v[118:119]
	v_add_f64 v[88:89], v[88:89], -v[116:117]
	s_delay_alu instid0(VALU_DEP_2) | instskip(NEXT) | instid1(VALU_DEP_1)
	v_fma_f64 v[150:151], v[152:153], v[148:149], v[150:151]
	v_add_f64 v[90:91], v[90:91], -v[150:151]
	ds_load_2addr_b64 v[150:153], v192 offset0:30 offset1:31
	s_waitcnt lgkmcnt(0)
	v_mul_f64 v[116:117], v[152:153], v[118:119]
	s_delay_alu instid0(VALU_DEP_1) | instskip(SKIP_1) | instid1(VALU_DEP_2)
	v_fma_f64 v[116:117], v[150:151], v[148:149], -v[116:117]
	v_mul_f64 v[150:151], v[150:151], v[118:119]
	v_add_f64 v[84:85], v[84:85], -v[116:117]
	s_delay_alu instid0(VALU_DEP_2) | instskip(NEXT) | instid1(VALU_DEP_1)
	v_fma_f64 v[150:151], v[152:153], v[148:149], v[150:151]
	v_add_f64 v[86:87], v[86:87], -v[150:151]
	ds_load_2addr_b64 v[150:153], v192 offset0:32 offset1:33
	s_waitcnt lgkmcnt(0)
	v_mul_f64 v[116:117], v[152:153], v[118:119]
	s_delay_alu instid0(VALU_DEP_1) | instskip(SKIP_1) | instid1(VALU_DEP_2)
	v_fma_f64 v[116:117], v[150:151], v[148:149], -v[116:117]
	v_mul_f64 v[150:151], v[150:151], v[118:119]
	v_add_f64 v[80:81], v[80:81], -v[116:117]
	s_delay_alu instid0(VALU_DEP_2) | instskip(NEXT) | instid1(VALU_DEP_1)
	v_fma_f64 v[150:151], v[152:153], v[148:149], v[150:151]
	v_add_f64 v[82:83], v[82:83], -v[150:151]
	ds_load_2addr_b64 v[150:153], v192 offset0:34 offset1:35
	s_waitcnt lgkmcnt(0)
	v_mul_f64 v[116:117], v[152:153], v[118:119]
	s_delay_alu instid0(VALU_DEP_1) | instskip(SKIP_1) | instid1(VALU_DEP_2)
	v_fma_f64 v[116:117], v[150:151], v[148:149], -v[116:117]
	v_mul_f64 v[150:151], v[150:151], v[118:119]
	v_add_f64 v[76:77], v[76:77], -v[116:117]
	s_delay_alu instid0(VALU_DEP_2) | instskip(NEXT) | instid1(VALU_DEP_1)
	v_fma_f64 v[150:151], v[152:153], v[148:149], v[150:151]
	v_add_f64 v[78:79], v[78:79], -v[150:151]
	ds_load_2addr_b64 v[150:153], v192 offset0:36 offset1:37
	s_waitcnt lgkmcnt(0)
	v_mul_f64 v[116:117], v[152:153], v[118:119]
	s_delay_alu instid0(VALU_DEP_1) | instskip(SKIP_1) | instid1(VALU_DEP_2)
	v_fma_f64 v[116:117], v[150:151], v[148:149], -v[116:117]
	v_mul_f64 v[150:151], v[150:151], v[118:119]
	v_add_f64 v[72:73], v[72:73], -v[116:117]
	s_delay_alu instid0(VALU_DEP_2) | instskip(NEXT) | instid1(VALU_DEP_1)
	v_fma_f64 v[150:151], v[152:153], v[148:149], v[150:151]
	v_add_f64 v[74:75], v[74:75], -v[150:151]
	ds_load_2addr_b64 v[150:153], v192 offset0:38 offset1:39
	s_waitcnt lgkmcnt(0)
	v_mul_f64 v[116:117], v[152:153], v[118:119]
	s_delay_alu instid0(VALU_DEP_1) | instskip(SKIP_1) | instid1(VALU_DEP_2)
	v_fma_f64 v[116:117], v[150:151], v[148:149], -v[116:117]
	v_mul_f64 v[150:151], v[150:151], v[118:119]
	v_add_f64 v[68:69], v[68:69], -v[116:117]
	s_delay_alu instid0(VALU_DEP_2) | instskip(NEXT) | instid1(VALU_DEP_1)
	v_fma_f64 v[150:151], v[152:153], v[148:149], v[150:151]
	v_add_f64 v[70:71], v[70:71], -v[150:151]
	ds_load_2addr_b64 v[150:153], v192 offset0:40 offset1:41
	s_waitcnt lgkmcnt(0)
	v_mul_f64 v[116:117], v[152:153], v[118:119]
	s_delay_alu instid0(VALU_DEP_1) | instskip(SKIP_1) | instid1(VALU_DEP_2)
	v_fma_f64 v[116:117], v[150:151], v[148:149], -v[116:117]
	v_mul_f64 v[150:151], v[150:151], v[118:119]
	v_add_f64 v[64:65], v[64:65], -v[116:117]
	s_delay_alu instid0(VALU_DEP_2) | instskip(NEXT) | instid1(VALU_DEP_1)
	v_fma_f64 v[150:151], v[152:153], v[148:149], v[150:151]
	v_add_f64 v[66:67], v[66:67], -v[150:151]
	ds_load_2addr_b64 v[150:153], v192 offset0:42 offset1:43
	s_waitcnt lgkmcnt(0)
	v_mul_f64 v[116:117], v[152:153], v[118:119]
	s_delay_alu instid0(VALU_DEP_1) | instskip(SKIP_1) | instid1(VALU_DEP_2)
	v_fma_f64 v[116:117], v[150:151], v[148:149], -v[116:117]
	v_mul_f64 v[150:151], v[150:151], v[118:119]
	v_add_f64 v[60:61], v[60:61], -v[116:117]
	s_delay_alu instid0(VALU_DEP_2) | instskip(NEXT) | instid1(VALU_DEP_1)
	v_fma_f64 v[150:151], v[152:153], v[148:149], v[150:151]
	v_add_f64 v[62:63], v[62:63], -v[150:151]
	ds_load_2addr_b64 v[150:153], v192 offset0:44 offset1:45
	s_waitcnt lgkmcnt(0)
	v_mul_f64 v[116:117], v[152:153], v[118:119]
	s_delay_alu instid0(VALU_DEP_1) | instskip(SKIP_1) | instid1(VALU_DEP_2)
	v_fma_f64 v[116:117], v[150:151], v[148:149], -v[116:117]
	v_mul_f64 v[150:151], v[150:151], v[118:119]
	v_add_f64 v[56:57], v[56:57], -v[116:117]
	s_delay_alu instid0(VALU_DEP_2) | instskip(NEXT) | instid1(VALU_DEP_1)
	v_fma_f64 v[150:151], v[152:153], v[148:149], v[150:151]
	v_add_f64 v[58:59], v[58:59], -v[150:151]
	ds_load_2addr_b64 v[150:153], v192 offset0:46 offset1:47
	s_waitcnt lgkmcnt(0)
	v_mul_f64 v[116:117], v[152:153], v[118:119]
	s_delay_alu instid0(VALU_DEP_1) | instskip(SKIP_1) | instid1(VALU_DEP_2)
	v_fma_f64 v[116:117], v[150:151], v[148:149], -v[116:117]
	v_mul_f64 v[150:151], v[150:151], v[118:119]
	v_add_f64 v[52:53], v[52:53], -v[116:117]
	s_delay_alu instid0(VALU_DEP_2) | instskip(NEXT) | instid1(VALU_DEP_1)
	v_fma_f64 v[150:151], v[152:153], v[148:149], v[150:151]
	v_add_f64 v[54:55], v[54:55], -v[150:151]
	ds_load_2addr_b64 v[150:153], v192 offset0:48 offset1:49
	s_waitcnt lgkmcnt(0)
	v_mul_f64 v[116:117], v[152:153], v[118:119]
	s_delay_alu instid0(VALU_DEP_1) | instskip(SKIP_1) | instid1(VALU_DEP_2)
	v_fma_f64 v[116:117], v[150:151], v[148:149], -v[116:117]
	v_mul_f64 v[150:151], v[150:151], v[118:119]
	v_add_f64 v[48:49], v[48:49], -v[116:117]
	s_delay_alu instid0(VALU_DEP_2) | instskip(NEXT) | instid1(VALU_DEP_1)
	v_fma_f64 v[150:151], v[152:153], v[148:149], v[150:151]
	v_add_f64 v[50:51], v[50:51], -v[150:151]
	ds_load_2addr_b64 v[150:153], v192 offset0:50 offset1:51
	s_waitcnt lgkmcnt(0)
	v_mul_f64 v[116:117], v[152:153], v[118:119]
	s_delay_alu instid0(VALU_DEP_1) | instskip(SKIP_1) | instid1(VALU_DEP_2)
	v_fma_f64 v[116:117], v[150:151], v[148:149], -v[116:117]
	v_mul_f64 v[150:151], v[150:151], v[118:119]
	v_add_f64 v[44:45], v[44:45], -v[116:117]
	s_delay_alu instid0(VALU_DEP_2) | instskip(NEXT) | instid1(VALU_DEP_1)
	v_fma_f64 v[150:151], v[152:153], v[148:149], v[150:151]
	v_add_f64 v[46:47], v[46:47], -v[150:151]
	ds_load_2addr_b64 v[150:153], v192 offset0:52 offset1:53
	s_waitcnt lgkmcnt(0)
	v_mul_f64 v[116:117], v[152:153], v[118:119]
	s_delay_alu instid0(VALU_DEP_1) | instskip(SKIP_1) | instid1(VALU_DEP_2)
	v_fma_f64 v[116:117], v[150:151], v[148:149], -v[116:117]
	v_mul_f64 v[150:151], v[150:151], v[118:119]
	v_add_f64 v[40:41], v[40:41], -v[116:117]
	s_delay_alu instid0(VALU_DEP_2) | instskip(NEXT) | instid1(VALU_DEP_1)
	v_fma_f64 v[150:151], v[152:153], v[148:149], v[150:151]
	v_add_f64 v[42:43], v[42:43], -v[150:151]
	ds_load_2addr_b64 v[150:153], v192 offset0:54 offset1:55
	s_waitcnt lgkmcnt(0)
	v_mul_f64 v[116:117], v[152:153], v[118:119]
	s_delay_alu instid0(VALU_DEP_1) | instskip(SKIP_1) | instid1(VALU_DEP_2)
	v_fma_f64 v[116:117], v[150:151], v[148:149], -v[116:117]
	v_mul_f64 v[150:151], v[150:151], v[118:119]
	v_add_f64 v[36:37], v[36:37], -v[116:117]
	s_delay_alu instid0(VALU_DEP_2) | instskip(NEXT) | instid1(VALU_DEP_1)
	v_fma_f64 v[150:151], v[152:153], v[148:149], v[150:151]
	v_add_f64 v[38:39], v[38:39], -v[150:151]
	ds_load_2addr_b64 v[150:153], v192 offset0:56 offset1:57
	s_waitcnt lgkmcnt(0)
	v_mul_f64 v[116:117], v[152:153], v[118:119]
	s_delay_alu instid0(VALU_DEP_1) | instskip(SKIP_1) | instid1(VALU_DEP_2)
	v_fma_f64 v[116:117], v[150:151], v[148:149], -v[116:117]
	v_mul_f64 v[150:151], v[150:151], v[118:119]
	v_add_f64 v[32:33], v[32:33], -v[116:117]
	s_delay_alu instid0(VALU_DEP_2) | instskip(NEXT) | instid1(VALU_DEP_1)
	v_fma_f64 v[150:151], v[152:153], v[148:149], v[150:151]
	v_add_f64 v[34:35], v[34:35], -v[150:151]
	ds_load_2addr_b64 v[150:153], v192 offset0:58 offset1:59
	s_waitcnt lgkmcnt(0)
	v_mul_f64 v[116:117], v[152:153], v[118:119]
	s_delay_alu instid0(VALU_DEP_1) | instskip(SKIP_1) | instid1(VALU_DEP_2)
	v_fma_f64 v[116:117], v[150:151], v[148:149], -v[116:117]
	v_mul_f64 v[150:151], v[150:151], v[118:119]
	v_add_f64 v[28:29], v[28:29], -v[116:117]
	s_delay_alu instid0(VALU_DEP_2) | instskip(NEXT) | instid1(VALU_DEP_1)
	v_fma_f64 v[150:151], v[152:153], v[148:149], v[150:151]
	v_add_f64 v[30:31], v[30:31], -v[150:151]
	ds_load_2addr_b64 v[150:153], v192 offset0:60 offset1:61
	s_waitcnt lgkmcnt(0)
	v_mul_f64 v[116:117], v[152:153], v[118:119]
	s_delay_alu instid0(VALU_DEP_1) | instskip(SKIP_1) | instid1(VALU_DEP_2)
	v_fma_f64 v[116:117], v[150:151], v[148:149], -v[116:117]
	v_mul_f64 v[150:151], v[150:151], v[118:119]
	v_add_f64 v[24:25], v[24:25], -v[116:117]
	s_delay_alu instid0(VALU_DEP_2) | instskip(NEXT) | instid1(VALU_DEP_1)
	v_fma_f64 v[150:151], v[152:153], v[148:149], v[150:151]
	v_add_f64 v[26:27], v[26:27], -v[150:151]
	ds_load_2addr_b64 v[150:153], v192 offset0:62 offset1:63
	s_waitcnt lgkmcnt(0)
	v_mul_f64 v[116:117], v[152:153], v[118:119]
	s_delay_alu instid0(VALU_DEP_1) | instskip(SKIP_1) | instid1(VALU_DEP_2)
	v_fma_f64 v[116:117], v[150:151], v[148:149], -v[116:117]
	v_mul_f64 v[150:151], v[150:151], v[118:119]
	v_add_f64 v[20:21], v[20:21], -v[116:117]
	s_delay_alu instid0(VALU_DEP_2) | instskip(NEXT) | instid1(VALU_DEP_1)
	v_fma_f64 v[150:151], v[152:153], v[148:149], v[150:151]
	v_add_f64 v[22:23], v[22:23], -v[150:151]
	ds_load_2addr_b64 v[150:153], v192 offset0:64 offset1:65
	s_waitcnt lgkmcnt(0)
	v_mul_f64 v[116:117], v[152:153], v[118:119]
	s_delay_alu instid0(VALU_DEP_1) | instskip(SKIP_1) | instid1(VALU_DEP_2)
	v_fma_f64 v[116:117], v[150:151], v[148:149], -v[116:117]
	v_mul_f64 v[150:151], v[150:151], v[118:119]
	v_add_f64 v[16:17], v[16:17], -v[116:117]
	s_delay_alu instid0(VALU_DEP_2) | instskip(NEXT) | instid1(VALU_DEP_1)
	v_fma_f64 v[150:151], v[152:153], v[148:149], v[150:151]
	v_add_f64 v[18:19], v[18:19], -v[150:151]
	ds_load_2addr_b64 v[150:153], v192 offset0:66 offset1:67
	s_waitcnt lgkmcnt(0)
	v_mul_f64 v[116:117], v[152:153], v[118:119]
	s_delay_alu instid0(VALU_DEP_1) | instskip(SKIP_1) | instid1(VALU_DEP_2)
	v_fma_f64 v[116:117], v[150:151], v[148:149], -v[116:117]
	v_mul_f64 v[150:151], v[150:151], v[118:119]
	v_add_f64 v[12:13], v[12:13], -v[116:117]
	s_delay_alu instid0(VALU_DEP_2) | instskip(NEXT) | instid1(VALU_DEP_1)
	v_fma_f64 v[150:151], v[152:153], v[148:149], v[150:151]
	v_add_f64 v[14:15], v[14:15], -v[150:151]
	ds_load_2addr_b64 v[150:153], v192 offset0:68 offset1:69
	s_waitcnt lgkmcnt(0)
	v_mul_f64 v[116:117], v[152:153], v[118:119]
	s_delay_alu instid0(VALU_DEP_1) | instskip(SKIP_1) | instid1(VALU_DEP_2)
	v_fma_f64 v[116:117], v[150:151], v[148:149], -v[116:117]
	v_mul_f64 v[150:151], v[150:151], v[118:119]
	v_add_f64 v[8:9], v[8:9], -v[116:117]
	s_delay_alu instid0(VALU_DEP_2) | instskip(NEXT) | instid1(VALU_DEP_1)
	v_fma_f64 v[150:151], v[152:153], v[148:149], v[150:151]
	v_add_f64 v[10:11], v[10:11], -v[150:151]
	ds_load_2addr_b64 v[150:153], v192 offset0:70 offset1:71
	s_waitcnt lgkmcnt(0)
	v_mul_f64 v[116:117], v[152:153], v[118:119]
	s_delay_alu instid0(VALU_DEP_1) | instskip(SKIP_1) | instid1(VALU_DEP_2)
	v_fma_f64 v[116:117], v[150:151], v[148:149], -v[116:117]
	v_mul_f64 v[150:151], v[150:151], v[118:119]
	v_add_f64 v[4:5], v[4:5], -v[116:117]
	s_delay_alu instid0(VALU_DEP_2) | instskip(NEXT) | instid1(VALU_DEP_1)
	v_fma_f64 v[150:151], v[152:153], v[148:149], v[150:151]
	v_add_f64 v[6:7], v[6:7], -v[150:151]
	ds_load_2addr_b64 v[150:153], v192 offset0:72 offset1:73
	s_waitcnt lgkmcnt(0)
	v_mul_f64 v[116:117], v[152:153], v[118:119]
	s_delay_alu instid0(VALU_DEP_1) | instskip(SKIP_1) | instid1(VALU_DEP_2)
	v_fma_f64 v[116:117], v[150:151], v[148:149], -v[116:117]
	v_mul_f64 v[150:151], v[150:151], v[118:119]
	v_add_f64 v[0:1], v[0:1], -v[116:117]
	s_delay_alu instid0(VALU_DEP_2) | instskip(SKIP_1) | instid1(VALU_DEP_2)
	v_fma_f64 v[150:151], v[152:153], v[148:149], v[150:151]
	v_dual_mov_b32 v116, v148 :: v_dual_mov_b32 v117, v149
	v_add_f64 v[2:3], v[2:3], -v[150:151]
.LBB73_73:
	s_or_b32 exec_lo, exec_lo, s3
	s_delay_alu instid0(SALU_CYCLE_1)
	s_mov_b32 s4, exec_lo
	s_waitcnt_vscnt null, 0x0
	s_barrier
	buffer_gl0_inv
	v_cmpx_eq_u32_e32 8, v188
	s_cbranch_execz .LBB73_80
; %bb.74:
	ds_store_2addr_b64 v189, v[112:113], v[114:115] offset1:1
	ds_store_2addr_b64 v192, v[108:109], v[110:111] offset0:18 offset1:19
	ds_store_2addr_b64 v192, v[104:105], v[106:107] offset0:20 offset1:21
	;; [unrolled: 1-line block ×28, first 2 shown]
	ds_load_2addr_b64 v[148:151], v189 offset1:1
	s_waitcnt lgkmcnt(0)
	v_cmp_neq_f64_e32 vcc_lo, 0, v[148:149]
	v_cmp_neq_f64_e64 s3, 0, v[150:151]
	s_delay_alu instid0(VALU_DEP_1) | instskip(NEXT) | instid1(SALU_CYCLE_1)
	s_or_b32 s3, vcc_lo, s3
	s_and_b32 exec_lo, exec_lo, s3
	s_cbranch_execz .LBB73_80
; %bb.75:
	v_cmp_gt_f64_e32 vcc_lo, 0, v[148:149]
	v_xor_b32_e32 v152, 0x80000000, v149
	v_xor_b32_e32 v154, 0x80000000, v151
	s_mov_b32 s3, exec_lo
                                        ; implicit-def: $vgpr156_vgpr157
	s_delay_alu instid0(VALU_DEP_2) | instskip(SKIP_4) | instid1(VALU_DEP_1)
	v_cndmask_b32_e32 v153, v149, v152, vcc_lo
	v_cndmask_b32_e32 v152, v148, v148, vcc_lo
	v_cmp_gt_f64_e32 vcc_lo, 0, v[150:151]
	v_cndmask_b32_e32 v155, v151, v154, vcc_lo
	v_cndmask_b32_e32 v154, v150, v150, vcc_lo
	v_cmpx_ngt_f64_e32 v[152:153], v[154:155]
	s_xor_b32 s3, exec_lo, s3
                                        ; implicit-def: $vgpr152_vgpr153_vgpr154_vgpr155
	s_cbranch_execz .LBB73_77
; %bb.76:
	v_div_scale_f64 v[152:153], null, v[150:151], v[150:151], v[148:149]
	v_div_scale_f64 v[158:159], vcc_lo, v[148:149], v[150:151], v[148:149]
	s_delay_alu instid0(VALU_DEP_2) | instskip(SKIP_2) | instid1(VALU_DEP_1)
	v_rcp_f64_e32 v[154:155], v[152:153]
	s_waitcnt_depctr 0xfff
	v_fma_f64 v[156:157], -v[152:153], v[154:155], 1.0
	v_fma_f64 v[154:155], v[154:155], v[156:157], v[154:155]
	s_delay_alu instid0(VALU_DEP_1) | instskip(NEXT) | instid1(VALU_DEP_1)
	v_fma_f64 v[156:157], -v[152:153], v[154:155], 1.0
	v_fma_f64 v[154:155], v[154:155], v[156:157], v[154:155]
	s_delay_alu instid0(VALU_DEP_1) | instskip(NEXT) | instid1(VALU_DEP_1)
	v_mul_f64 v[156:157], v[158:159], v[154:155]
	v_fma_f64 v[152:153], -v[152:153], v[156:157], v[158:159]
	s_delay_alu instid0(VALU_DEP_1) | instskip(NEXT) | instid1(VALU_DEP_1)
	v_div_fmas_f64 v[152:153], v[152:153], v[154:155], v[156:157]
	v_div_fixup_f64 v[152:153], v[152:153], v[150:151], v[148:149]
	s_delay_alu instid0(VALU_DEP_1) | instskip(NEXT) | instid1(VALU_DEP_1)
	v_fma_f64 v[148:149], v[148:149], v[152:153], v[150:151]
	v_div_scale_f64 v[150:151], null, v[148:149], v[148:149], 1.0
	s_delay_alu instid0(VALU_DEP_1) | instskip(SKIP_2) | instid1(VALU_DEP_1)
	v_rcp_f64_e32 v[154:155], v[150:151]
	s_waitcnt_depctr 0xfff
	v_fma_f64 v[156:157], -v[150:151], v[154:155], 1.0
	v_fma_f64 v[154:155], v[154:155], v[156:157], v[154:155]
	s_delay_alu instid0(VALU_DEP_1) | instskip(NEXT) | instid1(VALU_DEP_1)
	v_fma_f64 v[156:157], -v[150:151], v[154:155], 1.0
	v_fma_f64 v[154:155], v[154:155], v[156:157], v[154:155]
	v_div_scale_f64 v[156:157], vcc_lo, 1.0, v[148:149], 1.0
	s_delay_alu instid0(VALU_DEP_1) | instskip(NEXT) | instid1(VALU_DEP_1)
	v_mul_f64 v[158:159], v[156:157], v[154:155]
	v_fma_f64 v[150:151], -v[150:151], v[158:159], v[156:157]
	s_delay_alu instid0(VALU_DEP_1) | instskip(NEXT) | instid1(VALU_DEP_1)
	v_div_fmas_f64 v[150:151], v[150:151], v[154:155], v[158:159]
	v_div_fixup_f64 v[154:155], v[150:151], v[148:149], 1.0
                                        ; implicit-def: $vgpr148_vgpr149
	s_delay_alu instid0(VALU_DEP_1)
	v_mul_f64 v[156:157], v[152:153], v[154:155]
	v_xor_b32_e32 v155, 0x80000000, v155
.LBB73_77:
	s_and_not1_saveexec_b32 s3, s3
	s_cbranch_execz .LBB73_79
; %bb.78:
	v_div_scale_f64 v[152:153], null, v[148:149], v[148:149], v[150:151]
	v_div_scale_f64 v[158:159], vcc_lo, v[150:151], v[148:149], v[150:151]
	s_delay_alu instid0(VALU_DEP_2) | instskip(SKIP_2) | instid1(VALU_DEP_1)
	v_rcp_f64_e32 v[154:155], v[152:153]
	s_waitcnt_depctr 0xfff
	v_fma_f64 v[156:157], -v[152:153], v[154:155], 1.0
	v_fma_f64 v[154:155], v[154:155], v[156:157], v[154:155]
	s_delay_alu instid0(VALU_DEP_1) | instskip(NEXT) | instid1(VALU_DEP_1)
	v_fma_f64 v[156:157], -v[152:153], v[154:155], 1.0
	v_fma_f64 v[154:155], v[154:155], v[156:157], v[154:155]
	s_delay_alu instid0(VALU_DEP_1) | instskip(NEXT) | instid1(VALU_DEP_1)
	v_mul_f64 v[156:157], v[158:159], v[154:155]
	v_fma_f64 v[152:153], -v[152:153], v[156:157], v[158:159]
	s_delay_alu instid0(VALU_DEP_1) | instskip(NEXT) | instid1(VALU_DEP_1)
	v_div_fmas_f64 v[152:153], v[152:153], v[154:155], v[156:157]
	v_div_fixup_f64 v[152:153], v[152:153], v[148:149], v[150:151]
	s_delay_alu instid0(VALU_DEP_1) | instskip(NEXT) | instid1(VALU_DEP_1)
	v_fma_f64 v[148:149], v[150:151], v[152:153], v[148:149]
	v_div_scale_f64 v[150:151], null, v[148:149], v[148:149], 1.0
	s_delay_alu instid0(VALU_DEP_1) | instskip(SKIP_2) | instid1(VALU_DEP_1)
	v_rcp_f64_e32 v[154:155], v[150:151]
	s_waitcnt_depctr 0xfff
	v_fma_f64 v[156:157], -v[150:151], v[154:155], 1.0
	v_fma_f64 v[154:155], v[154:155], v[156:157], v[154:155]
	s_delay_alu instid0(VALU_DEP_1) | instskip(NEXT) | instid1(VALU_DEP_1)
	v_fma_f64 v[156:157], -v[150:151], v[154:155], 1.0
	v_fma_f64 v[154:155], v[154:155], v[156:157], v[154:155]
	v_div_scale_f64 v[156:157], vcc_lo, 1.0, v[148:149], 1.0
	s_delay_alu instid0(VALU_DEP_1) | instskip(NEXT) | instid1(VALU_DEP_1)
	v_mul_f64 v[158:159], v[156:157], v[154:155]
	v_fma_f64 v[150:151], -v[150:151], v[158:159], v[156:157]
	s_delay_alu instid0(VALU_DEP_1) | instskip(NEXT) | instid1(VALU_DEP_1)
	v_div_fmas_f64 v[150:151], v[150:151], v[154:155], v[158:159]
	v_div_fixup_f64 v[156:157], v[150:151], v[148:149], 1.0
	s_delay_alu instid0(VALU_DEP_1)
	v_mul_f64 v[154:155], v[152:153], -v[156:157]
.LBB73_79:
	s_or_b32 exec_lo, exec_lo, s3
	ds_store_2addr_b64 v189, v[156:157], v[154:155] offset1:1
.LBB73_80:
	s_or_b32 exec_lo, exec_lo, s4
	s_waitcnt lgkmcnt(0)
	s_barrier
	buffer_gl0_inv
	ds_load_2addr_b64 v[148:151], v189 offset1:1
	s_mov_b32 s3, exec_lo
	s_waitcnt lgkmcnt(0)
	scratch_store_b128 off, v[148:151], off offset:184 ; 16-byte Folded Spill
	v_cmpx_lt_u32_e32 8, v188
	s_cbranch_execz .LBB73_82
; %bb.81:
	scratch_load_b128 v[150:153], off, off offset:184 ; 16-byte Folded Reload
	s_waitcnt vmcnt(0)
	v_mul_f64 v[148:149], v[152:153], v[114:115]
	v_mul_f64 v[114:115], v[150:151], v[114:115]
	s_delay_alu instid0(VALU_DEP_2) | instskip(NEXT) | instid1(VALU_DEP_2)
	v_fma_f64 v[148:149], v[150:151], v[112:113], -v[148:149]
	v_fma_f64 v[114:115], v[152:153], v[112:113], v[114:115]
	ds_load_2addr_b64 v[150:153], v192 offset0:18 offset1:19
	s_waitcnt lgkmcnt(0)
	v_mul_f64 v[112:113], v[152:153], v[114:115]
	s_delay_alu instid0(VALU_DEP_1) | instskip(SKIP_1) | instid1(VALU_DEP_2)
	v_fma_f64 v[112:113], v[150:151], v[148:149], -v[112:113]
	v_mul_f64 v[150:151], v[150:151], v[114:115]
	v_add_f64 v[108:109], v[108:109], -v[112:113]
	s_delay_alu instid0(VALU_DEP_2) | instskip(NEXT) | instid1(VALU_DEP_1)
	v_fma_f64 v[150:151], v[152:153], v[148:149], v[150:151]
	v_add_f64 v[110:111], v[110:111], -v[150:151]
	ds_load_2addr_b64 v[150:153], v192 offset0:20 offset1:21
	s_waitcnt lgkmcnt(0)
	v_mul_f64 v[112:113], v[152:153], v[114:115]
	s_delay_alu instid0(VALU_DEP_1) | instskip(SKIP_1) | instid1(VALU_DEP_2)
	v_fma_f64 v[112:113], v[150:151], v[148:149], -v[112:113]
	v_mul_f64 v[150:151], v[150:151], v[114:115]
	v_add_f64 v[104:105], v[104:105], -v[112:113]
	s_delay_alu instid0(VALU_DEP_2) | instskip(NEXT) | instid1(VALU_DEP_1)
	v_fma_f64 v[150:151], v[152:153], v[148:149], v[150:151]
	v_add_f64 v[106:107], v[106:107], -v[150:151]
	;; [unrolled: 10-line block ×27, first 2 shown]
	ds_load_2addr_b64 v[150:153], v192 offset0:72 offset1:73
	s_waitcnt lgkmcnt(0)
	v_mul_f64 v[112:113], v[152:153], v[114:115]
	s_delay_alu instid0(VALU_DEP_1) | instskip(SKIP_1) | instid1(VALU_DEP_2)
	v_fma_f64 v[112:113], v[150:151], v[148:149], -v[112:113]
	v_mul_f64 v[150:151], v[150:151], v[114:115]
	v_add_f64 v[0:1], v[0:1], -v[112:113]
	s_delay_alu instid0(VALU_DEP_2) | instskip(SKIP_1) | instid1(VALU_DEP_2)
	v_fma_f64 v[150:151], v[152:153], v[148:149], v[150:151]
	v_dual_mov_b32 v112, v148 :: v_dual_mov_b32 v113, v149
	v_add_f64 v[2:3], v[2:3], -v[150:151]
.LBB73_82:
	s_or_b32 exec_lo, exec_lo, s3
	s_delay_alu instid0(SALU_CYCLE_1)
	s_mov_b32 s4, exec_lo
	s_waitcnt_vscnt null, 0x0
	s_barrier
	buffer_gl0_inv
	v_cmpx_eq_u32_e32 9, v188
	s_cbranch_execz .LBB73_89
; %bb.83:
	ds_store_2addr_b64 v189, v[108:109], v[110:111] offset1:1
	ds_store_2addr_b64 v192, v[104:105], v[106:107] offset0:20 offset1:21
	ds_store_2addr_b64 v192, v[100:101], v[102:103] offset0:22 offset1:23
	;; [unrolled: 1-line block ×27, first 2 shown]
	ds_load_2addr_b64 v[148:151], v189 offset1:1
	s_waitcnt lgkmcnt(0)
	v_cmp_neq_f64_e32 vcc_lo, 0, v[148:149]
	v_cmp_neq_f64_e64 s3, 0, v[150:151]
	s_delay_alu instid0(VALU_DEP_1) | instskip(NEXT) | instid1(SALU_CYCLE_1)
	s_or_b32 s3, vcc_lo, s3
	s_and_b32 exec_lo, exec_lo, s3
	s_cbranch_execz .LBB73_89
; %bb.84:
	v_cmp_gt_f64_e32 vcc_lo, 0, v[148:149]
	v_xor_b32_e32 v152, 0x80000000, v149
	v_xor_b32_e32 v154, 0x80000000, v151
	s_mov_b32 s3, exec_lo
                                        ; implicit-def: $vgpr156_vgpr157
	s_delay_alu instid0(VALU_DEP_2) | instskip(SKIP_4) | instid1(VALU_DEP_1)
	v_cndmask_b32_e32 v153, v149, v152, vcc_lo
	v_cndmask_b32_e32 v152, v148, v148, vcc_lo
	v_cmp_gt_f64_e32 vcc_lo, 0, v[150:151]
	v_cndmask_b32_e32 v155, v151, v154, vcc_lo
	v_cndmask_b32_e32 v154, v150, v150, vcc_lo
	v_cmpx_ngt_f64_e32 v[152:153], v[154:155]
	s_xor_b32 s3, exec_lo, s3
                                        ; implicit-def: $vgpr152_vgpr153_vgpr154_vgpr155
	s_cbranch_execz .LBB73_86
; %bb.85:
	v_div_scale_f64 v[152:153], null, v[150:151], v[150:151], v[148:149]
	v_div_scale_f64 v[158:159], vcc_lo, v[148:149], v[150:151], v[148:149]
	s_delay_alu instid0(VALU_DEP_2) | instskip(SKIP_2) | instid1(VALU_DEP_1)
	v_rcp_f64_e32 v[154:155], v[152:153]
	s_waitcnt_depctr 0xfff
	v_fma_f64 v[156:157], -v[152:153], v[154:155], 1.0
	v_fma_f64 v[154:155], v[154:155], v[156:157], v[154:155]
	s_delay_alu instid0(VALU_DEP_1) | instskip(NEXT) | instid1(VALU_DEP_1)
	v_fma_f64 v[156:157], -v[152:153], v[154:155], 1.0
	v_fma_f64 v[154:155], v[154:155], v[156:157], v[154:155]
	s_delay_alu instid0(VALU_DEP_1) | instskip(NEXT) | instid1(VALU_DEP_1)
	v_mul_f64 v[156:157], v[158:159], v[154:155]
	v_fma_f64 v[152:153], -v[152:153], v[156:157], v[158:159]
	s_delay_alu instid0(VALU_DEP_1) | instskip(NEXT) | instid1(VALU_DEP_1)
	v_div_fmas_f64 v[152:153], v[152:153], v[154:155], v[156:157]
	v_div_fixup_f64 v[152:153], v[152:153], v[150:151], v[148:149]
	s_delay_alu instid0(VALU_DEP_1) | instskip(NEXT) | instid1(VALU_DEP_1)
	v_fma_f64 v[148:149], v[148:149], v[152:153], v[150:151]
	v_div_scale_f64 v[150:151], null, v[148:149], v[148:149], 1.0
	s_delay_alu instid0(VALU_DEP_1) | instskip(SKIP_2) | instid1(VALU_DEP_1)
	v_rcp_f64_e32 v[154:155], v[150:151]
	s_waitcnt_depctr 0xfff
	v_fma_f64 v[156:157], -v[150:151], v[154:155], 1.0
	v_fma_f64 v[154:155], v[154:155], v[156:157], v[154:155]
	s_delay_alu instid0(VALU_DEP_1) | instskip(NEXT) | instid1(VALU_DEP_1)
	v_fma_f64 v[156:157], -v[150:151], v[154:155], 1.0
	v_fma_f64 v[154:155], v[154:155], v[156:157], v[154:155]
	v_div_scale_f64 v[156:157], vcc_lo, 1.0, v[148:149], 1.0
	s_delay_alu instid0(VALU_DEP_1) | instskip(NEXT) | instid1(VALU_DEP_1)
	v_mul_f64 v[158:159], v[156:157], v[154:155]
	v_fma_f64 v[150:151], -v[150:151], v[158:159], v[156:157]
	s_delay_alu instid0(VALU_DEP_1) | instskip(NEXT) | instid1(VALU_DEP_1)
	v_div_fmas_f64 v[150:151], v[150:151], v[154:155], v[158:159]
	v_div_fixup_f64 v[154:155], v[150:151], v[148:149], 1.0
                                        ; implicit-def: $vgpr148_vgpr149
	s_delay_alu instid0(VALU_DEP_1)
	v_mul_f64 v[156:157], v[152:153], v[154:155]
	v_xor_b32_e32 v155, 0x80000000, v155
.LBB73_86:
	s_and_not1_saveexec_b32 s3, s3
	s_cbranch_execz .LBB73_88
; %bb.87:
	v_div_scale_f64 v[152:153], null, v[148:149], v[148:149], v[150:151]
	v_div_scale_f64 v[158:159], vcc_lo, v[150:151], v[148:149], v[150:151]
	s_delay_alu instid0(VALU_DEP_2) | instskip(SKIP_2) | instid1(VALU_DEP_1)
	v_rcp_f64_e32 v[154:155], v[152:153]
	s_waitcnt_depctr 0xfff
	v_fma_f64 v[156:157], -v[152:153], v[154:155], 1.0
	v_fma_f64 v[154:155], v[154:155], v[156:157], v[154:155]
	s_delay_alu instid0(VALU_DEP_1) | instskip(NEXT) | instid1(VALU_DEP_1)
	v_fma_f64 v[156:157], -v[152:153], v[154:155], 1.0
	v_fma_f64 v[154:155], v[154:155], v[156:157], v[154:155]
	s_delay_alu instid0(VALU_DEP_1) | instskip(NEXT) | instid1(VALU_DEP_1)
	v_mul_f64 v[156:157], v[158:159], v[154:155]
	v_fma_f64 v[152:153], -v[152:153], v[156:157], v[158:159]
	s_delay_alu instid0(VALU_DEP_1) | instskip(NEXT) | instid1(VALU_DEP_1)
	v_div_fmas_f64 v[152:153], v[152:153], v[154:155], v[156:157]
	v_div_fixup_f64 v[152:153], v[152:153], v[148:149], v[150:151]
	s_delay_alu instid0(VALU_DEP_1) | instskip(NEXT) | instid1(VALU_DEP_1)
	v_fma_f64 v[148:149], v[150:151], v[152:153], v[148:149]
	v_div_scale_f64 v[150:151], null, v[148:149], v[148:149], 1.0
	s_delay_alu instid0(VALU_DEP_1) | instskip(SKIP_2) | instid1(VALU_DEP_1)
	v_rcp_f64_e32 v[154:155], v[150:151]
	s_waitcnt_depctr 0xfff
	v_fma_f64 v[156:157], -v[150:151], v[154:155], 1.0
	v_fma_f64 v[154:155], v[154:155], v[156:157], v[154:155]
	s_delay_alu instid0(VALU_DEP_1) | instskip(NEXT) | instid1(VALU_DEP_1)
	v_fma_f64 v[156:157], -v[150:151], v[154:155], 1.0
	v_fma_f64 v[154:155], v[154:155], v[156:157], v[154:155]
	v_div_scale_f64 v[156:157], vcc_lo, 1.0, v[148:149], 1.0
	s_delay_alu instid0(VALU_DEP_1) | instskip(NEXT) | instid1(VALU_DEP_1)
	v_mul_f64 v[158:159], v[156:157], v[154:155]
	v_fma_f64 v[150:151], -v[150:151], v[158:159], v[156:157]
	s_delay_alu instid0(VALU_DEP_1) | instskip(NEXT) | instid1(VALU_DEP_1)
	v_div_fmas_f64 v[150:151], v[150:151], v[154:155], v[158:159]
	v_div_fixup_f64 v[156:157], v[150:151], v[148:149], 1.0
	s_delay_alu instid0(VALU_DEP_1)
	v_mul_f64 v[154:155], v[152:153], -v[156:157]
.LBB73_88:
	s_or_b32 exec_lo, exec_lo, s3
	ds_store_2addr_b64 v189, v[156:157], v[154:155] offset1:1
.LBB73_89:
	s_or_b32 exec_lo, exec_lo, s4
	s_waitcnt lgkmcnt(0)
	s_barrier
	buffer_gl0_inv
	ds_load_2addr_b64 v[148:151], v189 offset1:1
	s_mov_b32 s3, exec_lo
	s_waitcnt lgkmcnt(0)
	scratch_store_b128 off, v[148:151], off offset:200 ; 16-byte Folded Spill
	v_cmpx_lt_u32_e32 9, v188
	s_cbranch_execz .LBB73_91
; %bb.90:
	scratch_load_b128 v[150:153], off, off offset:200 ; 16-byte Folded Reload
	s_waitcnt vmcnt(0)
	v_mul_f64 v[148:149], v[152:153], v[110:111]
	v_mul_f64 v[110:111], v[150:151], v[110:111]
	s_delay_alu instid0(VALU_DEP_2) | instskip(NEXT) | instid1(VALU_DEP_2)
	v_fma_f64 v[148:149], v[150:151], v[108:109], -v[148:149]
	v_fma_f64 v[110:111], v[152:153], v[108:109], v[110:111]
	ds_load_2addr_b64 v[150:153], v192 offset0:20 offset1:21
	s_waitcnt lgkmcnt(0)
	v_mul_f64 v[108:109], v[152:153], v[110:111]
	s_delay_alu instid0(VALU_DEP_1) | instskip(SKIP_1) | instid1(VALU_DEP_2)
	v_fma_f64 v[108:109], v[150:151], v[148:149], -v[108:109]
	v_mul_f64 v[150:151], v[150:151], v[110:111]
	v_add_f64 v[104:105], v[104:105], -v[108:109]
	s_delay_alu instid0(VALU_DEP_2) | instskip(NEXT) | instid1(VALU_DEP_1)
	v_fma_f64 v[150:151], v[152:153], v[148:149], v[150:151]
	v_add_f64 v[106:107], v[106:107], -v[150:151]
	ds_load_2addr_b64 v[150:153], v192 offset0:22 offset1:23
	s_waitcnt lgkmcnt(0)
	v_mul_f64 v[108:109], v[152:153], v[110:111]
	s_delay_alu instid0(VALU_DEP_1) | instskip(SKIP_1) | instid1(VALU_DEP_2)
	v_fma_f64 v[108:109], v[150:151], v[148:149], -v[108:109]
	v_mul_f64 v[150:151], v[150:151], v[110:111]
	v_add_f64 v[100:101], v[100:101], -v[108:109]
	s_delay_alu instid0(VALU_DEP_2) | instskip(NEXT) | instid1(VALU_DEP_1)
	v_fma_f64 v[150:151], v[152:153], v[148:149], v[150:151]
	v_add_f64 v[102:103], v[102:103], -v[150:151]
	;; [unrolled: 10-line block ×26, first 2 shown]
	ds_load_2addr_b64 v[150:153], v192 offset0:72 offset1:73
	s_waitcnt lgkmcnt(0)
	v_mul_f64 v[108:109], v[152:153], v[110:111]
	s_delay_alu instid0(VALU_DEP_1) | instskip(SKIP_1) | instid1(VALU_DEP_2)
	v_fma_f64 v[108:109], v[150:151], v[148:149], -v[108:109]
	v_mul_f64 v[150:151], v[150:151], v[110:111]
	v_add_f64 v[0:1], v[0:1], -v[108:109]
	s_delay_alu instid0(VALU_DEP_2) | instskip(SKIP_1) | instid1(VALU_DEP_2)
	v_fma_f64 v[150:151], v[152:153], v[148:149], v[150:151]
	v_dual_mov_b32 v108, v148 :: v_dual_mov_b32 v109, v149
	v_add_f64 v[2:3], v[2:3], -v[150:151]
.LBB73_91:
	s_or_b32 exec_lo, exec_lo, s3
	s_delay_alu instid0(SALU_CYCLE_1)
	s_mov_b32 s4, exec_lo
	s_waitcnt_vscnt null, 0x0
	s_barrier
	buffer_gl0_inv
	v_cmpx_eq_u32_e32 10, v188
	s_cbranch_execz .LBB73_98
; %bb.92:
	ds_store_2addr_b64 v189, v[104:105], v[106:107] offset1:1
	ds_store_2addr_b64 v192, v[100:101], v[102:103] offset0:22 offset1:23
	ds_store_2addr_b64 v192, v[96:97], v[98:99] offset0:24 offset1:25
	;; [unrolled: 1-line block ×26, first 2 shown]
	ds_load_2addr_b64 v[148:151], v189 offset1:1
	s_waitcnt lgkmcnt(0)
	v_cmp_neq_f64_e32 vcc_lo, 0, v[148:149]
	v_cmp_neq_f64_e64 s3, 0, v[150:151]
	s_delay_alu instid0(VALU_DEP_1) | instskip(NEXT) | instid1(SALU_CYCLE_1)
	s_or_b32 s3, vcc_lo, s3
	s_and_b32 exec_lo, exec_lo, s3
	s_cbranch_execz .LBB73_98
; %bb.93:
	v_cmp_gt_f64_e32 vcc_lo, 0, v[148:149]
	v_xor_b32_e32 v152, 0x80000000, v149
	v_xor_b32_e32 v154, 0x80000000, v151
	s_mov_b32 s3, exec_lo
                                        ; implicit-def: $vgpr156_vgpr157
	s_delay_alu instid0(VALU_DEP_2) | instskip(SKIP_4) | instid1(VALU_DEP_1)
	v_cndmask_b32_e32 v153, v149, v152, vcc_lo
	v_cndmask_b32_e32 v152, v148, v148, vcc_lo
	v_cmp_gt_f64_e32 vcc_lo, 0, v[150:151]
	v_cndmask_b32_e32 v155, v151, v154, vcc_lo
	v_cndmask_b32_e32 v154, v150, v150, vcc_lo
	v_cmpx_ngt_f64_e32 v[152:153], v[154:155]
	s_xor_b32 s3, exec_lo, s3
                                        ; implicit-def: $vgpr152_vgpr153_vgpr154_vgpr155
	s_cbranch_execz .LBB73_95
; %bb.94:
	v_div_scale_f64 v[152:153], null, v[150:151], v[150:151], v[148:149]
	v_div_scale_f64 v[158:159], vcc_lo, v[148:149], v[150:151], v[148:149]
	s_delay_alu instid0(VALU_DEP_2) | instskip(SKIP_2) | instid1(VALU_DEP_1)
	v_rcp_f64_e32 v[154:155], v[152:153]
	s_waitcnt_depctr 0xfff
	v_fma_f64 v[156:157], -v[152:153], v[154:155], 1.0
	v_fma_f64 v[154:155], v[154:155], v[156:157], v[154:155]
	s_delay_alu instid0(VALU_DEP_1) | instskip(NEXT) | instid1(VALU_DEP_1)
	v_fma_f64 v[156:157], -v[152:153], v[154:155], 1.0
	v_fma_f64 v[154:155], v[154:155], v[156:157], v[154:155]
	s_delay_alu instid0(VALU_DEP_1) | instskip(NEXT) | instid1(VALU_DEP_1)
	v_mul_f64 v[156:157], v[158:159], v[154:155]
	v_fma_f64 v[152:153], -v[152:153], v[156:157], v[158:159]
	s_delay_alu instid0(VALU_DEP_1) | instskip(NEXT) | instid1(VALU_DEP_1)
	v_div_fmas_f64 v[152:153], v[152:153], v[154:155], v[156:157]
	v_div_fixup_f64 v[152:153], v[152:153], v[150:151], v[148:149]
	s_delay_alu instid0(VALU_DEP_1) | instskip(NEXT) | instid1(VALU_DEP_1)
	v_fma_f64 v[148:149], v[148:149], v[152:153], v[150:151]
	v_div_scale_f64 v[150:151], null, v[148:149], v[148:149], 1.0
	s_delay_alu instid0(VALU_DEP_1) | instskip(SKIP_2) | instid1(VALU_DEP_1)
	v_rcp_f64_e32 v[154:155], v[150:151]
	s_waitcnt_depctr 0xfff
	v_fma_f64 v[156:157], -v[150:151], v[154:155], 1.0
	v_fma_f64 v[154:155], v[154:155], v[156:157], v[154:155]
	s_delay_alu instid0(VALU_DEP_1) | instskip(NEXT) | instid1(VALU_DEP_1)
	v_fma_f64 v[156:157], -v[150:151], v[154:155], 1.0
	v_fma_f64 v[154:155], v[154:155], v[156:157], v[154:155]
	v_div_scale_f64 v[156:157], vcc_lo, 1.0, v[148:149], 1.0
	s_delay_alu instid0(VALU_DEP_1) | instskip(NEXT) | instid1(VALU_DEP_1)
	v_mul_f64 v[158:159], v[156:157], v[154:155]
	v_fma_f64 v[150:151], -v[150:151], v[158:159], v[156:157]
	s_delay_alu instid0(VALU_DEP_1) | instskip(NEXT) | instid1(VALU_DEP_1)
	v_div_fmas_f64 v[150:151], v[150:151], v[154:155], v[158:159]
	v_div_fixup_f64 v[154:155], v[150:151], v[148:149], 1.0
                                        ; implicit-def: $vgpr148_vgpr149
	s_delay_alu instid0(VALU_DEP_1)
	v_mul_f64 v[156:157], v[152:153], v[154:155]
	v_xor_b32_e32 v155, 0x80000000, v155
.LBB73_95:
	s_and_not1_saveexec_b32 s3, s3
	s_cbranch_execz .LBB73_97
; %bb.96:
	v_div_scale_f64 v[152:153], null, v[148:149], v[148:149], v[150:151]
	v_div_scale_f64 v[158:159], vcc_lo, v[150:151], v[148:149], v[150:151]
	s_delay_alu instid0(VALU_DEP_2) | instskip(SKIP_2) | instid1(VALU_DEP_1)
	v_rcp_f64_e32 v[154:155], v[152:153]
	s_waitcnt_depctr 0xfff
	v_fma_f64 v[156:157], -v[152:153], v[154:155], 1.0
	v_fma_f64 v[154:155], v[154:155], v[156:157], v[154:155]
	s_delay_alu instid0(VALU_DEP_1) | instskip(NEXT) | instid1(VALU_DEP_1)
	v_fma_f64 v[156:157], -v[152:153], v[154:155], 1.0
	v_fma_f64 v[154:155], v[154:155], v[156:157], v[154:155]
	s_delay_alu instid0(VALU_DEP_1) | instskip(NEXT) | instid1(VALU_DEP_1)
	v_mul_f64 v[156:157], v[158:159], v[154:155]
	v_fma_f64 v[152:153], -v[152:153], v[156:157], v[158:159]
	s_delay_alu instid0(VALU_DEP_1) | instskip(NEXT) | instid1(VALU_DEP_1)
	v_div_fmas_f64 v[152:153], v[152:153], v[154:155], v[156:157]
	v_div_fixup_f64 v[152:153], v[152:153], v[148:149], v[150:151]
	s_delay_alu instid0(VALU_DEP_1) | instskip(NEXT) | instid1(VALU_DEP_1)
	v_fma_f64 v[148:149], v[150:151], v[152:153], v[148:149]
	v_div_scale_f64 v[150:151], null, v[148:149], v[148:149], 1.0
	s_delay_alu instid0(VALU_DEP_1) | instskip(SKIP_2) | instid1(VALU_DEP_1)
	v_rcp_f64_e32 v[154:155], v[150:151]
	s_waitcnt_depctr 0xfff
	v_fma_f64 v[156:157], -v[150:151], v[154:155], 1.0
	v_fma_f64 v[154:155], v[154:155], v[156:157], v[154:155]
	s_delay_alu instid0(VALU_DEP_1) | instskip(NEXT) | instid1(VALU_DEP_1)
	v_fma_f64 v[156:157], -v[150:151], v[154:155], 1.0
	v_fma_f64 v[154:155], v[154:155], v[156:157], v[154:155]
	v_div_scale_f64 v[156:157], vcc_lo, 1.0, v[148:149], 1.0
	s_delay_alu instid0(VALU_DEP_1) | instskip(NEXT) | instid1(VALU_DEP_1)
	v_mul_f64 v[158:159], v[156:157], v[154:155]
	v_fma_f64 v[150:151], -v[150:151], v[158:159], v[156:157]
	s_delay_alu instid0(VALU_DEP_1) | instskip(NEXT) | instid1(VALU_DEP_1)
	v_div_fmas_f64 v[150:151], v[150:151], v[154:155], v[158:159]
	v_div_fixup_f64 v[156:157], v[150:151], v[148:149], 1.0
	s_delay_alu instid0(VALU_DEP_1)
	v_mul_f64 v[154:155], v[152:153], -v[156:157]
.LBB73_97:
	s_or_b32 exec_lo, exec_lo, s3
	ds_store_2addr_b64 v189, v[156:157], v[154:155] offset1:1
.LBB73_98:
	s_or_b32 exec_lo, exec_lo, s4
	s_waitcnt lgkmcnt(0)
	s_barrier
	buffer_gl0_inv
	ds_load_2addr_b64 v[148:151], v189 offset1:1
	s_mov_b32 s3, exec_lo
	s_waitcnt lgkmcnt(0)
	scratch_store_b128 off, v[148:151], off offset:216 ; 16-byte Folded Spill
	v_cmpx_lt_u32_e32 10, v188
	s_cbranch_execz .LBB73_100
; %bb.99:
	scratch_load_b128 v[150:153], off, off offset:216 ; 16-byte Folded Reload
	s_waitcnt vmcnt(0)
	v_mul_f64 v[148:149], v[152:153], v[106:107]
	v_mul_f64 v[106:107], v[150:151], v[106:107]
	s_delay_alu instid0(VALU_DEP_2) | instskip(NEXT) | instid1(VALU_DEP_2)
	v_fma_f64 v[148:149], v[150:151], v[104:105], -v[148:149]
	v_fma_f64 v[106:107], v[152:153], v[104:105], v[106:107]
	ds_load_2addr_b64 v[150:153], v192 offset0:22 offset1:23
	s_waitcnt lgkmcnt(0)
	v_mul_f64 v[104:105], v[152:153], v[106:107]
	s_delay_alu instid0(VALU_DEP_1) | instskip(SKIP_1) | instid1(VALU_DEP_2)
	v_fma_f64 v[104:105], v[150:151], v[148:149], -v[104:105]
	v_mul_f64 v[150:151], v[150:151], v[106:107]
	v_add_f64 v[100:101], v[100:101], -v[104:105]
	s_delay_alu instid0(VALU_DEP_2) | instskip(NEXT) | instid1(VALU_DEP_1)
	v_fma_f64 v[150:151], v[152:153], v[148:149], v[150:151]
	v_add_f64 v[102:103], v[102:103], -v[150:151]
	ds_load_2addr_b64 v[150:153], v192 offset0:24 offset1:25
	s_waitcnt lgkmcnt(0)
	v_mul_f64 v[104:105], v[152:153], v[106:107]
	s_delay_alu instid0(VALU_DEP_1) | instskip(SKIP_1) | instid1(VALU_DEP_2)
	v_fma_f64 v[104:105], v[150:151], v[148:149], -v[104:105]
	v_mul_f64 v[150:151], v[150:151], v[106:107]
	v_add_f64 v[96:97], v[96:97], -v[104:105]
	s_delay_alu instid0(VALU_DEP_2) | instskip(NEXT) | instid1(VALU_DEP_1)
	v_fma_f64 v[150:151], v[152:153], v[148:149], v[150:151]
	v_add_f64 v[98:99], v[98:99], -v[150:151]
	;; [unrolled: 10-line block ×25, first 2 shown]
	ds_load_2addr_b64 v[150:153], v192 offset0:72 offset1:73
	s_waitcnt lgkmcnt(0)
	v_mul_f64 v[104:105], v[152:153], v[106:107]
	s_delay_alu instid0(VALU_DEP_1) | instskip(SKIP_1) | instid1(VALU_DEP_2)
	v_fma_f64 v[104:105], v[150:151], v[148:149], -v[104:105]
	v_mul_f64 v[150:151], v[150:151], v[106:107]
	v_add_f64 v[0:1], v[0:1], -v[104:105]
	s_delay_alu instid0(VALU_DEP_2) | instskip(SKIP_1) | instid1(VALU_DEP_2)
	v_fma_f64 v[150:151], v[152:153], v[148:149], v[150:151]
	v_dual_mov_b32 v104, v148 :: v_dual_mov_b32 v105, v149
	v_add_f64 v[2:3], v[2:3], -v[150:151]
.LBB73_100:
	s_or_b32 exec_lo, exec_lo, s3
	s_delay_alu instid0(SALU_CYCLE_1)
	s_mov_b32 s4, exec_lo
	s_waitcnt_vscnt null, 0x0
	s_barrier
	buffer_gl0_inv
	v_cmpx_eq_u32_e32 11, v188
	s_cbranch_execz .LBB73_107
; %bb.101:
	ds_store_2addr_b64 v189, v[100:101], v[102:103] offset1:1
	ds_store_2addr_b64 v192, v[96:97], v[98:99] offset0:24 offset1:25
	ds_store_2addr_b64 v192, v[92:93], v[94:95] offset0:26 offset1:27
	;; [unrolled: 1-line block ×25, first 2 shown]
	ds_load_2addr_b64 v[148:151], v189 offset1:1
	s_waitcnt lgkmcnt(0)
	v_cmp_neq_f64_e32 vcc_lo, 0, v[148:149]
	v_cmp_neq_f64_e64 s3, 0, v[150:151]
	s_delay_alu instid0(VALU_DEP_1) | instskip(NEXT) | instid1(SALU_CYCLE_1)
	s_or_b32 s3, vcc_lo, s3
	s_and_b32 exec_lo, exec_lo, s3
	s_cbranch_execz .LBB73_107
; %bb.102:
	v_cmp_gt_f64_e32 vcc_lo, 0, v[148:149]
	v_xor_b32_e32 v152, 0x80000000, v149
	v_xor_b32_e32 v154, 0x80000000, v151
	s_mov_b32 s3, exec_lo
                                        ; implicit-def: $vgpr156_vgpr157
	s_delay_alu instid0(VALU_DEP_2) | instskip(SKIP_4) | instid1(VALU_DEP_1)
	v_cndmask_b32_e32 v153, v149, v152, vcc_lo
	v_cndmask_b32_e32 v152, v148, v148, vcc_lo
	v_cmp_gt_f64_e32 vcc_lo, 0, v[150:151]
	v_cndmask_b32_e32 v155, v151, v154, vcc_lo
	v_cndmask_b32_e32 v154, v150, v150, vcc_lo
	v_cmpx_ngt_f64_e32 v[152:153], v[154:155]
	s_xor_b32 s3, exec_lo, s3
                                        ; implicit-def: $vgpr152_vgpr153_vgpr154_vgpr155
	s_cbranch_execz .LBB73_104
; %bb.103:
	v_div_scale_f64 v[152:153], null, v[150:151], v[150:151], v[148:149]
	v_div_scale_f64 v[158:159], vcc_lo, v[148:149], v[150:151], v[148:149]
	s_delay_alu instid0(VALU_DEP_2) | instskip(SKIP_2) | instid1(VALU_DEP_1)
	v_rcp_f64_e32 v[154:155], v[152:153]
	s_waitcnt_depctr 0xfff
	v_fma_f64 v[156:157], -v[152:153], v[154:155], 1.0
	v_fma_f64 v[154:155], v[154:155], v[156:157], v[154:155]
	s_delay_alu instid0(VALU_DEP_1) | instskip(NEXT) | instid1(VALU_DEP_1)
	v_fma_f64 v[156:157], -v[152:153], v[154:155], 1.0
	v_fma_f64 v[154:155], v[154:155], v[156:157], v[154:155]
	s_delay_alu instid0(VALU_DEP_1) | instskip(NEXT) | instid1(VALU_DEP_1)
	v_mul_f64 v[156:157], v[158:159], v[154:155]
	v_fma_f64 v[152:153], -v[152:153], v[156:157], v[158:159]
	s_delay_alu instid0(VALU_DEP_1) | instskip(NEXT) | instid1(VALU_DEP_1)
	v_div_fmas_f64 v[152:153], v[152:153], v[154:155], v[156:157]
	v_div_fixup_f64 v[152:153], v[152:153], v[150:151], v[148:149]
	s_delay_alu instid0(VALU_DEP_1) | instskip(NEXT) | instid1(VALU_DEP_1)
	v_fma_f64 v[148:149], v[148:149], v[152:153], v[150:151]
	v_div_scale_f64 v[150:151], null, v[148:149], v[148:149], 1.0
	s_delay_alu instid0(VALU_DEP_1) | instskip(SKIP_2) | instid1(VALU_DEP_1)
	v_rcp_f64_e32 v[154:155], v[150:151]
	s_waitcnt_depctr 0xfff
	v_fma_f64 v[156:157], -v[150:151], v[154:155], 1.0
	v_fma_f64 v[154:155], v[154:155], v[156:157], v[154:155]
	s_delay_alu instid0(VALU_DEP_1) | instskip(NEXT) | instid1(VALU_DEP_1)
	v_fma_f64 v[156:157], -v[150:151], v[154:155], 1.0
	v_fma_f64 v[154:155], v[154:155], v[156:157], v[154:155]
	v_div_scale_f64 v[156:157], vcc_lo, 1.0, v[148:149], 1.0
	s_delay_alu instid0(VALU_DEP_1) | instskip(NEXT) | instid1(VALU_DEP_1)
	v_mul_f64 v[158:159], v[156:157], v[154:155]
	v_fma_f64 v[150:151], -v[150:151], v[158:159], v[156:157]
	s_delay_alu instid0(VALU_DEP_1) | instskip(NEXT) | instid1(VALU_DEP_1)
	v_div_fmas_f64 v[150:151], v[150:151], v[154:155], v[158:159]
	v_div_fixup_f64 v[154:155], v[150:151], v[148:149], 1.0
                                        ; implicit-def: $vgpr148_vgpr149
	s_delay_alu instid0(VALU_DEP_1)
	v_mul_f64 v[156:157], v[152:153], v[154:155]
	v_xor_b32_e32 v155, 0x80000000, v155
.LBB73_104:
	s_and_not1_saveexec_b32 s3, s3
	s_cbranch_execz .LBB73_106
; %bb.105:
	v_div_scale_f64 v[152:153], null, v[148:149], v[148:149], v[150:151]
	v_div_scale_f64 v[158:159], vcc_lo, v[150:151], v[148:149], v[150:151]
	s_delay_alu instid0(VALU_DEP_2) | instskip(SKIP_2) | instid1(VALU_DEP_1)
	v_rcp_f64_e32 v[154:155], v[152:153]
	s_waitcnt_depctr 0xfff
	v_fma_f64 v[156:157], -v[152:153], v[154:155], 1.0
	v_fma_f64 v[154:155], v[154:155], v[156:157], v[154:155]
	s_delay_alu instid0(VALU_DEP_1) | instskip(NEXT) | instid1(VALU_DEP_1)
	v_fma_f64 v[156:157], -v[152:153], v[154:155], 1.0
	v_fma_f64 v[154:155], v[154:155], v[156:157], v[154:155]
	s_delay_alu instid0(VALU_DEP_1) | instskip(NEXT) | instid1(VALU_DEP_1)
	v_mul_f64 v[156:157], v[158:159], v[154:155]
	v_fma_f64 v[152:153], -v[152:153], v[156:157], v[158:159]
	s_delay_alu instid0(VALU_DEP_1) | instskip(NEXT) | instid1(VALU_DEP_1)
	v_div_fmas_f64 v[152:153], v[152:153], v[154:155], v[156:157]
	v_div_fixup_f64 v[152:153], v[152:153], v[148:149], v[150:151]
	s_delay_alu instid0(VALU_DEP_1) | instskip(NEXT) | instid1(VALU_DEP_1)
	v_fma_f64 v[148:149], v[150:151], v[152:153], v[148:149]
	v_div_scale_f64 v[150:151], null, v[148:149], v[148:149], 1.0
	s_delay_alu instid0(VALU_DEP_1) | instskip(SKIP_2) | instid1(VALU_DEP_1)
	v_rcp_f64_e32 v[154:155], v[150:151]
	s_waitcnt_depctr 0xfff
	v_fma_f64 v[156:157], -v[150:151], v[154:155], 1.0
	v_fma_f64 v[154:155], v[154:155], v[156:157], v[154:155]
	s_delay_alu instid0(VALU_DEP_1) | instskip(NEXT) | instid1(VALU_DEP_1)
	v_fma_f64 v[156:157], -v[150:151], v[154:155], 1.0
	v_fma_f64 v[154:155], v[154:155], v[156:157], v[154:155]
	v_div_scale_f64 v[156:157], vcc_lo, 1.0, v[148:149], 1.0
	s_delay_alu instid0(VALU_DEP_1) | instskip(NEXT) | instid1(VALU_DEP_1)
	v_mul_f64 v[158:159], v[156:157], v[154:155]
	v_fma_f64 v[150:151], -v[150:151], v[158:159], v[156:157]
	s_delay_alu instid0(VALU_DEP_1) | instskip(NEXT) | instid1(VALU_DEP_1)
	v_div_fmas_f64 v[150:151], v[150:151], v[154:155], v[158:159]
	v_div_fixup_f64 v[156:157], v[150:151], v[148:149], 1.0
	s_delay_alu instid0(VALU_DEP_1)
	v_mul_f64 v[154:155], v[152:153], -v[156:157]
.LBB73_106:
	s_or_b32 exec_lo, exec_lo, s3
	ds_store_2addr_b64 v189, v[156:157], v[154:155] offset1:1
.LBB73_107:
	s_or_b32 exec_lo, exec_lo, s4
	s_waitcnt lgkmcnt(0)
	s_barrier
	buffer_gl0_inv
	ds_load_2addr_b64 v[148:151], v189 offset1:1
	s_mov_b32 s3, exec_lo
	s_waitcnt lgkmcnt(0)
	scratch_store_b128 off, v[148:151], off offset:232 ; 16-byte Folded Spill
	v_cmpx_lt_u32_e32 11, v188
	s_cbranch_execz .LBB73_109
; %bb.108:
	scratch_load_b128 v[150:153], off, off offset:232 ; 16-byte Folded Reload
	s_waitcnt vmcnt(0)
	v_mul_f64 v[148:149], v[152:153], v[102:103]
	v_mul_f64 v[102:103], v[150:151], v[102:103]
	s_delay_alu instid0(VALU_DEP_2) | instskip(NEXT) | instid1(VALU_DEP_2)
	v_fma_f64 v[148:149], v[150:151], v[100:101], -v[148:149]
	v_fma_f64 v[102:103], v[152:153], v[100:101], v[102:103]
	ds_load_2addr_b64 v[150:153], v192 offset0:24 offset1:25
	s_waitcnt lgkmcnt(0)
	v_mul_f64 v[100:101], v[152:153], v[102:103]
	s_delay_alu instid0(VALU_DEP_1) | instskip(SKIP_1) | instid1(VALU_DEP_2)
	v_fma_f64 v[100:101], v[150:151], v[148:149], -v[100:101]
	v_mul_f64 v[150:151], v[150:151], v[102:103]
	v_add_f64 v[96:97], v[96:97], -v[100:101]
	s_delay_alu instid0(VALU_DEP_2) | instskip(NEXT) | instid1(VALU_DEP_1)
	v_fma_f64 v[150:151], v[152:153], v[148:149], v[150:151]
	v_add_f64 v[98:99], v[98:99], -v[150:151]
	ds_load_2addr_b64 v[150:153], v192 offset0:26 offset1:27
	s_waitcnt lgkmcnt(0)
	v_mul_f64 v[100:101], v[152:153], v[102:103]
	s_delay_alu instid0(VALU_DEP_1) | instskip(SKIP_1) | instid1(VALU_DEP_2)
	v_fma_f64 v[100:101], v[150:151], v[148:149], -v[100:101]
	v_mul_f64 v[150:151], v[150:151], v[102:103]
	v_add_f64 v[92:93], v[92:93], -v[100:101]
	s_delay_alu instid0(VALU_DEP_2) | instskip(NEXT) | instid1(VALU_DEP_1)
	v_fma_f64 v[150:151], v[152:153], v[148:149], v[150:151]
	v_add_f64 v[94:95], v[94:95], -v[150:151]
	;; [unrolled: 10-line block ×24, first 2 shown]
	ds_load_2addr_b64 v[150:153], v192 offset0:72 offset1:73
	s_waitcnt lgkmcnt(0)
	v_mul_f64 v[100:101], v[152:153], v[102:103]
	s_delay_alu instid0(VALU_DEP_1) | instskip(SKIP_1) | instid1(VALU_DEP_2)
	v_fma_f64 v[100:101], v[150:151], v[148:149], -v[100:101]
	v_mul_f64 v[150:151], v[150:151], v[102:103]
	v_add_f64 v[0:1], v[0:1], -v[100:101]
	s_delay_alu instid0(VALU_DEP_2) | instskip(SKIP_1) | instid1(VALU_DEP_2)
	v_fma_f64 v[150:151], v[152:153], v[148:149], v[150:151]
	v_dual_mov_b32 v100, v148 :: v_dual_mov_b32 v101, v149
	v_add_f64 v[2:3], v[2:3], -v[150:151]
.LBB73_109:
	s_or_b32 exec_lo, exec_lo, s3
	s_delay_alu instid0(SALU_CYCLE_1)
	s_mov_b32 s4, exec_lo
	s_waitcnt_vscnt null, 0x0
	s_barrier
	buffer_gl0_inv
	v_cmpx_eq_u32_e32 12, v188
	s_cbranch_execz .LBB73_116
; %bb.110:
	ds_store_2addr_b64 v189, v[96:97], v[98:99] offset1:1
	ds_store_2addr_b64 v192, v[92:93], v[94:95] offset0:26 offset1:27
	ds_store_2addr_b64 v192, v[88:89], v[90:91] offset0:28 offset1:29
	;; [unrolled: 1-line block ×24, first 2 shown]
	ds_load_2addr_b64 v[148:151], v189 offset1:1
	s_waitcnt lgkmcnt(0)
	v_cmp_neq_f64_e32 vcc_lo, 0, v[148:149]
	v_cmp_neq_f64_e64 s3, 0, v[150:151]
	s_delay_alu instid0(VALU_DEP_1) | instskip(NEXT) | instid1(SALU_CYCLE_1)
	s_or_b32 s3, vcc_lo, s3
	s_and_b32 exec_lo, exec_lo, s3
	s_cbranch_execz .LBB73_116
; %bb.111:
	v_cmp_gt_f64_e32 vcc_lo, 0, v[148:149]
	v_xor_b32_e32 v152, 0x80000000, v149
	v_xor_b32_e32 v154, 0x80000000, v151
	s_mov_b32 s3, exec_lo
                                        ; implicit-def: $vgpr156_vgpr157
	s_delay_alu instid0(VALU_DEP_2) | instskip(SKIP_4) | instid1(VALU_DEP_1)
	v_cndmask_b32_e32 v153, v149, v152, vcc_lo
	v_cndmask_b32_e32 v152, v148, v148, vcc_lo
	v_cmp_gt_f64_e32 vcc_lo, 0, v[150:151]
	v_cndmask_b32_e32 v155, v151, v154, vcc_lo
	v_cndmask_b32_e32 v154, v150, v150, vcc_lo
	v_cmpx_ngt_f64_e32 v[152:153], v[154:155]
	s_xor_b32 s3, exec_lo, s3
                                        ; implicit-def: $vgpr152_vgpr153_vgpr154_vgpr155
	s_cbranch_execz .LBB73_113
; %bb.112:
	v_div_scale_f64 v[152:153], null, v[150:151], v[150:151], v[148:149]
	v_div_scale_f64 v[158:159], vcc_lo, v[148:149], v[150:151], v[148:149]
	s_delay_alu instid0(VALU_DEP_2) | instskip(SKIP_2) | instid1(VALU_DEP_1)
	v_rcp_f64_e32 v[154:155], v[152:153]
	s_waitcnt_depctr 0xfff
	v_fma_f64 v[156:157], -v[152:153], v[154:155], 1.0
	v_fma_f64 v[154:155], v[154:155], v[156:157], v[154:155]
	s_delay_alu instid0(VALU_DEP_1) | instskip(NEXT) | instid1(VALU_DEP_1)
	v_fma_f64 v[156:157], -v[152:153], v[154:155], 1.0
	v_fma_f64 v[154:155], v[154:155], v[156:157], v[154:155]
	s_delay_alu instid0(VALU_DEP_1) | instskip(NEXT) | instid1(VALU_DEP_1)
	v_mul_f64 v[156:157], v[158:159], v[154:155]
	v_fma_f64 v[152:153], -v[152:153], v[156:157], v[158:159]
	s_delay_alu instid0(VALU_DEP_1) | instskip(NEXT) | instid1(VALU_DEP_1)
	v_div_fmas_f64 v[152:153], v[152:153], v[154:155], v[156:157]
	v_div_fixup_f64 v[152:153], v[152:153], v[150:151], v[148:149]
	s_delay_alu instid0(VALU_DEP_1) | instskip(NEXT) | instid1(VALU_DEP_1)
	v_fma_f64 v[148:149], v[148:149], v[152:153], v[150:151]
	v_div_scale_f64 v[150:151], null, v[148:149], v[148:149], 1.0
	s_delay_alu instid0(VALU_DEP_1) | instskip(SKIP_2) | instid1(VALU_DEP_1)
	v_rcp_f64_e32 v[154:155], v[150:151]
	s_waitcnt_depctr 0xfff
	v_fma_f64 v[156:157], -v[150:151], v[154:155], 1.0
	v_fma_f64 v[154:155], v[154:155], v[156:157], v[154:155]
	s_delay_alu instid0(VALU_DEP_1) | instskip(NEXT) | instid1(VALU_DEP_1)
	v_fma_f64 v[156:157], -v[150:151], v[154:155], 1.0
	v_fma_f64 v[154:155], v[154:155], v[156:157], v[154:155]
	v_div_scale_f64 v[156:157], vcc_lo, 1.0, v[148:149], 1.0
	s_delay_alu instid0(VALU_DEP_1) | instskip(NEXT) | instid1(VALU_DEP_1)
	v_mul_f64 v[158:159], v[156:157], v[154:155]
	v_fma_f64 v[150:151], -v[150:151], v[158:159], v[156:157]
	s_delay_alu instid0(VALU_DEP_1) | instskip(NEXT) | instid1(VALU_DEP_1)
	v_div_fmas_f64 v[150:151], v[150:151], v[154:155], v[158:159]
	v_div_fixup_f64 v[154:155], v[150:151], v[148:149], 1.0
                                        ; implicit-def: $vgpr148_vgpr149
	s_delay_alu instid0(VALU_DEP_1)
	v_mul_f64 v[156:157], v[152:153], v[154:155]
	v_xor_b32_e32 v155, 0x80000000, v155
.LBB73_113:
	s_and_not1_saveexec_b32 s3, s3
	s_cbranch_execz .LBB73_115
; %bb.114:
	v_div_scale_f64 v[152:153], null, v[148:149], v[148:149], v[150:151]
	v_div_scale_f64 v[158:159], vcc_lo, v[150:151], v[148:149], v[150:151]
	s_delay_alu instid0(VALU_DEP_2) | instskip(SKIP_2) | instid1(VALU_DEP_1)
	v_rcp_f64_e32 v[154:155], v[152:153]
	s_waitcnt_depctr 0xfff
	v_fma_f64 v[156:157], -v[152:153], v[154:155], 1.0
	v_fma_f64 v[154:155], v[154:155], v[156:157], v[154:155]
	s_delay_alu instid0(VALU_DEP_1) | instskip(NEXT) | instid1(VALU_DEP_1)
	v_fma_f64 v[156:157], -v[152:153], v[154:155], 1.0
	v_fma_f64 v[154:155], v[154:155], v[156:157], v[154:155]
	s_delay_alu instid0(VALU_DEP_1) | instskip(NEXT) | instid1(VALU_DEP_1)
	v_mul_f64 v[156:157], v[158:159], v[154:155]
	v_fma_f64 v[152:153], -v[152:153], v[156:157], v[158:159]
	s_delay_alu instid0(VALU_DEP_1) | instskip(NEXT) | instid1(VALU_DEP_1)
	v_div_fmas_f64 v[152:153], v[152:153], v[154:155], v[156:157]
	v_div_fixup_f64 v[152:153], v[152:153], v[148:149], v[150:151]
	s_delay_alu instid0(VALU_DEP_1) | instskip(NEXT) | instid1(VALU_DEP_1)
	v_fma_f64 v[148:149], v[150:151], v[152:153], v[148:149]
	v_div_scale_f64 v[150:151], null, v[148:149], v[148:149], 1.0
	s_delay_alu instid0(VALU_DEP_1) | instskip(SKIP_2) | instid1(VALU_DEP_1)
	v_rcp_f64_e32 v[154:155], v[150:151]
	s_waitcnt_depctr 0xfff
	v_fma_f64 v[156:157], -v[150:151], v[154:155], 1.0
	v_fma_f64 v[154:155], v[154:155], v[156:157], v[154:155]
	s_delay_alu instid0(VALU_DEP_1) | instskip(NEXT) | instid1(VALU_DEP_1)
	v_fma_f64 v[156:157], -v[150:151], v[154:155], 1.0
	v_fma_f64 v[154:155], v[154:155], v[156:157], v[154:155]
	v_div_scale_f64 v[156:157], vcc_lo, 1.0, v[148:149], 1.0
	s_delay_alu instid0(VALU_DEP_1) | instskip(NEXT) | instid1(VALU_DEP_1)
	v_mul_f64 v[158:159], v[156:157], v[154:155]
	v_fma_f64 v[150:151], -v[150:151], v[158:159], v[156:157]
	s_delay_alu instid0(VALU_DEP_1) | instskip(NEXT) | instid1(VALU_DEP_1)
	v_div_fmas_f64 v[150:151], v[150:151], v[154:155], v[158:159]
	v_div_fixup_f64 v[156:157], v[150:151], v[148:149], 1.0
	s_delay_alu instid0(VALU_DEP_1)
	v_mul_f64 v[154:155], v[152:153], -v[156:157]
.LBB73_115:
	s_or_b32 exec_lo, exec_lo, s3
	ds_store_2addr_b64 v189, v[156:157], v[154:155] offset1:1
.LBB73_116:
	s_or_b32 exec_lo, exec_lo, s4
	s_waitcnt lgkmcnt(0)
	s_barrier
	buffer_gl0_inv
	ds_load_2addr_b64 v[148:151], v189 offset1:1
	s_mov_b32 s3, exec_lo
	s_waitcnt lgkmcnt(0)
	scratch_store_b128 off, v[148:151], off offset:248 ; 16-byte Folded Spill
	v_cmpx_lt_u32_e32 12, v188
	s_cbranch_execz .LBB73_118
; %bb.117:
	scratch_load_b128 v[150:153], off, off offset:248 ; 16-byte Folded Reload
	s_waitcnt vmcnt(0)
	v_mul_f64 v[148:149], v[152:153], v[98:99]
	v_mul_f64 v[98:99], v[150:151], v[98:99]
	s_delay_alu instid0(VALU_DEP_2) | instskip(NEXT) | instid1(VALU_DEP_2)
	v_fma_f64 v[148:149], v[150:151], v[96:97], -v[148:149]
	v_fma_f64 v[98:99], v[152:153], v[96:97], v[98:99]
	ds_load_2addr_b64 v[150:153], v192 offset0:26 offset1:27
	s_waitcnt lgkmcnt(0)
	v_mul_f64 v[96:97], v[152:153], v[98:99]
	s_delay_alu instid0(VALU_DEP_1) | instskip(SKIP_1) | instid1(VALU_DEP_2)
	v_fma_f64 v[96:97], v[150:151], v[148:149], -v[96:97]
	v_mul_f64 v[150:151], v[150:151], v[98:99]
	v_add_f64 v[92:93], v[92:93], -v[96:97]
	s_delay_alu instid0(VALU_DEP_2) | instskip(NEXT) | instid1(VALU_DEP_1)
	v_fma_f64 v[150:151], v[152:153], v[148:149], v[150:151]
	v_add_f64 v[94:95], v[94:95], -v[150:151]
	ds_load_2addr_b64 v[150:153], v192 offset0:28 offset1:29
	s_waitcnt lgkmcnt(0)
	v_mul_f64 v[96:97], v[152:153], v[98:99]
	s_delay_alu instid0(VALU_DEP_1) | instskip(SKIP_1) | instid1(VALU_DEP_2)
	v_fma_f64 v[96:97], v[150:151], v[148:149], -v[96:97]
	v_mul_f64 v[150:151], v[150:151], v[98:99]
	v_add_f64 v[88:89], v[88:89], -v[96:97]
	s_delay_alu instid0(VALU_DEP_2) | instskip(NEXT) | instid1(VALU_DEP_1)
	v_fma_f64 v[150:151], v[152:153], v[148:149], v[150:151]
	v_add_f64 v[90:91], v[90:91], -v[150:151]
	;; [unrolled: 10-line block ×23, first 2 shown]
	ds_load_2addr_b64 v[150:153], v192 offset0:72 offset1:73
	s_waitcnt lgkmcnt(0)
	v_mul_f64 v[96:97], v[152:153], v[98:99]
	s_delay_alu instid0(VALU_DEP_1) | instskip(SKIP_1) | instid1(VALU_DEP_2)
	v_fma_f64 v[96:97], v[150:151], v[148:149], -v[96:97]
	v_mul_f64 v[150:151], v[150:151], v[98:99]
	v_add_f64 v[0:1], v[0:1], -v[96:97]
	s_delay_alu instid0(VALU_DEP_2) | instskip(SKIP_1) | instid1(VALU_DEP_2)
	v_fma_f64 v[150:151], v[152:153], v[148:149], v[150:151]
	v_dual_mov_b32 v96, v148 :: v_dual_mov_b32 v97, v149
	v_add_f64 v[2:3], v[2:3], -v[150:151]
.LBB73_118:
	s_or_b32 exec_lo, exec_lo, s3
	s_delay_alu instid0(SALU_CYCLE_1)
	s_mov_b32 s4, exec_lo
	s_waitcnt_vscnt null, 0x0
	s_barrier
	buffer_gl0_inv
	v_cmpx_eq_u32_e32 13, v188
	s_cbranch_execz .LBB73_125
; %bb.119:
	ds_store_2addr_b64 v189, v[92:93], v[94:95] offset1:1
	ds_store_2addr_b64 v192, v[88:89], v[90:91] offset0:28 offset1:29
	ds_store_2addr_b64 v192, v[84:85], v[86:87] offset0:30 offset1:31
	;; [unrolled: 1-line block ×23, first 2 shown]
	ds_load_2addr_b64 v[148:151], v189 offset1:1
	s_waitcnt lgkmcnt(0)
	v_cmp_neq_f64_e32 vcc_lo, 0, v[148:149]
	v_cmp_neq_f64_e64 s3, 0, v[150:151]
	s_delay_alu instid0(VALU_DEP_1) | instskip(NEXT) | instid1(SALU_CYCLE_1)
	s_or_b32 s3, vcc_lo, s3
	s_and_b32 exec_lo, exec_lo, s3
	s_cbranch_execz .LBB73_125
; %bb.120:
	v_cmp_gt_f64_e32 vcc_lo, 0, v[148:149]
	v_xor_b32_e32 v152, 0x80000000, v149
	v_xor_b32_e32 v154, 0x80000000, v151
	s_mov_b32 s3, exec_lo
                                        ; implicit-def: $vgpr156_vgpr157
	s_delay_alu instid0(VALU_DEP_2) | instskip(SKIP_4) | instid1(VALU_DEP_1)
	v_cndmask_b32_e32 v153, v149, v152, vcc_lo
	v_cndmask_b32_e32 v152, v148, v148, vcc_lo
	v_cmp_gt_f64_e32 vcc_lo, 0, v[150:151]
	v_cndmask_b32_e32 v155, v151, v154, vcc_lo
	v_cndmask_b32_e32 v154, v150, v150, vcc_lo
	v_cmpx_ngt_f64_e32 v[152:153], v[154:155]
	s_xor_b32 s3, exec_lo, s3
                                        ; implicit-def: $vgpr152_vgpr153_vgpr154_vgpr155
	s_cbranch_execz .LBB73_122
; %bb.121:
	v_div_scale_f64 v[152:153], null, v[150:151], v[150:151], v[148:149]
	v_div_scale_f64 v[158:159], vcc_lo, v[148:149], v[150:151], v[148:149]
	s_delay_alu instid0(VALU_DEP_2) | instskip(SKIP_2) | instid1(VALU_DEP_1)
	v_rcp_f64_e32 v[154:155], v[152:153]
	s_waitcnt_depctr 0xfff
	v_fma_f64 v[156:157], -v[152:153], v[154:155], 1.0
	v_fma_f64 v[154:155], v[154:155], v[156:157], v[154:155]
	s_delay_alu instid0(VALU_DEP_1) | instskip(NEXT) | instid1(VALU_DEP_1)
	v_fma_f64 v[156:157], -v[152:153], v[154:155], 1.0
	v_fma_f64 v[154:155], v[154:155], v[156:157], v[154:155]
	s_delay_alu instid0(VALU_DEP_1) | instskip(NEXT) | instid1(VALU_DEP_1)
	v_mul_f64 v[156:157], v[158:159], v[154:155]
	v_fma_f64 v[152:153], -v[152:153], v[156:157], v[158:159]
	s_delay_alu instid0(VALU_DEP_1) | instskip(NEXT) | instid1(VALU_DEP_1)
	v_div_fmas_f64 v[152:153], v[152:153], v[154:155], v[156:157]
	v_div_fixup_f64 v[152:153], v[152:153], v[150:151], v[148:149]
	s_delay_alu instid0(VALU_DEP_1) | instskip(NEXT) | instid1(VALU_DEP_1)
	v_fma_f64 v[148:149], v[148:149], v[152:153], v[150:151]
	v_div_scale_f64 v[150:151], null, v[148:149], v[148:149], 1.0
	s_delay_alu instid0(VALU_DEP_1) | instskip(SKIP_2) | instid1(VALU_DEP_1)
	v_rcp_f64_e32 v[154:155], v[150:151]
	s_waitcnt_depctr 0xfff
	v_fma_f64 v[156:157], -v[150:151], v[154:155], 1.0
	v_fma_f64 v[154:155], v[154:155], v[156:157], v[154:155]
	s_delay_alu instid0(VALU_DEP_1) | instskip(NEXT) | instid1(VALU_DEP_1)
	v_fma_f64 v[156:157], -v[150:151], v[154:155], 1.0
	v_fma_f64 v[154:155], v[154:155], v[156:157], v[154:155]
	v_div_scale_f64 v[156:157], vcc_lo, 1.0, v[148:149], 1.0
	s_delay_alu instid0(VALU_DEP_1) | instskip(NEXT) | instid1(VALU_DEP_1)
	v_mul_f64 v[158:159], v[156:157], v[154:155]
	v_fma_f64 v[150:151], -v[150:151], v[158:159], v[156:157]
	s_delay_alu instid0(VALU_DEP_1) | instskip(NEXT) | instid1(VALU_DEP_1)
	v_div_fmas_f64 v[150:151], v[150:151], v[154:155], v[158:159]
	v_div_fixup_f64 v[154:155], v[150:151], v[148:149], 1.0
                                        ; implicit-def: $vgpr148_vgpr149
	s_delay_alu instid0(VALU_DEP_1)
	v_mul_f64 v[156:157], v[152:153], v[154:155]
	v_xor_b32_e32 v155, 0x80000000, v155
.LBB73_122:
	s_and_not1_saveexec_b32 s3, s3
	s_cbranch_execz .LBB73_124
; %bb.123:
	v_div_scale_f64 v[152:153], null, v[148:149], v[148:149], v[150:151]
	v_div_scale_f64 v[158:159], vcc_lo, v[150:151], v[148:149], v[150:151]
	s_delay_alu instid0(VALU_DEP_2) | instskip(SKIP_2) | instid1(VALU_DEP_1)
	v_rcp_f64_e32 v[154:155], v[152:153]
	s_waitcnt_depctr 0xfff
	v_fma_f64 v[156:157], -v[152:153], v[154:155], 1.0
	v_fma_f64 v[154:155], v[154:155], v[156:157], v[154:155]
	s_delay_alu instid0(VALU_DEP_1) | instskip(NEXT) | instid1(VALU_DEP_1)
	v_fma_f64 v[156:157], -v[152:153], v[154:155], 1.0
	v_fma_f64 v[154:155], v[154:155], v[156:157], v[154:155]
	s_delay_alu instid0(VALU_DEP_1) | instskip(NEXT) | instid1(VALU_DEP_1)
	v_mul_f64 v[156:157], v[158:159], v[154:155]
	v_fma_f64 v[152:153], -v[152:153], v[156:157], v[158:159]
	s_delay_alu instid0(VALU_DEP_1) | instskip(NEXT) | instid1(VALU_DEP_1)
	v_div_fmas_f64 v[152:153], v[152:153], v[154:155], v[156:157]
	v_div_fixup_f64 v[152:153], v[152:153], v[148:149], v[150:151]
	s_delay_alu instid0(VALU_DEP_1) | instskip(NEXT) | instid1(VALU_DEP_1)
	v_fma_f64 v[148:149], v[150:151], v[152:153], v[148:149]
	v_div_scale_f64 v[150:151], null, v[148:149], v[148:149], 1.0
	s_delay_alu instid0(VALU_DEP_1) | instskip(SKIP_2) | instid1(VALU_DEP_1)
	v_rcp_f64_e32 v[154:155], v[150:151]
	s_waitcnt_depctr 0xfff
	v_fma_f64 v[156:157], -v[150:151], v[154:155], 1.0
	v_fma_f64 v[154:155], v[154:155], v[156:157], v[154:155]
	s_delay_alu instid0(VALU_DEP_1) | instskip(NEXT) | instid1(VALU_DEP_1)
	v_fma_f64 v[156:157], -v[150:151], v[154:155], 1.0
	v_fma_f64 v[154:155], v[154:155], v[156:157], v[154:155]
	v_div_scale_f64 v[156:157], vcc_lo, 1.0, v[148:149], 1.0
	s_delay_alu instid0(VALU_DEP_1) | instskip(NEXT) | instid1(VALU_DEP_1)
	v_mul_f64 v[158:159], v[156:157], v[154:155]
	v_fma_f64 v[150:151], -v[150:151], v[158:159], v[156:157]
	s_delay_alu instid0(VALU_DEP_1) | instskip(NEXT) | instid1(VALU_DEP_1)
	v_div_fmas_f64 v[150:151], v[150:151], v[154:155], v[158:159]
	v_div_fixup_f64 v[156:157], v[150:151], v[148:149], 1.0
	s_delay_alu instid0(VALU_DEP_1)
	v_mul_f64 v[154:155], v[152:153], -v[156:157]
.LBB73_124:
	s_or_b32 exec_lo, exec_lo, s3
	ds_store_2addr_b64 v189, v[156:157], v[154:155] offset1:1
.LBB73_125:
	s_or_b32 exec_lo, exec_lo, s4
	s_waitcnt lgkmcnt(0)
	s_barrier
	buffer_gl0_inv
	ds_load_2addr_b64 v[148:151], v189 offset1:1
	s_mov_b32 s3, exec_lo
	s_waitcnt lgkmcnt(0)
	scratch_store_b128 off, v[148:151], off offset:264 ; 16-byte Folded Spill
	v_cmpx_lt_u32_e32 13, v188
	s_cbranch_execz .LBB73_127
; %bb.126:
	scratch_load_b128 v[150:153], off, off offset:264 ; 16-byte Folded Reload
	s_waitcnt vmcnt(0)
	v_mul_f64 v[148:149], v[152:153], v[94:95]
	v_mul_f64 v[94:95], v[150:151], v[94:95]
	s_delay_alu instid0(VALU_DEP_2) | instskip(NEXT) | instid1(VALU_DEP_2)
	v_fma_f64 v[148:149], v[150:151], v[92:93], -v[148:149]
	v_fma_f64 v[94:95], v[152:153], v[92:93], v[94:95]
	ds_load_2addr_b64 v[150:153], v192 offset0:28 offset1:29
	s_waitcnt lgkmcnt(0)
	v_mul_f64 v[92:93], v[152:153], v[94:95]
	s_delay_alu instid0(VALU_DEP_1) | instskip(SKIP_1) | instid1(VALU_DEP_2)
	v_fma_f64 v[92:93], v[150:151], v[148:149], -v[92:93]
	v_mul_f64 v[150:151], v[150:151], v[94:95]
	v_add_f64 v[88:89], v[88:89], -v[92:93]
	s_delay_alu instid0(VALU_DEP_2) | instskip(NEXT) | instid1(VALU_DEP_1)
	v_fma_f64 v[150:151], v[152:153], v[148:149], v[150:151]
	v_add_f64 v[90:91], v[90:91], -v[150:151]
	ds_load_2addr_b64 v[150:153], v192 offset0:30 offset1:31
	s_waitcnt lgkmcnt(0)
	v_mul_f64 v[92:93], v[152:153], v[94:95]
	s_delay_alu instid0(VALU_DEP_1) | instskip(SKIP_1) | instid1(VALU_DEP_2)
	v_fma_f64 v[92:93], v[150:151], v[148:149], -v[92:93]
	v_mul_f64 v[150:151], v[150:151], v[94:95]
	v_add_f64 v[84:85], v[84:85], -v[92:93]
	s_delay_alu instid0(VALU_DEP_2) | instskip(NEXT) | instid1(VALU_DEP_1)
	v_fma_f64 v[150:151], v[152:153], v[148:149], v[150:151]
	v_add_f64 v[86:87], v[86:87], -v[150:151]
	ds_load_2addr_b64 v[150:153], v192 offset0:32 offset1:33
	s_waitcnt lgkmcnt(0)
	v_mul_f64 v[92:93], v[152:153], v[94:95]
	s_delay_alu instid0(VALU_DEP_1) | instskip(SKIP_1) | instid1(VALU_DEP_2)
	v_fma_f64 v[92:93], v[150:151], v[148:149], -v[92:93]
	v_mul_f64 v[150:151], v[150:151], v[94:95]
	v_add_f64 v[80:81], v[80:81], -v[92:93]
	s_delay_alu instid0(VALU_DEP_2) | instskip(NEXT) | instid1(VALU_DEP_1)
	v_fma_f64 v[150:151], v[152:153], v[148:149], v[150:151]
	v_add_f64 v[82:83], v[82:83], -v[150:151]
	ds_load_2addr_b64 v[150:153], v192 offset0:34 offset1:35
	s_waitcnt lgkmcnt(0)
	v_mul_f64 v[92:93], v[152:153], v[94:95]
	s_delay_alu instid0(VALU_DEP_1) | instskip(SKIP_1) | instid1(VALU_DEP_2)
	v_fma_f64 v[92:93], v[150:151], v[148:149], -v[92:93]
	v_mul_f64 v[150:151], v[150:151], v[94:95]
	v_add_f64 v[76:77], v[76:77], -v[92:93]
	s_delay_alu instid0(VALU_DEP_2) | instskip(NEXT) | instid1(VALU_DEP_1)
	v_fma_f64 v[150:151], v[152:153], v[148:149], v[150:151]
	v_add_f64 v[78:79], v[78:79], -v[150:151]
	ds_load_2addr_b64 v[150:153], v192 offset0:36 offset1:37
	s_waitcnt lgkmcnt(0)
	v_mul_f64 v[92:93], v[152:153], v[94:95]
	s_delay_alu instid0(VALU_DEP_1) | instskip(SKIP_1) | instid1(VALU_DEP_2)
	v_fma_f64 v[92:93], v[150:151], v[148:149], -v[92:93]
	v_mul_f64 v[150:151], v[150:151], v[94:95]
	v_add_f64 v[72:73], v[72:73], -v[92:93]
	s_delay_alu instid0(VALU_DEP_2) | instskip(NEXT) | instid1(VALU_DEP_1)
	v_fma_f64 v[150:151], v[152:153], v[148:149], v[150:151]
	v_add_f64 v[74:75], v[74:75], -v[150:151]
	ds_load_2addr_b64 v[150:153], v192 offset0:38 offset1:39
	s_waitcnt lgkmcnt(0)
	v_mul_f64 v[92:93], v[152:153], v[94:95]
	s_delay_alu instid0(VALU_DEP_1) | instskip(SKIP_1) | instid1(VALU_DEP_2)
	v_fma_f64 v[92:93], v[150:151], v[148:149], -v[92:93]
	v_mul_f64 v[150:151], v[150:151], v[94:95]
	v_add_f64 v[68:69], v[68:69], -v[92:93]
	s_delay_alu instid0(VALU_DEP_2) | instskip(NEXT) | instid1(VALU_DEP_1)
	v_fma_f64 v[150:151], v[152:153], v[148:149], v[150:151]
	v_add_f64 v[70:71], v[70:71], -v[150:151]
	ds_load_2addr_b64 v[150:153], v192 offset0:40 offset1:41
	s_waitcnt lgkmcnt(0)
	v_mul_f64 v[92:93], v[152:153], v[94:95]
	s_delay_alu instid0(VALU_DEP_1) | instskip(SKIP_1) | instid1(VALU_DEP_2)
	v_fma_f64 v[92:93], v[150:151], v[148:149], -v[92:93]
	v_mul_f64 v[150:151], v[150:151], v[94:95]
	v_add_f64 v[64:65], v[64:65], -v[92:93]
	s_delay_alu instid0(VALU_DEP_2) | instskip(NEXT) | instid1(VALU_DEP_1)
	v_fma_f64 v[150:151], v[152:153], v[148:149], v[150:151]
	v_add_f64 v[66:67], v[66:67], -v[150:151]
	ds_load_2addr_b64 v[150:153], v192 offset0:42 offset1:43
	s_waitcnt lgkmcnt(0)
	v_mul_f64 v[92:93], v[152:153], v[94:95]
	s_delay_alu instid0(VALU_DEP_1) | instskip(SKIP_1) | instid1(VALU_DEP_2)
	v_fma_f64 v[92:93], v[150:151], v[148:149], -v[92:93]
	v_mul_f64 v[150:151], v[150:151], v[94:95]
	v_add_f64 v[60:61], v[60:61], -v[92:93]
	s_delay_alu instid0(VALU_DEP_2) | instskip(NEXT) | instid1(VALU_DEP_1)
	v_fma_f64 v[150:151], v[152:153], v[148:149], v[150:151]
	v_add_f64 v[62:63], v[62:63], -v[150:151]
	ds_load_2addr_b64 v[150:153], v192 offset0:44 offset1:45
	s_waitcnt lgkmcnt(0)
	v_mul_f64 v[92:93], v[152:153], v[94:95]
	s_delay_alu instid0(VALU_DEP_1) | instskip(SKIP_1) | instid1(VALU_DEP_2)
	v_fma_f64 v[92:93], v[150:151], v[148:149], -v[92:93]
	v_mul_f64 v[150:151], v[150:151], v[94:95]
	v_add_f64 v[56:57], v[56:57], -v[92:93]
	s_delay_alu instid0(VALU_DEP_2) | instskip(NEXT) | instid1(VALU_DEP_1)
	v_fma_f64 v[150:151], v[152:153], v[148:149], v[150:151]
	v_add_f64 v[58:59], v[58:59], -v[150:151]
	ds_load_2addr_b64 v[150:153], v192 offset0:46 offset1:47
	s_waitcnt lgkmcnt(0)
	v_mul_f64 v[92:93], v[152:153], v[94:95]
	s_delay_alu instid0(VALU_DEP_1) | instskip(SKIP_1) | instid1(VALU_DEP_2)
	v_fma_f64 v[92:93], v[150:151], v[148:149], -v[92:93]
	v_mul_f64 v[150:151], v[150:151], v[94:95]
	v_add_f64 v[52:53], v[52:53], -v[92:93]
	s_delay_alu instid0(VALU_DEP_2) | instskip(NEXT) | instid1(VALU_DEP_1)
	v_fma_f64 v[150:151], v[152:153], v[148:149], v[150:151]
	v_add_f64 v[54:55], v[54:55], -v[150:151]
	ds_load_2addr_b64 v[150:153], v192 offset0:48 offset1:49
	s_waitcnt lgkmcnt(0)
	v_mul_f64 v[92:93], v[152:153], v[94:95]
	s_delay_alu instid0(VALU_DEP_1) | instskip(SKIP_1) | instid1(VALU_DEP_2)
	v_fma_f64 v[92:93], v[150:151], v[148:149], -v[92:93]
	v_mul_f64 v[150:151], v[150:151], v[94:95]
	v_add_f64 v[48:49], v[48:49], -v[92:93]
	s_delay_alu instid0(VALU_DEP_2) | instskip(NEXT) | instid1(VALU_DEP_1)
	v_fma_f64 v[150:151], v[152:153], v[148:149], v[150:151]
	v_add_f64 v[50:51], v[50:51], -v[150:151]
	ds_load_2addr_b64 v[150:153], v192 offset0:50 offset1:51
	s_waitcnt lgkmcnt(0)
	v_mul_f64 v[92:93], v[152:153], v[94:95]
	s_delay_alu instid0(VALU_DEP_1) | instskip(SKIP_1) | instid1(VALU_DEP_2)
	v_fma_f64 v[92:93], v[150:151], v[148:149], -v[92:93]
	v_mul_f64 v[150:151], v[150:151], v[94:95]
	v_add_f64 v[44:45], v[44:45], -v[92:93]
	s_delay_alu instid0(VALU_DEP_2) | instskip(NEXT) | instid1(VALU_DEP_1)
	v_fma_f64 v[150:151], v[152:153], v[148:149], v[150:151]
	v_add_f64 v[46:47], v[46:47], -v[150:151]
	ds_load_2addr_b64 v[150:153], v192 offset0:52 offset1:53
	s_waitcnt lgkmcnt(0)
	v_mul_f64 v[92:93], v[152:153], v[94:95]
	s_delay_alu instid0(VALU_DEP_1) | instskip(SKIP_1) | instid1(VALU_DEP_2)
	v_fma_f64 v[92:93], v[150:151], v[148:149], -v[92:93]
	v_mul_f64 v[150:151], v[150:151], v[94:95]
	v_add_f64 v[40:41], v[40:41], -v[92:93]
	s_delay_alu instid0(VALU_DEP_2) | instskip(NEXT) | instid1(VALU_DEP_1)
	v_fma_f64 v[150:151], v[152:153], v[148:149], v[150:151]
	v_add_f64 v[42:43], v[42:43], -v[150:151]
	ds_load_2addr_b64 v[150:153], v192 offset0:54 offset1:55
	s_waitcnt lgkmcnt(0)
	v_mul_f64 v[92:93], v[152:153], v[94:95]
	s_delay_alu instid0(VALU_DEP_1) | instskip(SKIP_1) | instid1(VALU_DEP_2)
	v_fma_f64 v[92:93], v[150:151], v[148:149], -v[92:93]
	v_mul_f64 v[150:151], v[150:151], v[94:95]
	v_add_f64 v[36:37], v[36:37], -v[92:93]
	s_delay_alu instid0(VALU_DEP_2) | instskip(NEXT) | instid1(VALU_DEP_1)
	v_fma_f64 v[150:151], v[152:153], v[148:149], v[150:151]
	v_add_f64 v[38:39], v[38:39], -v[150:151]
	ds_load_2addr_b64 v[150:153], v192 offset0:56 offset1:57
	s_waitcnt lgkmcnt(0)
	v_mul_f64 v[92:93], v[152:153], v[94:95]
	s_delay_alu instid0(VALU_DEP_1) | instskip(SKIP_1) | instid1(VALU_DEP_2)
	v_fma_f64 v[92:93], v[150:151], v[148:149], -v[92:93]
	v_mul_f64 v[150:151], v[150:151], v[94:95]
	v_add_f64 v[32:33], v[32:33], -v[92:93]
	s_delay_alu instid0(VALU_DEP_2) | instskip(NEXT) | instid1(VALU_DEP_1)
	v_fma_f64 v[150:151], v[152:153], v[148:149], v[150:151]
	v_add_f64 v[34:35], v[34:35], -v[150:151]
	ds_load_2addr_b64 v[150:153], v192 offset0:58 offset1:59
	s_waitcnt lgkmcnt(0)
	v_mul_f64 v[92:93], v[152:153], v[94:95]
	s_delay_alu instid0(VALU_DEP_1) | instskip(SKIP_1) | instid1(VALU_DEP_2)
	v_fma_f64 v[92:93], v[150:151], v[148:149], -v[92:93]
	v_mul_f64 v[150:151], v[150:151], v[94:95]
	v_add_f64 v[28:29], v[28:29], -v[92:93]
	s_delay_alu instid0(VALU_DEP_2) | instskip(NEXT) | instid1(VALU_DEP_1)
	v_fma_f64 v[150:151], v[152:153], v[148:149], v[150:151]
	v_add_f64 v[30:31], v[30:31], -v[150:151]
	ds_load_2addr_b64 v[150:153], v192 offset0:60 offset1:61
	s_waitcnt lgkmcnt(0)
	v_mul_f64 v[92:93], v[152:153], v[94:95]
	s_delay_alu instid0(VALU_DEP_1) | instskip(SKIP_1) | instid1(VALU_DEP_2)
	v_fma_f64 v[92:93], v[150:151], v[148:149], -v[92:93]
	v_mul_f64 v[150:151], v[150:151], v[94:95]
	v_add_f64 v[24:25], v[24:25], -v[92:93]
	s_delay_alu instid0(VALU_DEP_2) | instskip(NEXT) | instid1(VALU_DEP_1)
	v_fma_f64 v[150:151], v[152:153], v[148:149], v[150:151]
	v_add_f64 v[26:27], v[26:27], -v[150:151]
	ds_load_2addr_b64 v[150:153], v192 offset0:62 offset1:63
	s_waitcnt lgkmcnt(0)
	v_mul_f64 v[92:93], v[152:153], v[94:95]
	s_delay_alu instid0(VALU_DEP_1) | instskip(SKIP_1) | instid1(VALU_DEP_2)
	v_fma_f64 v[92:93], v[150:151], v[148:149], -v[92:93]
	v_mul_f64 v[150:151], v[150:151], v[94:95]
	v_add_f64 v[20:21], v[20:21], -v[92:93]
	s_delay_alu instid0(VALU_DEP_2) | instskip(NEXT) | instid1(VALU_DEP_1)
	v_fma_f64 v[150:151], v[152:153], v[148:149], v[150:151]
	v_add_f64 v[22:23], v[22:23], -v[150:151]
	ds_load_2addr_b64 v[150:153], v192 offset0:64 offset1:65
	s_waitcnt lgkmcnt(0)
	v_mul_f64 v[92:93], v[152:153], v[94:95]
	s_delay_alu instid0(VALU_DEP_1) | instskip(SKIP_1) | instid1(VALU_DEP_2)
	v_fma_f64 v[92:93], v[150:151], v[148:149], -v[92:93]
	v_mul_f64 v[150:151], v[150:151], v[94:95]
	v_add_f64 v[16:17], v[16:17], -v[92:93]
	s_delay_alu instid0(VALU_DEP_2) | instskip(NEXT) | instid1(VALU_DEP_1)
	v_fma_f64 v[150:151], v[152:153], v[148:149], v[150:151]
	v_add_f64 v[18:19], v[18:19], -v[150:151]
	ds_load_2addr_b64 v[150:153], v192 offset0:66 offset1:67
	s_waitcnt lgkmcnt(0)
	v_mul_f64 v[92:93], v[152:153], v[94:95]
	s_delay_alu instid0(VALU_DEP_1) | instskip(SKIP_1) | instid1(VALU_DEP_2)
	v_fma_f64 v[92:93], v[150:151], v[148:149], -v[92:93]
	v_mul_f64 v[150:151], v[150:151], v[94:95]
	v_add_f64 v[12:13], v[12:13], -v[92:93]
	s_delay_alu instid0(VALU_DEP_2) | instskip(NEXT) | instid1(VALU_DEP_1)
	v_fma_f64 v[150:151], v[152:153], v[148:149], v[150:151]
	v_add_f64 v[14:15], v[14:15], -v[150:151]
	ds_load_2addr_b64 v[150:153], v192 offset0:68 offset1:69
	s_waitcnt lgkmcnt(0)
	v_mul_f64 v[92:93], v[152:153], v[94:95]
	s_delay_alu instid0(VALU_DEP_1) | instskip(SKIP_1) | instid1(VALU_DEP_2)
	v_fma_f64 v[92:93], v[150:151], v[148:149], -v[92:93]
	v_mul_f64 v[150:151], v[150:151], v[94:95]
	v_add_f64 v[8:9], v[8:9], -v[92:93]
	s_delay_alu instid0(VALU_DEP_2) | instskip(NEXT) | instid1(VALU_DEP_1)
	v_fma_f64 v[150:151], v[152:153], v[148:149], v[150:151]
	v_add_f64 v[10:11], v[10:11], -v[150:151]
	ds_load_2addr_b64 v[150:153], v192 offset0:70 offset1:71
	s_waitcnt lgkmcnt(0)
	v_mul_f64 v[92:93], v[152:153], v[94:95]
	s_delay_alu instid0(VALU_DEP_1) | instskip(SKIP_1) | instid1(VALU_DEP_2)
	v_fma_f64 v[92:93], v[150:151], v[148:149], -v[92:93]
	v_mul_f64 v[150:151], v[150:151], v[94:95]
	v_add_f64 v[4:5], v[4:5], -v[92:93]
	s_delay_alu instid0(VALU_DEP_2) | instskip(NEXT) | instid1(VALU_DEP_1)
	v_fma_f64 v[150:151], v[152:153], v[148:149], v[150:151]
	v_add_f64 v[6:7], v[6:7], -v[150:151]
	ds_load_2addr_b64 v[150:153], v192 offset0:72 offset1:73
	s_waitcnt lgkmcnt(0)
	v_mul_f64 v[92:93], v[152:153], v[94:95]
	s_delay_alu instid0(VALU_DEP_1) | instskip(SKIP_1) | instid1(VALU_DEP_2)
	v_fma_f64 v[92:93], v[150:151], v[148:149], -v[92:93]
	v_mul_f64 v[150:151], v[150:151], v[94:95]
	v_add_f64 v[0:1], v[0:1], -v[92:93]
	s_delay_alu instid0(VALU_DEP_2) | instskip(SKIP_1) | instid1(VALU_DEP_2)
	v_fma_f64 v[150:151], v[152:153], v[148:149], v[150:151]
	v_dual_mov_b32 v92, v148 :: v_dual_mov_b32 v93, v149
	v_add_f64 v[2:3], v[2:3], -v[150:151]
.LBB73_127:
	s_or_b32 exec_lo, exec_lo, s3
	s_delay_alu instid0(SALU_CYCLE_1)
	s_mov_b32 s4, exec_lo
	s_waitcnt_vscnt null, 0x0
	s_barrier
	buffer_gl0_inv
	v_cmpx_eq_u32_e32 14, v188
	s_cbranch_execz .LBB73_134
; %bb.128:
	ds_store_2addr_b64 v189, v[88:89], v[90:91] offset1:1
	ds_store_2addr_b64 v192, v[84:85], v[86:87] offset0:30 offset1:31
	ds_store_2addr_b64 v192, v[80:81], v[82:83] offset0:32 offset1:33
	;; [unrolled: 1-line block ×22, first 2 shown]
	ds_load_2addr_b64 v[148:151], v189 offset1:1
	s_waitcnt lgkmcnt(0)
	v_cmp_neq_f64_e32 vcc_lo, 0, v[148:149]
	v_cmp_neq_f64_e64 s3, 0, v[150:151]
	s_delay_alu instid0(VALU_DEP_1) | instskip(NEXT) | instid1(SALU_CYCLE_1)
	s_or_b32 s3, vcc_lo, s3
	s_and_b32 exec_lo, exec_lo, s3
	s_cbranch_execz .LBB73_134
; %bb.129:
	v_cmp_gt_f64_e32 vcc_lo, 0, v[148:149]
	v_xor_b32_e32 v152, 0x80000000, v149
	v_xor_b32_e32 v154, 0x80000000, v151
	s_mov_b32 s3, exec_lo
                                        ; implicit-def: $vgpr156_vgpr157
	s_delay_alu instid0(VALU_DEP_2) | instskip(SKIP_4) | instid1(VALU_DEP_1)
	v_cndmask_b32_e32 v153, v149, v152, vcc_lo
	v_cndmask_b32_e32 v152, v148, v148, vcc_lo
	v_cmp_gt_f64_e32 vcc_lo, 0, v[150:151]
	v_cndmask_b32_e32 v155, v151, v154, vcc_lo
	v_cndmask_b32_e32 v154, v150, v150, vcc_lo
	v_cmpx_ngt_f64_e32 v[152:153], v[154:155]
	s_xor_b32 s3, exec_lo, s3
                                        ; implicit-def: $vgpr152_vgpr153_vgpr154_vgpr155
	s_cbranch_execz .LBB73_131
; %bb.130:
	v_div_scale_f64 v[152:153], null, v[150:151], v[150:151], v[148:149]
	v_div_scale_f64 v[158:159], vcc_lo, v[148:149], v[150:151], v[148:149]
	s_delay_alu instid0(VALU_DEP_2) | instskip(SKIP_2) | instid1(VALU_DEP_1)
	v_rcp_f64_e32 v[154:155], v[152:153]
	s_waitcnt_depctr 0xfff
	v_fma_f64 v[156:157], -v[152:153], v[154:155], 1.0
	v_fma_f64 v[154:155], v[154:155], v[156:157], v[154:155]
	s_delay_alu instid0(VALU_DEP_1) | instskip(NEXT) | instid1(VALU_DEP_1)
	v_fma_f64 v[156:157], -v[152:153], v[154:155], 1.0
	v_fma_f64 v[154:155], v[154:155], v[156:157], v[154:155]
	s_delay_alu instid0(VALU_DEP_1) | instskip(NEXT) | instid1(VALU_DEP_1)
	v_mul_f64 v[156:157], v[158:159], v[154:155]
	v_fma_f64 v[152:153], -v[152:153], v[156:157], v[158:159]
	s_delay_alu instid0(VALU_DEP_1) | instskip(NEXT) | instid1(VALU_DEP_1)
	v_div_fmas_f64 v[152:153], v[152:153], v[154:155], v[156:157]
	v_div_fixup_f64 v[152:153], v[152:153], v[150:151], v[148:149]
	s_delay_alu instid0(VALU_DEP_1) | instskip(NEXT) | instid1(VALU_DEP_1)
	v_fma_f64 v[148:149], v[148:149], v[152:153], v[150:151]
	v_div_scale_f64 v[150:151], null, v[148:149], v[148:149], 1.0
	s_delay_alu instid0(VALU_DEP_1) | instskip(SKIP_2) | instid1(VALU_DEP_1)
	v_rcp_f64_e32 v[154:155], v[150:151]
	s_waitcnt_depctr 0xfff
	v_fma_f64 v[156:157], -v[150:151], v[154:155], 1.0
	v_fma_f64 v[154:155], v[154:155], v[156:157], v[154:155]
	s_delay_alu instid0(VALU_DEP_1) | instskip(NEXT) | instid1(VALU_DEP_1)
	v_fma_f64 v[156:157], -v[150:151], v[154:155], 1.0
	v_fma_f64 v[154:155], v[154:155], v[156:157], v[154:155]
	v_div_scale_f64 v[156:157], vcc_lo, 1.0, v[148:149], 1.0
	s_delay_alu instid0(VALU_DEP_1) | instskip(NEXT) | instid1(VALU_DEP_1)
	v_mul_f64 v[158:159], v[156:157], v[154:155]
	v_fma_f64 v[150:151], -v[150:151], v[158:159], v[156:157]
	s_delay_alu instid0(VALU_DEP_1) | instskip(NEXT) | instid1(VALU_DEP_1)
	v_div_fmas_f64 v[150:151], v[150:151], v[154:155], v[158:159]
	v_div_fixup_f64 v[154:155], v[150:151], v[148:149], 1.0
                                        ; implicit-def: $vgpr148_vgpr149
	s_delay_alu instid0(VALU_DEP_1)
	v_mul_f64 v[156:157], v[152:153], v[154:155]
	v_xor_b32_e32 v155, 0x80000000, v155
.LBB73_131:
	s_and_not1_saveexec_b32 s3, s3
	s_cbranch_execz .LBB73_133
; %bb.132:
	v_div_scale_f64 v[152:153], null, v[148:149], v[148:149], v[150:151]
	v_div_scale_f64 v[158:159], vcc_lo, v[150:151], v[148:149], v[150:151]
	s_delay_alu instid0(VALU_DEP_2) | instskip(SKIP_2) | instid1(VALU_DEP_1)
	v_rcp_f64_e32 v[154:155], v[152:153]
	s_waitcnt_depctr 0xfff
	v_fma_f64 v[156:157], -v[152:153], v[154:155], 1.0
	v_fma_f64 v[154:155], v[154:155], v[156:157], v[154:155]
	s_delay_alu instid0(VALU_DEP_1) | instskip(NEXT) | instid1(VALU_DEP_1)
	v_fma_f64 v[156:157], -v[152:153], v[154:155], 1.0
	v_fma_f64 v[154:155], v[154:155], v[156:157], v[154:155]
	s_delay_alu instid0(VALU_DEP_1) | instskip(NEXT) | instid1(VALU_DEP_1)
	v_mul_f64 v[156:157], v[158:159], v[154:155]
	v_fma_f64 v[152:153], -v[152:153], v[156:157], v[158:159]
	s_delay_alu instid0(VALU_DEP_1) | instskip(NEXT) | instid1(VALU_DEP_1)
	v_div_fmas_f64 v[152:153], v[152:153], v[154:155], v[156:157]
	v_div_fixup_f64 v[152:153], v[152:153], v[148:149], v[150:151]
	s_delay_alu instid0(VALU_DEP_1) | instskip(NEXT) | instid1(VALU_DEP_1)
	v_fma_f64 v[148:149], v[150:151], v[152:153], v[148:149]
	v_div_scale_f64 v[150:151], null, v[148:149], v[148:149], 1.0
	s_delay_alu instid0(VALU_DEP_1) | instskip(SKIP_2) | instid1(VALU_DEP_1)
	v_rcp_f64_e32 v[154:155], v[150:151]
	s_waitcnt_depctr 0xfff
	v_fma_f64 v[156:157], -v[150:151], v[154:155], 1.0
	v_fma_f64 v[154:155], v[154:155], v[156:157], v[154:155]
	s_delay_alu instid0(VALU_DEP_1) | instskip(NEXT) | instid1(VALU_DEP_1)
	v_fma_f64 v[156:157], -v[150:151], v[154:155], 1.0
	v_fma_f64 v[154:155], v[154:155], v[156:157], v[154:155]
	v_div_scale_f64 v[156:157], vcc_lo, 1.0, v[148:149], 1.0
	s_delay_alu instid0(VALU_DEP_1) | instskip(NEXT) | instid1(VALU_DEP_1)
	v_mul_f64 v[158:159], v[156:157], v[154:155]
	v_fma_f64 v[150:151], -v[150:151], v[158:159], v[156:157]
	s_delay_alu instid0(VALU_DEP_1) | instskip(NEXT) | instid1(VALU_DEP_1)
	v_div_fmas_f64 v[150:151], v[150:151], v[154:155], v[158:159]
	v_div_fixup_f64 v[156:157], v[150:151], v[148:149], 1.0
	s_delay_alu instid0(VALU_DEP_1)
	v_mul_f64 v[154:155], v[152:153], -v[156:157]
.LBB73_133:
	s_or_b32 exec_lo, exec_lo, s3
	ds_store_2addr_b64 v189, v[156:157], v[154:155] offset1:1
.LBB73_134:
	s_or_b32 exec_lo, exec_lo, s4
	s_waitcnt lgkmcnt(0)
	s_barrier
	buffer_gl0_inv
	ds_load_2addr_b64 v[148:151], v189 offset1:1
	s_mov_b32 s3, exec_lo
	s_waitcnt lgkmcnt(0)
	scratch_store_b128 off, v[148:151], off offset:280 ; 16-byte Folded Spill
	v_cmpx_lt_u32_e32 14, v188
	s_cbranch_execz .LBB73_136
; %bb.135:
	scratch_load_b128 v[150:153], off, off offset:280 ; 16-byte Folded Reload
	s_waitcnt vmcnt(0)
	v_mul_f64 v[148:149], v[152:153], v[90:91]
	v_mul_f64 v[90:91], v[150:151], v[90:91]
	s_delay_alu instid0(VALU_DEP_2) | instskip(NEXT) | instid1(VALU_DEP_2)
	v_fma_f64 v[148:149], v[150:151], v[88:89], -v[148:149]
	v_fma_f64 v[90:91], v[152:153], v[88:89], v[90:91]
	ds_load_2addr_b64 v[150:153], v192 offset0:30 offset1:31
	s_waitcnt lgkmcnt(0)
	v_mul_f64 v[88:89], v[152:153], v[90:91]
	s_delay_alu instid0(VALU_DEP_1) | instskip(SKIP_1) | instid1(VALU_DEP_2)
	v_fma_f64 v[88:89], v[150:151], v[148:149], -v[88:89]
	v_mul_f64 v[150:151], v[150:151], v[90:91]
	v_add_f64 v[84:85], v[84:85], -v[88:89]
	s_delay_alu instid0(VALU_DEP_2) | instskip(NEXT) | instid1(VALU_DEP_1)
	v_fma_f64 v[150:151], v[152:153], v[148:149], v[150:151]
	v_add_f64 v[86:87], v[86:87], -v[150:151]
	ds_load_2addr_b64 v[150:153], v192 offset0:32 offset1:33
	s_waitcnt lgkmcnt(0)
	v_mul_f64 v[88:89], v[152:153], v[90:91]
	s_delay_alu instid0(VALU_DEP_1) | instskip(SKIP_1) | instid1(VALU_DEP_2)
	v_fma_f64 v[88:89], v[150:151], v[148:149], -v[88:89]
	v_mul_f64 v[150:151], v[150:151], v[90:91]
	v_add_f64 v[80:81], v[80:81], -v[88:89]
	s_delay_alu instid0(VALU_DEP_2) | instskip(NEXT) | instid1(VALU_DEP_1)
	v_fma_f64 v[150:151], v[152:153], v[148:149], v[150:151]
	v_add_f64 v[82:83], v[82:83], -v[150:151]
	;; [unrolled: 10-line block ×21, first 2 shown]
	ds_load_2addr_b64 v[150:153], v192 offset0:72 offset1:73
	s_waitcnt lgkmcnt(0)
	v_mul_f64 v[88:89], v[152:153], v[90:91]
	s_delay_alu instid0(VALU_DEP_1) | instskip(SKIP_1) | instid1(VALU_DEP_2)
	v_fma_f64 v[88:89], v[150:151], v[148:149], -v[88:89]
	v_mul_f64 v[150:151], v[150:151], v[90:91]
	v_add_f64 v[0:1], v[0:1], -v[88:89]
	s_delay_alu instid0(VALU_DEP_2) | instskip(SKIP_1) | instid1(VALU_DEP_2)
	v_fma_f64 v[150:151], v[152:153], v[148:149], v[150:151]
	v_dual_mov_b32 v88, v148 :: v_dual_mov_b32 v89, v149
	v_add_f64 v[2:3], v[2:3], -v[150:151]
.LBB73_136:
	s_or_b32 exec_lo, exec_lo, s3
	s_delay_alu instid0(SALU_CYCLE_1)
	s_mov_b32 s4, exec_lo
	s_waitcnt_vscnt null, 0x0
	s_barrier
	buffer_gl0_inv
	v_cmpx_eq_u32_e32 15, v188
	s_cbranch_execz .LBB73_143
; %bb.137:
	ds_store_2addr_b64 v189, v[84:85], v[86:87] offset1:1
	ds_store_2addr_b64 v192, v[80:81], v[82:83] offset0:32 offset1:33
	ds_store_2addr_b64 v192, v[76:77], v[78:79] offset0:34 offset1:35
	;; [unrolled: 1-line block ×21, first 2 shown]
	ds_load_2addr_b64 v[148:151], v189 offset1:1
	s_waitcnt lgkmcnt(0)
	v_cmp_neq_f64_e32 vcc_lo, 0, v[148:149]
	v_cmp_neq_f64_e64 s3, 0, v[150:151]
	s_delay_alu instid0(VALU_DEP_1) | instskip(NEXT) | instid1(SALU_CYCLE_1)
	s_or_b32 s3, vcc_lo, s3
	s_and_b32 exec_lo, exec_lo, s3
	s_cbranch_execz .LBB73_143
; %bb.138:
	v_cmp_gt_f64_e32 vcc_lo, 0, v[148:149]
	v_xor_b32_e32 v152, 0x80000000, v149
	v_xor_b32_e32 v154, 0x80000000, v151
	s_mov_b32 s3, exec_lo
                                        ; implicit-def: $vgpr156_vgpr157
	s_delay_alu instid0(VALU_DEP_2) | instskip(SKIP_4) | instid1(VALU_DEP_1)
	v_cndmask_b32_e32 v153, v149, v152, vcc_lo
	v_cndmask_b32_e32 v152, v148, v148, vcc_lo
	v_cmp_gt_f64_e32 vcc_lo, 0, v[150:151]
	v_cndmask_b32_e32 v155, v151, v154, vcc_lo
	v_cndmask_b32_e32 v154, v150, v150, vcc_lo
	v_cmpx_ngt_f64_e32 v[152:153], v[154:155]
	s_xor_b32 s3, exec_lo, s3
                                        ; implicit-def: $vgpr152_vgpr153_vgpr154_vgpr155
	s_cbranch_execz .LBB73_140
; %bb.139:
	v_div_scale_f64 v[152:153], null, v[150:151], v[150:151], v[148:149]
	v_div_scale_f64 v[158:159], vcc_lo, v[148:149], v[150:151], v[148:149]
	s_delay_alu instid0(VALU_DEP_2) | instskip(SKIP_2) | instid1(VALU_DEP_1)
	v_rcp_f64_e32 v[154:155], v[152:153]
	s_waitcnt_depctr 0xfff
	v_fma_f64 v[156:157], -v[152:153], v[154:155], 1.0
	v_fma_f64 v[154:155], v[154:155], v[156:157], v[154:155]
	s_delay_alu instid0(VALU_DEP_1) | instskip(NEXT) | instid1(VALU_DEP_1)
	v_fma_f64 v[156:157], -v[152:153], v[154:155], 1.0
	v_fma_f64 v[154:155], v[154:155], v[156:157], v[154:155]
	s_delay_alu instid0(VALU_DEP_1) | instskip(NEXT) | instid1(VALU_DEP_1)
	v_mul_f64 v[156:157], v[158:159], v[154:155]
	v_fma_f64 v[152:153], -v[152:153], v[156:157], v[158:159]
	s_delay_alu instid0(VALU_DEP_1) | instskip(NEXT) | instid1(VALU_DEP_1)
	v_div_fmas_f64 v[152:153], v[152:153], v[154:155], v[156:157]
	v_div_fixup_f64 v[152:153], v[152:153], v[150:151], v[148:149]
	s_delay_alu instid0(VALU_DEP_1) | instskip(NEXT) | instid1(VALU_DEP_1)
	v_fma_f64 v[148:149], v[148:149], v[152:153], v[150:151]
	v_div_scale_f64 v[150:151], null, v[148:149], v[148:149], 1.0
	s_delay_alu instid0(VALU_DEP_1) | instskip(SKIP_2) | instid1(VALU_DEP_1)
	v_rcp_f64_e32 v[154:155], v[150:151]
	s_waitcnt_depctr 0xfff
	v_fma_f64 v[156:157], -v[150:151], v[154:155], 1.0
	v_fma_f64 v[154:155], v[154:155], v[156:157], v[154:155]
	s_delay_alu instid0(VALU_DEP_1) | instskip(NEXT) | instid1(VALU_DEP_1)
	v_fma_f64 v[156:157], -v[150:151], v[154:155], 1.0
	v_fma_f64 v[154:155], v[154:155], v[156:157], v[154:155]
	v_div_scale_f64 v[156:157], vcc_lo, 1.0, v[148:149], 1.0
	s_delay_alu instid0(VALU_DEP_1) | instskip(NEXT) | instid1(VALU_DEP_1)
	v_mul_f64 v[158:159], v[156:157], v[154:155]
	v_fma_f64 v[150:151], -v[150:151], v[158:159], v[156:157]
	s_delay_alu instid0(VALU_DEP_1) | instskip(NEXT) | instid1(VALU_DEP_1)
	v_div_fmas_f64 v[150:151], v[150:151], v[154:155], v[158:159]
	v_div_fixup_f64 v[154:155], v[150:151], v[148:149], 1.0
                                        ; implicit-def: $vgpr148_vgpr149
	s_delay_alu instid0(VALU_DEP_1)
	v_mul_f64 v[156:157], v[152:153], v[154:155]
	v_xor_b32_e32 v155, 0x80000000, v155
.LBB73_140:
	s_and_not1_saveexec_b32 s3, s3
	s_cbranch_execz .LBB73_142
; %bb.141:
	v_div_scale_f64 v[152:153], null, v[148:149], v[148:149], v[150:151]
	v_div_scale_f64 v[158:159], vcc_lo, v[150:151], v[148:149], v[150:151]
	s_delay_alu instid0(VALU_DEP_2) | instskip(SKIP_2) | instid1(VALU_DEP_1)
	v_rcp_f64_e32 v[154:155], v[152:153]
	s_waitcnt_depctr 0xfff
	v_fma_f64 v[156:157], -v[152:153], v[154:155], 1.0
	v_fma_f64 v[154:155], v[154:155], v[156:157], v[154:155]
	s_delay_alu instid0(VALU_DEP_1) | instskip(NEXT) | instid1(VALU_DEP_1)
	v_fma_f64 v[156:157], -v[152:153], v[154:155], 1.0
	v_fma_f64 v[154:155], v[154:155], v[156:157], v[154:155]
	s_delay_alu instid0(VALU_DEP_1) | instskip(NEXT) | instid1(VALU_DEP_1)
	v_mul_f64 v[156:157], v[158:159], v[154:155]
	v_fma_f64 v[152:153], -v[152:153], v[156:157], v[158:159]
	s_delay_alu instid0(VALU_DEP_1) | instskip(NEXT) | instid1(VALU_DEP_1)
	v_div_fmas_f64 v[152:153], v[152:153], v[154:155], v[156:157]
	v_div_fixup_f64 v[152:153], v[152:153], v[148:149], v[150:151]
	s_delay_alu instid0(VALU_DEP_1) | instskip(NEXT) | instid1(VALU_DEP_1)
	v_fma_f64 v[148:149], v[150:151], v[152:153], v[148:149]
	v_div_scale_f64 v[150:151], null, v[148:149], v[148:149], 1.0
	s_delay_alu instid0(VALU_DEP_1) | instskip(SKIP_2) | instid1(VALU_DEP_1)
	v_rcp_f64_e32 v[154:155], v[150:151]
	s_waitcnt_depctr 0xfff
	v_fma_f64 v[156:157], -v[150:151], v[154:155], 1.0
	v_fma_f64 v[154:155], v[154:155], v[156:157], v[154:155]
	s_delay_alu instid0(VALU_DEP_1) | instskip(NEXT) | instid1(VALU_DEP_1)
	v_fma_f64 v[156:157], -v[150:151], v[154:155], 1.0
	v_fma_f64 v[154:155], v[154:155], v[156:157], v[154:155]
	v_div_scale_f64 v[156:157], vcc_lo, 1.0, v[148:149], 1.0
	s_delay_alu instid0(VALU_DEP_1) | instskip(NEXT) | instid1(VALU_DEP_1)
	v_mul_f64 v[158:159], v[156:157], v[154:155]
	v_fma_f64 v[150:151], -v[150:151], v[158:159], v[156:157]
	s_delay_alu instid0(VALU_DEP_1) | instskip(NEXT) | instid1(VALU_DEP_1)
	v_div_fmas_f64 v[150:151], v[150:151], v[154:155], v[158:159]
	v_div_fixup_f64 v[156:157], v[150:151], v[148:149], 1.0
	s_delay_alu instid0(VALU_DEP_1)
	v_mul_f64 v[154:155], v[152:153], -v[156:157]
.LBB73_142:
	s_or_b32 exec_lo, exec_lo, s3
	ds_store_2addr_b64 v189, v[156:157], v[154:155] offset1:1
.LBB73_143:
	s_or_b32 exec_lo, exec_lo, s4
	s_waitcnt lgkmcnt(0)
	s_barrier
	buffer_gl0_inv
	ds_load_2addr_b64 v[148:151], v189 offset1:1
	s_mov_b32 s3, exec_lo
	s_waitcnt lgkmcnt(0)
	scratch_store_b128 off, v[148:151], off offset:296 ; 16-byte Folded Spill
	v_cmpx_lt_u32_e32 15, v188
	s_cbranch_execz .LBB73_145
; %bb.144:
	scratch_load_b128 v[150:153], off, off offset:296 ; 16-byte Folded Reload
	s_waitcnt vmcnt(0)
	v_mul_f64 v[148:149], v[152:153], v[86:87]
	v_mul_f64 v[86:87], v[150:151], v[86:87]
	s_delay_alu instid0(VALU_DEP_2) | instskip(NEXT) | instid1(VALU_DEP_2)
	v_fma_f64 v[148:149], v[150:151], v[84:85], -v[148:149]
	v_fma_f64 v[86:87], v[152:153], v[84:85], v[86:87]
	ds_load_2addr_b64 v[150:153], v192 offset0:32 offset1:33
	s_waitcnt lgkmcnt(0)
	v_mul_f64 v[84:85], v[152:153], v[86:87]
	s_delay_alu instid0(VALU_DEP_1) | instskip(SKIP_1) | instid1(VALU_DEP_2)
	v_fma_f64 v[84:85], v[150:151], v[148:149], -v[84:85]
	v_mul_f64 v[150:151], v[150:151], v[86:87]
	v_add_f64 v[80:81], v[80:81], -v[84:85]
	s_delay_alu instid0(VALU_DEP_2) | instskip(NEXT) | instid1(VALU_DEP_1)
	v_fma_f64 v[150:151], v[152:153], v[148:149], v[150:151]
	v_add_f64 v[82:83], v[82:83], -v[150:151]
	ds_load_2addr_b64 v[150:153], v192 offset0:34 offset1:35
	s_waitcnt lgkmcnt(0)
	v_mul_f64 v[84:85], v[152:153], v[86:87]
	s_delay_alu instid0(VALU_DEP_1) | instskip(SKIP_1) | instid1(VALU_DEP_2)
	v_fma_f64 v[84:85], v[150:151], v[148:149], -v[84:85]
	v_mul_f64 v[150:151], v[150:151], v[86:87]
	v_add_f64 v[76:77], v[76:77], -v[84:85]
	s_delay_alu instid0(VALU_DEP_2) | instskip(NEXT) | instid1(VALU_DEP_1)
	v_fma_f64 v[150:151], v[152:153], v[148:149], v[150:151]
	v_add_f64 v[78:79], v[78:79], -v[150:151]
	;; [unrolled: 10-line block ×20, first 2 shown]
	ds_load_2addr_b64 v[150:153], v192 offset0:72 offset1:73
	s_waitcnt lgkmcnt(0)
	v_mul_f64 v[84:85], v[152:153], v[86:87]
	s_delay_alu instid0(VALU_DEP_1) | instskip(SKIP_1) | instid1(VALU_DEP_2)
	v_fma_f64 v[84:85], v[150:151], v[148:149], -v[84:85]
	v_mul_f64 v[150:151], v[150:151], v[86:87]
	v_add_f64 v[0:1], v[0:1], -v[84:85]
	s_delay_alu instid0(VALU_DEP_2) | instskip(SKIP_1) | instid1(VALU_DEP_2)
	v_fma_f64 v[150:151], v[152:153], v[148:149], v[150:151]
	v_dual_mov_b32 v84, v148 :: v_dual_mov_b32 v85, v149
	v_add_f64 v[2:3], v[2:3], -v[150:151]
.LBB73_145:
	s_or_b32 exec_lo, exec_lo, s3
	s_delay_alu instid0(SALU_CYCLE_1)
	s_mov_b32 s4, exec_lo
	s_waitcnt_vscnt null, 0x0
	s_barrier
	buffer_gl0_inv
	v_cmpx_eq_u32_e32 16, v188
	s_cbranch_execz .LBB73_152
; %bb.146:
	ds_store_2addr_b64 v189, v[80:81], v[82:83] offset1:1
	ds_store_2addr_b64 v192, v[76:77], v[78:79] offset0:34 offset1:35
	ds_store_2addr_b64 v192, v[72:73], v[74:75] offset0:36 offset1:37
	;; [unrolled: 1-line block ×20, first 2 shown]
	ds_load_2addr_b64 v[148:151], v189 offset1:1
	s_waitcnt lgkmcnt(0)
	v_cmp_neq_f64_e32 vcc_lo, 0, v[148:149]
	v_cmp_neq_f64_e64 s3, 0, v[150:151]
	s_delay_alu instid0(VALU_DEP_1) | instskip(NEXT) | instid1(SALU_CYCLE_1)
	s_or_b32 s3, vcc_lo, s3
	s_and_b32 exec_lo, exec_lo, s3
	s_cbranch_execz .LBB73_152
; %bb.147:
	v_cmp_gt_f64_e32 vcc_lo, 0, v[148:149]
	v_xor_b32_e32 v152, 0x80000000, v149
	v_xor_b32_e32 v154, 0x80000000, v151
	s_mov_b32 s3, exec_lo
                                        ; implicit-def: $vgpr156_vgpr157
	s_delay_alu instid0(VALU_DEP_2) | instskip(SKIP_4) | instid1(VALU_DEP_1)
	v_cndmask_b32_e32 v153, v149, v152, vcc_lo
	v_cndmask_b32_e32 v152, v148, v148, vcc_lo
	v_cmp_gt_f64_e32 vcc_lo, 0, v[150:151]
	v_cndmask_b32_e32 v155, v151, v154, vcc_lo
	v_cndmask_b32_e32 v154, v150, v150, vcc_lo
	v_cmpx_ngt_f64_e32 v[152:153], v[154:155]
	s_xor_b32 s3, exec_lo, s3
                                        ; implicit-def: $vgpr152_vgpr153_vgpr154_vgpr155
	s_cbranch_execz .LBB73_149
; %bb.148:
	v_div_scale_f64 v[152:153], null, v[150:151], v[150:151], v[148:149]
	v_div_scale_f64 v[158:159], vcc_lo, v[148:149], v[150:151], v[148:149]
	s_delay_alu instid0(VALU_DEP_2) | instskip(SKIP_2) | instid1(VALU_DEP_1)
	v_rcp_f64_e32 v[154:155], v[152:153]
	s_waitcnt_depctr 0xfff
	v_fma_f64 v[156:157], -v[152:153], v[154:155], 1.0
	v_fma_f64 v[154:155], v[154:155], v[156:157], v[154:155]
	s_delay_alu instid0(VALU_DEP_1) | instskip(NEXT) | instid1(VALU_DEP_1)
	v_fma_f64 v[156:157], -v[152:153], v[154:155], 1.0
	v_fma_f64 v[154:155], v[154:155], v[156:157], v[154:155]
	s_delay_alu instid0(VALU_DEP_1) | instskip(NEXT) | instid1(VALU_DEP_1)
	v_mul_f64 v[156:157], v[158:159], v[154:155]
	v_fma_f64 v[152:153], -v[152:153], v[156:157], v[158:159]
	s_delay_alu instid0(VALU_DEP_1) | instskip(NEXT) | instid1(VALU_DEP_1)
	v_div_fmas_f64 v[152:153], v[152:153], v[154:155], v[156:157]
	v_div_fixup_f64 v[152:153], v[152:153], v[150:151], v[148:149]
	s_delay_alu instid0(VALU_DEP_1) | instskip(NEXT) | instid1(VALU_DEP_1)
	v_fma_f64 v[148:149], v[148:149], v[152:153], v[150:151]
	v_div_scale_f64 v[150:151], null, v[148:149], v[148:149], 1.0
	s_delay_alu instid0(VALU_DEP_1) | instskip(SKIP_2) | instid1(VALU_DEP_1)
	v_rcp_f64_e32 v[154:155], v[150:151]
	s_waitcnt_depctr 0xfff
	v_fma_f64 v[156:157], -v[150:151], v[154:155], 1.0
	v_fma_f64 v[154:155], v[154:155], v[156:157], v[154:155]
	s_delay_alu instid0(VALU_DEP_1) | instskip(NEXT) | instid1(VALU_DEP_1)
	v_fma_f64 v[156:157], -v[150:151], v[154:155], 1.0
	v_fma_f64 v[154:155], v[154:155], v[156:157], v[154:155]
	v_div_scale_f64 v[156:157], vcc_lo, 1.0, v[148:149], 1.0
	s_delay_alu instid0(VALU_DEP_1) | instskip(NEXT) | instid1(VALU_DEP_1)
	v_mul_f64 v[158:159], v[156:157], v[154:155]
	v_fma_f64 v[150:151], -v[150:151], v[158:159], v[156:157]
	s_delay_alu instid0(VALU_DEP_1) | instskip(NEXT) | instid1(VALU_DEP_1)
	v_div_fmas_f64 v[150:151], v[150:151], v[154:155], v[158:159]
	v_div_fixup_f64 v[154:155], v[150:151], v[148:149], 1.0
                                        ; implicit-def: $vgpr148_vgpr149
	s_delay_alu instid0(VALU_DEP_1)
	v_mul_f64 v[156:157], v[152:153], v[154:155]
	v_xor_b32_e32 v155, 0x80000000, v155
.LBB73_149:
	s_and_not1_saveexec_b32 s3, s3
	s_cbranch_execz .LBB73_151
; %bb.150:
	v_div_scale_f64 v[152:153], null, v[148:149], v[148:149], v[150:151]
	v_div_scale_f64 v[158:159], vcc_lo, v[150:151], v[148:149], v[150:151]
	s_delay_alu instid0(VALU_DEP_2) | instskip(SKIP_2) | instid1(VALU_DEP_1)
	v_rcp_f64_e32 v[154:155], v[152:153]
	s_waitcnt_depctr 0xfff
	v_fma_f64 v[156:157], -v[152:153], v[154:155], 1.0
	v_fma_f64 v[154:155], v[154:155], v[156:157], v[154:155]
	s_delay_alu instid0(VALU_DEP_1) | instskip(NEXT) | instid1(VALU_DEP_1)
	v_fma_f64 v[156:157], -v[152:153], v[154:155], 1.0
	v_fma_f64 v[154:155], v[154:155], v[156:157], v[154:155]
	s_delay_alu instid0(VALU_DEP_1) | instskip(NEXT) | instid1(VALU_DEP_1)
	v_mul_f64 v[156:157], v[158:159], v[154:155]
	v_fma_f64 v[152:153], -v[152:153], v[156:157], v[158:159]
	s_delay_alu instid0(VALU_DEP_1) | instskip(NEXT) | instid1(VALU_DEP_1)
	v_div_fmas_f64 v[152:153], v[152:153], v[154:155], v[156:157]
	v_div_fixup_f64 v[152:153], v[152:153], v[148:149], v[150:151]
	s_delay_alu instid0(VALU_DEP_1) | instskip(NEXT) | instid1(VALU_DEP_1)
	v_fma_f64 v[148:149], v[150:151], v[152:153], v[148:149]
	v_div_scale_f64 v[150:151], null, v[148:149], v[148:149], 1.0
	s_delay_alu instid0(VALU_DEP_1) | instskip(SKIP_2) | instid1(VALU_DEP_1)
	v_rcp_f64_e32 v[154:155], v[150:151]
	s_waitcnt_depctr 0xfff
	v_fma_f64 v[156:157], -v[150:151], v[154:155], 1.0
	v_fma_f64 v[154:155], v[154:155], v[156:157], v[154:155]
	s_delay_alu instid0(VALU_DEP_1) | instskip(NEXT) | instid1(VALU_DEP_1)
	v_fma_f64 v[156:157], -v[150:151], v[154:155], 1.0
	v_fma_f64 v[154:155], v[154:155], v[156:157], v[154:155]
	v_div_scale_f64 v[156:157], vcc_lo, 1.0, v[148:149], 1.0
	s_delay_alu instid0(VALU_DEP_1) | instskip(NEXT) | instid1(VALU_DEP_1)
	v_mul_f64 v[158:159], v[156:157], v[154:155]
	v_fma_f64 v[150:151], -v[150:151], v[158:159], v[156:157]
	s_delay_alu instid0(VALU_DEP_1) | instskip(NEXT) | instid1(VALU_DEP_1)
	v_div_fmas_f64 v[150:151], v[150:151], v[154:155], v[158:159]
	v_div_fixup_f64 v[156:157], v[150:151], v[148:149], 1.0
	s_delay_alu instid0(VALU_DEP_1)
	v_mul_f64 v[154:155], v[152:153], -v[156:157]
.LBB73_151:
	s_or_b32 exec_lo, exec_lo, s3
	ds_store_2addr_b64 v189, v[156:157], v[154:155] offset1:1
.LBB73_152:
	s_or_b32 exec_lo, exec_lo, s4
	s_waitcnt lgkmcnt(0)
	s_barrier
	buffer_gl0_inv
	ds_load_2addr_b64 v[148:151], v189 offset1:1
	s_mov_b32 s3, exec_lo
	s_waitcnt lgkmcnt(0)
	scratch_store_b128 off, v[148:151], off offset:312 ; 16-byte Folded Spill
	v_cmpx_lt_u32_e32 16, v188
	s_cbranch_execz .LBB73_154
; %bb.153:
	scratch_load_b128 v[150:153], off, off offset:312 ; 16-byte Folded Reload
	s_waitcnt vmcnt(0)
	v_mul_f64 v[148:149], v[152:153], v[82:83]
	v_mul_f64 v[82:83], v[150:151], v[82:83]
	s_delay_alu instid0(VALU_DEP_2) | instskip(NEXT) | instid1(VALU_DEP_2)
	v_fma_f64 v[148:149], v[150:151], v[80:81], -v[148:149]
	v_fma_f64 v[82:83], v[152:153], v[80:81], v[82:83]
	ds_load_2addr_b64 v[150:153], v192 offset0:34 offset1:35
	s_waitcnt lgkmcnt(0)
	v_mul_f64 v[80:81], v[152:153], v[82:83]
	s_delay_alu instid0(VALU_DEP_1) | instskip(SKIP_1) | instid1(VALU_DEP_2)
	v_fma_f64 v[80:81], v[150:151], v[148:149], -v[80:81]
	v_mul_f64 v[150:151], v[150:151], v[82:83]
	v_add_f64 v[76:77], v[76:77], -v[80:81]
	s_delay_alu instid0(VALU_DEP_2) | instskip(NEXT) | instid1(VALU_DEP_1)
	v_fma_f64 v[150:151], v[152:153], v[148:149], v[150:151]
	v_add_f64 v[78:79], v[78:79], -v[150:151]
	ds_load_2addr_b64 v[150:153], v192 offset0:36 offset1:37
	s_waitcnt lgkmcnt(0)
	v_mul_f64 v[80:81], v[152:153], v[82:83]
	s_delay_alu instid0(VALU_DEP_1) | instskip(SKIP_1) | instid1(VALU_DEP_2)
	v_fma_f64 v[80:81], v[150:151], v[148:149], -v[80:81]
	v_mul_f64 v[150:151], v[150:151], v[82:83]
	v_add_f64 v[72:73], v[72:73], -v[80:81]
	s_delay_alu instid0(VALU_DEP_2) | instskip(NEXT) | instid1(VALU_DEP_1)
	v_fma_f64 v[150:151], v[152:153], v[148:149], v[150:151]
	v_add_f64 v[74:75], v[74:75], -v[150:151]
	ds_load_2addr_b64 v[150:153], v192 offset0:38 offset1:39
	s_waitcnt lgkmcnt(0)
	v_mul_f64 v[80:81], v[152:153], v[82:83]
	s_delay_alu instid0(VALU_DEP_1) | instskip(SKIP_1) | instid1(VALU_DEP_2)
	v_fma_f64 v[80:81], v[150:151], v[148:149], -v[80:81]
	v_mul_f64 v[150:151], v[150:151], v[82:83]
	v_add_f64 v[68:69], v[68:69], -v[80:81]
	s_delay_alu instid0(VALU_DEP_2) | instskip(NEXT) | instid1(VALU_DEP_1)
	v_fma_f64 v[150:151], v[152:153], v[148:149], v[150:151]
	v_add_f64 v[70:71], v[70:71], -v[150:151]
	ds_load_2addr_b64 v[150:153], v192 offset0:40 offset1:41
	s_waitcnt lgkmcnt(0)
	v_mul_f64 v[80:81], v[152:153], v[82:83]
	s_delay_alu instid0(VALU_DEP_1) | instskip(SKIP_1) | instid1(VALU_DEP_2)
	v_fma_f64 v[80:81], v[150:151], v[148:149], -v[80:81]
	v_mul_f64 v[150:151], v[150:151], v[82:83]
	v_add_f64 v[64:65], v[64:65], -v[80:81]
	s_delay_alu instid0(VALU_DEP_2) | instskip(NEXT) | instid1(VALU_DEP_1)
	v_fma_f64 v[150:151], v[152:153], v[148:149], v[150:151]
	v_add_f64 v[66:67], v[66:67], -v[150:151]
	ds_load_2addr_b64 v[150:153], v192 offset0:42 offset1:43
	s_waitcnt lgkmcnt(0)
	v_mul_f64 v[80:81], v[152:153], v[82:83]
	s_delay_alu instid0(VALU_DEP_1) | instskip(SKIP_1) | instid1(VALU_DEP_2)
	v_fma_f64 v[80:81], v[150:151], v[148:149], -v[80:81]
	v_mul_f64 v[150:151], v[150:151], v[82:83]
	v_add_f64 v[60:61], v[60:61], -v[80:81]
	s_delay_alu instid0(VALU_DEP_2) | instskip(NEXT) | instid1(VALU_DEP_1)
	v_fma_f64 v[150:151], v[152:153], v[148:149], v[150:151]
	v_add_f64 v[62:63], v[62:63], -v[150:151]
	ds_load_2addr_b64 v[150:153], v192 offset0:44 offset1:45
	s_waitcnt lgkmcnt(0)
	v_mul_f64 v[80:81], v[152:153], v[82:83]
	s_delay_alu instid0(VALU_DEP_1) | instskip(SKIP_1) | instid1(VALU_DEP_2)
	v_fma_f64 v[80:81], v[150:151], v[148:149], -v[80:81]
	v_mul_f64 v[150:151], v[150:151], v[82:83]
	v_add_f64 v[56:57], v[56:57], -v[80:81]
	s_delay_alu instid0(VALU_DEP_2) | instskip(NEXT) | instid1(VALU_DEP_1)
	v_fma_f64 v[150:151], v[152:153], v[148:149], v[150:151]
	v_add_f64 v[58:59], v[58:59], -v[150:151]
	ds_load_2addr_b64 v[150:153], v192 offset0:46 offset1:47
	s_waitcnt lgkmcnt(0)
	v_mul_f64 v[80:81], v[152:153], v[82:83]
	s_delay_alu instid0(VALU_DEP_1) | instskip(SKIP_1) | instid1(VALU_DEP_2)
	v_fma_f64 v[80:81], v[150:151], v[148:149], -v[80:81]
	v_mul_f64 v[150:151], v[150:151], v[82:83]
	v_add_f64 v[52:53], v[52:53], -v[80:81]
	s_delay_alu instid0(VALU_DEP_2) | instskip(NEXT) | instid1(VALU_DEP_1)
	v_fma_f64 v[150:151], v[152:153], v[148:149], v[150:151]
	v_add_f64 v[54:55], v[54:55], -v[150:151]
	ds_load_2addr_b64 v[150:153], v192 offset0:48 offset1:49
	s_waitcnt lgkmcnt(0)
	v_mul_f64 v[80:81], v[152:153], v[82:83]
	s_delay_alu instid0(VALU_DEP_1) | instskip(SKIP_1) | instid1(VALU_DEP_2)
	v_fma_f64 v[80:81], v[150:151], v[148:149], -v[80:81]
	v_mul_f64 v[150:151], v[150:151], v[82:83]
	v_add_f64 v[48:49], v[48:49], -v[80:81]
	s_delay_alu instid0(VALU_DEP_2) | instskip(NEXT) | instid1(VALU_DEP_1)
	v_fma_f64 v[150:151], v[152:153], v[148:149], v[150:151]
	v_add_f64 v[50:51], v[50:51], -v[150:151]
	ds_load_2addr_b64 v[150:153], v192 offset0:50 offset1:51
	s_waitcnt lgkmcnt(0)
	v_mul_f64 v[80:81], v[152:153], v[82:83]
	s_delay_alu instid0(VALU_DEP_1) | instskip(SKIP_1) | instid1(VALU_DEP_2)
	v_fma_f64 v[80:81], v[150:151], v[148:149], -v[80:81]
	v_mul_f64 v[150:151], v[150:151], v[82:83]
	v_add_f64 v[44:45], v[44:45], -v[80:81]
	s_delay_alu instid0(VALU_DEP_2) | instskip(NEXT) | instid1(VALU_DEP_1)
	v_fma_f64 v[150:151], v[152:153], v[148:149], v[150:151]
	v_add_f64 v[46:47], v[46:47], -v[150:151]
	ds_load_2addr_b64 v[150:153], v192 offset0:52 offset1:53
	s_waitcnt lgkmcnt(0)
	v_mul_f64 v[80:81], v[152:153], v[82:83]
	s_delay_alu instid0(VALU_DEP_1) | instskip(SKIP_1) | instid1(VALU_DEP_2)
	v_fma_f64 v[80:81], v[150:151], v[148:149], -v[80:81]
	v_mul_f64 v[150:151], v[150:151], v[82:83]
	v_add_f64 v[40:41], v[40:41], -v[80:81]
	s_delay_alu instid0(VALU_DEP_2) | instskip(NEXT) | instid1(VALU_DEP_1)
	v_fma_f64 v[150:151], v[152:153], v[148:149], v[150:151]
	v_add_f64 v[42:43], v[42:43], -v[150:151]
	ds_load_2addr_b64 v[150:153], v192 offset0:54 offset1:55
	s_waitcnt lgkmcnt(0)
	v_mul_f64 v[80:81], v[152:153], v[82:83]
	s_delay_alu instid0(VALU_DEP_1) | instskip(SKIP_1) | instid1(VALU_DEP_2)
	v_fma_f64 v[80:81], v[150:151], v[148:149], -v[80:81]
	v_mul_f64 v[150:151], v[150:151], v[82:83]
	v_add_f64 v[36:37], v[36:37], -v[80:81]
	s_delay_alu instid0(VALU_DEP_2) | instskip(NEXT) | instid1(VALU_DEP_1)
	v_fma_f64 v[150:151], v[152:153], v[148:149], v[150:151]
	v_add_f64 v[38:39], v[38:39], -v[150:151]
	ds_load_2addr_b64 v[150:153], v192 offset0:56 offset1:57
	s_waitcnt lgkmcnt(0)
	v_mul_f64 v[80:81], v[152:153], v[82:83]
	s_delay_alu instid0(VALU_DEP_1) | instskip(SKIP_1) | instid1(VALU_DEP_2)
	v_fma_f64 v[80:81], v[150:151], v[148:149], -v[80:81]
	v_mul_f64 v[150:151], v[150:151], v[82:83]
	v_add_f64 v[32:33], v[32:33], -v[80:81]
	s_delay_alu instid0(VALU_DEP_2) | instskip(NEXT) | instid1(VALU_DEP_1)
	v_fma_f64 v[150:151], v[152:153], v[148:149], v[150:151]
	v_add_f64 v[34:35], v[34:35], -v[150:151]
	ds_load_2addr_b64 v[150:153], v192 offset0:58 offset1:59
	s_waitcnt lgkmcnt(0)
	v_mul_f64 v[80:81], v[152:153], v[82:83]
	s_delay_alu instid0(VALU_DEP_1) | instskip(SKIP_1) | instid1(VALU_DEP_2)
	v_fma_f64 v[80:81], v[150:151], v[148:149], -v[80:81]
	v_mul_f64 v[150:151], v[150:151], v[82:83]
	v_add_f64 v[28:29], v[28:29], -v[80:81]
	s_delay_alu instid0(VALU_DEP_2) | instskip(NEXT) | instid1(VALU_DEP_1)
	v_fma_f64 v[150:151], v[152:153], v[148:149], v[150:151]
	v_add_f64 v[30:31], v[30:31], -v[150:151]
	ds_load_2addr_b64 v[150:153], v192 offset0:60 offset1:61
	s_waitcnt lgkmcnt(0)
	v_mul_f64 v[80:81], v[152:153], v[82:83]
	s_delay_alu instid0(VALU_DEP_1) | instskip(SKIP_1) | instid1(VALU_DEP_2)
	v_fma_f64 v[80:81], v[150:151], v[148:149], -v[80:81]
	v_mul_f64 v[150:151], v[150:151], v[82:83]
	v_add_f64 v[24:25], v[24:25], -v[80:81]
	s_delay_alu instid0(VALU_DEP_2) | instskip(NEXT) | instid1(VALU_DEP_1)
	v_fma_f64 v[150:151], v[152:153], v[148:149], v[150:151]
	v_add_f64 v[26:27], v[26:27], -v[150:151]
	ds_load_2addr_b64 v[150:153], v192 offset0:62 offset1:63
	s_waitcnt lgkmcnt(0)
	v_mul_f64 v[80:81], v[152:153], v[82:83]
	s_delay_alu instid0(VALU_DEP_1) | instskip(SKIP_1) | instid1(VALU_DEP_2)
	v_fma_f64 v[80:81], v[150:151], v[148:149], -v[80:81]
	v_mul_f64 v[150:151], v[150:151], v[82:83]
	v_add_f64 v[20:21], v[20:21], -v[80:81]
	s_delay_alu instid0(VALU_DEP_2) | instskip(NEXT) | instid1(VALU_DEP_1)
	v_fma_f64 v[150:151], v[152:153], v[148:149], v[150:151]
	v_add_f64 v[22:23], v[22:23], -v[150:151]
	ds_load_2addr_b64 v[150:153], v192 offset0:64 offset1:65
	s_waitcnt lgkmcnt(0)
	v_mul_f64 v[80:81], v[152:153], v[82:83]
	s_delay_alu instid0(VALU_DEP_1) | instskip(SKIP_1) | instid1(VALU_DEP_2)
	v_fma_f64 v[80:81], v[150:151], v[148:149], -v[80:81]
	v_mul_f64 v[150:151], v[150:151], v[82:83]
	v_add_f64 v[16:17], v[16:17], -v[80:81]
	s_delay_alu instid0(VALU_DEP_2) | instskip(NEXT) | instid1(VALU_DEP_1)
	v_fma_f64 v[150:151], v[152:153], v[148:149], v[150:151]
	v_add_f64 v[18:19], v[18:19], -v[150:151]
	ds_load_2addr_b64 v[150:153], v192 offset0:66 offset1:67
	s_waitcnt lgkmcnt(0)
	v_mul_f64 v[80:81], v[152:153], v[82:83]
	s_delay_alu instid0(VALU_DEP_1) | instskip(SKIP_1) | instid1(VALU_DEP_2)
	v_fma_f64 v[80:81], v[150:151], v[148:149], -v[80:81]
	v_mul_f64 v[150:151], v[150:151], v[82:83]
	v_add_f64 v[12:13], v[12:13], -v[80:81]
	s_delay_alu instid0(VALU_DEP_2) | instskip(NEXT) | instid1(VALU_DEP_1)
	v_fma_f64 v[150:151], v[152:153], v[148:149], v[150:151]
	v_add_f64 v[14:15], v[14:15], -v[150:151]
	ds_load_2addr_b64 v[150:153], v192 offset0:68 offset1:69
	s_waitcnt lgkmcnt(0)
	v_mul_f64 v[80:81], v[152:153], v[82:83]
	s_delay_alu instid0(VALU_DEP_1) | instskip(SKIP_1) | instid1(VALU_DEP_2)
	v_fma_f64 v[80:81], v[150:151], v[148:149], -v[80:81]
	v_mul_f64 v[150:151], v[150:151], v[82:83]
	v_add_f64 v[8:9], v[8:9], -v[80:81]
	s_delay_alu instid0(VALU_DEP_2) | instskip(NEXT) | instid1(VALU_DEP_1)
	v_fma_f64 v[150:151], v[152:153], v[148:149], v[150:151]
	v_add_f64 v[10:11], v[10:11], -v[150:151]
	ds_load_2addr_b64 v[150:153], v192 offset0:70 offset1:71
	s_waitcnt lgkmcnt(0)
	v_mul_f64 v[80:81], v[152:153], v[82:83]
	s_delay_alu instid0(VALU_DEP_1) | instskip(SKIP_1) | instid1(VALU_DEP_2)
	v_fma_f64 v[80:81], v[150:151], v[148:149], -v[80:81]
	v_mul_f64 v[150:151], v[150:151], v[82:83]
	v_add_f64 v[4:5], v[4:5], -v[80:81]
	s_delay_alu instid0(VALU_DEP_2) | instskip(NEXT) | instid1(VALU_DEP_1)
	v_fma_f64 v[150:151], v[152:153], v[148:149], v[150:151]
	v_add_f64 v[6:7], v[6:7], -v[150:151]
	ds_load_2addr_b64 v[150:153], v192 offset0:72 offset1:73
	s_waitcnt lgkmcnt(0)
	v_mul_f64 v[80:81], v[152:153], v[82:83]
	s_delay_alu instid0(VALU_DEP_1) | instskip(SKIP_1) | instid1(VALU_DEP_2)
	v_fma_f64 v[80:81], v[150:151], v[148:149], -v[80:81]
	v_mul_f64 v[150:151], v[150:151], v[82:83]
	v_add_f64 v[0:1], v[0:1], -v[80:81]
	s_delay_alu instid0(VALU_DEP_2) | instskip(SKIP_1) | instid1(VALU_DEP_2)
	v_fma_f64 v[150:151], v[152:153], v[148:149], v[150:151]
	v_dual_mov_b32 v80, v148 :: v_dual_mov_b32 v81, v149
	v_add_f64 v[2:3], v[2:3], -v[150:151]
.LBB73_154:
	s_or_b32 exec_lo, exec_lo, s3
	s_delay_alu instid0(SALU_CYCLE_1)
	s_mov_b32 s4, exec_lo
	s_waitcnt_vscnt null, 0x0
	s_barrier
	buffer_gl0_inv
	v_cmpx_eq_u32_e32 17, v188
	s_cbranch_execz .LBB73_161
; %bb.155:
	ds_store_2addr_b64 v189, v[76:77], v[78:79] offset1:1
	ds_store_2addr_b64 v192, v[72:73], v[74:75] offset0:36 offset1:37
	ds_store_2addr_b64 v192, v[68:69], v[70:71] offset0:38 offset1:39
	;; [unrolled: 1-line block ×19, first 2 shown]
	ds_load_2addr_b64 v[148:151], v189 offset1:1
	s_waitcnt lgkmcnt(0)
	v_cmp_neq_f64_e32 vcc_lo, 0, v[148:149]
	v_cmp_neq_f64_e64 s3, 0, v[150:151]
	s_delay_alu instid0(VALU_DEP_1) | instskip(NEXT) | instid1(SALU_CYCLE_1)
	s_or_b32 s3, vcc_lo, s3
	s_and_b32 exec_lo, exec_lo, s3
	s_cbranch_execz .LBB73_161
; %bb.156:
	v_cmp_gt_f64_e32 vcc_lo, 0, v[148:149]
	v_xor_b32_e32 v152, 0x80000000, v149
	v_xor_b32_e32 v154, 0x80000000, v151
	s_mov_b32 s3, exec_lo
                                        ; implicit-def: $vgpr156_vgpr157
	s_delay_alu instid0(VALU_DEP_2) | instskip(SKIP_4) | instid1(VALU_DEP_1)
	v_cndmask_b32_e32 v153, v149, v152, vcc_lo
	v_cndmask_b32_e32 v152, v148, v148, vcc_lo
	v_cmp_gt_f64_e32 vcc_lo, 0, v[150:151]
	v_cndmask_b32_e32 v155, v151, v154, vcc_lo
	v_cndmask_b32_e32 v154, v150, v150, vcc_lo
	v_cmpx_ngt_f64_e32 v[152:153], v[154:155]
	s_xor_b32 s3, exec_lo, s3
                                        ; implicit-def: $vgpr152_vgpr153_vgpr154_vgpr155
	s_cbranch_execz .LBB73_158
; %bb.157:
	v_div_scale_f64 v[152:153], null, v[150:151], v[150:151], v[148:149]
	v_div_scale_f64 v[158:159], vcc_lo, v[148:149], v[150:151], v[148:149]
	s_delay_alu instid0(VALU_DEP_2) | instskip(SKIP_2) | instid1(VALU_DEP_1)
	v_rcp_f64_e32 v[154:155], v[152:153]
	s_waitcnt_depctr 0xfff
	v_fma_f64 v[156:157], -v[152:153], v[154:155], 1.0
	v_fma_f64 v[154:155], v[154:155], v[156:157], v[154:155]
	s_delay_alu instid0(VALU_DEP_1) | instskip(NEXT) | instid1(VALU_DEP_1)
	v_fma_f64 v[156:157], -v[152:153], v[154:155], 1.0
	v_fma_f64 v[154:155], v[154:155], v[156:157], v[154:155]
	s_delay_alu instid0(VALU_DEP_1) | instskip(NEXT) | instid1(VALU_DEP_1)
	v_mul_f64 v[156:157], v[158:159], v[154:155]
	v_fma_f64 v[152:153], -v[152:153], v[156:157], v[158:159]
	s_delay_alu instid0(VALU_DEP_1) | instskip(NEXT) | instid1(VALU_DEP_1)
	v_div_fmas_f64 v[152:153], v[152:153], v[154:155], v[156:157]
	v_div_fixup_f64 v[152:153], v[152:153], v[150:151], v[148:149]
	s_delay_alu instid0(VALU_DEP_1) | instskip(NEXT) | instid1(VALU_DEP_1)
	v_fma_f64 v[148:149], v[148:149], v[152:153], v[150:151]
	v_div_scale_f64 v[150:151], null, v[148:149], v[148:149], 1.0
	s_delay_alu instid0(VALU_DEP_1) | instskip(SKIP_2) | instid1(VALU_DEP_1)
	v_rcp_f64_e32 v[154:155], v[150:151]
	s_waitcnt_depctr 0xfff
	v_fma_f64 v[156:157], -v[150:151], v[154:155], 1.0
	v_fma_f64 v[154:155], v[154:155], v[156:157], v[154:155]
	s_delay_alu instid0(VALU_DEP_1) | instskip(NEXT) | instid1(VALU_DEP_1)
	v_fma_f64 v[156:157], -v[150:151], v[154:155], 1.0
	v_fma_f64 v[154:155], v[154:155], v[156:157], v[154:155]
	v_div_scale_f64 v[156:157], vcc_lo, 1.0, v[148:149], 1.0
	s_delay_alu instid0(VALU_DEP_1) | instskip(NEXT) | instid1(VALU_DEP_1)
	v_mul_f64 v[158:159], v[156:157], v[154:155]
	v_fma_f64 v[150:151], -v[150:151], v[158:159], v[156:157]
	s_delay_alu instid0(VALU_DEP_1) | instskip(NEXT) | instid1(VALU_DEP_1)
	v_div_fmas_f64 v[150:151], v[150:151], v[154:155], v[158:159]
	v_div_fixup_f64 v[154:155], v[150:151], v[148:149], 1.0
                                        ; implicit-def: $vgpr148_vgpr149
	s_delay_alu instid0(VALU_DEP_1)
	v_mul_f64 v[156:157], v[152:153], v[154:155]
	v_xor_b32_e32 v155, 0x80000000, v155
.LBB73_158:
	s_and_not1_saveexec_b32 s3, s3
	s_cbranch_execz .LBB73_160
; %bb.159:
	v_div_scale_f64 v[152:153], null, v[148:149], v[148:149], v[150:151]
	v_div_scale_f64 v[158:159], vcc_lo, v[150:151], v[148:149], v[150:151]
	s_delay_alu instid0(VALU_DEP_2) | instskip(SKIP_2) | instid1(VALU_DEP_1)
	v_rcp_f64_e32 v[154:155], v[152:153]
	s_waitcnt_depctr 0xfff
	v_fma_f64 v[156:157], -v[152:153], v[154:155], 1.0
	v_fma_f64 v[154:155], v[154:155], v[156:157], v[154:155]
	s_delay_alu instid0(VALU_DEP_1) | instskip(NEXT) | instid1(VALU_DEP_1)
	v_fma_f64 v[156:157], -v[152:153], v[154:155], 1.0
	v_fma_f64 v[154:155], v[154:155], v[156:157], v[154:155]
	s_delay_alu instid0(VALU_DEP_1) | instskip(NEXT) | instid1(VALU_DEP_1)
	v_mul_f64 v[156:157], v[158:159], v[154:155]
	v_fma_f64 v[152:153], -v[152:153], v[156:157], v[158:159]
	s_delay_alu instid0(VALU_DEP_1) | instskip(NEXT) | instid1(VALU_DEP_1)
	v_div_fmas_f64 v[152:153], v[152:153], v[154:155], v[156:157]
	v_div_fixup_f64 v[152:153], v[152:153], v[148:149], v[150:151]
	s_delay_alu instid0(VALU_DEP_1) | instskip(NEXT) | instid1(VALU_DEP_1)
	v_fma_f64 v[148:149], v[150:151], v[152:153], v[148:149]
	v_div_scale_f64 v[150:151], null, v[148:149], v[148:149], 1.0
	s_delay_alu instid0(VALU_DEP_1) | instskip(SKIP_2) | instid1(VALU_DEP_1)
	v_rcp_f64_e32 v[154:155], v[150:151]
	s_waitcnt_depctr 0xfff
	v_fma_f64 v[156:157], -v[150:151], v[154:155], 1.0
	v_fma_f64 v[154:155], v[154:155], v[156:157], v[154:155]
	s_delay_alu instid0(VALU_DEP_1) | instskip(NEXT) | instid1(VALU_DEP_1)
	v_fma_f64 v[156:157], -v[150:151], v[154:155], 1.0
	v_fma_f64 v[154:155], v[154:155], v[156:157], v[154:155]
	v_div_scale_f64 v[156:157], vcc_lo, 1.0, v[148:149], 1.0
	s_delay_alu instid0(VALU_DEP_1) | instskip(NEXT) | instid1(VALU_DEP_1)
	v_mul_f64 v[158:159], v[156:157], v[154:155]
	v_fma_f64 v[150:151], -v[150:151], v[158:159], v[156:157]
	s_delay_alu instid0(VALU_DEP_1) | instskip(NEXT) | instid1(VALU_DEP_1)
	v_div_fmas_f64 v[150:151], v[150:151], v[154:155], v[158:159]
	v_div_fixup_f64 v[156:157], v[150:151], v[148:149], 1.0
	s_delay_alu instid0(VALU_DEP_1)
	v_mul_f64 v[154:155], v[152:153], -v[156:157]
.LBB73_160:
	s_or_b32 exec_lo, exec_lo, s3
	ds_store_2addr_b64 v189, v[156:157], v[154:155] offset1:1
.LBB73_161:
	s_or_b32 exec_lo, exec_lo, s4
	s_waitcnt lgkmcnt(0)
	s_barrier
	buffer_gl0_inv
	ds_load_2addr_b64 v[148:151], v189 offset1:1
	s_mov_b32 s3, exec_lo
	s_waitcnt lgkmcnt(0)
	scratch_store_b128 off, v[148:151], off offset:328 ; 16-byte Folded Spill
	v_cmpx_lt_u32_e32 17, v188
	s_cbranch_execz .LBB73_163
; %bb.162:
	scratch_load_b128 v[150:153], off, off offset:328 ; 16-byte Folded Reload
	s_waitcnt vmcnt(0)
	v_mul_f64 v[148:149], v[152:153], v[78:79]
	v_mul_f64 v[78:79], v[150:151], v[78:79]
	s_delay_alu instid0(VALU_DEP_2) | instskip(NEXT) | instid1(VALU_DEP_2)
	v_fma_f64 v[148:149], v[150:151], v[76:77], -v[148:149]
	v_fma_f64 v[78:79], v[152:153], v[76:77], v[78:79]
	ds_load_2addr_b64 v[150:153], v192 offset0:36 offset1:37
	s_waitcnt lgkmcnt(0)
	v_mul_f64 v[76:77], v[152:153], v[78:79]
	s_delay_alu instid0(VALU_DEP_1) | instskip(SKIP_1) | instid1(VALU_DEP_2)
	v_fma_f64 v[76:77], v[150:151], v[148:149], -v[76:77]
	v_mul_f64 v[150:151], v[150:151], v[78:79]
	v_add_f64 v[72:73], v[72:73], -v[76:77]
	s_delay_alu instid0(VALU_DEP_2) | instskip(NEXT) | instid1(VALU_DEP_1)
	v_fma_f64 v[150:151], v[152:153], v[148:149], v[150:151]
	v_add_f64 v[74:75], v[74:75], -v[150:151]
	ds_load_2addr_b64 v[150:153], v192 offset0:38 offset1:39
	s_waitcnt lgkmcnt(0)
	v_mul_f64 v[76:77], v[152:153], v[78:79]
	s_delay_alu instid0(VALU_DEP_1) | instskip(SKIP_1) | instid1(VALU_DEP_2)
	v_fma_f64 v[76:77], v[150:151], v[148:149], -v[76:77]
	v_mul_f64 v[150:151], v[150:151], v[78:79]
	v_add_f64 v[68:69], v[68:69], -v[76:77]
	s_delay_alu instid0(VALU_DEP_2) | instskip(NEXT) | instid1(VALU_DEP_1)
	v_fma_f64 v[150:151], v[152:153], v[148:149], v[150:151]
	v_add_f64 v[70:71], v[70:71], -v[150:151]
	;; [unrolled: 10-line block ×18, first 2 shown]
	ds_load_2addr_b64 v[150:153], v192 offset0:72 offset1:73
	s_waitcnt lgkmcnt(0)
	v_mul_f64 v[76:77], v[152:153], v[78:79]
	s_delay_alu instid0(VALU_DEP_1) | instskip(SKIP_1) | instid1(VALU_DEP_2)
	v_fma_f64 v[76:77], v[150:151], v[148:149], -v[76:77]
	v_mul_f64 v[150:151], v[150:151], v[78:79]
	v_add_f64 v[0:1], v[0:1], -v[76:77]
	s_delay_alu instid0(VALU_DEP_2) | instskip(SKIP_1) | instid1(VALU_DEP_2)
	v_fma_f64 v[150:151], v[152:153], v[148:149], v[150:151]
	v_dual_mov_b32 v76, v148 :: v_dual_mov_b32 v77, v149
	v_add_f64 v[2:3], v[2:3], -v[150:151]
.LBB73_163:
	s_or_b32 exec_lo, exec_lo, s3
	s_delay_alu instid0(SALU_CYCLE_1)
	s_mov_b32 s4, exec_lo
	s_waitcnt_vscnt null, 0x0
	s_barrier
	buffer_gl0_inv
	v_cmpx_eq_u32_e32 18, v188
	s_cbranch_execz .LBB73_170
; %bb.164:
	ds_store_2addr_b64 v189, v[72:73], v[74:75] offset1:1
	ds_store_2addr_b64 v192, v[68:69], v[70:71] offset0:38 offset1:39
	ds_store_2addr_b64 v192, v[64:65], v[66:67] offset0:40 offset1:41
	;; [unrolled: 1-line block ×18, first 2 shown]
	ds_load_2addr_b64 v[148:151], v189 offset1:1
	s_waitcnt lgkmcnt(0)
	v_cmp_neq_f64_e32 vcc_lo, 0, v[148:149]
	v_cmp_neq_f64_e64 s3, 0, v[150:151]
	s_delay_alu instid0(VALU_DEP_1) | instskip(NEXT) | instid1(SALU_CYCLE_1)
	s_or_b32 s3, vcc_lo, s3
	s_and_b32 exec_lo, exec_lo, s3
	s_cbranch_execz .LBB73_170
; %bb.165:
	v_cmp_gt_f64_e32 vcc_lo, 0, v[148:149]
	v_xor_b32_e32 v152, 0x80000000, v149
	v_xor_b32_e32 v154, 0x80000000, v151
	s_mov_b32 s3, exec_lo
                                        ; implicit-def: $vgpr156_vgpr157
	s_delay_alu instid0(VALU_DEP_2) | instskip(SKIP_4) | instid1(VALU_DEP_1)
	v_cndmask_b32_e32 v153, v149, v152, vcc_lo
	v_cndmask_b32_e32 v152, v148, v148, vcc_lo
	v_cmp_gt_f64_e32 vcc_lo, 0, v[150:151]
	v_cndmask_b32_e32 v155, v151, v154, vcc_lo
	v_cndmask_b32_e32 v154, v150, v150, vcc_lo
	v_cmpx_ngt_f64_e32 v[152:153], v[154:155]
	s_xor_b32 s3, exec_lo, s3
                                        ; implicit-def: $vgpr152_vgpr153_vgpr154_vgpr155
	s_cbranch_execz .LBB73_167
; %bb.166:
	v_div_scale_f64 v[152:153], null, v[150:151], v[150:151], v[148:149]
	v_div_scale_f64 v[158:159], vcc_lo, v[148:149], v[150:151], v[148:149]
	s_delay_alu instid0(VALU_DEP_2) | instskip(SKIP_2) | instid1(VALU_DEP_1)
	v_rcp_f64_e32 v[154:155], v[152:153]
	s_waitcnt_depctr 0xfff
	v_fma_f64 v[156:157], -v[152:153], v[154:155], 1.0
	v_fma_f64 v[154:155], v[154:155], v[156:157], v[154:155]
	s_delay_alu instid0(VALU_DEP_1) | instskip(NEXT) | instid1(VALU_DEP_1)
	v_fma_f64 v[156:157], -v[152:153], v[154:155], 1.0
	v_fma_f64 v[154:155], v[154:155], v[156:157], v[154:155]
	s_delay_alu instid0(VALU_DEP_1) | instskip(NEXT) | instid1(VALU_DEP_1)
	v_mul_f64 v[156:157], v[158:159], v[154:155]
	v_fma_f64 v[152:153], -v[152:153], v[156:157], v[158:159]
	s_delay_alu instid0(VALU_DEP_1) | instskip(NEXT) | instid1(VALU_DEP_1)
	v_div_fmas_f64 v[152:153], v[152:153], v[154:155], v[156:157]
	v_div_fixup_f64 v[152:153], v[152:153], v[150:151], v[148:149]
	s_delay_alu instid0(VALU_DEP_1) | instskip(NEXT) | instid1(VALU_DEP_1)
	v_fma_f64 v[148:149], v[148:149], v[152:153], v[150:151]
	v_div_scale_f64 v[150:151], null, v[148:149], v[148:149], 1.0
	s_delay_alu instid0(VALU_DEP_1) | instskip(SKIP_2) | instid1(VALU_DEP_1)
	v_rcp_f64_e32 v[154:155], v[150:151]
	s_waitcnt_depctr 0xfff
	v_fma_f64 v[156:157], -v[150:151], v[154:155], 1.0
	v_fma_f64 v[154:155], v[154:155], v[156:157], v[154:155]
	s_delay_alu instid0(VALU_DEP_1) | instskip(NEXT) | instid1(VALU_DEP_1)
	v_fma_f64 v[156:157], -v[150:151], v[154:155], 1.0
	v_fma_f64 v[154:155], v[154:155], v[156:157], v[154:155]
	v_div_scale_f64 v[156:157], vcc_lo, 1.0, v[148:149], 1.0
	s_delay_alu instid0(VALU_DEP_1) | instskip(NEXT) | instid1(VALU_DEP_1)
	v_mul_f64 v[158:159], v[156:157], v[154:155]
	v_fma_f64 v[150:151], -v[150:151], v[158:159], v[156:157]
	s_delay_alu instid0(VALU_DEP_1) | instskip(NEXT) | instid1(VALU_DEP_1)
	v_div_fmas_f64 v[150:151], v[150:151], v[154:155], v[158:159]
	v_div_fixup_f64 v[154:155], v[150:151], v[148:149], 1.0
                                        ; implicit-def: $vgpr148_vgpr149
	s_delay_alu instid0(VALU_DEP_1)
	v_mul_f64 v[156:157], v[152:153], v[154:155]
	v_xor_b32_e32 v155, 0x80000000, v155
.LBB73_167:
	s_and_not1_saveexec_b32 s3, s3
	s_cbranch_execz .LBB73_169
; %bb.168:
	v_div_scale_f64 v[152:153], null, v[148:149], v[148:149], v[150:151]
	v_div_scale_f64 v[158:159], vcc_lo, v[150:151], v[148:149], v[150:151]
	s_delay_alu instid0(VALU_DEP_2) | instskip(SKIP_2) | instid1(VALU_DEP_1)
	v_rcp_f64_e32 v[154:155], v[152:153]
	s_waitcnt_depctr 0xfff
	v_fma_f64 v[156:157], -v[152:153], v[154:155], 1.0
	v_fma_f64 v[154:155], v[154:155], v[156:157], v[154:155]
	s_delay_alu instid0(VALU_DEP_1) | instskip(NEXT) | instid1(VALU_DEP_1)
	v_fma_f64 v[156:157], -v[152:153], v[154:155], 1.0
	v_fma_f64 v[154:155], v[154:155], v[156:157], v[154:155]
	s_delay_alu instid0(VALU_DEP_1) | instskip(NEXT) | instid1(VALU_DEP_1)
	v_mul_f64 v[156:157], v[158:159], v[154:155]
	v_fma_f64 v[152:153], -v[152:153], v[156:157], v[158:159]
	s_delay_alu instid0(VALU_DEP_1) | instskip(NEXT) | instid1(VALU_DEP_1)
	v_div_fmas_f64 v[152:153], v[152:153], v[154:155], v[156:157]
	v_div_fixup_f64 v[152:153], v[152:153], v[148:149], v[150:151]
	s_delay_alu instid0(VALU_DEP_1) | instskip(NEXT) | instid1(VALU_DEP_1)
	v_fma_f64 v[148:149], v[150:151], v[152:153], v[148:149]
	v_div_scale_f64 v[150:151], null, v[148:149], v[148:149], 1.0
	s_delay_alu instid0(VALU_DEP_1) | instskip(SKIP_2) | instid1(VALU_DEP_1)
	v_rcp_f64_e32 v[154:155], v[150:151]
	s_waitcnt_depctr 0xfff
	v_fma_f64 v[156:157], -v[150:151], v[154:155], 1.0
	v_fma_f64 v[154:155], v[154:155], v[156:157], v[154:155]
	s_delay_alu instid0(VALU_DEP_1) | instskip(NEXT) | instid1(VALU_DEP_1)
	v_fma_f64 v[156:157], -v[150:151], v[154:155], 1.0
	v_fma_f64 v[154:155], v[154:155], v[156:157], v[154:155]
	v_div_scale_f64 v[156:157], vcc_lo, 1.0, v[148:149], 1.0
	s_delay_alu instid0(VALU_DEP_1) | instskip(NEXT) | instid1(VALU_DEP_1)
	v_mul_f64 v[158:159], v[156:157], v[154:155]
	v_fma_f64 v[150:151], -v[150:151], v[158:159], v[156:157]
	s_delay_alu instid0(VALU_DEP_1) | instskip(NEXT) | instid1(VALU_DEP_1)
	v_div_fmas_f64 v[150:151], v[150:151], v[154:155], v[158:159]
	v_div_fixup_f64 v[156:157], v[150:151], v[148:149], 1.0
	s_delay_alu instid0(VALU_DEP_1)
	v_mul_f64 v[154:155], v[152:153], -v[156:157]
.LBB73_169:
	s_or_b32 exec_lo, exec_lo, s3
	ds_store_2addr_b64 v189, v[156:157], v[154:155] offset1:1
.LBB73_170:
	s_or_b32 exec_lo, exec_lo, s4
	s_waitcnt lgkmcnt(0)
	s_barrier
	buffer_gl0_inv
	ds_load_2addr_b64 v[148:151], v189 offset1:1
	s_mov_b32 s3, exec_lo
	s_waitcnt lgkmcnt(0)
	scratch_store_b128 off, v[148:151], off offset:344 ; 16-byte Folded Spill
	v_cmpx_lt_u32_e32 18, v188
	s_cbranch_execz .LBB73_172
; %bb.171:
	scratch_load_b128 v[150:153], off, off offset:344 ; 16-byte Folded Reload
	s_waitcnt vmcnt(0)
	v_mul_f64 v[148:149], v[152:153], v[74:75]
	v_mul_f64 v[74:75], v[150:151], v[74:75]
	s_delay_alu instid0(VALU_DEP_2) | instskip(NEXT) | instid1(VALU_DEP_2)
	v_fma_f64 v[148:149], v[150:151], v[72:73], -v[148:149]
	v_fma_f64 v[74:75], v[152:153], v[72:73], v[74:75]
	ds_load_2addr_b64 v[150:153], v192 offset0:38 offset1:39
	s_waitcnt lgkmcnt(0)
	v_mul_f64 v[72:73], v[152:153], v[74:75]
	s_delay_alu instid0(VALU_DEP_1) | instskip(SKIP_1) | instid1(VALU_DEP_2)
	v_fma_f64 v[72:73], v[150:151], v[148:149], -v[72:73]
	v_mul_f64 v[150:151], v[150:151], v[74:75]
	v_add_f64 v[68:69], v[68:69], -v[72:73]
	s_delay_alu instid0(VALU_DEP_2) | instskip(NEXT) | instid1(VALU_DEP_1)
	v_fma_f64 v[150:151], v[152:153], v[148:149], v[150:151]
	v_add_f64 v[70:71], v[70:71], -v[150:151]
	ds_load_2addr_b64 v[150:153], v192 offset0:40 offset1:41
	s_waitcnt lgkmcnt(0)
	v_mul_f64 v[72:73], v[152:153], v[74:75]
	s_delay_alu instid0(VALU_DEP_1) | instskip(SKIP_1) | instid1(VALU_DEP_2)
	v_fma_f64 v[72:73], v[150:151], v[148:149], -v[72:73]
	v_mul_f64 v[150:151], v[150:151], v[74:75]
	v_add_f64 v[64:65], v[64:65], -v[72:73]
	s_delay_alu instid0(VALU_DEP_2) | instskip(NEXT) | instid1(VALU_DEP_1)
	v_fma_f64 v[150:151], v[152:153], v[148:149], v[150:151]
	v_add_f64 v[66:67], v[66:67], -v[150:151]
	;; [unrolled: 10-line block ×17, first 2 shown]
	ds_load_2addr_b64 v[150:153], v192 offset0:72 offset1:73
	s_waitcnt lgkmcnt(0)
	v_mul_f64 v[72:73], v[152:153], v[74:75]
	s_delay_alu instid0(VALU_DEP_1) | instskip(SKIP_1) | instid1(VALU_DEP_2)
	v_fma_f64 v[72:73], v[150:151], v[148:149], -v[72:73]
	v_mul_f64 v[150:151], v[150:151], v[74:75]
	v_add_f64 v[0:1], v[0:1], -v[72:73]
	s_delay_alu instid0(VALU_DEP_2) | instskip(SKIP_1) | instid1(VALU_DEP_2)
	v_fma_f64 v[150:151], v[152:153], v[148:149], v[150:151]
	v_dual_mov_b32 v72, v148 :: v_dual_mov_b32 v73, v149
	v_add_f64 v[2:3], v[2:3], -v[150:151]
.LBB73_172:
	s_or_b32 exec_lo, exec_lo, s3
	s_delay_alu instid0(SALU_CYCLE_1)
	s_mov_b32 s4, exec_lo
	s_waitcnt_vscnt null, 0x0
	s_barrier
	buffer_gl0_inv
	v_cmpx_eq_u32_e32 19, v188
	s_cbranch_execz .LBB73_179
; %bb.173:
	ds_store_2addr_b64 v189, v[68:69], v[70:71] offset1:1
	ds_store_2addr_b64 v192, v[64:65], v[66:67] offset0:40 offset1:41
	ds_store_2addr_b64 v192, v[60:61], v[62:63] offset0:42 offset1:43
	ds_store_2addr_b64 v192, v[56:57], v[58:59] offset0:44 offset1:45
	ds_store_2addr_b64 v192, v[52:53], v[54:55] offset0:46 offset1:47
	ds_store_2addr_b64 v192, v[48:49], v[50:51] offset0:48 offset1:49
	ds_store_2addr_b64 v192, v[44:45], v[46:47] offset0:50 offset1:51
	ds_store_2addr_b64 v192, v[40:41], v[42:43] offset0:52 offset1:53
	ds_store_2addr_b64 v192, v[36:37], v[38:39] offset0:54 offset1:55
	ds_store_2addr_b64 v192, v[32:33], v[34:35] offset0:56 offset1:57
	ds_store_2addr_b64 v192, v[28:29], v[30:31] offset0:58 offset1:59
	ds_store_2addr_b64 v192, v[24:25], v[26:27] offset0:60 offset1:61
	ds_store_2addr_b64 v192, v[20:21], v[22:23] offset0:62 offset1:63
	ds_store_2addr_b64 v192, v[16:17], v[18:19] offset0:64 offset1:65
	ds_store_2addr_b64 v192, v[12:13], v[14:15] offset0:66 offset1:67
	ds_store_2addr_b64 v192, v[8:9], v[10:11] offset0:68 offset1:69
	ds_store_2addr_b64 v192, v[4:5], v[6:7] offset0:70 offset1:71
	ds_store_2addr_b64 v192, v[0:1], v[2:3] offset0:72 offset1:73
	ds_load_2addr_b64 v[148:151], v189 offset1:1
	s_waitcnt lgkmcnt(0)
	v_cmp_neq_f64_e32 vcc_lo, 0, v[148:149]
	v_cmp_neq_f64_e64 s3, 0, v[150:151]
	s_delay_alu instid0(VALU_DEP_1) | instskip(NEXT) | instid1(SALU_CYCLE_1)
	s_or_b32 s3, vcc_lo, s3
	s_and_b32 exec_lo, exec_lo, s3
	s_cbranch_execz .LBB73_179
; %bb.174:
	v_cmp_gt_f64_e32 vcc_lo, 0, v[148:149]
	v_xor_b32_e32 v152, 0x80000000, v149
	v_xor_b32_e32 v154, 0x80000000, v151
	s_mov_b32 s3, exec_lo
                                        ; implicit-def: $vgpr156_vgpr157
	s_delay_alu instid0(VALU_DEP_2) | instskip(SKIP_4) | instid1(VALU_DEP_1)
	v_cndmask_b32_e32 v153, v149, v152, vcc_lo
	v_cndmask_b32_e32 v152, v148, v148, vcc_lo
	v_cmp_gt_f64_e32 vcc_lo, 0, v[150:151]
	v_cndmask_b32_e32 v155, v151, v154, vcc_lo
	v_cndmask_b32_e32 v154, v150, v150, vcc_lo
	v_cmpx_ngt_f64_e32 v[152:153], v[154:155]
	s_xor_b32 s3, exec_lo, s3
                                        ; implicit-def: $vgpr152_vgpr153_vgpr154_vgpr155
	s_cbranch_execz .LBB73_176
; %bb.175:
	v_div_scale_f64 v[152:153], null, v[150:151], v[150:151], v[148:149]
	v_div_scale_f64 v[158:159], vcc_lo, v[148:149], v[150:151], v[148:149]
	s_delay_alu instid0(VALU_DEP_2) | instskip(SKIP_2) | instid1(VALU_DEP_1)
	v_rcp_f64_e32 v[154:155], v[152:153]
	s_waitcnt_depctr 0xfff
	v_fma_f64 v[156:157], -v[152:153], v[154:155], 1.0
	v_fma_f64 v[154:155], v[154:155], v[156:157], v[154:155]
	s_delay_alu instid0(VALU_DEP_1) | instskip(NEXT) | instid1(VALU_DEP_1)
	v_fma_f64 v[156:157], -v[152:153], v[154:155], 1.0
	v_fma_f64 v[154:155], v[154:155], v[156:157], v[154:155]
	s_delay_alu instid0(VALU_DEP_1) | instskip(NEXT) | instid1(VALU_DEP_1)
	v_mul_f64 v[156:157], v[158:159], v[154:155]
	v_fma_f64 v[152:153], -v[152:153], v[156:157], v[158:159]
	s_delay_alu instid0(VALU_DEP_1) | instskip(NEXT) | instid1(VALU_DEP_1)
	v_div_fmas_f64 v[152:153], v[152:153], v[154:155], v[156:157]
	v_div_fixup_f64 v[152:153], v[152:153], v[150:151], v[148:149]
	s_delay_alu instid0(VALU_DEP_1) | instskip(NEXT) | instid1(VALU_DEP_1)
	v_fma_f64 v[148:149], v[148:149], v[152:153], v[150:151]
	v_div_scale_f64 v[150:151], null, v[148:149], v[148:149], 1.0
	s_delay_alu instid0(VALU_DEP_1) | instskip(SKIP_2) | instid1(VALU_DEP_1)
	v_rcp_f64_e32 v[154:155], v[150:151]
	s_waitcnt_depctr 0xfff
	v_fma_f64 v[156:157], -v[150:151], v[154:155], 1.0
	v_fma_f64 v[154:155], v[154:155], v[156:157], v[154:155]
	s_delay_alu instid0(VALU_DEP_1) | instskip(NEXT) | instid1(VALU_DEP_1)
	v_fma_f64 v[156:157], -v[150:151], v[154:155], 1.0
	v_fma_f64 v[154:155], v[154:155], v[156:157], v[154:155]
	v_div_scale_f64 v[156:157], vcc_lo, 1.0, v[148:149], 1.0
	s_delay_alu instid0(VALU_DEP_1) | instskip(NEXT) | instid1(VALU_DEP_1)
	v_mul_f64 v[158:159], v[156:157], v[154:155]
	v_fma_f64 v[150:151], -v[150:151], v[158:159], v[156:157]
	s_delay_alu instid0(VALU_DEP_1) | instskip(NEXT) | instid1(VALU_DEP_1)
	v_div_fmas_f64 v[150:151], v[150:151], v[154:155], v[158:159]
	v_div_fixup_f64 v[154:155], v[150:151], v[148:149], 1.0
                                        ; implicit-def: $vgpr148_vgpr149
	s_delay_alu instid0(VALU_DEP_1)
	v_mul_f64 v[156:157], v[152:153], v[154:155]
	v_xor_b32_e32 v155, 0x80000000, v155
.LBB73_176:
	s_and_not1_saveexec_b32 s3, s3
	s_cbranch_execz .LBB73_178
; %bb.177:
	v_div_scale_f64 v[152:153], null, v[148:149], v[148:149], v[150:151]
	v_div_scale_f64 v[158:159], vcc_lo, v[150:151], v[148:149], v[150:151]
	s_delay_alu instid0(VALU_DEP_2) | instskip(SKIP_2) | instid1(VALU_DEP_1)
	v_rcp_f64_e32 v[154:155], v[152:153]
	s_waitcnt_depctr 0xfff
	v_fma_f64 v[156:157], -v[152:153], v[154:155], 1.0
	v_fma_f64 v[154:155], v[154:155], v[156:157], v[154:155]
	s_delay_alu instid0(VALU_DEP_1) | instskip(NEXT) | instid1(VALU_DEP_1)
	v_fma_f64 v[156:157], -v[152:153], v[154:155], 1.0
	v_fma_f64 v[154:155], v[154:155], v[156:157], v[154:155]
	s_delay_alu instid0(VALU_DEP_1) | instskip(NEXT) | instid1(VALU_DEP_1)
	v_mul_f64 v[156:157], v[158:159], v[154:155]
	v_fma_f64 v[152:153], -v[152:153], v[156:157], v[158:159]
	s_delay_alu instid0(VALU_DEP_1) | instskip(NEXT) | instid1(VALU_DEP_1)
	v_div_fmas_f64 v[152:153], v[152:153], v[154:155], v[156:157]
	v_div_fixup_f64 v[152:153], v[152:153], v[148:149], v[150:151]
	s_delay_alu instid0(VALU_DEP_1) | instskip(NEXT) | instid1(VALU_DEP_1)
	v_fma_f64 v[148:149], v[150:151], v[152:153], v[148:149]
	v_div_scale_f64 v[150:151], null, v[148:149], v[148:149], 1.0
	s_delay_alu instid0(VALU_DEP_1) | instskip(SKIP_2) | instid1(VALU_DEP_1)
	v_rcp_f64_e32 v[154:155], v[150:151]
	s_waitcnt_depctr 0xfff
	v_fma_f64 v[156:157], -v[150:151], v[154:155], 1.0
	v_fma_f64 v[154:155], v[154:155], v[156:157], v[154:155]
	s_delay_alu instid0(VALU_DEP_1) | instskip(NEXT) | instid1(VALU_DEP_1)
	v_fma_f64 v[156:157], -v[150:151], v[154:155], 1.0
	v_fma_f64 v[154:155], v[154:155], v[156:157], v[154:155]
	v_div_scale_f64 v[156:157], vcc_lo, 1.0, v[148:149], 1.0
	s_delay_alu instid0(VALU_DEP_1) | instskip(NEXT) | instid1(VALU_DEP_1)
	v_mul_f64 v[158:159], v[156:157], v[154:155]
	v_fma_f64 v[150:151], -v[150:151], v[158:159], v[156:157]
	s_delay_alu instid0(VALU_DEP_1) | instskip(NEXT) | instid1(VALU_DEP_1)
	v_div_fmas_f64 v[150:151], v[150:151], v[154:155], v[158:159]
	v_div_fixup_f64 v[156:157], v[150:151], v[148:149], 1.0
	s_delay_alu instid0(VALU_DEP_1)
	v_mul_f64 v[154:155], v[152:153], -v[156:157]
.LBB73_178:
	s_or_b32 exec_lo, exec_lo, s3
	ds_store_2addr_b64 v189, v[156:157], v[154:155] offset1:1
.LBB73_179:
	s_or_b32 exec_lo, exec_lo, s4
	s_waitcnt lgkmcnt(0)
	s_barrier
	buffer_gl0_inv
	ds_load_2addr_b64 v[148:151], v189 offset1:1
	s_mov_b32 s3, exec_lo
	s_waitcnt lgkmcnt(0)
	scratch_store_b128 off, v[148:151], off offset:360 ; 16-byte Folded Spill
	v_cmpx_lt_u32_e32 19, v188
	s_cbranch_execz .LBB73_181
; %bb.180:
	scratch_load_b128 v[150:153], off, off offset:360 ; 16-byte Folded Reload
	s_waitcnt vmcnt(0)
	v_mul_f64 v[148:149], v[152:153], v[70:71]
	v_mul_f64 v[70:71], v[150:151], v[70:71]
	s_delay_alu instid0(VALU_DEP_2) | instskip(NEXT) | instid1(VALU_DEP_2)
	v_fma_f64 v[148:149], v[150:151], v[68:69], -v[148:149]
	v_fma_f64 v[70:71], v[152:153], v[68:69], v[70:71]
	ds_load_2addr_b64 v[150:153], v192 offset0:40 offset1:41
	s_waitcnt lgkmcnt(0)
	v_mul_f64 v[68:69], v[152:153], v[70:71]
	s_delay_alu instid0(VALU_DEP_1) | instskip(SKIP_1) | instid1(VALU_DEP_2)
	v_fma_f64 v[68:69], v[150:151], v[148:149], -v[68:69]
	v_mul_f64 v[150:151], v[150:151], v[70:71]
	v_add_f64 v[64:65], v[64:65], -v[68:69]
	s_delay_alu instid0(VALU_DEP_2) | instskip(NEXT) | instid1(VALU_DEP_1)
	v_fma_f64 v[150:151], v[152:153], v[148:149], v[150:151]
	v_add_f64 v[66:67], v[66:67], -v[150:151]
	ds_load_2addr_b64 v[150:153], v192 offset0:42 offset1:43
	s_waitcnt lgkmcnt(0)
	v_mul_f64 v[68:69], v[152:153], v[70:71]
	s_delay_alu instid0(VALU_DEP_1) | instskip(SKIP_1) | instid1(VALU_DEP_2)
	v_fma_f64 v[68:69], v[150:151], v[148:149], -v[68:69]
	v_mul_f64 v[150:151], v[150:151], v[70:71]
	v_add_f64 v[60:61], v[60:61], -v[68:69]
	s_delay_alu instid0(VALU_DEP_2) | instskip(NEXT) | instid1(VALU_DEP_1)
	v_fma_f64 v[150:151], v[152:153], v[148:149], v[150:151]
	v_add_f64 v[62:63], v[62:63], -v[150:151]
	ds_load_2addr_b64 v[150:153], v192 offset0:44 offset1:45
	s_waitcnt lgkmcnt(0)
	v_mul_f64 v[68:69], v[152:153], v[70:71]
	s_delay_alu instid0(VALU_DEP_1) | instskip(SKIP_1) | instid1(VALU_DEP_2)
	v_fma_f64 v[68:69], v[150:151], v[148:149], -v[68:69]
	v_mul_f64 v[150:151], v[150:151], v[70:71]
	v_add_f64 v[56:57], v[56:57], -v[68:69]
	s_delay_alu instid0(VALU_DEP_2) | instskip(NEXT) | instid1(VALU_DEP_1)
	v_fma_f64 v[150:151], v[152:153], v[148:149], v[150:151]
	v_add_f64 v[58:59], v[58:59], -v[150:151]
	ds_load_2addr_b64 v[150:153], v192 offset0:46 offset1:47
	s_waitcnt lgkmcnt(0)
	v_mul_f64 v[68:69], v[152:153], v[70:71]
	s_delay_alu instid0(VALU_DEP_1) | instskip(SKIP_1) | instid1(VALU_DEP_2)
	v_fma_f64 v[68:69], v[150:151], v[148:149], -v[68:69]
	v_mul_f64 v[150:151], v[150:151], v[70:71]
	v_add_f64 v[52:53], v[52:53], -v[68:69]
	s_delay_alu instid0(VALU_DEP_2) | instskip(NEXT) | instid1(VALU_DEP_1)
	v_fma_f64 v[150:151], v[152:153], v[148:149], v[150:151]
	v_add_f64 v[54:55], v[54:55], -v[150:151]
	ds_load_2addr_b64 v[150:153], v192 offset0:48 offset1:49
	s_waitcnt lgkmcnt(0)
	v_mul_f64 v[68:69], v[152:153], v[70:71]
	s_delay_alu instid0(VALU_DEP_1) | instskip(SKIP_1) | instid1(VALU_DEP_2)
	v_fma_f64 v[68:69], v[150:151], v[148:149], -v[68:69]
	v_mul_f64 v[150:151], v[150:151], v[70:71]
	v_add_f64 v[48:49], v[48:49], -v[68:69]
	s_delay_alu instid0(VALU_DEP_2) | instskip(NEXT) | instid1(VALU_DEP_1)
	v_fma_f64 v[150:151], v[152:153], v[148:149], v[150:151]
	v_add_f64 v[50:51], v[50:51], -v[150:151]
	ds_load_2addr_b64 v[150:153], v192 offset0:50 offset1:51
	s_waitcnt lgkmcnt(0)
	v_mul_f64 v[68:69], v[152:153], v[70:71]
	s_delay_alu instid0(VALU_DEP_1) | instskip(SKIP_1) | instid1(VALU_DEP_2)
	v_fma_f64 v[68:69], v[150:151], v[148:149], -v[68:69]
	v_mul_f64 v[150:151], v[150:151], v[70:71]
	v_add_f64 v[44:45], v[44:45], -v[68:69]
	s_delay_alu instid0(VALU_DEP_2) | instskip(NEXT) | instid1(VALU_DEP_1)
	v_fma_f64 v[150:151], v[152:153], v[148:149], v[150:151]
	v_add_f64 v[46:47], v[46:47], -v[150:151]
	ds_load_2addr_b64 v[150:153], v192 offset0:52 offset1:53
	s_waitcnt lgkmcnt(0)
	v_mul_f64 v[68:69], v[152:153], v[70:71]
	s_delay_alu instid0(VALU_DEP_1) | instskip(SKIP_1) | instid1(VALU_DEP_2)
	v_fma_f64 v[68:69], v[150:151], v[148:149], -v[68:69]
	v_mul_f64 v[150:151], v[150:151], v[70:71]
	v_add_f64 v[40:41], v[40:41], -v[68:69]
	s_delay_alu instid0(VALU_DEP_2) | instskip(NEXT) | instid1(VALU_DEP_1)
	v_fma_f64 v[150:151], v[152:153], v[148:149], v[150:151]
	v_add_f64 v[42:43], v[42:43], -v[150:151]
	ds_load_2addr_b64 v[150:153], v192 offset0:54 offset1:55
	s_waitcnt lgkmcnt(0)
	v_mul_f64 v[68:69], v[152:153], v[70:71]
	s_delay_alu instid0(VALU_DEP_1) | instskip(SKIP_1) | instid1(VALU_DEP_2)
	v_fma_f64 v[68:69], v[150:151], v[148:149], -v[68:69]
	v_mul_f64 v[150:151], v[150:151], v[70:71]
	v_add_f64 v[36:37], v[36:37], -v[68:69]
	s_delay_alu instid0(VALU_DEP_2) | instskip(NEXT) | instid1(VALU_DEP_1)
	v_fma_f64 v[150:151], v[152:153], v[148:149], v[150:151]
	v_add_f64 v[38:39], v[38:39], -v[150:151]
	ds_load_2addr_b64 v[150:153], v192 offset0:56 offset1:57
	s_waitcnt lgkmcnt(0)
	v_mul_f64 v[68:69], v[152:153], v[70:71]
	s_delay_alu instid0(VALU_DEP_1) | instskip(SKIP_1) | instid1(VALU_DEP_2)
	v_fma_f64 v[68:69], v[150:151], v[148:149], -v[68:69]
	v_mul_f64 v[150:151], v[150:151], v[70:71]
	v_add_f64 v[32:33], v[32:33], -v[68:69]
	s_delay_alu instid0(VALU_DEP_2) | instskip(NEXT) | instid1(VALU_DEP_1)
	v_fma_f64 v[150:151], v[152:153], v[148:149], v[150:151]
	v_add_f64 v[34:35], v[34:35], -v[150:151]
	ds_load_2addr_b64 v[150:153], v192 offset0:58 offset1:59
	s_waitcnt lgkmcnt(0)
	v_mul_f64 v[68:69], v[152:153], v[70:71]
	s_delay_alu instid0(VALU_DEP_1) | instskip(SKIP_1) | instid1(VALU_DEP_2)
	v_fma_f64 v[68:69], v[150:151], v[148:149], -v[68:69]
	v_mul_f64 v[150:151], v[150:151], v[70:71]
	v_add_f64 v[28:29], v[28:29], -v[68:69]
	s_delay_alu instid0(VALU_DEP_2) | instskip(NEXT) | instid1(VALU_DEP_1)
	v_fma_f64 v[150:151], v[152:153], v[148:149], v[150:151]
	v_add_f64 v[30:31], v[30:31], -v[150:151]
	ds_load_2addr_b64 v[150:153], v192 offset0:60 offset1:61
	s_waitcnt lgkmcnt(0)
	v_mul_f64 v[68:69], v[152:153], v[70:71]
	s_delay_alu instid0(VALU_DEP_1) | instskip(SKIP_1) | instid1(VALU_DEP_2)
	v_fma_f64 v[68:69], v[150:151], v[148:149], -v[68:69]
	v_mul_f64 v[150:151], v[150:151], v[70:71]
	v_add_f64 v[24:25], v[24:25], -v[68:69]
	s_delay_alu instid0(VALU_DEP_2) | instskip(NEXT) | instid1(VALU_DEP_1)
	v_fma_f64 v[150:151], v[152:153], v[148:149], v[150:151]
	v_add_f64 v[26:27], v[26:27], -v[150:151]
	ds_load_2addr_b64 v[150:153], v192 offset0:62 offset1:63
	s_waitcnt lgkmcnt(0)
	v_mul_f64 v[68:69], v[152:153], v[70:71]
	s_delay_alu instid0(VALU_DEP_1) | instskip(SKIP_1) | instid1(VALU_DEP_2)
	v_fma_f64 v[68:69], v[150:151], v[148:149], -v[68:69]
	v_mul_f64 v[150:151], v[150:151], v[70:71]
	v_add_f64 v[20:21], v[20:21], -v[68:69]
	s_delay_alu instid0(VALU_DEP_2) | instskip(NEXT) | instid1(VALU_DEP_1)
	v_fma_f64 v[150:151], v[152:153], v[148:149], v[150:151]
	v_add_f64 v[22:23], v[22:23], -v[150:151]
	ds_load_2addr_b64 v[150:153], v192 offset0:64 offset1:65
	s_waitcnt lgkmcnt(0)
	v_mul_f64 v[68:69], v[152:153], v[70:71]
	s_delay_alu instid0(VALU_DEP_1) | instskip(SKIP_1) | instid1(VALU_DEP_2)
	v_fma_f64 v[68:69], v[150:151], v[148:149], -v[68:69]
	v_mul_f64 v[150:151], v[150:151], v[70:71]
	v_add_f64 v[16:17], v[16:17], -v[68:69]
	s_delay_alu instid0(VALU_DEP_2) | instskip(NEXT) | instid1(VALU_DEP_1)
	v_fma_f64 v[150:151], v[152:153], v[148:149], v[150:151]
	v_add_f64 v[18:19], v[18:19], -v[150:151]
	ds_load_2addr_b64 v[150:153], v192 offset0:66 offset1:67
	s_waitcnt lgkmcnt(0)
	v_mul_f64 v[68:69], v[152:153], v[70:71]
	s_delay_alu instid0(VALU_DEP_1) | instskip(SKIP_1) | instid1(VALU_DEP_2)
	v_fma_f64 v[68:69], v[150:151], v[148:149], -v[68:69]
	v_mul_f64 v[150:151], v[150:151], v[70:71]
	v_add_f64 v[12:13], v[12:13], -v[68:69]
	s_delay_alu instid0(VALU_DEP_2) | instskip(NEXT) | instid1(VALU_DEP_1)
	v_fma_f64 v[150:151], v[152:153], v[148:149], v[150:151]
	v_add_f64 v[14:15], v[14:15], -v[150:151]
	ds_load_2addr_b64 v[150:153], v192 offset0:68 offset1:69
	s_waitcnt lgkmcnt(0)
	v_mul_f64 v[68:69], v[152:153], v[70:71]
	s_delay_alu instid0(VALU_DEP_1) | instskip(SKIP_1) | instid1(VALU_DEP_2)
	v_fma_f64 v[68:69], v[150:151], v[148:149], -v[68:69]
	v_mul_f64 v[150:151], v[150:151], v[70:71]
	v_add_f64 v[8:9], v[8:9], -v[68:69]
	s_delay_alu instid0(VALU_DEP_2) | instskip(NEXT) | instid1(VALU_DEP_1)
	v_fma_f64 v[150:151], v[152:153], v[148:149], v[150:151]
	v_add_f64 v[10:11], v[10:11], -v[150:151]
	ds_load_2addr_b64 v[150:153], v192 offset0:70 offset1:71
	s_waitcnt lgkmcnt(0)
	v_mul_f64 v[68:69], v[152:153], v[70:71]
	s_delay_alu instid0(VALU_DEP_1) | instskip(SKIP_1) | instid1(VALU_DEP_2)
	v_fma_f64 v[68:69], v[150:151], v[148:149], -v[68:69]
	v_mul_f64 v[150:151], v[150:151], v[70:71]
	v_add_f64 v[4:5], v[4:5], -v[68:69]
	s_delay_alu instid0(VALU_DEP_2) | instskip(NEXT) | instid1(VALU_DEP_1)
	v_fma_f64 v[150:151], v[152:153], v[148:149], v[150:151]
	v_add_f64 v[6:7], v[6:7], -v[150:151]
	ds_load_2addr_b64 v[150:153], v192 offset0:72 offset1:73
	s_waitcnt lgkmcnt(0)
	v_mul_f64 v[68:69], v[152:153], v[70:71]
	s_delay_alu instid0(VALU_DEP_1) | instskip(SKIP_1) | instid1(VALU_DEP_2)
	v_fma_f64 v[68:69], v[150:151], v[148:149], -v[68:69]
	v_mul_f64 v[150:151], v[150:151], v[70:71]
	v_add_f64 v[0:1], v[0:1], -v[68:69]
	s_delay_alu instid0(VALU_DEP_2) | instskip(SKIP_1) | instid1(VALU_DEP_2)
	v_fma_f64 v[150:151], v[152:153], v[148:149], v[150:151]
	v_dual_mov_b32 v68, v148 :: v_dual_mov_b32 v69, v149
	v_add_f64 v[2:3], v[2:3], -v[150:151]
.LBB73_181:
	s_or_b32 exec_lo, exec_lo, s3
	s_delay_alu instid0(SALU_CYCLE_1)
	s_mov_b32 s4, exec_lo
	s_waitcnt_vscnt null, 0x0
	s_barrier
	buffer_gl0_inv
	v_cmpx_eq_u32_e32 20, v188
	s_cbranch_execz .LBB73_188
; %bb.182:
	ds_store_2addr_b64 v189, v[64:65], v[66:67] offset1:1
	ds_store_2addr_b64 v192, v[60:61], v[62:63] offset0:42 offset1:43
	ds_store_2addr_b64 v192, v[56:57], v[58:59] offset0:44 offset1:45
	;; [unrolled: 1-line block ×16, first 2 shown]
	ds_load_2addr_b64 v[148:151], v189 offset1:1
	s_waitcnt lgkmcnt(0)
	v_cmp_neq_f64_e32 vcc_lo, 0, v[148:149]
	v_cmp_neq_f64_e64 s3, 0, v[150:151]
	s_delay_alu instid0(VALU_DEP_1) | instskip(NEXT) | instid1(SALU_CYCLE_1)
	s_or_b32 s3, vcc_lo, s3
	s_and_b32 exec_lo, exec_lo, s3
	s_cbranch_execz .LBB73_188
; %bb.183:
	v_cmp_gt_f64_e32 vcc_lo, 0, v[148:149]
	v_xor_b32_e32 v152, 0x80000000, v149
	v_xor_b32_e32 v154, 0x80000000, v151
	s_mov_b32 s3, exec_lo
                                        ; implicit-def: $vgpr156_vgpr157
	s_delay_alu instid0(VALU_DEP_2) | instskip(SKIP_4) | instid1(VALU_DEP_1)
	v_cndmask_b32_e32 v153, v149, v152, vcc_lo
	v_cndmask_b32_e32 v152, v148, v148, vcc_lo
	v_cmp_gt_f64_e32 vcc_lo, 0, v[150:151]
	v_cndmask_b32_e32 v155, v151, v154, vcc_lo
	v_cndmask_b32_e32 v154, v150, v150, vcc_lo
	v_cmpx_ngt_f64_e32 v[152:153], v[154:155]
	s_xor_b32 s3, exec_lo, s3
                                        ; implicit-def: $vgpr152_vgpr153_vgpr154_vgpr155
	s_cbranch_execz .LBB73_185
; %bb.184:
	v_div_scale_f64 v[152:153], null, v[150:151], v[150:151], v[148:149]
	v_div_scale_f64 v[158:159], vcc_lo, v[148:149], v[150:151], v[148:149]
	s_delay_alu instid0(VALU_DEP_2) | instskip(SKIP_2) | instid1(VALU_DEP_1)
	v_rcp_f64_e32 v[154:155], v[152:153]
	s_waitcnt_depctr 0xfff
	v_fma_f64 v[156:157], -v[152:153], v[154:155], 1.0
	v_fma_f64 v[154:155], v[154:155], v[156:157], v[154:155]
	s_delay_alu instid0(VALU_DEP_1) | instskip(NEXT) | instid1(VALU_DEP_1)
	v_fma_f64 v[156:157], -v[152:153], v[154:155], 1.0
	v_fma_f64 v[154:155], v[154:155], v[156:157], v[154:155]
	s_delay_alu instid0(VALU_DEP_1) | instskip(NEXT) | instid1(VALU_DEP_1)
	v_mul_f64 v[156:157], v[158:159], v[154:155]
	v_fma_f64 v[152:153], -v[152:153], v[156:157], v[158:159]
	s_delay_alu instid0(VALU_DEP_1) | instskip(NEXT) | instid1(VALU_DEP_1)
	v_div_fmas_f64 v[152:153], v[152:153], v[154:155], v[156:157]
	v_div_fixup_f64 v[152:153], v[152:153], v[150:151], v[148:149]
	s_delay_alu instid0(VALU_DEP_1) | instskip(NEXT) | instid1(VALU_DEP_1)
	v_fma_f64 v[148:149], v[148:149], v[152:153], v[150:151]
	v_div_scale_f64 v[150:151], null, v[148:149], v[148:149], 1.0
	s_delay_alu instid0(VALU_DEP_1) | instskip(SKIP_2) | instid1(VALU_DEP_1)
	v_rcp_f64_e32 v[154:155], v[150:151]
	s_waitcnt_depctr 0xfff
	v_fma_f64 v[156:157], -v[150:151], v[154:155], 1.0
	v_fma_f64 v[154:155], v[154:155], v[156:157], v[154:155]
	s_delay_alu instid0(VALU_DEP_1) | instskip(NEXT) | instid1(VALU_DEP_1)
	v_fma_f64 v[156:157], -v[150:151], v[154:155], 1.0
	v_fma_f64 v[154:155], v[154:155], v[156:157], v[154:155]
	v_div_scale_f64 v[156:157], vcc_lo, 1.0, v[148:149], 1.0
	s_delay_alu instid0(VALU_DEP_1) | instskip(NEXT) | instid1(VALU_DEP_1)
	v_mul_f64 v[158:159], v[156:157], v[154:155]
	v_fma_f64 v[150:151], -v[150:151], v[158:159], v[156:157]
	s_delay_alu instid0(VALU_DEP_1) | instskip(NEXT) | instid1(VALU_DEP_1)
	v_div_fmas_f64 v[150:151], v[150:151], v[154:155], v[158:159]
	v_div_fixup_f64 v[154:155], v[150:151], v[148:149], 1.0
                                        ; implicit-def: $vgpr148_vgpr149
	s_delay_alu instid0(VALU_DEP_1)
	v_mul_f64 v[156:157], v[152:153], v[154:155]
	v_xor_b32_e32 v155, 0x80000000, v155
.LBB73_185:
	s_and_not1_saveexec_b32 s3, s3
	s_cbranch_execz .LBB73_187
; %bb.186:
	v_div_scale_f64 v[152:153], null, v[148:149], v[148:149], v[150:151]
	v_div_scale_f64 v[158:159], vcc_lo, v[150:151], v[148:149], v[150:151]
	s_delay_alu instid0(VALU_DEP_2) | instskip(SKIP_2) | instid1(VALU_DEP_1)
	v_rcp_f64_e32 v[154:155], v[152:153]
	s_waitcnt_depctr 0xfff
	v_fma_f64 v[156:157], -v[152:153], v[154:155], 1.0
	v_fma_f64 v[154:155], v[154:155], v[156:157], v[154:155]
	s_delay_alu instid0(VALU_DEP_1) | instskip(NEXT) | instid1(VALU_DEP_1)
	v_fma_f64 v[156:157], -v[152:153], v[154:155], 1.0
	v_fma_f64 v[154:155], v[154:155], v[156:157], v[154:155]
	s_delay_alu instid0(VALU_DEP_1) | instskip(NEXT) | instid1(VALU_DEP_1)
	v_mul_f64 v[156:157], v[158:159], v[154:155]
	v_fma_f64 v[152:153], -v[152:153], v[156:157], v[158:159]
	s_delay_alu instid0(VALU_DEP_1) | instskip(NEXT) | instid1(VALU_DEP_1)
	v_div_fmas_f64 v[152:153], v[152:153], v[154:155], v[156:157]
	v_div_fixup_f64 v[152:153], v[152:153], v[148:149], v[150:151]
	s_delay_alu instid0(VALU_DEP_1) | instskip(NEXT) | instid1(VALU_DEP_1)
	v_fma_f64 v[148:149], v[150:151], v[152:153], v[148:149]
	v_div_scale_f64 v[150:151], null, v[148:149], v[148:149], 1.0
	s_delay_alu instid0(VALU_DEP_1) | instskip(SKIP_2) | instid1(VALU_DEP_1)
	v_rcp_f64_e32 v[154:155], v[150:151]
	s_waitcnt_depctr 0xfff
	v_fma_f64 v[156:157], -v[150:151], v[154:155], 1.0
	v_fma_f64 v[154:155], v[154:155], v[156:157], v[154:155]
	s_delay_alu instid0(VALU_DEP_1) | instskip(NEXT) | instid1(VALU_DEP_1)
	v_fma_f64 v[156:157], -v[150:151], v[154:155], 1.0
	v_fma_f64 v[154:155], v[154:155], v[156:157], v[154:155]
	v_div_scale_f64 v[156:157], vcc_lo, 1.0, v[148:149], 1.0
	s_delay_alu instid0(VALU_DEP_1) | instskip(NEXT) | instid1(VALU_DEP_1)
	v_mul_f64 v[158:159], v[156:157], v[154:155]
	v_fma_f64 v[150:151], -v[150:151], v[158:159], v[156:157]
	s_delay_alu instid0(VALU_DEP_1) | instskip(NEXT) | instid1(VALU_DEP_1)
	v_div_fmas_f64 v[150:151], v[150:151], v[154:155], v[158:159]
	v_div_fixup_f64 v[156:157], v[150:151], v[148:149], 1.0
	s_delay_alu instid0(VALU_DEP_1)
	v_mul_f64 v[154:155], v[152:153], -v[156:157]
.LBB73_187:
	s_or_b32 exec_lo, exec_lo, s3
	ds_store_2addr_b64 v189, v[156:157], v[154:155] offset1:1
.LBB73_188:
	s_or_b32 exec_lo, exec_lo, s4
	s_waitcnt lgkmcnt(0)
	s_barrier
	buffer_gl0_inv
	ds_load_2addr_b64 v[148:151], v189 offset1:1
	s_mov_b32 s3, exec_lo
	s_waitcnt lgkmcnt(0)
	scratch_store_b128 off, v[148:151], off offset:376 ; 16-byte Folded Spill
	v_cmpx_lt_u32_e32 20, v188
	s_cbranch_execz .LBB73_190
; %bb.189:
	scratch_load_b128 v[150:153], off, off offset:376 ; 16-byte Folded Reload
	s_waitcnt vmcnt(0)
	v_mul_f64 v[148:149], v[150:151], v[66:67]
	v_mul_f64 v[66:67], v[152:153], v[66:67]
	s_delay_alu instid0(VALU_DEP_2) | instskip(NEXT) | instid1(VALU_DEP_2)
	v_fma_f64 v[148:149], v[152:153], v[64:65], v[148:149]
	v_fma_f64 v[64:65], v[150:151], v[64:65], -v[66:67]
	ds_load_2addr_b64 v[150:153], v192 offset0:42 offset1:43
	s_waitcnt lgkmcnt(0)
	v_mul_f64 v[66:67], v[152:153], v[148:149]
	s_delay_alu instid0(VALU_DEP_1) | instskip(SKIP_1) | instid1(VALU_DEP_2)
	v_fma_f64 v[66:67], v[150:151], v[64:65], -v[66:67]
	v_mul_f64 v[150:151], v[150:151], v[148:149]
	v_add_f64 v[60:61], v[60:61], -v[66:67]
	s_delay_alu instid0(VALU_DEP_2) | instskip(NEXT) | instid1(VALU_DEP_1)
	v_fma_f64 v[150:151], v[152:153], v[64:65], v[150:151]
	v_add_f64 v[62:63], v[62:63], -v[150:151]
	ds_load_2addr_b64 v[150:153], v192 offset0:44 offset1:45
	s_waitcnt lgkmcnt(0)
	v_mul_f64 v[66:67], v[152:153], v[148:149]
	s_delay_alu instid0(VALU_DEP_1) | instskip(SKIP_1) | instid1(VALU_DEP_2)
	v_fma_f64 v[66:67], v[150:151], v[64:65], -v[66:67]
	v_mul_f64 v[150:151], v[150:151], v[148:149]
	v_add_f64 v[56:57], v[56:57], -v[66:67]
	s_delay_alu instid0(VALU_DEP_2) | instskip(NEXT) | instid1(VALU_DEP_1)
	v_fma_f64 v[150:151], v[152:153], v[64:65], v[150:151]
	v_add_f64 v[58:59], v[58:59], -v[150:151]
	;; [unrolled: 10-line block ×15, first 2 shown]
	ds_load_2addr_b64 v[150:153], v192 offset0:72 offset1:73
	s_waitcnt lgkmcnt(0)
	v_mul_f64 v[66:67], v[152:153], v[148:149]
	s_delay_alu instid0(VALU_DEP_1) | instskip(SKIP_1) | instid1(VALU_DEP_2)
	v_fma_f64 v[66:67], v[150:151], v[64:65], -v[66:67]
	v_mul_f64 v[150:151], v[150:151], v[148:149]
	v_add_f64 v[0:1], v[0:1], -v[66:67]
	s_delay_alu instid0(VALU_DEP_2) | instskip(SKIP_1) | instid1(VALU_DEP_2)
	v_fma_f64 v[150:151], v[152:153], v[64:65], v[150:151]
	v_dual_mov_b32 v66, v148 :: v_dual_mov_b32 v67, v149
	v_add_f64 v[2:3], v[2:3], -v[150:151]
.LBB73_190:
	s_or_b32 exec_lo, exec_lo, s3
	s_delay_alu instid0(SALU_CYCLE_1)
	s_mov_b32 s4, exec_lo
	s_waitcnt_vscnt null, 0x0
	s_barrier
	buffer_gl0_inv
	v_cmpx_eq_u32_e32 21, v188
	s_cbranch_execz .LBB73_197
; %bb.191:
	ds_store_2addr_b64 v189, v[60:61], v[62:63] offset1:1
	ds_store_2addr_b64 v192, v[56:57], v[58:59] offset0:44 offset1:45
	ds_store_2addr_b64 v192, v[52:53], v[54:55] offset0:46 offset1:47
	;; [unrolled: 1-line block ×15, first 2 shown]
	ds_load_2addr_b64 v[148:151], v189 offset1:1
	s_waitcnt lgkmcnt(0)
	v_cmp_neq_f64_e32 vcc_lo, 0, v[148:149]
	v_cmp_neq_f64_e64 s3, 0, v[150:151]
	s_delay_alu instid0(VALU_DEP_1) | instskip(NEXT) | instid1(SALU_CYCLE_1)
	s_or_b32 s3, vcc_lo, s3
	s_and_b32 exec_lo, exec_lo, s3
	s_cbranch_execz .LBB73_197
; %bb.192:
	v_cmp_gt_f64_e32 vcc_lo, 0, v[148:149]
	v_xor_b32_e32 v152, 0x80000000, v149
	v_xor_b32_e32 v154, 0x80000000, v151
	s_mov_b32 s3, exec_lo
                                        ; implicit-def: $vgpr156_vgpr157
	s_delay_alu instid0(VALU_DEP_2) | instskip(SKIP_4) | instid1(VALU_DEP_1)
	v_cndmask_b32_e32 v153, v149, v152, vcc_lo
	v_cndmask_b32_e32 v152, v148, v148, vcc_lo
	v_cmp_gt_f64_e32 vcc_lo, 0, v[150:151]
	v_cndmask_b32_e32 v155, v151, v154, vcc_lo
	v_cndmask_b32_e32 v154, v150, v150, vcc_lo
	v_cmpx_ngt_f64_e32 v[152:153], v[154:155]
	s_xor_b32 s3, exec_lo, s3
                                        ; implicit-def: $vgpr152_vgpr153_vgpr154_vgpr155
	s_cbranch_execz .LBB73_194
; %bb.193:
	v_div_scale_f64 v[152:153], null, v[150:151], v[150:151], v[148:149]
	v_div_scale_f64 v[158:159], vcc_lo, v[148:149], v[150:151], v[148:149]
	s_delay_alu instid0(VALU_DEP_2) | instskip(SKIP_2) | instid1(VALU_DEP_1)
	v_rcp_f64_e32 v[154:155], v[152:153]
	s_waitcnt_depctr 0xfff
	v_fma_f64 v[156:157], -v[152:153], v[154:155], 1.0
	v_fma_f64 v[154:155], v[154:155], v[156:157], v[154:155]
	s_delay_alu instid0(VALU_DEP_1) | instskip(NEXT) | instid1(VALU_DEP_1)
	v_fma_f64 v[156:157], -v[152:153], v[154:155], 1.0
	v_fma_f64 v[154:155], v[154:155], v[156:157], v[154:155]
	s_delay_alu instid0(VALU_DEP_1) | instskip(NEXT) | instid1(VALU_DEP_1)
	v_mul_f64 v[156:157], v[158:159], v[154:155]
	v_fma_f64 v[152:153], -v[152:153], v[156:157], v[158:159]
	s_delay_alu instid0(VALU_DEP_1) | instskip(NEXT) | instid1(VALU_DEP_1)
	v_div_fmas_f64 v[152:153], v[152:153], v[154:155], v[156:157]
	v_div_fixup_f64 v[152:153], v[152:153], v[150:151], v[148:149]
	s_delay_alu instid0(VALU_DEP_1) | instskip(NEXT) | instid1(VALU_DEP_1)
	v_fma_f64 v[148:149], v[148:149], v[152:153], v[150:151]
	v_div_scale_f64 v[150:151], null, v[148:149], v[148:149], 1.0
	s_delay_alu instid0(VALU_DEP_1) | instskip(SKIP_2) | instid1(VALU_DEP_1)
	v_rcp_f64_e32 v[154:155], v[150:151]
	s_waitcnt_depctr 0xfff
	v_fma_f64 v[156:157], -v[150:151], v[154:155], 1.0
	v_fma_f64 v[154:155], v[154:155], v[156:157], v[154:155]
	s_delay_alu instid0(VALU_DEP_1) | instskip(NEXT) | instid1(VALU_DEP_1)
	v_fma_f64 v[156:157], -v[150:151], v[154:155], 1.0
	v_fma_f64 v[154:155], v[154:155], v[156:157], v[154:155]
	v_div_scale_f64 v[156:157], vcc_lo, 1.0, v[148:149], 1.0
	s_delay_alu instid0(VALU_DEP_1) | instskip(NEXT) | instid1(VALU_DEP_1)
	v_mul_f64 v[158:159], v[156:157], v[154:155]
	v_fma_f64 v[150:151], -v[150:151], v[158:159], v[156:157]
	s_delay_alu instid0(VALU_DEP_1) | instskip(NEXT) | instid1(VALU_DEP_1)
	v_div_fmas_f64 v[150:151], v[150:151], v[154:155], v[158:159]
	v_div_fixup_f64 v[154:155], v[150:151], v[148:149], 1.0
                                        ; implicit-def: $vgpr148_vgpr149
	s_delay_alu instid0(VALU_DEP_1)
	v_mul_f64 v[156:157], v[152:153], v[154:155]
	v_xor_b32_e32 v155, 0x80000000, v155
.LBB73_194:
	s_and_not1_saveexec_b32 s3, s3
	s_cbranch_execz .LBB73_196
; %bb.195:
	v_div_scale_f64 v[152:153], null, v[148:149], v[148:149], v[150:151]
	v_div_scale_f64 v[158:159], vcc_lo, v[150:151], v[148:149], v[150:151]
	s_delay_alu instid0(VALU_DEP_2) | instskip(SKIP_2) | instid1(VALU_DEP_1)
	v_rcp_f64_e32 v[154:155], v[152:153]
	s_waitcnt_depctr 0xfff
	v_fma_f64 v[156:157], -v[152:153], v[154:155], 1.0
	v_fma_f64 v[154:155], v[154:155], v[156:157], v[154:155]
	s_delay_alu instid0(VALU_DEP_1) | instskip(NEXT) | instid1(VALU_DEP_1)
	v_fma_f64 v[156:157], -v[152:153], v[154:155], 1.0
	v_fma_f64 v[154:155], v[154:155], v[156:157], v[154:155]
	s_delay_alu instid0(VALU_DEP_1) | instskip(NEXT) | instid1(VALU_DEP_1)
	v_mul_f64 v[156:157], v[158:159], v[154:155]
	v_fma_f64 v[152:153], -v[152:153], v[156:157], v[158:159]
	s_delay_alu instid0(VALU_DEP_1) | instskip(NEXT) | instid1(VALU_DEP_1)
	v_div_fmas_f64 v[152:153], v[152:153], v[154:155], v[156:157]
	v_div_fixup_f64 v[152:153], v[152:153], v[148:149], v[150:151]
	s_delay_alu instid0(VALU_DEP_1) | instskip(NEXT) | instid1(VALU_DEP_1)
	v_fma_f64 v[148:149], v[150:151], v[152:153], v[148:149]
	v_div_scale_f64 v[150:151], null, v[148:149], v[148:149], 1.0
	s_delay_alu instid0(VALU_DEP_1) | instskip(SKIP_2) | instid1(VALU_DEP_1)
	v_rcp_f64_e32 v[154:155], v[150:151]
	s_waitcnt_depctr 0xfff
	v_fma_f64 v[156:157], -v[150:151], v[154:155], 1.0
	v_fma_f64 v[154:155], v[154:155], v[156:157], v[154:155]
	s_delay_alu instid0(VALU_DEP_1) | instskip(NEXT) | instid1(VALU_DEP_1)
	v_fma_f64 v[156:157], -v[150:151], v[154:155], 1.0
	v_fma_f64 v[154:155], v[154:155], v[156:157], v[154:155]
	v_div_scale_f64 v[156:157], vcc_lo, 1.0, v[148:149], 1.0
	s_delay_alu instid0(VALU_DEP_1) | instskip(NEXT) | instid1(VALU_DEP_1)
	v_mul_f64 v[158:159], v[156:157], v[154:155]
	v_fma_f64 v[150:151], -v[150:151], v[158:159], v[156:157]
	s_delay_alu instid0(VALU_DEP_1) | instskip(NEXT) | instid1(VALU_DEP_1)
	v_div_fmas_f64 v[150:151], v[150:151], v[154:155], v[158:159]
	v_div_fixup_f64 v[156:157], v[150:151], v[148:149], 1.0
	s_delay_alu instid0(VALU_DEP_1)
	v_mul_f64 v[154:155], v[152:153], -v[156:157]
.LBB73_196:
	s_or_b32 exec_lo, exec_lo, s3
	ds_store_2addr_b64 v189, v[156:157], v[154:155] offset1:1
.LBB73_197:
	s_or_b32 exec_lo, exec_lo, s4
	s_waitcnt lgkmcnt(0)
	s_barrier
	buffer_gl0_inv
	ds_load_2addr_b64 v[148:151], v189 offset1:1
	s_mov_b32 s3, exec_lo
	s_waitcnt lgkmcnt(0)
	scratch_store_b128 off, v[148:151], off offset:392 ; 16-byte Folded Spill
	v_cmpx_lt_u32_e32 21, v188
	s_cbranch_execz .LBB73_199
; %bb.198:
	scratch_load_b128 v[150:153], off, off offset:392 ; 16-byte Folded Reload
	s_waitcnt vmcnt(0)
	v_mul_f64 v[148:149], v[150:151], v[62:63]
	v_mul_f64 v[62:63], v[152:153], v[62:63]
	s_delay_alu instid0(VALU_DEP_2) | instskip(NEXT) | instid1(VALU_DEP_2)
	v_fma_f64 v[148:149], v[152:153], v[60:61], v[148:149]
	v_fma_f64 v[60:61], v[150:151], v[60:61], -v[62:63]
	ds_load_2addr_b64 v[150:153], v192 offset0:44 offset1:45
	s_waitcnt lgkmcnt(0)
	v_mul_f64 v[62:63], v[152:153], v[148:149]
	s_delay_alu instid0(VALU_DEP_1) | instskip(SKIP_1) | instid1(VALU_DEP_2)
	v_fma_f64 v[62:63], v[150:151], v[60:61], -v[62:63]
	v_mul_f64 v[150:151], v[150:151], v[148:149]
	v_add_f64 v[56:57], v[56:57], -v[62:63]
	s_delay_alu instid0(VALU_DEP_2) | instskip(NEXT) | instid1(VALU_DEP_1)
	v_fma_f64 v[150:151], v[152:153], v[60:61], v[150:151]
	v_add_f64 v[58:59], v[58:59], -v[150:151]
	ds_load_2addr_b64 v[150:153], v192 offset0:46 offset1:47
	s_waitcnt lgkmcnt(0)
	v_mul_f64 v[62:63], v[152:153], v[148:149]
	s_delay_alu instid0(VALU_DEP_1) | instskip(SKIP_1) | instid1(VALU_DEP_2)
	v_fma_f64 v[62:63], v[150:151], v[60:61], -v[62:63]
	v_mul_f64 v[150:151], v[150:151], v[148:149]
	v_add_f64 v[52:53], v[52:53], -v[62:63]
	s_delay_alu instid0(VALU_DEP_2) | instskip(NEXT) | instid1(VALU_DEP_1)
	v_fma_f64 v[150:151], v[152:153], v[60:61], v[150:151]
	v_add_f64 v[54:55], v[54:55], -v[150:151]
	;; [unrolled: 10-line block ×14, first 2 shown]
	ds_load_2addr_b64 v[150:153], v192 offset0:72 offset1:73
	s_waitcnt lgkmcnt(0)
	v_mul_f64 v[62:63], v[152:153], v[148:149]
	s_delay_alu instid0(VALU_DEP_1) | instskip(SKIP_1) | instid1(VALU_DEP_2)
	v_fma_f64 v[62:63], v[150:151], v[60:61], -v[62:63]
	v_mul_f64 v[150:151], v[150:151], v[148:149]
	v_add_f64 v[0:1], v[0:1], -v[62:63]
	s_delay_alu instid0(VALU_DEP_2) | instskip(SKIP_1) | instid1(VALU_DEP_2)
	v_fma_f64 v[150:151], v[152:153], v[60:61], v[150:151]
	v_dual_mov_b32 v62, v148 :: v_dual_mov_b32 v63, v149
	v_add_f64 v[2:3], v[2:3], -v[150:151]
.LBB73_199:
	s_or_b32 exec_lo, exec_lo, s3
	s_delay_alu instid0(SALU_CYCLE_1)
	s_mov_b32 s4, exec_lo
	s_waitcnt_vscnt null, 0x0
	s_barrier
	buffer_gl0_inv
	v_cmpx_eq_u32_e32 22, v188
	s_cbranch_execz .LBB73_206
; %bb.200:
	ds_store_2addr_b64 v189, v[56:57], v[58:59] offset1:1
	ds_store_2addr_b64 v192, v[52:53], v[54:55] offset0:46 offset1:47
	ds_store_2addr_b64 v192, v[48:49], v[50:51] offset0:48 offset1:49
	;; [unrolled: 1-line block ×14, first 2 shown]
	ds_load_2addr_b64 v[148:151], v189 offset1:1
	s_waitcnt lgkmcnt(0)
	v_cmp_neq_f64_e32 vcc_lo, 0, v[148:149]
	v_cmp_neq_f64_e64 s3, 0, v[150:151]
	s_delay_alu instid0(VALU_DEP_1) | instskip(NEXT) | instid1(SALU_CYCLE_1)
	s_or_b32 s3, vcc_lo, s3
	s_and_b32 exec_lo, exec_lo, s3
	s_cbranch_execz .LBB73_206
; %bb.201:
	v_cmp_gt_f64_e32 vcc_lo, 0, v[148:149]
	v_xor_b32_e32 v152, 0x80000000, v149
	v_xor_b32_e32 v154, 0x80000000, v151
	s_mov_b32 s3, exec_lo
                                        ; implicit-def: $vgpr156_vgpr157
	s_delay_alu instid0(VALU_DEP_2) | instskip(SKIP_4) | instid1(VALU_DEP_1)
	v_cndmask_b32_e32 v153, v149, v152, vcc_lo
	v_cndmask_b32_e32 v152, v148, v148, vcc_lo
	v_cmp_gt_f64_e32 vcc_lo, 0, v[150:151]
	v_cndmask_b32_e32 v155, v151, v154, vcc_lo
	v_cndmask_b32_e32 v154, v150, v150, vcc_lo
	v_cmpx_ngt_f64_e32 v[152:153], v[154:155]
	s_xor_b32 s3, exec_lo, s3
                                        ; implicit-def: $vgpr152_vgpr153_vgpr154_vgpr155
	s_cbranch_execz .LBB73_203
; %bb.202:
	v_div_scale_f64 v[152:153], null, v[150:151], v[150:151], v[148:149]
	v_div_scale_f64 v[158:159], vcc_lo, v[148:149], v[150:151], v[148:149]
	s_delay_alu instid0(VALU_DEP_2) | instskip(SKIP_2) | instid1(VALU_DEP_1)
	v_rcp_f64_e32 v[154:155], v[152:153]
	s_waitcnt_depctr 0xfff
	v_fma_f64 v[156:157], -v[152:153], v[154:155], 1.0
	v_fma_f64 v[154:155], v[154:155], v[156:157], v[154:155]
	s_delay_alu instid0(VALU_DEP_1) | instskip(NEXT) | instid1(VALU_DEP_1)
	v_fma_f64 v[156:157], -v[152:153], v[154:155], 1.0
	v_fma_f64 v[154:155], v[154:155], v[156:157], v[154:155]
	s_delay_alu instid0(VALU_DEP_1) | instskip(NEXT) | instid1(VALU_DEP_1)
	v_mul_f64 v[156:157], v[158:159], v[154:155]
	v_fma_f64 v[152:153], -v[152:153], v[156:157], v[158:159]
	s_delay_alu instid0(VALU_DEP_1) | instskip(NEXT) | instid1(VALU_DEP_1)
	v_div_fmas_f64 v[152:153], v[152:153], v[154:155], v[156:157]
	v_div_fixup_f64 v[152:153], v[152:153], v[150:151], v[148:149]
	s_delay_alu instid0(VALU_DEP_1) | instskip(NEXT) | instid1(VALU_DEP_1)
	v_fma_f64 v[148:149], v[148:149], v[152:153], v[150:151]
	v_div_scale_f64 v[150:151], null, v[148:149], v[148:149], 1.0
	s_delay_alu instid0(VALU_DEP_1) | instskip(SKIP_2) | instid1(VALU_DEP_1)
	v_rcp_f64_e32 v[154:155], v[150:151]
	s_waitcnt_depctr 0xfff
	v_fma_f64 v[156:157], -v[150:151], v[154:155], 1.0
	v_fma_f64 v[154:155], v[154:155], v[156:157], v[154:155]
	s_delay_alu instid0(VALU_DEP_1) | instskip(NEXT) | instid1(VALU_DEP_1)
	v_fma_f64 v[156:157], -v[150:151], v[154:155], 1.0
	v_fma_f64 v[154:155], v[154:155], v[156:157], v[154:155]
	v_div_scale_f64 v[156:157], vcc_lo, 1.0, v[148:149], 1.0
	s_delay_alu instid0(VALU_DEP_1) | instskip(NEXT) | instid1(VALU_DEP_1)
	v_mul_f64 v[158:159], v[156:157], v[154:155]
	v_fma_f64 v[150:151], -v[150:151], v[158:159], v[156:157]
	s_delay_alu instid0(VALU_DEP_1) | instskip(NEXT) | instid1(VALU_DEP_1)
	v_div_fmas_f64 v[150:151], v[150:151], v[154:155], v[158:159]
	v_div_fixup_f64 v[154:155], v[150:151], v[148:149], 1.0
                                        ; implicit-def: $vgpr148_vgpr149
	s_delay_alu instid0(VALU_DEP_1)
	v_mul_f64 v[156:157], v[152:153], v[154:155]
	v_xor_b32_e32 v155, 0x80000000, v155
.LBB73_203:
	s_and_not1_saveexec_b32 s3, s3
	s_cbranch_execz .LBB73_205
; %bb.204:
	v_div_scale_f64 v[152:153], null, v[148:149], v[148:149], v[150:151]
	v_div_scale_f64 v[158:159], vcc_lo, v[150:151], v[148:149], v[150:151]
	s_delay_alu instid0(VALU_DEP_2) | instskip(SKIP_2) | instid1(VALU_DEP_1)
	v_rcp_f64_e32 v[154:155], v[152:153]
	s_waitcnt_depctr 0xfff
	v_fma_f64 v[156:157], -v[152:153], v[154:155], 1.0
	v_fma_f64 v[154:155], v[154:155], v[156:157], v[154:155]
	s_delay_alu instid0(VALU_DEP_1) | instskip(NEXT) | instid1(VALU_DEP_1)
	v_fma_f64 v[156:157], -v[152:153], v[154:155], 1.0
	v_fma_f64 v[154:155], v[154:155], v[156:157], v[154:155]
	s_delay_alu instid0(VALU_DEP_1) | instskip(NEXT) | instid1(VALU_DEP_1)
	v_mul_f64 v[156:157], v[158:159], v[154:155]
	v_fma_f64 v[152:153], -v[152:153], v[156:157], v[158:159]
	s_delay_alu instid0(VALU_DEP_1) | instskip(NEXT) | instid1(VALU_DEP_1)
	v_div_fmas_f64 v[152:153], v[152:153], v[154:155], v[156:157]
	v_div_fixup_f64 v[152:153], v[152:153], v[148:149], v[150:151]
	s_delay_alu instid0(VALU_DEP_1) | instskip(NEXT) | instid1(VALU_DEP_1)
	v_fma_f64 v[148:149], v[150:151], v[152:153], v[148:149]
	v_div_scale_f64 v[150:151], null, v[148:149], v[148:149], 1.0
	s_delay_alu instid0(VALU_DEP_1) | instskip(SKIP_2) | instid1(VALU_DEP_1)
	v_rcp_f64_e32 v[154:155], v[150:151]
	s_waitcnt_depctr 0xfff
	v_fma_f64 v[156:157], -v[150:151], v[154:155], 1.0
	v_fma_f64 v[154:155], v[154:155], v[156:157], v[154:155]
	s_delay_alu instid0(VALU_DEP_1) | instskip(NEXT) | instid1(VALU_DEP_1)
	v_fma_f64 v[156:157], -v[150:151], v[154:155], 1.0
	v_fma_f64 v[154:155], v[154:155], v[156:157], v[154:155]
	v_div_scale_f64 v[156:157], vcc_lo, 1.0, v[148:149], 1.0
	s_delay_alu instid0(VALU_DEP_1) | instskip(NEXT) | instid1(VALU_DEP_1)
	v_mul_f64 v[158:159], v[156:157], v[154:155]
	v_fma_f64 v[150:151], -v[150:151], v[158:159], v[156:157]
	s_delay_alu instid0(VALU_DEP_1) | instskip(NEXT) | instid1(VALU_DEP_1)
	v_div_fmas_f64 v[150:151], v[150:151], v[154:155], v[158:159]
	v_div_fixup_f64 v[156:157], v[150:151], v[148:149], 1.0
	s_delay_alu instid0(VALU_DEP_1)
	v_mul_f64 v[154:155], v[152:153], -v[156:157]
.LBB73_205:
	s_or_b32 exec_lo, exec_lo, s3
	ds_store_2addr_b64 v189, v[156:157], v[154:155] offset1:1
.LBB73_206:
	s_or_b32 exec_lo, exec_lo, s4
	s_waitcnt lgkmcnt(0)
	s_barrier
	buffer_gl0_inv
	ds_load_2addr_b64 v[148:151], v189 offset1:1
	s_mov_b32 s3, exec_lo
	s_waitcnt lgkmcnt(0)
	scratch_store_b128 off, v[148:151], off offset:408 ; 16-byte Folded Spill
	v_cmpx_lt_u32_e32 22, v188
	s_cbranch_execz .LBB73_208
; %bb.207:
	scratch_load_b128 v[150:153], off, off offset:408 ; 16-byte Folded Reload
	s_waitcnt vmcnt(0)
	v_mul_f64 v[148:149], v[150:151], v[58:59]
	v_mul_f64 v[58:59], v[152:153], v[58:59]
	s_delay_alu instid0(VALU_DEP_2) | instskip(NEXT) | instid1(VALU_DEP_2)
	v_fma_f64 v[148:149], v[152:153], v[56:57], v[148:149]
	v_fma_f64 v[56:57], v[150:151], v[56:57], -v[58:59]
	ds_load_2addr_b64 v[150:153], v192 offset0:46 offset1:47
	s_waitcnt lgkmcnt(0)
	v_mul_f64 v[58:59], v[152:153], v[148:149]
	s_delay_alu instid0(VALU_DEP_1) | instskip(SKIP_1) | instid1(VALU_DEP_2)
	v_fma_f64 v[58:59], v[150:151], v[56:57], -v[58:59]
	v_mul_f64 v[150:151], v[150:151], v[148:149]
	v_add_f64 v[52:53], v[52:53], -v[58:59]
	s_delay_alu instid0(VALU_DEP_2) | instskip(NEXT) | instid1(VALU_DEP_1)
	v_fma_f64 v[150:151], v[152:153], v[56:57], v[150:151]
	v_add_f64 v[54:55], v[54:55], -v[150:151]
	ds_load_2addr_b64 v[150:153], v192 offset0:48 offset1:49
	s_waitcnt lgkmcnt(0)
	v_mul_f64 v[58:59], v[152:153], v[148:149]
	s_delay_alu instid0(VALU_DEP_1) | instskip(SKIP_1) | instid1(VALU_DEP_2)
	v_fma_f64 v[58:59], v[150:151], v[56:57], -v[58:59]
	v_mul_f64 v[150:151], v[150:151], v[148:149]
	v_add_f64 v[48:49], v[48:49], -v[58:59]
	s_delay_alu instid0(VALU_DEP_2) | instskip(NEXT) | instid1(VALU_DEP_1)
	v_fma_f64 v[150:151], v[152:153], v[56:57], v[150:151]
	v_add_f64 v[50:51], v[50:51], -v[150:151]
	;; [unrolled: 10-line block ×13, first 2 shown]
	ds_load_2addr_b64 v[150:153], v192 offset0:72 offset1:73
	s_waitcnt lgkmcnt(0)
	v_mul_f64 v[58:59], v[152:153], v[148:149]
	s_delay_alu instid0(VALU_DEP_1) | instskip(SKIP_1) | instid1(VALU_DEP_2)
	v_fma_f64 v[58:59], v[150:151], v[56:57], -v[58:59]
	v_mul_f64 v[150:151], v[150:151], v[148:149]
	v_add_f64 v[0:1], v[0:1], -v[58:59]
	s_delay_alu instid0(VALU_DEP_2) | instskip(SKIP_1) | instid1(VALU_DEP_2)
	v_fma_f64 v[150:151], v[152:153], v[56:57], v[150:151]
	v_dual_mov_b32 v58, v148 :: v_dual_mov_b32 v59, v149
	v_add_f64 v[2:3], v[2:3], -v[150:151]
.LBB73_208:
	s_or_b32 exec_lo, exec_lo, s3
	s_delay_alu instid0(SALU_CYCLE_1)
	s_mov_b32 s4, exec_lo
	s_waitcnt_vscnt null, 0x0
	s_barrier
	buffer_gl0_inv
	v_cmpx_eq_u32_e32 23, v188
	s_cbranch_execz .LBB73_215
; %bb.209:
	ds_store_2addr_b64 v189, v[52:53], v[54:55] offset1:1
	ds_store_2addr_b64 v192, v[48:49], v[50:51] offset0:48 offset1:49
	ds_store_2addr_b64 v192, v[44:45], v[46:47] offset0:50 offset1:51
	;; [unrolled: 1-line block ×13, first 2 shown]
	ds_load_2addr_b64 v[148:151], v189 offset1:1
	s_waitcnt lgkmcnt(0)
	v_cmp_neq_f64_e32 vcc_lo, 0, v[148:149]
	v_cmp_neq_f64_e64 s3, 0, v[150:151]
	s_delay_alu instid0(VALU_DEP_1) | instskip(NEXT) | instid1(SALU_CYCLE_1)
	s_or_b32 s3, vcc_lo, s3
	s_and_b32 exec_lo, exec_lo, s3
	s_cbranch_execz .LBB73_215
; %bb.210:
	v_cmp_gt_f64_e32 vcc_lo, 0, v[148:149]
	v_xor_b32_e32 v152, 0x80000000, v149
	v_xor_b32_e32 v154, 0x80000000, v151
	s_mov_b32 s3, exec_lo
                                        ; implicit-def: $vgpr156_vgpr157
	s_delay_alu instid0(VALU_DEP_2) | instskip(SKIP_4) | instid1(VALU_DEP_1)
	v_cndmask_b32_e32 v153, v149, v152, vcc_lo
	v_cndmask_b32_e32 v152, v148, v148, vcc_lo
	v_cmp_gt_f64_e32 vcc_lo, 0, v[150:151]
	v_cndmask_b32_e32 v155, v151, v154, vcc_lo
	v_cndmask_b32_e32 v154, v150, v150, vcc_lo
	v_cmpx_ngt_f64_e32 v[152:153], v[154:155]
	s_xor_b32 s3, exec_lo, s3
                                        ; implicit-def: $vgpr152_vgpr153_vgpr154_vgpr155
	s_cbranch_execz .LBB73_212
; %bb.211:
	v_div_scale_f64 v[152:153], null, v[150:151], v[150:151], v[148:149]
	v_div_scale_f64 v[158:159], vcc_lo, v[148:149], v[150:151], v[148:149]
	s_delay_alu instid0(VALU_DEP_2) | instskip(SKIP_2) | instid1(VALU_DEP_1)
	v_rcp_f64_e32 v[154:155], v[152:153]
	s_waitcnt_depctr 0xfff
	v_fma_f64 v[156:157], -v[152:153], v[154:155], 1.0
	v_fma_f64 v[154:155], v[154:155], v[156:157], v[154:155]
	s_delay_alu instid0(VALU_DEP_1) | instskip(NEXT) | instid1(VALU_DEP_1)
	v_fma_f64 v[156:157], -v[152:153], v[154:155], 1.0
	v_fma_f64 v[154:155], v[154:155], v[156:157], v[154:155]
	s_delay_alu instid0(VALU_DEP_1) | instskip(NEXT) | instid1(VALU_DEP_1)
	v_mul_f64 v[156:157], v[158:159], v[154:155]
	v_fma_f64 v[152:153], -v[152:153], v[156:157], v[158:159]
	s_delay_alu instid0(VALU_DEP_1) | instskip(NEXT) | instid1(VALU_DEP_1)
	v_div_fmas_f64 v[152:153], v[152:153], v[154:155], v[156:157]
	v_div_fixup_f64 v[152:153], v[152:153], v[150:151], v[148:149]
	s_delay_alu instid0(VALU_DEP_1) | instskip(NEXT) | instid1(VALU_DEP_1)
	v_fma_f64 v[148:149], v[148:149], v[152:153], v[150:151]
	v_div_scale_f64 v[150:151], null, v[148:149], v[148:149], 1.0
	s_delay_alu instid0(VALU_DEP_1) | instskip(SKIP_2) | instid1(VALU_DEP_1)
	v_rcp_f64_e32 v[154:155], v[150:151]
	s_waitcnt_depctr 0xfff
	v_fma_f64 v[156:157], -v[150:151], v[154:155], 1.0
	v_fma_f64 v[154:155], v[154:155], v[156:157], v[154:155]
	s_delay_alu instid0(VALU_DEP_1) | instskip(NEXT) | instid1(VALU_DEP_1)
	v_fma_f64 v[156:157], -v[150:151], v[154:155], 1.0
	v_fma_f64 v[154:155], v[154:155], v[156:157], v[154:155]
	v_div_scale_f64 v[156:157], vcc_lo, 1.0, v[148:149], 1.0
	s_delay_alu instid0(VALU_DEP_1) | instskip(NEXT) | instid1(VALU_DEP_1)
	v_mul_f64 v[158:159], v[156:157], v[154:155]
	v_fma_f64 v[150:151], -v[150:151], v[158:159], v[156:157]
	s_delay_alu instid0(VALU_DEP_1) | instskip(NEXT) | instid1(VALU_DEP_1)
	v_div_fmas_f64 v[150:151], v[150:151], v[154:155], v[158:159]
	v_div_fixup_f64 v[154:155], v[150:151], v[148:149], 1.0
                                        ; implicit-def: $vgpr148_vgpr149
	s_delay_alu instid0(VALU_DEP_1)
	v_mul_f64 v[156:157], v[152:153], v[154:155]
	v_xor_b32_e32 v155, 0x80000000, v155
.LBB73_212:
	s_and_not1_saveexec_b32 s3, s3
	s_cbranch_execz .LBB73_214
; %bb.213:
	v_div_scale_f64 v[152:153], null, v[148:149], v[148:149], v[150:151]
	v_div_scale_f64 v[158:159], vcc_lo, v[150:151], v[148:149], v[150:151]
	s_delay_alu instid0(VALU_DEP_2) | instskip(SKIP_2) | instid1(VALU_DEP_1)
	v_rcp_f64_e32 v[154:155], v[152:153]
	s_waitcnt_depctr 0xfff
	v_fma_f64 v[156:157], -v[152:153], v[154:155], 1.0
	v_fma_f64 v[154:155], v[154:155], v[156:157], v[154:155]
	s_delay_alu instid0(VALU_DEP_1) | instskip(NEXT) | instid1(VALU_DEP_1)
	v_fma_f64 v[156:157], -v[152:153], v[154:155], 1.0
	v_fma_f64 v[154:155], v[154:155], v[156:157], v[154:155]
	s_delay_alu instid0(VALU_DEP_1) | instskip(NEXT) | instid1(VALU_DEP_1)
	v_mul_f64 v[156:157], v[158:159], v[154:155]
	v_fma_f64 v[152:153], -v[152:153], v[156:157], v[158:159]
	s_delay_alu instid0(VALU_DEP_1) | instskip(NEXT) | instid1(VALU_DEP_1)
	v_div_fmas_f64 v[152:153], v[152:153], v[154:155], v[156:157]
	v_div_fixup_f64 v[152:153], v[152:153], v[148:149], v[150:151]
	s_delay_alu instid0(VALU_DEP_1) | instskip(NEXT) | instid1(VALU_DEP_1)
	v_fma_f64 v[148:149], v[150:151], v[152:153], v[148:149]
	v_div_scale_f64 v[150:151], null, v[148:149], v[148:149], 1.0
	s_delay_alu instid0(VALU_DEP_1) | instskip(SKIP_2) | instid1(VALU_DEP_1)
	v_rcp_f64_e32 v[154:155], v[150:151]
	s_waitcnt_depctr 0xfff
	v_fma_f64 v[156:157], -v[150:151], v[154:155], 1.0
	v_fma_f64 v[154:155], v[154:155], v[156:157], v[154:155]
	s_delay_alu instid0(VALU_DEP_1) | instskip(NEXT) | instid1(VALU_DEP_1)
	v_fma_f64 v[156:157], -v[150:151], v[154:155], 1.0
	v_fma_f64 v[154:155], v[154:155], v[156:157], v[154:155]
	v_div_scale_f64 v[156:157], vcc_lo, 1.0, v[148:149], 1.0
	s_delay_alu instid0(VALU_DEP_1) | instskip(NEXT) | instid1(VALU_DEP_1)
	v_mul_f64 v[158:159], v[156:157], v[154:155]
	v_fma_f64 v[150:151], -v[150:151], v[158:159], v[156:157]
	s_delay_alu instid0(VALU_DEP_1) | instskip(NEXT) | instid1(VALU_DEP_1)
	v_div_fmas_f64 v[150:151], v[150:151], v[154:155], v[158:159]
	v_div_fixup_f64 v[156:157], v[150:151], v[148:149], 1.0
	s_delay_alu instid0(VALU_DEP_1)
	v_mul_f64 v[154:155], v[152:153], -v[156:157]
.LBB73_214:
	s_or_b32 exec_lo, exec_lo, s3
	ds_store_2addr_b64 v189, v[156:157], v[154:155] offset1:1
.LBB73_215:
	s_or_b32 exec_lo, exec_lo, s4
	s_waitcnt lgkmcnt(0)
	s_barrier
	buffer_gl0_inv
	ds_load_2addr_b64 v[148:151], v189 offset1:1
	s_mov_b32 s3, exec_lo
	s_waitcnt lgkmcnt(0)
	scratch_store_b128 off, v[148:151], off offset:424 ; 16-byte Folded Spill
	v_cmpx_lt_u32_e32 23, v188
	s_cbranch_execz .LBB73_217
; %bb.216:
	scratch_load_b128 v[150:153], off, off offset:424 ; 16-byte Folded Reload
	s_waitcnt vmcnt(0)
	v_mul_f64 v[148:149], v[150:151], v[54:55]
	v_mul_f64 v[54:55], v[152:153], v[54:55]
	s_delay_alu instid0(VALU_DEP_2) | instskip(NEXT) | instid1(VALU_DEP_2)
	v_fma_f64 v[148:149], v[152:153], v[52:53], v[148:149]
	v_fma_f64 v[52:53], v[150:151], v[52:53], -v[54:55]
	ds_load_2addr_b64 v[150:153], v192 offset0:48 offset1:49
	s_waitcnt lgkmcnt(0)
	v_mul_f64 v[54:55], v[152:153], v[148:149]
	s_delay_alu instid0(VALU_DEP_1) | instskip(SKIP_1) | instid1(VALU_DEP_2)
	v_fma_f64 v[54:55], v[150:151], v[52:53], -v[54:55]
	v_mul_f64 v[150:151], v[150:151], v[148:149]
	v_add_f64 v[48:49], v[48:49], -v[54:55]
	s_delay_alu instid0(VALU_DEP_2) | instskip(NEXT) | instid1(VALU_DEP_1)
	v_fma_f64 v[150:151], v[152:153], v[52:53], v[150:151]
	v_add_f64 v[50:51], v[50:51], -v[150:151]
	ds_load_2addr_b64 v[150:153], v192 offset0:50 offset1:51
	s_waitcnt lgkmcnt(0)
	v_mul_f64 v[54:55], v[152:153], v[148:149]
	s_delay_alu instid0(VALU_DEP_1) | instskip(SKIP_1) | instid1(VALU_DEP_2)
	v_fma_f64 v[54:55], v[150:151], v[52:53], -v[54:55]
	v_mul_f64 v[150:151], v[150:151], v[148:149]
	v_add_f64 v[44:45], v[44:45], -v[54:55]
	s_delay_alu instid0(VALU_DEP_2) | instskip(NEXT) | instid1(VALU_DEP_1)
	v_fma_f64 v[150:151], v[152:153], v[52:53], v[150:151]
	v_add_f64 v[46:47], v[46:47], -v[150:151]
	;; [unrolled: 10-line block ×12, first 2 shown]
	ds_load_2addr_b64 v[150:153], v192 offset0:72 offset1:73
	s_waitcnt lgkmcnt(0)
	v_mul_f64 v[54:55], v[152:153], v[148:149]
	s_delay_alu instid0(VALU_DEP_1) | instskip(SKIP_1) | instid1(VALU_DEP_2)
	v_fma_f64 v[54:55], v[150:151], v[52:53], -v[54:55]
	v_mul_f64 v[150:151], v[150:151], v[148:149]
	v_add_f64 v[0:1], v[0:1], -v[54:55]
	s_delay_alu instid0(VALU_DEP_2) | instskip(SKIP_1) | instid1(VALU_DEP_2)
	v_fma_f64 v[150:151], v[152:153], v[52:53], v[150:151]
	v_dual_mov_b32 v54, v148 :: v_dual_mov_b32 v55, v149
	v_add_f64 v[2:3], v[2:3], -v[150:151]
.LBB73_217:
	s_or_b32 exec_lo, exec_lo, s3
	s_delay_alu instid0(SALU_CYCLE_1)
	s_mov_b32 s4, exec_lo
	s_waitcnt_vscnt null, 0x0
	s_barrier
	buffer_gl0_inv
	v_cmpx_eq_u32_e32 24, v188
	s_cbranch_execz .LBB73_224
; %bb.218:
	ds_store_2addr_b64 v189, v[48:49], v[50:51] offset1:1
	ds_store_2addr_b64 v192, v[44:45], v[46:47] offset0:50 offset1:51
	ds_store_2addr_b64 v192, v[40:41], v[42:43] offset0:52 offset1:53
	;; [unrolled: 1-line block ×12, first 2 shown]
	ds_load_2addr_b64 v[148:151], v189 offset1:1
	s_waitcnt lgkmcnt(0)
	v_cmp_neq_f64_e32 vcc_lo, 0, v[148:149]
	v_cmp_neq_f64_e64 s3, 0, v[150:151]
	s_delay_alu instid0(VALU_DEP_1) | instskip(NEXT) | instid1(SALU_CYCLE_1)
	s_or_b32 s3, vcc_lo, s3
	s_and_b32 exec_lo, exec_lo, s3
	s_cbranch_execz .LBB73_224
; %bb.219:
	v_cmp_gt_f64_e32 vcc_lo, 0, v[148:149]
	v_xor_b32_e32 v152, 0x80000000, v149
	v_xor_b32_e32 v154, 0x80000000, v151
	s_mov_b32 s3, exec_lo
                                        ; implicit-def: $vgpr156_vgpr157
	s_delay_alu instid0(VALU_DEP_2) | instskip(SKIP_4) | instid1(VALU_DEP_1)
	v_cndmask_b32_e32 v153, v149, v152, vcc_lo
	v_cndmask_b32_e32 v152, v148, v148, vcc_lo
	v_cmp_gt_f64_e32 vcc_lo, 0, v[150:151]
	v_cndmask_b32_e32 v155, v151, v154, vcc_lo
	v_cndmask_b32_e32 v154, v150, v150, vcc_lo
	v_cmpx_ngt_f64_e32 v[152:153], v[154:155]
	s_xor_b32 s3, exec_lo, s3
                                        ; implicit-def: $vgpr152_vgpr153_vgpr154_vgpr155
	s_cbranch_execz .LBB73_221
; %bb.220:
	v_div_scale_f64 v[152:153], null, v[150:151], v[150:151], v[148:149]
	v_div_scale_f64 v[158:159], vcc_lo, v[148:149], v[150:151], v[148:149]
	s_delay_alu instid0(VALU_DEP_2) | instskip(SKIP_2) | instid1(VALU_DEP_1)
	v_rcp_f64_e32 v[154:155], v[152:153]
	s_waitcnt_depctr 0xfff
	v_fma_f64 v[156:157], -v[152:153], v[154:155], 1.0
	v_fma_f64 v[154:155], v[154:155], v[156:157], v[154:155]
	s_delay_alu instid0(VALU_DEP_1) | instskip(NEXT) | instid1(VALU_DEP_1)
	v_fma_f64 v[156:157], -v[152:153], v[154:155], 1.0
	v_fma_f64 v[154:155], v[154:155], v[156:157], v[154:155]
	s_delay_alu instid0(VALU_DEP_1) | instskip(NEXT) | instid1(VALU_DEP_1)
	v_mul_f64 v[156:157], v[158:159], v[154:155]
	v_fma_f64 v[152:153], -v[152:153], v[156:157], v[158:159]
	s_delay_alu instid0(VALU_DEP_1) | instskip(NEXT) | instid1(VALU_DEP_1)
	v_div_fmas_f64 v[152:153], v[152:153], v[154:155], v[156:157]
	v_div_fixup_f64 v[152:153], v[152:153], v[150:151], v[148:149]
	s_delay_alu instid0(VALU_DEP_1) | instskip(NEXT) | instid1(VALU_DEP_1)
	v_fma_f64 v[148:149], v[148:149], v[152:153], v[150:151]
	v_div_scale_f64 v[150:151], null, v[148:149], v[148:149], 1.0
	s_delay_alu instid0(VALU_DEP_1) | instskip(SKIP_2) | instid1(VALU_DEP_1)
	v_rcp_f64_e32 v[154:155], v[150:151]
	s_waitcnt_depctr 0xfff
	v_fma_f64 v[156:157], -v[150:151], v[154:155], 1.0
	v_fma_f64 v[154:155], v[154:155], v[156:157], v[154:155]
	s_delay_alu instid0(VALU_DEP_1) | instskip(NEXT) | instid1(VALU_DEP_1)
	v_fma_f64 v[156:157], -v[150:151], v[154:155], 1.0
	v_fma_f64 v[154:155], v[154:155], v[156:157], v[154:155]
	v_div_scale_f64 v[156:157], vcc_lo, 1.0, v[148:149], 1.0
	s_delay_alu instid0(VALU_DEP_1) | instskip(NEXT) | instid1(VALU_DEP_1)
	v_mul_f64 v[158:159], v[156:157], v[154:155]
	v_fma_f64 v[150:151], -v[150:151], v[158:159], v[156:157]
	s_delay_alu instid0(VALU_DEP_1) | instskip(NEXT) | instid1(VALU_DEP_1)
	v_div_fmas_f64 v[150:151], v[150:151], v[154:155], v[158:159]
	v_div_fixup_f64 v[154:155], v[150:151], v[148:149], 1.0
                                        ; implicit-def: $vgpr148_vgpr149
	s_delay_alu instid0(VALU_DEP_1)
	v_mul_f64 v[156:157], v[152:153], v[154:155]
	v_xor_b32_e32 v155, 0x80000000, v155
.LBB73_221:
	s_and_not1_saveexec_b32 s3, s3
	s_cbranch_execz .LBB73_223
; %bb.222:
	v_div_scale_f64 v[152:153], null, v[148:149], v[148:149], v[150:151]
	v_div_scale_f64 v[158:159], vcc_lo, v[150:151], v[148:149], v[150:151]
	s_delay_alu instid0(VALU_DEP_2) | instskip(SKIP_2) | instid1(VALU_DEP_1)
	v_rcp_f64_e32 v[154:155], v[152:153]
	s_waitcnt_depctr 0xfff
	v_fma_f64 v[156:157], -v[152:153], v[154:155], 1.0
	v_fma_f64 v[154:155], v[154:155], v[156:157], v[154:155]
	s_delay_alu instid0(VALU_DEP_1) | instskip(NEXT) | instid1(VALU_DEP_1)
	v_fma_f64 v[156:157], -v[152:153], v[154:155], 1.0
	v_fma_f64 v[154:155], v[154:155], v[156:157], v[154:155]
	s_delay_alu instid0(VALU_DEP_1) | instskip(NEXT) | instid1(VALU_DEP_1)
	v_mul_f64 v[156:157], v[158:159], v[154:155]
	v_fma_f64 v[152:153], -v[152:153], v[156:157], v[158:159]
	s_delay_alu instid0(VALU_DEP_1) | instskip(NEXT) | instid1(VALU_DEP_1)
	v_div_fmas_f64 v[152:153], v[152:153], v[154:155], v[156:157]
	v_div_fixup_f64 v[152:153], v[152:153], v[148:149], v[150:151]
	s_delay_alu instid0(VALU_DEP_1) | instskip(NEXT) | instid1(VALU_DEP_1)
	v_fma_f64 v[148:149], v[150:151], v[152:153], v[148:149]
	v_div_scale_f64 v[150:151], null, v[148:149], v[148:149], 1.0
	s_delay_alu instid0(VALU_DEP_1) | instskip(SKIP_2) | instid1(VALU_DEP_1)
	v_rcp_f64_e32 v[154:155], v[150:151]
	s_waitcnt_depctr 0xfff
	v_fma_f64 v[156:157], -v[150:151], v[154:155], 1.0
	v_fma_f64 v[154:155], v[154:155], v[156:157], v[154:155]
	s_delay_alu instid0(VALU_DEP_1) | instskip(NEXT) | instid1(VALU_DEP_1)
	v_fma_f64 v[156:157], -v[150:151], v[154:155], 1.0
	v_fma_f64 v[154:155], v[154:155], v[156:157], v[154:155]
	v_div_scale_f64 v[156:157], vcc_lo, 1.0, v[148:149], 1.0
	s_delay_alu instid0(VALU_DEP_1) | instskip(NEXT) | instid1(VALU_DEP_1)
	v_mul_f64 v[158:159], v[156:157], v[154:155]
	v_fma_f64 v[150:151], -v[150:151], v[158:159], v[156:157]
	s_delay_alu instid0(VALU_DEP_1) | instskip(NEXT) | instid1(VALU_DEP_1)
	v_div_fmas_f64 v[150:151], v[150:151], v[154:155], v[158:159]
	v_div_fixup_f64 v[156:157], v[150:151], v[148:149], 1.0
	s_delay_alu instid0(VALU_DEP_1)
	v_mul_f64 v[154:155], v[152:153], -v[156:157]
.LBB73_223:
	s_or_b32 exec_lo, exec_lo, s3
	ds_store_2addr_b64 v189, v[156:157], v[154:155] offset1:1
.LBB73_224:
	s_or_b32 exec_lo, exec_lo, s4
	s_waitcnt lgkmcnt(0)
	s_barrier
	buffer_gl0_inv
	ds_load_2addr_b64 v[148:151], v189 offset1:1
	s_mov_b32 s3, exec_lo
	s_waitcnt lgkmcnt(0)
	scratch_store_b128 off, v[148:151], off offset:440 ; 16-byte Folded Spill
	v_cmpx_lt_u32_e32 24, v188
	s_cbranch_execz .LBB73_226
; %bb.225:
	scratch_load_b128 v[154:157], off, off offset:440 ; 16-byte Folded Reload
	s_waitcnt vmcnt(0)
	v_mul_f64 v[148:149], v[154:155], v[50:51]
	v_mul_f64 v[50:51], v[156:157], v[50:51]
	s_delay_alu instid0(VALU_DEP_2) | instskip(SKIP_4) | instid1(VALU_DEP_1)
	v_fma_f64 v[152:153], v[156:157], v[48:49], v[148:149]
	ds_load_2addr_b64 v[148:151], v192 offset0:50 offset1:51
	v_fma_f64 v[48:49], v[154:155], v[48:49], -v[50:51]
	s_waitcnt lgkmcnt(0)
	v_mul_f64 v[50:51], v[150:151], v[152:153]
	v_fma_f64 v[50:51], v[148:149], v[48:49], -v[50:51]
	v_mul_f64 v[148:149], v[148:149], v[152:153]
	s_delay_alu instid0(VALU_DEP_2) | instskip(NEXT) | instid1(VALU_DEP_2)
	v_add_f64 v[44:45], v[44:45], -v[50:51]
	v_fma_f64 v[148:149], v[150:151], v[48:49], v[148:149]
	s_delay_alu instid0(VALU_DEP_1) | instskip(SKIP_3) | instid1(VALU_DEP_1)
	v_add_f64 v[46:47], v[46:47], -v[148:149]
	ds_load_2addr_b64 v[148:151], v192 offset0:52 offset1:53
	s_waitcnt lgkmcnt(0)
	v_mul_f64 v[50:51], v[150:151], v[152:153]
	v_fma_f64 v[50:51], v[148:149], v[48:49], -v[50:51]
	v_mul_f64 v[148:149], v[148:149], v[152:153]
	s_delay_alu instid0(VALU_DEP_2) | instskip(NEXT) | instid1(VALU_DEP_2)
	v_add_f64 v[40:41], v[40:41], -v[50:51]
	v_fma_f64 v[148:149], v[150:151], v[48:49], v[148:149]
	s_delay_alu instid0(VALU_DEP_1) | instskip(SKIP_3) | instid1(VALU_DEP_1)
	v_add_f64 v[42:43], v[42:43], -v[148:149]
	ds_load_2addr_b64 v[148:151], v192 offset0:54 offset1:55
	;; [unrolled: 10-line block ×11, first 2 shown]
	s_waitcnt lgkmcnt(0)
	v_mul_f64 v[50:51], v[150:151], v[152:153]
	v_fma_f64 v[50:51], v[148:149], v[48:49], -v[50:51]
	v_mul_f64 v[148:149], v[148:149], v[152:153]
	s_delay_alu instid0(VALU_DEP_2) | instskip(NEXT) | instid1(VALU_DEP_2)
	v_add_f64 v[0:1], v[0:1], -v[50:51]
	v_fma_f64 v[148:149], v[150:151], v[48:49], v[148:149]
	v_dual_mov_b32 v50, v152 :: v_dual_mov_b32 v51, v153
	s_delay_alu instid0(VALU_DEP_2)
	v_add_f64 v[2:3], v[2:3], -v[148:149]
.LBB73_226:
	s_or_b32 exec_lo, exec_lo, s3
	s_delay_alu instid0(SALU_CYCLE_1)
	s_mov_b32 s4, exec_lo
	s_waitcnt_vscnt null, 0x0
	s_barrier
	buffer_gl0_inv
	v_cmpx_eq_u32_e32 25, v188
	s_cbranch_execz .LBB73_233
; %bb.227:
	ds_store_2addr_b64 v189, v[44:45], v[46:47] offset1:1
	ds_store_2addr_b64 v192, v[40:41], v[42:43] offset0:52 offset1:53
	ds_store_2addr_b64 v192, v[36:37], v[38:39] offset0:54 offset1:55
	;; [unrolled: 1-line block ×11, first 2 shown]
	ds_load_2addr_b64 v[148:151], v189 offset1:1
	s_waitcnt lgkmcnt(0)
	v_cmp_neq_f64_e32 vcc_lo, 0, v[148:149]
	v_cmp_neq_f64_e64 s3, 0, v[150:151]
	s_delay_alu instid0(VALU_DEP_1) | instskip(NEXT) | instid1(SALU_CYCLE_1)
	s_or_b32 s3, vcc_lo, s3
	s_and_b32 exec_lo, exec_lo, s3
	s_cbranch_execz .LBB73_233
; %bb.228:
	v_cmp_gt_f64_e32 vcc_lo, 0, v[148:149]
	v_xor_b32_e32 v152, 0x80000000, v149
	v_xor_b32_e32 v154, 0x80000000, v151
	s_mov_b32 s3, exec_lo
                                        ; implicit-def: $vgpr156_vgpr157
	s_delay_alu instid0(VALU_DEP_2) | instskip(SKIP_4) | instid1(VALU_DEP_1)
	v_cndmask_b32_e32 v153, v149, v152, vcc_lo
	v_cndmask_b32_e32 v152, v148, v148, vcc_lo
	v_cmp_gt_f64_e32 vcc_lo, 0, v[150:151]
	v_cndmask_b32_e32 v155, v151, v154, vcc_lo
	v_cndmask_b32_e32 v154, v150, v150, vcc_lo
	v_cmpx_ngt_f64_e32 v[152:153], v[154:155]
	s_xor_b32 s3, exec_lo, s3
                                        ; implicit-def: $vgpr152_vgpr153_vgpr154_vgpr155
	s_cbranch_execz .LBB73_230
; %bb.229:
	v_div_scale_f64 v[152:153], null, v[150:151], v[150:151], v[148:149]
	v_div_scale_f64 v[158:159], vcc_lo, v[148:149], v[150:151], v[148:149]
	s_delay_alu instid0(VALU_DEP_2) | instskip(SKIP_2) | instid1(VALU_DEP_1)
	v_rcp_f64_e32 v[154:155], v[152:153]
	s_waitcnt_depctr 0xfff
	v_fma_f64 v[156:157], -v[152:153], v[154:155], 1.0
	v_fma_f64 v[154:155], v[154:155], v[156:157], v[154:155]
	s_delay_alu instid0(VALU_DEP_1) | instskip(NEXT) | instid1(VALU_DEP_1)
	v_fma_f64 v[156:157], -v[152:153], v[154:155], 1.0
	v_fma_f64 v[154:155], v[154:155], v[156:157], v[154:155]
	s_delay_alu instid0(VALU_DEP_1) | instskip(NEXT) | instid1(VALU_DEP_1)
	v_mul_f64 v[156:157], v[158:159], v[154:155]
	v_fma_f64 v[152:153], -v[152:153], v[156:157], v[158:159]
	s_delay_alu instid0(VALU_DEP_1) | instskip(NEXT) | instid1(VALU_DEP_1)
	v_div_fmas_f64 v[152:153], v[152:153], v[154:155], v[156:157]
	v_div_fixup_f64 v[152:153], v[152:153], v[150:151], v[148:149]
	s_delay_alu instid0(VALU_DEP_1) | instskip(NEXT) | instid1(VALU_DEP_1)
	v_fma_f64 v[148:149], v[148:149], v[152:153], v[150:151]
	v_div_scale_f64 v[150:151], null, v[148:149], v[148:149], 1.0
	s_delay_alu instid0(VALU_DEP_1) | instskip(SKIP_2) | instid1(VALU_DEP_1)
	v_rcp_f64_e32 v[154:155], v[150:151]
	s_waitcnt_depctr 0xfff
	v_fma_f64 v[156:157], -v[150:151], v[154:155], 1.0
	v_fma_f64 v[154:155], v[154:155], v[156:157], v[154:155]
	s_delay_alu instid0(VALU_DEP_1) | instskip(NEXT) | instid1(VALU_DEP_1)
	v_fma_f64 v[156:157], -v[150:151], v[154:155], 1.0
	v_fma_f64 v[154:155], v[154:155], v[156:157], v[154:155]
	v_div_scale_f64 v[156:157], vcc_lo, 1.0, v[148:149], 1.0
	s_delay_alu instid0(VALU_DEP_1) | instskip(NEXT) | instid1(VALU_DEP_1)
	v_mul_f64 v[158:159], v[156:157], v[154:155]
	v_fma_f64 v[150:151], -v[150:151], v[158:159], v[156:157]
	s_delay_alu instid0(VALU_DEP_1) | instskip(NEXT) | instid1(VALU_DEP_1)
	v_div_fmas_f64 v[150:151], v[150:151], v[154:155], v[158:159]
	v_div_fixup_f64 v[154:155], v[150:151], v[148:149], 1.0
                                        ; implicit-def: $vgpr148_vgpr149
	s_delay_alu instid0(VALU_DEP_1)
	v_mul_f64 v[156:157], v[152:153], v[154:155]
	v_xor_b32_e32 v155, 0x80000000, v155
.LBB73_230:
	s_and_not1_saveexec_b32 s3, s3
	s_cbranch_execz .LBB73_232
; %bb.231:
	v_div_scale_f64 v[152:153], null, v[148:149], v[148:149], v[150:151]
	v_div_scale_f64 v[158:159], vcc_lo, v[150:151], v[148:149], v[150:151]
	s_delay_alu instid0(VALU_DEP_2) | instskip(SKIP_2) | instid1(VALU_DEP_1)
	v_rcp_f64_e32 v[154:155], v[152:153]
	s_waitcnt_depctr 0xfff
	v_fma_f64 v[156:157], -v[152:153], v[154:155], 1.0
	v_fma_f64 v[154:155], v[154:155], v[156:157], v[154:155]
	s_delay_alu instid0(VALU_DEP_1) | instskip(NEXT) | instid1(VALU_DEP_1)
	v_fma_f64 v[156:157], -v[152:153], v[154:155], 1.0
	v_fma_f64 v[154:155], v[154:155], v[156:157], v[154:155]
	s_delay_alu instid0(VALU_DEP_1) | instskip(NEXT) | instid1(VALU_DEP_1)
	v_mul_f64 v[156:157], v[158:159], v[154:155]
	v_fma_f64 v[152:153], -v[152:153], v[156:157], v[158:159]
	s_delay_alu instid0(VALU_DEP_1) | instskip(NEXT) | instid1(VALU_DEP_1)
	v_div_fmas_f64 v[152:153], v[152:153], v[154:155], v[156:157]
	v_div_fixup_f64 v[152:153], v[152:153], v[148:149], v[150:151]
	s_delay_alu instid0(VALU_DEP_1) | instskip(NEXT) | instid1(VALU_DEP_1)
	v_fma_f64 v[148:149], v[150:151], v[152:153], v[148:149]
	v_div_scale_f64 v[150:151], null, v[148:149], v[148:149], 1.0
	s_delay_alu instid0(VALU_DEP_1) | instskip(SKIP_2) | instid1(VALU_DEP_1)
	v_rcp_f64_e32 v[154:155], v[150:151]
	s_waitcnt_depctr 0xfff
	v_fma_f64 v[156:157], -v[150:151], v[154:155], 1.0
	v_fma_f64 v[154:155], v[154:155], v[156:157], v[154:155]
	s_delay_alu instid0(VALU_DEP_1) | instskip(NEXT) | instid1(VALU_DEP_1)
	v_fma_f64 v[156:157], -v[150:151], v[154:155], 1.0
	v_fma_f64 v[154:155], v[154:155], v[156:157], v[154:155]
	v_div_scale_f64 v[156:157], vcc_lo, 1.0, v[148:149], 1.0
	s_delay_alu instid0(VALU_DEP_1) | instskip(NEXT) | instid1(VALU_DEP_1)
	v_mul_f64 v[158:159], v[156:157], v[154:155]
	v_fma_f64 v[150:151], -v[150:151], v[158:159], v[156:157]
	s_delay_alu instid0(VALU_DEP_1) | instskip(NEXT) | instid1(VALU_DEP_1)
	v_div_fmas_f64 v[150:151], v[150:151], v[154:155], v[158:159]
	v_div_fixup_f64 v[156:157], v[150:151], v[148:149], 1.0
	s_delay_alu instid0(VALU_DEP_1)
	v_mul_f64 v[154:155], v[152:153], -v[156:157]
.LBB73_232:
	s_or_b32 exec_lo, exec_lo, s3
	ds_store_2addr_b64 v189, v[156:157], v[154:155] offset1:1
.LBB73_233:
	s_or_b32 exec_lo, exec_lo, s4
	s_waitcnt lgkmcnt(0)
	s_barrier
	buffer_gl0_inv
	ds_load_2addr_b64 v[148:151], v189 offset1:1
	s_mov_b32 s3, exec_lo
	s_waitcnt lgkmcnt(0)
	scratch_store_b128 off, v[148:151], off offset:456 ; 16-byte Folded Spill
	v_cmpx_lt_u32_e32 25, v188
	s_cbranch_execz .LBB73_235
; %bb.234:
	scratch_load_b128 v[154:157], off, off offset:456 ; 16-byte Folded Reload
	s_waitcnt vmcnt(0)
	v_mul_f64 v[148:149], v[154:155], v[46:47]
	v_mul_f64 v[46:47], v[156:157], v[46:47]
	s_delay_alu instid0(VALU_DEP_2) | instskip(SKIP_4) | instid1(VALU_DEP_1)
	v_fma_f64 v[152:153], v[156:157], v[44:45], v[148:149]
	ds_load_2addr_b64 v[148:151], v192 offset0:52 offset1:53
	v_fma_f64 v[44:45], v[154:155], v[44:45], -v[46:47]
	s_waitcnt lgkmcnt(0)
	v_mul_f64 v[46:47], v[150:151], v[152:153]
	v_fma_f64 v[46:47], v[148:149], v[44:45], -v[46:47]
	v_mul_f64 v[148:149], v[148:149], v[152:153]
	s_delay_alu instid0(VALU_DEP_2) | instskip(NEXT) | instid1(VALU_DEP_2)
	v_add_f64 v[40:41], v[40:41], -v[46:47]
	v_fma_f64 v[148:149], v[150:151], v[44:45], v[148:149]
	s_delay_alu instid0(VALU_DEP_1) | instskip(SKIP_3) | instid1(VALU_DEP_1)
	v_add_f64 v[42:43], v[42:43], -v[148:149]
	ds_load_2addr_b64 v[148:151], v192 offset0:54 offset1:55
	s_waitcnt lgkmcnt(0)
	v_mul_f64 v[46:47], v[150:151], v[152:153]
	v_fma_f64 v[46:47], v[148:149], v[44:45], -v[46:47]
	v_mul_f64 v[148:149], v[148:149], v[152:153]
	s_delay_alu instid0(VALU_DEP_2) | instskip(NEXT) | instid1(VALU_DEP_2)
	v_add_f64 v[36:37], v[36:37], -v[46:47]
	v_fma_f64 v[148:149], v[150:151], v[44:45], v[148:149]
	s_delay_alu instid0(VALU_DEP_1) | instskip(SKIP_3) | instid1(VALU_DEP_1)
	v_add_f64 v[38:39], v[38:39], -v[148:149]
	ds_load_2addr_b64 v[148:151], v192 offset0:56 offset1:57
	s_waitcnt lgkmcnt(0)
	v_mul_f64 v[46:47], v[150:151], v[152:153]
	v_fma_f64 v[46:47], v[148:149], v[44:45], -v[46:47]
	v_mul_f64 v[148:149], v[148:149], v[152:153]
	s_delay_alu instid0(VALU_DEP_2) | instskip(NEXT) | instid1(VALU_DEP_2)
	v_add_f64 v[32:33], v[32:33], -v[46:47]
	v_fma_f64 v[148:149], v[150:151], v[44:45], v[148:149]
	s_delay_alu instid0(VALU_DEP_1) | instskip(SKIP_3) | instid1(VALU_DEP_1)
	v_add_f64 v[34:35], v[34:35], -v[148:149]
	ds_load_2addr_b64 v[148:151], v192 offset0:58 offset1:59
	s_waitcnt lgkmcnt(0)
	v_mul_f64 v[46:47], v[150:151], v[152:153]
	v_fma_f64 v[46:47], v[148:149], v[44:45], -v[46:47]
	v_mul_f64 v[148:149], v[148:149], v[152:153]
	s_delay_alu instid0(VALU_DEP_2) | instskip(NEXT) | instid1(VALU_DEP_2)
	v_add_f64 v[28:29], v[28:29], -v[46:47]
	v_fma_f64 v[148:149], v[150:151], v[44:45], v[148:149]
	s_delay_alu instid0(VALU_DEP_1) | instskip(SKIP_3) | instid1(VALU_DEP_1)
	v_add_f64 v[30:31], v[30:31], -v[148:149]
	ds_load_2addr_b64 v[148:151], v192 offset0:60 offset1:61
	s_waitcnt lgkmcnt(0)
	v_mul_f64 v[46:47], v[150:151], v[152:153]
	v_fma_f64 v[46:47], v[148:149], v[44:45], -v[46:47]
	v_mul_f64 v[148:149], v[148:149], v[152:153]
	s_delay_alu instid0(VALU_DEP_2) | instskip(NEXT) | instid1(VALU_DEP_2)
	v_add_f64 v[24:25], v[24:25], -v[46:47]
	v_fma_f64 v[148:149], v[150:151], v[44:45], v[148:149]
	s_delay_alu instid0(VALU_DEP_1) | instskip(SKIP_3) | instid1(VALU_DEP_1)
	v_add_f64 v[26:27], v[26:27], -v[148:149]
	ds_load_2addr_b64 v[148:151], v192 offset0:62 offset1:63
	s_waitcnt lgkmcnt(0)
	v_mul_f64 v[46:47], v[150:151], v[152:153]
	v_fma_f64 v[46:47], v[148:149], v[44:45], -v[46:47]
	v_mul_f64 v[148:149], v[148:149], v[152:153]
	s_delay_alu instid0(VALU_DEP_2) | instskip(NEXT) | instid1(VALU_DEP_2)
	v_add_f64 v[20:21], v[20:21], -v[46:47]
	v_fma_f64 v[148:149], v[150:151], v[44:45], v[148:149]
	s_delay_alu instid0(VALU_DEP_1) | instskip(SKIP_3) | instid1(VALU_DEP_1)
	v_add_f64 v[22:23], v[22:23], -v[148:149]
	ds_load_2addr_b64 v[148:151], v192 offset0:64 offset1:65
	s_waitcnt lgkmcnt(0)
	v_mul_f64 v[46:47], v[150:151], v[152:153]
	v_fma_f64 v[46:47], v[148:149], v[44:45], -v[46:47]
	v_mul_f64 v[148:149], v[148:149], v[152:153]
	s_delay_alu instid0(VALU_DEP_2) | instskip(NEXT) | instid1(VALU_DEP_2)
	v_add_f64 v[16:17], v[16:17], -v[46:47]
	v_fma_f64 v[148:149], v[150:151], v[44:45], v[148:149]
	s_delay_alu instid0(VALU_DEP_1) | instskip(SKIP_3) | instid1(VALU_DEP_1)
	v_add_f64 v[18:19], v[18:19], -v[148:149]
	ds_load_2addr_b64 v[148:151], v192 offset0:66 offset1:67
	s_waitcnt lgkmcnt(0)
	v_mul_f64 v[46:47], v[150:151], v[152:153]
	v_fma_f64 v[46:47], v[148:149], v[44:45], -v[46:47]
	v_mul_f64 v[148:149], v[148:149], v[152:153]
	s_delay_alu instid0(VALU_DEP_2) | instskip(NEXT) | instid1(VALU_DEP_2)
	v_add_f64 v[12:13], v[12:13], -v[46:47]
	v_fma_f64 v[148:149], v[150:151], v[44:45], v[148:149]
	s_delay_alu instid0(VALU_DEP_1) | instskip(SKIP_3) | instid1(VALU_DEP_1)
	v_add_f64 v[14:15], v[14:15], -v[148:149]
	ds_load_2addr_b64 v[148:151], v192 offset0:68 offset1:69
	s_waitcnt lgkmcnt(0)
	v_mul_f64 v[46:47], v[150:151], v[152:153]
	v_fma_f64 v[46:47], v[148:149], v[44:45], -v[46:47]
	v_mul_f64 v[148:149], v[148:149], v[152:153]
	s_delay_alu instid0(VALU_DEP_2) | instskip(NEXT) | instid1(VALU_DEP_2)
	v_add_f64 v[8:9], v[8:9], -v[46:47]
	v_fma_f64 v[148:149], v[150:151], v[44:45], v[148:149]
	s_delay_alu instid0(VALU_DEP_1) | instskip(SKIP_3) | instid1(VALU_DEP_1)
	v_add_f64 v[10:11], v[10:11], -v[148:149]
	ds_load_2addr_b64 v[148:151], v192 offset0:70 offset1:71
	s_waitcnt lgkmcnt(0)
	v_mul_f64 v[46:47], v[150:151], v[152:153]
	v_fma_f64 v[46:47], v[148:149], v[44:45], -v[46:47]
	v_mul_f64 v[148:149], v[148:149], v[152:153]
	s_delay_alu instid0(VALU_DEP_2) | instskip(NEXT) | instid1(VALU_DEP_2)
	v_add_f64 v[4:5], v[4:5], -v[46:47]
	v_fma_f64 v[148:149], v[150:151], v[44:45], v[148:149]
	s_delay_alu instid0(VALU_DEP_1) | instskip(SKIP_3) | instid1(VALU_DEP_1)
	v_add_f64 v[6:7], v[6:7], -v[148:149]
	ds_load_2addr_b64 v[148:151], v192 offset0:72 offset1:73
	s_waitcnt lgkmcnt(0)
	v_mul_f64 v[46:47], v[150:151], v[152:153]
	v_fma_f64 v[46:47], v[148:149], v[44:45], -v[46:47]
	v_mul_f64 v[148:149], v[148:149], v[152:153]
	s_delay_alu instid0(VALU_DEP_2) | instskip(NEXT) | instid1(VALU_DEP_2)
	v_add_f64 v[0:1], v[0:1], -v[46:47]
	v_fma_f64 v[148:149], v[150:151], v[44:45], v[148:149]
	v_dual_mov_b32 v46, v152 :: v_dual_mov_b32 v47, v153
	s_delay_alu instid0(VALU_DEP_2)
	v_add_f64 v[2:3], v[2:3], -v[148:149]
.LBB73_235:
	s_or_b32 exec_lo, exec_lo, s3
	s_delay_alu instid0(SALU_CYCLE_1)
	s_mov_b32 s4, exec_lo
	s_waitcnt_vscnt null, 0x0
	s_barrier
	buffer_gl0_inv
	v_cmpx_eq_u32_e32 26, v188
	s_cbranch_execz .LBB73_242
; %bb.236:
	ds_store_2addr_b64 v189, v[40:41], v[42:43] offset1:1
	ds_store_2addr_b64 v192, v[36:37], v[38:39] offset0:54 offset1:55
	ds_store_2addr_b64 v192, v[32:33], v[34:35] offset0:56 offset1:57
	;; [unrolled: 1-line block ×10, first 2 shown]
	ds_load_2addr_b64 v[148:151], v189 offset1:1
	s_waitcnt lgkmcnt(0)
	v_cmp_neq_f64_e32 vcc_lo, 0, v[148:149]
	v_cmp_neq_f64_e64 s3, 0, v[150:151]
	s_delay_alu instid0(VALU_DEP_1) | instskip(NEXT) | instid1(SALU_CYCLE_1)
	s_or_b32 s3, vcc_lo, s3
	s_and_b32 exec_lo, exec_lo, s3
	s_cbranch_execz .LBB73_242
; %bb.237:
	v_cmp_gt_f64_e32 vcc_lo, 0, v[148:149]
	v_xor_b32_e32 v152, 0x80000000, v149
	v_xor_b32_e32 v154, 0x80000000, v151
	s_mov_b32 s3, exec_lo
                                        ; implicit-def: $vgpr156_vgpr157
	s_delay_alu instid0(VALU_DEP_2) | instskip(SKIP_4) | instid1(VALU_DEP_1)
	v_cndmask_b32_e32 v153, v149, v152, vcc_lo
	v_cndmask_b32_e32 v152, v148, v148, vcc_lo
	v_cmp_gt_f64_e32 vcc_lo, 0, v[150:151]
	v_cndmask_b32_e32 v155, v151, v154, vcc_lo
	v_cndmask_b32_e32 v154, v150, v150, vcc_lo
	v_cmpx_ngt_f64_e32 v[152:153], v[154:155]
	s_xor_b32 s3, exec_lo, s3
                                        ; implicit-def: $vgpr152_vgpr153_vgpr154_vgpr155
	s_cbranch_execz .LBB73_239
; %bb.238:
	v_div_scale_f64 v[152:153], null, v[150:151], v[150:151], v[148:149]
	v_div_scale_f64 v[158:159], vcc_lo, v[148:149], v[150:151], v[148:149]
	s_delay_alu instid0(VALU_DEP_2) | instskip(SKIP_2) | instid1(VALU_DEP_1)
	v_rcp_f64_e32 v[154:155], v[152:153]
	s_waitcnt_depctr 0xfff
	v_fma_f64 v[156:157], -v[152:153], v[154:155], 1.0
	v_fma_f64 v[154:155], v[154:155], v[156:157], v[154:155]
	s_delay_alu instid0(VALU_DEP_1) | instskip(NEXT) | instid1(VALU_DEP_1)
	v_fma_f64 v[156:157], -v[152:153], v[154:155], 1.0
	v_fma_f64 v[154:155], v[154:155], v[156:157], v[154:155]
	s_delay_alu instid0(VALU_DEP_1) | instskip(NEXT) | instid1(VALU_DEP_1)
	v_mul_f64 v[156:157], v[158:159], v[154:155]
	v_fma_f64 v[152:153], -v[152:153], v[156:157], v[158:159]
	s_delay_alu instid0(VALU_DEP_1) | instskip(NEXT) | instid1(VALU_DEP_1)
	v_div_fmas_f64 v[152:153], v[152:153], v[154:155], v[156:157]
	v_div_fixup_f64 v[152:153], v[152:153], v[150:151], v[148:149]
	s_delay_alu instid0(VALU_DEP_1) | instskip(NEXT) | instid1(VALU_DEP_1)
	v_fma_f64 v[148:149], v[148:149], v[152:153], v[150:151]
	v_div_scale_f64 v[150:151], null, v[148:149], v[148:149], 1.0
	s_delay_alu instid0(VALU_DEP_1) | instskip(SKIP_2) | instid1(VALU_DEP_1)
	v_rcp_f64_e32 v[154:155], v[150:151]
	s_waitcnt_depctr 0xfff
	v_fma_f64 v[156:157], -v[150:151], v[154:155], 1.0
	v_fma_f64 v[154:155], v[154:155], v[156:157], v[154:155]
	s_delay_alu instid0(VALU_DEP_1) | instskip(NEXT) | instid1(VALU_DEP_1)
	v_fma_f64 v[156:157], -v[150:151], v[154:155], 1.0
	v_fma_f64 v[154:155], v[154:155], v[156:157], v[154:155]
	v_div_scale_f64 v[156:157], vcc_lo, 1.0, v[148:149], 1.0
	s_delay_alu instid0(VALU_DEP_1) | instskip(NEXT) | instid1(VALU_DEP_1)
	v_mul_f64 v[158:159], v[156:157], v[154:155]
	v_fma_f64 v[150:151], -v[150:151], v[158:159], v[156:157]
	s_delay_alu instid0(VALU_DEP_1) | instskip(NEXT) | instid1(VALU_DEP_1)
	v_div_fmas_f64 v[150:151], v[150:151], v[154:155], v[158:159]
	v_div_fixup_f64 v[154:155], v[150:151], v[148:149], 1.0
                                        ; implicit-def: $vgpr148_vgpr149
	s_delay_alu instid0(VALU_DEP_1)
	v_mul_f64 v[156:157], v[152:153], v[154:155]
	v_xor_b32_e32 v155, 0x80000000, v155
.LBB73_239:
	s_and_not1_saveexec_b32 s3, s3
	s_cbranch_execz .LBB73_241
; %bb.240:
	v_div_scale_f64 v[152:153], null, v[148:149], v[148:149], v[150:151]
	v_div_scale_f64 v[158:159], vcc_lo, v[150:151], v[148:149], v[150:151]
	s_delay_alu instid0(VALU_DEP_2) | instskip(SKIP_2) | instid1(VALU_DEP_1)
	v_rcp_f64_e32 v[154:155], v[152:153]
	s_waitcnt_depctr 0xfff
	v_fma_f64 v[156:157], -v[152:153], v[154:155], 1.0
	v_fma_f64 v[154:155], v[154:155], v[156:157], v[154:155]
	s_delay_alu instid0(VALU_DEP_1) | instskip(NEXT) | instid1(VALU_DEP_1)
	v_fma_f64 v[156:157], -v[152:153], v[154:155], 1.0
	v_fma_f64 v[154:155], v[154:155], v[156:157], v[154:155]
	s_delay_alu instid0(VALU_DEP_1) | instskip(NEXT) | instid1(VALU_DEP_1)
	v_mul_f64 v[156:157], v[158:159], v[154:155]
	v_fma_f64 v[152:153], -v[152:153], v[156:157], v[158:159]
	s_delay_alu instid0(VALU_DEP_1) | instskip(NEXT) | instid1(VALU_DEP_1)
	v_div_fmas_f64 v[152:153], v[152:153], v[154:155], v[156:157]
	v_div_fixup_f64 v[152:153], v[152:153], v[148:149], v[150:151]
	s_delay_alu instid0(VALU_DEP_1) | instskip(NEXT) | instid1(VALU_DEP_1)
	v_fma_f64 v[148:149], v[150:151], v[152:153], v[148:149]
	v_div_scale_f64 v[150:151], null, v[148:149], v[148:149], 1.0
	s_delay_alu instid0(VALU_DEP_1) | instskip(SKIP_2) | instid1(VALU_DEP_1)
	v_rcp_f64_e32 v[154:155], v[150:151]
	s_waitcnt_depctr 0xfff
	v_fma_f64 v[156:157], -v[150:151], v[154:155], 1.0
	v_fma_f64 v[154:155], v[154:155], v[156:157], v[154:155]
	s_delay_alu instid0(VALU_DEP_1) | instskip(NEXT) | instid1(VALU_DEP_1)
	v_fma_f64 v[156:157], -v[150:151], v[154:155], 1.0
	v_fma_f64 v[154:155], v[154:155], v[156:157], v[154:155]
	v_div_scale_f64 v[156:157], vcc_lo, 1.0, v[148:149], 1.0
	s_delay_alu instid0(VALU_DEP_1) | instskip(NEXT) | instid1(VALU_DEP_1)
	v_mul_f64 v[158:159], v[156:157], v[154:155]
	v_fma_f64 v[150:151], -v[150:151], v[158:159], v[156:157]
	s_delay_alu instid0(VALU_DEP_1) | instskip(NEXT) | instid1(VALU_DEP_1)
	v_div_fmas_f64 v[150:151], v[150:151], v[154:155], v[158:159]
	v_div_fixup_f64 v[156:157], v[150:151], v[148:149], 1.0
	s_delay_alu instid0(VALU_DEP_1)
	v_mul_f64 v[154:155], v[152:153], -v[156:157]
.LBB73_241:
	s_or_b32 exec_lo, exec_lo, s3
	ds_store_2addr_b64 v189, v[156:157], v[154:155] offset1:1
.LBB73_242:
	s_or_b32 exec_lo, exec_lo, s4
	s_waitcnt lgkmcnt(0)
	s_barrier
	buffer_gl0_inv
	ds_load_2addr_b64 v[148:151], v189 offset1:1
	s_mov_b32 s3, exec_lo
	s_waitcnt lgkmcnt(0)
	scratch_store_b128 off, v[148:151], off offset:472 ; 16-byte Folded Spill
	v_cmpx_lt_u32_e32 26, v188
	s_cbranch_execz .LBB73_244
; %bb.243:
	scratch_load_b128 v[154:157], off, off offset:472 ; 16-byte Folded Reload
	s_waitcnt vmcnt(0)
	v_mul_f64 v[148:149], v[154:155], v[42:43]
	v_mul_f64 v[42:43], v[156:157], v[42:43]
	s_delay_alu instid0(VALU_DEP_2) | instskip(SKIP_4) | instid1(VALU_DEP_1)
	v_fma_f64 v[152:153], v[156:157], v[40:41], v[148:149]
	ds_load_2addr_b64 v[148:151], v192 offset0:54 offset1:55
	v_fma_f64 v[40:41], v[154:155], v[40:41], -v[42:43]
	s_waitcnt lgkmcnt(0)
	v_mul_f64 v[42:43], v[150:151], v[152:153]
	v_fma_f64 v[42:43], v[148:149], v[40:41], -v[42:43]
	v_mul_f64 v[148:149], v[148:149], v[152:153]
	s_delay_alu instid0(VALU_DEP_2) | instskip(NEXT) | instid1(VALU_DEP_2)
	v_add_f64 v[36:37], v[36:37], -v[42:43]
	v_fma_f64 v[148:149], v[150:151], v[40:41], v[148:149]
	s_delay_alu instid0(VALU_DEP_1) | instskip(SKIP_3) | instid1(VALU_DEP_1)
	v_add_f64 v[38:39], v[38:39], -v[148:149]
	ds_load_2addr_b64 v[148:151], v192 offset0:56 offset1:57
	s_waitcnt lgkmcnt(0)
	v_mul_f64 v[42:43], v[150:151], v[152:153]
	v_fma_f64 v[42:43], v[148:149], v[40:41], -v[42:43]
	v_mul_f64 v[148:149], v[148:149], v[152:153]
	s_delay_alu instid0(VALU_DEP_2) | instskip(NEXT) | instid1(VALU_DEP_2)
	v_add_f64 v[32:33], v[32:33], -v[42:43]
	v_fma_f64 v[148:149], v[150:151], v[40:41], v[148:149]
	s_delay_alu instid0(VALU_DEP_1) | instskip(SKIP_3) | instid1(VALU_DEP_1)
	v_add_f64 v[34:35], v[34:35], -v[148:149]
	ds_load_2addr_b64 v[148:151], v192 offset0:58 offset1:59
	s_waitcnt lgkmcnt(0)
	v_mul_f64 v[42:43], v[150:151], v[152:153]
	v_fma_f64 v[42:43], v[148:149], v[40:41], -v[42:43]
	v_mul_f64 v[148:149], v[148:149], v[152:153]
	s_delay_alu instid0(VALU_DEP_2) | instskip(NEXT) | instid1(VALU_DEP_2)
	v_add_f64 v[28:29], v[28:29], -v[42:43]
	v_fma_f64 v[148:149], v[150:151], v[40:41], v[148:149]
	s_delay_alu instid0(VALU_DEP_1) | instskip(SKIP_3) | instid1(VALU_DEP_1)
	v_add_f64 v[30:31], v[30:31], -v[148:149]
	ds_load_2addr_b64 v[148:151], v192 offset0:60 offset1:61
	s_waitcnt lgkmcnt(0)
	v_mul_f64 v[42:43], v[150:151], v[152:153]
	v_fma_f64 v[42:43], v[148:149], v[40:41], -v[42:43]
	v_mul_f64 v[148:149], v[148:149], v[152:153]
	s_delay_alu instid0(VALU_DEP_2) | instskip(NEXT) | instid1(VALU_DEP_2)
	v_add_f64 v[24:25], v[24:25], -v[42:43]
	v_fma_f64 v[148:149], v[150:151], v[40:41], v[148:149]
	s_delay_alu instid0(VALU_DEP_1) | instskip(SKIP_3) | instid1(VALU_DEP_1)
	v_add_f64 v[26:27], v[26:27], -v[148:149]
	ds_load_2addr_b64 v[148:151], v192 offset0:62 offset1:63
	s_waitcnt lgkmcnt(0)
	v_mul_f64 v[42:43], v[150:151], v[152:153]
	v_fma_f64 v[42:43], v[148:149], v[40:41], -v[42:43]
	v_mul_f64 v[148:149], v[148:149], v[152:153]
	s_delay_alu instid0(VALU_DEP_2) | instskip(NEXT) | instid1(VALU_DEP_2)
	v_add_f64 v[20:21], v[20:21], -v[42:43]
	v_fma_f64 v[148:149], v[150:151], v[40:41], v[148:149]
	s_delay_alu instid0(VALU_DEP_1) | instskip(SKIP_3) | instid1(VALU_DEP_1)
	v_add_f64 v[22:23], v[22:23], -v[148:149]
	ds_load_2addr_b64 v[148:151], v192 offset0:64 offset1:65
	s_waitcnt lgkmcnt(0)
	v_mul_f64 v[42:43], v[150:151], v[152:153]
	v_fma_f64 v[42:43], v[148:149], v[40:41], -v[42:43]
	v_mul_f64 v[148:149], v[148:149], v[152:153]
	s_delay_alu instid0(VALU_DEP_2) | instskip(NEXT) | instid1(VALU_DEP_2)
	v_add_f64 v[16:17], v[16:17], -v[42:43]
	v_fma_f64 v[148:149], v[150:151], v[40:41], v[148:149]
	s_delay_alu instid0(VALU_DEP_1) | instskip(SKIP_3) | instid1(VALU_DEP_1)
	v_add_f64 v[18:19], v[18:19], -v[148:149]
	ds_load_2addr_b64 v[148:151], v192 offset0:66 offset1:67
	s_waitcnt lgkmcnt(0)
	v_mul_f64 v[42:43], v[150:151], v[152:153]
	v_fma_f64 v[42:43], v[148:149], v[40:41], -v[42:43]
	v_mul_f64 v[148:149], v[148:149], v[152:153]
	s_delay_alu instid0(VALU_DEP_2) | instskip(NEXT) | instid1(VALU_DEP_2)
	v_add_f64 v[12:13], v[12:13], -v[42:43]
	v_fma_f64 v[148:149], v[150:151], v[40:41], v[148:149]
	s_delay_alu instid0(VALU_DEP_1) | instskip(SKIP_3) | instid1(VALU_DEP_1)
	v_add_f64 v[14:15], v[14:15], -v[148:149]
	ds_load_2addr_b64 v[148:151], v192 offset0:68 offset1:69
	s_waitcnt lgkmcnt(0)
	v_mul_f64 v[42:43], v[150:151], v[152:153]
	v_fma_f64 v[42:43], v[148:149], v[40:41], -v[42:43]
	v_mul_f64 v[148:149], v[148:149], v[152:153]
	s_delay_alu instid0(VALU_DEP_2) | instskip(NEXT) | instid1(VALU_DEP_2)
	v_add_f64 v[8:9], v[8:9], -v[42:43]
	v_fma_f64 v[148:149], v[150:151], v[40:41], v[148:149]
	s_delay_alu instid0(VALU_DEP_1) | instskip(SKIP_3) | instid1(VALU_DEP_1)
	v_add_f64 v[10:11], v[10:11], -v[148:149]
	ds_load_2addr_b64 v[148:151], v192 offset0:70 offset1:71
	s_waitcnt lgkmcnt(0)
	v_mul_f64 v[42:43], v[150:151], v[152:153]
	v_fma_f64 v[42:43], v[148:149], v[40:41], -v[42:43]
	v_mul_f64 v[148:149], v[148:149], v[152:153]
	s_delay_alu instid0(VALU_DEP_2) | instskip(NEXT) | instid1(VALU_DEP_2)
	v_add_f64 v[4:5], v[4:5], -v[42:43]
	v_fma_f64 v[148:149], v[150:151], v[40:41], v[148:149]
	s_delay_alu instid0(VALU_DEP_1) | instskip(SKIP_3) | instid1(VALU_DEP_1)
	v_add_f64 v[6:7], v[6:7], -v[148:149]
	ds_load_2addr_b64 v[148:151], v192 offset0:72 offset1:73
	s_waitcnt lgkmcnt(0)
	v_mul_f64 v[42:43], v[150:151], v[152:153]
	v_fma_f64 v[42:43], v[148:149], v[40:41], -v[42:43]
	v_mul_f64 v[148:149], v[148:149], v[152:153]
	s_delay_alu instid0(VALU_DEP_2) | instskip(NEXT) | instid1(VALU_DEP_2)
	v_add_f64 v[0:1], v[0:1], -v[42:43]
	v_fma_f64 v[148:149], v[150:151], v[40:41], v[148:149]
	v_dual_mov_b32 v42, v152 :: v_dual_mov_b32 v43, v153
	s_delay_alu instid0(VALU_DEP_2)
	v_add_f64 v[2:3], v[2:3], -v[148:149]
.LBB73_244:
	s_or_b32 exec_lo, exec_lo, s3
	s_delay_alu instid0(SALU_CYCLE_1)
	s_mov_b32 s4, exec_lo
	s_waitcnt_vscnt null, 0x0
	s_barrier
	buffer_gl0_inv
	v_cmpx_eq_u32_e32 27, v188
	s_cbranch_execz .LBB73_251
; %bb.245:
	ds_store_2addr_b64 v189, v[36:37], v[38:39] offset1:1
	ds_store_2addr_b64 v192, v[32:33], v[34:35] offset0:56 offset1:57
	ds_store_2addr_b64 v192, v[28:29], v[30:31] offset0:58 offset1:59
	;; [unrolled: 1-line block ×9, first 2 shown]
	ds_load_2addr_b64 v[148:151], v189 offset1:1
	s_waitcnt lgkmcnt(0)
	v_cmp_neq_f64_e32 vcc_lo, 0, v[148:149]
	v_cmp_neq_f64_e64 s3, 0, v[150:151]
	s_delay_alu instid0(VALU_DEP_1) | instskip(NEXT) | instid1(SALU_CYCLE_1)
	s_or_b32 s3, vcc_lo, s3
	s_and_b32 exec_lo, exec_lo, s3
	s_cbranch_execz .LBB73_251
; %bb.246:
	v_cmp_gt_f64_e32 vcc_lo, 0, v[148:149]
	v_xor_b32_e32 v152, 0x80000000, v149
	v_xor_b32_e32 v154, 0x80000000, v151
	s_mov_b32 s3, exec_lo
                                        ; implicit-def: $vgpr156_vgpr157
	s_delay_alu instid0(VALU_DEP_2) | instskip(SKIP_4) | instid1(VALU_DEP_1)
	v_cndmask_b32_e32 v153, v149, v152, vcc_lo
	v_cndmask_b32_e32 v152, v148, v148, vcc_lo
	v_cmp_gt_f64_e32 vcc_lo, 0, v[150:151]
	v_cndmask_b32_e32 v155, v151, v154, vcc_lo
	v_cndmask_b32_e32 v154, v150, v150, vcc_lo
	v_cmpx_ngt_f64_e32 v[152:153], v[154:155]
	s_xor_b32 s3, exec_lo, s3
                                        ; implicit-def: $vgpr152_vgpr153_vgpr154_vgpr155
	s_cbranch_execz .LBB73_248
; %bb.247:
	v_div_scale_f64 v[152:153], null, v[150:151], v[150:151], v[148:149]
	v_div_scale_f64 v[158:159], vcc_lo, v[148:149], v[150:151], v[148:149]
	s_delay_alu instid0(VALU_DEP_2) | instskip(SKIP_2) | instid1(VALU_DEP_1)
	v_rcp_f64_e32 v[154:155], v[152:153]
	s_waitcnt_depctr 0xfff
	v_fma_f64 v[156:157], -v[152:153], v[154:155], 1.0
	v_fma_f64 v[154:155], v[154:155], v[156:157], v[154:155]
	s_delay_alu instid0(VALU_DEP_1) | instskip(NEXT) | instid1(VALU_DEP_1)
	v_fma_f64 v[156:157], -v[152:153], v[154:155], 1.0
	v_fma_f64 v[154:155], v[154:155], v[156:157], v[154:155]
	s_delay_alu instid0(VALU_DEP_1) | instskip(NEXT) | instid1(VALU_DEP_1)
	v_mul_f64 v[156:157], v[158:159], v[154:155]
	v_fma_f64 v[152:153], -v[152:153], v[156:157], v[158:159]
	s_delay_alu instid0(VALU_DEP_1) | instskip(NEXT) | instid1(VALU_DEP_1)
	v_div_fmas_f64 v[152:153], v[152:153], v[154:155], v[156:157]
	v_div_fixup_f64 v[152:153], v[152:153], v[150:151], v[148:149]
	s_delay_alu instid0(VALU_DEP_1) | instskip(NEXT) | instid1(VALU_DEP_1)
	v_fma_f64 v[148:149], v[148:149], v[152:153], v[150:151]
	v_div_scale_f64 v[150:151], null, v[148:149], v[148:149], 1.0
	s_delay_alu instid0(VALU_DEP_1) | instskip(SKIP_2) | instid1(VALU_DEP_1)
	v_rcp_f64_e32 v[154:155], v[150:151]
	s_waitcnt_depctr 0xfff
	v_fma_f64 v[156:157], -v[150:151], v[154:155], 1.0
	v_fma_f64 v[154:155], v[154:155], v[156:157], v[154:155]
	s_delay_alu instid0(VALU_DEP_1) | instskip(NEXT) | instid1(VALU_DEP_1)
	v_fma_f64 v[156:157], -v[150:151], v[154:155], 1.0
	v_fma_f64 v[154:155], v[154:155], v[156:157], v[154:155]
	v_div_scale_f64 v[156:157], vcc_lo, 1.0, v[148:149], 1.0
	s_delay_alu instid0(VALU_DEP_1) | instskip(NEXT) | instid1(VALU_DEP_1)
	v_mul_f64 v[158:159], v[156:157], v[154:155]
	v_fma_f64 v[150:151], -v[150:151], v[158:159], v[156:157]
	s_delay_alu instid0(VALU_DEP_1) | instskip(NEXT) | instid1(VALU_DEP_1)
	v_div_fmas_f64 v[150:151], v[150:151], v[154:155], v[158:159]
	v_div_fixup_f64 v[154:155], v[150:151], v[148:149], 1.0
                                        ; implicit-def: $vgpr148_vgpr149
	s_delay_alu instid0(VALU_DEP_1)
	v_mul_f64 v[156:157], v[152:153], v[154:155]
	v_xor_b32_e32 v155, 0x80000000, v155
.LBB73_248:
	s_and_not1_saveexec_b32 s3, s3
	s_cbranch_execz .LBB73_250
; %bb.249:
	v_div_scale_f64 v[152:153], null, v[148:149], v[148:149], v[150:151]
	v_div_scale_f64 v[158:159], vcc_lo, v[150:151], v[148:149], v[150:151]
	s_delay_alu instid0(VALU_DEP_2) | instskip(SKIP_2) | instid1(VALU_DEP_1)
	v_rcp_f64_e32 v[154:155], v[152:153]
	s_waitcnt_depctr 0xfff
	v_fma_f64 v[156:157], -v[152:153], v[154:155], 1.0
	v_fma_f64 v[154:155], v[154:155], v[156:157], v[154:155]
	s_delay_alu instid0(VALU_DEP_1) | instskip(NEXT) | instid1(VALU_DEP_1)
	v_fma_f64 v[156:157], -v[152:153], v[154:155], 1.0
	v_fma_f64 v[154:155], v[154:155], v[156:157], v[154:155]
	s_delay_alu instid0(VALU_DEP_1) | instskip(NEXT) | instid1(VALU_DEP_1)
	v_mul_f64 v[156:157], v[158:159], v[154:155]
	v_fma_f64 v[152:153], -v[152:153], v[156:157], v[158:159]
	s_delay_alu instid0(VALU_DEP_1) | instskip(NEXT) | instid1(VALU_DEP_1)
	v_div_fmas_f64 v[152:153], v[152:153], v[154:155], v[156:157]
	v_div_fixup_f64 v[152:153], v[152:153], v[148:149], v[150:151]
	s_delay_alu instid0(VALU_DEP_1) | instskip(NEXT) | instid1(VALU_DEP_1)
	v_fma_f64 v[148:149], v[150:151], v[152:153], v[148:149]
	v_div_scale_f64 v[150:151], null, v[148:149], v[148:149], 1.0
	s_delay_alu instid0(VALU_DEP_1) | instskip(SKIP_2) | instid1(VALU_DEP_1)
	v_rcp_f64_e32 v[154:155], v[150:151]
	s_waitcnt_depctr 0xfff
	v_fma_f64 v[156:157], -v[150:151], v[154:155], 1.0
	v_fma_f64 v[154:155], v[154:155], v[156:157], v[154:155]
	s_delay_alu instid0(VALU_DEP_1) | instskip(NEXT) | instid1(VALU_DEP_1)
	v_fma_f64 v[156:157], -v[150:151], v[154:155], 1.0
	v_fma_f64 v[154:155], v[154:155], v[156:157], v[154:155]
	v_div_scale_f64 v[156:157], vcc_lo, 1.0, v[148:149], 1.0
	s_delay_alu instid0(VALU_DEP_1) | instskip(NEXT) | instid1(VALU_DEP_1)
	v_mul_f64 v[158:159], v[156:157], v[154:155]
	v_fma_f64 v[150:151], -v[150:151], v[158:159], v[156:157]
	s_delay_alu instid0(VALU_DEP_1) | instskip(NEXT) | instid1(VALU_DEP_1)
	v_div_fmas_f64 v[150:151], v[150:151], v[154:155], v[158:159]
	v_div_fixup_f64 v[156:157], v[150:151], v[148:149], 1.0
	s_delay_alu instid0(VALU_DEP_1)
	v_mul_f64 v[154:155], v[152:153], -v[156:157]
.LBB73_250:
	s_or_b32 exec_lo, exec_lo, s3
	ds_store_2addr_b64 v189, v[156:157], v[154:155] offset1:1
.LBB73_251:
	s_or_b32 exec_lo, exec_lo, s4
	s_waitcnt lgkmcnt(0)
	s_barrier
	buffer_gl0_inv
	ds_load_2addr_b64 v[148:151], v189 offset1:1
	s_mov_b32 s3, exec_lo
	s_waitcnt lgkmcnt(0)
	scratch_store_b128 off, v[148:151], off offset:488 ; 16-byte Folded Spill
	v_cmpx_lt_u32_e32 27, v188
	s_cbranch_execz .LBB73_253
; %bb.252:
	scratch_load_b128 v[148:151], off, off offset:488 ; 16-byte Folded Reload
	s_waitcnt vmcnt(0)
	v_mul_f64 v[152:153], v[148:149], v[38:39]
	v_mul_f64 v[38:39], v[150:151], v[38:39]
	s_delay_alu instid0(VALU_DEP_2) | instskip(SKIP_4) | instid1(VALU_DEP_1)
	v_fma_f64 v[156:157], v[150:151], v[36:37], v[152:153]
	ds_load_2addr_b64 v[152:155], v192 offset0:56 offset1:57
	v_fma_f64 v[36:37], v[148:149], v[36:37], -v[38:39]
	s_waitcnt lgkmcnt(0)
	v_mul_f64 v[38:39], v[154:155], v[156:157]
	v_fma_f64 v[38:39], v[152:153], v[36:37], -v[38:39]
	v_mul_f64 v[152:153], v[152:153], v[156:157]
	s_delay_alu instid0(VALU_DEP_2) | instskip(NEXT) | instid1(VALU_DEP_2)
	v_add_f64 v[32:33], v[32:33], -v[38:39]
	v_fma_f64 v[152:153], v[154:155], v[36:37], v[152:153]
	s_delay_alu instid0(VALU_DEP_1) | instskip(SKIP_3) | instid1(VALU_DEP_1)
	v_add_f64 v[34:35], v[34:35], -v[152:153]
	ds_load_2addr_b64 v[152:155], v192 offset0:58 offset1:59
	s_waitcnt lgkmcnt(0)
	v_mul_f64 v[38:39], v[154:155], v[156:157]
	v_fma_f64 v[38:39], v[152:153], v[36:37], -v[38:39]
	v_mul_f64 v[152:153], v[152:153], v[156:157]
	s_delay_alu instid0(VALU_DEP_2) | instskip(NEXT) | instid1(VALU_DEP_2)
	v_add_f64 v[28:29], v[28:29], -v[38:39]
	v_fma_f64 v[152:153], v[154:155], v[36:37], v[152:153]
	s_delay_alu instid0(VALU_DEP_1) | instskip(SKIP_3) | instid1(VALU_DEP_1)
	v_add_f64 v[30:31], v[30:31], -v[152:153]
	ds_load_2addr_b64 v[152:155], v192 offset0:60 offset1:61
	;; [unrolled: 10-line block ×8, first 2 shown]
	s_waitcnt lgkmcnt(0)
	v_mul_f64 v[38:39], v[154:155], v[156:157]
	v_fma_f64 v[38:39], v[152:153], v[36:37], -v[38:39]
	v_mul_f64 v[152:153], v[152:153], v[156:157]
	s_delay_alu instid0(VALU_DEP_2) | instskip(NEXT) | instid1(VALU_DEP_2)
	v_add_f64 v[0:1], v[0:1], -v[38:39]
	v_fma_f64 v[152:153], v[154:155], v[36:37], v[152:153]
	v_dual_mov_b32 v38, v156 :: v_dual_mov_b32 v39, v157
	s_delay_alu instid0(VALU_DEP_2)
	v_add_f64 v[2:3], v[2:3], -v[152:153]
.LBB73_253:
	s_or_b32 exec_lo, exec_lo, s3
	s_delay_alu instid0(SALU_CYCLE_1)
	s_mov_b32 s4, exec_lo
	s_waitcnt_vscnt null, 0x0
	s_barrier
	buffer_gl0_inv
	v_cmpx_eq_u32_e32 28, v188
	s_cbranch_execz .LBB73_260
; %bb.254:
	ds_store_2addr_b64 v189, v[32:33], v[34:35] offset1:1
	ds_store_2addr_b64 v192, v[28:29], v[30:31] offset0:58 offset1:59
	ds_store_2addr_b64 v192, v[24:25], v[26:27] offset0:60 offset1:61
	;; [unrolled: 1-line block ×8, first 2 shown]
	ds_load_2addr_b64 v[152:155], v189 offset1:1
	s_waitcnt lgkmcnt(0)
	v_cmp_neq_f64_e32 vcc_lo, 0, v[152:153]
	v_cmp_neq_f64_e64 s3, 0, v[154:155]
	s_delay_alu instid0(VALU_DEP_1) | instskip(NEXT) | instid1(SALU_CYCLE_1)
	s_or_b32 s3, vcc_lo, s3
	s_and_b32 exec_lo, exec_lo, s3
	s_cbranch_execz .LBB73_260
; %bb.255:
	v_cmp_gt_f64_e32 vcc_lo, 0, v[152:153]
	v_xor_b32_e32 v156, 0x80000000, v153
	v_xor_b32_e32 v158, 0x80000000, v155
	s_mov_b32 s3, exec_lo
                                        ; implicit-def: $vgpr160_vgpr161
	s_delay_alu instid0(VALU_DEP_2) | instskip(SKIP_4) | instid1(VALU_DEP_1)
	v_cndmask_b32_e32 v157, v153, v156, vcc_lo
	v_cndmask_b32_e32 v156, v152, v152, vcc_lo
	v_cmp_gt_f64_e32 vcc_lo, 0, v[154:155]
	v_cndmask_b32_e32 v159, v155, v158, vcc_lo
	v_cndmask_b32_e32 v158, v154, v154, vcc_lo
	v_cmpx_ngt_f64_e32 v[156:157], v[158:159]
	s_xor_b32 s3, exec_lo, s3
                                        ; implicit-def: $vgpr156_vgpr157_vgpr158_vgpr159
	s_cbranch_execz .LBB73_257
; %bb.256:
	v_div_scale_f64 v[156:157], null, v[154:155], v[154:155], v[152:153]
	v_div_scale_f64 v[162:163], vcc_lo, v[152:153], v[154:155], v[152:153]
	s_delay_alu instid0(VALU_DEP_2) | instskip(SKIP_2) | instid1(VALU_DEP_1)
	v_rcp_f64_e32 v[158:159], v[156:157]
	s_waitcnt_depctr 0xfff
	v_fma_f64 v[160:161], -v[156:157], v[158:159], 1.0
	v_fma_f64 v[158:159], v[158:159], v[160:161], v[158:159]
	s_delay_alu instid0(VALU_DEP_1) | instskip(NEXT) | instid1(VALU_DEP_1)
	v_fma_f64 v[160:161], -v[156:157], v[158:159], 1.0
	v_fma_f64 v[158:159], v[158:159], v[160:161], v[158:159]
	s_delay_alu instid0(VALU_DEP_1) | instskip(NEXT) | instid1(VALU_DEP_1)
	v_mul_f64 v[160:161], v[162:163], v[158:159]
	v_fma_f64 v[156:157], -v[156:157], v[160:161], v[162:163]
	s_delay_alu instid0(VALU_DEP_1) | instskip(NEXT) | instid1(VALU_DEP_1)
	v_div_fmas_f64 v[156:157], v[156:157], v[158:159], v[160:161]
	v_div_fixup_f64 v[156:157], v[156:157], v[154:155], v[152:153]
	s_delay_alu instid0(VALU_DEP_1) | instskip(NEXT) | instid1(VALU_DEP_1)
	v_fma_f64 v[152:153], v[152:153], v[156:157], v[154:155]
	v_div_scale_f64 v[154:155], null, v[152:153], v[152:153], 1.0
	s_delay_alu instid0(VALU_DEP_1) | instskip(SKIP_2) | instid1(VALU_DEP_1)
	v_rcp_f64_e32 v[158:159], v[154:155]
	s_waitcnt_depctr 0xfff
	v_fma_f64 v[160:161], -v[154:155], v[158:159], 1.0
	v_fma_f64 v[158:159], v[158:159], v[160:161], v[158:159]
	s_delay_alu instid0(VALU_DEP_1) | instskip(NEXT) | instid1(VALU_DEP_1)
	v_fma_f64 v[160:161], -v[154:155], v[158:159], 1.0
	v_fma_f64 v[158:159], v[158:159], v[160:161], v[158:159]
	v_div_scale_f64 v[160:161], vcc_lo, 1.0, v[152:153], 1.0
	s_delay_alu instid0(VALU_DEP_1) | instskip(NEXT) | instid1(VALU_DEP_1)
	v_mul_f64 v[162:163], v[160:161], v[158:159]
	v_fma_f64 v[154:155], -v[154:155], v[162:163], v[160:161]
	s_delay_alu instid0(VALU_DEP_1) | instskip(NEXT) | instid1(VALU_DEP_1)
	v_div_fmas_f64 v[154:155], v[154:155], v[158:159], v[162:163]
	v_div_fixup_f64 v[158:159], v[154:155], v[152:153], 1.0
                                        ; implicit-def: $vgpr152_vgpr153
	s_delay_alu instid0(VALU_DEP_1)
	v_mul_f64 v[160:161], v[156:157], v[158:159]
	v_xor_b32_e32 v159, 0x80000000, v159
.LBB73_257:
	s_and_not1_saveexec_b32 s3, s3
	s_cbranch_execz .LBB73_259
; %bb.258:
	v_div_scale_f64 v[156:157], null, v[152:153], v[152:153], v[154:155]
	v_div_scale_f64 v[162:163], vcc_lo, v[154:155], v[152:153], v[154:155]
	s_delay_alu instid0(VALU_DEP_2) | instskip(SKIP_2) | instid1(VALU_DEP_1)
	v_rcp_f64_e32 v[158:159], v[156:157]
	s_waitcnt_depctr 0xfff
	v_fma_f64 v[160:161], -v[156:157], v[158:159], 1.0
	v_fma_f64 v[158:159], v[158:159], v[160:161], v[158:159]
	s_delay_alu instid0(VALU_DEP_1) | instskip(NEXT) | instid1(VALU_DEP_1)
	v_fma_f64 v[160:161], -v[156:157], v[158:159], 1.0
	v_fma_f64 v[158:159], v[158:159], v[160:161], v[158:159]
	s_delay_alu instid0(VALU_DEP_1) | instskip(NEXT) | instid1(VALU_DEP_1)
	v_mul_f64 v[160:161], v[162:163], v[158:159]
	v_fma_f64 v[156:157], -v[156:157], v[160:161], v[162:163]
	s_delay_alu instid0(VALU_DEP_1) | instskip(NEXT) | instid1(VALU_DEP_1)
	v_div_fmas_f64 v[156:157], v[156:157], v[158:159], v[160:161]
	v_div_fixup_f64 v[156:157], v[156:157], v[152:153], v[154:155]
	s_delay_alu instid0(VALU_DEP_1) | instskip(NEXT) | instid1(VALU_DEP_1)
	v_fma_f64 v[152:153], v[154:155], v[156:157], v[152:153]
	v_div_scale_f64 v[154:155], null, v[152:153], v[152:153], 1.0
	s_delay_alu instid0(VALU_DEP_1) | instskip(SKIP_2) | instid1(VALU_DEP_1)
	v_rcp_f64_e32 v[158:159], v[154:155]
	s_waitcnt_depctr 0xfff
	v_fma_f64 v[160:161], -v[154:155], v[158:159], 1.0
	v_fma_f64 v[158:159], v[158:159], v[160:161], v[158:159]
	s_delay_alu instid0(VALU_DEP_1) | instskip(NEXT) | instid1(VALU_DEP_1)
	v_fma_f64 v[160:161], -v[154:155], v[158:159], 1.0
	v_fma_f64 v[158:159], v[158:159], v[160:161], v[158:159]
	v_div_scale_f64 v[160:161], vcc_lo, 1.0, v[152:153], 1.0
	s_delay_alu instid0(VALU_DEP_1) | instskip(NEXT) | instid1(VALU_DEP_1)
	v_mul_f64 v[162:163], v[160:161], v[158:159]
	v_fma_f64 v[154:155], -v[154:155], v[162:163], v[160:161]
	s_delay_alu instid0(VALU_DEP_1) | instskip(NEXT) | instid1(VALU_DEP_1)
	v_div_fmas_f64 v[154:155], v[154:155], v[158:159], v[162:163]
	v_div_fixup_f64 v[160:161], v[154:155], v[152:153], 1.0
	s_delay_alu instid0(VALU_DEP_1)
	v_mul_f64 v[158:159], v[156:157], -v[160:161]
.LBB73_259:
	s_or_b32 exec_lo, exec_lo, s3
	ds_store_2addr_b64 v189, v[160:161], v[158:159] offset1:1
.LBB73_260:
	s_or_b32 exec_lo, exec_lo, s4
	s_waitcnt lgkmcnt(0)
	s_barrier
	buffer_gl0_inv
	ds_load_2addr_b64 v[152:155], v189 offset1:1
	s_mov_b32 s3, exec_lo
	v_cmpx_lt_u32_e32 28, v188
	s_cbranch_execz .LBB73_262
; %bb.261:
	s_waitcnt lgkmcnt(0)
	v_mul_f64 v[156:157], v[152:153], v[34:35]
	v_mul_f64 v[34:35], v[154:155], v[34:35]
	s_delay_alu instid0(VALU_DEP_2) | instskip(SKIP_4) | instid1(VALU_DEP_1)
	v_fma_f64 v[160:161], v[154:155], v[32:33], v[156:157]
	ds_load_2addr_b64 v[156:159], v192 offset0:58 offset1:59
	v_fma_f64 v[32:33], v[152:153], v[32:33], -v[34:35]
	s_waitcnt lgkmcnt(0)
	v_mul_f64 v[34:35], v[158:159], v[160:161]
	v_fma_f64 v[34:35], v[156:157], v[32:33], -v[34:35]
	v_mul_f64 v[156:157], v[156:157], v[160:161]
	s_delay_alu instid0(VALU_DEP_2) | instskip(NEXT) | instid1(VALU_DEP_2)
	v_add_f64 v[28:29], v[28:29], -v[34:35]
	v_fma_f64 v[156:157], v[158:159], v[32:33], v[156:157]
	s_delay_alu instid0(VALU_DEP_1) | instskip(SKIP_3) | instid1(VALU_DEP_1)
	v_add_f64 v[30:31], v[30:31], -v[156:157]
	ds_load_2addr_b64 v[156:159], v192 offset0:60 offset1:61
	s_waitcnt lgkmcnt(0)
	v_mul_f64 v[34:35], v[158:159], v[160:161]
	v_fma_f64 v[34:35], v[156:157], v[32:33], -v[34:35]
	v_mul_f64 v[156:157], v[156:157], v[160:161]
	s_delay_alu instid0(VALU_DEP_2) | instskip(NEXT) | instid1(VALU_DEP_2)
	v_add_f64 v[24:25], v[24:25], -v[34:35]
	v_fma_f64 v[156:157], v[158:159], v[32:33], v[156:157]
	s_delay_alu instid0(VALU_DEP_1) | instskip(SKIP_3) | instid1(VALU_DEP_1)
	v_add_f64 v[26:27], v[26:27], -v[156:157]
	ds_load_2addr_b64 v[156:159], v192 offset0:62 offset1:63
	;; [unrolled: 10-line block ×7, first 2 shown]
	s_waitcnt lgkmcnt(0)
	v_mul_f64 v[34:35], v[158:159], v[160:161]
	v_fma_f64 v[34:35], v[156:157], v[32:33], -v[34:35]
	v_mul_f64 v[156:157], v[156:157], v[160:161]
	s_delay_alu instid0(VALU_DEP_2) | instskip(NEXT) | instid1(VALU_DEP_2)
	v_add_f64 v[0:1], v[0:1], -v[34:35]
	v_fma_f64 v[156:157], v[158:159], v[32:33], v[156:157]
	v_dual_mov_b32 v34, v160 :: v_dual_mov_b32 v35, v161
	s_delay_alu instid0(VALU_DEP_2)
	v_add_f64 v[2:3], v[2:3], -v[156:157]
.LBB73_262:
	s_or_b32 exec_lo, exec_lo, s3
	s_delay_alu instid0(SALU_CYCLE_1)
	s_mov_b32 s4, exec_lo
	s_waitcnt lgkmcnt(0)
	s_barrier
	buffer_gl0_inv
	v_cmpx_eq_u32_e32 29, v188
	s_cbranch_execz .LBB73_269
; %bb.263:
	ds_store_2addr_b64 v189, v[28:29], v[30:31] offset1:1
	ds_store_2addr_b64 v192, v[24:25], v[26:27] offset0:60 offset1:61
	ds_store_2addr_b64 v192, v[20:21], v[22:23] offset0:62 offset1:63
	;; [unrolled: 1-line block ×7, first 2 shown]
	ds_load_2addr_b64 v[156:159], v189 offset1:1
	s_waitcnt lgkmcnt(0)
	v_cmp_neq_f64_e32 vcc_lo, 0, v[156:157]
	v_cmp_neq_f64_e64 s3, 0, v[158:159]
	s_delay_alu instid0(VALU_DEP_1) | instskip(NEXT) | instid1(SALU_CYCLE_1)
	s_or_b32 s3, vcc_lo, s3
	s_and_b32 exec_lo, exec_lo, s3
	s_cbranch_execz .LBB73_269
; %bb.264:
	v_cmp_gt_f64_e32 vcc_lo, 0, v[156:157]
	v_xor_b32_e32 v160, 0x80000000, v157
	v_xor_b32_e32 v162, 0x80000000, v159
	s_mov_b32 s3, exec_lo
                                        ; implicit-def: $vgpr164_vgpr165
	s_delay_alu instid0(VALU_DEP_2) | instskip(SKIP_4) | instid1(VALU_DEP_1)
	v_cndmask_b32_e32 v161, v157, v160, vcc_lo
	v_cndmask_b32_e32 v160, v156, v156, vcc_lo
	v_cmp_gt_f64_e32 vcc_lo, 0, v[158:159]
	v_cndmask_b32_e32 v163, v159, v162, vcc_lo
	v_cndmask_b32_e32 v162, v158, v158, vcc_lo
	v_cmpx_ngt_f64_e32 v[160:161], v[162:163]
	s_xor_b32 s3, exec_lo, s3
                                        ; implicit-def: $vgpr160_vgpr161_vgpr162_vgpr163
	s_cbranch_execz .LBB73_266
; %bb.265:
	v_div_scale_f64 v[160:161], null, v[158:159], v[158:159], v[156:157]
	v_div_scale_f64 v[166:167], vcc_lo, v[156:157], v[158:159], v[156:157]
	s_delay_alu instid0(VALU_DEP_2) | instskip(SKIP_2) | instid1(VALU_DEP_1)
	v_rcp_f64_e32 v[162:163], v[160:161]
	s_waitcnt_depctr 0xfff
	v_fma_f64 v[164:165], -v[160:161], v[162:163], 1.0
	v_fma_f64 v[162:163], v[162:163], v[164:165], v[162:163]
	s_delay_alu instid0(VALU_DEP_1) | instskip(NEXT) | instid1(VALU_DEP_1)
	v_fma_f64 v[164:165], -v[160:161], v[162:163], 1.0
	v_fma_f64 v[162:163], v[162:163], v[164:165], v[162:163]
	s_delay_alu instid0(VALU_DEP_1) | instskip(NEXT) | instid1(VALU_DEP_1)
	v_mul_f64 v[164:165], v[166:167], v[162:163]
	v_fma_f64 v[160:161], -v[160:161], v[164:165], v[166:167]
	s_delay_alu instid0(VALU_DEP_1) | instskip(NEXT) | instid1(VALU_DEP_1)
	v_div_fmas_f64 v[160:161], v[160:161], v[162:163], v[164:165]
	v_div_fixup_f64 v[160:161], v[160:161], v[158:159], v[156:157]
	s_delay_alu instid0(VALU_DEP_1) | instskip(NEXT) | instid1(VALU_DEP_1)
	v_fma_f64 v[156:157], v[156:157], v[160:161], v[158:159]
	v_div_scale_f64 v[158:159], null, v[156:157], v[156:157], 1.0
	s_delay_alu instid0(VALU_DEP_1) | instskip(SKIP_2) | instid1(VALU_DEP_1)
	v_rcp_f64_e32 v[162:163], v[158:159]
	s_waitcnt_depctr 0xfff
	v_fma_f64 v[164:165], -v[158:159], v[162:163], 1.0
	v_fma_f64 v[162:163], v[162:163], v[164:165], v[162:163]
	s_delay_alu instid0(VALU_DEP_1) | instskip(NEXT) | instid1(VALU_DEP_1)
	v_fma_f64 v[164:165], -v[158:159], v[162:163], 1.0
	v_fma_f64 v[162:163], v[162:163], v[164:165], v[162:163]
	v_div_scale_f64 v[164:165], vcc_lo, 1.0, v[156:157], 1.0
	s_delay_alu instid0(VALU_DEP_1) | instskip(NEXT) | instid1(VALU_DEP_1)
	v_mul_f64 v[166:167], v[164:165], v[162:163]
	v_fma_f64 v[158:159], -v[158:159], v[166:167], v[164:165]
	s_delay_alu instid0(VALU_DEP_1) | instskip(NEXT) | instid1(VALU_DEP_1)
	v_div_fmas_f64 v[158:159], v[158:159], v[162:163], v[166:167]
	v_div_fixup_f64 v[162:163], v[158:159], v[156:157], 1.0
                                        ; implicit-def: $vgpr156_vgpr157
	s_delay_alu instid0(VALU_DEP_1)
	v_mul_f64 v[164:165], v[160:161], v[162:163]
	v_xor_b32_e32 v163, 0x80000000, v163
.LBB73_266:
	s_and_not1_saveexec_b32 s3, s3
	s_cbranch_execz .LBB73_268
; %bb.267:
	v_div_scale_f64 v[160:161], null, v[156:157], v[156:157], v[158:159]
	v_div_scale_f64 v[166:167], vcc_lo, v[158:159], v[156:157], v[158:159]
	s_delay_alu instid0(VALU_DEP_2) | instskip(SKIP_2) | instid1(VALU_DEP_1)
	v_rcp_f64_e32 v[162:163], v[160:161]
	s_waitcnt_depctr 0xfff
	v_fma_f64 v[164:165], -v[160:161], v[162:163], 1.0
	v_fma_f64 v[162:163], v[162:163], v[164:165], v[162:163]
	s_delay_alu instid0(VALU_DEP_1) | instskip(NEXT) | instid1(VALU_DEP_1)
	v_fma_f64 v[164:165], -v[160:161], v[162:163], 1.0
	v_fma_f64 v[162:163], v[162:163], v[164:165], v[162:163]
	s_delay_alu instid0(VALU_DEP_1) | instskip(NEXT) | instid1(VALU_DEP_1)
	v_mul_f64 v[164:165], v[166:167], v[162:163]
	v_fma_f64 v[160:161], -v[160:161], v[164:165], v[166:167]
	s_delay_alu instid0(VALU_DEP_1) | instskip(NEXT) | instid1(VALU_DEP_1)
	v_div_fmas_f64 v[160:161], v[160:161], v[162:163], v[164:165]
	v_div_fixup_f64 v[160:161], v[160:161], v[156:157], v[158:159]
	s_delay_alu instid0(VALU_DEP_1) | instskip(NEXT) | instid1(VALU_DEP_1)
	v_fma_f64 v[156:157], v[158:159], v[160:161], v[156:157]
	v_div_scale_f64 v[158:159], null, v[156:157], v[156:157], 1.0
	s_delay_alu instid0(VALU_DEP_1) | instskip(SKIP_2) | instid1(VALU_DEP_1)
	v_rcp_f64_e32 v[162:163], v[158:159]
	s_waitcnt_depctr 0xfff
	v_fma_f64 v[164:165], -v[158:159], v[162:163], 1.0
	v_fma_f64 v[162:163], v[162:163], v[164:165], v[162:163]
	s_delay_alu instid0(VALU_DEP_1) | instskip(NEXT) | instid1(VALU_DEP_1)
	v_fma_f64 v[164:165], -v[158:159], v[162:163], 1.0
	v_fma_f64 v[162:163], v[162:163], v[164:165], v[162:163]
	v_div_scale_f64 v[164:165], vcc_lo, 1.0, v[156:157], 1.0
	s_delay_alu instid0(VALU_DEP_1) | instskip(NEXT) | instid1(VALU_DEP_1)
	v_mul_f64 v[166:167], v[164:165], v[162:163]
	v_fma_f64 v[158:159], -v[158:159], v[166:167], v[164:165]
	s_delay_alu instid0(VALU_DEP_1) | instskip(NEXT) | instid1(VALU_DEP_1)
	v_div_fmas_f64 v[158:159], v[158:159], v[162:163], v[166:167]
	v_div_fixup_f64 v[164:165], v[158:159], v[156:157], 1.0
	s_delay_alu instid0(VALU_DEP_1)
	v_mul_f64 v[162:163], v[160:161], -v[164:165]
.LBB73_268:
	s_or_b32 exec_lo, exec_lo, s3
	ds_store_2addr_b64 v189, v[164:165], v[162:163] offset1:1
.LBB73_269:
	s_or_b32 exec_lo, exec_lo, s4
	s_waitcnt lgkmcnt(0)
	s_barrier
	buffer_gl0_inv
	ds_load_2addr_b64 v[156:159], v189 offset1:1
	s_mov_b32 s3, exec_lo
	v_cmpx_lt_u32_e32 29, v188
	s_cbranch_execz .LBB73_271
; %bb.270:
	s_waitcnt lgkmcnt(0)
	v_mul_f64 v[160:161], v[156:157], v[30:31]
	v_mul_f64 v[30:31], v[158:159], v[30:31]
	s_delay_alu instid0(VALU_DEP_2) | instskip(SKIP_4) | instid1(VALU_DEP_1)
	v_fma_f64 v[164:165], v[158:159], v[28:29], v[160:161]
	ds_load_2addr_b64 v[160:163], v192 offset0:60 offset1:61
	v_fma_f64 v[28:29], v[156:157], v[28:29], -v[30:31]
	s_waitcnt lgkmcnt(0)
	v_mul_f64 v[30:31], v[162:163], v[164:165]
	v_fma_f64 v[30:31], v[160:161], v[28:29], -v[30:31]
	v_mul_f64 v[160:161], v[160:161], v[164:165]
	s_delay_alu instid0(VALU_DEP_2) | instskip(NEXT) | instid1(VALU_DEP_2)
	v_add_f64 v[24:25], v[24:25], -v[30:31]
	v_fma_f64 v[160:161], v[162:163], v[28:29], v[160:161]
	s_delay_alu instid0(VALU_DEP_1) | instskip(SKIP_3) | instid1(VALU_DEP_1)
	v_add_f64 v[26:27], v[26:27], -v[160:161]
	ds_load_2addr_b64 v[160:163], v192 offset0:62 offset1:63
	s_waitcnt lgkmcnt(0)
	v_mul_f64 v[30:31], v[162:163], v[164:165]
	v_fma_f64 v[30:31], v[160:161], v[28:29], -v[30:31]
	v_mul_f64 v[160:161], v[160:161], v[164:165]
	s_delay_alu instid0(VALU_DEP_2) | instskip(NEXT) | instid1(VALU_DEP_2)
	v_add_f64 v[20:21], v[20:21], -v[30:31]
	v_fma_f64 v[160:161], v[162:163], v[28:29], v[160:161]
	s_delay_alu instid0(VALU_DEP_1) | instskip(SKIP_3) | instid1(VALU_DEP_1)
	v_add_f64 v[22:23], v[22:23], -v[160:161]
	ds_load_2addr_b64 v[160:163], v192 offset0:64 offset1:65
	;; [unrolled: 10-line block ×6, first 2 shown]
	s_waitcnt lgkmcnt(0)
	v_mul_f64 v[30:31], v[162:163], v[164:165]
	v_fma_f64 v[30:31], v[160:161], v[28:29], -v[30:31]
	v_mul_f64 v[160:161], v[160:161], v[164:165]
	s_delay_alu instid0(VALU_DEP_2) | instskip(NEXT) | instid1(VALU_DEP_2)
	v_add_f64 v[0:1], v[0:1], -v[30:31]
	v_fma_f64 v[160:161], v[162:163], v[28:29], v[160:161]
	v_dual_mov_b32 v30, v164 :: v_dual_mov_b32 v31, v165
	s_delay_alu instid0(VALU_DEP_2)
	v_add_f64 v[2:3], v[2:3], -v[160:161]
.LBB73_271:
	s_or_b32 exec_lo, exec_lo, s3
	s_delay_alu instid0(SALU_CYCLE_1)
	s_mov_b32 s4, exec_lo
	s_waitcnt lgkmcnt(0)
	s_barrier
	buffer_gl0_inv
	v_cmpx_eq_u32_e32 30, v188
	s_cbranch_execz .LBB73_278
; %bb.272:
	ds_store_2addr_b64 v189, v[24:25], v[26:27] offset1:1
	ds_store_2addr_b64 v192, v[20:21], v[22:23] offset0:62 offset1:63
	ds_store_2addr_b64 v192, v[16:17], v[18:19] offset0:64 offset1:65
	;; [unrolled: 1-line block ×6, first 2 shown]
	ds_load_2addr_b64 v[160:163], v189 offset1:1
	s_waitcnt lgkmcnt(0)
	v_cmp_neq_f64_e32 vcc_lo, 0, v[160:161]
	v_cmp_neq_f64_e64 s3, 0, v[162:163]
	s_delay_alu instid0(VALU_DEP_1) | instskip(NEXT) | instid1(SALU_CYCLE_1)
	s_or_b32 s3, vcc_lo, s3
	s_and_b32 exec_lo, exec_lo, s3
	s_cbranch_execz .LBB73_278
; %bb.273:
	v_cmp_gt_f64_e32 vcc_lo, 0, v[160:161]
	v_xor_b32_e32 v164, 0x80000000, v161
	v_xor_b32_e32 v166, 0x80000000, v163
	s_mov_b32 s3, exec_lo
                                        ; implicit-def: $vgpr168_vgpr169
	s_delay_alu instid0(VALU_DEP_2) | instskip(SKIP_4) | instid1(VALU_DEP_1)
	v_cndmask_b32_e32 v165, v161, v164, vcc_lo
	v_cndmask_b32_e32 v164, v160, v160, vcc_lo
	v_cmp_gt_f64_e32 vcc_lo, 0, v[162:163]
	v_cndmask_b32_e32 v167, v163, v166, vcc_lo
	v_cndmask_b32_e32 v166, v162, v162, vcc_lo
	v_cmpx_ngt_f64_e32 v[164:165], v[166:167]
	s_xor_b32 s3, exec_lo, s3
                                        ; implicit-def: $vgpr164_vgpr165_vgpr166_vgpr167
	s_cbranch_execz .LBB73_275
; %bb.274:
	v_div_scale_f64 v[164:165], null, v[162:163], v[162:163], v[160:161]
	v_div_scale_f64 v[170:171], vcc_lo, v[160:161], v[162:163], v[160:161]
	s_delay_alu instid0(VALU_DEP_2) | instskip(SKIP_2) | instid1(VALU_DEP_1)
	v_rcp_f64_e32 v[166:167], v[164:165]
	s_waitcnt_depctr 0xfff
	v_fma_f64 v[168:169], -v[164:165], v[166:167], 1.0
	v_fma_f64 v[166:167], v[166:167], v[168:169], v[166:167]
	s_delay_alu instid0(VALU_DEP_1) | instskip(NEXT) | instid1(VALU_DEP_1)
	v_fma_f64 v[168:169], -v[164:165], v[166:167], 1.0
	v_fma_f64 v[166:167], v[166:167], v[168:169], v[166:167]
	s_delay_alu instid0(VALU_DEP_1) | instskip(NEXT) | instid1(VALU_DEP_1)
	v_mul_f64 v[168:169], v[170:171], v[166:167]
	v_fma_f64 v[164:165], -v[164:165], v[168:169], v[170:171]
	s_delay_alu instid0(VALU_DEP_1) | instskip(NEXT) | instid1(VALU_DEP_1)
	v_div_fmas_f64 v[164:165], v[164:165], v[166:167], v[168:169]
	v_div_fixup_f64 v[164:165], v[164:165], v[162:163], v[160:161]
	s_delay_alu instid0(VALU_DEP_1) | instskip(NEXT) | instid1(VALU_DEP_1)
	v_fma_f64 v[160:161], v[160:161], v[164:165], v[162:163]
	v_div_scale_f64 v[162:163], null, v[160:161], v[160:161], 1.0
	s_delay_alu instid0(VALU_DEP_1) | instskip(SKIP_2) | instid1(VALU_DEP_1)
	v_rcp_f64_e32 v[166:167], v[162:163]
	s_waitcnt_depctr 0xfff
	v_fma_f64 v[168:169], -v[162:163], v[166:167], 1.0
	v_fma_f64 v[166:167], v[166:167], v[168:169], v[166:167]
	s_delay_alu instid0(VALU_DEP_1) | instskip(NEXT) | instid1(VALU_DEP_1)
	v_fma_f64 v[168:169], -v[162:163], v[166:167], 1.0
	v_fma_f64 v[166:167], v[166:167], v[168:169], v[166:167]
	v_div_scale_f64 v[168:169], vcc_lo, 1.0, v[160:161], 1.0
	s_delay_alu instid0(VALU_DEP_1) | instskip(NEXT) | instid1(VALU_DEP_1)
	v_mul_f64 v[170:171], v[168:169], v[166:167]
	v_fma_f64 v[162:163], -v[162:163], v[170:171], v[168:169]
	s_delay_alu instid0(VALU_DEP_1) | instskip(NEXT) | instid1(VALU_DEP_1)
	v_div_fmas_f64 v[162:163], v[162:163], v[166:167], v[170:171]
	v_div_fixup_f64 v[166:167], v[162:163], v[160:161], 1.0
                                        ; implicit-def: $vgpr160_vgpr161
	s_delay_alu instid0(VALU_DEP_1)
	v_mul_f64 v[168:169], v[164:165], v[166:167]
	v_xor_b32_e32 v167, 0x80000000, v167
.LBB73_275:
	s_and_not1_saveexec_b32 s3, s3
	s_cbranch_execz .LBB73_277
; %bb.276:
	v_div_scale_f64 v[164:165], null, v[160:161], v[160:161], v[162:163]
	v_div_scale_f64 v[170:171], vcc_lo, v[162:163], v[160:161], v[162:163]
	s_delay_alu instid0(VALU_DEP_2) | instskip(SKIP_2) | instid1(VALU_DEP_1)
	v_rcp_f64_e32 v[166:167], v[164:165]
	s_waitcnt_depctr 0xfff
	v_fma_f64 v[168:169], -v[164:165], v[166:167], 1.0
	v_fma_f64 v[166:167], v[166:167], v[168:169], v[166:167]
	s_delay_alu instid0(VALU_DEP_1) | instskip(NEXT) | instid1(VALU_DEP_1)
	v_fma_f64 v[168:169], -v[164:165], v[166:167], 1.0
	v_fma_f64 v[166:167], v[166:167], v[168:169], v[166:167]
	s_delay_alu instid0(VALU_DEP_1) | instskip(NEXT) | instid1(VALU_DEP_1)
	v_mul_f64 v[168:169], v[170:171], v[166:167]
	v_fma_f64 v[164:165], -v[164:165], v[168:169], v[170:171]
	s_delay_alu instid0(VALU_DEP_1) | instskip(NEXT) | instid1(VALU_DEP_1)
	v_div_fmas_f64 v[164:165], v[164:165], v[166:167], v[168:169]
	v_div_fixup_f64 v[164:165], v[164:165], v[160:161], v[162:163]
	s_delay_alu instid0(VALU_DEP_1) | instskip(NEXT) | instid1(VALU_DEP_1)
	v_fma_f64 v[160:161], v[162:163], v[164:165], v[160:161]
	v_div_scale_f64 v[162:163], null, v[160:161], v[160:161], 1.0
	s_delay_alu instid0(VALU_DEP_1) | instskip(SKIP_2) | instid1(VALU_DEP_1)
	v_rcp_f64_e32 v[166:167], v[162:163]
	s_waitcnt_depctr 0xfff
	v_fma_f64 v[168:169], -v[162:163], v[166:167], 1.0
	v_fma_f64 v[166:167], v[166:167], v[168:169], v[166:167]
	s_delay_alu instid0(VALU_DEP_1) | instskip(NEXT) | instid1(VALU_DEP_1)
	v_fma_f64 v[168:169], -v[162:163], v[166:167], 1.0
	v_fma_f64 v[166:167], v[166:167], v[168:169], v[166:167]
	v_div_scale_f64 v[168:169], vcc_lo, 1.0, v[160:161], 1.0
	s_delay_alu instid0(VALU_DEP_1) | instskip(NEXT) | instid1(VALU_DEP_1)
	v_mul_f64 v[170:171], v[168:169], v[166:167]
	v_fma_f64 v[162:163], -v[162:163], v[170:171], v[168:169]
	s_delay_alu instid0(VALU_DEP_1) | instskip(NEXT) | instid1(VALU_DEP_1)
	v_div_fmas_f64 v[162:163], v[162:163], v[166:167], v[170:171]
	v_div_fixup_f64 v[168:169], v[162:163], v[160:161], 1.0
	s_delay_alu instid0(VALU_DEP_1)
	v_mul_f64 v[166:167], v[164:165], -v[168:169]
.LBB73_277:
	s_or_b32 exec_lo, exec_lo, s3
	ds_store_2addr_b64 v189, v[168:169], v[166:167] offset1:1
.LBB73_278:
	s_or_b32 exec_lo, exec_lo, s4
	s_waitcnt lgkmcnt(0)
	s_barrier
	buffer_gl0_inv
	ds_load_2addr_b64 v[160:163], v189 offset1:1
	s_mov_b32 s3, exec_lo
	v_cmpx_lt_u32_e32 30, v188
	s_cbranch_execz .LBB73_280
; %bb.279:
	s_waitcnt lgkmcnt(0)
	v_mul_f64 v[164:165], v[160:161], v[26:27]
	v_mul_f64 v[26:27], v[162:163], v[26:27]
	s_delay_alu instid0(VALU_DEP_2) | instskip(SKIP_4) | instid1(VALU_DEP_1)
	v_fma_f64 v[168:169], v[162:163], v[24:25], v[164:165]
	ds_load_2addr_b64 v[164:167], v192 offset0:62 offset1:63
	v_fma_f64 v[24:25], v[160:161], v[24:25], -v[26:27]
	s_waitcnt lgkmcnt(0)
	v_mul_f64 v[26:27], v[166:167], v[168:169]
	v_fma_f64 v[26:27], v[164:165], v[24:25], -v[26:27]
	v_mul_f64 v[164:165], v[164:165], v[168:169]
	s_delay_alu instid0(VALU_DEP_2) | instskip(NEXT) | instid1(VALU_DEP_2)
	v_add_f64 v[20:21], v[20:21], -v[26:27]
	v_fma_f64 v[164:165], v[166:167], v[24:25], v[164:165]
	s_delay_alu instid0(VALU_DEP_1) | instskip(SKIP_3) | instid1(VALU_DEP_1)
	v_add_f64 v[22:23], v[22:23], -v[164:165]
	ds_load_2addr_b64 v[164:167], v192 offset0:64 offset1:65
	s_waitcnt lgkmcnt(0)
	v_mul_f64 v[26:27], v[166:167], v[168:169]
	v_fma_f64 v[26:27], v[164:165], v[24:25], -v[26:27]
	v_mul_f64 v[164:165], v[164:165], v[168:169]
	s_delay_alu instid0(VALU_DEP_2) | instskip(NEXT) | instid1(VALU_DEP_2)
	v_add_f64 v[16:17], v[16:17], -v[26:27]
	v_fma_f64 v[164:165], v[166:167], v[24:25], v[164:165]
	s_delay_alu instid0(VALU_DEP_1) | instskip(SKIP_3) | instid1(VALU_DEP_1)
	v_add_f64 v[18:19], v[18:19], -v[164:165]
	ds_load_2addr_b64 v[164:167], v192 offset0:66 offset1:67
	;; [unrolled: 10-line block ×5, first 2 shown]
	s_waitcnt lgkmcnt(0)
	v_mul_f64 v[26:27], v[166:167], v[168:169]
	v_fma_f64 v[26:27], v[164:165], v[24:25], -v[26:27]
	v_mul_f64 v[164:165], v[164:165], v[168:169]
	s_delay_alu instid0(VALU_DEP_2) | instskip(NEXT) | instid1(VALU_DEP_2)
	v_add_f64 v[0:1], v[0:1], -v[26:27]
	v_fma_f64 v[164:165], v[166:167], v[24:25], v[164:165]
	v_dual_mov_b32 v26, v168 :: v_dual_mov_b32 v27, v169
	s_delay_alu instid0(VALU_DEP_2)
	v_add_f64 v[2:3], v[2:3], -v[164:165]
.LBB73_280:
	s_or_b32 exec_lo, exec_lo, s3
	s_delay_alu instid0(SALU_CYCLE_1)
	s_mov_b32 s4, exec_lo
	s_waitcnt lgkmcnt(0)
	s_barrier
	buffer_gl0_inv
	v_cmpx_eq_u32_e32 31, v188
	s_cbranch_execz .LBB73_287
; %bb.281:
	ds_store_2addr_b64 v189, v[20:21], v[22:23] offset1:1
	ds_store_2addr_b64 v192, v[16:17], v[18:19] offset0:64 offset1:65
	ds_store_2addr_b64 v192, v[12:13], v[14:15] offset0:66 offset1:67
	;; [unrolled: 1-line block ×5, first 2 shown]
	ds_load_2addr_b64 v[164:167], v189 offset1:1
	s_waitcnt lgkmcnt(0)
	v_cmp_neq_f64_e32 vcc_lo, 0, v[164:165]
	v_cmp_neq_f64_e64 s3, 0, v[166:167]
	s_delay_alu instid0(VALU_DEP_1) | instskip(NEXT) | instid1(SALU_CYCLE_1)
	s_or_b32 s3, vcc_lo, s3
	s_and_b32 exec_lo, exec_lo, s3
	s_cbranch_execz .LBB73_287
; %bb.282:
	v_cmp_gt_f64_e32 vcc_lo, 0, v[164:165]
	v_xor_b32_e32 v168, 0x80000000, v165
	v_xor_b32_e32 v170, 0x80000000, v167
	s_mov_b32 s3, exec_lo
                                        ; implicit-def: $vgpr172_vgpr173
	s_delay_alu instid0(VALU_DEP_2) | instskip(SKIP_4) | instid1(VALU_DEP_1)
	v_cndmask_b32_e32 v169, v165, v168, vcc_lo
	v_cndmask_b32_e32 v168, v164, v164, vcc_lo
	v_cmp_gt_f64_e32 vcc_lo, 0, v[166:167]
	v_cndmask_b32_e32 v171, v167, v170, vcc_lo
	v_cndmask_b32_e32 v170, v166, v166, vcc_lo
	v_cmpx_ngt_f64_e32 v[168:169], v[170:171]
	s_xor_b32 s3, exec_lo, s3
                                        ; implicit-def: $vgpr168_vgpr169_vgpr170_vgpr171
	s_cbranch_execz .LBB73_284
; %bb.283:
	v_div_scale_f64 v[168:169], null, v[166:167], v[166:167], v[164:165]
	v_div_scale_f64 v[174:175], vcc_lo, v[164:165], v[166:167], v[164:165]
	s_delay_alu instid0(VALU_DEP_2) | instskip(SKIP_2) | instid1(VALU_DEP_1)
	v_rcp_f64_e32 v[170:171], v[168:169]
	s_waitcnt_depctr 0xfff
	v_fma_f64 v[172:173], -v[168:169], v[170:171], 1.0
	v_fma_f64 v[170:171], v[170:171], v[172:173], v[170:171]
	s_delay_alu instid0(VALU_DEP_1) | instskip(NEXT) | instid1(VALU_DEP_1)
	v_fma_f64 v[172:173], -v[168:169], v[170:171], 1.0
	v_fma_f64 v[170:171], v[170:171], v[172:173], v[170:171]
	s_delay_alu instid0(VALU_DEP_1) | instskip(NEXT) | instid1(VALU_DEP_1)
	v_mul_f64 v[172:173], v[174:175], v[170:171]
	v_fma_f64 v[168:169], -v[168:169], v[172:173], v[174:175]
	s_delay_alu instid0(VALU_DEP_1) | instskip(NEXT) | instid1(VALU_DEP_1)
	v_div_fmas_f64 v[168:169], v[168:169], v[170:171], v[172:173]
	v_div_fixup_f64 v[168:169], v[168:169], v[166:167], v[164:165]
	s_delay_alu instid0(VALU_DEP_1) | instskip(NEXT) | instid1(VALU_DEP_1)
	v_fma_f64 v[164:165], v[164:165], v[168:169], v[166:167]
	v_div_scale_f64 v[166:167], null, v[164:165], v[164:165], 1.0
	s_delay_alu instid0(VALU_DEP_1) | instskip(SKIP_2) | instid1(VALU_DEP_1)
	v_rcp_f64_e32 v[170:171], v[166:167]
	s_waitcnt_depctr 0xfff
	v_fma_f64 v[172:173], -v[166:167], v[170:171], 1.0
	v_fma_f64 v[170:171], v[170:171], v[172:173], v[170:171]
	s_delay_alu instid0(VALU_DEP_1) | instskip(NEXT) | instid1(VALU_DEP_1)
	v_fma_f64 v[172:173], -v[166:167], v[170:171], 1.0
	v_fma_f64 v[170:171], v[170:171], v[172:173], v[170:171]
	v_div_scale_f64 v[172:173], vcc_lo, 1.0, v[164:165], 1.0
	s_delay_alu instid0(VALU_DEP_1) | instskip(NEXT) | instid1(VALU_DEP_1)
	v_mul_f64 v[174:175], v[172:173], v[170:171]
	v_fma_f64 v[166:167], -v[166:167], v[174:175], v[172:173]
	s_delay_alu instid0(VALU_DEP_1) | instskip(NEXT) | instid1(VALU_DEP_1)
	v_div_fmas_f64 v[166:167], v[166:167], v[170:171], v[174:175]
	v_div_fixup_f64 v[170:171], v[166:167], v[164:165], 1.0
                                        ; implicit-def: $vgpr164_vgpr165
	s_delay_alu instid0(VALU_DEP_1)
	v_mul_f64 v[172:173], v[168:169], v[170:171]
	v_xor_b32_e32 v171, 0x80000000, v171
.LBB73_284:
	s_and_not1_saveexec_b32 s3, s3
	s_cbranch_execz .LBB73_286
; %bb.285:
	v_div_scale_f64 v[168:169], null, v[164:165], v[164:165], v[166:167]
	v_div_scale_f64 v[174:175], vcc_lo, v[166:167], v[164:165], v[166:167]
	s_delay_alu instid0(VALU_DEP_2) | instskip(SKIP_2) | instid1(VALU_DEP_1)
	v_rcp_f64_e32 v[170:171], v[168:169]
	s_waitcnt_depctr 0xfff
	v_fma_f64 v[172:173], -v[168:169], v[170:171], 1.0
	v_fma_f64 v[170:171], v[170:171], v[172:173], v[170:171]
	s_delay_alu instid0(VALU_DEP_1) | instskip(NEXT) | instid1(VALU_DEP_1)
	v_fma_f64 v[172:173], -v[168:169], v[170:171], 1.0
	v_fma_f64 v[170:171], v[170:171], v[172:173], v[170:171]
	s_delay_alu instid0(VALU_DEP_1) | instskip(NEXT) | instid1(VALU_DEP_1)
	v_mul_f64 v[172:173], v[174:175], v[170:171]
	v_fma_f64 v[168:169], -v[168:169], v[172:173], v[174:175]
	s_delay_alu instid0(VALU_DEP_1) | instskip(NEXT) | instid1(VALU_DEP_1)
	v_div_fmas_f64 v[168:169], v[168:169], v[170:171], v[172:173]
	v_div_fixup_f64 v[168:169], v[168:169], v[164:165], v[166:167]
	s_delay_alu instid0(VALU_DEP_1) | instskip(NEXT) | instid1(VALU_DEP_1)
	v_fma_f64 v[164:165], v[166:167], v[168:169], v[164:165]
	v_div_scale_f64 v[166:167], null, v[164:165], v[164:165], 1.0
	s_delay_alu instid0(VALU_DEP_1) | instskip(SKIP_2) | instid1(VALU_DEP_1)
	v_rcp_f64_e32 v[170:171], v[166:167]
	s_waitcnt_depctr 0xfff
	v_fma_f64 v[172:173], -v[166:167], v[170:171], 1.0
	v_fma_f64 v[170:171], v[170:171], v[172:173], v[170:171]
	s_delay_alu instid0(VALU_DEP_1) | instskip(NEXT) | instid1(VALU_DEP_1)
	v_fma_f64 v[172:173], -v[166:167], v[170:171], 1.0
	v_fma_f64 v[170:171], v[170:171], v[172:173], v[170:171]
	v_div_scale_f64 v[172:173], vcc_lo, 1.0, v[164:165], 1.0
	s_delay_alu instid0(VALU_DEP_1) | instskip(NEXT) | instid1(VALU_DEP_1)
	v_mul_f64 v[174:175], v[172:173], v[170:171]
	v_fma_f64 v[166:167], -v[166:167], v[174:175], v[172:173]
	s_delay_alu instid0(VALU_DEP_1) | instskip(NEXT) | instid1(VALU_DEP_1)
	v_div_fmas_f64 v[166:167], v[166:167], v[170:171], v[174:175]
	v_div_fixup_f64 v[172:173], v[166:167], v[164:165], 1.0
	s_delay_alu instid0(VALU_DEP_1)
	v_mul_f64 v[170:171], v[168:169], -v[172:173]
.LBB73_286:
	s_or_b32 exec_lo, exec_lo, s3
	ds_store_2addr_b64 v189, v[172:173], v[170:171] offset1:1
.LBB73_287:
	s_or_b32 exec_lo, exec_lo, s4
	s_waitcnt lgkmcnt(0)
	s_barrier
	buffer_gl0_inv
	ds_load_2addr_b64 v[164:167], v189 offset1:1
	s_mov_b32 s3, exec_lo
	v_cmpx_lt_u32_e32 31, v188
	s_cbranch_execz .LBB73_289
; %bb.288:
	s_waitcnt lgkmcnt(0)
	v_mul_f64 v[168:169], v[164:165], v[22:23]
	v_mul_f64 v[22:23], v[166:167], v[22:23]
	s_delay_alu instid0(VALU_DEP_2) | instskip(SKIP_4) | instid1(VALU_DEP_1)
	v_fma_f64 v[172:173], v[166:167], v[20:21], v[168:169]
	ds_load_2addr_b64 v[168:171], v192 offset0:64 offset1:65
	v_fma_f64 v[20:21], v[164:165], v[20:21], -v[22:23]
	s_waitcnt lgkmcnt(0)
	v_mul_f64 v[22:23], v[170:171], v[172:173]
	v_fma_f64 v[22:23], v[168:169], v[20:21], -v[22:23]
	v_mul_f64 v[168:169], v[168:169], v[172:173]
	s_delay_alu instid0(VALU_DEP_2) | instskip(NEXT) | instid1(VALU_DEP_2)
	v_add_f64 v[16:17], v[16:17], -v[22:23]
	v_fma_f64 v[168:169], v[170:171], v[20:21], v[168:169]
	s_delay_alu instid0(VALU_DEP_1) | instskip(SKIP_3) | instid1(VALU_DEP_1)
	v_add_f64 v[18:19], v[18:19], -v[168:169]
	ds_load_2addr_b64 v[168:171], v192 offset0:66 offset1:67
	s_waitcnt lgkmcnt(0)
	v_mul_f64 v[22:23], v[170:171], v[172:173]
	v_fma_f64 v[22:23], v[168:169], v[20:21], -v[22:23]
	v_mul_f64 v[168:169], v[168:169], v[172:173]
	s_delay_alu instid0(VALU_DEP_2) | instskip(NEXT) | instid1(VALU_DEP_2)
	v_add_f64 v[12:13], v[12:13], -v[22:23]
	v_fma_f64 v[168:169], v[170:171], v[20:21], v[168:169]
	s_delay_alu instid0(VALU_DEP_1) | instskip(SKIP_3) | instid1(VALU_DEP_1)
	v_add_f64 v[14:15], v[14:15], -v[168:169]
	ds_load_2addr_b64 v[168:171], v192 offset0:68 offset1:69
	;; [unrolled: 10-line block ×4, first 2 shown]
	s_waitcnt lgkmcnt(0)
	v_mul_f64 v[22:23], v[170:171], v[172:173]
	v_fma_f64 v[22:23], v[168:169], v[20:21], -v[22:23]
	v_mul_f64 v[168:169], v[168:169], v[172:173]
	s_delay_alu instid0(VALU_DEP_2) | instskip(NEXT) | instid1(VALU_DEP_2)
	v_add_f64 v[0:1], v[0:1], -v[22:23]
	v_fma_f64 v[168:169], v[170:171], v[20:21], v[168:169]
	v_dual_mov_b32 v22, v172 :: v_dual_mov_b32 v23, v173
	s_delay_alu instid0(VALU_DEP_2)
	v_add_f64 v[2:3], v[2:3], -v[168:169]
.LBB73_289:
	s_or_b32 exec_lo, exec_lo, s3
	s_delay_alu instid0(SALU_CYCLE_1)
	s_mov_b32 s4, exec_lo
	s_waitcnt lgkmcnt(0)
	s_barrier
	buffer_gl0_inv
	v_cmpx_eq_u32_e32 32, v188
	s_cbranch_execz .LBB73_296
; %bb.290:
	ds_store_2addr_b64 v189, v[16:17], v[18:19] offset1:1
	ds_store_2addr_b64 v192, v[12:13], v[14:15] offset0:66 offset1:67
	ds_store_2addr_b64 v192, v[8:9], v[10:11] offset0:68 offset1:69
	;; [unrolled: 1-line block ×4, first 2 shown]
	ds_load_2addr_b64 v[168:171], v189 offset1:1
	s_waitcnt lgkmcnt(0)
	v_cmp_neq_f64_e32 vcc_lo, 0, v[168:169]
	v_cmp_neq_f64_e64 s3, 0, v[170:171]
	s_delay_alu instid0(VALU_DEP_1) | instskip(NEXT) | instid1(SALU_CYCLE_1)
	s_or_b32 s3, vcc_lo, s3
	s_and_b32 exec_lo, exec_lo, s3
	s_cbranch_execz .LBB73_296
; %bb.291:
	v_cmp_gt_f64_e32 vcc_lo, 0, v[168:169]
	v_xor_b32_e32 v172, 0x80000000, v169
	v_xor_b32_e32 v174, 0x80000000, v171
	s_mov_b32 s3, exec_lo
                                        ; implicit-def: $vgpr176_vgpr177
	s_delay_alu instid0(VALU_DEP_2) | instskip(SKIP_4) | instid1(VALU_DEP_1)
	v_cndmask_b32_e32 v173, v169, v172, vcc_lo
	v_cndmask_b32_e32 v172, v168, v168, vcc_lo
	v_cmp_gt_f64_e32 vcc_lo, 0, v[170:171]
	v_cndmask_b32_e32 v175, v171, v174, vcc_lo
	v_cndmask_b32_e32 v174, v170, v170, vcc_lo
	v_cmpx_ngt_f64_e32 v[172:173], v[174:175]
	s_xor_b32 s3, exec_lo, s3
                                        ; implicit-def: $vgpr172_vgpr173_vgpr174_vgpr175
	s_cbranch_execz .LBB73_293
; %bb.292:
	v_div_scale_f64 v[172:173], null, v[170:171], v[170:171], v[168:169]
	v_div_scale_f64 v[178:179], vcc_lo, v[168:169], v[170:171], v[168:169]
	s_delay_alu instid0(VALU_DEP_2) | instskip(SKIP_2) | instid1(VALU_DEP_1)
	v_rcp_f64_e32 v[174:175], v[172:173]
	s_waitcnt_depctr 0xfff
	v_fma_f64 v[176:177], -v[172:173], v[174:175], 1.0
	v_fma_f64 v[174:175], v[174:175], v[176:177], v[174:175]
	s_delay_alu instid0(VALU_DEP_1) | instskip(NEXT) | instid1(VALU_DEP_1)
	v_fma_f64 v[176:177], -v[172:173], v[174:175], 1.0
	v_fma_f64 v[174:175], v[174:175], v[176:177], v[174:175]
	s_delay_alu instid0(VALU_DEP_1) | instskip(NEXT) | instid1(VALU_DEP_1)
	v_mul_f64 v[176:177], v[178:179], v[174:175]
	v_fma_f64 v[172:173], -v[172:173], v[176:177], v[178:179]
	s_delay_alu instid0(VALU_DEP_1) | instskip(NEXT) | instid1(VALU_DEP_1)
	v_div_fmas_f64 v[172:173], v[172:173], v[174:175], v[176:177]
	v_div_fixup_f64 v[172:173], v[172:173], v[170:171], v[168:169]
	s_delay_alu instid0(VALU_DEP_1) | instskip(NEXT) | instid1(VALU_DEP_1)
	v_fma_f64 v[168:169], v[168:169], v[172:173], v[170:171]
	v_div_scale_f64 v[170:171], null, v[168:169], v[168:169], 1.0
	s_delay_alu instid0(VALU_DEP_1) | instskip(SKIP_2) | instid1(VALU_DEP_1)
	v_rcp_f64_e32 v[174:175], v[170:171]
	s_waitcnt_depctr 0xfff
	v_fma_f64 v[176:177], -v[170:171], v[174:175], 1.0
	v_fma_f64 v[174:175], v[174:175], v[176:177], v[174:175]
	s_delay_alu instid0(VALU_DEP_1) | instskip(NEXT) | instid1(VALU_DEP_1)
	v_fma_f64 v[176:177], -v[170:171], v[174:175], 1.0
	v_fma_f64 v[174:175], v[174:175], v[176:177], v[174:175]
	v_div_scale_f64 v[176:177], vcc_lo, 1.0, v[168:169], 1.0
	s_delay_alu instid0(VALU_DEP_1) | instskip(NEXT) | instid1(VALU_DEP_1)
	v_mul_f64 v[178:179], v[176:177], v[174:175]
	v_fma_f64 v[170:171], -v[170:171], v[178:179], v[176:177]
	s_delay_alu instid0(VALU_DEP_1) | instskip(NEXT) | instid1(VALU_DEP_1)
	v_div_fmas_f64 v[170:171], v[170:171], v[174:175], v[178:179]
	v_div_fixup_f64 v[174:175], v[170:171], v[168:169], 1.0
                                        ; implicit-def: $vgpr168_vgpr169
	s_delay_alu instid0(VALU_DEP_1)
	v_mul_f64 v[176:177], v[172:173], v[174:175]
	v_xor_b32_e32 v175, 0x80000000, v175
.LBB73_293:
	s_and_not1_saveexec_b32 s3, s3
	s_cbranch_execz .LBB73_295
; %bb.294:
	v_div_scale_f64 v[172:173], null, v[168:169], v[168:169], v[170:171]
	v_div_scale_f64 v[178:179], vcc_lo, v[170:171], v[168:169], v[170:171]
	s_delay_alu instid0(VALU_DEP_2) | instskip(SKIP_2) | instid1(VALU_DEP_1)
	v_rcp_f64_e32 v[174:175], v[172:173]
	s_waitcnt_depctr 0xfff
	v_fma_f64 v[176:177], -v[172:173], v[174:175], 1.0
	v_fma_f64 v[174:175], v[174:175], v[176:177], v[174:175]
	s_delay_alu instid0(VALU_DEP_1) | instskip(NEXT) | instid1(VALU_DEP_1)
	v_fma_f64 v[176:177], -v[172:173], v[174:175], 1.0
	v_fma_f64 v[174:175], v[174:175], v[176:177], v[174:175]
	s_delay_alu instid0(VALU_DEP_1) | instskip(NEXT) | instid1(VALU_DEP_1)
	v_mul_f64 v[176:177], v[178:179], v[174:175]
	v_fma_f64 v[172:173], -v[172:173], v[176:177], v[178:179]
	s_delay_alu instid0(VALU_DEP_1) | instskip(NEXT) | instid1(VALU_DEP_1)
	v_div_fmas_f64 v[172:173], v[172:173], v[174:175], v[176:177]
	v_div_fixup_f64 v[172:173], v[172:173], v[168:169], v[170:171]
	s_delay_alu instid0(VALU_DEP_1) | instskip(NEXT) | instid1(VALU_DEP_1)
	v_fma_f64 v[168:169], v[170:171], v[172:173], v[168:169]
	v_div_scale_f64 v[170:171], null, v[168:169], v[168:169], 1.0
	s_delay_alu instid0(VALU_DEP_1) | instskip(SKIP_2) | instid1(VALU_DEP_1)
	v_rcp_f64_e32 v[174:175], v[170:171]
	s_waitcnt_depctr 0xfff
	v_fma_f64 v[176:177], -v[170:171], v[174:175], 1.0
	v_fma_f64 v[174:175], v[174:175], v[176:177], v[174:175]
	s_delay_alu instid0(VALU_DEP_1) | instskip(NEXT) | instid1(VALU_DEP_1)
	v_fma_f64 v[176:177], -v[170:171], v[174:175], 1.0
	v_fma_f64 v[174:175], v[174:175], v[176:177], v[174:175]
	v_div_scale_f64 v[176:177], vcc_lo, 1.0, v[168:169], 1.0
	s_delay_alu instid0(VALU_DEP_1) | instskip(NEXT) | instid1(VALU_DEP_1)
	v_mul_f64 v[178:179], v[176:177], v[174:175]
	v_fma_f64 v[170:171], -v[170:171], v[178:179], v[176:177]
	s_delay_alu instid0(VALU_DEP_1) | instskip(NEXT) | instid1(VALU_DEP_1)
	v_div_fmas_f64 v[170:171], v[170:171], v[174:175], v[178:179]
	v_div_fixup_f64 v[176:177], v[170:171], v[168:169], 1.0
	s_delay_alu instid0(VALU_DEP_1)
	v_mul_f64 v[174:175], v[172:173], -v[176:177]
.LBB73_295:
	s_or_b32 exec_lo, exec_lo, s3
	ds_store_2addr_b64 v189, v[176:177], v[174:175] offset1:1
.LBB73_296:
	s_or_b32 exec_lo, exec_lo, s4
	s_waitcnt lgkmcnt(0)
	s_barrier
	buffer_gl0_inv
	ds_load_2addr_b64 v[168:171], v189 offset1:1
	s_mov_b32 s3, exec_lo
	v_cmpx_lt_u32_e32 32, v188
	s_cbranch_execz .LBB73_298
; %bb.297:
	s_waitcnt lgkmcnt(0)
	v_mul_f64 v[172:173], v[168:169], v[18:19]
	v_mul_f64 v[18:19], v[170:171], v[18:19]
	s_delay_alu instid0(VALU_DEP_2) | instskip(SKIP_4) | instid1(VALU_DEP_1)
	v_fma_f64 v[176:177], v[170:171], v[16:17], v[172:173]
	ds_load_2addr_b64 v[172:175], v192 offset0:66 offset1:67
	v_fma_f64 v[16:17], v[168:169], v[16:17], -v[18:19]
	s_waitcnt lgkmcnt(0)
	v_mul_f64 v[18:19], v[174:175], v[176:177]
	v_fma_f64 v[18:19], v[172:173], v[16:17], -v[18:19]
	v_mul_f64 v[172:173], v[172:173], v[176:177]
	s_delay_alu instid0(VALU_DEP_2) | instskip(NEXT) | instid1(VALU_DEP_2)
	v_add_f64 v[12:13], v[12:13], -v[18:19]
	v_fma_f64 v[172:173], v[174:175], v[16:17], v[172:173]
	s_delay_alu instid0(VALU_DEP_1) | instskip(SKIP_3) | instid1(VALU_DEP_1)
	v_add_f64 v[14:15], v[14:15], -v[172:173]
	ds_load_2addr_b64 v[172:175], v192 offset0:68 offset1:69
	s_waitcnt lgkmcnt(0)
	v_mul_f64 v[18:19], v[174:175], v[176:177]
	v_fma_f64 v[18:19], v[172:173], v[16:17], -v[18:19]
	v_mul_f64 v[172:173], v[172:173], v[176:177]
	s_delay_alu instid0(VALU_DEP_2) | instskip(NEXT) | instid1(VALU_DEP_2)
	v_add_f64 v[8:9], v[8:9], -v[18:19]
	v_fma_f64 v[172:173], v[174:175], v[16:17], v[172:173]
	s_delay_alu instid0(VALU_DEP_1) | instskip(SKIP_3) | instid1(VALU_DEP_1)
	v_add_f64 v[10:11], v[10:11], -v[172:173]
	ds_load_2addr_b64 v[172:175], v192 offset0:70 offset1:71
	;; [unrolled: 10-line block ×3, first 2 shown]
	s_waitcnt lgkmcnt(0)
	v_mul_f64 v[18:19], v[174:175], v[176:177]
	v_fma_f64 v[18:19], v[172:173], v[16:17], -v[18:19]
	v_mul_f64 v[172:173], v[172:173], v[176:177]
	s_delay_alu instid0(VALU_DEP_2) | instskip(NEXT) | instid1(VALU_DEP_2)
	v_add_f64 v[0:1], v[0:1], -v[18:19]
	v_fma_f64 v[172:173], v[174:175], v[16:17], v[172:173]
	v_dual_mov_b32 v18, v176 :: v_dual_mov_b32 v19, v177
	s_delay_alu instid0(VALU_DEP_2)
	v_add_f64 v[2:3], v[2:3], -v[172:173]
.LBB73_298:
	s_or_b32 exec_lo, exec_lo, s3
	s_delay_alu instid0(SALU_CYCLE_1)
	s_mov_b32 s4, exec_lo
	s_waitcnt lgkmcnt(0)
	s_barrier
	buffer_gl0_inv
	v_cmpx_eq_u32_e32 33, v188
	s_cbranch_execz .LBB73_305
; %bb.299:
	ds_store_2addr_b64 v189, v[12:13], v[14:15] offset1:1
	ds_store_2addr_b64 v192, v[8:9], v[10:11] offset0:68 offset1:69
	ds_store_2addr_b64 v192, v[4:5], v[6:7] offset0:70 offset1:71
	;; [unrolled: 1-line block ×3, first 2 shown]
	ds_load_2addr_b64 v[172:175], v189 offset1:1
	s_waitcnt lgkmcnt(0)
	v_cmp_neq_f64_e32 vcc_lo, 0, v[172:173]
	v_cmp_neq_f64_e64 s3, 0, v[174:175]
	s_delay_alu instid0(VALU_DEP_1) | instskip(NEXT) | instid1(SALU_CYCLE_1)
	s_or_b32 s3, vcc_lo, s3
	s_and_b32 exec_lo, exec_lo, s3
	s_cbranch_execz .LBB73_305
; %bb.300:
	v_cmp_gt_f64_e32 vcc_lo, 0, v[172:173]
	v_xor_b32_e32 v176, 0x80000000, v173
	v_xor_b32_e32 v178, 0x80000000, v175
	s_mov_b32 s3, exec_lo
                                        ; implicit-def: $vgpr180_vgpr181
	s_delay_alu instid0(VALU_DEP_2) | instskip(SKIP_4) | instid1(VALU_DEP_1)
	v_cndmask_b32_e32 v177, v173, v176, vcc_lo
	v_cndmask_b32_e32 v176, v172, v172, vcc_lo
	v_cmp_gt_f64_e32 vcc_lo, 0, v[174:175]
	v_cndmask_b32_e32 v179, v175, v178, vcc_lo
	v_cndmask_b32_e32 v178, v174, v174, vcc_lo
	v_cmpx_ngt_f64_e32 v[176:177], v[178:179]
	s_xor_b32 s3, exec_lo, s3
                                        ; implicit-def: $vgpr176_vgpr177_vgpr178_vgpr179
	s_cbranch_execz .LBB73_302
; %bb.301:
	v_div_scale_f64 v[176:177], null, v[174:175], v[174:175], v[172:173]
	v_div_scale_f64 v[182:183], vcc_lo, v[172:173], v[174:175], v[172:173]
	s_delay_alu instid0(VALU_DEP_2) | instskip(SKIP_2) | instid1(VALU_DEP_1)
	v_rcp_f64_e32 v[178:179], v[176:177]
	s_waitcnt_depctr 0xfff
	v_fma_f64 v[180:181], -v[176:177], v[178:179], 1.0
	v_fma_f64 v[178:179], v[178:179], v[180:181], v[178:179]
	s_delay_alu instid0(VALU_DEP_1) | instskip(NEXT) | instid1(VALU_DEP_1)
	v_fma_f64 v[180:181], -v[176:177], v[178:179], 1.0
	v_fma_f64 v[178:179], v[178:179], v[180:181], v[178:179]
	s_delay_alu instid0(VALU_DEP_1) | instskip(NEXT) | instid1(VALU_DEP_1)
	v_mul_f64 v[180:181], v[182:183], v[178:179]
	v_fma_f64 v[176:177], -v[176:177], v[180:181], v[182:183]
	s_delay_alu instid0(VALU_DEP_1) | instskip(NEXT) | instid1(VALU_DEP_1)
	v_div_fmas_f64 v[176:177], v[176:177], v[178:179], v[180:181]
	v_div_fixup_f64 v[176:177], v[176:177], v[174:175], v[172:173]
	s_delay_alu instid0(VALU_DEP_1) | instskip(NEXT) | instid1(VALU_DEP_1)
	v_fma_f64 v[172:173], v[172:173], v[176:177], v[174:175]
	v_div_scale_f64 v[174:175], null, v[172:173], v[172:173], 1.0
	s_delay_alu instid0(VALU_DEP_1) | instskip(SKIP_2) | instid1(VALU_DEP_1)
	v_rcp_f64_e32 v[178:179], v[174:175]
	s_waitcnt_depctr 0xfff
	v_fma_f64 v[180:181], -v[174:175], v[178:179], 1.0
	v_fma_f64 v[178:179], v[178:179], v[180:181], v[178:179]
	s_delay_alu instid0(VALU_DEP_1) | instskip(NEXT) | instid1(VALU_DEP_1)
	v_fma_f64 v[180:181], -v[174:175], v[178:179], 1.0
	v_fma_f64 v[178:179], v[178:179], v[180:181], v[178:179]
	v_div_scale_f64 v[180:181], vcc_lo, 1.0, v[172:173], 1.0
	s_delay_alu instid0(VALU_DEP_1) | instskip(NEXT) | instid1(VALU_DEP_1)
	v_mul_f64 v[182:183], v[180:181], v[178:179]
	v_fma_f64 v[174:175], -v[174:175], v[182:183], v[180:181]
	s_delay_alu instid0(VALU_DEP_1) | instskip(NEXT) | instid1(VALU_DEP_1)
	v_div_fmas_f64 v[174:175], v[174:175], v[178:179], v[182:183]
	v_div_fixup_f64 v[178:179], v[174:175], v[172:173], 1.0
                                        ; implicit-def: $vgpr172_vgpr173
	s_delay_alu instid0(VALU_DEP_1)
	v_mul_f64 v[180:181], v[176:177], v[178:179]
	v_xor_b32_e32 v179, 0x80000000, v179
.LBB73_302:
	s_and_not1_saveexec_b32 s3, s3
	s_cbranch_execz .LBB73_304
; %bb.303:
	v_div_scale_f64 v[176:177], null, v[172:173], v[172:173], v[174:175]
	v_div_scale_f64 v[182:183], vcc_lo, v[174:175], v[172:173], v[174:175]
	s_delay_alu instid0(VALU_DEP_2) | instskip(SKIP_2) | instid1(VALU_DEP_1)
	v_rcp_f64_e32 v[178:179], v[176:177]
	s_waitcnt_depctr 0xfff
	v_fma_f64 v[180:181], -v[176:177], v[178:179], 1.0
	v_fma_f64 v[178:179], v[178:179], v[180:181], v[178:179]
	s_delay_alu instid0(VALU_DEP_1) | instskip(NEXT) | instid1(VALU_DEP_1)
	v_fma_f64 v[180:181], -v[176:177], v[178:179], 1.0
	v_fma_f64 v[178:179], v[178:179], v[180:181], v[178:179]
	s_delay_alu instid0(VALU_DEP_1) | instskip(NEXT) | instid1(VALU_DEP_1)
	v_mul_f64 v[180:181], v[182:183], v[178:179]
	v_fma_f64 v[176:177], -v[176:177], v[180:181], v[182:183]
	s_delay_alu instid0(VALU_DEP_1) | instskip(NEXT) | instid1(VALU_DEP_1)
	v_div_fmas_f64 v[176:177], v[176:177], v[178:179], v[180:181]
	v_div_fixup_f64 v[176:177], v[176:177], v[172:173], v[174:175]
	s_delay_alu instid0(VALU_DEP_1) | instskip(NEXT) | instid1(VALU_DEP_1)
	v_fma_f64 v[172:173], v[174:175], v[176:177], v[172:173]
	v_div_scale_f64 v[174:175], null, v[172:173], v[172:173], 1.0
	s_delay_alu instid0(VALU_DEP_1) | instskip(SKIP_2) | instid1(VALU_DEP_1)
	v_rcp_f64_e32 v[178:179], v[174:175]
	s_waitcnt_depctr 0xfff
	v_fma_f64 v[180:181], -v[174:175], v[178:179], 1.0
	v_fma_f64 v[178:179], v[178:179], v[180:181], v[178:179]
	s_delay_alu instid0(VALU_DEP_1) | instskip(NEXT) | instid1(VALU_DEP_1)
	v_fma_f64 v[180:181], -v[174:175], v[178:179], 1.0
	v_fma_f64 v[178:179], v[178:179], v[180:181], v[178:179]
	v_div_scale_f64 v[180:181], vcc_lo, 1.0, v[172:173], 1.0
	s_delay_alu instid0(VALU_DEP_1) | instskip(NEXT) | instid1(VALU_DEP_1)
	v_mul_f64 v[182:183], v[180:181], v[178:179]
	v_fma_f64 v[174:175], -v[174:175], v[182:183], v[180:181]
	s_delay_alu instid0(VALU_DEP_1) | instskip(NEXT) | instid1(VALU_DEP_1)
	v_div_fmas_f64 v[174:175], v[174:175], v[178:179], v[182:183]
	v_div_fixup_f64 v[180:181], v[174:175], v[172:173], 1.0
	s_delay_alu instid0(VALU_DEP_1)
	v_mul_f64 v[178:179], v[176:177], -v[180:181]
.LBB73_304:
	s_or_b32 exec_lo, exec_lo, s3
	ds_store_2addr_b64 v189, v[180:181], v[178:179] offset1:1
.LBB73_305:
	s_or_b32 exec_lo, exec_lo, s4
	s_waitcnt lgkmcnt(0)
	s_barrier
	buffer_gl0_inv
	ds_load_2addr_b64 v[172:175], v189 offset1:1
	s_mov_b32 s3, exec_lo
	v_cmpx_lt_u32_e32 33, v188
	s_cbranch_execz .LBB73_307
; %bb.306:
	s_waitcnt lgkmcnt(0)
	v_mul_f64 v[176:177], v[172:173], v[14:15]
	v_mul_f64 v[14:15], v[174:175], v[14:15]
	s_delay_alu instid0(VALU_DEP_2) | instskip(SKIP_4) | instid1(VALU_DEP_1)
	v_fma_f64 v[180:181], v[174:175], v[12:13], v[176:177]
	ds_load_2addr_b64 v[176:179], v192 offset0:68 offset1:69
	v_fma_f64 v[12:13], v[172:173], v[12:13], -v[14:15]
	s_waitcnt lgkmcnt(0)
	v_mul_f64 v[14:15], v[178:179], v[180:181]
	v_fma_f64 v[14:15], v[176:177], v[12:13], -v[14:15]
	v_mul_f64 v[176:177], v[176:177], v[180:181]
	s_delay_alu instid0(VALU_DEP_2) | instskip(NEXT) | instid1(VALU_DEP_2)
	v_add_f64 v[8:9], v[8:9], -v[14:15]
	v_fma_f64 v[176:177], v[178:179], v[12:13], v[176:177]
	s_delay_alu instid0(VALU_DEP_1) | instskip(SKIP_3) | instid1(VALU_DEP_1)
	v_add_f64 v[10:11], v[10:11], -v[176:177]
	ds_load_2addr_b64 v[176:179], v192 offset0:70 offset1:71
	s_waitcnt lgkmcnt(0)
	v_mul_f64 v[14:15], v[178:179], v[180:181]
	v_fma_f64 v[14:15], v[176:177], v[12:13], -v[14:15]
	v_mul_f64 v[176:177], v[176:177], v[180:181]
	s_delay_alu instid0(VALU_DEP_2) | instskip(NEXT) | instid1(VALU_DEP_2)
	v_add_f64 v[4:5], v[4:5], -v[14:15]
	v_fma_f64 v[176:177], v[178:179], v[12:13], v[176:177]
	s_delay_alu instid0(VALU_DEP_1) | instskip(SKIP_3) | instid1(VALU_DEP_1)
	v_add_f64 v[6:7], v[6:7], -v[176:177]
	ds_load_2addr_b64 v[176:179], v192 offset0:72 offset1:73
	s_waitcnt lgkmcnt(0)
	v_mul_f64 v[14:15], v[178:179], v[180:181]
	v_fma_f64 v[14:15], v[176:177], v[12:13], -v[14:15]
	v_mul_f64 v[176:177], v[176:177], v[180:181]
	s_delay_alu instid0(VALU_DEP_2) | instskip(NEXT) | instid1(VALU_DEP_2)
	v_add_f64 v[0:1], v[0:1], -v[14:15]
	v_fma_f64 v[176:177], v[178:179], v[12:13], v[176:177]
	v_dual_mov_b32 v14, v180 :: v_dual_mov_b32 v15, v181
	s_delay_alu instid0(VALU_DEP_2)
	v_add_f64 v[2:3], v[2:3], -v[176:177]
.LBB73_307:
	s_or_b32 exec_lo, exec_lo, s3
	s_delay_alu instid0(SALU_CYCLE_1)
	s_mov_b32 s4, exec_lo
	s_waitcnt lgkmcnt(0)
	s_barrier
	buffer_gl0_inv
	v_cmpx_eq_u32_e32 34, v188
	s_cbranch_execz .LBB73_314
; %bb.308:
	ds_store_2addr_b64 v189, v[8:9], v[10:11] offset1:1
	ds_store_2addr_b64 v192, v[4:5], v[6:7] offset0:70 offset1:71
	ds_store_2addr_b64 v192, v[0:1], v[2:3] offset0:72 offset1:73
	ds_load_2addr_b64 v[176:179], v189 offset1:1
	s_waitcnt lgkmcnt(0)
	v_cmp_neq_f64_e32 vcc_lo, 0, v[176:177]
	v_cmp_neq_f64_e64 s3, 0, v[178:179]
	s_delay_alu instid0(VALU_DEP_1) | instskip(NEXT) | instid1(SALU_CYCLE_1)
	s_or_b32 s3, vcc_lo, s3
	s_and_b32 exec_lo, exec_lo, s3
	s_cbranch_execz .LBB73_314
; %bb.309:
	v_cmp_gt_f64_e32 vcc_lo, 0, v[176:177]
	v_xor_b32_e32 v180, 0x80000000, v177
	v_xor_b32_e32 v182, 0x80000000, v179
	s_mov_b32 s3, exec_lo
                                        ; implicit-def: $vgpr184_vgpr185
	s_delay_alu instid0(VALU_DEP_2) | instskip(SKIP_4) | instid1(VALU_DEP_1)
	v_cndmask_b32_e32 v181, v177, v180, vcc_lo
	v_cndmask_b32_e32 v180, v176, v176, vcc_lo
	v_cmp_gt_f64_e32 vcc_lo, 0, v[178:179]
	v_cndmask_b32_e32 v183, v179, v182, vcc_lo
	v_cndmask_b32_e32 v182, v178, v178, vcc_lo
	v_cmpx_ngt_f64_e32 v[180:181], v[182:183]
	s_xor_b32 s3, exec_lo, s3
                                        ; implicit-def: $vgpr180_vgpr181_vgpr182_vgpr183
	s_cbranch_execz .LBB73_311
; %bb.310:
	v_div_scale_f64 v[180:181], null, v[178:179], v[178:179], v[176:177]
	v_div_scale_f64 v[186:187], vcc_lo, v[176:177], v[178:179], v[176:177]
	s_delay_alu instid0(VALU_DEP_2) | instskip(SKIP_2) | instid1(VALU_DEP_1)
	v_rcp_f64_e32 v[182:183], v[180:181]
	s_waitcnt_depctr 0xfff
	v_fma_f64 v[184:185], -v[180:181], v[182:183], 1.0
	v_fma_f64 v[182:183], v[182:183], v[184:185], v[182:183]
	s_delay_alu instid0(VALU_DEP_1) | instskip(NEXT) | instid1(VALU_DEP_1)
	v_fma_f64 v[184:185], -v[180:181], v[182:183], 1.0
	v_fma_f64 v[182:183], v[182:183], v[184:185], v[182:183]
	s_delay_alu instid0(VALU_DEP_1) | instskip(NEXT) | instid1(VALU_DEP_1)
	v_mul_f64 v[184:185], v[186:187], v[182:183]
	v_fma_f64 v[180:181], -v[180:181], v[184:185], v[186:187]
	s_delay_alu instid0(VALU_DEP_1) | instskip(NEXT) | instid1(VALU_DEP_1)
	v_div_fmas_f64 v[180:181], v[180:181], v[182:183], v[184:185]
	v_div_fixup_f64 v[180:181], v[180:181], v[178:179], v[176:177]
	s_delay_alu instid0(VALU_DEP_1) | instskip(NEXT) | instid1(VALU_DEP_1)
	v_fma_f64 v[176:177], v[176:177], v[180:181], v[178:179]
	v_div_scale_f64 v[178:179], null, v[176:177], v[176:177], 1.0
	s_delay_alu instid0(VALU_DEP_1) | instskip(SKIP_2) | instid1(VALU_DEP_1)
	v_rcp_f64_e32 v[182:183], v[178:179]
	s_waitcnt_depctr 0xfff
	v_fma_f64 v[184:185], -v[178:179], v[182:183], 1.0
	v_fma_f64 v[182:183], v[182:183], v[184:185], v[182:183]
	s_delay_alu instid0(VALU_DEP_1) | instskip(NEXT) | instid1(VALU_DEP_1)
	v_fma_f64 v[184:185], -v[178:179], v[182:183], 1.0
	v_fma_f64 v[182:183], v[182:183], v[184:185], v[182:183]
	v_div_scale_f64 v[184:185], vcc_lo, 1.0, v[176:177], 1.0
	s_delay_alu instid0(VALU_DEP_1) | instskip(NEXT) | instid1(VALU_DEP_1)
	v_mul_f64 v[186:187], v[184:185], v[182:183]
	v_fma_f64 v[178:179], -v[178:179], v[186:187], v[184:185]
	s_delay_alu instid0(VALU_DEP_1) | instskip(NEXT) | instid1(VALU_DEP_1)
	v_div_fmas_f64 v[178:179], v[178:179], v[182:183], v[186:187]
	v_div_fixup_f64 v[182:183], v[178:179], v[176:177], 1.0
                                        ; implicit-def: $vgpr176_vgpr177
	s_delay_alu instid0(VALU_DEP_1)
	v_mul_f64 v[184:185], v[180:181], v[182:183]
	v_xor_b32_e32 v183, 0x80000000, v183
.LBB73_311:
	s_and_not1_saveexec_b32 s3, s3
	s_cbranch_execz .LBB73_313
; %bb.312:
	v_div_scale_f64 v[180:181], null, v[176:177], v[176:177], v[178:179]
	v_div_scale_f64 v[186:187], vcc_lo, v[178:179], v[176:177], v[178:179]
	s_delay_alu instid0(VALU_DEP_2) | instskip(SKIP_2) | instid1(VALU_DEP_1)
	v_rcp_f64_e32 v[182:183], v[180:181]
	s_waitcnt_depctr 0xfff
	v_fma_f64 v[184:185], -v[180:181], v[182:183], 1.0
	v_fma_f64 v[182:183], v[182:183], v[184:185], v[182:183]
	s_delay_alu instid0(VALU_DEP_1) | instskip(NEXT) | instid1(VALU_DEP_1)
	v_fma_f64 v[184:185], -v[180:181], v[182:183], 1.0
	v_fma_f64 v[182:183], v[182:183], v[184:185], v[182:183]
	s_delay_alu instid0(VALU_DEP_1) | instskip(NEXT) | instid1(VALU_DEP_1)
	v_mul_f64 v[184:185], v[186:187], v[182:183]
	v_fma_f64 v[180:181], -v[180:181], v[184:185], v[186:187]
	s_delay_alu instid0(VALU_DEP_1) | instskip(NEXT) | instid1(VALU_DEP_1)
	v_div_fmas_f64 v[180:181], v[180:181], v[182:183], v[184:185]
	v_div_fixup_f64 v[180:181], v[180:181], v[176:177], v[178:179]
	s_delay_alu instid0(VALU_DEP_1) | instskip(NEXT) | instid1(VALU_DEP_1)
	v_fma_f64 v[176:177], v[178:179], v[180:181], v[176:177]
	v_div_scale_f64 v[178:179], null, v[176:177], v[176:177], 1.0
	s_delay_alu instid0(VALU_DEP_1) | instskip(SKIP_2) | instid1(VALU_DEP_1)
	v_rcp_f64_e32 v[182:183], v[178:179]
	s_waitcnt_depctr 0xfff
	v_fma_f64 v[184:185], -v[178:179], v[182:183], 1.0
	v_fma_f64 v[182:183], v[182:183], v[184:185], v[182:183]
	s_delay_alu instid0(VALU_DEP_1) | instskip(NEXT) | instid1(VALU_DEP_1)
	v_fma_f64 v[184:185], -v[178:179], v[182:183], 1.0
	v_fma_f64 v[182:183], v[182:183], v[184:185], v[182:183]
	v_div_scale_f64 v[184:185], vcc_lo, 1.0, v[176:177], 1.0
	s_delay_alu instid0(VALU_DEP_1) | instskip(NEXT) | instid1(VALU_DEP_1)
	v_mul_f64 v[186:187], v[184:185], v[182:183]
	v_fma_f64 v[178:179], -v[178:179], v[186:187], v[184:185]
	s_delay_alu instid0(VALU_DEP_1) | instskip(NEXT) | instid1(VALU_DEP_1)
	v_div_fmas_f64 v[178:179], v[178:179], v[182:183], v[186:187]
	v_div_fixup_f64 v[184:185], v[178:179], v[176:177], 1.0
	s_delay_alu instid0(VALU_DEP_1)
	v_mul_f64 v[182:183], v[180:181], -v[184:185]
.LBB73_313:
	s_or_b32 exec_lo, exec_lo, s3
	ds_store_2addr_b64 v189, v[184:185], v[182:183] offset1:1
.LBB73_314:
	s_or_b32 exec_lo, exec_lo, s4
	s_waitcnt lgkmcnt(0)
	s_barrier
	buffer_gl0_inv
	ds_load_2addr_b64 v[176:179], v189 offset1:1
	s_mov_b32 s3, exec_lo
	v_cmpx_lt_u32_e32 34, v188
	s_cbranch_execz .LBB73_316
; %bb.315:
	s_waitcnt lgkmcnt(0)
	v_mul_f64 v[180:181], v[176:177], v[10:11]
	v_mul_f64 v[10:11], v[178:179], v[10:11]
	s_delay_alu instid0(VALU_DEP_2) | instskip(SKIP_4) | instid1(VALU_DEP_1)
	v_fma_f64 v[184:185], v[178:179], v[8:9], v[180:181]
	ds_load_2addr_b64 v[180:183], v192 offset0:70 offset1:71
	v_fma_f64 v[8:9], v[176:177], v[8:9], -v[10:11]
	s_waitcnt lgkmcnt(0)
	v_mul_f64 v[10:11], v[182:183], v[184:185]
	v_fma_f64 v[10:11], v[180:181], v[8:9], -v[10:11]
	v_mul_f64 v[180:181], v[180:181], v[184:185]
	s_delay_alu instid0(VALU_DEP_2) | instskip(NEXT) | instid1(VALU_DEP_2)
	v_add_f64 v[4:5], v[4:5], -v[10:11]
	v_fma_f64 v[180:181], v[182:183], v[8:9], v[180:181]
	s_delay_alu instid0(VALU_DEP_1) | instskip(SKIP_3) | instid1(VALU_DEP_1)
	v_add_f64 v[6:7], v[6:7], -v[180:181]
	ds_load_2addr_b64 v[180:183], v192 offset0:72 offset1:73
	s_waitcnt lgkmcnt(0)
	v_mul_f64 v[10:11], v[182:183], v[184:185]
	v_fma_f64 v[10:11], v[180:181], v[8:9], -v[10:11]
	v_mul_f64 v[180:181], v[180:181], v[184:185]
	s_delay_alu instid0(VALU_DEP_2) | instskip(NEXT) | instid1(VALU_DEP_2)
	v_add_f64 v[0:1], v[0:1], -v[10:11]
	v_fma_f64 v[180:181], v[182:183], v[8:9], v[180:181]
	v_dual_mov_b32 v10, v184 :: v_dual_mov_b32 v11, v185
	s_delay_alu instid0(VALU_DEP_2)
	v_add_f64 v[2:3], v[2:3], -v[180:181]
.LBB73_316:
	s_or_b32 exec_lo, exec_lo, s3
	s_delay_alu instid0(SALU_CYCLE_1)
	s_mov_b32 s4, exec_lo
	s_waitcnt lgkmcnt(0)
	s_barrier
	buffer_gl0_inv
	v_cmpx_eq_u32_e32 35, v188
	s_cbranch_execz .LBB73_323
; %bb.317:
	ds_store_2addr_b64 v189, v[4:5], v[6:7] offset1:1
	ds_store_2addr_b64 v192, v[0:1], v[2:3] offset0:72 offset1:73
	ds_load_2addr_b64 v[180:183], v189 offset1:1
	s_waitcnt lgkmcnt(0)
	v_cmp_neq_f64_e32 vcc_lo, 0, v[180:181]
	v_cmp_neq_f64_e64 s3, 0, v[182:183]
	s_delay_alu instid0(VALU_DEP_1) | instskip(NEXT) | instid1(SALU_CYCLE_1)
	s_or_b32 s3, vcc_lo, s3
	s_and_b32 exec_lo, exec_lo, s3
	s_cbranch_execz .LBB73_323
; %bb.318:
	v_cmp_gt_f64_e32 vcc_lo, 0, v[180:181]
	v_xor_b32_e32 v184, 0x80000000, v181
	v_xor_b32_e32 v186, 0x80000000, v183
	s_mov_b32 s3, exec_lo
                                        ; implicit-def: $vgpr190_vgpr191
	s_delay_alu instid0(VALU_DEP_2) | instskip(SKIP_4) | instid1(VALU_DEP_1)
	v_cndmask_b32_e32 v185, v181, v184, vcc_lo
	v_cndmask_b32_e32 v184, v180, v180, vcc_lo
	v_cmp_gt_f64_e32 vcc_lo, 0, v[182:183]
	v_cndmask_b32_e32 v187, v183, v186, vcc_lo
	v_cndmask_b32_e32 v186, v182, v182, vcc_lo
	v_cmpx_ngt_f64_e32 v[184:185], v[186:187]
	s_xor_b32 s3, exec_lo, s3
                                        ; implicit-def: $vgpr184_vgpr185_vgpr186_vgpr187
	s_cbranch_execz .LBB73_320
; %bb.319:
	v_div_scale_f64 v[184:185], null, v[182:183], v[182:183], v[180:181]
	v_dual_mov_b32 v148, v193 :: v_dual_mov_b32 v149, v194
	v_div_scale_f64 v[193:194], vcc_lo, v[180:181], v[182:183], v[180:181]
	s_delay_alu instid0(VALU_DEP_3) | instskip(SKIP_2) | instid1(VALU_DEP_1)
	v_rcp_f64_e32 v[186:187], v[184:185]
	s_waitcnt_depctr 0xfff
	v_fma_f64 v[190:191], -v[184:185], v[186:187], 1.0
	v_fma_f64 v[186:187], v[186:187], v[190:191], v[186:187]
	s_delay_alu instid0(VALU_DEP_1) | instskip(NEXT) | instid1(VALU_DEP_1)
	v_fma_f64 v[190:191], -v[184:185], v[186:187], 1.0
	v_fma_f64 v[186:187], v[186:187], v[190:191], v[186:187]
	s_delay_alu instid0(VALU_DEP_1) | instskip(NEXT) | instid1(VALU_DEP_1)
	v_mul_f64 v[190:191], v[193:194], v[186:187]
	v_fma_f64 v[184:185], -v[184:185], v[190:191], v[193:194]
	s_delay_alu instid0(VALU_DEP_1) | instskip(NEXT) | instid1(VALU_DEP_1)
	v_div_fmas_f64 v[184:185], v[184:185], v[186:187], v[190:191]
	v_div_fixup_f64 v[184:185], v[184:185], v[182:183], v[180:181]
	s_delay_alu instid0(VALU_DEP_1) | instskip(NEXT) | instid1(VALU_DEP_1)
	v_fma_f64 v[180:181], v[180:181], v[184:185], v[182:183]
	v_div_scale_f64 v[182:183], null, v[180:181], v[180:181], 1.0
	s_delay_alu instid0(VALU_DEP_1) | instskip(SKIP_2) | instid1(VALU_DEP_1)
	v_rcp_f64_e32 v[186:187], v[182:183]
	s_waitcnt_depctr 0xfff
	v_fma_f64 v[190:191], -v[182:183], v[186:187], 1.0
	v_fma_f64 v[186:187], v[186:187], v[190:191], v[186:187]
	s_delay_alu instid0(VALU_DEP_1) | instskip(NEXT) | instid1(VALU_DEP_1)
	v_fma_f64 v[190:191], -v[182:183], v[186:187], 1.0
	v_fma_f64 v[186:187], v[186:187], v[190:191], v[186:187]
	v_div_scale_f64 v[190:191], vcc_lo, 1.0, v[180:181], 1.0
	s_delay_alu instid0(VALU_DEP_1) | instskip(NEXT) | instid1(VALU_DEP_1)
	v_mul_f64 v[193:194], v[190:191], v[186:187]
	v_fma_f64 v[182:183], -v[182:183], v[193:194], v[190:191]
	s_delay_alu instid0(VALU_DEP_1) | instskip(SKIP_1) | instid1(VALU_DEP_2)
	v_div_fmas_f64 v[182:183], v[182:183], v[186:187], v[193:194]
	v_dual_mov_b32 v194, v149 :: v_dual_mov_b32 v193, v148
	v_div_fixup_f64 v[186:187], v[182:183], v[180:181], 1.0
                                        ; implicit-def: $vgpr180_vgpr181
	s_delay_alu instid0(VALU_DEP_1)
	v_mul_f64 v[190:191], v[184:185], v[186:187]
	v_xor_b32_e32 v187, 0x80000000, v187
.LBB73_320:
	s_and_not1_saveexec_b32 s3, s3
	s_cbranch_execz .LBB73_322
; %bb.321:
	v_div_scale_f64 v[184:185], null, v[180:181], v[180:181], v[182:183]
	v_dual_mov_b32 v148, v193 :: v_dual_mov_b32 v149, v194
	v_div_scale_f64 v[193:194], vcc_lo, v[182:183], v[180:181], v[182:183]
	s_delay_alu instid0(VALU_DEP_3) | instskip(SKIP_2) | instid1(VALU_DEP_1)
	v_rcp_f64_e32 v[186:187], v[184:185]
	s_waitcnt_depctr 0xfff
	v_fma_f64 v[190:191], -v[184:185], v[186:187], 1.0
	v_fma_f64 v[186:187], v[186:187], v[190:191], v[186:187]
	s_delay_alu instid0(VALU_DEP_1) | instskip(NEXT) | instid1(VALU_DEP_1)
	v_fma_f64 v[190:191], -v[184:185], v[186:187], 1.0
	v_fma_f64 v[186:187], v[186:187], v[190:191], v[186:187]
	s_delay_alu instid0(VALU_DEP_1) | instskip(NEXT) | instid1(VALU_DEP_1)
	v_mul_f64 v[190:191], v[193:194], v[186:187]
	v_fma_f64 v[184:185], -v[184:185], v[190:191], v[193:194]
	s_delay_alu instid0(VALU_DEP_1) | instskip(NEXT) | instid1(VALU_DEP_1)
	v_div_fmas_f64 v[184:185], v[184:185], v[186:187], v[190:191]
	v_div_fixup_f64 v[184:185], v[184:185], v[180:181], v[182:183]
	s_delay_alu instid0(VALU_DEP_1) | instskip(NEXT) | instid1(VALU_DEP_1)
	v_fma_f64 v[180:181], v[182:183], v[184:185], v[180:181]
	v_div_scale_f64 v[182:183], null, v[180:181], v[180:181], 1.0
	s_delay_alu instid0(VALU_DEP_1) | instskip(SKIP_2) | instid1(VALU_DEP_1)
	v_rcp_f64_e32 v[186:187], v[182:183]
	s_waitcnt_depctr 0xfff
	v_fma_f64 v[190:191], -v[182:183], v[186:187], 1.0
	v_fma_f64 v[186:187], v[186:187], v[190:191], v[186:187]
	s_delay_alu instid0(VALU_DEP_1) | instskip(NEXT) | instid1(VALU_DEP_1)
	v_fma_f64 v[190:191], -v[182:183], v[186:187], 1.0
	v_fma_f64 v[186:187], v[186:187], v[190:191], v[186:187]
	v_div_scale_f64 v[190:191], vcc_lo, 1.0, v[180:181], 1.0
	s_delay_alu instid0(VALU_DEP_1) | instskip(NEXT) | instid1(VALU_DEP_1)
	v_mul_f64 v[193:194], v[190:191], v[186:187]
	v_fma_f64 v[182:183], -v[182:183], v[193:194], v[190:191]
	s_delay_alu instid0(VALU_DEP_1) | instskip(SKIP_1) | instid1(VALU_DEP_2)
	v_div_fmas_f64 v[182:183], v[182:183], v[186:187], v[193:194]
	v_dual_mov_b32 v194, v149 :: v_dual_mov_b32 v193, v148
	v_div_fixup_f64 v[190:191], v[182:183], v[180:181], 1.0
	s_delay_alu instid0(VALU_DEP_1)
	v_mul_f64 v[186:187], v[184:185], -v[190:191]
.LBB73_322:
	s_or_b32 exec_lo, exec_lo, s3
	ds_store_2addr_b64 v189, v[190:191], v[186:187] offset1:1
.LBB73_323:
	s_or_b32 exec_lo, exec_lo, s4
	s_waitcnt lgkmcnt(0)
	s_barrier
	buffer_gl0_inv
	ds_load_2addr_b64 v[180:183], v189 offset1:1
	s_mov_b32 s3, exec_lo
	v_cmpx_lt_u32_e32 35, v188
	s_cbranch_execz .LBB73_325
; %bb.324:
	s_waitcnt lgkmcnt(0)
	v_mul_f64 v[184:185], v[180:181], v[6:7]
	v_mul_f64 v[6:7], v[182:183], v[6:7]
	s_delay_alu instid0(VALU_DEP_2) | instskip(SKIP_4) | instid1(VALU_DEP_1)
	v_fma_f64 v[190:191], v[182:183], v[4:5], v[184:185]
	ds_load_2addr_b64 v[184:187], v192 offset0:72 offset1:73
	v_fma_f64 v[4:5], v[180:181], v[4:5], -v[6:7]
	s_waitcnt lgkmcnt(0)
	v_mul_f64 v[6:7], v[186:187], v[190:191]
	v_fma_f64 v[6:7], v[184:185], v[4:5], -v[6:7]
	v_mul_f64 v[184:185], v[184:185], v[190:191]
	s_delay_alu instid0(VALU_DEP_2) | instskip(NEXT) | instid1(VALU_DEP_2)
	v_add_f64 v[0:1], v[0:1], -v[6:7]
	v_fma_f64 v[184:185], v[186:187], v[4:5], v[184:185]
	v_dual_mov_b32 v6, v190 :: v_dual_mov_b32 v7, v191
	s_delay_alu instid0(VALU_DEP_2)
	v_add_f64 v[2:3], v[2:3], -v[184:185]
.LBB73_325:
	s_or_b32 exec_lo, exec_lo, s3
	s_delay_alu instid0(SALU_CYCLE_1)
	s_mov_b32 s4, exec_lo
	s_waitcnt lgkmcnt(0)
	s_barrier
	buffer_gl0_inv
	v_cmpx_eq_u32_e32 36, v188
	s_cbranch_execz .LBB73_332
; %bb.326:
	v_cmp_neq_f64_e32 vcc_lo, 0, v[0:1]
	v_cmp_neq_f64_e64 s3, 0, v[2:3]
	ds_store_2addr_b64 v189, v[0:1], v[2:3] offset1:1
	s_or_b32 s3, vcc_lo, s3
	s_delay_alu instid0(SALU_CYCLE_1)
	s_and_b32 exec_lo, exec_lo, s3
	s_cbranch_execz .LBB73_332
; %bb.327:
	v_cmp_gt_f64_e32 vcc_lo, 0, v[0:1]
	v_xor_b32_e32 v184, 0x80000000, v1
	v_xor_b32_e32 v186, 0x80000000, v3
	s_mov_b32 s3, exec_lo
                                        ; implicit-def: $vgpr190_vgpr191
	s_delay_alu instid0(VALU_DEP_2) | instskip(SKIP_4) | instid1(VALU_DEP_1)
	v_cndmask_b32_e32 v185, v1, v184, vcc_lo
	v_cndmask_b32_e32 v184, v0, v0, vcc_lo
	v_cmp_gt_f64_e32 vcc_lo, 0, v[2:3]
	v_cndmask_b32_e32 v187, v3, v186, vcc_lo
	v_cndmask_b32_e32 v186, v2, v2, vcc_lo
	v_cmpx_ngt_f64_e32 v[184:185], v[186:187]
	s_xor_b32 s3, exec_lo, s3
                                        ; implicit-def: $vgpr184_vgpr185_vgpr186_vgpr187
	s_cbranch_execz .LBB73_329
; %bb.328:
	v_div_scale_f64 v[184:185], null, v[2:3], v[2:3], v[0:1]
	v_dual_mov_b32 v150, v193 :: v_dual_mov_b32 v151, v194
	v_div_scale_f64 v[192:193], vcc_lo, v[0:1], v[2:3], v[0:1]
	v_dual_mov_b32 v148, v253 :: v_dual_mov_b32 v149, v254
	v_dual_mov_b32 v255, v252 :: v_dual_mov_b32 v254, v251
	;; [unrolled: 1-line block ×16, first 2 shown]
	v_rcp_f64_e32 v[186:187], v[184:185]
	v_dual_mov_b32 v225, v222 :: v_dual_mov_b32 v224, v221
	v_dual_mov_b32 v223, v220 :: v_dual_mov_b32 v222, v219
	;; [unrolled: 1-line block ×14, first 2 shown]
	s_delay_alu instid0(TRANS32_DEP_1) | instskip(NEXT) | instid1(VALU_DEP_1)
	v_fma_f64 v[190:191], -v[184:185], v[186:187], 1.0
	v_fma_f64 v[186:187], v[186:187], v[190:191], v[186:187]
	s_delay_alu instid0(VALU_DEP_1) | instskip(NEXT) | instid1(VALU_DEP_1)
	v_fma_f64 v[190:191], -v[184:185], v[186:187], 1.0
	v_fma_f64 v[186:187], v[186:187], v[190:191], v[186:187]
	s_delay_alu instid0(VALU_DEP_1) | instskip(NEXT) | instid1(VALU_DEP_1)
	v_mul_f64 v[190:191], v[192:193], v[186:187]
	v_fma_f64 v[184:185], -v[184:185], v[190:191], v[192:193]
	s_delay_alu instid0(VALU_DEP_1) | instskip(NEXT) | instid1(VALU_DEP_1)
	v_div_fmas_f64 v[184:185], v[184:185], v[186:187], v[190:191]
	v_div_fixup_f64 v[184:185], v[184:185], v[2:3], v[0:1]
	s_delay_alu instid0(VALU_DEP_1) | instskip(NEXT) | instid1(VALU_DEP_1)
	v_fma_f64 v[186:187], v[0:1], v[184:185], v[2:3]
	v_div_scale_f64 v[190:191], null, v[186:187], v[186:187], 1.0
	s_delay_alu instid0(VALU_DEP_1) | instskip(SKIP_2) | instid1(VALU_DEP_1)
	v_rcp_f64_e32 v[192:193], v[190:191]
	s_waitcnt_depctr 0xfff
	v_fma_f64 v[194:195], -v[190:191], v[192:193], 1.0
	v_fma_f64 v[192:193], v[192:193], v[194:195], v[192:193]
	s_delay_alu instid0(VALU_DEP_1) | instskip(NEXT) | instid1(VALU_DEP_1)
	v_fma_f64 v[194:195], -v[190:191], v[192:193], 1.0
	v_fma_f64 v[192:193], v[192:193], v[194:195], v[192:193]
	v_div_scale_f64 v[194:195], vcc_lo, 1.0, v[186:187], 1.0
	s_delay_alu instid0(VALU_DEP_1) | instskip(NEXT) | instid1(VALU_DEP_1)
	v_mul_f64 v[196:197], v[194:195], v[192:193]
	v_fma_f64 v[190:191], -v[190:191], v[196:197], v[194:195]
	s_delay_alu instid0(VALU_DEP_1)
	v_div_fmas_f64 v[190:191], v[190:191], v[192:193], v[196:197]
	v_dual_mov_b32 v194, v151 :: v_dual_mov_b32 v193, v150
	v_dual_mov_b32 v195, v198 :: v_dual_mov_b32 v196, v199
	;; [unrolled: 1-line block ×19, first 2 shown]
	v_div_fixup_f64 v[186:187], v[190:191], v[186:187], 1.0
	v_dual_mov_b32 v231, v234 :: v_dual_mov_b32 v232, v235
	v_dual_mov_b32 v233, v236 :: v_dual_mov_b32 v234, v237
	;; [unrolled: 1-line block ×12, first 2 shown]
	v_mul_f64 v[190:191], v[184:185], v[186:187]
	v_xor_b32_e32 v187, 0x80000000, v187
.LBB73_329:
	s_and_not1_saveexec_b32 s3, s3
	s_cbranch_execz .LBB73_331
; %bb.330:
	v_div_scale_f64 v[184:185], null, v[0:1], v[0:1], v[2:3]
	v_dual_mov_b32 v150, v193 :: v_dual_mov_b32 v151, v194
	v_div_scale_f64 v[192:193], vcc_lo, v[2:3], v[0:1], v[2:3]
	v_dual_mov_b32 v148, v253 :: v_dual_mov_b32 v149, v254
	v_dual_mov_b32 v255, v252 :: v_dual_mov_b32 v254, v251
	;; [unrolled: 1-line block ×16, first 2 shown]
	v_rcp_f64_e32 v[186:187], v[184:185]
	v_dual_mov_b32 v225, v222 :: v_dual_mov_b32 v224, v221
	v_dual_mov_b32 v223, v220 :: v_dual_mov_b32 v222, v219
	;; [unrolled: 1-line block ×14, first 2 shown]
	s_delay_alu instid0(TRANS32_DEP_1) | instskip(NEXT) | instid1(VALU_DEP_1)
	v_fma_f64 v[190:191], -v[184:185], v[186:187], 1.0
	v_fma_f64 v[186:187], v[186:187], v[190:191], v[186:187]
	s_delay_alu instid0(VALU_DEP_1) | instskip(NEXT) | instid1(VALU_DEP_1)
	v_fma_f64 v[190:191], -v[184:185], v[186:187], 1.0
	v_fma_f64 v[186:187], v[186:187], v[190:191], v[186:187]
	s_delay_alu instid0(VALU_DEP_1) | instskip(NEXT) | instid1(VALU_DEP_1)
	v_mul_f64 v[190:191], v[192:193], v[186:187]
	v_fma_f64 v[184:185], -v[184:185], v[190:191], v[192:193]
	s_delay_alu instid0(VALU_DEP_1) | instskip(NEXT) | instid1(VALU_DEP_1)
	v_div_fmas_f64 v[184:185], v[184:185], v[186:187], v[190:191]
	v_div_fixup_f64 v[184:185], v[184:185], v[0:1], v[2:3]
	s_delay_alu instid0(VALU_DEP_1) | instskip(NEXT) | instid1(VALU_DEP_1)
	v_fma_f64 v[186:187], v[2:3], v[184:185], v[0:1]
	v_div_scale_f64 v[190:191], null, v[186:187], v[186:187], 1.0
	s_delay_alu instid0(VALU_DEP_1) | instskip(SKIP_2) | instid1(VALU_DEP_1)
	v_rcp_f64_e32 v[192:193], v[190:191]
	s_waitcnt_depctr 0xfff
	v_fma_f64 v[194:195], -v[190:191], v[192:193], 1.0
	v_fma_f64 v[192:193], v[192:193], v[194:195], v[192:193]
	s_delay_alu instid0(VALU_DEP_1) | instskip(NEXT) | instid1(VALU_DEP_1)
	v_fma_f64 v[194:195], -v[190:191], v[192:193], 1.0
	v_fma_f64 v[192:193], v[192:193], v[194:195], v[192:193]
	v_div_scale_f64 v[194:195], vcc_lo, 1.0, v[186:187], 1.0
	s_delay_alu instid0(VALU_DEP_1) | instskip(NEXT) | instid1(VALU_DEP_1)
	v_mul_f64 v[196:197], v[194:195], v[192:193]
	v_fma_f64 v[190:191], -v[190:191], v[196:197], v[194:195]
	s_delay_alu instid0(VALU_DEP_1)
	v_div_fmas_f64 v[190:191], v[190:191], v[192:193], v[196:197]
	v_dual_mov_b32 v194, v151 :: v_dual_mov_b32 v193, v150
	v_dual_mov_b32 v195, v198 :: v_dual_mov_b32 v196, v199
	;; [unrolled: 1-line block ×19, first 2 shown]
	v_div_fixup_f64 v[190:191], v[190:191], v[186:187], 1.0
	v_dual_mov_b32 v231, v234 :: v_dual_mov_b32 v232, v235
	v_dual_mov_b32 v233, v236 :: v_dual_mov_b32 v234, v237
	;; [unrolled: 1-line block ×12, first 2 shown]
	v_mul_f64 v[186:187], v[184:185], -v[190:191]
.LBB73_331:
	s_or_b32 exec_lo, exec_lo, s3
	ds_store_2addr_b64 v189, v[190:191], v[186:187] offset1:1
.LBB73_332:
	s_or_b32 exec_lo, exec_lo, s4
	s_waitcnt lgkmcnt(0)
	s_barrier
	buffer_gl0_inv
	ds_load_2addr_b64 v[184:187], v189 offset1:1
	s_mov_b32 s3, exec_lo
	v_cmpx_lt_u32_e32 36, v188
	s_cbranch_execz .LBB73_334
; %bb.333:
	s_waitcnt lgkmcnt(0)
	v_mul_f64 v[188:189], v[186:187], v[2:3]
	v_mul_f64 v[2:3], v[184:185], v[2:3]
	s_delay_alu instid0(VALU_DEP_2) | instskip(NEXT) | instid1(VALU_DEP_2)
	v_fma_f64 v[188:189], v[184:185], v[0:1], -v[188:189]
	v_fma_f64 v[2:3], v[186:187], v[0:1], v[2:3]
	s_delay_alu instid0(VALU_DEP_2)
	v_dual_mov_b32 v0, v188 :: v_dual_mov_b32 v1, v189
.LBB73_334:
	s_or_b32 exec_lo, exec_lo, s3
	s_waitcnt lgkmcnt(0)
	s_barrier
	buffer_gl0_inv
	s_and_saveexec_b32 s12, s2
	s_cbranch_execz .LBB73_337
; %bb.335:
	scratch_load_b128 v[148:151], off, off offset:56 ; 16-byte Folded Reload
	s_load_b64 s[14:15], s[0:1], 0x28
	s_waitcnt vmcnt(0)
	v_cmp_eq_f64_e32 vcc_lo, 0, v[148:149]
	v_cmp_eq_f64_e64 s2, 0, v[150:151]
	scratch_load_b128 v[148:151], off, off offset:72 ; 16-byte Folded Reload
	s_and_b32 s2, vcc_lo, s2
	s_delay_alu instid0(SALU_CYCLE_1)
	v_cndmask_b32_e64 v188, 0, 1, s2
	s_waitcnt vmcnt(0)
	v_cmp_neq_f64_e64 s3, 0, v[148:149]
	v_cmp_neq_f64_e64 s4, 0, v[150:151]
	scratch_load_b128 v[148:151], off, off offset:88 ; 16-byte Folded Reload
	s_or_b32 s3, s3, s4
	s_delay_alu instid0(SALU_CYCLE_1) | instskip(SKIP_1) | instid1(VALU_DEP_1)
	s_or_b32 vcc_lo, s3, s2
	v_cndmask_b32_e32 v188, 2, v188, vcc_lo
	v_cmp_eq_u32_e64 s3, 0, v188
	s_waitcnt vmcnt(0)
	v_cmp_eq_f64_e64 s5, 0, v[148:149]
	v_cmp_eq_f64_e64 s6, 0, v[150:151]
	scratch_load_b128 v[148:151], off, off offset:104 ; 16-byte Folded Reload
	s_and_b32 s4, s5, s6
	s_delay_alu instid0(SALU_CYCLE_1) | instskip(NEXT) | instid1(SALU_CYCLE_1)
	s_and_b32 s3, s4, s3
	v_cndmask_b32_e64 v188, v188, 3, s3
	s_delay_alu instid0(VALU_DEP_1)
	v_cmp_eq_u32_e64 s5, 0, v188
	s_waitcnt vmcnt(0)
	v_cmp_eq_f64_e64 s7, 0, v[148:149]
	v_cmp_eq_f64_e64 s8, 0, v[150:151]
	scratch_load_b128 v[148:151], off, off offset:120 ; 16-byte Folded Reload
	s_and_b32 s8, s7, s8
	s_delay_alu instid0(SALU_CYCLE_1) | instskip(NEXT) | instid1(SALU_CYCLE_1)
	s_and_b32 s5, s8, s5
	v_cndmask_b32_e64 v188, v188, 4, s5
	s_delay_alu instid0(VALU_DEP_1)
	;; [unrolled: 10-line block ×3, first 2 shown]
	v_cmp_eq_u32_e64 s9, 0, v188
	s_waitcnt vmcnt(0)
	v_cmp_eq_f64_e32 vcc_lo, 0, v[148:149]
	v_cmp_eq_f64_e64 s2, 0, v[150:151]
	scratch_load_b128 v[148:151], off, off offset:152 ; 16-byte Folded Reload
	s_and_b32 s2, vcc_lo, s2
	s_delay_alu instid0(SALU_CYCLE_1) | instskip(NEXT) | instid1(SALU_CYCLE_1)
	s_and_b32 s0, s2, s9
	v_cndmask_b32_e64 v188, v188, 6, s0
	s_delay_alu instid0(VALU_DEP_1)
	v_cmp_eq_u32_e64 s1, 0, v188
	s_waitcnt vmcnt(0)
	v_cmp_eq_f64_e64 s3, 0, v[148:149]
	v_cmp_eq_f64_e64 s4, 0, v[150:151]
	scratch_load_b128 v[148:151], off, off offset:168 ; 16-byte Folded Reload
	s_and_b32 s2, s3, s4
	s_delay_alu instid0(SALU_CYCLE_1) | instskip(NEXT) | instid1(SALU_CYCLE_1)
	s_and_b32 s1, s2, s1
	v_cndmask_b32_e64 v190, v188, 7, s1
	v_lshlrev_b64 v[188:189], 2, v[229:230]
	s_delay_alu instid0(VALU_DEP_2) | instskip(SKIP_1) | instid1(VALU_DEP_2)
	v_cmp_eq_u32_e64 s3, 0, v190
	s_waitcnt lgkmcnt(0)
	v_add_co_u32 v188, s4, s14, v188
	s_delay_alu instid0(VALU_DEP_1)
	v_add_co_ci_u32_e64 v189, s4, s15, v189, s4
	s_waitcnt vmcnt(0)
	v_cmp_eq_f64_e64 s6, 0, v[148:149]
	v_cmp_eq_f64_e64 s7, 0, v[150:151]
	scratch_load_b128 v[148:151], off, off offset:184 ; 16-byte Folded Reload
	s_and_b32 s6, s6, s7
	s_delay_alu instid0(SALU_CYCLE_1) | instskip(NEXT) | instid1(SALU_CYCLE_1)
	s_and_b32 s3, s6, s3
	v_cndmask_b32_e64 v191, v190, 8, s3
	global_load_b32 v190, v[188:189], off
	v_cmp_eq_u32_e64 s6, 0, v191
	s_waitcnt vmcnt(1)
	v_cmp_eq_f64_e64 s5, 0, v[148:149]
	v_cmp_eq_f64_e64 s8, 0, v[150:151]
	scratch_load_b128 v[148:151], off, off offset:200 ; 16-byte Folded Reload
	s_and_b32 s5, s5, s8
	s_delay_alu instid0(SALU_CYCLE_1) | instskip(NEXT) | instid1(SALU_CYCLE_1)
	s_and_b32 s5, s5, s6
	v_cndmask_b32_e64 v191, v191, 9, s5
	s_delay_alu instid0(VALU_DEP_1)
	v_cmp_eq_u32_e64 s7, 0, v191
	s_waitcnt vmcnt(0)
	v_cmp_eq_f64_e32 vcc_lo, 0, v[148:149]
	v_cmp_eq_f64_e64 s0, 0, v[150:151]
	scratch_load_b128 v[148:151], off, off offset:216 ; 16-byte Folded Reload
	s_and_b32 s0, vcc_lo, s0
	s_delay_alu instid0(SALU_CYCLE_1) | instskip(NEXT) | instid1(SALU_CYCLE_1)
	s_and_b32 s0, s0, s7
	v_cndmask_b32_e64 v191, v191, 10, s0
	s_delay_alu instid0(VALU_DEP_1)
	v_cmp_eq_u32_e64 s7, 0, v191
	s_waitcnt vmcnt(0)
	v_cmp_eq_f64_e64 s1, 0, v[148:149]
	v_cmp_eq_f64_e64 s2, 0, v[150:151]
	scratch_load_b128 v[148:151], off, off offset:232 ; 16-byte Folded Reload
	s_and_b32 s1, s1, s2
	s_delay_alu instid0(SALU_CYCLE_1) | instskip(NEXT) | instid1(SALU_CYCLE_1)
	s_and_b32 s1, s1, s7
	v_cndmask_b32_e64 v191, v191, 11, s1
	s_delay_alu instid0(VALU_DEP_1)
	v_cmp_eq_u32_e64 s7, 0, v191
	s_waitcnt vmcnt(0)
	v_cmp_eq_f64_e64 s3, 0, v[148:149]
	v_cmp_eq_f64_e64 s4, 0, v[150:151]
	scratch_load_b128 v[148:151], off, off offset:248 ; 16-byte Folded Reload
	s_and_b32 s3, s3, s4
	s_delay_alu instid0(SALU_CYCLE_1) | instskip(NEXT) | instid1(SALU_CYCLE_1)
	s_and_b32 s3, s3, s7
	v_cndmask_b32_e64 v191, v191, 12, s3
	s_delay_alu instid0(VALU_DEP_1)
	v_cmp_eq_u32_e64 s7, 0, v191
	s_waitcnt vmcnt(0)
	v_cmp_eq_f64_e64 s5, 0, v[148:149]
	v_cmp_eq_f64_e64 s6, 0, v[150:151]
	scratch_load_b128 v[148:151], off, off offset:264 ; 16-byte Folded Reload
	s_and_b32 s5, s5, s6
	s_delay_alu instid0(SALU_CYCLE_1) | instskip(NEXT) | instid1(SALU_CYCLE_1)
	s_and_b32 s5, s5, s7
	v_cndmask_b32_e64 v191, v191, 13, s5
	s_delay_alu instid0(VALU_DEP_1)
	v_cmp_eq_u32_e64 s7, 0, v191
	s_waitcnt vmcnt(0)
	v_cmp_eq_f64_e32 vcc_lo, 0, v[148:149]
	v_cmp_eq_f64_e64 s0, 0, v[150:151]
	scratch_load_b128 v[148:151], off, off offset:280 ; 16-byte Folded Reload
	s_and_b32 s0, vcc_lo, s0
	s_delay_alu instid0(SALU_CYCLE_1) | instskip(NEXT) | instid1(SALU_CYCLE_1)
	s_and_b32 s0, s0, s7
	v_cndmask_b32_e64 v191, v191, 14, s0
	s_delay_alu instid0(VALU_DEP_1)
	v_cmp_eq_u32_e64 s7, 0, v191
	s_waitcnt vmcnt(0)
	v_cmp_eq_f64_e64 s1, 0, v[148:149]
	v_cmp_eq_f64_e64 s2, 0, v[150:151]
	scratch_load_b128 v[148:151], off, off offset:296 ; 16-byte Folded Reload
	s_and_b32 s1, s1, s2
	s_delay_alu instid0(SALU_CYCLE_1) | instskip(NEXT) | instid1(SALU_CYCLE_1)
	s_and_b32 s1, s1, s7
	v_cndmask_b32_e64 v191, v191, 15, s1
	s_delay_alu instid0(VALU_DEP_1)
	v_cmp_eq_u32_e64 s7, 0, v191
	s_waitcnt vmcnt(0)
	v_cmp_eq_f64_e64 s3, 0, v[148:149]
	v_cmp_eq_f64_e64 s4, 0, v[150:151]
	scratch_load_b128 v[148:151], off, off offset:312 ; 16-byte Folded Reload
	s_and_b32 s3, s3, s4
	s_delay_alu instid0(SALU_CYCLE_1) | instskip(NEXT) | instid1(SALU_CYCLE_1)
	s_and_b32 s3, s3, s7
	v_cndmask_b32_e64 v191, v191, 16, s3
	s_delay_alu instid0(VALU_DEP_1)
	;; [unrolled: 40-line block ×4, first 2 shown]
	v_cmp_eq_u32_e64 s7, 0, v191
	s_waitcnt vmcnt(0)
	v_cmp_eq_f64_e64 s5, 0, v[148:149]
	v_cmp_eq_f64_e64 s6, 0, v[150:151]
	scratch_load_b128 v[148:151], off, off offset:456 ; 16-byte Folded Reload
	s_and_b32 s5, s5, s6
	v_cmp_eq_f64_e64 s6, 0, v[154:155]
	s_and_b32 s5, s5, s7
	s_waitcnt vmcnt(0)
	v_cmp_eq_f64_e32 vcc_lo, 0, v[148:149]
	v_cmp_eq_f64_e64 s0, 0, v[150:151]
	scratch_load_b128 v[148:151], off, off offset:472 ; 16-byte Folded Reload
	s_and_b32 s0, vcc_lo, s0
	v_cmp_eq_f64_e32 vcc_lo, 0, v[156:157]
	s_waitcnt vmcnt(0)
	v_cmp_eq_f64_e64 s1, 0, v[148:149]
	v_cmp_eq_f64_e64 s2, 0, v[150:151]
	scratch_load_b128 v[148:151], off, off offset:488 ; 16-byte Folded Reload
	s_and_b32 s1, s1, s2
	v_cmp_eq_f64_e64 s2, 0, v[162:163]
	s_waitcnt vmcnt(0)
	v_cmp_eq_f64_e64 s3, 0, v[148:149]
	v_cmp_eq_f64_e64 s4, 0, v[150:151]
	v_cndmask_b32_e64 v148, v191, 25, s5
	v_cmp_eq_f64_e64 s5, 0, v[152:153]
	s_delay_alu instid0(VALU_DEP_2) | instskip(NEXT) | instid1(VALU_DEP_1)
	v_cmp_eq_u32_e64 s7, 0, v148
	s_and_b32 s0, s0, s7
	s_delay_alu instid0(SALU_CYCLE_1) | instskip(SKIP_1) | instid1(VALU_DEP_2)
	v_cndmask_b32_e64 v148, v148, 26, s0
	v_cmp_eq_f64_e64 s0, 0, v[158:159]
	v_cmp_eq_u32_e64 s7, 0, v148
	s_delay_alu instid0(VALU_DEP_1) | instskip(NEXT) | instid1(SALU_CYCLE_1)
	s_and_b32 s1, s1, s7
	v_cndmask_b32_e64 v148, v148, 27, s1
	v_cmp_eq_f64_e64 s1, 0, v[160:161]
	s_delay_alu instid0(VALU_DEP_2) | instskip(SKIP_2) | instid1(VALU_DEP_2)
	v_cmp_eq_u32_e64 s7, 0, v148
	s_and_b32 s3, s3, s4
	v_cmp_eq_f64_e64 s4, 0, v[166:167]
	s_and_b32 s3, s3, s7
	s_and_b32 s5, s5, s6
	v_cndmask_b32_e64 v148, v148, 28, s3
	v_cmp_eq_f64_e64 s3, 0, v[164:165]
	v_cmp_eq_f64_e64 s6, 0, v[170:171]
	s_delay_alu instid0(VALU_DEP_3) | instskip(NEXT) | instid1(VALU_DEP_1)
	v_cmp_eq_u32_e64 s7, 0, v148
	s_and_b32 s5, s5, s7
	s_and_b32 s0, vcc_lo, s0
	v_cndmask_b32_e64 v148, v148, 29, s5
	v_cmp_eq_f64_e64 s5, 0, v[168:169]
	v_cmp_eq_f64_e32 vcc_lo, 0, v[172:173]
	s_delay_alu instid0(VALU_DEP_3) | instskip(NEXT) | instid1(VALU_DEP_1)
	v_cmp_eq_u32_e64 s7, 0, v148
	s_and_b32 s0, s0, s7
	s_and_b32 s1, s1, s2
	v_cndmask_b32_e64 v148, v148, 30, s0
	v_cmp_eq_f64_e64 s0, 0, v[174:175]
	v_cmp_eq_f64_e64 s2, 0, v[178:179]
	s_delay_alu instid0(VALU_DEP_3) | instskip(NEXT) | instid1(VALU_DEP_1)
	v_cmp_eq_u32_e64 s7, 0, v148
	s_and_b32 s1, s1, s7
	s_delay_alu instid0(SALU_CYCLE_1) | instskip(SKIP_3) | instid1(VALU_DEP_3)
	v_cndmask_b32_e64 v148, v148, 31, s1
	v_cmp_eq_f64_e64 s1, 0, v[176:177]
	s_and_b32 s3, s3, s4
	v_cmp_eq_f64_e64 s4, 0, v[182:183]
	v_cmp_eq_u32_e64 s7, 0, v148
	s_delay_alu instid0(VALU_DEP_1) | instskip(NEXT) | instid1(SALU_CYCLE_1)
	s_and_b32 s3, s3, s7
	v_cndmask_b32_e64 v148, v148, 32, s3
	v_cmp_eq_f64_e64 s3, 0, v[180:181]
	s_and_b32 s5, s5, s6
	v_cmp_eq_f64_e64 s6, 0, v[186:187]
	s_delay_alu instid0(VALU_DEP_3) | instskip(NEXT) | instid1(VALU_DEP_1)
	v_cmp_eq_u32_e64 s7, 0, v148
	s_and_b32 s5, s5, s7
	s_delay_alu instid0(SALU_CYCLE_1) | instskip(SKIP_2) | instid1(VALU_DEP_2)
	v_cndmask_b32_e64 v148, v148, 33, s5
	v_cmp_eq_f64_e64 s5, 0, v[184:185]
	s_and_b32 s0, vcc_lo, s0
	v_cmp_eq_u32_e64 s7, 0, v148
	s_delay_alu instid0(VALU_DEP_1) | instskip(NEXT) | instid1(SALU_CYCLE_1)
	s_and_b32 s0, s0, s7
	v_cndmask_b32_e64 v148, v148, 34, s0
	s_and_b32 s0, s1, s2
	s_delay_alu instid0(VALU_DEP_1) | instskip(SKIP_1) | instid1(SALU_CYCLE_1)
	v_cmp_eq_u32_e32 vcc_lo, 0, v148
	s_and_b32 s0, s0, vcc_lo
	v_cndmask_b32_e64 v148, v148, 35, s0
	s_and_b32 s0, s3, s4
	s_delay_alu instid0(VALU_DEP_1) | instskip(SKIP_1) | instid1(SALU_CYCLE_1)
	v_cmp_eq_u32_e32 vcc_lo, 0, v148
	s_and_b32 s0, s0, vcc_lo
	v_cndmask_b32_e64 v148, v148, 36, s0
	s_and_b32 s0, s5, s6
	s_delay_alu instid0(VALU_DEP_1) | instskip(SKIP_3) | instid1(VALU_DEP_1)
	v_cmp_eq_u32_e32 vcc_lo, 0, v148
	s_and_b32 s0, s0, vcc_lo
	v_cmp_eq_u32_e32 vcc_lo, 0, v190
	v_cndmask_b32_e64 v148, v148, 37, s0
	v_cmp_ne_u32_e64 s0, 0, v148
	s_delay_alu instid0(VALU_DEP_1) | instskip(NEXT) | instid1(SALU_CYCLE_1)
	s_and_b32 s0, vcc_lo, s0
	s_and_b32 exec_lo, exec_lo, s0
	s_cbranch_execz .LBB73_337
; %bb.336:
	v_add_nc_u32_e32 v148, s11, v148
	global_store_b32 v[188:189], v148, off
.LBB73_337:
	s_or_b32 exec_lo, exec_lo, s12
	scratch_load_b64 v[148:149], off, off offset:40 ; 8-byte Folded Reload
	s_waitcnt vmcnt(0)
	global_store_b128 v[148:149], v[144:147], off
	scratch_load_b64 v[144:145], off, off offset:48 ; 8-byte Folded Reload
	s_waitcnt vmcnt(0)
	global_store_b128 v[144:145], v[140:143], off
	;; [unrolled: 3-line block ×6, first 2 shown]
	scratch_load_b64 v[124:125], off, off   ; 8-byte Folded Reload
	s_waitcnt vmcnt(0)
	s_clause 0x1e
	global_store_b128 v[124:125], v[120:123], off
	global_store_b128 v[193:194], v[116:119], off
	;; [unrolled: 1-line block ×31, first 2 shown]
.LBB73_338:
	s_nop 0
	s_sendmsg sendmsg(MSG_DEALLOC_VGPRS)
	s_endpgm
	.section	.rodata,"a",@progbits
	.p2align	6, 0x0
	.amdhsa_kernel _ZN9rocsolver6v33100L23getf2_npvt_small_kernelILi37E19rocblas_complex_numIdEiiPKPS3_EEvT1_T3_lS7_lPT2_S7_S7_
		.amdhsa_group_segment_fixed_size 0
		.amdhsa_private_segment_fixed_size 508
		.amdhsa_kernarg_size 312
		.amdhsa_user_sgpr_count 14
		.amdhsa_user_sgpr_dispatch_ptr 0
		.amdhsa_user_sgpr_queue_ptr 0
		.amdhsa_user_sgpr_kernarg_segment_ptr 1
		.amdhsa_user_sgpr_dispatch_id 0
		.amdhsa_user_sgpr_private_segment_size 0
		.amdhsa_wavefront_size32 1
		.amdhsa_uses_dynamic_stack 0
		.amdhsa_enable_private_segment 1
		.amdhsa_system_sgpr_workgroup_id_x 1
		.amdhsa_system_sgpr_workgroup_id_y 1
		.amdhsa_system_sgpr_workgroup_id_z 0
		.amdhsa_system_sgpr_workgroup_info 0
		.amdhsa_system_vgpr_workitem_id 1
		.amdhsa_next_free_vgpr 256
		.amdhsa_next_free_sgpr 16
		.amdhsa_reserve_vcc 1
		.amdhsa_float_round_mode_32 0
		.amdhsa_float_round_mode_16_64 0
		.amdhsa_float_denorm_mode_32 3
		.amdhsa_float_denorm_mode_16_64 3
		.amdhsa_dx10_clamp 1
		.amdhsa_ieee_mode 1
		.amdhsa_fp16_overflow 0
		.amdhsa_workgroup_processor_mode 1
		.amdhsa_memory_ordered 1
		.amdhsa_forward_progress 0
		.amdhsa_shared_vgpr_count 0
		.amdhsa_exception_fp_ieee_invalid_op 0
		.amdhsa_exception_fp_denorm_src 0
		.amdhsa_exception_fp_ieee_div_zero 0
		.amdhsa_exception_fp_ieee_overflow 0
		.amdhsa_exception_fp_ieee_underflow 0
		.amdhsa_exception_fp_ieee_inexact 0
		.amdhsa_exception_int_div_zero 0
	.end_amdhsa_kernel
	.section	.text._ZN9rocsolver6v33100L23getf2_npvt_small_kernelILi37E19rocblas_complex_numIdEiiPKPS3_EEvT1_T3_lS7_lPT2_S7_S7_,"axG",@progbits,_ZN9rocsolver6v33100L23getf2_npvt_small_kernelILi37E19rocblas_complex_numIdEiiPKPS3_EEvT1_T3_lS7_lPT2_S7_S7_,comdat
.Lfunc_end73:
	.size	_ZN9rocsolver6v33100L23getf2_npvt_small_kernelILi37E19rocblas_complex_numIdEiiPKPS3_EEvT1_T3_lS7_lPT2_S7_S7_, .Lfunc_end73-_ZN9rocsolver6v33100L23getf2_npvt_small_kernelILi37E19rocblas_complex_numIdEiiPKPS3_EEvT1_T3_lS7_lPT2_S7_S7_
                                        ; -- End function
	.section	.AMDGPU.csdata,"",@progbits
; Kernel info:
; codeLenInByte = 83268
; NumSgprs: 18
; NumVgprs: 256
; ScratchSize: 508
; MemoryBound: 1
; FloatMode: 240
; IeeeMode: 1
; LDSByteSize: 0 bytes/workgroup (compile time only)
; SGPRBlocks: 2
; VGPRBlocks: 31
; NumSGPRsForWavesPerEU: 18
; NumVGPRsForWavesPerEU: 256
; Occupancy: 5
; WaveLimiterHint : 1
; COMPUTE_PGM_RSRC2:SCRATCH_EN: 1
; COMPUTE_PGM_RSRC2:USER_SGPR: 14
; COMPUTE_PGM_RSRC2:TRAP_HANDLER: 0
; COMPUTE_PGM_RSRC2:TGID_X_EN: 1
; COMPUTE_PGM_RSRC2:TGID_Y_EN: 1
; COMPUTE_PGM_RSRC2:TGID_Z_EN: 0
; COMPUTE_PGM_RSRC2:TIDIG_COMP_CNT: 1
	.section	.text._ZN9rocsolver6v33100L18getf2_small_kernelILi38E19rocblas_complex_numIdEiiPKPS3_EEvT1_T3_lS7_lPS7_llPT2_S7_S7_S9_l,"axG",@progbits,_ZN9rocsolver6v33100L18getf2_small_kernelILi38E19rocblas_complex_numIdEiiPKPS3_EEvT1_T3_lS7_lPS7_llPT2_S7_S7_S9_l,comdat
	.globl	_ZN9rocsolver6v33100L18getf2_small_kernelILi38E19rocblas_complex_numIdEiiPKPS3_EEvT1_T3_lS7_lPS7_llPT2_S7_S7_S9_l ; -- Begin function _ZN9rocsolver6v33100L18getf2_small_kernelILi38E19rocblas_complex_numIdEiiPKPS3_EEvT1_T3_lS7_lPS7_llPT2_S7_S7_S9_l
	.p2align	8
	.type	_ZN9rocsolver6v33100L18getf2_small_kernelILi38E19rocblas_complex_numIdEiiPKPS3_EEvT1_T3_lS7_lPS7_llPT2_S7_S7_S9_l,@function
_ZN9rocsolver6v33100L18getf2_small_kernelILi38E19rocblas_complex_numIdEiiPKPS3_EEvT1_T3_lS7_lPS7_llPT2_S7_S7_S9_l: ; @_ZN9rocsolver6v33100L18getf2_small_kernelILi38E19rocblas_complex_numIdEiiPKPS3_EEvT1_T3_lS7_lPS7_llPT2_S7_S7_S9_l
; %bb.0:
	s_clause 0x1
	s_load_b32 s2, s[0:1], 0x6c
	s_load_b64 s[12:13], s[0:1], 0x48
	v_bfe_u32 v152, v0, 10, 10
	s_waitcnt lgkmcnt(0)
	s_lshr_b32 s2, s2, 16
	s_delay_alu instid0(VALU_DEP_1) | instid1(SALU_CYCLE_1)
	v_mad_u64_u32 v[156:157], null, s15, s2, v[152:153]
	s_mov_b32 s2, exec_lo
	s_delay_alu instid0(VALU_DEP_1)
	v_cmpx_gt_i32_e64 s12, v156
	s_cbranch_execz .LBB74_801
; %bb.1:
	s_clause 0x1
	s_load_b128 s[4:7], s[0:1], 0x8
	s_load_b128 s[8:11], s[0:1], 0x50
	v_ashrrev_i32_e32 v157, 31, v156
	v_mov_b32_e32 v158, 0
	v_mov_b32_e32 v159, 0
	s_delay_alu instid0(VALU_DEP_3) | instskip(SKIP_1) | instid1(VALU_DEP_1)
	v_lshlrev_b64 v[1:2], 3, v[156:157]
	s_waitcnt lgkmcnt(0)
	v_add_co_u32 v1, vcc_lo, s4, v1
	s_delay_alu instid0(VALU_DEP_2)
	v_add_co_ci_u32_e32 v2, vcc_lo, s5, v2, vcc_lo
	s_cmp_eq_u64 s[8:9], 0
	s_cselect_b32 s4, -1, 0
	global_load_b64 v[1:2], v[1:2], off
	s_and_b32 vcc_lo, exec_lo, s4
	s_cbranch_vccnz .LBB74_3
; %bb.2:
	v_mul_lo_u32 v5, v157, s10
	v_mul_lo_u32 v6, v156, s11
	v_mad_u64_u32 v[3:4], null, v156, s10, 0
	s_delay_alu instid0(VALU_DEP_1) | instskip(NEXT) | instid1(VALU_DEP_1)
	v_add3_u32 v4, v4, v6, v5
	v_lshlrev_b64 v[3:4], 2, v[3:4]
	s_delay_alu instid0(VALU_DEP_1) | instskip(NEXT) | instid1(VALU_DEP_2)
	v_add_co_u32 v158, vcc_lo, s8, v3
	v_add_co_ci_u32_e32 v159, vcc_lo, s9, v4, vcc_lo
.LBB74_3:
	s_clause 0x1
	s_load_b32 s8, s[0:1], 0x18
	s_load_b32 s5, s[0:1], 0x0
	v_and_b32_e32 v167, 0x3ff, v0
	s_lshl_b64 s[2:3], s[6:7], 4
	s_waitcnt vmcnt(0)
	v_add_co_u32 v163, vcc_lo, v1, s2
	s_delay_alu instid0(VALU_DEP_2) | instskip(SKIP_1) | instid1(VALU_DEP_2)
	v_lshlrev_b32_e32 v153, 4, v167
	v_add_co_ci_u32_e32 v164, vcc_lo, s3, v2, vcc_lo
	v_add_co_u32 v2, vcc_lo, v163, v153
	s_delay_alu instid0(VALU_DEP_2)
	v_add_co_ci_u32_e32 v3, vcc_lo, 0, v164, vcc_lo
	s_waitcnt lgkmcnt(0)
	v_add3_u32 v0, s8, s8, v167
	s_ashr_i32 s9, s8, 31
	s_max_i32 s2, s5, 38
	s_lshl_b64 s[10:11], s[8:9], 4
	s_cmp_lt_i32 s5, 2
	v_add_nc_u32_e32 v4, s8, v0
	v_add_co_u32 v6, vcc_lo, v2, s10
	v_ashrrev_i32_e32 v1, 31, v0
	v_add_co_ci_u32_e32 v7, vcc_lo, s11, v3, vcc_lo
	s_delay_alu instid0(VALU_DEP_4) | instskip(SKIP_1) | instid1(VALU_DEP_4)
	v_ashrrev_i32_e32 v5, 31, v4
	v_add_nc_u32_e32 v8, s8, v4
	v_lshlrev_b64 v[0:1], 4, v[0:1]
	s_clause 0x1
	global_load_b128 v[52:55], v[2:3], off
	global_load_b128 v[48:51], v[6:7], off
	v_lshlrev_b64 v[2:3], 4, v[4:5]
	v_ashrrev_i32_e32 v9, 31, v8
	v_add_nc_u32_e32 v4, s8, v8
	v_add_co_u32 v0, vcc_lo, v163, v0
	v_add_co_ci_u32_e32 v1, vcc_lo, v164, v1, vcc_lo
	s_delay_alu instid0(VALU_DEP_4) | instskip(NEXT) | instid1(VALU_DEP_4)
	v_lshlrev_b64 v[6:7], 4, v[8:9]
	v_add_nc_u32_e32 v8, s8, v4
	v_add_co_u32 v2, vcc_lo, v163, v2
	v_add_co_ci_u32_e32 v3, vcc_lo, v164, v3, vcc_lo
	s_delay_alu instid0(VALU_DEP_3)
	v_add_nc_u32_e32 v10, s8, v8
	v_ashrrev_i32_e32 v9, 31, v8
	s_clause 0x1
	global_load_b128 v[120:123], v[0:1], off
	global_load_b128 v[116:119], v[2:3], off
	v_add_co_u32 v0, vcc_lo, v163, v6
	v_ashrrev_i32_e32 v11, 31, v10
	v_add_nc_u32_e32 v6, s8, v10
	v_lshlrev_b64 v[2:3], 4, v[8:9]
	v_ashrrev_i32_e32 v5, 31, v4
	v_add_co_ci_u32_e32 v1, vcc_lo, v164, v7, vcc_lo
	v_lshlrev_b64 v[8:9], 4, v[10:11]
	v_add_nc_u32_e32 v10, s8, v6
	s_delay_alu instid0(VALU_DEP_4) | instskip(SKIP_1) | instid1(VALU_DEP_3)
	v_lshlrev_b64 v[4:5], 4, v[4:5]
	v_ashrrev_i32_e32 v7, 31, v6
	v_add_nc_u32_e32 v12, s8, v10
	v_ashrrev_i32_e32 v11, 31, v10
	s_delay_alu instid0(VALU_DEP_4) | instskip(SKIP_1) | instid1(VALU_DEP_4)
	v_add_co_u32 v4, vcc_lo, v163, v4
	v_add_co_ci_u32_e32 v5, vcc_lo, v164, v5, vcc_lo
	v_add_nc_u32_e32 v14, s8, v12
	v_add_co_u32 v2, vcc_lo, v163, v2
	v_lshlrev_b64 v[6:7], 4, v[6:7]
	v_ashrrev_i32_e32 v13, 31, v12
	s_delay_alu instid0(VALU_DEP_4) | instskip(SKIP_2) | instid1(VALU_DEP_3)
	v_add_nc_u32_e32 v16, s8, v14
	v_add_co_ci_u32_e32 v3, vcc_lo, v164, v3, vcc_lo
	v_add_co_u32 v8, vcc_lo, v163, v8
	v_add_nc_u32_e32 v18, s8, v16
	v_lshlrev_b64 v[10:11], 4, v[10:11]
	v_ashrrev_i32_e32 v15, 31, v14
	v_add_co_ci_u32_e32 v9, vcc_lo, v164, v9, vcc_lo
	s_delay_alu instid0(VALU_DEP_4) | instskip(SKIP_3) | instid1(VALU_DEP_4)
	v_add_nc_u32_e32 v20, s8, v18
	v_add_co_u32 v6, vcc_lo, v163, v6
	v_lshlrev_b64 v[12:13], 4, v[12:13]
	v_ashrrev_i32_e32 v17, 31, v16
	v_add_nc_u32_e32 v22, s8, v20
	v_add_co_ci_u32_e32 v7, vcc_lo, v164, v7, vcc_lo
	v_add_co_u32 v10, vcc_lo, v163, v10
	s_delay_alu instid0(VALU_DEP_3) | instskip(SKIP_3) | instid1(VALU_DEP_4)
	v_add_nc_u32_e32 v24, s8, v22
	v_lshlrev_b64 v[14:15], 4, v[14:15]
	v_ashrrev_i32_e32 v19, 31, v18
	v_add_co_ci_u32_e32 v11, vcc_lo, v164, v11, vcc_lo
	v_add_nc_u32_e32 v26, s8, v24
	v_add_co_u32 v12, vcc_lo, v163, v12
	v_lshlrev_b64 v[16:17], 4, v[16:17]
	v_ashrrev_i32_e32 v21, 31, v20
	s_delay_alu instid0(VALU_DEP_4) | instskip(SKIP_2) | instid1(VALU_DEP_3)
	v_add_nc_u32_e32 v28, s8, v26
	v_add_co_ci_u32_e32 v13, vcc_lo, v164, v13, vcc_lo
	v_add_co_u32 v14, vcc_lo, v163, v14
	v_add_nc_u32_e32 v30, s8, v28
	v_lshlrev_b64 v[18:19], 4, v[18:19]
	v_ashrrev_i32_e32 v23, 31, v22
	v_add_co_ci_u32_e32 v15, vcc_lo, v164, v15, vcc_lo
	s_delay_alu instid0(VALU_DEP_4) | instskip(SKIP_3) | instid1(VALU_DEP_4)
	v_add_nc_u32_e32 v32, s8, v30
	v_add_co_u32 v16, vcc_lo, v163, v16
	v_lshlrev_b64 v[20:21], 4, v[20:21]
	v_ashrrev_i32_e32 v25, 31, v24
	v_add_nc_u32_e32 v34, s8, v32
	v_add_co_ci_u32_e32 v17, vcc_lo, v164, v17, vcc_lo
	v_add_co_u32 v18, vcc_lo, v163, v18
	s_delay_alu instid0(VALU_DEP_3)
	v_add_nc_u32_e32 v36, s8, v34
	v_lshlrev_b64 v[22:23], 4, v[22:23]
	v_ashrrev_i32_e32 v27, 31, v26
	v_add_co_ci_u32_e32 v19, vcc_lo, v164, v19, vcc_lo
	v_add_co_u32 v20, vcc_lo, v163, v20
	v_lshlrev_b64 v[24:25], 4, v[24:25]
	v_ashrrev_i32_e32 v29, 31, v28
	v_add_nc_u32_e32 v38, s8, v36
	v_add_co_ci_u32_e32 v21, vcc_lo, v164, v21, vcc_lo
	v_add_co_u32 v22, vcc_lo, v163, v22
	v_lshlrev_b64 v[26:27], 4, v[26:27]
	v_ashrrev_i32_e32 v31, 31, v30
	v_add_co_ci_u32_e32 v23, vcc_lo, v164, v23, vcc_lo
	v_add_co_u32 v24, vcc_lo, v163, v24
	v_lshlrev_b64 v[28:29], 4, v[28:29]
	v_add_nc_u32_e32 v40, s8, v38
	v_ashrrev_i32_e32 v33, 31, v32
	v_add_co_ci_u32_e32 v25, vcc_lo, v164, v25, vcc_lo
	v_add_co_u32 v26, vcc_lo, v163, v26
	v_lshlrev_b64 v[30:31], 4, v[30:31]
	v_ashrrev_i32_e32 v35, 31, v34
	v_add_co_ci_u32_e32 v27, vcc_lo, v164, v27, vcc_lo
	v_add_nc_u32_e32 v42, s8, v40
	v_add_co_u32 v28, vcc_lo, v163, v28
	v_lshlrev_b64 v[32:33], 4, v[32:33]
	v_ashrrev_i32_e32 v37, 31, v36
	v_add_co_ci_u32_e32 v29, vcc_lo, v164, v29, vcc_lo
	v_add_co_u32 v30, vcc_lo, v163, v30
	v_lshlrev_b64 v[34:35], 4, v[34:35]
	v_ashrrev_i32_e32 v39, 31, v38
	v_add_nc_u32_e32 v44, s8, v42
	v_add_co_ci_u32_e32 v31, vcc_lo, v164, v31, vcc_lo
	v_add_co_u32 v32, vcc_lo, v163, v32
	v_lshlrev_b64 v[36:37], 4, v[36:37]
	v_ashrrev_i32_e32 v41, 31, v40
	v_add_co_ci_u32_e32 v33, vcc_lo, v164, v33, vcc_lo
	v_add_co_u32 v34, vcc_lo, v163, v34
	v_lshlrev_b64 v[38:39], 4, v[38:39]
	v_add_nc_u32_e32 v46, s8, v44
	v_ashrrev_i32_e32 v43, 31, v42
	v_add_co_ci_u32_e32 v35, vcc_lo, v164, v35, vcc_lo
	v_add_co_u32 v36, vcc_lo, v163, v36
	v_lshlrev_b64 v[40:41], 4, v[40:41]
	v_ashrrev_i32_e32 v45, 31, v44
	v_add_co_ci_u32_e32 v37, vcc_lo, v164, v37, vcc_lo
	v_add_nc_u32_e32 v56, s8, v46
	v_add_co_u32 v38, vcc_lo, v163, v38
	v_lshlrev_b64 v[42:43], 4, v[42:43]
	v_ashrrev_i32_e32 v47, 31, v46
	v_add_co_ci_u32_e32 v39, vcc_lo, v164, v39, vcc_lo
	v_add_co_u32 v40, vcc_lo, v163, v40
	v_lshlrev_b64 v[44:45], 4, v[44:45]
	v_add_nc_u32_e32 v58, s8, v56
	v_add_co_ci_u32_e32 v41, vcc_lo, v164, v41, vcc_lo
	v_add_co_u32 v42, vcc_lo, v163, v42
	v_lshlrev_b64 v[46:47], 4, v[46:47]
	v_ashrrev_i32_e32 v57, 31, v56
	v_add_co_ci_u32_e32 v43, vcc_lo, v164, v43, vcc_lo
	v_add_co_u32 v44, vcc_lo, v163, v44
	v_ashrrev_i32_e32 v59, 31, v58
	v_add_nc_u32_e32 v60, s8, v58
	v_add_co_ci_u32_e32 v45, vcc_lo, v164, v45, vcc_lo
	v_lshlrev_b64 v[56:57], 4, v[56:57]
	v_add_co_u32 v154, vcc_lo, v163, v46
	v_add_co_ci_u32_e32 v155, vcc_lo, v164, v47, vcc_lo
	v_lshlrev_b64 v[46:47], 4, v[58:59]
	v_ashrrev_i32_e32 v61, 31, v60
	v_add_nc_u32_e32 v58, s8, v60
	v_add_co_u32 v160, vcc_lo, v163, v56
	v_add_co_ci_u32_e32 v161, vcc_lo, v164, v57, vcc_lo
	s_delay_alu instid0(VALU_DEP_4) | instskip(NEXT) | instid1(VALU_DEP_4)
	v_lshlrev_b64 v[56:57], 4, v[60:61]
	v_ashrrev_i32_e32 v59, 31, v58
	v_add_nc_u32_e32 v60, s8, v58
	v_add_co_u32 v165, vcc_lo, v163, v46
	v_add_co_ci_u32_e32 v166, vcc_lo, v164, v47, vcc_lo
	s_delay_alu instid0(VALU_DEP_4) | instskip(NEXT) | instid1(VALU_DEP_4)
	;; [unrolled: 6-line block ×6, first 2 shown]
	v_lshlrev_b64 v[46:47], 4, v[58:59]
	v_add_nc_u32_e32 v58, s8, v60
	v_ashrrev_i32_e32 v61, 31, v60
	v_add_co_u32 v176, vcc_lo, v163, v56
	v_add_co_ci_u32_e32 v177, vcc_lo, v164, v57, vcc_lo
	s_delay_alu instid0(VALU_DEP_4) | instskip(NEXT) | instid1(VALU_DEP_4)
	v_ashrrev_i32_e32 v59, 31, v58
	v_lshlrev_b64 v[56:57], 4, v[60:61]
	v_add_co_u32 v178, vcc_lo, v163, v46
	v_add_co_ci_u32_e32 v179, vcc_lo, v164, v47, vcc_lo
	s_delay_alu instid0(VALU_DEP_4) | instskip(NEXT) | instid1(VALU_DEP_4)
	v_lshlrev_b64 v[46:47], 4, v[58:59]
	v_add_co_u32 v180, vcc_lo, v163, v56
	v_add_co_ci_u32_e32 v181, vcc_lo, v164, v57, vcc_lo
	s_delay_alu instid0(VALU_DEP_3) | instskip(NEXT) | instid1(VALU_DEP_4)
	v_add_co_u32 v182, vcc_lo, v163, v46
	v_add_co_ci_u32_e32 v183, vcc_lo, v164, v47, vcc_lo
	s_clause 0x1f
	global_load_b128 v[148:151], v[0:1], off
	global_load_b128 v[144:147], v[4:5], off
	;; [unrolled: 1-line block ×32, first 2 shown]
	s_clause 0x1
	global_load_b128 v[4:7], v[180:181], off
	global_load_b128 v[0:3], v[182:183], off
	v_mul_lo_u32 v160, s2, v152
	s_delay_alu instid0(VALU_DEP_1) | instskip(SKIP_2) | instid1(VALU_DEP_3)
	v_lshl_add_u32 v162, v160, 4, 0
	v_lshlrev_b32_e32 v166, 4, v160
	v_mov_b32_e32 v160, 0
	v_add_nc_u32_e32 v152, v162, v153
	s_waitcnt vmcnt(37)
	ds_store_2addr_b64 v152, v[52:53], v[54:55] offset1:1
	s_waitcnt vmcnt(0) lgkmcnt(0)
	s_barrier
	buffer_gl0_inv
	ds_load_2addr_b64 v[152:155], v162 offset1:1
	s_cbranch_scc1 .LBB74_6
; %bb.4:
	v_add3_u32 v161, v166, 0, 16
	v_mov_b32_e32 v160, 0
	s_mov_b32 s6, 1
	s_set_inst_prefetch_distance 0x1
	.p2align	6
.LBB74_5:                               ; =>This Inner Loop Header: Depth=1
	ds_load_2addr_b64 v[168:171], v161 offset1:1
	s_waitcnt lgkmcnt(1)
	v_cmp_gt_f64_e32 vcc_lo, 0, v[152:153]
	v_xor_b32_e32 v165, 0x80000000, v153
	v_cmp_gt_f64_e64 s2, 0, v[154:155]
	v_xor_b32_e32 v172, 0x80000000, v155
	v_add_nc_u32_e32 v161, 16, v161
	s_waitcnt lgkmcnt(0)
	v_cmp_gt_f64_e64 s3, 0, v[168:169]
	v_mov_b32_e32 v176, v168
	v_dual_mov_b32 v178, v170 :: v_dual_cndmask_b32 v173, v153, v165
	v_xor_b32_e32 v165, 0x80000000, v169
	v_cndmask_b32_e64 v175, v155, v172, s2
	v_xor_b32_e32 v172, 0x80000000, v171
	v_cndmask_b32_e64 v174, v154, v154, s2
	s_delay_alu instid0(VALU_DEP_4) | instskip(SKIP_1) | instid1(VALU_DEP_1)
	v_cndmask_b32_e64 v177, v169, v165, s3
	v_cmp_gt_f64_e64 s3, 0, v[170:171]
	v_cndmask_b32_e64 v179, v171, v172, s3
	v_cndmask_b32_e32 v172, v152, v152, vcc_lo
	s_delay_alu instid0(VALU_DEP_2) | instskip(NEXT) | instid1(VALU_DEP_2)
	v_add_f64 v[176:177], v[176:177], v[178:179]
	v_add_f64 v[172:173], v[172:173], v[174:175]
	s_delay_alu instid0(VALU_DEP_1)
	v_cmp_lt_f64_e32 vcc_lo, v[172:173], v[176:177]
	v_cndmask_b32_e32 v155, v155, v171, vcc_lo
	v_dual_cndmask_b32 v153, v153, v169 :: v_dual_cndmask_b32 v152, v152, v168
	v_cndmask_b32_e32 v154, v154, v170, vcc_lo
	v_cndmask_b32_e64 v160, v160, s6, vcc_lo
	s_add_i32 s6, s6, 1
	s_delay_alu instid0(SALU_CYCLE_1)
	s_cmp_eq_u32 s5, s6
	s_cbranch_scc0 .LBB74_5
.LBB74_6:
	s_set_inst_prefetch_distance 0x2
	s_waitcnt lgkmcnt(0)
	v_cmp_neq_f64_e32 vcc_lo, 0, v[152:153]
	v_cmp_neq_f64_e64 s2, 0, v[154:155]
	v_mov_b32_e32 v165, 1
	v_mov_b32_e32 v169, 1
	s_delay_alu instid0(VALU_DEP_3) | instskip(NEXT) | instid1(SALU_CYCLE_1)
	s_or_b32 s2, vcc_lo, s2
	s_and_saveexec_b32 s3, s2
	s_cbranch_execz .LBB74_12
; %bb.7:
	v_cmp_gt_f64_e32 vcc_lo, 0, v[152:153]
	v_cmp_gt_f64_e64 s2, 0, v[154:155]
	v_xor_b32_e32 v161, 0x80000000, v153
	v_xor_b32_e32 v165, 0x80000000, v155
                                        ; implicit-def: $sgpr6
                                        ; implicit-def: $sgpr7
	s_delay_alu instid0(VALU_DEP_2) | instskip(NEXT) | instid1(VALU_DEP_2)
	v_dual_cndmask_b32 v169, v153, v161 :: v_dual_cndmask_b32 v168, v152, v152
	v_cndmask_b32_e64 v171, v155, v165, s2
	v_cndmask_b32_e64 v170, v154, v154, s2
	s_mov_b32 s2, exec_lo
	s_delay_alu instid0(VALU_DEP_1)
	v_cmpx_ngt_f64_e32 v[168:169], v[170:171]
	s_xor_b32 s2, exec_lo, s2
	s_cbranch_execz .LBB74_9
; %bb.8:
	v_div_scale_f64 v[168:169], null, v[154:155], v[154:155], v[152:153]
	v_div_scale_f64 v[174:175], vcc_lo, v[152:153], v[154:155], v[152:153]
	s_mov_b32 s7, 2
	s_mov_b32 s6, 0
	s_delay_alu instid0(VALU_DEP_2) | instskip(SKIP_2) | instid1(VALU_DEP_1)
	v_rcp_f64_e32 v[170:171], v[168:169]
	s_waitcnt_depctr 0xfff
	v_fma_f64 v[172:173], -v[168:169], v[170:171], 1.0
	v_fma_f64 v[170:171], v[170:171], v[172:173], v[170:171]
	s_delay_alu instid0(VALU_DEP_1) | instskip(NEXT) | instid1(VALU_DEP_1)
	v_fma_f64 v[172:173], -v[168:169], v[170:171], 1.0
	v_fma_f64 v[170:171], v[170:171], v[172:173], v[170:171]
	s_delay_alu instid0(VALU_DEP_1) | instskip(NEXT) | instid1(VALU_DEP_1)
	v_mul_f64 v[172:173], v[174:175], v[170:171]
	v_fma_f64 v[168:169], -v[168:169], v[172:173], v[174:175]
	s_delay_alu instid0(VALU_DEP_1) | instskip(NEXT) | instid1(VALU_DEP_1)
	v_div_fmas_f64 v[168:169], v[168:169], v[170:171], v[172:173]
	v_div_fixup_f64 v[168:169], v[168:169], v[154:155], v[152:153]
	s_delay_alu instid0(VALU_DEP_1) | instskip(NEXT) | instid1(VALU_DEP_1)
	v_fma_f64 v[152:153], v[152:153], v[168:169], v[154:155]
	v_div_scale_f64 v[154:155], null, v[152:153], v[152:153], 1.0
	s_delay_alu instid0(VALU_DEP_1) | instskip(SKIP_2) | instid1(VALU_DEP_1)
	v_rcp_f64_e32 v[170:171], v[154:155]
	s_waitcnt_depctr 0xfff
	v_fma_f64 v[172:173], -v[154:155], v[170:171], 1.0
	v_fma_f64 v[170:171], v[170:171], v[172:173], v[170:171]
	s_delay_alu instid0(VALU_DEP_1) | instskip(NEXT) | instid1(VALU_DEP_1)
	v_fma_f64 v[172:173], -v[154:155], v[170:171], 1.0
	v_fma_f64 v[170:171], v[170:171], v[172:173], v[170:171]
	v_div_scale_f64 v[172:173], vcc_lo, 1.0, v[152:153], 1.0
	s_delay_alu instid0(VALU_DEP_1) | instskip(NEXT) | instid1(VALU_DEP_1)
	v_mul_f64 v[174:175], v[172:173], v[170:171]
	v_fma_f64 v[154:155], -v[154:155], v[174:175], v[172:173]
	s_delay_alu instid0(VALU_DEP_1) | instskip(NEXT) | instid1(VALU_DEP_1)
	v_div_fmas_f64 v[154:155], v[154:155], v[170:171], v[174:175]
	v_div_fixup_f64 v[154:155], v[154:155], v[152:153], 1.0
	s_delay_alu instid0(VALU_DEP_1)
	v_mul_f64 v[152:153], v[168:169], v[154:155]
	v_xor_b32_e32 v155, 0x80000000, v155
.LBB74_9:
	s_or_saveexec_b32 s2, s2
	v_mov_b32_e32 v169, s6
	v_mov_b32_e32 v165, s7
	s_xor_b32 exec_lo, exec_lo, s2
	s_cbranch_execz .LBB74_11
; %bb.10:
	s_delay_alu instid0(VALU_DEP_4) | instskip(SKIP_2) | instid1(VALU_DEP_3)
	v_div_scale_f64 v[168:169], null, v[152:153], v[152:153], v[154:155]
	v_div_scale_f64 v[174:175], vcc_lo, v[154:155], v[152:153], v[154:155]
	v_mov_b32_e32 v165, 2
	v_rcp_f64_e32 v[170:171], v[168:169]
	s_waitcnt_depctr 0xfff
	v_fma_f64 v[172:173], -v[168:169], v[170:171], 1.0
	s_delay_alu instid0(VALU_DEP_1) | instskip(NEXT) | instid1(VALU_DEP_1)
	v_fma_f64 v[170:171], v[170:171], v[172:173], v[170:171]
	v_fma_f64 v[172:173], -v[168:169], v[170:171], 1.0
	s_delay_alu instid0(VALU_DEP_1) | instskip(NEXT) | instid1(VALU_DEP_1)
	v_fma_f64 v[170:171], v[170:171], v[172:173], v[170:171]
	v_mul_f64 v[172:173], v[174:175], v[170:171]
	s_delay_alu instid0(VALU_DEP_1) | instskip(NEXT) | instid1(VALU_DEP_1)
	v_fma_f64 v[168:169], -v[168:169], v[172:173], v[174:175]
	v_div_fmas_f64 v[168:169], v[168:169], v[170:171], v[172:173]
	s_delay_alu instid0(VALU_DEP_1) | instskip(NEXT) | instid1(VALU_DEP_1)
	v_div_fixup_f64 v[168:169], v[168:169], v[152:153], v[154:155]
	v_fma_f64 v[152:153], v[154:155], v[168:169], v[152:153]
	s_delay_alu instid0(VALU_DEP_1) | instskip(NEXT) | instid1(VALU_DEP_1)
	v_div_scale_f64 v[154:155], null, v[152:153], v[152:153], 1.0
	v_rcp_f64_e32 v[170:171], v[154:155]
	s_waitcnt_depctr 0xfff
	v_fma_f64 v[172:173], -v[154:155], v[170:171], 1.0
	s_delay_alu instid0(VALU_DEP_1) | instskip(NEXT) | instid1(VALU_DEP_1)
	v_fma_f64 v[170:171], v[170:171], v[172:173], v[170:171]
	v_fma_f64 v[172:173], -v[154:155], v[170:171], 1.0
	s_delay_alu instid0(VALU_DEP_1) | instskip(SKIP_1) | instid1(VALU_DEP_1)
	v_fma_f64 v[170:171], v[170:171], v[172:173], v[170:171]
	v_div_scale_f64 v[172:173], vcc_lo, 1.0, v[152:153], 1.0
	v_mul_f64 v[174:175], v[172:173], v[170:171]
	s_delay_alu instid0(VALU_DEP_1) | instskip(NEXT) | instid1(VALU_DEP_1)
	v_fma_f64 v[154:155], -v[154:155], v[174:175], v[172:173]
	v_div_fmas_f64 v[154:155], v[154:155], v[170:171], v[174:175]
	s_delay_alu instid0(VALU_DEP_1) | instskip(NEXT) | instid1(VALU_DEP_1)
	v_div_fixup_f64 v[152:153], v[154:155], v[152:153], 1.0
	v_mul_f64 v[154:155], v[168:169], -v[152:153]
	v_mov_b32_e32 v169, 0
.LBB74_11:
	s_or_b32 exec_lo, exec_lo, s2
.LBB74_12:
	s_delay_alu instid0(SALU_CYCLE_1) | instskip(NEXT) | instid1(SALU_CYCLE_1)
	s_or_b32 exec_lo, exec_lo, s3
	s_mov_b32 s2, exec_lo
	v_cmpx_ne_u32_e64 v167, v160
	s_xor_b32 s2, exec_lo, s2
	s_cbranch_execz .LBB74_18
; %bb.13:
	s_mov_b32 s3, exec_lo
	v_cmpx_eq_u32_e32 0, v167
	s_cbranch_execz .LBB74_17
; %bb.14:
	v_cmp_ne_u32_e32 vcc_lo, 0, v160
	s_xor_b32 s6, s4, -1
	s_delay_alu instid0(SALU_CYCLE_1) | instskip(NEXT) | instid1(SALU_CYCLE_1)
	s_and_b32 s7, s6, vcc_lo
	s_and_saveexec_b32 s6, s7
	s_cbranch_execz .LBB74_16
; %bb.15:
	v_ashrrev_i32_e32 v161, 31, v160
	s_delay_alu instid0(VALU_DEP_1) | instskip(NEXT) | instid1(VALU_DEP_1)
	v_lshlrev_b64 v[167:168], 2, v[160:161]
	v_add_co_u32 v167, vcc_lo, v158, v167
	s_delay_alu instid0(VALU_DEP_2)
	v_add_co_ci_u32_e32 v168, vcc_lo, v159, v168, vcc_lo
	s_clause 0x1
	flat_load_b32 v161, v[167:168]
	flat_load_b32 v170, v[158:159]
	s_waitcnt vmcnt(1) lgkmcnt(1)
	flat_store_b32 v[158:159], v161
	s_waitcnt vmcnt(0) lgkmcnt(1)
	flat_store_b32 v[167:168], v170
.LBB74_16:
	s_or_b32 exec_lo, exec_lo, s6
	v_mov_b32_e32 v167, v160
.LBB74_17:
	s_or_b32 exec_lo, exec_lo, s3
.LBB74_18:
	s_or_saveexec_b32 s2, s2
	s_delay_alu instid0(VALU_DEP_1)
	v_mov_b32_e32 v168, v167
	s_xor_b32 exec_lo, exec_lo, s2
	s_cbranch_execz .LBB74_20
; %bb.19:
	v_mov_b32_e32 v168, 0
	ds_store_2addr_b64 v162, v[48:49], v[50:51] offset0:2 offset1:3
	ds_store_2addr_b64 v162, v[120:121], v[122:123] offset0:4 offset1:5
	;; [unrolled: 1-line block ×37, first 2 shown]
.LBB74_20:
	s_or_b32 exec_lo, exec_lo, s2
	s_delay_alu instid0(SALU_CYCLE_1)
	s_mov_b32 s2, exec_lo
	s_waitcnt lgkmcnt(0)
	s_waitcnt_vscnt null, 0x0
	s_barrier
	buffer_gl0_inv
	v_cmpx_lt_i32_e32 0, v168
	s_cbranch_execz .LBB74_22
; %bb.21:
	v_mul_f64 v[160:161], v[154:155], v[54:55]
	v_mul_f64 v[54:55], v[152:153], v[54:55]
	s_delay_alu instid0(VALU_DEP_2) | instskip(NEXT) | instid1(VALU_DEP_2)
	v_fma_f64 v[160:161], v[152:153], v[52:53], -v[160:161]
	v_fma_f64 v[54:55], v[154:155], v[52:53], v[54:55]
	ds_load_2addr_b64 v[152:155], v162 offset0:2 offset1:3
	s_waitcnt lgkmcnt(0)
	v_mul_f64 v[52:53], v[154:155], v[54:55]
	s_delay_alu instid0(VALU_DEP_1) | instskip(SKIP_1) | instid1(VALU_DEP_2)
	v_fma_f64 v[52:53], v[152:153], v[160:161], -v[52:53]
	v_mul_f64 v[152:153], v[152:153], v[54:55]
	v_add_f64 v[48:49], v[48:49], -v[52:53]
	s_delay_alu instid0(VALU_DEP_2) | instskip(NEXT) | instid1(VALU_DEP_1)
	v_fma_f64 v[152:153], v[154:155], v[160:161], v[152:153]
	v_add_f64 v[50:51], v[50:51], -v[152:153]
	ds_load_2addr_b64 v[152:155], v162 offset0:4 offset1:5
	s_waitcnt lgkmcnt(0)
	v_mul_f64 v[52:53], v[154:155], v[54:55]
	s_delay_alu instid0(VALU_DEP_1) | instskip(SKIP_1) | instid1(VALU_DEP_2)
	v_fma_f64 v[52:53], v[152:153], v[160:161], -v[52:53]
	v_mul_f64 v[152:153], v[152:153], v[54:55]
	v_add_f64 v[120:121], v[120:121], -v[52:53]
	s_delay_alu instid0(VALU_DEP_2) | instskip(NEXT) | instid1(VALU_DEP_1)
	v_fma_f64 v[152:153], v[154:155], v[160:161], v[152:153]
	v_add_f64 v[122:123], v[122:123], -v[152:153]
	;; [unrolled: 10-line block ×36, first 2 shown]
	ds_load_2addr_b64 v[152:155], v162 offset0:74 offset1:75
	s_waitcnt lgkmcnt(0)
	v_mul_f64 v[52:53], v[154:155], v[54:55]
	s_delay_alu instid0(VALU_DEP_1) | instskip(SKIP_1) | instid1(VALU_DEP_2)
	v_fma_f64 v[52:53], v[152:153], v[160:161], -v[52:53]
	v_mul_f64 v[152:153], v[152:153], v[54:55]
	v_add_f64 v[0:1], v[0:1], -v[52:53]
	s_delay_alu instid0(VALU_DEP_2) | instskip(SKIP_1) | instid1(VALU_DEP_2)
	v_fma_f64 v[152:153], v[154:155], v[160:161], v[152:153]
	v_dual_mov_b32 v52, v160 :: v_dual_mov_b32 v53, v161
	v_add_f64 v[2:3], v[2:3], -v[152:153]
.LBB74_22:
	s_or_b32 exec_lo, exec_lo, s2
	v_lshl_add_u32 v152, v168, 4, v162
	s_barrier
	buffer_gl0_inv
	v_mov_b32_e32 v160, 1
	ds_store_2addr_b64 v152, v[48:49], v[50:51] offset1:1
	s_waitcnt lgkmcnt(0)
	s_barrier
	buffer_gl0_inv
	ds_load_2addr_b64 v[152:155], v162 offset0:2 offset1:3
	s_cmp_lt_i32 s5, 3
	s_cbranch_scc1 .LBB74_25
; %bb.23:
	v_add3_u32 v161, v166, 0, 32
	v_mov_b32_e32 v160, 1
	s_mov_b32 s6, 2
	s_set_inst_prefetch_distance 0x1
	.p2align	6
.LBB74_24:                              ; =>This Inner Loop Header: Depth=1
	ds_load_2addr_b64 v[170:173], v161 offset1:1
	s_waitcnt lgkmcnt(1)
	v_cmp_gt_f64_e32 vcc_lo, 0, v[152:153]
	v_xor_b32_e32 v174, 0x80000000, v153
	v_cmp_gt_f64_e64 s2, 0, v[154:155]
	v_xor_b32_e32 v176, 0x80000000, v155
	v_add_nc_u32_e32 v161, 16, v161
	s_waitcnt lgkmcnt(0)
	v_cmp_gt_f64_e64 s3, 0, v[170:171]
	v_mov_b32_e32 v178, v170
	v_dual_mov_b32 v180, v172 :: v_dual_cndmask_b32 v175, v153, v174
	v_xor_b32_e32 v174, 0x80000000, v171
	v_cndmask_b32_e64 v177, v155, v176, s2
	v_xor_b32_e32 v176, 0x80000000, v173
	s_delay_alu instid0(VALU_DEP_3) | instskip(SKIP_2) | instid1(VALU_DEP_2)
	v_cndmask_b32_e64 v179, v171, v174, s3
	v_cmp_gt_f64_e64 s3, 0, v[172:173]
	v_cndmask_b32_e32 v174, v152, v152, vcc_lo
	v_cndmask_b32_e64 v181, v173, v176, s3
	v_cndmask_b32_e64 v176, v154, v154, s2
	s_delay_alu instid0(VALU_DEP_2) | instskip(NEXT) | instid1(VALU_DEP_2)
	v_add_f64 v[178:179], v[178:179], v[180:181]
	v_add_f64 v[174:175], v[174:175], v[176:177]
	s_delay_alu instid0(VALU_DEP_1)
	v_cmp_lt_f64_e32 vcc_lo, v[174:175], v[178:179]
	v_cndmask_b32_e32 v155, v155, v173, vcc_lo
	v_dual_cndmask_b32 v153, v153, v171 :: v_dual_cndmask_b32 v152, v152, v170
	v_cndmask_b32_e32 v154, v154, v172, vcc_lo
	v_cndmask_b32_e64 v160, v160, s6, vcc_lo
	s_add_i32 s6, s6, 1
	s_delay_alu instid0(SALU_CYCLE_1)
	s_cmp_lg_u32 s5, s6
	s_cbranch_scc1 .LBB74_24
.LBB74_25:
	s_set_inst_prefetch_distance 0x2
	s_waitcnt lgkmcnt(0)
	v_cmp_neq_f64_e32 vcc_lo, 0, v[152:153]
	v_cmp_neq_f64_e64 s2, 0, v[154:155]
	s_delay_alu instid0(VALU_DEP_1) | instskip(NEXT) | instid1(SALU_CYCLE_1)
	s_or_b32 s2, vcc_lo, s2
	s_and_saveexec_b32 s3, s2
	s_cbranch_execz .LBB74_31
; %bb.26:
	v_cmp_gt_f64_e32 vcc_lo, 0, v[152:153]
	v_cmp_gt_f64_e64 s2, 0, v[154:155]
	v_xor_b32_e32 v161, 0x80000000, v153
	v_xor_b32_e32 v165, 0x80000000, v155
	s_delay_alu instid0(VALU_DEP_2) | instskip(NEXT) | instid1(VALU_DEP_2)
	v_dual_cndmask_b32 v171, v153, v161 :: v_dual_cndmask_b32 v170, v152, v152
	v_cndmask_b32_e64 v173, v155, v165, s2
	v_cndmask_b32_e64 v172, v154, v154, s2
	s_mov_b32 s2, exec_lo
	s_delay_alu instid0(VALU_DEP_1)
	v_cmpx_ngt_f64_e32 v[170:171], v[172:173]
	s_xor_b32 s2, exec_lo, s2
	s_cbranch_execz .LBB74_28
; %bb.27:
	v_div_scale_f64 v[170:171], null, v[154:155], v[154:155], v[152:153]
	v_div_scale_f64 v[176:177], vcc_lo, v[152:153], v[154:155], v[152:153]
	s_delay_alu instid0(VALU_DEP_2) | instskip(SKIP_2) | instid1(VALU_DEP_1)
	v_rcp_f64_e32 v[172:173], v[170:171]
	s_waitcnt_depctr 0xfff
	v_fma_f64 v[174:175], -v[170:171], v[172:173], 1.0
	v_fma_f64 v[172:173], v[172:173], v[174:175], v[172:173]
	s_delay_alu instid0(VALU_DEP_1) | instskip(NEXT) | instid1(VALU_DEP_1)
	v_fma_f64 v[174:175], -v[170:171], v[172:173], 1.0
	v_fma_f64 v[172:173], v[172:173], v[174:175], v[172:173]
	s_delay_alu instid0(VALU_DEP_1) | instskip(NEXT) | instid1(VALU_DEP_1)
	v_mul_f64 v[174:175], v[176:177], v[172:173]
	v_fma_f64 v[170:171], -v[170:171], v[174:175], v[176:177]
	s_delay_alu instid0(VALU_DEP_1) | instskip(NEXT) | instid1(VALU_DEP_1)
	v_div_fmas_f64 v[170:171], v[170:171], v[172:173], v[174:175]
	v_div_fixup_f64 v[170:171], v[170:171], v[154:155], v[152:153]
	s_delay_alu instid0(VALU_DEP_1) | instskip(NEXT) | instid1(VALU_DEP_1)
	v_fma_f64 v[152:153], v[152:153], v[170:171], v[154:155]
	v_div_scale_f64 v[154:155], null, v[152:153], v[152:153], 1.0
	s_delay_alu instid0(VALU_DEP_1) | instskip(SKIP_2) | instid1(VALU_DEP_1)
	v_rcp_f64_e32 v[172:173], v[154:155]
	s_waitcnt_depctr 0xfff
	v_fma_f64 v[174:175], -v[154:155], v[172:173], 1.0
	v_fma_f64 v[172:173], v[172:173], v[174:175], v[172:173]
	s_delay_alu instid0(VALU_DEP_1) | instskip(NEXT) | instid1(VALU_DEP_1)
	v_fma_f64 v[174:175], -v[154:155], v[172:173], 1.0
	v_fma_f64 v[172:173], v[172:173], v[174:175], v[172:173]
	v_div_scale_f64 v[174:175], vcc_lo, 1.0, v[152:153], 1.0
	s_delay_alu instid0(VALU_DEP_1) | instskip(NEXT) | instid1(VALU_DEP_1)
	v_mul_f64 v[176:177], v[174:175], v[172:173]
	v_fma_f64 v[154:155], -v[154:155], v[176:177], v[174:175]
	s_delay_alu instid0(VALU_DEP_1) | instskip(NEXT) | instid1(VALU_DEP_1)
	v_div_fmas_f64 v[154:155], v[154:155], v[172:173], v[176:177]
	v_div_fixup_f64 v[154:155], v[154:155], v[152:153], 1.0
	s_delay_alu instid0(VALU_DEP_1)
	v_mul_f64 v[152:153], v[170:171], v[154:155]
	v_xor_b32_e32 v155, 0x80000000, v155
.LBB74_28:
	s_and_not1_saveexec_b32 s2, s2
	s_cbranch_execz .LBB74_30
; %bb.29:
	s_delay_alu instid0(VALU_DEP_1) | instskip(SKIP_1) | instid1(VALU_DEP_2)
	v_div_scale_f64 v[170:171], null, v[152:153], v[152:153], v[154:155]
	v_div_scale_f64 v[176:177], vcc_lo, v[154:155], v[152:153], v[154:155]
	v_rcp_f64_e32 v[172:173], v[170:171]
	s_waitcnt_depctr 0xfff
	v_fma_f64 v[174:175], -v[170:171], v[172:173], 1.0
	s_delay_alu instid0(VALU_DEP_1) | instskip(NEXT) | instid1(VALU_DEP_1)
	v_fma_f64 v[172:173], v[172:173], v[174:175], v[172:173]
	v_fma_f64 v[174:175], -v[170:171], v[172:173], 1.0
	s_delay_alu instid0(VALU_DEP_1) | instskip(NEXT) | instid1(VALU_DEP_1)
	v_fma_f64 v[172:173], v[172:173], v[174:175], v[172:173]
	v_mul_f64 v[174:175], v[176:177], v[172:173]
	s_delay_alu instid0(VALU_DEP_1) | instskip(NEXT) | instid1(VALU_DEP_1)
	v_fma_f64 v[170:171], -v[170:171], v[174:175], v[176:177]
	v_div_fmas_f64 v[170:171], v[170:171], v[172:173], v[174:175]
	s_delay_alu instid0(VALU_DEP_1) | instskip(NEXT) | instid1(VALU_DEP_1)
	v_div_fixup_f64 v[170:171], v[170:171], v[152:153], v[154:155]
	v_fma_f64 v[152:153], v[154:155], v[170:171], v[152:153]
	s_delay_alu instid0(VALU_DEP_1) | instskip(NEXT) | instid1(VALU_DEP_1)
	v_div_scale_f64 v[154:155], null, v[152:153], v[152:153], 1.0
	v_rcp_f64_e32 v[172:173], v[154:155]
	s_waitcnt_depctr 0xfff
	v_fma_f64 v[174:175], -v[154:155], v[172:173], 1.0
	s_delay_alu instid0(VALU_DEP_1) | instskip(NEXT) | instid1(VALU_DEP_1)
	v_fma_f64 v[172:173], v[172:173], v[174:175], v[172:173]
	v_fma_f64 v[174:175], -v[154:155], v[172:173], 1.0
	s_delay_alu instid0(VALU_DEP_1) | instskip(SKIP_1) | instid1(VALU_DEP_1)
	v_fma_f64 v[172:173], v[172:173], v[174:175], v[172:173]
	v_div_scale_f64 v[174:175], vcc_lo, 1.0, v[152:153], 1.0
	v_mul_f64 v[176:177], v[174:175], v[172:173]
	s_delay_alu instid0(VALU_DEP_1) | instskip(NEXT) | instid1(VALU_DEP_1)
	v_fma_f64 v[154:155], -v[154:155], v[176:177], v[174:175]
	v_div_fmas_f64 v[154:155], v[154:155], v[172:173], v[176:177]
	s_delay_alu instid0(VALU_DEP_1) | instskip(NEXT) | instid1(VALU_DEP_1)
	v_div_fixup_f64 v[152:153], v[154:155], v[152:153], 1.0
	v_mul_f64 v[154:155], v[170:171], -v[152:153]
.LBB74_30:
	s_or_b32 exec_lo, exec_lo, s2
	v_mov_b32_e32 v165, v169
.LBB74_31:
	s_or_b32 exec_lo, exec_lo, s3
	s_delay_alu instid0(SALU_CYCLE_1)
	s_mov_b32 s2, exec_lo
	v_cmpx_ne_u32_e64 v168, v160
	s_xor_b32 s2, exec_lo, s2
	s_cbranch_execz .LBB74_37
; %bb.32:
	s_mov_b32 s3, exec_lo
	v_cmpx_eq_u32_e32 1, v168
	s_cbranch_execz .LBB74_36
; %bb.33:
	v_cmp_ne_u32_e32 vcc_lo, 1, v160
	s_xor_b32 s6, s4, -1
	s_delay_alu instid0(SALU_CYCLE_1) | instskip(NEXT) | instid1(SALU_CYCLE_1)
	s_and_b32 s7, s6, vcc_lo
	s_and_saveexec_b32 s6, s7
	s_cbranch_execz .LBB74_35
; %bb.34:
	v_ashrrev_i32_e32 v161, 31, v160
	s_delay_alu instid0(VALU_DEP_1) | instskip(NEXT) | instid1(VALU_DEP_1)
	v_lshlrev_b64 v[167:168], 2, v[160:161]
	v_add_co_u32 v167, vcc_lo, v158, v167
	s_delay_alu instid0(VALU_DEP_2)
	v_add_co_ci_u32_e32 v168, vcc_lo, v159, v168, vcc_lo
	s_clause 0x1
	flat_load_b32 v161, v[167:168]
	flat_load_b32 v169, v[158:159] offset:4
	s_waitcnt vmcnt(1) lgkmcnt(1)
	flat_store_b32 v[158:159], v161 offset:4
	s_waitcnt vmcnt(0) lgkmcnt(1)
	flat_store_b32 v[167:168], v169
.LBB74_35:
	s_or_b32 exec_lo, exec_lo, s6
	v_mov_b32_e32 v168, v160
	v_mov_b32_e32 v167, v160
.LBB74_36:
	s_or_b32 exec_lo, exec_lo, s3
.LBB74_37:
	s_and_not1_saveexec_b32 s2, s2
	s_cbranch_execz .LBB74_39
; %bb.38:
	v_mov_b32_e32 v168, 1
	ds_store_2addr_b64 v162, v[120:121], v[122:123] offset0:4 offset1:5
	ds_store_2addr_b64 v162, v[116:117], v[118:119] offset0:6 offset1:7
	;; [unrolled: 1-line block ×36, first 2 shown]
.LBB74_39:
	s_or_b32 exec_lo, exec_lo, s2
	s_delay_alu instid0(SALU_CYCLE_1)
	s_mov_b32 s2, exec_lo
	s_waitcnt lgkmcnt(0)
	s_waitcnt_vscnt null, 0x0
	s_barrier
	buffer_gl0_inv
	v_cmpx_lt_i32_e32 1, v168
	s_cbranch_execz .LBB74_41
; %bb.40:
	v_mul_f64 v[160:161], v[154:155], v[50:51]
	v_mul_f64 v[50:51], v[152:153], v[50:51]
	s_delay_alu instid0(VALU_DEP_2) | instskip(NEXT) | instid1(VALU_DEP_2)
	v_fma_f64 v[160:161], v[152:153], v[48:49], -v[160:161]
	v_fma_f64 v[50:51], v[154:155], v[48:49], v[50:51]
	ds_load_2addr_b64 v[152:155], v162 offset0:4 offset1:5
	s_waitcnt lgkmcnt(0)
	v_mul_f64 v[48:49], v[154:155], v[50:51]
	s_delay_alu instid0(VALU_DEP_1) | instskip(SKIP_1) | instid1(VALU_DEP_2)
	v_fma_f64 v[48:49], v[152:153], v[160:161], -v[48:49]
	v_mul_f64 v[152:153], v[152:153], v[50:51]
	v_add_f64 v[120:121], v[120:121], -v[48:49]
	s_delay_alu instid0(VALU_DEP_2) | instskip(NEXT) | instid1(VALU_DEP_1)
	v_fma_f64 v[152:153], v[154:155], v[160:161], v[152:153]
	v_add_f64 v[122:123], v[122:123], -v[152:153]
	ds_load_2addr_b64 v[152:155], v162 offset0:6 offset1:7
	s_waitcnt lgkmcnt(0)
	v_mul_f64 v[48:49], v[154:155], v[50:51]
	s_delay_alu instid0(VALU_DEP_1) | instskip(SKIP_1) | instid1(VALU_DEP_2)
	v_fma_f64 v[48:49], v[152:153], v[160:161], -v[48:49]
	v_mul_f64 v[152:153], v[152:153], v[50:51]
	v_add_f64 v[116:117], v[116:117], -v[48:49]
	s_delay_alu instid0(VALU_DEP_2) | instskip(NEXT) | instid1(VALU_DEP_1)
	v_fma_f64 v[152:153], v[154:155], v[160:161], v[152:153]
	v_add_f64 v[118:119], v[118:119], -v[152:153]
	;; [unrolled: 10-line block ×35, first 2 shown]
	ds_load_2addr_b64 v[152:155], v162 offset0:74 offset1:75
	s_waitcnt lgkmcnt(0)
	v_mul_f64 v[48:49], v[154:155], v[50:51]
	s_delay_alu instid0(VALU_DEP_1) | instskip(SKIP_1) | instid1(VALU_DEP_2)
	v_fma_f64 v[48:49], v[152:153], v[160:161], -v[48:49]
	v_mul_f64 v[152:153], v[152:153], v[50:51]
	v_add_f64 v[0:1], v[0:1], -v[48:49]
	s_delay_alu instid0(VALU_DEP_2) | instskip(SKIP_1) | instid1(VALU_DEP_2)
	v_fma_f64 v[152:153], v[154:155], v[160:161], v[152:153]
	v_dual_mov_b32 v48, v160 :: v_dual_mov_b32 v49, v161
	v_add_f64 v[2:3], v[2:3], -v[152:153]
.LBB74_41:
	s_or_b32 exec_lo, exec_lo, s2
	v_lshl_add_u32 v152, v168, 4, v162
	s_barrier
	buffer_gl0_inv
	v_mov_b32_e32 v160, 2
	ds_store_2addr_b64 v152, v[120:121], v[122:123] offset1:1
	s_waitcnt lgkmcnt(0)
	s_barrier
	buffer_gl0_inv
	ds_load_2addr_b64 v[152:155], v162 offset0:4 offset1:5
	s_cmp_lt_i32 s5, 4
	s_cbranch_scc1 .LBB74_44
; %bb.42:
	v_add3_u32 v161, v166, 0, 48
	v_mov_b32_e32 v160, 2
	s_mov_b32 s6, 3
	s_set_inst_prefetch_distance 0x1
	.p2align	6
.LBB74_43:                              ; =>This Inner Loop Header: Depth=1
	ds_load_2addr_b64 v[169:172], v161 offset1:1
	s_waitcnt lgkmcnt(1)
	v_cmp_gt_f64_e32 vcc_lo, 0, v[152:153]
	v_xor_b32_e32 v173, 0x80000000, v153
	v_cmp_gt_f64_e64 s2, 0, v[154:155]
	v_xor_b32_e32 v175, 0x80000000, v155
	v_add_nc_u32_e32 v161, 16, v161
	s_waitcnt lgkmcnt(0)
	v_cmp_gt_f64_e64 s3, 0, v[169:170]
	v_mov_b32_e32 v177, v169
	v_dual_mov_b32 v179, v171 :: v_dual_cndmask_b32 v174, v153, v173
	v_xor_b32_e32 v173, 0x80000000, v170
	v_cndmask_b32_e64 v176, v155, v175, s2
	v_xor_b32_e32 v175, 0x80000000, v172
	s_delay_alu instid0(VALU_DEP_3) | instskip(SKIP_2) | instid1(VALU_DEP_2)
	v_cndmask_b32_e64 v178, v170, v173, s3
	v_cmp_gt_f64_e64 s3, 0, v[171:172]
	v_cndmask_b32_e32 v173, v152, v152, vcc_lo
	v_cndmask_b32_e64 v180, v172, v175, s3
	v_cndmask_b32_e64 v175, v154, v154, s2
	s_delay_alu instid0(VALU_DEP_2) | instskip(NEXT) | instid1(VALU_DEP_2)
	v_add_f64 v[177:178], v[177:178], v[179:180]
	v_add_f64 v[173:174], v[173:174], v[175:176]
	s_delay_alu instid0(VALU_DEP_1) | instskip(SKIP_4) | instid1(SALU_CYCLE_1)
	v_cmp_lt_f64_e32 vcc_lo, v[173:174], v[177:178]
	v_dual_cndmask_b32 v154, v154, v171 :: v_dual_cndmask_b32 v153, v153, v170
	v_dual_cndmask_b32 v152, v152, v169 :: v_dual_cndmask_b32 v155, v155, v172
	v_cndmask_b32_e64 v160, v160, s6, vcc_lo
	s_add_i32 s6, s6, 1
	s_cmp_lg_u32 s5, s6
	s_cbranch_scc1 .LBB74_43
.LBB74_44:
	s_set_inst_prefetch_distance 0x2
	s_waitcnt lgkmcnt(0)
	v_cmp_eq_f64_e32 vcc_lo, 0, v[152:153]
	v_cmp_eq_f64_e64 s2, 0, v[154:155]
	s_delay_alu instid0(VALU_DEP_1) | instskip(NEXT) | instid1(SALU_CYCLE_1)
	s_and_b32 s2, vcc_lo, s2
	s_and_saveexec_b32 s3, s2
	s_delay_alu instid0(SALU_CYCLE_1)
	s_xor_b32 s2, exec_lo, s3
; %bb.45:
	v_cmp_ne_u32_e32 vcc_lo, 0, v165
	v_cndmask_b32_e32 v165, 3, v165, vcc_lo
; %bb.46:
	s_and_not1_saveexec_b32 s3, s2
	s_cbranch_execz .LBB74_52
; %bb.47:
	v_cmp_gt_f64_e32 vcc_lo, 0, v[152:153]
	v_cmp_gt_f64_e64 s2, 0, v[154:155]
	v_xor_b32_e32 v161, 0x80000000, v153
	v_xor_b32_e32 v169, 0x80000000, v155
	s_delay_alu instid0(VALU_DEP_2) | instskip(NEXT) | instid1(VALU_DEP_2)
	v_cndmask_b32_e32 v170, v153, v161, vcc_lo
	v_cndmask_b32_e64 v172, v155, v169, s2
	v_cndmask_b32_e32 v169, v152, v152, vcc_lo
	v_cndmask_b32_e64 v171, v154, v154, s2
	s_mov_b32 s2, exec_lo
	s_delay_alu instid0(VALU_DEP_1)
	v_cmpx_ngt_f64_e32 v[169:170], v[171:172]
	s_xor_b32 s2, exec_lo, s2
	s_cbranch_execz .LBB74_49
; %bb.48:
	v_div_scale_f64 v[169:170], null, v[154:155], v[154:155], v[152:153]
	v_div_scale_f64 v[175:176], vcc_lo, v[152:153], v[154:155], v[152:153]
	s_delay_alu instid0(VALU_DEP_2) | instskip(SKIP_2) | instid1(VALU_DEP_1)
	v_rcp_f64_e32 v[171:172], v[169:170]
	s_waitcnt_depctr 0xfff
	v_fma_f64 v[173:174], -v[169:170], v[171:172], 1.0
	v_fma_f64 v[171:172], v[171:172], v[173:174], v[171:172]
	s_delay_alu instid0(VALU_DEP_1) | instskip(NEXT) | instid1(VALU_DEP_1)
	v_fma_f64 v[173:174], -v[169:170], v[171:172], 1.0
	v_fma_f64 v[171:172], v[171:172], v[173:174], v[171:172]
	s_delay_alu instid0(VALU_DEP_1) | instskip(NEXT) | instid1(VALU_DEP_1)
	v_mul_f64 v[173:174], v[175:176], v[171:172]
	v_fma_f64 v[169:170], -v[169:170], v[173:174], v[175:176]
	s_delay_alu instid0(VALU_DEP_1) | instskip(NEXT) | instid1(VALU_DEP_1)
	v_div_fmas_f64 v[169:170], v[169:170], v[171:172], v[173:174]
	v_div_fixup_f64 v[169:170], v[169:170], v[154:155], v[152:153]
	s_delay_alu instid0(VALU_DEP_1) | instskip(NEXT) | instid1(VALU_DEP_1)
	v_fma_f64 v[152:153], v[152:153], v[169:170], v[154:155]
	v_div_scale_f64 v[154:155], null, v[152:153], v[152:153], 1.0
	s_delay_alu instid0(VALU_DEP_1) | instskip(SKIP_2) | instid1(VALU_DEP_1)
	v_rcp_f64_e32 v[171:172], v[154:155]
	s_waitcnt_depctr 0xfff
	v_fma_f64 v[173:174], -v[154:155], v[171:172], 1.0
	v_fma_f64 v[171:172], v[171:172], v[173:174], v[171:172]
	s_delay_alu instid0(VALU_DEP_1) | instskip(NEXT) | instid1(VALU_DEP_1)
	v_fma_f64 v[173:174], -v[154:155], v[171:172], 1.0
	v_fma_f64 v[171:172], v[171:172], v[173:174], v[171:172]
	v_div_scale_f64 v[173:174], vcc_lo, 1.0, v[152:153], 1.0
	s_delay_alu instid0(VALU_DEP_1) | instskip(NEXT) | instid1(VALU_DEP_1)
	v_mul_f64 v[175:176], v[173:174], v[171:172]
	v_fma_f64 v[154:155], -v[154:155], v[175:176], v[173:174]
	s_delay_alu instid0(VALU_DEP_1) | instskip(NEXT) | instid1(VALU_DEP_1)
	v_div_fmas_f64 v[154:155], v[154:155], v[171:172], v[175:176]
	v_div_fixup_f64 v[154:155], v[154:155], v[152:153], 1.0
	s_delay_alu instid0(VALU_DEP_1)
	v_mul_f64 v[152:153], v[169:170], v[154:155]
	v_xor_b32_e32 v155, 0x80000000, v155
.LBB74_49:
	s_and_not1_saveexec_b32 s2, s2
	s_cbranch_execz .LBB74_51
; %bb.50:
	s_delay_alu instid0(VALU_DEP_1) | instskip(SKIP_1) | instid1(VALU_DEP_2)
	v_div_scale_f64 v[169:170], null, v[152:153], v[152:153], v[154:155]
	v_div_scale_f64 v[175:176], vcc_lo, v[154:155], v[152:153], v[154:155]
	v_rcp_f64_e32 v[171:172], v[169:170]
	s_waitcnt_depctr 0xfff
	v_fma_f64 v[173:174], -v[169:170], v[171:172], 1.0
	s_delay_alu instid0(VALU_DEP_1) | instskip(NEXT) | instid1(VALU_DEP_1)
	v_fma_f64 v[171:172], v[171:172], v[173:174], v[171:172]
	v_fma_f64 v[173:174], -v[169:170], v[171:172], 1.0
	s_delay_alu instid0(VALU_DEP_1) | instskip(NEXT) | instid1(VALU_DEP_1)
	v_fma_f64 v[171:172], v[171:172], v[173:174], v[171:172]
	v_mul_f64 v[173:174], v[175:176], v[171:172]
	s_delay_alu instid0(VALU_DEP_1) | instskip(NEXT) | instid1(VALU_DEP_1)
	v_fma_f64 v[169:170], -v[169:170], v[173:174], v[175:176]
	v_div_fmas_f64 v[169:170], v[169:170], v[171:172], v[173:174]
	s_delay_alu instid0(VALU_DEP_1) | instskip(NEXT) | instid1(VALU_DEP_1)
	v_div_fixup_f64 v[169:170], v[169:170], v[152:153], v[154:155]
	v_fma_f64 v[152:153], v[154:155], v[169:170], v[152:153]
	s_delay_alu instid0(VALU_DEP_1) | instskip(NEXT) | instid1(VALU_DEP_1)
	v_div_scale_f64 v[154:155], null, v[152:153], v[152:153], 1.0
	v_rcp_f64_e32 v[171:172], v[154:155]
	s_waitcnt_depctr 0xfff
	v_fma_f64 v[173:174], -v[154:155], v[171:172], 1.0
	s_delay_alu instid0(VALU_DEP_1) | instskip(NEXT) | instid1(VALU_DEP_1)
	v_fma_f64 v[171:172], v[171:172], v[173:174], v[171:172]
	v_fma_f64 v[173:174], -v[154:155], v[171:172], 1.0
	s_delay_alu instid0(VALU_DEP_1) | instskip(SKIP_1) | instid1(VALU_DEP_1)
	v_fma_f64 v[171:172], v[171:172], v[173:174], v[171:172]
	v_div_scale_f64 v[173:174], vcc_lo, 1.0, v[152:153], 1.0
	v_mul_f64 v[175:176], v[173:174], v[171:172]
	s_delay_alu instid0(VALU_DEP_1) | instskip(NEXT) | instid1(VALU_DEP_1)
	v_fma_f64 v[154:155], -v[154:155], v[175:176], v[173:174]
	v_div_fmas_f64 v[154:155], v[154:155], v[171:172], v[175:176]
	s_delay_alu instid0(VALU_DEP_1) | instskip(NEXT) | instid1(VALU_DEP_1)
	v_div_fixup_f64 v[152:153], v[154:155], v[152:153], 1.0
	v_mul_f64 v[154:155], v[169:170], -v[152:153]
.LBB74_51:
	s_or_b32 exec_lo, exec_lo, s2
.LBB74_52:
	s_delay_alu instid0(SALU_CYCLE_1) | instskip(NEXT) | instid1(SALU_CYCLE_1)
	s_or_b32 exec_lo, exec_lo, s3
	s_mov_b32 s2, exec_lo
	v_cmpx_ne_u32_e64 v168, v160
	s_xor_b32 s2, exec_lo, s2
	s_cbranch_execz .LBB74_58
; %bb.53:
	s_mov_b32 s3, exec_lo
	v_cmpx_eq_u32_e32 2, v168
	s_cbranch_execz .LBB74_57
; %bb.54:
	v_cmp_ne_u32_e32 vcc_lo, 2, v160
	s_xor_b32 s6, s4, -1
	s_delay_alu instid0(SALU_CYCLE_1) | instskip(NEXT) | instid1(SALU_CYCLE_1)
	s_and_b32 s7, s6, vcc_lo
	s_and_saveexec_b32 s6, s7
	s_cbranch_execz .LBB74_56
; %bb.55:
	v_ashrrev_i32_e32 v161, 31, v160
	s_delay_alu instid0(VALU_DEP_1) | instskip(NEXT) | instid1(VALU_DEP_1)
	v_lshlrev_b64 v[167:168], 2, v[160:161]
	v_add_co_u32 v167, vcc_lo, v158, v167
	s_delay_alu instid0(VALU_DEP_2)
	v_add_co_ci_u32_e32 v168, vcc_lo, v159, v168, vcc_lo
	s_clause 0x1
	flat_load_b32 v161, v[167:168]
	flat_load_b32 v169, v[158:159] offset:8
	s_waitcnt vmcnt(1) lgkmcnt(1)
	flat_store_b32 v[158:159], v161 offset:8
	s_waitcnt vmcnt(0) lgkmcnt(1)
	flat_store_b32 v[167:168], v169
.LBB74_56:
	s_or_b32 exec_lo, exec_lo, s6
	v_mov_b32_e32 v168, v160
	v_mov_b32_e32 v167, v160
.LBB74_57:
	s_or_b32 exec_lo, exec_lo, s3
.LBB74_58:
	s_and_not1_saveexec_b32 s2, s2
	s_cbranch_execz .LBB74_60
; %bb.59:
	v_mov_b32_e32 v168, 2
	ds_store_2addr_b64 v162, v[116:117], v[118:119] offset0:6 offset1:7
	ds_store_2addr_b64 v162, v[148:149], v[150:151] offset0:8 offset1:9
	;; [unrolled: 1-line block ×35, first 2 shown]
.LBB74_60:
	s_or_b32 exec_lo, exec_lo, s2
	s_delay_alu instid0(SALU_CYCLE_1)
	s_mov_b32 s2, exec_lo
	s_waitcnt lgkmcnt(0)
	s_waitcnt_vscnt null, 0x0
	s_barrier
	buffer_gl0_inv
	v_cmpx_lt_i32_e32 2, v168
	s_cbranch_execz .LBB74_62
; %bb.61:
	v_mul_f64 v[160:161], v[154:155], v[122:123]
	v_mul_f64 v[122:123], v[152:153], v[122:123]
	s_delay_alu instid0(VALU_DEP_2) | instskip(NEXT) | instid1(VALU_DEP_2)
	v_fma_f64 v[160:161], v[152:153], v[120:121], -v[160:161]
	v_fma_f64 v[122:123], v[154:155], v[120:121], v[122:123]
	ds_load_2addr_b64 v[152:155], v162 offset0:6 offset1:7
	s_waitcnt lgkmcnt(0)
	v_mul_f64 v[120:121], v[154:155], v[122:123]
	s_delay_alu instid0(VALU_DEP_1) | instskip(SKIP_1) | instid1(VALU_DEP_2)
	v_fma_f64 v[120:121], v[152:153], v[160:161], -v[120:121]
	v_mul_f64 v[152:153], v[152:153], v[122:123]
	v_add_f64 v[116:117], v[116:117], -v[120:121]
	s_delay_alu instid0(VALU_DEP_2) | instskip(NEXT) | instid1(VALU_DEP_1)
	v_fma_f64 v[152:153], v[154:155], v[160:161], v[152:153]
	v_add_f64 v[118:119], v[118:119], -v[152:153]
	ds_load_2addr_b64 v[152:155], v162 offset0:8 offset1:9
	s_waitcnt lgkmcnt(0)
	v_mul_f64 v[120:121], v[154:155], v[122:123]
	s_delay_alu instid0(VALU_DEP_1) | instskip(SKIP_1) | instid1(VALU_DEP_2)
	v_fma_f64 v[120:121], v[152:153], v[160:161], -v[120:121]
	v_mul_f64 v[152:153], v[152:153], v[122:123]
	v_add_f64 v[148:149], v[148:149], -v[120:121]
	s_delay_alu instid0(VALU_DEP_2) | instskip(NEXT) | instid1(VALU_DEP_1)
	v_fma_f64 v[152:153], v[154:155], v[160:161], v[152:153]
	v_add_f64 v[150:151], v[150:151], -v[152:153]
	;; [unrolled: 10-line block ×34, first 2 shown]
	ds_load_2addr_b64 v[152:155], v162 offset0:74 offset1:75
	s_waitcnt lgkmcnt(0)
	v_mul_f64 v[120:121], v[154:155], v[122:123]
	s_delay_alu instid0(VALU_DEP_1) | instskip(SKIP_1) | instid1(VALU_DEP_2)
	v_fma_f64 v[120:121], v[152:153], v[160:161], -v[120:121]
	v_mul_f64 v[152:153], v[152:153], v[122:123]
	v_add_f64 v[0:1], v[0:1], -v[120:121]
	s_delay_alu instid0(VALU_DEP_2) | instskip(SKIP_1) | instid1(VALU_DEP_2)
	v_fma_f64 v[152:153], v[154:155], v[160:161], v[152:153]
	v_dual_mov_b32 v120, v160 :: v_dual_mov_b32 v121, v161
	v_add_f64 v[2:3], v[2:3], -v[152:153]
.LBB74_62:
	s_or_b32 exec_lo, exec_lo, s2
	v_lshl_add_u32 v152, v168, 4, v162
	s_barrier
	buffer_gl0_inv
	v_mov_b32_e32 v160, 3
	ds_store_2addr_b64 v152, v[116:117], v[118:119] offset1:1
	s_waitcnt lgkmcnt(0)
	s_barrier
	buffer_gl0_inv
	ds_load_2addr_b64 v[152:155], v162 offset0:6 offset1:7
	s_cmp_lt_i32 s5, 5
	s_mov_b32 s6, 4
	s_cbranch_scc1 .LBB74_65
; %bb.63:
	v_add3_u32 v161, v166, 0, 64
	v_mov_b32_e32 v160, 3
	s_set_inst_prefetch_distance 0x1
	.p2align	6
.LBB74_64:                              ; =>This Inner Loop Header: Depth=1
	ds_load_2addr_b64 v[169:172], v161 offset1:1
	s_waitcnt lgkmcnt(1)
	v_cmp_gt_f64_e32 vcc_lo, 0, v[152:153]
	v_xor_b32_e32 v173, 0x80000000, v153
	v_cmp_gt_f64_e64 s2, 0, v[154:155]
	v_xor_b32_e32 v175, 0x80000000, v155
	v_add_nc_u32_e32 v161, 16, v161
	s_waitcnt lgkmcnt(0)
	v_cmp_gt_f64_e64 s3, 0, v[169:170]
	v_mov_b32_e32 v177, v169
	v_dual_mov_b32 v179, v171 :: v_dual_cndmask_b32 v174, v153, v173
	v_xor_b32_e32 v173, 0x80000000, v170
	v_cndmask_b32_e64 v176, v155, v175, s2
	v_xor_b32_e32 v175, 0x80000000, v172
	s_delay_alu instid0(VALU_DEP_3) | instskip(SKIP_2) | instid1(VALU_DEP_2)
	v_cndmask_b32_e64 v178, v170, v173, s3
	v_cmp_gt_f64_e64 s3, 0, v[171:172]
	v_cndmask_b32_e32 v173, v152, v152, vcc_lo
	v_cndmask_b32_e64 v180, v172, v175, s3
	v_cndmask_b32_e64 v175, v154, v154, s2
	s_delay_alu instid0(VALU_DEP_2) | instskip(NEXT) | instid1(VALU_DEP_2)
	v_add_f64 v[177:178], v[177:178], v[179:180]
	v_add_f64 v[173:174], v[173:174], v[175:176]
	s_delay_alu instid0(VALU_DEP_1) | instskip(SKIP_4) | instid1(SALU_CYCLE_1)
	v_cmp_lt_f64_e32 vcc_lo, v[173:174], v[177:178]
	v_dual_cndmask_b32 v154, v154, v171 :: v_dual_cndmask_b32 v153, v153, v170
	v_dual_cndmask_b32 v152, v152, v169 :: v_dual_cndmask_b32 v155, v155, v172
	v_cndmask_b32_e64 v160, v160, s6, vcc_lo
	s_add_i32 s6, s6, 1
	s_cmp_lg_u32 s5, s6
	s_cbranch_scc1 .LBB74_64
.LBB74_65:
	s_set_inst_prefetch_distance 0x2
	s_waitcnt lgkmcnt(0)
	v_cmp_eq_f64_e32 vcc_lo, 0, v[152:153]
	v_cmp_eq_f64_e64 s2, 0, v[154:155]
	s_delay_alu instid0(VALU_DEP_1) | instskip(NEXT) | instid1(SALU_CYCLE_1)
	s_and_b32 s2, vcc_lo, s2
	s_and_saveexec_b32 s3, s2
	s_delay_alu instid0(SALU_CYCLE_1)
	s_xor_b32 s2, exec_lo, s3
; %bb.66:
	v_cmp_ne_u32_e32 vcc_lo, 0, v165
	v_cndmask_b32_e32 v165, 4, v165, vcc_lo
; %bb.67:
	s_and_not1_saveexec_b32 s3, s2
	s_cbranch_execz .LBB74_73
; %bb.68:
	v_cmp_gt_f64_e32 vcc_lo, 0, v[152:153]
	v_cmp_gt_f64_e64 s2, 0, v[154:155]
	v_xor_b32_e32 v161, 0x80000000, v153
	v_xor_b32_e32 v169, 0x80000000, v155
	s_delay_alu instid0(VALU_DEP_2) | instskip(NEXT) | instid1(VALU_DEP_2)
	v_cndmask_b32_e32 v170, v153, v161, vcc_lo
	v_cndmask_b32_e64 v172, v155, v169, s2
	v_cndmask_b32_e32 v169, v152, v152, vcc_lo
	v_cndmask_b32_e64 v171, v154, v154, s2
	s_mov_b32 s2, exec_lo
	s_delay_alu instid0(VALU_DEP_1)
	v_cmpx_ngt_f64_e32 v[169:170], v[171:172]
	s_xor_b32 s2, exec_lo, s2
	s_cbranch_execz .LBB74_70
; %bb.69:
	v_div_scale_f64 v[169:170], null, v[154:155], v[154:155], v[152:153]
	v_div_scale_f64 v[175:176], vcc_lo, v[152:153], v[154:155], v[152:153]
	s_delay_alu instid0(VALU_DEP_2) | instskip(SKIP_2) | instid1(VALU_DEP_1)
	v_rcp_f64_e32 v[171:172], v[169:170]
	s_waitcnt_depctr 0xfff
	v_fma_f64 v[173:174], -v[169:170], v[171:172], 1.0
	v_fma_f64 v[171:172], v[171:172], v[173:174], v[171:172]
	s_delay_alu instid0(VALU_DEP_1) | instskip(NEXT) | instid1(VALU_DEP_1)
	v_fma_f64 v[173:174], -v[169:170], v[171:172], 1.0
	v_fma_f64 v[171:172], v[171:172], v[173:174], v[171:172]
	s_delay_alu instid0(VALU_DEP_1) | instskip(NEXT) | instid1(VALU_DEP_1)
	v_mul_f64 v[173:174], v[175:176], v[171:172]
	v_fma_f64 v[169:170], -v[169:170], v[173:174], v[175:176]
	s_delay_alu instid0(VALU_DEP_1) | instskip(NEXT) | instid1(VALU_DEP_1)
	v_div_fmas_f64 v[169:170], v[169:170], v[171:172], v[173:174]
	v_div_fixup_f64 v[169:170], v[169:170], v[154:155], v[152:153]
	s_delay_alu instid0(VALU_DEP_1) | instskip(NEXT) | instid1(VALU_DEP_1)
	v_fma_f64 v[152:153], v[152:153], v[169:170], v[154:155]
	v_div_scale_f64 v[154:155], null, v[152:153], v[152:153], 1.0
	s_delay_alu instid0(VALU_DEP_1) | instskip(SKIP_2) | instid1(VALU_DEP_1)
	v_rcp_f64_e32 v[171:172], v[154:155]
	s_waitcnt_depctr 0xfff
	v_fma_f64 v[173:174], -v[154:155], v[171:172], 1.0
	v_fma_f64 v[171:172], v[171:172], v[173:174], v[171:172]
	s_delay_alu instid0(VALU_DEP_1) | instskip(NEXT) | instid1(VALU_DEP_1)
	v_fma_f64 v[173:174], -v[154:155], v[171:172], 1.0
	v_fma_f64 v[171:172], v[171:172], v[173:174], v[171:172]
	v_div_scale_f64 v[173:174], vcc_lo, 1.0, v[152:153], 1.0
	s_delay_alu instid0(VALU_DEP_1) | instskip(NEXT) | instid1(VALU_DEP_1)
	v_mul_f64 v[175:176], v[173:174], v[171:172]
	v_fma_f64 v[154:155], -v[154:155], v[175:176], v[173:174]
	s_delay_alu instid0(VALU_DEP_1) | instskip(NEXT) | instid1(VALU_DEP_1)
	v_div_fmas_f64 v[154:155], v[154:155], v[171:172], v[175:176]
	v_div_fixup_f64 v[154:155], v[154:155], v[152:153], 1.0
	s_delay_alu instid0(VALU_DEP_1)
	v_mul_f64 v[152:153], v[169:170], v[154:155]
	v_xor_b32_e32 v155, 0x80000000, v155
.LBB74_70:
	s_and_not1_saveexec_b32 s2, s2
	s_cbranch_execz .LBB74_72
; %bb.71:
	s_delay_alu instid0(VALU_DEP_1) | instskip(SKIP_1) | instid1(VALU_DEP_2)
	v_div_scale_f64 v[169:170], null, v[152:153], v[152:153], v[154:155]
	v_div_scale_f64 v[175:176], vcc_lo, v[154:155], v[152:153], v[154:155]
	v_rcp_f64_e32 v[171:172], v[169:170]
	s_waitcnt_depctr 0xfff
	v_fma_f64 v[173:174], -v[169:170], v[171:172], 1.0
	s_delay_alu instid0(VALU_DEP_1) | instskip(NEXT) | instid1(VALU_DEP_1)
	v_fma_f64 v[171:172], v[171:172], v[173:174], v[171:172]
	v_fma_f64 v[173:174], -v[169:170], v[171:172], 1.0
	s_delay_alu instid0(VALU_DEP_1) | instskip(NEXT) | instid1(VALU_DEP_1)
	v_fma_f64 v[171:172], v[171:172], v[173:174], v[171:172]
	v_mul_f64 v[173:174], v[175:176], v[171:172]
	s_delay_alu instid0(VALU_DEP_1) | instskip(NEXT) | instid1(VALU_DEP_1)
	v_fma_f64 v[169:170], -v[169:170], v[173:174], v[175:176]
	v_div_fmas_f64 v[169:170], v[169:170], v[171:172], v[173:174]
	s_delay_alu instid0(VALU_DEP_1) | instskip(NEXT) | instid1(VALU_DEP_1)
	v_div_fixup_f64 v[169:170], v[169:170], v[152:153], v[154:155]
	v_fma_f64 v[152:153], v[154:155], v[169:170], v[152:153]
	s_delay_alu instid0(VALU_DEP_1) | instskip(NEXT) | instid1(VALU_DEP_1)
	v_div_scale_f64 v[154:155], null, v[152:153], v[152:153], 1.0
	v_rcp_f64_e32 v[171:172], v[154:155]
	s_waitcnt_depctr 0xfff
	v_fma_f64 v[173:174], -v[154:155], v[171:172], 1.0
	s_delay_alu instid0(VALU_DEP_1) | instskip(NEXT) | instid1(VALU_DEP_1)
	v_fma_f64 v[171:172], v[171:172], v[173:174], v[171:172]
	v_fma_f64 v[173:174], -v[154:155], v[171:172], 1.0
	s_delay_alu instid0(VALU_DEP_1) | instskip(SKIP_1) | instid1(VALU_DEP_1)
	v_fma_f64 v[171:172], v[171:172], v[173:174], v[171:172]
	v_div_scale_f64 v[173:174], vcc_lo, 1.0, v[152:153], 1.0
	v_mul_f64 v[175:176], v[173:174], v[171:172]
	s_delay_alu instid0(VALU_DEP_1) | instskip(NEXT) | instid1(VALU_DEP_1)
	v_fma_f64 v[154:155], -v[154:155], v[175:176], v[173:174]
	v_div_fmas_f64 v[154:155], v[154:155], v[171:172], v[175:176]
	s_delay_alu instid0(VALU_DEP_1) | instskip(NEXT) | instid1(VALU_DEP_1)
	v_div_fixup_f64 v[152:153], v[154:155], v[152:153], 1.0
	v_mul_f64 v[154:155], v[169:170], -v[152:153]
.LBB74_72:
	s_or_b32 exec_lo, exec_lo, s2
.LBB74_73:
	s_delay_alu instid0(SALU_CYCLE_1) | instskip(NEXT) | instid1(SALU_CYCLE_1)
	s_or_b32 exec_lo, exec_lo, s3
	s_mov_b32 s2, exec_lo
	v_cmpx_ne_u32_e64 v168, v160
	s_xor_b32 s2, exec_lo, s2
	s_cbranch_execz .LBB74_79
; %bb.74:
	s_mov_b32 s3, exec_lo
	v_cmpx_eq_u32_e32 3, v168
	s_cbranch_execz .LBB74_78
; %bb.75:
	v_cmp_ne_u32_e32 vcc_lo, 3, v160
	s_xor_b32 s6, s4, -1
	s_delay_alu instid0(SALU_CYCLE_1) | instskip(NEXT) | instid1(SALU_CYCLE_1)
	s_and_b32 s7, s6, vcc_lo
	s_and_saveexec_b32 s6, s7
	s_cbranch_execz .LBB74_77
; %bb.76:
	v_ashrrev_i32_e32 v161, 31, v160
	s_delay_alu instid0(VALU_DEP_1) | instskip(NEXT) | instid1(VALU_DEP_1)
	v_lshlrev_b64 v[167:168], 2, v[160:161]
	v_add_co_u32 v167, vcc_lo, v158, v167
	s_delay_alu instid0(VALU_DEP_2)
	v_add_co_ci_u32_e32 v168, vcc_lo, v159, v168, vcc_lo
	s_clause 0x1
	flat_load_b32 v161, v[167:168]
	flat_load_b32 v169, v[158:159] offset:12
	s_waitcnt vmcnt(1) lgkmcnt(1)
	flat_store_b32 v[158:159], v161 offset:12
	s_waitcnt vmcnt(0) lgkmcnt(1)
	flat_store_b32 v[167:168], v169
.LBB74_77:
	s_or_b32 exec_lo, exec_lo, s6
	v_mov_b32_e32 v168, v160
	v_mov_b32_e32 v167, v160
.LBB74_78:
	s_or_b32 exec_lo, exec_lo, s3
.LBB74_79:
	s_and_not1_saveexec_b32 s2, s2
	s_cbranch_execz .LBB74_81
; %bb.80:
	v_mov_b32_e32 v168, 3
	ds_store_2addr_b64 v162, v[148:149], v[150:151] offset0:8 offset1:9
	ds_store_2addr_b64 v162, v[144:145], v[146:147] offset0:10 offset1:11
	;; [unrolled: 1-line block ×34, first 2 shown]
.LBB74_81:
	s_or_b32 exec_lo, exec_lo, s2
	s_delay_alu instid0(SALU_CYCLE_1)
	s_mov_b32 s2, exec_lo
	s_waitcnt lgkmcnt(0)
	s_waitcnt_vscnt null, 0x0
	s_barrier
	buffer_gl0_inv
	v_cmpx_lt_i32_e32 3, v168
	s_cbranch_execz .LBB74_83
; %bb.82:
	v_mul_f64 v[160:161], v[154:155], v[118:119]
	v_mul_f64 v[118:119], v[152:153], v[118:119]
	s_delay_alu instid0(VALU_DEP_2) | instskip(NEXT) | instid1(VALU_DEP_2)
	v_fma_f64 v[160:161], v[152:153], v[116:117], -v[160:161]
	v_fma_f64 v[118:119], v[154:155], v[116:117], v[118:119]
	ds_load_2addr_b64 v[152:155], v162 offset0:8 offset1:9
	s_waitcnt lgkmcnt(0)
	v_mul_f64 v[116:117], v[154:155], v[118:119]
	s_delay_alu instid0(VALU_DEP_1) | instskip(SKIP_1) | instid1(VALU_DEP_2)
	v_fma_f64 v[116:117], v[152:153], v[160:161], -v[116:117]
	v_mul_f64 v[152:153], v[152:153], v[118:119]
	v_add_f64 v[148:149], v[148:149], -v[116:117]
	s_delay_alu instid0(VALU_DEP_2) | instskip(NEXT) | instid1(VALU_DEP_1)
	v_fma_f64 v[152:153], v[154:155], v[160:161], v[152:153]
	v_add_f64 v[150:151], v[150:151], -v[152:153]
	ds_load_2addr_b64 v[152:155], v162 offset0:10 offset1:11
	s_waitcnt lgkmcnt(0)
	v_mul_f64 v[116:117], v[154:155], v[118:119]
	s_delay_alu instid0(VALU_DEP_1) | instskip(SKIP_1) | instid1(VALU_DEP_2)
	v_fma_f64 v[116:117], v[152:153], v[160:161], -v[116:117]
	v_mul_f64 v[152:153], v[152:153], v[118:119]
	v_add_f64 v[144:145], v[144:145], -v[116:117]
	s_delay_alu instid0(VALU_DEP_2) | instskip(NEXT) | instid1(VALU_DEP_1)
	v_fma_f64 v[152:153], v[154:155], v[160:161], v[152:153]
	v_add_f64 v[146:147], v[146:147], -v[152:153]
	;; [unrolled: 10-line block ×33, first 2 shown]
	ds_load_2addr_b64 v[152:155], v162 offset0:74 offset1:75
	s_waitcnt lgkmcnt(0)
	v_mul_f64 v[116:117], v[154:155], v[118:119]
	s_delay_alu instid0(VALU_DEP_1) | instskip(SKIP_1) | instid1(VALU_DEP_2)
	v_fma_f64 v[116:117], v[152:153], v[160:161], -v[116:117]
	v_mul_f64 v[152:153], v[152:153], v[118:119]
	v_add_f64 v[0:1], v[0:1], -v[116:117]
	s_delay_alu instid0(VALU_DEP_2) | instskip(SKIP_1) | instid1(VALU_DEP_2)
	v_fma_f64 v[152:153], v[154:155], v[160:161], v[152:153]
	v_dual_mov_b32 v116, v160 :: v_dual_mov_b32 v117, v161
	v_add_f64 v[2:3], v[2:3], -v[152:153]
.LBB74_83:
	s_or_b32 exec_lo, exec_lo, s2
	v_lshl_add_u32 v152, v168, 4, v162
	s_barrier
	buffer_gl0_inv
	v_mov_b32_e32 v160, 4
	ds_store_2addr_b64 v152, v[148:149], v[150:151] offset1:1
	s_waitcnt lgkmcnt(0)
	s_barrier
	buffer_gl0_inv
	ds_load_2addr_b64 v[152:155], v162 offset0:8 offset1:9
	s_cmp_lt_i32 s5, 6
	s_cbranch_scc1 .LBB74_86
; %bb.84:
	v_add3_u32 v161, v166, 0, 0x50
	v_mov_b32_e32 v160, 4
	s_mov_b32 s6, 5
	s_set_inst_prefetch_distance 0x1
	.p2align	6
.LBB74_85:                              ; =>This Inner Loop Header: Depth=1
	ds_load_2addr_b64 v[169:172], v161 offset1:1
	s_waitcnt lgkmcnt(1)
	v_cmp_gt_f64_e32 vcc_lo, 0, v[152:153]
	v_xor_b32_e32 v173, 0x80000000, v153
	v_cmp_gt_f64_e64 s2, 0, v[154:155]
	v_xor_b32_e32 v175, 0x80000000, v155
	v_add_nc_u32_e32 v161, 16, v161
	s_waitcnt lgkmcnt(0)
	v_cmp_gt_f64_e64 s3, 0, v[169:170]
	v_mov_b32_e32 v177, v169
	v_dual_mov_b32 v179, v171 :: v_dual_cndmask_b32 v174, v153, v173
	v_xor_b32_e32 v173, 0x80000000, v170
	v_cndmask_b32_e64 v176, v155, v175, s2
	v_xor_b32_e32 v175, 0x80000000, v172
	s_delay_alu instid0(VALU_DEP_3) | instskip(SKIP_2) | instid1(VALU_DEP_2)
	v_cndmask_b32_e64 v178, v170, v173, s3
	v_cmp_gt_f64_e64 s3, 0, v[171:172]
	v_cndmask_b32_e32 v173, v152, v152, vcc_lo
	v_cndmask_b32_e64 v180, v172, v175, s3
	v_cndmask_b32_e64 v175, v154, v154, s2
	s_delay_alu instid0(VALU_DEP_2) | instskip(NEXT) | instid1(VALU_DEP_2)
	v_add_f64 v[177:178], v[177:178], v[179:180]
	v_add_f64 v[173:174], v[173:174], v[175:176]
	s_delay_alu instid0(VALU_DEP_1) | instskip(SKIP_4) | instid1(SALU_CYCLE_1)
	v_cmp_lt_f64_e32 vcc_lo, v[173:174], v[177:178]
	v_dual_cndmask_b32 v154, v154, v171 :: v_dual_cndmask_b32 v153, v153, v170
	v_dual_cndmask_b32 v152, v152, v169 :: v_dual_cndmask_b32 v155, v155, v172
	v_cndmask_b32_e64 v160, v160, s6, vcc_lo
	s_add_i32 s6, s6, 1
	s_cmp_lg_u32 s5, s6
	s_cbranch_scc1 .LBB74_85
.LBB74_86:
	s_set_inst_prefetch_distance 0x2
	s_waitcnt lgkmcnt(0)
	v_cmp_eq_f64_e32 vcc_lo, 0, v[152:153]
	v_cmp_eq_f64_e64 s2, 0, v[154:155]
	s_delay_alu instid0(VALU_DEP_1) | instskip(NEXT) | instid1(SALU_CYCLE_1)
	s_and_b32 s2, vcc_lo, s2
	s_and_saveexec_b32 s3, s2
	s_delay_alu instid0(SALU_CYCLE_1)
	s_xor_b32 s2, exec_lo, s3
; %bb.87:
	v_cmp_ne_u32_e32 vcc_lo, 0, v165
	v_cndmask_b32_e32 v165, 5, v165, vcc_lo
; %bb.88:
	s_and_not1_saveexec_b32 s3, s2
	s_cbranch_execz .LBB74_94
; %bb.89:
	v_cmp_gt_f64_e32 vcc_lo, 0, v[152:153]
	v_cmp_gt_f64_e64 s2, 0, v[154:155]
	v_xor_b32_e32 v161, 0x80000000, v153
	v_xor_b32_e32 v169, 0x80000000, v155
	s_delay_alu instid0(VALU_DEP_2) | instskip(NEXT) | instid1(VALU_DEP_2)
	v_cndmask_b32_e32 v170, v153, v161, vcc_lo
	v_cndmask_b32_e64 v172, v155, v169, s2
	v_cndmask_b32_e32 v169, v152, v152, vcc_lo
	v_cndmask_b32_e64 v171, v154, v154, s2
	s_mov_b32 s2, exec_lo
	s_delay_alu instid0(VALU_DEP_1)
	v_cmpx_ngt_f64_e32 v[169:170], v[171:172]
	s_xor_b32 s2, exec_lo, s2
	s_cbranch_execz .LBB74_91
; %bb.90:
	v_div_scale_f64 v[169:170], null, v[154:155], v[154:155], v[152:153]
	v_div_scale_f64 v[175:176], vcc_lo, v[152:153], v[154:155], v[152:153]
	s_delay_alu instid0(VALU_DEP_2) | instskip(SKIP_2) | instid1(VALU_DEP_1)
	v_rcp_f64_e32 v[171:172], v[169:170]
	s_waitcnt_depctr 0xfff
	v_fma_f64 v[173:174], -v[169:170], v[171:172], 1.0
	v_fma_f64 v[171:172], v[171:172], v[173:174], v[171:172]
	s_delay_alu instid0(VALU_DEP_1) | instskip(NEXT) | instid1(VALU_DEP_1)
	v_fma_f64 v[173:174], -v[169:170], v[171:172], 1.0
	v_fma_f64 v[171:172], v[171:172], v[173:174], v[171:172]
	s_delay_alu instid0(VALU_DEP_1) | instskip(NEXT) | instid1(VALU_DEP_1)
	v_mul_f64 v[173:174], v[175:176], v[171:172]
	v_fma_f64 v[169:170], -v[169:170], v[173:174], v[175:176]
	s_delay_alu instid0(VALU_DEP_1) | instskip(NEXT) | instid1(VALU_DEP_1)
	v_div_fmas_f64 v[169:170], v[169:170], v[171:172], v[173:174]
	v_div_fixup_f64 v[169:170], v[169:170], v[154:155], v[152:153]
	s_delay_alu instid0(VALU_DEP_1) | instskip(NEXT) | instid1(VALU_DEP_1)
	v_fma_f64 v[152:153], v[152:153], v[169:170], v[154:155]
	v_div_scale_f64 v[154:155], null, v[152:153], v[152:153], 1.0
	s_delay_alu instid0(VALU_DEP_1) | instskip(SKIP_2) | instid1(VALU_DEP_1)
	v_rcp_f64_e32 v[171:172], v[154:155]
	s_waitcnt_depctr 0xfff
	v_fma_f64 v[173:174], -v[154:155], v[171:172], 1.0
	v_fma_f64 v[171:172], v[171:172], v[173:174], v[171:172]
	s_delay_alu instid0(VALU_DEP_1) | instskip(NEXT) | instid1(VALU_DEP_1)
	v_fma_f64 v[173:174], -v[154:155], v[171:172], 1.0
	v_fma_f64 v[171:172], v[171:172], v[173:174], v[171:172]
	v_div_scale_f64 v[173:174], vcc_lo, 1.0, v[152:153], 1.0
	s_delay_alu instid0(VALU_DEP_1) | instskip(NEXT) | instid1(VALU_DEP_1)
	v_mul_f64 v[175:176], v[173:174], v[171:172]
	v_fma_f64 v[154:155], -v[154:155], v[175:176], v[173:174]
	s_delay_alu instid0(VALU_DEP_1) | instskip(NEXT) | instid1(VALU_DEP_1)
	v_div_fmas_f64 v[154:155], v[154:155], v[171:172], v[175:176]
	v_div_fixup_f64 v[154:155], v[154:155], v[152:153], 1.0
	s_delay_alu instid0(VALU_DEP_1)
	v_mul_f64 v[152:153], v[169:170], v[154:155]
	v_xor_b32_e32 v155, 0x80000000, v155
.LBB74_91:
	s_and_not1_saveexec_b32 s2, s2
	s_cbranch_execz .LBB74_93
; %bb.92:
	s_delay_alu instid0(VALU_DEP_1) | instskip(SKIP_1) | instid1(VALU_DEP_2)
	v_div_scale_f64 v[169:170], null, v[152:153], v[152:153], v[154:155]
	v_div_scale_f64 v[175:176], vcc_lo, v[154:155], v[152:153], v[154:155]
	v_rcp_f64_e32 v[171:172], v[169:170]
	s_waitcnt_depctr 0xfff
	v_fma_f64 v[173:174], -v[169:170], v[171:172], 1.0
	s_delay_alu instid0(VALU_DEP_1) | instskip(NEXT) | instid1(VALU_DEP_1)
	v_fma_f64 v[171:172], v[171:172], v[173:174], v[171:172]
	v_fma_f64 v[173:174], -v[169:170], v[171:172], 1.0
	s_delay_alu instid0(VALU_DEP_1) | instskip(NEXT) | instid1(VALU_DEP_1)
	v_fma_f64 v[171:172], v[171:172], v[173:174], v[171:172]
	v_mul_f64 v[173:174], v[175:176], v[171:172]
	s_delay_alu instid0(VALU_DEP_1) | instskip(NEXT) | instid1(VALU_DEP_1)
	v_fma_f64 v[169:170], -v[169:170], v[173:174], v[175:176]
	v_div_fmas_f64 v[169:170], v[169:170], v[171:172], v[173:174]
	s_delay_alu instid0(VALU_DEP_1) | instskip(NEXT) | instid1(VALU_DEP_1)
	v_div_fixup_f64 v[169:170], v[169:170], v[152:153], v[154:155]
	v_fma_f64 v[152:153], v[154:155], v[169:170], v[152:153]
	s_delay_alu instid0(VALU_DEP_1) | instskip(NEXT) | instid1(VALU_DEP_1)
	v_div_scale_f64 v[154:155], null, v[152:153], v[152:153], 1.0
	v_rcp_f64_e32 v[171:172], v[154:155]
	s_waitcnt_depctr 0xfff
	v_fma_f64 v[173:174], -v[154:155], v[171:172], 1.0
	s_delay_alu instid0(VALU_DEP_1) | instskip(NEXT) | instid1(VALU_DEP_1)
	v_fma_f64 v[171:172], v[171:172], v[173:174], v[171:172]
	v_fma_f64 v[173:174], -v[154:155], v[171:172], 1.0
	s_delay_alu instid0(VALU_DEP_1) | instskip(SKIP_1) | instid1(VALU_DEP_1)
	v_fma_f64 v[171:172], v[171:172], v[173:174], v[171:172]
	v_div_scale_f64 v[173:174], vcc_lo, 1.0, v[152:153], 1.0
	v_mul_f64 v[175:176], v[173:174], v[171:172]
	s_delay_alu instid0(VALU_DEP_1) | instskip(NEXT) | instid1(VALU_DEP_1)
	v_fma_f64 v[154:155], -v[154:155], v[175:176], v[173:174]
	v_div_fmas_f64 v[154:155], v[154:155], v[171:172], v[175:176]
	s_delay_alu instid0(VALU_DEP_1) | instskip(NEXT) | instid1(VALU_DEP_1)
	v_div_fixup_f64 v[152:153], v[154:155], v[152:153], 1.0
	v_mul_f64 v[154:155], v[169:170], -v[152:153]
.LBB74_93:
	s_or_b32 exec_lo, exec_lo, s2
.LBB74_94:
	s_delay_alu instid0(SALU_CYCLE_1) | instskip(NEXT) | instid1(SALU_CYCLE_1)
	s_or_b32 exec_lo, exec_lo, s3
	s_mov_b32 s2, exec_lo
	v_cmpx_ne_u32_e64 v168, v160
	s_xor_b32 s2, exec_lo, s2
	s_cbranch_execz .LBB74_100
; %bb.95:
	s_mov_b32 s3, exec_lo
	v_cmpx_eq_u32_e32 4, v168
	s_cbranch_execz .LBB74_99
; %bb.96:
	v_cmp_ne_u32_e32 vcc_lo, 4, v160
	s_xor_b32 s6, s4, -1
	s_delay_alu instid0(SALU_CYCLE_1) | instskip(NEXT) | instid1(SALU_CYCLE_1)
	s_and_b32 s7, s6, vcc_lo
	s_and_saveexec_b32 s6, s7
	s_cbranch_execz .LBB74_98
; %bb.97:
	v_ashrrev_i32_e32 v161, 31, v160
	s_delay_alu instid0(VALU_DEP_1) | instskip(NEXT) | instid1(VALU_DEP_1)
	v_lshlrev_b64 v[167:168], 2, v[160:161]
	v_add_co_u32 v167, vcc_lo, v158, v167
	s_delay_alu instid0(VALU_DEP_2)
	v_add_co_ci_u32_e32 v168, vcc_lo, v159, v168, vcc_lo
	s_clause 0x1
	flat_load_b32 v161, v[167:168]
	flat_load_b32 v169, v[158:159] offset:16
	s_waitcnt vmcnt(1) lgkmcnt(1)
	flat_store_b32 v[158:159], v161 offset:16
	s_waitcnt vmcnt(0) lgkmcnt(1)
	flat_store_b32 v[167:168], v169
.LBB74_98:
	s_or_b32 exec_lo, exec_lo, s6
	v_mov_b32_e32 v168, v160
	v_mov_b32_e32 v167, v160
.LBB74_99:
	s_or_b32 exec_lo, exec_lo, s3
.LBB74_100:
	s_and_not1_saveexec_b32 s2, s2
	s_cbranch_execz .LBB74_102
; %bb.101:
	v_mov_b32_e32 v168, 4
	ds_store_2addr_b64 v162, v[144:145], v[146:147] offset0:10 offset1:11
	ds_store_2addr_b64 v162, v[140:141], v[142:143] offset0:12 offset1:13
	ds_store_2addr_b64 v162, v[136:137], v[138:139] offset0:14 offset1:15
	ds_store_2addr_b64 v162, v[132:133], v[134:135] offset0:16 offset1:17
	ds_store_2addr_b64 v162, v[128:129], v[130:131] offset0:18 offset1:19
	ds_store_2addr_b64 v162, v[124:125], v[126:127] offset0:20 offset1:21
	ds_store_2addr_b64 v162, v[112:113], v[114:115] offset0:22 offset1:23
	ds_store_2addr_b64 v162, v[108:109], v[110:111] offset0:24 offset1:25
	ds_store_2addr_b64 v162, v[104:105], v[106:107] offset0:26 offset1:27
	ds_store_2addr_b64 v162, v[100:101], v[102:103] offset0:28 offset1:29
	ds_store_2addr_b64 v162, v[96:97], v[98:99] offset0:30 offset1:31
	ds_store_2addr_b64 v162, v[92:93], v[94:95] offset0:32 offset1:33
	ds_store_2addr_b64 v162, v[88:89], v[90:91] offset0:34 offset1:35
	ds_store_2addr_b64 v162, v[84:85], v[86:87] offset0:36 offset1:37
	ds_store_2addr_b64 v162, v[80:81], v[82:83] offset0:38 offset1:39
	ds_store_2addr_b64 v162, v[76:77], v[78:79] offset0:40 offset1:41
	ds_store_2addr_b64 v162, v[72:73], v[74:75] offset0:42 offset1:43
	ds_store_2addr_b64 v162, v[68:69], v[70:71] offset0:44 offset1:45
	ds_store_2addr_b64 v162, v[64:65], v[66:67] offset0:46 offset1:47
	ds_store_2addr_b64 v162, v[60:61], v[62:63] offset0:48 offset1:49
	ds_store_2addr_b64 v162, v[56:57], v[58:59] offset0:50 offset1:51
	ds_store_2addr_b64 v162, v[44:45], v[46:47] offset0:52 offset1:53
	ds_store_2addr_b64 v162, v[40:41], v[42:43] offset0:54 offset1:55
	ds_store_2addr_b64 v162, v[36:37], v[38:39] offset0:56 offset1:57
	ds_store_2addr_b64 v162, v[32:33], v[34:35] offset0:58 offset1:59
	ds_store_2addr_b64 v162, v[28:29], v[30:31] offset0:60 offset1:61
	ds_store_2addr_b64 v162, v[24:25], v[26:27] offset0:62 offset1:63
	ds_store_2addr_b64 v162, v[20:21], v[22:23] offset0:64 offset1:65
	ds_store_2addr_b64 v162, v[16:17], v[18:19] offset0:66 offset1:67
	ds_store_2addr_b64 v162, v[12:13], v[14:15] offset0:68 offset1:69
	ds_store_2addr_b64 v162, v[8:9], v[10:11] offset0:70 offset1:71
	ds_store_2addr_b64 v162, v[4:5], v[6:7] offset0:72 offset1:73
	ds_store_2addr_b64 v162, v[0:1], v[2:3] offset0:74 offset1:75
.LBB74_102:
	s_or_b32 exec_lo, exec_lo, s2
	s_delay_alu instid0(SALU_CYCLE_1)
	s_mov_b32 s2, exec_lo
	s_waitcnt lgkmcnt(0)
	s_waitcnt_vscnt null, 0x0
	s_barrier
	buffer_gl0_inv
	v_cmpx_lt_i32_e32 4, v168
	s_cbranch_execz .LBB74_104
; %bb.103:
	v_mul_f64 v[160:161], v[154:155], v[150:151]
	v_mul_f64 v[150:151], v[152:153], v[150:151]
	s_delay_alu instid0(VALU_DEP_2) | instskip(NEXT) | instid1(VALU_DEP_2)
	v_fma_f64 v[160:161], v[152:153], v[148:149], -v[160:161]
	v_fma_f64 v[150:151], v[154:155], v[148:149], v[150:151]
	ds_load_2addr_b64 v[152:155], v162 offset0:10 offset1:11
	s_waitcnt lgkmcnt(0)
	v_mul_f64 v[148:149], v[154:155], v[150:151]
	s_delay_alu instid0(VALU_DEP_1) | instskip(SKIP_1) | instid1(VALU_DEP_2)
	v_fma_f64 v[148:149], v[152:153], v[160:161], -v[148:149]
	v_mul_f64 v[152:153], v[152:153], v[150:151]
	v_add_f64 v[144:145], v[144:145], -v[148:149]
	s_delay_alu instid0(VALU_DEP_2) | instskip(NEXT) | instid1(VALU_DEP_1)
	v_fma_f64 v[152:153], v[154:155], v[160:161], v[152:153]
	v_add_f64 v[146:147], v[146:147], -v[152:153]
	ds_load_2addr_b64 v[152:155], v162 offset0:12 offset1:13
	s_waitcnt lgkmcnt(0)
	v_mul_f64 v[148:149], v[154:155], v[150:151]
	s_delay_alu instid0(VALU_DEP_1) | instskip(SKIP_1) | instid1(VALU_DEP_2)
	v_fma_f64 v[148:149], v[152:153], v[160:161], -v[148:149]
	v_mul_f64 v[152:153], v[152:153], v[150:151]
	v_add_f64 v[140:141], v[140:141], -v[148:149]
	s_delay_alu instid0(VALU_DEP_2) | instskip(NEXT) | instid1(VALU_DEP_1)
	v_fma_f64 v[152:153], v[154:155], v[160:161], v[152:153]
	v_add_f64 v[142:143], v[142:143], -v[152:153]
	;; [unrolled: 10-line block ×32, first 2 shown]
	ds_load_2addr_b64 v[152:155], v162 offset0:74 offset1:75
	s_waitcnt lgkmcnt(0)
	v_mul_f64 v[148:149], v[154:155], v[150:151]
	s_delay_alu instid0(VALU_DEP_1) | instskip(SKIP_1) | instid1(VALU_DEP_2)
	v_fma_f64 v[148:149], v[152:153], v[160:161], -v[148:149]
	v_mul_f64 v[152:153], v[152:153], v[150:151]
	v_add_f64 v[0:1], v[0:1], -v[148:149]
	s_delay_alu instid0(VALU_DEP_2) | instskip(SKIP_1) | instid1(VALU_DEP_2)
	v_fma_f64 v[152:153], v[154:155], v[160:161], v[152:153]
	v_dual_mov_b32 v148, v160 :: v_dual_mov_b32 v149, v161
	v_add_f64 v[2:3], v[2:3], -v[152:153]
.LBB74_104:
	s_or_b32 exec_lo, exec_lo, s2
	v_lshl_add_u32 v152, v168, 4, v162
	s_barrier
	buffer_gl0_inv
	v_mov_b32_e32 v160, 5
	ds_store_2addr_b64 v152, v[144:145], v[146:147] offset1:1
	s_waitcnt lgkmcnt(0)
	s_barrier
	buffer_gl0_inv
	ds_load_2addr_b64 v[152:155], v162 offset0:10 offset1:11
	s_cmp_lt_i32 s5, 7
	s_cbranch_scc1 .LBB74_107
; %bb.105:
	v_add3_u32 v161, v166, 0, 0x60
	v_mov_b32_e32 v160, 5
	s_mov_b32 s6, 6
	s_set_inst_prefetch_distance 0x1
	.p2align	6
.LBB74_106:                             ; =>This Inner Loop Header: Depth=1
	ds_load_2addr_b64 v[169:172], v161 offset1:1
	s_waitcnt lgkmcnt(1)
	v_cmp_gt_f64_e32 vcc_lo, 0, v[152:153]
	v_xor_b32_e32 v173, 0x80000000, v153
	v_cmp_gt_f64_e64 s2, 0, v[154:155]
	v_xor_b32_e32 v175, 0x80000000, v155
	v_add_nc_u32_e32 v161, 16, v161
	s_waitcnt lgkmcnt(0)
	v_cmp_gt_f64_e64 s3, 0, v[169:170]
	v_mov_b32_e32 v177, v169
	v_dual_mov_b32 v179, v171 :: v_dual_cndmask_b32 v174, v153, v173
	v_xor_b32_e32 v173, 0x80000000, v170
	v_cndmask_b32_e64 v176, v155, v175, s2
	v_xor_b32_e32 v175, 0x80000000, v172
	s_delay_alu instid0(VALU_DEP_3) | instskip(SKIP_2) | instid1(VALU_DEP_2)
	v_cndmask_b32_e64 v178, v170, v173, s3
	v_cmp_gt_f64_e64 s3, 0, v[171:172]
	v_cndmask_b32_e32 v173, v152, v152, vcc_lo
	v_cndmask_b32_e64 v180, v172, v175, s3
	v_cndmask_b32_e64 v175, v154, v154, s2
	s_delay_alu instid0(VALU_DEP_2) | instskip(NEXT) | instid1(VALU_DEP_2)
	v_add_f64 v[177:178], v[177:178], v[179:180]
	v_add_f64 v[173:174], v[173:174], v[175:176]
	s_delay_alu instid0(VALU_DEP_1) | instskip(SKIP_4) | instid1(SALU_CYCLE_1)
	v_cmp_lt_f64_e32 vcc_lo, v[173:174], v[177:178]
	v_dual_cndmask_b32 v154, v154, v171 :: v_dual_cndmask_b32 v153, v153, v170
	v_dual_cndmask_b32 v152, v152, v169 :: v_dual_cndmask_b32 v155, v155, v172
	v_cndmask_b32_e64 v160, v160, s6, vcc_lo
	s_add_i32 s6, s6, 1
	s_cmp_lg_u32 s5, s6
	s_cbranch_scc1 .LBB74_106
.LBB74_107:
	s_set_inst_prefetch_distance 0x2
	s_waitcnt lgkmcnt(0)
	v_cmp_eq_f64_e32 vcc_lo, 0, v[152:153]
	v_cmp_eq_f64_e64 s2, 0, v[154:155]
	s_delay_alu instid0(VALU_DEP_1) | instskip(NEXT) | instid1(SALU_CYCLE_1)
	s_and_b32 s2, vcc_lo, s2
	s_and_saveexec_b32 s3, s2
	s_delay_alu instid0(SALU_CYCLE_1)
	s_xor_b32 s2, exec_lo, s3
; %bb.108:
	v_cmp_ne_u32_e32 vcc_lo, 0, v165
	v_cndmask_b32_e32 v165, 6, v165, vcc_lo
; %bb.109:
	s_and_not1_saveexec_b32 s3, s2
	s_cbranch_execz .LBB74_115
; %bb.110:
	v_cmp_gt_f64_e32 vcc_lo, 0, v[152:153]
	v_cmp_gt_f64_e64 s2, 0, v[154:155]
	v_xor_b32_e32 v161, 0x80000000, v153
	v_xor_b32_e32 v169, 0x80000000, v155
	s_delay_alu instid0(VALU_DEP_2) | instskip(NEXT) | instid1(VALU_DEP_2)
	v_cndmask_b32_e32 v170, v153, v161, vcc_lo
	v_cndmask_b32_e64 v172, v155, v169, s2
	v_cndmask_b32_e32 v169, v152, v152, vcc_lo
	v_cndmask_b32_e64 v171, v154, v154, s2
	s_mov_b32 s2, exec_lo
	s_delay_alu instid0(VALU_DEP_1)
	v_cmpx_ngt_f64_e32 v[169:170], v[171:172]
	s_xor_b32 s2, exec_lo, s2
	s_cbranch_execz .LBB74_112
; %bb.111:
	v_div_scale_f64 v[169:170], null, v[154:155], v[154:155], v[152:153]
	v_div_scale_f64 v[175:176], vcc_lo, v[152:153], v[154:155], v[152:153]
	s_delay_alu instid0(VALU_DEP_2) | instskip(SKIP_2) | instid1(VALU_DEP_1)
	v_rcp_f64_e32 v[171:172], v[169:170]
	s_waitcnt_depctr 0xfff
	v_fma_f64 v[173:174], -v[169:170], v[171:172], 1.0
	v_fma_f64 v[171:172], v[171:172], v[173:174], v[171:172]
	s_delay_alu instid0(VALU_DEP_1) | instskip(NEXT) | instid1(VALU_DEP_1)
	v_fma_f64 v[173:174], -v[169:170], v[171:172], 1.0
	v_fma_f64 v[171:172], v[171:172], v[173:174], v[171:172]
	s_delay_alu instid0(VALU_DEP_1) | instskip(NEXT) | instid1(VALU_DEP_1)
	v_mul_f64 v[173:174], v[175:176], v[171:172]
	v_fma_f64 v[169:170], -v[169:170], v[173:174], v[175:176]
	s_delay_alu instid0(VALU_DEP_1) | instskip(NEXT) | instid1(VALU_DEP_1)
	v_div_fmas_f64 v[169:170], v[169:170], v[171:172], v[173:174]
	v_div_fixup_f64 v[169:170], v[169:170], v[154:155], v[152:153]
	s_delay_alu instid0(VALU_DEP_1) | instskip(NEXT) | instid1(VALU_DEP_1)
	v_fma_f64 v[152:153], v[152:153], v[169:170], v[154:155]
	v_div_scale_f64 v[154:155], null, v[152:153], v[152:153], 1.0
	s_delay_alu instid0(VALU_DEP_1) | instskip(SKIP_2) | instid1(VALU_DEP_1)
	v_rcp_f64_e32 v[171:172], v[154:155]
	s_waitcnt_depctr 0xfff
	v_fma_f64 v[173:174], -v[154:155], v[171:172], 1.0
	v_fma_f64 v[171:172], v[171:172], v[173:174], v[171:172]
	s_delay_alu instid0(VALU_DEP_1) | instskip(NEXT) | instid1(VALU_DEP_1)
	v_fma_f64 v[173:174], -v[154:155], v[171:172], 1.0
	v_fma_f64 v[171:172], v[171:172], v[173:174], v[171:172]
	v_div_scale_f64 v[173:174], vcc_lo, 1.0, v[152:153], 1.0
	s_delay_alu instid0(VALU_DEP_1) | instskip(NEXT) | instid1(VALU_DEP_1)
	v_mul_f64 v[175:176], v[173:174], v[171:172]
	v_fma_f64 v[154:155], -v[154:155], v[175:176], v[173:174]
	s_delay_alu instid0(VALU_DEP_1) | instskip(NEXT) | instid1(VALU_DEP_1)
	v_div_fmas_f64 v[154:155], v[154:155], v[171:172], v[175:176]
	v_div_fixup_f64 v[154:155], v[154:155], v[152:153], 1.0
	s_delay_alu instid0(VALU_DEP_1)
	v_mul_f64 v[152:153], v[169:170], v[154:155]
	v_xor_b32_e32 v155, 0x80000000, v155
.LBB74_112:
	s_and_not1_saveexec_b32 s2, s2
	s_cbranch_execz .LBB74_114
; %bb.113:
	s_delay_alu instid0(VALU_DEP_1) | instskip(SKIP_1) | instid1(VALU_DEP_2)
	v_div_scale_f64 v[169:170], null, v[152:153], v[152:153], v[154:155]
	v_div_scale_f64 v[175:176], vcc_lo, v[154:155], v[152:153], v[154:155]
	v_rcp_f64_e32 v[171:172], v[169:170]
	s_waitcnt_depctr 0xfff
	v_fma_f64 v[173:174], -v[169:170], v[171:172], 1.0
	s_delay_alu instid0(VALU_DEP_1) | instskip(NEXT) | instid1(VALU_DEP_1)
	v_fma_f64 v[171:172], v[171:172], v[173:174], v[171:172]
	v_fma_f64 v[173:174], -v[169:170], v[171:172], 1.0
	s_delay_alu instid0(VALU_DEP_1) | instskip(NEXT) | instid1(VALU_DEP_1)
	v_fma_f64 v[171:172], v[171:172], v[173:174], v[171:172]
	v_mul_f64 v[173:174], v[175:176], v[171:172]
	s_delay_alu instid0(VALU_DEP_1) | instskip(NEXT) | instid1(VALU_DEP_1)
	v_fma_f64 v[169:170], -v[169:170], v[173:174], v[175:176]
	v_div_fmas_f64 v[169:170], v[169:170], v[171:172], v[173:174]
	s_delay_alu instid0(VALU_DEP_1) | instskip(NEXT) | instid1(VALU_DEP_1)
	v_div_fixup_f64 v[169:170], v[169:170], v[152:153], v[154:155]
	v_fma_f64 v[152:153], v[154:155], v[169:170], v[152:153]
	s_delay_alu instid0(VALU_DEP_1) | instskip(NEXT) | instid1(VALU_DEP_1)
	v_div_scale_f64 v[154:155], null, v[152:153], v[152:153], 1.0
	v_rcp_f64_e32 v[171:172], v[154:155]
	s_waitcnt_depctr 0xfff
	v_fma_f64 v[173:174], -v[154:155], v[171:172], 1.0
	s_delay_alu instid0(VALU_DEP_1) | instskip(NEXT) | instid1(VALU_DEP_1)
	v_fma_f64 v[171:172], v[171:172], v[173:174], v[171:172]
	v_fma_f64 v[173:174], -v[154:155], v[171:172], 1.0
	s_delay_alu instid0(VALU_DEP_1) | instskip(SKIP_1) | instid1(VALU_DEP_1)
	v_fma_f64 v[171:172], v[171:172], v[173:174], v[171:172]
	v_div_scale_f64 v[173:174], vcc_lo, 1.0, v[152:153], 1.0
	v_mul_f64 v[175:176], v[173:174], v[171:172]
	s_delay_alu instid0(VALU_DEP_1) | instskip(NEXT) | instid1(VALU_DEP_1)
	v_fma_f64 v[154:155], -v[154:155], v[175:176], v[173:174]
	v_div_fmas_f64 v[154:155], v[154:155], v[171:172], v[175:176]
	s_delay_alu instid0(VALU_DEP_1) | instskip(NEXT) | instid1(VALU_DEP_1)
	v_div_fixup_f64 v[152:153], v[154:155], v[152:153], 1.0
	v_mul_f64 v[154:155], v[169:170], -v[152:153]
.LBB74_114:
	s_or_b32 exec_lo, exec_lo, s2
.LBB74_115:
	s_delay_alu instid0(SALU_CYCLE_1) | instskip(NEXT) | instid1(SALU_CYCLE_1)
	s_or_b32 exec_lo, exec_lo, s3
	s_mov_b32 s2, exec_lo
	v_cmpx_ne_u32_e64 v168, v160
	s_xor_b32 s2, exec_lo, s2
	s_cbranch_execz .LBB74_121
; %bb.116:
	s_mov_b32 s3, exec_lo
	v_cmpx_eq_u32_e32 5, v168
	s_cbranch_execz .LBB74_120
; %bb.117:
	v_cmp_ne_u32_e32 vcc_lo, 5, v160
	s_xor_b32 s6, s4, -1
	s_delay_alu instid0(SALU_CYCLE_1) | instskip(NEXT) | instid1(SALU_CYCLE_1)
	s_and_b32 s7, s6, vcc_lo
	s_and_saveexec_b32 s6, s7
	s_cbranch_execz .LBB74_119
; %bb.118:
	v_ashrrev_i32_e32 v161, 31, v160
	s_delay_alu instid0(VALU_DEP_1) | instskip(NEXT) | instid1(VALU_DEP_1)
	v_lshlrev_b64 v[167:168], 2, v[160:161]
	v_add_co_u32 v167, vcc_lo, v158, v167
	s_delay_alu instid0(VALU_DEP_2)
	v_add_co_ci_u32_e32 v168, vcc_lo, v159, v168, vcc_lo
	s_clause 0x1
	flat_load_b32 v161, v[167:168]
	flat_load_b32 v169, v[158:159] offset:20
	s_waitcnt vmcnt(1) lgkmcnt(1)
	flat_store_b32 v[158:159], v161 offset:20
	s_waitcnt vmcnt(0) lgkmcnt(1)
	flat_store_b32 v[167:168], v169
.LBB74_119:
	s_or_b32 exec_lo, exec_lo, s6
	v_mov_b32_e32 v168, v160
	v_mov_b32_e32 v167, v160
.LBB74_120:
	s_or_b32 exec_lo, exec_lo, s3
.LBB74_121:
	s_and_not1_saveexec_b32 s2, s2
	s_cbranch_execz .LBB74_123
; %bb.122:
	v_mov_b32_e32 v168, 5
	ds_store_2addr_b64 v162, v[140:141], v[142:143] offset0:12 offset1:13
	ds_store_2addr_b64 v162, v[136:137], v[138:139] offset0:14 offset1:15
	;; [unrolled: 1-line block ×32, first 2 shown]
.LBB74_123:
	s_or_b32 exec_lo, exec_lo, s2
	s_delay_alu instid0(SALU_CYCLE_1)
	s_mov_b32 s2, exec_lo
	s_waitcnt lgkmcnt(0)
	s_waitcnt_vscnt null, 0x0
	s_barrier
	buffer_gl0_inv
	v_cmpx_lt_i32_e32 5, v168
	s_cbranch_execz .LBB74_125
; %bb.124:
	v_mul_f64 v[160:161], v[154:155], v[146:147]
	v_mul_f64 v[146:147], v[152:153], v[146:147]
	s_delay_alu instid0(VALU_DEP_2) | instskip(NEXT) | instid1(VALU_DEP_2)
	v_fma_f64 v[160:161], v[152:153], v[144:145], -v[160:161]
	v_fma_f64 v[146:147], v[154:155], v[144:145], v[146:147]
	ds_load_2addr_b64 v[152:155], v162 offset0:12 offset1:13
	s_waitcnt lgkmcnt(0)
	v_mul_f64 v[144:145], v[154:155], v[146:147]
	s_delay_alu instid0(VALU_DEP_1) | instskip(SKIP_1) | instid1(VALU_DEP_2)
	v_fma_f64 v[144:145], v[152:153], v[160:161], -v[144:145]
	v_mul_f64 v[152:153], v[152:153], v[146:147]
	v_add_f64 v[140:141], v[140:141], -v[144:145]
	s_delay_alu instid0(VALU_DEP_2) | instskip(NEXT) | instid1(VALU_DEP_1)
	v_fma_f64 v[152:153], v[154:155], v[160:161], v[152:153]
	v_add_f64 v[142:143], v[142:143], -v[152:153]
	ds_load_2addr_b64 v[152:155], v162 offset0:14 offset1:15
	s_waitcnt lgkmcnt(0)
	v_mul_f64 v[144:145], v[154:155], v[146:147]
	s_delay_alu instid0(VALU_DEP_1) | instskip(SKIP_1) | instid1(VALU_DEP_2)
	v_fma_f64 v[144:145], v[152:153], v[160:161], -v[144:145]
	v_mul_f64 v[152:153], v[152:153], v[146:147]
	v_add_f64 v[136:137], v[136:137], -v[144:145]
	s_delay_alu instid0(VALU_DEP_2) | instskip(NEXT) | instid1(VALU_DEP_1)
	v_fma_f64 v[152:153], v[154:155], v[160:161], v[152:153]
	v_add_f64 v[138:139], v[138:139], -v[152:153]
	;; [unrolled: 10-line block ×31, first 2 shown]
	ds_load_2addr_b64 v[152:155], v162 offset0:74 offset1:75
	s_waitcnt lgkmcnt(0)
	v_mul_f64 v[144:145], v[154:155], v[146:147]
	s_delay_alu instid0(VALU_DEP_1) | instskip(SKIP_1) | instid1(VALU_DEP_2)
	v_fma_f64 v[144:145], v[152:153], v[160:161], -v[144:145]
	v_mul_f64 v[152:153], v[152:153], v[146:147]
	v_add_f64 v[0:1], v[0:1], -v[144:145]
	s_delay_alu instid0(VALU_DEP_2) | instskip(SKIP_1) | instid1(VALU_DEP_2)
	v_fma_f64 v[152:153], v[154:155], v[160:161], v[152:153]
	v_dual_mov_b32 v144, v160 :: v_dual_mov_b32 v145, v161
	v_add_f64 v[2:3], v[2:3], -v[152:153]
.LBB74_125:
	s_or_b32 exec_lo, exec_lo, s2
	v_lshl_add_u32 v152, v168, 4, v162
	s_barrier
	buffer_gl0_inv
	v_mov_b32_e32 v160, 6
	ds_store_2addr_b64 v152, v[140:141], v[142:143] offset1:1
	s_waitcnt lgkmcnt(0)
	s_barrier
	buffer_gl0_inv
	ds_load_2addr_b64 v[152:155], v162 offset0:12 offset1:13
	s_cmp_lt_i32 s5, 8
	s_cbranch_scc1 .LBB74_128
; %bb.126:
	v_add3_u32 v161, v166, 0, 0x70
	v_mov_b32_e32 v160, 6
	s_mov_b32 s6, 7
	s_set_inst_prefetch_distance 0x1
	.p2align	6
.LBB74_127:                             ; =>This Inner Loop Header: Depth=1
	ds_load_2addr_b64 v[169:172], v161 offset1:1
	s_waitcnt lgkmcnt(1)
	v_cmp_gt_f64_e32 vcc_lo, 0, v[152:153]
	v_xor_b32_e32 v173, 0x80000000, v153
	v_cmp_gt_f64_e64 s2, 0, v[154:155]
	v_xor_b32_e32 v175, 0x80000000, v155
	v_add_nc_u32_e32 v161, 16, v161
	s_waitcnt lgkmcnt(0)
	v_cmp_gt_f64_e64 s3, 0, v[169:170]
	v_mov_b32_e32 v177, v169
	v_dual_mov_b32 v179, v171 :: v_dual_cndmask_b32 v174, v153, v173
	v_xor_b32_e32 v173, 0x80000000, v170
	v_cndmask_b32_e64 v176, v155, v175, s2
	v_xor_b32_e32 v175, 0x80000000, v172
	s_delay_alu instid0(VALU_DEP_3) | instskip(SKIP_2) | instid1(VALU_DEP_2)
	v_cndmask_b32_e64 v178, v170, v173, s3
	v_cmp_gt_f64_e64 s3, 0, v[171:172]
	v_cndmask_b32_e32 v173, v152, v152, vcc_lo
	v_cndmask_b32_e64 v180, v172, v175, s3
	v_cndmask_b32_e64 v175, v154, v154, s2
	s_delay_alu instid0(VALU_DEP_2) | instskip(NEXT) | instid1(VALU_DEP_2)
	v_add_f64 v[177:178], v[177:178], v[179:180]
	v_add_f64 v[173:174], v[173:174], v[175:176]
	s_delay_alu instid0(VALU_DEP_1) | instskip(SKIP_4) | instid1(SALU_CYCLE_1)
	v_cmp_lt_f64_e32 vcc_lo, v[173:174], v[177:178]
	v_dual_cndmask_b32 v154, v154, v171 :: v_dual_cndmask_b32 v153, v153, v170
	v_dual_cndmask_b32 v152, v152, v169 :: v_dual_cndmask_b32 v155, v155, v172
	v_cndmask_b32_e64 v160, v160, s6, vcc_lo
	s_add_i32 s6, s6, 1
	s_cmp_lg_u32 s5, s6
	s_cbranch_scc1 .LBB74_127
.LBB74_128:
	s_set_inst_prefetch_distance 0x2
	s_waitcnt lgkmcnt(0)
	v_cmp_eq_f64_e32 vcc_lo, 0, v[152:153]
	v_cmp_eq_f64_e64 s2, 0, v[154:155]
	s_delay_alu instid0(VALU_DEP_1) | instskip(NEXT) | instid1(SALU_CYCLE_1)
	s_and_b32 s2, vcc_lo, s2
	s_and_saveexec_b32 s3, s2
	s_delay_alu instid0(SALU_CYCLE_1)
	s_xor_b32 s2, exec_lo, s3
; %bb.129:
	v_cmp_ne_u32_e32 vcc_lo, 0, v165
	v_cndmask_b32_e32 v165, 7, v165, vcc_lo
; %bb.130:
	s_and_not1_saveexec_b32 s3, s2
	s_cbranch_execz .LBB74_136
; %bb.131:
	v_cmp_gt_f64_e32 vcc_lo, 0, v[152:153]
	v_cmp_gt_f64_e64 s2, 0, v[154:155]
	v_xor_b32_e32 v161, 0x80000000, v153
	v_xor_b32_e32 v169, 0x80000000, v155
	s_delay_alu instid0(VALU_DEP_2) | instskip(NEXT) | instid1(VALU_DEP_2)
	v_cndmask_b32_e32 v170, v153, v161, vcc_lo
	v_cndmask_b32_e64 v172, v155, v169, s2
	v_cndmask_b32_e32 v169, v152, v152, vcc_lo
	v_cndmask_b32_e64 v171, v154, v154, s2
	s_mov_b32 s2, exec_lo
	s_delay_alu instid0(VALU_DEP_1)
	v_cmpx_ngt_f64_e32 v[169:170], v[171:172]
	s_xor_b32 s2, exec_lo, s2
	s_cbranch_execz .LBB74_133
; %bb.132:
	v_div_scale_f64 v[169:170], null, v[154:155], v[154:155], v[152:153]
	v_div_scale_f64 v[175:176], vcc_lo, v[152:153], v[154:155], v[152:153]
	s_delay_alu instid0(VALU_DEP_2) | instskip(SKIP_2) | instid1(VALU_DEP_1)
	v_rcp_f64_e32 v[171:172], v[169:170]
	s_waitcnt_depctr 0xfff
	v_fma_f64 v[173:174], -v[169:170], v[171:172], 1.0
	v_fma_f64 v[171:172], v[171:172], v[173:174], v[171:172]
	s_delay_alu instid0(VALU_DEP_1) | instskip(NEXT) | instid1(VALU_DEP_1)
	v_fma_f64 v[173:174], -v[169:170], v[171:172], 1.0
	v_fma_f64 v[171:172], v[171:172], v[173:174], v[171:172]
	s_delay_alu instid0(VALU_DEP_1) | instskip(NEXT) | instid1(VALU_DEP_1)
	v_mul_f64 v[173:174], v[175:176], v[171:172]
	v_fma_f64 v[169:170], -v[169:170], v[173:174], v[175:176]
	s_delay_alu instid0(VALU_DEP_1) | instskip(NEXT) | instid1(VALU_DEP_1)
	v_div_fmas_f64 v[169:170], v[169:170], v[171:172], v[173:174]
	v_div_fixup_f64 v[169:170], v[169:170], v[154:155], v[152:153]
	s_delay_alu instid0(VALU_DEP_1) | instskip(NEXT) | instid1(VALU_DEP_1)
	v_fma_f64 v[152:153], v[152:153], v[169:170], v[154:155]
	v_div_scale_f64 v[154:155], null, v[152:153], v[152:153], 1.0
	s_delay_alu instid0(VALU_DEP_1) | instskip(SKIP_2) | instid1(VALU_DEP_1)
	v_rcp_f64_e32 v[171:172], v[154:155]
	s_waitcnt_depctr 0xfff
	v_fma_f64 v[173:174], -v[154:155], v[171:172], 1.0
	v_fma_f64 v[171:172], v[171:172], v[173:174], v[171:172]
	s_delay_alu instid0(VALU_DEP_1) | instskip(NEXT) | instid1(VALU_DEP_1)
	v_fma_f64 v[173:174], -v[154:155], v[171:172], 1.0
	v_fma_f64 v[171:172], v[171:172], v[173:174], v[171:172]
	v_div_scale_f64 v[173:174], vcc_lo, 1.0, v[152:153], 1.0
	s_delay_alu instid0(VALU_DEP_1) | instskip(NEXT) | instid1(VALU_DEP_1)
	v_mul_f64 v[175:176], v[173:174], v[171:172]
	v_fma_f64 v[154:155], -v[154:155], v[175:176], v[173:174]
	s_delay_alu instid0(VALU_DEP_1) | instskip(NEXT) | instid1(VALU_DEP_1)
	v_div_fmas_f64 v[154:155], v[154:155], v[171:172], v[175:176]
	v_div_fixup_f64 v[154:155], v[154:155], v[152:153], 1.0
	s_delay_alu instid0(VALU_DEP_1)
	v_mul_f64 v[152:153], v[169:170], v[154:155]
	v_xor_b32_e32 v155, 0x80000000, v155
.LBB74_133:
	s_and_not1_saveexec_b32 s2, s2
	s_cbranch_execz .LBB74_135
; %bb.134:
	s_delay_alu instid0(VALU_DEP_1) | instskip(SKIP_1) | instid1(VALU_DEP_2)
	v_div_scale_f64 v[169:170], null, v[152:153], v[152:153], v[154:155]
	v_div_scale_f64 v[175:176], vcc_lo, v[154:155], v[152:153], v[154:155]
	v_rcp_f64_e32 v[171:172], v[169:170]
	s_waitcnt_depctr 0xfff
	v_fma_f64 v[173:174], -v[169:170], v[171:172], 1.0
	s_delay_alu instid0(VALU_DEP_1) | instskip(NEXT) | instid1(VALU_DEP_1)
	v_fma_f64 v[171:172], v[171:172], v[173:174], v[171:172]
	v_fma_f64 v[173:174], -v[169:170], v[171:172], 1.0
	s_delay_alu instid0(VALU_DEP_1) | instskip(NEXT) | instid1(VALU_DEP_1)
	v_fma_f64 v[171:172], v[171:172], v[173:174], v[171:172]
	v_mul_f64 v[173:174], v[175:176], v[171:172]
	s_delay_alu instid0(VALU_DEP_1) | instskip(NEXT) | instid1(VALU_DEP_1)
	v_fma_f64 v[169:170], -v[169:170], v[173:174], v[175:176]
	v_div_fmas_f64 v[169:170], v[169:170], v[171:172], v[173:174]
	s_delay_alu instid0(VALU_DEP_1) | instskip(NEXT) | instid1(VALU_DEP_1)
	v_div_fixup_f64 v[169:170], v[169:170], v[152:153], v[154:155]
	v_fma_f64 v[152:153], v[154:155], v[169:170], v[152:153]
	s_delay_alu instid0(VALU_DEP_1) | instskip(NEXT) | instid1(VALU_DEP_1)
	v_div_scale_f64 v[154:155], null, v[152:153], v[152:153], 1.0
	v_rcp_f64_e32 v[171:172], v[154:155]
	s_waitcnt_depctr 0xfff
	v_fma_f64 v[173:174], -v[154:155], v[171:172], 1.0
	s_delay_alu instid0(VALU_DEP_1) | instskip(NEXT) | instid1(VALU_DEP_1)
	v_fma_f64 v[171:172], v[171:172], v[173:174], v[171:172]
	v_fma_f64 v[173:174], -v[154:155], v[171:172], 1.0
	s_delay_alu instid0(VALU_DEP_1) | instskip(SKIP_1) | instid1(VALU_DEP_1)
	v_fma_f64 v[171:172], v[171:172], v[173:174], v[171:172]
	v_div_scale_f64 v[173:174], vcc_lo, 1.0, v[152:153], 1.0
	v_mul_f64 v[175:176], v[173:174], v[171:172]
	s_delay_alu instid0(VALU_DEP_1) | instskip(NEXT) | instid1(VALU_DEP_1)
	v_fma_f64 v[154:155], -v[154:155], v[175:176], v[173:174]
	v_div_fmas_f64 v[154:155], v[154:155], v[171:172], v[175:176]
	s_delay_alu instid0(VALU_DEP_1) | instskip(NEXT) | instid1(VALU_DEP_1)
	v_div_fixup_f64 v[152:153], v[154:155], v[152:153], 1.0
	v_mul_f64 v[154:155], v[169:170], -v[152:153]
.LBB74_135:
	s_or_b32 exec_lo, exec_lo, s2
.LBB74_136:
	s_delay_alu instid0(SALU_CYCLE_1) | instskip(NEXT) | instid1(SALU_CYCLE_1)
	s_or_b32 exec_lo, exec_lo, s3
	s_mov_b32 s2, exec_lo
	v_cmpx_ne_u32_e64 v168, v160
	s_xor_b32 s2, exec_lo, s2
	s_cbranch_execz .LBB74_142
; %bb.137:
	s_mov_b32 s3, exec_lo
	v_cmpx_eq_u32_e32 6, v168
	s_cbranch_execz .LBB74_141
; %bb.138:
	v_cmp_ne_u32_e32 vcc_lo, 6, v160
	s_xor_b32 s6, s4, -1
	s_delay_alu instid0(SALU_CYCLE_1) | instskip(NEXT) | instid1(SALU_CYCLE_1)
	s_and_b32 s7, s6, vcc_lo
	s_and_saveexec_b32 s6, s7
	s_cbranch_execz .LBB74_140
; %bb.139:
	v_ashrrev_i32_e32 v161, 31, v160
	s_delay_alu instid0(VALU_DEP_1) | instskip(NEXT) | instid1(VALU_DEP_1)
	v_lshlrev_b64 v[167:168], 2, v[160:161]
	v_add_co_u32 v167, vcc_lo, v158, v167
	s_delay_alu instid0(VALU_DEP_2)
	v_add_co_ci_u32_e32 v168, vcc_lo, v159, v168, vcc_lo
	s_clause 0x1
	flat_load_b32 v161, v[167:168]
	flat_load_b32 v169, v[158:159] offset:24
	s_waitcnt vmcnt(1) lgkmcnt(1)
	flat_store_b32 v[158:159], v161 offset:24
	s_waitcnt vmcnt(0) lgkmcnt(1)
	flat_store_b32 v[167:168], v169
.LBB74_140:
	s_or_b32 exec_lo, exec_lo, s6
	v_mov_b32_e32 v168, v160
	v_mov_b32_e32 v167, v160
.LBB74_141:
	s_or_b32 exec_lo, exec_lo, s3
.LBB74_142:
	s_and_not1_saveexec_b32 s2, s2
	s_cbranch_execz .LBB74_144
; %bb.143:
	v_mov_b32_e32 v168, 6
	ds_store_2addr_b64 v162, v[136:137], v[138:139] offset0:14 offset1:15
	ds_store_2addr_b64 v162, v[132:133], v[134:135] offset0:16 offset1:17
	;; [unrolled: 1-line block ×31, first 2 shown]
.LBB74_144:
	s_or_b32 exec_lo, exec_lo, s2
	s_delay_alu instid0(SALU_CYCLE_1)
	s_mov_b32 s2, exec_lo
	s_waitcnt lgkmcnt(0)
	s_waitcnt_vscnt null, 0x0
	s_barrier
	buffer_gl0_inv
	v_cmpx_lt_i32_e32 6, v168
	s_cbranch_execz .LBB74_146
; %bb.145:
	v_mul_f64 v[160:161], v[154:155], v[142:143]
	v_mul_f64 v[142:143], v[152:153], v[142:143]
	s_delay_alu instid0(VALU_DEP_2) | instskip(NEXT) | instid1(VALU_DEP_2)
	v_fma_f64 v[160:161], v[152:153], v[140:141], -v[160:161]
	v_fma_f64 v[142:143], v[154:155], v[140:141], v[142:143]
	ds_load_2addr_b64 v[152:155], v162 offset0:14 offset1:15
	s_waitcnt lgkmcnt(0)
	v_mul_f64 v[140:141], v[154:155], v[142:143]
	s_delay_alu instid0(VALU_DEP_1) | instskip(SKIP_1) | instid1(VALU_DEP_2)
	v_fma_f64 v[140:141], v[152:153], v[160:161], -v[140:141]
	v_mul_f64 v[152:153], v[152:153], v[142:143]
	v_add_f64 v[136:137], v[136:137], -v[140:141]
	s_delay_alu instid0(VALU_DEP_2) | instskip(NEXT) | instid1(VALU_DEP_1)
	v_fma_f64 v[152:153], v[154:155], v[160:161], v[152:153]
	v_add_f64 v[138:139], v[138:139], -v[152:153]
	ds_load_2addr_b64 v[152:155], v162 offset0:16 offset1:17
	s_waitcnt lgkmcnt(0)
	v_mul_f64 v[140:141], v[154:155], v[142:143]
	s_delay_alu instid0(VALU_DEP_1) | instskip(SKIP_1) | instid1(VALU_DEP_2)
	v_fma_f64 v[140:141], v[152:153], v[160:161], -v[140:141]
	v_mul_f64 v[152:153], v[152:153], v[142:143]
	v_add_f64 v[132:133], v[132:133], -v[140:141]
	s_delay_alu instid0(VALU_DEP_2) | instskip(NEXT) | instid1(VALU_DEP_1)
	v_fma_f64 v[152:153], v[154:155], v[160:161], v[152:153]
	v_add_f64 v[134:135], v[134:135], -v[152:153]
	;; [unrolled: 10-line block ×30, first 2 shown]
	ds_load_2addr_b64 v[152:155], v162 offset0:74 offset1:75
	s_waitcnt lgkmcnt(0)
	v_mul_f64 v[140:141], v[154:155], v[142:143]
	s_delay_alu instid0(VALU_DEP_1) | instskip(SKIP_1) | instid1(VALU_DEP_2)
	v_fma_f64 v[140:141], v[152:153], v[160:161], -v[140:141]
	v_mul_f64 v[152:153], v[152:153], v[142:143]
	v_add_f64 v[0:1], v[0:1], -v[140:141]
	s_delay_alu instid0(VALU_DEP_2) | instskip(SKIP_1) | instid1(VALU_DEP_2)
	v_fma_f64 v[152:153], v[154:155], v[160:161], v[152:153]
	v_dual_mov_b32 v140, v160 :: v_dual_mov_b32 v141, v161
	v_add_f64 v[2:3], v[2:3], -v[152:153]
.LBB74_146:
	s_or_b32 exec_lo, exec_lo, s2
	v_lshl_add_u32 v152, v168, 4, v162
	s_barrier
	buffer_gl0_inv
	v_mov_b32_e32 v160, 7
	ds_store_2addr_b64 v152, v[136:137], v[138:139] offset1:1
	s_waitcnt lgkmcnt(0)
	s_barrier
	buffer_gl0_inv
	ds_load_2addr_b64 v[152:155], v162 offset0:14 offset1:15
	s_cmp_lt_i32 s5, 9
	s_cbranch_scc1 .LBB74_149
; %bb.147:
	v_add3_u32 v161, v166, 0, 0x80
	v_mov_b32_e32 v160, 7
	s_mov_b32 s6, 8
	s_set_inst_prefetch_distance 0x1
	.p2align	6
.LBB74_148:                             ; =>This Inner Loop Header: Depth=1
	ds_load_2addr_b64 v[169:172], v161 offset1:1
	s_waitcnt lgkmcnt(1)
	v_cmp_gt_f64_e32 vcc_lo, 0, v[152:153]
	v_xor_b32_e32 v173, 0x80000000, v153
	v_cmp_gt_f64_e64 s2, 0, v[154:155]
	v_xor_b32_e32 v175, 0x80000000, v155
	v_add_nc_u32_e32 v161, 16, v161
	s_waitcnt lgkmcnt(0)
	v_cmp_gt_f64_e64 s3, 0, v[169:170]
	v_mov_b32_e32 v177, v169
	v_dual_mov_b32 v179, v171 :: v_dual_cndmask_b32 v174, v153, v173
	v_xor_b32_e32 v173, 0x80000000, v170
	v_cndmask_b32_e64 v176, v155, v175, s2
	v_xor_b32_e32 v175, 0x80000000, v172
	s_delay_alu instid0(VALU_DEP_3) | instskip(SKIP_2) | instid1(VALU_DEP_2)
	v_cndmask_b32_e64 v178, v170, v173, s3
	v_cmp_gt_f64_e64 s3, 0, v[171:172]
	v_cndmask_b32_e32 v173, v152, v152, vcc_lo
	v_cndmask_b32_e64 v180, v172, v175, s3
	v_cndmask_b32_e64 v175, v154, v154, s2
	s_delay_alu instid0(VALU_DEP_2) | instskip(NEXT) | instid1(VALU_DEP_2)
	v_add_f64 v[177:178], v[177:178], v[179:180]
	v_add_f64 v[173:174], v[173:174], v[175:176]
	s_delay_alu instid0(VALU_DEP_1) | instskip(SKIP_4) | instid1(SALU_CYCLE_1)
	v_cmp_lt_f64_e32 vcc_lo, v[173:174], v[177:178]
	v_dual_cndmask_b32 v154, v154, v171 :: v_dual_cndmask_b32 v153, v153, v170
	v_dual_cndmask_b32 v152, v152, v169 :: v_dual_cndmask_b32 v155, v155, v172
	v_cndmask_b32_e64 v160, v160, s6, vcc_lo
	s_add_i32 s6, s6, 1
	s_cmp_lg_u32 s5, s6
	s_cbranch_scc1 .LBB74_148
.LBB74_149:
	s_set_inst_prefetch_distance 0x2
	s_waitcnt lgkmcnt(0)
	v_cmp_eq_f64_e32 vcc_lo, 0, v[152:153]
	v_cmp_eq_f64_e64 s2, 0, v[154:155]
	s_delay_alu instid0(VALU_DEP_1) | instskip(NEXT) | instid1(SALU_CYCLE_1)
	s_and_b32 s2, vcc_lo, s2
	s_and_saveexec_b32 s3, s2
	s_delay_alu instid0(SALU_CYCLE_1)
	s_xor_b32 s2, exec_lo, s3
; %bb.150:
	v_cmp_ne_u32_e32 vcc_lo, 0, v165
	v_cndmask_b32_e32 v165, 8, v165, vcc_lo
; %bb.151:
	s_and_not1_saveexec_b32 s3, s2
	s_cbranch_execz .LBB74_157
; %bb.152:
	v_cmp_gt_f64_e32 vcc_lo, 0, v[152:153]
	v_cmp_gt_f64_e64 s2, 0, v[154:155]
	v_xor_b32_e32 v161, 0x80000000, v153
	v_xor_b32_e32 v169, 0x80000000, v155
	s_delay_alu instid0(VALU_DEP_2) | instskip(NEXT) | instid1(VALU_DEP_2)
	v_cndmask_b32_e32 v170, v153, v161, vcc_lo
	v_cndmask_b32_e64 v172, v155, v169, s2
	v_cndmask_b32_e32 v169, v152, v152, vcc_lo
	v_cndmask_b32_e64 v171, v154, v154, s2
	s_mov_b32 s2, exec_lo
	s_delay_alu instid0(VALU_DEP_1)
	v_cmpx_ngt_f64_e32 v[169:170], v[171:172]
	s_xor_b32 s2, exec_lo, s2
	s_cbranch_execz .LBB74_154
; %bb.153:
	v_div_scale_f64 v[169:170], null, v[154:155], v[154:155], v[152:153]
	v_div_scale_f64 v[175:176], vcc_lo, v[152:153], v[154:155], v[152:153]
	s_delay_alu instid0(VALU_DEP_2) | instskip(SKIP_2) | instid1(VALU_DEP_1)
	v_rcp_f64_e32 v[171:172], v[169:170]
	s_waitcnt_depctr 0xfff
	v_fma_f64 v[173:174], -v[169:170], v[171:172], 1.0
	v_fma_f64 v[171:172], v[171:172], v[173:174], v[171:172]
	s_delay_alu instid0(VALU_DEP_1) | instskip(NEXT) | instid1(VALU_DEP_1)
	v_fma_f64 v[173:174], -v[169:170], v[171:172], 1.0
	v_fma_f64 v[171:172], v[171:172], v[173:174], v[171:172]
	s_delay_alu instid0(VALU_DEP_1) | instskip(NEXT) | instid1(VALU_DEP_1)
	v_mul_f64 v[173:174], v[175:176], v[171:172]
	v_fma_f64 v[169:170], -v[169:170], v[173:174], v[175:176]
	s_delay_alu instid0(VALU_DEP_1) | instskip(NEXT) | instid1(VALU_DEP_1)
	v_div_fmas_f64 v[169:170], v[169:170], v[171:172], v[173:174]
	v_div_fixup_f64 v[169:170], v[169:170], v[154:155], v[152:153]
	s_delay_alu instid0(VALU_DEP_1) | instskip(NEXT) | instid1(VALU_DEP_1)
	v_fma_f64 v[152:153], v[152:153], v[169:170], v[154:155]
	v_div_scale_f64 v[154:155], null, v[152:153], v[152:153], 1.0
	s_delay_alu instid0(VALU_DEP_1) | instskip(SKIP_2) | instid1(VALU_DEP_1)
	v_rcp_f64_e32 v[171:172], v[154:155]
	s_waitcnt_depctr 0xfff
	v_fma_f64 v[173:174], -v[154:155], v[171:172], 1.0
	v_fma_f64 v[171:172], v[171:172], v[173:174], v[171:172]
	s_delay_alu instid0(VALU_DEP_1) | instskip(NEXT) | instid1(VALU_DEP_1)
	v_fma_f64 v[173:174], -v[154:155], v[171:172], 1.0
	v_fma_f64 v[171:172], v[171:172], v[173:174], v[171:172]
	v_div_scale_f64 v[173:174], vcc_lo, 1.0, v[152:153], 1.0
	s_delay_alu instid0(VALU_DEP_1) | instskip(NEXT) | instid1(VALU_DEP_1)
	v_mul_f64 v[175:176], v[173:174], v[171:172]
	v_fma_f64 v[154:155], -v[154:155], v[175:176], v[173:174]
	s_delay_alu instid0(VALU_DEP_1) | instskip(NEXT) | instid1(VALU_DEP_1)
	v_div_fmas_f64 v[154:155], v[154:155], v[171:172], v[175:176]
	v_div_fixup_f64 v[154:155], v[154:155], v[152:153], 1.0
	s_delay_alu instid0(VALU_DEP_1)
	v_mul_f64 v[152:153], v[169:170], v[154:155]
	v_xor_b32_e32 v155, 0x80000000, v155
.LBB74_154:
	s_and_not1_saveexec_b32 s2, s2
	s_cbranch_execz .LBB74_156
; %bb.155:
	s_delay_alu instid0(VALU_DEP_1) | instskip(SKIP_1) | instid1(VALU_DEP_2)
	v_div_scale_f64 v[169:170], null, v[152:153], v[152:153], v[154:155]
	v_div_scale_f64 v[175:176], vcc_lo, v[154:155], v[152:153], v[154:155]
	v_rcp_f64_e32 v[171:172], v[169:170]
	s_waitcnt_depctr 0xfff
	v_fma_f64 v[173:174], -v[169:170], v[171:172], 1.0
	s_delay_alu instid0(VALU_DEP_1) | instskip(NEXT) | instid1(VALU_DEP_1)
	v_fma_f64 v[171:172], v[171:172], v[173:174], v[171:172]
	v_fma_f64 v[173:174], -v[169:170], v[171:172], 1.0
	s_delay_alu instid0(VALU_DEP_1) | instskip(NEXT) | instid1(VALU_DEP_1)
	v_fma_f64 v[171:172], v[171:172], v[173:174], v[171:172]
	v_mul_f64 v[173:174], v[175:176], v[171:172]
	s_delay_alu instid0(VALU_DEP_1) | instskip(NEXT) | instid1(VALU_DEP_1)
	v_fma_f64 v[169:170], -v[169:170], v[173:174], v[175:176]
	v_div_fmas_f64 v[169:170], v[169:170], v[171:172], v[173:174]
	s_delay_alu instid0(VALU_DEP_1) | instskip(NEXT) | instid1(VALU_DEP_1)
	v_div_fixup_f64 v[169:170], v[169:170], v[152:153], v[154:155]
	v_fma_f64 v[152:153], v[154:155], v[169:170], v[152:153]
	s_delay_alu instid0(VALU_DEP_1) | instskip(NEXT) | instid1(VALU_DEP_1)
	v_div_scale_f64 v[154:155], null, v[152:153], v[152:153], 1.0
	v_rcp_f64_e32 v[171:172], v[154:155]
	s_waitcnt_depctr 0xfff
	v_fma_f64 v[173:174], -v[154:155], v[171:172], 1.0
	s_delay_alu instid0(VALU_DEP_1) | instskip(NEXT) | instid1(VALU_DEP_1)
	v_fma_f64 v[171:172], v[171:172], v[173:174], v[171:172]
	v_fma_f64 v[173:174], -v[154:155], v[171:172], 1.0
	s_delay_alu instid0(VALU_DEP_1) | instskip(SKIP_1) | instid1(VALU_DEP_1)
	v_fma_f64 v[171:172], v[171:172], v[173:174], v[171:172]
	v_div_scale_f64 v[173:174], vcc_lo, 1.0, v[152:153], 1.0
	v_mul_f64 v[175:176], v[173:174], v[171:172]
	s_delay_alu instid0(VALU_DEP_1) | instskip(NEXT) | instid1(VALU_DEP_1)
	v_fma_f64 v[154:155], -v[154:155], v[175:176], v[173:174]
	v_div_fmas_f64 v[154:155], v[154:155], v[171:172], v[175:176]
	s_delay_alu instid0(VALU_DEP_1) | instskip(NEXT) | instid1(VALU_DEP_1)
	v_div_fixup_f64 v[152:153], v[154:155], v[152:153], 1.0
	v_mul_f64 v[154:155], v[169:170], -v[152:153]
.LBB74_156:
	s_or_b32 exec_lo, exec_lo, s2
.LBB74_157:
	s_delay_alu instid0(SALU_CYCLE_1) | instskip(NEXT) | instid1(SALU_CYCLE_1)
	s_or_b32 exec_lo, exec_lo, s3
	s_mov_b32 s2, exec_lo
	v_cmpx_ne_u32_e64 v168, v160
	s_xor_b32 s2, exec_lo, s2
	s_cbranch_execz .LBB74_163
; %bb.158:
	s_mov_b32 s3, exec_lo
	v_cmpx_eq_u32_e32 7, v168
	s_cbranch_execz .LBB74_162
; %bb.159:
	v_cmp_ne_u32_e32 vcc_lo, 7, v160
	s_xor_b32 s6, s4, -1
	s_delay_alu instid0(SALU_CYCLE_1) | instskip(NEXT) | instid1(SALU_CYCLE_1)
	s_and_b32 s7, s6, vcc_lo
	s_and_saveexec_b32 s6, s7
	s_cbranch_execz .LBB74_161
; %bb.160:
	v_ashrrev_i32_e32 v161, 31, v160
	s_delay_alu instid0(VALU_DEP_1) | instskip(NEXT) | instid1(VALU_DEP_1)
	v_lshlrev_b64 v[167:168], 2, v[160:161]
	v_add_co_u32 v167, vcc_lo, v158, v167
	s_delay_alu instid0(VALU_DEP_2)
	v_add_co_ci_u32_e32 v168, vcc_lo, v159, v168, vcc_lo
	s_clause 0x1
	flat_load_b32 v161, v[167:168]
	flat_load_b32 v169, v[158:159] offset:28
	s_waitcnt vmcnt(1) lgkmcnt(1)
	flat_store_b32 v[158:159], v161 offset:28
	s_waitcnt vmcnt(0) lgkmcnt(1)
	flat_store_b32 v[167:168], v169
.LBB74_161:
	s_or_b32 exec_lo, exec_lo, s6
	v_mov_b32_e32 v168, v160
	v_mov_b32_e32 v167, v160
.LBB74_162:
	s_or_b32 exec_lo, exec_lo, s3
.LBB74_163:
	s_and_not1_saveexec_b32 s2, s2
	s_cbranch_execz .LBB74_165
; %bb.164:
	v_mov_b32_e32 v168, 7
	ds_store_2addr_b64 v162, v[132:133], v[134:135] offset0:16 offset1:17
	ds_store_2addr_b64 v162, v[128:129], v[130:131] offset0:18 offset1:19
	;; [unrolled: 1-line block ×30, first 2 shown]
.LBB74_165:
	s_or_b32 exec_lo, exec_lo, s2
	s_delay_alu instid0(SALU_CYCLE_1)
	s_mov_b32 s2, exec_lo
	s_waitcnt lgkmcnt(0)
	s_waitcnt_vscnt null, 0x0
	s_barrier
	buffer_gl0_inv
	v_cmpx_lt_i32_e32 7, v168
	s_cbranch_execz .LBB74_167
; %bb.166:
	v_mul_f64 v[160:161], v[154:155], v[138:139]
	v_mul_f64 v[138:139], v[152:153], v[138:139]
	s_delay_alu instid0(VALU_DEP_2) | instskip(NEXT) | instid1(VALU_DEP_2)
	v_fma_f64 v[160:161], v[152:153], v[136:137], -v[160:161]
	v_fma_f64 v[138:139], v[154:155], v[136:137], v[138:139]
	ds_load_2addr_b64 v[152:155], v162 offset0:16 offset1:17
	s_waitcnt lgkmcnt(0)
	v_mul_f64 v[136:137], v[154:155], v[138:139]
	s_delay_alu instid0(VALU_DEP_1) | instskip(SKIP_1) | instid1(VALU_DEP_2)
	v_fma_f64 v[136:137], v[152:153], v[160:161], -v[136:137]
	v_mul_f64 v[152:153], v[152:153], v[138:139]
	v_add_f64 v[132:133], v[132:133], -v[136:137]
	s_delay_alu instid0(VALU_DEP_2) | instskip(NEXT) | instid1(VALU_DEP_1)
	v_fma_f64 v[152:153], v[154:155], v[160:161], v[152:153]
	v_add_f64 v[134:135], v[134:135], -v[152:153]
	ds_load_2addr_b64 v[152:155], v162 offset0:18 offset1:19
	s_waitcnt lgkmcnt(0)
	v_mul_f64 v[136:137], v[154:155], v[138:139]
	s_delay_alu instid0(VALU_DEP_1) | instskip(SKIP_1) | instid1(VALU_DEP_2)
	v_fma_f64 v[136:137], v[152:153], v[160:161], -v[136:137]
	v_mul_f64 v[152:153], v[152:153], v[138:139]
	v_add_f64 v[128:129], v[128:129], -v[136:137]
	s_delay_alu instid0(VALU_DEP_2) | instskip(NEXT) | instid1(VALU_DEP_1)
	v_fma_f64 v[152:153], v[154:155], v[160:161], v[152:153]
	v_add_f64 v[130:131], v[130:131], -v[152:153]
	;; [unrolled: 10-line block ×29, first 2 shown]
	ds_load_2addr_b64 v[152:155], v162 offset0:74 offset1:75
	s_waitcnt lgkmcnt(0)
	v_mul_f64 v[136:137], v[154:155], v[138:139]
	s_delay_alu instid0(VALU_DEP_1) | instskip(SKIP_1) | instid1(VALU_DEP_2)
	v_fma_f64 v[136:137], v[152:153], v[160:161], -v[136:137]
	v_mul_f64 v[152:153], v[152:153], v[138:139]
	v_add_f64 v[0:1], v[0:1], -v[136:137]
	s_delay_alu instid0(VALU_DEP_2) | instskip(SKIP_1) | instid1(VALU_DEP_2)
	v_fma_f64 v[152:153], v[154:155], v[160:161], v[152:153]
	v_dual_mov_b32 v136, v160 :: v_dual_mov_b32 v137, v161
	v_add_f64 v[2:3], v[2:3], -v[152:153]
.LBB74_167:
	s_or_b32 exec_lo, exec_lo, s2
	v_lshl_add_u32 v152, v168, 4, v162
	s_barrier
	buffer_gl0_inv
	v_mov_b32_e32 v160, 8
	ds_store_2addr_b64 v152, v[132:133], v[134:135] offset1:1
	s_waitcnt lgkmcnt(0)
	s_barrier
	buffer_gl0_inv
	ds_load_2addr_b64 v[152:155], v162 offset0:16 offset1:17
	s_cmp_lt_i32 s5, 10
	s_cbranch_scc1 .LBB74_170
; %bb.168:
	v_add3_u32 v161, v166, 0, 0x90
	v_mov_b32_e32 v160, 8
	s_mov_b32 s6, 9
	s_set_inst_prefetch_distance 0x1
	.p2align	6
.LBB74_169:                             ; =>This Inner Loop Header: Depth=1
	ds_load_2addr_b64 v[169:172], v161 offset1:1
	s_waitcnt lgkmcnt(1)
	v_cmp_gt_f64_e32 vcc_lo, 0, v[152:153]
	v_xor_b32_e32 v173, 0x80000000, v153
	v_cmp_gt_f64_e64 s2, 0, v[154:155]
	v_xor_b32_e32 v175, 0x80000000, v155
	v_add_nc_u32_e32 v161, 16, v161
	s_waitcnt lgkmcnt(0)
	v_cmp_gt_f64_e64 s3, 0, v[169:170]
	v_mov_b32_e32 v177, v169
	v_dual_mov_b32 v179, v171 :: v_dual_cndmask_b32 v174, v153, v173
	v_xor_b32_e32 v173, 0x80000000, v170
	v_cndmask_b32_e64 v176, v155, v175, s2
	v_xor_b32_e32 v175, 0x80000000, v172
	s_delay_alu instid0(VALU_DEP_3) | instskip(SKIP_2) | instid1(VALU_DEP_2)
	v_cndmask_b32_e64 v178, v170, v173, s3
	v_cmp_gt_f64_e64 s3, 0, v[171:172]
	v_cndmask_b32_e32 v173, v152, v152, vcc_lo
	v_cndmask_b32_e64 v180, v172, v175, s3
	v_cndmask_b32_e64 v175, v154, v154, s2
	s_delay_alu instid0(VALU_DEP_2) | instskip(NEXT) | instid1(VALU_DEP_2)
	v_add_f64 v[177:178], v[177:178], v[179:180]
	v_add_f64 v[173:174], v[173:174], v[175:176]
	s_delay_alu instid0(VALU_DEP_1) | instskip(SKIP_4) | instid1(SALU_CYCLE_1)
	v_cmp_lt_f64_e32 vcc_lo, v[173:174], v[177:178]
	v_dual_cndmask_b32 v154, v154, v171 :: v_dual_cndmask_b32 v153, v153, v170
	v_dual_cndmask_b32 v152, v152, v169 :: v_dual_cndmask_b32 v155, v155, v172
	v_cndmask_b32_e64 v160, v160, s6, vcc_lo
	s_add_i32 s6, s6, 1
	s_cmp_lg_u32 s5, s6
	s_cbranch_scc1 .LBB74_169
.LBB74_170:
	s_set_inst_prefetch_distance 0x2
	s_waitcnt lgkmcnt(0)
	v_cmp_eq_f64_e32 vcc_lo, 0, v[152:153]
	v_cmp_eq_f64_e64 s2, 0, v[154:155]
	s_delay_alu instid0(VALU_DEP_1) | instskip(NEXT) | instid1(SALU_CYCLE_1)
	s_and_b32 s2, vcc_lo, s2
	s_and_saveexec_b32 s3, s2
	s_delay_alu instid0(SALU_CYCLE_1)
	s_xor_b32 s2, exec_lo, s3
; %bb.171:
	v_cmp_ne_u32_e32 vcc_lo, 0, v165
	v_cndmask_b32_e32 v165, 9, v165, vcc_lo
; %bb.172:
	s_and_not1_saveexec_b32 s3, s2
	s_cbranch_execz .LBB74_178
; %bb.173:
	v_cmp_gt_f64_e32 vcc_lo, 0, v[152:153]
	v_cmp_gt_f64_e64 s2, 0, v[154:155]
	v_xor_b32_e32 v161, 0x80000000, v153
	v_xor_b32_e32 v169, 0x80000000, v155
	s_delay_alu instid0(VALU_DEP_2) | instskip(NEXT) | instid1(VALU_DEP_2)
	v_cndmask_b32_e32 v170, v153, v161, vcc_lo
	v_cndmask_b32_e64 v172, v155, v169, s2
	v_cndmask_b32_e32 v169, v152, v152, vcc_lo
	v_cndmask_b32_e64 v171, v154, v154, s2
	s_mov_b32 s2, exec_lo
	s_delay_alu instid0(VALU_DEP_1)
	v_cmpx_ngt_f64_e32 v[169:170], v[171:172]
	s_xor_b32 s2, exec_lo, s2
	s_cbranch_execz .LBB74_175
; %bb.174:
	v_div_scale_f64 v[169:170], null, v[154:155], v[154:155], v[152:153]
	v_div_scale_f64 v[175:176], vcc_lo, v[152:153], v[154:155], v[152:153]
	s_delay_alu instid0(VALU_DEP_2) | instskip(SKIP_2) | instid1(VALU_DEP_1)
	v_rcp_f64_e32 v[171:172], v[169:170]
	s_waitcnt_depctr 0xfff
	v_fma_f64 v[173:174], -v[169:170], v[171:172], 1.0
	v_fma_f64 v[171:172], v[171:172], v[173:174], v[171:172]
	s_delay_alu instid0(VALU_DEP_1) | instskip(NEXT) | instid1(VALU_DEP_1)
	v_fma_f64 v[173:174], -v[169:170], v[171:172], 1.0
	v_fma_f64 v[171:172], v[171:172], v[173:174], v[171:172]
	s_delay_alu instid0(VALU_DEP_1) | instskip(NEXT) | instid1(VALU_DEP_1)
	v_mul_f64 v[173:174], v[175:176], v[171:172]
	v_fma_f64 v[169:170], -v[169:170], v[173:174], v[175:176]
	s_delay_alu instid0(VALU_DEP_1) | instskip(NEXT) | instid1(VALU_DEP_1)
	v_div_fmas_f64 v[169:170], v[169:170], v[171:172], v[173:174]
	v_div_fixup_f64 v[169:170], v[169:170], v[154:155], v[152:153]
	s_delay_alu instid0(VALU_DEP_1) | instskip(NEXT) | instid1(VALU_DEP_1)
	v_fma_f64 v[152:153], v[152:153], v[169:170], v[154:155]
	v_div_scale_f64 v[154:155], null, v[152:153], v[152:153], 1.0
	s_delay_alu instid0(VALU_DEP_1) | instskip(SKIP_2) | instid1(VALU_DEP_1)
	v_rcp_f64_e32 v[171:172], v[154:155]
	s_waitcnt_depctr 0xfff
	v_fma_f64 v[173:174], -v[154:155], v[171:172], 1.0
	v_fma_f64 v[171:172], v[171:172], v[173:174], v[171:172]
	s_delay_alu instid0(VALU_DEP_1) | instskip(NEXT) | instid1(VALU_DEP_1)
	v_fma_f64 v[173:174], -v[154:155], v[171:172], 1.0
	v_fma_f64 v[171:172], v[171:172], v[173:174], v[171:172]
	v_div_scale_f64 v[173:174], vcc_lo, 1.0, v[152:153], 1.0
	s_delay_alu instid0(VALU_DEP_1) | instskip(NEXT) | instid1(VALU_DEP_1)
	v_mul_f64 v[175:176], v[173:174], v[171:172]
	v_fma_f64 v[154:155], -v[154:155], v[175:176], v[173:174]
	s_delay_alu instid0(VALU_DEP_1) | instskip(NEXT) | instid1(VALU_DEP_1)
	v_div_fmas_f64 v[154:155], v[154:155], v[171:172], v[175:176]
	v_div_fixup_f64 v[154:155], v[154:155], v[152:153], 1.0
	s_delay_alu instid0(VALU_DEP_1)
	v_mul_f64 v[152:153], v[169:170], v[154:155]
	v_xor_b32_e32 v155, 0x80000000, v155
.LBB74_175:
	s_and_not1_saveexec_b32 s2, s2
	s_cbranch_execz .LBB74_177
; %bb.176:
	s_delay_alu instid0(VALU_DEP_1) | instskip(SKIP_1) | instid1(VALU_DEP_2)
	v_div_scale_f64 v[169:170], null, v[152:153], v[152:153], v[154:155]
	v_div_scale_f64 v[175:176], vcc_lo, v[154:155], v[152:153], v[154:155]
	v_rcp_f64_e32 v[171:172], v[169:170]
	s_waitcnt_depctr 0xfff
	v_fma_f64 v[173:174], -v[169:170], v[171:172], 1.0
	s_delay_alu instid0(VALU_DEP_1) | instskip(NEXT) | instid1(VALU_DEP_1)
	v_fma_f64 v[171:172], v[171:172], v[173:174], v[171:172]
	v_fma_f64 v[173:174], -v[169:170], v[171:172], 1.0
	s_delay_alu instid0(VALU_DEP_1) | instskip(NEXT) | instid1(VALU_DEP_1)
	v_fma_f64 v[171:172], v[171:172], v[173:174], v[171:172]
	v_mul_f64 v[173:174], v[175:176], v[171:172]
	s_delay_alu instid0(VALU_DEP_1) | instskip(NEXT) | instid1(VALU_DEP_1)
	v_fma_f64 v[169:170], -v[169:170], v[173:174], v[175:176]
	v_div_fmas_f64 v[169:170], v[169:170], v[171:172], v[173:174]
	s_delay_alu instid0(VALU_DEP_1) | instskip(NEXT) | instid1(VALU_DEP_1)
	v_div_fixup_f64 v[169:170], v[169:170], v[152:153], v[154:155]
	v_fma_f64 v[152:153], v[154:155], v[169:170], v[152:153]
	s_delay_alu instid0(VALU_DEP_1) | instskip(NEXT) | instid1(VALU_DEP_1)
	v_div_scale_f64 v[154:155], null, v[152:153], v[152:153], 1.0
	v_rcp_f64_e32 v[171:172], v[154:155]
	s_waitcnt_depctr 0xfff
	v_fma_f64 v[173:174], -v[154:155], v[171:172], 1.0
	s_delay_alu instid0(VALU_DEP_1) | instskip(NEXT) | instid1(VALU_DEP_1)
	v_fma_f64 v[171:172], v[171:172], v[173:174], v[171:172]
	v_fma_f64 v[173:174], -v[154:155], v[171:172], 1.0
	s_delay_alu instid0(VALU_DEP_1) | instskip(SKIP_1) | instid1(VALU_DEP_1)
	v_fma_f64 v[171:172], v[171:172], v[173:174], v[171:172]
	v_div_scale_f64 v[173:174], vcc_lo, 1.0, v[152:153], 1.0
	v_mul_f64 v[175:176], v[173:174], v[171:172]
	s_delay_alu instid0(VALU_DEP_1) | instskip(NEXT) | instid1(VALU_DEP_1)
	v_fma_f64 v[154:155], -v[154:155], v[175:176], v[173:174]
	v_div_fmas_f64 v[154:155], v[154:155], v[171:172], v[175:176]
	s_delay_alu instid0(VALU_DEP_1) | instskip(NEXT) | instid1(VALU_DEP_1)
	v_div_fixup_f64 v[152:153], v[154:155], v[152:153], 1.0
	v_mul_f64 v[154:155], v[169:170], -v[152:153]
.LBB74_177:
	s_or_b32 exec_lo, exec_lo, s2
.LBB74_178:
	s_delay_alu instid0(SALU_CYCLE_1) | instskip(NEXT) | instid1(SALU_CYCLE_1)
	s_or_b32 exec_lo, exec_lo, s3
	s_mov_b32 s2, exec_lo
	v_cmpx_ne_u32_e64 v168, v160
	s_xor_b32 s2, exec_lo, s2
	s_cbranch_execz .LBB74_184
; %bb.179:
	s_mov_b32 s3, exec_lo
	v_cmpx_eq_u32_e32 8, v168
	s_cbranch_execz .LBB74_183
; %bb.180:
	v_cmp_ne_u32_e32 vcc_lo, 8, v160
	s_xor_b32 s6, s4, -1
	s_delay_alu instid0(SALU_CYCLE_1) | instskip(NEXT) | instid1(SALU_CYCLE_1)
	s_and_b32 s7, s6, vcc_lo
	s_and_saveexec_b32 s6, s7
	s_cbranch_execz .LBB74_182
; %bb.181:
	v_ashrrev_i32_e32 v161, 31, v160
	s_delay_alu instid0(VALU_DEP_1) | instskip(NEXT) | instid1(VALU_DEP_1)
	v_lshlrev_b64 v[167:168], 2, v[160:161]
	v_add_co_u32 v167, vcc_lo, v158, v167
	s_delay_alu instid0(VALU_DEP_2)
	v_add_co_ci_u32_e32 v168, vcc_lo, v159, v168, vcc_lo
	s_clause 0x1
	flat_load_b32 v161, v[167:168]
	flat_load_b32 v169, v[158:159] offset:32
	s_waitcnt vmcnt(1) lgkmcnt(1)
	flat_store_b32 v[158:159], v161 offset:32
	s_waitcnt vmcnt(0) lgkmcnt(1)
	flat_store_b32 v[167:168], v169
.LBB74_182:
	s_or_b32 exec_lo, exec_lo, s6
	v_mov_b32_e32 v168, v160
	v_mov_b32_e32 v167, v160
.LBB74_183:
	s_or_b32 exec_lo, exec_lo, s3
.LBB74_184:
	s_and_not1_saveexec_b32 s2, s2
	s_cbranch_execz .LBB74_186
; %bb.185:
	v_mov_b32_e32 v168, 8
	ds_store_2addr_b64 v162, v[128:129], v[130:131] offset0:18 offset1:19
	ds_store_2addr_b64 v162, v[124:125], v[126:127] offset0:20 offset1:21
	ds_store_2addr_b64 v162, v[112:113], v[114:115] offset0:22 offset1:23
	ds_store_2addr_b64 v162, v[108:109], v[110:111] offset0:24 offset1:25
	ds_store_2addr_b64 v162, v[104:105], v[106:107] offset0:26 offset1:27
	ds_store_2addr_b64 v162, v[100:101], v[102:103] offset0:28 offset1:29
	ds_store_2addr_b64 v162, v[96:97], v[98:99] offset0:30 offset1:31
	ds_store_2addr_b64 v162, v[92:93], v[94:95] offset0:32 offset1:33
	ds_store_2addr_b64 v162, v[88:89], v[90:91] offset0:34 offset1:35
	ds_store_2addr_b64 v162, v[84:85], v[86:87] offset0:36 offset1:37
	ds_store_2addr_b64 v162, v[80:81], v[82:83] offset0:38 offset1:39
	ds_store_2addr_b64 v162, v[76:77], v[78:79] offset0:40 offset1:41
	ds_store_2addr_b64 v162, v[72:73], v[74:75] offset0:42 offset1:43
	ds_store_2addr_b64 v162, v[68:69], v[70:71] offset0:44 offset1:45
	ds_store_2addr_b64 v162, v[64:65], v[66:67] offset0:46 offset1:47
	ds_store_2addr_b64 v162, v[60:61], v[62:63] offset0:48 offset1:49
	ds_store_2addr_b64 v162, v[56:57], v[58:59] offset0:50 offset1:51
	ds_store_2addr_b64 v162, v[44:45], v[46:47] offset0:52 offset1:53
	ds_store_2addr_b64 v162, v[40:41], v[42:43] offset0:54 offset1:55
	ds_store_2addr_b64 v162, v[36:37], v[38:39] offset0:56 offset1:57
	ds_store_2addr_b64 v162, v[32:33], v[34:35] offset0:58 offset1:59
	ds_store_2addr_b64 v162, v[28:29], v[30:31] offset0:60 offset1:61
	ds_store_2addr_b64 v162, v[24:25], v[26:27] offset0:62 offset1:63
	ds_store_2addr_b64 v162, v[20:21], v[22:23] offset0:64 offset1:65
	ds_store_2addr_b64 v162, v[16:17], v[18:19] offset0:66 offset1:67
	ds_store_2addr_b64 v162, v[12:13], v[14:15] offset0:68 offset1:69
	ds_store_2addr_b64 v162, v[8:9], v[10:11] offset0:70 offset1:71
	ds_store_2addr_b64 v162, v[4:5], v[6:7] offset0:72 offset1:73
	ds_store_2addr_b64 v162, v[0:1], v[2:3] offset0:74 offset1:75
.LBB74_186:
	s_or_b32 exec_lo, exec_lo, s2
	s_delay_alu instid0(SALU_CYCLE_1)
	s_mov_b32 s2, exec_lo
	s_waitcnt lgkmcnt(0)
	s_waitcnt_vscnt null, 0x0
	s_barrier
	buffer_gl0_inv
	v_cmpx_lt_i32_e32 8, v168
	s_cbranch_execz .LBB74_188
; %bb.187:
	v_mul_f64 v[160:161], v[154:155], v[134:135]
	v_mul_f64 v[134:135], v[152:153], v[134:135]
	s_delay_alu instid0(VALU_DEP_2) | instskip(NEXT) | instid1(VALU_DEP_2)
	v_fma_f64 v[160:161], v[152:153], v[132:133], -v[160:161]
	v_fma_f64 v[134:135], v[154:155], v[132:133], v[134:135]
	ds_load_2addr_b64 v[152:155], v162 offset0:18 offset1:19
	s_waitcnt lgkmcnt(0)
	v_mul_f64 v[132:133], v[154:155], v[134:135]
	s_delay_alu instid0(VALU_DEP_1) | instskip(SKIP_1) | instid1(VALU_DEP_2)
	v_fma_f64 v[132:133], v[152:153], v[160:161], -v[132:133]
	v_mul_f64 v[152:153], v[152:153], v[134:135]
	v_add_f64 v[128:129], v[128:129], -v[132:133]
	s_delay_alu instid0(VALU_DEP_2) | instskip(NEXT) | instid1(VALU_DEP_1)
	v_fma_f64 v[152:153], v[154:155], v[160:161], v[152:153]
	v_add_f64 v[130:131], v[130:131], -v[152:153]
	ds_load_2addr_b64 v[152:155], v162 offset0:20 offset1:21
	s_waitcnt lgkmcnt(0)
	v_mul_f64 v[132:133], v[154:155], v[134:135]
	s_delay_alu instid0(VALU_DEP_1) | instskip(SKIP_1) | instid1(VALU_DEP_2)
	v_fma_f64 v[132:133], v[152:153], v[160:161], -v[132:133]
	v_mul_f64 v[152:153], v[152:153], v[134:135]
	v_add_f64 v[124:125], v[124:125], -v[132:133]
	s_delay_alu instid0(VALU_DEP_2) | instskip(NEXT) | instid1(VALU_DEP_1)
	v_fma_f64 v[152:153], v[154:155], v[160:161], v[152:153]
	v_add_f64 v[126:127], v[126:127], -v[152:153]
	ds_load_2addr_b64 v[152:155], v162 offset0:22 offset1:23
	s_waitcnt lgkmcnt(0)
	v_mul_f64 v[132:133], v[154:155], v[134:135]
	s_delay_alu instid0(VALU_DEP_1) | instskip(SKIP_1) | instid1(VALU_DEP_2)
	v_fma_f64 v[132:133], v[152:153], v[160:161], -v[132:133]
	v_mul_f64 v[152:153], v[152:153], v[134:135]
	v_add_f64 v[112:113], v[112:113], -v[132:133]
	s_delay_alu instid0(VALU_DEP_2) | instskip(NEXT) | instid1(VALU_DEP_1)
	v_fma_f64 v[152:153], v[154:155], v[160:161], v[152:153]
	v_add_f64 v[114:115], v[114:115], -v[152:153]
	ds_load_2addr_b64 v[152:155], v162 offset0:24 offset1:25
	s_waitcnt lgkmcnt(0)
	v_mul_f64 v[132:133], v[154:155], v[134:135]
	s_delay_alu instid0(VALU_DEP_1) | instskip(SKIP_1) | instid1(VALU_DEP_2)
	v_fma_f64 v[132:133], v[152:153], v[160:161], -v[132:133]
	v_mul_f64 v[152:153], v[152:153], v[134:135]
	v_add_f64 v[108:109], v[108:109], -v[132:133]
	s_delay_alu instid0(VALU_DEP_2) | instskip(NEXT) | instid1(VALU_DEP_1)
	v_fma_f64 v[152:153], v[154:155], v[160:161], v[152:153]
	v_add_f64 v[110:111], v[110:111], -v[152:153]
	ds_load_2addr_b64 v[152:155], v162 offset0:26 offset1:27
	s_waitcnt lgkmcnt(0)
	v_mul_f64 v[132:133], v[154:155], v[134:135]
	s_delay_alu instid0(VALU_DEP_1) | instskip(SKIP_1) | instid1(VALU_DEP_2)
	v_fma_f64 v[132:133], v[152:153], v[160:161], -v[132:133]
	v_mul_f64 v[152:153], v[152:153], v[134:135]
	v_add_f64 v[104:105], v[104:105], -v[132:133]
	s_delay_alu instid0(VALU_DEP_2) | instskip(NEXT) | instid1(VALU_DEP_1)
	v_fma_f64 v[152:153], v[154:155], v[160:161], v[152:153]
	v_add_f64 v[106:107], v[106:107], -v[152:153]
	ds_load_2addr_b64 v[152:155], v162 offset0:28 offset1:29
	s_waitcnt lgkmcnt(0)
	v_mul_f64 v[132:133], v[154:155], v[134:135]
	s_delay_alu instid0(VALU_DEP_1) | instskip(SKIP_1) | instid1(VALU_DEP_2)
	v_fma_f64 v[132:133], v[152:153], v[160:161], -v[132:133]
	v_mul_f64 v[152:153], v[152:153], v[134:135]
	v_add_f64 v[100:101], v[100:101], -v[132:133]
	s_delay_alu instid0(VALU_DEP_2) | instskip(NEXT) | instid1(VALU_DEP_1)
	v_fma_f64 v[152:153], v[154:155], v[160:161], v[152:153]
	v_add_f64 v[102:103], v[102:103], -v[152:153]
	ds_load_2addr_b64 v[152:155], v162 offset0:30 offset1:31
	s_waitcnt lgkmcnt(0)
	v_mul_f64 v[132:133], v[154:155], v[134:135]
	s_delay_alu instid0(VALU_DEP_1) | instskip(SKIP_1) | instid1(VALU_DEP_2)
	v_fma_f64 v[132:133], v[152:153], v[160:161], -v[132:133]
	v_mul_f64 v[152:153], v[152:153], v[134:135]
	v_add_f64 v[96:97], v[96:97], -v[132:133]
	s_delay_alu instid0(VALU_DEP_2) | instskip(NEXT) | instid1(VALU_DEP_1)
	v_fma_f64 v[152:153], v[154:155], v[160:161], v[152:153]
	v_add_f64 v[98:99], v[98:99], -v[152:153]
	ds_load_2addr_b64 v[152:155], v162 offset0:32 offset1:33
	s_waitcnt lgkmcnt(0)
	v_mul_f64 v[132:133], v[154:155], v[134:135]
	s_delay_alu instid0(VALU_DEP_1) | instskip(SKIP_1) | instid1(VALU_DEP_2)
	v_fma_f64 v[132:133], v[152:153], v[160:161], -v[132:133]
	v_mul_f64 v[152:153], v[152:153], v[134:135]
	v_add_f64 v[92:93], v[92:93], -v[132:133]
	s_delay_alu instid0(VALU_DEP_2) | instskip(NEXT) | instid1(VALU_DEP_1)
	v_fma_f64 v[152:153], v[154:155], v[160:161], v[152:153]
	v_add_f64 v[94:95], v[94:95], -v[152:153]
	ds_load_2addr_b64 v[152:155], v162 offset0:34 offset1:35
	s_waitcnt lgkmcnt(0)
	v_mul_f64 v[132:133], v[154:155], v[134:135]
	s_delay_alu instid0(VALU_DEP_1) | instskip(SKIP_1) | instid1(VALU_DEP_2)
	v_fma_f64 v[132:133], v[152:153], v[160:161], -v[132:133]
	v_mul_f64 v[152:153], v[152:153], v[134:135]
	v_add_f64 v[88:89], v[88:89], -v[132:133]
	s_delay_alu instid0(VALU_DEP_2) | instskip(NEXT) | instid1(VALU_DEP_1)
	v_fma_f64 v[152:153], v[154:155], v[160:161], v[152:153]
	v_add_f64 v[90:91], v[90:91], -v[152:153]
	ds_load_2addr_b64 v[152:155], v162 offset0:36 offset1:37
	s_waitcnt lgkmcnt(0)
	v_mul_f64 v[132:133], v[154:155], v[134:135]
	s_delay_alu instid0(VALU_DEP_1) | instskip(SKIP_1) | instid1(VALU_DEP_2)
	v_fma_f64 v[132:133], v[152:153], v[160:161], -v[132:133]
	v_mul_f64 v[152:153], v[152:153], v[134:135]
	v_add_f64 v[84:85], v[84:85], -v[132:133]
	s_delay_alu instid0(VALU_DEP_2) | instskip(NEXT) | instid1(VALU_DEP_1)
	v_fma_f64 v[152:153], v[154:155], v[160:161], v[152:153]
	v_add_f64 v[86:87], v[86:87], -v[152:153]
	ds_load_2addr_b64 v[152:155], v162 offset0:38 offset1:39
	s_waitcnt lgkmcnt(0)
	v_mul_f64 v[132:133], v[154:155], v[134:135]
	s_delay_alu instid0(VALU_DEP_1) | instskip(SKIP_1) | instid1(VALU_DEP_2)
	v_fma_f64 v[132:133], v[152:153], v[160:161], -v[132:133]
	v_mul_f64 v[152:153], v[152:153], v[134:135]
	v_add_f64 v[80:81], v[80:81], -v[132:133]
	s_delay_alu instid0(VALU_DEP_2) | instskip(NEXT) | instid1(VALU_DEP_1)
	v_fma_f64 v[152:153], v[154:155], v[160:161], v[152:153]
	v_add_f64 v[82:83], v[82:83], -v[152:153]
	ds_load_2addr_b64 v[152:155], v162 offset0:40 offset1:41
	s_waitcnt lgkmcnt(0)
	v_mul_f64 v[132:133], v[154:155], v[134:135]
	s_delay_alu instid0(VALU_DEP_1) | instskip(SKIP_1) | instid1(VALU_DEP_2)
	v_fma_f64 v[132:133], v[152:153], v[160:161], -v[132:133]
	v_mul_f64 v[152:153], v[152:153], v[134:135]
	v_add_f64 v[76:77], v[76:77], -v[132:133]
	s_delay_alu instid0(VALU_DEP_2) | instskip(NEXT) | instid1(VALU_DEP_1)
	v_fma_f64 v[152:153], v[154:155], v[160:161], v[152:153]
	v_add_f64 v[78:79], v[78:79], -v[152:153]
	ds_load_2addr_b64 v[152:155], v162 offset0:42 offset1:43
	s_waitcnt lgkmcnt(0)
	v_mul_f64 v[132:133], v[154:155], v[134:135]
	s_delay_alu instid0(VALU_DEP_1) | instskip(SKIP_1) | instid1(VALU_DEP_2)
	v_fma_f64 v[132:133], v[152:153], v[160:161], -v[132:133]
	v_mul_f64 v[152:153], v[152:153], v[134:135]
	v_add_f64 v[72:73], v[72:73], -v[132:133]
	s_delay_alu instid0(VALU_DEP_2) | instskip(NEXT) | instid1(VALU_DEP_1)
	v_fma_f64 v[152:153], v[154:155], v[160:161], v[152:153]
	v_add_f64 v[74:75], v[74:75], -v[152:153]
	ds_load_2addr_b64 v[152:155], v162 offset0:44 offset1:45
	s_waitcnt lgkmcnt(0)
	v_mul_f64 v[132:133], v[154:155], v[134:135]
	s_delay_alu instid0(VALU_DEP_1) | instskip(SKIP_1) | instid1(VALU_DEP_2)
	v_fma_f64 v[132:133], v[152:153], v[160:161], -v[132:133]
	v_mul_f64 v[152:153], v[152:153], v[134:135]
	v_add_f64 v[68:69], v[68:69], -v[132:133]
	s_delay_alu instid0(VALU_DEP_2) | instskip(NEXT) | instid1(VALU_DEP_1)
	v_fma_f64 v[152:153], v[154:155], v[160:161], v[152:153]
	v_add_f64 v[70:71], v[70:71], -v[152:153]
	ds_load_2addr_b64 v[152:155], v162 offset0:46 offset1:47
	s_waitcnt lgkmcnt(0)
	v_mul_f64 v[132:133], v[154:155], v[134:135]
	s_delay_alu instid0(VALU_DEP_1) | instskip(SKIP_1) | instid1(VALU_DEP_2)
	v_fma_f64 v[132:133], v[152:153], v[160:161], -v[132:133]
	v_mul_f64 v[152:153], v[152:153], v[134:135]
	v_add_f64 v[64:65], v[64:65], -v[132:133]
	s_delay_alu instid0(VALU_DEP_2) | instskip(NEXT) | instid1(VALU_DEP_1)
	v_fma_f64 v[152:153], v[154:155], v[160:161], v[152:153]
	v_add_f64 v[66:67], v[66:67], -v[152:153]
	ds_load_2addr_b64 v[152:155], v162 offset0:48 offset1:49
	s_waitcnt lgkmcnt(0)
	v_mul_f64 v[132:133], v[154:155], v[134:135]
	s_delay_alu instid0(VALU_DEP_1) | instskip(SKIP_1) | instid1(VALU_DEP_2)
	v_fma_f64 v[132:133], v[152:153], v[160:161], -v[132:133]
	v_mul_f64 v[152:153], v[152:153], v[134:135]
	v_add_f64 v[60:61], v[60:61], -v[132:133]
	s_delay_alu instid0(VALU_DEP_2) | instskip(NEXT) | instid1(VALU_DEP_1)
	v_fma_f64 v[152:153], v[154:155], v[160:161], v[152:153]
	v_add_f64 v[62:63], v[62:63], -v[152:153]
	ds_load_2addr_b64 v[152:155], v162 offset0:50 offset1:51
	s_waitcnt lgkmcnt(0)
	v_mul_f64 v[132:133], v[154:155], v[134:135]
	s_delay_alu instid0(VALU_DEP_1) | instskip(SKIP_1) | instid1(VALU_DEP_2)
	v_fma_f64 v[132:133], v[152:153], v[160:161], -v[132:133]
	v_mul_f64 v[152:153], v[152:153], v[134:135]
	v_add_f64 v[56:57], v[56:57], -v[132:133]
	s_delay_alu instid0(VALU_DEP_2) | instskip(NEXT) | instid1(VALU_DEP_1)
	v_fma_f64 v[152:153], v[154:155], v[160:161], v[152:153]
	v_add_f64 v[58:59], v[58:59], -v[152:153]
	ds_load_2addr_b64 v[152:155], v162 offset0:52 offset1:53
	s_waitcnt lgkmcnt(0)
	v_mul_f64 v[132:133], v[154:155], v[134:135]
	s_delay_alu instid0(VALU_DEP_1) | instskip(SKIP_1) | instid1(VALU_DEP_2)
	v_fma_f64 v[132:133], v[152:153], v[160:161], -v[132:133]
	v_mul_f64 v[152:153], v[152:153], v[134:135]
	v_add_f64 v[44:45], v[44:45], -v[132:133]
	s_delay_alu instid0(VALU_DEP_2) | instskip(NEXT) | instid1(VALU_DEP_1)
	v_fma_f64 v[152:153], v[154:155], v[160:161], v[152:153]
	v_add_f64 v[46:47], v[46:47], -v[152:153]
	ds_load_2addr_b64 v[152:155], v162 offset0:54 offset1:55
	s_waitcnt lgkmcnt(0)
	v_mul_f64 v[132:133], v[154:155], v[134:135]
	s_delay_alu instid0(VALU_DEP_1) | instskip(SKIP_1) | instid1(VALU_DEP_2)
	v_fma_f64 v[132:133], v[152:153], v[160:161], -v[132:133]
	v_mul_f64 v[152:153], v[152:153], v[134:135]
	v_add_f64 v[40:41], v[40:41], -v[132:133]
	s_delay_alu instid0(VALU_DEP_2) | instskip(NEXT) | instid1(VALU_DEP_1)
	v_fma_f64 v[152:153], v[154:155], v[160:161], v[152:153]
	v_add_f64 v[42:43], v[42:43], -v[152:153]
	ds_load_2addr_b64 v[152:155], v162 offset0:56 offset1:57
	s_waitcnt lgkmcnt(0)
	v_mul_f64 v[132:133], v[154:155], v[134:135]
	s_delay_alu instid0(VALU_DEP_1) | instskip(SKIP_1) | instid1(VALU_DEP_2)
	v_fma_f64 v[132:133], v[152:153], v[160:161], -v[132:133]
	v_mul_f64 v[152:153], v[152:153], v[134:135]
	v_add_f64 v[36:37], v[36:37], -v[132:133]
	s_delay_alu instid0(VALU_DEP_2) | instskip(NEXT) | instid1(VALU_DEP_1)
	v_fma_f64 v[152:153], v[154:155], v[160:161], v[152:153]
	v_add_f64 v[38:39], v[38:39], -v[152:153]
	ds_load_2addr_b64 v[152:155], v162 offset0:58 offset1:59
	s_waitcnt lgkmcnt(0)
	v_mul_f64 v[132:133], v[154:155], v[134:135]
	s_delay_alu instid0(VALU_DEP_1) | instskip(SKIP_1) | instid1(VALU_DEP_2)
	v_fma_f64 v[132:133], v[152:153], v[160:161], -v[132:133]
	v_mul_f64 v[152:153], v[152:153], v[134:135]
	v_add_f64 v[32:33], v[32:33], -v[132:133]
	s_delay_alu instid0(VALU_DEP_2) | instskip(NEXT) | instid1(VALU_DEP_1)
	v_fma_f64 v[152:153], v[154:155], v[160:161], v[152:153]
	v_add_f64 v[34:35], v[34:35], -v[152:153]
	ds_load_2addr_b64 v[152:155], v162 offset0:60 offset1:61
	s_waitcnt lgkmcnt(0)
	v_mul_f64 v[132:133], v[154:155], v[134:135]
	s_delay_alu instid0(VALU_DEP_1) | instskip(SKIP_1) | instid1(VALU_DEP_2)
	v_fma_f64 v[132:133], v[152:153], v[160:161], -v[132:133]
	v_mul_f64 v[152:153], v[152:153], v[134:135]
	v_add_f64 v[28:29], v[28:29], -v[132:133]
	s_delay_alu instid0(VALU_DEP_2) | instskip(NEXT) | instid1(VALU_DEP_1)
	v_fma_f64 v[152:153], v[154:155], v[160:161], v[152:153]
	v_add_f64 v[30:31], v[30:31], -v[152:153]
	ds_load_2addr_b64 v[152:155], v162 offset0:62 offset1:63
	s_waitcnt lgkmcnt(0)
	v_mul_f64 v[132:133], v[154:155], v[134:135]
	s_delay_alu instid0(VALU_DEP_1) | instskip(SKIP_1) | instid1(VALU_DEP_2)
	v_fma_f64 v[132:133], v[152:153], v[160:161], -v[132:133]
	v_mul_f64 v[152:153], v[152:153], v[134:135]
	v_add_f64 v[24:25], v[24:25], -v[132:133]
	s_delay_alu instid0(VALU_DEP_2) | instskip(NEXT) | instid1(VALU_DEP_1)
	v_fma_f64 v[152:153], v[154:155], v[160:161], v[152:153]
	v_add_f64 v[26:27], v[26:27], -v[152:153]
	ds_load_2addr_b64 v[152:155], v162 offset0:64 offset1:65
	s_waitcnt lgkmcnt(0)
	v_mul_f64 v[132:133], v[154:155], v[134:135]
	s_delay_alu instid0(VALU_DEP_1) | instskip(SKIP_1) | instid1(VALU_DEP_2)
	v_fma_f64 v[132:133], v[152:153], v[160:161], -v[132:133]
	v_mul_f64 v[152:153], v[152:153], v[134:135]
	v_add_f64 v[20:21], v[20:21], -v[132:133]
	s_delay_alu instid0(VALU_DEP_2) | instskip(NEXT) | instid1(VALU_DEP_1)
	v_fma_f64 v[152:153], v[154:155], v[160:161], v[152:153]
	v_add_f64 v[22:23], v[22:23], -v[152:153]
	ds_load_2addr_b64 v[152:155], v162 offset0:66 offset1:67
	s_waitcnt lgkmcnt(0)
	v_mul_f64 v[132:133], v[154:155], v[134:135]
	s_delay_alu instid0(VALU_DEP_1) | instskip(SKIP_1) | instid1(VALU_DEP_2)
	v_fma_f64 v[132:133], v[152:153], v[160:161], -v[132:133]
	v_mul_f64 v[152:153], v[152:153], v[134:135]
	v_add_f64 v[16:17], v[16:17], -v[132:133]
	s_delay_alu instid0(VALU_DEP_2) | instskip(NEXT) | instid1(VALU_DEP_1)
	v_fma_f64 v[152:153], v[154:155], v[160:161], v[152:153]
	v_add_f64 v[18:19], v[18:19], -v[152:153]
	ds_load_2addr_b64 v[152:155], v162 offset0:68 offset1:69
	s_waitcnt lgkmcnt(0)
	v_mul_f64 v[132:133], v[154:155], v[134:135]
	s_delay_alu instid0(VALU_DEP_1) | instskip(SKIP_1) | instid1(VALU_DEP_2)
	v_fma_f64 v[132:133], v[152:153], v[160:161], -v[132:133]
	v_mul_f64 v[152:153], v[152:153], v[134:135]
	v_add_f64 v[12:13], v[12:13], -v[132:133]
	s_delay_alu instid0(VALU_DEP_2) | instskip(NEXT) | instid1(VALU_DEP_1)
	v_fma_f64 v[152:153], v[154:155], v[160:161], v[152:153]
	v_add_f64 v[14:15], v[14:15], -v[152:153]
	ds_load_2addr_b64 v[152:155], v162 offset0:70 offset1:71
	s_waitcnt lgkmcnt(0)
	v_mul_f64 v[132:133], v[154:155], v[134:135]
	s_delay_alu instid0(VALU_DEP_1) | instskip(SKIP_1) | instid1(VALU_DEP_2)
	v_fma_f64 v[132:133], v[152:153], v[160:161], -v[132:133]
	v_mul_f64 v[152:153], v[152:153], v[134:135]
	v_add_f64 v[8:9], v[8:9], -v[132:133]
	s_delay_alu instid0(VALU_DEP_2) | instskip(NEXT) | instid1(VALU_DEP_1)
	v_fma_f64 v[152:153], v[154:155], v[160:161], v[152:153]
	v_add_f64 v[10:11], v[10:11], -v[152:153]
	ds_load_2addr_b64 v[152:155], v162 offset0:72 offset1:73
	s_waitcnt lgkmcnt(0)
	v_mul_f64 v[132:133], v[154:155], v[134:135]
	s_delay_alu instid0(VALU_DEP_1) | instskip(SKIP_1) | instid1(VALU_DEP_2)
	v_fma_f64 v[132:133], v[152:153], v[160:161], -v[132:133]
	v_mul_f64 v[152:153], v[152:153], v[134:135]
	v_add_f64 v[4:5], v[4:5], -v[132:133]
	s_delay_alu instid0(VALU_DEP_2) | instskip(NEXT) | instid1(VALU_DEP_1)
	v_fma_f64 v[152:153], v[154:155], v[160:161], v[152:153]
	v_add_f64 v[6:7], v[6:7], -v[152:153]
	ds_load_2addr_b64 v[152:155], v162 offset0:74 offset1:75
	s_waitcnt lgkmcnt(0)
	v_mul_f64 v[132:133], v[154:155], v[134:135]
	s_delay_alu instid0(VALU_DEP_1) | instskip(SKIP_1) | instid1(VALU_DEP_2)
	v_fma_f64 v[132:133], v[152:153], v[160:161], -v[132:133]
	v_mul_f64 v[152:153], v[152:153], v[134:135]
	v_add_f64 v[0:1], v[0:1], -v[132:133]
	s_delay_alu instid0(VALU_DEP_2) | instskip(SKIP_1) | instid1(VALU_DEP_2)
	v_fma_f64 v[152:153], v[154:155], v[160:161], v[152:153]
	v_dual_mov_b32 v132, v160 :: v_dual_mov_b32 v133, v161
	v_add_f64 v[2:3], v[2:3], -v[152:153]
.LBB74_188:
	s_or_b32 exec_lo, exec_lo, s2
	v_lshl_add_u32 v152, v168, 4, v162
	s_barrier
	buffer_gl0_inv
	v_mov_b32_e32 v160, 9
	ds_store_2addr_b64 v152, v[128:129], v[130:131] offset1:1
	s_waitcnt lgkmcnt(0)
	s_barrier
	buffer_gl0_inv
	ds_load_2addr_b64 v[152:155], v162 offset0:18 offset1:19
	s_cmp_lt_i32 s5, 11
	s_cbranch_scc1 .LBB74_191
; %bb.189:
	v_add3_u32 v161, v166, 0, 0xa0
	v_mov_b32_e32 v160, 9
	s_mov_b32 s6, 10
	s_set_inst_prefetch_distance 0x1
	.p2align	6
.LBB74_190:                             ; =>This Inner Loop Header: Depth=1
	ds_load_2addr_b64 v[169:172], v161 offset1:1
	s_waitcnt lgkmcnt(1)
	v_cmp_gt_f64_e32 vcc_lo, 0, v[152:153]
	v_xor_b32_e32 v173, 0x80000000, v153
	v_cmp_gt_f64_e64 s2, 0, v[154:155]
	v_xor_b32_e32 v175, 0x80000000, v155
	v_add_nc_u32_e32 v161, 16, v161
	s_waitcnt lgkmcnt(0)
	v_cmp_gt_f64_e64 s3, 0, v[169:170]
	v_mov_b32_e32 v177, v169
	v_dual_mov_b32 v179, v171 :: v_dual_cndmask_b32 v174, v153, v173
	v_xor_b32_e32 v173, 0x80000000, v170
	v_cndmask_b32_e64 v176, v155, v175, s2
	v_xor_b32_e32 v175, 0x80000000, v172
	s_delay_alu instid0(VALU_DEP_3) | instskip(SKIP_2) | instid1(VALU_DEP_2)
	v_cndmask_b32_e64 v178, v170, v173, s3
	v_cmp_gt_f64_e64 s3, 0, v[171:172]
	v_cndmask_b32_e32 v173, v152, v152, vcc_lo
	v_cndmask_b32_e64 v180, v172, v175, s3
	v_cndmask_b32_e64 v175, v154, v154, s2
	s_delay_alu instid0(VALU_DEP_2) | instskip(NEXT) | instid1(VALU_DEP_2)
	v_add_f64 v[177:178], v[177:178], v[179:180]
	v_add_f64 v[173:174], v[173:174], v[175:176]
	s_delay_alu instid0(VALU_DEP_1) | instskip(SKIP_4) | instid1(SALU_CYCLE_1)
	v_cmp_lt_f64_e32 vcc_lo, v[173:174], v[177:178]
	v_dual_cndmask_b32 v154, v154, v171 :: v_dual_cndmask_b32 v153, v153, v170
	v_dual_cndmask_b32 v152, v152, v169 :: v_dual_cndmask_b32 v155, v155, v172
	v_cndmask_b32_e64 v160, v160, s6, vcc_lo
	s_add_i32 s6, s6, 1
	s_cmp_lg_u32 s5, s6
	s_cbranch_scc1 .LBB74_190
.LBB74_191:
	s_set_inst_prefetch_distance 0x2
	s_waitcnt lgkmcnt(0)
	v_cmp_eq_f64_e32 vcc_lo, 0, v[152:153]
	v_cmp_eq_f64_e64 s2, 0, v[154:155]
	s_delay_alu instid0(VALU_DEP_1) | instskip(NEXT) | instid1(SALU_CYCLE_1)
	s_and_b32 s2, vcc_lo, s2
	s_and_saveexec_b32 s3, s2
	s_delay_alu instid0(SALU_CYCLE_1)
	s_xor_b32 s2, exec_lo, s3
; %bb.192:
	v_cmp_ne_u32_e32 vcc_lo, 0, v165
	v_cndmask_b32_e32 v165, 10, v165, vcc_lo
; %bb.193:
	s_and_not1_saveexec_b32 s3, s2
	s_cbranch_execz .LBB74_199
; %bb.194:
	v_cmp_gt_f64_e32 vcc_lo, 0, v[152:153]
	v_cmp_gt_f64_e64 s2, 0, v[154:155]
	v_xor_b32_e32 v161, 0x80000000, v153
	v_xor_b32_e32 v169, 0x80000000, v155
	s_delay_alu instid0(VALU_DEP_2) | instskip(NEXT) | instid1(VALU_DEP_2)
	v_cndmask_b32_e32 v170, v153, v161, vcc_lo
	v_cndmask_b32_e64 v172, v155, v169, s2
	v_cndmask_b32_e32 v169, v152, v152, vcc_lo
	v_cndmask_b32_e64 v171, v154, v154, s2
	s_mov_b32 s2, exec_lo
	s_delay_alu instid0(VALU_DEP_1)
	v_cmpx_ngt_f64_e32 v[169:170], v[171:172]
	s_xor_b32 s2, exec_lo, s2
	s_cbranch_execz .LBB74_196
; %bb.195:
	v_div_scale_f64 v[169:170], null, v[154:155], v[154:155], v[152:153]
	v_div_scale_f64 v[175:176], vcc_lo, v[152:153], v[154:155], v[152:153]
	s_delay_alu instid0(VALU_DEP_2) | instskip(SKIP_2) | instid1(VALU_DEP_1)
	v_rcp_f64_e32 v[171:172], v[169:170]
	s_waitcnt_depctr 0xfff
	v_fma_f64 v[173:174], -v[169:170], v[171:172], 1.0
	v_fma_f64 v[171:172], v[171:172], v[173:174], v[171:172]
	s_delay_alu instid0(VALU_DEP_1) | instskip(NEXT) | instid1(VALU_DEP_1)
	v_fma_f64 v[173:174], -v[169:170], v[171:172], 1.0
	v_fma_f64 v[171:172], v[171:172], v[173:174], v[171:172]
	s_delay_alu instid0(VALU_DEP_1) | instskip(NEXT) | instid1(VALU_DEP_1)
	v_mul_f64 v[173:174], v[175:176], v[171:172]
	v_fma_f64 v[169:170], -v[169:170], v[173:174], v[175:176]
	s_delay_alu instid0(VALU_DEP_1) | instskip(NEXT) | instid1(VALU_DEP_1)
	v_div_fmas_f64 v[169:170], v[169:170], v[171:172], v[173:174]
	v_div_fixup_f64 v[169:170], v[169:170], v[154:155], v[152:153]
	s_delay_alu instid0(VALU_DEP_1) | instskip(NEXT) | instid1(VALU_DEP_1)
	v_fma_f64 v[152:153], v[152:153], v[169:170], v[154:155]
	v_div_scale_f64 v[154:155], null, v[152:153], v[152:153], 1.0
	s_delay_alu instid0(VALU_DEP_1) | instskip(SKIP_2) | instid1(VALU_DEP_1)
	v_rcp_f64_e32 v[171:172], v[154:155]
	s_waitcnt_depctr 0xfff
	v_fma_f64 v[173:174], -v[154:155], v[171:172], 1.0
	v_fma_f64 v[171:172], v[171:172], v[173:174], v[171:172]
	s_delay_alu instid0(VALU_DEP_1) | instskip(NEXT) | instid1(VALU_DEP_1)
	v_fma_f64 v[173:174], -v[154:155], v[171:172], 1.0
	v_fma_f64 v[171:172], v[171:172], v[173:174], v[171:172]
	v_div_scale_f64 v[173:174], vcc_lo, 1.0, v[152:153], 1.0
	s_delay_alu instid0(VALU_DEP_1) | instskip(NEXT) | instid1(VALU_DEP_1)
	v_mul_f64 v[175:176], v[173:174], v[171:172]
	v_fma_f64 v[154:155], -v[154:155], v[175:176], v[173:174]
	s_delay_alu instid0(VALU_DEP_1) | instskip(NEXT) | instid1(VALU_DEP_1)
	v_div_fmas_f64 v[154:155], v[154:155], v[171:172], v[175:176]
	v_div_fixup_f64 v[154:155], v[154:155], v[152:153], 1.0
	s_delay_alu instid0(VALU_DEP_1)
	v_mul_f64 v[152:153], v[169:170], v[154:155]
	v_xor_b32_e32 v155, 0x80000000, v155
.LBB74_196:
	s_and_not1_saveexec_b32 s2, s2
	s_cbranch_execz .LBB74_198
; %bb.197:
	s_delay_alu instid0(VALU_DEP_1) | instskip(SKIP_1) | instid1(VALU_DEP_2)
	v_div_scale_f64 v[169:170], null, v[152:153], v[152:153], v[154:155]
	v_div_scale_f64 v[175:176], vcc_lo, v[154:155], v[152:153], v[154:155]
	v_rcp_f64_e32 v[171:172], v[169:170]
	s_waitcnt_depctr 0xfff
	v_fma_f64 v[173:174], -v[169:170], v[171:172], 1.0
	s_delay_alu instid0(VALU_DEP_1) | instskip(NEXT) | instid1(VALU_DEP_1)
	v_fma_f64 v[171:172], v[171:172], v[173:174], v[171:172]
	v_fma_f64 v[173:174], -v[169:170], v[171:172], 1.0
	s_delay_alu instid0(VALU_DEP_1) | instskip(NEXT) | instid1(VALU_DEP_1)
	v_fma_f64 v[171:172], v[171:172], v[173:174], v[171:172]
	v_mul_f64 v[173:174], v[175:176], v[171:172]
	s_delay_alu instid0(VALU_DEP_1) | instskip(NEXT) | instid1(VALU_DEP_1)
	v_fma_f64 v[169:170], -v[169:170], v[173:174], v[175:176]
	v_div_fmas_f64 v[169:170], v[169:170], v[171:172], v[173:174]
	s_delay_alu instid0(VALU_DEP_1) | instskip(NEXT) | instid1(VALU_DEP_1)
	v_div_fixup_f64 v[169:170], v[169:170], v[152:153], v[154:155]
	v_fma_f64 v[152:153], v[154:155], v[169:170], v[152:153]
	s_delay_alu instid0(VALU_DEP_1) | instskip(NEXT) | instid1(VALU_DEP_1)
	v_div_scale_f64 v[154:155], null, v[152:153], v[152:153], 1.0
	v_rcp_f64_e32 v[171:172], v[154:155]
	s_waitcnt_depctr 0xfff
	v_fma_f64 v[173:174], -v[154:155], v[171:172], 1.0
	s_delay_alu instid0(VALU_DEP_1) | instskip(NEXT) | instid1(VALU_DEP_1)
	v_fma_f64 v[171:172], v[171:172], v[173:174], v[171:172]
	v_fma_f64 v[173:174], -v[154:155], v[171:172], 1.0
	s_delay_alu instid0(VALU_DEP_1) | instskip(SKIP_1) | instid1(VALU_DEP_1)
	v_fma_f64 v[171:172], v[171:172], v[173:174], v[171:172]
	v_div_scale_f64 v[173:174], vcc_lo, 1.0, v[152:153], 1.0
	v_mul_f64 v[175:176], v[173:174], v[171:172]
	s_delay_alu instid0(VALU_DEP_1) | instskip(NEXT) | instid1(VALU_DEP_1)
	v_fma_f64 v[154:155], -v[154:155], v[175:176], v[173:174]
	v_div_fmas_f64 v[154:155], v[154:155], v[171:172], v[175:176]
	s_delay_alu instid0(VALU_DEP_1) | instskip(NEXT) | instid1(VALU_DEP_1)
	v_div_fixup_f64 v[152:153], v[154:155], v[152:153], 1.0
	v_mul_f64 v[154:155], v[169:170], -v[152:153]
.LBB74_198:
	s_or_b32 exec_lo, exec_lo, s2
.LBB74_199:
	s_delay_alu instid0(SALU_CYCLE_1) | instskip(NEXT) | instid1(SALU_CYCLE_1)
	s_or_b32 exec_lo, exec_lo, s3
	s_mov_b32 s2, exec_lo
	v_cmpx_ne_u32_e64 v168, v160
	s_xor_b32 s2, exec_lo, s2
	s_cbranch_execz .LBB74_205
; %bb.200:
	s_mov_b32 s3, exec_lo
	v_cmpx_eq_u32_e32 9, v168
	s_cbranch_execz .LBB74_204
; %bb.201:
	v_cmp_ne_u32_e32 vcc_lo, 9, v160
	s_xor_b32 s6, s4, -1
	s_delay_alu instid0(SALU_CYCLE_1) | instskip(NEXT) | instid1(SALU_CYCLE_1)
	s_and_b32 s7, s6, vcc_lo
	s_and_saveexec_b32 s6, s7
	s_cbranch_execz .LBB74_203
; %bb.202:
	v_ashrrev_i32_e32 v161, 31, v160
	s_delay_alu instid0(VALU_DEP_1) | instskip(NEXT) | instid1(VALU_DEP_1)
	v_lshlrev_b64 v[167:168], 2, v[160:161]
	v_add_co_u32 v167, vcc_lo, v158, v167
	s_delay_alu instid0(VALU_DEP_2)
	v_add_co_ci_u32_e32 v168, vcc_lo, v159, v168, vcc_lo
	s_clause 0x1
	flat_load_b32 v161, v[167:168]
	flat_load_b32 v169, v[158:159] offset:36
	s_waitcnt vmcnt(1) lgkmcnt(1)
	flat_store_b32 v[158:159], v161 offset:36
	s_waitcnt vmcnt(0) lgkmcnt(1)
	flat_store_b32 v[167:168], v169
.LBB74_203:
	s_or_b32 exec_lo, exec_lo, s6
	v_mov_b32_e32 v168, v160
	v_mov_b32_e32 v167, v160
.LBB74_204:
	s_or_b32 exec_lo, exec_lo, s3
.LBB74_205:
	s_and_not1_saveexec_b32 s2, s2
	s_cbranch_execz .LBB74_207
; %bb.206:
	v_mov_b32_e32 v168, 9
	ds_store_2addr_b64 v162, v[124:125], v[126:127] offset0:20 offset1:21
	ds_store_2addr_b64 v162, v[112:113], v[114:115] offset0:22 offset1:23
	ds_store_2addr_b64 v162, v[108:109], v[110:111] offset0:24 offset1:25
	ds_store_2addr_b64 v162, v[104:105], v[106:107] offset0:26 offset1:27
	ds_store_2addr_b64 v162, v[100:101], v[102:103] offset0:28 offset1:29
	ds_store_2addr_b64 v162, v[96:97], v[98:99] offset0:30 offset1:31
	ds_store_2addr_b64 v162, v[92:93], v[94:95] offset0:32 offset1:33
	ds_store_2addr_b64 v162, v[88:89], v[90:91] offset0:34 offset1:35
	ds_store_2addr_b64 v162, v[84:85], v[86:87] offset0:36 offset1:37
	ds_store_2addr_b64 v162, v[80:81], v[82:83] offset0:38 offset1:39
	ds_store_2addr_b64 v162, v[76:77], v[78:79] offset0:40 offset1:41
	ds_store_2addr_b64 v162, v[72:73], v[74:75] offset0:42 offset1:43
	ds_store_2addr_b64 v162, v[68:69], v[70:71] offset0:44 offset1:45
	ds_store_2addr_b64 v162, v[64:65], v[66:67] offset0:46 offset1:47
	ds_store_2addr_b64 v162, v[60:61], v[62:63] offset0:48 offset1:49
	ds_store_2addr_b64 v162, v[56:57], v[58:59] offset0:50 offset1:51
	ds_store_2addr_b64 v162, v[44:45], v[46:47] offset0:52 offset1:53
	ds_store_2addr_b64 v162, v[40:41], v[42:43] offset0:54 offset1:55
	ds_store_2addr_b64 v162, v[36:37], v[38:39] offset0:56 offset1:57
	ds_store_2addr_b64 v162, v[32:33], v[34:35] offset0:58 offset1:59
	ds_store_2addr_b64 v162, v[28:29], v[30:31] offset0:60 offset1:61
	ds_store_2addr_b64 v162, v[24:25], v[26:27] offset0:62 offset1:63
	ds_store_2addr_b64 v162, v[20:21], v[22:23] offset0:64 offset1:65
	ds_store_2addr_b64 v162, v[16:17], v[18:19] offset0:66 offset1:67
	ds_store_2addr_b64 v162, v[12:13], v[14:15] offset0:68 offset1:69
	ds_store_2addr_b64 v162, v[8:9], v[10:11] offset0:70 offset1:71
	ds_store_2addr_b64 v162, v[4:5], v[6:7] offset0:72 offset1:73
	ds_store_2addr_b64 v162, v[0:1], v[2:3] offset0:74 offset1:75
.LBB74_207:
	s_or_b32 exec_lo, exec_lo, s2
	s_delay_alu instid0(SALU_CYCLE_1)
	s_mov_b32 s2, exec_lo
	s_waitcnt lgkmcnt(0)
	s_waitcnt_vscnt null, 0x0
	s_barrier
	buffer_gl0_inv
	v_cmpx_lt_i32_e32 9, v168
	s_cbranch_execz .LBB74_209
; %bb.208:
	v_mul_f64 v[160:161], v[154:155], v[130:131]
	v_mul_f64 v[130:131], v[152:153], v[130:131]
	s_delay_alu instid0(VALU_DEP_2) | instskip(NEXT) | instid1(VALU_DEP_2)
	v_fma_f64 v[160:161], v[152:153], v[128:129], -v[160:161]
	v_fma_f64 v[130:131], v[154:155], v[128:129], v[130:131]
	ds_load_2addr_b64 v[152:155], v162 offset0:20 offset1:21
	s_waitcnt lgkmcnt(0)
	v_mul_f64 v[128:129], v[154:155], v[130:131]
	s_delay_alu instid0(VALU_DEP_1) | instskip(SKIP_1) | instid1(VALU_DEP_2)
	v_fma_f64 v[128:129], v[152:153], v[160:161], -v[128:129]
	v_mul_f64 v[152:153], v[152:153], v[130:131]
	v_add_f64 v[124:125], v[124:125], -v[128:129]
	s_delay_alu instid0(VALU_DEP_2) | instskip(NEXT) | instid1(VALU_DEP_1)
	v_fma_f64 v[152:153], v[154:155], v[160:161], v[152:153]
	v_add_f64 v[126:127], v[126:127], -v[152:153]
	ds_load_2addr_b64 v[152:155], v162 offset0:22 offset1:23
	s_waitcnt lgkmcnt(0)
	v_mul_f64 v[128:129], v[154:155], v[130:131]
	s_delay_alu instid0(VALU_DEP_1) | instskip(SKIP_1) | instid1(VALU_DEP_2)
	v_fma_f64 v[128:129], v[152:153], v[160:161], -v[128:129]
	v_mul_f64 v[152:153], v[152:153], v[130:131]
	v_add_f64 v[112:113], v[112:113], -v[128:129]
	s_delay_alu instid0(VALU_DEP_2) | instskip(NEXT) | instid1(VALU_DEP_1)
	v_fma_f64 v[152:153], v[154:155], v[160:161], v[152:153]
	v_add_f64 v[114:115], v[114:115], -v[152:153]
	ds_load_2addr_b64 v[152:155], v162 offset0:24 offset1:25
	s_waitcnt lgkmcnt(0)
	v_mul_f64 v[128:129], v[154:155], v[130:131]
	s_delay_alu instid0(VALU_DEP_1) | instskip(SKIP_1) | instid1(VALU_DEP_2)
	v_fma_f64 v[128:129], v[152:153], v[160:161], -v[128:129]
	v_mul_f64 v[152:153], v[152:153], v[130:131]
	v_add_f64 v[108:109], v[108:109], -v[128:129]
	s_delay_alu instid0(VALU_DEP_2) | instskip(NEXT) | instid1(VALU_DEP_1)
	v_fma_f64 v[152:153], v[154:155], v[160:161], v[152:153]
	v_add_f64 v[110:111], v[110:111], -v[152:153]
	ds_load_2addr_b64 v[152:155], v162 offset0:26 offset1:27
	s_waitcnt lgkmcnt(0)
	v_mul_f64 v[128:129], v[154:155], v[130:131]
	s_delay_alu instid0(VALU_DEP_1) | instskip(SKIP_1) | instid1(VALU_DEP_2)
	v_fma_f64 v[128:129], v[152:153], v[160:161], -v[128:129]
	v_mul_f64 v[152:153], v[152:153], v[130:131]
	v_add_f64 v[104:105], v[104:105], -v[128:129]
	s_delay_alu instid0(VALU_DEP_2) | instskip(NEXT) | instid1(VALU_DEP_1)
	v_fma_f64 v[152:153], v[154:155], v[160:161], v[152:153]
	v_add_f64 v[106:107], v[106:107], -v[152:153]
	ds_load_2addr_b64 v[152:155], v162 offset0:28 offset1:29
	s_waitcnt lgkmcnt(0)
	v_mul_f64 v[128:129], v[154:155], v[130:131]
	s_delay_alu instid0(VALU_DEP_1) | instskip(SKIP_1) | instid1(VALU_DEP_2)
	v_fma_f64 v[128:129], v[152:153], v[160:161], -v[128:129]
	v_mul_f64 v[152:153], v[152:153], v[130:131]
	v_add_f64 v[100:101], v[100:101], -v[128:129]
	s_delay_alu instid0(VALU_DEP_2) | instskip(NEXT) | instid1(VALU_DEP_1)
	v_fma_f64 v[152:153], v[154:155], v[160:161], v[152:153]
	v_add_f64 v[102:103], v[102:103], -v[152:153]
	ds_load_2addr_b64 v[152:155], v162 offset0:30 offset1:31
	s_waitcnt lgkmcnt(0)
	v_mul_f64 v[128:129], v[154:155], v[130:131]
	s_delay_alu instid0(VALU_DEP_1) | instskip(SKIP_1) | instid1(VALU_DEP_2)
	v_fma_f64 v[128:129], v[152:153], v[160:161], -v[128:129]
	v_mul_f64 v[152:153], v[152:153], v[130:131]
	v_add_f64 v[96:97], v[96:97], -v[128:129]
	s_delay_alu instid0(VALU_DEP_2) | instskip(NEXT) | instid1(VALU_DEP_1)
	v_fma_f64 v[152:153], v[154:155], v[160:161], v[152:153]
	v_add_f64 v[98:99], v[98:99], -v[152:153]
	ds_load_2addr_b64 v[152:155], v162 offset0:32 offset1:33
	s_waitcnt lgkmcnt(0)
	v_mul_f64 v[128:129], v[154:155], v[130:131]
	s_delay_alu instid0(VALU_DEP_1) | instskip(SKIP_1) | instid1(VALU_DEP_2)
	v_fma_f64 v[128:129], v[152:153], v[160:161], -v[128:129]
	v_mul_f64 v[152:153], v[152:153], v[130:131]
	v_add_f64 v[92:93], v[92:93], -v[128:129]
	s_delay_alu instid0(VALU_DEP_2) | instskip(NEXT) | instid1(VALU_DEP_1)
	v_fma_f64 v[152:153], v[154:155], v[160:161], v[152:153]
	v_add_f64 v[94:95], v[94:95], -v[152:153]
	ds_load_2addr_b64 v[152:155], v162 offset0:34 offset1:35
	s_waitcnt lgkmcnt(0)
	v_mul_f64 v[128:129], v[154:155], v[130:131]
	s_delay_alu instid0(VALU_DEP_1) | instskip(SKIP_1) | instid1(VALU_DEP_2)
	v_fma_f64 v[128:129], v[152:153], v[160:161], -v[128:129]
	v_mul_f64 v[152:153], v[152:153], v[130:131]
	v_add_f64 v[88:89], v[88:89], -v[128:129]
	s_delay_alu instid0(VALU_DEP_2) | instskip(NEXT) | instid1(VALU_DEP_1)
	v_fma_f64 v[152:153], v[154:155], v[160:161], v[152:153]
	v_add_f64 v[90:91], v[90:91], -v[152:153]
	ds_load_2addr_b64 v[152:155], v162 offset0:36 offset1:37
	s_waitcnt lgkmcnt(0)
	v_mul_f64 v[128:129], v[154:155], v[130:131]
	s_delay_alu instid0(VALU_DEP_1) | instskip(SKIP_1) | instid1(VALU_DEP_2)
	v_fma_f64 v[128:129], v[152:153], v[160:161], -v[128:129]
	v_mul_f64 v[152:153], v[152:153], v[130:131]
	v_add_f64 v[84:85], v[84:85], -v[128:129]
	s_delay_alu instid0(VALU_DEP_2) | instskip(NEXT) | instid1(VALU_DEP_1)
	v_fma_f64 v[152:153], v[154:155], v[160:161], v[152:153]
	v_add_f64 v[86:87], v[86:87], -v[152:153]
	ds_load_2addr_b64 v[152:155], v162 offset0:38 offset1:39
	s_waitcnt lgkmcnt(0)
	v_mul_f64 v[128:129], v[154:155], v[130:131]
	s_delay_alu instid0(VALU_DEP_1) | instskip(SKIP_1) | instid1(VALU_DEP_2)
	v_fma_f64 v[128:129], v[152:153], v[160:161], -v[128:129]
	v_mul_f64 v[152:153], v[152:153], v[130:131]
	v_add_f64 v[80:81], v[80:81], -v[128:129]
	s_delay_alu instid0(VALU_DEP_2) | instskip(NEXT) | instid1(VALU_DEP_1)
	v_fma_f64 v[152:153], v[154:155], v[160:161], v[152:153]
	v_add_f64 v[82:83], v[82:83], -v[152:153]
	ds_load_2addr_b64 v[152:155], v162 offset0:40 offset1:41
	s_waitcnt lgkmcnt(0)
	v_mul_f64 v[128:129], v[154:155], v[130:131]
	s_delay_alu instid0(VALU_DEP_1) | instskip(SKIP_1) | instid1(VALU_DEP_2)
	v_fma_f64 v[128:129], v[152:153], v[160:161], -v[128:129]
	v_mul_f64 v[152:153], v[152:153], v[130:131]
	v_add_f64 v[76:77], v[76:77], -v[128:129]
	s_delay_alu instid0(VALU_DEP_2) | instskip(NEXT) | instid1(VALU_DEP_1)
	v_fma_f64 v[152:153], v[154:155], v[160:161], v[152:153]
	v_add_f64 v[78:79], v[78:79], -v[152:153]
	ds_load_2addr_b64 v[152:155], v162 offset0:42 offset1:43
	s_waitcnt lgkmcnt(0)
	v_mul_f64 v[128:129], v[154:155], v[130:131]
	s_delay_alu instid0(VALU_DEP_1) | instskip(SKIP_1) | instid1(VALU_DEP_2)
	v_fma_f64 v[128:129], v[152:153], v[160:161], -v[128:129]
	v_mul_f64 v[152:153], v[152:153], v[130:131]
	v_add_f64 v[72:73], v[72:73], -v[128:129]
	s_delay_alu instid0(VALU_DEP_2) | instskip(NEXT) | instid1(VALU_DEP_1)
	v_fma_f64 v[152:153], v[154:155], v[160:161], v[152:153]
	v_add_f64 v[74:75], v[74:75], -v[152:153]
	ds_load_2addr_b64 v[152:155], v162 offset0:44 offset1:45
	s_waitcnt lgkmcnt(0)
	v_mul_f64 v[128:129], v[154:155], v[130:131]
	s_delay_alu instid0(VALU_DEP_1) | instskip(SKIP_1) | instid1(VALU_DEP_2)
	v_fma_f64 v[128:129], v[152:153], v[160:161], -v[128:129]
	v_mul_f64 v[152:153], v[152:153], v[130:131]
	v_add_f64 v[68:69], v[68:69], -v[128:129]
	s_delay_alu instid0(VALU_DEP_2) | instskip(NEXT) | instid1(VALU_DEP_1)
	v_fma_f64 v[152:153], v[154:155], v[160:161], v[152:153]
	v_add_f64 v[70:71], v[70:71], -v[152:153]
	ds_load_2addr_b64 v[152:155], v162 offset0:46 offset1:47
	s_waitcnt lgkmcnt(0)
	v_mul_f64 v[128:129], v[154:155], v[130:131]
	s_delay_alu instid0(VALU_DEP_1) | instskip(SKIP_1) | instid1(VALU_DEP_2)
	v_fma_f64 v[128:129], v[152:153], v[160:161], -v[128:129]
	v_mul_f64 v[152:153], v[152:153], v[130:131]
	v_add_f64 v[64:65], v[64:65], -v[128:129]
	s_delay_alu instid0(VALU_DEP_2) | instskip(NEXT) | instid1(VALU_DEP_1)
	v_fma_f64 v[152:153], v[154:155], v[160:161], v[152:153]
	v_add_f64 v[66:67], v[66:67], -v[152:153]
	ds_load_2addr_b64 v[152:155], v162 offset0:48 offset1:49
	s_waitcnt lgkmcnt(0)
	v_mul_f64 v[128:129], v[154:155], v[130:131]
	s_delay_alu instid0(VALU_DEP_1) | instskip(SKIP_1) | instid1(VALU_DEP_2)
	v_fma_f64 v[128:129], v[152:153], v[160:161], -v[128:129]
	v_mul_f64 v[152:153], v[152:153], v[130:131]
	v_add_f64 v[60:61], v[60:61], -v[128:129]
	s_delay_alu instid0(VALU_DEP_2) | instskip(NEXT) | instid1(VALU_DEP_1)
	v_fma_f64 v[152:153], v[154:155], v[160:161], v[152:153]
	v_add_f64 v[62:63], v[62:63], -v[152:153]
	ds_load_2addr_b64 v[152:155], v162 offset0:50 offset1:51
	s_waitcnt lgkmcnt(0)
	v_mul_f64 v[128:129], v[154:155], v[130:131]
	s_delay_alu instid0(VALU_DEP_1) | instskip(SKIP_1) | instid1(VALU_DEP_2)
	v_fma_f64 v[128:129], v[152:153], v[160:161], -v[128:129]
	v_mul_f64 v[152:153], v[152:153], v[130:131]
	v_add_f64 v[56:57], v[56:57], -v[128:129]
	s_delay_alu instid0(VALU_DEP_2) | instskip(NEXT) | instid1(VALU_DEP_1)
	v_fma_f64 v[152:153], v[154:155], v[160:161], v[152:153]
	v_add_f64 v[58:59], v[58:59], -v[152:153]
	ds_load_2addr_b64 v[152:155], v162 offset0:52 offset1:53
	s_waitcnt lgkmcnt(0)
	v_mul_f64 v[128:129], v[154:155], v[130:131]
	s_delay_alu instid0(VALU_DEP_1) | instskip(SKIP_1) | instid1(VALU_DEP_2)
	v_fma_f64 v[128:129], v[152:153], v[160:161], -v[128:129]
	v_mul_f64 v[152:153], v[152:153], v[130:131]
	v_add_f64 v[44:45], v[44:45], -v[128:129]
	s_delay_alu instid0(VALU_DEP_2) | instskip(NEXT) | instid1(VALU_DEP_1)
	v_fma_f64 v[152:153], v[154:155], v[160:161], v[152:153]
	v_add_f64 v[46:47], v[46:47], -v[152:153]
	ds_load_2addr_b64 v[152:155], v162 offset0:54 offset1:55
	s_waitcnt lgkmcnt(0)
	v_mul_f64 v[128:129], v[154:155], v[130:131]
	s_delay_alu instid0(VALU_DEP_1) | instskip(SKIP_1) | instid1(VALU_DEP_2)
	v_fma_f64 v[128:129], v[152:153], v[160:161], -v[128:129]
	v_mul_f64 v[152:153], v[152:153], v[130:131]
	v_add_f64 v[40:41], v[40:41], -v[128:129]
	s_delay_alu instid0(VALU_DEP_2) | instskip(NEXT) | instid1(VALU_DEP_1)
	v_fma_f64 v[152:153], v[154:155], v[160:161], v[152:153]
	v_add_f64 v[42:43], v[42:43], -v[152:153]
	ds_load_2addr_b64 v[152:155], v162 offset0:56 offset1:57
	s_waitcnt lgkmcnt(0)
	v_mul_f64 v[128:129], v[154:155], v[130:131]
	s_delay_alu instid0(VALU_DEP_1) | instskip(SKIP_1) | instid1(VALU_DEP_2)
	v_fma_f64 v[128:129], v[152:153], v[160:161], -v[128:129]
	v_mul_f64 v[152:153], v[152:153], v[130:131]
	v_add_f64 v[36:37], v[36:37], -v[128:129]
	s_delay_alu instid0(VALU_DEP_2) | instskip(NEXT) | instid1(VALU_DEP_1)
	v_fma_f64 v[152:153], v[154:155], v[160:161], v[152:153]
	v_add_f64 v[38:39], v[38:39], -v[152:153]
	ds_load_2addr_b64 v[152:155], v162 offset0:58 offset1:59
	s_waitcnt lgkmcnt(0)
	v_mul_f64 v[128:129], v[154:155], v[130:131]
	s_delay_alu instid0(VALU_DEP_1) | instskip(SKIP_1) | instid1(VALU_DEP_2)
	v_fma_f64 v[128:129], v[152:153], v[160:161], -v[128:129]
	v_mul_f64 v[152:153], v[152:153], v[130:131]
	v_add_f64 v[32:33], v[32:33], -v[128:129]
	s_delay_alu instid0(VALU_DEP_2) | instskip(NEXT) | instid1(VALU_DEP_1)
	v_fma_f64 v[152:153], v[154:155], v[160:161], v[152:153]
	v_add_f64 v[34:35], v[34:35], -v[152:153]
	ds_load_2addr_b64 v[152:155], v162 offset0:60 offset1:61
	s_waitcnt lgkmcnt(0)
	v_mul_f64 v[128:129], v[154:155], v[130:131]
	s_delay_alu instid0(VALU_DEP_1) | instskip(SKIP_1) | instid1(VALU_DEP_2)
	v_fma_f64 v[128:129], v[152:153], v[160:161], -v[128:129]
	v_mul_f64 v[152:153], v[152:153], v[130:131]
	v_add_f64 v[28:29], v[28:29], -v[128:129]
	s_delay_alu instid0(VALU_DEP_2) | instskip(NEXT) | instid1(VALU_DEP_1)
	v_fma_f64 v[152:153], v[154:155], v[160:161], v[152:153]
	v_add_f64 v[30:31], v[30:31], -v[152:153]
	ds_load_2addr_b64 v[152:155], v162 offset0:62 offset1:63
	s_waitcnt lgkmcnt(0)
	v_mul_f64 v[128:129], v[154:155], v[130:131]
	s_delay_alu instid0(VALU_DEP_1) | instskip(SKIP_1) | instid1(VALU_DEP_2)
	v_fma_f64 v[128:129], v[152:153], v[160:161], -v[128:129]
	v_mul_f64 v[152:153], v[152:153], v[130:131]
	v_add_f64 v[24:25], v[24:25], -v[128:129]
	s_delay_alu instid0(VALU_DEP_2) | instskip(NEXT) | instid1(VALU_DEP_1)
	v_fma_f64 v[152:153], v[154:155], v[160:161], v[152:153]
	v_add_f64 v[26:27], v[26:27], -v[152:153]
	ds_load_2addr_b64 v[152:155], v162 offset0:64 offset1:65
	s_waitcnt lgkmcnt(0)
	v_mul_f64 v[128:129], v[154:155], v[130:131]
	s_delay_alu instid0(VALU_DEP_1) | instskip(SKIP_1) | instid1(VALU_DEP_2)
	v_fma_f64 v[128:129], v[152:153], v[160:161], -v[128:129]
	v_mul_f64 v[152:153], v[152:153], v[130:131]
	v_add_f64 v[20:21], v[20:21], -v[128:129]
	s_delay_alu instid0(VALU_DEP_2) | instskip(NEXT) | instid1(VALU_DEP_1)
	v_fma_f64 v[152:153], v[154:155], v[160:161], v[152:153]
	v_add_f64 v[22:23], v[22:23], -v[152:153]
	ds_load_2addr_b64 v[152:155], v162 offset0:66 offset1:67
	s_waitcnt lgkmcnt(0)
	v_mul_f64 v[128:129], v[154:155], v[130:131]
	s_delay_alu instid0(VALU_DEP_1) | instskip(SKIP_1) | instid1(VALU_DEP_2)
	v_fma_f64 v[128:129], v[152:153], v[160:161], -v[128:129]
	v_mul_f64 v[152:153], v[152:153], v[130:131]
	v_add_f64 v[16:17], v[16:17], -v[128:129]
	s_delay_alu instid0(VALU_DEP_2) | instskip(NEXT) | instid1(VALU_DEP_1)
	v_fma_f64 v[152:153], v[154:155], v[160:161], v[152:153]
	v_add_f64 v[18:19], v[18:19], -v[152:153]
	ds_load_2addr_b64 v[152:155], v162 offset0:68 offset1:69
	s_waitcnt lgkmcnt(0)
	v_mul_f64 v[128:129], v[154:155], v[130:131]
	s_delay_alu instid0(VALU_DEP_1) | instskip(SKIP_1) | instid1(VALU_DEP_2)
	v_fma_f64 v[128:129], v[152:153], v[160:161], -v[128:129]
	v_mul_f64 v[152:153], v[152:153], v[130:131]
	v_add_f64 v[12:13], v[12:13], -v[128:129]
	s_delay_alu instid0(VALU_DEP_2) | instskip(NEXT) | instid1(VALU_DEP_1)
	v_fma_f64 v[152:153], v[154:155], v[160:161], v[152:153]
	v_add_f64 v[14:15], v[14:15], -v[152:153]
	ds_load_2addr_b64 v[152:155], v162 offset0:70 offset1:71
	s_waitcnt lgkmcnt(0)
	v_mul_f64 v[128:129], v[154:155], v[130:131]
	s_delay_alu instid0(VALU_DEP_1) | instskip(SKIP_1) | instid1(VALU_DEP_2)
	v_fma_f64 v[128:129], v[152:153], v[160:161], -v[128:129]
	v_mul_f64 v[152:153], v[152:153], v[130:131]
	v_add_f64 v[8:9], v[8:9], -v[128:129]
	s_delay_alu instid0(VALU_DEP_2) | instskip(NEXT) | instid1(VALU_DEP_1)
	v_fma_f64 v[152:153], v[154:155], v[160:161], v[152:153]
	v_add_f64 v[10:11], v[10:11], -v[152:153]
	ds_load_2addr_b64 v[152:155], v162 offset0:72 offset1:73
	s_waitcnt lgkmcnt(0)
	v_mul_f64 v[128:129], v[154:155], v[130:131]
	s_delay_alu instid0(VALU_DEP_1) | instskip(SKIP_1) | instid1(VALU_DEP_2)
	v_fma_f64 v[128:129], v[152:153], v[160:161], -v[128:129]
	v_mul_f64 v[152:153], v[152:153], v[130:131]
	v_add_f64 v[4:5], v[4:5], -v[128:129]
	s_delay_alu instid0(VALU_DEP_2) | instskip(NEXT) | instid1(VALU_DEP_1)
	v_fma_f64 v[152:153], v[154:155], v[160:161], v[152:153]
	v_add_f64 v[6:7], v[6:7], -v[152:153]
	ds_load_2addr_b64 v[152:155], v162 offset0:74 offset1:75
	s_waitcnt lgkmcnt(0)
	v_mul_f64 v[128:129], v[154:155], v[130:131]
	s_delay_alu instid0(VALU_DEP_1) | instskip(SKIP_1) | instid1(VALU_DEP_2)
	v_fma_f64 v[128:129], v[152:153], v[160:161], -v[128:129]
	v_mul_f64 v[152:153], v[152:153], v[130:131]
	v_add_f64 v[0:1], v[0:1], -v[128:129]
	s_delay_alu instid0(VALU_DEP_2) | instskip(SKIP_1) | instid1(VALU_DEP_2)
	v_fma_f64 v[152:153], v[154:155], v[160:161], v[152:153]
	v_dual_mov_b32 v128, v160 :: v_dual_mov_b32 v129, v161
	v_add_f64 v[2:3], v[2:3], -v[152:153]
.LBB74_209:
	s_or_b32 exec_lo, exec_lo, s2
	v_lshl_add_u32 v152, v168, 4, v162
	s_barrier
	buffer_gl0_inv
	v_mov_b32_e32 v160, 10
	ds_store_2addr_b64 v152, v[124:125], v[126:127] offset1:1
	s_waitcnt lgkmcnt(0)
	s_barrier
	buffer_gl0_inv
	ds_load_2addr_b64 v[152:155], v162 offset0:20 offset1:21
	s_cmp_lt_i32 s5, 12
	s_cbranch_scc1 .LBB74_212
; %bb.210:
	v_add3_u32 v161, v166, 0, 0xb0
	v_mov_b32_e32 v160, 10
	s_mov_b32 s6, 11
	s_set_inst_prefetch_distance 0x1
	.p2align	6
.LBB74_211:                             ; =>This Inner Loop Header: Depth=1
	ds_load_2addr_b64 v[169:172], v161 offset1:1
	s_waitcnt lgkmcnt(1)
	v_cmp_gt_f64_e32 vcc_lo, 0, v[152:153]
	v_xor_b32_e32 v173, 0x80000000, v153
	v_cmp_gt_f64_e64 s2, 0, v[154:155]
	v_xor_b32_e32 v175, 0x80000000, v155
	v_add_nc_u32_e32 v161, 16, v161
	s_waitcnt lgkmcnt(0)
	v_cmp_gt_f64_e64 s3, 0, v[169:170]
	v_mov_b32_e32 v177, v169
	v_dual_mov_b32 v179, v171 :: v_dual_cndmask_b32 v174, v153, v173
	v_xor_b32_e32 v173, 0x80000000, v170
	v_cndmask_b32_e64 v176, v155, v175, s2
	v_xor_b32_e32 v175, 0x80000000, v172
	s_delay_alu instid0(VALU_DEP_3) | instskip(SKIP_2) | instid1(VALU_DEP_2)
	v_cndmask_b32_e64 v178, v170, v173, s3
	v_cmp_gt_f64_e64 s3, 0, v[171:172]
	v_cndmask_b32_e32 v173, v152, v152, vcc_lo
	v_cndmask_b32_e64 v180, v172, v175, s3
	v_cndmask_b32_e64 v175, v154, v154, s2
	s_delay_alu instid0(VALU_DEP_2) | instskip(NEXT) | instid1(VALU_DEP_2)
	v_add_f64 v[177:178], v[177:178], v[179:180]
	v_add_f64 v[173:174], v[173:174], v[175:176]
	s_delay_alu instid0(VALU_DEP_1) | instskip(SKIP_4) | instid1(SALU_CYCLE_1)
	v_cmp_lt_f64_e32 vcc_lo, v[173:174], v[177:178]
	v_dual_cndmask_b32 v154, v154, v171 :: v_dual_cndmask_b32 v153, v153, v170
	v_dual_cndmask_b32 v152, v152, v169 :: v_dual_cndmask_b32 v155, v155, v172
	v_cndmask_b32_e64 v160, v160, s6, vcc_lo
	s_add_i32 s6, s6, 1
	s_cmp_lg_u32 s5, s6
	s_cbranch_scc1 .LBB74_211
.LBB74_212:
	s_set_inst_prefetch_distance 0x2
	s_waitcnt lgkmcnt(0)
	v_cmp_eq_f64_e32 vcc_lo, 0, v[152:153]
	v_cmp_eq_f64_e64 s2, 0, v[154:155]
	s_delay_alu instid0(VALU_DEP_1) | instskip(NEXT) | instid1(SALU_CYCLE_1)
	s_and_b32 s2, vcc_lo, s2
	s_and_saveexec_b32 s3, s2
	s_delay_alu instid0(SALU_CYCLE_1)
	s_xor_b32 s2, exec_lo, s3
; %bb.213:
	v_cmp_ne_u32_e32 vcc_lo, 0, v165
	v_cndmask_b32_e32 v165, 11, v165, vcc_lo
; %bb.214:
	s_and_not1_saveexec_b32 s3, s2
	s_cbranch_execz .LBB74_220
; %bb.215:
	v_cmp_gt_f64_e32 vcc_lo, 0, v[152:153]
	v_cmp_gt_f64_e64 s2, 0, v[154:155]
	v_xor_b32_e32 v161, 0x80000000, v153
	v_xor_b32_e32 v169, 0x80000000, v155
	s_delay_alu instid0(VALU_DEP_2) | instskip(NEXT) | instid1(VALU_DEP_2)
	v_cndmask_b32_e32 v170, v153, v161, vcc_lo
	v_cndmask_b32_e64 v172, v155, v169, s2
	v_cndmask_b32_e32 v169, v152, v152, vcc_lo
	v_cndmask_b32_e64 v171, v154, v154, s2
	s_mov_b32 s2, exec_lo
	s_delay_alu instid0(VALU_DEP_1)
	v_cmpx_ngt_f64_e32 v[169:170], v[171:172]
	s_xor_b32 s2, exec_lo, s2
	s_cbranch_execz .LBB74_217
; %bb.216:
	v_div_scale_f64 v[169:170], null, v[154:155], v[154:155], v[152:153]
	v_div_scale_f64 v[175:176], vcc_lo, v[152:153], v[154:155], v[152:153]
	s_delay_alu instid0(VALU_DEP_2) | instskip(SKIP_2) | instid1(VALU_DEP_1)
	v_rcp_f64_e32 v[171:172], v[169:170]
	s_waitcnt_depctr 0xfff
	v_fma_f64 v[173:174], -v[169:170], v[171:172], 1.0
	v_fma_f64 v[171:172], v[171:172], v[173:174], v[171:172]
	s_delay_alu instid0(VALU_DEP_1) | instskip(NEXT) | instid1(VALU_DEP_1)
	v_fma_f64 v[173:174], -v[169:170], v[171:172], 1.0
	v_fma_f64 v[171:172], v[171:172], v[173:174], v[171:172]
	s_delay_alu instid0(VALU_DEP_1) | instskip(NEXT) | instid1(VALU_DEP_1)
	v_mul_f64 v[173:174], v[175:176], v[171:172]
	v_fma_f64 v[169:170], -v[169:170], v[173:174], v[175:176]
	s_delay_alu instid0(VALU_DEP_1) | instskip(NEXT) | instid1(VALU_DEP_1)
	v_div_fmas_f64 v[169:170], v[169:170], v[171:172], v[173:174]
	v_div_fixup_f64 v[169:170], v[169:170], v[154:155], v[152:153]
	s_delay_alu instid0(VALU_DEP_1) | instskip(NEXT) | instid1(VALU_DEP_1)
	v_fma_f64 v[152:153], v[152:153], v[169:170], v[154:155]
	v_div_scale_f64 v[154:155], null, v[152:153], v[152:153], 1.0
	s_delay_alu instid0(VALU_DEP_1) | instskip(SKIP_2) | instid1(VALU_DEP_1)
	v_rcp_f64_e32 v[171:172], v[154:155]
	s_waitcnt_depctr 0xfff
	v_fma_f64 v[173:174], -v[154:155], v[171:172], 1.0
	v_fma_f64 v[171:172], v[171:172], v[173:174], v[171:172]
	s_delay_alu instid0(VALU_DEP_1) | instskip(NEXT) | instid1(VALU_DEP_1)
	v_fma_f64 v[173:174], -v[154:155], v[171:172], 1.0
	v_fma_f64 v[171:172], v[171:172], v[173:174], v[171:172]
	v_div_scale_f64 v[173:174], vcc_lo, 1.0, v[152:153], 1.0
	s_delay_alu instid0(VALU_DEP_1) | instskip(NEXT) | instid1(VALU_DEP_1)
	v_mul_f64 v[175:176], v[173:174], v[171:172]
	v_fma_f64 v[154:155], -v[154:155], v[175:176], v[173:174]
	s_delay_alu instid0(VALU_DEP_1) | instskip(NEXT) | instid1(VALU_DEP_1)
	v_div_fmas_f64 v[154:155], v[154:155], v[171:172], v[175:176]
	v_div_fixup_f64 v[154:155], v[154:155], v[152:153], 1.0
	s_delay_alu instid0(VALU_DEP_1)
	v_mul_f64 v[152:153], v[169:170], v[154:155]
	v_xor_b32_e32 v155, 0x80000000, v155
.LBB74_217:
	s_and_not1_saveexec_b32 s2, s2
	s_cbranch_execz .LBB74_219
; %bb.218:
	s_delay_alu instid0(VALU_DEP_1) | instskip(SKIP_1) | instid1(VALU_DEP_2)
	v_div_scale_f64 v[169:170], null, v[152:153], v[152:153], v[154:155]
	v_div_scale_f64 v[175:176], vcc_lo, v[154:155], v[152:153], v[154:155]
	v_rcp_f64_e32 v[171:172], v[169:170]
	s_waitcnt_depctr 0xfff
	v_fma_f64 v[173:174], -v[169:170], v[171:172], 1.0
	s_delay_alu instid0(VALU_DEP_1) | instskip(NEXT) | instid1(VALU_DEP_1)
	v_fma_f64 v[171:172], v[171:172], v[173:174], v[171:172]
	v_fma_f64 v[173:174], -v[169:170], v[171:172], 1.0
	s_delay_alu instid0(VALU_DEP_1) | instskip(NEXT) | instid1(VALU_DEP_1)
	v_fma_f64 v[171:172], v[171:172], v[173:174], v[171:172]
	v_mul_f64 v[173:174], v[175:176], v[171:172]
	s_delay_alu instid0(VALU_DEP_1) | instskip(NEXT) | instid1(VALU_DEP_1)
	v_fma_f64 v[169:170], -v[169:170], v[173:174], v[175:176]
	v_div_fmas_f64 v[169:170], v[169:170], v[171:172], v[173:174]
	s_delay_alu instid0(VALU_DEP_1) | instskip(NEXT) | instid1(VALU_DEP_1)
	v_div_fixup_f64 v[169:170], v[169:170], v[152:153], v[154:155]
	v_fma_f64 v[152:153], v[154:155], v[169:170], v[152:153]
	s_delay_alu instid0(VALU_DEP_1) | instskip(NEXT) | instid1(VALU_DEP_1)
	v_div_scale_f64 v[154:155], null, v[152:153], v[152:153], 1.0
	v_rcp_f64_e32 v[171:172], v[154:155]
	s_waitcnt_depctr 0xfff
	v_fma_f64 v[173:174], -v[154:155], v[171:172], 1.0
	s_delay_alu instid0(VALU_DEP_1) | instskip(NEXT) | instid1(VALU_DEP_1)
	v_fma_f64 v[171:172], v[171:172], v[173:174], v[171:172]
	v_fma_f64 v[173:174], -v[154:155], v[171:172], 1.0
	s_delay_alu instid0(VALU_DEP_1) | instskip(SKIP_1) | instid1(VALU_DEP_1)
	v_fma_f64 v[171:172], v[171:172], v[173:174], v[171:172]
	v_div_scale_f64 v[173:174], vcc_lo, 1.0, v[152:153], 1.0
	v_mul_f64 v[175:176], v[173:174], v[171:172]
	s_delay_alu instid0(VALU_DEP_1) | instskip(NEXT) | instid1(VALU_DEP_1)
	v_fma_f64 v[154:155], -v[154:155], v[175:176], v[173:174]
	v_div_fmas_f64 v[154:155], v[154:155], v[171:172], v[175:176]
	s_delay_alu instid0(VALU_DEP_1) | instskip(NEXT) | instid1(VALU_DEP_1)
	v_div_fixup_f64 v[152:153], v[154:155], v[152:153], 1.0
	v_mul_f64 v[154:155], v[169:170], -v[152:153]
.LBB74_219:
	s_or_b32 exec_lo, exec_lo, s2
.LBB74_220:
	s_delay_alu instid0(SALU_CYCLE_1) | instskip(NEXT) | instid1(SALU_CYCLE_1)
	s_or_b32 exec_lo, exec_lo, s3
	s_mov_b32 s2, exec_lo
	v_cmpx_ne_u32_e64 v168, v160
	s_xor_b32 s2, exec_lo, s2
	s_cbranch_execz .LBB74_226
; %bb.221:
	s_mov_b32 s3, exec_lo
	v_cmpx_eq_u32_e32 10, v168
	s_cbranch_execz .LBB74_225
; %bb.222:
	v_cmp_ne_u32_e32 vcc_lo, 10, v160
	s_xor_b32 s6, s4, -1
	s_delay_alu instid0(SALU_CYCLE_1) | instskip(NEXT) | instid1(SALU_CYCLE_1)
	s_and_b32 s7, s6, vcc_lo
	s_and_saveexec_b32 s6, s7
	s_cbranch_execz .LBB74_224
; %bb.223:
	v_ashrrev_i32_e32 v161, 31, v160
	s_delay_alu instid0(VALU_DEP_1) | instskip(NEXT) | instid1(VALU_DEP_1)
	v_lshlrev_b64 v[167:168], 2, v[160:161]
	v_add_co_u32 v167, vcc_lo, v158, v167
	s_delay_alu instid0(VALU_DEP_2)
	v_add_co_ci_u32_e32 v168, vcc_lo, v159, v168, vcc_lo
	s_clause 0x1
	flat_load_b32 v161, v[167:168]
	flat_load_b32 v169, v[158:159] offset:40
	s_waitcnt vmcnt(1) lgkmcnt(1)
	flat_store_b32 v[158:159], v161 offset:40
	s_waitcnt vmcnt(0) lgkmcnt(1)
	flat_store_b32 v[167:168], v169
.LBB74_224:
	s_or_b32 exec_lo, exec_lo, s6
	v_mov_b32_e32 v168, v160
	v_mov_b32_e32 v167, v160
.LBB74_225:
	s_or_b32 exec_lo, exec_lo, s3
.LBB74_226:
	s_and_not1_saveexec_b32 s2, s2
	s_cbranch_execz .LBB74_228
; %bb.227:
	v_mov_b32_e32 v168, 10
	ds_store_2addr_b64 v162, v[112:113], v[114:115] offset0:22 offset1:23
	ds_store_2addr_b64 v162, v[108:109], v[110:111] offset0:24 offset1:25
	;; [unrolled: 1-line block ×27, first 2 shown]
.LBB74_228:
	s_or_b32 exec_lo, exec_lo, s2
	s_delay_alu instid0(SALU_CYCLE_1)
	s_mov_b32 s2, exec_lo
	s_waitcnt lgkmcnt(0)
	s_waitcnt_vscnt null, 0x0
	s_barrier
	buffer_gl0_inv
	v_cmpx_lt_i32_e32 10, v168
	s_cbranch_execz .LBB74_230
; %bb.229:
	v_mul_f64 v[160:161], v[154:155], v[126:127]
	v_mul_f64 v[126:127], v[152:153], v[126:127]
	s_delay_alu instid0(VALU_DEP_2) | instskip(NEXT) | instid1(VALU_DEP_2)
	v_fma_f64 v[160:161], v[152:153], v[124:125], -v[160:161]
	v_fma_f64 v[126:127], v[154:155], v[124:125], v[126:127]
	ds_load_2addr_b64 v[152:155], v162 offset0:22 offset1:23
	s_waitcnt lgkmcnt(0)
	v_mul_f64 v[124:125], v[154:155], v[126:127]
	s_delay_alu instid0(VALU_DEP_1) | instskip(SKIP_1) | instid1(VALU_DEP_2)
	v_fma_f64 v[124:125], v[152:153], v[160:161], -v[124:125]
	v_mul_f64 v[152:153], v[152:153], v[126:127]
	v_add_f64 v[112:113], v[112:113], -v[124:125]
	s_delay_alu instid0(VALU_DEP_2) | instskip(NEXT) | instid1(VALU_DEP_1)
	v_fma_f64 v[152:153], v[154:155], v[160:161], v[152:153]
	v_add_f64 v[114:115], v[114:115], -v[152:153]
	ds_load_2addr_b64 v[152:155], v162 offset0:24 offset1:25
	s_waitcnt lgkmcnt(0)
	v_mul_f64 v[124:125], v[154:155], v[126:127]
	s_delay_alu instid0(VALU_DEP_1) | instskip(SKIP_1) | instid1(VALU_DEP_2)
	v_fma_f64 v[124:125], v[152:153], v[160:161], -v[124:125]
	v_mul_f64 v[152:153], v[152:153], v[126:127]
	v_add_f64 v[108:109], v[108:109], -v[124:125]
	s_delay_alu instid0(VALU_DEP_2) | instskip(NEXT) | instid1(VALU_DEP_1)
	v_fma_f64 v[152:153], v[154:155], v[160:161], v[152:153]
	v_add_f64 v[110:111], v[110:111], -v[152:153]
	;; [unrolled: 10-line block ×26, first 2 shown]
	ds_load_2addr_b64 v[152:155], v162 offset0:74 offset1:75
	s_waitcnt lgkmcnt(0)
	v_mul_f64 v[124:125], v[154:155], v[126:127]
	s_delay_alu instid0(VALU_DEP_1) | instskip(SKIP_1) | instid1(VALU_DEP_2)
	v_fma_f64 v[124:125], v[152:153], v[160:161], -v[124:125]
	v_mul_f64 v[152:153], v[152:153], v[126:127]
	v_add_f64 v[0:1], v[0:1], -v[124:125]
	s_delay_alu instid0(VALU_DEP_2) | instskip(SKIP_1) | instid1(VALU_DEP_2)
	v_fma_f64 v[152:153], v[154:155], v[160:161], v[152:153]
	v_dual_mov_b32 v124, v160 :: v_dual_mov_b32 v125, v161
	v_add_f64 v[2:3], v[2:3], -v[152:153]
.LBB74_230:
	s_or_b32 exec_lo, exec_lo, s2
	v_lshl_add_u32 v152, v168, 4, v162
	s_barrier
	buffer_gl0_inv
	v_mov_b32_e32 v160, 11
	ds_store_2addr_b64 v152, v[112:113], v[114:115] offset1:1
	s_waitcnt lgkmcnt(0)
	s_barrier
	buffer_gl0_inv
	ds_load_2addr_b64 v[152:155], v162 offset0:22 offset1:23
	s_cmp_lt_i32 s5, 13
	s_cbranch_scc1 .LBB74_233
; %bb.231:
	v_add3_u32 v161, v166, 0, 0xc0
	v_mov_b32_e32 v160, 11
	s_mov_b32 s6, 12
	s_set_inst_prefetch_distance 0x1
	.p2align	6
.LBB74_232:                             ; =>This Inner Loop Header: Depth=1
	ds_load_2addr_b64 v[169:172], v161 offset1:1
	s_waitcnt lgkmcnt(1)
	v_cmp_gt_f64_e32 vcc_lo, 0, v[152:153]
	v_xor_b32_e32 v173, 0x80000000, v153
	v_cmp_gt_f64_e64 s2, 0, v[154:155]
	v_xor_b32_e32 v175, 0x80000000, v155
	v_add_nc_u32_e32 v161, 16, v161
	s_waitcnt lgkmcnt(0)
	v_cmp_gt_f64_e64 s3, 0, v[169:170]
	v_mov_b32_e32 v177, v169
	v_dual_mov_b32 v179, v171 :: v_dual_cndmask_b32 v174, v153, v173
	v_xor_b32_e32 v173, 0x80000000, v170
	v_cndmask_b32_e64 v176, v155, v175, s2
	v_xor_b32_e32 v175, 0x80000000, v172
	s_delay_alu instid0(VALU_DEP_3) | instskip(SKIP_2) | instid1(VALU_DEP_2)
	v_cndmask_b32_e64 v178, v170, v173, s3
	v_cmp_gt_f64_e64 s3, 0, v[171:172]
	v_cndmask_b32_e32 v173, v152, v152, vcc_lo
	v_cndmask_b32_e64 v180, v172, v175, s3
	v_cndmask_b32_e64 v175, v154, v154, s2
	s_delay_alu instid0(VALU_DEP_2) | instskip(NEXT) | instid1(VALU_DEP_2)
	v_add_f64 v[177:178], v[177:178], v[179:180]
	v_add_f64 v[173:174], v[173:174], v[175:176]
	s_delay_alu instid0(VALU_DEP_1) | instskip(SKIP_4) | instid1(SALU_CYCLE_1)
	v_cmp_lt_f64_e32 vcc_lo, v[173:174], v[177:178]
	v_dual_cndmask_b32 v154, v154, v171 :: v_dual_cndmask_b32 v153, v153, v170
	v_dual_cndmask_b32 v152, v152, v169 :: v_dual_cndmask_b32 v155, v155, v172
	v_cndmask_b32_e64 v160, v160, s6, vcc_lo
	s_add_i32 s6, s6, 1
	s_cmp_lg_u32 s5, s6
	s_cbranch_scc1 .LBB74_232
.LBB74_233:
	s_set_inst_prefetch_distance 0x2
	s_waitcnt lgkmcnt(0)
	v_cmp_eq_f64_e32 vcc_lo, 0, v[152:153]
	v_cmp_eq_f64_e64 s2, 0, v[154:155]
	s_delay_alu instid0(VALU_DEP_1) | instskip(NEXT) | instid1(SALU_CYCLE_1)
	s_and_b32 s2, vcc_lo, s2
	s_and_saveexec_b32 s3, s2
	s_delay_alu instid0(SALU_CYCLE_1)
	s_xor_b32 s2, exec_lo, s3
; %bb.234:
	v_cmp_ne_u32_e32 vcc_lo, 0, v165
	v_cndmask_b32_e32 v165, 12, v165, vcc_lo
; %bb.235:
	s_and_not1_saveexec_b32 s3, s2
	s_cbranch_execz .LBB74_241
; %bb.236:
	v_cmp_gt_f64_e32 vcc_lo, 0, v[152:153]
	v_cmp_gt_f64_e64 s2, 0, v[154:155]
	v_xor_b32_e32 v161, 0x80000000, v153
	v_xor_b32_e32 v169, 0x80000000, v155
	s_delay_alu instid0(VALU_DEP_2) | instskip(NEXT) | instid1(VALU_DEP_2)
	v_cndmask_b32_e32 v170, v153, v161, vcc_lo
	v_cndmask_b32_e64 v172, v155, v169, s2
	v_cndmask_b32_e32 v169, v152, v152, vcc_lo
	v_cndmask_b32_e64 v171, v154, v154, s2
	s_mov_b32 s2, exec_lo
	s_delay_alu instid0(VALU_DEP_1)
	v_cmpx_ngt_f64_e32 v[169:170], v[171:172]
	s_xor_b32 s2, exec_lo, s2
	s_cbranch_execz .LBB74_238
; %bb.237:
	v_div_scale_f64 v[169:170], null, v[154:155], v[154:155], v[152:153]
	v_div_scale_f64 v[175:176], vcc_lo, v[152:153], v[154:155], v[152:153]
	s_delay_alu instid0(VALU_DEP_2) | instskip(SKIP_2) | instid1(VALU_DEP_1)
	v_rcp_f64_e32 v[171:172], v[169:170]
	s_waitcnt_depctr 0xfff
	v_fma_f64 v[173:174], -v[169:170], v[171:172], 1.0
	v_fma_f64 v[171:172], v[171:172], v[173:174], v[171:172]
	s_delay_alu instid0(VALU_DEP_1) | instskip(NEXT) | instid1(VALU_DEP_1)
	v_fma_f64 v[173:174], -v[169:170], v[171:172], 1.0
	v_fma_f64 v[171:172], v[171:172], v[173:174], v[171:172]
	s_delay_alu instid0(VALU_DEP_1) | instskip(NEXT) | instid1(VALU_DEP_1)
	v_mul_f64 v[173:174], v[175:176], v[171:172]
	v_fma_f64 v[169:170], -v[169:170], v[173:174], v[175:176]
	s_delay_alu instid0(VALU_DEP_1) | instskip(NEXT) | instid1(VALU_DEP_1)
	v_div_fmas_f64 v[169:170], v[169:170], v[171:172], v[173:174]
	v_div_fixup_f64 v[169:170], v[169:170], v[154:155], v[152:153]
	s_delay_alu instid0(VALU_DEP_1) | instskip(NEXT) | instid1(VALU_DEP_1)
	v_fma_f64 v[152:153], v[152:153], v[169:170], v[154:155]
	v_div_scale_f64 v[154:155], null, v[152:153], v[152:153], 1.0
	s_delay_alu instid0(VALU_DEP_1) | instskip(SKIP_2) | instid1(VALU_DEP_1)
	v_rcp_f64_e32 v[171:172], v[154:155]
	s_waitcnt_depctr 0xfff
	v_fma_f64 v[173:174], -v[154:155], v[171:172], 1.0
	v_fma_f64 v[171:172], v[171:172], v[173:174], v[171:172]
	s_delay_alu instid0(VALU_DEP_1) | instskip(NEXT) | instid1(VALU_DEP_1)
	v_fma_f64 v[173:174], -v[154:155], v[171:172], 1.0
	v_fma_f64 v[171:172], v[171:172], v[173:174], v[171:172]
	v_div_scale_f64 v[173:174], vcc_lo, 1.0, v[152:153], 1.0
	s_delay_alu instid0(VALU_DEP_1) | instskip(NEXT) | instid1(VALU_DEP_1)
	v_mul_f64 v[175:176], v[173:174], v[171:172]
	v_fma_f64 v[154:155], -v[154:155], v[175:176], v[173:174]
	s_delay_alu instid0(VALU_DEP_1) | instskip(NEXT) | instid1(VALU_DEP_1)
	v_div_fmas_f64 v[154:155], v[154:155], v[171:172], v[175:176]
	v_div_fixup_f64 v[154:155], v[154:155], v[152:153], 1.0
	s_delay_alu instid0(VALU_DEP_1)
	v_mul_f64 v[152:153], v[169:170], v[154:155]
	v_xor_b32_e32 v155, 0x80000000, v155
.LBB74_238:
	s_and_not1_saveexec_b32 s2, s2
	s_cbranch_execz .LBB74_240
; %bb.239:
	s_delay_alu instid0(VALU_DEP_1) | instskip(SKIP_1) | instid1(VALU_DEP_2)
	v_div_scale_f64 v[169:170], null, v[152:153], v[152:153], v[154:155]
	v_div_scale_f64 v[175:176], vcc_lo, v[154:155], v[152:153], v[154:155]
	v_rcp_f64_e32 v[171:172], v[169:170]
	s_waitcnt_depctr 0xfff
	v_fma_f64 v[173:174], -v[169:170], v[171:172], 1.0
	s_delay_alu instid0(VALU_DEP_1) | instskip(NEXT) | instid1(VALU_DEP_1)
	v_fma_f64 v[171:172], v[171:172], v[173:174], v[171:172]
	v_fma_f64 v[173:174], -v[169:170], v[171:172], 1.0
	s_delay_alu instid0(VALU_DEP_1) | instskip(NEXT) | instid1(VALU_DEP_1)
	v_fma_f64 v[171:172], v[171:172], v[173:174], v[171:172]
	v_mul_f64 v[173:174], v[175:176], v[171:172]
	s_delay_alu instid0(VALU_DEP_1) | instskip(NEXT) | instid1(VALU_DEP_1)
	v_fma_f64 v[169:170], -v[169:170], v[173:174], v[175:176]
	v_div_fmas_f64 v[169:170], v[169:170], v[171:172], v[173:174]
	s_delay_alu instid0(VALU_DEP_1) | instskip(NEXT) | instid1(VALU_DEP_1)
	v_div_fixup_f64 v[169:170], v[169:170], v[152:153], v[154:155]
	v_fma_f64 v[152:153], v[154:155], v[169:170], v[152:153]
	s_delay_alu instid0(VALU_DEP_1) | instskip(NEXT) | instid1(VALU_DEP_1)
	v_div_scale_f64 v[154:155], null, v[152:153], v[152:153], 1.0
	v_rcp_f64_e32 v[171:172], v[154:155]
	s_waitcnt_depctr 0xfff
	v_fma_f64 v[173:174], -v[154:155], v[171:172], 1.0
	s_delay_alu instid0(VALU_DEP_1) | instskip(NEXT) | instid1(VALU_DEP_1)
	v_fma_f64 v[171:172], v[171:172], v[173:174], v[171:172]
	v_fma_f64 v[173:174], -v[154:155], v[171:172], 1.0
	s_delay_alu instid0(VALU_DEP_1) | instskip(SKIP_1) | instid1(VALU_DEP_1)
	v_fma_f64 v[171:172], v[171:172], v[173:174], v[171:172]
	v_div_scale_f64 v[173:174], vcc_lo, 1.0, v[152:153], 1.0
	v_mul_f64 v[175:176], v[173:174], v[171:172]
	s_delay_alu instid0(VALU_DEP_1) | instskip(NEXT) | instid1(VALU_DEP_1)
	v_fma_f64 v[154:155], -v[154:155], v[175:176], v[173:174]
	v_div_fmas_f64 v[154:155], v[154:155], v[171:172], v[175:176]
	s_delay_alu instid0(VALU_DEP_1) | instskip(NEXT) | instid1(VALU_DEP_1)
	v_div_fixup_f64 v[152:153], v[154:155], v[152:153], 1.0
	v_mul_f64 v[154:155], v[169:170], -v[152:153]
.LBB74_240:
	s_or_b32 exec_lo, exec_lo, s2
.LBB74_241:
	s_delay_alu instid0(SALU_CYCLE_1) | instskip(NEXT) | instid1(SALU_CYCLE_1)
	s_or_b32 exec_lo, exec_lo, s3
	s_mov_b32 s2, exec_lo
	v_cmpx_ne_u32_e64 v168, v160
	s_xor_b32 s2, exec_lo, s2
	s_cbranch_execz .LBB74_247
; %bb.242:
	s_mov_b32 s3, exec_lo
	v_cmpx_eq_u32_e32 11, v168
	s_cbranch_execz .LBB74_246
; %bb.243:
	v_cmp_ne_u32_e32 vcc_lo, 11, v160
	s_xor_b32 s6, s4, -1
	s_delay_alu instid0(SALU_CYCLE_1) | instskip(NEXT) | instid1(SALU_CYCLE_1)
	s_and_b32 s7, s6, vcc_lo
	s_and_saveexec_b32 s6, s7
	s_cbranch_execz .LBB74_245
; %bb.244:
	v_ashrrev_i32_e32 v161, 31, v160
	s_delay_alu instid0(VALU_DEP_1) | instskip(NEXT) | instid1(VALU_DEP_1)
	v_lshlrev_b64 v[167:168], 2, v[160:161]
	v_add_co_u32 v167, vcc_lo, v158, v167
	s_delay_alu instid0(VALU_DEP_2)
	v_add_co_ci_u32_e32 v168, vcc_lo, v159, v168, vcc_lo
	s_clause 0x1
	flat_load_b32 v161, v[167:168]
	flat_load_b32 v169, v[158:159] offset:44
	s_waitcnt vmcnt(1) lgkmcnt(1)
	flat_store_b32 v[158:159], v161 offset:44
	s_waitcnt vmcnt(0) lgkmcnt(1)
	flat_store_b32 v[167:168], v169
.LBB74_245:
	s_or_b32 exec_lo, exec_lo, s6
	v_mov_b32_e32 v168, v160
	v_mov_b32_e32 v167, v160
.LBB74_246:
	s_or_b32 exec_lo, exec_lo, s3
.LBB74_247:
	s_and_not1_saveexec_b32 s2, s2
	s_cbranch_execz .LBB74_249
; %bb.248:
	v_mov_b32_e32 v168, 11
	ds_store_2addr_b64 v162, v[108:109], v[110:111] offset0:24 offset1:25
	ds_store_2addr_b64 v162, v[104:105], v[106:107] offset0:26 offset1:27
	;; [unrolled: 1-line block ×26, first 2 shown]
.LBB74_249:
	s_or_b32 exec_lo, exec_lo, s2
	s_delay_alu instid0(SALU_CYCLE_1)
	s_mov_b32 s2, exec_lo
	s_waitcnt lgkmcnt(0)
	s_waitcnt_vscnt null, 0x0
	s_barrier
	buffer_gl0_inv
	v_cmpx_lt_i32_e32 11, v168
	s_cbranch_execz .LBB74_251
; %bb.250:
	v_mul_f64 v[160:161], v[154:155], v[114:115]
	v_mul_f64 v[114:115], v[152:153], v[114:115]
	s_delay_alu instid0(VALU_DEP_2) | instskip(NEXT) | instid1(VALU_DEP_2)
	v_fma_f64 v[160:161], v[152:153], v[112:113], -v[160:161]
	v_fma_f64 v[114:115], v[154:155], v[112:113], v[114:115]
	ds_load_2addr_b64 v[152:155], v162 offset0:24 offset1:25
	s_waitcnt lgkmcnt(0)
	v_mul_f64 v[112:113], v[154:155], v[114:115]
	s_delay_alu instid0(VALU_DEP_1) | instskip(SKIP_1) | instid1(VALU_DEP_2)
	v_fma_f64 v[112:113], v[152:153], v[160:161], -v[112:113]
	v_mul_f64 v[152:153], v[152:153], v[114:115]
	v_add_f64 v[108:109], v[108:109], -v[112:113]
	s_delay_alu instid0(VALU_DEP_2) | instskip(NEXT) | instid1(VALU_DEP_1)
	v_fma_f64 v[152:153], v[154:155], v[160:161], v[152:153]
	v_add_f64 v[110:111], v[110:111], -v[152:153]
	ds_load_2addr_b64 v[152:155], v162 offset0:26 offset1:27
	s_waitcnt lgkmcnt(0)
	v_mul_f64 v[112:113], v[154:155], v[114:115]
	s_delay_alu instid0(VALU_DEP_1) | instskip(SKIP_1) | instid1(VALU_DEP_2)
	v_fma_f64 v[112:113], v[152:153], v[160:161], -v[112:113]
	v_mul_f64 v[152:153], v[152:153], v[114:115]
	v_add_f64 v[104:105], v[104:105], -v[112:113]
	s_delay_alu instid0(VALU_DEP_2) | instskip(NEXT) | instid1(VALU_DEP_1)
	v_fma_f64 v[152:153], v[154:155], v[160:161], v[152:153]
	v_add_f64 v[106:107], v[106:107], -v[152:153]
	;; [unrolled: 10-line block ×25, first 2 shown]
	ds_load_2addr_b64 v[152:155], v162 offset0:74 offset1:75
	s_waitcnt lgkmcnt(0)
	v_mul_f64 v[112:113], v[154:155], v[114:115]
	s_delay_alu instid0(VALU_DEP_1) | instskip(SKIP_1) | instid1(VALU_DEP_2)
	v_fma_f64 v[112:113], v[152:153], v[160:161], -v[112:113]
	v_mul_f64 v[152:153], v[152:153], v[114:115]
	v_add_f64 v[0:1], v[0:1], -v[112:113]
	s_delay_alu instid0(VALU_DEP_2) | instskip(SKIP_1) | instid1(VALU_DEP_2)
	v_fma_f64 v[152:153], v[154:155], v[160:161], v[152:153]
	v_dual_mov_b32 v112, v160 :: v_dual_mov_b32 v113, v161
	v_add_f64 v[2:3], v[2:3], -v[152:153]
.LBB74_251:
	s_or_b32 exec_lo, exec_lo, s2
	v_lshl_add_u32 v152, v168, 4, v162
	s_barrier
	buffer_gl0_inv
	v_mov_b32_e32 v160, 12
	ds_store_2addr_b64 v152, v[108:109], v[110:111] offset1:1
	s_waitcnt lgkmcnt(0)
	s_barrier
	buffer_gl0_inv
	ds_load_2addr_b64 v[152:155], v162 offset0:24 offset1:25
	s_cmp_lt_i32 s5, 14
	s_cbranch_scc1 .LBB74_254
; %bb.252:
	v_add3_u32 v161, v166, 0, 0xd0
	v_mov_b32_e32 v160, 12
	s_mov_b32 s6, 13
	s_set_inst_prefetch_distance 0x1
	.p2align	6
.LBB74_253:                             ; =>This Inner Loop Header: Depth=1
	ds_load_2addr_b64 v[169:172], v161 offset1:1
	s_waitcnt lgkmcnt(1)
	v_cmp_gt_f64_e32 vcc_lo, 0, v[152:153]
	v_xor_b32_e32 v173, 0x80000000, v153
	v_cmp_gt_f64_e64 s2, 0, v[154:155]
	v_xor_b32_e32 v175, 0x80000000, v155
	v_add_nc_u32_e32 v161, 16, v161
	s_waitcnt lgkmcnt(0)
	v_cmp_gt_f64_e64 s3, 0, v[169:170]
	v_mov_b32_e32 v177, v169
	v_dual_mov_b32 v179, v171 :: v_dual_cndmask_b32 v174, v153, v173
	v_xor_b32_e32 v173, 0x80000000, v170
	v_cndmask_b32_e64 v176, v155, v175, s2
	v_xor_b32_e32 v175, 0x80000000, v172
	s_delay_alu instid0(VALU_DEP_3) | instskip(SKIP_2) | instid1(VALU_DEP_2)
	v_cndmask_b32_e64 v178, v170, v173, s3
	v_cmp_gt_f64_e64 s3, 0, v[171:172]
	v_cndmask_b32_e32 v173, v152, v152, vcc_lo
	v_cndmask_b32_e64 v180, v172, v175, s3
	v_cndmask_b32_e64 v175, v154, v154, s2
	s_delay_alu instid0(VALU_DEP_2) | instskip(NEXT) | instid1(VALU_DEP_2)
	v_add_f64 v[177:178], v[177:178], v[179:180]
	v_add_f64 v[173:174], v[173:174], v[175:176]
	s_delay_alu instid0(VALU_DEP_1) | instskip(SKIP_4) | instid1(SALU_CYCLE_1)
	v_cmp_lt_f64_e32 vcc_lo, v[173:174], v[177:178]
	v_dual_cndmask_b32 v154, v154, v171 :: v_dual_cndmask_b32 v153, v153, v170
	v_dual_cndmask_b32 v152, v152, v169 :: v_dual_cndmask_b32 v155, v155, v172
	v_cndmask_b32_e64 v160, v160, s6, vcc_lo
	s_add_i32 s6, s6, 1
	s_cmp_lg_u32 s5, s6
	s_cbranch_scc1 .LBB74_253
.LBB74_254:
	s_set_inst_prefetch_distance 0x2
	s_waitcnt lgkmcnt(0)
	v_cmp_eq_f64_e32 vcc_lo, 0, v[152:153]
	v_cmp_eq_f64_e64 s2, 0, v[154:155]
	s_delay_alu instid0(VALU_DEP_1) | instskip(NEXT) | instid1(SALU_CYCLE_1)
	s_and_b32 s2, vcc_lo, s2
	s_and_saveexec_b32 s3, s2
	s_delay_alu instid0(SALU_CYCLE_1)
	s_xor_b32 s2, exec_lo, s3
; %bb.255:
	v_cmp_ne_u32_e32 vcc_lo, 0, v165
	v_cndmask_b32_e32 v165, 13, v165, vcc_lo
; %bb.256:
	s_and_not1_saveexec_b32 s3, s2
	s_cbranch_execz .LBB74_262
; %bb.257:
	v_cmp_gt_f64_e32 vcc_lo, 0, v[152:153]
	v_cmp_gt_f64_e64 s2, 0, v[154:155]
	v_xor_b32_e32 v161, 0x80000000, v153
	v_xor_b32_e32 v169, 0x80000000, v155
	s_delay_alu instid0(VALU_DEP_2) | instskip(NEXT) | instid1(VALU_DEP_2)
	v_cndmask_b32_e32 v170, v153, v161, vcc_lo
	v_cndmask_b32_e64 v172, v155, v169, s2
	v_cndmask_b32_e32 v169, v152, v152, vcc_lo
	v_cndmask_b32_e64 v171, v154, v154, s2
	s_mov_b32 s2, exec_lo
	s_delay_alu instid0(VALU_DEP_1)
	v_cmpx_ngt_f64_e32 v[169:170], v[171:172]
	s_xor_b32 s2, exec_lo, s2
	s_cbranch_execz .LBB74_259
; %bb.258:
	v_div_scale_f64 v[169:170], null, v[154:155], v[154:155], v[152:153]
	v_div_scale_f64 v[175:176], vcc_lo, v[152:153], v[154:155], v[152:153]
	s_delay_alu instid0(VALU_DEP_2) | instskip(SKIP_2) | instid1(VALU_DEP_1)
	v_rcp_f64_e32 v[171:172], v[169:170]
	s_waitcnt_depctr 0xfff
	v_fma_f64 v[173:174], -v[169:170], v[171:172], 1.0
	v_fma_f64 v[171:172], v[171:172], v[173:174], v[171:172]
	s_delay_alu instid0(VALU_DEP_1) | instskip(NEXT) | instid1(VALU_DEP_1)
	v_fma_f64 v[173:174], -v[169:170], v[171:172], 1.0
	v_fma_f64 v[171:172], v[171:172], v[173:174], v[171:172]
	s_delay_alu instid0(VALU_DEP_1) | instskip(NEXT) | instid1(VALU_DEP_1)
	v_mul_f64 v[173:174], v[175:176], v[171:172]
	v_fma_f64 v[169:170], -v[169:170], v[173:174], v[175:176]
	s_delay_alu instid0(VALU_DEP_1) | instskip(NEXT) | instid1(VALU_DEP_1)
	v_div_fmas_f64 v[169:170], v[169:170], v[171:172], v[173:174]
	v_div_fixup_f64 v[169:170], v[169:170], v[154:155], v[152:153]
	s_delay_alu instid0(VALU_DEP_1) | instskip(NEXT) | instid1(VALU_DEP_1)
	v_fma_f64 v[152:153], v[152:153], v[169:170], v[154:155]
	v_div_scale_f64 v[154:155], null, v[152:153], v[152:153], 1.0
	s_delay_alu instid0(VALU_DEP_1) | instskip(SKIP_2) | instid1(VALU_DEP_1)
	v_rcp_f64_e32 v[171:172], v[154:155]
	s_waitcnt_depctr 0xfff
	v_fma_f64 v[173:174], -v[154:155], v[171:172], 1.0
	v_fma_f64 v[171:172], v[171:172], v[173:174], v[171:172]
	s_delay_alu instid0(VALU_DEP_1) | instskip(NEXT) | instid1(VALU_DEP_1)
	v_fma_f64 v[173:174], -v[154:155], v[171:172], 1.0
	v_fma_f64 v[171:172], v[171:172], v[173:174], v[171:172]
	v_div_scale_f64 v[173:174], vcc_lo, 1.0, v[152:153], 1.0
	s_delay_alu instid0(VALU_DEP_1) | instskip(NEXT) | instid1(VALU_DEP_1)
	v_mul_f64 v[175:176], v[173:174], v[171:172]
	v_fma_f64 v[154:155], -v[154:155], v[175:176], v[173:174]
	s_delay_alu instid0(VALU_DEP_1) | instskip(NEXT) | instid1(VALU_DEP_1)
	v_div_fmas_f64 v[154:155], v[154:155], v[171:172], v[175:176]
	v_div_fixup_f64 v[154:155], v[154:155], v[152:153], 1.0
	s_delay_alu instid0(VALU_DEP_1)
	v_mul_f64 v[152:153], v[169:170], v[154:155]
	v_xor_b32_e32 v155, 0x80000000, v155
.LBB74_259:
	s_and_not1_saveexec_b32 s2, s2
	s_cbranch_execz .LBB74_261
; %bb.260:
	s_delay_alu instid0(VALU_DEP_1) | instskip(SKIP_1) | instid1(VALU_DEP_2)
	v_div_scale_f64 v[169:170], null, v[152:153], v[152:153], v[154:155]
	v_div_scale_f64 v[175:176], vcc_lo, v[154:155], v[152:153], v[154:155]
	v_rcp_f64_e32 v[171:172], v[169:170]
	s_waitcnt_depctr 0xfff
	v_fma_f64 v[173:174], -v[169:170], v[171:172], 1.0
	s_delay_alu instid0(VALU_DEP_1) | instskip(NEXT) | instid1(VALU_DEP_1)
	v_fma_f64 v[171:172], v[171:172], v[173:174], v[171:172]
	v_fma_f64 v[173:174], -v[169:170], v[171:172], 1.0
	s_delay_alu instid0(VALU_DEP_1) | instskip(NEXT) | instid1(VALU_DEP_1)
	v_fma_f64 v[171:172], v[171:172], v[173:174], v[171:172]
	v_mul_f64 v[173:174], v[175:176], v[171:172]
	s_delay_alu instid0(VALU_DEP_1) | instskip(NEXT) | instid1(VALU_DEP_1)
	v_fma_f64 v[169:170], -v[169:170], v[173:174], v[175:176]
	v_div_fmas_f64 v[169:170], v[169:170], v[171:172], v[173:174]
	s_delay_alu instid0(VALU_DEP_1) | instskip(NEXT) | instid1(VALU_DEP_1)
	v_div_fixup_f64 v[169:170], v[169:170], v[152:153], v[154:155]
	v_fma_f64 v[152:153], v[154:155], v[169:170], v[152:153]
	s_delay_alu instid0(VALU_DEP_1) | instskip(NEXT) | instid1(VALU_DEP_1)
	v_div_scale_f64 v[154:155], null, v[152:153], v[152:153], 1.0
	v_rcp_f64_e32 v[171:172], v[154:155]
	s_waitcnt_depctr 0xfff
	v_fma_f64 v[173:174], -v[154:155], v[171:172], 1.0
	s_delay_alu instid0(VALU_DEP_1) | instskip(NEXT) | instid1(VALU_DEP_1)
	v_fma_f64 v[171:172], v[171:172], v[173:174], v[171:172]
	v_fma_f64 v[173:174], -v[154:155], v[171:172], 1.0
	s_delay_alu instid0(VALU_DEP_1) | instskip(SKIP_1) | instid1(VALU_DEP_1)
	v_fma_f64 v[171:172], v[171:172], v[173:174], v[171:172]
	v_div_scale_f64 v[173:174], vcc_lo, 1.0, v[152:153], 1.0
	v_mul_f64 v[175:176], v[173:174], v[171:172]
	s_delay_alu instid0(VALU_DEP_1) | instskip(NEXT) | instid1(VALU_DEP_1)
	v_fma_f64 v[154:155], -v[154:155], v[175:176], v[173:174]
	v_div_fmas_f64 v[154:155], v[154:155], v[171:172], v[175:176]
	s_delay_alu instid0(VALU_DEP_1) | instskip(NEXT) | instid1(VALU_DEP_1)
	v_div_fixup_f64 v[152:153], v[154:155], v[152:153], 1.0
	v_mul_f64 v[154:155], v[169:170], -v[152:153]
.LBB74_261:
	s_or_b32 exec_lo, exec_lo, s2
.LBB74_262:
	s_delay_alu instid0(SALU_CYCLE_1) | instskip(NEXT) | instid1(SALU_CYCLE_1)
	s_or_b32 exec_lo, exec_lo, s3
	s_mov_b32 s2, exec_lo
	v_cmpx_ne_u32_e64 v168, v160
	s_xor_b32 s2, exec_lo, s2
	s_cbranch_execz .LBB74_268
; %bb.263:
	s_mov_b32 s3, exec_lo
	v_cmpx_eq_u32_e32 12, v168
	s_cbranch_execz .LBB74_267
; %bb.264:
	v_cmp_ne_u32_e32 vcc_lo, 12, v160
	s_xor_b32 s6, s4, -1
	s_delay_alu instid0(SALU_CYCLE_1) | instskip(NEXT) | instid1(SALU_CYCLE_1)
	s_and_b32 s7, s6, vcc_lo
	s_and_saveexec_b32 s6, s7
	s_cbranch_execz .LBB74_266
; %bb.265:
	v_ashrrev_i32_e32 v161, 31, v160
	s_delay_alu instid0(VALU_DEP_1) | instskip(NEXT) | instid1(VALU_DEP_1)
	v_lshlrev_b64 v[167:168], 2, v[160:161]
	v_add_co_u32 v167, vcc_lo, v158, v167
	s_delay_alu instid0(VALU_DEP_2)
	v_add_co_ci_u32_e32 v168, vcc_lo, v159, v168, vcc_lo
	s_clause 0x1
	flat_load_b32 v161, v[167:168]
	flat_load_b32 v169, v[158:159] offset:48
	s_waitcnt vmcnt(1) lgkmcnt(1)
	flat_store_b32 v[158:159], v161 offset:48
	s_waitcnt vmcnt(0) lgkmcnt(1)
	flat_store_b32 v[167:168], v169
.LBB74_266:
	s_or_b32 exec_lo, exec_lo, s6
	v_mov_b32_e32 v168, v160
	v_mov_b32_e32 v167, v160
.LBB74_267:
	s_or_b32 exec_lo, exec_lo, s3
.LBB74_268:
	s_and_not1_saveexec_b32 s2, s2
	s_cbranch_execz .LBB74_270
; %bb.269:
	v_mov_b32_e32 v168, 12
	ds_store_2addr_b64 v162, v[104:105], v[106:107] offset0:26 offset1:27
	ds_store_2addr_b64 v162, v[100:101], v[102:103] offset0:28 offset1:29
	;; [unrolled: 1-line block ×25, first 2 shown]
.LBB74_270:
	s_or_b32 exec_lo, exec_lo, s2
	s_delay_alu instid0(SALU_CYCLE_1)
	s_mov_b32 s2, exec_lo
	s_waitcnt lgkmcnt(0)
	s_waitcnt_vscnt null, 0x0
	s_barrier
	buffer_gl0_inv
	v_cmpx_lt_i32_e32 12, v168
	s_cbranch_execz .LBB74_272
; %bb.271:
	v_mul_f64 v[160:161], v[154:155], v[110:111]
	v_mul_f64 v[110:111], v[152:153], v[110:111]
	s_delay_alu instid0(VALU_DEP_2) | instskip(NEXT) | instid1(VALU_DEP_2)
	v_fma_f64 v[160:161], v[152:153], v[108:109], -v[160:161]
	v_fma_f64 v[110:111], v[154:155], v[108:109], v[110:111]
	ds_load_2addr_b64 v[152:155], v162 offset0:26 offset1:27
	s_waitcnt lgkmcnt(0)
	v_mul_f64 v[108:109], v[154:155], v[110:111]
	s_delay_alu instid0(VALU_DEP_1) | instskip(SKIP_1) | instid1(VALU_DEP_2)
	v_fma_f64 v[108:109], v[152:153], v[160:161], -v[108:109]
	v_mul_f64 v[152:153], v[152:153], v[110:111]
	v_add_f64 v[104:105], v[104:105], -v[108:109]
	s_delay_alu instid0(VALU_DEP_2) | instskip(NEXT) | instid1(VALU_DEP_1)
	v_fma_f64 v[152:153], v[154:155], v[160:161], v[152:153]
	v_add_f64 v[106:107], v[106:107], -v[152:153]
	ds_load_2addr_b64 v[152:155], v162 offset0:28 offset1:29
	s_waitcnt lgkmcnt(0)
	v_mul_f64 v[108:109], v[154:155], v[110:111]
	s_delay_alu instid0(VALU_DEP_1) | instskip(SKIP_1) | instid1(VALU_DEP_2)
	v_fma_f64 v[108:109], v[152:153], v[160:161], -v[108:109]
	v_mul_f64 v[152:153], v[152:153], v[110:111]
	v_add_f64 v[100:101], v[100:101], -v[108:109]
	s_delay_alu instid0(VALU_DEP_2) | instskip(NEXT) | instid1(VALU_DEP_1)
	v_fma_f64 v[152:153], v[154:155], v[160:161], v[152:153]
	v_add_f64 v[102:103], v[102:103], -v[152:153]
	;; [unrolled: 10-line block ×24, first 2 shown]
	ds_load_2addr_b64 v[152:155], v162 offset0:74 offset1:75
	s_waitcnt lgkmcnt(0)
	v_mul_f64 v[108:109], v[154:155], v[110:111]
	s_delay_alu instid0(VALU_DEP_1) | instskip(SKIP_1) | instid1(VALU_DEP_2)
	v_fma_f64 v[108:109], v[152:153], v[160:161], -v[108:109]
	v_mul_f64 v[152:153], v[152:153], v[110:111]
	v_add_f64 v[0:1], v[0:1], -v[108:109]
	s_delay_alu instid0(VALU_DEP_2) | instskip(SKIP_1) | instid1(VALU_DEP_2)
	v_fma_f64 v[152:153], v[154:155], v[160:161], v[152:153]
	v_dual_mov_b32 v108, v160 :: v_dual_mov_b32 v109, v161
	v_add_f64 v[2:3], v[2:3], -v[152:153]
.LBB74_272:
	s_or_b32 exec_lo, exec_lo, s2
	v_lshl_add_u32 v152, v168, 4, v162
	s_barrier
	buffer_gl0_inv
	v_mov_b32_e32 v160, 13
	ds_store_2addr_b64 v152, v[104:105], v[106:107] offset1:1
	s_waitcnt lgkmcnt(0)
	s_barrier
	buffer_gl0_inv
	ds_load_2addr_b64 v[152:155], v162 offset0:26 offset1:27
	s_cmp_lt_i32 s5, 15
	s_cbranch_scc1 .LBB74_275
; %bb.273:
	v_add3_u32 v161, v166, 0, 0xe0
	v_mov_b32_e32 v160, 13
	s_mov_b32 s6, 14
	s_set_inst_prefetch_distance 0x1
	.p2align	6
.LBB74_274:                             ; =>This Inner Loop Header: Depth=1
	ds_load_2addr_b64 v[169:172], v161 offset1:1
	s_waitcnt lgkmcnt(1)
	v_cmp_gt_f64_e32 vcc_lo, 0, v[152:153]
	v_xor_b32_e32 v173, 0x80000000, v153
	v_cmp_gt_f64_e64 s2, 0, v[154:155]
	v_xor_b32_e32 v175, 0x80000000, v155
	v_add_nc_u32_e32 v161, 16, v161
	s_waitcnt lgkmcnt(0)
	v_cmp_gt_f64_e64 s3, 0, v[169:170]
	v_mov_b32_e32 v177, v169
	v_dual_mov_b32 v179, v171 :: v_dual_cndmask_b32 v174, v153, v173
	v_xor_b32_e32 v173, 0x80000000, v170
	v_cndmask_b32_e64 v176, v155, v175, s2
	v_xor_b32_e32 v175, 0x80000000, v172
	s_delay_alu instid0(VALU_DEP_3) | instskip(SKIP_2) | instid1(VALU_DEP_2)
	v_cndmask_b32_e64 v178, v170, v173, s3
	v_cmp_gt_f64_e64 s3, 0, v[171:172]
	v_cndmask_b32_e32 v173, v152, v152, vcc_lo
	v_cndmask_b32_e64 v180, v172, v175, s3
	v_cndmask_b32_e64 v175, v154, v154, s2
	s_delay_alu instid0(VALU_DEP_2) | instskip(NEXT) | instid1(VALU_DEP_2)
	v_add_f64 v[177:178], v[177:178], v[179:180]
	v_add_f64 v[173:174], v[173:174], v[175:176]
	s_delay_alu instid0(VALU_DEP_1) | instskip(SKIP_4) | instid1(SALU_CYCLE_1)
	v_cmp_lt_f64_e32 vcc_lo, v[173:174], v[177:178]
	v_dual_cndmask_b32 v154, v154, v171 :: v_dual_cndmask_b32 v153, v153, v170
	v_dual_cndmask_b32 v152, v152, v169 :: v_dual_cndmask_b32 v155, v155, v172
	v_cndmask_b32_e64 v160, v160, s6, vcc_lo
	s_add_i32 s6, s6, 1
	s_cmp_lg_u32 s5, s6
	s_cbranch_scc1 .LBB74_274
.LBB74_275:
	s_set_inst_prefetch_distance 0x2
	s_waitcnt lgkmcnt(0)
	v_cmp_eq_f64_e32 vcc_lo, 0, v[152:153]
	v_cmp_eq_f64_e64 s2, 0, v[154:155]
	s_delay_alu instid0(VALU_DEP_1) | instskip(NEXT) | instid1(SALU_CYCLE_1)
	s_and_b32 s2, vcc_lo, s2
	s_and_saveexec_b32 s3, s2
	s_delay_alu instid0(SALU_CYCLE_1)
	s_xor_b32 s2, exec_lo, s3
; %bb.276:
	v_cmp_ne_u32_e32 vcc_lo, 0, v165
	v_cndmask_b32_e32 v165, 14, v165, vcc_lo
; %bb.277:
	s_and_not1_saveexec_b32 s3, s2
	s_cbranch_execz .LBB74_283
; %bb.278:
	v_cmp_gt_f64_e32 vcc_lo, 0, v[152:153]
	v_cmp_gt_f64_e64 s2, 0, v[154:155]
	v_xor_b32_e32 v161, 0x80000000, v153
	v_xor_b32_e32 v169, 0x80000000, v155
	s_delay_alu instid0(VALU_DEP_2) | instskip(NEXT) | instid1(VALU_DEP_2)
	v_cndmask_b32_e32 v170, v153, v161, vcc_lo
	v_cndmask_b32_e64 v172, v155, v169, s2
	v_cndmask_b32_e32 v169, v152, v152, vcc_lo
	v_cndmask_b32_e64 v171, v154, v154, s2
	s_mov_b32 s2, exec_lo
	s_delay_alu instid0(VALU_DEP_1)
	v_cmpx_ngt_f64_e32 v[169:170], v[171:172]
	s_xor_b32 s2, exec_lo, s2
	s_cbranch_execz .LBB74_280
; %bb.279:
	v_div_scale_f64 v[169:170], null, v[154:155], v[154:155], v[152:153]
	v_div_scale_f64 v[175:176], vcc_lo, v[152:153], v[154:155], v[152:153]
	s_delay_alu instid0(VALU_DEP_2) | instskip(SKIP_2) | instid1(VALU_DEP_1)
	v_rcp_f64_e32 v[171:172], v[169:170]
	s_waitcnt_depctr 0xfff
	v_fma_f64 v[173:174], -v[169:170], v[171:172], 1.0
	v_fma_f64 v[171:172], v[171:172], v[173:174], v[171:172]
	s_delay_alu instid0(VALU_DEP_1) | instskip(NEXT) | instid1(VALU_DEP_1)
	v_fma_f64 v[173:174], -v[169:170], v[171:172], 1.0
	v_fma_f64 v[171:172], v[171:172], v[173:174], v[171:172]
	s_delay_alu instid0(VALU_DEP_1) | instskip(NEXT) | instid1(VALU_DEP_1)
	v_mul_f64 v[173:174], v[175:176], v[171:172]
	v_fma_f64 v[169:170], -v[169:170], v[173:174], v[175:176]
	s_delay_alu instid0(VALU_DEP_1) | instskip(NEXT) | instid1(VALU_DEP_1)
	v_div_fmas_f64 v[169:170], v[169:170], v[171:172], v[173:174]
	v_div_fixup_f64 v[169:170], v[169:170], v[154:155], v[152:153]
	s_delay_alu instid0(VALU_DEP_1) | instskip(NEXT) | instid1(VALU_DEP_1)
	v_fma_f64 v[152:153], v[152:153], v[169:170], v[154:155]
	v_div_scale_f64 v[154:155], null, v[152:153], v[152:153], 1.0
	s_delay_alu instid0(VALU_DEP_1) | instskip(SKIP_2) | instid1(VALU_DEP_1)
	v_rcp_f64_e32 v[171:172], v[154:155]
	s_waitcnt_depctr 0xfff
	v_fma_f64 v[173:174], -v[154:155], v[171:172], 1.0
	v_fma_f64 v[171:172], v[171:172], v[173:174], v[171:172]
	s_delay_alu instid0(VALU_DEP_1) | instskip(NEXT) | instid1(VALU_DEP_1)
	v_fma_f64 v[173:174], -v[154:155], v[171:172], 1.0
	v_fma_f64 v[171:172], v[171:172], v[173:174], v[171:172]
	v_div_scale_f64 v[173:174], vcc_lo, 1.0, v[152:153], 1.0
	s_delay_alu instid0(VALU_DEP_1) | instskip(NEXT) | instid1(VALU_DEP_1)
	v_mul_f64 v[175:176], v[173:174], v[171:172]
	v_fma_f64 v[154:155], -v[154:155], v[175:176], v[173:174]
	s_delay_alu instid0(VALU_DEP_1) | instskip(NEXT) | instid1(VALU_DEP_1)
	v_div_fmas_f64 v[154:155], v[154:155], v[171:172], v[175:176]
	v_div_fixup_f64 v[154:155], v[154:155], v[152:153], 1.0
	s_delay_alu instid0(VALU_DEP_1)
	v_mul_f64 v[152:153], v[169:170], v[154:155]
	v_xor_b32_e32 v155, 0x80000000, v155
.LBB74_280:
	s_and_not1_saveexec_b32 s2, s2
	s_cbranch_execz .LBB74_282
; %bb.281:
	s_delay_alu instid0(VALU_DEP_1) | instskip(SKIP_1) | instid1(VALU_DEP_2)
	v_div_scale_f64 v[169:170], null, v[152:153], v[152:153], v[154:155]
	v_div_scale_f64 v[175:176], vcc_lo, v[154:155], v[152:153], v[154:155]
	v_rcp_f64_e32 v[171:172], v[169:170]
	s_waitcnt_depctr 0xfff
	v_fma_f64 v[173:174], -v[169:170], v[171:172], 1.0
	s_delay_alu instid0(VALU_DEP_1) | instskip(NEXT) | instid1(VALU_DEP_1)
	v_fma_f64 v[171:172], v[171:172], v[173:174], v[171:172]
	v_fma_f64 v[173:174], -v[169:170], v[171:172], 1.0
	s_delay_alu instid0(VALU_DEP_1) | instskip(NEXT) | instid1(VALU_DEP_1)
	v_fma_f64 v[171:172], v[171:172], v[173:174], v[171:172]
	v_mul_f64 v[173:174], v[175:176], v[171:172]
	s_delay_alu instid0(VALU_DEP_1) | instskip(NEXT) | instid1(VALU_DEP_1)
	v_fma_f64 v[169:170], -v[169:170], v[173:174], v[175:176]
	v_div_fmas_f64 v[169:170], v[169:170], v[171:172], v[173:174]
	s_delay_alu instid0(VALU_DEP_1) | instskip(NEXT) | instid1(VALU_DEP_1)
	v_div_fixup_f64 v[169:170], v[169:170], v[152:153], v[154:155]
	v_fma_f64 v[152:153], v[154:155], v[169:170], v[152:153]
	s_delay_alu instid0(VALU_DEP_1) | instskip(NEXT) | instid1(VALU_DEP_1)
	v_div_scale_f64 v[154:155], null, v[152:153], v[152:153], 1.0
	v_rcp_f64_e32 v[171:172], v[154:155]
	s_waitcnt_depctr 0xfff
	v_fma_f64 v[173:174], -v[154:155], v[171:172], 1.0
	s_delay_alu instid0(VALU_DEP_1) | instskip(NEXT) | instid1(VALU_DEP_1)
	v_fma_f64 v[171:172], v[171:172], v[173:174], v[171:172]
	v_fma_f64 v[173:174], -v[154:155], v[171:172], 1.0
	s_delay_alu instid0(VALU_DEP_1) | instskip(SKIP_1) | instid1(VALU_DEP_1)
	v_fma_f64 v[171:172], v[171:172], v[173:174], v[171:172]
	v_div_scale_f64 v[173:174], vcc_lo, 1.0, v[152:153], 1.0
	v_mul_f64 v[175:176], v[173:174], v[171:172]
	s_delay_alu instid0(VALU_DEP_1) | instskip(NEXT) | instid1(VALU_DEP_1)
	v_fma_f64 v[154:155], -v[154:155], v[175:176], v[173:174]
	v_div_fmas_f64 v[154:155], v[154:155], v[171:172], v[175:176]
	s_delay_alu instid0(VALU_DEP_1) | instskip(NEXT) | instid1(VALU_DEP_1)
	v_div_fixup_f64 v[152:153], v[154:155], v[152:153], 1.0
	v_mul_f64 v[154:155], v[169:170], -v[152:153]
.LBB74_282:
	s_or_b32 exec_lo, exec_lo, s2
.LBB74_283:
	s_delay_alu instid0(SALU_CYCLE_1) | instskip(NEXT) | instid1(SALU_CYCLE_1)
	s_or_b32 exec_lo, exec_lo, s3
	s_mov_b32 s2, exec_lo
	v_cmpx_ne_u32_e64 v168, v160
	s_xor_b32 s2, exec_lo, s2
	s_cbranch_execz .LBB74_289
; %bb.284:
	s_mov_b32 s3, exec_lo
	v_cmpx_eq_u32_e32 13, v168
	s_cbranch_execz .LBB74_288
; %bb.285:
	v_cmp_ne_u32_e32 vcc_lo, 13, v160
	s_xor_b32 s6, s4, -1
	s_delay_alu instid0(SALU_CYCLE_1) | instskip(NEXT) | instid1(SALU_CYCLE_1)
	s_and_b32 s7, s6, vcc_lo
	s_and_saveexec_b32 s6, s7
	s_cbranch_execz .LBB74_287
; %bb.286:
	v_ashrrev_i32_e32 v161, 31, v160
	s_delay_alu instid0(VALU_DEP_1) | instskip(NEXT) | instid1(VALU_DEP_1)
	v_lshlrev_b64 v[167:168], 2, v[160:161]
	v_add_co_u32 v167, vcc_lo, v158, v167
	s_delay_alu instid0(VALU_DEP_2)
	v_add_co_ci_u32_e32 v168, vcc_lo, v159, v168, vcc_lo
	s_clause 0x1
	flat_load_b32 v161, v[167:168]
	flat_load_b32 v169, v[158:159] offset:52
	s_waitcnt vmcnt(1) lgkmcnt(1)
	flat_store_b32 v[158:159], v161 offset:52
	s_waitcnt vmcnt(0) lgkmcnt(1)
	flat_store_b32 v[167:168], v169
.LBB74_287:
	s_or_b32 exec_lo, exec_lo, s6
	v_mov_b32_e32 v168, v160
	v_mov_b32_e32 v167, v160
.LBB74_288:
	s_or_b32 exec_lo, exec_lo, s3
.LBB74_289:
	s_and_not1_saveexec_b32 s2, s2
	s_cbranch_execz .LBB74_291
; %bb.290:
	v_mov_b32_e32 v168, 13
	ds_store_2addr_b64 v162, v[100:101], v[102:103] offset0:28 offset1:29
	ds_store_2addr_b64 v162, v[96:97], v[98:99] offset0:30 offset1:31
	;; [unrolled: 1-line block ×24, first 2 shown]
.LBB74_291:
	s_or_b32 exec_lo, exec_lo, s2
	s_delay_alu instid0(SALU_CYCLE_1)
	s_mov_b32 s2, exec_lo
	s_waitcnt lgkmcnt(0)
	s_waitcnt_vscnt null, 0x0
	s_barrier
	buffer_gl0_inv
	v_cmpx_lt_i32_e32 13, v168
	s_cbranch_execz .LBB74_293
; %bb.292:
	v_mul_f64 v[160:161], v[154:155], v[106:107]
	v_mul_f64 v[106:107], v[152:153], v[106:107]
	s_delay_alu instid0(VALU_DEP_2) | instskip(NEXT) | instid1(VALU_DEP_2)
	v_fma_f64 v[160:161], v[152:153], v[104:105], -v[160:161]
	v_fma_f64 v[106:107], v[154:155], v[104:105], v[106:107]
	ds_load_2addr_b64 v[152:155], v162 offset0:28 offset1:29
	s_waitcnt lgkmcnt(0)
	v_mul_f64 v[104:105], v[154:155], v[106:107]
	s_delay_alu instid0(VALU_DEP_1) | instskip(SKIP_1) | instid1(VALU_DEP_2)
	v_fma_f64 v[104:105], v[152:153], v[160:161], -v[104:105]
	v_mul_f64 v[152:153], v[152:153], v[106:107]
	v_add_f64 v[100:101], v[100:101], -v[104:105]
	s_delay_alu instid0(VALU_DEP_2) | instskip(NEXT) | instid1(VALU_DEP_1)
	v_fma_f64 v[152:153], v[154:155], v[160:161], v[152:153]
	v_add_f64 v[102:103], v[102:103], -v[152:153]
	ds_load_2addr_b64 v[152:155], v162 offset0:30 offset1:31
	s_waitcnt lgkmcnt(0)
	v_mul_f64 v[104:105], v[154:155], v[106:107]
	s_delay_alu instid0(VALU_DEP_1) | instskip(SKIP_1) | instid1(VALU_DEP_2)
	v_fma_f64 v[104:105], v[152:153], v[160:161], -v[104:105]
	v_mul_f64 v[152:153], v[152:153], v[106:107]
	v_add_f64 v[96:97], v[96:97], -v[104:105]
	s_delay_alu instid0(VALU_DEP_2) | instskip(NEXT) | instid1(VALU_DEP_1)
	v_fma_f64 v[152:153], v[154:155], v[160:161], v[152:153]
	v_add_f64 v[98:99], v[98:99], -v[152:153]
	;; [unrolled: 10-line block ×23, first 2 shown]
	ds_load_2addr_b64 v[152:155], v162 offset0:74 offset1:75
	s_waitcnt lgkmcnt(0)
	v_mul_f64 v[104:105], v[154:155], v[106:107]
	s_delay_alu instid0(VALU_DEP_1) | instskip(SKIP_1) | instid1(VALU_DEP_2)
	v_fma_f64 v[104:105], v[152:153], v[160:161], -v[104:105]
	v_mul_f64 v[152:153], v[152:153], v[106:107]
	v_add_f64 v[0:1], v[0:1], -v[104:105]
	s_delay_alu instid0(VALU_DEP_2) | instskip(SKIP_1) | instid1(VALU_DEP_2)
	v_fma_f64 v[152:153], v[154:155], v[160:161], v[152:153]
	v_dual_mov_b32 v104, v160 :: v_dual_mov_b32 v105, v161
	v_add_f64 v[2:3], v[2:3], -v[152:153]
.LBB74_293:
	s_or_b32 exec_lo, exec_lo, s2
	v_lshl_add_u32 v152, v168, 4, v162
	s_barrier
	buffer_gl0_inv
	v_mov_b32_e32 v160, 14
	ds_store_2addr_b64 v152, v[100:101], v[102:103] offset1:1
	s_waitcnt lgkmcnt(0)
	s_barrier
	buffer_gl0_inv
	ds_load_2addr_b64 v[152:155], v162 offset0:28 offset1:29
	s_cmp_lt_i32 s5, 16
	s_cbranch_scc1 .LBB74_296
; %bb.294:
	v_add3_u32 v161, v166, 0, 0xf0
	v_mov_b32_e32 v160, 14
	s_mov_b32 s6, 15
	s_set_inst_prefetch_distance 0x1
	.p2align	6
.LBB74_295:                             ; =>This Inner Loop Header: Depth=1
	ds_load_2addr_b64 v[169:172], v161 offset1:1
	s_waitcnt lgkmcnt(1)
	v_cmp_gt_f64_e32 vcc_lo, 0, v[152:153]
	v_xor_b32_e32 v173, 0x80000000, v153
	v_cmp_gt_f64_e64 s2, 0, v[154:155]
	v_xor_b32_e32 v175, 0x80000000, v155
	v_add_nc_u32_e32 v161, 16, v161
	s_waitcnt lgkmcnt(0)
	v_cmp_gt_f64_e64 s3, 0, v[169:170]
	v_mov_b32_e32 v177, v169
	v_dual_mov_b32 v179, v171 :: v_dual_cndmask_b32 v174, v153, v173
	v_xor_b32_e32 v173, 0x80000000, v170
	v_cndmask_b32_e64 v176, v155, v175, s2
	v_xor_b32_e32 v175, 0x80000000, v172
	s_delay_alu instid0(VALU_DEP_3) | instskip(SKIP_2) | instid1(VALU_DEP_2)
	v_cndmask_b32_e64 v178, v170, v173, s3
	v_cmp_gt_f64_e64 s3, 0, v[171:172]
	v_cndmask_b32_e32 v173, v152, v152, vcc_lo
	v_cndmask_b32_e64 v180, v172, v175, s3
	v_cndmask_b32_e64 v175, v154, v154, s2
	s_delay_alu instid0(VALU_DEP_2) | instskip(NEXT) | instid1(VALU_DEP_2)
	v_add_f64 v[177:178], v[177:178], v[179:180]
	v_add_f64 v[173:174], v[173:174], v[175:176]
	s_delay_alu instid0(VALU_DEP_1) | instskip(SKIP_4) | instid1(SALU_CYCLE_1)
	v_cmp_lt_f64_e32 vcc_lo, v[173:174], v[177:178]
	v_dual_cndmask_b32 v154, v154, v171 :: v_dual_cndmask_b32 v153, v153, v170
	v_dual_cndmask_b32 v152, v152, v169 :: v_dual_cndmask_b32 v155, v155, v172
	v_cndmask_b32_e64 v160, v160, s6, vcc_lo
	s_add_i32 s6, s6, 1
	s_cmp_lg_u32 s5, s6
	s_cbranch_scc1 .LBB74_295
.LBB74_296:
	s_set_inst_prefetch_distance 0x2
	s_waitcnt lgkmcnt(0)
	v_cmp_eq_f64_e32 vcc_lo, 0, v[152:153]
	v_cmp_eq_f64_e64 s2, 0, v[154:155]
	s_delay_alu instid0(VALU_DEP_1) | instskip(NEXT) | instid1(SALU_CYCLE_1)
	s_and_b32 s2, vcc_lo, s2
	s_and_saveexec_b32 s3, s2
	s_delay_alu instid0(SALU_CYCLE_1)
	s_xor_b32 s2, exec_lo, s3
; %bb.297:
	v_cmp_ne_u32_e32 vcc_lo, 0, v165
	v_cndmask_b32_e32 v165, 15, v165, vcc_lo
; %bb.298:
	s_and_not1_saveexec_b32 s3, s2
	s_cbranch_execz .LBB74_304
; %bb.299:
	v_cmp_gt_f64_e32 vcc_lo, 0, v[152:153]
	v_cmp_gt_f64_e64 s2, 0, v[154:155]
	v_xor_b32_e32 v161, 0x80000000, v153
	v_xor_b32_e32 v169, 0x80000000, v155
	s_delay_alu instid0(VALU_DEP_2) | instskip(NEXT) | instid1(VALU_DEP_2)
	v_cndmask_b32_e32 v170, v153, v161, vcc_lo
	v_cndmask_b32_e64 v172, v155, v169, s2
	v_cndmask_b32_e32 v169, v152, v152, vcc_lo
	v_cndmask_b32_e64 v171, v154, v154, s2
	s_mov_b32 s2, exec_lo
	s_delay_alu instid0(VALU_DEP_1)
	v_cmpx_ngt_f64_e32 v[169:170], v[171:172]
	s_xor_b32 s2, exec_lo, s2
	s_cbranch_execz .LBB74_301
; %bb.300:
	v_div_scale_f64 v[169:170], null, v[154:155], v[154:155], v[152:153]
	v_div_scale_f64 v[175:176], vcc_lo, v[152:153], v[154:155], v[152:153]
	s_delay_alu instid0(VALU_DEP_2) | instskip(SKIP_2) | instid1(VALU_DEP_1)
	v_rcp_f64_e32 v[171:172], v[169:170]
	s_waitcnt_depctr 0xfff
	v_fma_f64 v[173:174], -v[169:170], v[171:172], 1.0
	v_fma_f64 v[171:172], v[171:172], v[173:174], v[171:172]
	s_delay_alu instid0(VALU_DEP_1) | instskip(NEXT) | instid1(VALU_DEP_1)
	v_fma_f64 v[173:174], -v[169:170], v[171:172], 1.0
	v_fma_f64 v[171:172], v[171:172], v[173:174], v[171:172]
	s_delay_alu instid0(VALU_DEP_1) | instskip(NEXT) | instid1(VALU_DEP_1)
	v_mul_f64 v[173:174], v[175:176], v[171:172]
	v_fma_f64 v[169:170], -v[169:170], v[173:174], v[175:176]
	s_delay_alu instid0(VALU_DEP_1) | instskip(NEXT) | instid1(VALU_DEP_1)
	v_div_fmas_f64 v[169:170], v[169:170], v[171:172], v[173:174]
	v_div_fixup_f64 v[169:170], v[169:170], v[154:155], v[152:153]
	s_delay_alu instid0(VALU_DEP_1) | instskip(NEXT) | instid1(VALU_DEP_1)
	v_fma_f64 v[152:153], v[152:153], v[169:170], v[154:155]
	v_div_scale_f64 v[154:155], null, v[152:153], v[152:153], 1.0
	s_delay_alu instid0(VALU_DEP_1) | instskip(SKIP_2) | instid1(VALU_DEP_1)
	v_rcp_f64_e32 v[171:172], v[154:155]
	s_waitcnt_depctr 0xfff
	v_fma_f64 v[173:174], -v[154:155], v[171:172], 1.0
	v_fma_f64 v[171:172], v[171:172], v[173:174], v[171:172]
	s_delay_alu instid0(VALU_DEP_1) | instskip(NEXT) | instid1(VALU_DEP_1)
	v_fma_f64 v[173:174], -v[154:155], v[171:172], 1.0
	v_fma_f64 v[171:172], v[171:172], v[173:174], v[171:172]
	v_div_scale_f64 v[173:174], vcc_lo, 1.0, v[152:153], 1.0
	s_delay_alu instid0(VALU_DEP_1) | instskip(NEXT) | instid1(VALU_DEP_1)
	v_mul_f64 v[175:176], v[173:174], v[171:172]
	v_fma_f64 v[154:155], -v[154:155], v[175:176], v[173:174]
	s_delay_alu instid0(VALU_DEP_1) | instskip(NEXT) | instid1(VALU_DEP_1)
	v_div_fmas_f64 v[154:155], v[154:155], v[171:172], v[175:176]
	v_div_fixup_f64 v[154:155], v[154:155], v[152:153], 1.0
	s_delay_alu instid0(VALU_DEP_1)
	v_mul_f64 v[152:153], v[169:170], v[154:155]
	v_xor_b32_e32 v155, 0x80000000, v155
.LBB74_301:
	s_and_not1_saveexec_b32 s2, s2
	s_cbranch_execz .LBB74_303
; %bb.302:
	s_delay_alu instid0(VALU_DEP_1) | instskip(SKIP_1) | instid1(VALU_DEP_2)
	v_div_scale_f64 v[169:170], null, v[152:153], v[152:153], v[154:155]
	v_div_scale_f64 v[175:176], vcc_lo, v[154:155], v[152:153], v[154:155]
	v_rcp_f64_e32 v[171:172], v[169:170]
	s_waitcnt_depctr 0xfff
	v_fma_f64 v[173:174], -v[169:170], v[171:172], 1.0
	s_delay_alu instid0(VALU_DEP_1) | instskip(NEXT) | instid1(VALU_DEP_1)
	v_fma_f64 v[171:172], v[171:172], v[173:174], v[171:172]
	v_fma_f64 v[173:174], -v[169:170], v[171:172], 1.0
	s_delay_alu instid0(VALU_DEP_1) | instskip(NEXT) | instid1(VALU_DEP_1)
	v_fma_f64 v[171:172], v[171:172], v[173:174], v[171:172]
	v_mul_f64 v[173:174], v[175:176], v[171:172]
	s_delay_alu instid0(VALU_DEP_1) | instskip(NEXT) | instid1(VALU_DEP_1)
	v_fma_f64 v[169:170], -v[169:170], v[173:174], v[175:176]
	v_div_fmas_f64 v[169:170], v[169:170], v[171:172], v[173:174]
	s_delay_alu instid0(VALU_DEP_1) | instskip(NEXT) | instid1(VALU_DEP_1)
	v_div_fixup_f64 v[169:170], v[169:170], v[152:153], v[154:155]
	v_fma_f64 v[152:153], v[154:155], v[169:170], v[152:153]
	s_delay_alu instid0(VALU_DEP_1) | instskip(NEXT) | instid1(VALU_DEP_1)
	v_div_scale_f64 v[154:155], null, v[152:153], v[152:153], 1.0
	v_rcp_f64_e32 v[171:172], v[154:155]
	s_waitcnt_depctr 0xfff
	v_fma_f64 v[173:174], -v[154:155], v[171:172], 1.0
	s_delay_alu instid0(VALU_DEP_1) | instskip(NEXT) | instid1(VALU_DEP_1)
	v_fma_f64 v[171:172], v[171:172], v[173:174], v[171:172]
	v_fma_f64 v[173:174], -v[154:155], v[171:172], 1.0
	s_delay_alu instid0(VALU_DEP_1) | instskip(SKIP_1) | instid1(VALU_DEP_1)
	v_fma_f64 v[171:172], v[171:172], v[173:174], v[171:172]
	v_div_scale_f64 v[173:174], vcc_lo, 1.0, v[152:153], 1.0
	v_mul_f64 v[175:176], v[173:174], v[171:172]
	s_delay_alu instid0(VALU_DEP_1) | instskip(NEXT) | instid1(VALU_DEP_1)
	v_fma_f64 v[154:155], -v[154:155], v[175:176], v[173:174]
	v_div_fmas_f64 v[154:155], v[154:155], v[171:172], v[175:176]
	s_delay_alu instid0(VALU_DEP_1) | instskip(NEXT) | instid1(VALU_DEP_1)
	v_div_fixup_f64 v[152:153], v[154:155], v[152:153], 1.0
	v_mul_f64 v[154:155], v[169:170], -v[152:153]
.LBB74_303:
	s_or_b32 exec_lo, exec_lo, s2
.LBB74_304:
	s_delay_alu instid0(SALU_CYCLE_1) | instskip(NEXT) | instid1(SALU_CYCLE_1)
	s_or_b32 exec_lo, exec_lo, s3
	s_mov_b32 s2, exec_lo
	v_cmpx_ne_u32_e64 v168, v160
	s_xor_b32 s2, exec_lo, s2
	s_cbranch_execz .LBB74_310
; %bb.305:
	s_mov_b32 s3, exec_lo
	v_cmpx_eq_u32_e32 14, v168
	s_cbranch_execz .LBB74_309
; %bb.306:
	v_cmp_ne_u32_e32 vcc_lo, 14, v160
	s_xor_b32 s6, s4, -1
	s_delay_alu instid0(SALU_CYCLE_1) | instskip(NEXT) | instid1(SALU_CYCLE_1)
	s_and_b32 s7, s6, vcc_lo
	s_and_saveexec_b32 s6, s7
	s_cbranch_execz .LBB74_308
; %bb.307:
	v_ashrrev_i32_e32 v161, 31, v160
	s_delay_alu instid0(VALU_DEP_1) | instskip(NEXT) | instid1(VALU_DEP_1)
	v_lshlrev_b64 v[167:168], 2, v[160:161]
	v_add_co_u32 v167, vcc_lo, v158, v167
	s_delay_alu instid0(VALU_DEP_2)
	v_add_co_ci_u32_e32 v168, vcc_lo, v159, v168, vcc_lo
	s_clause 0x1
	flat_load_b32 v161, v[167:168]
	flat_load_b32 v169, v[158:159] offset:56
	s_waitcnt vmcnt(1) lgkmcnt(1)
	flat_store_b32 v[158:159], v161 offset:56
	s_waitcnt vmcnt(0) lgkmcnt(1)
	flat_store_b32 v[167:168], v169
.LBB74_308:
	s_or_b32 exec_lo, exec_lo, s6
	v_mov_b32_e32 v168, v160
	v_mov_b32_e32 v167, v160
.LBB74_309:
	s_or_b32 exec_lo, exec_lo, s3
.LBB74_310:
	s_and_not1_saveexec_b32 s2, s2
	s_cbranch_execz .LBB74_312
; %bb.311:
	v_mov_b32_e32 v168, 14
	ds_store_2addr_b64 v162, v[96:97], v[98:99] offset0:30 offset1:31
	ds_store_2addr_b64 v162, v[92:93], v[94:95] offset0:32 offset1:33
	;; [unrolled: 1-line block ×23, first 2 shown]
.LBB74_312:
	s_or_b32 exec_lo, exec_lo, s2
	s_delay_alu instid0(SALU_CYCLE_1)
	s_mov_b32 s2, exec_lo
	s_waitcnt lgkmcnt(0)
	s_waitcnt_vscnt null, 0x0
	s_barrier
	buffer_gl0_inv
	v_cmpx_lt_i32_e32 14, v168
	s_cbranch_execz .LBB74_314
; %bb.313:
	v_mul_f64 v[160:161], v[154:155], v[102:103]
	v_mul_f64 v[102:103], v[152:153], v[102:103]
	s_delay_alu instid0(VALU_DEP_2) | instskip(NEXT) | instid1(VALU_DEP_2)
	v_fma_f64 v[160:161], v[152:153], v[100:101], -v[160:161]
	v_fma_f64 v[102:103], v[154:155], v[100:101], v[102:103]
	ds_load_2addr_b64 v[152:155], v162 offset0:30 offset1:31
	s_waitcnt lgkmcnt(0)
	v_mul_f64 v[100:101], v[154:155], v[102:103]
	s_delay_alu instid0(VALU_DEP_1) | instskip(SKIP_1) | instid1(VALU_DEP_2)
	v_fma_f64 v[100:101], v[152:153], v[160:161], -v[100:101]
	v_mul_f64 v[152:153], v[152:153], v[102:103]
	v_add_f64 v[96:97], v[96:97], -v[100:101]
	s_delay_alu instid0(VALU_DEP_2) | instskip(NEXT) | instid1(VALU_DEP_1)
	v_fma_f64 v[152:153], v[154:155], v[160:161], v[152:153]
	v_add_f64 v[98:99], v[98:99], -v[152:153]
	ds_load_2addr_b64 v[152:155], v162 offset0:32 offset1:33
	s_waitcnt lgkmcnt(0)
	v_mul_f64 v[100:101], v[154:155], v[102:103]
	s_delay_alu instid0(VALU_DEP_1) | instskip(SKIP_1) | instid1(VALU_DEP_2)
	v_fma_f64 v[100:101], v[152:153], v[160:161], -v[100:101]
	v_mul_f64 v[152:153], v[152:153], v[102:103]
	v_add_f64 v[92:93], v[92:93], -v[100:101]
	s_delay_alu instid0(VALU_DEP_2) | instskip(NEXT) | instid1(VALU_DEP_1)
	v_fma_f64 v[152:153], v[154:155], v[160:161], v[152:153]
	v_add_f64 v[94:95], v[94:95], -v[152:153]
	;; [unrolled: 10-line block ×22, first 2 shown]
	ds_load_2addr_b64 v[152:155], v162 offset0:74 offset1:75
	s_waitcnt lgkmcnt(0)
	v_mul_f64 v[100:101], v[154:155], v[102:103]
	s_delay_alu instid0(VALU_DEP_1) | instskip(SKIP_1) | instid1(VALU_DEP_2)
	v_fma_f64 v[100:101], v[152:153], v[160:161], -v[100:101]
	v_mul_f64 v[152:153], v[152:153], v[102:103]
	v_add_f64 v[0:1], v[0:1], -v[100:101]
	s_delay_alu instid0(VALU_DEP_2) | instskip(SKIP_1) | instid1(VALU_DEP_2)
	v_fma_f64 v[152:153], v[154:155], v[160:161], v[152:153]
	v_dual_mov_b32 v100, v160 :: v_dual_mov_b32 v101, v161
	v_add_f64 v[2:3], v[2:3], -v[152:153]
.LBB74_314:
	s_or_b32 exec_lo, exec_lo, s2
	v_lshl_add_u32 v152, v168, 4, v162
	s_barrier
	buffer_gl0_inv
	v_mov_b32_e32 v160, 15
	ds_store_2addr_b64 v152, v[96:97], v[98:99] offset1:1
	s_waitcnt lgkmcnt(0)
	s_barrier
	buffer_gl0_inv
	ds_load_2addr_b64 v[152:155], v162 offset0:30 offset1:31
	s_cmp_lt_i32 s5, 17
	s_cbranch_scc1 .LBB74_317
; %bb.315:
	v_add3_u32 v161, v166, 0, 0x100
	v_mov_b32_e32 v160, 15
	s_mov_b32 s6, 16
	s_set_inst_prefetch_distance 0x1
	.p2align	6
.LBB74_316:                             ; =>This Inner Loop Header: Depth=1
	ds_load_2addr_b64 v[169:172], v161 offset1:1
	s_waitcnt lgkmcnt(1)
	v_cmp_gt_f64_e32 vcc_lo, 0, v[152:153]
	v_xor_b32_e32 v173, 0x80000000, v153
	v_cmp_gt_f64_e64 s2, 0, v[154:155]
	v_xor_b32_e32 v175, 0x80000000, v155
	v_add_nc_u32_e32 v161, 16, v161
	s_waitcnt lgkmcnt(0)
	v_cmp_gt_f64_e64 s3, 0, v[169:170]
	v_mov_b32_e32 v177, v169
	v_dual_mov_b32 v179, v171 :: v_dual_cndmask_b32 v174, v153, v173
	v_xor_b32_e32 v173, 0x80000000, v170
	v_cndmask_b32_e64 v176, v155, v175, s2
	v_xor_b32_e32 v175, 0x80000000, v172
	s_delay_alu instid0(VALU_DEP_3) | instskip(SKIP_2) | instid1(VALU_DEP_2)
	v_cndmask_b32_e64 v178, v170, v173, s3
	v_cmp_gt_f64_e64 s3, 0, v[171:172]
	v_cndmask_b32_e32 v173, v152, v152, vcc_lo
	v_cndmask_b32_e64 v180, v172, v175, s3
	v_cndmask_b32_e64 v175, v154, v154, s2
	s_delay_alu instid0(VALU_DEP_2) | instskip(NEXT) | instid1(VALU_DEP_2)
	v_add_f64 v[177:178], v[177:178], v[179:180]
	v_add_f64 v[173:174], v[173:174], v[175:176]
	s_delay_alu instid0(VALU_DEP_1) | instskip(SKIP_4) | instid1(SALU_CYCLE_1)
	v_cmp_lt_f64_e32 vcc_lo, v[173:174], v[177:178]
	v_dual_cndmask_b32 v154, v154, v171 :: v_dual_cndmask_b32 v153, v153, v170
	v_dual_cndmask_b32 v152, v152, v169 :: v_dual_cndmask_b32 v155, v155, v172
	v_cndmask_b32_e64 v160, v160, s6, vcc_lo
	s_add_i32 s6, s6, 1
	s_cmp_lg_u32 s5, s6
	s_cbranch_scc1 .LBB74_316
.LBB74_317:
	s_set_inst_prefetch_distance 0x2
	s_waitcnt lgkmcnt(0)
	v_cmp_eq_f64_e32 vcc_lo, 0, v[152:153]
	v_cmp_eq_f64_e64 s2, 0, v[154:155]
	s_delay_alu instid0(VALU_DEP_1) | instskip(NEXT) | instid1(SALU_CYCLE_1)
	s_and_b32 s2, vcc_lo, s2
	s_and_saveexec_b32 s3, s2
	s_delay_alu instid0(SALU_CYCLE_1)
	s_xor_b32 s2, exec_lo, s3
; %bb.318:
	v_cmp_ne_u32_e32 vcc_lo, 0, v165
	v_cndmask_b32_e32 v165, 16, v165, vcc_lo
; %bb.319:
	s_and_not1_saveexec_b32 s3, s2
	s_cbranch_execz .LBB74_325
; %bb.320:
	v_cmp_gt_f64_e32 vcc_lo, 0, v[152:153]
	v_cmp_gt_f64_e64 s2, 0, v[154:155]
	v_xor_b32_e32 v161, 0x80000000, v153
	v_xor_b32_e32 v169, 0x80000000, v155
	s_delay_alu instid0(VALU_DEP_2) | instskip(NEXT) | instid1(VALU_DEP_2)
	v_cndmask_b32_e32 v170, v153, v161, vcc_lo
	v_cndmask_b32_e64 v172, v155, v169, s2
	v_cndmask_b32_e32 v169, v152, v152, vcc_lo
	v_cndmask_b32_e64 v171, v154, v154, s2
	s_mov_b32 s2, exec_lo
	s_delay_alu instid0(VALU_DEP_1)
	v_cmpx_ngt_f64_e32 v[169:170], v[171:172]
	s_xor_b32 s2, exec_lo, s2
	s_cbranch_execz .LBB74_322
; %bb.321:
	v_div_scale_f64 v[169:170], null, v[154:155], v[154:155], v[152:153]
	v_div_scale_f64 v[175:176], vcc_lo, v[152:153], v[154:155], v[152:153]
	s_delay_alu instid0(VALU_DEP_2) | instskip(SKIP_2) | instid1(VALU_DEP_1)
	v_rcp_f64_e32 v[171:172], v[169:170]
	s_waitcnt_depctr 0xfff
	v_fma_f64 v[173:174], -v[169:170], v[171:172], 1.0
	v_fma_f64 v[171:172], v[171:172], v[173:174], v[171:172]
	s_delay_alu instid0(VALU_DEP_1) | instskip(NEXT) | instid1(VALU_DEP_1)
	v_fma_f64 v[173:174], -v[169:170], v[171:172], 1.0
	v_fma_f64 v[171:172], v[171:172], v[173:174], v[171:172]
	s_delay_alu instid0(VALU_DEP_1) | instskip(NEXT) | instid1(VALU_DEP_1)
	v_mul_f64 v[173:174], v[175:176], v[171:172]
	v_fma_f64 v[169:170], -v[169:170], v[173:174], v[175:176]
	s_delay_alu instid0(VALU_DEP_1) | instskip(NEXT) | instid1(VALU_DEP_1)
	v_div_fmas_f64 v[169:170], v[169:170], v[171:172], v[173:174]
	v_div_fixup_f64 v[169:170], v[169:170], v[154:155], v[152:153]
	s_delay_alu instid0(VALU_DEP_1) | instskip(NEXT) | instid1(VALU_DEP_1)
	v_fma_f64 v[152:153], v[152:153], v[169:170], v[154:155]
	v_div_scale_f64 v[154:155], null, v[152:153], v[152:153], 1.0
	s_delay_alu instid0(VALU_DEP_1) | instskip(SKIP_2) | instid1(VALU_DEP_1)
	v_rcp_f64_e32 v[171:172], v[154:155]
	s_waitcnt_depctr 0xfff
	v_fma_f64 v[173:174], -v[154:155], v[171:172], 1.0
	v_fma_f64 v[171:172], v[171:172], v[173:174], v[171:172]
	s_delay_alu instid0(VALU_DEP_1) | instskip(NEXT) | instid1(VALU_DEP_1)
	v_fma_f64 v[173:174], -v[154:155], v[171:172], 1.0
	v_fma_f64 v[171:172], v[171:172], v[173:174], v[171:172]
	v_div_scale_f64 v[173:174], vcc_lo, 1.0, v[152:153], 1.0
	s_delay_alu instid0(VALU_DEP_1) | instskip(NEXT) | instid1(VALU_DEP_1)
	v_mul_f64 v[175:176], v[173:174], v[171:172]
	v_fma_f64 v[154:155], -v[154:155], v[175:176], v[173:174]
	s_delay_alu instid0(VALU_DEP_1) | instskip(NEXT) | instid1(VALU_DEP_1)
	v_div_fmas_f64 v[154:155], v[154:155], v[171:172], v[175:176]
	v_div_fixup_f64 v[154:155], v[154:155], v[152:153], 1.0
	s_delay_alu instid0(VALU_DEP_1)
	v_mul_f64 v[152:153], v[169:170], v[154:155]
	v_xor_b32_e32 v155, 0x80000000, v155
.LBB74_322:
	s_and_not1_saveexec_b32 s2, s2
	s_cbranch_execz .LBB74_324
; %bb.323:
	s_delay_alu instid0(VALU_DEP_1) | instskip(SKIP_1) | instid1(VALU_DEP_2)
	v_div_scale_f64 v[169:170], null, v[152:153], v[152:153], v[154:155]
	v_div_scale_f64 v[175:176], vcc_lo, v[154:155], v[152:153], v[154:155]
	v_rcp_f64_e32 v[171:172], v[169:170]
	s_waitcnt_depctr 0xfff
	v_fma_f64 v[173:174], -v[169:170], v[171:172], 1.0
	s_delay_alu instid0(VALU_DEP_1) | instskip(NEXT) | instid1(VALU_DEP_1)
	v_fma_f64 v[171:172], v[171:172], v[173:174], v[171:172]
	v_fma_f64 v[173:174], -v[169:170], v[171:172], 1.0
	s_delay_alu instid0(VALU_DEP_1) | instskip(NEXT) | instid1(VALU_DEP_1)
	v_fma_f64 v[171:172], v[171:172], v[173:174], v[171:172]
	v_mul_f64 v[173:174], v[175:176], v[171:172]
	s_delay_alu instid0(VALU_DEP_1) | instskip(NEXT) | instid1(VALU_DEP_1)
	v_fma_f64 v[169:170], -v[169:170], v[173:174], v[175:176]
	v_div_fmas_f64 v[169:170], v[169:170], v[171:172], v[173:174]
	s_delay_alu instid0(VALU_DEP_1) | instskip(NEXT) | instid1(VALU_DEP_1)
	v_div_fixup_f64 v[169:170], v[169:170], v[152:153], v[154:155]
	v_fma_f64 v[152:153], v[154:155], v[169:170], v[152:153]
	s_delay_alu instid0(VALU_DEP_1) | instskip(NEXT) | instid1(VALU_DEP_1)
	v_div_scale_f64 v[154:155], null, v[152:153], v[152:153], 1.0
	v_rcp_f64_e32 v[171:172], v[154:155]
	s_waitcnt_depctr 0xfff
	v_fma_f64 v[173:174], -v[154:155], v[171:172], 1.0
	s_delay_alu instid0(VALU_DEP_1) | instskip(NEXT) | instid1(VALU_DEP_1)
	v_fma_f64 v[171:172], v[171:172], v[173:174], v[171:172]
	v_fma_f64 v[173:174], -v[154:155], v[171:172], 1.0
	s_delay_alu instid0(VALU_DEP_1) | instskip(SKIP_1) | instid1(VALU_DEP_1)
	v_fma_f64 v[171:172], v[171:172], v[173:174], v[171:172]
	v_div_scale_f64 v[173:174], vcc_lo, 1.0, v[152:153], 1.0
	v_mul_f64 v[175:176], v[173:174], v[171:172]
	s_delay_alu instid0(VALU_DEP_1) | instskip(NEXT) | instid1(VALU_DEP_1)
	v_fma_f64 v[154:155], -v[154:155], v[175:176], v[173:174]
	v_div_fmas_f64 v[154:155], v[154:155], v[171:172], v[175:176]
	s_delay_alu instid0(VALU_DEP_1) | instskip(NEXT) | instid1(VALU_DEP_1)
	v_div_fixup_f64 v[152:153], v[154:155], v[152:153], 1.0
	v_mul_f64 v[154:155], v[169:170], -v[152:153]
.LBB74_324:
	s_or_b32 exec_lo, exec_lo, s2
.LBB74_325:
	s_delay_alu instid0(SALU_CYCLE_1) | instskip(NEXT) | instid1(SALU_CYCLE_1)
	s_or_b32 exec_lo, exec_lo, s3
	s_mov_b32 s2, exec_lo
	v_cmpx_ne_u32_e64 v168, v160
	s_xor_b32 s2, exec_lo, s2
	s_cbranch_execz .LBB74_331
; %bb.326:
	s_mov_b32 s3, exec_lo
	v_cmpx_eq_u32_e32 15, v168
	s_cbranch_execz .LBB74_330
; %bb.327:
	v_cmp_ne_u32_e32 vcc_lo, 15, v160
	s_xor_b32 s6, s4, -1
	s_delay_alu instid0(SALU_CYCLE_1) | instskip(NEXT) | instid1(SALU_CYCLE_1)
	s_and_b32 s7, s6, vcc_lo
	s_and_saveexec_b32 s6, s7
	s_cbranch_execz .LBB74_329
; %bb.328:
	v_ashrrev_i32_e32 v161, 31, v160
	s_delay_alu instid0(VALU_DEP_1) | instskip(NEXT) | instid1(VALU_DEP_1)
	v_lshlrev_b64 v[167:168], 2, v[160:161]
	v_add_co_u32 v167, vcc_lo, v158, v167
	s_delay_alu instid0(VALU_DEP_2)
	v_add_co_ci_u32_e32 v168, vcc_lo, v159, v168, vcc_lo
	s_clause 0x1
	flat_load_b32 v161, v[167:168]
	flat_load_b32 v169, v[158:159] offset:60
	s_waitcnt vmcnt(1) lgkmcnt(1)
	flat_store_b32 v[158:159], v161 offset:60
	s_waitcnt vmcnt(0) lgkmcnt(1)
	flat_store_b32 v[167:168], v169
.LBB74_329:
	s_or_b32 exec_lo, exec_lo, s6
	v_mov_b32_e32 v168, v160
	v_mov_b32_e32 v167, v160
.LBB74_330:
	s_or_b32 exec_lo, exec_lo, s3
.LBB74_331:
	s_and_not1_saveexec_b32 s2, s2
	s_cbranch_execz .LBB74_333
; %bb.332:
	v_mov_b32_e32 v168, 15
	ds_store_2addr_b64 v162, v[92:93], v[94:95] offset0:32 offset1:33
	ds_store_2addr_b64 v162, v[88:89], v[90:91] offset0:34 offset1:35
	;; [unrolled: 1-line block ×22, first 2 shown]
.LBB74_333:
	s_or_b32 exec_lo, exec_lo, s2
	s_delay_alu instid0(SALU_CYCLE_1)
	s_mov_b32 s2, exec_lo
	s_waitcnt lgkmcnt(0)
	s_waitcnt_vscnt null, 0x0
	s_barrier
	buffer_gl0_inv
	v_cmpx_lt_i32_e32 15, v168
	s_cbranch_execz .LBB74_335
; %bb.334:
	v_mul_f64 v[160:161], v[154:155], v[98:99]
	v_mul_f64 v[98:99], v[152:153], v[98:99]
	s_delay_alu instid0(VALU_DEP_2) | instskip(NEXT) | instid1(VALU_DEP_2)
	v_fma_f64 v[160:161], v[152:153], v[96:97], -v[160:161]
	v_fma_f64 v[98:99], v[154:155], v[96:97], v[98:99]
	ds_load_2addr_b64 v[152:155], v162 offset0:32 offset1:33
	s_waitcnt lgkmcnt(0)
	v_mul_f64 v[96:97], v[154:155], v[98:99]
	s_delay_alu instid0(VALU_DEP_1) | instskip(SKIP_1) | instid1(VALU_DEP_2)
	v_fma_f64 v[96:97], v[152:153], v[160:161], -v[96:97]
	v_mul_f64 v[152:153], v[152:153], v[98:99]
	v_add_f64 v[92:93], v[92:93], -v[96:97]
	s_delay_alu instid0(VALU_DEP_2) | instskip(NEXT) | instid1(VALU_DEP_1)
	v_fma_f64 v[152:153], v[154:155], v[160:161], v[152:153]
	v_add_f64 v[94:95], v[94:95], -v[152:153]
	ds_load_2addr_b64 v[152:155], v162 offset0:34 offset1:35
	s_waitcnt lgkmcnt(0)
	v_mul_f64 v[96:97], v[154:155], v[98:99]
	s_delay_alu instid0(VALU_DEP_1) | instskip(SKIP_1) | instid1(VALU_DEP_2)
	v_fma_f64 v[96:97], v[152:153], v[160:161], -v[96:97]
	v_mul_f64 v[152:153], v[152:153], v[98:99]
	v_add_f64 v[88:89], v[88:89], -v[96:97]
	s_delay_alu instid0(VALU_DEP_2) | instskip(NEXT) | instid1(VALU_DEP_1)
	v_fma_f64 v[152:153], v[154:155], v[160:161], v[152:153]
	v_add_f64 v[90:91], v[90:91], -v[152:153]
	;; [unrolled: 10-line block ×21, first 2 shown]
	ds_load_2addr_b64 v[152:155], v162 offset0:74 offset1:75
	s_waitcnt lgkmcnt(0)
	v_mul_f64 v[96:97], v[154:155], v[98:99]
	s_delay_alu instid0(VALU_DEP_1) | instskip(SKIP_1) | instid1(VALU_DEP_2)
	v_fma_f64 v[96:97], v[152:153], v[160:161], -v[96:97]
	v_mul_f64 v[152:153], v[152:153], v[98:99]
	v_add_f64 v[0:1], v[0:1], -v[96:97]
	s_delay_alu instid0(VALU_DEP_2) | instskip(SKIP_1) | instid1(VALU_DEP_2)
	v_fma_f64 v[152:153], v[154:155], v[160:161], v[152:153]
	v_dual_mov_b32 v96, v160 :: v_dual_mov_b32 v97, v161
	v_add_f64 v[2:3], v[2:3], -v[152:153]
.LBB74_335:
	s_or_b32 exec_lo, exec_lo, s2
	v_lshl_add_u32 v152, v168, 4, v162
	s_barrier
	buffer_gl0_inv
	v_mov_b32_e32 v160, 16
	ds_store_2addr_b64 v152, v[92:93], v[94:95] offset1:1
	s_waitcnt lgkmcnt(0)
	s_barrier
	buffer_gl0_inv
	ds_load_2addr_b64 v[152:155], v162 offset0:32 offset1:33
	s_cmp_lt_i32 s5, 18
	s_cbranch_scc1 .LBB74_338
; %bb.336:
	v_add3_u32 v161, v166, 0, 0x110
	v_mov_b32_e32 v160, 16
	s_mov_b32 s6, 17
	s_set_inst_prefetch_distance 0x1
	.p2align	6
.LBB74_337:                             ; =>This Inner Loop Header: Depth=1
	ds_load_2addr_b64 v[169:172], v161 offset1:1
	s_waitcnt lgkmcnt(1)
	v_cmp_gt_f64_e32 vcc_lo, 0, v[152:153]
	v_xor_b32_e32 v173, 0x80000000, v153
	v_cmp_gt_f64_e64 s2, 0, v[154:155]
	v_xor_b32_e32 v175, 0x80000000, v155
	v_add_nc_u32_e32 v161, 16, v161
	s_waitcnt lgkmcnt(0)
	v_cmp_gt_f64_e64 s3, 0, v[169:170]
	v_mov_b32_e32 v177, v169
	v_dual_mov_b32 v179, v171 :: v_dual_cndmask_b32 v174, v153, v173
	v_xor_b32_e32 v173, 0x80000000, v170
	v_cndmask_b32_e64 v176, v155, v175, s2
	v_xor_b32_e32 v175, 0x80000000, v172
	s_delay_alu instid0(VALU_DEP_3) | instskip(SKIP_2) | instid1(VALU_DEP_2)
	v_cndmask_b32_e64 v178, v170, v173, s3
	v_cmp_gt_f64_e64 s3, 0, v[171:172]
	v_cndmask_b32_e32 v173, v152, v152, vcc_lo
	v_cndmask_b32_e64 v180, v172, v175, s3
	v_cndmask_b32_e64 v175, v154, v154, s2
	s_delay_alu instid0(VALU_DEP_2) | instskip(NEXT) | instid1(VALU_DEP_2)
	v_add_f64 v[177:178], v[177:178], v[179:180]
	v_add_f64 v[173:174], v[173:174], v[175:176]
	s_delay_alu instid0(VALU_DEP_1) | instskip(SKIP_4) | instid1(SALU_CYCLE_1)
	v_cmp_lt_f64_e32 vcc_lo, v[173:174], v[177:178]
	v_dual_cndmask_b32 v154, v154, v171 :: v_dual_cndmask_b32 v153, v153, v170
	v_dual_cndmask_b32 v152, v152, v169 :: v_dual_cndmask_b32 v155, v155, v172
	v_cndmask_b32_e64 v160, v160, s6, vcc_lo
	s_add_i32 s6, s6, 1
	s_cmp_lg_u32 s5, s6
	s_cbranch_scc1 .LBB74_337
.LBB74_338:
	s_set_inst_prefetch_distance 0x2
	s_waitcnt lgkmcnt(0)
	v_cmp_eq_f64_e32 vcc_lo, 0, v[152:153]
	v_cmp_eq_f64_e64 s2, 0, v[154:155]
	s_delay_alu instid0(VALU_DEP_1) | instskip(NEXT) | instid1(SALU_CYCLE_1)
	s_and_b32 s2, vcc_lo, s2
	s_and_saveexec_b32 s3, s2
	s_delay_alu instid0(SALU_CYCLE_1)
	s_xor_b32 s2, exec_lo, s3
; %bb.339:
	v_cmp_ne_u32_e32 vcc_lo, 0, v165
	v_cndmask_b32_e32 v165, 17, v165, vcc_lo
; %bb.340:
	s_and_not1_saveexec_b32 s3, s2
	s_cbranch_execz .LBB74_346
; %bb.341:
	v_cmp_gt_f64_e32 vcc_lo, 0, v[152:153]
	v_cmp_gt_f64_e64 s2, 0, v[154:155]
	v_xor_b32_e32 v161, 0x80000000, v153
	v_xor_b32_e32 v169, 0x80000000, v155
	s_delay_alu instid0(VALU_DEP_2) | instskip(NEXT) | instid1(VALU_DEP_2)
	v_cndmask_b32_e32 v170, v153, v161, vcc_lo
	v_cndmask_b32_e64 v172, v155, v169, s2
	v_cndmask_b32_e32 v169, v152, v152, vcc_lo
	v_cndmask_b32_e64 v171, v154, v154, s2
	s_mov_b32 s2, exec_lo
	s_delay_alu instid0(VALU_DEP_1)
	v_cmpx_ngt_f64_e32 v[169:170], v[171:172]
	s_xor_b32 s2, exec_lo, s2
	s_cbranch_execz .LBB74_343
; %bb.342:
	v_div_scale_f64 v[169:170], null, v[154:155], v[154:155], v[152:153]
	v_div_scale_f64 v[175:176], vcc_lo, v[152:153], v[154:155], v[152:153]
	s_delay_alu instid0(VALU_DEP_2) | instskip(SKIP_2) | instid1(VALU_DEP_1)
	v_rcp_f64_e32 v[171:172], v[169:170]
	s_waitcnt_depctr 0xfff
	v_fma_f64 v[173:174], -v[169:170], v[171:172], 1.0
	v_fma_f64 v[171:172], v[171:172], v[173:174], v[171:172]
	s_delay_alu instid0(VALU_DEP_1) | instskip(NEXT) | instid1(VALU_DEP_1)
	v_fma_f64 v[173:174], -v[169:170], v[171:172], 1.0
	v_fma_f64 v[171:172], v[171:172], v[173:174], v[171:172]
	s_delay_alu instid0(VALU_DEP_1) | instskip(NEXT) | instid1(VALU_DEP_1)
	v_mul_f64 v[173:174], v[175:176], v[171:172]
	v_fma_f64 v[169:170], -v[169:170], v[173:174], v[175:176]
	s_delay_alu instid0(VALU_DEP_1) | instskip(NEXT) | instid1(VALU_DEP_1)
	v_div_fmas_f64 v[169:170], v[169:170], v[171:172], v[173:174]
	v_div_fixup_f64 v[169:170], v[169:170], v[154:155], v[152:153]
	s_delay_alu instid0(VALU_DEP_1) | instskip(NEXT) | instid1(VALU_DEP_1)
	v_fma_f64 v[152:153], v[152:153], v[169:170], v[154:155]
	v_div_scale_f64 v[154:155], null, v[152:153], v[152:153], 1.0
	s_delay_alu instid0(VALU_DEP_1) | instskip(SKIP_2) | instid1(VALU_DEP_1)
	v_rcp_f64_e32 v[171:172], v[154:155]
	s_waitcnt_depctr 0xfff
	v_fma_f64 v[173:174], -v[154:155], v[171:172], 1.0
	v_fma_f64 v[171:172], v[171:172], v[173:174], v[171:172]
	s_delay_alu instid0(VALU_DEP_1) | instskip(NEXT) | instid1(VALU_DEP_1)
	v_fma_f64 v[173:174], -v[154:155], v[171:172], 1.0
	v_fma_f64 v[171:172], v[171:172], v[173:174], v[171:172]
	v_div_scale_f64 v[173:174], vcc_lo, 1.0, v[152:153], 1.0
	s_delay_alu instid0(VALU_DEP_1) | instskip(NEXT) | instid1(VALU_DEP_1)
	v_mul_f64 v[175:176], v[173:174], v[171:172]
	v_fma_f64 v[154:155], -v[154:155], v[175:176], v[173:174]
	s_delay_alu instid0(VALU_DEP_1) | instskip(NEXT) | instid1(VALU_DEP_1)
	v_div_fmas_f64 v[154:155], v[154:155], v[171:172], v[175:176]
	v_div_fixup_f64 v[154:155], v[154:155], v[152:153], 1.0
	s_delay_alu instid0(VALU_DEP_1)
	v_mul_f64 v[152:153], v[169:170], v[154:155]
	v_xor_b32_e32 v155, 0x80000000, v155
.LBB74_343:
	s_and_not1_saveexec_b32 s2, s2
	s_cbranch_execz .LBB74_345
; %bb.344:
	s_delay_alu instid0(VALU_DEP_1) | instskip(SKIP_1) | instid1(VALU_DEP_2)
	v_div_scale_f64 v[169:170], null, v[152:153], v[152:153], v[154:155]
	v_div_scale_f64 v[175:176], vcc_lo, v[154:155], v[152:153], v[154:155]
	v_rcp_f64_e32 v[171:172], v[169:170]
	s_waitcnt_depctr 0xfff
	v_fma_f64 v[173:174], -v[169:170], v[171:172], 1.0
	s_delay_alu instid0(VALU_DEP_1) | instskip(NEXT) | instid1(VALU_DEP_1)
	v_fma_f64 v[171:172], v[171:172], v[173:174], v[171:172]
	v_fma_f64 v[173:174], -v[169:170], v[171:172], 1.0
	s_delay_alu instid0(VALU_DEP_1) | instskip(NEXT) | instid1(VALU_DEP_1)
	v_fma_f64 v[171:172], v[171:172], v[173:174], v[171:172]
	v_mul_f64 v[173:174], v[175:176], v[171:172]
	s_delay_alu instid0(VALU_DEP_1) | instskip(NEXT) | instid1(VALU_DEP_1)
	v_fma_f64 v[169:170], -v[169:170], v[173:174], v[175:176]
	v_div_fmas_f64 v[169:170], v[169:170], v[171:172], v[173:174]
	s_delay_alu instid0(VALU_DEP_1) | instskip(NEXT) | instid1(VALU_DEP_1)
	v_div_fixup_f64 v[169:170], v[169:170], v[152:153], v[154:155]
	v_fma_f64 v[152:153], v[154:155], v[169:170], v[152:153]
	s_delay_alu instid0(VALU_DEP_1) | instskip(NEXT) | instid1(VALU_DEP_1)
	v_div_scale_f64 v[154:155], null, v[152:153], v[152:153], 1.0
	v_rcp_f64_e32 v[171:172], v[154:155]
	s_waitcnt_depctr 0xfff
	v_fma_f64 v[173:174], -v[154:155], v[171:172], 1.0
	s_delay_alu instid0(VALU_DEP_1) | instskip(NEXT) | instid1(VALU_DEP_1)
	v_fma_f64 v[171:172], v[171:172], v[173:174], v[171:172]
	v_fma_f64 v[173:174], -v[154:155], v[171:172], 1.0
	s_delay_alu instid0(VALU_DEP_1) | instskip(SKIP_1) | instid1(VALU_DEP_1)
	v_fma_f64 v[171:172], v[171:172], v[173:174], v[171:172]
	v_div_scale_f64 v[173:174], vcc_lo, 1.0, v[152:153], 1.0
	v_mul_f64 v[175:176], v[173:174], v[171:172]
	s_delay_alu instid0(VALU_DEP_1) | instskip(NEXT) | instid1(VALU_DEP_1)
	v_fma_f64 v[154:155], -v[154:155], v[175:176], v[173:174]
	v_div_fmas_f64 v[154:155], v[154:155], v[171:172], v[175:176]
	s_delay_alu instid0(VALU_DEP_1) | instskip(NEXT) | instid1(VALU_DEP_1)
	v_div_fixup_f64 v[152:153], v[154:155], v[152:153], 1.0
	v_mul_f64 v[154:155], v[169:170], -v[152:153]
.LBB74_345:
	s_or_b32 exec_lo, exec_lo, s2
.LBB74_346:
	s_delay_alu instid0(SALU_CYCLE_1) | instskip(NEXT) | instid1(SALU_CYCLE_1)
	s_or_b32 exec_lo, exec_lo, s3
	s_mov_b32 s2, exec_lo
	v_cmpx_ne_u32_e64 v168, v160
	s_xor_b32 s2, exec_lo, s2
	s_cbranch_execz .LBB74_352
; %bb.347:
	s_mov_b32 s3, exec_lo
	v_cmpx_eq_u32_e32 16, v168
	s_cbranch_execz .LBB74_351
; %bb.348:
	v_cmp_ne_u32_e32 vcc_lo, 16, v160
	s_xor_b32 s6, s4, -1
	s_delay_alu instid0(SALU_CYCLE_1) | instskip(NEXT) | instid1(SALU_CYCLE_1)
	s_and_b32 s7, s6, vcc_lo
	s_and_saveexec_b32 s6, s7
	s_cbranch_execz .LBB74_350
; %bb.349:
	v_ashrrev_i32_e32 v161, 31, v160
	s_delay_alu instid0(VALU_DEP_1) | instskip(NEXT) | instid1(VALU_DEP_1)
	v_lshlrev_b64 v[167:168], 2, v[160:161]
	v_add_co_u32 v167, vcc_lo, v158, v167
	s_delay_alu instid0(VALU_DEP_2)
	v_add_co_ci_u32_e32 v168, vcc_lo, v159, v168, vcc_lo
	s_clause 0x1
	flat_load_b32 v161, v[167:168]
	flat_load_b32 v169, v[158:159] offset:64
	s_waitcnt vmcnt(1) lgkmcnt(1)
	flat_store_b32 v[158:159], v161 offset:64
	s_waitcnt vmcnt(0) lgkmcnt(1)
	flat_store_b32 v[167:168], v169
.LBB74_350:
	s_or_b32 exec_lo, exec_lo, s6
	v_mov_b32_e32 v168, v160
	v_mov_b32_e32 v167, v160
.LBB74_351:
	s_or_b32 exec_lo, exec_lo, s3
.LBB74_352:
	s_and_not1_saveexec_b32 s2, s2
	s_cbranch_execz .LBB74_354
; %bb.353:
	v_mov_b32_e32 v168, 16
	ds_store_2addr_b64 v162, v[88:89], v[90:91] offset0:34 offset1:35
	ds_store_2addr_b64 v162, v[84:85], v[86:87] offset0:36 offset1:37
	ds_store_2addr_b64 v162, v[80:81], v[82:83] offset0:38 offset1:39
	ds_store_2addr_b64 v162, v[76:77], v[78:79] offset0:40 offset1:41
	ds_store_2addr_b64 v162, v[72:73], v[74:75] offset0:42 offset1:43
	ds_store_2addr_b64 v162, v[68:69], v[70:71] offset0:44 offset1:45
	ds_store_2addr_b64 v162, v[64:65], v[66:67] offset0:46 offset1:47
	ds_store_2addr_b64 v162, v[60:61], v[62:63] offset0:48 offset1:49
	ds_store_2addr_b64 v162, v[56:57], v[58:59] offset0:50 offset1:51
	ds_store_2addr_b64 v162, v[44:45], v[46:47] offset0:52 offset1:53
	ds_store_2addr_b64 v162, v[40:41], v[42:43] offset0:54 offset1:55
	ds_store_2addr_b64 v162, v[36:37], v[38:39] offset0:56 offset1:57
	ds_store_2addr_b64 v162, v[32:33], v[34:35] offset0:58 offset1:59
	ds_store_2addr_b64 v162, v[28:29], v[30:31] offset0:60 offset1:61
	ds_store_2addr_b64 v162, v[24:25], v[26:27] offset0:62 offset1:63
	ds_store_2addr_b64 v162, v[20:21], v[22:23] offset0:64 offset1:65
	ds_store_2addr_b64 v162, v[16:17], v[18:19] offset0:66 offset1:67
	ds_store_2addr_b64 v162, v[12:13], v[14:15] offset0:68 offset1:69
	ds_store_2addr_b64 v162, v[8:9], v[10:11] offset0:70 offset1:71
	ds_store_2addr_b64 v162, v[4:5], v[6:7] offset0:72 offset1:73
	ds_store_2addr_b64 v162, v[0:1], v[2:3] offset0:74 offset1:75
.LBB74_354:
	s_or_b32 exec_lo, exec_lo, s2
	s_delay_alu instid0(SALU_CYCLE_1)
	s_mov_b32 s2, exec_lo
	s_waitcnt lgkmcnt(0)
	s_waitcnt_vscnt null, 0x0
	s_barrier
	buffer_gl0_inv
	v_cmpx_lt_i32_e32 16, v168
	s_cbranch_execz .LBB74_356
; %bb.355:
	v_mul_f64 v[160:161], v[154:155], v[94:95]
	v_mul_f64 v[94:95], v[152:153], v[94:95]
	s_delay_alu instid0(VALU_DEP_2) | instskip(NEXT) | instid1(VALU_DEP_2)
	v_fma_f64 v[160:161], v[152:153], v[92:93], -v[160:161]
	v_fma_f64 v[94:95], v[154:155], v[92:93], v[94:95]
	ds_load_2addr_b64 v[152:155], v162 offset0:34 offset1:35
	s_waitcnt lgkmcnt(0)
	v_mul_f64 v[92:93], v[154:155], v[94:95]
	s_delay_alu instid0(VALU_DEP_1) | instskip(SKIP_1) | instid1(VALU_DEP_2)
	v_fma_f64 v[92:93], v[152:153], v[160:161], -v[92:93]
	v_mul_f64 v[152:153], v[152:153], v[94:95]
	v_add_f64 v[88:89], v[88:89], -v[92:93]
	s_delay_alu instid0(VALU_DEP_2) | instskip(NEXT) | instid1(VALU_DEP_1)
	v_fma_f64 v[152:153], v[154:155], v[160:161], v[152:153]
	v_add_f64 v[90:91], v[90:91], -v[152:153]
	ds_load_2addr_b64 v[152:155], v162 offset0:36 offset1:37
	s_waitcnt lgkmcnt(0)
	v_mul_f64 v[92:93], v[154:155], v[94:95]
	s_delay_alu instid0(VALU_DEP_1) | instskip(SKIP_1) | instid1(VALU_DEP_2)
	v_fma_f64 v[92:93], v[152:153], v[160:161], -v[92:93]
	v_mul_f64 v[152:153], v[152:153], v[94:95]
	v_add_f64 v[84:85], v[84:85], -v[92:93]
	s_delay_alu instid0(VALU_DEP_2) | instskip(NEXT) | instid1(VALU_DEP_1)
	v_fma_f64 v[152:153], v[154:155], v[160:161], v[152:153]
	v_add_f64 v[86:87], v[86:87], -v[152:153]
	;; [unrolled: 10-line block ×20, first 2 shown]
	ds_load_2addr_b64 v[152:155], v162 offset0:74 offset1:75
	s_waitcnt lgkmcnt(0)
	v_mul_f64 v[92:93], v[154:155], v[94:95]
	s_delay_alu instid0(VALU_DEP_1) | instskip(SKIP_1) | instid1(VALU_DEP_2)
	v_fma_f64 v[92:93], v[152:153], v[160:161], -v[92:93]
	v_mul_f64 v[152:153], v[152:153], v[94:95]
	v_add_f64 v[0:1], v[0:1], -v[92:93]
	s_delay_alu instid0(VALU_DEP_2) | instskip(SKIP_1) | instid1(VALU_DEP_2)
	v_fma_f64 v[152:153], v[154:155], v[160:161], v[152:153]
	v_dual_mov_b32 v92, v160 :: v_dual_mov_b32 v93, v161
	v_add_f64 v[2:3], v[2:3], -v[152:153]
.LBB74_356:
	s_or_b32 exec_lo, exec_lo, s2
	v_lshl_add_u32 v152, v168, 4, v162
	s_barrier
	buffer_gl0_inv
	v_mov_b32_e32 v160, 17
	ds_store_2addr_b64 v152, v[88:89], v[90:91] offset1:1
	s_waitcnt lgkmcnt(0)
	s_barrier
	buffer_gl0_inv
	ds_load_2addr_b64 v[152:155], v162 offset0:34 offset1:35
	s_cmp_lt_i32 s5, 19
	s_cbranch_scc1 .LBB74_359
; %bb.357:
	v_add3_u32 v161, v166, 0, 0x120
	v_mov_b32_e32 v160, 17
	s_mov_b32 s6, 18
	s_set_inst_prefetch_distance 0x1
	.p2align	6
.LBB74_358:                             ; =>This Inner Loop Header: Depth=1
	ds_load_2addr_b64 v[169:172], v161 offset1:1
	s_waitcnt lgkmcnt(1)
	v_cmp_gt_f64_e32 vcc_lo, 0, v[152:153]
	v_xor_b32_e32 v173, 0x80000000, v153
	v_cmp_gt_f64_e64 s2, 0, v[154:155]
	v_xor_b32_e32 v175, 0x80000000, v155
	v_add_nc_u32_e32 v161, 16, v161
	s_waitcnt lgkmcnt(0)
	v_cmp_gt_f64_e64 s3, 0, v[169:170]
	v_mov_b32_e32 v177, v169
	v_dual_mov_b32 v179, v171 :: v_dual_cndmask_b32 v174, v153, v173
	v_xor_b32_e32 v173, 0x80000000, v170
	v_cndmask_b32_e64 v176, v155, v175, s2
	v_xor_b32_e32 v175, 0x80000000, v172
	s_delay_alu instid0(VALU_DEP_3) | instskip(SKIP_2) | instid1(VALU_DEP_2)
	v_cndmask_b32_e64 v178, v170, v173, s3
	v_cmp_gt_f64_e64 s3, 0, v[171:172]
	v_cndmask_b32_e32 v173, v152, v152, vcc_lo
	v_cndmask_b32_e64 v180, v172, v175, s3
	v_cndmask_b32_e64 v175, v154, v154, s2
	s_delay_alu instid0(VALU_DEP_2) | instskip(NEXT) | instid1(VALU_DEP_2)
	v_add_f64 v[177:178], v[177:178], v[179:180]
	v_add_f64 v[173:174], v[173:174], v[175:176]
	s_delay_alu instid0(VALU_DEP_1) | instskip(SKIP_4) | instid1(SALU_CYCLE_1)
	v_cmp_lt_f64_e32 vcc_lo, v[173:174], v[177:178]
	v_dual_cndmask_b32 v154, v154, v171 :: v_dual_cndmask_b32 v153, v153, v170
	v_dual_cndmask_b32 v152, v152, v169 :: v_dual_cndmask_b32 v155, v155, v172
	v_cndmask_b32_e64 v160, v160, s6, vcc_lo
	s_add_i32 s6, s6, 1
	s_cmp_lg_u32 s5, s6
	s_cbranch_scc1 .LBB74_358
.LBB74_359:
	s_set_inst_prefetch_distance 0x2
	s_waitcnt lgkmcnt(0)
	v_cmp_eq_f64_e32 vcc_lo, 0, v[152:153]
	v_cmp_eq_f64_e64 s2, 0, v[154:155]
	s_delay_alu instid0(VALU_DEP_1) | instskip(NEXT) | instid1(SALU_CYCLE_1)
	s_and_b32 s2, vcc_lo, s2
	s_and_saveexec_b32 s3, s2
	s_delay_alu instid0(SALU_CYCLE_1)
	s_xor_b32 s2, exec_lo, s3
; %bb.360:
	v_cmp_ne_u32_e32 vcc_lo, 0, v165
	v_cndmask_b32_e32 v165, 18, v165, vcc_lo
; %bb.361:
	s_and_not1_saveexec_b32 s3, s2
	s_cbranch_execz .LBB74_367
; %bb.362:
	v_cmp_gt_f64_e32 vcc_lo, 0, v[152:153]
	v_cmp_gt_f64_e64 s2, 0, v[154:155]
	v_xor_b32_e32 v161, 0x80000000, v153
	v_xor_b32_e32 v169, 0x80000000, v155
	s_delay_alu instid0(VALU_DEP_2) | instskip(NEXT) | instid1(VALU_DEP_2)
	v_cndmask_b32_e32 v170, v153, v161, vcc_lo
	v_cndmask_b32_e64 v172, v155, v169, s2
	v_cndmask_b32_e32 v169, v152, v152, vcc_lo
	v_cndmask_b32_e64 v171, v154, v154, s2
	s_mov_b32 s2, exec_lo
	s_delay_alu instid0(VALU_DEP_1)
	v_cmpx_ngt_f64_e32 v[169:170], v[171:172]
	s_xor_b32 s2, exec_lo, s2
	s_cbranch_execz .LBB74_364
; %bb.363:
	v_div_scale_f64 v[169:170], null, v[154:155], v[154:155], v[152:153]
	v_div_scale_f64 v[175:176], vcc_lo, v[152:153], v[154:155], v[152:153]
	s_delay_alu instid0(VALU_DEP_2) | instskip(SKIP_2) | instid1(VALU_DEP_1)
	v_rcp_f64_e32 v[171:172], v[169:170]
	s_waitcnt_depctr 0xfff
	v_fma_f64 v[173:174], -v[169:170], v[171:172], 1.0
	v_fma_f64 v[171:172], v[171:172], v[173:174], v[171:172]
	s_delay_alu instid0(VALU_DEP_1) | instskip(NEXT) | instid1(VALU_DEP_1)
	v_fma_f64 v[173:174], -v[169:170], v[171:172], 1.0
	v_fma_f64 v[171:172], v[171:172], v[173:174], v[171:172]
	s_delay_alu instid0(VALU_DEP_1) | instskip(NEXT) | instid1(VALU_DEP_1)
	v_mul_f64 v[173:174], v[175:176], v[171:172]
	v_fma_f64 v[169:170], -v[169:170], v[173:174], v[175:176]
	s_delay_alu instid0(VALU_DEP_1) | instskip(NEXT) | instid1(VALU_DEP_1)
	v_div_fmas_f64 v[169:170], v[169:170], v[171:172], v[173:174]
	v_div_fixup_f64 v[169:170], v[169:170], v[154:155], v[152:153]
	s_delay_alu instid0(VALU_DEP_1) | instskip(NEXT) | instid1(VALU_DEP_1)
	v_fma_f64 v[152:153], v[152:153], v[169:170], v[154:155]
	v_div_scale_f64 v[154:155], null, v[152:153], v[152:153], 1.0
	s_delay_alu instid0(VALU_DEP_1) | instskip(SKIP_2) | instid1(VALU_DEP_1)
	v_rcp_f64_e32 v[171:172], v[154:155]
	s_waitcnt_depctr 0xfff
	v_fma_f64 v[173:174], -v[154:155], v[171:172], 1.0
	v_fma_f64 v[171:172], v[171:172], v[173:174], v[171:172]
	s_delay_alu instid0(VALU_DEP_1) | instskip(NEXT) | instid1(VALU_DEP_1)
	v_fma_f64 v[173:174], -v[154:155], v[171:172], 1.0
	v_fma_f64 v[171:172], v[171:172], v[173:174], v[171:172]
	v_div_scale_f64 v[173:174], vcc_lo, 1.0, v[152:153], 1.0
	s_delay_alu instid0(VALU_DEP_1) | instskip(NEXT) | instid1(VALU_DEP_1)
	v_mul_f64 v[175:176], v[173:174], v[171:172]
	v_fma_f64 v[154:155], -v[154:155], v[175:176], v[173:174]
	s_delay_alu instid0(VALU_DEP_1) | instskip(NEXT) | instid1(VALU_DEP_1)
	v_div_fmas_f64 v[154:155], v[154:155], v[171:172], v[175:176]
	v_div_fixup_f64 v[154:155], v[154:155], v[152:153], 1.0
	s_delay_alu instid0(VALU_DEP_1)
	v_mul_f64 v[152:153], v[169:170], v[154:155]
	v_xor_b32_e32 v155, 0x80000000, v155
.LBB74_364:
	s_and_not1_saveexec_b32 s2, s2
	s_cbranch_execz .LBB74_366
; %bb.365:
	s_delay_alu instid0(VALU_DEP_1) | instskip(SKIP_1) | instid1(VALU_DEP_2)
	v_div_scale_f64 v[169:170], null, v[152:153], v[152:153], v[154:155]
	v_div_scale_f64 v[175:176], vcc_lo, v[154:155], v[152:153], v[154:155]
	v_rcp_f64_e32 v[171:172], v[169:170]
	s_waitcnt_depctr 0xfff
	v_fma_f64 v[173:174], -v[169:170], v[171:172], 1.0
	s_delay_alu instid0(VALU_DEP_1) | instskip(NEXT) | instid1(VALU_DEP_1)
	v_fma_f64 v[171:172], v[171:172], v[173:174], v[171:172]
	v_fma_f64 v[173:174], -v[169:170], v[171:172], 1.0
	s_delay_alu instid0(VALU_DEP_1) | instskip(NEXT) | instid1(VALU_DEP_1)
	v_fma_f64 v[171:172], v[171:172], v[173:174], v[171:172]
	v_mul_f64 v[173:174], v[175:176], v[171:172]
	s_delay_alu instid0(VALU_DEP_1) | instskip(NEXT) | instid1(VALU_DEP_1)
	v_fma_f64 v[169:170], -v[169:170], v[173:174], v[175:176]
	v_div_fmas_f64 v[169:170], v[169:170], v[171:172], v[173:174]
	s_delay_alu instid0(VALU_DEP_1) | instskip(NEXT) | instid1(VALU_DEP_1)
	v_div_fixup_f64 v[169:170], v[169:170], v[152:153], v[154:155]
	v_fma_f64 v[152:153], v[154:155], v[169:170], v[152:153]
	s_delay_alu instid0(VALU_DEP_1) | instskip(NEXT) | instid1(VALU_DEP_1)
	v_div_scale_f64 v[154:155], null, v[152:153], v[152:153], 1.0
	v_rcp_f64_e32 v[171:172], v[154:155]
	s_waitcnt_depctr 0xfff
	v_fma_f64 v[173:174], -v[154:155], v[171:172], 1.0
	s_delay_alu instid0(VALU_DEP_1) | instskip(NEXT) | instid1(VALU_DEP_1)
	v_fma_f64 v[171:172], v[171:172], v[173:174], v[171:172]
	v_fma_f64 v[173:174], -v[154:155], v[171:172], 1.0
	s_delay_alu instid0(VALU_DEP_1) | instskip(SKIP_1) | instid1(VALU_DEP_1)
	v_fma_f64 v[171:172], v[171:172], v[173:174], v[171:172]
	v_div_scale_f64 v[173:174], vcc_lo, 1.0, v[152:153], 1.0
	v_mul_f64 v[175:176], v[173:174], v[171:172]
	s_delay_alu instid0(VALU_DEP_1) | instskip(NEXT) | instid1(VALU_DEP_1)
	v_fma_f64 v[154:155], -v[154:155], v[175:176], v[173:174]
	v_div_fmas_f64 v[154:155], v[154:155], v[171:172], v[175:176]
	s_delay_alu instid0(VALU_DEP_1) | instskip(NEXT) | instid1(VALU_DEP_1)
	v_div_fixup_f64 v[152:153], v[154:155], v[152:153], 1.0
	v_mul_f64 v[154:155], v[169:170], -v[152:153]
.LBB74_366:
	s_or_b32 exec_lo, exec_lo, s2
.LBB74_367:
	s_delay_alu instid0(SALU_CYCLE_1) | instskip(NEXT) | instid1(SALU_CYCLE_1)
	s_or_b32 exec_lo, exec_lo, s3
	s_mov_b32 s2, exec_lo
	v_cmpx_ne_u32_e64 v168, v160
	s_xor_b32 s2, exec_lo, s2
	s_cbranch_execz .LBB74_373
; %bb.368:
	s_mov_b32 s3, exec_lo
	v_cmpx_eq_u32_e32 17, v168
	s_cbranch_execz .LBB74_372
; %bb.369:
	v_cmp_ne_u32_e32 vcc_lo, 17, v160
	s_xor_b32 s6, s4, -1
	s_delay_alu instid0(SALU_CYCLE_1) | instskip(NEXT) | instid1(SALU_CYCLE_1)
	s_and_b32 s7, s6, vcc_lo
	s_and_saveexec_b32 s6, s7
	s_cbranch_execz .LBB74_371
; %bb.370:
	v_ashrrev_i32_e32 v161, 31, v160
	s_delay_alu instid0(VALU_DEP_1) | instskip(NEXT) | instid1(VALU_DEP_1)
	v_lshlrev_b64 v[167:168], 2, v[160:161]
	v_add_co_u32 v167, vcc_lo, v158, v167
	s_delay_alu instid0(VALU_DEP_2)
	v_add_co_ci_u32_e32 v168, vcc_lo, v159, v168, vcc_lo
	s_clause 0x1
	flat_load_b32 v161, v[167:168]
	flat_load_b32 v169, v[158:159] offset:68
	s_waitcnt vmcnt(1) lgkmcnt(1)
	flat_store_b32 v[158:159], v161 offset:68
	s_waitcnt vmcnt(0) lgkmcnt(1)
	flat_store_b32 v[167:168], v169
.LBB74_371:
	s_or_b32 exec_lo, exec_lo, s6
	v_mov_b32_e32 v168, v160
	v_mov_b32_e32 v167, v160
.LBB74_372:
	s_or_b32 exec_lo, exec_lo, s3
.LBB74_373:
	s_and_not1_saveexec_b32 s2, s2
	s_cbranch_execz .LBB74_375
; %bb.374:
	v_mov_b32_e32 v168, 17
	ds_store_2addr_b64 v162, v[84:85], v[86:87] offset0:36 offset1:37
	ds_store_2addr_b64 v162, v[80:81], v[82:83] offset0:38 offset1:39
	;; [unrolled: 1-line block ×20, first 2 shown]
.LBB74_375:
	s_or_b32 exec_lo, exec_lo, s2
	s_delay_alu instid0(SALU_CYCLE_1)
	s_mov_b32 s2, exec_lo
	s_waitcnt lgkmcnt(0)
	s_waitcnt_vscnt null, 0x0
	s_barrier
	buffer_gl0_inv
	v_cmpx_lt_i32_e32 17, v168
	s_cbranch_execz .LBB74_377
; %bb.376:
	v_mul_f64 v[160:161], v[154:155], v[90:91]
	v_mul_f64 v[90:91], v[152:153], v[90:91]
	s_delay_alu instid0(VALU_DEP_2) | instskip(NEXT) | instid1(VALU_DEP_2)
	v_fma_f64 v[160:161], v[152:153], v[88:89], -v[160:161]
	v_fma_f64 v[90:91], v[154:155], v[88:89], v[90:91]
	ds_load_2addr_b64 v[152:155], v162 offset0:36 offset1:37
	s_waitcnt lgkmcnt(0)
	v_mul_f64 v[88:89], v[154:155], v[90:91]
	s_delay_alu instid0(VALU_DEP_1) | instskip(SKIP_1) | instid1(VALU_DEP_2)
	v_fma_f64 v[88:89], v[152:153], v[160:161], -v[88:89]
	v_mul_f64 v[152:153], v[152:153], v[90:91]
	v_add_f64 v[84:85], v[84:85], -v[88:89]
	s_delay_alu instid0(VALU_DEP_2) | instskip(NEXT) | instid1(VALU_DEP_1)
	v_fma_f64 v[152:153], v[154:155], v[160:161], v[152:153]
	v_add_f64 v[86:87], v[86:87], -v[152:153]
	ds_load_2addr_b64 v[152:155], v162 offset0:38 offset1:39
	s_waitcnt lgkmcnt(0)
	v_mul_f64 v[88:89], v[154:155], v[90:91]
	s_delay_alu instid0(VALU_DEP_1) | instskip(SKIP_1) | instid1(VALU_DEP_2)
	v_fma_f64 v[88:89], v[152:153], v[160:161], -v[88:89]
	v_mul_f64 v[152:153], v[152:153], v[90:91]
	v_add_f64 v[80:81], v[80:81], -v[88:89]
	s_delay_alu instid0(VALU_DEP_2) | instskip(NEXT) | instid1(VALU_DEP_1)
	v_fma_f64 v[152:153], v[154:155], v[160:161], v[152:153]
	v_add_f64 v[82:83], v[82:83], -v[152:153]
	;; [unrolled: 10-line block ×19, first 2 shown]
	ds_load_2addr_b64 v[152:155], v162 offset0:74 offset1:75
	s_waitcnt lgkmcnt(0)
	v_mul_f64 v[88:89], v[154:155], v[90:91]
	s_delay_alu instid0(VALU_DEP_1) | instskip(SKIP_1) | instid1(VALU_DEP_2)
	v_fma_f64 v[88:89], v[152:153], v[160:161], -v[88:89]
	v_mul_f64 v[152:153], v[152:153], v[90:91]
	v_add_f64 v[0:1], v[0:1], -v[88:89]
	s_delay_alu instid0(VALU_DEP_2) | instskip(SKIP_1) | instid1(VALU_DEP_2)
	v_fma_f64 v[152:153], v[154:155], v[160:161], v[152:153]
	v_dual_mov_b32 v88, v160 :: v_dual_mov_b32 v89, v161
	v_add_f64 v[2:3], v[2:3], -v[152:153]
.LBB74_377:
	s_or_b32 exec_lo, exec_lo, s2
	v_lshl_add_u32 v152, v168, 4, v162
	s_barrier
	buffer_gl0_inv
	v_mov_b32_e32 v160, 18
	ds_store_2addr_b64 v152, v[84:85], v[86:87] offset1:1
	s_waitcnt lgkmcnt(0)
	s_barrier
	buffer_gl0_inv
	ds_load_2addr_b64 v[152:155], v162 offset0:36 offset1:37
	s_cmp_lt_i32 s5, 20
	s_cbranch_scc1 .LBB74_380
; %bb.378:
	v_add3_u32 v161, v166, 0, 0x130
	v_mov_b32_e32 v160, 18
	s_mov_b32 s6, 19
	s_set_inst_prefetch_distance 0x1
	.p2align	6
.LBB74_379:                             ; =>This Inner Loop Header: Depth=1
	ds_load_2addr_b64 v[169:172], v161 offset1:1
	s_waitcnt lgkmcnt(1)
	v_cmp_gt_f64_e32 vcc_lo, 0, v[152:153]
	v_xor_b32_e32 v173, 0x80000000, v153
	v_cmp_gt_f64_e64 s2, 0, v[154:155]
	v_xor_b32_e32 v175, 0x80000000, v155
	v_add_nc_u32_e32 v161, 16, v161
	s_waitcnt lgkmcnt(0)
	v_cmp_gt_f64_e64 s3, 0, v[169:170]
	v_mov_b32_e32 v177, v169
	v_dual_mov_b32 v179, v171 :: v_dual_cndmask_b32 v174, v153, v173
	v_xor_b32_e32 v173, 0x80000000, v170
	v_cndmask_b32_e64 v176, v155, v175, s2
	v_xor_b32_e32 v175, 0x80000000, v172
	s_delay_alu instid0(VALU_DEP_3) | instskip(SKIP_2) | instid1(VALU_DEP_2)
	v_cndmask_b32_e64 v178, v170, v173, s3
	v_cmp_gt_f64_e64 s3, 0, v[171:172]
	v_cndmask_b32_e32 v173, v152, v152, vcc_lo
	v_cndmask_b32_e64 v180, v172, v175, s3
	v_cndmask_b32_e64 v175, v154, v154, s2
	s_delay_alu instid0(VALU_DEP_2) | instskip(NEXT) | instid1(VALU_DEP_2)
	v_add_f64 v[177:178], v[177:178], v[179:180]
	v_add_f64 v[173:174], v[173:174], v[175:176]
	s_delay_alu instid0(VALU_DEP_1) | instskip(SKIP_4) | instid1(SALU_CYCLE_1)
	v_cmp_lt_f64_e32 vcc_lo, v[173:174], v[177:178]
	v_dual_cndmask_b32 v154, v154, v171 :: v_dual_cndmask_b32 v153, v153, v170
	v_dual_cndmask_b32 v152, v152, v169 :: v_dual_cndmask_b32 v155, v155, v172
	v_cndmask_b32_e64 v160, v160, s6, vcc_lo
	s_add_i32 s6, s6, 1
	s_cmp_lg_u32 s5, s6
	s_cbranch_scc1 .LBB74_379
.LBB74_380:
	s_set_inst_prefetch_distance 0x2
	s_waitcnt lgkmcnt(0)
	v_cmp_eq_f64_e32 vcc_lo, 0, v[152:153]
	v_cmp_eq_f64_e64 s2, 0, v[154:155]
	s_delay_alu instid0(VALU_DEP_1) | instskip(NEXT) | instid1(SALU_CYCLE_1)
	s_and_b32 s2, vcc_lo, s2
	s_and_saveexec_b32 s3, s2
	s_delay_alu instid0(SALU_CYCLE_1)
	s_xor_b32 s2, exec_lo, s3
; %bb.381:
	v_cmp_ne_u32_e32 vcc_lo, 0, v165
	v_cndmask_b32_e32 v165, 19, v165, vcc_lo
; %bb.382:
	s_and_not1_saveexec_b32 s3, s2
	s_cbranch_execz .LBB74_388
; %bb.383:
	v_cmp_gt_f64_e32 vcc_lo, 0, v[152:153]
	v_cmp_gt_f64_e64 s2, 0, v[154:155]
	v_xor_b32_e32 v161, 0x80000000, v153
	v_xor_b32_e32 v169, 0x80000000, v155
	s_delay_alu instid0(VALU_DEP_2) | instskip(NEXT) | instid1(VALU_DEP_2)
	v_cndmask_b32_e32 v170, v153, v161, vcc_lo
	v_cndmask_b32_e64 v172, v155, v169, s2
	v_cndmask_b32_e32 v169, v152, v152, vcc_lo
	v_cndmask_b32_e64 v171, v154, v154, s2
	s_mov_b32 s2, exec_lo
	s_delay_alu instid0(VALU_DEP_1)
	v_cmpx_ngt_f64_e32 v[169:170], v[171:172]
	s_xor_b32 s2, exec_lo, s2
	s_cbranch_execz .LBB74_385
; %bb.384:
	v_div_scale_f64 v[169:170], null, v[154:155], v[154:155], v[152:153]
	v_div_scale_f64 v[175:176], vcc_lo, v[152:153], v[154:155], v[152:153]
	s_delay_alu instid0(VALU_DEP_2) | instskip(SKIP_2) | instid1(VALU_DEP_1)
	v_rcp_f64_e32 v[171:172], v[169:170]
	s_waitcnt_depctr 0xfff
	v_fma_f64 v[173:174], -v[169:170], v[171:172], 1.0
	v_fma_f64 v[171:172], v[171:172], v[173:174], v[171:172]
	s_delay_alu instid0(VALU_DEP_1) | instskip(NEXT) | instid1(VALU_DEP_1)
	v_fma_f64 v[173:174], -v[169:170], v[171:172], 1.0
	v_fma_f64 v[171:172], v[171:172], v[173:174], v[171:172]
	s_delay_alu instid0(VALU_DEP_1) | instskip(NEXT) | instid1(VALU_DEP_1)
	v_mul_f64 v[173:174], v[175:176], v[171:172]
	v_fma_f64 v[169:170], -v[169:170], v[173:174], v[175:176]
	s_delay_alu instid0(VALU_DEP_1) | instskip(NEXT) | instid1(VALU_DEP_1)
	v_div_fmas_f64 v[169:170], v[169:170], v[171:172], v[173:174]
	v_div_fixup_f64 v[169:170], v[169:170], v[154:155], v[152:153]
	s_delay_alu instid0(VALU_DEP_1) | instskip(NEXT) | instid1(VALU_DEP_1)
	v_fma_f64 v[152:153], v[152:153], v[169:170], v[154:155]
	v_div_scale_f64 v[154:155], null, v[152:153], v[152:153], 1.0
	s_delay_alu instid0(VALU_DEP_1) | instskip(SKIP_2) | instid1(VALU_DEP_1)
	v_rcp_f64_e32 v[171:172], v[154:155]
	s_waitcnt_depctr 0xfff
	v_fma_f64 v[173:174], -v[154:155], v[171:172], 1.0
	v_fma_f64 v[171:172], v[171:172], v[173:174], v[171:172]
	s_delay_alu instid0(VALU_DEP_1) | instskip(NEXT) | instid1(VALU_DEP_1)
	v_fma_f64 v[173:174], -v[154:155], v[171:172], 1.0
	v_fma_f64 v[171:172], v[171:172], v[173:174], v[171:172]
	v_div_scale_f64 v[173:174], vcc_lo, 1.0, v[152:153], 1.0
	s_delay_alu instid0(VALU_DEP_1) | instskip(NEXT) | instid1(VALU_DEP_1)
	v_mul_f64 v[175:176], v[173:174], v[171:172]
	v_fma_f64 v[154:155], -v[154:155], v[175:176], v[173:174]
	s_delay_alu instid0(VALU_DEP_1) | instskip(NEXT) | instid1(VALU_DEP_1)
	v_div_fmas_f64 v[154:155], v[154:155], v[171:172], v[175:176]
	v_div_fixup_f64 v[154:155], v[154:155], v[152:153], 1.0
	s_delay_alu instid0(VALU_DEP_1)
	v_mul_f64 v[152:153], v[169:170], v[154:155]
	v_xor_b32_e32 v155, 0x80000000, v155
.LBB74_385:
	s_and_not1_saveexec_b32 s2, s2
	s_cbranch_execz .LBB74_387
; %bb.386:
	s_delay_alu instid0(VALU_DEP_1) | instskip(SKIP_1) | instid1(VALU_DEP_2)
	v_div_scale_f64 v[169:170], null, v[152:153], v[152:153], v[154:155]
	v_div_scale_f64 v[175:176], vcc_lo, v[154:155], v[152:153], v[154:155]
	v_rcp_f64_e32 v[171:172], v[169:170]
	s_waitcnt_depctr 0xfff
	v_fma_f64 v[173:174], -v[169:170], v[171:172], 1.0
	s_delay_alu instid0(VALU_DEP_1) | instskip(NEXT) | instid1(VALU_DEP_1)
	v_fma_f64 v[171:172], v[171:172], v[173:174], v[171:172]
	v_fma_f64 v[173:174], -v[169:170], v[171:172], 1.0
	s_delay_alu instid0(VALU_DEP_1) | instskip(NEXT) | instid1(VALU_DEP_1)
	v_fma_f64 v[171:172], v[171:172], v[173:174], v[171:172]
	v_mul_f64 v[173:174], v[175:176], v[171:172]
	s_delay_alu instid0(VALU_DEP_1) | instskip(NEXT) | instid1(VALU_DEP_1)
	v_fma_f64 v[169:170], -v[169:170], v[173:174], v[175:176]
	v_div_fmas_f64 v[169:170], v[169:170], v[171:172], v[173:174]
	s_delay_alu instid0(VALU_DEP_1) | instskip(NEXT) | instid1(VALU_DEP_1)
	v_div_fixup_f64 v[169:170], v[169:170], v[152:153], v[154:155]
	v_fma_f64 v[152:153], v[154:155], v[169:170], v[152:153]
	s_delay_alu instid0(VALU_DEP_1) | instskip(NEXT) | instid1(VALU_DEP_1)
	v_div_scale_f64 v[154:155], null, v[152:153], v[152:153], 1.0
	v_rcp_f64_e32 v[171:172], v[154:155]
	s_waitcnt_depctr 0xfff
	v_fma_f64 v[173:174], -v[154:155], v[171:172], 1.0
	s_delay_alu instid0(VALU_DEP_1) | instskip(NEXT) | instid1(VALU_DEP_1)
	v_fma_f64 v[171:172], v[171:172], v[173:174], v[171:172]
	v_fma_f64 v[173:174], -v[154:155], v[171:172], 1.0
	s_delay_alu instid0(VALU_DEP_1) | instskip(SKIP_1) | instid1(VALU_DEP_1)
	v_fma_f64 v[171:172], v[171:172], v[173:174], v[171:172]
	v_div_scale_f64 v[173:174], vcc_lo, 1.0, v[152:153], 1.0
	v_mul_f64 v[175:176], v[173:174], v[171:172]
	s_delay_alu instid0(VALU_DEP_1) | instskip(NEXT) | instid1(VALU_DEP_1)
	v_fma_f64 v[154:155], -v[154:155], v[175:176], v[173:174]
	v_div_fmas_f64 v[154:155], v[154:155], v[171:172], v[175:176]
	s_delay_alu instid0(VALU_DEP_1) | instskip(NEXT) | instid1(VALU_DEP_1)
	v_div_fixup_f64 v[152:153], v[154:155], v[152:153], 1.0
	v_mul_f64 v[154:155], v[169:170], -v[152:153]
.LBB74_387:
	s_or_b32 exec_lo, exec_lo, s2
.LBB74_388:
	s_delay_alu instid0(SALU_CYCLE_1) | instskip(NEXT) | instid1(SALU_CYCLE_1)
	s_or_b32 exec_lo, exec_lo, s3
	s_mov_b32 s2, exec_lo
	v_cmpx_ne_u32_e64 v168, v160
	s_xor_b32 s2, exec_lo, s2
	s_cbranch_execz .LBB74_394
; %bb.389:
	s_mov_b32 s3, exec_lo
	v_cmpx_eq_u32_e32 18, v168
	s_cbranch_execz .LBB74_393
; %bb.390:
	v_cmp_ne_u32_e32 vcc_lo, 18, v160
	s_xor_b32 s6, s4, -1
	s_delay_alu instid0(SALU_CYCLE_1) | instskip(NEXT) | instid1(SALU_CYCLE_1)
	s_and_b32 s7, s6, vcc_lo
	s_and_saveexec_b32 s6, s7
	s_cbranch_execz .LBB74_392
; %bb.391:
	v_ashrrev_i32_e32 v161, 31, v160
	s_delay_alu instid0(VALU_DEP_1) | instskip(NEXT) | instid1(VALU_DEP_1)
	v_lshlrev_b64 v[167:168], 2, v[160:161]
	v_add_co_u32 v167, vcc_lo, v158, v167
	s_delay_alu instid0(VALU_DEP_2)
	v_add_co_ci_u32_e32 v168, vcc_lo, v159, v168, vcc_lo
	s_clause 0x1
	flat_load_b32 v161, v[167:168]
	flat_load_b32 v169, v[158:159] offset:72
	s_waitcnt vmcnt(1) lgkmcnt(1)
	flat_store_b32 v[158:159], v161 offset:72
	s_waitcnt vmcnt(0) lgkmcnt(1)
	flat_store_b32 v[167:168], v169
.LBB74_392:
	s_or_b32 exec_lo, exec_lo, s6
	v_mov_b32_e32 v168, v160
	v_mov_b32_e32 v167, v160
.LBB74_393:
	s_or_b32 exec_lo, exec_lo, s3
.LBB74_394:
	s_and_not1_saveexec_b32 s2, s2
	s_cbranch_execz .LBB74_396
; %bb.395:
	v_mov_b32_e32 v168, 18
	ds_store_2addr_b64 v162, v[80:81], v[82:83] offset0:38 offset1:39
	ds_store_2addr_b64 v162, v[76:77], v[78:79] offset0:40 offset1:41
	;; [unrolled: 1-line block ×19, first 2 shown]
.LBB74_396:
	s_or_b32 exec_lo, exec_lo, s2
	s_delay_alu instid0(SALU_CYCLE_1)
	s_mov_b32 s2, exec_lo
	s_waitcnt lgkmcnt(0)
	s_waitcnt_vscnt null, 0x0
	s_barrier
	buffer_gl0_inv
	v_cmpx_lt_i32_e32 18, v168
	s_cbranch_execz .LBB74_398
; %bb.397:
	v_mul_f64 v[160:161], v[154:155], v[86:87]
	v_mul_f64 v[86:87], v[152:153], v[86:87]
	s_delay_alu instid0(VALU_DEP_2) | instskip(NEXT) | instid1(VALU_DEP_2)
	v_fma_f64 v[160:161], v[152:153], v[84:85], -v[160:161]
	v_fma_f64 v[86:87], v[154:155], v[84:85], v[86:87]
	ds_load_2addr_b64 v[152:155], v162 offset0:38 offset1:39
	s_waitcnt lgkmcnt(0)
	v_mul_f64 v[84:85], v[154:155], v[86:87]
	s_delay_alu instid0(VALU_DEP_1) | instskip(SKIP_1) | instid1(VALU_DEP_2)
	v_fma_f64 v[84:85], v[152:153], v[160:161], -v[84:85]
	v_mul_f64 v[152:153], v[152:153], v[86:87]
	v_add_f64 v[80:81], v[80:81], -v[84:85]
	s_delay_alu instid0(VALU_DEP_2) | instskip(NEXT) | instid1(VALU_DEP_1)
	v_fma_f64 v[152:153], v[154:155], v[160:161], v[152:153]
	v_add_f64 v[82:83], v[82:83], -v[152:153]
	ds_load_2addr_b64 v[152:155], v162 offset0:40 offset1:41
	s_waitcnt lgkmcnt(0)
	v_mul_f64 v[84:85], v[154:155], v[86:87]
	s_delay_alu instid0(VALU_DEP_1) | instskip(SKIP_1) | instid1(VALU_DEP_2)
	v_fma_f64 v[84:85], v[152:153], v[160:161], -v[84:85]
	v_mul_f64 v[152:153], v[152:153], v[86:87]
	v_add_f64 v[76:77], v[76:77], -v[84:85]
	s_delay_alu instid0(VALU_DEP_2) | instskip(NEXT) | instid1(VALU_DEP_1)
	v_fma_f64 v[152:153], v[154:155], v[160:161], v[152:153]
	v_add_f64 v[78:79], v[78:79], -v[152:153]
	;; [unrolled: 10-line block ×18, first 2 shown]
	ds_load_2addr_b64 v[152:155], v162 offset0:74 offset1:75
	s_waitcnt lgkmcnt(0)
	v_mul_f64 v[84:85], v[154:155], v[86:87]
	s_delay_alu instid0(VALU_DEP_1) | instskip(SKIP_1) | instid1(VALU_DEP_2)
	v_fma_f64 v[84:85], v[152:153], v[160:161], -v[84:85]
	v_mul_f64 v[152:153], v[152:153], v[86:87]
	v_add_f64 v[0:1], v[0:1], -v[84:85]
	s_delay_alu instid0(VALU_DEP_2) | instskip(SKIP_1) | instid1(VALU_DEP_2)
	v_fma_f64 v[152:153], v[154:155], v[160:161], v[152:153]
	v_dual_mov_b32 v84, v160 :: v_dual_mov_b32 v85, v161
	v_add_f64 v[2:3], v[2:3], -v[152:153]
.LBB74_398:
	s_or_b32 exec_lo, exec_lo, s2
	v_lshl_add_u32 v152, v168, 4, v162
	s_barrier
	buffer_gl0_inv
	v_mov_b32_e32 v160, 19
	ds_store_2addr_b64 v152, v[80:81], v[82:83] offset1:1
	s_waitcnt lgkmcnt(0)
	s_barrier
	buffer_gl0_inv
	ds_load_2addr_b64 v[152:155], v162 offset0:38 offset1:39
	s_cmp_lt_i32 s5, 21
	s_cbranch_scc1 .LBB74_401
; %bb.399:
	v_add3_u32 v161, v166, 0, 0x140
	v_mov_b32_e32 v160, 19
	s_mov_b32 s6, 20
	s_set_inst_prefetch_distance 0x1
	.p2align	6
.LBB74_400:                             ; =>This Inner Loop Header: Depth=1
	ds_load_2addr_b64 v[169:172], v161 offset1:1
	s_waitcnt lgkmcnt(1)
	v_cmp_gt_f64_e32 vcc_lo, 0, v[152:153]
	v_xor_b32_e32 v173, 0x80000000, v153
	v_cmp_gt_f64_e64 s2, 0, v[154:155]
	v_xor_b32_e32 v175, 0x80000000, v155
	v_add_nc_u32_e32 v161, 16, v161
	s_waitcnt lgkmcnt(0)
	v_cmp_gt_f64_e64 s3, 0, v[169:170]
	v_mov_b32_e32 v177, v169
	v_dual_mov_b32 v179, v171 :: v_dual_cndmask_b32 v174, v153, v173
	v_xor_b32_e32 v173, 0x80000000, v170
	v_cndmask_b32_e64 v176, v155, v175, s2
	v_xor_b32_e32 v175, 0x80000000, v172
	s_delay_alu instid0(VALU_DEP_3) | instskip(SKIP_2) | instid1(VALU_DEP_2)
	v_cndmask_b32_e64 v178, v170, v173, s3
	v_cmp_gt_f64_e64 s3, 0, v[171:172]
	v_cndmask_b32_e32 v173, v152, v152, vcc_lo
	v_cndmask_b32_e64 v180, v172, v175, s3
	v_cndmask_b32_e64 v175, v154, v154, s2
	s_delay_alu instid0(VALU_DEP_2) | instskip(NEXT) | instid1(VALU_DEP_2)
	v_add_f64 v[177:178], v[177:178], v[179:180]
	v_add_f64 v[173:174], v[173:174], v[175:176]
	s_delay_alu instid0(VALU_DEP_1) | instskip(SKIP_4) | instid1(SALU_CYCLE_1)
	v_cmp_lt_f64_e32 vcc_lo, v[173:174], v[177:178]
	v_dual_cndmask_b32 v154, v154, v171 :: v_dual_cndmask_b32 v153, v153, v170
	v_dual_cndmask_b32 v152, v152, v169 :: v_dual_cndmask_b32 v155, v155, v172
	v_cndmask_b32_e64 v160, v160, s6, vcc_lo
	s_add_i32 s6, s6, 1
	s_cmp_lg_u32 s5, s6
	s_cbranch_scc1 .LBB74_400
.LBB74_401:
	s_set_inst_prefetch_distance 0x2
	s_waitcnt lgkmcnt(0)
	v_cmp_eq_f64_e32 vcc_lo, 0, v[152:153]
	v_cmp_eq_f64_e64 s2, 0, v[154:155]
	s_delay_alu instid0(VALU_DEP_1) | instskip(NEXT) | instid1(SALU_CYCLE_1)
	s_and_b32 s2, vcc_lo, s2
	s_and_saveexec_b32 s3, s2
	s_delay_alu instid0(SALU_CYCLE_1)
	s_xor_b32 s2, exec_lo, s3
; %bb.402:
	v_cmp_ne_u32_e32 vcc_lo, 0, v165
	v_cndmask_b32_e32 v165, 20, v165, vcc_lo
; %bb.403:
	s_and_not1_saveexec_b32 s3, s2
	s_cbranch_execz .LBB74_409
; %bb.404:
	v_cmp_gt_f64_e32 vcc_lo, 0, v[152:153]
	v_cmp_gt_f64_e64 s2, 0, v[154:155]
	v_xor_b32_e32 v161, 0x80000000, v153
	v_xor_b32_e32 v169, 0x80000000, v155
	s_delay_alu instid0(VALU_DEP_2) | instskip(NEXT) | instid1(VALU_DEP_2)
	v_cndmask_b32_e32 v170, v153, v161, vcc_lo
	v_cndmask_b32_e64 v172, v155, v169, s2
	v_cndmask_b32_e32 v169, v152, v152, vcc_lo
	v_cndmask_b32_e64 v171, v154, v154, s2
	s_mov_b32 s2, exec_lo
	s_delay_alu instid0(VALU_DEP_1)
	v_cmpx_ngt_f64_e32 v[169:170], v[171:172]
	s_xor_b32 s2, exec_lo, s2
	s_cbranch_execz .LBB74_406
; %bb.405:
	v_div_scale_f64 v[169:170], null, v[154:155], v[154:155], v[152:153]
	v_div_scale_f64 v[175:176], vcc_lo, v[152:153], v[154:155], v[152:153]
	s_delay_alu instid0(VALU_DEP_2) | instskip(SKIP_2) | instid1(VALU_DEP_1)
	v_rcp_f64_e32 v[171:172], v[169:170]
	s_waitcnt_depctr 0xfff
	v_fma_f64 v[173:174], -v[169:170], v[171:172], 1.0
	v_fma_f64 v[171:172], v[171:172], v[173:174], v[171:172]
	s_delay_alu instid0(VALU_DEP_1) | instskip(NEXT) | instid1(VALU_DEP_1)
	v_fma_f64 v[173:174], -v[169:170], v[171:172], 1.0
	v_fma_f64 v[171:172], v[171:172], v[173:174], v[171:172]
	s_delay_alu instid0(VALU_DEP_1) | instskip(NEXT) | instid1(VALU_DEP_1)
	v_mul_f64 v[173:174], v[175:176], v[171:172]
	v_fma_f64 v[169:170], -v[169:170], v[173:174], v[175:176]
	s_delay_alu instid0(VALU_DEP_1) | instskip(NEXT) | instid1(VALU_DEP_1)
	v_div_fmas_f64 v[169:170], v[169:170], v[171:172], v[173:174]
	v_div_fixup_f64 v[169:170], v[169:170], v[154:155], v[152:153]
	s_delay_alu instid0(VALU_DEP_1) | instskip(NEXT) | instid1(VALU_DEP_1)
	v_fma_f64 v[152:153], v[152:153], v[169:170], v[154:155]
	v_div_scale_f64 v[154:155], null, v[152:153], v[152:153], 1.0
	s_delay_alu instid0(VALU_DEP_1) | instskip(SKIP_2) | instid1(VALU_DEP_1)
	v_rcp_f64_e32 v[171:172], v[154:155]
	s_waitcnt_depctr 0xfff
	v_fma_f64 v[173:174], -v[154:155], v[171:172], 1.0
	v_fma_f64 v[171:172], v[171:172], v[173:174], v[171:172]
	s_delay_alu instid0(VALU_DEP_1) | instskip(NEXT) | instid1(VALU_DEP_1)
	v_fma_f64 v[173:174], -v[154:155], v[171:172], 1.0
	v_fma_f64 v[171:172], v[171:172], v[173:174], v[171:172]
	v_div_scale_f64 v[173:174], vcc_lo, 1.0, v[152:153], 1.0
	s_delay_alu instid0(VALU_DEP_1) | instskip(NEXT) | instid1(VALU_DEP_1)
	v_mul_f64 v[175:176], v[173:174], v[171:172]
	v_fma_f64 v[154:155], -v[154:155], v[175:176], v[173:174]
	s_delay_alu instid0(VALU_DEP_1) | instskip(NEXT) | instid1(VALU_DEP_1)
	v_div_fmas_f64 v[154:155], v[154:155], v[171:172], v[175:176]
	v_div_fixup_f64 v[154:155], v[154:155], v[152:153], 1.0
	s_delay_alu instid0(VALU_DEP_1)
	v_mul_f64 v[152:153], v[169:170], v[154:155]
	v_xor_b32_e32 v155, 0x80000000, v155
.LBB74_406:
	s_and_not1_saveexec_b32 s2, s2
	s_cbranch_execz .LBB74_408
; %bb.407:
	s_delay_alu instid0(VALU_DEP_1) | instskip(SKIP_1) | instid1(VALU_DEP_2)
	v_div_scale_f64 v[169:170], null, v[152:153], v[152:153], v[154:155]
	v_div_scale_f64 v[175:176], vcc_lo, v[154:155], v[152:153], v[154:155]
	v_rcp_f64_e32 v[171:172], v[169:170]
	s_waitcnt_depctr 0xfff
	v_fma_f64 v[173:174], -v[169:170], v[171:172], 1.0
	s_delay_alu instid0(VALU_DEP_1) | instskip(NEXT) | instid1(VALU_DEP_1)
	v_fma_f64 v[171:172], v[171:172], v[173:174], v[171:172]
	v_fma_f64 v[173:174], -v[169:170], v[171:172], 1.0
	s_delay_alu instid0(VALU_DEP_1) | instskip(NEXT) | instid1(VALU_DEP_1)
	v_fma_f64 v[171:172], v[171:172], v[173:174], v[171:172]
	v_mul_f64 v[173:174], v[175:176], v[171:172]
	s_delay_alu instid0(VALU_DEP_1) | instskip(NEXT) | instid1(VALU_DEP_1)
	v_fma_f64 v[169:170], -v[169:170], v[173:174], v[175:176]
	v_div_fmas_f64 v[169:170], v[169:170], v[171:172], v[173:174]
	s_delay_alu instid0(VALU_DEP_1) | instskip(NEXT) | instid1(VALU_DEP_1)
	v_div_fixup_f64 v[169:170], v[169:170], v[152:153], v[154:155]
	v_fma_f64 v[152:153], v[154:155], v[169:170], v[152:153]
	s_delay_alu instid0(VALU_DEP_1) | instskip(NEXT) | instid1(VALU_DEP_1)
	v_div_scale_f64 v[154:155], null, v[152:153], v[152:153], 1.0
	v_rcp_f64_e32 v[171:172], v[154:155]
	s_waitcnt_depctr 0xfff
	v_fma_f64 v[173:174], -v[154:155], v[171:172], 1.0
	s_delay_alu instid0(VALU_DEP_1) | instskip(NEXT) | instid1(VALU_DEP_1)
	v_fma_f64 v[171:172], v[171:172], v[173:174], v[171:172]
	v_fma_f64 v[173:174], -v[154:155], v[171:172], 1.0
	s_delay_alu instid0(VALU_DEP_1) | instskip(SKIP_1) | instid1(VALU_DEP_1)
	v_fma_f64 v[171:172], v[171:172], v[173:174], v[171:172]
	v_div_scale_f64 v[173:174], vcc_lo, 1.0, v[152:153], 1.0
	v_mul_f64 v[175:176], v[173:174], v[171:172]
	s_delay_alu instid0(VALU_DEP_1) | instskip(NEXT) | instid1(VALU_DEP_1)
	v_fma_f64 v[154:155], -v[154:155], v[175:176], v[173:174]
	v_div_fmas_f64 v[154:155], v[154:155], v[171:172], v[175:176]
	s_delay_alu instid0(VALU_DEP_1) | instskip(NEXT) | instid1(VALU_DEP_1)
	v_div_fixup_f64 v[152:153], v[154:155], v[152:153], 1.0
	v_mul_f64 v[154:155], v[169:170], -v[152:153]
.LBB74_408:
	s_or_b32 exec_lo, exec_lo, s2
.LBB74_409:
	s_delay_alu instid0(SALU_CYCLE_1) | instskip(NEXT) | instid1(SALU_CYCLE_1)
	s_or_b32 exec_lo, exec_lo, s3
	s_mov_b32 s2, exec_lo
	v_cmpx_ne_u32_e64 v168, v160
	s_xor_b32 s2, exec_lo, s2
	s_cbranch_execz .LBB74_415
; %bb.410:
	s_mov_b32 s3, exec_lo
	v_cmpx_eq_u32_e32 19, v168
	s_cbranch_execz .LBB74_414
; %bb.411:
	v_cmp_ne_u32_e32 vcc_lo, 19, v160
	s_xor_b32 s6, s4, -1
	s_delay_alu instid0(SALU_CYCLE_1) | instskip(NEXT) | instid1(SALU_CYCLE_1)
	s_and_b32 s7, s6, vcc_lo
	s_and_saveexec_b32 s6, s7
	s_cbranch_execz .LBB74_413
; %bb.412:
	v_ashrrev_i32_e32 v161, 31, v160
	s_delay_alu instid0(VALU_DEP_1) | instskip(NEXT) | instid1(VALU_DEP_1)
	v_lshlrev_b64 v[167:168], 2, v[160:161]
	v_add_co_u32 v167, vcc_lo, v158, v167
	s_delay_alu instid0(VALU_DEP_2)
	v_add_co_ci_u32_e32 v168, vcc_lo, v159, v168, vcc_lo
	s_clause 0x1
	flat_load_b32 v161, v[167:168]
	flat_load_b32 v169, v[158:159] offset:76
	s_waitcnt vmcnt(1) lgkmcnt(1)
	flat_store_b32 v[158:159], v161 offset:76
	s_waitcnt vmcnt(0) lgkmcnt(1)
	flat_store_b32 v[167:168], v169
.LBB74_413:
	s_or_b32 exec_lo, exec_lo, s6
	v_mov_b32_e32 v168, v160
	v_mov_b32_e32 v167, v160
.LBB74_414:
	s_or_b32 exec_lo, exec_lo, s3
.LBB74_415:
	s_and_not1_saveexec_b32 s2, s2
	s_cbranch_execz .LBB74_417
; %bb.416:
	v_mov_b32_e32 v168, 19
	ds_store_2addr_b64 v162, v[76:77], v[78:79] offset0:40 offset1:41
	ds_store_2addr_b64 v162, v[72:73], v[74:75] offset0:42 offset1:43
	;; [unrolled: 1-line block ×18, first 2 shown]
.LBB74_417:
	s_or_b32 exec_lo, exec_lo, s2
	s_delay_alu instid0(SALU_CYCLE_1)
	s_mov_b32 s2, exec_lo
	s_waitcnt lgkmcnt(0)
	s_waitcnt_vscnt null, 0x0
	s_barrier
	buffer_gl0_inv
	v_cmpx_lt_i32_e32 19, v168
	s_cbranch_execz .LBB74_419
; %bb.418:
	v_mul_f64 v[160:161], v[154:155], v[82:83]
	v_mul_f64 v[82:83], v[152:153], v[82:83]
	s_delay_alu instid0(VALU_DEP_2) | instskip(NEXT) | instid1(VALU_DEP_2)
	v_fma_f64 v[160:161], v[152:153], v[80:81], -v[160:161]
	v_fma_f64 v[82:83], v[154:155], v[80:81], v[82:83]
	ds_load_2addr_b64 v[152:155], v162 offset0:40 offset1:41
	s_waitcnt lgkmcnt(0)
	v_mul_f64 v[80:81], v[154:155], v[82:83]
	s_delay_alu instid0(VALU_DEP_1) | instskip(SKIP_1) | instid1(VALU_DEP_2)
	v_fma_f64 v[80:81], v[152:153], v[160:161], -v[80:81]
	v_mul_f64 v[152:153], v[152:153], v[82:83]
	v_add_f64 v[76:77], v[76:77], -v[80:81]
	s_delay_alu instid0(VALU_DEP_2) | instskip(NEXT) | instid1(VALU_DEP_1)
	v_fma_f64 v[152:153], v[154:155], v[160:161], v[152:153]
	v_add_f64 v[78:79], v[78:79], -v[152:153]
	ds_load_2addr_b64 v[152:155], v162 offset0:42 offset1:43
	s_waitcnt lgkmcnt(0)
	v_mul_f64 v[80:81], v[154:155], v[82:83]
	s_delay_alu instid0(VALU_DEP_1) | instskip(SKIP_1) | instid1(VALU_DEP_2)
	v_fma_f64 v[80:81], v[152:153], v[160:161], -v[80:81]
	v_mul_f64 v[152:153], v[152:153], v[82:83]
	v_add_f64 v[72:73], v[72:73], -v[80:81]
	s_delay_alu instid0(VALU_DEP_2) | instskip(NEXT) | instid1(VALU_DEP_1)
	v_fma_f64 v[152:153], v[154:155], v[160:161], v[152:153]
	v_add_f64 v[74:75], v[74:75], -v[152:153]
	;; [unrolled: 10-line block ×17, first 2 shown]
	ds_load_2addr_b64 v[152:155], v162 offset0:74 offset1:75
	s_waitcnt lgkmcnt(0)
	v_mul_f64 v[80:81], v[154:155], v[82:83]
	s_delay_alu instid0(VALU_DEP_1) | instskip(SKIP_1) | instid1(VALU_DEP_2)
	v_fma_f64 v[80:81], v[152:153], v[160:161], -v[80:81]
	v_mul_f64 v[152:153], v[152:153], v[82:83]
	v_add_f64 v[0:1], v[0:1], -v[80:81]
	s_delay_alu instid0(VALU_DEP_2) | instskip(SKIP_1) | instid1(VALU_DEP_2)
	v_fma_f64 v[152:153], v[154:155], v[160:161], v[152:153]
	v_dual_mov_b32 v80, v160 :: v_dual_mov_b32 v81, v161
	v_add_f64 v[2:3], v[2:3], -v[152:153]
.LBB74_419:
	s_or_b32 exec_lo, exec_lo, s2
	v_lshl_add_u32 v152, v168, 4, v162
	s_barrier
	buffer_gl0_inv
	v_mov_b32_e32 v160, 20
	ds_store_2addr_b64 v152, v[76:77], v[78:79] offset1:1
	s_waitcnt lgkmcnt(0)
	s_barrier
	buffer_gl0_inv
	ds_load_2addr_b64 v[152:155], v162 offset0:40 offset1:41
	s_cmp_lt_i32 s5, 22
	s_cbranch_scc1 .LBB74_422
; %bb.420:
	v_add3_u32 v161, v166, 0, 0x150
	v_mov_b32_e32 v160, 20
	s_mov_b32 s6, 21
	s_set_inst_prefetch_distance 0x1
	.p2align	6
.LBB74_421:                             ; =>This Inner Loop Header: Depth=1
	ds_load_2addr_b64 v[169:172], v161 offset1:1
	s_waitcnt lgkmcnt(1)
	v_cmp_gt_f64_e32 vcc_lo, 0, v[152:153]
	v_xor_b32_e32 v173, 0x80000000, v153
	v_cmp_gt_f64_e64 s2, 0, v[154:155]
	v_xor_b32_e32 v175, 0x80000000, v155
	v_add_nc_u32_e32 v161, 16, v161
	s_waitcnt lgkmcnt(0)
	v_cmp_gt_f64_e64 s3, 0, v[169:170]
	v_mov_b32_e32 v177, v169
	v_dual_mov_b32 v179, v171 :: v_dual_cndmask_b32 v174, v153, v173
	v_xor_b32_e32 v173, 0x80000000, v170
	v_cndmask_b32_e64 v176, v155, v175, s2
	v_xor_b32_e32 v175, 0x80000000, v172
	s_delay_alu instid0(VALU_DEP_3) | instskip(SKIP_2) | instid1(VALU_DEP_2)
	v_cndmask_b32_e64 v178, v170, v173, s3
	v_cmp_gt_f64_e64 s3, 0, v[171:172]
	v_cndmask_b32_e32 v173, v152, v152, vcc_lo
	v_cndmask_b32_e64 v180, v172, v175, s3
	v_cndmask_b32_e64 v175, v154, v154, s2
	s_delay_alu instid0(VALU_DEP_2) | instskip(NEXT) | instid1(VALU_DEP_2)
	v_add_f64 v[177:178], v[177:178], v[179:180]
	v_add_f64 v[173:174], v[173:174], v[175:176]
	s_delay_alu instid0(VALU_DEP_1) | instskip(SKIP_4) | instid1(SALU_CYCLE_1)
	v_cmp_lt_f64_e32 vcc_lo, v[173:174], v[177:178]
	v_dual_cndmask_b32 v154, v154, v171 :: v_dual_cndmask_b32 v153, v153, v170
	v_dual_cndmask_b32 v152, v152, v169 :: v_dual_cndmask_b32 v155, v155, v172
	v_cndmask_b32_e64 v160, v160, s6, vcc_lo
	s_add_i32 s6, s6, 1
	s_cmp_lg_u32 s5, s6
	s_cbranch_scc1 .LBB74_421
.LBB74_422:
	s_set_inst_prefetch_distance 0x2
	s_waitcnt lgkmcnt(0)
	v_cmp_eq_f64_e32 vcc_lo, 0, v[152:153]
	v_cmp_eq_f64_e64 s2, 0, v[154:155]
	s_delay_alu instid0(VALU_DEP_1) | instskip(NEXT) | instid1(SALU_CYCLE_1)
	s_and_b32 s2, vcc_lo, s2
	s_and_saveexec_b32 s3, s2
	s_delay_alu instid0(SALU_CYCLE_1)
	s_xor_b32 s2, exec_lo, s3
; %bb.423:
	v_cmp_ne_u32_e32 vcc_lo, 0, v165
	v_cndmask_b32_e32 v165, 21, v165, vcc_lo
; %bb.424:
	s_and_not1_saveexec_b32 s3, s2
	s_cbranch_execz .LBB74_430
; %bb.425:
	v_cmp_gt_f64_e32 vcc_lo, 0, v[152:153]
	v_cmp_gt_f64_e64 s2, 0, v[154:155]
	v_xor_b32_e32 v161, 0x80000000, v153
	v_xor_b32_e32 v169, 0x80000000, v155
	s_delay_alu instid0(VALU_DEP_2) | instskip(NEXT) | instid1(VALU_DEP_2)
	v_cndmask_b32_e32 v170, v153, v161, vcc_lo
	v_cndmask_b32_e64 v172, v155, v169, s2
	v_cndmask_b32_e32 v169, v152, v152, vcc_lo
	v_cndmask_b32_e64 v171, v154, v154, s2
	s_mov_b32 s2, exec_lo
	s_delay_alu instid0(VALU_DEP_1)
	v_cmpx_ngt_f64_e32 v[169:170], v[171:172]
	s_xor_b32 s2, exec_lo, s2
	s_cbranch_execz .LBB74_427
; %bb.426:
	v_div_scale_f64 v[169:170], null, v[154:155], v[154:155], v[152:153]
	v_div_scale_f64 v[175:176], vcc_lo, v[152:153], v[154:155], v[152:153]
	s_delay_alu instid0(VALU_DEP_2) | instskip(SKIP_2) | instid1(VALU_DEP_1)
	v_rcp_f64_e32 v[171:172], v[169:170]
	s_waitcnt_depctr 0xfff
	v_fma_f64 v[173:174], -v[169:170], v[171:172], 1.0
	v_fma_f64 v[171:172], v[171:172], v[173:174], v[171:172]
	s_delay_alu instid0(VALU_DEP_1) | instskip(NEXT) | instid1(VALU_DEP_1)
	v_fma_f64 v[173:174], -v[169:170], v[171:172], 1.0
	v_fma_f64 v[171:172], v[171:172], v[173:174], v[171:172]
	s_delay_alu instid0(VALU_DEP_1) | instskip(NEXT) | instid1(VALU_DEP_1)
	v_mul_f64 v[173:174], v[175:176], v[171:172]
	v_fma_f64 v[169:170], -v[169:170], v[173:174], v[175:176]
	s_delay_alu instid0(VALU_DEP_1) | instskip(NEXT) | instid1(VALU_DEP_1)
	v_div_fmas_f64 v[169:170], v[169:170], v[171:172], v[173:174]
	v_div_fixup_f64 v[169:170], v[169:170], v[154:155], v[152:153]
	s_delay_alu instid0(VALU_DEP_1) | instskip(NEXT) | instid1(VALU_DEP_1)
	v_fma_f64 v[152:153], v[152:153], v[169:170], v[154:155]
	v_div_scale_f64 v[154:155], null, v[152:153], v[152:153], 1.0
	s_delay_alu instid0(VALU_DEP_1) | instskip(SKIP_2) | instid1(VALU_DEP_1)
	v_rcp_f64_e32 v[171:172], v[154:155]
	s_waitcnt_depctr 0xfff
	v_fma_f64 v[173:174], -v[154:155], v[171:172], 1.0
	v_fma_f64 v[171:172], v[171:172], v[173:174], v[171:172]
	s_delay_alu instid0(VALU_DEP_1) | instskip(NEXT) | instid1(VALU_DEP_1)
	v_fma_f64 v[173:174], -v[154:155], v[171:172], 1.0
	v_fma_f64 v[171:172], v[171:172], v[173:174], v[171:172]
	v_div_scale_f64 v[173:174], vcc_lo, 1.0, v[152:153], 1.0
	s_delay_alu instid0(VALU_DEP_1) | instskip(NEXT) | instid1(VALU_DEP_1)
	v_mul_f64 v[175:176], v[173:174], v[171:172]
	v_fma_f64 v[154:155], -v[154:155], v[175:176], v[173:174]
	s_delay_alu instid0(VALU_DEP_1) | instskip(NEXT) | instid1(VALU_DEP_1)
	v_div_fmas_f64 v[154:155], v[154:155], v[171:172], v[175:176]
	v_div_fixup_f64 v[154:155], v[154:155], v[152:153], 1.0
	s_delay_alu instid0(VALU_DEP_1)
	v_mul_f64 v[152:153], v[169:170], v[154:155]
	v_xor_b32_e32 v155, 0x80000000, v155
.LBB74_427:
	s_and_not1_saveexec_b32 s2, s2
	s_cbranch_execz .LBB74_429
; %bb.428:
	s_delay_alu instid0(VALU_DEP_1) | instskip(SKIP_1) | instid1(VALU_DEP_2)
	v_div_scale_f64 v[169:170], null, v[152:153], v[152:153], v[154:155]
	v_div_scale_f64 v[175:176], vcc_lo, v[154:155], v[152:153], v[154:155]
	v_rcp_f64_e32 v[171:172], v[169:170]
	s_waitcnt_depctr 0xfff
	v_fma_f64 v[173:174], -v[169:170], v[171:172], 1.0
	s_delay_alu instid0(VALU_DEP_1) | instskip(NEXT) | instid1(VALU_DEP_1)
	v_fma_f64 v[171:172], v[171:172], v[173:174], v[171:172]
	v_fma_f64 v[173:174], -v[169:170], v[171:172], 1.0
	s_delay_alu instid0(VALU_DEP_1) | instskip(NEXT) | instid1(VALU_DEP_1)
	v_fma_f64 v[171:172], v[171:172], v[173:174], v[171:172]
	v_mul_f64 v[173:174], v[175:176], v[171:172]
	s_delay_alu instid0(VALU_DEP_1) | instskip(NEXT) | instid1(VALU_DEP_1)
	v_fma_f64 v[169:170], -v[169:170], v[173:174], v[175:176]
	v_div_fmas_f64 v[169:170], v[169:170], v[171:172], v[173:174]
	s_delay_alu instid0(VALU_DEP_1) | instskip(NEXT) | instid1(VALU_DEP_1)
	v_div_fixup_f64 v[169:170], v[169:170], v[152:153], v[154:155]
	v_fma_f64 v[152:153], v[154:155], v[169:170], v[152:153]
	s_delay_alu instid0(VALU_DEP_1) | instskip(NEXT) | instid1(VALU_DEP_1)
	v_div_scale_f64 v[154:155], null, v[152:153], v[152:153], 1.0
	v_rcp_f64_e32 v[171:172], v[154:155]
	s_waitcnt_depctr 0xfff
	v_fma_f64 v[173:174], -v[154:155], v[171:172], 1.0
	s_delay_alu instid0(VALU_DEP_1) | instskip(NEXT) | instid1(VALU_DEP_1)
	v_fma_f64 v[171:172], v[171:172], v[173:174], v[171:172]
	v_fma_f64 v[173:174], -v[154:155], v[171:172], 1.0
	s_delay_alu instid0(VALU_DEP_1) | instskip(SKIP_1) | instid1(VALU_DEP_1)
	v_fma_f64 v[171:172], v[171:172], v[173:174], v[171:172]
	v_div_scale_f64 v[173:174], vcc_lo, 1.0, v[152:153], 1.0
	v_mul_f64 v[175:176], v[173:174], v[171:172]
	s_delay_alu instid0(VALU_DEP_1) | instskip(NEXT) | instid1(VALU_DEP_1)
	v_fma_f64 v[154:155], -v[154:155], v[175:176], v[173:174]
	v_div_fmas_f64 v[154:155], v[154:155], v[171:172], v[175:176]
	s_delay_alu instid0(VALU_DEP_1) | instskip(NEXT) | instid1(VALU_DEP_1)
	v_div_fixup_f64 v[152:153], v[154:155], v[152:153], 1.0
	v_mul_f64 v[154:155], v[169:170], -v[152:153]
.LBB74_429:
	s_or_b32 exec_lo, exec_lo, s2
.LBB74_430:
	s_delay_alu instid0(SALU_CYCLE_1) | instskip(NEXT) | instid1(SALU_CYCLE_1)
	s_or_b32 exec_lo, exec_lo, s3
	s_mov_b32 s2, exec_lo
	v_cmpx_ne_u32_e64 v168, v160
	s_xor_b32 s2, exec_lo, s2
	s_cbranch_execz .LBB74_436
; %bb.431:
	s_mov_b32 s3, exec_lo
	v_cmpx_eq_u32_e32 20, v168
	s_cbranch_execz .LBB74_435
; %bb.432:
	v_cmp_ne_u32_e32 vcc_lo, 20, v160
	s_xor_b32 s6, s4, -1
	s_delay_alu instid0(SALU_CYCLE_1) | instskip(NEXT) | instid1(SALU_CYCLE_1)
	s_and_b32 s7, s6, vcc_lo
	s_and_saveexec_b32 s6, s7
	s_cbranch_execz .LBB74_434
; %bb.433:
	v_ashrrev_i32_e32 v161, 31, v160
	s_delay_alu instid0(VALU_DEP_1) | instskip(NEXT) | instid1(VALU_DEP_1)
	v_lshlrev_b64 v[167:168], 2, v[160:161]
	v_add_co_u32 v167, vcc_lo, v158, v167
	s_delay_alu instid0(VALU_DEP_2)
	v_add_co_ci_u32_e32 v168, vcc_lo, v159, v168, vcc_lo
	s_clause 0x1
	flat_load_b32 v161, v[167:168]
	flat_load_b32 v169, v[158:159] offset:80
	s_waitcnt vmcnt(1) lgkmcnt(1)
	flat_store_b32 v[158:159], v161 offset:80
	s_waitcnt vmcnt(0) lgkmcnt(1)
	flat_store_b32 v[167:168], v169
.LBB74_434:
	s_or_b32 exec_lo, exec_lo, s6
	v_mov_b32_e32 v168, v160
	v_mov_b32_e32 v167, v160
.LBB74_435:
	s_or_b32 exec_lo, exec_lo, s3
.LBB74_436:
	s_and_not1_saveexec_b32 s2, s2
	s_cbranch_execz .LBB74_438
; %bb.437:
	v_mov_b32_e32 v168, 20
	ds_store_2addr_b64 v162, v[72:73], v[74:75] offset0:42 offset1:43
	ds_store_2addr_b64 v162, v[68:69], v[70:71] offset0:44 offset1:45
	;; [unrolled: 1-line block ×17, first 2 shown]
.LBB74_438:
	s_or_b32 exec_lo, exec_lo, s2
	s_delay_alu instid0(SALU_CYCLE_1)
	s_mov_b32 s2, exec_lo
	s_waitcnt lgkmcnt(0)
	s_waitcnt_vscnt null, 0x0
	s_barrier
	buffer_gl0_inv
	v_cmpx_lt_i32_e32 20, v168
	s_cbranch_execz .LBB74_440
; %bb.439:
	v_mul_f64 v[160:161], v[154:155], v[78:79]
	v_mul_f64 v[78:79], v[152:153], v[78:79]
	s_delay_alu instid0(VALU_DEP_2) | instskip(NEXT) | instid1(VALU_DEP_2)
	v_fma_f64 v[160:161], v[152:153], v[76:77], -v[160:161]
	v_fma_f64 v[78:79], v[154:155], v[76:77], v[78:79]
	ds_load_2addr_b64 v[152:155], v162 offset0:42 offset1:43
	s_waitcnt lgkmcnt(0)
	v_mul_f64 v[76:77], v[154:155], v[78:79]
	s_delay_alu instid0(VALU_DEP_1) | instskip(SKIP_1) | instid1(VALU_DEP_2)
	v_fma_f64 v[76:77], v[152:153], v[160:161], -v[76:77]
	v_mul_f64 v[152:153], v[152:153], v[78:79]
	v_add_f64 v[72:73], v[72:73], -v[76:77]
	s_delay_alu instid0(VALU_DEP_2) | instskip(NEXT) | instid1(VALU_DEP_1)
	v_fma_f64 v[152:153], v[154:155], v[160:161], v[152:153]
	v_add_f64 v[74:75], v[74:75], -v[152:153]
	ds_load_2addr_b64 v[152:155], v162 offset0:44 offset1:45
	s_waitcnt lgkmcnt(0)
	v_mul_f64 v[76:77], v[154:155], v[78:79]
	s_delay_alu instid0(VALU_DEP_1) | instskip(SKIP_1) | instid1(VALU_DEP_2)
	v_fma_f64 v[76:77], v[152:153], v[160:161], -v[76:77]
	v_mul_f64 v[152:153], v[152:153], v[78:79]
	v_add_f64 v[68:69], v[68:69], -v[76:77]
	s_delay_alu instid0(VALU_DEP_2) | instskip(NEXT) | instid1(VALU_DEP_1)
	v_fma_f64 v[152:153], v[154:155], v[160:161], v[152:153]
	v_add_f64 v[70:71], v[70:71], -v[152:153]
	;; [unrolled: 10-line block ×16, first 2 shown]
	ds_load_2addr_b64 v[152:155], v162 offset0:74 offset1:75
	s_waitcnt lgkmcnt(0)
	v_mul_f64 v[76:77], v[154:155], v[78:79]
	s_delay_alu instid0(VALU_DEP_1) | instskip(SKIP_1) | instid1(VALU_DEP_2)
	v_fma_f64 v[76:77], v[152:153], v[160:161], -v[76:77]
	v_mul_f64 v[152:153], v[152:153], v[78:79]
	v_add_f64 v[0:1], v[0:1], -v[76:77]
	s_delay_alu instid0(VALU_DEP_2) | instskip(SKIP_1) | instid1(VALU_DEP_2)
	v_fma_f64 v[152:153], v[154:155], v[160:161], v[152:153]
	v_dual_mov_b32 v76, v160 :: v_dual_mov_b32 v77, v161
	v_add_f64 v[2:3], v[2:3], -v[152:153]
.LBB74_440:
	s_or_b32 exec_lo, exec_lo, s2
	v_lshl_add_u32 v152, v168, 4, v162
	s_barrier
	buffer_gl0_inv
	v_mov_b32_e32 v160, 21
	ds_store_2addr_b64 v152, v[72:73], v[74:75] offset1:1
	s_waitcnt lgkmcnt(0)
	s_barrier
	buffer_gl0_inv
	ds_load_2addr_b64 v[152:155], v162 offset0:42 offset1:43
	s_cmp_lt_i32 s5, 23
	s_cbranch_scc1 .LBB74_443
; %bb.441:
	v_add3_u32 v161, v166, 0, 0x160
	v_mov_b32_e32 v160, 21
	s_mov_b32 s6, 22
	s_set_inst_prefetch_distance 0x1
	.p2align	6
.LBB74_442:                             ; =>This Inner Loop Header: Depth=1
	ds_load_2addr_b64 v[169:172], v161 offset1:1
	s_waitcnt lgkmcnt(1)
	v_cmp_gt_f64_e32 vcc_lo, 0, v[152:153]
	v_xor_b32_e32 v173, 0x80000000, v153
	v_cmp_gt_f64_e64 s2, 0, v[154:155]
	v_xor_b32_e32 v175, 0x80000000, v155
	v_add_nc_u32_e32 v161, 16, v161
	s_waitcnt lgkmcnt(0)
	v_cmp_gt_f64_e64 s3, 0, v[169:170]
	v_mov_b32_e32 v177, v169
	v_dual_mov_b32 v179, v171 :: v_dual_cndmask_b32 v174, v153, v173
	v_xor_b32_e32 v173, 0x80000000, v170
	v_cndmask_b32_e64 v176, v155, v175, s2
	v_xor_b32_e32 v175, 0x80000000, v172
	s_delay_alu instid0(VALU_DEP_3) | instskip(SKIP_2) | instid1(VALU_DEP_2)
	v_cndmask_b32_e64 v178, v170, v173, s3
	v_cmp_gt_f64_e64 s3, 0, v[171:172]
	v_cndmask_b32_e32 v173, v152, v152, vcc_lo
	v_cndmask_b32_e64 v180, v172, v175, s3
	v_cndmask_b32_e64 v175, v154, v154, s2
	s_delay_alu instid0(VALU_DEP_2) | instskip(NEXT) | instid1(VALU_DEP_2)
	v_add_f64 v[177:178], v[177:178], v[179:180]
	v_add_f64 v[173:174], v[173:174], v[175:176]
	s_delay_alu instid0(VALU_DEP_1) | instskip(SKIP_4) | instid1(SALU_CYCLE_1)
	v_cmp_lt_f64_e32 vcc_lo, v[173:174], v[177:178]
	v_dual_cndmask_b32 v154, v154, v171 :: v_dual_cndmask_b32 v153, v153, v170
	v_dual_cndmask_b32 v152, v152, v169 :: v_dual_cndmask_b32 v155, v155, v172
	v_cndmask_b32_e64 v160, v160, s6, vcc_lo
	s_add_i32 s6, s6, 1
	s_cmp_lg_u32 s5, s6
	s_cbranch_scc1 .LBB74_442
.LBB74_443:
	s_set_inst_prefetch_distance 0x2
	s_waitcnt lgkmcnt(0)
	v_cmp_eq_f64_e32 vcc_lo, 0, v[152:153]
	v_cmp_eq_f64_e64 s2, 0, v[154:155]
	s_delay_alu instid0(VALU_DEP_1) | instskip(NEXT) | instid1(SALU_CYCLE_1)
	s_and_b32 s2, vcc_lo, s2
	s_and_saveexec_b32 s3, s2
	s_delay_alu instid0(SALU_CYCLE_1)
	s_xor_b32 s2, exec_lo, s3
; %bb.444:
	v_cmp_ne_u32_e32 vcc_lo, 0, v165
	v_cndmask_b32_e32 v165, 22, v165, vcc_lo
; %bb.445:
	s_and_not1_saveexec_b32 s3, s2
	s_cbranch_execz .LBB74_451
; %bb.446:
	v_cmp_gt_f64_e32 vcc_lo, 0, v[152:153]
	v_cmp_gt_f64_e64 s2, 0, v[154:155]
	v_xor_b32_e32 v161, 0x80000000, v153
	v_xor_b32_e32 v169, 0x80000000, v155
	s_delay_alu instid0(VALU_DEP_2) | instskip(NEXT) | instid1(VALU_DEP_2)
	v_cndmask_b32_e32 v170, v153, v161, vcc_lo
	v_cndmask_b32_e64 v172, v155, v169, s2
	v_cndmask_b32_e32 v169, v152, v152, vcc_lo
	v_cndmask_b32_e64 v171, v154, v154, s2
	s_mov_b32 s2, exec_lo
	s_delay_alu instid0(VALU_DEP_1)
	v_cmpx_ngt_f64_e32 v[169:170], v[171:172]
	s_xor_b32 s2, exec_lo, s2
	s_cbranch_execz .LBB74_448
; %bb.447:
	v_div_scale_f64 v[169:170], null, v[154:155], v[154:155], v[152:153]
	v_div_scale_f64 v[175:176], vcc_lo, v[152:153], v[154:155], v[152:153]
	s_delay_alu instid0(VALU_DEP_2) | instskip(SKIP_2) | instid1(VALU_DEP_1)
	v_rcp_f64_e32 v[171:172], v[169:170]
	s_waitcnt_depctr 0xfff
	v_fma_f64 v[173:174], -v[169:170], v[171:172], 1.0
	v_fma_f64 v[171:172], v[171:172], v[173:174], v[171:172]
	s_delay_alu instid0(VALU_DEP_1) | instskip(NEXT) | instid1(VALU_DEP_1)
	v_fma_f64 v[173:174], -v[169:170], v[171:172], 1.0
	v_fma_f64 v[171:172], v[171:172], v[173:174], v[171:172]
	s_delay_alu instid0(VALU_DEP_1) | instskip(NEXT) | instid1(VALU_DEP_1)
	v_mul_f64 v[173:174], v[175:176], v[171:172]
	v_fma_f64 v[169:170], -v[169:170], v[173:174], v[175:176]
	s_delay_alu instid0(VALU_DEP_1) | instskip(NEXT) | instid1(VALU_DEP_1)
	v_div_fmas_f64 v[169:170], v[169:170], v[171:172], v[173:174]
	v_div_fixup_f64 v[169:170], v[169:170], v[154:155], v[152:153]
	s_delay_alu instid0(VALU_DEP_1) | instskip(NEXT) | instid1(VALU_DEP_1)
	v_fma_f64 v[152:153], v[152:153], v[169:170], v[154:155]
	v_div_scale_f64 v[154:155], null, v[152:153], v[152:153], 1.0
	s_delay_alu instid0(VALU_DEP_1) | instskip(SKIP_2) | instid1(VALU_DEP_1)
	v_rcp_f64_e32 v[171:172], v[154:155]
	s_waitcnt_depctr 0xfff
	v_fma_f64 v[173:174], -v[154:155], v[171:172], 1.0
	v_fma_f64 v[171:172], v[171:172], v[173:174], v[171:172]
	s_delay_alu instid0(VALU_DEP_1) | instskip(NEXT) | instid1(VALU_DEP_1)
	v_fma_f64 v[173:174], -v[154:155], v[171:172], 1.0
	v_fma_f64 v[171:172], v[171:172], v[173:174], v[171:172]
	v_div_scale_f64 v[173:174], vcc_lo, 1.0, v[152:153], 1.0
	s_delay_alu instid0(VALU_DEP_1) | instskip(NEXT) | instid1(VALU_DEP_1)
	v_mul_f64 v[175:176], v[173:174], v[171:172]
	v_fma_f64 v[154:155], -v[154:155], v[175:176], v[173:174]
	s_delay_alu instid0(VALU_DEP_1) | instskip(NEXT) | instid1(VALU_DEP_1)
	v_div_fmas_f64 v[154:155], v[154:155], v[171:172], v[175:176]
	v_div_fixup_f64 v[154:155], v[154:155], v[152:153], 1.0
	s_delay_alu instid0(VALU_DEP_1)
	v_mul_f64 v[152:153], v[169:170], v[154:155]
	v_xor_b32_e32 v155, 0x80000000, v155
.LBB74_448:
	s_and_not1_saveexec_b32 s2, s2
	s_cbranch_execz .LBB74_450
; %bb.449:
	s_delay_alu instid0(VALU_DEP_1) | instskip(SKIP_1) | instid1(VALU_DEP_2)
	v_div_scale_f64 v[169:170], null, v[152:153], v[152:153], v[154:155]
	v_div_scale_f64 v[175:176], vcc_lo, v[154:155], v[152:153], v[154:155]
	v_rcp_f64_e32 v[171:172], v[169:170]
	s_waitcnt_depctr 0xfff
	v_fma_f64 v[173:174], -v[169:170], v[171:172], 1.0
	s_delay_alu instid0(VALU_DEP_1) | instskip(NEXT) | instid1(VALU_DEP_1)
	v_fma_f64 v[171:172], v[171:172], v[173:174], v[171:172]
	v_fma_f64 v[173:174], -v[169:170], v[171:172], 1.0
	s_delay_alu instid0(VALU_DEP_1) | instskip(NEXT) | instid1(VALU_DEP_1)
	v_fma_f64 v[171:172], v[171:172], v[173:174], v[171:172]
	v_mul_f64 v[173:174], v[175:176], v[171:172]
	s_delay_alu instid0(VALU_DEP_1) | instskip(NEXT) | instid1(VALU_DEP_1)
	v_fma_f64 v[169:170], -v[169:170], v[173:174], v[175:176]
	v_div_fmas_f64 v[169:170], v[169:170], v[171:172], v[173:174]
	s_delay_alu instid0(VALU_DEP_1) | instskip(NEXT) | instid1(VALU_DEP_1)
	v_div_fixup_f64 v[169:170], v[169:170], v[152:153], v[154:155]
	v_fma_f64 v[152:153], v[154:155], v[169:170], v[152:153]
	s_delay_alu instid0(VALU_DEP_1) | instskip(NEXT) | instid1(VALU_DEP_1)
	v_div_scale_f64 v[154:155], null, v[152:153], v[152:153], 1.0
	v_rcp_f64_e32 v[171:172], v[154:155]
	s_waitcnt_depctr 0xfff
	v_fma_f64 v[173:174], -v[154:155], v[171:172], 1.0
	s_delay_alu instid0(VALU_DEP_1) | instskip(NEXT) | instid1(VALU_DEP_1)
	v_fma_f64 v[171:172], v[171:172], v[173:174], v[171:172]
	v_fma_f64 v[173:174], -v[154:155], v[171:172], 1.0
	s_delay_alu instid0(VALU_DEP_1) | instskip(SKIP_1) | instid1(VALU_DEP_1)
	v_fma_f64 v[171:172], v[171:172], v[173:174], v[171:172]
	v_div_scale_f64 v[173:174], vcc_lo, 1.0, v[152:153], 1.0
	v_mul_f64 v[175:176], v[173:174], v[171:172]
	s_delay_alu instid0(VALU_DEP_1) | instskip(NEXT) | instid1(VALU_DEP_1)
	v_fma_f64 v[154:155], -v[154:155], v[175:176], v[173:174]
	v_div_fmas_f64 v[154:155], v[154:155], v[171:172], v[175:176]
	s_delay_alu instid0(VALU_DEP_1) | instskip(NEXT) | instid1(VALU_DEP_1)
	v_div_fixup_f64 v[152:153], v[154:155], v[152:153], 1.0
	v_mul_f64 v[154:155], v[169:170], -v[152:153]
.LBB74_450:
	s_or_b32 exec_lo, exec_lo, s2
.LBB74_451:
	s_delay_alu instid0(SALU_CYCLE_1) | instskip(NEXT) | instid1(SALU_CYCLE_1)
	s_or_b32 exec_lo, exec_lo, s3
	s_mov_b32 s2, exec_lo
	v_cmpx_ne_u32_e64 v168, v160
	s_xor_b32 s2, exec_lo, s2
	s_cbranch_execz .LBB74_457
; %bb.452:
	s_mov_b32 s3, exec_lo
	v_cmpx_eq_u32_e32 21, v168
	s_cbranch_execz .LBB74_456
; %bb.453:
	v_cmp_ne_u32_e32 vcc_lo, 21, v160
	s_xor_b32 s6, s4, -1
	s_delay_alu instid0(SALU_CYCLE_1) | instskip(NEXT) | instid1(SALU_CYCLE_1)
	s_and_b32 s7, s6, vcc_lo
	s_and_saveexec_b32 s6, s7
	s_cbranch_execz .LBB74_455
; %bb.454:
	v_ashrrev_i32_e32 v161, 31, v160
	s_delay_alu instid0(VALU_DEP_1) | instskip(NEXT) | instid1(VALU_DEP_1)
	v_lshlrev_b64 v[167:168], 2, v[160:161]
	v_add_co_u32 v167, vcc_lo, v158, v167
	s_delay_alu instid0(VALU_DEP_2)
	v_add_co_ci_u32_e32 v168, vcc_lo, v159, v168, vcc_lo
	s_clause 0x1
	flat_load_b32 v161, v[167:168]
	flat_load_b32 v169, v[158:159] offset:84
	s_waitcnt vmcnt(1) lgkmcnt(1)
	flat_store_b32 v[158:159], v161 offset:84
	s_waitcnt vmcnt(0) lgkmcnt(1)
	flat_store_b32 v[167:168], v169
.LBB74_455:
	s_or_b32 exec_lo, exec_lo, s6
	v_mov_b32_e32 v168, v160
	v_mov_b32_e32 v167, v160
.LBB74_456:
	s_or_b32 exec_lo, exec_lo, s3
.LBB74_457:
	s_and_not1_saveexec_b32 s2, s2
	s_cbranch_execz .LBB74_459
; %bb.458:
	v_mov_b32_e32 v168, 21
	ds_store_2addr_b64 v162, v[68:69], v[70:71] offset0:44 offset1:45
	ds_store_2addr_b64 v162, v[64:65], v[66:67] offset0:46 offset1:47
	;; [unrolled: 1-line block ×16, first 2 shown]
.LBB74_459:
	s_or_b32 exec_lo, exec_lo, s2
	s_delay_alu instid0(SALU_CYCLE_1)
	s_mov_b32 s2, exec_lo
	s_waitcnt lgkmcnt(0)
	s_waitcnt_vscnt null, 0x0
	s_barrier
	buffer_gl0_inv
	v_cmpx_lt_i32_e32 21, v168
	s_cbranch_execz .LBB74_461
; %bb.460:
	v_mul_f64 v[160:161], v[152:153], v[74:75]
	v_mul_f64 v[74:75], v[154:155], v[74:75]
	s_delay_alu instid0(VALU_DEP_2) | instskip(NEXT) | instid1(VALU_DEP_2)
	v_fma_f64 v[160:161], v[154:155], v[72:73], v[160:161]
	v_fma_f64 v[72:73], v[152:153], v[72:73], -v[74:75]
	ds_load_2addr_b64 v[152:155], v162 offset0:44 offset1:45
	s_waitcnt lgkmcnt(0)
	v_mul_f64 v[74:75], v[154:155], v[160:161]
	s_delay_alu instid0(VALU_DEP_1) | instskip(SKIP_1) | instid1(VALU_DEP_2)
	v_fma_f64 v[74:75], v[152:153], v[72:73], -v[74:75]
	v_mul_f64 v[152:153], v[152:153], v[160:161]
	v_add_f64 v[68:69], v[68:69], -v[74:75]
	s_delay_alu instid0(VALU_DEP_2) | instskip(NEXT) | instid1(VALU_DEP_1)
	v_fma_f64 v[152:153], v[154:155], v[72:73], v[152:153]
	v_add_f64 v[70:71], v[70:71], -v[152:153]
	ds_load_2addr_b64 v[152:155], v162 offset0:46 offset1:47
	s_waitcnt lgkmcnt(0)
	v_mul_f64 v[74:75], v[154:155], v[160:161]
	s_delay_alu instid0(VALU_DEP_1) | instskip(SKIP_1) | instid1(VALU_DEP_2)
	v_fma_f64 v[74:75], v[152:153], v[72:73], -v[74:75]
	v_mul_f64 v[152:153], v[152:153], v[160:161]
	v_add_f64 v[64:65], v[64:65], -v[74:75]
	s_delay_alu instid0(VALU_DEP_2) | instskip(NEXT) | instid1(VALU_DEP_1)
	v_fma_f64 v[152:153], v[154:155], v[72:73], v[152:153]
	v_add_f64 v[66:67], v[66:67], -v[152:153]
	;; [unrolled: 10-line block ×15, first 2 shown]
	ds_load_2addr_b64 v[152:155], v162 offset0:74 offset1:75
	s_waitcnt lgkmcnt(0)
	v_mul_f64 v[74:75], v[154:155], v[160:161]
	s_delay_alu instid0(VALU_DEP_1) | instskip(SKIP_1) | instid1(VALU_DEP_2)
	v_fma_f64 v[74:75], v[152:153], v[72:73], -v[74:75]
	v_mul_f64 v[152:153], v[152:153], v[160:161]
	v_add_f64 v[0:1], v[0:1], -v[74:75]
	s_delay_alu instid0(VALU_DEP_2) | instskip(SKIP_1) | instid1(VALU_DEP_2)
	v_fma_f64 v[152:153], v[154:155], v[72:73], v[152:153]
	v_dual_mov_b32 v74, v160 :: v_dual_mov_b32 v75, v161
	v_add_f64 v[2:3], v[2:3], -v[152:153]
.LBB74_461:
	s_or_b32 exec_lo, exec_lo, s2
	v_lshl_add_u32 v152, v168, 4, v162
	s_barrier
	buffer_gl0_inv
	v_mov_b32_e32 v160, 22
	ds_store_2addr_b64 v152, v[68:69], v[70:71] offset1:1
	s_waitcnt lgkmcnt(0)
	s_barrier
	buffer_gl0_inv
	ds_load_2addr_b64 v[152:155], v162 offset0:44 offset1:45
	s_cmp_lt_i32 s5, 24
	s_cbranch_scc1 .LBB74_464
; %bb.462:
	v_add3_u32 v161, v166, 0, 0x170
	v_mov_b32_e32 v160, 22
	s_mov_b32 s6, 23
	s_set_inst_prefetch_distance 0x1
	.p2align	6
.LBB74_463:                             ; =>This Inner Loop Header: Depth=1
	ds_load_2addr_b64 v[169:172], v161 offset1:1
	s_waitcnt lgkmcnt(1)
	v_cmp_gt_f64_e32 vcc_lo, 0, v[152:153]
	v_xor_b32_e32 v173, 0x80000000, v153
	v_cmp_gt_f64_e64 s2, 0, v[154:155]
	v_xor_b32_e32 v175, 0x80000000, v155
	v_add_nc_u32_e32 v161, 16, v161
	s_waitcnt lgkmcnt(0)
	v_cmp_gt_f64_e64 s3, 0, v[169:170]
	v_mov_b32_e32 v177, v169
	v_dual_mov_b32 v179, v171 :: v_dual_cndmask_b32 v174, v153, v173
	v_xor_b32_e32 v173, 0x80000000, v170
	v_cndmask_b32_e64 v176, v155, v175, s2
	v_xor_b32_e32 v175, 0x80000000, v172
	s_delay_alu instid0(VALU_DEP_3) | instskip(SKIP_2) | instid1(VALU_DEP_2)
	v_cndmask_b32_e64 v178, v170, v173, s3
	v_cmp_gt_f64_e64 s3, 0, v[171:172]
	v_cndmask_b32_e32 v173, v152, v152, vcc_lo
	v_cndmask_b32_e64 v180, v172, v175, s3
	v_cndmask_b32_e64 v175, v154, v154, s2
	s_delay_alu instid0(VALU_DEP_2) | instskip(NEXT) | instid1(VALU_DEP_2)
	v_add_f64 v[177:178], v[177:178], v[179:180]
	v_add_f64 v[173:174], v[173:174], v[175:176]
	s_delay_alu instid0(VALU_DEP_1) | instskip(SKIP_4) | instid1(SALU_CYCLE_1)
	v_cmp_lt_f64_e32 vcc_lo, v[173:174], v[177:178]
	v_dual_cndmask_b32 v154, v154, v171 :: v_dual_cndmask_b32 v153, v153, v170
	v_dual_cndmask_b32 v152, v152, v169 :: v_dual_cndmask_b32 v155, v155, v172
	v_cndmask_b32_e64 v160, v160, s6, vcc_lo
	s_add_i32 s6, s6, 1
	s_cmp_lg_u32 s5, s6
	s_cbranch_scc1 .LBB74_463
.LBB74_464:
	s_set_inst_prefetch_distance 0x2
	s_waitcnt lgkmcnt(0)
	v_cmp_eq_f64_e32 vcc_lo, 0, v[152:153]
	v_cmp_eq_f64_e64 s2, 0, v[154:155]
	s_delay_alu instid0(VALU_DEP_1) | instskip(NEXT) | instid1(SALU_CYCLE_1)
	s_and_b32 s2, vcc_lo, s2
	s_and_saveexec_b32 s3, s2
	s_delay_alu instid0(SALU_CYCLE_1)
	s_xor_b32 s2, exec_lo, s3
; %bb.465:
	v_cmp_ne_u32_e32 vcc_lo, 0, v165
	v_cndmask_b32_e32 v165, 23, v165, vcc_lo
; %bb.466:
	s_and_not1_saveexec_b32 s3, s2
	s_cbranch_execz .LBB74_472
; %bb.467:
	v_cmp_gt_f64_e32 vcc_lo, 0, v[152:153]
	v_cmp_gt_f64_e64 s2, 0, v[154:155]
	v_xor_b32_e32 v161, 0x80000000, v153
	v_xor_b32_e32 v169, 0x80000000, v155
	s_delay_alu instid0(VALU_DEP_2) | instskip(NEXT) | instid1(VALU_DEP_2)
	v_cndmask_b32_e32 v170, v153, v161, vcc_lo
	v_cndmask_b32_e64 v172, v155, v169, s2
	v_cndmask_b32_e32 v169, v152, v152, vcc_lo
	v_cndmask_b32_e64 v171, v154, v154, s2
	s_mov_b32 s2, exec_lo
	s_delay_alu instid0(VALU_DEP_1)
	v_cmpx_ngt_f64_e32 v[169:170], v[171:172]
	s_xor_b32 s2, exec_lo, s2
	s_cbranch_execz .LBB74_469
; %bb.468:
	v_div_scale_f64 v[169:170], null, v[154:155], v[154:155], v[152:153]
	v_div_scale_f64 v[175:176], vcc_lo, v[152:153], v[154:155], v[152:153]
	s_delay_alu instid0(VALU_DEP_2) | instskip(SKIP_2) | instid1(VALU_DEP_1)
	v_rcp_f64_e32 v[171:172], v[169:170]
	s_waitcnt_depctr 0xfff
	v_fma_f64 v[173:174], -v[169:170], v[171:172], 1.0
	v_fma_f64 v[171:172], v[171:172], v[173:174], v[171:172]
	s_delay_alu instid0(VALU_DEP_1) | instskip(NEXT) | instid1(VALU_DEP_1)
	v_fma_f64 v[173:174], -v[169:170], v[171:172], 1.0
	v_fma_f64 v[171:172], v[171:172], v[173:174], v[171:172]
	s_delay_alu instid0(VALU_DEP_1) | instskip(NEXT) | instid1(VALU_DEP_1)
	v_mul_f64 v[173:174], v[175:176], v[171:172]
	v_fma_f64 v[169:170], -v[169:170], v[173:174], v[175:176]
	s_delay_alu instid0(VALU_DEP_1) | instskip(NEXT) | instid1(VALU_DEP_1)
	v_div_fmas_f64 v[169:170], v[169:170], v[171:172], v[173:174]
	v_div_fixup_f64 v[169:170], v[169:170], v[154:155], v[152:153]
	s_delay_alu instid0(VALU_DEP_1) | instskip(NEXT) | instid1(VALU_DEP_1)
	v_fma_f64 v[152:153], v[152:153], v[169:170], v[154:155]
	v_div_scale_f64 v[154:155], null, v[152:153], v[152:153], 1.0
	s_delay_alu instid0(VALU_DEP_1) | instskip(SKIP_2) | instid1(VALU_DEP_1)
	v_rcp_f64_e32 v[171:172], v[154:155]
	s_waitcnt_depctr 0xfff
	v_fma_f64 v[173:174], -v[154:155], v[171:172], 1.0
	v_fma_f64 v[171:172], v[171:172], v[173:174], v[171:172]
	s_delay_alu instid0(VALU_DEP_1) | instskip(NEXT) | instid1(VALU_DEP_1)
	v_fma_f64 v[173:174], -v[154:155], v[171:172], 1.0
	v_fma_f64 v[171:172], v[171:172], v[173:174], v[171:172]
	v_div_scale_f64 v[173:174], vcc_lo, 1.0, v[152:153], 1.0
	s_delay_alu instid0(VALU_DEP_1) | instskip(NEXT) | instid1(VALU_DEP_1)
	v_mul_f64 v[175:176], v[173:174], v[171:172]
	v_fma_f64 v[154:155], -v[154:155], v[175:176], v[173:174]
	s_delay_alu instid0(VALU_DEP_1) | instskip(NEXT) | instid1(VALU_DEP_1)
	v_div_fmas_f64 v[154:155], v[154:155], v[171:172], v[175:176]
	v_div_fixup_f64 v[154:155], v[154:155], v[152:153], 1.0
	s_delay_alu instid0(VALU_DEP_1)
	v_mul_f64 v[152:153], v[169:170], v[154:155]
	v_xor_b32_e32 v155, 0x80000000, v155
.LBB74_469:
	s_and_not1_saveexec_b32 s2, s2
	s_cbranch_execz .LBB74_471
; %bb.470:
	s_delay_alu instid0(VALU_DEP_1) | instskip(SKIP_1) | instid1(VALU_DEP_2)
	v_div_scale_f64 v[169:170], null, v[152:153], v[152:153], v[154:155]
	v_div_scale_f64 v[175:176], vcc_lo, v[154:155], v[152:153], v[154:155]
	v_rcp_f64_e32 v[171:172], v[169:170]
	s_waitcnt_depctr 0xfff
	v_fma_f64 v[173:174], -v[169:170], v[171:172], 1.0
	s_delay_alu instid0(VALU_DEP_1) | instskip(NEXT) | instid1(VALU_DEP_1)
	v_fma_f64 v[171:172], v[171:172], v[173:174], v[171:172]
	v_fma_f64 v[173:174], -v[169:170], v[171:172], 1.0
	s_delay_alu instid0(VALU_DEP_1) | instskip(NEXT) | instid1(VALU_DEP_1)
	v_fma_f64 v[171:172], v[171:172], v[173:174], v[171:172]
	v_mul_f64 v[173:174], v[175:176], v[171:172]
	s_delay_alu instid0(VALU_DEP_1) | instskip(NEXT) | instid1(VALU_DEP_1)
	v_fma_f64 v[169:170], -v[169:170], v[173:174], v[175:176]
	v_div_fmas_f64 v[169:170], v[169:170], v[171:172], v[173:174]
	s_delay_alu instid0(VALU_DEP_1) | instskip(NEXT) | instid1(VALU_DEP_1)
	v_div_fixup_f64 v[169:170], v[169:170], v[152:153], v[154:155]
	v_fma_f64 v[152:153], v[154:155], v[169:170], v[152:153]
	s_delay_alu instid0(VALU_DEP_1) | instskip(NEXT) | instid1(VALU_DEP_1)
	v_div_scale_f64 v[154:155], null, v[152:153], v[152:153], 1.0
	v_rcp_f64_e32 v[171:172], v[154:155]
	s_waitcnt_depctr 0xfff
	v_fma_f64 v[173:174], -v[154:155], v[171:172], 1.0
	s_delay_alu instid0(VALU_DEP_1) | instskip(NEXT) | instid1(VALU_DEP_1)
	v_fma_f64 v[171:172], v[171:172], v[173:174], v[171:172]
	v_fma_f64 v[173:174], -v[154:155], v[171:172], 1.0
	s_delay_alu instid0(VALU_DEP_1) | instskip(SKIP_1) | instid1(VALU_DEP_1)
	v_fma_f64 v[171:172], v[171:172], v[173:174], v[171:172]
	v_div_scale_f64 v[173:174], vcc_lo, 1.0, v[152:153], 1.0
	v_mul_f64 v[175:176], v[173:174], v[171:172]
	s_delay_alu instid0(VALU_DEP_1) | instskip(NEXT) | instid1(VALU_DEP_1)
	v_fma_f64 v[154:155], -v[154:155], v[175:176], v[173:174]
	v_div_fmas_f64 v[154:155], v[154:155], v[171:172], v[175:176]
	s_delay_alu instid0(VALU_DEP_1) | instskip(NEXT) | instid1(VALU_DEP_1)
	v_div_fixup_f64 v[152:153], v[154:155], v[152:153], 1.0
	v_mul_f64 v[154:155], v[169:170], -v[152:153]
.LBB74_471:
	s_or_b32 exec_lo, exec_lo, s2
.LBB74_472:
	s_delay_alu instid0(SALU_CYCLE_1) | instskip(NEXT) | instid1(SALU_CYCLE_1)
	s_or_b32 exec_lo, exec_lo, s3
	s_mov_b32 s2, exec_lo
	v_cmpx_ne_u32_e64 v168, v160
	s_xor_b32 s2, exec_lo, s2
	s_cbranch_execz .LBB74_478
; %bb.473:
	s_mov_b32 s3, exec_lo
	v_cmpx_eq_u32_e32 22, v168
	s_cbranch_execz .LBB74_477
; %bb.474:
	v_cmp_ne_u32_e32 vcc_lo, 22, v160
	s_xor_b32 s6, s4, -1
	s_delay_alu instid0(SALU_CYCLE_1) | instskip(NEXT) | instid1(SALU_CYCLE_1)
	s_and_b32 s7, s6, vcc_lo
	s_and_saveexec_b32 s6, s7
	s_cbranch_execz .LBB74_476
; %bb.475:
	v_ashrrev_i32_e32 v161, 31, v160
	s_delay_alu instid0(VALU_DEP_1) | instskip(NEXT) | instid1(VALU_DEP_1)
	v_lshlrev_b64 v[167:168], 2, v[160:161]
	v_add_co_u32 v167, vcc_lo, v158, v167
	s_delay_alu instid0(VALU_DEP_2)
	v_add_co_ci_u32_e32 v168, vcc_lo, v159, v168, vcc_lo
	s_clause 0x1
	flat_load_b32 v161, v[167:168]
	flat_load_b32 v169, v[158:159] offset:88
	s_waitcnt vmcnt(1) lgkmcnt(1)
	flat_store_b32 v[158:159], v161 offset:88
	s_waitcnt vmcnt(0) lgkmcnt(1)
	flat_store_b32 v[167:168], v169
.LBB74_476:
	s_or_b32 exec_lo, exec_lo, s6
	v_mov_b32_e32 v168, v160
	v_mov_b32_e32 v167, v160
.LBB74_477:
	s_or_b32 exec_lo, exec_lo, s3
.LBB74_478:
	s_and_not1_saveexec_b32 s2, s2
	s_cbranch_execz .LBB74_480
; %bb.479:
	v_mov_b32_e32 v168, 22
	ds_store_2addr_b64 v162, v[64:65], v[66:67] offset0:46 offset1:47
	ds_store_2addr_b64 v162, v[60:61], v[62:63] offset0:48 offset1:49
	;; [unrolled: 1-line block ×15, first 2 shown]
.LBB74_480:
	s_or_b32 exec_lo, exec_lo, s2
	s_delay_alu instid0(SALU_CYCLE_1)
	s_mov_b32 s2, exec_lo
	s_waitcnt lgkmcnt(0)
	s_waitcnt_vscnt null, 0x0
	s_barrier
	buffer_gl0_inv
	v_cmpx_lt_i32_e32 22, v168
	s_cbranch_execz .LBB74_482
; %bb.481:
	v_mul_f64 v[160:161], v[152:153], v[70:71]
	v_mul_f64 v[70:71], v[154:155], v[70:71]
	s_delay_alu instid0(VALU_DEP_2) | instskip(NEXT) | instid1(VALU_DEP_2)
	v_fma_f64 v[160:161], v[154:155], v[68:69], v[160:161]
	v_fma_f64 v[68:69], v[152:153], v[68:69], -v[70:71]
	ds_load_2addr_b64 v[152:155], v162 offset0:46 offset1:47
	s_waitcnt lgkmcnt(0)
	v_mul_f64 v[70:71], v[154:155], v[160:161]
	s_delay_alu instid0(VALU_DEP_1) | instskip(SKIP_1) | instid1(VALU_DEP_2)
	v_fma_f64 v[70:71], v[152:153], v[68:69], -v[70:71]
	v_mul_f64 v[152:153], v[152:153], v[160:161]
	v_add_f64 v[64:65], v[64:65], -v[70:71]
	s_delay_alu instid0(VALU_DEP_2) | instskip(NEXT) | instid1(VALU_DEP_1)
	v_fma_f64 v[152:153], v[154:155], v[68:69], v[152:153]
	v_add_f64 v[66:67], v[66:67], -v[152:153]
	ds_load_2addr_b64 v[152:155], v162 offset0:48 offset1:49
	s_waitcnt lgkmcnt(0)
	v_mul_f64 v[70:71], v[154:155], v[160:161]
	s_delay_alu instid0(VALU_DEP_1) | instskip(SKIP_1) | instid1(VALU_DEP_2)
	v_fma_f64 v[70:71], v[152:153], v[68:69], -v[70:71]
	v_mul_f64 v[152:153], v[152:153], v[160:161]
	v_add_f64 v[60:61], v[60:61], -v[70:71]
	s_delay_alu instid0(VALU_DEP_2) | instskip(NEXT) | instid1(VALU_DEP_1)
	v_fma_f64 v[152:153], v[154:155], v[68:69], v[152:153]
	v_add_f64 v[62:63], v[62:63], -v[152:153]
	;; [unrolled: 10-line block ×14, first 2 shown]
	ds_load_2addr_b64 v[152:155], v162 offset0:74 offset1:75
	s_waitcnt lgkmcnt(0)
	v_mul_f64 v[70:71], v[154:155], v[160:161]
	s_delay_alu instid0(VALU_DEP_1) | instskip(SKIP_1) | instid1(VALU_DEP_2)
	v_fma_f64 v[70:71], v[152:153], v[68:69], -v[70:71]
	v_mul_f64 v[152:153], v[152:153], v[160:161]
	v_add_f64 v[0:1], v[0:1], -v[70:71]
	s_delay_alu instid0(VALU_DEP_2) | instskip(SKIP_1) | instid1(VALU_DEP_2)
	v_fma_f64 v[152:153], v[154:155], v[68:69], v[152:153]
	v_dual_mov_b32 v70, v160 :: v_dual_mov_b32 v71, v161
	v_add_f64 v[2:3], v[2:3], -v[152:153]
.LBB74_482:
	s_or_b32 exec_lo, exec_lo, s2
	v_lshl_add_u32 v152, v168, 4, v162
	s_barrier
	buffer_gl0_inv
	v_mov_b32_e32 v160, 23
	ds_store_2addr_b64 v152, v[64:65], v[66:67] offset1:1
	s_waitcnt lgkmcnt(0)
	s_barrier
	buffer_gl0_inv
	ds_load_2addr_b64 v[152:155], v162 offset0:46 offset1:47
	s_cmp_lt_i32 s5, 25
	s_cbranch_scc1 .LBB74_485
; %bb.483:
	v_add3_u32 v161, v166, 0, 0x180
	v_mov_b32_e32 v160, 23
	s_mov_b32 s6, 24
	s_set_inst_prefetch_distance 0x1
	.p2align	6
.LBB74_484:                             ; =>This Inner Loop Header: Depth=1
	ds_load_2addr_b64 v[169:172], v161 offset1:1
	s_waitcnt lgkmcnt(1)
	v_cmp_gt_f64_e32 vcc_lo, 0, v[152:153]
	v_xor_b32_e32 v173, 0x80000000, v153
	v_cmp_gt_f64_e64 s2, 0, v[154:155]
	v_xor_b32_e32 v175, 0x80000000, v155
	v_add_nc_u32_e32 v161, 16, v161
	s_waitcnt lgkmcnt(0)
	v_cmp_gt_f64_e64 s3, 0, v[169:170]
	v_mov_b32_e32 v177, v169
	v_dual_mov_b32 v179, v171 :: v_dual_cndmask_b32 v174, v153, v173
	v_xor_b32_e32 v173, 0x80000000, v170
	v_cndmask_b32_e64 v176, v155, v175, s2
	v_xor_b32_e32 v175, 0x80000000, v172
	s_delay_alu instid0(VALU_DEP_3) | instskip(SKIP_2) | instid1(VALU_DEP_2)
	v_cndmask_b32_e64 v178, v170, v173, s3
	v_cmp_gt_f64_e64 s3, 0, v[171:172]
	v_cndmask_b32_e32 v173, v152, v152, vcc_lo
	v_cndmask_b32_e64 v180, v172, v175, s3
	v_cndmask_b32_e64 v175, v154, v154, s2
	s_delay_alu instid0(VALU_DEP_2) | instskip(NEXT) | instid1(VALU_DEP_2)
	v_add_f64 v[177:178], v[177:178], v[179:180]
	v_add_f64 v[173:174], v[173:174], v[175:176]
	s_delay_alu instid0(VALU_DEP_1) | instskip(SKIP_4) | instid1(SALU_CYCLE_1)
	v_cmp_lt_f64_e32 vcc_lo, v[173:174], v[177:178]
	v_dual_cndmask_b32 v154, v154, v171 :: v_dual_cndmask_b32 v153, v153, v170
	v_dual_cndmask_b32 v152, v152, v169 :: v_dual_cndmask_b32 v155, v155, v172
	v_cndmask_b32_e64 v160, v160, s6, vcc_lo
	s_add_i32 s6, s6, 1
	s_cmp_lg_u32 s5, s6
	s_cbranch_scc1 .LBB74_484
.LBB74_485:
	s_set_inst_prefetch_distance 0x2
	s_waitcnt lgkmcnt(0)
	v_cmp_eq_f64_e32 vcc_lo, 0, v[152:153]
	v_cmp_eq_f64_e64 s2, 0, v[154:155]
	s_delay_alu instid0(VALU_DEP_1) | instskip(NEXT) | instid1(SALU_CYCLE_1)
	s_and_b32 s2, vcc_lo, s2
	s_and_saveexec_b32 s3, s2
	s_delay_alu instid0(SALU_CYCLE_1)
	s_xor_b32 s2, exec_lo, s3
; %bb.486:
	v_cmp_ne_u32_e32 vcc_lo, 0, v165
	v_cndmask_b32_e32 v165, 24, v165, vcc_lo
; %bb.487:
	s_and_not1_saveexec_b32 s3, s2
	s_cbranch_execz .LBB74_493
; %bb.488:
	v_cmp_gt_f64_e32 vcc_lo, 0, v[152:153]
	v_cmp_gt_f64_e64 s2, 0, v[154:155]
	v_xor_b32_e32 v161, 0x80000000, v153
	v_xor_b32_e32 v169, 0x80000000, v155
	s_delay_alu instid0(VALU_DEP_2) | instskip(NEXT) | instid1(VALU_DEP_2)
	v_cndmask_b32_e32 v170, v153, v161, vcc_lo
	v_cndmask_b32_e64 v172, v155, v169, s2
	v_cndmask_b32_e32 v169, v152, v152, vcc_lo
	v_cndmask_b32_e64 v171, v154, v154, s2
	s_mov_b32 s2, exec_lo
	s_delay_alu instid0(VALU_DEP_1)
	v_cmpx_ngt_f64_e32 v[169:170], v[171:172]
	s_xor_b32 s2, exec_lo, s2
	s_cbranch_execz .LBB74_490
; %bb.489:
	v_div_scale_f64 v[169:170], null, v[154:155], v[154:155], v[152:153]
	v_div_scale_f64 v[175:176], vcc_lo, v[152:153], v[154:155], v[152:153]
	s_delay_alu instid0(VALU_DEP_2) | instskip(SKIP_2) | instid1(VALU_DEP_1)
	v_rcp_f64_e32 v[171:172], v[169:170]
	s_waitcnt_depctr 0xfff
	v_fma_f64 v[173:174], -v[169:170], v[171:172], 1.0
	v_fma_f64 v[171:172], v[171:172], v[173:174], v[171:172]
	s_delay_alu instid0(VALU_DEP_1) | instskip(NEXT) | instid1(VALU_DEP_1)
	v_fma_f64 v[173:174], -v[169:170], v[171:172], 1.0
	v_fma_f64 v[171:172], v[171:172], v[173:174], v[171:172]
	s_delay_alu instid0(VALU_DEP_1) | instskip(NEXT) | instid1(VALU_DEP_1)
	v_mul_f64 v[173:174], v[175:176], v[171:172]
	v_fma_f64 v[169:170], -v[169:170], v[173:174], v[175:176]
	s_delay_alu instid0(VALU_DEP_1) | instskip(NEXT) | instid1(VALU_DEP_1)
	v_div_fmas_f64 v[169:170], v[169:170], v[171:172], v[173:174]
	v_div_fixup_f64 v[169:170], v[169:170], v[154:155], v[152:153]
	s_delay_alu instid0(VALU_DEP_1) | instskip(NEXT) | instid1(VALU_DEP_1)
	v_fma_f64 v[152:153], v[152:153], v[169:170], v[154:155]
	v_div_scale_f64 v[154:155], null, v[152:153], v[152:153], 1.0
	s_delay_alu instid0(VALU_DEP_1) | instskip(SKIP_2) | instid1(VALU_DEP_1)
	v_rcp_f64_e32 v[171:172], v[154:155]
	s_waitcnt_depctr 0xfff
	v_fma_f64 v[173:174], -v[154:155], v[171:172], 1.0
	v_fma_f64 v[171:172], v[171:172], v[173:174], v[171:172]
	s_delay_alu instid0(VALU_DEP_1) | instskip(NEXT) | instid1(VALU_DEP_1)
	v_fma_f64 v[173:174], -v[154:155], v[171:172], 1.0
	v_fma_f64 v[171:172], v[171:172], v[173:174], v[171:172]
	v_div_scale_f64 v[173:174], vcc_lo, 1.0, v[152:153], 1.0
	s_delay_alu instid0(VALU_DEP_1) | instskip(NEXT) | instid1(VALU_DEP_1)
	v_mul_f64 v[175:176], v[173:174], v[171:172]
	v_fma_f64 v[154:155], -v[154:155], v[175:176], v[173:174]
	s_delay_alu instid0(VALU_DEP_1) | instskip(NEXT) | instid1(VALU_DEP_1)
	v_div_fmas_f64 v[154:155], v[154:155], v[171:172], v[175:176]
	v_div_fixup_f64 v[154:155], v[154:155], v[152:153], 1.0
	s_delay_alu instid0(VALU_DEP_1)
	v_mul_f64 v[152:153], v[169:170], v[154:155]
	v_xor_b32_e32 v155, 0x80000000, v155
.LBB74_490:
	s_and_not1_saveexec_b32 s2, s2
	s_cbranch_execz .LBB74_492
; %bb.491:
	s_delay_alu instid0(VALU_DEP_1) | instskip(SKIP_1) | instid1(VALU_DEP_2)
	v_div_scale_f64 v[169:170], null, v[152:153], v[152:153], v[154:155]
	v_div_scale_f64 v[175:176], vcc_lo, v[154:155], v[152:153], v[154:155]
	v_rcp_f64_e32 v[171:172], v[169:170]
	s_waitcnt_depctr 0xfff
	v_fma_f64 v[173:174], -v[169:170], v[171:172], 1.0
	s_delay_alu instid0(VALU_DEP_1) | instskip(NEXT) | instid1(VALU_DEP_1)
	v_fma_f64 v[171:172], v[171:172], v[173:174], v[171:172]
	v_fma_f64 v[173:174], -v[169:170], v[171:172], 1.0
	s_delay_alu instid0(VALU_DEP_1) | instskip(NEXT) | instid1(VALU_DEP_1)
	v_fma_f64 v[171:172], v[171:172], v[173:174], v[171:172]
	v_mul_f64 v[173:174], v[175:176], v[171:172]
	s_delay_alu instid0(VALU_DEP_1) | instskip(NEXT) | instid1(VALU_DEP_1)
	v_fma_f64 v[169:170], -v[169:170], v[173:174], v[175:176]
	v_div_fmas_f64 v[169:170], v[169:170], v[171:172], v[173:174]
	s_delay_alu instid0(VALU_DEP_1) | instskip(NEXT) | instid1(VALU_DEP_1)
	v_div_fixup_f64 v[169:170], v[169:170], v[152:153], v[154:155]
	v_fma_f64 v[152:153], v[154:155], v[169:170], v[152:153]
	s_delay_alu instid0(VALU_DEP_1) | instskip(NEXT) | instid1(VALU_DEP_1)
	v_div_scale_f64 v[154:155], null, v[152:153], v[152:153], 1.0
	v_rcp_f64_e32 v[171:172], v[154:155]
	s_waitcnt_depctr 0xfff
	v_fma_f64 v[173:174], -v[154:155], v[171:172], 1.0
	s_delay_alu instid0(VALU_DEP_1) | instskip(NEXT) | instid1(VALU_DEP_1)
	v_fma_f64 v[171:172], v[171:172], v[173:174], v[171:172]
	v_fma_f64 v[173:174], -v[154:155], v[171:172], 1.0
	s_delay_alu instid0(VALU_DEP_1) | instskip(SKIP_1) | instid1(VALU_DEP_1)
	v_fma_f64 v[171:172], v[171:172], v[173:174], v[171:172]
	v_div_scale_f64 v[173:174], vcc_lo, 1.0, v[152:153], 1.0
	v_mul_f64 v[175:176], v[173:174], v[171:172]
	s_delay_alu instid0(VALU_DEP_1) | instskip(NEXT) | instid1(VALU_DEP_1)
	v_fma_f64 v[154:155], -v[154:155], v[175:176], v[173:174]
	v_div_fmas_f64 v[154:155], v[154:155], v[171:172], v[175:176]
	s_delay_alu instid0(VALU_DEP_1) | instskip(NEXT) | instid1(VALU_DEP_1)
	v_div_fixup_f64 v[152:153], v[154:155], v[152:153], 1.0
	v_mul_f64 v[154:155], v[169:170], -v[152:153]
.LBB74_492:
	s_or_b32 exec_lo, exec_lo, s2
.LBB74_493:
	s_delay_alu instid0(SALU_CYCLE_1) | instskip(NEXT) | instid1(SALU_CYCLE_1)
	s_or_b32 exec_lo, exec_lo, s3
	s_mov_b32 s2, exec_lo
	v_cmpx_ne_u32_e64 v168, v160
	s_xor_b32 s2, exec_lo, s2
	s_cbranch_execz .LBB74_499
; %bb.494:
	s_mov_b32 s3, exec_lo
	v_cmpx_eq_u32_e32 23, v168
	s_cbranch_execz .LBB74_498
; %bb.495:
	v_cmp_ne_u32_e32 vcc_lo, 23, v160
	s_xor_b32 s6, s4, -1
	s_delay_alu instid0(SALU_CYCLE_1) | instskip(NEXT) | instid1(SALU_CYCLE_1)
	s_and_b32 s7, s6, vcc_lo
	s_and_saveexec_b32 s6, s7
	s_cbranch_execz .LBB74_497
; %bb.496:
	v_ashrrev_i32_e32 v161, 31, v160
	s_delay_alu instid0(VALU_DEP_1) | instskip(NEXT) | instid1(VALU_DEP_1)
	v_lshlrev_b64 v[167:168], 2, v[160:161]
	v_add_co_u32 v167, vcc_lo, v158, v167
	s_delay_alu instid0(VALU_DEP_2)
	v_add_co_ci_u32_e32 v168, vcc_lo, v159, v168, vcc_lo
	s_clause 0x1
	flat_load_b32 v161, v[167:168]
	flat_load_b32 v169, v[158:159] offset:92
	s_waitcnt vmcnt(1) lgkmcnt(1)
	flat_store_b32 v[158:159], v161 offset:92
	s_waitcnt vmcnt(0) lgkmcnt(1)
	flat_store_b32 v[167:168], v169
.LBB74_497:
	s_or_b32 exec_lo, exec_lo, s6
	v_mov_b32_e32 v168, v160
	v_mov_b32_e32 v167, v160
.LBB74_498:
	s_or_b32 exec_lo, exec_lo, s3
.LBB74_499:
	s_and_not1_saveexec_b32 s2, s2
	s_cbranch_execz .LBB74_501
; %bb.500:
	v_mov_b32_e32 v168, 23
	ds_store_2addr_b64 v162, v[60:61], v[62:63] offset0:48 offset1:49
	ds_store_2addr_b64 v162, v[56:57], v[58:59] offset0:50 offset1:51
	;; [unrolled: 1-line block ×14, first 2 shown]
.LBB74_501:
	s_or_b32 exec_lo, exec_lo, s2
	s_delay_alu instid0(SALU_CYCLE_1)
	s_mov_b32 s2, exec_lo
	s_waitcnt lgkmcnt(0)
	s_waitcnt_vscnt null, 0x0
	s_barrier
	buffer_gl0_inv
	v_cmpx_lt_i32_e32 23, v168
	s_cbranch_execz .LBB74_503
; %bb.502:
	v_mul_f64 v[160:161], v[152:153], v[66:67]
	v_mul_f64 v[66:67], v[154:155], v[66:67]
	s_delay_alu instid0(VALU_DEP_2) | instskip(NEXT) | instid1(VALU_DEP_2)
	v_fma_f64 v[160:161], v[154:155], v[64:65], v[160:161]
	v_fma_f64 v[64:65], v[152:153], v[64:65], -v[66:67]
	ds_load_2addr_b64 v[152:155], v162 offset0:48 offset1:49
	s_waitcnt lgkmcnt(0)
	v_mul_f64 v[66:67], v[154:155], v[160:161]
	s_delay_alu instid0(VALU_DEP_1) | instskip(SKIP_1) | instid1(VALU_DEP_2)
	v_fma_f64 v[66:67], v[152:153], v[64:65], -v[66:67]
	v_mul_f64 v[152:153], v[152:153], v[160:161]
	v_add_f64 v[60:61], v[60:61], -v[66:67]
	s_delay_alu instid0(VALU_DEP_2) | instskip(NEXT) | instid1(VALU_DEP_1)
	v_fma_f64 v[152:153], v[154:155], v[64:65], v[152:153]
	v_add_f64 v[62:63], v[62:63], -v[152:153]
	ds_load_2addr_b64 v[152:155], v162 offset0:50 offset1:51
	s_waitcnt lgkmcnt(0)
	v_mul_f64 v[66:67], v[154:155], v[160:161]
	s_delay_alu instid0(VALU_DEP_1) | instskip(SKIP_1) | instid1(VALU_DEP_2)
	v_fma_f64 v[66:67], v[152:153], v[64:65], -v[66:67]
	v_mul_f64 v[152:153], v[152:153], v[160:161]
	v_add_f64 v[56:57], v[56:57], -v[66:67]
	s_delay_alu instid0(VALU_DEP_2) | instskip(NEXT) | instid1(VALU_DEP_1)
	v_fma_f64 v[152:153], v[154:155], v[64:65], v[152:153]
	v_add_f64 v[58:59], v[58:59], -v[152:153]
	ds_load_2addr_b64 v[152:155], v162 offset0:52 offset1:53
	s_waitcnt lgkmcnt(0)
	v_mul_f64 v[66:67], v[154:155], v[160:161]
	s_delay_alu instid0(VALU_DEP_1) | instskip(SKIP_1) | instid1(VALU_DEP_2)
	v_fma_f64 v[66:67], v[152:153], v[64:65], -v[66:67]
	v_mul_f64 v[152:153], v[152:153], v[160:161]
	v_add_f64 v[44:45], v[44:45], -v[66:67]
	s_delay_alu instid0(VALU_DEP_2) | instskip(NEXT) | instid1(VALU_DEP_1)
	v_fma_f64 v[152:153], v[154:155], v[64:65], v[152:153]
	v_add_f64 v[46:47], v[46:47], -v[152:153]
	ds_load_2addr_b64 v[152:155], v162 offset0:54 offset1:55
	s_waitcnt lgkmcnt(0)
	v_mul_f64 v[66:67], v[154:155], v[160:161]
	s_delay_alu instid0(VALU_DEP_1) | instskip(SKIP_1) | instid1(VALU_DEP_2)
	v_fma_f64 v[66:67], v[152:153], v[64:65], -v[66:67]
	v_mul_f64 v[152:153], v[152:153], v[160:161]
	v_add_f64 v[40:41], v[40:41], -v[66:67]
	s_delay_alu instid0(VALU_DEP_2) | instskip(NEXT) | instid1(VALU_DEP_1)
	v_fma_f64 v[152:153], v[154:155], v[64:65], v[152:153]
	v_add_f64 v[42:43], v[42:43], -v[152:153]
	ds_load_2addr_b64 v[152:155], v162 offset0:56 offset1:57
	s_waitcnt lgkmcnt(0)
	v_mul_f64 v[66:67], v[154:155], v[160:161]
	s_delay_alu instid0(VALU_DEP_1) | instskip(SKIP_1) | instid1(VALU_DEP_2)
	v_fma_f64 v[66:67], v[152:153], v[64:65], -v[66:67]
	v_mul_f64 v[152:153], v[152:153], v[160:161]
	v_add_f64 v[36:37], v[36:37], -v[66:67]
	s_delay_alu instid0(VALU_DEP_2) | instskip(NEXT) | instid1(VALU_DEP_1)
	v_fma_f64 v[152:153], v[154:155], v[64:65], v[152:153]
	v_add_f64 v[38:39], v[38:39], -v[152:153]
	ds_load_2addr_b64 v[152:155], v162 offset0:58 offset1:59
	s_waitcnt lgkmcnt(0)
	v_mul_f64 v[66:67], v[154:155], v[160:161]
	s_delay_alu instid0(VALU_DEP_1) | instskip(SKIP_1) | instid1(VALU_DEP_2)
	v_fma_f64 v[66:67], v[152:153], v[64:65], -v[66:67]
	v_mul_f64 v[152:153], v[152:153], v[160:161]
	v_add_f64 v[32:33], v[32:33], -v[66:67]
	s_delay_alu instid0(VALU_DEP_2) | instskip(NEXT) | instid1(VALU_DEP_1)
	v_fma_f64 v[152:153], v[154:155], v[64:65], v[152:153]
	v_add_f64 v[34:35], v[34:35], -v[152:153]
	ds_load_2addr_b64 v[152:155], v162 offset0:60 offset1:61
	s_waitcnt lgkmcnt(0)
	v_mul_f64 v[66:67], v[154:155], v[160:161]
	s_delay_alu instid0(VALU_DEP_1) | instskip(SKIP_1) | instid1(VALU_DEP_2)
	v_fma_f64 v[66:67], v[152:153], v[64:65], -v[66:67]
	v_mul_f64 v[152:153], v[152:153], v[160:161]
	v_add_f64 v[28:29], v[28:29], -v[66:67]
	s_delay_alu instid0(VALU_DEP_2) | instskip(NEXT) | instid1(VALU_DEP_1)
	v_fma_f64 v[152:153], v[154:155], v[64:65], v[152:153]
	v_add_f64 v[30:31], v[30:31], -v[152:153]
	ds_load_2addr_b64 v[152:155], v162 offset0:62 offset1:63
	s_waitcnt lgkmcnt(0)
	v_mul_f64 v[66:67], v[154:155], v[160:161]
	s_delay_alu instid0(VALU_DEP_1) | instskip(SKIP_1) | instid1(VALU_DEP_2)
	v_fma_f64 v[66:67], v[152:153], v[64:65], -v[66:67]
	v_mul_f64 v[152:153], v[152:153], v[160:161]
	v_add_f64 v[24:25], v[24:25], -v[66:67]
	s_delay_alu instid0(VALU_DEP_2) | instskip(NEXT) | instid1(VALU_DEP_1)
	v_fma_f64 v[152:153], v[154:155], v[64:65], v[152:153]
	v_add_f64 v[26:27], v[26:27], -v[152:153]
	ds_load_2addr_b64 v[152:155], v162 offset0:64 offset1:65
	s_waitcnt lgkmcnt(0)
	v_mul_f64 v[66:67], v[154:155], v[160:161]
	s_delay_alu instid0(VALU_DEP_1) | instskip(SKIP_1) | instid1(VALU_DEP_2)
	v_fma_f64 v[66:67], v[152:153], v[64:65], -v[66:67]
	v_mul_f64 v[152:153], v[152:153], v[160:161]
	v_add_f64 v[20:21], v[20:21], -v[66:67]
	s_delay_alu instid0(VALU_DEP_2) | instskip(NEXT) | instid1(VALU_DEP_1)
	v_fma_f64 v[152:153], v[154:155], v[64:65], v[152:153]
	v_add_f64 v[22:23], v[22:23], -v[152:153]
	ds_load_2addr_b64 v[152:155], v162 offset0:66 offset1:67
	s_waitcnt lgkmcnt(0)
	v_mul_f64 v[66:67], v[154:155], v[160:161]
	s_delay_alu instid0(VALU_DEP_1) | instskip(SKIP_1) | instid1(VALU_DEP_2)
	v_fma_f64 v[66:67], v[152:153], v[64:65], -v[66:67]
	v_mul_f64 v[152:153], v[152:153], v[160:161]
	v_add_f64 v[16:17], v[16:17], -v[66:67]
	s_delay_alu instid0(VALU_DEP_2) | instskip(NEXT) | instid1(VALU_DEP_1)
	v_fma_f64 v[152:153], v[154:155], v[64:65], v[152:153]
	v_add_f64 v[18:19], v[18:19], -v[152:153]
	ds_load_2addr_b64 v[152:155], v162 offset0:68 offset1:69
	s_waitcnt lgkmcnt(0)
	v_mul_f64 v[66:67], v[154:155], v[160:161]
	s_delay_alu instid0(VALU_DEP_1) | instskip(SKIP_1) | instid1(VALU_DEP_2)
	v_fma_f64 v[66:67], v[152:153], v[64:65], -v[66:67]
	v_mul_f64 v[152:153], v[152:153], v[160:161]
	v_add_f64 v[12:13], v[12:13], -v[66:67]
	s_delay_alu instid0(VALU_DEP_2) | instskip(NEXT) | instid1(VALU_DEP_1)
	v_fma_f64 v[152:153], v[154:155], v[64:65], v[152:153]
	v_add_f64 v[14:15], v[14:15], -v[152:153]
	ds_load_2addr_b64 v[152:155], v162 offset0:70 offset1:71
	s_waitcnt lgkmcnt(0)
	v_mul_f64 v[66:67], v[154:155], v[160:161]
	s_delay_alu instid0(VALU_DEP_1) | instskip(SKIP_1) | instid1(VALU_DEP_2)
	v_fma_f64 v[66:67], v[152:153], v[64:65], -v[66:67]
	v_mul_f64 v[152:153], v[152:153], v[160:161]
	v_add_f64 v[8:9], v[8:9], -v[66:67]
	s_delay_alu instid0(VALU_DEP_2) | instskip(NEXT) | instid1(VALU_DEP_1)
	v_fma_f64 v[152:153], v[154:155], v[64:65], v[152:153]
	v_add_f64 v[10:11], v[10:11], -v[152:153]
	ds_load_2addr_b64 v[152:155], v162 offset0:72 offset1:73
	s_waitcnt lgkmcnt(0)
	v_mul_f64 v[66:67], v[154:155], v[160:161]
	s_delay_alu instid0(VALU_DEP_1) | instskip(SKIP_1) | instid1(VALU_DEP_2)
	v_fma_f64 v[66:67], v[152:153], v[64:65], -v[66:67]
	v_mul_f64 v[152:153], v[152:153], v[160:161]
	v_add_f64 v[4:5], v[4:5], -v[66:67]
	s_delay_alu instid0(VALU_DEP_2) | instskip(NEXT) | instid1(VALU_DEP_1)
	v_fma_f64 v[152:153], v[154:155], v[64:65], v[152:153]
	v_add_f64 v[6:7], v[6:7], -v[152:153]
	ds_load_2addr_b64 v[152:155], v162 offset0:74 offset1:75
	s_waitcnt lgkmcnt(0)
	v_mul_f64 v[66:67], v[154:155], v[160:161]
	s_delay_alu instid0(VALU_DEP_1) | instskip(SKIP_1) | instid1(VALU_DEP_2)
	v_fma_f64 v[66:67], v[152:153], v[64:65], -v[66:67]
	v_mul_f64 v[152:153], v[152:153], v[160:161]
	v_add_f64 v[0:1], v[0:1], -v[66:67]
	s_delay_alu instid0(VALU_DEP_2) | instskip(SKIP_1) | instid1(VALU_DEP_2)
	v_fma_f64 v[152:153], v[154:155], v[64:65], v[152:153]
	v_dual_mov_b32 v66, v160 :: v_dual_mov_b32 v67, v161
	v_add_f64 v[2:3], v[2:3], -v[152:153]
.LBB74_503:
	s_or_b32 exec_lo, exec_lo, s2
	v_lshl_add_u32 v152, v168, 4, v162
	s_barrier
	buffer_gl0_inv
	v_mov_b32_e32 v160, 24
	ds_store_2addr_b64 v152, v[60:61], v[62:63] offset1:1
	s_waitcnt lgkmcnt(0)
	s_barrier
	buffer_gl0_inv
	ds_load_2addr_b64 v[152:155], v162 offset0:48 offset1:49
	s_cmp_lt_i32 s5, 26
	s_cbranch_scc1 .LBB74_506
; %bb.504:
	v_add3_u32 v161, v166, 0, 0x190
	v_mov_b32_e32 v160, 24
	s_mov_b32 s6, 25
	s_set_inst_prefetch_distance 0x1
	.p2align	6
.LBB74_505:                             ; =>This Inner Loop Header: Depth=1
	ds_load_2addr_b64 v[169:172], v161 offset1:1
	s_waitcnt lgkmcnt(1)
	v_cmp_gt_f64_e32 vcc_lo, 0, v[152:153]
	v_xor_b32_e32 v173, 0x80000000, v153
	v_cmp_gt_f64_e64 s2, 0, v[154:155]
	v_xor_b32_e32 v175, 0x80000000, v155
	v_add_nc_u32_e32 v161, 16, v161
	s_waitcnt lgkmcnt(0)
	v_cmp_gt_f64_e64 s3, 0, v[169:170]
	v_mov_b32_e32 v177, v169
	v_dual_mov_b32 v179, v171 :: v_dual_cndmask_b32 v174, v153, v173
	v_xor_b32_e32 v173, 0x80000000, v170
	v_cndmask_b32_e64 v176, v155, v175, s2
	v_xor_b32_e32 v175, 0x80000000, v172
	s_delay_alu instid0(VALU_DEP_3) | instskip(SKIP_2) | instid1(VALU_DEP_2)
	v_cndmask_b32_e64 v178, v170, v173, s3
	v_cmp_gt_f64_e64 s3, 0, v[171:172]
	v_cndmask_b32_e32 v173, v152, v152, vcc_lo
	v_cndmask_b32_e64 v180, v172, v175, s3
	v_cndmask_b32_e64 v175, v154, v154, s2
	s_delay_alu instid0(VALU_DEP_2) | instskip(NEXT) | instid1(VALU_DEP_2)
	v_add_f64 v[177:178], v[177:178], v[179:180]
	v_add_f64 v[173:174], v[173:174], v[175:176]
	s_delay_alu instid0(VALU_DEP_1) | instskip(SKIP_4) | instid1(SALU_CYCLE_1)
	v_cmp_lt_f64_e32 vcc_lo, v[173:174], v[177:178]
	v_dual_cndmask_b32 v154, v154, v171 :: v_dual_cndmask_b32 v153, v153, v170
	v_dual_cndmask_b32 v152, v152, v169 :: v_dual_cndmask_b32 v155, v155, v172
	v_cndmask_b32_e64 v160, v160, s6, vcc_lo
	s_add_i32 s6, s6, 1
	s_cmp_lg_u32 s5, s6
	s_cbranch_scc1 .LBB74_505
.LBB74_506:
	s_set_inst_prefetch_distance 0x2
	s_waitcnt lgkmcnt(0)
	v_cmp_eq_f64_e32 vcc_lo, 0, v[152:153]
	v_cmp_eq_f64_e64 s2, 0, v[154:155]
	s_delay_alu instid0(VALU_DEP_1) | instskip(NEXT) | instid1(SALU_CYCLE_1)
	s_and_b32 s2, vcc_lo, s2
	s_and_saveexec_b32 s3, s2
	s_delay_alu instid0(SALU_CYCLE_1)
	s_xor_b32 s2, exec_lo, s3
; %bb.507:
	v_cmp_ne_u32_e32 vcc_lo, 0, v165
	v_cndmask_b32_e32 v165, 25, v165, vcc_lo
; %bb.508:
	s_and_not1_saveexec_b32 s3, s2
	s_cbranch_execz .LBB74_514
; %bb.509:
	v_cmp_gt_f64_e32 vcc_lo, 0, v[152:153]
	v_cmp_gt_f64_e64 s2, 0, v[154:155]
	v_xor_b32_e32 v161, 0x80000000, v153
	v_xor_b32_e32 v169, 0x80000000, v155
	s_delay_alu instid0(VALU_DEP_2) | instskip(NEXT) | instid1(VALU_DEP_2)
	v_cndmask_b32_e32 v170, v153, v161, vcc_lo
	v_cndmask_b32_e64 v172, v155, v169, s2
	v_cndmask_b32_e32 v169, v152, v152, vcc_lo
	v_cndmask_b32_e64 v171, v154, v154, s2
	s_mov_b32 s2, exec_lo
	s_delay_alu instid0(VALU_DEP_1)
	v_cmpx_ngt_f64_e32 v[169:170], v[171:172]
	s_xor_b32 s2, exec_lo, s2
	s_cbranch_execz .LBB74_511
; %bb.510:
	v_div_scale_f64 v[169:170], null, v[154:155], v[154:155], v[152:153]
	v_div_scale_f64 v[175:176], vcc_lo, v[152:153], v[154:155], v[152:153]
	s_delay_alu instid0(VALU_DEP_2) | instskip(SKIP_2) | instid1(VALU_DEP_1)
	v_rcp_f64_e32 v[171:172], v[169:170]
	s_waitcnt_depctr 0xfff
	v_fma_f64 v[173:174], -v[169:170], v[171:172], 1.0
	v_fma_f64 v[171:172], v[171:172], v[173:174], v[171:172]
	s_delay_alu instid0(VALU_DEP_1) | instskip(NEXT) | instid1(VALU_DEP_1)
	v_fma_f64 v[173:174], -v[169:170], v[171:172], 1.0
	v_fma_f64 v[171:172], v[171:172], v[173:174], v[171:172]
	s_delay_alu instid0(VALU_DEP_1) | instskip(NEXT) | instid1(VALU_DEP_1)
	v_mul_f64 v[173:174], v[175:176], v[171:172]
	v_fma_f64 v[169:170], -v[169:170], v[173:174], v[175:176]
	s_delay_alu instid0(VALU_DEP_1) | instskip(NEXT) | instid1(VALU_DEP_1)
	v_div_fmas_f64 v[169:170], v[169:170], v[171:172], v[173:174]
	v_div_fixup_f64 v[169:170], v[169:170], v[154:155], v[152:153]
	s_delay_alu instid0(VALU_DEP_1) | instskip(NEXT) | instid1(VALU_DEP_1)
	v_fma_f64 v[152:153], v[152:153], v[169:170], v[154:155]
	v_div_scale_f64 v[154:155], null, v[152:153], v[152:153], 1.0
	s_delay_alu instid0(VALU_DEP_1) | instskip(SKIP_2) | instid1(VALU_DEP_1)
	v_rcp_f64_e32 v[171:172], v[154:155]
	s_waitcnt_depctr 0xfff
	v_fma_f64 v[173:174], -v[154:155], v[171:172], 1.0
	v_fma_f64 v[171:172], v[171:172], v[173:174], v[171:172]
	s_delay_alu instid0(VALU_DEP_1) | instskip(NEXT) | instid1(VALU_DEP_1)
	v_fma_f64 v[173:174], -v[154:155], v[171:172], 1.0
	v_fma_f64 v[171:172], v[171:172], v[173:174], v[171:172]
	v_div_scale_f64 v[173:174], vcc_lo, 1.0, v[152:153], 1.0
	s_delay_alu instid0(VALU_DEP_1) | instskip(NEXT) | instid1(VALU_DEP_1)
	v_mul_f64 v[175:176], v[173:174], v[171:172]
	v_fma_f64 v[154:155], -v[154:155], v[175:176], v[173:174]
	s_delay_alu instid0(VALU_DEP_1) | instskip(NEXT) | instid1(VALU_DEP_1)
	v_div_fmas_f64 v[154:155], v[154:155], v[171:172], v[175:176]
	v_div_fixup_f64 v[154:155], v[154:155], v[152:153], 1.0
	s_delay_alu instid0(VALU_DEP_1)
	v_mul_f64 v[152:153], v[169:170], v[154:155]
	v_xor_b32_e32 v155, 0x80000000, v155
.LBB74_511:
	s_and_not1_saveexec_b32 s2, s2
	s_cbranch_execz .LBB74_513
; %bb.512:
	s_delay_alu instid0(VALU_DEP_1) | instskip(SKIP_1) | instid1(VALU_DEP_2)
	v_div_scale_f64 v[169:170], null, v[152:153], v[152:153], v[154:155]
	v_div_scale_f64 v[175:176], vcc_lo, v[154:155], v[152:153], v[154:155]
	v_rcp_f64_e32 v[171:172], v[169:170]
	s_waitcnt_depctr 0xfff
	v_fma_f64 v[173:174], -v[169:170], v[171:172], 1.0
	s_delay_alu instid0(VALU_DEP_1) | instskip(NEXT) | instid1(VALU_DEP_1)
	v_fma_f64 v[171:172], v[171:172], v[173:174], v[171:172]
	v_fma_f64 v[173:174], -v[169:170], v[171:172], 1.0
	s_delay_alu instid0(VALU_DEP_1) | instskip(NEXT) | instid1(VALU_DEP_1)
	v_fma_f64 v[171:172], v[171:172], v[173:174], v[171:172]
	v_mul_f64 v[173:174], v[175:176], v[171:172]
	s_delay_alu instid0(VALU_DEP_1) | instskip(NEXT) | instid1(VALU_DEP_1)
	v_fma_f64 v[169:170], -v[169:170], v[173:174], v[175:176]
	v_div_fmas_f64 v[169:170], v[169:170], v[171:172], v[173:174]
	s_delay_alu instid0(VALU_DEP_1) | instskip(NEXT) | instid1(VALU_DEP_1)
	v_div_fixup_f64 v[169:170], v[169:170], v[152:153], v[154:155]
	v_fma_f64 v[152:153], v[154:155], v[169:170], v[152:153]
	s_delay_alu instid0(VALU_DEP_1) | instskip(NEXT) | instid1(VALU_DEP_1)
	v_div_scale_f64 v[154:155], null, v[152:153], v[152:153], 1.0
	v_rcp_f64_e32 v[171:172], v[154:155]
	s_waitcnt_depctr 0xfff
	v_fma_f64 v[173:174], -v[154:155], v[171:172], 1.0
	s_delay_alu instid0(VALU_DEP_1) | instskip(NEXT) | instid1(VALU_DEP_1)
	v_fma_f64 v[171:172], v[171:172], v[173:174], v[171:172]
	v_fma_f64 v[173:174], -v[154:155], v[171:172], 1.0
	s_delay_alu instid0(VALU_DEP_1) | instskip(SKIP_1) | instid1(VALU_DEP_1)
	v_fma_f64 v[171:172], v[171:172], v[173:174], v[171:172]
	v_div_scale_f64 v[173:174], vcc_lo, 1.0, v[152:153], 1.0
	v_mul_f64 v[175:176], v[173:174], v[171:172]
	s_delay_alu instid0(VALU_DEP_1) | instskip(NEXT) | instid1(VALU_DEP_1)
	v_fma_f64 v[154:155], -v[154:155], v[175:176], v[173:174]
	v_div_fmas_f64 v[154:155], v[154:155], v[171:172], v[175:176]
	s_delay_alu instid0(VALU_DEP_1) | instskip(NEXT) | instid1(VALU_DEP_1)
	v_div_fixup_f64 v[152:153], v[154:155], v[152:153], 1.0
	v_mul_f64 v[154:155], v[169:170], -v[152:153]
.LBB74_513:
	s_or_b32 exec_lo, exec_lo, s2
.LBB74_514:
	s_delay_alu instid0(SALU_CYCLE_1) | instskip(NEXT) | instid1(SALU_CYCLE_1)
	s_or_b32 exec_lo, exec_lo, s3
	s_mov_b32 s2, exec_lo
	v_cmpx_ne_u32_e64 v168, v160
	s_xor_b32 s2, exec_lo, s2
	s_cbranch_execz .LBB74_520
; %bb.515:
	s_mov_b32 s3, exec_lo
	v_cmpx_eq_u32_e32 24, v168
	s_cbranch_execz .LBB74_519
; %bb.516:
	v_cmp_ne_u32_e32 vcc_lo, 24, v160
	s_xor_b32 s6, s4, -1
	s_delay_alu instid0(SALU_CYCLE_1) | instskip(NEXT) | instid1(SALU_CYCLE_1)
	s_and_b32 s7, s6, vcc_lo
	s_and_saveexec_b32 s6, s7
	s_cbranch_execz .LBB74_518
; %bb.517:
	v_ashrrev_i32_e32 v161, 31, v160
	s_delay_alu instid0(VALU_DEP_1) | instskip(NEXT) | instid1(VALU_DEP_1)
	v_lshlrev_b64 v[167:168], 2, v[160:161]
	v_add_co_u32 v167, vcc_lo, v158, v167
	s_delay_alu instid0(VALU_DEP_2)
	v_add_co_ci_u32_e32 v168, vcc_lo, v159, v168, vcc_lo
	s_clause 0x1
	flat_load_b32 v161, v[167:168]
	flat_load_b32 v169, v[158:159] offset:96
	s_waitcnt vmcnt(1) lgkmcnt(1)
	flat_store_b32 v[158:159], v161 offset:96
	s_waitcnt vmcnt(0) lgkmcnt(1)
	flat_store_b32 v[167:168], v169
.LBB74_518:
	s_or_b32 exec_lo, exec_lo, s6
	v_mov_b32_e32 v168, v160
	v_mov_b32_e32 v167, v160
.LBB74_519:
	s_or_b32 exec_lo, exec_lo, s3
.LBB74_520:
	s_and_not1_saveexec_b32 s2, s2
	s_cbranch_execz .LBB74_522
; %bb.521:
	v_mov_b32_e32 v168, 24
	ds_store_2addr_b64 v162, v[56:57], v[58:59] offset0:50 offset1:51
	ds_store_2addr_b64 v162, v[44:45], v[46:47] offset0:52 offset1:53
	;; [unrolled: 1-line block ×13, first 2 shown]
.LBB74_522:
	s_or_b32 exec_lo, exec_lo, s2
	s_delay_alu instid0(SALU_CYCLE_1)
	s_mov_b32 s2, exec_lo
	s_waitcnt lgkmcnt(0)
	s_waitcnt_vscnt null, 0x0
	s_barrier
	buffer_gl0_inv
	v_cmpx_lt_i32_e32 24, v168
	s_cbranch_execz .LBB74_524
; %bb.523:
	v_mul_f64 v[160:161], v[152:153], v[62:63]
	v_mul_f64 v[62:63], v[154:155], v[62:63]
	s_delay_alu instid0(VALU_DEP_2) | instskip(NEXT) | instid1(VALU_DEP_2)
	v_fma_f64 v[160:161], v[154:155], v[60:61], v[160:161]
	v_fma_f64 v[60:61], v[152:153], v[60:61], -v[62:63]
	ds_load_2addr_b64 v[152:155], v162 offset0:50 offset1:51
	s_waitcnt lgkmcnt(0)
	v_mul_f64 v[62:63], v[154:155], v[160:161]
	s_delay_alu instid0(VALU_DEP_1) | instskip(SKIP_1) | instid1(VALU_DEP_2)
	v_fma_f64 v[62:63], v[152:153], v[60:61], -v[62:63]
	v_mul_f64 v[152:153], v[152:153], v[160:161]
	v_add_f64 v[56:57], v[56:57], -v[62:63]
	s_delay_alu instid0(VALU_DEP_2) | instskip(NEXT) | instid1(VALU_DEP_1)
	v_fma_f64 v[152:153], v[154:155], v[60:61], v[152:153]
	v_add_f64 v[58:59], v[58:59], -v[152:153]
	ds_load_2addr_b64 v[152:155], v162 offset0:52 offset1:53
	s_waitcnt lgkmcnt(0)
	v_mul_f64 v[62:63], v[154:155], v[160:161]
	s_delay_alu instid0(VALU_DEP_1) | instskip(SKIP_1) | instid1(VALU_DEP_2)
	v_fma_f64 v[62:63], v[152:153], v[60:61], -v[62:63]
	v_mul_f64 v[152:153], v[152:153], v[160:161]
	v_add_f64 v[44:45], v[44:45], -v[62:63]
	s_delay_alu instid0(VALU_DEP_2) | instskip(NEXT) | instid1(VALU_DEP_1)
	v_fma_f64 v[152:153], v[154:155], v[60:61], v[152:153]
	v_add_f64 v[46:47], v[46:47], -v[152:153]
	ds_load_2addr_b64 v[152:155], v162 offset0:54 offset1:55
	s_waitcnt lgkmcnt(0)
	v_mul_f64 v[62:63], v[154:155], v[160:161]
	s_delay_alu instid0(VALU_DEP_1) | instskip(SKIP_1) | instid1(VALU_DEP_2)
	v_fma_f64 v[62:63], v[152:153], v[60:61], -v[62:63]
	v_mul_f64 v[152:153], v[152:153], v[160:161]
	v_add_f64 v[40:41], v[40:41], -v[62:63]
	s_delay_alu instid0(VALU_DEP_2) | instskip(NEXT) | instid1(VALU_DEP_1)
	v_fma_f64 v[152:153], v[154:155], v[60:61], v[152:153]
	v_add_f64 v[42:43], v[42:43], -v[152:153]
	ds_load_2addr_b64 v[152:155], v162 offset0:56 offset1:57
	s_waitcnt lgkmcnt(0)
	v_mul_f64 v[62:63], v[154:155], v[160:161]
	s_delay_alu instid0(VALU_DEP_1) | instskip(SKIP_1) | instid1(VALU_DEP_2)
	v_fma_f64 v[62:63], v[152:153], v[60:61], -v[62:63]
	v_mul_f64 v[152:153], v[152:153], v[160:161]
	v_add_f64 v[36:37], v[36:37], -v[62:63]
	s_delay_alu instid0(VALU_DEP_2) | instskip(NEXT) | instid1(VALU_DEP_1)
	v_fma_f64 v[152:153], v[154:155], v[60:61], v[152:153]
	v_add_f64 v[38:39], v[38:39], -v[152:153]
	ds_load_2addr_b64 v[152:155], v162 offset0:58 offset1:59
	s_waitcnt lgkmcnt(0)
	v_mul_f64 v[62:63], v[154:155], v[160:161]
	s_delay_alu instid0(VALU_DEP_1) | instskip(SKIP_1) | instid1(VALU_DEP_2)
	v_fma_f64 v[62:63], v[152:153], v[60:61], -v[62:63]
	v_mul_f64 v[152:153], v[152:153], v[160:161]
	v_add_f64 v[32:33], v[32:33], -v[62:63]
	s_delay_alu instid0(VALU_DEP_2) | instskip(NEXT) | instid1(VALU_DEP_1)
	v_fma_f64 v[152:153], v[154:155], v[60:61], v[152:153]
	v_add_f64 v[34:35], v[34:35], -v[152:153]
	ds_load_2addr_b64 v[152:155], v162 offset0:60 offset1:61
	s_waitcnt lgkmcnt(0)
	v_mul_f64 v[62:63], v[154:155], v[160:161]
	s_delay_alu instid0(VALU_DEP_1) | instskip(SKIP_1) | instid1(VALU_DEP_2)
	v_fma_f64 v[62:63], v[152:153], v[60:61], -v[62:63]
	v_mul_f64 v[152:153], v[152:153], v[160:161]
	v_add_f64 v[28:29], v[28:29], -v[62:63]
	s_delay_alu instid0(VALU_DEP_2) | instskip(NEXT) | instid1(VALU_DEP_1)
	v_fma_f64 v[152:153], v[154:155], v[60:61], v[152:153]
	v_add_f64 v[30:31], v[30:31], -v[152:153]
	ds_load_2addr_b64 v[152:155], v162 offset0:62 offset1:63
	s_waitcnt lgkmcnt(0)
	v_mul_f64 v[62:63], v[154:155], v[160:161]
	s_delay_alu instid0(VALU_DEP_1) | instskip(SKIP_1) | instid1(VALU_DEP_2)
	v_fma_f64 v[62:63], v[152:153], v[60:61], -v[62:63]
	v_mul_f64 v[152:153], v[152:153], v[160:161]
	v_add_f64 v[24:25], v[24:25], -v[62:63]
	s_delay_alu instid0(VALU_DEP_2) | instskip(NEXT) | instid1(VALU_DEP_1)
	v_fma_f64 v[152:153], v[154:155], v[60:61], v[152:153]
	v_add_f64 v[26:27], v[26:27], -v[152:153]
	ds_load_2addr_b64 v[152:155], v162 offset0:64 offset1:65
	s_waitcnt lgkmcnt(0)
	v_mul_f64 v[62:63], v[154:155], v[160:161]
	s_delay_alu instid0(VALU_DEP_1) | instskip(SKIP_1) | instid1(VALU_DEP_2)
	v_fma_f64 v[62:63], v[152:153], v[60:61], -v[62:63]
	v_mul_f64 v[152:153], v[152:153], v[160:161]
	v_add_f64 v[20:21], v[20:21], -v[62:63]
	s_delay_alu instid0(VALU_DEP_2) | instskip(NEXT) | instid1(VALU_DEP_1)
	v_fma_f64 v[152:153], v[154:155], v[60:61], v[152:153]
	v_add_f64 v[22:23], v[22:23], -v[152:153]
	ds_load_2addr_b64 v[152:155], v162 offset0:66 offset1:67
	s_waitcnt lgkmcnt(0)
	v_mul_f64 v[62:63], v[154:155], v[160:161]
	s_delay_alu instid0(VALU_DEP_1) | instskip(SKIP_1) | instid1(VALU_DEP_2)
	v_fma_f64 v[62:63], v[152:153], v[60:61], -v[62:63]
	v_mul_f64 v[152:153], v[152:153], v[160:161]
	v_add_f64 v[16:17], v[16:17], -v[62:63]
	s_delay_alu instid0(VALU_DEP_2) | instskip(NEXT) | instid1(VALU_DEP_1)
	v_fma_f64 v[152:153], v[154:155], v[60:61], v[152:153]
	v_add_f64 v[18:19], v[18:19], -v[152:153]
	ds_load_2addr_b64 v[152:155], v162 offset0:68 offset1:69
	s_waitcnt lgkmcnt(0)
	v_mul_f64 v[62:63], v[154:155], v[160:161]
	s_delay_alu instid0(VALU_DEP_1) | instskip(SKIP_1) | instid1(VALU_DEP_2)
	v_fma_f64 v[62:63], v[152:153], v[60:61], -v[62:63]
	v_mul_f64 v[152:153], v[152:153], v[160:161]
	v_add_f64 v[12:13], v[12:13], -v[62:63]
	s_delay_alu instid0(VALU_DEP_2) | instskip(NEXT) | instid1(VALU_DEP_1)
	v_fma_f64 v[152:153], v[154:155], v[60:61], v[152:153]
	v_add_f64 v[14:15], v[14:15], -v[152:153]
	ds_load_2addr_b64 v[152:155], v162 offset0:70 offset1:71
	s_waitcnt lgkmcnt(0)
	v_mul_f64 v[62:63], v[154:155], v[160:161]
	s_delay_alu instid0(VALU_DEP_1) | instskip(SKIP_1) | instid1(VALU_DEP_2)
	v_fma_f64 v[62:63], v[152:153], v[60:61], -v[62:63]
	v_mul_f64 v[152:153], v[152:153], v[160:161]
	v_add_f64 v[8:9], v[8:9], -v[62:63]
	s_delay_alu instid0(VALU_DEP_2) | instskip(NEXT) | instid1(VALU_DEP_1)
	v_fma_f64 v[152:153], v[154:155], v[60:61], v[152:153]
	v_add_f64 v[10:11], v[10:11], -v[152:153]
	ds_load_2addr_b64 v[152:155], v162 offset0:72 offset1:73
	s_waitcnt lgkmcnt(0)
	v_mul_f64 v[62:63], v[154:155], v[160:161]
	s_delay_alu instid0(VALU_DEP_1) | instskip(SKIP_1) | instid1(VALU_DEP_2)
	v_fma_f64 v[62:63], v[152:153], v[60:61], -v[62:63]
	v_mul_f64 v[152:153], v[152:153], v[160:161]
	v_add_f64 v[4:5], v[4:5], -v[62:63]
	s_delay_alu instid0(VALU_DEP_2) | instskip(NEXT) | instid1(VALU_DEP_1)
	v_fma_f64 v[152:153], v[154:155], v[60:61], v[152:153]
	v_add_f64 v[6:7], v[6:7], -v[152:153]
	ds_load_2addr_b64 v[152:155], v162 offset0:74 offset1:75
	s_waitcnt lgkmcnt(0)
	v_mul_f64 v[62:63], v[154:155], v[160:161]
	s_delay_alu instid0(VALU_DEP_1) | instskip(SKIP_1) | instid1(VALU_DEP_2)
	v_fma_f64 v[62:63], v[152:153], v[60:61], -v[62:63]
	v_mul_f64 v[152:153], v[152:153], v[160:161]
	v_add_f64 v[0:1], v[0:1], -v[62:63]
	s_delay_alu instid0(VALU_DEP_2) | instskip(SKIP_1) | instid1(VALU_DEP_2)
	v_fma_f64 v[152:153], v[154:155], v[60:61], v[152:153]
	v_dual_mov_b32 v62, v160 :: v_dual_mov_b32 v63, v161
	v_add_f64 v[2:3], v[2:3], -v[152:153]
.LBB74_524:
	s_or_b32 exec_lo, exec_lo, s2
	v_lshl_add_u32 v152, v168, 4, v162
	s_barrier
	buffer_gl0_inv
	v_mov_b32_e32 v160, 25
	ds_store_2addr_b64 v152, v[56:57], v[58:59] offset1:1
	s_waitcnt lgkmcnt(0)
	s_barrier
	buffer_gl0_inv
	ds_load_2addr_b64 v[152:155], v162 offset0:50 offset1:51
	s_cmp_lt_i32 s5, 27
	s_cbranch_scc1 .LBB74_527
; %bb.525:
	v_add3_u32 v161, v166, 0, 0x1a0
	v_mov_b32_e32 v160, 25
	s_mov_b32 s6, 26
	s_set_inst_prefetch_distance 0x1
	.p2align	6
.LBB74_526:                             ; =>This Inner Loop Header: Depth=1
	ds_load_2addr_b64 v[169:172], v161 offset1:1
	s_waitcnt lgkmcnt(1)
	v_cmp_gt_f64_e32 vcc_lo, 0, v[152:153]
	v_xor_b32_e32 v173, 0x80000000, v153
	v_cmp_gt_f64_e64 s2, 0, v[154:155]
	v_xor_b32_e32 v175, 0x80000000, v155
	v_add_nc_u32_e32 v161, 16, v161
	s_waitcnt lgkmcnt(0)
	v_cmp_gt_f64_e64 s3, 0, v[169:170]
	v_mov_b32_e32 v177, v169
	v_dual_mov_b32 v179, v171 :: v_dual_cndmask_b32 v174, v153, v173
	v_xor_b32_e32 v173, 0x80000000, v170
	v_cndmask_b32_e64 v176, v155, v175, s2
	v_xor_b32_e32 v175, 0x80000000, v172
	s_delay_alu instid0(VALU_DEP_3) | instskip(SKIP_2) | instid1(VALU_DEP_2)
	v_cndmask_b32_e64 v178, v170, v173, s3
	v_cmp_gt_f64_e64 s3, 0, v[171:172]
	v_cndmask_b32_e32 v173, v152, v152, vcc_lo
	v_cndmask_b32_e64 v180, v172, v175, s3
	v_cndmask_b32_e64 v175, v154, v154, s2
	s_delay_alu instid0(VALU_DEP_2) | instskip(NEXT) | instid1(VALU_DEP_2)
	v_add_f64 v[177:178], v[177:178], v[179:180]
	v_add_f64 v[173:174], v[173:174], v[175:176]
	s_delay_alu instid0(VALU_DEP_1) | instskip(SKIP_4) | instid1(SALU_CYCLE_1)
	v_cmp_lt_f64_e32 vcc_lo, v[173:174], v[177:178]
	v_dual_cndmask_b32 v154, v154, v171 :: v_dual_cndmask_b32 v153, v153, v170
	v_dual_cndmask_b32 v152, v152, v169 :: v_dual_cndmask_b32 v155, v155, v172
	v_cndmask_b32_e64 v160, v160, s6, vcc_lo
	s_add_i32 s6, s6, 1
	s_cmp_lg_u32 s5, s6
	s_cbranch_scc1 .LBB74_526
.LBB74_527:
	s_set_inst_prefetch_distance 0x2
	s_waitcnt lgkmcnt(0)
	v_cmp_eq_f64_e32 vcc_lo, 0, v[152:153]
	v_cmp_eq_f64_e64 s2, 0, v[154:155]
	s_delay_alu instid0(VALU_DEP_1) | instskip(NEXT) | instid1(SALU_CYCLE_1)
	s_and_b32 s2, vcc_lo, s2
	s_and_saveexec_b32 s3, s2
	s_delay_alu instid0(SALU_CYCLE_1)
	s_xor_b32 s2, exec_lo, s3
; %bb.528:
	v_cmp_ne_u32_e32 vcc_lo, 0, v165
	v_cndmask_b32_e32 v165, 26, v165, vcc_lo
; %bb.529:
	s_and_not1_saveexec_b32 s3, s2
	s_cbranch_execz .LBB74_535
; %bb.530:
	v_cmp_gt_f64_e32 vcc_lo, 0, v[152:153]
	v_cmp_gt_f64_e64 s2, 0, v[154:155]
	v_xor_b32_e32 v161, 0x80000000, v153
	v_xor_b32_e32 v169, 0x80000000, v155
	s_delay_alu instid0(VALU_DEP_2) | instskip(NEXT) | instid1(VALU_DEP_2)
	v_cndmask_b32_e32 v170, v153, v161, vcc_lo
	v_cndmask_b32_e64 v172, v155, v169, s2
	v_cndmask_b32_e32 v169, v152, v152, vcc_lo
	v_cndmask_b32_e64 v171, v154, v154, s2
	s_mov_b32 s2, exec_lo
	s_delay_alu instid0(VALU_DEP_1)
	v_cmpx_ngt_f64_e32 v[169:170], v[171:172]
	s_xor_b32 s2, exec_lo, s2
	s_cbranch_execz .LBB74_532
; %bb.531:
	v_div_scale_f64 v[169:170], null, v[154:155], v[154:155], v[152:153]
	v_div_scale_f64 v[175:176], vcc_lo, v[152:153], v[154:155], v[152:153]
	s_delay_alu instid0(VALU_DEP_2) | instskip(SKIP_2) | instid1(VALU_DEP_1)
	v_rcp_f64_e32 v[171:172], v[169:170]
	s_waitcnt_depctr 0xfff
	v_fma_f64 v[173:174], -v[169:170], v[171:172], 1.0
	v_fma_f64 v[171:172], v[171:172], v[173:174], v[171:172]
	s_delay_alu instid0(VALU_DEP_1) | instskip(NEXT) | instid1(VALU_DEP_1)
	v_fma_f64 v[173:174], -v[169:170], v[171:172], 1.0
	v_fma_f64 v[171:172], v[171:172], v[173:174], v[171:172]
	s_delay_alu instid0(VALU_DEP_1) | instskip(NEXT) | instid1(VALU_DEP_1)
	v_mul_f64 v[173:174], v[175:176], v[171:172]
	v_fma_f64 v[169:170], -v[169:170], v[173:174], v[175:176]
	s_delay_alu instid0(VALU_DEP_1) | instskip(NEXT) | instid1(VALU_DEP_1)
	v_div_fmas_f64 v[169:170], v[169:170], v[171:172], v[173:174]
	v_div_fixup_f64 v[169:170], v[169:170], v[154:155], v[152:153]
	s_delay_alu instid0(VALU_DEP_1) | instskip(NEXT) | instid1(VALU_DEP_1)
	v_fma_f64 v[152:153], v[152:153], v[169:170], v[154:155]
	v_div_scale_f64 v[154:155], null, v[152:153], v[152:153], 1.0
	s_delay_alu instid0(VALU_DEP_1) | instskip(SKIP_2) | instid1(VALU_DEP_1)
	v_rcp_f64_e32 v[171:172], v[154:155]
	s_waitcnt_depctr 0xfff
	v_fma_f64 v[173:174], -v[154:155], v[171:172], 1.0
	v_fma_f64 v[171:172], v[171:172], v[173:174], v[171:172]
	s_delay_alu instid0(VALU_DEP_1) | instskip(NEXT) | instid1(VALU_DEP_1)
	v_fma_f64 v[173:174], -v[154:155], v[171:172], 1.0
	v_fma_f64 v[171:172], v[171:172], v[173:174], v[171:172]
	v_div_scale_f64 v[173:174], vcc_lo, 1.0, v[152:153], 1.0
	s_delay_alu instid0(VALU_DEP_1) | instskip(NEXT) | instid1(VALU_DEP_1)
	v_mul_f64 v[175:176], v[173:174], v[171:172]
	v_fma_f64 v[154:155], -v[154:155], v[175:176], v[173:174]
	s_delay_alu instid0(VALU_DEP_1) | instskip(NEXT) | instid1(VALU_DEP_1)
	v_div_fmas_f64 v[154:155], v[154:155], v[171:172], v[175:176]
	v_div_fixup_f64 v[154:155], v[154:155], v[152:153], 1.0
	s_delay_alu instid0(VALU_DEP_1)
	v_mul_f64 v[152:153], v[169:170], v[154:155]
	v_xor_b32_e32 v155, 0x80000000, v155
.LBB74_532:
	s_and_not1_saveexec_b32 s2, s2
	s_cbranch_execz .LBB74_534
; %bb.533:
	s_delay_alu instid0(VALU_DEP_1) | instskip(SKIP_1) | instid1(VALU_DEP_2)
	v_div_scale_f64 v[169:170], null, v[152:153], v[152:153], v[154:155]
	v_div_scale_f64 v[175:176], vcc_lo, v[154:155], v[152:153], v[154:155]
	v_rcp_f64_e32 v[171:172], v[169:170]
	s_waitcnt_depctr 0xfff
	v_fma_f64 v[173:174], -v[169:170], v[171:172], 1.0
	s_delay_alu instid0(VALU_DEP_1) | instskip(NEXT) | instid1(VALU_DEP_1)
	v_fma_f64 v[171:172], v[171:172], v[173:174], v[171:172]
	v_fma_f64 v[173:174], -v[169:170], v[171:172], 1.0
	s_delay_alu instid0(VALU_DEP_1) | instskip(NEXT) | instid1(VALU_DEP_1)
	v_fma_f64 v[171:172], v[171:172], v[173:174], v[171:172]
	v_mul_f64 v[173:174], v[175:176], v[171:172]
	s_delay_alu instid0(VALU_DEP_1) | instskip(NEXT) | instid1(VALU_DEP_1)
	v_fma_f64 v[169:170], -v[169:170], v[173:174], v[175:176]
	v_div_fmas_f64 v[169:170], v[169:170], v[171:172], v[173:174]
	s_delay_alu instid0(VALU_DEP_1) | instskip(NEXT) | instid1(VALU_DEP_1)
	v_div_fixup_f64 v[169:170], v[169:170], v[152:153], v[154:155]
	v_fma_f64 v[152:153], v[154:155], v[169:170], v[152:153]
	s_delay_alu instid0(VALU_DEP_1) | instskip(NEXT) | instid1(VALU_DEP_1)
	v_div_scale_f64 v[154:155], null, v[152:153], v[152:153], 1.0
	v_rcp_f64_e32 v[171:172], v[154:155]
	s_waitcnt_depctr 0xfff
	v_fma_f64 v[173:174], -v[154:155], v[171:172], 1.0
	s_delay_alu instid0(VALU_DEP_1) | instskip(NEXT) | instid1(VALU_DEP_1)
	v_fma_f64 v[171:172], v[171:172], v[173:174], v[171:172]
	v_fma_f64 v[173:174], -v[154:155], v[171:172], 1.0
	s_delay_alu instid0(VALU_DEP_1) | instskip(SKIP_1) | instid1(VALU_DEP_1)
	v_fma_f64 v[171:172], v[171:172], v[173:174], v[171:172]
	v_div_scale_f64 v[173:174], vcc_lo, 1.0, v[152:153], 1.0
	v_mul_f64 v[175:176], v[173:174], v[171:172]
	s_delay_alu instid0(VALU_DEP_1) | instskip(NEXT) | instid1(VALU_DEP_1)
	v_fma_f64 v[154:155], -v[154:155], v[175:176], v[173:174]
	v_div_fmas_f64 v[154:155], v[154:155], v[171:172], v[175:176]
	s_delay_alu instid0(VALU_DEP_1) | instskip(NEXT) | instid1(VALU_DEP_1)
	v_div_fixup_f64 v[152:153], v[154:155], v[152:153], 1.0
	v_mul_f64 v[154:155], v[169:170], -v[152:153]
.LBB74_534:
	s_or_b32 exec_lo, exec_lo, s2
.LBB74_535:
	s_delay_alu instid0(SALU_CYCLE_1) | instskip(NEXT) | instid1(SALU_CYCLE_1)
	s_or_b32 exec_lo, exec_lo, s3
	s_mov_b32 s2, exec_lo
	v_cmpx_ne_u32_e64 v168, v160
	s_xor_b32 s2, exec_lo, s2
	s_cbranch_execz .LBB74_541
; %bb.536:
	s_mov_b32 s3, exec_lo
	v_cmpx_eq_u32_e32 25, v168
	s_cbranch_execz .LBB74_540
; %bb.537:
	v_cmp_ne_u32_e32 vcc_lo, 25, v160
	s_xor_b32 s6, s4, -1
	s_delay_alu instid0(SALU_CYCLE_1) | instskip(NEXT) | instid1(SALU_CYCLE_1)
	s_and_b32 s7, s6, vcc_lo
	s_and_saveexec_b32 s6, s7
	s_cbranch_execz .LBB74_539
; %bb.538:
	v_ashrrev_i32_e32 v161, 31, v160
	s_delay_alu instid0(VALU_DEP_1) | instskip(NEXT) | instid1(VALU_DEP_1)
	v_lshlrev_b64 v[167:168], 2, v[160:161]
	v_add_co_u32 v167, vcc_lo, v158, v167
	s_delay_alu instid0(VALU_DEP_2)
	v_add_co_ci_u32_e32 v168, vcc_lo, v159, v168, vcc_lo
	s_clause 0x1
	flat_load_b32 v161, v[167:168]
	flat_load_b32 v169, v[158:159] offset:100
	s_waitcnt vmcnt(1) lgkmcnt(1)
	flat_store_b32 v[158:159], v161 offset:100
	s_waitcnt vmcnt(0) lgkmcnt(1)
	flat_store_b32 v[167:168], v169
.LBB74_539:
	s_or_b32 exec_lo, exec_lo, s6
	v_mov_b32_e32 v168, v160
	v_mov_b32_e32 v167, v160
.LBB74_540:
	s_or_b32 exec_lo, exec_lo, s3
.LBB74_541:
	s_and_not1_saveexec_b32 s2, s2
	s_cbranch_execz .LBB74_543
; %bb.542:
	v_mov_b32_e32 v168, 25
	ds_store_2addr_b64 v162, v[44:45], v[46:47] offset0:52 offset1:53
	ds_store_2addr_b64 v162, v[40:41], v[42:43] offset0:54 offset1:55
	;; [unrolled: 1-line block ×12, first 2 shown]
.LBB74_543:
	s_or_b32 exec_lo, exec_lo, s2
	s_delay_alu instid0(SALU_CYCLE_1)
	s_mov_b32 s2, exec_lo
	s_waitcnt lgkmcnt(0)
	s_waitcnt_vscnt null, 0x0
	s_barrier
	buffer_gl0_inv
	v_cmpx_lt_i32_e32 25, v168
	s_cbranch_execz .LBB74_545
; %bb.544:
	v_mul_f64 v[160:161], v[152:153], v[58:59]
	v_mul_f64 v[58:59], v[154:155], v[58:59]
	s_delay_alu instid0(VALU_DEP_2) | instskip(NEXT) | instid1(VALU_DEP_2)
	v_fma_f64 v[160:161], v[154:155], v[56:57], v[160:161]
	v_fma_f64 v[56:57], v[152:153], v[56:57], -v[58:59]
	ds_load_2addr_b64 v[152:155], v162 offset0:52 offset1:53
	s_waitcnt lgkmcnt(0)
	v_mul_f64 v[58:59], v[154:155], v[160:161]
	s_delay_alu instid0(VALU_DEP_1) | instskip(SKIP_1) | instid1(VALU_DEP_2)
	v_fma_f64 v[58:59], v[152:153], v[56:57], -v[58:59]
	v_mul_f64 v[152:153], v[152:153], v[160:161]
	v_add_f64 v[44:45], v[44:45], -v[58:59]
	s_delay_alu instid0(VALU_DEP_2) | instskip(NEXT) | instid1(VALU_DEP_1)
	v_fma_f64 v[152:153], v[154:155], v[56:57], v[152:153]
	v_add_f64 v[46:47], v[46:47], -v[152:153]
	ds_load_2addr_b64 v[152:155], v162 offset0:54 offset1:55
	s_waitcnt lgkmcnt(0)
	v_mul_f64 v[58:59], v[154:155], v[160:161]
	s_delay_alu instid0(VALU_DEP_1) | instskip(SKIP_1) | instid1(VALU_DEP_2)
	v_fma_f64 v[58:59], v[152:153], v[56:57], -v[58:59]
	v_mul_f64 v[152:153], v[152:153], v[160:161]
	v_add_f64 v[40:41], v[40:41], -v[58:59]
	s_delay_alu instid0(VALU_DEP_2) | instskip(NEXT) | instid1(VALU_DEP_1)
	v_fma_f64 v[152:153], v[154:155], v[56:57], v[152:153]
	v_add_f64 v[42:43], v[42:43], -v[152:153]
	;; [unrolled: 10-line block ×11, first 2 shown]
	ds_load_2addr_b64 v[152:155], v162 offset0:74 offset1:75
	s_waitcnt lgkmcnt(0)
	v_mul_f64 v[58:59], v[154:155], v[160:161]
	s_delay_alu instid0(VALU_DEP_1) | instskip(SKIP_1) | instid1(VALU_DEP_2)
	v_fma_f64 v[58:59], v[152:153], v[56:57], -v[58:59]
	v_mul_f64 v[152:153], v[152:153], v[160:161]
	v_add_f64 v[0:1], v[0:1], -v[58:59]
	s_delay_alu instid0(VALU_DEP_2) | instskip(SKIP_1) | instid1(VALU_DEP_2)
	v_fma_f64 v[152:153], v[154:155], v[56:57], v[152:153]
	v_dual_mov_b32 v58, v160 :: v_dual_mov_b32 v59, v161
	v_add_f64 v[2:3], v[2:3], -v[152:153]
.LBB74_545:
	s_or_b32 exec_lo, exec_lo, s2
	v_lshl_add_u32 v152, v168, 4, v162
	s_barrier
	buffer_gl0_inv
	v_mov_b32_e32 v160, 26
	ds_store_2addr_b64 v152, v[44:45], v[46:47] offset1:1
	s_waitcnt lgkmcnt(0)
	s_barrier
	buffer_gl0_inv
	ds_load_2addr_b64 v[152:155], v162 offset0:52 offset1:53
	s_cmp_lt_i32 s5, 28
	s_cbranch_scc1 .LBB74_548
; %bb.546:
	v_add3_u32 v161, v166, 0, 0x1b0
	v_mov_b32_e32 v160, 26
	s_mov_b32 s6, 27
	s_set_inst_prefetch_distance 0x1
	.p2align	6
.LBB74_547:                             ; =>This Inner Loop Header: Depth=1
	ds_load_2addr_b64 v[169:172], v161 offset1:1
	s_waitcnt lgkmcnt(1)
	v_cmp_gt_f64_e32 vcc_lo, 0, v[152:153]
	v_xor_b32_e32 v173, 0x80000000, v153
	v_cmp_gt_f64_e64 s2, 0, v[154:155]
	v_xor_b32_e32 v175, 0x80000000, v155
	v_add_nc_u32_e32 v161, 16, v161
	s_waitcnt lgkmcnt(0)
	v_cmp_gt_f64_e64 s3, 0, v[169:170]
	v_mov_b32_e32 v177, v169
	v_dual_mov_b32 v179, v171 :: v_dual_cndmask_b32 v174, v153, v173
	v_xor_b32_e32 v173, 0x80000000, v170
	v_cndmask_b32_e64 v176, v155, v175, s2
	v_xor_b32_e32 v175, 0x80000000, v172
	s_delay_alu instid0(VALU_DEP_3) | instskip(SKIP_2) | instid1(VALU_DEP_2)
	v_cndmask_b32_e64 v178, v170, v173, s3
	v_cmp_gt_f64_e64 s3, 0, v[171:172]
	v_cndmask_b32_e32 v173, v152, v152, vcc_lo
	v_cndmask_b32_e64 v180, v172, v175, s3
	v_cndmask_b32_e64 v175, v154, v154, s2
	s_delay_alu instid0(VALU_DEP_2) | instskip(NEXT) | instid1(VALU_DEP_2)
	v_add_f64 v[177:178], v[177:178], v[179:180]
	v_add_f64 v[173:174], v[173:174], v[175:176]
	s_delay_alu instid0(VALU_DEP_1) | instskip(SKIP_4) | instid1(SALU_CYCLE_1)
	v_cmp_lt_f64_e32 vcc_lo, v[173:174], v[177:178]
	v_dual_cndmask_b32 v154, v154, v171 :: v_dual_cndmask_b32 v153, v153, v170
	v_dual_cndmask_b32 v152, v152, v169 :: v_dual_cndmask_b32 v155, v155, v172
	v_cndmask_b32_e64 v160, v160, s6, vcc_lo
	s_add_i32 s6, s6, 1
	s_cmp_lg_u32 s5, s6
	s_cbranch_scc1 .LBB74_547
.LBB74_548:
	s_set_inst_prefetch_distance 0x2
	s_waitcnt lgkmcnt(0)
	v_cmp_eq_f64_e32 vcc_lo, 0, v[152:153]
	v_cmp_eq_f64_e64 s2, 0, v[154:155]
	s_delay_alu instid0(VALU_DEP_1) | instskip(NEXT) | instid1(SALU_CYCLE_1)
	s_and_b32 s2, vcc_lo, s2
	s_and_saveexec_b32 s3, s2
	s_delay_alu instid0(SALU_CYCLE_1)
	s_xor_b32 s2, exec_lo, s3
; %bb.549:
	v_cmp_ne_u32_e32 vcc_lo, 0, v165
	v_cndmask_b32_e32 v165, 27, v165, vcc_lo
; %bb.550:
	s_and_not1_saveexec_b32 s3, s2
	s_cbranch_execz .LBB74_556
; %bb.551:
	v_cmp_gt_f64_e32 vcc_lo, 0, v[152:153]
	v_cmp_gt_f64_e64 s2, 0, v[154:155]
	v_xor_b32_e32 v161, 0x80000000, v153
	v_xor_b32_e32 v169, 0x80000000, v155
	s_delay_alu instid0(VALU_DEP_2) | instskip(NEXT) | instid1(VALU_DEP_2)
	v_cndmask_b32_e32 v170, v153, v161, vcc_lo
	v_cndmask_b32_e64 v172, v155, v169, s2
	v_cndmask_b32_e32 v169, v152, v152, vcc_lo
	v_cndmask_b32_e64 v171, v154, v154, s2
	s_mov_b32 s2, exec_lo
	s_delay_alu instid0(VALU_DEP_1)
	v_cmpx_ngt_f64_e32 v[169:170], v[171:172]
	s_xor_b32 s2, exec_lo, s2
	s_cbranch_execz .LBB74_553
; %bb.552:
	v_div_scale_f64 v[169:170], null, v[154:155], v[154:155], v[152:153]
	v_div_scale_f64 v[175:176], vcc_lo, v[152:153], v[154:155], v[152:153]
	s_delay_alu instid0(VALU_DEP_2) | instskip(SKIP_2) | instid1(VALU_DEP_1)
	v_rcp_f64_e32 v[171:172], v[169:170]
	s_waitcnt_depctr 0xfff
	v_fma_f64 v[173:174], -v[169:170], v[171:172], 1.0
	v_fma_f64 v[171:172], v[171:172], v[173:174], v[171:172]
	s_delay_alu instid0(VALU_DEP_1) | instskip(NEXT) | instid1(VALU_DEP_1)
	v_fma_f64 v[173:174], -v[169:170], v[171:172], 1.0
	v_fma_f64 v[171:172], v[171:172], v[173:174], v[171:172]
	s_delay_alu instid0(VALU_DEP_1) | instskip(NEXT) | instid1(VALU_DEP_1)
	v_mul_f64 v[173:174], v[175:176], v[171:172]
	v_fma_f64 v[169:170], -v[169:170], v[173:174], v[175:176]
	s_delay_alu instid0(VALU_DEP_1) | instskip(NEXT) | instid1(VALU_DEP_1)
	v_div_fmas_f64 v[169:170], v[169:170], v[171:172], v[173:174]
	v_div_fixup_f64 v[169:170], v[169:170], v[154:155], v[152:153]
	s_delay_alu instid0(VALU_DEP_1) | instskip(NEXT) | instid1(VALU_DEP_1)
	v_fma_f64 v[152:153], v[152:153], v[169:170], v[154:155]
	v_div_scale_f64 v[154:155], null, v[152:153], v[152:153], 1.0
	s_delay_alu instid0(VALU_DEP_1) | instskip(SKIP_2) | instid1(VALU_DEP_1)
	v_rcp_f64_e32 v[171:172], v[154:155]
	s_waitcnt_depctr 0xfff
	v_fma_f64 v[173:174], -v[154:155], v[171:172], 1.0
	v_fma_f64 v[171:172], v[171:172], v[173:174], v[171:172]
	s_delay_alu instid0(VALU_DEP_1) | instskip(NEXT) | instid1(VALU_DEP_1)
	v_fma_f64 v[173:174], -v[154:155], v[171:172], 1.0
	v_fma_f64 v[171:172], v[171:172], v[173:174], v[171:172]
	v_div_scale_f64 v[173:174], vcc_lo, 1.0, v[152:153], 1.0
	s_delay_alu instid0(VALU_DEP_1) | instskip(NEXT) | instid1(VALU_DEP_1)
	v_mul_f64 v[175:176], v[173:174], v[171:172]
	v_fma_f64 v[154:155], -v[154:155], v[175:176], v[173:174]
	s_delay_alu instid0(VALU_DEP_1) | instskip(NEXT) | instid1(VALU_DEP_1)
	v_div_fmas_f64 v[154:155], v[154:155], v[171:172], v[175:176]
	v_div_fixup_f64 v[154:155], v[154:155], v[152:153], 1.0
	s_delay_alu instid0(VALU_DEP_1)
	v_mul_f64 v[152:153], v[169:170], v[154:155]
	v_xor_b32_e32 v155, 0x80000000, v155
.LBB74_553:
	s_and_not1_saveexec_b32 s2, s2
	s_cbranch_execz .LBB74_555
; %bb.554:
	s_delay_alu instid0(VALU_DEP_1) | instskip(SKIP_1) | instid1(VALU_DEP_2)
	v_div_scale_f64 v[169:170], null, v[152:153], v[152:153], v[154:155]
	v_div_scale_f64 v[175:176], vcc_lo, v[154:155], v[152:153], v[154:155]
	v_rcp_f64_e32 v[171:172], v[169:170]
	s_waitcnt_depctr 0xfff
	v_fma_f64 v[173:174], -v[169:170], v[171:172], 1.0
	s_delay_alu instid0(VALU_DEP_1) | instskip(NEXT) | instid1(VALU_DEP_1)
	v_fma_f64 v[171:172], v[171:172], v[173:174], v[171:172]
	v_fma_f64 v[173:174], -v[169:170], v[171:172], 1.0
	s_delay_alu instid0(VALU_DEP_1) | instskip(NEXT) | instid1(VALU_DEP_1)
	v_fma_f64 v[171:172], v[171:172], v[173:174], v[171:172]
	v_mul_f64 v[173:174], v[175:176], v[171:172]
	s_delay_alu instid0(VALU_DEP_1) | instskip(NEXT) | instid1(VALU_DEP_1)
	v_fma_f64 v[169:170], -v[169:170], v[173:174], v[175:176]
	v_div_fmas_f64 v[169:170], v[169:170], v[171:172], v[173:174]
	s_delay_alu instid0(VALU_DEP_1) | instskip(NEXT) | instid1(VALU_DEP_1)
	v_div_fixup_f64 v[169:170], v[169:170], v[152:153], v[154:155]
	v_fma_f64 v[152:153], v[154:155], v[169:170], v[152:153]
	s_delay_alu instid0(VALU_DEP_1) | instskip(NEXT) | instid1(VALU_DEP_1)
	v_div_scale_f64 v[154:155], null, v[152:153], v[152:153], 1.0
	v_rcp_f64_e32 v[171:172], v[154:155]
	s_waitcnt_depctr 0xfff
	v_fma_f64 v[173:174], -v[154:155], v[171:172], 1.0
	s_delay_alu instid0(VALU_DEP_1) | instskip(NEXT) | instid1(VALU_DEP_1)
	v_fma_f64 v[171:172], v[171:172], v[173:174], v[171:172]
	v_fma_f64 v[173:174], -v[154:155], v[171:172], 1.0
	s_delay_alu instid0(VALU_DEP_1) | instskip(SKIP_1) | instid1(VALU_DEP_1)
	v_fma_f64 v[171:172], v[171:172], v[173:174], v[171:172]
	v_div_scale_f64 v[173:174], vcc_lo, 1.0, v[152:153], 1.0
	v_mul_f64 v[175:176], v[173:174], v[171:172]
	s_delay_alu instid0(VALU_DEP_1) | instskip(NEXT) | instid1(VALU_DEP_1)
	v_fma_f64 v[154:155], -v[154:155], v[175:176], v[173:174]
	v_div_fmas_f64 v[154:155], v[154:155], v[171:172], v[175:176]
	s_delay_alu instid0(VALU_DEP_1) | instskip(NEXT) | instid1(VALU_DEP_1)
	v_div_fixup_f64 v[152:153], v[154:155], v[152:153], 1.0
	v_mul_f64 v[154:155], v[169:170], -v[152:153]
.LBB74_555:
	s_or_b32 exec_lo, exec_lo, s2
.LBB74_556:
	s_delay_alu instid0(SALU_CYCLE_1) | instskip(NEXT) | instid1(SALU_CYCLE_1)
	s_or_b32 exec_lo, exec_lo, s3
	s_mov_b32 s2, exec_lo
	v_cmpx_ne_u32_e64 v168, v160
	s_xor_b32 s2, exec_lo, s2
	s_cbranch_execz .LBB74_562
; %bb.557:
	s_mov_b32 s3, exec_lo
	v_cmpx_eq_u32_e32 26, v168
	s_cbranch_execz .LBB74_561
; %bb.558:
	v_cmp_ne_u32_e32 vcc_lo, 26, v160
	s_xor_b32 s6, s4, -1
	s_delay_alu instid0(SALU_CYCLE_1) | instskip(NEXT) | instid1(SALU_CYCLE_1)
	s_and_b32 s7, s6, vcc_lo
	s_and_saveexec_b32 s6, s7
	s_cbranch_execz .LBB74_560
; %bb.559:
	v_ashrrev_i32_e32 v161, 31, v160
	s_delay_alu instid0(VALU_DEP_1) | instskip(NEXT) | instid1(VALU_DEP_1)
	v_lshlrev_b64 v[167:168], 2, v[160:161]
	v_add_co_u32 v167, vcc_lo, v158, v167
	s_delay_alu instid0(VALU_DEP_2)
	v_add_co_ci_u32_e32 v168, vcc_lo, v159, v168, vcc_lo
	s_clause 0x1
	flat_load_b32 v161, v[167:168]
	flat_load_b32 v169, v[158:159] offset:104
	s_waitcnt vmcnt(1) lgkmcnt(1)
	flat_store_b32 v[158:159], v161 offset:104
	s_waitcnt vmcnt(0) lgkmcnt(1)
	flat_store_b32 v[167:168], v169
.LBB74_560:
	s_or_b32 exec_lo, exec_lo, s6
	v_mov_b32_e32 v168, v160
	v_mov_b32_e32 v167, v160
.LBB74_561:
	s_or_b32 exec_lo, exec_lo, s3
.LBB74_562:
	s_and_not1_saveexec_b32 s2, s2
	s_cbranch_execz .LBB74_564
; %bb.563:
	v_mov_b32_e32 v168, 26
	ds_store_2addr_b64 v162, v[40:41], v[42:43] offset0:54 offset1:55
	ds_store_2addr_b64 v162, v[36:37], v[38:39] offset0:56 offset1:57
	;; [unrolled: 1-line block ×11, first 2 shown]
.LBB74_564:
	s_or_b32 exec_lo, exec_lo, s2
	s_delay_alu instid0(SALU_CYCLE_1)
	s_mov_b32 s2, exec_lo
	s_waitcnt lgkmcnt(0)
	s_waitcnt_vscnt null, 0x0
	s_barrier
	buffer_gl0_inv
	v_cmpx_lt_i32_e32 26, v168
	s_cbranch_execz .LBB74_566
; %bb.565:
	v_mul_f64 v[160:161], v[152:153], v[46:47]
	v_mul_f64 v[46:47], v[154:155], v[46:47]
	ds_load_2addr_b64 v[169:172], v162 offset0:54 offset1:55
	ds_load_2addr_b64 v[173:176], v162 offset0:56 offset1:57
	;; [unrolled: 1-line block ×11, first 2 shown]
	v_fma_f64 v[154:155], v[154:155], v[44:45], v[160:161]
	v_fma_f64 v[44:45], v[152:153], v[44:45], -v[46:47]
	s_waitcnt lgkmcnt(10)
	s_delay_alu instid0(VALU_DEP_2)
	v_mul_f64 v[46:47], v[171:172], v[154:155]
	v_mul_f64 v[152:153], v[169:170], v[154:155]
	s_waitcnt lgkmcnt(9)
	v_mul_f64 v[160:161], v[175:176], v[154:155]
	v_mul_f64 v[213:214], v[173:174], v[154:155]
	s_waitcnt lgkmcnt(8)
	;; [unrolled: 3-line block ×10, first 2 shown]
	v_mul_f64 v[247:248], v[211:212], v[154:155]
	v_mul_f64 v[249:250], v[209:210], v[154:155]
	v_fma_f64 v[46:47], v[169:170], v[44:45], -v[46:47]
	v_fma_f64 v[152:153], v[171:172], v[44:45], v[152:153]
	v_fma_f64 v[160:161], v[173:174], v[44:45], -v[160:161]
	v_fma_f64 v[169:170], v[175:176], v[44:45], v[213:214]
	;; [unrolled: 2-line block ×11, first 2 shown]
	v_add_f64 v[40:41], v[40:41], -v[46:47]
	v_add_f64 v[42:43], v[42:43], -v[152:153]
	;; [unrolled: 1-line block ×22, first 2 shown]
	v_dual_mov_b32 v46, v154 :: v_dual_mov_b32 v47, v155
.LBB74_566:
	s_or_b32 exec_lo, exec_lo, s2
	v_lshl_add_u32 v152, v168, 4, v162
	s_barrier
	buffer_gl0_inv
	v_mov_b32_e32 v160, 27
	ds_store_2addr_b64 v152, v[40:41], v[42:43] offset1:1
	s_waitcnt lgkmcnt(0)
	s_barrier
	buffer_gl0_inv
	ds_load_2addr_b64 v[152:155], v162 offset0:54 offset1:55
	s_cmp_lt_i32 s5, 29
	s_cbranch_scc1 .LBB74_569
; %bb.567:
	v_add3_u32 v161, v166, 0, 0x1c0
	v_mov_b32_e32 v160, 27
	s_mov_b32 s6, 28
	s_set_inst_prefetch_distance 0x1
	.p2align	6
.LBB74_568:                             ; =>This Inner Loop Header: Depth=1
	ds_load_2addr_b64 v[169:172], v161 offset1:1
	s_waitcnt lgkmcnt(1)
	v_cmp_gt_f64_e32 vcc_lo, 0, v[152:153]
	v_xor_b32_e32 v173, 0x80000000, v153
	v_cmp_gt_f64_e64 s2, 0, v[154:155]
	v_xor_b32_e32 v175, 0x80000000, v155
	v_add_nc_u32_e32 v161, 16, v161
	s_waitcnt lgkmcnt(0)
	v_cmp_gt_f64_e64 s3, 0, v[169:170]
	v_mov_b32_e32 v177, v169
	v_dual_mov_b32 v179, v171 :: v_dual_cndmask_b32 v174, v153, v173
	v_xor_b32_e32 v173, 0x80000000, v170
	v_cndmask_b32_e64 v176, v155, v175, s2
	v_xor_b32_e32 v175, 0x80000000, v172
	s_delay_alu instid0(VALU_DEP_3) | instskip(SKIP_2) | instid1(VALU_DEP_2)
	v_cndmask_b32_e64 v178, v170, v173, s3
	v_cmp_gt_f64_e64 s3, 0, v[171:172]
	v_cndmask_b32_e32 v173, v152, v152, vcc_lo
	v_cndmask_b32_e64 v180, v172, v175, s3
	v_cndmask_b32_e64 v175, v154, v154, s2
	s_delay_alu instid0(VALU_DEP_2) | instskip(NEXT) | instid1(VALU_DEP_2)
	v_add_f64 v[177:178], v[177:178], v[179:180]
	v_add_f64 v[173:174], v[173:174], v[175:176]
	s_delay_alu instid0(VALU_DEP_1) | instskip(SKIP_4) | instid1(SALU_CYCLE_1)
	v_cmp_lt_f64_e32 vcc_lo, v[173:174], v[177:178]
	v_dual_cndmask_b32 v154, v154, v171 :: v_dual_cndmask_b32 v153, v153, v170
	v_dual_cndmask_b32 v152, v152, v169 :: v_dual_cndmask_b32 v155, v155, v172
	v_cndmask_b32_e64 v160, v160, s6, vcc_lo
	s_add_i32 s6, s6, 1
	s_cmp_lg_u32 s5, s6
	s_cbranch_scc1 .LBB74_568
.LBB74_569:
	s_set_inst_prefetch_distance 0x2
	s_waitcnt lgkmcnt(0)
	v_cmp_eq_f64_e32 vcc_lo, 0, v[152:153]
	v_cmp_eq_f64_e64 s2, 0, v[154:155]
	s_delay_alu instid0(VALU_DEP_1) | instskip(NEXT) | instid1(SALU_CYCLE_1)
	s_and_b32 s2, vcc_lo, s2
	s_and_saveexec_b32 s3, s2
	s_delay_alu instid0(SALU_CYCLE_1)
	s_xor_b32 s2, exec_lo, s3
; %bb.570:
	v_cmp_ne_u32_e32 vcc_lo, 0, v165
	v_cndmask_b32_e32 v165, 28, v165, vcc_lo
; %bb.571:
	s_and_not1_saveexec_b32 s3, s2
	s_cbranch_execz .LBB74_577
; %bb.572:
	v_cmp_gt_f64_e32 vcc_lo, 0, v[152:153]
	v_cmp_gt_f64_e64 s2, 0, v[154:155]
	v_xor_b32_e32 v161, 0x80000000, v153
	v_xor_b32_e32 v169, 0x80000000, v155
	s_delay_alu instid0(VALU_DEP_2) | instskip(NEXT) | instid1(VALU_DEP_2)
	v_cndmask_b32_e32 v170, v153, v161, vcc_lo
	v_cndmask_b32_e64 v172, v155, v169, s2
	v_cndmask_b32_e32 v169, v152, v152, vcc_lo
	v_cndmask_b32_e64 v171, v154, v154, s2
	s_mov_b32 s2, exec_lo
	s_delay_alu instid0(VALU_DEP_1)
	v_cmpx_ngt_f64_e32 v[169:170], v[171:172]
	s_xor_b32 s2, exec_lo, s2
	s_cbranch_execz .LBB74_574
; %bb.573:
	v_div_scale_f64 v[169:170], null, v[154:155], v[154:155], v[152:153]
	v_div_scale_f64 v[175:176], vcc_lo, v[152:153], v[154:155], v[152:153]
	s_delay_alu instid0(VALU_DEP_2) | instskip(SKIP_2) | instid1(VALU_DEP_1)
	v_rcp_f64_e32 v[171:172], v[169:170]
	s_waitcnt_depctr 0xfff
	v_fma_f64 v[173:174], -v[169:170], v[171:172], 1.0
	v_fma_f64 v[171:172], v[171:172], v[173:174], v[171:172]
	s_delay_alu instid0(VALU_DEP_1) | instskip(NEXT) | instid1(VALU_DEP_1)
	v_fma_f64 v[173:174], -v[169:170], v[171:172], 1.0
	v_fma_f64 v[171:172], v[171:172], v[173:174], v[171:172]
	s_delay_alu instid0(VALU_DEP_1) | instskip(NEXT) | instid1(VALU_DEP_1)
	v_mul_f64 v[173:174], v[175:176], v[171:172]
	v_fma_f64 v[169:170], -v[169:170], v[173:174], v[175:176]
	s_delay_alu instid0(VALU_DEP_1) | instskip(NEXT) | instid1(VALU_DEP_1)
	v_div_fmas_f64 v[169:170], v[169:170], v[171:172], v[173:174]
	v_div_fixup_f64 v[169:170], v[169:170], v[154:155], v[152:153]
	s_delay_alu instid0(VALU_DEP_1) | instskip(NEXT) | instid1(VALU_DEP_1)
	v_fma_f64 v[152:153], v[152:153], v[169:170], v[154:155]
	v_div_scale_f64 v[154:155], null, v[152:153], v[152:153], 1.0
	s_delay_alu instid0(VALU_DEP_1) | instskip(SKIP_2) | instid1(VALU_DEP_1)
	v_rcp_f64_e32 v[171:172], v[154:155]
	s_waitcnt_depctr 0xfff
	v_fma_f64 v[173:174], -v[154:155], v[171:172], 1.0
	v_fma_f64 v[171:172], v[171:172], v[173:174], v[171:172]
	s_delay_alu instid0(VALU_DEP_1) | instskip(NEXT) | instid1(VALU_DEP_1)
	v_fma_f64 v[173:174], -v[154:155], v[171:172], 1.0
	v_fma_f64 v[171:172], v[171:172], v[173:174], v[171:172]
	v_div_scale_f64 v[173:174], vcc_lo, 1.0, v[152:153], 1.0
	s_delay_alu instid0(VALU_DEP_1) | instskip(NEXT) | instid1(VALU_DEP_1)
	v_mul_f64 v[175:176], v[173:174], v[171:172]
	v_fma_f64 v[154:155], -v[154:155], v[175:176], v[173:174]
	s_delay_alu instid0(VALU_DEP_1) | instskip(NEXT) | instid1(VALU_DEP_1)
	v_div_fmas_f64 v[154:155], v[154:155], v[171:172], v[175:176]
	v_div_fixup_f64 v[154:155], v[154:155], v[152:153], 1.0
	s_delay_alu instid0(VALU_DEP_1)
	v_mul_f64 v[152:153], v[169:170], v[154:155]
	v_xor_b32_e32 v155, 0x80000000, v155
.LBB74_574:
	s_and_not1_saveexec_b32 s2, s2
	s_cbranch_execz .LBB74_576
; %bb.575:
	s_delay_alu instid0(VALU_DEP_1) | instskip(SKIP_1) | instid1(VALU_DEP_2)
	v_div_scale_f64 v[169:170], null, v[152:153], v[152:153], v[154:155]
	v_div_scale_f64 v[175:176], vcc_lo, v[154:155], v[152:153], v[154:155]
	v_rcp_f64_e32 v[171:172], v[169:170]
	s_waitcnt_depctr 0xfff
	v_fma_f64 v[173:174], -v[169:170], v[171:172], 1.0
	s_delay_alu instid0(VALU_DEP_1) | instskip(NEXT) | instid1(VALU_DEP_1)
	v_fma_f64 v[171:172], v[171:172], v[173:174], v[171:172]
	v_fma_f64 v[173:174], -v[169:170], v[171:172], 1.0
	s_delay_alu instid0(VALU_DEP_1) | instskip(NEXT) | instid1(VALU_DEP_1)
	v_fma_f64 v[171:172], v[171:172], v[173:174], v[171:172]
	v_mul_f64 v[173:174], v[175:176], v[171:172]
	s_delay_alu instid0(VALU_DEP_1) | instskip(NEXT) | instid1(VALU_DEP_1)
	v_fma_f64 v[169:170], -v[169:170], v[173:174], v[175:176]
	v_div_fmas_f64 v[169:170], v[169:170], v[171:172], v[173:174]
	s_delay_alu instid0(VALU_DEP_1) | instskip(NEXT) | instid1(VALU_DEP_1)
	v_div_fixup_f64 v[169:170], v[169:170], v[152:153], v[154:155]
	v_fma_f64 v[152:153], v[154:155], v[169:170], v[152:153]
	s_delay_alu instid0(VALU_DEP_1) | instskip(NEXT) | instid1(VALU_DEP_1)
	v_div_scale_f64 v[154:155], null, v[152:153], v[152:153], 1.0
	v_rcp_f64_e32 v[171:172], v[154:155]
	s_waitcnt_depctr 0xfff
	v_fma_f64 v[173:174], -v[154:155], v[171:172], 1.0
	s_delay_alu instid0(VALU_DEP_1) | instskip(NEXT) | instid1(VALU_DEP_1)
	v_fma_f64 v[171:172], v[171:172], v[173:174], v[171:172]
	v_fma_f64 v[173:174], -v[154:155], v[171:172], 1.0
	s_delay_alu instid0(VALU_DEP_1) | instskip(SKIP_1) | instid1(VALU_DEP_1)
	v_fma_f64 v[171:172], v[171:172], v[173:174], v[171:172]
	v_div_scale_f64 v[173:174], vcc_lo, 1.0, v[152:153], 1.0
	v_mul_f64 v[175:176], v[173:174], v[171:172]
	s_delay_alu instid0(VALU_DEP_1) | instskip(NEXT) | instid1(VALU_DEP_1)
	v_fma_f64 v[154:155], -v[154:155], v[175:176], v[173:174]
	v_div_fmas_f64 v[154:155], v[154:155], v[171:172], v[175:176]
	s_delay_alu instid0(VALU_DEP_1) | instskip(NEXT) | instid1(VALU_DEP_1)
	v_div_fixup_f64 v[152:153], v[154:155], v[152:153], 1.0
	v_mul_f64 v[154:155], v[169:170], -v[152:153]
.LBB74_576:
	s_or_b32 exec_lo, exec_lo, s2
.LBB74_577:
	s_delay_alu instid0(SALU_CYCLE_1) | instskip(NEXT) | instid1(SALU_CYCLE_1)
	s_or_b32 exec_lo, exec_lo, s3
	s_mov_b32 s2, exec_lo
	v_cmpx_ne_u32_e64 v168, v160
	s_xor_b32 s2, exec_lo, s2
	s_cbranch_execz .LBB74_583
; %bb.578:
	s_mov_b32 s3, exec_lo
	v_cmpx_eq_u32_e32 27, v168
	s_cbranch_execz .LBB74_582
; %bb.579:
	v_cmp_ne_u32_e32 vcc_lo, 27, v160
	s_xor_b32 s6, s4, -1
	s_delay_alu instid0(SALU_CYCLE_1) | instskip(NEXT) | instid1(SALU_CYCLE_1)
	s_and_b32 s7, s6, vcc_lo
	s_and_saveexec_b32 s6, s7
	s_cbranch_execz .LBB74_581
; %bb.580:
	v_ashrrev_i32_e32 v161, 31, v160
	s_delay_alu instid0(VALU_DEP_1) | instskip(NEXT) | instid1(VALU_DEP_1)
	v_lshlrev_b64 v[167:168], 2, v[160:161]
	v_add_co_u32 v167, vcc_lo, v158, v167
	s_delay_alu instid0(VALU_DEP_2)
	v_add_co_ci_u32_e32 v168, vcc_lo, v159, v168, vcc_lo
	s_clause 0x1
	flat_load_b32 v161, v[167:168]
	flat_load_b32 v169, v[158:159] offset:108
	s_waitcnt vmcnt(1) lgkmcnt(1)
	flat_store_b32 v[158:159], v161 offset:108
	s_waitcnt vmcnt(0) lgkmcnt(1)
	flat_store_b32 v[167:168], v169
.LBB74_581:
	s_or_b32 exec_lo, exec_lo, s6
	v_mov_b32_e32 v168, v160
	v_mov_b32_e32 v167, v160
.LBB74_582:
	s_or_b32 exec_lo, exec_lo, s3
.LBB74_583:
	s_and_not1_saveexec_b32 s2, s2
	s_cbranch_execz .LBB74_585
; %bb.584:
	v_mov_b32_e32 v168, 27
	ds_store_2addr_b64 v162, v[36:37], v[38:39] offset0:56 offset1:57
	ds_store_2addr_b64 v162, v[32:33], v[34:35] offset0:58 offset1:59
	;; [unrolled: 1-line block ×10, first 2 shown]
.LBB74_585:
	s_or_b32 exec_lo, exec_lo, s2
	s_delay_alu instid0(SALU_CYCLE_1)
	s_mov_b32 s2, exec_lo
	s_waitcnt lgkmcnt(0)
	s_waitcnt_vscnt null, 0x0
	s_barrier
	buffer_gl0_inv
	v_cmpx_lt_i32_e32 27, v168
	s_cbranch_execz .LBB74_587
; %bb.586:
	v_mul_f64 v[160:161], v[152:153], v[42:43]
	v_mul_f64 v[42:43], v[154:155], v[42:43]
	ds_load_2addr_b64 v[169:172], v162 offset0:56 offset1:57
	ds_load_2addr_b64 v[173:176], v162 offset0:58 offset1:59
	;; [unrolled: 1-line block ×10, first 2 shown]
	v_fma_f64 v[154:155], v[154:155], v[40:41], v[160:161]
	v_fma_f64 v[40:41], v[152:153], v[40:41], -v[42:43]
	s_waitcnt lgkmcnt(9)
	s_delay_alu instid0(VALU_DEP_2)
	v_mul_f64 v[42:43], v[171:172], v[154:155]
	v_mul_f64 v[152:153], v[169:170], v[154:155]
	s_waitcnt lgkmcnt(8)
	v_mul_f64 v[160:161], v[175:176], v[154:155]
	v_mul_f64 v[209:210], v[173:174], v[154:155]
	s_waitcnt lgkmcnt(7)
	;; [unrolled: 3-line block ×9, first 2 shown]
	v_mul_f64 v[239:240], v[207:208], v[154:155]
	v_mul_f64 v[241:242], v[205:206], v[154:155]
	v_fma_f64 v[42:43], v[169:170], v[40:41], -v[42:43]
	v_fma_f64 v[152:153], v[171:172], v[40:41], v[152:153]
	v_fma_f64 v[160:161], v[173:174], v[40:41], -v[160:161]
	v_fma_f64 v[169:170], v[175:176], v[40:41], v[209:210]
	;; [unrolled: 2-line block ×10, first 2 shown]
	v_add_f64 v[36:37], v[36:37], -v[42:43]
	v_add_f64 v[38:39], v[38:39], -v[152:153]
	;; [unrolled: 1-line block ×20, first 2 shown]
	v_dual_mov_b32 v42, v154 :: v_dual_mov_b32 v43, v155
.LBB74_587:
	s_or_b32 exec_lo, exec_lo, s2
	v_lshl_add_u32 v152, v168, 4, v162
	s_barrier
	buffer_gl0_inv
	v_mov_b32_e32 v160, 28
	ds_store_2addr_b64 v152, v[36:37], v[38:39] offset1:1
	s_waitcnt lgkmcnt(0)
	s_barrier
	buffer_gl0_inv
	ds_load_2addr_b64 v[152:155], v162 offset0:56 offset1:57
	s_cmp_lt_i32 s5, 30
	s_cbranch_scc1 .LBB74_590
; %bb.588:
	v_add3_u32 v161, v166, 0, 0x1d0
	v_mov_b32_e32 v160, 28
	s_mov_b32 s6, 29
	s_set_inst_prefetch_distance 0x1
	.p2align	6
.LBB74_589:                             ; =>This Inner Loop Header: Depth=1
	ds_load_2addr_b64 v[169:172], v161 offset1:1
	s_waitcnt lgkmcnt(1)
	v_cmp_gt_f64_e32 vcc_lo, 0, v[152:153]
	v_xor_b32_e32 v173, 0x80000000, v153
	v_cmp_gt_f64_e64 s2, 0, v[154:155]
	v_xor_b32_e32 v175, 0x80000000, v155
	v_add_nc_u32_e32 v161, 16, v161
	s_waitcnt lgkmcnt(0)
	v_cmp_gt_f64_e64 s3, 0, v[169:170]
	v_mov_b32_e32 v177, v169
	v_dual_mov_b32 v179, v171 :: v_dual_cndmask_b32 v174, v153, v173
	v_xor_b32_e32 v173, 0x80000000, v170
	v_cndmask_b32_e64 v176, v155, v175, s2
	v_xor_b32_e32 v175, 0x80000000, v172
	s_delay_alu instid0(VALU_DEP_3) | instskip(SKIP_2) | instid1(VALU_DEP_2)
	v_cndmask_b32_e64 v178, v170, v173, s3
	v_cmp_gt_f64_e64 s3, 0, v[171:172]
	v_cndmask_b32_e32 v173, v152, v152, vcc_lo
	v_cndmask_b32_e64 v180, v172, v175, s3
	v_cndmask_b32_e64 v175, v154, v154, s2
	s_delay_alu instid0(VALU_DEP_2) | instskip(NEXT) | instid1(VALU_DEP_2)
	v_add_f64 v[177:178], v[177:178], v[179:180]
	v_add_f64 v[173:174], v[173:174], v[175:176]
	s_delay_alu instid0(VALU_DEP_1) | instskip(SKIP_4) | instid1(SALU_CYCLE_1)
	v_cmp_lt_f64_e32 vcc_lo, v[173:174], v[177:178]
	v_dual_cndmask_b32 v154, v154, v171 :: v_dual_cndmask_b32 v153, v153, v170
	v_dual_cndmask_b32 v152, v152, v169 :: v_dual_cndmask_b32 v155, v155, v172
	v_cndmask_b32_e64 v160, v160, s6, vcc_lo
	s_add_i32 s6, s6, 1
	s_cmp_lg_u32 s5, s6
	s_cbranch_scc1 .LBB74_589
.LBB74_590:
	s_set_inst_prefetch_distance 0x2
	s_waitcnt lgkmcnt(0)
	v_cmp_eq_f64_e32 vcc_lo, 0, v[152:153]
	v_cmp_eq_f64_e64 s2, 0, v[154:155]
	s_delay_alu instid0(VALU_DEP_1) | instskip(NEXT) | instid1(SALU_CYCLE_1)
	s_and_b32 s2, vcc_lo, s2
	s_and_saveexec_b32 s3, s2
	s_delay_alu instid0(SALU_CYCLE_1)
	s_xor_b32 s2, exec_lo, s3
; %bb.591:
	v_cmp_ne_u32_e32 vcc_lo, 0, v165
	v_cndmask_b32_e32 v165, 29, v165, vcc_lo
; %bb.592:
	s_and_not1_saveexec_b32 s3, s2
	s_cbranch_execz .LBB74_598
; %bb.593:
	v_cmp_gt_f64_e32 vcc_lo, 0, v[152:153]
	v_cmp_gt_f64_e64 s2, 0, v[154:155]
	v_xor_b32_e32 v161, 0x80000000, v153
	v_xor_b32_e32 v169, 0x80000000, v155
	s_delay_alu instid0(VALU_DEP_2) | instskip(NEXT) | instid1(VALU_DEP_2)
	v_cndmask_b32_e32 v170, v153, v161, vcc_lo
	v_cndmask_b32_e64 v172, v155, v169, s2
	v_cndmask_b32_e32 v169, v152, v152, vcc_lo
	v_cndmask_b32_e64 v171, v154, v154, s2
	s_mov_b32 s2, exec_lo
	s_delay_alu instid0(VALU_DEP_1)
	v_cmpx_ngt_f64_e32 v[169:170], v[171:172]
	s_xor_b32 s2, exec_lo, s2
	s_cbranch_execz .LBB74_595
; %bb.594:
	v_div_scale_f64 v[169:170], null, v[154:155], v[154:155], v[152:153]
	v_div_scale_f64 v[175:176], vcc_lo, v[152:153], v[154:155], v[152:153]
	s_delay_alu instid0(VALU_DEP_2) | instskip(SKIP_2) | instid1(VALU_DEP_1)
	v_rcp_f64_e32 v[171:172], v[169:170]
	s_waitcnt_depctr 0xfff
	v_fma_f64 v[173:174], -v[169:170], v[171:172], 1.0
	v_fma_f64 v[171:172], v[171:172], v[173:174], v[171:172]
	s_delay_alu instid0(VALU_DEP_1) | instskip(NEXT) | instid1(VALU_DEP_1)
	v_fma_f64 v[173:174], -v[169:170], v[171:172], 1.0
	v_fma_f64 v[171:172], v[171:172], v[173:174], v[171:172]
	s_delay_alu instid0(VALU_DEP_1) | instskip(NEXT) | instid1(VALU_DEP_1)
	v_mul_f64 v[173:174], v[175:176], v[171:172]
	v_fma_f64 v[169:170], -v[169:170], v[173:174], v[175:176]
	s_delay_alu instid0(VALU_DEP_1) | instskip(NEXT) | instid1(VALU_DEP_1)
	v_div_fmas_f64 v[169:170], v[169:170], v[171:172], v[173:174]
	v_div_fixup_f64 v[169:170], v[169:170], v[154:155], v[152:153]
	s_delay_alu instid0(VALU_DEP_1) | instskip(NEXT) | instid1(VALU_DEP_1)
	v_fma_f64 v[152:153], v[152:153], v[169:170], v[154:155]
	v_div_scale_f64 v[154:155], null, v[152:153], v[152:153], 1.0
	s_delay_alu instid0(VALU_DEP_1) | instskip(SKIP_2) | instid1(VALU_DEP_1)
	v_rcp_f64_e32 v[171:172], v[154:155]
	s_waitcnt_depctr 0xfff
	v_fma_f64 v[173:174], -v[154:155], v[171:172], 1.0
	v_fma_f64 v[171:172], v[171:172], v[173:174], v[171:172]
	s_delay_alu instid0(VALU_DEP_1) | instskip(NEXT) | instid1(VALU_DEP_1)
	v_fma_f64 v[173:174], -v[154:155], v[171:172], 1.0
	v_fma_f64 v[171:172], v[171:172], v[173:174], v[171:172]
	v_div_scale_f64 v[173:174], vcc_lo, 1.0, v[152:153], 1.0
	s_delay_alu instid0(VALU_DEP_1) | instskip(NEXT) | instid1(VALU_DEP_1)
	v_mul_f64 v[175:176], v[173:174], v[171:172]
	v_fma_f64 v[154:155], -v[154:155], v[175:176], v[173:174]
	s_delay_alu instid0(VALU_DEP_1) | instskip(NEXT) | instid1(VALU_DEP_1)
	v_div_fmas_f64 v[154:155], v[154:155], v[171:172], v[175:176]
	v_div_fixup_f64 v[154:155], v[154:155], v[152:153], 1.0
	s_delay_alu instid0(VALU_DEP_1)
	v_mul_f64 v[152:153], v[169:170], v[154:155]
	v_xor_b32_e32 v155, 0x80000000, v155
.LBB74_595:
	s_and_not1_saveexec_b32 s2, s2
	s_cbranch_execz .LBB74_597
; %bb.596:
	s_delay_alu instid0(VALU_DEP_1) | instskip(SKIP_1) | instid1(VALU_DEP_2)
	v_div_scale_f64 v[169:170], null, v[152:153], v[152:153], v[154:155]
	v_div_scale_f64 v[175:176], vcc_lo, v[154:155], v[152:153], v[154:155]
	v_rcp_f64_e32 v[171:172], v[169:170]
	s_waitcnt_depctr 0xfff
	v_fma_f64 v[173:174], -v[169:170], v[171:172], 1.0
	s_delay_alu instid0(VALU_DEP_1) | instskip(NEXT) | instid1(VALU_DEP_1)
	v_fma_f64 v[171:172], v[171:172], v[173:174], v[171:172]
	v_fma_f64 v[173:174], -v[169:170], v[171:172], 1.0
	s_delay_alu instid0(VALU_DEP_1) | instskip(NEXT) | instid1(VALU_DEP_1)
	v_fma_f64 v[171:172], v[171:172], v[173:174], v[171:172]
	v_mul_f64 v[173:174], v[175:176], v[171:172]
	s_delay_alu instid0(VALU_DEP_1) | instskip(NEXT) | instid1(VALU_DEP_1)
	v_fma_f64 v[169:170], -v[169:170], v[173:174], v[175:176]
	v_div_fmas_f64 v[169:170], v[169:170], v[171:172], v[173:174]
	s_delay_alu instid0(VALU_DEP_1) | instskip(NEXT) | instid1(VALU_DEP_1)
	v_div_fixup_f64 v[169:170], v[169:170], v[152:153], v[154:155]
	v_fma_f64 v[152:153], v[154:155], v[169:170], v[152:153]
	s_delay_alu instid0(VALU_DEP_1) | instskip(NEXT) | instid1(VALU_DEP_1)
	v_div_scale_f64 v[154:155], null, v[152:153], v[152:153], 1.0
	v_rcp_f64_e32 v[171:172], v[154:155]
	s_waitcnt_depctr 0xfff
	v_fma_f64 v[173:174], -v[154:155], v[171:172], 1.0
	s_delay_alu instid0(VALU_DEP_1) | instskip(NEXT) | instid1(VALU_DEP_1)
	v_fma_f64 v[171:172], v[171:172], v[173:174], v[171:172]
	v_fma_f64 v[173:174], -v[154:155], v[171:172], 1.0
	s_delay_alu instid0(VALU_DEP_1) | instskip(SKIP_1) | instid1(VALU_DEP_1)
	v_fma_f64 v[171:172], v[171:172], v[173:174], v[171:172]
	v_div_scale_f64 v[173:174], vcc_lo, 1.0, v[152:153], 1.0
	v_mul_f64 v[175:176], v[173:174], v[171:172]
	s_delay_alu instid0(VALU_DEP_1) | instskip(NEXT) | instid1(VALU_DEP_1)
	v_fma_f64 v[154:155], -v[154:155], v[175:176], v[173:174]
	v_div_fmas_f64 v[154:155], v[154:155], v[171:172], v[175:176]
	s_delay_alu instid0(VALU_DEP_1) | instskip(NEXT) | instid1(VALU_DEP_1)
	v_div_fixup_f64 v[152:153], v[154:155], v[152:153], 1.0
	v_mul_f64 v[154:155], v[169:170], -v[152:153]
.LBB74_597:
	s_or_b32 exec_lo, exec_lo, s2
.LBB74_598:
	s_delay_alu instid0(SALU_CYCLE_1) | instskip(NEXT) | instid1(SALU_CYCLE_1)
	s_or_b32 exec_lo, exec_lo, s3
	s_mov_b32 s2, exec_lo
	v_cmpx_ne_u32_e64 v168, v160
	s_xor_b32 s2, exec_lo, s2
	s_cbranch_execz .LBB74_604
; %bb.599:
	s_mov_b32 s3, exec_lo
	v_cmpx_eq_u32_e32 28, v168
	s_cbranch_execz .LBB74_603
; %bb.600:
	v_cmp_ne_u32_e32 vcc_lo, 28, v160
	s_xor_b32 s6, s4, -1
	s_delay_alu instid0(SALU_CYCLE_1) | instskip(NEXT) | instid1(SALU_CYCLE_1)
	s_and_b32 s7, s6, vcc_lo
	s_and_saveexec_b32 s6, s7
	s_cbranch_execz .LBB74_602
; %bb.601:
	v_ashrrev_i32_e32 v161, 31, v160
	s_delay_alu instid0(VALU_DEP_1) | instskip(NEXT) | instid1(VALU_DEP_1)
	v_lshlrev_b64 v[167:168], 2, v[160:161]
	v_add_co_u32 v167, vcc_lo, v158, v167
	s_delay_alu instid0(VALU_DEP_2)
	v_add_co_ci_u32_e32 v168, vcc_lo, v159, v168, vcc_lo
	s_clause 0x1
	flat_load_b32 v161, v[167:168]
	flat_load_b32 v169, v[158:159] offset:112
	s_waitcnt vmcnt(1) lgkmcnt(1)
	flat_store_b32 v[158:159], v161 offset:112
	s_waitcnt vmcnt(0) lgkmcnt(1)
	flat_store_b32 v[167:168], v169
.LBB74_602:
	s_or_b32 exec_lo, exec_lo, s6
	v_mov_b32_e32 v168, v160
	v_mov_b32_e32 v167, v160
.LBB74_603:
	s_or_b32 exec_lo, exec_lo, s3
.LBB74_604:
	s_and_not1_saveexec_b32 s2, s2
	s_cbranch_execz .LBB74_606
; %bb.605:
	v_mov_b32_e32 v168, 28
	ds_store_2addr_b64 v162, v[32:33], v[34:35] offset0:58 offset1:59
	ds_store_2addr_b64 v162, v[28:29], v[30:31] offset0:60 offset1:61
	ds_store_2addr_b64 v162, v[24:25], v[26:27] offset0:62 offset1:63
	ds_store_2addr_b64 v162, v[20:21], v[22:23] offset0:64 offset1:65
	ds_store_2addr_b64 v162, v[16:17], v[18:19] offset0:66 offset1:67
	ds_store_2addr_b64 v162, v[12:13], v[14:15] offset0:68 offset1:69
	ds_store_2addr_b64 v162, v[8:9], v[10:11] offset0:70 offset1:71
	ds_store_2addr_b64 v162, v[4:5], v[6:7] offset0:72 offset1:73
	ds_store_2addr_b64 v162, v[0:1], v[2:3] offset0:74 offset1:75
.LBB74_606:
	s_or_b32 exec_lo, exec_lo, s2
	s_delay_alu instid0(SALU_CYCLE_1)
	s_mov_b32 s2, exec_lo
	s_waitcnt lgkmcnt(0)
	s_waitcnt_vscnt null, 0x0
	s_barrier
	buffer_gl0_inv
	v_cmpx_lt_i32_e32 28, v168
	s_cbranch_execz .LBB74_608
; %bb.607:
	v_mul_f64 v[160:161], v[152:153], v[38:39]
	v_mul_f64 v[38:39], v[154:155], v[38:39]
	ds_load_2addr_b64 v[169:172], v162 offset0:58 offset1:59
	ds_load_2addr_b64 v[173:176], v162 offset0:60 offset1:61
	;; [unrolled: 1-line block ×9, first 2 shown]
	v_fma_f64 v[154:155], v[154:155], v[36:37], v[160:161]
	v_fma_f64 v[36:37], v[152:153], v[36:37], -v[38:39]
	s_waitcnt lgkmcnt(8)
	s_delay_alu instid0(VALU_DEP_2)
	v_mul_f64 v[38:39], v[171:172], v[154:155]
	v_mul_f64 v[152:153], v[169:170], v[154:155]
	s_waitcnt lgkmcnt(7)
	v_mul_f64 v[160:161], v[175:176], v[154:155]
	v_mul_f64 v[205:206], v[173:174], v[154:155]
	s_waitcnt lgkmcnt(6)
	v_mul_f64 v[207:208], v[179:180], v[154:155]
	v_mul_f64 v[209:210], v[177:178], v[154:155]
	s_waitcnt lgkmcnt(5)
	v_mul_f64 v[211:212], v[183:184], v[154:155]
	v_mul_f64 v[213:214], v[181:182], v[154:155]
	s_waitcnt lgkmcnt(4)
	v_mul_f64 v[215:216], v[187:188], v[154:155]
	v_mul_f64 v[217:218], v[185:186], v[154:155]
	s_waitcnt lgkmcnt(3)
	v_mul_f64 v[219:220], v[191:192], v[154:155]
	v_mul_f64 v[221:222], v[189:190], v[154:155]
	s_waitcnt lgkmcnt(2)
	v_mul_f64 v[223:224], v[195:196], v[154:155]
	v_mul_f64 v[225:226], v[193:194], v[154:155]
	s_waitcnt lgkmcnt(1)
	v_mul_f64 v[227:228], v[199:200], v[154:155]
	v_mul_f64 v[229:230], v[197:198], v[154:155]
	s_waitcnt lgkmcnt(0)
	v_mul_f64 v[231:232], v[203:204], v[154:155]
	v_mul_f64 v[233:234], v[201:202], v[154:155]
	v_fma_f64 v[38:39], v[169:170], v[36:37], -v[38:39]
	v_fma_f64 v[152:153], v[171:172], v[36:37], v[152:153]
	v_fma_f64 v[160:161], v[173:174], v[36:37], -v[160:161]
	v_fma_f64 v[169:170], v[175:176], v[36:37], v[205:206]
	;; [unrolled: 2-line block ×9, first 2 shown]
	v_add_f64 v[32:33], v[32:33], -v[38:39]
	v_add_f64 v[34:35], v[34:35], -v[152:153]
	;; [unrolled: 1-line block ×18, first 2 shown]
	v_dual_mov_b32 v38, v154 :: v_dual_mov_b32 v39, v155
.LBB74_608:
	s_or_b32 exec_lo, exec_lo, s2
	v_lshl_add_u32 v152, v168, 4, v162
	s_barrier
	buffer_gl0_inv
	v_mov_b32_e32 v160, 29
	ds_store_2addr_b64 v152, v[32:33], v[34:35] offset1:1
	s_waitcnt lgkmcnt(0)
	s_barrier
	buffer_gl0_inv
	ds_load_2addr_b64 v[152:155], v162 offset0:58 offset1:59
	s_cmp_lt_i32 s5, 31
	s_cbranch_scc1 .LBB74_611
; %bb.609:
	v_add3_u32 v161, v166, 0, 0x1e0
	v_mov_b32_e32 v160, 29
	s_mov_b32 s6, 30
	s_set_inst_prefetch_distance 0x1
	.p2align	6
.LBB74_610:                             ; =>This Inner Loop Header: Depth=1
	ds_load_2addr_b64 v[169:172], v161 offset1:1
	s_waitcnt lgkmcnt(1)
	v_cmp_gt_f64_e32 vcc_lo, 0, v[152:153]
	v_xor_b32_e32 v173, 0x80000000, v153
	v_cmp_gt_f64_e64 s2, 0, v[154:155]
	v_xor_b32_e32 v175, 0x80000000, v155
	v_add_nc_u32_e32 v161, 16, v161
	s_waitcnt lgkmcnt(0)
	v_cmp_gt_f64_e64 s3, 0, v[169:170]
	v_mov_b32_e32 v177, v169
	v_dual_mov_b32 v179, v171 :: v_dual_cndmask_b32 v174, v153, v173
	v_xor_b32_e32 v173, 0x80000000, v170
	v_cndmask_b32_e64 v176, v155, v175, s2
	v_xor_b32_e32 v175, 0x80000000, v172
	s_delay_alu instid0(VALU_DEP_3) | instskip(SKIP_2) | instid1(VALU_DEP_2)
	v_cndmask_b32_e64 v178, v170, v173, s3
	v_cmp_gt_f64_e64 s3, 0, v[171:172]
	v_cndmask_b32_e32 v173, v152, v152, vcc_lo
	v_cndmask_b32_e64 v180, v172, v175, s3
	v_cndmask_b32_e64 v175, v154, v154, s2
	s_delay_alu instid0(VALU_DEP_2) | instskip(NEXT) | instid1(VALU_DEP_2)
	v_add_f64 v[177:178], v[177:178], v[179:180]
	v_add_f64 v[173:174], v[173:174], v[175:176]
	s_delay_alu instid0(VALU_DEP_1) | instskip(SKIP_4) | instid1(SALU_CYCLE_1)
	v_cmp_lt_f64_e32 vcc_lo, v[173:174], v[177:178]
	v_dual_cndmask_b32 v154, v154, v171 :: v_dual_cndmask_b32 v153, v153, v170
	v_dual_cndmask_b32 v152, v152, v169 :: v_dual_cndmask_b32 v155, v155, v172
	v_cndmask_b32_e64 v160, v160, s6, vcc_lo
	s_add_i32 s6, s6, 1
	s_cmp_lg_u32 s5, s6
	s_cbranch_scc1 .LBB74_610
.LBB74_611:
	s_set_inst_prefetch_distance 0x2
	s_waitcnt lgkmcnt(0)
	v_cmp_eq_f64_e32 vcc_lo, 0, v[152:153]
	v_cmp_eq_f64_e64 s2, 0, v[154:155]
	s_delay_alu instid0(VALU_DEP_1) | instskip(NEXT) | instid1(SALU_CYCLE_1)
	s_and_b32 s2, vcc_lo, s2
	s_and_saveexec_b32 s3, s2
	s_delay_alu instid0(SALU_CYCLE_1)
	s_xor_b32 s2, exec_lo, s3
; %bb.612:
	v_cmp_ne_u32_e32 vcc_lo, 0, v165
	v_cndmask_b32_e32 v165, 30, v165, vcc_lo
; %bb.613:
	s_and_not1_saveexec_b32 s3, s2
	s_cbranch_execz .LBB74_619
; %bb.614:
	v_cmp_gt_f64_e32 vcc_lo, 0, v[152:153]
	v_cmp_gt_f64_e64 s2, 0, v[154:155]
	v_xor_b32_e32 v161, 0x80000000, v153
	v_xor_b32_e32 v169, 0x80000000, v155
	s_delay_alu instid0(VALU_DEP_2) | instskip(NEXT) | instid1(VALU_DEP_2)
	v_cndmask_b32_e32 v170, v153, v161, vcc_lo
	v_cndmask_b32_e64 v172, v155, v169, s2
	v_cndmask_b32_e32 v169, v152, v152, vcc_lo
	v_cndmask_b32_e64 v171, v154, v154, s2
	s_mov_b32 s2, exec_lo
	s_delay_alu instid0(VALU_DEP_1)
	v_cmpx_ngt_f64_e32 v[169:170], v[171:172]
	s_xor_b32 s2, exec_lo, s2
	s_cbranch_execz .LBB74_616
; %bb.615:
	v_div_scale_f64 v[169:170], null, v[154:155], v[154:155], v[152:153]
	v_div_scale_f64 v[175:176], vcc_lo, v[152:153], v[154:155], v[152:153]
	s_delay_alu instid0(VALU_DEP_2) | instskip(SKIP_2) | instid1(VALU_DEP_1)
	v_rcp_f64_e32 v[171:172], v[169:170]
	s_waitcnt_depctr 0xfff
	v_fma_f64 v[173:174], -v[169:170], v[171:172], 1.0
	v_fma_f64 v[171:172], v[171:172], v[173:174], v[171:172]
	s_delay_alu instid0(VALU_DEP_1) | instskip(NEXT) | instid1(VALU_DEP_1)
	v_fma_f64 v[173:174], -v[169:170], v[171:172], 1.0
	v_fma_f64 v[171:172], v[171:172], v[173:174], v[171:172]
	s_delay_alu instid0(VALU_DEP_1) | instskip(NEXT) | instid1(VALU_DEP_1)
	v_mul_f64 v[173:174], v[175:176], v[171:172]
	v_fma_f64 v[169:170], -v[169:170], v[173:174], v[175:176]
	s_delay_alu instid0(VALU_DEP_1) | instskip(NEXT) | instid1(VALU_DEP_1)
	v_div_fmas_f64 v[169:170], v[169:170], v[171:172], v[173:174]
	v_div_fixup_f64 v[169:170], v[169:170], v[154:155], v[152:153]
	s_delay_alu instid0(VALU_DEP_1) | instskip(NEXT) | instid1(VALU_DEP_1)
	v_fma_f64 v[152:153], v[152:153], v[169:170], v[154:155]
	v_div_scale_f64 v[154:155], null, v[152:153], v[152:153], 1.0
	s_delay_alu instid0(VALU_DEP_1) | instskip(SKIP_2) | instid1(VALU_DEP_1)
	v_rcp_f64_e32 v[171:172], v[154:155]
	s_waitcnt_depctr 0xfff
	v_fma_f64 v[173:174], -v[154:155], v[171:172], 1.0
	v_fma_f64 v[171:172], v[171:172], v[173:174], v[171:172]
	s_delay_alu instid0(VALU_DEP_1) | instskip(NEXT) | instid1(VALU_DEP_1)
	v_fma_f64 v[173:174], -v[154:155], v[171:172], 1.0
	v_fma_f64 v[171:172], v[171:172], v[173:174], v[171:172]
	v_div_scale_f64 v[173:174], vcc_lo, 1.0, v[152:153], 1.0
	s_delay_alu instid0(VALU_DEP_1) | instskip(NEXT) | instid1(VALU_DEP_1)
	v_mul_f64 v[175:176], v[173:174], v[171:172]
	v_fma_f64 v[154:155], -v[154:155], v[175:176], v[173:174]
	s_delay_alu instid0(VALU_DEP_1) | instskip(NEXT) | instid1(VALU_DEP_1)
	v_div_fmas_f64 v[154:155], v[154:155], v[171:172], v[175:176]
	v_div_fixup_f64 v[154:155], v[154:155], v[152:153], 1.0
	s_delay_alu instid0(VALU_DEP_1)
	v_mul_f64 v[152:153], v[169:170], v[154:155]
	v_xor_b32_e32 v155, 0x80000000, v155
.LBB74_616:
	s_and_not1_saveexec_b32 s2, s2
	s_cbranch_execz .LBB74_618
; %bb.617:
	s_delay_alu instid0(VALU_DEP_1) | instskip(SKIP_1) | instid1(VALU_DEP_2)
	v_div_scale_f64 v[169:170], null, v[152:153], v[152:153], v[154:155]
	v_div_scale_f64 v[175:176], vcc_lo, v[154:155], v[152:153], v[154:155]
	v_rcp_f64_e32 v[171:172], v[169:170]
	s_waitcnt_depctr 0xfff
	v_fma_f64 v[173:174], -v[169:170], v[171:172], 1.0
	s_delay_alu instid0(VALU_DEP_1) | instskip(NEXT) | instid1(VALU_DEP_1)
	v_fma_f64 v[171:172], v[171:172], v[173:174], v[171:172]
	v_fma_f64 v[173:174], -v[169:170], v[171:172], 1.0
	s_delay_alu instid0(VALU_DEP_1) | instskip(NEXT) | instid1(VALU_DEP_1)
	v_fma_f64 v[171:172], v[171:172], v[173:174], v[171:172]
	v_mul_f64 v[173:174], v[175:176], v[171:172]
	s_delay_alu instid0(VALU_DEP_1) | instskip(NEXT) | instid1(VALU_DEP_1)
	v_fma_f64 v[169:170], -v[169:170], v[173:174], v[175:176]
	v_div_fmas_f64 v[169:170], v[169:170], v[171:172], v[173:174]
	s_delay_alu instid0(VALU_DEP_1) | instskip(NEXT) | instid1(VALU_DEP_1)
	v_div_fixup_f64 v[169:170], v[169:170], v[152:153], v[154:155]
	v_fma_f64 v[152:153], v[154:155], v[169:170], v[152:153]
	s_delay_alu instid0(VALU_DEP_1) | instskip(NEXT) | instid1(VALU_DEP_1)
	v_div_scale_f64 v[154:155], null, v[152:153], v[152:153], 1.0
	v_rcp_f64_e32 v[171:172], v[154:155]
	s_waitcnt_depctr 0xfff
	v_fma_f64 v[173:174], -v[154:155], v[171:172], 1.0
	s_delay_alu instid0(VALU_DEP_1) | instskip(NEXT) | instid1(VALU_DEP_1)
	v_fma_f64 v[171:172], v[171:172], v[173:174], v[171:172]
	v_fma_f64 v[173:174], -v[154:155], v[171:172], 1.0
	s_delay_alu instid0(VALU_DEP_1) | instskip(SKIP_1) | instid1(VALU_DEP_1)
	v_fma_f64 v[171:172], v[171:172], v[173:174], v[171:172]
	v_div_scale_f64 v[173:174], vcc_lo, 1.0, v[152:153], 1.0
	v_mul_f64 v[175:176], v[173:174], v[171:172]
	s_delay_alu instid0(VALU_DEP_1) | instskip(NEXT) | instid1(VALU_DEP_1)
	v_fma_f64 v[154:155], -v[154:155], v[175:176], v[173:174]
	v_div_fmas_f64 v[154:155], v[154:155], v[171:172], v[175:176]
	s_delay_alu instid0(VALU_DEP_1) | instskip(NEXT) | instid1(VALU_DEP_1)
	v_div_fixup_f64 v[152:153], v[154:155], v[152:153], 1.0
	v_mul_f64 v[154:155], v[169:170], -v[152:153]
.LBB74_618:
	s_or_b32 exec_lo, exec_lo, s2
.LBB74_619:
	s_delay_alu instid0(SALU_CYCLE_1) | instskip(NEXT) | instid1(SALU_CYCLE_1)
	s_or_b32 exec_lo, exec_lo, s3
	s_mov_b32 s2, exec_lo
	v_cmpx_ne_u32_e64 v168, v160
	s_xor_b32 s2, exec_lo, s2
	s_cbranch_execz .LBB74_625
; %bb.620:
	s_mov_b32 s3, exec_lo
	v_cmpx_eq_u32_e32 29, v168
	s_cbranch_execz .LBB74_624
; %bb.621:
	v_cmp_ne_u32_e32 vcc_lo, 29, v160
	s_xor_b32 s6, s4, -1
	s_delay_alu instid0(SALU_CYCLE_1) | instskip(NEXT) | instid1(SALU_CYCLE_1)
	s_and_b32 s7, s6, vcc_lo
	s_and_saveexec_b32 s6, s7
	s_cbranch_execz .LBB74_623
; %bb.622:
	v_ashrrev_i32_e32 v161, 31, v160
	s_delay_alu instid0(VALU_DEP_1) | instskip(NEXT) | instid1(VALU_DEP_1)
	v_lshlrev_b64 v[167:168], 2, v[160:161]
	v_add_co_u32 v167, vcc_lo, v158, v167
	s_delay_alu instid0(VALU_DEP_2)
	v_add_co_ci_u32_e32 v168, vcc_lo, v159, v168, vcc_lo
	s_clause 0x1
	flat_load_b32 v161, v[167:168]
	flat_load_b32 v169, v[158:159] offset:116
	s_waitcnt vmcnt(1) lgkmcnt(1)
	flat_store_b32 v[158:159], v161 offset:116
	s_waitcnt vmcnt(0) lgkmcnt(1)
	flat_store_b32 v[167:168], v169
.LBB74_623:
	s_or_b32 exec_lo, exec_lo, s6
	v_mov_b32_e32 v168, v160
	v_mov_b32_e32 v167, v160
.LBB74_624:
	s_or_b32 exec_lo, exec_lo, s3
.LBB74_625:
	s_and_not1_saveexec_b32 s2, s2
	s_cbranch_execz .LBB74_627
; %bb.626:
	v_mov_b32_e32 v168, 29
	ds_store_2addr_b64 v162, v[28:29], v[30:31] offset0:60 offset1:61
	ds_store_2addr_b64 v162, v[24:25], v[26:27] offset0:62 offset1:63
	;; [unrolled: 1-line block ×8, first 2 shown]
.LBB74_627:
	s_or_b32 exec_lo, exec_lo, s2
	s_delay_alu instid0(SALU_CYCLE_1)
	s_mov_b32 s2, exec_lo
	s_waitcnt lgkmcnt(0)
	s_waitcnt_vscnt null, 0x0
	s_barrier
	buffer_gl0_inv
	v_cmpx_lt_i32_e32 29, v168
	s_cbranch_execz .LBB74_629
; %bb.628:
	v_mul_f64 v[160:161], v[152:153], v[34:35]
	v_mul_f64 v[34:35], v[154:155], v[34:35]
	ds_load_2addr_b64 v[169:172], v162 offset0:60 offset1:61
	ds_load_2addr_b64 v[173:176], v162 offset0:62 offset1:63
	;; [unrolled: 1-line block ×8, first 2 shown]
	v_fma_f64 v[154:155], v[154:155], v[32:33], v[160:161]
	v_fma_f64 v[32:33], v[152:153], v[32:33], -v[34:35]
	s_waitcnt lgkmcnt(7)
	s_delay_alu instid0(VALU_DEP_2)
	v_mul_f64 v[34:35], v[171:172], v[154:155]
	v_mul_f64 v[152:153], v[169:170], v[154:155]
	s_waitcnt lgkmcnt(6)
	v_mul_f64 v[160:161], v[175:176], v[154:155]
	v_mul_f64 v[201:202], v[173:174], v[154:155]
	s_waitcnt lgkmcnt(5)
	;; [unrolled: 3-line block ×7, first 2 shown]
	v_mul_f64 v[223:224], v[199:200], v[154:155]
	v_mul_f64 v[225:226], v[197:198], v[154:155]
	v_fma_f64 v[34:35], v[169:170], v[32:33], -v[34:35]
	v_fma_f64 v[152:153], v[171:172], v[32:33], v[152:153]
	v_fma_f64 v[160:161], v[173:174], v[32:33], -v[160:161]
	v_fma_f64 v[169:170], v[175:176], v[32:33], v[201:202]
	;; [unrolled: 2-line block ×8, first 2 shown]
	v_add_f64 v[28:29], v[28:29], -v[34:35]
	v_add_f64 v[30:31], v[30:31], -v[152:153]
	;; [unrolled: 1-line block ×16, first 2 shown]
	v_dual_mov_b32 v34, v154 :: v_dual_mov_b32 v35, v155
.LBB74_629:
	s_or_b32 exec_lo, exec_lo, s2
	v_lshl_add_u32 v152, v168, 4, v162
	s_barrier
	buffer_gl0_inv
	v_mov_b32_e32 v160, 30
	ds_store_2addr_b64 v152, v[28:29], v[30:31] offset1:1
	s_waitcnt lgkmcnt(0)
	s_barrier
	buffer_gl0_inv
	ds_load_2addr_b64 v[152:155], v162 offset0:60 offset1:61
	s_cmp_lt_i32 s5, 32
	s_cbranch_scc1 .LBB74_632
; %bb.630:
	v_add3_u32 v161, v166, 0, 0x1f0
	v_mov_b32_e32 v160, 30
	s_mov_b32 s6, 31
	s_set_inst_prefetch_distance 0x1
	.p2align	6
.LBB74_631:                             ; =>This Inner Loop Header: Depth=1
	ds_load_2addr_b64 v[169:172], v161 offset1:1
	s_waitcnt lgkmcnt(1)
	v_cmp_gt_f64_e32 vcc_lo, 0, v[152:153]
	v_xor_b32_e32 v173, 0x80000000, v153
	v_cmp_gt_f64_e64 s2, 0, v[154:155]
	v_xor_b32_e32 v175, 0x80000000, v155
	v_add_nc_u32_e32 v161, 16, v161
	s_waitcnt lgkmcnt(0)
	v_cmp_gt_f64_e64 s3, 0, v[169:170]
	v_mov_b32_e32 v177, v169
	v_dual_mov_b32 v179, v171 :: v_dual_cndmask_b32 v174, v153, v173
	v_xor_b32_e32 v173, 0x80000000, v170
	v_cndmask_b32_e64 v176, v155, v175, s2
	v_xor_b32_e32 v175, 0x80000000, v172
	s_delay_alu instid0(VALU_DEP_3) | instskip(SKIP_2) | instid1(VALU_DEP_2)
	v_cndmask_b32_e64 v178, v170, v173, s3
	v_cmp_gt_f64_e64 s3, 0, v[171:172]
	v_cndmask_b32_e32 v173, v152, v152, vcc_lo
	v_cndmask_b32_e64 v180, v172, v175, s3
	v_cndmask_b32_e64 v175, v154, v154, s2
	s_delay_alu instid0(VALU_DEP_2) | instskip(NEXT) | instid1(VALU_DEP_2)
	v_add_f64 v[177:178], v[177:178], v[179:180]
	v_add_f64 v[173:174], v[173:174], v[175:176]
	s_delay_alu instid0(VALU_DEP_1) | instskip(SKIP_4) | instid1(SALU_CYCLE_1)
	v_cmp_lt_f64_e32 vcc_lo, v[173:174], v[177:178]
	v_dual_cndmask_b32 v154, v154, v171 :: v_dual_cndmask_b32 v153, v153, v170
	v_dual_cndmask_b32 v152, v152, v169 :: v_dual_cndmask_b32 v155, v155, v172
	v_cndmask_b32_e64 v160, v160, s6, vcc_lo
	s_add_i32 s6, s6, 1
	s_cmp_lg_u32 s5, s6
	s_cbranch_scc1 .LBB74_631
.LBB74_632:
	s_set_inst_prefetch_distance 0x2
	s_waitcnt lgkmcnt(0)
	v_cmp_eq_f64_e32 vcc_lo, 0, v[152:153]
	v_cmp_eq_f64_e64 s2, 0, v[154:155]
	s_delay_alu instid0(VALU_DEP_1) | instskip(NEXT) | instid1(SALU_CYCLE_1)
	s_and_b32 s2, vcc_lo, s2
	s_and_saveexec_b32 s3, s2
	s_delay_alu instid0(SALU_CYCLE_1)
	s_xor_b32 s2, exec_lo, s3
; %bb.633:
	v_cmp_ne_u32_e32 vcc_lo, 0, v165
	v_cndmask_b32_e32 v165, 31, v165, vcc_lo
; %bb.634:
	s_and_not1_saveexec_b32 s3, s2
	s_cbranch_execz .LBB74_640
; %bb.635:
	v_cmp_gt_f64_e32 vcc_lo, 0, v[152:153]
	v_cmp_gt_f64_e64 s2, 0, v[154:155]
	v_xor_b32_e32 v161, 0x80000000, v153
	v_xor_b32_e32 v169, 0x80000000, v155
	s_delay_alu instid0(VALU_DEP_2) | instskip(NEXT) | instid1(VALU_DEP_2)
	v_cndmask_b32_e32 v170, v153, v161, vcc_lo
	v_cndmask_b32_e64 v172, v155, v169, s2
	v_cndmask_b32_e32 v169, v152, v152, vcc_lo
	v_cndmask_b32_e64 v171, v154, v154, s2
	s_mov_b32 s2, exec_lo
	s_delay_alu instid0(VALU_DEP_1)
	v_cmpx_ngt_f64_e32 v[169:170], v[171:172]
	s_xor_b32 s2, exec_lo, s2
	s_cbranch_execz .LBB74_637
; %bb.636:
	v_div_scale_f64 v[169:170], null, v[154:155], v[154:155], v[152:153]
	v_div_scale_f64 v[175:176], vcc_lo, v[152:153], v[154:155], v[152:153]
	s_delay_alu instid0(VALU_DEP_2) | instskip(SKIP_2) | instid1(VALU_DEP_1)
	v_rcp_f64_e32 v[171:172], v[169:170]
	s_waitcnt_depctr 0xfff
	v_fma_f64 v[173:174], -v[169:170], v[171:172], 1.0
	v_fma_f64 v[171:172], v[171:172], v[173:174], v[171:172]
	s_delay_alu instid0(VALU_DEP_1) | instskip(NEXT) | instid1(VALU_DEP_1)
	v_fma_f64 v[173:174], -v[169:170], v[171:172], 1.0
	v_fma_f64 v[171:172], v[171:172], v[173:174], v[171:172]
	s_delay_alu instid0(VALU_DEP_1) | instskip(NEXT) | instid1(VALU_DEP_1)
	v_mul_f64 v[173:174], v[175:176], v[171:172]
	v_fma_f64 v[169:170], -v[169:170], v[173:174], v[175:176]
	s_delay_alu instid0(VALU_DEP_1) | instskip(NEXT) | instid1(VALU_DEP_1)
	v_div_fmas_f64 v[169:170], v[169:170], v[171:172], v[173:174]
	v_div_fixup_f64 v[169:170], v[169:170], v[154:155], v[152:153]
	s_delay_alu instid0(VALU_DEP_1) | instskip(NEXT) | instid1(VALU_DEP_1)
	v_fma_f64 v[152:153], v[152:153], v[169:170], v[154:155]
	v_div_scale_f64 v[154:155], null, v[152:153], v[152:153], 1.0
	s_delay_alu instid0(VALU_DEP_1) | instskip(SKIP_2) | instid1(VALU_DEP_1)
	v_rcp_f64_e32 v[171:172], v[154:155]
	s_waitcnt_depctr 0xfff
	v_fma_f64 v[173:174], -v[154:155], v[171:172], 1.0
	v_fma_f64 v[171:172], v[171:172], v[173:174], v[171:172]
	s_delay_alu instid0(VALU_DEP_1) | instskip(NEXT) | instid1(VALU_DEP_1)
	v_fma_f64 v[173:174], -v[154:155], v[171:172], 1.0
	v_fma_f64 v[171:172], v[171:172], v[173:174], v[171:172]
	v_div_scale_f64 v[173:174], vcc_lo, 1.0, v[152:153], 1.0
	s_delay_alu instid0(VALU_DEP_1) | instskip(NEXT) | instid1(VALU_DEP_1)
	v_mul_f64 v[175:176], v[173:174], v[171:172]
	v_fma_f64 v[154:155], -v[154:155], v[175:176], v[173:174]
	s_delay_alu instid0(VALU_DEP_1) | instskip(NEXT) | instid1(VALU_DEP_1)
	v_div_fmas_f64 v[154:155], v[154:155], v[171:172], v[175:176]
	v_div_fixup_f64 v[154:155], v[154:155], v[152:153], 1.0
	s_delay_alu instid0(VALU_DEP_1)
	v_mul_f64 v[152:153], v[169:170], v[154:155]
	v_xor_b32_e32 v155, 0x80000000, v155
.LBB74_637:
	s_and_not1_saveexec_b32 s2, s2
	s_cbranch_execz .LBB74_639
; %bb.638:
	s_delay_alu instid0(VALU_DEP_1) | instskip(SKIP_1) | instid1(VALU_DEP_2)
	v_div_scale_f64 v[169:170], null, v[152:153], v[152:153], v[154:155]
	v_div_scale_f64 v[175:176], vcc_lo, v[154:155], v[152:153], v[154:155]
	v_rcp_f64_e32 v[171:172], v[169:170]
	s_waitcnt_depctr 0xfff
	v_fma_f64 v[173:174], -v[169:170], v[171:172], 1.0
	s_delay_alu instid0(VALU_DEP_1) | instskip(NEXT) | instid1(VALU_DEP_1)
	v_fma_f64 v[171:172], v[171:172], v[173:174], v[171:172]
	v_fma_f64 v[173:174], -v[169:170], v[171:172], 1.0
	s_delay_alu instid0(VALU_DEP_1) | instskip(NEXT) | instid1(VALU_DEP_1)
	v_fma_f64 v[171:172], v[171:172], v[173:174], v[171:172]
	v_mul_f64 v[173:174], v[175:176], v[171:172]
	s_delay_alu instid0(VALU_DEP_1) | instskip(NEXT) | instid1(VALU_DEP_1)
	v_fma_f64 v[169:170], -v[169:170], v[173:174], v[175:176]
	v_div_fmas_f64 v[169:170], v[169:170], v[171:172], v[173:174]
	s_delay_alu instid0(VALU_DEP_1) | instskip(NEXT) | instid1(VALU_DEP_1)
	v_div_fixup_f64 v[169:170], v[169:170], v[152:153], v[154:155]
	v_fma_f64 v[152:153], v[154:155], v[169:170], v[152:153]
	s_delay_alu instid0(VALU_DEP_1) | instskip(NEXT) | instid1(VALU_DEP_1)
	v_div_scale_f64 v[154:155], null, v[152:153], v[152:153], 1.0
	v_rcp_f64_e32 v[171:172], v[154:155]
	s_waitcnt_depctr 0xfff
	v_fma_f64 v[173:174], -v[154:155], v[171:172], 1.0
	s_delay_alu instid0(VALU_DEP_1) | instskip(NEXT) | instid1(VALU_DEP_1)
	v_fma_f64 v[171:172], v[171:172], v[173:174], v[171:172]
	v_fma_f64 v[173:174], -v[154:155], v[171:172], 1.0
	s_delay_alu instid0(VALU_DEP_1) | instskip(SKIP_1) | instid1(VALU_DEP_1)
	v_fma_f64 v[171:172], v[171:172], v[173:174], v[171:172]
	v_div_scale_f64 v[173:174], vcc_lo, 1.0, v[152:153], 1.0
	v_mul_f64 v[175:176], v[173:174], v[171:172]
	s_delay_alu instid0(VALU_DEP_1) | instskip(NEXT) | instid1(VALU_DEP_1)
	v_fma_f64 v[154:155], -v[154:155], v[175:176], v[173:174]
	v_div_fmas_f64 v[154:155], v[154:155], v[171:172], v[175:176]
	s_delay_alu instid0(VALU_DEP_1) | instskip(NEXT) | instid1(VALU_DEP_1)
	v_div_fixup_f64 v[152:153], v[154:155], v[152:153], 1.0
	v_mul_f64 v[154:155], v[169:170], -v[152:153]
.LBB74_639:
	s_or_b32 exec_lo, exec_lo, s2
.LBB74_640:
	s_delay_alu instid0(SALU_CYCLE_1) | instskip(NEXT) | instid1(SALU_CYCLE_1)
	s_or_b32 exec_lo, exec_lo, s3
	s_mov_b32 s2, exec_lo
	v_cmpx_ne_u32_e64 v168, v160
	s_xor_b32 s2, exec_lo, s2
	s_cbranch_execz .LBB74_646
; %bb.641:
	s_mov_b32 s3, exec_lo
	v_cmpx_eq_u32_e32 30, v168
	s_cbranch_execz .LBB74_645
; %bb.642:
	v_cmp_ne_u32_e32 vcc_lo, 30, v160
	s_xor_b32 s6, s4, -1
	s_delay_alu instid0(SALU_CYCLE_1) | instskip(NEXT) | instid1(SALU_CYCLE_1)
	s_and_b32 s7, s6, vcc_lo
	s_and_saveexec_b32 s6, s7
	s_cbranch_execz .LBB74_644
; %bb.643:
	v_ashrrev_i32_e32 v161, 31, v160
	s_delay_alu instid0(VALU_DEP_1) | instskip(NEXT) | instid1(VALU_DEP_1)
	v_lshlrev_b64 v[167:168], 2, v[160:161]
	v_add_co_u32 v167, vcc_lo, v158, v167
	s_delay_alu instid0(VALU_DEP_2)
	v_add_co_ci_u32_e32 v168, vcc_lo, v159, v168, vcc_lo
	s_clause 0x1
	flat_load_b32 v161, v[167:168]
	flat_load_b32 v169, v[158:159] offset:120
	s_waitcnt vmcnt(1) lgkmcnt(1)
	flat_store_b32 v[158:159], v161 offset:120
	s_waitcnt vmcnt(0) lgkmcnt(1)
	flat_store_b32 v[167:168], v169
.LBB74_644:
	s_or_b32 exec_lo, exec_lo, s6
	v_mov_b32_e32 v168, v160
	v_mov_b32_e32 v167, v160
.LBB74_645:
	s_or_b32 exec_lo, exec_lo, s3
.LBB74_646:
	s_and_not1_saveexec_b32 s2, s2
	s_cbranch_execz .LBB74_648
; %bb.647:
	v_mov_b32_e32 v168, 30
	ds_store_2addr_b64 v162, v[24:25], v[26:27] offset0:62 offset1:63
	ds_store_2addr_b64 v162, v[20:21], v[22:23] offset0:64 offset1:65
	;; [unrolled: 1-line block ×7, first 2 shown]
.LBB74_648:
	s_or_b32 exec_lo, exec_lo, s2
	s_delay_alu instid0(SALU_CYCLE_1)
	s_mov_b32 s2, exec_lo
	s_waitcnt lgkmcnt(0)
	s_waitcnt_vscnt null, 0x0
	s_barrier
	buffer_gl0_inv
	v_cmpx_lt_i32_e32 30, v168
	s_cbranch_execz .LBB74_650
; %bb.649:
	v_mul_f64 v[160:161], v[152:153], v[30:31]
	v_mul_f64 v[30:31], v[154:155], v[30:31]
	ds_load_2addr_b64 v[169:172], v162 offset0:62 offset1:63
	ds_load_2addr_b64 v[173:176], v162 offset0:64 offset1:65
	;; [unrolled: 1-line block ×7, first 2 shown]
	v_fma_f64 v[154:155], v[154:155], v[28:29], v[160:161]
	v_fma_f64 v[28:29], v[152:153], v[28:29], -v[30:31]
	s_waitcnt lgkmcnt(6)
	s_delay_alu instid0(VALU_DEP_2)
	v_mul_f64 v[30:31], v[171:172], v[154:155]
	v_mul_f64 v[152:153], v[169:170], v[154:155]
	s_waitcnt lgkmcnt(5)
	v_mul_f64 v[160:161], v[175:176], v[154:155]
	v_mul_f64 v[197:198], v[173:174], v[154:155]
	s_waitcnt lgkmcnt(4)
	;; [unrolled: 3-line block ×6, first 2 shown]
	v_mul_f64 v[215:216], v[195:196], v[154:155]
	v_mul_f64 v[217:218], v[193:194], v[154:155]
	v_fma_f64 v[30:31], v[169:170], v[28:29], -v[30:31]
	v_fma_f64 v[152:153], v[171:172], v[28:29], v[152:153]
	v_fma_f64 v[160:161], v[173:174], v[28:29], -v[160:161]
	v_fma_f64 v[169:170], v[175:176], v[28:29], v[197:198]
	;; [unrolled: 2-line block ×7, first 2 shown]
	v_add_f64 v[24:25], v[24:25], -v[30:31]
	v_add_f64 v[26:27], v[26:27], -v[152:153]
	;; [unrolled: 1-line block ×14, first 2 shown]
	v_dual_mov_b32 v30, v154 :: v_dual_mov_b32 v31, v155
.LBB74_650:
	s_or_b32 exec_lo, exec_lo, s2
	v_lshl_add_u32 v152, v168, 4, v162
	s_barrier
	buffer_gl0_inv
	v_mov_b32_e32 v160, 31
	ds_store_2addr_b64 v152, v[24:25], v[26:27] offset1:1
	s_waitcnt lgkmcnt(0)
	s_barrier
	buffer_gl0_inv
	ds_load_2addr_b64 v[152:155], v162 offset0:62 offset1:63
	s_cmp_lt_i32 s5, 33
	s_cbranch_scc1 .LBB74_653
; %bb.651:
	v_add3_u32 v161, v166, 0, 0x200
	v_mov_b32_e32 v160, 31
	s_mov_b32 s6, 32
	s_set_inst_prefetch_distance 0x1
	.p2align	6
.LBB74_652:                             ; =>This Inner Loop Header: Depth=1
	ds_load_2addr_b64 v[169:172], v161 offset1:1
	s_waitcnt lgkmcnt(1)
	v_cmp_gt_f64_e32 vcc_lo, 0, v[152:153]
	v_xor_b32_e32 v173, 0x80000000, v153
	v_cmp_gt_f64_e64 s2, 0, v[154:155]
	v_xor_b32_e32 v175, 0x80000000, v155
	v_add_nc_u32_e32 v161, 16, v161
	s_waitcnt lgkmcnt(0)
	v_cmp_gt_f64_e64 s3, 0, v[169:170]
	v_mov_b32_e32 v177, v169
	v_dual_mov_b32 v179, v171 :: v_dual_cndmask_b32 v174, v153, v173
	v_xor_b32_e32 v173, 0x80000000, v170
	v_cndmask_b32_e64 v176, v155, v175, s2
	v_xor_b32_e32 v175, 0x80000000, v172
	s_delay_alu instid0(VALU_DEP_3) | instskip(SKIP_2) | instid1(VALU_DEP_2)
	v_cndmask_b32_e64 v178, v170, v173, s3
	v_cmp_gt_f64_e64 s3, 0, v[171:172]
	v_cndmask_b32_e32 v173, v152, v152, vcc_lo
	v_cndmask_b32_e64 v180, v172, v175, s3
	v_cndmask_b32_e64 v175, v154, v154, s2
	s_delay_alu instid0(VALU_DEP_2) | instskip(NEXT) | instid1(VALU_DEP_2)
	v_add_f64 v[177:178], v[177:178], v[179:180]
	v_add_f64 v[173:174], v[173:174], v[175:176]
	s_delay_alu instid0(VALU_DEP_1) | instskip(SKIP_4) | instid1(SALU_CYCLE_1)
	v_cmp_lt_f64_e32 vcc_lo, v[173:174], v[177:178]
	v_dual_cndmask_b32 v154, v154, v171 :: v_dual_cndmask_b32 v153, v153, v170
	v_dual_cndmask_b32 v152, v152, v169 :: v_dual_cndmask_b32 v155, v155, v172
	v_cndmask_b32_e64 v160, v160, s6, vcc_lo
	s_add_i32 s6, s6, 1
	s_cmp_lg_u32 s5, s6
	s_cbranch_scc1 .LBB74_652
.LBB74_653:
	s_set_inst_prefetch_distance 0x2
	s_waitcnt lgkmcnt(0)
	v_cmp_eq_f64_e32 vcc_lo, 0, v[152:153]
	v_cmp_eq_f64_e64 s2, 0, v[154:155]
	s_delay_alu instid0(VALU_DEP_1) | instskip(NEXT) | instid1(SALU_CYCLE_1)
	s_and_b32 s2, vcc_lo, s2
	s_and_saveexec_b32 s3, s2
	s_delay_alu instid0(SALU_CYCLE_1)
	s_xor_b32 s2, exec_lo, s3
; %bb.654:
	v_cmp_ne_u32_e32 vcc_lo, 0, v165
	v_cndmask_b32_e32 v165, 32, v165, vcc_lo
; %bb.655:
	s_and_not1_saveexec_b32 s3, s2
	s_cbranch_execz .LBB74_661
; %bb.656:
	v_cmp_gt_f64_e32 vcc_lo, 0, v[152:153]
	v_cmp_gt_f64_e64 s2, 0, v[154:155]
	v_xor_b32_e32 v161, 0x80000000, v153
	v_xor_b32_e32 v169, 0x80000000, v155
	s_delay_alu instid0(VALU_DEP_2) | instskip(NEXT) | instid1(VALU_DEP_2)
	v_cndmask_b32_e32 v170, v153, v161, vcc_lo
	v_cndmask_b32_e64 v172, v155, v169, s2
	v_cndmask_b32_e32 v169, v152, v152, vcc_lo
	v_cndmask_b32_e64 v171, v154, v154, s2
	s_mov_b32 s2, exec_lo
	s_delay_alu instid0(VALU_DEP_1)
	v_cmpx_ngt_f64_e32 v[169:170], v[171:172]
	s_xor_b32 s2, exec_lo, s2
	s_cbranch_execz .LBB74_658
; %bb.657:
	v_div_scale_f64 v[169:170], null, v[154:155], v[154:155], v[152:153]
	v_div_scale_f64 v[175:176], vcc_lo, v[152:153], v[154:155], v[152:153]
	s_delay_alu instid0(VALU_DEP_2) | instskip(SKIP_2) | instid1(VALU_DEP_1)
	v_rcp_f64_e32 v[171:172], v[169:170]
	s_waitcnt_depctr 0xfff
	v_fma_f64 v[173:174], -v[169:170], v[171:172], 1.0
	v_fma_f64 v[171:172], v[171:172], v[173:174], v[171:172]
	s_delay_alu instid0(VALU_DEP_1) | instskip(NEXT) | instid1(VALU_DEP_1)
	v_fma_f64 v[173:174], -v[169:170], v[171:172], 1.0
	v_fma_f64 v[171:172], v[171:172], v[173:174], v[171:172]
	s_delay_alu instid0(VALU_DEP_1) | instskip(NEXT) | instid1(VALU_DEP_1)
	v_mul_f64 v[173:174], v[175:176], v[171:172]
	v_fma_f64 v[169:170], -v[169:170], v[173:174], v[175:176]
	s_delay_alu instid0(VALU_DEP_1) | instskip(NEXT) | instid1(VALU_DEP_1)
	v_div_fmas_f64 v[169:170], v[169:170], v[171:172], v[173:174]
	v_div_fixup_f64 v[169:170], v[169:170], v[154:155], v[152:153]
	s_delay_alu instid0(VALU_DEP_1) | instskip(NEXT) | instid1(VALU_DEP_1)
	v_fma_f64 v[152:153], v[152:153], v[169:170], v[154:155]
	v_div_scale_f64 v[154:155], null, v[152:153], v[152:153], 1.0
	s_delay_alu instid0(VALU_DEP_1) | instskip(SKIP_2) | instid1(VALU_DEP_1)
	v_rcp_f64_e32 v[171:172], v[154:155]
	s_waitcnt_depctr 0xfff
	v_fma_f64 v[173:174], -v[154:155], v[171:172], 1.0
	v_fma_f64 v[171:172], v[171:172], v[173:174], v[171:172]
	s_delay_alu instid0(VALU_DEP_1) | instskip(NEXT) | instid1(VALU_DEP_1)
	v_fma_f64 v[173:174], -v[154:155], v[171:172], 1.0
	v_fma_f64 v[171:172], v[171:172], v[173:174], v[171:172]
	v_div_scale_f64 v[173:174], vcc_lo, 1.0, v[152:153], 1.0
	s_delay_alu instid0(VALU_DEP_1) | instskip(NEXT) | instid1(VALU_DEP_1)
	v_mul_f64 v[175:176], v[173:174], v[171:172]
	v_fma_f64 v[154:155], -v[154:155], v[175:176], v[173:174]
	s_delay_alu instid0(VALU_DEP_1) | instskip(NEXT) | instid1(VALU_DEP_1)
	v_div_fmas_f64 v[154:155], v[154:155], v[171:172], v[175:176]
	v_div_fixup_f64 v[154:155], v[154:155], v[152:153], 1.0
	s_delay_alu instid0(VALU_DEP_1)
	v_mul_f64 v[152:153], v[169:170], v[154:155]
	v_xor_b32_e32 v155, 0x80000000, v155
.LBB74_658:
	s_and_not1_saveexec_b32 s2, s2
	s_cbranch_execz .LBB74_660
; %bb.659:
	s_delay_alu instid0(VALU_DEP_1) | instskip(SKIP_1) | instid1(VALU_DEP_2)
	v_div_scale_f64 v[169:170], null, v[152:153], v[152:153], v[154:155]
	v_div_scale_f64 v[175:176], vcc_lo, v[154:155], v[152:153], v[154:155]
	v_rcp_f64_e32 v[171:172], v[169:170]
	s_waitcnt_depctr 0xfff
	v_fma_f64 v[173:174], -v[169:170], v[171:172], 1.0
	s_delay_alu instid0(VALU_DEP_1) | instskip(NEXT) | instid1(VALU_DEP_1)
	v_fma_f64 v[171:172], v[171:172], v[173:174], v[171:172]
	v_fma_f64 v[173:174], -v[169:170], v[171:172], 1.0
	s_delay_alu instid0(VALU_DEP_1) | instskip(NEXT) | instid1(VALU_DEP_1)
	v_fma_f64 v[171:172], v[171:172], v[173:174], v[171:172]
	v_mul_f64 v[173:174], v[175:176], v[171:172]
	s_delay_alu instid0(VALU_DEP_1) | instskip(NEXT) | instid1(VALU_DEP_1)
	v_fma_f64 v[169:170], -v[169:170], v[173:174], v[175:176]
	v_div_fmas_f64 v[169:170], v[169:170], v[171:172], v[173:174]
	s_delay_alu instid0(VALU_DEP_1) | instskip(NEXT) | instid1(VALU_DEP_1)
	v_div_fixup_f64 v[169:170], v[169:170], v[152:153], v[154:155]
	v_fma_f64 v[152:153], v[154:155], v[169:170], v[152:153]
	s_delay_alu instid0(VALU_DEP_1) | instskip(NEXT) | instid1(VALU_DEP_1)
	v_div_scale_f64 v[154:155], null, v[152:153], v[152:153], 1.0
	v_rcp_f64_e32 v[171:172], v[154:155]
	s_waitcnt_depctr 0xfff
	v_fma_f64 v[173:174], -v[154:155], v[171:172], 1.0
	s_delay_alu instid0(VALU_DEP_1) | instskip(NEXT) | instid1(VALU_DEP_1)
	v_fma_f64 v[171:172], v[171:172], v[173:174], v[171:172]
	v_fma_f64 v[173:174], -v[154:155], v[171:172], 1.0
	s_delay_alu instid0(VALU_DEP_1) | instskip(SKIP_1) | instid1(VALU_DEP_1)
	v_fma_f64 v[171:172], v[171:172], v[173:174], v[171:172]
	v_div_scale_f64 v[173:174], vcc_lo, 1.0, v[152:153], 1.0
	v_mul_f64 v[175:176], v[173:174], v[171:172]
	s_delay_alu instid0(VALU_DEP_1) | instskip(NEXT) | instid1(VALU_DEP_1)
	v_fma_f64 v[154:155], -v[154:155], v[175:176], v[173:174]
	v_div_fmas_f64 v[154:155], v[154:155], v[171:172], v[175:176]
	s_delay_alu instid0(VALU_DEP_1) | instskip(NEXT) | instid1(VALU_DEP_1)
	v_div_fixup_f64 v[152:153], v[154:155], v[152:153], 1.0
	v_mul_f64 v[154:155], v[169:170], -v[152:153]
.LBB74_660:
	s_or_b32 exec_lo, exec_lo, s2
.LBB74_661:
	s_delay_alu instid0(SALU_CYCLE_1) | instskip(NEXT) | instid1(SALU_CYCLE_1)
	s_or_b32 exec_lo, exec_lo, s3
	s_mov_b32 s2, exec_lo
	v_cmpx_ne_u32_e64 v168, v160
	s_xor_b32 s2, exec_lo, s2
	s_cbranch_execz .LBB74_667
; %bb.662:
	s_mov_b32 s3, exec_lo
	v_cmpx_eq_u32_e32 31, v168
	s_cbranch_execz .LBB74_666
; %bb.663:
	v_cmp_ne_u32_e32 vcc_lo, 31, v160
	s_xor_b32 s6, s4, -1
	s_delay_alu instid0(SALU_CYCLE_1) | instskip(NEXT) | instid1(SALU_CYCLE_1)
	s_and_b32 s7, s6, vcc_lo
	s_and_saveexec_b32 s6, s7
	s_cbranch_execz .LBB74_665
; %bb.664:
	v_ashrrev_i32_e32 v161, 31, v160
	s_delay_alu instid0(VALU_DEP_1) | instskip(NEXT) | instid1(VALU_DEP_1)
	v_lshlrev_b64 v[167:168], 2, v[160:161]
	v_add_co_u32 v167, vcc_lo, v158, v167
	s_delay_alu instid0(VALU_DEP_2)
	v_add_co_ci_u32_e32 v168, vcc_lo, v159, v168, vcc_lo
	s_clause 0x1
	flat_load_b32 v161, v[167:168]
	flat_load_b32 v169, v[158:159] offset:124
	s_waitcnt vmcnt(1) lgkmcnt(1)
	flat_store_b32 v[158:159], v161 offset:124
	s_waitcnt vmcnt(0) lgkmcnt(1)
	flat_store_b32 v[167:168], v169
.LBB74_665:
	s_or_b32 exec_lo, exec_lo, s6
	v_mov_b32_e32 v168, v160
	v_mov_b32_e32 v167, v160
.LBB74_666:
	s_or_b32 exec_lo, exec_lo, s3
.LBB74_667:
	s_and_not1_saveexec_b32 s2, s2
	s_cbranch_execz .LBB74_669
; %bb.668:
	v_mov_b32_e32 v168, 31
	ds_store_2addr_b64 v162, v[20:21], v[22:23] offset0:64 offset1:65
	ds_store_2addr_b64 v162, v[16:17], v[18:19] offset0:66 offset1:67
	;; [unrolled: 1-line block ×6, first 2 shown]
.LBB74_669:
	s_or_b32 exec_lo, exec_lo, s2
	s_delay_alu instid0(SALU_CYCLE_1)
	s_mov_b32 s2, exec_lo
	s_waitcnt lgkmcnt(0)
	s_waitcnt_vscnt null, 0x0
	s_barrier
	buffer_gl0_inv
	v_cmpx_lt_i32_e32 31, v168
	s_cbranch_execz .LBB74_671
; %bb.670:
	v_mul_f64 v[160:161], v[152:153], v[26:27]
	v_mul_f64 v[26:27], v[154:155], v[26:27]
	ds_load_2addr_b64 v[169:172], v162 offset0:64 offset1:65
	ds_load_2addr_b64 v[173:176], v162 offset0:66 offset1:67
	;; [unrolled: 1-line block ×6, first 2 shown]
	v_fma_f64 v[154:155], v[154:155], v[24:25], v[160:161]
	v_fma_f64 v[24:25], v[152:153], v[24:25], -v[26:27]
	s_waitcnt lgkmcnt(5)
	s_delay_alu instid0(VALU_DEP_2)
	v_mul_f64 v[26:27], v[171:172], v[154:155]
	v_mul_f64 v[152:153], v[169:170], v[154:155]
	s_waitcnt lgkmcnt(4)
	v_mul_f64 v[160:161], v[175:176], v[154:155]
	v_mul_f64 v[193:194], v[173:174], v[154:155]
	s_waitcnt lgkmcnt(3)
	;; [unrolled: 3-line block ×5, first 2 shown]
	v_mul_f64 v[207:208], v[191:192], v[154:155]
	v_mul_f64 v[209:210], v[189:190], v[154:155]
	v_fma_f64 v[26:27], v[169:170], v[24:25], -v[26:27]
	v_fma_f64 v[152:153], v[171:172], v[24:25], v[152:153]
	v_fma_f64 v[160:161], v[173:174], v[24:25], -v[160:161]
	v_fma_f64 v[169:170], v[175:176], v[24:25], v[193:194]
	;; [unrolled: 2-line block ×6, first 2 shown]
	v_add_f64 v[20:21], v[20:21], -v[26:27]
	v_add_f64 v[22:23], v[22:23], -v[152:153]
	;; [unrolled: 1-line block ×12, first 2 shown]
	v_dual_mov_b32 v26, v154 :: v_dual_mov_b32 v27, v155
.LBB74_671:
	s_or_b32 exec_lo, exec_lo, s2
	v_lshl_add_u32 v152, v168, 4, v162
	s_barrier
	buffer_gl0_inv
	v_mov_b32_e32 v160, 32
	ds_store_2addr_b64 v152, v[20:21], v[22:23] offset1:1
	s_waitcnt lgkmcnt(0)
	s_barrier
	buffer_gl0_inv
	ds_load_2addr_b64 v[152:155], v162 offset0:64 offset1:65
	s_cmp_lt_i32 s5, 34
	s_cbranch_scc1 .LBB74_674
; %bb.672:
	v_add3_u32 v161, v166, 0, 0x210
	v_mov_b32_e32 v160, 32
	s_mov_b32 s6, 33
	s_set_inst_prefetch_distance 0x1
	.p2align	6
.LBB74_673:                             ; =>This Inner Loop Header: Depth=1
	ds_load_2addr_b64 v[169:172], v161 offset1:1
	s_waitcnt lgkmcnt(1)
	v_cmp_gt_f64_e32 vcc_lo, 0, v[152:153]
	v_xor_b32_e32 v173, 0x80000000, v153
	v_cmp_gt_f64_e64 s2, 0, v[154:155]
	v_xor_b32_e32 v175, 0x80000000, v155
	v_add_nc_u32_e32 v161, 16, v161
	s_waitcnt lgkmcnt(0)
	v_cmp_gt_f64_e64 s3, 0, v[169:170]
	v_mov_b32_e32 v177, v169
	v_dual_mov_b32 v179, v171 :: v_dual_cndmask_b32 v174, v153, v173
	v_xor_b32_e32 v173, 0x80000000, v170
	v_cndmask_b32_e64 v176, v155, v175, s2
	v_xor_b32_e32 v175, 0x80000000, v172
	s_delay_alu instid0(VALU_DEP_3) | instskip(SKIP_2) | instid1(VALU_DEP_2)
	v_cndmask_b32_e64 v178, v170, v173, s3
	v_cmp_gt_f64_e64 s3, 0, v[171:172]
	v_cndmask_b32_e32 v173, v152, v152, vcc_lo
	v_cndmask_b32_e64 v180, v172, v175, s3
	v_cndmask_b32_e64 v175, v154, v154, s2
	s_delay_alu instid0(VALU_DEP_2) | instskip(NEXT) | instid1(VALU_DEP_2)
	v_add_f64 v[177:178], v[177:178], v[179:180]
	v_add_f64 v[173:174], v[173:174], v[175:176]
	s_delay_alu instid0(VALU_DEP_1) | instskip(SKIP_4) | instid1(SALU_CYCLE_1)
	v_cmp_lt_f64_e32 vcc_lo, v[173:174], v[177:178]
	v_dual_cndmask_b32 v154, v154, v171 :: v_dual_cndmask_b32 v153, v153, v170
	v_dual_cndmask_b32 v152, v152, v169 :: v_dual_cndmask_b32 v155, v155, v172
	v_cndmask_b32_e64 v160, v160, s6, vcc_lo
	s_add_i32 s6, s6, 1
	s_cmp_lg_u32 s5, s6
	s_cbranch_scc1 .LBB74_673
.LBB74_674:
	s_set_inst_prefetch_distance 0x2
	s_waitcnt lgkmcnt(0)
	v_cmp_eq_f64_e32 vcc_lo, 0, v[152:153]
	v_cmp_eq_f64_e64 s2, 0, v[154:155]
	s_delay_alu instid0(VALU_DEP_1) | instskip(NEXT) | instid1(SALU_CYCLE_1)
	s_and_b32 s2, vcc_lo, s2
	s_and_saveexec_b32 s3, s2
	s_delay_alu instid0(SALU_CYCLE_1)
	s_xor_b32 s2, exec_lo, s3
; %bb.675:
	v_cmp_ne_u32_e32 vcc_lo, 0, v165
	v_cndmask_b32_e32 v165, 33, v165, vcc_lo
; %bb.676:
	s_and_not1_saveexec_b32 s3, s2
	s_cbranch_execz .LBB74_682
; %bb.677:
	v_cmp_gt_f64_e32 vcc_lo, 0, v[152:153]
	v_cmp_gt_f64_e64 s2, 0, v[154:155]
	v_xor_b32_e32 v161, 0x80000000, v153
	v_xor_b32_e32 v169, 0x80000000, v155
	s_delay_alu instid0(VALU_DEP_2) | instskip(NEXT) | instid1(VALU_DEP_2)
	v_cndmask_b32_e32 v170, v153, v161, vcc_lo
	v_cndmask_b32_e64 v172, v155, v169, s2
	v_cndmask_b32_e32 v169, v152, v152, vcc_lo
	v_cndmask_b32_e64 v171, v154, v154, s2
	s_mov_b32 s2, exec_lo
	s_delay_alu instid0(VALU_DEP_1)
	v_cmpx_ngt_f64_e32 v[169:170], v[171:172]
	s_xor_b32 s2, exec_lo, s2
	s_cbranch_execz .LBB74_679
; %bb.678:
	v_div_scale_f64 v[169:170], null, v[154:155], v[154:155], v[152:153]
	v_div_scale_f64 v[175:176], vcc_lo, v[152:153], v[154:155], v[152:153]
	s_delay_alu instid0(VALU_DEP_2) | instskip(SKIP_2) | instid1(VALU_DEP_1)
	v_rcp_f64_e32 v[171:172], v[169:170]
	s_waitcnt_depctr 0xfff
	v_fma_f64 v[173:174], -v[169:170], v[171:172], 1.0
	v_fma_f64 v[171:172], v[171:172], v[173:174], v[171:172]
	s_delay_alu instid0(VALU_DEP_1) | instskip(NEXT) | instid1(VALU_DEP_1)
	v_fma_f64 v[173:174], -v[169:170], v[171:172], 1.0
	v_fma_f64 v[171:172], v[171:172], v[173:174], v[171:172]
	s_delay_alu instid0(VALU_DEP_1) | instskip(NEXT) | instid1(VALU_DEP_1)
	v_mul_f64 v[173:174], v[175:176], v[171:172]
	v_fma_f64 v[169:170], -v[169:170], v[173:174], v[175:176]
	s_delay_alu instid0(VALU_DEP_1) | instskip(NEXT) | instid1(VALU_DEP_1)
	v_div_fmas_f64 v[169:170], v[169:170], v[171:172], v[173:174]
	v_div_fixup_f64 v[169:170], v[169:170], v[154:155], v[152:153]
	s_delay_alu instid0(VALU_DEP_1) | instskip(NEXT) | instid1(VALU_DEP_1)
	v_fma_f64 v[152:153], v[152:153], v[169:170], v[154:155]
	v_div_scale_f64 v[154:155], null, v[152:153], v[152:153], 1.0
	s_delay_alu instid0(VALU_DEP_1) | instskip(SKIP_2) | instid1(VALU_DEP_1)
	v_rcp_f64_e32 v[171:172], v[154:155]
	s_waitcnt_depctr 0xfff
	v_fma_f64 v[173:174], -v[154:155], v[171:172], 1.0
	v_fma_f64 v[171:172], v[171:172], v[173:174], v[171:172]
	s_delay_alu instid0(VALU_DEP_1) | instskip(NEXT) | instid1(VALU_DEP_1)
	v_fma_f64 v[173:174], -v[154:155], v[171:172], 1.0
	v_fma_f64 v[171:172], v[171:172], v[173:174], v[171:172]
	v_div_scale_f64 v[173:174], vcc_lo, 1.0, v[152:153], 1.0
	s_delay_alu instid0(VALU_DEP_1) | instskip(NEXT) | instid1(VALU_DEP_1)
	v_mul_f64 v[175:176], v[173:174], v[171:172]
	v_fma_f64 v[154:155], -v[154:155], v[175:176], v[173:174]
	s_delay_alu instid0(VALU_DEP_1) | instskip(NEXT) | instid1(VALU_DEP_1)
	v_div_fmas_f64 v[154:155], v[154:155], v[171:172], v[175:176]
	v_div_fixup_f64 v[154:155], v[154:155], v[152:153], 1.0
	s_delay_alu instid0(VALU_DEP_1)
	v_mul_f64 v[152:153], v[169:170], v[154:155]
	v_xor_b32_e32 v155, 0x80000000, v155
.LBB74_679:
	s_and_not1_saveexec_b32 s2, s2
	s_cbranch_execz .LBB74_681
; %bb.680:
	s_delay_alu instid0(VALU_DEP_1) | instskip(SKIP_1) | instid1(VALU_DEP_2)
	v_div_scale_f64 v[169:170], null, v[152:153], v[152:153], v[154:155]
	v_div_scale_f64 v[175:176], vcc_lo, v[154:155], v[152:153], v[154:155]
	v_rcp_f64_e32 v[171:172], v[169:170]
	s_waitcnt_depctr 0xfff
	v_fma_f64 v[173:174], -v[169:170], v[171:172], 1.0
	s_delay_alu instid0(VALU_DEP_1) | instskip(NEXT) | instid1(VALU_DEP_1)
	v_fma_f64 v[171:172], v[171:172], v[173:174], v[171:172]
	v_fma_f64 v[173:174], -v[169:170], v[171:172], 1.0
	s_delay_alu instid0(VALU_DEP_1) | instskip(NEXT) | instid1(VALU_DEP_1)
	v_fma_f64 v[171:172], v[171:172], v[173:174], v[171:172]
	v_mul_f64 v[173:174], v[175:176], v[171:172]
	s_delay_alu instid0(VALU_DEP_1) | instskip(NEXT) | instid1(VALU_DEP_1)
	v_fma_f64 v[169:170], -v[169:170], v[173:174], v[175:176]
	v_div_fmas_f64 v[169:170], v[169:170], v[171:172], v[173:174]
	s_delay_alu instid0(VALU_DEP_1) | instskip(NEXT) | instid1(VALU_DEP_1)
	v_div_fixup_f64 v[169:170], v[169:170], v[152:153], v[154:155]
	v_fma_f64 v[152:153], v[154:155], v[169:170], v[152:153]
	s_delay_alu instid0(VALU_DEP_1) | instskip(NEXT) | instid1(VALU_DEP_1)
	v_div_scale_f64 v[154:155], null, v[152:153], v[152:153], 1.0
	v_rcp_f64_e32 v[171:172], v[154:155]
	s_waitcnt_depctr 0xfff
	v_fma_f64 v[173:174], -v[154:155], v[171:172], 1.0
	s_delay_alu instid0(VALU_DEP_1) | instskip(NEXT) | instid1(VALU_DEP_1)
	v_fma_f64 v[171:172], v[171:172], v[173:174], v[171:172]
	v_fma_f64 v[173:174], -v[154:155], v[171:172], 1.0
	s_delay_alu instid0(VALU_DEP_1) | instskip(SKIP_1) | instid1(VALU_DEP_1)
	v_fma_f64 v[171:172], v[171:172], v[173:174], v[171:172]
	v_div_scale_f64 v[173:174], vcc_lo, 1.0, v[152:153], 1.0
	v_mul_f64 v[175:176], v[173:174], v[171:172]
	s_delay_alu instid0(VALU_DEP_1) | instskip(NEXT) | instid1(VALU_DEP_1)
	v_fma_f64 v[154:155], -v[154:155], v[175:176], v[173:174]
	v_div_fmas_f64 v[154:155], v[154:155], v[171:172], v[175:176]
	s_delay_alu instid0(VALU_DEP_1) | instskip(NEXT) | instid1(VALU_DEP_1)
	v_div_fixup_f64 v[152:153], v[154:155], v[152:153], 1.0
	v_mul_f64 v[154:155], v[169:170], -v[152:153]
.LBB74_681:
	s_or_b32 exec_lo, exec_lo, s2
.LBB74_682:
	s_delay_alu instid0(SALU_CYCLE_1) | instskip(NEXT) | instid1(SALU_CYCLE_1)
	s_or_b32 exec_lo, exec_lo, s3
	s_mov_b32 s2, exec_lo
	v_cmpx_ne_u32_e64 v168, v160
	s_xor_b32 s2, exec_lo, s2
	s_cbranch_execz .LBB74_688
; %bb.683:
	s_mov_b32 s3, exec_lo
	v_cmpx_eq_u32_e32 32, v168
	s_cbranch_execz .LBB74_687
; %bb.684:
	v_cmp_ne_u32_e32 vcc_lo, 32, v160
	s_xor_b32 s6, s4, -1
	s_delay_alu instid0(SALU_CYCLE_1) | instskip(NEXT) | instid1(SALU_CYCLE_1)
	s_and_b32 s7, s6, vcc_lo
	s_and_saveexec_b32 s6, s7
	s_cbranch_execz .LBB74_686
; %bb.685:
	v_ashrrev_i32_e32 v161, 31, v160
	s_delay_alu instid0(VALU_DEP_1) | instskip(NEXT) | instid1(VALU_DEP_1)
	v_lshlrev_b64 v[167:168], 2, v[160:161]
	v_add_co_u32 v167, vcc_lo, v158, v167
	s_delay_alu instid0(VALU_DEP_2)
	v_add_co_ci_u32_e32 v168, vcc_lo, v159, v168, vcc_lo
	s_clause 0x1
	flat_load_b32 v161, v[167:168]
	flat_load_b32 v169, v[158:159] offset:128
	s_waitcnt vmcnt(1) lgkmcnt(1)
	flat_store_b32 v[158:159], v161 offset:128
	s_waitcnt vmcnt(0) lgkmcnt(1)
	flat_store_b32 v[167:168], v169
.LBB74_686:
	s_or_b32 exec_lo, exec_lo, s6
	v_mov_b32_e32 v168, v160
	v_mov_b32_e32 v167, v160
.LBB74_687:
	s_or_b32 exec_lo, exec_lo, s3
.LBB74_688:
	s_and_not1_saveexec_b32 s2, s2
	s_cbranch_execz .LBB74_690
; %bb.689:
	v_mov_b32_e32 v168, 32
	ds_store_2addr_b64 v162, v[16:17], v[18:19] offset0:66 offset1:67
	ds_store_2addr_b64 v162, v[12:13], v[14:15] offset0:68 offset1:69
	;; [unrolled: 1-line block ×5, first 2 shown]
.LBB74_690:
	s_or_b32 exec_lo, exec_lo, s2
	s_delay_alu instid0(SALU_CYCLE_1)
	s_mov_b32 s2, exec_lo
	s_waitcnt lgkmcnt(0)
	s_waitcnt_vscnt null, 0x0
	s_barrier
	buffer_gl0_inv
	v_cmpx_lt_i32_e32 32, v168
	s_cbranch_execz .LBB74_692
; %bb.691:
	v_mul_f64 v[160:161], v[152:153], v[22:23]
	v_mul_f64 v[22:23], v[154:155], v[22:23]
	ds_load_2addr_b64 v[169:172], v162 offset0:66 offset1:67
	ds_load_2addr_b64 v[173:176], v162 offset0:68 offset1:69
	;; [unrolled: 1-line block ×5, first 2 shown]
	v_fma_f64 v[154:155], v[154:155], v[20:21], v[160:161]
	v_fma_f64 v[20:21], v[152:153], v[20:21], -v[22:23]
	s_waitcnt lgkmcnt(4)
	s_delay_alu instid0(VALU_DEP_2)
	v_mul_f64 v[22:23], v[171:172], v[154:155]
	v_mul_f64 v[152:153], v[169:170], v[154:155]
	s_waitcnt lgkmcnt(3)
	v_mul_f64 v[160:161], v[175:176], v[154:155]
	v_mul_f64 v[189:190], v[173:174], v[154:155]
	s_waitcnt lgkmcnt(2)
	v_mul_f64 v[191:192], v[179:180], v[154:155]
	v_mul_f64 v[193:194], v[177:178], v[154:155]
	s_waitcnt lgkmcnt(1)
	v_mul_f64 v[195:196], v[183:184], v[154:155]
	v_mul_f64 v[197:198], v[181:182], v[154:155]
	s_waitcnt lgkmcnt(0)
	v_mul_f64 v[199:200], v[187:188], v[154:155]
	v_mul_f64 v[201:202], v[185:186], v[154:155]
	v_fma_f64 v[22:23], v[169:170], v[20:21], -v[22:23]
	v_fma_f64 v[152:153], v[171:172], v[20:21], v[152:153]
	v_fma_f64 v[160:161], v[173:174], v[20:21], -v[160:161]
	v_fma_f64 v[169:170], v[175:176], v[20:21], v[189:190]
	;; [unrolled: 2-line block ×5, first 2 shown]
	v_add_f64 v[16:17], v[16:17], -v[22:23]
	v_add_f64 v[18:19], v[18:19], -v[152:153]
	;; [unrolled: 1-line block ×10, first 2 shown]
	v_dual_mov_b32 v22, v154 :: v_dual_mov_b32 v23, v155
.LBB74_692:
	s_or_b32 exec_lo, exec_lo, s2
	v_lshl_add_u32 v152, v168, 4, v162
	s_barrier
	buffer_gl0_inv
	v_mov_b32_e32 v160, 33
	ds_store_2addr_b64 v152, v[16:17], v[18:19] offset1:1
	s_waitcnt lgkmcnt(0)
	s_barrier
	buffer_gl0_inv
	ds_load_2addr_b64 v[152:155], v162 offset0:66 offset1:67
	s_cmp_lt_i32 s5, 35
	s_cbranch_scc1 .LBB74_695
; %bb.693:
	v_add3_u32 v161, v166, 0, 0x220
	v_mov_b32_e32 v160, 33
	s_mov_b32 s6, 34
	s_set_inst_prefetch_distance 0x1
	.p2align	6
.LBB74_694:                             ; =>This Inner Loop Header: Depth=1
	ds_load_2addr_b64 v[169:172], v161 offset1:1
	s_waitcnt lgkmcnt(1)
	v_cmp_gt_f64_e32 vcc_lo, 0, v[152:153]
	v_xor_b32_e32 v173, 0x80000000, v153
	v_cmp_gt_f64_e64 s2, 0, v[154:155]
	v_xor_b32_e32 v175, 0x80000000, v155
	v_add_nc_u32_e32 v161, 16, v161
	s_waitcnt lgkmcnt(0)
	v_cmp_gt_f64_e64 s3, 0, v[169:170]
	v_mov_b32_e32 v177, v169
	v_dual_mov_b32 v179, v171 :: v_dual_cndmask_b32 v174, v153, v173
	v_xor_b32_e32 v173, 0x80000000, v170
	v_cndmask_b32_e64 v176, v155, v175, s2
	v_xor_b32_e32 v175, 0x80000000, v172
	s_delay_alu instid0(VALU_DEP_3) | instskip(SKIP_2) | instid1(VALU_DEP_2)
	v_cndmask_b32_e64 v178, v170, v173, s3
	v_cmp_gt_f64_e64 s3, 0, v[171:172]
	v_cndmask_b32_e32 v173, v152, v152, vcc_lo
	v_cndmask_b32_e64 v180, v172, v175, s3
	v_cndmask_b32_e64 v175, v154, v154, s2
	s_delay_alu instid0(VALU_DEP_2) | instskip(NEXT) | instid1(VALU_DEP_2)
	v_add_f64 v[177:178], v[177:178], v[179:180]
	v_add_f64 v[173:174], v[173:174], v[175:176]
	s_delay_alu instid0(VALU_DEP_1) | instskip(SKIP_4) | instid1(SALU_CYCLE_1)
	v_cmp_lt_f64_e32 vcc_lo, v[173:174], v[177:178]
	v_dual_cndmask_b32 v154, v154, v171 :: v_dual_cndmask_b32 v153, v153, v170
	v_dual_cndmask_b32 v152, v152, v169 :: v_dual_cndmask_b32 v155, v155, v172
	v_cndmask_b32_e64 v160, v160, s6, vcc_lo
	s_add_i32 s6, s6, 1
	s_cmp_lg_u32 s5, s6
	s_cbranch_scc1 .LBB74_694
.LBB74_695:
	s_set_inst_prefetch_distance 0x2
	s_waitcnt lgkmcnt(0)
	v_cmp_eq_f64_e32 vcc_lo, 0, v[152:153]
	v_cmp_eq_f64_e64 s2, 0, v[154:155]
	s_delay_alu instid0(VALU_DEP_1) | instskip(NEXT) | instid1(SALU_CYCLE_1)
	s_and_b32 s2, vcc_lo, s2
	s_and_saveexec_b32 s3, s2
	s_delay_alu instid0(SALU_CYCLE_1)
	s_xor_b32 s2, exec_lo, s3
; %bb.696:
	v_cmp_ne_u32_e32 vcc_lo, 0, v165
	v_cndmask_b32_e32 v165, 34, v165, vcc_lo
; %bb.697:
	s_and_not1_saveexec_b32 s3, s2
	s_cbranch_execz .LBB74_703
; %bb.698:
	v_cmp_gt_f64_e32 vcc_lo, 0, v[152:153]
	v_cmp_gt_f64_e64 s2, 0, v[154:155]
	v_xor_b32_e32 v161, 0x80000000, v153
	v_xor_b32_e32 v169, 0x80000000, v155
	s_delay_alu instid0(VALU_DEP_2) | instskip(NEXT) | instid1(VALU_DEP_2)
	v_cndmask_b32_e32 v170, v153, v161, vcc_lo
	v_cndmask_b32_e64 v172, v155, v169, s2
	v_cndmask_b32_e32 v169, v152, v152, vcc_lo
	v_cndmask_b32_e64 v171, v154, v154, s2
	s_mov_b32 s2, exec_lo
	s_delay_alu instid0(VALU_DEP_1)
	v_cmpx_ngt_f64_e32 v[169:170], v[171:172]
	s_xor_b32 s2, exec_lo, s2
	s_cbranch_execz .LBB74_700
; %bb.699:
	v_div_scale_f64 v[169:170], null, v[154:155], v[154:155], v[152:153]
	v_div_scale_f64 v[175:176], vcc_lo, v[152:153], v[154:155], v[152:153]
	s_delay_alu instid0(VALU_DEP_2) | instskip(SKIP_2) | instid1(VALU_DEP_1)
	v_rcp_f64_e32 v[171:172], v[169:170]
	s_waitcnt_depctr 0xfff
	v_fma_f64 v[173:174], -v[169:170], v[171:172], 1.0
	v_fma_f64 v[171:172], v[171:172], v[173:174], v[171:172]
	s_delay_alu instid0(VALU_DEP_1) | instskip(NEXT) | instid1(VALU_DEP_1)
	v_fma_f64 v[173:174], -v[169:170], v[171:172], 1.0
	v_fma_f64 v[171:172], v[171:172], v[173:174], v[171:172]
	s_delay_alu instid0(VALU_DEP_1) | instskip(NEXT) | instid1(VALU_DEP_1)
	v_mul_f64 v[173:174], v[175:176], v[171:172]
	v_fma_f64 v[169:170], -v[169:170], v[173:174], v[175:176]
	s_delay_alu instid0(VALU_DEP_1) | instskip(NEXT) | instid1(VALU_DEP_1)
	v_div_fmas_f64 v[169:170], v[169:170], v[171:172], v[173:174]
	v_div_fixup_f64 v[169:170], v[169:170], v[154:155], v[152:153]
	s_delay_alu instid0(VALU_DEP_1) | instskip(NEXT) | instid1(VALU_DEP_1)
	v_fma_f64 v[152:153], v[152:153], v[169:170], v[154:155]
	v_div_scale_f64 v[154:155], null, v[152:153], v[152:153], 1.0
	s_delay_alu instid0(VALU_DEP_1) | instskip(SKIP_2) | instid1(VALU_DEP_1)
	v_rcp_f64_e32 v[171:172], v[154:155]
	s_waitcnt_depctr 0xfff
	v_fma_f64 v[173:174], -v[154:155], v[171:172], 1.0
	v_fma_f64 v[171:172], v[171:172], v[173:174], v[171:172]
	s_delay_alu instid0(VALU_DEP_1) | instskip(NEXT) | instid1(VALU_DEP_1)
	v_fma_f64 v[173:174], -v[154:155], v[171:172], 1.0
	v_fma_f64 v[171:172], v[171:172], v[173:174], v[171:172]
	v_div_scale_f64 v[173:174], vcc_lo, 1.0, v[152:153], 1.0
	s_delay_alu instid0(VALU_DEP_1) | instskip(NEXT) | instid1(VALU_DEP_1)
	v_mul_f64 v[175:176], v[173:174], v[171:172]
	v_fma_f64 v[154:155], -v[154:155], v[175:176], v[173:174]
	s_delay_alu instid0(VALU_DEP_1) | instskip(NEXT) | instid1(VALU_DEP_1)
	v_div_fmas_f64 v[154:155], v[154:155], v[171:172], v[175:176]
	v_div_fixup_f64 v[154:155], v[154:155], v[152:153], 1.0
	s_delay_alu instid0(VALU_DEP_1)
	v_mul_f64 v[152:153], v[169:170], v[154:155]
	v_xor_b32_e32 v155, 0x80000000, v155
.LBB74_700:
	s_and_not1_saveexec_b32 s2, s2
	s_cbranch_execz .LBB74_702
; %bb.701:
	s_delay_alu instid0(VALU_DEP_1) | instskip(SKIP_1) | instid1(VALU_DEP_2)
	v_div_scale_f64 v[169:170], null, v[152:153], v[152:153], v[154:155]
	v_div_scale_f64 v[175:176], vcc_lo, v[154:155], v[152:153], v[154:155]
	v_rcp_f64_e32 v[171:172], v[169:170]
	s_waitcnt_depctr 0xfff
	v_fma_f64 v[173:174], -v[169:170], v[171:172], 1.0
	s_delay_alu instid0(VALU_DEP_1) | instskip(NEXT) | instid1(VALU_DEP_1)
	v_fma_f64 v[171:172], v[171:172], v[173:174], v[171:172]
	v_fma_f64 v[173:174], -v[169:170], v[171:172], 1.0
	s_delay_alu instid0(VALU_DEP_1) | instskip(NEXT) | instid1(VALU_DEP_1)
	v_fma_f64 v[171:172], v[171:172], v[173:174], v[171:172]
	v_mul_f64 v[173:174], v[175:176], v[171:172]
	s_delay_alu instid0(VALU_DEP_1) | instskip(NEXT) | instid1(VALU_DEP_1)
	v_fma_f64 v[169:170], -v[169:170], v[173:174], v[175:176]
	v_div_fmas_f64 v[169:170], v[169:170], v[171:172], v[173:174]
	s_delay_alu instid0(VALU_DEP_1) | instskip(NEXT) | instid1(VALU_DEP_1)
	v_div_fixup_f64 v[169:170], v[169:170], v[152:153], v[154:155]
	v_fma_f64 v[152:153], v[154:155], v[169:170], v[152:153]
	s_delay_alu instid0(VALU_DEP_1) | instskip(NEXT) | instid1(VALU_DEP_1)
	v_div_scale_f64 v[154:155], null, v[152:153], v[152:153], 1.0
	v_rcp_f64_e32 v[171:172], v[154:155]
	s_waitcnt_depctr 0xfff
	v_fma_f64 v[173:174], -v[154:155], v[171:172], 1.0
	s_delay_alu instid0(VALU_DEP_1) | instskip(NEXT) | instid1(VALU_DEP_1)
	v_fma_f64 v[171:172], v[171:172], v[173:174], v[171:172]
	v_fma_f64 v[173:174], -v[154:155], v[171:172], 1.0
	s_delay_alu instid0(VALU_DEP_1) | instskip(SKIP_1) | instid1(VALU_DEP_1)
	v_fma_f64 v[171:172], v[171:172], v[173:174], v[171:172]
	v_div_scale_f64 v[173:174], vcc_lo, 1.0, v[152:153], 1.0
	v_mul_f64 v[175:176], v[173:174], v[171:172]
	s_delay_alu instid0(VALU_DEP_1) | instskip(NEXT) | instid1(VALU_DEP_1)
	v_fma_f64 v[154:155], -v[154:155], v[175:176], v[173:174]
	v_div_fmas_f64 v[154:155], v[154:155], v[171:172], v[175:176]
	s_delay_alu instid0(VALU_DEP_1) | instskip(NEXT) | instid1(VALU_DEP_1)
	v_div_fixup_f64 v[152:153], v[154:155], v[152:153], 1.0
	v_mul_f64 v[154:155], v[169:170], -v[152:153]
.LBB74_702:
	s_or_b32 exec_lo, exec_lo, s2
.LBB74_703:
	s_delay_alu instid0(SALU_CYCLE_1) | instskip(NEXT) | instid1(SALU_CYCLE_1)
	s_or_b32 exec_lo, exec_lo, s3
	s_mov_b32 s2, exec_lo
	v_cmpx_ne_u32_e64 v168, v160
	s_xor_b32 s2, exec_lo, s2
	s_cbranch_execz .LBB74_709
; %bb.704:
	s_mov_b32 s3, exec_lo
	v_cmpx_eq_u32_e32 33, v168
	s_cbranch_execz .LBB74_708
; %bb.705:
	v_cmp_ne_u32_e32 vcc_lo, 33, v160
	s_xor_b32 s6, s4, -1
	s_delay_alu instid0(SALU_CYCLE_1) | instskip(NEXT) | instid1(SALU_CYCLE_1)
	s_and_b32 s7, s6, vcc_lo
	s_and_saveexec_b32 s6, s7
	s_cbranch_execz .LBB74_707
; %bb.706:
	v_ashrrev_i32_e32 v161, 31, v160
	s_delay_alu instid0(VALU_DEP_1) | instskip(NEXT) | instid1(VALU_DEP_1)
	v_lshlrev_b64 v[167:168], 2, v[160:161]
	v_add_co_u32 v167, vcc_lo, v158, v167
	s_delay_alu instid0(VALU_DEP_2)
	v_add_co_ci_u32_e32 v168, vcc_lo, v159, v168, vcc_lo
	s_clause 0x1
	flat_load_b32 v161, v[167:168]
	flat_load_b32 v169, v[158:159] offset:132
	s_waitcnt vmcnt(1) lgkmcnt(1)
	flat_store_b32 v[158:159], v161 offset:132
	s_waitcnt vmcnt(0) lgkmcnt(1)
	flat_store_b32 v[167:168], v169
.LBB74_707:
	s_or_b32 exec_lo, exec_lo, s6
	v_mov_b32_e32 v168, v160
	v_mov_b32_e32 v167, v160
.LBB74_708:
	s_or_b32 exec_lo, exec_lo, s3
.LBB74_709:
	s_and_not1_saveexec_b32 s2, s2
	s_cbranch_execz .LBB74_711
; %bb.710:
	v_mov_b32_e32 v168, 33
	ds_store_2addr_b64 v162, v[12:13], v[14:15] offset0:68 offset1:69
	ds_store_2addr_b64 v162, v[8:9], v[10:11] offset0:70 offset1:71
	;; [unrolled: 1-line block ×4, first 2 shown]
.LBB74_711:
	s_or_b32 exec_lo, exec_lo, s2
	s_delay_alu instid0(SALU_CYCLE_1)
	s_mov_b32 s2, exec_lo
	s_waitcnt lgkmcnt(0)
	s_waitcnt_vscnt null, 0x0
	s_barrier
	buffer_gl0_inv
	v_cmpx_lt_i32_e32 33, v168
	s_cbranch_execz .LBB74_713
; %bb.712:
	v_mul_f64 v[160:161], v[152:153], v[18:19]
	v_mul_f64 v[18:19], v[154:155], v[18:19]
	ds_load_2addr_b64 v[169:172], v162 offset0:68 offset1:69
	ds_load_2addr_b64 v[173:176], v162 offset0:70 offset1:71
	;; [unrolled: 1-line block ×4, first 2 shown]
	v_fma_f64 v[154:155], v[154:155], v[16:17], v[160:161]
	v_fma_f64 v[16:17], v[152:153], v[16:17], -v[18:19]
	s_waitcnt lgkmcnt(3)
	s_delay_alu instid0(VALU_DEP_2)
	v_mul_f64 v[18:19], v[171:172], v[154:155]
	v_mul_f64 v[152:153], v[169:170], v[154:155]
	s_waitcnt lgkmcnt(2)
	v_mul_f64 v[160:161], v[175:176], v[154:155]
	v_mul_f64 v[185:186], v[173:174], v[154:155]
	s_waitcnt lgkmcnt(1)
	;; [unrolled: 3-line block ×3, first 2 shown]
	v_mul_f64 v[191:192], v[183:184], v[154:155]
	v_mul_f64 v[193:194], v[181:182], v[154:155]
	v_fma_f64 v[18:19], v[169:170], v[16:17], -v[18:19]
	v_fma_f64 v[152:153], v[171:172], v[16:17], v[152:153]
	v_fma_f64 v[160:161], v[173:174], v[16:17], -v[160:161]
	v_fma_f64 v[169:170], v[175:176], v[16:17], v[185:186]
	;; [unrolled: 2-line block ×4, first 2 shown]
	v_add_f64 v[12:13], v[12:13], -v[18:19]
	v_add_f64 v[14:15], v[14:15], -v[152:153]
	;; [unrolled: 1-line block ×8, first 2 shown]
	v_dual_mov_b32 v18, v154 :: v_dual_mov_b32 v19, v155
.LBB74_713:
	s_or_b32 exec_lo, exec_lo, s2
	v_lshl_add_u32 v152, v168, 4, v162
	s_barrier
	buffer_gl0_inv
	v_mov_b32_e32 v160, 34
	ds_store_2addr_b64 v152, v[12:13], v[14:15] offset1:1
	s_waitcnt lgkmcnt(0)
	s_barrier
	buffer_gl0_inv
	ds_load_2addr_b64 v[152:155], v162 offset0:68 offset1:69
	s_cmp_lt_i32 s5, 36
	s_cbranch_scc1 .LBB74_716
; %bb.714:
	v_add3_u32 v161, v166, 0, 0x230
	v_mov_b32_e32 v160, 34
	s_mov_b32 s6, 35
	s_set_inst_prefetch_distance 0x1
	.p2align	6
.LBB74_715:                             ; =>This Inner Loop Header: Depth=1
	ds_load_2addr_b64 v[169:172], v161 offset1:1
	s_waitcnt lgkmcnt(1)
	v_cmp_gt_f64_e32 vcc_lo, 0, v[152:153]
	v_xor_b32_e32 v173, 0x80000000, v153
	v_cmp_gt_f64_e64 s2, 0, v[154:155]
	v_xor_b32_e32 v175, 0x80000000, v155
	v_add_nc_u32_e32 v161, 16, v161
	s_waitcnt lgkmcnt(0)
	v_cmp_gt_f64_e64 s3, 0, v[169:170]
	v_mov_b32_e32 v177, v169
	v_dual_mov_b32 v179, v171 :: v_dual_cndmask_b32 v174, v153, v173
	v_xor_b32_e32 v173, 0x80000000, v170
	v_cndmask_b32_e64 v176, v155, v175, s2
	v_xor_b32_e32 v175, 0x80000000, v172
	s_delay_alu instid0(VALU_DEP_3) | instskip(SKIP_2) | instid1(VALU_DEP_2)
	v_cndmask_b32_e64 v178, v170, v173, s3
	v_cmp_gt_f64_e64 s3, 0, v[171:172]
	v_cndmask_b32_e32 v173, v152, v152, vcc_lo
	v_cndmask_b32_e64 v180, v172, v175, s3
	v_cndmask_b32_e64 v175, v154, v154, s2
	s_delay_alu instid0(VALU_DEP_2) | instskip(NEXT) | instid1(VALU_DEP_2)
	v_add_f64 v[177:178], v[177:178], v[179:180]
	v_add_f64 v[173:174], v[173:174], v[175:176]
	s_delay_alu instid0(VALU_DEP_1) | instskip(SKIP_4) | instid1(SALU_CYCLE_1)
	v_cmp_lt_f64_e32 vcc_lo, v[173:174], v[177:178]
	v_dual_cndmask_b32 v154, v154, v171 :: v_dual_cndmask_b32 v153, v153, v170
	v_dual_cndmask_b32 v152, v152, v169 :: v_dual_cndmask_b32 v155, v155, v172
	v_cndmask_b32_e64 v160, v160, s6, vcc_lo
	s_add_i32 s6, s6, 1
	s_cmp_lg_u32 s5, s6
	s_cbranch_scc1 .LBB74_715
.LBB74_716:
	s_set_inst_prefetch_distance 0x2
	s_waitcnt lgkmcnt(0)
	v_cmp_eq_f64_e32 vcc_lo, 0, v[152:153]
	v_cmp_eq_f64_e64 s2, 0, v[154:155]
	s_delay_alu instid0(VALU_DEP_1) | instskip(NEXT) | instid1(SALU_CYCLE_1)
	s_and_b32 s2, vcc_lo, s2
	s_and_saveexec_b32 s3, s2
	s_delay_alu instid0(SALU_CYCLE_1)
	s_xor_b32 s2, exec_lo, s3
; %bb.717:
	v_cmp_ne_u32_e32 vcc_lo, 0, v165
	v_cndmask_b32_e32 v165, 35, v165, vcc_lo
; %bb.718:
	s_and_not1_saveexec_b32 s3, s2
	s_cbranch_execz .LBB74_724
; %bb.719:
	v_cmp_gt_f64_e32 vcc_lo, 0, v[152:153]
	v_cmp_gt_f64_e64 s2, 0, v[154:155]
	v_xor_b32_e32 v161, 0x80000000, v153
	v_xor_b32_e32 v169, 0x80000000, v155
	s_delay_alu instid0(VALU_DEP_2) | instskip(NEXT) | instid1(VALU_DEP_2)
	v_cndmask_b32_e32 v170, v153, v161, vcc_lo
	v_cndmask_b32_e64 v172, v155, v169, s2
	v_cndmask_b32_e32 v169, v152, v152, vcc_lo
	v_cndmask_b32_e64 v171, v154, v154, s2
	s_mov_b32 s2, exec_lo
	s_delay_alu instid0(VALU_DEP_1)
	v_cmpx_ngt_f64_e32 v[169:170], v[171:172]
	s_xor_b32 s2, exec_lo, s2
	s_cbranch_execz .LBB74_721
; %bb.720:
	v_div_scale_f64 v[169:170], null, v[154:155], v[154:155], v[152:153]
	v_div_scale_f64 v[175:176], vcc_lo, v[152:153], v[154:155], v[152:153]
	s_delay_alu instid0(VALU_DEP_2) | instskip(SKIP_2) | instid1(VALU_DEP_1)
	v_rcp_f64_e32 v[171:172], v[169:170]
	s_waitcnt_depctr 0xfff
	v_fma_f64 v[173:174], -v[169:170], v[171:172], 1.0
	v_fma_f64 v[171:172], v[171:172], v[173:174], v[171:172]
	s_delay_alu instid0(VALU_DEP_1) | instskip(NEXT) | instid1(VALU_DEP_1)
	v_fma_f64 v[173:174], -v[169:170], v[171:172], 1.0
	v_fma_f64 v[171:172], v[171:172], v[173:174], v[171:172]
	s_delay_alu instid0(VALU_DEP_1) | instskip(NEXT) | instid1(VALU_DEP_1)
	v_mul_f64 v[173:174], v[175:176], v[171:172]
	v_fma_f64 v[169:170], -v[169:170], v[173:174], v[175:176]
	s_delay_alu instid0(VALU_DEP_1) | instskip(NEXT) | instid1(VALU_DEP_1)
	v_div_fmas_f64 v[169:170], v[169:170], v[171:172], v[173:174]
	v_div_fixup_f64 v[169:170], v[169:170], v[154:155], v[152:153]
	s_delay_alu instid0(VALU_DEP_1) | instskip(NEXT) | instid1(VALU_DEP_1)
	v_fma_f64 v[152:153], v[152:153], v[169:170], v[154:155]
	v_div_scale_f64 v[154:155], null, v[152:153], v[152:153], 1.0
	s_delay_alu instid0(VALU_DEP_1) | instskip(SKIP_2) | instid1(VALU_DEP_1)
	v_rcp_f64_e32 v[171:172], v[154:155]
	s_waitcnt_depctr 0xfff
	v_fma_f64 v[173:174], -v[154:155], v[171:172], 1.0
	v_fma_f64 v[171:172], v[171:172], v[173:174], v[171:172]
	s_delay_alu instid0(VALU_DEP_1) | instskip(NEXT) | instid1(VALU_DEP_1)
	v_fma_f64 v[173:174], -v[154:155], v[171:172], 1.0
	v_fma_f64 v[171:172], v[171:172], v[173:174], v[171:172]
	v_div_scale_f64 v[173:174], vcc_lo, 1.0, v[152:153], 1.0
	s_delay_alu instid0(VALU_DEP_1) | instskip(NEXT) | instid1(VALU_DEP_1)
	v_mul_f64 v[175:176], v[173:174], v[171:172]
	v_fma_f64 v[154:155], -v[154:155], v[175:176], v[173:174]
	s_delay_alu instid0(VALU_DEP_1) | instskip(NEXT) | instid1(VALU_DEP_1)
	v_div_fmas_f64 v[154:155], v[154:155], v[171:172], v[175:176]
	v_div_fixup_f64 v[154:155], v[154:155], v[152:153], 1.0
	s_delay_alu instid0(VALU_DEP_1)
	v_mul_f64 v[152:153], v[169:170], v[154:155]
	v_xor_b32_e32 v155, 0x80000000, v155
.LBB74_721:
	s_and_not1_saveexec_b32 s2, s2
	s_cbranch_execz .LBB74_723
; %bb.722:
	s_delay_alu instid0(VALU_DEP_1) | instskip(SKIP_1) | instid1(VALU_DEP_2)
	v_div_scale_f64 v[169:170], null, v[152:153], v[152:153], v[154:155]
	v_div_scale_f64 v[175:176], vcc_lo, v[154:155], v[152:153], v[154:155]
	v_rcp_f64_e32 v[171:172], v[169:170]
	s_waitcnt_depctr 0xfff
	v_fma_f64 v[173:174], -v[169:170], v[171:172], 1.0
	s_delay_alu instid0(VALU_DEP_1) | instskip(NEXT) | instid1(VALU_DEP_1)
	v_fma_f64 v[171:172], v[171:172], v[173:174], v[171:172]
	v_fma_f64 v[173:174], -v[169:170], v[171:172], 1.0
	s_delay_alu instid0(VALU_DEP_1) | instskip(NEXT) | instid1(VALU_DEP_1)
	v_fma_f64 v[171:172], v[171:172], v[173:174], v[171:172]
	v_mul_f64 v[173:174], v[175:176], v[171:172]
	s_delay_alu instid0(VALU_DEP_1) | instskip(NEXT) | instid1(VALU_DEP_1)
	v_fma_f64 v[169:170], -v[169:170], v[173:174], v[175:176]
	v_div_fmas_f64 v[169:170], v[169:170], v[171:172], v[173:174]
	s_delay_alu instid0(VALU_DEP_1) | instskip(NEXT) | instid1(VALU_DEP_1)
	v_div_fixup_f64 v[169:170], v[169:170], v[152:153], v[154:155]
	v_fma_f64 v[152:153], v[154:155], v[169:170], v[152:153]
	s_delay_alu instid0(VALU_DEP_1) | instskip(NEXT) | instid1(VALU_DEP_1)
	v_div_scale_f64 v[154:155], null, v[152:153], v[152:153], 1.0
	v_rcp_f64_e32 v[171:172], v[154:155]
	s_waitcnt_depctr 0xfff
	v_fma_f64 v[173:174], -v[154:155], v[171:172], 1.0
	s_delay_alu instid0(VALU_DEP_1) | instskip(NEXT) | instid1(VALU_DEP_1)
	v_fma_f64 v[171:172], v[171:172], v[173:174], v[171:172]
	v_fma_f64 v[173:174], -v[154:155], v[171:172], 1.0
	s_delay_alu instid0(VALU_DEP_1) | instskip(SKIP_1) | instid1(VALU_DEP_1)
	v_fma_f64 v[171:172], v[171:172], v[173:174], v[171:172]
	v_div_scale_f64 v[173:174], vcc_lo, 1.0, v[152:153], 1.0
	v_mul_f64 v[175:176], v[173:174], v[171:172]
	s_delay_alu instid0(VALU_DEP_1) | instskip(NEXT) | instid1(VALU_DEP_1)
	v_fma_f64 v[154:155], -v[154:155], v[175:176], v[173:174]
	v_div_fmas_f64 v[154:155], v[154:155], v[171:172], v[175:176]
	s_delay_alu instid0(VALU_DEP_1) | instskip(NEXT) | instid1(VALU_DEP_1)
	v_div_fixup_f64 v[152:153], v[154:155], v[152:153], 1.0
	v_mul_f64 v[154:155], v[169:170], -v[152:153]
.LBB74_723:
	s_or_b32 exec_lo, exec_lo, s2
.LBB74_724:
	s_delay_alu instid0(SALU_CYCLE_1) | instskip(NEXT) | instid1(SALU_CYCLE_1)
	s_or_b32 exec_lo, exec_lo, s3
	s_mov_b32 s2, exec_lo
	v_cmpx_ne_u32_e64 v168, v160
	s_xor_b32 s2, exec_lo, s2
	s_cbranch_execz .LBB74_730
; %bb.725:
	s_mov_b32 s3, exec_lo
	v_cmpx_eq_u32_e32 34, v168
	s_cbranch_execz .LBB74_729
; %bb.726:
	v_cmp_ne_u32_e32 vcc_lo, 34, v160
	s_xor_b32 s6, s4, -1
	s_delay_alu instid0(SALU_CYCLE_1) | instskip(NEXT) | instid1(SALU_CYCLE_1)
	s_and_b32 s7, s6, vcc_lo
	s_and_saveexec_b32 s6, s7
	s_cbranch_execz .LBB74_728
; %bb.727:
	v_ashrrev_i32_e32 v161, 31, v160
	s_delay_alu instid0(VALU_DEP_1) | instskip(NEXT) | instid1(VALU_DEP_1)
	v_lshlrev_b64 v[167:168], 2, v[160:161]
	v_add_co_u32 v167, vcc_lo, v158, v167
	s_delay_alu instid0(VALU_DEP_2)
	v_add_co_ci_u32_e32 v168, vcc_lo, v159, v168, vcc_lo
	s_clause 0x1
	flat_load_b32 v161, v[167:168]
	flat_load_b32 v169, v[158:159] offset:136
	s_waitcnt vmcnt(1) lgkmcnt(1)
	flat_store_b32 v[158:159], v161 offset:136
	s_waitcnt vmcnt(0) lgkmcnt(1)
	flat_store_b32 v[167:168], v169
.LBB74_728:
	s_or_b32 exec_lo, exec_lo, s6
	v_mov_b32_e32 v168, v160
	v_mov_b32_e32 v167, v160
.LBB74_729:
	s_or_b32 exec_lo, exec_lo, s3
.LBB74_730:
	s_and_not1_saveexec_b32 s2, s2
	s_cbranch_execz .LBB74_732
; %bb.731:
	v_mov_b32_e32 v168, 34
	ds_store_2addr_b64 v162, v[8:9], v[10:11] offset0:70 offset1:71
	ds_store_2addr_b64 v162, v[4:5], v[6:7] offset0:72 offset1:73
	;; [unrolled: 1-line block ×3, first 2 shown]
.LBB74_732:
	s_or_b32 exec_lo, exec_lo, s2
	s_delay_alu instid0(SALU_CYCLE_1)
	s_mov_b32 s2, exec_lo
	s_waitcnt lgkmcnt(0)
	s_waitcnt_vscnt null, 0x0
	s_barrier
	buffer_gl0_inv
	v_cmpx_lt_i32_e32 34, v168
	s_cbranch_execz .LBB74_734
; %bb.733:
	v_mul_f64 v[160:161], v[152:153], v[14:15]
	v_mul_f64 v[14:15], v[154:155], v[14:15]
	ds_load_2addr_b64 v[169:172], v162 offset0:70 offset1:71
	ds_load_2addr_b64 v[173:176], v162 offset0:72 offset1:73
	;; [unrolled: 1-line block ×3, first 2 shown]
	v_fma_f64 v[154:155], v[154:155], v[12:13], v[160:161]
	v_fma_f64 v[12:13], v[152:153], v[12:13], -v[14:15]
	s_waitcnt lgkmcnt(2)
	s_delay_alu instid0(VALU_DEP_2)
	v_mul_f64 v[14:15], v[171:172], v[154:155]
	v_mul_f64 v[152:153], v[169:170], v[154:155]
	s_waitcnt lgkmcnt(1)
	v_mul_f64 v[160:161], v[175:176], v[154:155]
	v_mul_f64 v[181:182], v[173:174], v[154:155]
	s_waitcnt lgkmcnt(0)
	v_mul_f64 v[183:184], v[179:180], v[154:155]
	v_mul_f64 v[185:186], v[177:178], v[154:155]
	v_fma_f64 v[14:15], v[169:170], v[12:13], -v[14:15]
	v_fma_f64 v[152:153], v[171:172], v[12:13], v[152:153]
	v_fma_f64 v[160:161], v[173:174], v[12:13], -v[160:161]
	v_fma_f64 v[169:170], v[175:176], v[12:13], v[181:182]
	v_fma_f64 v[171:172], v[177:178], v[12:13], -v[183:184]
	v_fma_f64 v[173:174], v[179:180], v[12:13], v[185:186]
	v_add_f64 v[8:9], v[8:9], -v[14:15]
	v_add_f64 v[10:11], v[10:11], -v[152:153]
	;; [unrolled: 1-line block ×6, first 2 shown]
	v_dual_mov_b32 v14, v154 :: v_dual_mov_b32 v15, v155
.LBB74_734:
	s_or_b32 exec_lo, exec_lo, s2
	v_lshl_add_u32 v152, v168, 4, v162
	s_barrier
	buffer_gl0_inv
	v_mov_b32_e32 v160, 35
	ds_store_2addr_b64 v152, v[8:9], v[10:11] offset1:1
	s_waitcnt lgkmcnt(0)
	s_barrier
	buffer_gl0_inv
	ds_load_2addr_b64 v[152:155], v162 offset0:70 offset1:71
	s_cmp_lt_i32 s5, 37
	s_cbranch_scc1 .LBB74_737
; %bb.735:
	v_add3_u32 v161, v166, 0, 0x240
	v_mov_b32_e32 v160, 35
	s_mov_b32 s6, 36
	s_set_inst_prefetch_distance 0x1
	.p2align	6
.LBB74_736:                             ; =>This Inner Loop Header: Depth=1
	ds_load_2addr_b64 v[169:172], v161 offset1:1
	s_waitcnt lgkmcnt(1)
	v_cmp_gt_f64_e32 vcc_lo, 0, v[152:153]
	v_xor_b32_e32 v173, 0x80000000, v153
	v_cmp_gt_f64_e64 s2, 0, v[154:155]
	v_xor_b32_e32 v175, 0x80000000, v155
	v_add_nc_u32_e32 v161, 16, v161
	s_waitcnt lgkmcnt(0)
	v_cmp_gt_f64_e64 s3, 0, v[169:170]
	v_mov_b32_e32 v177, v169
	v_dual_mov_b32 v179, v171 :: v_dual_cndmask_b32 v174, v153, v173
	v_xor_b32_e32 v173, 0x80000000, v170
	v_cndmask_b32_e64 v176, v155, v175, s2
	v_xor_b32_e32 v175, 0x80000000, v172
	s_delay_alu instid0(VALU_DEP_3) | instskip(SKIP_2) | instid1(VALU_DEP_2)
	v_cndmask_b32_e64 v178, v170, v173, s3
	v_cmp_gt_f64_e64 s3, 0, v[171:172]
	v_cndmask_b32_e32 v173, v152, v152, vcc_lo
	v_cndmask_b32_e64 v180, v172, v175, s3
	v_cndmask_b32_e64 v175, v154, v154, s2
	s_delay_alu instid0(VALU_DEP_2) | instskip(NEXT) | instid1(VALU_DEP_2)
	v_add_f64 v[177:178], v[177:178], v[179:180]
	v_add_f64 v[173:174], v[173:174], v[175:176]
	s_delay_alu instid0(VALU_DEP_1) | instskip(SKIP_4) | instid1(SALU_CYCLE_1)
	v_cmp_lt_f64_e32 vcc_lo, v[173:174], v[177:178]
	v_dual_cndmask_b32 v154, v154, v171 :: v_dual_cndmask_b32 v153, v153, v170
	v_dual_cndmask_b32 v152, v152, v169 :: v_dual_cndmask_b32 v155, v155, v172
	v_cndmask_b32_e64 v160, v160, s6, vcc_lo
	s_add_i32 s6, s6, 1
	s_cmp_lg_u32 s5, s6
	s_cbranch_scc1 .LBB74_736
.LBB74_737:
	s_set_inst_prefetch_distance 0x2
	s_waitcnt lgkmcnt(0)
	v_cmp_eq_f64_e32 vcc_lo, 0, v[152:153]
	v_cmp_eq_f64_e64 s2, 0, v[154:155]
	s_delay_alu instid0(VALU_DEP_1) | instskip(NEXT) | instid1(SALU_CYCLE_1)
	s_and_b32 s2, vcc_lo, s2
	s_and_saveexec_b32 s3, s2
	s_delay_alu instid0(SALU_CYCLE_1)
	s_xor_b32 s2, exec_lo, s3
; %bb.738:
	v_cmp_ne_u32_e32 vcc_lo, 0, v165
	v_cndmask_b32_e32 v165, 36, v165, vcc_lo
; %bb.739:
	s_and_not1_saveexec_b32 s3, s2
	s_cbranch_execz .LBB74_745
; %bb.740:
	v_cmp_gt_f64_e32 vcc_lo, 0, v[152:153]
	v_cmp_gt_f64_e64 s2, 0, v[154:155]
	v_xor_b32_e32 v161, 0x80000000, v153
	v_xor_b32_e32 v169, 0x80000000, v155
	s_delay_alu instid0(VALU_DEP_2) | instskip(NEXT) | instid1(VALU_DEP_2)
	v_cndmask_b32_e32 v170, v153, v161, vcc_lo
	v_cndmask_b32_e64 v172, v155, v169, s2
	v_cndmask_b32_e32 v169, v152, v152, vcc_lo
	v_cndmask_b32_e64 v171, v154, v154, s2
	s_mov_b32 s2, exec_lo
	s_delay_alu instid0(VALU_DEP_1)
	v_cmpx_ngt_f64_e32 v[169:170], v[171:172]
	s_xor_b32 s2, exec_lo, s2
	s_cbranch_execz .LBB74_742
; %bb.741:
	v_div_scale_f64 v[169:170], null, v[154:155], v[154:155], v[152:153]
	v_div_scale_f64 v[175:176], vcc_lo, v[152:153], v[154:155], v[152:153]
	s_delay_alu instid0(VALU_DEP_2) | instskip(SKIP_2) | instid1(VALU_DEP_1)
	v_rcp_f64_e32 v[171:172], v[169:170]
	s_waitcnt_depctr 0xfff
	v_fma_f64 v[173:174], -v[169:170], v[171:172], 1.0
	v_fma_f64 v[171:172], v[171:172], v[173:174], v[171:172]
	s_delay_alu instid0(VALU_DEP_1) | instskip(NEXT) | instid1(VALU_DEP_1)
	v_fma_f64 v[173:174], -v[169:170], v[171:172], 1.0
	v_fma_f64 v[171:172], v[171:172], v[173:174], v[171:172]
	s_delay_alu instid0(VALU_DEP_1) | instskip(NEXT) | instid1(VALU_DEP_1)
	v_mul_f64 v[173:174], v[175:176], v[171:172]
	v_fma_f64 v[169:170], -v[169:170], v[173:174], v[175:176]
	s_delay_alu instid0(VALU_DEP_1) | instskip(NEXT) | instid1(VALU_DEP_1)
	v_div_fmas_f64 v[169:170], v[169:170], v[171:172], v[173:174]
	v_div_fixup_f64 v[169:170], v[169:170], v[154:155], v[152:153]
	s_delay_alu instid0(VALU_DEP_1) | instskip(NEXT) | instid1(VALU_DEP_1)
	v_fma_f64 v[152:153], v[152:153], v[169:170], v[154:155]
	v_div_scale_f64 v[154:155], null, v[152:153], v[152:153], 1.0
	s_delay_alu instid0(VALU_DEP_1) | instskip(SKIP_2) | instid1(VALU_DEP_1)
	v_rcp_f64_e32 v[171:172], v[154:155]
	s_waitcnt_depctr 0xfff
	v_fma_f64 v[173:174], -v[154:155], v[171:172], 1.0
	v_fma_f64 v[171:172], v[171:172], v[173:174], v[171:172]
	s_delay_alu instid0(VALU_DEP_1) | instskip(NEXT) | instid1(VALU_DEP_1)
	v_fma_f64 v[173:174], -v[154:155], v[171:172], 1.0
	v_fma_f64 v[171:172], v[171:172], v[173:174], v[171:172]
	v_div_scale_f64 v[173:174], vcc_lo, 1.0, v[152:153], 1.0
	s_delay_alu instid0(VALU_DEP_1) | instskip(NEXT) | instid1(VALU_DEP_1)
	v_mul_f64 v[175:176], v[173:174], v[171:172]
	v_fma_f64 v[154:155], -v[154:155], v[175:176], v[173:174]
	s_delay_alu instid0(VALU_DEP_1) | instskip(NEXT) | instid1(VALU_DEP_1)
	v_div_fmas_f64 v[154:155], v[154:155], v[171:172], v[175:176]
	v_div_fixup_f64 v[154:155], v[154:155], v[152:153], 1.0
	s_delay_alu instid0(VALU_DEP_1)
	v_mul_f64 v[152:153], v[169:170], v[154:155]
	v_xor_b32_e32 v155, 0x80000000, v155
.LBB74_742:
	s_and_not1_saveexec_b32 s2, s2
	s_cbranch_execz .LBB74_744
; %bb.743:
	s_delay_alu instid0(VALU_DEP_1) | instskip(SKIP_1) | instid1(VALU_DEP_2)
	v_div_scale_f64 v[169:170], null, v[152:153], v[152:153], v[154:155]
	v_div_scale_f64 v[175:176], vcc_lo, v[154:155], v[152:153], v[154:155]
	v_rcp_f64_e32 v[171:172], v[169:170]
	s_waitcnt_depctr 0xfff
	v_fma_f64 v[173:174], -v[169:170], v[171:172], 1.0
	s_delay_alu instid0(VALU_DEP_1) | instskip(NEXT) | instid1(VALU_DEP_1)
	v_fma_f64 v[171:172], v[171:172], v[173:174], v[171:172]
	v_fma_f64 v[173:174], -v[169:170], v[171:172], 1.0
	s_delay_alu instid0(VALU_DEP_1) | instskip(NEXT) | instid1(VALU_DEP_1)
	v_fma_f64 v[171:172], v[171:172], v[173:174], v[171:172]
	v_mul_f64 v[173:174], v[175:176], v[171:172]
	s_delay_alu instid0(VALU_DEP_1) | instskip(NEXT) | instid1(VALU_DEP_1)
	v_fma_f64 v[169:170], -v[169:170], v[173:174], v[175:176]
	v_div_fmas_f64 v[169:170], v[169:170], v[171:172], v[173:174]
	s_delay_alu instid0(VALU_DEP_1) | instskip(NEXT) | instid1(VALU_DEP_1)
	v_div_fixup_f64 v[169:170], v[169:170], v[152:153], v[154:155]
	v_fma_f64 v[152:153], v[154:155], v[169:170], v[152:153]
	s_delay_alu instid0(VALU_DEP_1) | instskip(NEXT) | instid1(VALU_DEP_1)
	v_div_scale_f64 v[154:155], null, v[152:153], v[152:153], 1.0
	v_rcp_f64_e32 v[171:172], v[154:155]
	s_waitcnt_depctr 0xfff
	v_fma_f64 v[173:174], -v[154:155], v[171:172], 1.0
	s_delay_alu instid0(VALU_DEP_1) | instskip(NEXT) | instid1(VALU_DEP_1)
	v_fma_f64 v[171:172], v[171:172], v[173:174], v[171:172]
	v_fma_f64 v[173:174], -v[154:155], v[171:172], 1.0
	s_delay_alu instid0(VALU_DEP_1) | instskip(SKIP_1) | instid1(VALU_DEP_1)
	v_fma_f64 v[171:172], v[171:172], v[173:174], v[171:172]
	v_div_scale_f64 v[173:174], vcc_lo, 1.0, v[152:153], 1.0
	v_mul_f64 v[175:176], v[173:174], v[171:172]
	s_delay_alu instid0(VALU_DEP_1) | instskip(NEXT) | instid1(VALU_DEP_1)
	v_fma_f64 v[154:155], -v[154:155], v[175:176], v[173:174]
	v_div_fmas_f64 v[154:155], v[154:155], v[171:172], v[175:176]
	s_delay_alu instid0(VALU_DEP_1) | instskip(NEXT) | instid1(VALU_DEP_1)
	v_div_fixup_f64 v[152:153], v[154:155], v[152:153], 1.0
	v_mul_f64 v[154:155], v[169:170], -v[152:153]
.LBB74_744:
	s_or_b32 exec_lo, exec_lo, s2
.LBB74_745:
	s_delay_alu instid0(SALU_CYCLE_1) | instskip(NEXT) | instid1(SALU_CYCLE_1)
	s_or_b32 exec_lo, exec_lo, s3
	s_mov_b32 s2, exec_lo
	v_cmpx_ne_u32_e64 v168, v160
	s_xor_b32 s2, exec_lo, s2
	s_cbranch_execz .LBB74_751
; %bb.746:
	s_mov_b32 s3, exec_lo
	v_cmpx_eq_u32_e32 35, v168
	s_cbranch_execz .LBB74_750
; %bb.747:
	v_cmp_ne_u32_e32 vcc_lo, 35, v160
	s_xor_b32 s6, s4, -1
	s_delay_alu instid0(SALU_CYCLE_1) | instskip(NEXT) | instid1(SALU_CYCLE_1)
	s_and_b32 s7, s6, vcc_lo
	s_and_saveexec_b32 s6, s7
	s_cbranch_execz .LBB74_749
; %bb.748:
	v_ashrrev_i32_e32 v161, 31, v160
	s_delay_alu instid0(VALU_DEP_1) | instskip(NEXT) | instid1(VALU_DEP_1)
	v_lshlrev_b64 v[167:168], 2, v[160:161]
	v_add_co_u32 v167, vcc_lo, v158, v167
	s_delay_alu instid0(VALU_DEP_2)
	v_add_co_ci_u32_e32 v168, vcc_lo, v159, v168, vcc_lo
	s_clause 0x1
	flat_load_b32 v161, v[167:168]
	flat_load_b32 v169, v[158:159] offset:140
	s_waitcnt vmcnt(1) lgkmcnt(1)
	flat_store_b32 v[158:159], v161 offset:140
	s_waitcnt vmcnt(0) lgkmcnt(1)
	flat_store_b32 v[167:168], v169
.LBB74_749:
	s_or_b32 exec_lo, exec_lo, s6
	v_mov_b32_e32 v168, v160
	v_mov_b32_e32 v167, v160
.LBB74_750:
	s_or_b32 exec_lo, exec_lo, s3
.LBB74_751:
	s_and_not1_saveexec_b32 s2, s2
	s_cbranch_execz .LBB74_753
; %bb.752:
	v_mov_b32_e32 v168, 35
	ds_store_2addr_b64 v162, v[4:5], v[6:7] offset0:72 offset1:73
	ds_store_2addr_b64 v162, v[0:1], v[2:3] offset0:74 offset1:75
.LBB74_753:
	s_or_b32 exec_lo, exec_lo, s2
	s_delay_alu instid0(SALU_CYCLE_1)
	s_mov_b32 s2, exec_lo
	s_waitcnt lgkmcnt(0)
	s_waitcnt_vscnt null, 0x0
	s_barrier
	buffer_gl0_inv
	v_cmpx_lt_i32_e32 35, v168
	s_cbranch_execz .LBB74_755
; %bb.754:
	v_mul_f64 v[160:161], v[152:153], v[10:11]
	v_mul_f64 v[10:11], v[154:155], v[10:11]
	ds_load_2addr_b64 v[169:172], v162 offset0:72 offset1:73
	ds_load_2addr_b64 v[173:176], v162 offset0:74 offset1:75
	v_fma_f64 v[154:155], v[154:155], v[8:9], v[160:161]
	v_fma_f64 v[8:9], v[152:153], v[8:9], -v[10:11]
	s_waitcnt lgkmcnt(1)
	s_delay_alu instid0(VALU_DEP_2) | instskip(SKIP_4) | instid1(VALU_DEP_4)
	v_mul_f64 v[10:11], v[171:172], v[154:155]
	v_mul_f64 v[152:153], v[169:170], v[154:155]
	s_waitcnt lgkmcnt(0)
	v_mul_f64 v[160:161], v[175:176], v[154:155]
	v_mul_f64 v[177:178], v[173:174], v[154:155]
	v_fma_f64 v[10:11], v[169:170], v[8:9], -v[10:11]
	s_delay_alu instid0(VALU_DEP_4) | instskip(NEXT) | instid1(VALU_DEP_4)
	v_fma_f64 v[152:153], v[171:172], v[8:9], v[152:153]
	v_fma_f64 v[160:161], v[173:174], v[8:9], -v[160:161]
	s_delay_alu instid0(VALU_DEP_4) | instskip(NEXT) | instid1(VALU_DEP_4)
	v_fma_f64 v[169:170], v[175:176], v[8:9], v[177:178]
	v_add_f64 v[4:5], v[4:5], -v[10:11]
	s_delay_alu instid0(VALU_DEP_4) | instskip(NEXT) | instid1(VALU_DEP_4)
	v_add_f64 v[6:7], v[6:7], -v[152:153]
	v_add_f64 v[0:1], v[0:1], -v[160:161]
	s_delay_alu instid0(VALU_DEP_4)
	v_add_f64 v[2:3], v[2:3], -v[169:170]
	v_dual_mov_b32 v10, v154 :: v_dual_mov_b32 v11, v155
.LBB74_755:
	s_or_b32 exec_lo, exec_lo, s2
	v_lshl_add_u32 v152, v168, 4, v162
	s_barrier
	buffer_gl0_inv
	v_mov_b32_e32 v160, 36
	ds_store_2addr_b64 v152, v[4:5], v[6:7] offset1:1
	s_waitcnt lgkmcnt(0)
	s_barrier
	buffer_gl0_inv
	ds_load_2addr_b64 v[152:155], v162 offset0:72 offset1:73
	s_cmp_lt_i32 s5, 38
	s_cbranch_scc1 .LBB74_758
; %bb.756:
	v_add3_u32 v161, v166, 0, 0x250
	v_mov_b32_e32 v160, 36
	s_mov_b32 s6, 37
	s_set_inst_prefetch_distance 0x1
	.p2align	6
.LBB74_757:                             ; =>This Inner Loop Header: Depth=1
	ds_load_2addr_b64 v[169:172], v161 offset1:1
	s_waitcnt lgkmcnt(1)
	v_cmp_gt_f64_e32 vcc_lo, 0, v[152:153]
	v_xor_b32_e32 v173, 0x80000000, v153
	v_cmp_gt_f64_e64 s2, 0, v[154:155]
	v_xor_b32_e32 v175, 0x80000000, v155
	v_add_nc_u32_e32 v161, 16, v161
	s_waitcnt lgkmcnt(0)
	v_cmp_gt_f64_e64 s3, 0, v[169:170]
	v_mov_b32_e32 v177, v169
	v_dual_mov_b32 v179, v171 :: v_dual_cndmask_b32 v174, v153, v173
	v_xor_b32_e32 v173, 0x80000000, v170
	v_cndmask_b32_e64 v176, v155, v175, s2
	v_xor_b32_e32 v175, 0x80000000, v172
	s_delay_alu instid0(VALU_DEP_3) | instskip(SKIP_2) | instid1(VALU_DEP_2)
	v_cndmask_b32_e64 v178, v170, v173, s3
	v_cmp_gt_f64_e64 s3, 0, v[171:172]
	v_cndmask_b32_e32 v173, v152, v152, vcc_lo
	v_cndmask_b32_e64 v180, v172, v175, s3
	v_cndmask_b32_e64 v175, v154, v154, s2
	s_delay_alu instid0(VALU_DEP_2) | instskip(NEXT) | instid1(VALU_DEP_2)
	v_add_f64 v[177:178], v[177:178], v[179:180]
	v_add_f64 v[173:174], v[173:174], v[175:176]
	s_delay_alu instid0(VALU_DEP_1) | instskip(SKIP_4) | instid1(SALU_CYCLE_1)
	v_cmp_lt_f64_e32 vcc_lo, v[173:174], v[177:178]
	v_dual_cndmask_b32 v154, v154, v171 :: v_dual_cndmask_b32 v153, v153, v170
	v_dual_cndmask_b32 v152, v152, v169 :: v_dual_cndmask_b32 v155, v155, v172
	v_cndmask_b32_e64 v160, v160, s6, vcc_lo
	s_add_i32 s6, s6, 1
	s_cmp_lg_u32 s5, s6
	s_cbranch_scc1 .LBB74_757
.LBB74_758:
	s_set_inst_prefetch_distance 0x2
	s_waitcnt lgkmcnt(0)
	v_cmp_eq_f64_e32 vcc_lo, 0, v[152:153]
	v_cmp_eq_f64_e64 s2, 0, v[154:155]
	s_delay_alu instid0(VALU_DEP_1) | instskip(NEXT) | instid1(SALU_CYCLE_1)
	s_and_b32 s2, vcc_lo, s2
	s_and_saveexec_b32 s3, s2
	s_delay_alu instid0(SALU_CYCLE_1)
	s_xor_b32 s2, exec_lo, s3
; %bb.759:
	v_cmp_ne_u32_e32 vcc_lo, 0, v165
	v_cndmask_b32_e32 v165, 37, v165, vcc_lo
; %bb.760:
	s_and_not1_saveexec_b32 s3, s2
	s_cbranch_execz .LBB74_766
; %bb.761:
	v_cmp_gt_f64_e32 vcc_lo, 0, v[152:153]
	v_cmp_gt_f64_e64 s2, 0, v[154:155]
	v_xor_b32_e32 v161, 0x80000000, v153
	v_xor_b32_e32 v169, 0x80000000, v155
	s_delay_alu instid0(VALU_DEP_2) | instskip(NEXT) | instid1(VALU_DEP_2)
	v_cndmask_b32_e32 v170, v153, v161, vcc_lo
	v_cndmask_b32_e64 v172, v155, v169, s2
	v_cndmask_b32_e32 v169, v152, v152, vcc_lo
	v_cndmask_b32_e64 v171, v154, v154, s2
	s_mov_b32 s2, exec_lo
	s_delay_alu instid0(VALU_DEP_1)
	v_cmpx_ngt_f64_e32 v[169:170], v[171:172]
	s_xor_b32 s2, exec_lo, s2
	s_cbranch_execz .LBB74_763
; %bb.762:
	v_div_scale_f64 v[169:170], null, v[154:155], v[154:155], v[152:153]
	v_div_scale_f64 v[175:176], vcc_lo, v[152:153], v[154:155], v[152:153]
	s_delay_alu instid0(VALU_DEP_2) | instskip(SKIP_2) | instid1(VALU_DEP_1)
	v_rcp_f64_e32 v[171:172], v[169:170]
	s_waitcnt_depctr 0xfff
	v_fma_f64 v[173:174], -v[169:170], v[171:172], 1.0
	v_fma_f64 v[171:172], v[171:172], v[173:174], v[171:172]
	s_delay_alu instid0(VALU_DEP_1) | instskip(NEXT) | instid1(VALU_DEP_1)
	v_fma_f64 v[173:174], -v[169:170], v[171:172], 1.0
	v_fma_f64 v[171:172], v[171:172], v[173:174], v[171:172]
	s_delay_alu instid0(VALU_DEP_1) | instskip(NEXT) | instid1(VALU_DEP_1)
	v_mul_f64 v[173:174], v[175:176], v[171:172]
	v_fma_f64 v[169:170], -v[169:170], v[173:174], v[175:176]
	s_delay_alu instid0(VALU_DEP_1) | instskip(NEXT) | instid1(VALU_DEP_1)
	v_div_fmas_f64 v[169:170], v[169:170], v[171:172], v[173:174]
	v_div_fixup_f64 v[169:170], v[169:170], v[154:155], v[152:153]
	s_delay_alu instid0(VALU_DEP_1) | instskip(NEXT) | instid1(VALU_DEP_1)
	v_fma_f64 v[152:153], v[152:153], v[169:170], v[154:155]
	v_div_scale_f64 v[154:155], null, v[152:153], v[152:153], 1.0
	s_delay_alu instid0(VALU_DEP_1) | instskip(SKIP_2) | instid1(VALU_DEP_1)
	v_rcp_f64_e32 v[171:172], v[154:155]
	s_waitcnt_depctr 0xfff
	v_fma_f64 v[173:174], -v[154:155], v[171:172], 1.0
	v_fma_f64 v[171:172], v[171:172], v[173:174], v[171:172]
	s_delay_alu instid0(VALU_DEP_1) | instskip(NEXT) | instid1(VALU_DEP_1)
	v_fma_f64 v[173:174], -v[154:155], v[171:172], 1.0
	v_fma_f64 v[171:172], v[171:172], v[173:174], v[171:172]
	v_div_scale_f64 v[173:174], vcc_lo, 1.0, v[152:153], 1.0
	s_delay_alu instid0(VALU_DEP_1) | instskip(NEXT) | instid1(VALU_DEP_1)
	v_mul_f64 v[175:176], v[173:174], v[171:172]
	v_fma_f64 v[154:155], -v[154:155], v[175:176], v[173:174]
	s_delay_alu instid0(VALU_DEP_1) | instskip(NEXT) | instid1(VALU_DEP_1)
	v_div_fmas_f64 v[154:155], v[154:155], v[171:172], v[175:176]
	v_div_fixup_f64 v[154:155], v[154:155], v[152:153], 1.0
	s_delay_alu instid0(VALU_DEP_1)
	v_mul_f64 v[152:153], v[169:170], v[154:155]
	v_xor_b32_e32 v155, 0x80000000, v155
.LBB74_763:
	s_and_not1_saveexec_b32 s2, s2
	s_cbranch_execz .LBB74_765
; %bb.764:
	s_delay_alu instid0(VALU_DEP_1) | instskip(SKIP_1) | instid1(VALU_DEP_2)
	v_div_scale_f64 v[169:170], null, v[152:153], v[152:153], v[154:155]
	v_div_scale_f64 v[175:176], vcc_lo, v[154:155], v[152:153], v[154:155]
	v_rcp_f64_e32 v[171:172], v[169:170]
	s_waitcnt_depctr 0xfff
	v_fma_f64 v[173:174], -v[169:170], v[171:172], 1.0
	s_delay_alu instid0(VALU_DEP_1) | instskip(NEXT) | instid1(VALU_DEP_1)
	v_fma_f64 v[171:172], v[171:172], v[173:174], v[171:172]
	v_fma_f64 v[173:174], -v[169:170], v[171:172], 1.0
	s_delay_alu instid0(VALU_DEP_1) | instskip(NEXT) | instid1(VALU_DEP_1)
	v_fma_f64 v[171:172], v[171:172], v[173:174], v[171:172]
	v_mul_f64 v[173:174], v[175:176], v[171:172]
	s_delay_alu instid0(VALU_DEP_1) | instskip(NEXT) | instid1(VALU_DEP_1)
	v_fma_f64 v[169:170], -v[169:170], v[173:174], v[175:176]
	v_div_fmas_f64 v[169:170], v[169:170], v[171:172], v[173:174]
	s_delay_alu instid0(VALU_DEP_1) | instskip(NEXT) | instid1(VALU_DEP_1)
	v_div_fixup_f64 v[169:170], v[169:170], v[152:153], v[154:155]
	v_fma_f64 v[152:153], v[154:155], v[169:170], v[152:153]
	s_delay_alu instid0(VALU_DEP_1) | instskip(NEXT) | instid1(VALU_DEP_1)
	v_div_scale_f64 v[154:155], null, v[152:153], v[152:153], 1.0
	v_rcp_f64_e32 v[171:172], v[154:155]
	s_waitcnt_depctr 0xfff
	v_fma_f64 v[173:174], -v[154:155], v[171:172], 1.0
	s_delay_alu instid0(VALU_DEP_1) | instskip(NEXT) | instid1(VALU_DEP_1)
	v_fma_f64 v[171:172], v[171:172], v[173:174], v[171:172]
	v_fma_f64 v[173:174], -v[154:155], v[171:172], 1.0
	s_delay_alu instid0(VALU_DEP_1) | instskip(SKIP_1) | instid1(VALU_DEP_1)
	v_fma_f64 v[171:172], v[171:172], v[173:174], v[171:172]
	v_div_scale_f64 v[173:174], vcc_lo, 1.0, v[152:153], 1.0
	v_mul_f64 v[175:176], v[173:174], v[171:172]
	s_delay_alu instid0(VALU_DEP_1) | instskip(NEXT) | instid1(VALU_DEP_1)
	v_fma_f64 v[154:155], -v[154:155], v[175:176], v[173:174]
	v_div_fmas_f64 v[154:155], v[154:155], v[171:172], v[175:176]
	s_delay_alu instid0(VALU_DEP_1) | instskip(NEXT) | instid1(VALU_DEP_1)
	v_div_fixup_f64 v[152:153], v[154:155], v[152:153], 1.0
	v_mul_f64 v[154:155], v[169:170], -v[152:153]
.LBB74_765:
	s_or_b32 exec_lo, exec_lo, s2
.LBB74_766:
	s_delay_alu instid0(SALU_CYCLE_1) | instskip(NEXT) | instid1(SALU_CYCLE_1)
	s_or_b32 exec_lo, exec_lo, s3
	s_mov_b32 s2, exec_lo
	v_cmpx_ne_u32_e64 v168, v160
	s_xor_b32 s2, exec_lo, s2
	s_cbranch_execz .LBB74_772
; %bb.767:
	s_mov_b32 s3, exec_lo
	v_cmpx_eq_u32_e32 36, v168
	s_cbranch_execz .LBB74_771
; %bb.768:
	v_cmp_ne_u32_e32 vcc_lo, 36, v160
	s_xor_b32 s6, s4, -1
	s_delay_alu instid0(SALU_CYCLE_1) | instskip(NEXT) | instid1(SALU_CYCLE_1)
	s_and_b32 s7, s6, vcc_lo
	s_and_saveexec_b32 s6, s7
	s_cbranch_execz .LBB74_770
; %bb.769:
	v_ashrrev_i32_e32 v161, 31, v160
	s_delay_alu instid0(VALU_DEP_1) | instskip(NEXT) | instid1(VALU_DEP_1)
	v_lshlrev_b64 v[167:168], 2, v[160:161]
	v_add_co_u32 v167, vcc_lo, v158, v167
	s_delay_alu instid0(VALU_DEP_2)
	v_add_co_ci_u32_e32 v168, vcc_lo, v159, v168, vcc_lo
	s_clause 0x1
	flat_load_b32 v161, v[167:168]
	flat_load_b32 v169, v[158:159] offset:144
	s_waitcnt vmcnt(1) lgkmcnt(1)
	flat_store_b32 v[158:159], v161 offset:144
	s_waitcnt vmcnt(0) lgkmcnt(1)
	flat_store_b32 v[167:168], v169
.LBB74_770:
	s_or_b32 exec_lo, exec_lo, s6
	v_mov_b32_e32 v168, v160
	v_mov_b32_e32 v167, v160
.LBB74_771:
	s_or_b32 exec_lo, exec_lo, s3
.LBB74_772:
	s_and_not1_saveexec_b32 s2, s2
	s_cbranch_execz .LBB74_774
; %bb.773:
	v_mov_b32_e32 v168, 36
	ds_store_2addr_b64 v162, v[0:1], v[2:3] offset0:74 offset1:75
.LBB74_774:
	s_or_b32 exec_lo, exec_lo, s2
	s_delay_alu instid0(SALU_CYCLE_1)
	s_mov_b32 s2, exec_lo
	s_waitcnt lgkmcnt(0)
	s_waitcnt_vscnt null, 0x0
	s_barrier
	buffer_gl0_inv
	v_cmpx_lt_i32_e32 36, v168
	s_cbranch_execz .LBB74_776
; %bb.775:
	v_mul_f64 v[160:161], v[152:153], v[6:7]
	v_mul_f64 v[6:7], v[154:155], v[6:7]
	ds_load_2addr_b64 v[169:172], v162 offset0:74 offset1:75
	v_fma_f64 v[154:155], v[154:155], v[4:5], v[160:161]
	v_fma_f64 v[4:5], v[152:153], v[4:5], -v[6:7]
	s_waitcnt lgkmcnt(0)
	s_delay_alu instid0(VALU_DEP_2) | instskip(SKIP_1) | instid1(VALU_DEP_2)
	v_mul_f64 v[6:7], v[171:172], v[154:155]
	v_mul_f64 v[152:153], v[169:170], v[154:155]
	v_fma_f64 v[6:7], v[169:170], v[4:5], -v[6:7]
	s_delay_alu instid0(VALU_DEP_2) | instskip(NEXT) | instid1(VALU_DEP_2)
	v_fma_f64 v[152:153], v[171:172], v[4:5], v[152:153]
	v_add_f64 v[0:1], v[0:1], -v[6:7]
	s_delay_alu instid0(VALU_DEP_2)
	v_add_f64 v[2:3], v[2:3], -v[152:153]
	v_dual_mov_b32 v6, v154 :: v_dual_mov_b32 v7, v155
.LBB74_776:
	s_or_b32 exec_lo, exec_lo, s2
	v_lshl_add_u32 v152, v168, 4, v162
	s_barrier
	buffer_gl0_inv
	v_mov_b32_e32 v160, 37
	ds_store_2addr_b64 v152, v[0:1], v[2:3] offset1:1
	s_waitcnt lgkmcnt(0)
	s_barrier
	buffer_gl0_inv
	ds_load_2addr_b64 v[152:155], v162 offset0:74 offset1:75
	s_cmp_lt_i32 s5, 39
	s_cbranch_scc1 .LBB74_779
; %bb.777:
	v_add3_u32 v161, v166, 0, 0x260
	v_mov_b32_e32 v160, 37
	s_mov_b32 s6, 38
	s_set_inst_prefetch_distance 0x1
	.p2align	6
.LBB74_778:                             ; =>This Inner Loop Header: Depth=1
	ds_load_2addr_b64 v[169:172], v161 offset1:1
	s_waitcnt lgkmcnt(1)
	v_cmp_gt_f64_e32 vcc_lo, 0, v[152:153]
	v_xor_b32_e32 v162, 0x80000000, v153
	v_cmp_gt_f64_e64 s2, 0, v[154:155]
	v_xor_b32_e32 v166, 0x80000000, v155
	v_add_nc_u32_e32 v161, 16, v161
	s_waitcnt lgkmcnt(0)
	v_cmp_gt_f64_e64 s3, 0, v[169:170]
	v_mov_b32_e32 v177, v169
	v_dual_mov_b32 v179, v171 :: v_dual_cndmask_b32 v174, v153, v162
	v_xor_b32_e32 v162, 0x80000000, v170
	v_cndmask_b32_e64 v176, v155, v166, s2
	v_xor_b32_e32 v166, 0x80000000, v172
	v_cndmask_b32_e32 v173, v152, v152, vcc_lo
	v_cndmask_b32_e64 v175, v154, v154, s2
	s_delay_alu instid0(VALU_DEP_1) | instskip(SKIP_2) | instid1(VALU_DEP_1)
	v_add_f64 v[173:174], v[173:174], v[175:176]
	v_cndmask_b32_e64 v178, v170, v162, s3
	v_cmp_gt_f64_e64 s3, 0, v[171:172]
	v_cndmask_b32_e64 v180, v172, v166, s3
	s_delay_alu instid0(VALU_DEP_1) | instskip(NEXT) | instid1(VALU_DEP_1)
	v_add_f64 v[177:178], v[177:178], v[179:180]
	v_cmp_lt_f64_e32 vcc_lo, v[173:174], v[177:178]
	v_dual_cndmask_b32 v154, v154, v171 :: v_dual_cndmask_b32 v153, v153, v170
	v_dual_cndmask_b32 v152, v152, v169 :: v_dual_cndmask_b32 v155, v155, v172
	v_cndmask_b32_e64 v160, v160, s6, vcc_lo
	s_add_i32 s6, s6, 1
	s_delay_alu instid0(SALU_CYCLE_1)
	s_cmp_lg_u32 s5, s6
	s_cbranch_scc1 .LBB74_778
.LBB74_779:
	s_set_inst_prefetch_distance 0x2
	s_waitcnt lgkmcnt(0)
	v_cmp_eq_f64_e32 vcc_lo, 0, v[152:153]
	v_cmp_eq_f64_e64 s2, 0, v[154:155]
	s_delay_alu instid0(VALU_DEP_1) | instskip(NEXT) | instid1(SALU_CYCLE_1)
	s_and_b32 s2, vcc_lo, s2
	s_and_saveexec_b32 s3, s2
	s_delay_alu instid0(SALU_CYCLE_1)
	s_xor_b32 s2, exec_lo, s3
; %bb.780:
	v_cmp_ne_u32_e32 vcc_lo, 0, v165
	v_cndmask_b32_e32 v165, 38, v165, vcc_lo
; %bb.781:
	s_and_not1_saveexec_b32 s3, s2
	s_cbranch_execz .LBB74_787
; %bb.782:
	v_cmp_gt_f64_e32 vcc_lo, 0, v[152:153]
	v_cmp_gt_f64_e64 s2, 0, v[154:155]
	v_xor_b32_e32 v161, 0x80000000, v153
	v_xor_b32_e32 v166, 0x80000000, v155
	s_delay_alu instid0(VALU_DEP_2) | instskip(NEXT) | instid1(VALU_DEP_2)
	v_dual_cndmask_b32 v162, v153, v161 :: v_dual_cndmask_b32 v161, v152, v152
	v_cndmask_b32_e64 v170, v155, v166, s2
	v_cndmask_b32_e64 v169, v154, v154, s2
	s_mov_b32 s2, exec_lo
	s_delay_alu instid0(VALU_DEP_1)
	v_cmpx_ngt_f64_e32 v[161:162], v[169:170]
	s_xor_b32 s2, exec_lo, s2
	s_cbranch_execz .LBB74_784
; %bb.783:
	v_div_scale_f64 v[161:162], null, v[154:155], v[154:155], v[152:153]
	v_div_scale_f64 v[173:174], vcc_lo, v[152:153], v[154:155], v[152:153]
	s_delay_alu instid0(VALU_DEP_2) | instskip(SKIP_2) | instid1(VALU_DEP_1)
	v_rcp_f64_e32 v[169:170], v[161:162]
	s_waitcnt_depctr 0xfff
	v_fma_f64 v[171:172], -v[161:162], v[169:170], 1.0
	v_fma_f64 v[169:170], v[169:170], v[171:172], v[169:170]
	s_delay_alu instid0(VALU_DEP_1) | instskip(NEXT) | instid1(VALU_DEP_1)
	v_fma_f64 v[171:172], -v[161:162], v[169:170], 1.0
	v_fma_f64 v[169:170], v[169:170], v[171:172], v[169:170]
	s_delay_alu instid0(VALU_DEP_1) | instskip(NEXT) | instid1(VALU_DEP_1)
	v_mul_f64 v[171:172], v[173:174], v[169:170]
	v_fma_f64 v[161:162], -v[161:162], v[171:172], v[173:174]
	s_delay_alu instid0(VALU_DEP_1) | instskip(NEXT) | instid1(VALU_DEP_1)
	v_div_fmas_f64 v[161:162], v[161:162], v[169:170], v[171:172]
	v_div_fixup_f64 v[161:162], v[161:162], v[154:155], v[152:153]
	s_delay_alu instid0(VALU_DEP_1) | instskip(NEXT) | instid1(VALU_DEP_1)
	v_fma_f64 v[152:153], v[152:153], v[161:162], v[154:155]
	v_div_scale_f64 v[154:155], null, v[152:153], v[152:153], 1.0
	s_delay_alu instid0(VALU_DEP_1) | instskip(SKIP_2) | instid1(VALU_DEP_1)
	v_rcp_f64_e32 v[169:170], v[154:155]
	s_waitcnt_depctr 0xfff
	v_fma_f64 v[171:172], -v[154:155], v[169:170], 1.0
	v_fma_f64 v[169:170], v[169:170], v[171:172], v[169:170]
	s_delay_alu instid0(VALU_DEP_1) | instskip(NEXT) | instid1(VALU_DEP_1)
	v_fma_f64 v[171:172], -v[154:155], v[169:170], 1.0
	v_fma_f64 v[169:170], v[169:170], v[171:172], v[169:170]
	v_div_scale_f64 v[171:172], vcc_lo, 1.0, v[152:153], 1.0
	s_delay_alu instid0(VALU_DEP_1) | instskip(NEXT) | instid1(VALU_DEP_1)
	v_mul_f64 v[173:174], v[171:172], v[169:170]
	v_fma_f64 v[154:155], -v[154:155], v[173:174], v[171:172]
	s_delay_alu instid0(VALU_DEP_1) | instskip(NEXT) | instid1(VALU_DEP_1)
	v_div_fmas_f64 v[154:155], v[154:155], v[169:170], v[173:174]
	v_div_fixup_f64 v[154:155], v[154:155], v[152:153], 1.0
	s_delay_alu instid0(VALU_DEP_1)
	v_mul_f64 v[152:153], v[161:162], v[154:155]
	v_xor_b32_e32 v155, 0x80000000, v155
.LBB74_784:
	s_and_not1_saveexec_b32 s2, s2
	s_cbranch_execz .LBB74_786
; %bb.785:
	s_delay_alu instid0(VALU_DEP_1) | instskip(SKIP_1) | instid1(VALU_DEP_2)
	v_div_scale_f64 v[161:162], null, v[152:153], v[152:153], v[154:155]
	v_div_scale_f64 v[173:174], vcc_lo, v[154:155], v[152:153], v[154:155]
	v_rcp_f64_e32 v[169:170], v[161:162]
	s_waitcnt_depctr 0xfff
	v_fma_f64 v[171:172], -v[161:162], v[169:170], 1.0
	s_delay_alu instid0(VALU_DEP_1) | instskip(NEXT) | instid1(VALU_DEP_1)
	v_fma_f64 v[169:170], v[169:170], v[171:172], v[169:170]
	v_fma_f64 v[171:172], -v[161:162], v[169:170], 1.0
	s_delay_alu instid0(VALU_DEP_1) | instskip(NEXT) | instid1(VALU_DEP_1)
	v_fma_f64 v[169:170], v[169:170], v[171:172], v[169:170]
	v_mul_f64 v[171:172], v[173:174], v[169:170]
	s_delay_alu instid0(VALU_DEP_1) | instskip(NEXT) | instid1(VALU_DEP_1)
	v_fma_f64 v[161:162], -v[161:162], v[171:172], v[173:174]
	v_div_fmas_f64 v[161:162], v[161:162], v[169:170], v[171:172]
	s_delay_alu instid0(VALU_DEP_1) | instskip(NEXT) | instid1(VALU_DEP_1)
	v_div_fixup_f64 v[161:162], v[161:162], v[152:153], v[154:155]
	v_fma_f64 v[152:153], v[154:155], v[161:162], v[152:153]
	s_delay_alu instid0(VALU_DEP_1) | instskip(NEXT) | instid1(VALU_DEP_1)
	v_div_scale_f64 v[154:155], null, v[152:153], v[152:153], 1.0
	v_rcp_f64_e32 v[169:170], v[154:155]
	s_waitcnt_depctr 0xfff
	v_fma_f64 v[171:172], -v[154:155], v[169:170], 1.0
	s_delay_alu instid0(VALU_DEP_1) | instskip(NEXT) | instid1(VALU_DEP_1)
	v_fma_f64 v[169:170], v[169:170], v[171:172], v[169:170]
	v_fma_f64 v[171:172], -v[154:155], v[169:170], 1.0
	s_delay_alu instid0(VALU_DEP_1) | instskip(SKIP_1) | instid1(VALU_DEP_1)
	v_fma_f64 v[169:170], v[169:170], v[171:172], v[169:170]
	v_div_scale_f64 v[171:172], vcc_lo, 1.0, v[152:153], 1.0
	v_mul_f64 v[173:174], v[171:172], v[169:170]
	s_delay_alu instid0(VALU_DEP_1) | instskip(NEXT) | instid1(VALU_DEP_1)
	v_fma_f64 v[154:155], -v[154:155], v[173:174], v[171:172]
	v_div_fmas_f64 v[154:155], v[154:155], v[169:170], v[173:174]
	s_delay_alu instid0(VALU_DEP_1) | instskip(NEXT) | instid1(VALU_DEP_1)
	v_div_fixup_f64 v[152:153], v[154:155], v[152:153], 1.0
	v_mul_f64 v[154:155], v[161:162], -v[152:153]
.LBB74_786:
	s_or_b32 exec_lo, exec_lo, s2
.LBB74_787:
	s_delay_alu instid0(SALU_CYCLE_1)
	s_or_b32 exec_lo, exec_lo, s3
	v_mov_b32_e32 v161, 37
	s_mov_b32 s2, exec_lo
	v_cmpx_ne_u32_e64 v168, v160
	s_cbranch_execz .LBB74_793
; %bb.788:
	s_mov_b32 s3, exec_lo
	v_cmpx_eq_u32_e32 37, v168
	s_cbranch_execz .LBB74_792
; %bb.789:
	v_cmp_ne_u32_e32 vcc_lo, 37, v160
	s_xor_b32 s4, s4, -1
	s_delay_alu instid0(SALU_CYCLE_1) | instskip(NEXT) | instid1(SALU_CYCLE_1)
	s_and_b32 s5, s4, vcc_lo
	s_and_saveexec_b32 s4, s5
	s_cbranch_execz .LBB74_791
; %bb.790:
	v_ashrrev_i32_e32 v161, 31, v160
	s_delay_alu instid0(VALU_DEP_1) | instskip(NEXT) | instid1(VALU_DEP_1)
	v_lshlrev_b64 v[161:162], 2, v[160:161]
	v_add_co_u32 v161, vcc_lo, v158, v161
	s_delay_alu instid0(VALU_DEP_2)
	v_add_co_ci_u32_e32 v162, vcc_lo, v159, v162, vcc_lo
	s_clause 0x1
	flat_load_b32 v166, v[161:162]
	flat_load_b32 v167, v[158:159] offset:148
	s_waitcnt vmcnt(1) lgkmcnt(1)
	flat_store_b32 v[158:159], v166 offset:148
	s_waitcnt vmcnt(0) lgkmcnt(1)
	flat_store_b32 v[161:162], v167
.LBB74_791:
	s_or_b32 exec_lo, exec_lo, s4
	v_mov_b32_e32 v168, v160
	v_mov_b32_e32 v167, v160
.LBB74_792:
	s_or_b32 exec_lo, exec_lo, s3
	s_delay_alu instid0(VALU_DEP_2)
	v_mov_b32_e32 v161, v168
.LBB74_793:
	s_or_b32 exec_lo, exec_lo, s2
	s_delay_alu instid0(SALU_CYCLE_1)
	s_mov_b32 s2, exec_lo
	s_waitcnt lgkmcnt(0)
	s_waitcnt_vscnt null, 0x0
	s_barrier
	buffer_gl0_inv
	v_cmpx_lt_i32_e32 37, v161
; %bb.794:
	v_mul_f64 v[158:159], v[154:155], v[2:3]
	v_mul_f64 v[2:3], v[152:153], v[2:3]
	s_delay_alu instid0(VALU_DEP_2) | instskip(NEXT) | instid1(VALU_DEP_2)
	v_fma_f64 v[152:153], v[152:153], v[0:1], -v[158:159]
	v_fma_f64 v[2:3], v[154:155], v[0:1], v[2:3]
	s_delay_alu instid0(VALU_DEP_2)
	v_dual_mov_b32 v0, v152 :: v_dual_mov_b32 v1, v153
; %bb.795:
	s_or_b32 exec_lo, exec_lo, s2
	s_load_b256 s[0:7], s[0:1], 0x28
	v_ashrrev_i32_e32 v162, 31, v161
	s_mov_b32 s9, exec_lo
	s_waitcnt lgkmcnt(0)
	s_barrier
	buffer_gl0_inv
	v_cmpx_gt_i32_e32 38, v161
	s_cbranch_execz .LBB74_797
; %bb.796:
	v_mul_lo_u32 v154, v157, s4
	v_mul_lo_u32 v155, v156, s5
	v_mad_u64_u32 v[152:153], null, v156, s4, 0
	s_lshl_b64 s[2:3], s[2:3], 2
	s_delay_alu instid0(SALU_CYCLE_1) | instskip(SKIP_1) | instid1(VALU_DEP_1)
	s_add_u32 s0, s2, s0
	s_addc_u32 s1, s3, s1
	v_add3_u32 v153, v153, v155, v154
	v_lshlrev_b64 v[154:155], 2, v[161:162]
	s_delay_alu instid0(VALU_DEP_2) | instskip(NEXT) | instid1(VALU_DEP_1)
	v_lshlrev_b64 v[152:153], 2, v[152:153]
	v_add_co_u32 v152, vcc_lo, s0, v152
	s_delay_alu instid0(VALU_DEP_2) | instskip(NEXT) | instid1(VALU_DEP_2)
	v_add_co_ci_u32_e32 v153, vcc_lo, s1, v153, vcc_lo
	v_add_co_u32 v152, vcc_lo, v152, v154
	s_delay_alu instid0(VALU_DEP_2)
	v_add_co_ci_u32_e32 v153, vcc_lo, v153, v155, vcc_lo
	v_add3_u32 v154, v167, s13, 1
	global_store_b32 v[152:153], v154, off
.LBB74_797:
	s_or_b32 exec_lo, exec_lo, s9
	s_delay_alu instid0(SALU_CYCLE_1)
	s_mov_b32 s1, exec_lo
	v_cmpx_eq_u32_e32 0, v161
	s_cbranch_execz .LBB74_800
; %bb.798:
	v_lshlrev_b64 v[152:153], 2, v[156:157]
	v_cmp_lt_i32_e64 s0, 0, v165
	s_delay_alu instid0(VALU_DEP_2) | instskip(NEXT) | instid1(VALU_DEP_3)
	v_add_co_u32 v152, vcc_lo, s6, v152
	v_add_co_ci_u32_e32 v153, vcc_lo, s7, v153, vcc_lo
	global_load_b32 v154, v[152:153], off
	s_waitcnt vmcnt(0)
	v_cmp_eq_u32_e32 vcc_lo, 0, v154
	s_and_b32 s0, vcc_lo, s0
	s_delay_alu instid0(SALU_CYCLE_1)
	s_and_b32 exec_lo, exec_lo, s0
	s_cbranch_execz .LBB74_800
; %bb.799:
	v_add_nc_u32_e32 v154, s13, v165
	global_store_b32 v[152:153], v154, off
.LBB74_800:
	s_or_b32 exec_lo, exec_lo, s1
	v_lshlrev_b64 v[154:155], 4, v[161:162]
	v_add3_u32 v152, s8, s8, v161
	s_delay_alu instid0(VALU_DEP_1) | instskip(NEXT) | instid1(VALU_DEP_3)
	v_ashrrev_i32_e32 v153, 31, v152
	v_add_co_u32 v154, vcc_lo, v163, v154
	s_delay_alu instid0(VALU_DEP_4) | instskip(SKIP_1) | instid1(VALU_DEP_4)
	v_add_co_ci_u32_e32 v155, vcc_lo, v164, v155, vcc_lo
	v_add_nc_u32_e32 v156, s8, v152
	v_lshlrev_b64 v[152:153], 4, v[152:153]
	global_store_b128 v[154:155], v[52:55], off
	v_add_co_u32 v52, vcc_lo, v154, s10
	v_add_nc_u32_e32 v54, s8, v156
	v_ashrrev_i32_e32 v157, 31, v156
	v_add_co_ci_u32_e32 v53, vcc_lo, s11, v155, vcc_lo
	v_add_co_u32 v152, vcc_lo, v163, v152
	s_delay_alu instid0(VALU_DEP_4) | instskip(SKIP_3) | instid1(VALU_DEP_4)
	v_add_nc_u32_e32 v154, s8, v54
	v_ashrrev_i32_e32 v55, 31, v54
	v_add_co_ci_u32_e32 v153, vcc_lo, v164, v153, vcc_lo
	v_lshlrev_b64 v[156:157], 4, v[156:157]
	v_ashrrev_i32_e32 v155, 31, v154
	s_clause 0x1
	global_store_b128 v[52:53], v[48:51], off
	global_store_b128 v[152:153], v[120:123], off
	v_lshlrev_b64 v[48:49], 4, v[54:55]
	v_add_nc_u32_e32 v54, s8, v154
	v_add_co_u32 v50, vcc_lo, v163, v156
	v_lshlrev_b64 v[52:53], 4, v[154:155]
	v_add_co_ci_u32_e32 v51, vcc_lo, v164, v157, vcc_lo
	v_add_co_u32 v48, vcc_lo, v163, v48
	v_add_co_ci_u32_e32 v49, vcc_lo, v164, v49, vcc_lo
	s_delay_alu instid0(VALU_DEP_4)
	v_add_co_u32 v52, vcc_lo, v163, v52
	v_add_nc_u32_e32 v120, s8, v54
	v_add_co_ci_u32_e32 v53, vcc_lo, v164, v53, vcc_lo
	v_ashrrev_i32_e32 v55, 31, v54
	global_store_b128 v[50:51], v[116:119], off
	v_ashrrev_i32_e32 v121, 31, v120
	s_clause 0x1
	global_store_b128 v[48:49], v[148:151], off
	global_store_b128 v[52:53], v[144:147], off
	v_add_nc_u32_e32 v52, s8, v120
	v_lshlrev_b64 v[50:51], 4, v[54:55]
	v_lshlrev_b64 v[48:49], 4, v[120:121]
	s_delay_alu instid0(VALU_DEP_3) | instskip(SKIP_1) | instid1(VALU_DEP_4)
	v_add_nc_u32_e32 v54, s8, v52
	v_ashrrev_i32_e32 v53, 31, v52
	v_add_co_u32 v50, vcc_lo, v163, v50
	v_add_co_ci_u32_e32 v51, vcc_lo, v164, v51, vcc_lo
	s_delay_alu instid0(VALU_DEP_4)
	v_add_nc_u32_e32 v116, s8, v54
	v_add_co_u32 v48, vcc_lo, v163, v48
	v_ashrrev_i32_e32 v55, 31, v54
	v_lshlrev_b64 v[52:53], 4, v[52:53]
	v_add_co_ci_u32_e32 v49, vcc_lo, v164, v49, vcc_lo
	v_ashrrev_i32_e32 v117, 31, v116
	s_clause 0x1
	global_store_b128 v[50:51], v[140:143], off
	global_store_b128 v[48:49], v[136:139], off
	v_lshlrev_b64 v[48:49], 4, v[54:55]
	v_add_co_u32 v50, vcc_lo, v163, v52
	v_add_co_ci_u32_e32 v51, vcc_lo, v164, v53, vcc_lo
	v_lshlrev_b64 v[52:53], 4, v[116:117]
	v_add_nc_u32_e32 v54, s8, v116
	v_add_co_u32 v48, vcc_lo, v163, v48
	v_add_co_ci_u32_e32 v49, vcc_lo, v164, v49, vcc_lo
	s_delay_alu instid0(VALU_DEP_4) | instskip(NEXT) | instid1(VALU_DEP_4)
	v_add_co_u32 v52, vcc_lo, v163, v52
	v_add_nc_u32_e32 v116, s8, v54
	v_add_co_ci_u32_e32 v53, vcc_lo, v164, v53, vcc_lo
	v_ashrrev_i32_e32 v55, 31, v54
	global_store_b128 v[50:51], v[132:135], off
	v_ashrrev_i32_e32 v117, 31, v116
	s_clause 0x1
	global_store_b128 v[48:49], v[128:131], off
	global_store_b128 v[52:53], v[124:127], off
	v_add_nc_u32_e32 v52, s8, v116
	v_lshlrev_b64 v[50:51], 4, v[54:55]
	v_lshlrev_b64 v[48:49], 4, v[116:117]
	s_delay_alu instid0(VALU_DEP_3) | instskip(SKIP_1) | instid1(VALU_DEP_4)
	v_add_nc_u32_e32 v54, s8, v52
	v_ashrrev_i32_e32 v53, 31, v52
	v_add_co_u32 v50, vcc_lo, v163, v50
	v_add_co_ci_u32_e32 v51, vcc_lo, v164, v51, vcc_lo
	s_delay_alu instid0(VALU_DEP_4)
	v_add_nc_u32_e32 v116, s8, v54
	v_add_co_u32 v48, vcc_lo, v163, v48
	v_ashrrev_i32_e32 v55, 31, v54
	v_lshlrev_b64 v[52:53], 4, v[52:53]
	v_add_co_ci_u32_e32 v49, vcc_lo, v164, v49, vcc_lo
	v_ashrrev_i32_e32 v117, 31, v116
	s_clause 0x1
	global_store_b128 v[50:51], v[112:115], off
	global_store_b128 v[48:49], v[108:111], off
	v_lshlrev_b64 v[48:49], 4, v[54:55]
	v_add_co_u32 v50, vcc_lo, v163, v52
	v_add_co_ci_u32_e32 v51, vcc_lo, v164, v53, vcc_lo
	v_lshlrev_b64 v[52:53], 4, v[116:117]
	v_add_nc_u32_e32 v54, s8, v116
	v_add_co_u32 v48, vcc_lo, v163, v48
	v_add_co_ci_u32_e32 v49, vcc_lo, v164, v49, vcc_lo
	s_delay_alu instid0(VALU_DEP_4) | instskip(NEXT) | instid1(VALU_DEP_4)
	;; [unrolled: 35-line block ×4, first 2 shown]
	v_add_co_u32 v52, vcc_lo, v163, v52
	v_add_nc_u32_e32 v68, s8, v54
	v_add_co_ci_u32_e32 v53, vcc_lo, v164, v53, vcc_lo
	v_ashrrev_i32_e32 v55, 31, v54
	global_store_b128 v[50:51], v[64:67], off
	v_ashrrev_i32_e32 v69, 31, v68
	s_clause 0x1
	global_store_b128 v[48:49], v[60:63], off
	global_store_b128 v[52:53], v[56:59], off
	v_add_nc_u32_e32 v52, s8, v68
	v_lshlrev_b64 v[50:51], 4, v[54:55]
	v_lshlrev_b64 v[48:49], 4, v[68:69]
	s_delay_alu instid0(VALU_DEP_3) | instskip(SKIP_1) | instid1(VALU_DEP_4)
	v_add_nc_u32_e32 v54, s8, v52
	v_ashrrev_i32_e32 v53, 31, v52
	v_add_co_u32 v50, vcc_lo, v163, v50
	v_add_co_ci_u32_e32 v51, vcc_lo, v164, v51, vcc_lo
	s_delay_alu instid0(VALU_DEP_4)
	v_add_nc_u32_e32 v56, s8, v54
	v_add_co_u32 v48, vcc_lo, v163, v48
	v_ashrrev_i32_e32 v55, 31, v54
	v_add_co_ci_u32_e32 v49, vcc_lo, v164, v49, vcc_lo
	v_lshlrev_b64 v[52:53], 4, v[52:53]
	v_ashrrev_i32_e32 v57, 31, v56
	s_clause 0x1
	global_store_b128 v[50:51], v[44:47], off
	global_store_b128 v[48:49], v[40:43], off
	v_lshlrev_b64 v[40:41], 4, v[54:55]
	v_add_nc_u32_e32 v46, s8, v56
	v_add_co_u32 v42, vcc_lo, v163, v52
	v_lshlrev_b64 v[44:45], 4, v[56:57]
	v_add_co_ci_u32_e32 v43, vcc_lo, v164, v53, vcc_lo
	v_add_co_u32 v40, vcc_lo, v163, v40
	v_add_nc_u32_e32 v48, s8, v46
	v_add_co_ci_u32_e32 v41, vcc_lo, v164, v41, vcc_lo
	v_ashrrev_i32_e32 v47, 31, v46
	v_add_co_u32 v44, vcc_lo, v163, v44
	v_add_co_ci_u32_e32 v45, vcc_lo, v164, v45, vcc_lo
	v_ashrrev_i32_e32 v49, 31, v48
	global_store_b128 v[42:43], v[36:39], off
	v_lshlrev_b64 v[36:37], 4, v[46:47]
	s_clause 0x1
	global_store_b128 v[40:41], v[32:35], off
	global_store_b128 v[44:45], v[28:31], off
	v_add_nc_u32_e32 v30, s8, v48
	v_lshlrev_b64 v[28:29], 4, v[48:49]
	v_add_co_u32 v32, vcc_lo, v163, v36
	s_delay_alu instid0(VALU_DEP_3) | instskip(SKIP_1) | instid1(VALU_DEP_4)
	v_add_nc_u32_e32 v34, s8, v30
	v_add_co_ci_u32_e32 v33, vcc_lo, v164, v37, vcc_lo
	v_add_co_u32 v28, vcc_lo, v163, v28
	v_add_co_ci_u32_e32 v29, vcc_lo, v164, v29, vcc_lo
	s_delay_alu instid0(VALU_DEP_4)
	v_add_nc_u32_e32 v36, s8, v34
	v_ashrrev_i32_e32 v31, 31, v30
	s_clause 0x1
	global_store_b128 v[32:33], v[24:27], off
	global_store_b128 v[28:29], v[20:23], off
	v_ashrrev_i32_e32 v35, 31, v34
	v_add_nc_u32_e32 v22, s8, v36
	v_lshlrev_b64 v[24:25], 4, v[30:31]
	v_ashrrev_i32_e32 v37, 31, v36
	s_delay_alu instid0(VALU_DEP_4) | instskip(NEXT) | instid1(VALU_DEP_4)
	v_lshlrev_b64 v[20:21], 4, v[34:35]
	v_add_nc_u32_e32 v28, s8, v22
	v_ashrrev_i32_e32 v23, 31, v22
	v_add_co_u32 v24, vcc_lo, v163, v24
	v_lshlrev_b64 v[26:27], 4, v[36:37]
	s_delay_alu instid0(VALU_DEP_4)
	v_ashrrev_i32_e32 v29, 31, v28
	v_add_co_ci_u32_e32 v25, vcc_lo, v164, v25, vcc_lo
	v_add_co_u32 v20, vcc_lo, v163, v20
	v_lshlrev_b64 v[22:23], 4, v[22:23]
	v_add_co_ci_u32_e32 v21, vcc_lo, v164, v21, vcc_lo
	v_add_co_u32 v26, vcc_lo, v163, v26
	v_lshlrev_b64 v[28:29], 4, v[28:29]
	v_add_co_ci_u32_e32 v27, vcc_lo, v164, v27, vcc_lo
	v_add_co_u32 v22, vcc_lo, v163, v22
	v_add_co_ci_u32_e32 v23, vcc_lo, v164, v23, vcc_lo
	s_delay_alu instid0(VALU_DEP_4)
	v_add_co_u32 v28, vcc_lo, v163, v28
	v_add_co_ci_u32_e32 v29, vcc_lo, v164, v29, vcc_lo
	s_clause 0x4
	global_store_b128 v[24:25], v[16:19], off
	global_store_b128 v[20:21], v[12:15], off
	;; [unrolled: 1-line block ×5, first 2 shown]
.LBB74_801:
	s_nop 0
	s_sendmsg sendmsg(MSG_DEALLOC_VGPRS)
	s_endpgm
	.section	.rodata,"a",@progbits
	.p2align	6, 0x0
	.amdhsa_kernel _ZN9rocsolver6v33100L18getf2_small_kernelILi38E19rocblas_complex_numIdEiiPKPS3_EEvT1_T3_lS7_lPS7_llPT2_S7_S7_S9_l
		.amdhsa_group_segment_fixed_size 0
		.amdhsa_private_segment_fixed_size 0
		.amdhsa_kernarg_size 352
		.amdhsa_user_sgpr_count 14
		.amdhsa_user_sgpr_dispatch_ptr 0
		.amdhsa_user_sgpr_queue_ptr 0
		.amdhsa_user_sgpr_kernarg_segment_ptr 1
		.amdhsa_user_sgpr_dispatch_id 0
		.amdhsa_user_sgpr_private_segment_size 0
		.amdhsa_wavefront_size32 1
		.amdhsa_uses_dynamic_stack 0
		.amdhsa_enable_private_segment 0
		.amdhsa_system_sgpr_workgroup_id_x 1
		.amdhsa_system_sgpr_workgroup_id_y 1
		.amdhsa_system_sgpr_workgroup_id_z 0
		.amdhsa_system_sgpr_workgroup_info 0
		.amdhsa_system_vgpr_workitem_id 1
		.amdhsa_next_free_vgpr 251
		.amdhsa_next_free_sgpr 16
		.amdhsa_reserve_vcc 1
		.amdhsa_float_round_mode_32 0
		.amdhsa_float_round_mode_16_64 0
		.amdhsa_float_denorm_mode_32 3
		.amdhsa_float_denorm_mode_16_64 3
		.amdhsa_dx10_clamp 1
		.amdhsa_ieee_mode 1
		.amdhsa_fp16_overflow 0
		.amdhsa_workgroup_processor_mode 1
		.amdhsa_memory_ordered 1
		.amdhsa_forward_progress 0
		.amdhsa_shared_vgpr_count 0
		.amdhsa_exception_fp_ieee_invalid_op 0
		.amdhsa_exception_fp_denorm_src 0
		.amdhsa_exception_fp_ieee_div_zero 0
		.amdhsa_exception_fp_ieee_overflow 0
		.amdhsa_exception_fp_ieee_underflow 0
		.amdhsa_exception_fp_ieee_inexact 0
		.amdhsa_exception_int_div_zero 0
	.end_amdhsa_kernel
	.section	.text._ZN9rocsolver6v33100L18getf2_small_kernelILi38E19rocblas_complex_numIdEiiPKPS3_EEvT1_T3_lS7_lPS7_llPT2_S7_S7_S9_l,"axG",@progbits,_ZN9rocsolver6v33100L18getf2_small_kernelILi38E19rocblas_complex_numIdEiiPKPS3_EEvT1_T3_lS7_lPS7_llPT2_S7_S7_S9_l,comdat
.Lfunc_end74:
	.size	_ZN9rocsolver6v33100L18getf2_small_kernelILi38E19rocblas_complex_numIdEiiPKPS3_EEvT1_T3_lS7_lPS7_llPT2_S7_S7_S9_l, .Lfunc_end74-_ZN9rocsolver6v33100L18getf2_small_kernelILi38E19rocblas_complex_numIdEiiPKPS3_EEvT1_T3_lS7_lPS7_llPT2_S7_S7_S9_l
                                        ; -- End function
	.section	.AMDGPU.csdata,"",@progbits
; Kernel info:
; codeLenInByte = 100352
; NumSgprs: 18
; NumVgprs: 251
; ScratchSize: 0
; MemoryBound: 0
; FloatMode: 240
; IeeeMode: 1
; LDSByteSize: 0 bytes/workgroup (compile time only)
; SGPRBlocks: 2
; VGPRBlocks: 31
; NumSGPRsForWavesPerEU: 18
; NumVGPRsForWavesPerEU: 251
; Occupancy: 5
; WaveLimiterHint : 1
; COMPUTE_PGM_RSRC2:SCRATCH_EN: 0
; COMPUTE_PGM_RSRC2:USER_SGPR: 14
; COMPUTE_PGM_RSRC2:TRAP_HANDLER: 0
; COMPUTE_PGM_RSRC2:TGID_X_EN: 1
; COMPUTE_PGM_RSRC2:TGID_Y_EN: 1
; COMPUTE_PGM_RSRC2:TGID_Z_EN: 0
; COMPUTE_PGM_RSRC2:TIDIG_COMP_CNT: 1
	.section	.text._ZN9rocsolver6v33100L23getf2_npvt_small_kernelILi38E19rocblas_complex_numIdEiiPKPS3_EEvT1_T3_lS7_lPT2_S7_S7_,"axG",@progbits,_ZN9rocsolver6v33100L23getf2_npvt_small_kernelILi38E19rocblas_complex_numIdEiiPKPS3_EEvT1_T3_lS7_lPT2_S7_S7_,comdat
	.globl	_ZN9rocsolver6v33100L23getf2_npvt_small_kernelILi38E19rocblas_complex_numIdEiiPKPS3_EEvT1_T3_lS7_lPT2_S7_S7_ ; -- Begin function _ZN9rocsolver6v33100L23getf2_npvt_small_kernelILi38E19rocblas_complex_numIdEiiPKPS3_EEvT1_T3_lS7_lPT2_S7_S7_
	.p2align	8
	.type	_ZN9rocsolver6v33100L23getf2_npvt_small_kernelILi38E19rocblas_complex_numIdEiiPKPS3_EEvT1_T3_lS7_lPT2_S7_S7_,@function
_ZN9rocsolver6v33100L23getf2_npvt_small_kernelILi38E19rocblas_complex_numIdEiiPKPS3_EEvT1_T3_lS7_lPT2_S7_S7_: ; @_ZN9rocsolver6v33100L23getf2_npvt_small_kernelILi38E19rocblas_complex_numIdEiiPKPS3_EEvT1_T3_lS7_lPT2_S7_S7_
; %bb.0:
	s_clause 0x1
	s_load_b32 s2, s[0:1], 0x44
	s_load_b64 s[10:11], s[0:1], 0x30
	v_bfe_u32 v152, v0, 10, 10
	s_waitcnt lgkmcnt(0)
	s_lshr_b32 s8, s2, 16
	s_mov_b32 s2, exec_lo
	s_delay_alu instid0(VALU_DEP_1) | instskip(NEXT) | instid1(VALU_DEP_1)
	v_mad_u64_u32 v[211:212], null, s15, s8, v[152:153]
	v_cmpx_gt_i32_e64 s10, v211
	s_cbranch_execz .LBB75_347
; %bb.1:
	s_clause 0x1
	s_load_b128 s[4:7], s[0:1], 0x8
	s_load_b32 s2, s[0:1], 0x18
	v_ashrrev_i32_e32 v212, 31, v211
	v_and_b32_e32 v202, 0x3ff, v0
	v_lshlrev_b32_e32 v153, 4, v152
	s_mulk_i32 s8, 0x260
	v_mad_u32_u24 v204, 0x260, v152, 0
	v_lshlrev_b64 v[1:2], 3, v[211:212]
	v_lshlrev_b32_e32 v75, 4, v202
	v_add3_u32 v203, 0, s8, v153
	s_waitcnt lgkmcnt(0)
	s_delay_alu instid0(VALU_DEP_3) | instskip(NEXT) | instid1(VALU_DEP_4)
	v_add_co_u32 v1, vcc_lo, s4, v1
	v_add_co_ci_u32_e32 v2, vcc_lo, s5, v2, vcc_lo
	v_add3_u32 v3, s2, s2, v202
	s_lshl_b64 s[6:7], s[6:7], 4
	s_ashr_i32 s3, s2, 31
	global_load_b64 v[1:2], v[1:2], off
	s_lshl_b64 s[4:5], s[2:3], 4
	v_add_nc_u32_e32 v5, s2, v3
	v_ashrrev_i32_e32 v4, 31, v3
	v_cmp_ne_u32_e64 s3, 0, v202
	s_delay_alu instid0(VALU_DEP_3) | instskip(SKIP_1) | instid1(VALU_DEP_4)
	v_add_nc_u32_e32 v7, s2, v5
	v_ashrrev_i32_e32 v6, 31, v5
	v_lshlrev_b64 v[3:4], 4, v[3:4]
	s_delay_alu instid0(VALU_DEP_3) | instskip(SKIP_1) | instid1(VALU_DEP_4)
	v_add_nc_u32_e32 v9, s2, v7
	v_ashrrev_i32_e32 v8, 31, v7
	v_lshlrev_b64 v[5:6], 4, v[5:6]
	;; [unrolled: 4-line block ×34, first 2 shown]
	v_cmp_eq_u32_e64 s2, 0, v202
	s_delay_alu instid0(VALU_DEP_4) | instskip(NEXT) | instid1(VALU_DEP_4)
	v_ashrrev_i32_e32 v74, 31, v73
	v_lshlrev_b64 v[71:72], 4, v[71:72]
	s_waitcnt vmcnt(0)
	v_add_co_u32 v76, vcc_lo, v1, s6
	v_add_co_ci_u32_e32 v2, vcc_lo, s7, v2, vcc_lo
	v_lshlrev_b64 v[0:1], 4, v[73:74]
	s_delay_alu instid0(VALU_DEP_3) | instskip(NEXT) | instid1(VALU_DEP_3)
	v_add_co_u32 v144, vcc_lo, v76, v75
	v_add_co_ci_u32_e32 v145, vcc_lo, 0, v2, vcc_lo
	v_add_co_u32 v85, vcc_lo, v76, v3
	v_add_co_ci_u32_e32 v86, vcc_lo, v2, v4, vcc_lo
	v_add_co_u32 v83, vcc_lo, v76, v5
	v_add_co_ci_u32_e32 v84, vcc_lo, v2, v6, vcc_lo
	v_add_co_u32 v81, vcc_lo, v76, v7
	v_add_co_ci_u32_e32 v82, vcc_lo, v2, v8, vcc_lo
	v_add_co_u32 v79, vcc_lo, v76, v9
	v_add_co_ci_u32_e32 v80, vcc_lo, v2, v10, vcc_lo
	v_add_co_u32 v77, vcc_lo, v76, v11
	v_add_co_ci_u32_e32 v78, vcc_lo, v2, v12, vcc_lo
	v_add_co_u32 v73, vcc_lo, v76, v13
	v_add_co_ci_u32_e32 v74, vcc_lo, v2, v14, vcc_lo
	v_add_co_u32 v13, vcc_lo, v76, v15
	v_add_co_ci_u32_e32 v14, vcc_lo, v2, v16, vcc_lo
	v_add_co_u32 v11, vcc_lo, v76, v17
	v_add_co_ci_u32_e32 v12, vcc_lo, v2, v18, vcc_lo
	v_add_co_u32 v9, vcc_lo, v76, v19
	v_add_co_ci_u32_e32 v10, vcc_lo, v2, v20, vcc_lo
	v_add_co_u32 v7, vcc_lo, v76, v21
	v_add_co_ci_u32_e32 v8, vcc_lo, v2, v22, vcc_lo
	v_add_co_u32 v5, vcc_lo, v76, v23
	v_add_co_ci_u32_e32 v6, vcc_lo, v2, v24, vcc_lo
	v_add_co_u32 v3, vcc_lo, v76, v25
	v_add_co_ci_u32_e32 v4, vcc_lo, v2, v26, vcc_lo
	v_add_co_u32 v205, vcc_lo, v76, v27
	v_add_co_ci_u32_e32 v206, vcc_lo, v2, v28, vcc_lo
	v_add_co_u32 v251, vcc_lo, v76, v29
	v_add_co_ci_u32_e32 v252, vcc_lo, v2, v30, vcc_lo
	v_add_co_u32 v253, vcc_lo, v76, v31
	v_add_co_ci_u32_e32 v254, vcc_lo, v2, v32, vcc_lo
	v_add_co_u32 v247, vcc_lo, v76, v33
	v_add_co_ci_u32_e32 v248, vcc_lo, v2, v34, vcc_lo
	v_add_co_u32 v249, vcc_lo, v76, v35
	v_add_co_ci_u32_e32 v250, vcc_lo, v2, v36, vcc_lo
	v_add_co_u32 v243, vcc_lo, v76, v37
	v_add_co_ci_u32_e32 v244, vcc_lo, v2, v38, vcc_lo
	v_add_co_u32 v245, vcc_lo, v76, v39
	v_add_co_ci_u32_e32 v246, vcc_lo, v2, v40, vcc_lo
	v_add_co_u32 v239, vcc_lo, v76, v41
	v_add_co_ci_u32_e32 v240, vcc_lo, v2, v42, vcc_lo
	v_add_co_u32 v241, vcc_lo, v76, v43
	v_add_co_ci_u32_e32 v242, vcc_lo, v2, v44, vcc_lo
	v_add_co_u32 v235, vcc_lo, v76, v45
	v_add_co_ci_u32_e32 v236, vcc_lo, v2, v46, vcc_lo
	v_add_co_u32 v237, vcc_lo, v76, v47
	v_add_co_ci_u32_e32 v238, vcc_lo, v2, v48, vcc_lo
	v_add_co_u32 v231, vcc_lo, v76, v49
	v_add_co_ci_u32_e32 v232, vcc_lo, v2, v50, vcc_lo
	v_add_co_u32 v233, vcc_lo, v76, v51
	v_add_co_ci_u32_e32 v234, vcc_lo, v2, v52, vcc_lo
	v_add_co_u32 v227, vcc_lo, v76, v53
	v_add_co_ci_u32_e32 v228, vcc_lo, v2, v54, vcc_lo
	v_add_co_u32 v229, vcc_lo, v76, v55
	v_add_co_ci_u32_e32 v230, vcc_lo, v2, v56, vcc_lo
	v_add_co_u32 v223, vcc_lo, v76, v57
	v_add_co_ci_u32_e32 v224, vcc_lo, v2, v58, vcc_lo
	v_add_co_u32 v225, vcc_lo, v76, v59
	v_add_co_ci_u32_e32 v226, vcc_lo, v2, v60, vcc_lo
	v_add_co_u32 v219, vcc_lo, v76, v61
	v_add_co_ci_u32_e32 v220, vcc_lo, v2, v62, vcc_lo
	v_add_co_u32 v221, vcc_lo, v76, v63
	v_add_co_ci_u32_e32 v222, vcc_lo, v2, v64, vcc_lo
	v_add_co_u32 v215, vcc_lo, v76, v65
	v_add_co_ci_u32_e32 v216, vcc_lo, v2, v66, vcc_lo
	v_add_co_u32 v217, vcc_lo, v76, v67
	v_add_co_ci_u32_e32 v218, vcc_lo, v2, v68, vcc_lo
	v_add_co_u32 v213, vcc_lo, v76, v69
	v_add_co_ci_u32_e32 v214, vcc_lo, v2, v70, vcc_lo
	v_add_co_u32 v207, vcc_lo, v76, v71
	v_add_co_ci_u32_e32 v208, vcc_lo, v2, v72, vcc_lo
	s_clause 0xb
	scratch_store_b64 off, v[85:86], off offset:88
	scratch_store_b64 off, v[83:84], off offset:80
	;; [unrolled: 1-line block ×11, first 2 shown]
	scratch_store_b64 off, v[3:4], off
	v_add_co_u32 v209, vcc_lo, v76, v0
	s_clause 0x1f
	global_load_b128 v[140:143], v[85:86], off
	global_load_b128 v[136:139], v[83:84], off
	;; [unrolled: 1-line block ×32, first 2 shown]
	s_clause 0x1
	global_load_b128 v[12:15], v[217:218], off
	global_load_b128 v[8:11], v[213:214], off
	v_add_co_ci_u32_e32 v210, vcc_lo, v2, v1, vcc_lo
	v_add_co_u32 v0, vcc_lo, v144, s4
	v_add_co_ci_u32_e32 v1, vcc_lo, s5, v145, vcc_lo
	scratch_store_b64 off, v[144:145], off offset:96 ; 8-byte Folded Spill
	global_load_b128 v[148:151], v[144:145], off
	scratch_store_b64 off, v[0:1], off offset:104 ; 8-byte Folded Spill
	s_clause 0x2
	global_load_b128 v[144:147], v[0:1], off
	global_load_b128 v[4:7], v[207:208], off
	;; [unrolled: 1-line block ×3, first 2 shown]
	s_and_saveexec_b32 s5, s2
	s_cbranch_execz .LBB75_8
; %bb.2:
	s_waitcnt vmcnt(3)
	ds_store_2addr_b64 v203, v[148:149], v[150:151] offset1:1
	s_waitcnt vmcnt(2)
	ds_store_2addr_b64 v204, v[144:145], v[146:147] offset0:2 offset1:3
	ds_store_2addr_b64 v204, v[140:141], v[142:143] offset0:4 offset1:5
	;; [unrolled: 1-line block ×35, first 2 shown]
	s_waitcnt vmcnt(1)
	ds_store_2addr_b64 v204, v[4:5], v[6:7] offset0:72 offset1:73
	s_waitcnt vmcnt(0)
	ds_store_2addr_b64 v204, v[0:1], v[2:3] offset0:74 offset1:75
	ds_load_2addr_b64 v[152:155], v203 offset1:1
	s_waitcnt lgkmcnt(0)
	v_cmp_neq_f64_e32 vcc_lo, 0, v[152:153]
	v_cmp_neq_f64_e64 s4, 0, v[154:155]
	s_delay_alu instid0(VALU_DEP_1) | instskip(NEXT) | instid1(SALU_CYCLE_1)
	s_or_b32 s4, vcc_lo, s4
	s_and_b32 exec_lo, exec_lo, s4
	s_cbranch_execz .LBB75_8
; %bb.3:
	v_cmp_gt_f64_e32 vcc_lo, 0, v[152:153]
	v_cmp_gt_f64_e64 s4, 0, v[154:155]
	v_xor_b32_e32 v156, 0x80000000, v153
	v_xor_b32_e32 v158, 0x80000000, v155
                                        ; implicit-def: $vgpr160_vgpr161
	s_delay_alu instid0(VALU_DEP_2) | instskip(NEXT) | instid1(VALU_DEP_2)
	v_cndmask_b32_e32 v157, v153, v156, vcc_lo
	v_cndmask_b32_e64 v159, v155, v158, s4
	v_cndmask_b32_e32 v156, v152, v152, vcc_lo
	v_cndmask_b32_e64 v158, v154, v154, s4
	s_mov_b32 s4, exec_lo
	s_delay_alu instid0(VALU_DEP_1)
	v_cmpx_ngt_f64_e32 v[156:157], v[158:159]
	s_xor_b32 s4, exec_lo, s4
                                        ; implicit-def: $vgpr156_vgpr157_vgpr158_vgpr159
	s_cbranch_execz .LBB75_5
; %bb.4:
	v_div_scale_f64 v[156:157], null, v[154:155], v[154:155], v[152:153]
	v_div_scale_f64 v[162:163], vcc_lo, v[152:153], v[154:155], v[152:153]
	s_delay_alu instid0(VALU_DEP_2) | instskip(SKIP_2) | instid1(VALU_DEP_1)
	v_rcp_f64_e32 v[158:159], v[156:157]
	s_waitcnt_depctr 0xfff
	v_fma_f64 v[160:161], -v[156:157], v[158:159], 1.0
	v_fma_f64 v[158:159], v[158:159], v[160:161], v[158:159]
	s_delay_alu instid0(VALU_DEP_1) | instskip(NEXT) | instid1(VALU_DEP_1)
	v_fma_f64 v[160:161], -v[156:157], v[158:159], 1.0
	v_fma_f64 v[158:159], v[158:159], v[160:161], v[158:159]
	s_delay_alu instid0(VALU_DEP_1) | instskip(NEXT) | instid1(VALU_DEP_1)
	v_mul_f64 v[160:161], v[162:163], v[158:159]
	v_fma_f64 v[156:157], -v[156:157], v[160:161], v[162:163]
	s_delay_alu instid0(VALU_DEP_1) | instskip(NEXT) | instid1(VALU_DEP_1)
	v_div_fmas_f64 v[156:157], v[156:157], v[158:159], v[160:161]
	v_div_fixup_f64 v[156:157], v[156:157], v[154:155], v[152:153]
	s_delay_alu instid0(VALU_DEP_1) | instskip(NEXT) | instid1(VALU_DEP_1)
	v_fma_f64 v[152:153], v[152:153], v[156:157], v[154:155]
	v_div_scale_f64 v[154:155], null, v[152:153], v[152:153], 1.0
	s_delay_alu instid0(VALU_DEP_1) | instskip(SKIP_2) | instid1(VALU_DEP_1)
	v_rcp_f64_e32 v[158:159], v[154:155]
	s_waitcnt_depctr 0xfff
	v_fma_f64 v[160:161], -v[154:155], v[158:159], 1.0
	v_fma_f64 v[158:159], v[158:159], v[160:161], v[158:159]
	s_delay_alu instid0(VALU_DEP_1) | instskip(NEXT) | instid1(VALU_DEP_1)
	v_fma_f64 v[160:161], -v[154:155], v[158:159], 1.0
	v_fma_f64 v[158:159], v[158:159], v[160:161], v[158:159]
	v_div_scale_f64 v[160:161], vcc_lo, 1.0, v[152:153], 1.0
	s_delay_alu instid0(VALU_DEP_1) | instskip(NEXT) | instid1(VALU_DEP_1)
	v_mul_f64 v[162:163], v[160:161], v[158:159]
	v_fma_f64 v[154:155], -v[154:155], v[162:163], v[160:161]
	s_delay_alu instid0(VALU_DEP_1) | instskip(NEXT) | instid1(VALU_DEP_1)
	v_div_fmas_f64 v[154:155], v[154:155], v[158:159], v[162:163]
	v_div_fixup_f64 v[158:159], v[154:155], v[152:153], 1.0
                                        ; implicit-def: $vgpr152_vgpr153
	s_delay_alu instid0(VALU_DEP_1)
	v_mul_f64 v[160:161], v[156:157], v[158:159]
	v_xor_b32_e32 v159, 0x80000000, v159
.LBB75_5:
	s_and_not1_saveexec_b32 s4, s4
	s_cbranch_execz .LBB75_7
; %bb.6:
	v_div_scale_f64 v[156:157], null, v[152:153], v[152:153], v[154:155]
	v_div_scale_f64 v[162:163], vcc_lo, v[154:155], v[152:153], v[154:155]
	s_delay_alu instid0(VALU_DEP_2) | instskip(SKIP_2) | instid1(VALU_DEP_1)
	v_rcp_f64_e32 v[158:159], v[156:157]
	s_waitcnt_depctr 0xfff
	v_fma_f64 v[160:161], -v[156:157], v[158:159], 1.0
	v_fma_f64 v[158:159], v[158:159], v[160:161], v[158:159]
	s_delay_alu instid0(VALU_DEP_1) | instskip(NEXT) | instid1(VALU_DEP_1)
	v_fma_f64 v[160:161], -v[156:157], v[158:159], 1.0
	v_fma_f64 v[158:159], v[158:159], v[160:161], v[158:159]
	s_delay_alu instid0(VALU_DEP_1) | instskip(NEXT) | instid1(VALU_DEP_1)
	v_mul_f64 v[160:161], v[162:163], v[158:159]
	v_fma_f64 v[156:157], -v[156:157], v[160:161], v[162:163]
	s_delay_alu instid0(VALU_DEP_1) | instskip(NEXT) | instid1(VALU_DEP_1)
	v_div_fmas_f64 v[156:157], v[156:157], v[158:159], v[160:161]
	v_div_fixup_f64 v[156:157], v[156:157], v[152:153], v[154:155]
	s_delay_alu instid0(VALU_DEP_1) | instskip(NEXT) | instid1(VALU_DEP_1)
	v_fma_f64 v[152:153], v[154:155], v[156:157], v[152:153]
	v_div_scale_f64 v[154:155], null, v[152:153], v[152:153], 1.0
	s_delay_alu instid0(VALU_DEP_1) | instskip(SKIP_2) | instid1(VALU_DEP_1)
	v_rcp_f64_e32 v[158:159], v[154:155]
	s_waitcnt_depctr 0xfff
	v_fma_f64 v[160:161], -v[154:155], v[158:159], 1.0
	v_fma_f64 v[158:159], v[158:159], v[160:161], v[158:159]
	s_delay_alu instid0(VALU_DEP_1) | instskip(NEXT) | instid1(VALU_DEP_1)
	v_fma_f64 v[160:161], -v[154:155], v[158:159], 1.0
	v_fma_f64 v[158:159], v[158:159], v[160:161], v[158:159]
	v_div_scale_f64 v[160:161], vcc_lo, 1.0, v[152:153], 1.0
	s_delay_alu instid0(VALU_DEP_1) | instskip(NEXT) | instid1(VALU_DEP_1)
	v_mul_f64 v[162:163], v[160:161], v[158:159]
	v_fma_f64 v[154:155], -v[154:155], v[162:163], v[160:161]
	s_delay_alu instid0(VALU_DEP_1) | instskip(NEXT) | instid1(VALU_DEP_1)
	v_div_fmas_f64 v[154:155], v[154:155], v[158:159], v[162:163]
	v_div_fixup_f64 v[160:161], v[154:155], v[152:153], 1.0
	s_delay_alu instid0(VALU_DEP_1)
	v_mul_f64 v[158:159], v[156:157], -v[160:161]
.LBB75_7:
	s_or_b32 exec_lo, exec_lo, s4
	ds_store_2addr_b64 v203, v[160:161], v[158:159] offset1:1
.LBB75_8:
	s_or_b32 exec_lo, exec_lo, s5
	s_waitcnt vmcnt(0) lgkmcnt(0)
	s_waitcnt_vscnt null, 0x0
	s_barrier
	buffer_gl0_inv
	ds_load_2addr_b64 v[152:155], v203 offset1:1
	s_waitcnt lgkmcnt(0)
	scratch_store_b128 off, v[152:155], off offset:112 ; 16-byte Folded Spill
	s_and_saveexec_b32 s4, s3
	s_cbranch_execz .LBB75_10
; %bb.9:
	scratch_load_b128 v[154:157], off, off offset:112 ; 16-byte Folded Reload
	s_waitcnt vmcnt(0)
	v_mul_f64 v[152:153], v[156:157], v[150:151]
	v_mul_f64 v[150:151], v[154:155], v[150:151]
	s_delay_alu instid0(VALU_DEP_2) | instskip(NEXT) | instid1(VALU_DEP_2)
	v_fma_f64 v[152:153], v[154:155], v[148:149], -v[152:153]
	v_fma_f64 v[150:151], v[156:157], v[148:149], v[150:151]
	ds_load_2addr_b64 v[154:157], v204 offset0:2 offset1:3
	s_waitcnt lgkmcnt(0)
	v_mul_f64 v[148:149], v[156:157], v[150:151]
	s_delay_alu instid0(VALU_DEP_1) | instskip(SKIP_1) | instid1(VALU_DEP_2)
	v_fma_f64 v[148:149], v[154:155], v[152:153], -v[148:149]
	v_mul_f64 v[154:155], v[154:155], v[150:151]
	v_add_f64 v[144:145], v[144:145], -v[148:149]
	s_delay_alu instid0(VALU_DEP_2) | instskip(NEXT) | instid1(VALU_DEP_1)
	v_fma_f64 v[154:155], v[156:157], v[152:153], v[154:155]
	v_add_f64 v[146:147], v[146:147], -v[154:155]
	ds_load_2addr_b64 v[154:157], v204 offset0:4 offset1:5
	s_waitcnt lgkmcnt(0)
	v_mul_f64 v[148:149], v[156:157], v[150:151]
	s_delay_alu instid0(VALU_DEP_1) | instskip(SKIP_1) | instid1(VALU_DEP_2)
	v_fma_f64 v[148:149], v[154:155], v[152:153], -v[148:149]
	v_mul_f64 v[154:155], v[154:155], v[150:151]
	v_add_f64 v[140:141], v[140:141], -v[148:149]
	s_delay_alu instid0(VALU_DEP_2) | instskip(NEXT) | instid1(VALU_DEP_1)
	v_fma_f64 v[154:155], v[156:157], v[152:153], v[154:155]
	v_add_f64 v[142:143], v[142:143], -v[154:155]
	ds_load_2addr_b64 v[154:157], v204 offset0:6 offset1:7
	s_waitcnt lgkmcnt(0)
	v_mul_f64 v[148:149], v[156:157], v[150:151]
	s_delay_alu instid0(VALU_DEP_1) | instskip(SKIP_1) | instid1(VALU_DEP_2)
	v_fma_f64 v[148:149], v[154:155], v[152:153], -v[148:149]
	v_mul_f64 v[154:155], v[154:155], v[150:151]
	v_add_f64 v[136:137], v[136:137], -v[148:149]
	s_delay_alu instid0(VALU_DEP_2) | instskip(NEXT) | instid1(VALU_DEP_1)
	v_fma_f64 v[154:155], v[156:157], v[152:153], v[154:155]
	v_add_f64 v[138:139], v[138:139], -v[154:155]
	ds_load_2addr_b64 v[154:157], v204 offset0:8 offset1:9
	s_waitcnt lgkmcnt(0)
	v_mul_f64 v[148:149], v[156:157], v[150:151]
	s_delay_alu instid0(VALU_DEP_1) | instskip(SKIP_1) | instid1(VALU_DEP_2)
	v_fma_f64 v[148:149], v[154:155], v[152:153], -v[148:149]
	v_mul_f64 v[154:155], v[154:155], v[150:151]
	v_add_f64 v[132:133], v[132:133], -v[148:149]
	s_delay_alu instid0(VALU_DEP_2) | instskip(NEXT) | instid1(VALU_DEP_1)
	v_fma_f64 v[154:155], v[156:157], v[152:153], v[154:155]
	v_add_f64 v[134:135], v[134:135], -v[154:155]
	ds_load_2addr_b64 v[154:157], v204 offset0:10 offset1:11
	s_waitcnt lgkmcnt(0)
	v_mul_f64 v[148:149], v[156:157], v[150:151]
	s_delay_alu instid0(VALU_DEP_1) | instskip(SKIP_1) | instid1(VALU_DEP_2)
	v_fma_f64 v[148:149], v[154:155], v[152:153], -v[148:149]
	v_mul_f64 v[154:155], v[154:155], v[150:151]
	v_add_f64 v[128:129], v[128:129], -v[148:149]
	s_delay_alu instid0(VALU_DEP_2) | instskip(NEXT) | instid1(VALU_DEP_1)
	v_fma_f64 v[154:155], v[156:157], v[152:153], v[154:155]
	v_add_f64 v[130:131], v[130:131], -v[154:155]
	ds_load_2addr_b64 v[154:157], v204 offset0:12 offset1:13
	s_waitcnt lgkmcnt(0)
	v_mul_f64 v[148:149], v[156:157], v[150:151]
	s_delay_alu instid0(VALU_DEP_1) | instskip(SKIP_1) | instid1(VALU_DEP_2)
	v_fma_f64 v[148:149], v[154:155], v[152:153], -v[148:149]
	v_mul_f64 v[154:155], v[154:155], v[150:151]
	v_add_f64 v[124:125], v[124:125], -v[148:149]
	s_delay_alu instid0(VALU_DEP_2) | instskip(NEXT) | instid1(VALU_DEP_1)
	v_fma_f64 v[154:155], v[156:157], v[152:153], v[154:155]
	v_add_f64 v[126:127], v[126:127], -v[154:155]
	ds_load_2addr_b64 v[154:157], v204 offset0:14 offset1:15
	s_waitcnt lgkmcnt(0)
	v_mul_f64 v[148:149], v[156:157], v[150:151]
	s_delay_alu instid0(VALU_DEP_1) | instskip(SKIP_1) | instid1(VALU_DEP_2)
	v_fma_f64 v[148:149], v[154:155], v[152:153], -v[148:149]
	v_mul_f64 v[154:155], v[154:155], v[150:151]
	v_add_f64 v[120:121], v[120:121], -v[148:149]
	s_delay_alu instid0(VALU_DEP_2) | instskip(NEXT) | instid1(VALU_DEP_1)
	v_fma_f64 v[154:155], v[156:157], v[152:153], v[154:155]
	v_add_f64 v[122:123], v[122:123], -v[154:155]
	ds_load_2addr_b64 v[154:157], v204 offset0:16 offset1:17
	s_waitcnt lgkmcnt(0)
	v_mul_f64 v[148:149], v[156:157], v[150:151]
	s_delay_alu instid0(VALU_DEP_1) | instskip(SKIP_1) | instid1(VALU_DEP_2)
	v_fma_f64 v[148:149], v[154:155], v[152:153], -v[148:149]
	v_mul_f64 v[154:155], v[154:155], v[150:151]
	v_add_f64 v[116:117], v[116:117], -v[148:149]
	s_delay_alu instid0(VALU_DEP_2) | instskip(NEXT) | instid1(VALU_DEP_1)
	v_fma_f64 v[154:155], v[156:157], v[152:153], v[154:155]
	v_add_f64 v[118:119], v[118:119], -v[154:155]
	ds_load_2addr_b64 v[154:157], v204 offset0:18 offset1:19
	s_waitcnt lgkmcnt(0)
	v_mul_f64 v[148:149], v[156:157], v[150:151]
	s_delay_alu instid0(VALU_DEP_1) | instskip(SKIP_1) | instid1(VALU_DEP_2)
	v_fma_f64 v[148:149], v[154:155], v[152:153], -v[148:149]
	v_mul_f64 v[154:155], v[154:155], v[150:151]
	v_add_f64 v[112:113], v[112:113], -v[148:149]
	s_delay_alu instid0(VALU_DEP_2) | instskip(NEXT) | instid1(VALU_DEP_1)
	v_fma_f64 v[154:155], v[156:157], v[152:153], v[154:155]
	v_add_f64 v[114:115], v[114:115], -v[154:155]
	ds_load_2addr_b64 v[154:157], v204 offset0:20 offset1:21
	s_waitcnt lgkmcnt(0)
	v_mul_f64 v[148:149], v[156:157], v[150:151]
	s_delay_alu instid0(VALU_DEP_1) | instskip(SKIP_1) | instid1(VALU_DEP_2)
	v_fma_f64 v[148:149], v[154:155], v[152:153], -v[148:149]
	v_mul_f64 v[154:155], v[154:155], v[150:151]
	v_add_f64 v[108:109], v[108:109], -v[148:149]
	s_delay_alu instid0(VALU_DEP_2) | instskip(NEXT) | instid1(VALU_DEP_1)
	v_fma_f64 v[154:155], v[156:157], v[152:153], v[154:155]
	v_add_f64 v[110:111], v[110:111], -v[154:155]
	ds_load_2addr_b64 v[154:157], v204 offset0:22 offset1:23
	s_waitcnt lgkmcnt(0)
	v_mul_f64 v[148:149], v[156:157], v[150:151]
	s_delay_alu instid0(VALU_DEP_1) | instskip(SKIP_1) | instid1(VALU_DEP_2)
	v_fma_f64 v[148:149], v[154:155], v[152:153], -v[148:149]
	v_mul_f64 v[154:155], v[154:155], v[150:151]
	v_add_f64 v[104:105], v[104:105], -v[148:149]
	s_delay_alu instid0(VALU_DEP_2) | instskip(NEXT) | instid1(VALU_DEP_1)
	v_fma_f64 v[154:155], v[156:157], v[152:153], v[154:155]
	v_add_f64 v[106:107], v[106:107], -v[154:155]
	ds_load_2addr_b64 v[154:157], v204 offset0:24 offset1:25
	s_waitcnt lgkmcnt(0)
	v_mul_f64 v[148:149], v[156:157], v[150:151]
	s_delay_alu instid0(VALU_DEP_1) | instskip(SKIP_1) | instid1(VALU_DEP_2)
	v_fma_f64 v[148:149], v[154:155], v[152:153], -v[148:149]
	v_mul_f64 v[154:155], v[154:155], v[150:151]
	v_add_f64 v[100:101], v[100:101], -v[148:149]
	s_delay_alu instid0(VALU_DEP_2) | instskip(NEXT) | instid1(VALU_DEP_1)
	v_fma_f64 v[154:155], v[156:157], v[152:153], v[154:155]
	v_add_f64 v[102:103], v[102:103], -v[154:155]
	ds_load_2addr_b64 v[154:157], v204 offset0:26 offset1:27
	s_waitcnt lgkmcnt(0)
	v_mul_f64 v[148:149], v[156:157], v[150:151]
	s_delay_alu instid0(VALU_DEP_1) | instskip(SKIP_1) | instid1(VALU_DEP_2)
	v_fma_f64 v[148:149], v[154:155], v[152:153], -v[148:149]
	v_mul_f64 v[154:155], v[154:155], v[150:151]
	v_add_f64 v[96:97], v[96:97], -v[148:149]
	s_delay_alu instid0(VALU_DEP_2) | instskip(NEXT) | instid1(VALU_DEP_1)
	v_fma_f64 v[154:155], v[156:157], v[152:153], v[154:155]
	v_add_f64 v[98:99], v[98:99], -v[154:155]
	ds_load_2addr_b64 v[154:157], v204 offset0:28 offset1:29
	s_waitcnt lgkmcnt(0)
	v_mul_f64 v[148:149], v[156:157], v[150:151]
	s_delay_alu instid0(VALU_DEP_1) | instskip(SKIP_1) | instid1(VALU_DEP_2)
	v_fma_f64 v[148:149], v[154:155], v[152:153], -v[148:149]
	v_mul_f64 v[154:155], v[154:155], v[150:151]
	v_add_f64 v[92:93], v[92:93], -v[148:149]
	s_delay_alu instid0(VALU_DEP_2) | instskip(NEXT) | instid1(VALU_DEP_1)
	v_fma_f64 v[154:155], v[156:157], v[152:153], v[154:155]
	v_add_f64 v[94:95], v[94:95], -v[154:155]
	ds_load_2addr_b64 v[154:157], v204 offset0:30 offset1:31
	s_waitcnt lgkmcnt(0)
	v_mul_f64 v[148:149], v[156:157], v[150:151]
	s_delay_alu instid0(VALU_DEP_1) | instskip(SKIP_1) | instid1(VALU_DEP_2)
	v_fma_f64 v[148:149], v[154:155], v[152:153], -v[148:149]
	v_mul_f64 v[154:155], v[154:155], v[150:151]
	v_add_f64 v[88:89], v[88:89], -v[148:149]
	s_delay_alu instid0(VALU_DEP_2) | instskip(NEXT) | instid1(VALU_DEP_1)
	v_fma_f64 v[154:155], v[156:157], v[152:153], v[154:155]
	v_add_f64 v[90:91], v[90:91], -v[154:155]
	ds_load_2addr_b64 v[154:157], v204 offset0:32 offset1:33
	s_waitcnt lgkmcnt(0)
	v_mul_f64 v[148:149], v[156:157], v[150:151]
	s_delay_alu instid0(VALU_DEP_1) | instskip(SKIP_1) | instid1(VALU_DEP_2)
	v_fma_f64 v[148:149], v[154:155], v[152:153], -v[148:149]
	v_mul_f64 v[154:155], v[154:155], v[150:151]
	v_add_f64 v[84:85], v[84:85], -v[148:149]
	s_delay_alu instid0(VALU_DEP_2) | instskip(NEXT) | instid1(VALU_DEP_1)
	v_fma_f64 v[154:155], v[156:157], v[152:153], v[154:155]
	v_add_f64 v[86:87], v[86:87], -v[154:155]
	ds_load_2addr_b64 v[154:157], v204 offset0:34 offset1:35
	s_waitcnt lgkmcnt(0)
	v_mul_f64 v[148:149], v[156:157], v[150:151]
	s_delay_alu instid0(VALU_DEP_1) | instskip(SKIP_1) | instid1(VALU_DEP_2)
	v_fma_f64 v[148:149], v[154:155], v[152:153], -v[148:149]
	v_mul_f64 v[154:155], v[154:155], v[150:151]
	v_add_f64 v[80:81], v[80:81], -v[148:149]
	s_delay_alu instid0(VALU_DEP_2) | instskip(NEXT) | instid1(VALU_DEP_1)
	v_fma_f64 v[154:155], v[156:157], v[152:153], v[154:155]
	v_add_f64 v[82:83], v[82:83], -v[154:155]
	ds_load_2addr_b64 v[154:157], v204 offset0:36 offset1:37
	s_waitcnt lgkmcnt(0)
	v_mul_f64 v[148:149], v[156:157], v[150:151]
	s_delay_alu instid0(VALU_DEP_1) | instskip(SKIP_1) | instid1(VALU_DEP_2)
	v_fma_f64 v[148:149], v[154:155], v[152:153], -v[148:149]
	v_mul_f64 v[154:155], v[154:155], v[150:151]
	v_add_f64 v[76:77], v[76:77], -v[148:149]
	s_delay_alu instid0(VALU_DEP_2) | instskip(NEXT) | instid1(VALU_DEP_1)
	v_fma_f64 v[154:155], v[156:157], v[152:153], v[154:155]
	v_add_f64 v[78:79], v[78:79], -v[154:155]
	ds_load_2addr_b64 v[154:157], v204 offset0:38 offset1:39
	s_waitcnt lgkmcnt(0)
	v_mul_f64 v[148:149], v[156:157], v[150:151]
	s_delay_alu instid0(VALU_DEP_1) | instskip(SKIP_1) | instid1(VALU_DEP_2)
	v_fma_f64 v[148:149], v[154:155], v[152:153], -v[148:149]
	v_mul_f64 v[154:155], v[154:155], v[150:151]
	v_add_f64 v[72:73], v[72:73], -v[148:149]
	s_delay_alu instid0(VALU_DEP_2) | instskip(NEXT) | instid1(VALU_DEP_1)
	v_fma_f64 v[154:155], v[156:157], v[152:153], v[154:155]
	v_add_f64 v[74:75], v[74:75], -v[154:155]
	ds_load_2addr_b64 v[154:157], v204 offset0:40 offset1:41
	s_waitcnt lgkmcnt(0)
	v_mul_f64 v[148:149], v[156:157], v[150:151]
	s_delay_alu instid0(VALU_DEP_1) | instskip(SKIP_1) | instid1(VALU_DEP_2)
	v_fma_f64 v[148:149], v[154:155], v[152:153], -v[148:149]
	v_mul_f64 v[154:155], v[154:155], v[150:151]
	v_add_f64 v[68:69], v[68:69], -v[148:149]
	s_delay_alu instid0(VALU_DEP_2) | instskip(NEXT) | instid1(VALU_DEP_1)
	v_fma_f64 v[154:155], v[156:157], v[152:153], v[154:155]
	v_add_f64 v[70:71], v[70:71], -v[154:155]
	ds_load_2addr_b64 v[154:157], v204 offset0:42 offset1:43
	s_waitcnt lgkmcnt(0)
	v_mul_f64 v[148:149], v[156:157], v[150:151]
	s_delay_alu instid0(VALU_DEP_1) | instskip(SKIP_1) | instid1(VALU_DEP_2)
	v_fma_f64 v[148:149], v[154:155], v[152:153], -v[148:149]
	v_mul_f64 v[154:155], v[154:155], v[150:151]
	v_add_f64 v[64:65], v[64:65], -v[148:149]
	s_delay_alu instid0(VALU_DEP_2) | instskip(NEXT) | instid1(VALU_DEP_1)
	v_fma_f64 v[154:155], v[156:157], v[152:153], v[154:155]
	v_add_f64 v[66:67], v[66:67], -v[154:155]
	ds_load_2addr_b64 v[154:157], v204 offset0:44 offset1:45
	s_waitcnt lgkmcnt(0)
	v_mul_f64 v[148:149], v[156:157], v[150:151]
	s_delay_alu instid0(VALU_DEP_1) | instskip(SKIP_1) | instid1(VALU_DEP_2)
	v_fma_f64 v[148:149], v[154:155], v[152:153], -v[148:149]
	v_mul_f64 v[154:155], v[154:155], v[150:151]
	v_add_f64 v[60:61], v[60:61], -v[148:149]
	s_delay_alu instid0(VALU_DEP_2) | instskip(NEXT) | instid1(VALU_DEP_1)
	v_fma_f64 v[154:155], v[156:157], v[152:153], v[154:155]
	v_add_f64 v[62:63], v[62:63], -v[154:155]
	ds_load_2addr_b64 v[154:157], v204 offset0:46 offset1:47
	s_waitcnt lgkmcnt(0)
	v_mul_f64 v[148:149], v[156:157], v[150:151]
	s_delay_alu instid0(VALU_DEP_1) | instskip(SKIP_1) | instid1(VALU_DEP_2)
	v_fma_f64 v[148:149], v[154:155], v[152:153], -v[148:149]
	v_mul_f64 v[154:155], v[154:155], v[150:151]
	v_add_f64 v[56:57], v[56:57], -v[148:149]
	s_delay_alu instid0(VALU_DEP_2) | instskip(NEXT) | instid1(VALU_DEP_1)
	v_fma_f64 v[154:155], v[156:157], v[152:153], v[154:155]
	v_add_f64 v[58:59], v[58:59], -v[154:155]
	ds_load_2addr_b64 v[154:157], v204 offset0:48 offset1:49
	s_waitcnt lgkmcnt(0)
	v_mul_f64 v[148:149], v[156:157], v[150:151]
	s_delay_alu instid0(VALU_DEP_1) | instskip(SKIP_1) | instid1(VALU_DEP_2)
	v_fma_f64 v[148:149], v[154:155], v[152:153], -v[148:149]
	v_mul_f64 v[154:155], v[154:155], v[150:151]
	v_add_f64 v[52:53], v[52:53], -v[148:149]
	s_delay_alu instid0(VALU_DEP_2) | instskip(NEXT) | instid1(VALU_DEP_1)
	v_fma_f64 v[154:155], v[156:157], v[152:153], v[154:155]
	v_add_f64 v[54:55], v[54:55], -v[154:155]
	ds_load_2addr_b64 v[154:157], v204 offset0:50 offset1:51
	s_waitcnt lgkmcnt(0)
	v_mul_f64 v[148:149], v[156:157], v[150:151]
	s_delay_alu instid0(VALU_DEP_1) | instskip(SKIP_1) | instid1(VALU_DEP_2)
	v_fma_f64 v[148:149], v[154:155], v[152:153], -v[148:149]
	v_mul_f64 v[154:155], v[154:155], v[150:151]
	v_add_f64 v[48:49], v[48:49], -v[148:149]
	s_delay_alu instid0(VALU_DEP_2) | instskip(NEXT) | instid1(VALU_DEP_1)
	v_fma_f64 v[154:155], v[156:157], v[152:153], v[154:155]
	v_add_f64 v[50:51], v[50:51], -v[154:155]
	ds_load_2addr_b64 v[154:157], v204 offset0:52 offset1:53
	s_waitcnt lgkmcnt(0)
	v_mul_f64 v[148:149], v[156:157], v[150:151]
	s_delay_alu instid0(VALU_DEP_1) | instskip(SKIP_1) | instid1(VALU_DEP_2)
	v_fma_f64 v[148:149], v[154:155], v[152:153], -v[148:149]
	v_mul_f64 v[154:155], v[154:155], v[150:151]
	v_add_f64 v[44:45], v[44:45], -v[148:149]
	s_delay_alu instid0(VALU_DEP_2) | instskip(NEXT) | instid1(VALU_DEP_1)
	v_fma_f64 v[154:155], v[156:157], v[152:153], v[154:155]
	v_add_f64 v[46:47], v[46:47], -v[154:155]
	ds_load_2addr_b64 v[154:157], v204 offset0:54 offset1:55
	s_waitcnt lgkmcnt(0)
	v_mul_f64 v[148:149], v[156:157], v[150:151]
	s_delay_alu instid0(VALU_DEP_1) | instskip(SKIP_1) | instid1(VALU_DEP_2)
	v_fma_f64 v[148:149], v[154:155], v[152:153], -v[148:149]
	v_mul_f64 v[154:155], v[154:155], v[150:151]
	v_add_f64 v[40:41], v[40:41], -v[148:149]
	s_delay_alu instid0(VALU_DEP_2) | instskip(NEXT) | instid1(VALU_DEP_1)
	v_fma_f64 v[154:155], v[156:157], v[152:153], v[154:155]
	v_add_f64 v[42:43], v[42:43], -v[154:155]
	ds_load_2addr_b64 v[154:157], v204 offset0:56 offset1:57
	s_waitcnt lgkmcnt(0)
	v_mul_f64 v[148:149], v[156:157], v[150:151]
	s_delay_alu instid0(VALU_DEP_1) | instskip(SKIP_1) | instid1(VALU_DEP_2)
	v_fma_f64 v[148:149], v[154:155], v[152:153], -v[148:149]
	v_mul_f64 v[154:155], v[154:155], v[150:151]
	v_add_f64 v[36:37], v[36:37], -v[148:149]
	s_delay_alu instid0(VALU_DEP_2) | instskip(NEXT) | instid1(VALU_DEP_1)
	v_fma_f64 v[154:155], v[156:157], v[152:153], v[154:155]
	v_add_f64 v[38:39], v[38:39], -v[154:155]
	ds_load_2addr_b64 v[154:157], v204 offset0:58 offset1:59
	s_waitcnt lgkmcnt(0)
	v_mul_f64 v[148:149], v[156:157], v[150:151]
	s_delay_alu instid0(VALU_DEP_1) | instskip(SKIP_1) | instid1(VALU_DEP_2)
	v_fma_f64 v[148:149], v[154:155], v[152:153], -v[148:149]
	v_mul_f64 v[154:155], v[154:155], v[150:151]
	v_add_f64 v[32:33], v[32:33], -v[148:149]
	s_delay_alu instid0(VALU_DEP_2) | instskip(NEXT) | instid1(VALU_DEP_1)
	v_fma_f64 v[154:155], v[156:157], v[152:153], v[154:155]
	v_add_f64 v[34:35], v[34:35], -v[154:155]
	ds_load_2addr_b64 v[154:157], v204 offset0:60 offset1:61
	s_waitcnt lgkmcnt(0)
	v_mul_f64 v[148:149], v[156:157], v[150:151]
	s_delay_alu instid0(VALU_DEP_1) | instskip(SKIP_1) | instid1(VALU_DEP_2)
	v_fma_f64 v[148:149], v[154:155], v[152:153], -v[148:149]
	v_mul_f64 v[154:155], v[154:155], v[150:151]
	v_add_f64 v[28:29], v[28:29], -v[148:149]
	s_delay_alu instid0(VALU_DEP_2) | instskip(NEXT) | instid1(VALU_DEP_1)
	v_fma_f64 v[154:155], v[156:157], v[152:153], v[154:155]
	v_add_f64 v[30:31], v[30:31], -v[154:155]
	ds_load_2addr_b64 v[154:157], v204 offset0:62 offset1:63
	s_waitcnt lgkmcnt(0)
	v_mul_f64 v[148:149], v[156:157], v[150:151]
	s_delay_alu instid0(VALU_DEP_1) | instskip(SKIP_1) | instid1(VALU_DEP_2)
	v_fma_f64 v[148:149], v[154:155], v[152:153], -v[148:149]
	v_mul_f64 v[154:155], v[154:155], v[150:151]
	v_add_f64 v[24:25], v[24:25], -v[148:149]
	s_delay_alu instid0(VALU_DEP_2) | instskip(NEXT) | instid1(VALU_DEP_1)
	v_fma_f64 v[154:155], v[156:157], v[152:153], v[154:155]
	v_add_f64 v[26:27], v[26:27], -v[154:155]
	ds_load_2addr_b64 v[154:157], v204 offset0:64 offset1:65
	s_waitcnt lgkmcnt(0)
	v_mul_f64 v[148:149], v[156:157], v[150:151]
	s_delay_alu instid0(VALU_DEP_1) | instskip(SKIP_1) | instid1(VALU_DEP_2)
	v_fma_f64 v[148:149], v[154:155], v[152:153], -v[148:149]
	v_mul_f64 v[154:155], v[154:155], v[150:151]
	v_add_f64 v[20:21], v[20:21], -v[148:149]
	s_delay_alu instid0(VALU_DEP_2) | instskip(NEXT) | instid1(VALU_DEP_1)
	v_fma_f64 v[154:155], v[156:157], v[152:153], v[154:155]
	v_add_f64 v[22:23], v[22:23], -v[154:155]
	ds_load_2addr_b64 v[154:157], v204 offset0:66 offset1:67
	s_waitcnt lgkmcnt(0)
	v_mul_f64 v[148:149], v[156:157], v[150:151]
	s_delay_alu instid0(VALU_DEP_1) | instskip(SKIP_1) | instid1(VALU_DEP_2)
	v_fma_f64 v[148:149], v[154:155], v[152:153], -v[148:149]
	v_mul_f64 v[154:155], v[154:155], v[150:151]
	v_add_f64 v[16:17], v[16:17], -v[148:149]
	s_delay_alu instid0(VALU_DEP_2) | instskip(NEXT) | instid1(VALU_DEP_1)
	v_fma_f64 v[154:155], v[156:157], v[152:153], v[154:155]
	v_add_f64 v[18:19], v[18:19], -v[154:155]
	ds_load_2addr_b64 v[154:157], v204 offset0:68 offset1:69
	s_waitcnt lgkmcnt(0)
	v_mul_f64 v[148:149], v[156:157], v[150:151]
	s_delay_alu instid0(VALU_DEP_1) | instskip(SKIP_1) | instid1(VALU_DEP_2)
	v_fma_f64 v[148:149], v[154:155], v[152:153], -v[148:149]
	v_mul_f64 v[154:155], v[154:155], v[150:151]
	v_add_f64 v[12:13], v[12:13], -v[148:149]
	s_delay_alu instid0(VALU_DEP_2) | instskip(NEXT) | instid1(VALU_DEP_1)
	v_fma_f64 v[154:155], v[156:157], v[152:153], v[154:155]
	v_add_f64 v[14:15], v[14:15], -v[154:155]
	ds_load_2addr_b64 v[154:157], v204 offset0:70 offset1:71
	s_waitcnt lgkmcnt(0)
	v_mul_f64 v[148:149], v[156:157], v[150:151]
	s_delay_alu instid0(VALU_DEP_1) | instskip(SKIP_1) | instid1(VALU_DEP_2)
	v_fma_f64 v[148:149], v[154:155], v[152:153], -v[148:149]
	v_mul_f64 v[154:155], v[154:155], v[150:151]
	v_add_f64 v[8:9], v[8:9], -v[148:149]
	s_delay_alu instid0(VALU_DEP_2) | instskip(NEXT) | instid1(VALU_DEP_1)
	v_fma_f64 v[154:155], v[156:157], v[152:153], v[154:155]
	v_add_f64 v[10:11], v[10:11], -v[154:155]
	ds_load_2addr_b64 v[154:157], v204 offset0:72 offset1:73
	s_waitcnt lgkmcnt(0)
	v_mul_f64 v[148:149], v[156:157], v[150:151]
	s_delay_alu instid0(VALU_DEP_1) | instskip(SKIP_1) | instid1(VALU_DEP_2)
	v_fma_f64 v[148:149], v[154:155], v[152:153], -v[148:149]
	v_mul_f64 v[154:155], v[154:155], v[150:151]
	v_add_f64 v[4:5], v[4:5], -v[148:149]
	s_delay_alu instid0(VALU_DEP_2) | instskip(NEXT) | instid1(VALU_DEP_1)
	v_fma_f64 v[154:155], v[156:157], v[152:153], v[154:155]
	v_add_f64 v[6:7], v[6:7], -v[154:155]
	ds_load_2addr_b64 v[154:157], v204 offset0:74 offset1:75
	s_waitcnt lgkmcnt(0)
	v_mul_f64 v[148:149], v[156:157], v[150:151]
	s_delay_alu instid0(VALU_DEP_1) | instskip(SKIP_1) | instid1(VALU_DEP_2)
	v_fma_f64 v[148:149], v[154:155], v[152:153], -v[148:149]
	v_mul_f64 v[154:155], v[154:155], v[150:151]
	v_add_f64 v[0:1], v[0:1], -v[148:149]
	s_delay_alu instid0(VALU_DEP_2) | instskip(SKIP_1) | instid1(VALU_DEP_2)
	v_fma_f64 v[154:155], v[156:157], v[152:153], v[154:155]
	v_dual_mov_b32 v148, v152 :: v_dual_mov_b32 v149, v153
	v_add_f64 v[2:3], v[2:3], -v[154:155]
.LBB75_10:
	s_or_b32 exec_lo, exec_lo, s4
	s_delay_alu instid0(SALU_CYCLE_1)
	s_mov_b32 s4, exec_lo
	s_waitcnt_vscnt null, 0x0
	s_barrier
	buffer_gl0_inv
	v_cmpx_eq_u32_e32 1, v202
	s_cbranch_execz .LBB75_17
; %bb.11:
	ds_store_2addr_b64 v203, v[144:145], v[146:147] offset1:1
	ds_store_2addr_b64 v204, v[140:141], v[142:143] offset0:4 offset1:5
	ds_store_2addr_b64 v204, v[136:137], v[138:139] offset0:6 offset1:7
	;; [unrolled: 1-line block ×36, first 2 shown]
	ds_load_2addr_b64 v[152:155], v203 offset1:1
	s_waitcnt lgkmcnt(0)
	v_cmp_neq_f64_e32 vcc_lo, 0, v[152:153]
	v_cmp_neq_f64_e64 s3, 0, v[154:155]
	s_delay_alu instid0(VALU_DEP_1) | instskip(NEXT) | instid1(SALU_CYCLE_1)
	s_or_b32 s3, vcc_lo, s3
	s_and_b32 exec_lo, exec_lo, s3
	s_cbranch_execz .LBB75_17
; %bb.12:
	v_cmp_gt_f64_e32 vcc_lo, 0, v[152:153]
	v_cmp_gt_f64_e64 s3, 0, v[154:155]
	v_xor_b32_e32 v156, 0x80000000, v153
	v_xor_b32_e32 v158, 0x80000000, v155
                                        ; implicit-def: $vgpr160_vgpr161
	s_delay_alu instid0(VALU_DEP_2) | instskip(NEXT) | instid1(VALU_DEP_2)
	v_cndmask_b32_e32 v157, v153, v156, vcc_lo
	v_cndmask_b32_e64 v159, v155, v158, s3
	v_cndmask_b32_e32 v156, v152, v152, vcc_lo
	v_cndmask_b32_e64 v158, v154, v154, s3
	s_mov_b32 s3, exec_lo
	s_delay_alu instid0(VALU_DEP_1)
	v_cmpx_ngt_f64_e32 v[156:157], v[158:159]
	s_xor_b32 s3, exec_lo, s3
                                        ; implicit-def: $vgpr156_vgpr157_vgpr158_vgpr159
	s_cbranch_execz .LBB75_14
; %bb.13:
	v_div_scale_f64 v[156:157], null, v[154:155], v[154:155], v[152:153]
	v_div_scale_f64 v[162:163], vcc_lo, v[152:153], v[154:155], v[152:153]
	s_delay_alu instid0(VALU_DEP_2) | instskip(SKIP_2) | instid1(VALU_DEP_1)
	v_rcp_f64_e32 v[158:159], v[156:157]
	s_waitcnt_depctr 0xfff
	v_fma_f64 v[160:161], -v[156:157], v[158:159], 1.0
	v_fma_f64 v[158:159], v[158:159], v[160:161], v[158:159]
	s_delay_alu instid0(VALU_DEP_1) | instskip(NEXT) | instid1(VALU_DEP_1)
	v_fma_f64 v[160:161], -v[156:157], v[158:159], 1.0
	v_fma_f64 v[158:159], v[158:159], v[160:161], v[158:159]
	s_delay_alu instid0(VALU_DEP_1) | instskip(NEXT) | instid1(VALU_DEP_1)
	v_mul_f64 v[160:161], v[162:163], v[158:159]
	v_fma_f64 v[156:157], -v[156:157], v[160:161], v[162:163]
	s_delay_alu instid0(VALU_DEP_1) | instskip(NEXT) | instid1(VALU_DEP_1)
	v_div_fmas_f64 v[156:157], v[156:157], v[158:159], v[160:161]
	v_div_fixup_f64 v[156:157], v[156:157], v[154:155], v[152:153]
	s_delay_alu instid0(VALU_DEP_1) | instskip(NEXT) | instid1(VALU_DEP_1)
	v_fma_f64 v[152:153], v[152:153], v[156:157], v[154:155]
	v_div_scale_f64 v[154:155], null, v[152:153], v[152:153], 1.0
	s_delay_alu instid0(VALU_DEP_1) | instskip(SKIP_2) | instid1(VALU_DEP_1)
	v_rcp_f64_e32 v[158:159], v[154:155]
	s_waitcnt_depctr 0xfff
	v_fma_f64 v[160:161], -v[154:155], v[158:159], 1.0
	v_fma_f64 v[158:159], v[158:159], v[160:161], v[158:159]
	s_delay_alu instid0(VALU_DEP_1) | instskip(NEXT) | instid1(VALU_DEP_1)
	v_fma_f64 v[160:161], -v[154:155], v[158:159], 1.0
	v_fma_f64 v[158:159], v[158:159], v[160:161], v[158:159]
	v_div_scale_f64 v[160:161], vcc_lo, 1.0, v[152:153], 1.0
	s_delay_alu instid0(VALU_DEP_1) | instskip(NEXT) | instid1(VALU_DEP_1)
	v_mul_f64 v[162:163], v[160:161], v[158:159]
	v_fma_f64 v[154:155], -v[154:155], v[162:163], v[160:161]
	s_delay_alu instid0(VALU_DEP_1) | instskip(NEXT) | instid1(VALU_DEP_1)
	v_div_fmas_f64 v[154:155], v[154:155], v[158:159], v[162:163]
	v_div_fixup_f64 v[158:159], v[154:155], v[152:153], 1.0
                                        ; implicit-def: $vgpr152_vgpr153
	s_delay_alu instid0(VALU_DEP_1)
	v_mul_f64 v[160:161], v[156:157], v[158:159]
	v_xor_b32_e32 v159, 0x80000000, v159
.LBB75_14:
	s_and_not1_saveexec_b32 s3, s3
	s_cbranch_execz .LBB75_16
; %bb.15:
	v_div_scale_f64 v[156:157], null, v[152:153], v[152:153], v[154:155]
	v_div_scale_f64 v[162:163], vcc_lo, v[154:155], v[152:153], v[154:155]
	s_delay_alu instid0(VALU_DEP_2) | instskip(SKIP_2) | instid1(VALU_DEP_1)
	v_rcp_f64_e32 v[158:159], v[156:157]
	s_waitcnt_depctr 0xfff
	v_fma_f64 v[160:161], -v[156:157], v[158:159], 1.0
	v_fma_f64 v[158:159], v[158:159], v[160:161], v[158:159]
	s_delay_alu instid0(VALU_DEP_1) | instskip(NEXT) | instid1(VALU_DEP_1)
	v_fma_f64 v[160:161], -v[156:157], v[158:159], 1.0
	v_fma_f64 v[158:159], v[158:159], v[160:161], v[158:159]
	s_delay_alu instid0(VALU_DEP_1) | instskip(NEXT) | instid1(VALU_DEP_1)
	v_mul_f64 v[160:161], v[162:163], v[158:159]
	v_fma_f64 v[156:157], -v[156:157], v[160:161], v[162:163]
	s_delay_alu instid0(VALU_DEP_1) | instskip(NEXT) | instid1(VALU_DEP_1)
	v_div_fmas_f64 v[156:157], v[156:157], v[158:159], v[160:161]
	v_div_fixup_f64 v[156:157], v[156:157], v[152:153], v[154:155]
	s_delay_alu instid0(VALU_DEP_1) | instskip(NEXT) | instid1(VALU_DEP_1)
	v_fma_f64 v[152:153], v[154:155], v[156:157], v[152:153]
	v_div_scale_f64 v[154:155], null, v[152:153], v[152:153], 1.0
	s_delay_alu instid0(VALU_DEP_1) | instskip(SKIP_2) | instid1(VALU_DEP_1)
	v_rcp_f64_e32 v[158:159], v[154:155]
	s_waitcnt_depctr 0xfff
	v_fma_f64 v[160:161], -v[154:155], v[158:159], 1.0
	v_fma_f64 v[158:159], v[158:159], v[160:161], v[158:159]
	s_delay_alu instid0(VALU_DEP_1) | instskip(NEXT) | instid1(VALU_DEP_1)
	v_fma_f64 v[160:161], -v[154:155], v[158:159], 1.0
	v_fma_f64 v[158:159], v[158:159], v[160:161], v[158:159]
	v_div_scale_f64 v[160:161], vcc_lo, 1.0, v[152:153], 1.0
	s_delay_alu instid0(VALU_DEP_1) | instskip(NEXT) | instid1(VALU_DEP_1)
	v_mul_f64 v[162:163], v[160:161], v[158:159]
	v_fma_f64 v[154:155], -v[154:155], v[162:163], v[160:161]
	s_delay_alu instid0(VALU_DEP_1) | instskip(NEXT) | instid1(VALU_DEP_1)
	v_div_fmas_f64 v[154:155], v[154:155], v[158:159], v[162:163]
	v_div_fixup_f64 v[160:161], v[154:155], v[152:153], 1.0
	s_delay_alu instid0(VALU_DEP_1)
	v_mul_f64 v[158:159], v[156:157], -v[160:161]
.LBB75_16:
	s_or_b32 exec_lo, exec_lo, s3
	ds_store_2addr_b64 v203, v[160:161], v[158:159] offset1:1
.LBB75_17:
	s_or_b32 exec_lo, exec_lo, s4
	s_waitcnt lgkmcnt(0)
	s_barrier
	buffer_gl0_inv
	ds_load_2addr_b64 v[152:155], v203 offset1:1
	s_mov_b32 s3, exec_lo
	s_waitcnt lgkmcnt(0)
	scratch_store_b128 off, v[152:155], off offset:128 ; 16-byte Folded Spill
	v_cmpx_lt_u32_e32 1, v202
	s_cbranch_execz .LBB75_19
; %bb.18:
	scratch_load_b128 v[154:157], off, off offset:128 ; 16-byte Folded Reload
	s_waitcnt vmcnt(0)
	v_mul_f64 v[152:153], v[156:157], v[146:147]
	v_mul_f64 v[146:147], v[154:155], v[146:147]
	s_delay_alu instid0(VALU_DEP_2) | instskip(NEXT) | instid1(VALU_DEP_2)
	v_fma_f64 v[152:153], v[154:155], v[144:145], -v[152:153]
	v_fma_f64 v[146:147], v[156:157], v[144:145], v[146:147]
	ds_load_2addr_b64 v[154:157], v204 offset0:4 offset1:5
	s_waitcnt lgkmcnt(0)
	v_mul_f64 v[144:145], v[156:157], v[146:147]
	s_delay_alu instid0(VALU_DEP_1) | instskip(SKIP_1) | instid1(VALU_DEP_2)
	v_fma_f64 v[144:145], v[154:155], v[152:153], -v[144:145]
	v_mul_f64 v[154:155], v[154:155], v[146:147]
	v_add_f64 v[140:141], v[140:141], -v[144:145]
	s_delay_alu instid0(VALU_DEP_2) | instskip(NEXT) | instid1(VALU_DEP_1)
	v_fma_f64 v[154:155], v[156:157], v[152:153], v[154:155]
	v_add_f64 v[142:143], v[142:143], -v[154:155]
	ds_load_2addr_b64 v[154:157], v204 offset0:6 offset1:7
	s_waitcnt lgkmcnt(0)
	v_mul_f64 v[144:145], v[156:157], v[146:147]
	s_delay_alu instid0(VALU_DEP_1) | instskip(SKIP_1) | instid1(VALU_DEP_2)
	v_fma_f64 v[144:145], v[154:155], v[152:153], -v[144:145]
	v_mul_f64 v[154:155], v[154:155], v[146:147]
	v_add_f64 v[136:137], v[136:137], -v[144:145]
	s_delay_alu instid0(VALU_DEP_2) | instskip(NEXT) | instid1(VALU_DEP_1)
	v_fma_f64 v[154:155], v[156:157], v[152:153], v[154:155]
	v_add_f64 v[138:139], v[138:139], -v[154:155]
	;; [unrolled: 10-line block ×35, first 2 shown]
	ds_load_2addr_b64 v[154:157], v204 offset0:74 offset1:75
	s_waitcnt lgkmcnt(0)
	v_mul_f64 v[144:145], v[156:157], v[146:147]
	s_delay_alu instid0(VALU_DEP_1) | instskip(SKIP_1) | instid1(VALU_DEP_2)
	v_fma_f64 v[144:145], v[154:155], v[152:153], -v[144:145]
	v_mul_f64 v[154:155], v[154:155], v[146:147]
	v_add_f64 v[0:1], v[0:1], -v[144:145]
	s_delay_alu instid0(VALU_DEP_2) | instskip(SKIP_1) | instid1(VALU_DEP_2)
	v_fma_f64 v[154:155], v[156:157], v[152:153], v[154:155]
	v_dual_mov_b32 v144, v152 :: v_dual_mov_b32 v145, v153
	v_add_f64 v[2:3], v[2:3], -v[154:155]
.LBB75_19:
	s_or_b32 exec_lo, exec_lo, s3
	s_delay_alu instid0(SALU_CYCLE_1)
	s_mov_b32 s4, exec_lo
	s_waitcnt_vscnt null, 0x0
	s_barrier
	buffer_gl0_inv
	v_cmpx_eq_u32_e32 2, v202
	s_cbranch_execz .LBB75_26
; %bb.20:
	ds_store_2addr_b64 v203, v[140:141], v[142:143] offset1:1
	ds_store_2addr_b64 v204, v[136:137], v[138:139] offset0:6 offset1:7
	ds_store_2addr_b64 v204, v[132:133], v[134:135] offset0:8 offset1:9
	;; [unrolled: 1-line block ×35, first 2 shown]
	ds_load_2addr_b64 v[152:155], v203 offset1:1
	s_waitcnt lgkmcnt(0)
	v_cmp_neq_f64_e32 vcc_lo, 0, v[152:153]
	v_cmp_neq_f64_e64 s3, 0, v[154:155]
	s_delay_alu instid0(VALU_DEP_1) | instskip(NEXT) | instid1(SALU_CYCLE_1)
	s_or_b32 s3, vcc_lo, s3
	s_and_b32 exec_lo, exec_lo, s3
	s_cbranch_execz .LBB75_26
; %bb.21:
	v_cmp_gt_f64_e32 vcc_lo, 0, v[152:153]
	v_cmp_gt_f64_e64 s3, 0, v[154:155]
	v_xor_b32_e32 v156, 0x80000000, v153
	v_xor_b32_e32 v158, 0x80000000, v155
                                        ; implicit-def: $vgpr160_vgpr161
	s_delay_alu instid0(VALU_DEP_2) | instskip(NEXT) | instid1(VALU_DEP_2)
	v_cndmask_b32_e32 v157, v153, v156, vcc_lo
	v_cndmask_b32_e64 v159, v155, v158, s3
	v_cndmask_b32_e32 v156, v152, v152, vcc_lo
	v_cndmask_b32_e64 v158, v154, v154, s3
	s_mov_b32 s3, exec_lo
	s_delay_alu instid0(VALU_DEP_1)
	v_cmpx_ngt_f64_e32 v[156:157], v[158:159]
	s_xor_b32 s3, exec_lo, s3
                                        ; implicit-def: $vgpr156_vgpr157_vgpr158_vgpr159
	s_cbranch_execz .LBB75_23
; %bb.22:
	v_div_scale_f64 v[156:157], null, v[154:155], v[154:155], v[152:153]
	v_div_scale_f64 v[162:163], vcc_lo, v[152:153], v[154:155], v[152:153]
	s_delay_alu instid0(VALU_DEP_2) | instskip(SKIP_2) | instid1(VALU_DEP_1)
	v_rcp_f64_e32 v[158:159], v[156:157]
	s_waitcnt_depctr 0xfff
	v_fma_f64 v[160:161], -v[156:157], v[158:159], 1.0
	v_fma_f64 v[158:159], v[158:159], v[160:161], v[158:159]
	s_delay_alu instid0(VALU_DEP_1) | instskip(NEXT) | instid1(VALU_DEP_1)
	v_fma_f64 v[160:161], -v[156:157], v[158:159], 1.0
	v_fma_f64 v[158:159], v[158:159], v[160:161], v[158:159]
	s_delay_alu instid0(VALU_DEP_1) | instskip(NEXT) | instid1(VALU_DEP_1)
	v_mul_f64 v[160:161], v[162:163], v[158:159]
	v_fma_f64 v[156:157], -v[156:157], v[160:161], v[162:163]
	s_delay_alu instid0(VALU_DEP_1) | instskip(NEXT) | instid1(VALU_DEP_1)
	v_div_fmas_f64 v[156:157], v[156:157], v[158:159], v[160:161]
	v_div_fixup_f64 v[156:157], v[156:157], v[154:155], v[152:153]
	s_delay_alu instid0(VALU_DEP_1) | instskip(NEXT) | instid1(VALU_DEP_1)
	v_fma_f64 v[152:153], v[152:153], v[156:157], v[154:155]
	v_div_scale_f64 v[154:155], null, v[152:153], v[152:153], 1.0
	s_delay_alu instid0(VALU_DEP_1) | instskip(SKIP_2) | instid1(VALU_DEP_1)
	v_rcp_f64_e32 v[158:159], v[154:155]
	s_waitcnt_depctr 0xfff
	v_fma_f64 v[160:161], -v[154:155], v[158:159], 1.0
	v_fma_f64 v[158:159], v[158:159], v[160:161], v[158:159]
	s_delay_alu instid0(VALU_DEP_1) | instskip(NEXT) | instid1(VALU_DEP_1)
	v_fma_f64 v[160:161], -v[154:155], v[158:159], 1.0
	v_fma_f64 v[158:159], v[158:159], v[160:161], v[158:159]
	v_div_scale_f64 v[160:161], vcc_lo, 1.0, v[152:153], 1.0
	s_delay_alu instid0(VALU_DEP_1) | instskip(NEXT) | instid1(VALU_DEP_1)
	v_mul_f64 v[162:163], v[160:161], v[158:159]
	v_fma_f64 v[154:155], -v[154:155], v[162:163], v[160:161]
	s_delay_alu instid0(VALU_DEP_1) | instskip(NEXT) | instid1(VALU_DEP_1)
	v_div_fmas_f64 v[154:155], v[154:155], v[158:159], v[162:163]
	v_div_fixup_f64 v[158:159], v[154:155], v[152:153], 1.0
                                        ; implicit-def: $vgpr152_vgpr153
	s_delay_alu instid0(VALU_DEP_1)
	v_mul_f64 v[160:161], v[156:157], v[158:159]
	v_xor_b32_e32 v159, 0x80000000, v159
.LBB75_23:
	s_and_not1_saveexec_b32 s3, s3
	s_cbranch_execz .LBB75_25
; %bb.24:
	v_div_scale_f64 v[156:157], null, v[152:153], v[152:153], v[154:155]
	v_div_scale_f64 v[162:163], vcc_lo, v[154:155], v[152:153], v[154:155]
	s_delay_alu instid0(VALU_DEP_2) | instskip(SKIP_2) | instid1(VALU_DEP_1)
	v_rcp_f64_e32 v[158:159], v[156:157]
	s_waitcnt_depctr 0xfff
	v_fma_f64 v[160:161], -v[156:157], v[158:159], 1.0
	v_fma_f64 v[158:159], v[158:159], v[160:161], v[158:159]
	s_delay_alu instid0(VALU_DEP_1) | instskip(NEXT) | instid1(VALU_DEP_1)
	v_fma_f64 v[160:161], -v[156:157], v[158:159], 1.0
	v_fma_f64 v[158:159], v[158:159], v[160:161], v[158:159]
	s_delay_alu instid0(VALU_DEP_1) | instskip(NEXT) | instid1(VALU_DEP_1)
	v_mul_f64 v[160:161], v[162:163], v[158:159]
	v_fma_f64 v[156:157], -v[156:157], v[160:161], v[162:163]
	s_delay_alu instid0(VALU_DEP_1) | instskip(NEXT) | instid1(VALU_DEP_1)
	v_div_fmas_f64 v[156:157], v[156:157], v[158:159], v[160:161]
	v_div_fixup_f64 v[156:157], v[156:157], v[152:153], v[154:155]
	s_delay_alu instid0(VALU_DEP_1) | instskip(NEXT) | instid1(VALU_DEP_1)
	v_fma_f64 v[152:153], v[154:155], v[156:157], v[152:153]
	v_div_scale_f64 v[154:155], null, v[152:153], v[152:153], 1.0
	s_delay_alu instid0(VALU_DEP_1) | instskip(SKIP_2) | instid1(VALU_DEP_1)
	v_rcp_f64_e32 v[158:159], v[154:155]
	s_waitcnt_depctr 0xfff
	v_fma_f64 v[160:161], -v[154:155], v[158:159], 1.0
	v_fma_f64 v[158:159], v[158:159], v[160:161], v[158:159]
	s_delay_alu instid0(VALU_DEP_1) | instskip(NEXT) | instid1(VALU_DEP_1)
	v_fma_f64 v[160:161], -v[154:155], v[158:159], 1.0
	v_fma_f64 v[158:159], v[158:159], v[160:161], v[158:159]
	v_div_scale_f64 v[160:161], vcc_lo, 1.0, v[152:153], 1.0
	s_delay_alu instid0(VALU_DEP_1) | instskip(NEXT) | instid1(VALU_DEP_1)
	v_mul_f64 v[162:163], v[160:161], v[158:159]
	v_fma_f64 v[154:155], -v[154:155], v[162:163], v[160:161]
	s_delay_alu instid0(VALU_DEP_1) | instskip(NEXT) | instid1(VALU_DEP_1)
	v_div_fmas_f64 v[154:155], v[154:155], v[158:159], v[162:163]
	v_div_fixup_f64 v[160:161], v[154:155], v[152:153], 1.0
	s_delay_alu instid0(VALU_DEP_1)
	v_mul_f64 v[158:159], v[156:157], -v[160:161]
.LBB75_25:
	s_or_b32 exec_lo, exec_lo, s3
	ds_store_2addr_b64 v203, v[160:161], v[158:159] offset1:1
.LBB75_26:
	s_or_b32 exec_lo, exec_lo, s4
	s_waitcnt lgkmcnt(0)
	s_barrier
	buffer_gl0_inv
	ds_load_2addr_b64 v[152:155], v203 offset1:1
	s_mov_b32 s3, exec_lo
	s_waitcnt lgkmcnt(0)
	scratch_store_b128 off, v[152:155], off offset:144 ; 16-byte Folded Spill
	v_cmpx_lt_u32_e32 2, v202
	s_cbranch_execz .LBB75_28
; %bb.27:
	scratch_load_b128 v[154:157], off, off offset:144 ; 16-byte Folded Reload
	s_waitcnt vmcnt(0)
	v_mul_f64 v[152:153], v[156:157], v[142:143]
	v_mul_f64 v[142:143], v[154:155], v[142:143]
	s_delay_alu instid0(VALU_DEP_2) | instskip(NEXT) | instid1(VALU_DEP_2)
	v_fma_f64 v[152:153], v[154:155], v[140:141], -v[152:153]
	v_fma_f64 v[142:143], v[156:157], v[140:141], v[142:143]
	ds_load_2addr_b64 v[154:157], v204 offset0:6 offset1:7
	s_waitcnt lgkmcnt(0)
	v_mul_f64 v[140:141], v[156:157], v[142:143]
	s_delay_alu instid0(VALU_DEP_1) | instskip(SKIP_1) | instid1(VALU_DEP_2)
	v_fma_f64 v[140:141], v[154:155], v[152:153], -v[140:141]
	v_mul_f64 v[154:155], v[154:155], v[142:143]
	v_add_f64 v[136:137], v[136:137], -v[140:141]
	s_delay_alu instid0(VALU_DEP_2) | instskip(NEXT) | instid1(VALU_DEP_1)
	v_fma_f64 v[154:155], v[156:157], v[152:153], v[154:155]
	v_add_f64 v[138:139], v[138:139], -v[154:155]
	ds_load_2addr_b64 v[154:157], v204 offset0:8 offset1:9
	s_waitcnt lgkmcnt(0)
	v_mul_f64 v[140:141], v[156:157], v[142:143]
	s_delay_alu instid0(VALU_DEP_1) | instskip(SKIP_1) | instid1(VALU_DEP_2)
	v_fma_f64 v[140:141], v[154:155], v[152:153], -v[140:141]
	v_mul_f64 v[154:155], v[154:155], v[142:143]
	v_add_f64 v[132:133], v[132:133], -v[140:141]
	s_delay_alu instid0(VALU_DEP_2) | instskip(NEXT) | instid1(VALU_DEP_1)
	v_fma_f64 v[154:155], v[156:157], v[152:153], v[154:155]
	v_add_f64 v[134:135], v[134:135], -v[154:155]
	;; [unrolled: 10-line block ×34, first 2 shown]
	ds_load_2addr_b64 v[154:157], v204 offset0:74 offset1:75
	s_waitcnt lgkmcnt(0)
	v_mul_f64 v[140:141], v[156:157], v[142:143]
	s_delay_alu instid0(VALU_DEP_1) | instskip(SKIP_1) | instid1(VALU_DEP_2)
	v_fma_f64 v[140:141], v[154:155], v[152:153], -v[140:141]
	v_mul_f64 v[154:155], v[154:155], v[142:143]
	v_add_f64 v[0:1], v[0:1], -v[140:141]
	s_delay_alu instid0(VALU_DEP_2) | instskip(SKIP_1) | instid1(VALU_DEP_2)
	v_fma_f64 v[154:155], v[156:157], v[152:153], v[154:155]
	v_dual_mov_b32 v140, v152 :: v_dual_mov_b32 v141, v153
	v_add_f64 v[2:3], v[2:3], -v[154:155]
.LBB75_28:
	s_or_b32 exec_lo, exec_lo, s3
	s_delay_alu instid0(SALU_CYCLE_1)
	s_mov_b32 s4, exec_lo
	s_waitcnt_vscnt null, 0x0
	s_barrier
	buffer_gl0_inv
	v_cmpx_eq_u32_e32 3, v202
	s_cbranch_execz .LBB75_35
; %bb.29:
	ds_store_2addr_b64 v203, v[136:137], v[138:139] offset1:1
	ds_store_2addr_b64 v204, v[132:133], v[134:135] offset0:8 offset1:9
	ds_store_2addr_b64 v204, v[128:129], v[130:131] offset0:10 offset1:11
	ds_store_2addr_b64 v204, v[124:125], v[126:127] offset0:12 offset1:13
	ds_store_2addr_b64 v204, v[120:121], v[122:123] offset0:14 offset1:15
	ds_store_2addr_b64 v204, v[116:117], v[118:119] offset0:16 offset1:17
	ds_store_2addr_b64 v204, v[112:113], v[114:115] offset0:18 offset1:19
	ds_store_2addr_b64 v204, v[108:109], v[110:111] offset0:20 offset1:21
	ds_store_2addr_b64 v204, v[104:105], v[106:107] offset0:22 offset1:23
	ds_store_2addr_b64 v204, v[100:101], v[102:103] offset0:24 offset1:25
	ds_store_2addr_b64 v204, v[96:97], v[98:99] offset0:26 offset1:27
	ds_store_2addr_b64 v204, v[92:93], v[94:95] offset0:28 offset1:29
	ds_store_2addr_b64 v204, v[88:89], v[90:91] offset0:30 offset1:31
	ds_store_2addr_b64 v204, v[84:85], v[86:87] offset0:32 offset1:33
	ds_store_2addr_b64 v204, v[80:81], v[82:83] offset0:34 offset1:35
	ds_store_2addr_b64 v204, v[76:77], v[78:79] offset0:36 offset1:37
	ds_store_2addr_b64 v204, v[72:73], v[74:75] offset0:38 offset1:39
	ds_store_2addr_b64 v204, v[68:69], v[70:71] offset0:40 offset1:41
	ds_store_2addr_b64 v204, v[64:65], v[66:67] offset0:42 offset1:43
	ds_store_2addr_b64 v204, v[60:61], v[62:63] offset0:44 offset1:45
	ds_store_2addr_b64 v204, v[56:57], v[58:59] offset0:46 offset1:47
	ds_store_2addr_b64 v204, v[52:53], v[54:55] offset0:48 offset1:49
	ds_store_2addr_b64 v204, v[48:49], v[50:51] offset0:50 offset1:51
	ds_store_2addr_b64 v204, v[44:45], v[46:47] offset0:52 offset1:53
	ds_store_2addr_b64 v204, v[40:41], v[42:43] offset0:54 offset1:55
	ds_store_2addr_b64 v204, v[36:37], v[38:39] offset0:56 offset1:57
	ds_store_2addr_b64 v204, v[32:33], v[34:35] offset0:58 offset1:59
	ds_store_2addr_b64 v204, v[28:29], v[30:31] offset0:60 offset1:61
	ds_store_2addr_b64 v204, v[24:25], v[26:27] offset0:62 offset1:63
	ds_store_2addr_b64 v204, v[20:21], v[22:23] offset0:64 offset1:65
	ds_store_2addr_b64 v204, v[16:17], v[18:19] offset0:66 offset1:67
	ds_store_2addr_b64 v204, v[12:13], v[14:15] offset0:68 offset1:69
	ds_store_2addr_b64 v204, v[8:9], v[10:11] offset0:70 offset1:71
	ds_store_2addr_b64 v204, v[4:5], v[6:7] offset0:72 offset1:73
	ds_store_2addr_b64 v204, v[0:1], v[2:3] offset0:74 offset1:75
	ds_load_2addr_b64 v[152:155], v203 offset1:1
	s_waitcnt lgkmcnt(0)
	v_cmp_neq_f64_e32 vcc_lo, 0, v[152:153]
	v_cmp_neq_f64_e64 s3, 0, v[154:155]
	s_delay_alu instid0(VALU_DEP_1) | instskip(NEXT) | instid1(SALU_CYCLE_1)
	s_or_b32 s3, vcc_lo, s3
	s_and_b32 exec_lo, exec_lo, s3
	s_cbranch_execz .LBB75_35
; %bb.30:
	v_cmp_gt_f64_e32 vcc_lo, 0, v[152:153]
	v_cmp_gt_f64_e64 s3, 0, v[154:155]
	v_xor_b32_e32 v156, 0x80000000, v153
	v_xor_b32_e32 v158, 0x80000000, v155
                                        ; implicit-def: $vgpr160_vgpr161
	s_delay_alu instid0(VALU_DEP_2) | instskip(NEXT) | instid1(VALU_DEP_2)
	v_cndmask_b32_e32 v157, v153, v156, vcc_lo
	v_cndmask_b32_e64 v159, v155, v158, s3
	v_cndmask_b32_e32 v156, v152, v152, vcc_lo
	v_cndmask_b32_e64 v158, v154, v154, s3
	s_mov_b32 s3, exec_lo
	s_delay_alu instid0(VALU_DEP_1)
	v_cmpx_ngt_f64_e32 v[156:157], v[158:159]
	s_xor_b32 s3, exec_lo, s3
                                        ; implicit-def: $vgpr156_vgpr157_vgpr158_vgpr159
	s_cbranch_execz .LBB75_32
; %bb.31:
	v_div_scale_f64 v[156:157], null, v[154:155], v[154:155], v[152:153]
	v_div_scale_f64 v[162:163], vcc_lo, v[152:153], v[154:155], v[152:153]
	s_delay_alu instid0(VALU_DEP_2) | instskip(SKIP_2) | instid1(VALU_DEP_1)
	v_rcp_f64_e32 v[158:159], v[156:157]
	s_waitcnt_depctr 0xfff
	v_fma_f64 v[160:161], -v[156:157], v[158:159], 1.0
	v_fma_f64 v[158:159], v[158:159], v[160:161], v[158:159]
	s_delay_alu instid0(VALU_DEP_1) | instskip(NEXT) | instid1(VALU_DEP_1)
	v_fma_f64 v[160:161], -v[156:157], v[158:159], 1.0
	v_fma_f64 v[158:159], v[158:159], v[160:161], v[158:159]
	s_delay_alu instid0(VALU_DEP_1) | instskip(NEXT) | instid1(VALU_DEP_1)
	v_mul_f64 v[160:161], v[162:163], v[158:159]
	v_fma_f64 v[156:157], -v[156:157], v[160:161], v[162:163]
	s_delay_alu instid0(VALU_DEP_1) | instskip(NEXT) | instid1(VALU_DEP_1)
	v_div_fmas_f64 v[156:157], v[156:157], v[158:159], v[160:161]
	v_div_fixup_f64 v[156:157], v[156:157], v[154:155], v[152:153]
	s_delay_alu instid0(VALU_DEP_1) | instskip(NEXT) | instid1(VALU_DEP_1)
	v_fma_f64 v[152:153], v[152:153], v[156:157], v[154:155]
	v_div_scale_f64 v[154:155], null, v[152:153], v[152:153], 1.0
	s_delay_alu instid0(VALU_DEP_1) | instskip(SKIP_2) | instid1(VALU_DEP_1)
	v_rcp_f64_e32 v[158:159], v[154:155]
	s_waitcnt_depctr 0xfff
	v_fma_f64 v[160:161], -v[154:155], v[158:159], 1.0
	v_fma_f64 v[158:159], v[158:159], v[160:161], v[158:159]
	s_delay_alu instid0(VALU_DEP_1) | instskip(NEXT) | instid1(VALU_DEP_1)
	v_fma_f64 v[160:161], -v[154:155], v[158:159], 1.0
	v_fma_f64 v[158:159], v[158:159], v[160:161], v[158:159]
	v_div_scale_f64 v[160:161], vcc_lo, 1.0, v[152:153], 1.0
	s_delay_alu instid0(VALU_DEP_1) | instskip(NEXT) | instid1(VALU_DEP_1)
	v_mul_f64 v[162:163], v[160:161], v[158:159]
	v_fma_f64 v[154:155], -v[154:155], v[162:163], v[160:161]
	s_delay_alu instid0(VALU_DEP_1) | instskip(NEXT) | instid1(VALU_DEP_1)
	v_div_fmas_f64 v[154:155], v[154:155], v[158:159], v[162:163]
	v_div_fixup_f64 v[158:159], v[154:155], v[152:153], 1.0
                                        ; implicit-def: $vgpr152_vgpr153
	s_delay_alu instid0(VALU_DEP_1)
	v_mul_f64 v[160:161], v[156:157], v[158:159]
	v_xor_b32_e32 v159, 0x80000000, v159
.LBB75_32:
	s_and_not1_saveexec_b32 s3, s3
	s_cbranch_execz .LBB75_34
; %bb.33:
	v_div_scale_f64 v[156:157], null, v[152:153], v[152:153], v[154:155]
	v_div_scale_f64 v[162:163], vcc_lo, v[154:155], v[152:153], v[154:155]
	s_delay_alu instid0(VALU_DEP_2) | instskip(SKIP_2) | instid1(VALU_DEP_1)
	v_rcp_f64_e32 v[158:159], v[156:157]
	s_waitcnt_depctr 0xfff
	v_fma_f64 v[160:161], -v[156:157], v[158:159], 1.0
	v_fma_f64 v[158:159], v[158:159], v[160:161], v[158:159]
	s_delay_alu instid0(VALU_DEP_1) | instskip(NEXT) | instid1(VALU_DEP_1)
	v_fma_f64 v[160:161], -v[156:157], v[158:159], 1.0
	v_fma_f64 v[158:159], v[158:159], v[160:161], v[158:159]
	s_delay_alu instid0(VALU_DEP_1) | instskip(NEXT) | instid1(VALU_DEP_1)
	v_mul_f64 v[160:161], v[162:163], v[158:159]
	v_fma_f64 v[156:157], -v[156:157], v[160:161], v[162:163]
	s_delay_alu instid0(VALU_DEP_1) | instskip(NEXT) | instid1(VALU_DEP_1)
	v_div_fmas_f64 v[156:157], v[156:157], v[158:159], v[160:161]
	v_div_fixup_f64 v[156:157], v[156:157], v[152:153], v[154:155]
	s_delay_alu instid0(VALU_DEP_1) | instskip(NEXT) | instid1(VALU_DEP_1)
	v_fma_f64 v[152:153], v[154:155], v[156:157], v[152:153]
	v_div_scale_f64 v[154:155], null, v[152:153], v[152:153], 1.0
	s_delay_alu instid0(VALU_DEP_1) | instskip(SKIP_2) | instid1(VALU_DEP_1)
	v_rcp_f64_e32 v[158:159], v[154:155]
	s_waitcnt_depctr 0xfff
	v_fma_f64 v[160:161], -v[154:155], v[158:159], 1.0
	v_fma_f64 v[158:159], v[158:159], v[160:161], v[158:159]
	s_delay_alu instid0(VALU_DEP_1) | instskip(NEXT) | instid1(VALU_DEP_1)
	v_fma_f64 v[160:161], -v[154:155], v[158:159], 1.0
	v_fma_f64 v[158:159], v[158:159], v[160:161], v[158:159]
	v_div_scale_f64 v[160:161], vcc_lo, 1.0, v[152:153], 1.0
	s_delay_alu instid0(VALU_DEP_1) | instskip(NEXT) | instid1(VALU_DEP_1)
	v_mul_f64 v[162:163], v[160:161], v[158:159]
	v_fma_f64 v[154:155], -v[154:155], v[162:163], v[160:161]
	s_delay_alu instid0(VALU_DEP_1) | instskip(NEXT) | instid1(VALU_DEP_1)
	v_div_fmas_f64 v[154:155], v[154:155], v[158:159], v[162:163]
	v_div_fixup_f64 v[160:161], v[154:155], v[152:153], 1.0
	s_delay_alu instid0(VALU_DEP_1)
	v_mul_f64 v[158:159], v[156:157], -v[160:161]
.LBB75_34:
	s_or_b32 exec_lo, exec_lo, s3
	ds_store_2addr_b64 v203, v[160:161], v[158:159] offset1:1
.LBB75_35:
	s_or_b32 exec_lo, exec_lo, s4
	s_waitcnt lgkmcnt(0)
	s_barrier
	buffer_gl0_inv
	ds_load_2addr_b64 v[152:155], v203 offset1:1
	s_mov_b32 s3, exec_lo
	s_waitcnt lgkmcnt(0)
	scratch_store_b128 off, v[152:155], off offset:160 ; 16-byte Folded Spill
	v_cmpx_lt_u32_e32 3, v202
	s_cbranch_execz .LBB75_37
; %bb.36:
	scratch_load_b128 v[154:157], off, off offset:160 ; 16-byte Folded Reload
	s_waitcnt vmcnt(0)
	v_mul_f64 v[152:153], v[156:157], v[138:139]
	v_mul_f64 v[138:139], v[154:155], v[138:139]
	s_delay_alu instid0(VALU_DEP_2) | instskip(NEXT) | instid1(VALU_DEP_2)
	v_fma_f64 v[152:153], v[154:155], v[136:137], -v[152:153]
	v_fma_f64 v[138:139], v[156:157], v[136:137], v[138:139]
	ds_load_2addr_b64 v[154:157], v204 offset0:8 offset1:9
	s_waitcnt lgkmcnt(0)
	v_mul_f64 v[136:137], v[156:157], v[138:139]
	s_delay_alu instid0(VALU_DEP_1) | instskip(SKIP_1) | instid1(VALU_DEP_2)
	v_fma_f64 v[136:137], v[154:155], v[152:153], -v[136:137]
	v_mul_f64 v[154:155], v[154:155], v[138:139]
	v_add_f64 v[132:133], v[132:133], -v[136:137]
	s_delay_alu instid0(VALU_DEP_2) | instskip(NEXT) | instid1(VALU_DEP_1)
	v_fma_f64 v[154:155], v[156:157], v[152:153], v[154:155]
	v_add_f64 v[134:135], v[134:135], -v[154:155]
	ds_load_2addr_b64 v[154:157], v204 offset0:10 offset1:11
	s_waitcnt lgkmcnt(0)
	v_mul_f64 v[136:137], v[156:157], v[138:139]
	s_delay_alu instid0(VALU_DEP_1) | instskip(SKIP_1) | instid1(VALU_DEP_2)
	v_fma_f64 v[136:137], v[154:155], v[152:153], -v[136:137]
	v_mul_f64 v[154:155], v[154:155], v[138:139]
	v_add_f64 v[128:129], v[128:129], -v[136:137]
	s_delay_alu instid0(VALU_DEP_2) | instskip(NEXT) | instid1(VALU_DEP_1)
	v_fma_f64 v[154:155], v[156:157], v[152:153], v[154:155]
	v_add_f64 v[130:131], v[130:131], -v[154:155]
	;; [unrolled: 10-line block ×33, first 2 shown]
	ds_load_2addr_b64 v[154:157], v204 offset0:74 offset1:75
	s_waitcnt lgkmcnt(0)
	v_mul_f64 v[136:137], v[156:157], v[138:139]
	s_delay_alu instid0(VALU_DEP_1) | instskip(SKIP_1) | instid1(VALU_DEP_2)
	v_fma_f64 v[136:137], v[154:155], v[152:153], -v[136:137]
	v_mul_f64 v[154:155], v[154:155], v[138:139]
	v_add_f64 v[0:1], v[0:1], -v[136:137]
	s_delay_alu instid0(VALU_DEP_2) | instskip(SKIP_1) | instid1(VALU_DEP_2)
	v_fma_f64 v[154:155], v[156:157], v[152:153], v[154:155]
	v_dual_mov_b32 v136, v152 :: v_dual_mov_b32 v137, v153
	v_add_f64 v[2:3], v[2:3], -v[154:155]
.LBB75_37:
	s_or_b32 exec_lo, exec_lo, s3
	s_delay_alu instid0(SALU_CYCLE_1)
	s_mov_b32 s4, exec_lo
	s_waitcnt_vscnt null, 0x0
	s_barrier
	buffer_gl0_inv
	v_cmpx_eq_u32_e32 4, v202
	s_cbranch_execz .LBB75_44
; %bb.38:
	ds_store_2addr_b64 v203, v[132:133], v[134:135] offset1:1
	ds_store_2addr_b64 v204, v[128:129], v[130:131] offset0:10 offset1:11
	ds_store_2addr_b64 v204, v[124:125], v[126:127] offset0:12 offset1:13
	;; [unrolled: 1-line block ×33, first 2 shown]
	ds_load_2addr_b64 v[152:155], v203 offset1:1
	s_waitcnt lgkmcnt(0)
	v_cmp_neq_f64_e32 vcc_lo, 0, v[152:153]
	v_cmp_neq_f64_e64 s3, 0, v[154:155]
	s_delay_alu instid0(VALU_DEP_1) | instskip(NEXT) | instid1(SALU_CYCLE_1)
	s_or_b32 s3, vcc_lo, s3
	s_and_b32 exec_lo, exec_lo, s3
	s_cbranch_execz .LBB75_44
; %bb.39:
	v_cmp_gt_f64_e32 vcc_lo, 0, v[152:153]
	v_xor_b32_e32 v156, 0x80000000, v153
	v_xor_b32_e32 v158, 0x80000000, v155
	s_mov_b32 s3, exec_lo
                                        ; implicit-def: $vgpr160_vgpr161
	s_delay_alu instid0(VALU_DEP_2) | instskip(SKIP_4) | instid1(VALU_DEP_1)
	v_cndmask_b32_e32 v157, v153, v156, vcc_lo
	v_cndmask_b32_e32 v156, v152, v152, vcc_lo
	v_cmp_gt_f64_e32 vcc_lo, 0, v[154:155]
	v_cndmask_b32_e32 v159, v155, v158, vcc_lo
	v_cndmask_b32_e32 v158, v154, v154, vcc_lo
	v_cmpx_ngt_f64_e32 v[156:157], v[158:159]
	s_xor_b32 s3, exec_lo, s3
                                        ; implicit-def: $vgpr156_vgpr157_vgpr158_vgpr159
	s_cbranch_execz .LBB75_41
; %bb.40:
	v_div_scale_f64 v[156:157], null, v[154:155], v[154:155], v[152:153]
	v_div_scale_f64 v[162:163], vcc_lo, v[152:153], v[154:155], v[152:153]
	s_delay_alu instid0(VALU_DEP_2) | instskip(SKIP_2) | instid1(VALU_DEP_1)
	v_rcp_f64_e32 v[158:159], v[156:157]
	s_waitcnt_depctr 0xfff
	v_fma_f64 v[160:161], -v[156:157], v[158:159], 1.0
	v_fma_f64 v[158:159], v[158:159], v[160:161], v[158:159]
	s_delay_alu instid0(VALU_DEP_1) | instskip(NEXT) | instid1(VALU_DEP_1)
	v_fma_f64 v[160:161], -v[156:157], v[158:159], 1.0
	v_fma_f64 v[158:159], v[158:159], v[160:161], v[158:159]
	s_delay_alu instid0(VALU_DEP_1) | instskip(NEXT) | instid1(VALU_DEP_1)
	v_mul_f64 v[160:161], v[162:163], v[158:159]
	v_fma_f64 v[156:157], -v[156:157], v[160:161], v[162:163]
	s_delay_alu instid0(VALU_DEP_1) | instskip(NEXT) | instid1(VALU_DEP_1)
	v_div_fmas_f64 v[156:157], v[156:157], v[158:159], v[160:161]
	v_div_fixup_f64 v[156:157], v[156:157], v[154:155], v[152:153]
	s_delay_alu instid0(VALU_DEP_1) | instskip(NEXT) | instid1(VALU_DEP_1)
	v_fma_f64 v[152:153], v[152:153], v[156:157], v[154:155]
	v_div_scale_f64 v[154:155], null, v[152:153], v[152:153], 1.0
	s_delay_alu instid0(VALU_DEP_1) | instskip(SKIP_2) | instid1(VALU_DEP_1)
	v_rcp_f64_e32 v[158:159], v[154:155]
	s_waitcnt_depctr 0xfff
	v_fma_f64 v[160:161], -v[154:155], v[158:159], 1.0
	v_fma_f64 v[158:159], v[158:159], v[160:161], v[158:159]
	s_delay_alu instid0(VALU_DEP_1) | instskip(NEXT) | instid1(VALU_DEP_1)
	v_fma_f64 v[160:161], -v[154:155], v[158:159], 1.0
	v_fma_f64 v[158:159], v[158:159], v[160:161], v[158:159]
	v_div_scale_f64 v[160:161], vcc_lo, 1.0, v[152:153], 1.0
	s_delay_alu instid0(VALU_DEP_1) | instskip(NEXT) | instid1(VALU_DEP_1)
	v_mul_f64 v[162:163], v[160:161], v[158:159]
	v_fma_f64 v[154:155], -v[154:155], v[162:163], v[160:161]
	s_delay_alu instid0(VALU_DEP_1) | instskip(NEXT) | instid1(VALU_DEP_1)
	v_div_fmas_f64 v[154:155], v[154:155], v[158:159], v[162:163]
	v_div_fixup_f64 v[158:159], v[154:155], v[152:153], 1.0
                                        ; implicit-def: $vgpr152_vgpr153
	s_delay_alu instid0(VALU_DEP_1)
	v_mul_f64 v[160:161], v[156:157], v[158:159]
	v_xor_b32_e32 v159, 0x80000000, v159
.LBB75_41:
	s_and_not1_saveexec_b32 s3, s3
	s_cbranch_execz .LBB75_43
; %bb.42:
	v_div_scale_f64 v[156:157], null, v[152:153], v[152:153], v[154:155]
	v_div_scale_f64 v[162:163], vcc_lo, v[154:155], v[152:153], v[154:155]
	s_delay_alu instid0(VALU_DEP_2) | instskip(SKIP_2) | instid1(VALU_DEP_1)
	v_rcp_f64_e32 v[158:159], v[156:157]
	s_waitcnt_depctr 0xfff
	v_fma_f64 v[160:161], -v[156:157], v[158:159], 1.0
	v_fma_f64 v[158:159], v[158:159], v[160:161], v[158:159]
	s_delay_alu instid0(VALU_DEP_1) | instskip(NEXT) | instid1(VALU_DEP_1)
	v_fma_f64 v[160:161], -v[156:157], v[158:159], 1.0
	v_fma_f64 v[158:159], v[158:159], v[160:161], v[158:159]
	s_delay_alu instid0(VALU_DEP_1) | instskip(NEXT) | instid1(VALU_DEP_1)
	v_mul_f64 v[160:161], v[162:163], v[158:159]
	v_fma_f64 v[156:157], -v[156:157], v[160:161], v[162:163]
	s_delay_alu instid0(VALU_DEP_1) | instskip(NEXT) | instid1(VALU_DEP_1)
	v_div_fmas_f64 v[156:157], v[156:157], v[158:159], v[160:161]
	v_div_fixup_f64 v[156:157], v[156:157], v[152:153], v[154:155]
	s_delay_alu instid0(VALU_DEP_1) | instskip(NEXT) | instid1(VALU_DEP_1)
	v_fma_f64 v[152:153], v[154:155], v[156:157], v[152:153]
	v_div_scale_f64 v[154:155], null, v[152:153], v[152:153], 1.0
	s_delay_alu instid0(VALU_DEP_1) | instskip(SKIP_2) | instid1(VALU_DEP_1)
	v_rcp_f64_e32 v[158:159], v[154:155]
	s_waitcnt_depctr 0xfff
	v_fma_f64 v[160:161], -v[154:155], v[158:159], 1.0
	v_fma_f64 v[158:159], v[158:159], v[160:161], v[158:159]
	s_delay_alu instid0(VALU_DEP_1) | instskip(NEXT) | instid1(VALU_DEP_1)
	v_fma_f64 v[160:161], -v[154:155], v[158:159], 1.0
	v_fma_f64 v[158:159], v[158:159], v[160:161], v[158:159]
	v_div_scale_f64 v[160:161], vcc_lo, 1.0, v[152:153], 1.0
	s_delay_alu instid0(VALU_DEP_1) | instskip(NEXT) | instid1(VALU_DEP_1)
	v_mul_f64 v[162:163], v[160:161], v[158:159]
	v_fma_f64 v[154:155], -v[154:155], v[162:163], v[160:161]
	s_delay_alu instid0(VALU_DEP_1) | instskip(NEXT) | instid1(VALU_DEP_1)
	v_div_fmas_f64 v[154:155], v[154:155], v[158:159], v[162:163]
	v_div_fixup_f64 v[160:161], v[154:155], v[152:153], 1.0
	s_delay_alu instid0(VALU_DEP_1)
	v_mul_f64 v[158:159], v[156:157], -v[160:161]
.LBB75_43:
	s_or_b32 exec_lo, exec_lo, s3
	ds_store_2addr_b64 v203, v[160:161], v[158:159] offset1:1
.LBB75_44:
	s_or_b32 exec_lo, exec_lo, s4
	s_waitcnt lgkmcnt(0)
	s_barrier
	buffer_gl0_inv
	ds_load_2addr_b64 v[152:155], v203 offset1:1
	s_mov_b32 s3, exec_lo
	s_waitcnt lgkmcnt(0)
	scratch_store_b128 off, v[152:155], off offset:176 ; 16-byte Folded Spill
	v_cmpx_lt_u32_e32 4, v202
	s_cbranch_execz .LBB75_46
; %bb.45:
	scratch_load_b128 v[154:157], off, off offset:176 ; 16-byte Folded Reload
	s_waitcnt vmcnt(0)
	v_mul_f64 v[152:153], v[156:157], v[134:135]
	v_mul_f64 v[134:135], v[154:155], v[134:135]
	s_delay_alu instid0(VALU_DEP_2) | instskip(NEXT) | instid1(VALU_DEP_2)
	v_fma_f64 v[152:153], v[154:155], v[132:133], -v[152:153]
	v_fma_f64 v[134:135], v[156:157], v[132:133], v[134:135]
	ds_load_2addr_b64 v[154:157], v204 offset0:10 offset1:11
	s_waitcnt lgkmcnt(0)
	v_mul_f64 v[132:133], v[156:157], v[134:135]
	s_delay_alu instid0(VALU_DEP_1) | instskip(SKIP_1) | instid1(VALU_DEP_2)
	v_fma_f64 v[132:133], v[154:155], v[152:153], -v[132:133]
	v_mul_f64 v[154:155], v[154:155], v[134:135]
	v_add_f64 v[128:129], v[128:129], -v[132:133]
	s_delay_alu instid0(VALU_DEP_2) | instskip(NEXT) | instid1(VALU_DEP_1)
	v_fma_f64 v[154:155], v[156:157], v[152:153], v[154:155]
	v_add_f64 v[130:131], v[130:131], -v[154:155]
	ds_load_2addr_b64 v[154:157], v204 offset0:12 offset1:13
	s_waitcnt lgkmcnt(0)
	v_mul_f64 v[132:133], v[156:157], v[134:135]
	s_delay_alu instid0(VALU_DEP_1) | instskip(SKIP_1) | instid1(VALU_DEP_2)
	v_fma_f64 v[132:133], v[154:155], v[152:153], -v[132:133]
	v_mul_f64 v[154:155], v[154:155], v[134:135]
	v_add_f64 v[124:125], v[124:125], -v[132:133]
	s_delay_alu instid0(VALU_DEP_2) | instskip(NEXT) | instid1(VALU_DEP_1)
	v_fma_f64 v[154:155], v[156:157], v[152:153], v[154:155]
	v_add_f64 v[126:127], v[126:127], -v[154:155]
	;; [unrolled: 10-line block ×32, first 2 shown]
	ds_load_2addr_b64 v[154:157], v204 offset0:74 offset1:75
	s_waitcnt lgkmcnt(0)
	v_mul_f64 v[132:133], v[156:157], v[134:135]
	s_delay_alu instid0(VALU_DEP_1) | instskip(SKIP_1) | instid1(VALU_DEP_2)
	v_fma_f64 v[132:133], v[154:155], v[152:153], -v[132:133]
	v_mul_f64 v[154:155], v[154:155], v[134:135]
	v_add_f64 v[0:1], v[0:1], -v[132:133]
	s_delay_alu instid0(VALU_DEP_2) | instskip(SKIP_1) | instid1(VALU_DEP_2)
	v_fma_f64 v[154:155], v[156:157], v[152:153], v[154:155]
	v_dual_mov_b32 v132, v152 :: v_dual_mov_b32 v133, v153
	v_add_f64 v[2:3], v[2:3], -v[154:155]
.LBB75_46:
	s_or_b32 exec_lo, exec_lo, s3
	s_delay_alu instid0(SALU_CYCLE_1)
	s_mov_b32 s4, exec_lo
	s_waitcnt_vscnt null, 0x0
	s_barrier
	buffer_gl0_inv
	v_cmpx_eq_u32_e32 5, v202
	s_cbranch_execz .LBB75_53
; %bb.47:
	ds_store_2addr_b64 v203, v[128:129], v[130:131] offset1:1
	ds_store_2addr_b64 v204, v[124:125], v[126:127] offset0:12 offset1:13
	ds_store_2addr_b64 v204, v[120:121], v[122:123] offset0:14 offset1:15
	;; [unrolled: 1-line block ×32, first 2 shown]
	ds_load_2addr_b64 v[152:155], v203 offset1:1
	s_waitcnt lgkmcnt(0)
	v_cmp_neq_f64_e32 vcc_lo, 0, v[152:153]
	v_cmp_neq_f64_e64 s3, 0, v[154:155]
	s_delay_alu instid0(VALU_DEP_1) | instskip(NEXT) | instid1(SALU_CYCLE_1)
	s_or_b32 s3, vcc_lo, s3
	s_and_b32 exec_lo, exec_lo, s3
	s_cbranch_execz .LBB75_53
; %bb.48:
	v_cmp_gt_f64_e32 vcc_lo, 0, v[152:153]
	v_xor_b32_e32 v156, 0x80000000, v153
	v_xor_b32_e32 v158, 0x80000000, v155
	s_mov_b32 s3, exec_lo
                                        ; implicit-def: $vgpr160_vgpr161
	s_delay_alu instid0(VALU_DEP_2) | instskip(SKIP_4) | instid1(VALU_DEP_1)
	v_cndmask_b32_e32 v157, v153, v156, vcc_lo
	v_cndmask_b32_e32 v156, v152, v152, vcc_lo
	v_cmp_gt_f64_e32 vcc_lo, 0, v[154:155]
	v_cndmask_b32_e32 v159, v155, v158, vcc_lo
	v_cndmask_b32_e32 v158, v154, v154, vcc_lo
	v_cmpx_ngt_f64_e32 v[156:157], v[158:159]
	s_xor_b32 s3, exec_lo, s3
                                        ; implicit-def: $vgpr156_vgpr157_vgpr158_vgpr159
	s_cbranch_execz .LBB75_50
; %bb.49:
	v_div_scale_f64 v[156:157], null, v[154:155], v[154:155], v[152:153]
	v_div_scale_f64 v[162:163], vcc_lo, v[152:153], v[154:155], v[152:153]
	s_delay_alu instid0(VALU_DEP_2) | instskip(SKIP_2) | instid1(VALU_DEP_1)
	v_rcp_f64_e32 v[158:159], v[156:157]
	s_waitcnt_depctr 0xfff
	v_fma_f64 v[160:161], -v[156:157], v[158:159], 1.0
	v_fma_f64 v[158:159], v[158:159], v[160:161], v[158:159]
	s_delay_alu instid0(VALU_DEP_1) | instskip(NEXT) | instid1(VALU_DEP_1)
	v_fma_f64 v[160:161], -v[156:157], v[158:159], 1.0
	v_fma_f64 v[158:159], v[158:159], v[160:161], v[158:159]
	s_delay_alu instid0(VALU_DEP_1) | instskip(NEXT) | instid1(VALU_DEP_1)
	v_mul_f64 v[160:161], v[162:163], v[158:159]
	v_fma_f64 v[156:157], -v[156:157], v[160:161], v[162:163]
	s_delay_alu instid0(VALU_DEP_1) | instskip(NEXT) | instid1(VALU_DEP_1)
	v_div_fmas_f64 v[156:157], v[156:157], v[158:159], v[160:161]
	v_div_fixup_f64 v[156:157], v[156:157], v[154:155], v[152:153]
	s_delay_alu instid0(VALU_DEP_1) | instskip(NEXT) | instid1(VALU_DEP_1)
	v_fma_f64 v[152:153], v[152:153], v[156:157], v[154:155]
	v_div_scale_f64 v[154:155], null, v[152:153], v[152:153], 1.0
	s_delay_alu instid0(VALU_DEP_1) | instskip(SKIP_2) | instid1(VALU_DEP_1)
	v_rcp_f64_e32 v[158:159], v[154:155]
	s_waitcnt_depctr 0xfff
	v_fma_f64 v[160:161], -v[154:155], v[158:159], 1.0
	v_fma_f64 v[158:159], v[158:159], v[160:161], v[158:159]
	s_delay_alu instid0(VALU_DEP_1) | instskip(NEXT) | instid1(VALU_DEP_1)
	v_fma_f64 v[160:161], -v[154:155], v[158:159], 1.0
	v_fma_f64 v[158:159], v[158:159], v[160:161], v[158:159]
	v_div_scale_f64 v[160:161], vcc_lo, 1.0, v[152:153], 1.0
	s_delay_alu instid0(VALU_DEP_1) | instskip(NEXT) | instid1(VALU_DEP_1)
	v_mul_f64 v[162:163], v[160:161], v[158:159]
	v_fma_f64 v[154:155], -v[154:155], v[162:163], v[160:161]
	s_delay_alu instid0(VALU_DEP_1) | instskip(NEXT) | instid1(VALU_DEP_1)
	v_div_fmas_f64 v[154:155], v[154:155], v[158:159], v[162:163]
	v_div_fixup_f64 v[158:159], v[154:155], v[152:153], 1.0
                                        ; implicit-def: $vgpr152_vgpr153
	s_delay_alu instid0(VALU_DEP_1)
	v_mul_f64 v[160:161], v[156:157], v[158:159]
	v_xor_b32_e32 v159, 0x80000000, v159
.LBB75_50:
	s_and_not1_saveexec_b32 s3, s3
	s_cbranch_execz .LBB75_52
; %bb.51:
	v_div_scale_f64 v[156:157], null, v[152:153], v[152:153], v[154:155]
	v_div_scale_f64 v[162:163], vcc_lo, v[154:155], v[152:153], v[154:155]
	s_delay_alu instid0(VALU_DEP_2) | instskip(SKIP_2) | instid1(VALU_DEP_1)
	v_rcp_f64_e32 v[158:159], v[156:157]
	s_waitcnt_depctr 0xfff
	v_fma_f64 v[160:161], -v[156:157], v[158:159], 1.0
	v_fma_f64 v[158:159], v[158:159], v[160:161], v[158:159]
	s_delay_alu instid0(VALU_DEP_1) | instskip(NEXT) | instid1(VALU_DEP_1)
	v_fma_f64 v[160:161], -v[156:157], v[158:159], 1.0
	v_fma_f64 v[158:159], v[158:159], v[160:161], v[158:159]
	s_delay_alu instid0(VALU_DEP_1) | instskip(NEXT) | instid1(VALU_DEP_1)
	v_mul_f64 v[160:161], v[162:163], v[158:159]
	v_fma_f64 v[156:157], -v[156:157], v[160:161], v[162:163]
	s_delay_alu instid0(VALU_DEP_1) | instskip(NEXT) | instid1(VALU_DEP_1)
	v_div_fmas_f64 v[156:157], v[156:157], v[158:159], v[160:161]
	v_div_fixup_f64 v[156:157], v[156:157], v[152:153], v[154:155]
	s_delay_alu instid0(VALU_DEP_1) | instskip(NEXT) | instid1(VALU_DEP_1)
	v_fma_f64 v[152:153], v[154:155], v[156:157], v[152:153]
	v_div_scale_f64 v[154:155], null, v[152:153], v[152:153], 1.0
	s_delay_alu instid0(VALU_DEP_1) | instskip(SKIP_2) | instid1(VALU_DEP_1)
	v_rcp_f64_e32 v[158:159], v[154:155]
	s_waitcnt_depctr 0xfff
	v_fma_f64 v[160:161], -v[154:155], v[158:159], 1.0
	v_fma_f64 v[158:159], v[158:159], v[160:161], v[158:159]
	s_delay_alu instid0(VALU_DEP_1) | instskip(NEXT) | instid1(VALU_DEP_1)
	v_fma_f64 v[160:161], -v[154:155], v[158:159], 1.0
	v_fma_f64 v[158:159], v[158:159], v[160:161], v[158:159]
	v_div_scale_f64 v[160:161], vcc_lo, 1.0, v[152:153], 1.0
	s_delay_alu instid0(VALU_DEP_1) | instskip(NEXT) | instid1(VALU_DEP_1)
	v_mul_f64 v[162:163], v[160:161], v[158:159]
	v_fma_f64 v[154:155], -v[154:155], v[162:163], v[160:161]
	s_delay_alu instid0(VALU_DEP_1) | instskip(NEXT) | instid1(VALU_DEP_1)
	v_div_fmas_f64 v[154:155], v[154:155], v[158:159], v[162:163]
	v_div_fixup_f64 v[160:161], v[154:155], v[152:153], 1.0
	s_delay_alu instid0(VALU_DEP_1)
	v_mul_f64 v[158:159], v[156:157], -v[160:161]
.LBB75_52:
	s_or_b32 exec_lo, exec_lo, s3
	ds_store_2addr_b64 v203, v[160:161], v[158:159] offset1:1
.LBB75_53:
	s_or_b32 exec_lo, exec_lo, s4
	s_waitcnt lgkmcnt(0)
	s_barrier
	buffer_gl0_inv
	ds_load_2addr_b64 v[152:155], v203 offset1:1
	s_mov_b32 s3, exec_lo
	s_waitcnt lgkmcnt(0)
	scratch_store_b128 off, v[152:155], off offset:192 ; 16-byte Folded Spill
	v_cmpx_lt_u32_e32 5, v202
	s_cbranch_execz .LBB75_55
; %bb.54:
	scratch_load_b128 v[154:157], off, off offset:192 ; 16-byte Folded Reload
	s_waitcnt vmcnt(0)
	v_mul_f64 v[152:153], v[156:157], v[130:131]
	v_mul_f64 v[130:131], v[154:155], v[130:131]
	s_delay_alu instid0(VALU_DEP_2) | instskip(NEXT) | instid1(VALU_DEP_2)
	v_fma_f64 v[152:153], v[154:155], v[128:129], -v[152:153]
	v_fma_f64 v[130:131], v[156:157], v[128:129], v[130:131]
	ds_load_2addr_b64 v[154:157], v204 offset0:12 offset1:13
	s_waitcnt lgkmcnt(0)
	v_mul_f64 v[128:129], v[156:157], v[130:131]
	s_delay_alu instid0(VALU_DEP_1) | instskip(SKIP_1) | instid1(VALU_DEP_2)
	v_fma_f64 v[128:129], v[154:155], v[152:153], -v[128:129]
	v_mul_f64 v[154:155], v[154:155], v[130:131]
	v_add_f64 v[124:125], v[124:125], -v[128:129]
	s_delay_alu instid0(VALU_DEP_2) | instskip(NEXT) | instid1(VALU_DEP_1)
	v_fma_f64 v[154:155], v[156:157], v[152:153], v[154:155]
	v_add_f64 v[126:127], v[126:127], -v[154:155]
	ds_load_2addr_b64 v[154:157], v204 offset0:14 offset1:15
	s_waitcnt lgkmcnt(0)
	v_mul_f64 v[128:129], v[156:157], v[130:131]
	s_delay_alu instid0(VALU_DEP_1) | instskip(SKIP_1) | instid1(VALU_DEP_2)
	v_fma_f64 v[128:129], v[154:155], v[152:153], -v[128:129]
	v_mul_f64 v[154:155], v[154:155], v[130:131]
	v_add_f64 v[120:121], v[120:121], -v[128:129]
	s_delay_alu instid0(VALU_DEP_2) | instskip(NEXT) | instid1(VALU_DEP_1)
	v_fma_f64 v[154:155], v[156:157], v[152:153], v[154:155]
	v_add_f64 v[122:123], v[122:123], -v[154:155]
	;; [unrolled: 10-line block ×31, first 2 shown]
	ds_load_2addr_b64 v[154:157], v204 offset0:74 offset1:75
	s_waitcnt lgkmcnt(0)
	v_mul_f64 v[128:129], v[156:157], v[130:131]
	s_delay_alu instid0(VALU_DEP_1) | instskip(SKIP_1) | instid1(VALU_DEP_2)
	v_fma_f64 v[128:129], v[154:155], v[152:153], -v[128:129]
	v_mul_f64 v[154:155], v[154:155], v[130:131]
	v_add_f64 v[0:1], v[0:1], -v[128:129]
	s_delay_alu instid0(VALU_DEP_2) | instskip(SKIP_1) | instid1(VALU_DEP_2)
	v_fma_f64 v[154:155], v[156:157], v[152:153], v[154:155]
	v_dual_mov_b32 v128, v152 :: v_dual_mov_b32 v129, v153
	v_add_f64 v[2:3], v[2:3], -v[154:155]
.LBB75_55:
	s_or_b32 exec_lo, exec_lo, s3
	s_delay_alu instid0(SALU_CYCLE_1)
	s_mov_b32 s4, exec_lo
	s_waitcnt_vscnt null, 0x0
	s_barrier
	buffer_gl0_inv
	v_cmpx_eq_u32_e32 6, v202
	s_cbranch_execz .LBB75_62
; %bb.56:
	ds_store_2addr_b64 v203, v[124:125], v[126:127] offset1:1
	ds_store_2addr_b64 v204, v[120:121], v[122:123] offset0:14 offset1:15
	ds_store_2addr_b64 v204, v[116:117], v[118:119] offset0:16 offset1:17
	;; [unrolled: 1-line block ×31, first 2 shown]
	ds_load_2addr_b64 v[152:155], v203 offset1:1
	s_waitcnt lgkmcnt(0)
	v_cmp_neq_f64_e32 vcc_lo, 0, v[152:153]
	v_cmp_neq_f64_e64 s3, 0, v[154:155]
	s_delay_alu instid0(VALU_DEP_1) | instskip(NEXT) | instid1(SALU_CYCLE_1)
	s_or_b32 s3, vcc_lo, s3
	s_and_b32 exec_lo, exec_lo, s3
	s_cbranch_execz .LBB75_62
; %bb.57:
	v_cmp_gt_f64_e32 vcc_lo, 0, v[152:153]
	v_xor_b32_e32 v156, 0x80000000, v153
	v_xor_b32_e32 v158, 0x80000000, v155
	s_mov_b32 s3, exec_lo
                                        ; implicit-def: $vgpr160_vgpr161
	s_delay_alu instid0(VALU_DEP_2) | instskip(SKIP_4) | instid1(VALU_DEP_1)
	v_cndmask_b32_e32 v157, v153, v156, vcc_lo
	v_cndmask_b32_e32 v156, v152, v152, vcc_lo
	v_cmp_gt_f64_e32 vcc_lo, 0, v[154:155]
	v_cndmask_b32_e32 v159, v155, v158, vcc_lo
	v_cndmask_b32_e32 v158, v154, v154, vcc_lo
	v_cmpx_ngt_f64_e32 v[156:157], v[158:159]
	s_xor_b32 s3, exec_lo, s3
                                        ; implicit-def: $vgpr156_vgpr157_vgpr158_vgpr159
	s_cbranch_execz .LBB75_59
; %bb.58:
	v_div_scale_f64 v[156:157], null, v[154:155], v[154:155], v[152:153]
	v_div_scale_f64 v[162:163], vcc_lo, v[152:153], v[154:155], v[152:153]
	s_delay_alu instid0(VALU_DEP_2) | instskip(SKIP_2) | instid1(VALU_DEP_1)
	v_rcp_f64_e32 v[158:159], v[156:157]
	s_waitcnt_depctr 0xfff
	v_fma_f64 v[160:161], -v[156:157], v[158:159], 1.0
	v_fma_f64 v[158:159], v[158:159], v[160:161], v[158:159]
	s_delay_alu instid0(VALU_DEP_1) | instskip(NEXT) | instid1(VALU_DEP_1)
	v_fma_f64 v[160:161], -v[156:157], v[158:159], 1.0
	v_fma_f64 v[158:159], v[158:159], v[160:161], v[158:159]
	s_delay_alu instid0(VALU_DEP_1) | instskip(NEXT) | instid1(VALU_DEP_1)
	v_mul_f64 v[160:161], v[162:163], v[158:159]
	v_fma_f64 v[156:157], -v[156:157], v[160:161], v[162:163]
	s_delay_alu instid0(VALU_DEP_1) | instskip(NEXT) | instid1(VALU_DEP_1)
	v_div_fmas_f64 v[156:157], v[156:157], v[158:159], v[160:161]
	v_div_fixup_f64 v[156:157], v[156:157], v[154:155], v[152:153]
	s_delay_alu instid0(VALU_DEP_1) | instskip(NEXT) | instid1(VALU_DEP_1)
	v_fma_f64 v[152:153], v[152:153], v[156:157], v[154:155]
	v_div_scale_f64 v[154:155], null, v[152:153], v[152:153], 1.0
	s_delay_alu instid0(VALU_DEP_1) | instskip(SKIP_2) | instid1(VALU_DEP_1)
	v_rcp_f64_e32 v[158:159], v[154:155]
	s_waitcnt_depctr 0xfff
	v_fma_f64 v[160:161], -v[154:155], v[158:159], 1.0
	v_fma_f64 v[158:159], v[158:159], v[160:161], v[158:159]
	s_delay_alu instid0(VALU_DEP_1) | instskip(NEXT) | instid1(VALU_DEP_1)
	v_fma_f64 v[160:161], -v[154:155], v[158:159], 1.0
	v_fma_f64 v[158:159], v[158:159], v[160:161], v[158:159]
	v_div_scale_f64 v[160:161], vcc_lo, 1.0, v[152:153], 1.0
	s_delay_alu instid0(VALU_DEP_1) | instskip(NEXT) | instid1(VALU_DEP_1)
	v_mul_f64 v[162:163], v[160:161], v[158:159]
	v_fma_f64 v[154:155], -v[154:155], v[162:163], v[160:161]
	s_delay_alu instid0(VALU_DEP_1) | instskip(NEXT) | instid1(VALU_DEP_1)
	v_div_fmas_f64 v[154:155], v[154:155], v[158:159], v[162:163]
	v_div_fixup_f64 v[158:159], v[154:155], v[152:153], 1.0
                                        ; implicit-def: $vgpr152_vgpr153
	s_delay_alu instid0(VALU_DEP_1)
	v_mul_f64 v[160:161], v[156:157], v[158:159]
	v_xor_b32_e32 v159, 0x80000000, v159
.LBB75_59:
	s_and_not1_saveexec_b32 s3, s3
	s_cbranch_execz .LBB75_61
; %bb.60:
	v_div_scale_f64 v[156:157], null, v[152:153], v[152:153], v[154:155]
	v_div_scale_f64 v[162:163], vcc_lo, v[154:155], v[152:153], v[154:155]
	s_delay_alu instid0(VALU_DEP_2) | instskip(SKIP_2) | instid1(VALU_DEP_1)
	v_rcp_f64_e32 v[158:159], v[156:157]
	s_waitcnt_depctr 0xfff
	v_fma_f64 v[160:161], -v[156:157], v[158:159], 1.0
	v_fma_f64 v[158:159], v[158:159], v[160:161], v[158:159]
	s_delay_alu instid0(VALU_DEP_1) | instskip(NEXT) | instid1(VALU_DEP_1)
	v_fma_f64 v[160:161], -v[156:157], v[158:159], 1.0
	v_fma_f64 v[158:159], v[158:159], v[160:161], v[158:159]
	s_delay_alu instid0(VALU_DEP_1) | instskip(NEXT) | instid1(VALU_DEP_1)
	v_mul_f64 v[160:161], v[162:163], v[158:159]
	v_fma_f64 v[156:157], -v[156:157], v[160:161], v[162:163]
	s_delay_alu instid0(VALU_DEP_1) | instskip(NEXT) | instid1(VALU_DEP_1)
	v_div_fmas_f64 v[156:157], v[156:157], v[158:159], v[160:161]
	v_div_fixup_f64 v[156:157], v[156:157], v[152:153], v[154:155]
	s_delay_alu instid0(VALU_DEP_1) | instskip(NEXT) | instid1(VALU_DEP_1)
	v_fma_f64 v[152:153], v[154:155], v[156:157], v[152:153]
	v_div_scale_f64 v[154:155], null, v[152:153], v[152:153], 1.0
	s_delay_alu instid0(VALU_DEP_1) | instskip(SKIP_2) | instid1(VALU_DEP_1)
	v_rcp_f64_e32 v[158:159], v[154:155]
	s_waitcnt_depctr 0xfff
	v_fma_f64 v[160:161], -v[154:155], v[158:159], 1.0
	v_fma_f64 v[158:159], v[158:159], v[160:161], v[158:159]
	s_delay_alu instid0(VALU_DEP_1) | instskip(NEXT) | instid1(VALU_DEP_1)
	v_fma_f64 v[160:161], -v[154:155], v[158:159], 1.0
	v_fma_f64 v[158:159], v[158:159], v[160:161], v[158:159]
	v_div_scale_f64 v[160:161], vcc_lo, 1.0, v[152:153], 1.0
	s_delay_alu instid0(VALU_DEP_1) | instskip(NEXT) | instid1(VALU_DEP_1)
	v_mul_f64 v[162:163], v[160:161], v[158:159]
	v_fma_f64 v[154:155], -v[154:155], v[162:163], v[160:161]
	s_delay_alu instid0(VALU_DEP_1) | instskip(NEXT) | instid1(VALU_DEP_1)
	v_div_fmas_f64 v[154:155], v[154:155], v[158:159], v[162:163]
	v_div_fixup_f64 v[160:161], v[154:155], v[152:153], 1.0
	s_delay_alu instid0(VALU_DEP_1)
	v_mul_f64 v[158:159], v[156:157], -v[160:161]
.LBB75_61:
	s_or_b32 exec_lo, exec_lo, s3
	ds_store_2addr_b64 v203, v[160:161], v[158:159] offset1:1
.LBB75_62:
	s_or_b32 exec_lo, exec_lo, s4
	s_waitcnt lgkmcnt(0)
	s_barrier
	buffer_gl0_inv
	ds_load_2addr_b64 v[152:155], v203 offset1:1
	s_mov_b32 s3, exec_lo
	s_waitcnt lgkmcnt(0)
	scratch_store_b128 off, v[152:155], off offset:208 ; 16-byte Folded Spill
	v_cmpx_lt_u32_e32 6, v202
	s_cbranch_execz .LBB75_64
; %bb.63:
	scratch_load_b128 v[154:157], off, off offset:208 ; 16-byte Folded Reload
	s_waitcnt vmcnt(0)
	v_mul_f64 v[152:153], v[156:157], v[126:127]
	v_mul_f64 v[126:127], v[154:155], v[126:127]
	s_delay_alu instid0(VALU_DEP_2) | instskip(NEXT) | instid1(VALU_DEP_2)
	v_fma_f64 v[152:153], v[154:155], v[124:125], -v[152:153]
	v_fma_f64 v[126:127], v[156:157], v[124:125], v[126:127]
	ds_load_2addr_b64 v[154:157], v204 offset0:14 offset1:15
	s_waitcnt lgkmcnt(0)
	v_mul_f64 v[124:125], v[156:157], v[126:127]
	s_delay_alu instid0(VALU_DEP_1) | instskip(SKIP_1) | instid1(VALU_DEP_2)
	v_fma_f64 v[124:125], v[154:155], v[152:153], -v[124:125]
	v_mul_f64 v[154:155], v[154:155], v[126:127]
	v_add_f64 v[120:121], v[120:121], -v[124:125]
	s_delay_alu instid0(VALU_DEP_2) | instskip(NEXT) | instid1(VALU_DEP_1)
	v_fma_f64 v[154:155], v[156:157], v[152:153], v[154:155]
	v_add_f64 v[122:123], v[122:123], -v[154:155]
	ds_load_2addr_b64 v[154:157], v204 offset0:16 offset1:17
	s_waitcnt lgkmcnt(0)
	v_mul_f64 v[124:125], v[156:157], v[126:127]
	s_delay_alu instid0(VALU_DEP_1) | instskip(SKIP_1) | instid1(VALU_DEP_2)
	v_fma_f64 v[124:125], v[154:155], v[152:153], -v[124:125]
	v_mul_f64 v[154:155], v[154:155], v[126:127]
	v_add_f64 v[116:117], v[116:117], -v[124:125]
	s_delay_alu instid0(VALU_DEP_2) | instskip(NEXT) | instid1(VALU_DEP_1)
	v_fma_f64 v[154:155], v[156:157], v[152:153], v[154:155]
	v_add_f64 v[118:119], v[118:119], -v[154:155]
	;; [unrolled: 10-line block ×30, first 2 shown]
	ds_load_2addr_b64 v[154:157], v204 offset0:74 offset1:75
	s_waitcnt lgkmcnt(0)
	v_mul_f64 v[124:125], v[156:157], v[126:127]
	s_delay_alu instid0(VALU_DEP_1) | instskip(SKIP_1) | instid1(VALU_DEP_2)
	v_fma_f64 v[124:125], v[154:155], v[152:153], -v[124:125]
	v_mul_f64 v[154:155], v[154:155], v[126:127]
	v_add_f64 v[0:1], v[0:1], -v[124:125]
	s_delay_alu instid0(VALU_DEP_2) | instskip(SKIP_1) | instid1(VALU_DEP_2)
	v_fma_f64 v[154:155], v[156:157], v[152:153], v[154:155]
	v_dual_mov_b32 v124, v152 :: v_dual_mov_b32 v125, v153
	v_add_f64 v[2:3], v[2:3], -v[154:155]
.LBB75_64:
	s_or_b32 exec_lo, exec_lo, s3
	s_delay_alu instid0(SALU_CYCLE_1)
	s_mov_b32 s4, exec_lo
	s_waitcnt_vscnt null, 0x0
	s_barrier
	buffer_gl0_inv
	v_cmpx_eq_u32_e32 7, v202
	s_cbranch_execz .LBB75_71
; %bb.65:
	ds_store_2addr_b64 v203, v[120:121], v[122:123] offset1:1
	ds_store_2addr_b64 v204, v[116:117], v[118:119] offset0:16 offset1:17
	ds_store_2addr_b64 v204, v[112:113], v[114:115] offset0:18 offset1:19
	ds_store_2addr_b64 v204, v[108:109], v[110:111] offset0:20 offset1:21
	ds_store_2addr_b64 v204, v[104:105], v[106:107] offset0:22 offset1:23
	ds_store_2addr_b64 v204, v[100:101], v[102:103] offset0:24 offset1:25
	ds_store_2addr_b64 v204, v[96:97], v[98:99] offset0:26 offset1:27
	ds_store_2addr_b64 v204, v[92:93], v[94:95] offset0:28 offset1:29
	ds_store_2addr_b64 v204, v[88:89], v[90:91] offset0:30 offset1:31
	ds_store_2addr_b64 v204, v[84:85], v[86:87] offset0:32 offset1:33
	ds_store_2addr_b64 v204, v[80:81], v[82:83] offset0:34 offset1:35
	ds_store_2addr_b64 v204, v[76:77], v[78:79] offset0:36 offset1:37
	ds_store_2addr_b64 v204, v[72:73], v[74:75] offset0:38 offset1:39
	ds_store_2addr_b64 v204, v[68:69], v[70:71] offset0:40 offset1:41
	ds_store_2addr_b64 v204, v[64:65], v[66:67] offset0:42 offset1:43
	ds_store_2addr_b64 v204, v[60:61], v[62:63] offset0:44 offset1:45
	ds_store_2addr_b64 v204, v[56:57], v[58:59] offset0:46 offset1:47
	ds_store_2addr_b64 v204, v[52:53], v[54:55] offset0:48 offset1:49
	ds_store_2addr_b64 v204, v[48:49], v[50:51] offset0:50 offset1:51
	ds_store_2addr_b64 v204, v[44:45], v[46:47] offset0:52 offset1:53
	ds_store_2addr_b64 v204, v[40:41], v[42:43] offset0:54 offset1:55
	ds_store_2addr_b64 v204, v[36:37], v[38:39] offset0:56 offset1:57
	ds_store_2addr_b64 v204, v[32:33], v[34:35] offset0:58 offset1:59
	ds_store_2addr_b64 v204, v[28:29], v[30:31] offset0:60 offset1:61
	ds_store_2addr_b64 v204, v[24:25], v[26:27] offset0:62 offset1:63
	ds_store_2addr_b64 v204, v[20:21], v[22:23] offset0:64 offset1:65
	ds_store_2addr_b64 v204, v[16:17], v[18:19] offset0:66 offset1:67
	ds_store_2addr_b64 v204, v[12:13], v[14:15] offset0:68 offset1:69
	ds_store_2addr_b64 v204, v[8:9], v[10:11] offset0:70 offset1:71
	ds_store_2addr_b64 v204, v[4:5], v[6:7] offset0:72 offset1:73
	ds_store_2addr_b64 v204, v[0:1], v[2:3] offset0:74 offset1:75
	ds_load_2addr_b64 v[152:155], v203 offset1:1
	s_waitcnt lgkmcnt(0)
	v_cmp_neq_f64_e32 vcc_lo, 0, v[152:153]
	v_cmp_neq_f64_e64 s3, 0, v[154:155]
	s_delay_alu instid0(VALU_DEP_1) | instskip(NEXT) | instid1(SALU_CYCLE_1)
	s_or_b32 s3, vcc_lo, s3
	s_and_b32 exec_lo, exec_lo, s3
	s_cbranch_execz .LBB75_71
; %bb.66:
	v_cmp_gt_f64_e32 vcc_lo, 0, v[152:153]
	v_xor_b32_e32 v156, 0x80000000, v153
	v_xor_b32_e32 v158, 0x80000000, v155
	s_mov_b32 s3, exec_lo
                                        ; implicit-def: $vgpr160_vgpr161
	s_delay_alu instid0(VALU_DEP_2) | instskip(SKIP_4) | instid1(VALU_DEP_1)
	v_cndmask_b32_e32 v157, v153, v156, vcc_lo
	v_cndmask_b32_e32 v156, v152, v152, vcc_lo
	v_cmp_gt_f64_e32 vcc_lo, 0, v[154:155]
	v_cndmask_b32_e32 v159, v155, v158, vcc_lo
	v_cndmask_b32_e32 v158, v154, v154, vcc_lo
	v_cmpx_ngt_f64_e32 v[156:157], v[158:159]
	s_xor_b32 s3, exec_lo, s3
                                        ; implicit-def: $vgpr156_vgpr157_vgpr158_vgpr159
	s_cbranch_execz .LBB75_68
; %bb.67:
	v_div_scale_f64 v[156:157], null, v[154:155], v[154:155], v[152:153]
	v_div_scale_f64 v[162:163], vcc_lo, v[152:153], v[154:155], v[152:153]
	s_delay_alu instid0(VALU_DEP_2) | instskip(SKIP_2) | instid1(VALU_DEP_1)
	v_rcp_f64_e32 v[158:159], v[156:157]
	s_waitcnt_depctr 0xfff
	v_fma_f64 v[160:161], -v[156:157], v[158:159], 1.0
	v_fma_f64 v[158:159], v[158:159], v[160:161], v[158:159]
	s_delay_alu instid0(VALU_DEP_1) | instskip(NEXT) | instid1(VALU_DEP_1)
	v_fma_f64 v[160:161], -v[156:157], v[158:159], 1.0
	v_fma_f64 v[158:159], v[158:159], v[160:161], v[158:159]
	s_delay_alu instid0(VALU_DEP_1) | instskip(NEXT) | instid1(VALU_DEP_1)
	v_mul_f64 v[160:161], v[162:163], v[158:159]
	v_fma_f64 v[156:157], -v[156:157], v[160:161], v[162:163]
	s_delay_alu instid0(VALU_DEP_1) | instskip(NEXT) | instid1(VALU_DEP_1)
	v_div_fmas_f64 v[156:157], v[156:157], v[158:159], v[160:161]
	v_div_fixup_f64 v[156:157], v[156:157], v[154:155], v[152:153]
	s_delay_alu instid0(VALU_DEP_1) | instskip(NEXT) | instid1(VALU_DEP_1)
	v_fma_f64 v[152:153], v[152:153], v[156:157], v[154:155]
	v_div_scale_f64 v[154:155], null, v[152:153], v[152:153], 1.0
	s_delay_alu instid0(VALU_DEP_1) | instskip(SKIP_2) | instid1(VALU_DEP_1)
	v_rcp_f64_e32 v[158:159], v[154:155]
	s_waitcnt_depctr 0xfff
	v_fma_f64 v[160:161], -v[154:155], v[158:159], 1.0
	v_fma_f64 v[158:159], v[158:159], v[160:161], v[158:159]
	s_delay_alu instid0(VALU_DEP_1) | instskip(NEXT) | instid1(VALU_DEP_1)
	v_fma_f64 v[160:161], -v[154:155], v[158:159], 1.0
	v_fma_f64 v[158:159], v[158:159], v[160:161], v[158:159]
	v_div_scale_f64 v[160:161], vcc_lo, 1.0, v[152:153], 1.0
	s_delay_alu instid0(VALU_DEP_1) | instskip(NEXT) | instid1(VALU_DEP_1)
	v_mul_f64 v[162:163], v[160:161], v[158:159]
	v_fma_f64 v[154:155], -v[154:155], v[162:163], v[160:161]
	s_delay_alu instid0(VALU_DEP_1) | instskip(NEXT) | instid1(VALU_DEP_1)
	v_div_fmas_f64 v[154:155], v[154:155], v[158:159], v[162:163]
	v_div_fixup_f64 v[158:159], v[154:155], v[152:153], 1.0
                                        ; implicit-def: $vgpr152_vgpr153
	s_delay_alu instid0(VALU_DEP_1)
	v_mul_f64 v[160:161], v[156:157], v[158:159]
	v_xor_b32_e32 v159, 0x80000000, v159
.LBB75_68:
	s_and_not1_saveexec_b32 s3, s3
	s_cbranch_execz .LBB75_70
; %bb.69:
	v_div_scale_f64 v[156:157], null, v[152:153], v[152:153], v[154:155]
	v_div_scale_f64 v[162:163], vcc_lo, v[154:155], v[152:153], v[154:155]
	s_delay_alu instid0(VALU_DEP_2) | instskip(SKIP_2) | instid1(VALU_DEP_1)
	v_rcp_f64_e32 v[158:159], v[156:157]
	s_waitcnt_depctr 0xfff
	v_fma_f64 v[160:161], -v[156:157], v[158:159], 1.0
	v_fma_f64 v[158:159], v[158:159], v[160:161], v[158:159]
	s_delay_alu instid0(VALU_DEP_1) | instskip(NEXT) | instid1(VALU_DEP_1)
	v_fma_f64 v[160:161], -v[156:157], v[158:159], 1.0
	v_fma_f64 v[158:159], v[158:159], v[160:161], v[158:159]
	s_delay_alu instid0(VALU_DEP_1) | instskip(NEXT) | instid1(VALU_DEP_1)
	v_mul_f64 v[160:161], v[162:163], v[158:159]
	v_fma_f64 v[156:157], -v[156:157], v[160:161], v[162:163]
	s_delay_alu instid0(VALU_DEP_1) | instskip(NEXT) | instid1(VALU_DEP_1)
	v_div_fmas_f64 v[156:157], v[156:157], v[158:159], v[160:161]
	v_div_fixup_f64 v[156:157], v[156:157], v[152:153], v[154:155]
	s_delay_alu instid0(VALU_DEP_1) | instskip(NEXT) | instid1(VALU_DEP_1)
	v_fma_f64 v[152:153], v[154:155], v[156:157], v[152:153]
	v_div_scale_f64 v[154:155], null, v[152:153], v[152:153], 1.0
	s_delay_alu instid0(VALU_DEP_1) | instskip(SKIP_2) | instid1(VALU_DEP_1)
	v_rcp_f64_e32 v[158:159], v[154:155]
	s_waitcnt_depctr 0xfff
	v_fma_f64 v[160:161], -v[154:155], v[158:159], 1.0
	v_fma_f64 v[158:159], v[158:159], v[160:161], v[158:159]
	s_delay_alu instid0(VALU_DEP_1) | instskip(NEXT) | instid1(VALU_DEP_1)
	v_fma_f64 v[160:161], -v[154:155], v[158:159], 1.0
	v_fma_f64 v[158:159], v[158:159], v[160:161], v[158:159]
	v_div_scale_f64 v[160:161], vcc_lo, 1.0, v[152:153], 1.0
	s_delay_alu instid0(VALU_DEP_1) | instskip(NEXT) | instid1(VALU_DEP_1)
	v_mul_f64 v[162:163], v[160:161], v[158:159]
	v_fma_f64 v[154:155], -v[154:155], v[162:163], v[160:161]
	s_delay_alu instid0(VALU_DEP_1) | instskip(NEXT) | instid1(VALU_DEP_1)
	v_div_fmas_f64 v[154:155], v[154:155], v[158:159], v[162:163]
	v_div_fixup_f64 v[160:161], v[154:155], v[152:153], 1.0
	s_delay_alu instid0(VALU_DEP_1)
	v_mul_f64 v[158:159], v[156:157], -v[160:161]
.LBB75_70:
	s_or_b32 exec_lo, exec_lo, s3
	ds_store_2addr_b64 v203, v[160:161], v[158:159] offset1:1
.LBB75_71:
	s_or_b32 exec_lo, exec_lo, s4
	s_waitcnt lgkmcnt(0)
	s_barrier
	buffer_gl0_inv
	ds_load_2addr_b64 v[152:155], v203 offset1:1
	s_mov_b32 s3, exec_lo
	s_waitcnt lgkmcnt(0)
	scratch_store_b128 off, v[152:155], off offset:224 ; 16-byte Folded Spill
	v_cmpx_lt_u32_e32 7, v202
	s_cbranch_execz .LBB75_73
; %bb.72:
	scratch_load_b128 v[154:157], off, off offset:224 ; 16-byte Folded Reload
	s_waitcnt vmcnt(0)
	v_mul_f64 v[152:153], v[156:157], v[122:123]
	v_mul_f64 v[122:123], v[154:155], v[122:123]
	s_delay_alu instid0(VALU_DEP_2) | instskip(NEXT) | instid1(VALU_DEP_2)
	v_fma_f64 v[152:153], v[154:155], v[120:121], -v[152:153]
	v_fma_f64 v[122:123], v[156:157], v[120:121], v[122:123]
	ds_load_2addr_b64 v[154:157], v204 offset0:16 offset1:17
	s_waitcnt lgkmcnt(0)
	v_mul_f64 v[120:121], v[156:157], v[122:123]
	s_delay_alu instid0(VALU_DEP_1) | instskip(SKIP_1) | instid1(VALU_DEP_2)
	v_fma_f64 v[120:121], v[154:155], v[152:153], -v[120:121]
	v_mul_f64 v[154:155], v[154:155], v[122:123]
	v_add_f64 v[116:117], v[116:117], -v[120:121]
	s_delay_alu instid0(VALU_DEP_2) | instskip(NEXT) | instid1(VALU_DEP_1)
	v_fma_f64 v[154:155], v[156:157], v[152:153], v[154:155]
	v_add_f64 v[118:119], v[118:119], -v[154:155]
	ds_load_2addr_b64 v[154:157], v204 offset0:18 offset1:19
	s_waitcnt lgkmcnt(0)
	v_mul_f64 v[120:121], v[156:157], v[122:123]
	s_delay_alu instid0(VALU_DEP_1) | instskip(SKIP_1) | instid1(VALU_DEP_2)
	v_fma_f64 v[120:121], v[154:155], v[152:153], -v[120:121]
	v_mul_f64 v[154:155], v[154:155], v[122:123]
	v_add_f64 v[112:113], v[112:113], -v[120:121]
	s_delay_alu instid0(VALU_DEP_2) | instskip(NEXT) | instid1(VALU_DEP_1)
	v_fma_f64 v[154:155], v[156:157], v[152:153], v[154:155]
	v_add_f64 v[114:115], v[114:115], -v[154:155]
	;; [unrolled: 10-line block ×29, first 2 shown]
	ds_load_2addr_b64 v[154:157], v204 offset0:74 offset1:75
	s_waitcnt lgkmcnt(0)
	v_mul_f64 v[120:121], v[156:157], v[122:123]
	s_delay_alu instid0(VALU_DEP_1) | instskip(SKIP_1) | instid1(VALU_DEP_2)
	v_fma_f64 v[120:121], v[154:155], v[152:153], -v[120:121]
	v_mul_f64 v[154:155], v[154:155], v[122:123]
	v_add_f64 v[0:1], v[0:1], -v[120:121]
	s_delay_alu instid0(VALU_DEP_2) | instskip(SKIP_1) | instid1(VALU_DEP_2)
	v_fma_f64 v[154:155], v[156:157], v[152:153], v[154:155]
	v_dual_mov_b32 v120, v152 :: v_dual_mov_b32 v121, v153
	v_add_f64 v[2:3], v[2:3], -v[154:155]
.LBB75_73:
	s_or_b32 exec_lo, exec_lo, s3
	s_delay_alu instid0(SALU_CYCLE_1)
	s_mov_b32 s4, exec_lo
	s_waitcnt_vscnt null, 0x0
	s_barrier
	buffer_gl0_inv
	v_cmpx_eq_u32_e32 8, v202
	s_cbranch_execz .LBB75_80
; %bb.74:
	ds_store_2addr_b64 v203, v[116:117], v[118:119] offset1:1
	ds_store_2addr_b64 v204, v[112:113], v[114:115] offset0:18 offset1:19
	ds_store_2addr_b64 v204, v[108:109], v[110:111] offset0:20 offset1:21
	;; [unrolled: 1-line block ×29, first 2 shown]
	ds_load_2addr_b64 v[152:155], v203 offset1:1
	s_waitcnt lgkmcnt(0)
	v_cmp_neq_f64_e32 vcc_lo, 0, v[152:153]
	v_cmp_neq_f64_e64 s3, 0, v[154:155]
	s_delay_alu instid0(VALU_DEP_1) | instskip(NEXT) | instid1(SALU_CYCLE_1)
	s_or_b32 s3, vcc_lo, s3
	s_and_b32 exec_lo, exec_lo, s3
	s_cbranch_execz .LBB75_80
; %bb.75:
	v_cmp_gt_f64_e32 vcc_lo, 0, v[152:153]
	v_xor_b32_e32 v156, 0x80000000, v153
	v_xor_b32_e32 v158, 0x80000000, v155
	s_mov_b32 s3, exec_lo
                                        ; implicit-def: $vgpr160_vgpr161
	s_delay_alu instid0(VALU_DEP_2) | instskip(SKIP_4) | instid1(VALU_DEP_1)
	v_cndmask_b32_e32 v157, v153, v156, vcc_lo
	v_cndmask_b32_e32 v156, v152, v152, vcc_lo
	v_cmp_gt_f64_e32 vcc_lo, 0, v[154:155]
	v_cndmask_b32_e32 v159, v155, v158, vcc_lo
	v_cndmask_b32_e32 v158, v154, v154, vcc_lo
	v_cmpx_ngt_f64_e32 v[156:157], v[158:159]
	s_xor_b32 s3, exec_lo, s3
                                        ; implicit-def: $vgpr156_vgpr157_vgpr158_vgpr159
	s_cbranch_execz .LBB75_77
; %bb.76:
	v_div_scale_f64 v[156:157], null, v[154:155], v[154:155], v[152:153]
	v_div_scale_f64 v[162:163], vcc_lo, v[152:153], v[154:155], v[152:153]
	s_delay_alu instid0(VALU_DEP_2) | instskip(SKIP_2) | instid1(VALU_DEP_1)
	v_rcp_f64_e32 v[158:159], v[156:157]
	s_waitcnt_depctr 0xfff
	v_fma_f64 v[160:161], -v[156:157], v[158:159], 1.0
	v_fma_f64 v[158:159], v[158:159], v[160:161], v[158:159]
	s_delay_alu instid0(VALU_DEP_1) | instskip(NEXT) | instid1(VALU_DEP_1)
	v_fma_f64 v[160:161], -v[156:157], v[158:159], 1.0
	v_fma_f64 v[158:159], v[158:159], v[160:161], v[158:159]
	s_delay_alu instid0(VALU_DEP_1) | instskip(NEXT) | instid1(VALU_DEP_1)
	v_mul_f64 v[160:161], v[162:163], v[158:159]
	v_fma_f64 v[156:157], -v[156:157], v[160:161], v[162:163]
	s_delay_alu instid0(VALU_DEP_1) | instskip(NEXT) | instid1(VALU_DEP_1)
	v_div_fmas_f64 v[156:157], v[156:157], v[158:159], v[160:161]
	v_div_fixup_f64 v[156:157], v[156:157], v[154:155], v[152:153]
	s_delay_alu instid0(VALU_DEP_1) | instskip(NEXT) | instid1(VALU_DEP_1)
	v_fma_f64 v[152:153], v[152:153], v[156:157], v[154:155]
	v_div_scale_f64 v[154:155], null, v[152:153], v[152:153], 1.0
	s_delay_alu instid0(VALU_DEP_1) | instskip(SKIP_2) | instid1(VALU_DEP_1)
	v_rcp_f64_e32 v[158:159], v[154:155]
	s_waitcnt_depctr 0xfff
	v_fma_f64 v[160:161], -v[154:155], v[158:159], 1.0
	v_fma_f64 v[158:159], v[158:159], v[160:161], v[158:159]
	s_delay_alu instid0(VALU_DEP_1) | instskip(NEXT) | instid1(VALU_DEP_1)
	v_fma_f64 v[160:161], -v[154:155], v[158:159], 1.0
	v_fma_f64 v[158:159], v[158:159], v[160:161], v[158:159]
	v_div_scale_f64 v[160:161], vcc_lo, 1.0, v[152:153], 1.0
	s_delay_alu instid0(VALU_DEP_1) | instskip(NEXT) | instid1(VALU_DEP_1)
	v_mul_f64 v[162:163], v[160:161], v[158:159]
	v_fma_f64 v[154:155], -v[154:155], v[162:163], v[160:161]
	s_delay_alu instid0(VALU_DEP_1) | instskip(NEXT) | instid1(VALU_DEP_1)
	v_div_fmas_f64 v[154:155], v[154:155], v[158:159], v[162:163]
	v_div_fixup_f64 v[158:159], v[154:155], v[152:153], 1.0
                                        ; implicit-def: $vgpr152_vgpr153
	s_delay_alu instid0(VALU_DEP_1)
	v_mul_f64 v[160:161], v[156:157], v[158:159]
	v_xor_b32_e32 v159, 0x80000000, v159
.LBB75_77:
	s_and_not1_saveexec_b32 s3, s3
	s_cbranch_execz .LBB75_79
; %bb.78:
	v_div_scale_f64 v[156:157], null, v[152:153], v[152:153], v[154:155]
	v_div_scale_f64 v[162:163], vcc_lo, v[154:155], v[152:153], v[154:155]
	s_delay_alu instid0(VALU_DEP_2) | instskip(SKIP_2) | instid1(VALU_DEP_1)
	v_rcp_f64_e32 v[158:159], v[156:157]
	s_waitcnt_depctr 0xfff
	v_fma_f64 v[160:161], -v[156:157], v[158:159], 1.0
	v_fma_f64 v[158:159], v[158:159], v[160:161], v[158:159]
	s_delay_alu instid0(VALU_DEP_1) | instskip(NEXT) | instid1(VALU_DEP_1)
	v_fma_f64 v[160:161], -v[156:157], v[158:159], 1.0
	v_fma_f64 v[158:159], v[158:159], v[160:161], v[158:159]
	s_delay_alu instid0(VALU_DEP_1) | instskip(NEXT) | instid1(VALU_DEP_1)
	v_mul_f64 v[160:161], v[162:163], v[158:159]
	v_fma_f64 v[156:157], -v[156:157], v[160:161], v[162:163]
	s_delay_alu instid0(VALU_DEP_1) | instskip(NEXT) | instid1(VALU_DEP_1)
	v_div_fmas_f64 v[156:157], v[156:157], v[158:159], v[160:161]
	v_div_fixup_f64 v[156:157], v[156:157], v[152:153], v[154:155]
	s_delay_alu instid0(VALU_DEP_1) | instskip(NEXT) | instid1(VALU_DEP_1)
	v_fma_f64 v[152:153], v[154:155], v[156:157], v[152:153]
	v_div_scale_f64 v[154:155], null, v[152:153], v[152:153], 1.0
	s_delay_alu instid0(VALU_DEP_1) | instskip(SKIP_2) | instid1(VALU_DEP_1)
	v_rcp_f64_e32 v[158:159], v[154:155]
	s_waitcnt_depctr 0xfff
	v_fma_f64 v[160:161], -v[154:155], v[158:159], 1.0
	v_fma_f64 v[158:159], v[158:159], v[160:161], v[158:159]
	s_delay_alu instid0(VALU_DEP_1) | instskip(NEXT) | instid1(VALU_DEP_1)
	v_fma_f64 v[160:161], -v[154:155], v[158:159], 1.0
	v_fma_f64 v[158:159], v[158:159], v[160:161], v[158:159]
	v_div_scale_f64 v[160:161], vcc_lo, 1.0, v[152:153], 1.0
	s_delay_alu instid0(VALU_DEP_1) | instskip(NEXT) | instid1(VALU_DEP_1)
	v_mul_f64 v[162:163], v[160:161], v[158:159]
	v_fma_f64 v[154:155], -v[154:155], v[162:163], v[160:161]
	s_delay_alu instid0(VALU_DEP_1) | instskip(NEXT) | instid1(VALU_DEP_1)
	v_div_fmas_f64 v[154:155], v[154:155], v[158:159], v[162:163]
	v_div_fixup_f64 v[160:161], v[154:155], v[152:153], 1.0
	s_delay_alu instid0(VALU_DEP_1)
	v_mul_f64 v[158:159], v[156:157], -v[160:161]
.LBB75_79:
	s_or_b32 exec_lo, exec_lo, s3
	ds_store_2addr_b64 v203, v[160:161], v[158:159] offset1:1
.LBB75_80:
	s_or_b32 exec_lo, exec_lo, s4
	s_waitcnt lgkmcnt(0)
	s_barrier
	buffer_gl0_inv
	ds_load_2addr_b64 v[152:155], v203 offset1:1
	s_mov_b32 s3, exec_lo
	s_waitcnt lgkmcnt(0)
	scratch_store_b128 off, v[152:155], off offset:240 ; 16-byte Folded Spill
	v_cmpx_lt_u32_e32 8, v202
	s_cbranch_execz .LBB75_82
; %bb.81:
	scratch_load_b128 v[154:157], off, off offset:240 ; 16-byte Folded Reload
	s_waitcnt vmcnt(0)
	v_mul_f64 v[152:153], v[156:157], v[118:119]
	v_mul_f64 v[118:119], v[154:155], v[118:119]
	s_delay_alu instid0(VALU_DEP_2) | instskip(NEXT) | instid1(VALU_DEP_2)
	v_fma_f64 v[152:153], v[154:155], v[116:117], -v[152:153]
	v_fma_f64 v[118:119], v[156:157], v[116:117], v[118:119]
	ds_load_2addr_b64 v[154:157], v204 offset0:18 offset1:19
	s_waitcnt lgkmcnt(0)
	v_mul_f64 v[116:117], v[156:157], v[118:119]
	s_delay_alu instid0(VALU_DEP_1) | instskip(SKIP_1) | instid1(VALU_DEP_2)
	v_fma_f64 v[116:117], v[154:155], v[152:153], -v[116:117]
	v_mul_f64 v[154:155], v[154:155], v[118:119]
	v_add_f64 v[112:113], v[112:113], -v[116:117]
	s_delay_alu instid0(VALU_DEP_2) | instskip(NEXT) | instid1(VALU_DEP_1)
	v_fma_f64 v[154:155], v[156:157], v[152:153], v[154:155]
	v_add_f64 v[114:115], v[114:115], -v[154:155]
	ds_load_2addr_b64 v[154:157], v204 offset0:20 offset1:21
	s_waitcnt lgkmcnt(0)
	v_mul_f64 v[116:117], v[156:157], v[118:119]
	s_delay_alu instid0(VALU_DEP_1) | instskip(SKIP_1) | instid1(VALU_DEP_2)
	v_fma_f64 v[116:117], v[154:155], v[152:153], -v[116:117]
	v_mul_f64 v[154:155], v[154:155], v[118:119]
	v_add_f64 v[108:109], v[108:109], -v[116:117]
	s_delay_alu instid0(VALU_DEP_2) | instskip(NEXT) | instid1(VALU_DEP_1)
	v_fma_f64 v[154:155], v[156:157], v[152:153], v[154:155]
	v_add_f64 v[110:111], v[110:111], -v[154:155]
	;; [unrolled: 10-line block ×28, first 2 shown]
	ds_load_2addr_b64 v[154:157], v204 offset0:74 offset1:75
	s_waitcnt lgkmcnt(0)
	v_mul_f64 v[116:117], v[156:157], v[118:119]
	s_delay_alu instid0(VALU_DEP_1) | instskip(SKIP_1) | instid1(VALU_DEP_2)
	v_fma_f64 v[116:117], v[154:155], v[152:153], -v[116:117]
	v_mul_f64 v[154:155], v[154:155], v[118:119]
	v_add_f64 v[0:1], v[0:1], -v[116:117]
	s_delay_alu instid0(VALU_DEP_2) | instskip(SKIP_1) | instid1(VALU_DEP_2)
	v_fma_f64 v[154:155], v[156:157], v[152:153], v[154:155]
	v_dual_mov_b32 v116, v152 :: v_dual_mov_b32 v117, v153
	v_add_f64 v[2:3], v[2:3], -v[154:155]
.LBB75_82:
	s_or_b32 exec_lo, exec_lo, s3
	s_delay_alu instid0(SALU_CYCLE_1)
	s_mov_b32 s4, exec_lo
	s_waitcnt_vscnt null, 0x0
	s_barrier
	buffer_gl0_inv
	v_cmpx_eq_u32_e32 9, v202
	s_cbranch_execz .LBB75_89
; %bb.83:
	ds_store_2addr_b64 v203, v[112:113], v[114:115] offset1:1
	ds_store_2addr_b64 v204, v[108:109], v[110:111] offset0:20 offset1:21
	ds_store_2addr_b64 v204, v[104:105], v[106:107] offset0:22 offset1:23
	ds_store_2addr_b64 v204, v[100:101], v[102:103] offset0:24 offset1:25
	ds_store_2addr_b64 v204, v[96:97], v[98:99] offset0:26 offset1:27
	ds_store_2addr_b64 v204, v[92:93], v[94:95] offset0:28 offset1:29
	ds_store_2addr_b64 v204, v[88:89], v[90:91] offset0:30 offset1:31
	ds_store_2addr_b64 v204, v[84:85], v[86:87] offset0:32 offset1:33
	ds_store_2addr_b64 v204, v[80:81], v[82:83] offset0:34 offset1:35
	ds_store_2addr_b64 v204, v[76:77], v[78:79] offset0:36 offset1:37
	ds_store_2addr_b64 v204, v[72:73], v[74:75] offset0:38 offset1:39
	ds_store_2addr_b64 v204, v[68:69], v[70:71] offset0:40 offset1:41
	ds_store_2addr_b64 v204, v[64:65], v[66:67] offset0:42 offset1:43
	ds_store_2addr_b64 v204, v[60:61], v[62:63] offset0:44 offset1:45
	ds_store_2addr_b64 v204, v[56:57], v[58:59] offset0:46 offset1:47
	ds_store_2addr_b64 v204, v[52:53], v[54:55] offset0:48 offset1:49
	ds_store_2addr_b64 v204, v[48:49], v[50:51] offset0:50 offset1:51
	ds_store_2addr_b64 v204, v[44:45], v[46:47] offset0:52 offset1:53
	ds_store_2addr_b64 v204, v[40:41], v[42:43] offset0:54 offset1:55
	ds_store_2addr_b64 v204, v[36:37], v[38:39] offset0:56 offset1:57
	ds_store_2addr_b64 v204, v[32:33], v[34:35] offset0:58 offset1:59
	ds_store_2addr_b64 v204, v[28:29], v[30:31] offset0:60 offset1:61
	ds_store_2addr_b64 v204, v[24:25], v[26:27] offset0:62 offset1:63
	ds_store_2addr_b64 v204, v[20:21], v[22:23] offset0:64 offset1:65
	ds_store_2addr_b64 v204, v[16:17], v[18:19] offset0:66 offset1:67
	ds_store_2addr_b64 v204, v[12:13], v[14:15] offset0:68 offset1:69
	ds_store_2addr_b64 v204, v[8:9], v[10:11] offset0:70 offset1:71
	ds_store_2addr_b64 v204, v[4:5], v[6:7] offset0:72 offset1:73
	ds_store_2addr_b64 v204, v[0:1], v[2:3] offset0:74 offset1:75
	ds_load_2addr_b64 v[152:155], v203 offset1:1
	s_waitcnt lgkmcnt(0)
	v_cmp_neq_f64_e32 vcc_lo, 0, v[152:153]
	v_cmp_neq_f64_e64 s3, 0, v[154:155]
	s_delay_alu instid0(VALU_DEP_1) | instskip(NEXT) | instid1(SALU_CYCLE_1)
	s_or_b32 s3, vcc_lo, s3
	s_and_b32 exec_lo, exec_lo, s3
	s_cbranch_execz .LBB75_89
; %bb.84:
	v_cmp_gt_f64_e32 vcc_lo, 0, v[152:153]
	v_xor_b32_e32 v156, 0x80000000, v153
	v_xor_b32_e32 v158, 0x80000000, v155
	s_mov_b32 s3, exec_lo
                                        ; implicit-def: $vgpr160_vgpr161
	s_delay_alu instid0(VALU_DEP_2) | instskip(SKIP_4) | instid1(VALU_DEP_1)
	v_cndmask_b32_e32 v157, v153, v156, vcc_lo
	v_cndmask_b32_e32 v156, v152, v152, vcc_lo
	v_cmp_gt_f64_e32 vcc_lo, 0, v[154:155]
	v_cndmask_b32_e32 v159, v155, v158, vcc_lo
	v_cndmask_b32_e32 v158, v154, v154, vcc_lo
	v_cmpx_ngt_f64_e32 v[156:157], v[158:159]
	s_xor_b32 s3, exec_lo, s3
                                        ; implicit-def: $vgpr156_vgpr157_vgpr158_vgpr159
	s_cbranch_execz .LBB75_86
; %bb.85:
	v_div_scale_f64 v[156:157], null, v[154:155], v[154:155], v[152:153]
	v_div_scale_f64 v[162:163], vcc_lo, v[152:153], v[154:155], v[152:153]
	s_delay_alu instid0(VALU_DEP_2) | instskip(SKIP_2) | instid1(VALU_DEP_1)
	v_rcp_f64_e32 v[158:159], v[156:157]
	s_waitcnt_depctr 0xfff
	v_fma_f64 v[160:161], -v[156:157], v[158:159], 1.0
	v_fma_f64 v[158:159], v[158:159], v[160:161], v[158:159]
	s_delay_alu instid0(VALU_DEP_1) | instskip(NEXT) | instid1(VALU_DEP_1)
	v_fma_f64 v[160:161], -v[156:157], v[158:159], 1.0
	v_fma_f64 v[158:159], v[158:159], v[160:161], v[158:159]
	s_delay_alu instid0(VALU_DEP_1) | instskip(NEXT) | instid1(VALU_DEP_1)
	v_mul_f64 v[160:161], v[162:163], v[158:159]
	v_fma_f64 v[156:157], -v[156:157], v[160:161], v[162:163]
	s_delay_alu instid0(VALU_DEP_1) | instskip(NEXT) | instid1(VALU_DEP_1)
	v_div_fmas_f64 v[156:157], v[156:157], v[158:159], v[160:161]
	v_div_fixup_f64 v[156:157], v[156:157], v[154:155], v[152:153]
	s_delay_alu instid0(VALU_DEP_1) | instskip(NEXT) | instid1(VALU_DEP_1)
	v_fma_f64 v[152:153], v[152:153], v[156:157], v[154:155]
	v_div_scale_f64 v[154:155], null, v[152:153], v[152:153], 1.0
	s_delay_alu instid0(VALU_DEP_1) | instskip(SKIP_2) | instid1(VALU_DEP_1)
	v_rcp_f64_e32 v[158:159], v[154:155]
	s_waitcnt_depctr 0xfff
	v_fma_f64 v[160:161], -v[154:155], v[158:159], 1.0
	v_fma_f64 v[158:159], v[158:159], v[160:161], v[158:159]
	s_delay_alu instid0(VALU_DEP_1) | instskip(NEXT) | instid1(VALU_DEP_1)
	v_fma_f64 v[160:161], -v[154:155], v[158:159], 1.0
	v_fma_f64 v[158:159], v[158:159], v[160:161], v[158:159]
	v_div_scale_f64 v[160:161], vcc_lo, 1.0, v[152:153], 1.0
	s_delay_alu instid0(VALU_DEP_1) | instskip(NEXT) | instid1(VALU_DEP_1)
	v_mul_f64 v[162:163], v[160:161], v[158:159]
	v_fma_f64 v[154:155], -v[154:155], v[162:163], v[160:161]
	s_delay_alu instid0(VALU_DEP_1) | instskip(NEXT) | instid1(VALU_DEP_1)
	v_div_fmas_f64 v[154:155], v[154:155], v[158:159], v[162:163]
	v_div_fixup_f64 v[158:159], v[154:155], v[152:153], 1.0
                                        ; implicit-def: $vgpr152_vgpr153
	s_delay_alu instid0(VALU_DEP_1)
	v_mul_f64 v[160:161], v[156:157], v[158:159]
	v_xor_b32_e32 v159, 0x80000000, v159
.LBB75_86:
	s_and_not1_saveexec_b32 s3, s3
	s_cbranch_execz .LBB75_88
; %bb.87:
	v_div_scale_f64 v[156:157], null, v[152:153], v[152:153], v[154:155]
	v_div_scale_f64 v[162:163], vcc_lo, v[154:155], v[152:153], v[154:155]
	s_delay_alu instid0(VALU_DEP_2) | instskip(SKIP_2) | instid1(VALU_DEP_1)
	v_rcp_f64_e32 v[158:159], v[156:157]
	s_waitcnt_depctr 0xfff
	v_fma_f64 v[160:161], -v[156:157], v[158:159], 1.0
	v_fma_f64 v[158:159], v[158:159], v[160:161], v[158:159]
	s_delay_alu instid0(VALU_DEP_1) | instskip(NEXT) | instid1(VALU_DEP_1)
	v_fma_f64 v[160:161], -v[156:157], v[158:159], 1.0
	v_fma_f64 v[158:159], v[158:159], v[160:161], v[158:159]
	s_delay_alu instid0(VALU_DEP_1) | instskip(NEXT) | instid1(VALU_DEP_1)
	v_mul_f64 v[160:161], v[162:163], v[158:159]
	v_fma_f64 v[156:157], -v[156:157], v[160:161], v[162:163]
	s_delay_alu instid0(VALU_DEP_1) | instskip(NEXT) | instid1(VALU_DEP_1)
	v_div_fmas_f64 v[156:157], v[156:157], v[158:159], v[160:161]
	v_div_fixup_f64 v[156:157], v[156:157], v[152:153], v[154:155]
	s_delay_alu instid0(VALU_DEP_1) | instskip(NEXT) | instid1(VALU_DEP_1)
	v_fma_f64 v[152:153], v[154:155], v[156:157], v[152:153]
	v_div_scale_f64 v[154:155], null, v[152:153], v[152:153], 1.0
	s_delay_alu instid0(VALU_DEP_1) | instskip(SKIP_2) | instid1(VALU_DEP_1)
	v_rcp_f64_e32 v[158:159], v[154:155]
	s_waitcnt_depctr 0xfff
	v_fma_f64 v[160:161], -v[154:155], v[158:159], 1.0
	v_fma_f64 v[158:159], v[158:159], v[160:161], v[158:159]
	s_delay_alu instid0(VALU_DEP_1) | instskip(NEXT) | instid1(VALU_DEP_1)
	v_fma_f64 v[160:161], -v[154:155], v[158:159], 1.0
	v_fma_f64 v[158:159], v[158:159], v[160:161], v[158:159]
	v_div_scale_f64 v[160:161], vcc_lo, 1.0, v[152:153], 1.0
	s_delay_alu instid0(VALU_DEP_1) | instskip(NEXT) | instid1(VALU_DEP_1)
	v_mul_f64 v[162:163], v[160:161], v[158:159]
	v_fma_f64 v[154:155], -v[154:155], v[162:163], v[160:161]
	s_delay_alu instid0(VALU_DEP_1) | instskip(NEXT) | instid1(VALU_DEP_1)
	v_div_fmas_f64 v[154:155], v[154:155], v[158:159], v[162:163]
	v_div_fixup_f64 v[160:161], v[154:155], v[152:153], 1.0
	s_delay_alu instid0(VALU_DEP_1)
	v_mul_f64 v[158:159], v[156:157], -v[160:161]
.LBB75_88:
	s_or_b32 exec_lo, exec_lo, s3
	ds_store_2addr_b64 v203, v[160:161], v[158:159] offset1:1
.LBB75_89:
	s_or_b32 exec_lo, exec_lo, s4
	s_waitcnt lgkmcnt(0)
	s_barrier
	buffer_gl0_inv
	ds_load_2addr_b64 v[152:155], v203 offset1:1
	s_mov_b32 s3, exec_lo
	s_waitcnt lgkmcnt(0)
	scratch_store_b128 off, v[152:155], off offset:256 ; 16-byte Folded Spill
	v_cmpx_lt_u32_e32 9, v202
	s_cbranch_execz .LBB75_91
; %bb.90:
	scratch_load_b128 v[154:157], off, off offset:256 ; 16-byte Folded Reload
	s_waitcnt vmcnt(0)
	v_mul_f64 v[152:153], v[156:157], v[114:115]
	v_mul_f64 v[114:115], v[154:155], v[114:115]
	s_delay_alu instid0(VALU_DEP_2) | instskip(NEXT) | instid1(VALU_DEP_2)
	v_fma_f64 v[152:153], v[154:155], v[112:113], -v[152:153]
	v_fma_f64 v[114:115], v[156:157], v[112:113], v[114:115]
	ds_load_2addr_b64 v[154:157], v204 offset0:20 offset1:21
	s_waitcnt lgkmcnt(0)
	v_mul_f64 v[112:113], v[156:157], v[114:115]
	s_delay_alu instid0(VALU_DEP_1) | instskip(SKIP_1) | instid1(VALU_DEP_2)
	v_fma_f64 v[112:113], v[154:155], v[152:153], -v[112:113]
	v_mul_f64 v[154:155], v[154:155], v[114:115]
	v_add_f64 v[108:109], v[108:109], -v[112:113]
	s_delay_alu instid0(VALU_DEP_2) | instskip(NEXT) | instid1(VALU_DEP_1)
	v_fma_f64 v[154:155], v[156:157], v[152:153], v[154:155]
	v_add_f64 v[110:111], v[110:111], -v[154:155]
	ds_load_2addr_b64 v[154:157], v204 offset0:22 offset1:23
	s_waitcnt lgkmcnt(0)
	v_mul_f64 v[112:113], v[156:157], v[114:115]
	s_delay_alu instid0(VALU_DEP_1) | instskip(SKIP_1) | instid1(VALU_DEP_2)
	v_fma_f64 v[112:113], v[154:155], v[152:153], -v[112:113]
	v_mul_f64 v[154:155], v[154:155], v[114:115]
	v_add_f64 v[104:105], v[104:105], -v[112:113]
	s_delay_alu instid0(VALU_DEP_2) | instskip(NEXT) | instid1(VALU_DEP_1)
	v_fma_f64 v[154:155], v[156:157], v[152:153], v[154:155]
	v_add_f64 v[106:107], v[106:107], -v[154:155]
	;; [unrolled: 10-line block ×27, first 2 shown]
	ds_load_2addr_b64 v[154:157], v204 offset0:74 offset1:75
	s_waitcnt lgkmcnt(0)
	v_mul_f64 v[112:113], v[156:157], v[114:115]
	s_delay_alu instid0(VALU_DEP_1) | instskip(SKIP_1) | instid1(VALU_DEP_2)
	v_fma_f64 v[112:113], v[154:155], v[152:153], -v[112:113]
	v_mul_f64 v[154:155], v[154:155], v[114:115]
	v_add_f64 v[0:1], v[0:1], -v[112:113]
	s_delay_alu instid0(VALU_DEP_2) | instskip(SKIP_1) | instid1(VALU_DEP_2)
	v_fma_f64 v[154:155], v[156:157], v[152:153], v[154:155]
	v_dual_mov_b32 v112, v152 :: v_dual_mov_b32 v113, v153
	v_add_f64 v[2:3], v[2:3], -v[154:155]
.LBB75_91:
	s_or_b32 exec_lo, exec_lo, s3
	s_delay_alu instid0(SALU_CYCLE_1)
	s_mov_b32 s4, exec_lo
	s_waitcnt_vscnt null, 0x0
	s_barrier
	buffer_gl0_inv
	v_cmpx_eq_u32_e32 10, v202
	s_cbranch_execz .LBB75_98
; %bb.92:
	ds_store_2addr_b64 v203, v[108:109], v[110:111] offset1:1
	ds_store_2addr_b64 v204, v[104:105], v[106:107] offset0:22 offset1:23
	ds_store_2addr_b64 v204, v[100:101], v[102:103] offset0:24 offset1:25
	;; [unrolled: 1-line block ×27, first 2 shown]
	ds_load_2addr_b64 v[152:155], v203 offset1:1
	s_waitcnt lgkmcnt(0)
	v_cmp_neq_f64_e32 vcc_lo, 0, v[152:153]
	v_cmp_neq_f64_e64 s3, 0, v[154:155]
	s_delay_alu instid0(VALU_DEP_1) | instskip(NEXT) | instid1(SALU_CYCLE_1)
	s_or_b32 s3, vcc_lo, s3
	s_and_b32 exec_lo, exec_lo, s3
	s_cbranch_execz .LBB75_98
; %bb.93:
	v_cmp_gt_f64_e32 vcc_lo, 0, v[152:153]
	v_xor_b32_e32 v156, 0x80000000, v153
	v_xor_b32_e32 v158, 0x80000000, v155
	s_mov_b32 s3, exec_lo
                                        ; implicit-def: $vgpr160_vgpr161
	s_delay_alu instid0(VALU_DEP_2) | instskip(SKIP_4) | instid1(VALU_DEP_1)
	v_cndmask_b32_e32 v157, v153, v156, vcc_lo
	v_cndmask_b32_e32 v156, v152, v152, vcc_lo
	v_cmp_gt_f64_e32 vcc_lo, 0, v[154:155]
	v_cndmask_b32_e32 v159, v155, v158, vcc_lo
	v_cndmask_b32_e32 v158, v154, v154, vcc_lo
	v_cmpx_ngt_f64_e32 v[156:157], v[158:159]
	s_xor_b32 s3, exec_lo, s3
                                        ; implicit-def: $vgpr156_vgpr157_vgpr158_vgpr159
	s_cbranch_execz .LBB75_95
; %bb.94:
	v_div_scale_f64 v[156:157], null, v[154:155], v[154:155], v[152:153]
	v_div_scale_f64 v[162:163], vcc_lo, v[152:153], v[154:155], v[152:153]
	s_delay_alu instid0(VALU_DEP_2) | instskip(SKIP_2) | instid1(VALU_DEP_1)
	v_rcp_f64_e32 v[158:159], v[156:157]
	s_waitcnt_depctr 0xfff
	v_fma_f64 v[160:161], -v[156:157], v[158:159], 1.0
	v_fma_f64 v[158:159], v[158:159], v[160:161], v[158:159]
	s_delay_alu instid0(VALU_DEP_1) | instskip(NEXT) | instid1(VALU_DEP_1)
	v_fma_f64 v[160:161], -v[156:157], v[158:159], 1.0
	v_fma_f64 v[158:159], v[158:159], v[160:161], v[158:159]
	s_delay_alu instid0(VALU_DEP_1) | instskip(NEXT) | instid1(VALU_DEP_1)
	v_mul_f64 v[160:161], v[162:163], v[158:159]
	v_fma_f64 v[156:157], -v[156:157], v[160:161], v[162:163]
	s_delay_alu instid0(VALU_DEP_1) | instskip(NEXT) | instid1(VALU_DEP_1)
	v_div_fmas_f64 v[156:157], v[156:157], v[158:159], v[160:161]
	v_div_fixup_f64 v[156:157], v[156:157], v[154:155], v[152:153]
	s_delay_alu instid0(VALU_DEP_1) | instskip(NEXT) | instid1(VALU_DEP_1)
	v_fma_f64 v[152:153], v[152:153], v[156:157], v[154:155]
	v_div_scale_f64 v[154:155], null, v[152:153], v[152:153], 1.0
	s_delay_alu instid0(VALU_DEP_1) | instskip(SKIP_2) | instid1(VALU_DEP_1)
	v_rcp_f64_e32 v[158:159], v[154:155]
	s_waitcnt_depctr 0xfff
	v_fma_f64 v[160:161], -v[154:155], v[158:159], 1.0
	v_fma_f64 v[158:159], v[158:159], v[160:161], v[158:159]
	s_delay_alu instid0(VALU_DEP_1) | instskip(NEXT) | instid1(VALU_DEP_1)
	v_fma_f64 v[160:161], -v[154:155], v[158:159], 1.0
	v_fma_f64 v[158:159], v[158:159], v[160:161], v[158:159]
	v_div_scale_f64 v[160:161], vcc_lo, 1.0, v[152:153], 1.0
	s_delay_alu instid0(VALU_DEP_1) | instskip(NEXT) | instid1(VALU_DEP_1)
	v_mul_f64 v[162:163], v[160:161], v[158:159]
	v_fma_f64 v[154:155], -v[154:155], v[162:163], v[160:161]
	s_delay_alu instid0(VALU_DEP_1) | instskip(NEXT) | instid1(VALU_DEP_1)
	v_div_fmas_f64 v[154:155], v[154:155], v[158:159], v[162:163]
	v_div_fixup_f64 v[158:159], v[154:155], v[152:153], 1.0
                                        ; implicit-def: $vgpr152_vgpr153
	s_delay_alu instid0(VALU_DEP_1)
	v_mul_f64 v[160:161], v[156:157], v[158:159]
	v_xor_b32_e32 v159, 0x80000000, v159
.LBB75_95:
	s_and_not1_saveexec_b32 s3, s3
	s_cbranch_execz .LBB75_97
; %bb.96:
	v_div_scale_f64 v[156:157], null, v[152:153], v[152:153], v[154:155]
	v_div_scale_f64 v[162:163], vcc_lo, v[154:155], v[152:153], v[154:155]
	s_delay_alu instid0(VALU_DEP_2) | instskip(SKIP_2) | instid1(VALU_DEP_1)
	v_rcp_f64_e32 v[158:159], v[156:157]
	s_waitcnt_depctr 0xfff
	v_fma_f64 v[160:161], -v[156:157], v[158:159], 1.0
	v_fma_f64 v[158:159], v[158:159], v[160:161], v[158:159]
	s_delay_alu instid0(VALU_DEP_1) | instskip(NEXT) | instid1(VALU_DEP_1)
	v_fma_f64 v[160:161], -v[156:157], v[158:159], 1.0
	v_fma_f64 v[158:159], v[158:159], v[160:161], v[158:159]
	s_delay_alu instid0(VALU_DEP_1) | instskip(NEXT) | instid1(VALU_DEP_1)
	v_mul_f64 v[160:161], v[162:163], v[158:159]
	v_fma_f64 v[156:157], -v[156:157], v[160:161], v[162:163]
	s_delay_alu instid0(VALU_DEP_1) | instskip(NEXT) | instid1(VALU_DEP_1)
	v_div_fmas_f64 v[156:157], v[156:157], v[158:159], v[160:161]
	v_div_fixup_f64 v[156:157], v[156:157], v[152:153], v[154:155]
	s_delay_alu instid0(VALU_DEP_1) | instskip(NEXT) | instid1(VALU_DEP_1)
	v_fma_f64 v[152:153], v[154:155], v[156:157], v[152:153]
	v_div_scale_f64 v[154:155], null, v[152:153], v[152:153], 1.0
	s_delay_alu instid0(VALU_DEP_1) | instskip(SKIP_2) | instid1(VALU_DEP_1)
	v_rcp_f64_e32 v[158:159], v[154:155]
	s_waitcnt_depctr 0xfff
	v_fma_f64 v[160:161], -v[154:155], v[158:159], 1.0
	v_fma_f64 v[158:159], v[158:159], v[160:161], v[158:159]
	s_delay_alu instid0(VALU_DEP_1) | instskip(NEXT) | instid1(VALU_DEP_1)
	v_fma_f64 v[160:161], -v[154:155], v[158:159], 1.0
	v_fma_f64 v[158:159], v[158:159], v[160:161], v[158:159]
	v_div_scale_f64 v[160:161], vcc_lo, 1.0, v[152:153], 1.0
	s_delay_alu instid0(VALU_DEP_1) | instskip(NEXT) | instid1(VALU_DEP_1)
	v_mul_f64 v[162:163], v[160:161], v[158:159]
	v_fma_f64 v[154:155], -v[154:155], v[162:163], v[160:161]
	s_delay_alu instid0(VALU_DEP_1) | instskip(NEXT) | instid1(VALU_DEP_1)
	v_div_fmas_f64 v[154:155], v[154:155], v[158:159], v[162:163]
	v_div_fixup_f64 v[160:161], v[154:155], v[152:153], 1.0
	s_delay_alu instid0(VALU_DEP_1)
	v_mul_f64 v[158:159], v[156:157], -v[160:161]
.LBB75_97:
	s_or_b32 exec_lo, exec_lo, s3
	ds_store_2addr_b64 v203, v[160:161], v[158:159] offset1:1
.LBB75_98:
	s_or_b32 exec_lo, exec_lo, s4
	s_waitcnt lgkmcnt(0)
	s_barrier
	buffer_gl0_inv
	ds_load_2addr_b64 v[152:155], v203 offset1:1
	s_mov_b32 s3, exec_lo
	s_waitcnt lgkmcnt(0)
	scratch_store_b128 off, v[152:155], off offset:272 ; 16-byte Folded Spill
	v_cmpx_lt_u32_e32 10, v202
	s_cbranch_execz .LBB75_100
; %bb.99:
	scratch_load_b128 v[154:157], off, off offset:272 ; 16-byte Folded Reload
	s_waitcnt vmcnt(0)
	v_mul_f64 v[152:153], v[156:157], v[110:111]
	v_mul_f64 v[110:111], v[154:155], v[110:111]
	s_delay_alu instid0(VALU_DEP_2) | instskip(NEXT) | instid1(VALU_DEP_2)
	v_fma_f64 v[152:153], v[154:155], v[108:109], -v[152:153]
	v_fma_f64 v[110:111], v[156:157], v[108:109], v[110:111]
	ds_load_2addr_b64 v[154:157], v204 offset0:22 offset1:23
	s_waitcnt lgkmcnt(0)
	v_mul_f64 v[108:109], v[156:157], v[110:111]
	s_delay_alu instid0(VALU_DEP_1) | instskip(SKIP_1) | instid1(VALU_DEP_2)
	v_fma_f64 v[108:109], v[154:155], v[152:153], -v[108:109]
	v_mul_f64 v[154:155], v[154:155], v[110:111]
	v_add_f64 v[104:105], v[104:105], -v[108:109]
	s_delay_alu instid0(VALU_DEP_2) | instskip(NEXT) | instid1(VALU_DEP_1)
	v_fma_f64 v[154:155], v[156:157], v[152:153], v[154:155]
	v_add_f64 v[106:107], v[106:107], -v[154:155]
	ds_load_2addr_b64 v[154:157], v204 offset0:24 offset1:25
	s_waitcnt lgkmcnt(0)
	v_mul_f64 v[108:109], v[156:157], v[110:111]
	s_delay_alu instid0(VALU_DEP_1) | instskip(SKIP_1) | instid1(VALU_DEP_2)
	v_fma_f64 v[108:109], v[154:155], v[152:153], -v[108:109]
	v_mul_f64 v[154:155], v[154:155], v[110:111]
	v_add_f64 v[100:101], v[100:101], -v[108:109]
	s_delay_alu instid0(VALU_DEP_2) | instskip(NEXT) | instid1(VALU_DEP_1)
	v_fma_f64 v[154:155], v[156:157], v[152:153], v[154:155]
	v_add_f64 v[102:103], v[102:103], -v[154:155]
	;; [unrolled: 10-line block ×26, first 2 shown]
	ds_load_2addr_b64 v[154:157], v204 offset0:74 offset1:75
	s_waitcnt lgkmcnt(0)
	v_mul_f64 v[108:109], v[156:157], v[110:111]
	s_delay_alu instid0(VALU_DEP_1) | instskip(SKIP_1) | instid1(VALU_DEP_2)
	v_fma_f64 v[108:109], v[154:155], v[152:153], -v[108:109]
	v_mul_f64 v[154:155], v[154:155], v[110:111]
	v_add_f64 v[0:1], v[0:1], -v[108:109]
	s_delay_alu instid0(VALU_DEP_2) | instskip(SKIP_1) | instid1(VALU_DEP_2)
	v_fma_f64 v[154:155], v[156:157], v[152:153], v[154:155]
	v_dual_mov_b32 v108, v152 :: v_dual_mov_b32 v109, v153
	v_add_f64 v[2:3], v[2:3], -v[154:155]
.LBB75_100:
	s_or_b32 exec_lo, exec_lo, s3
	s_delay_alu instid0(SALU_CYCLE_1)
	s_mov_b32 s4, exec_lo
	s_waitcnt_vscnt null, 0x0
	s_barrier
	buffer_gl0_inv
	v_cmpx_eq_u32_e32 11, v202
	s_cbranch_execz .LBB75_107
; %bb.101:
	ds_store_2addr_b64 v203, v[104:105], v[106:107] offset1:1
	ds_store_2addr_b64 v204, v[100:101], v[102:103] offset0:24 offset1:25
	ds_store_2addr_b64 v204, v[96:97], v[98:99] offset0:26 offset1:27
	;; [unrolled: 1-line block ×26, first 2 shown]
	ds_load_2addr_b64 v[152:155], v203 offset1:1
	s_waitcnt lgkmcnt(0)
	v_cmp_neq_f64_e32 vcc_lo, 0, v[152:153]
	v_cmp_neq_f64_e64 s3, 0, v[154:155]
	s_delay_alu instid0(VALU_DEP_1) | instskip(NEXT) | instid1(SALU_CYCLE_1)
	s_or_b32 s3, vcc_lo, s3
	s_and_b32 exec_lo, exec_lo, s3
	s_cbranch_execz .LBB75_107
; %bb.102:
	v_cmp_gt_f64_e32 vcc_lo, 0, v[152:153]
	v_xor_b32_e32 v156, 0x80000000, v153
	v_xor_b32_e32 v158, 0x80000000, v155
	s_mov_b32 s3, exec_lo
                                        ; implicit-def: $vgpr160_vgpr161
	s_delay_alu instid0(VALU_DEP_2) | instskip(SKIP_4) | instid1(VALU_DEP_1)
	v_cndmask_b32_e32 v157, v153, v156, vcc_lo
	v_cndmask_b32_e32 v156, v152, v152, vcc_lo
	v_cmp_gt_f64_e32 vcc_lo, 0, v[154:155]
	v_cndmask_b32_e32 v159, v155, v158, vcc_lo
	v_cndmask_b32_e32 v158, v154, v154, vcc_lo
	v_cmpx_ngt_f64_e32 v[156:157], v[158:159]
	s_xor_b32 s3, exec_lo, s3
                                        ; implicit-def: $vgpr156_vgpr157_vgpr158_vgpr159
	s_cbranch_execz .LBB75_104
; %bb.103:
	v_div_scale_f64 v[156:157], null, v[154:155], v[154:155], v[152:153]
	v_div_scale_f64 v[162:163], vcc_lo, v[152:153], v[154:155], v[152:153]
	s_delay_alu instid0(VALU_DEP_2) | instskip(SKIP_2) | instid1(VALU_DEP_1)
	v_rcp_f64_e32 v[158:159], v[156:157]
	s_waitcnt_depctr 0xfff
	v_fma_f64 v[160:161], -v[156:157], v[158:159], 1.0
	v_fma_f64 v[158:159], v[158:159], v[160:161], v[158:159]
	s_delay_alu instid0(VALU_DEP_1) | instskip(NEXT) | instid1(VALU_DEP_1)
	v_fma_f64 v[160:161], -v[156:157], v[158:159], 1.0
	v_fma_f64 v[158:159], v[158:159], v[160:161], v[158:159]
	s_delay_alu instid0(VALU_DEP_1) | instskip(NEXT) | instid1(VALU_DEP_1)
	v_mul_f64 v[160:161], v[162:163], v[158:159]
	v_fma_f64 v[156:157], -v[156:157], v[160:161], v[162:163]
	s_delay_alu instid0(VALU_DEP_1) | instskip(NEXT) | instid1(VALU_DEP_1)
	v_div_fmas_f64 v[156:157], v[156:157], v[158:159], v[160:161]
	v_div_fixup_f64 v[156:157], v[156:157], v[154:155], v[152:153]
	s_delay_alu instid0(VALU_DEP_1) | instskip(NEXT) | instid1(VALU_DEP_1)
	v_fma_f64 v[152:153], v[152:153], v[156:157], v[154:155]
	v_div_scale_f64 v[154:155], null, v[152:153], v[152:153], 1.0
	s_delay_alu instid0(VALU_DEP_1) | instskip(SKIP_2) | instid1(VALU_DEP_1)
	v_rcp_f64_e32 v[158:159], v[154:155]
	s_waitcnt_depctr 0xfff
	v_fma_f64 v[160:161], -v[154:155], v[158:159], 1.0
	v_fma_f64 v[158:159], v[158:159], v[160:161], v[158:159]
	s_delay_alu instid0(VALU_DEP_1) | instskip(NEXT) | instid1(VALU_DEP_1)
	v_fma_f64 v[160:161], -v[154:155], v[158:159], 1.0
	v_fma_f64 v[158:159], v[158:159], v[160:161], v[158:159]
	v_div_scale_f64 v[160:161], vcc_lo, 1.0, v[152:153], 1.0
	s_delay_alu instid0(VALU_DEP_1) | instskip(NEXT) | instid1(VALU_DEP_1)
	v_mul_f64 v[162:163], v[160:161], v[158:159]
	v_fma_f64 v[154:155], -v[154:155], v[162:163], v[160:161]
	s_delay_alu instid0(VALU_DEP_1) | instskip(NEXT) | instid1(VALU_DEP_1)
	v_div_fmas_f64 v[154:155], v[154:155], v[158:159], v[162:163]
	v_div_fixup_f64 v[158:159], v[154:155], v[152:153], 1.0
                                        ; implicit-def: $vgpr152_vgpr153
	s_delay_alu instid0(VALU_DEP_1)
	v_mul_f64 v[160:161], v[156:157], v[158:159]
	v_xor_b32_e32 v159, 0x80000000, v159
.LBB75_104:
	s_and_not1_saveexec_b32 s3, s3
	s_cbranch_execz .LBB75_106
; %bb.105:
	v_div_scale_f64 v[156:157], null, v[152:153], v[152:153], v[154:155]
	v_div_scale_f64 v[162:163], vcc_lo, v[154:155], v[152:153], v[154:155]
	s_delay_alu instid0(VALU_DEP_2) | instskip(SKIP_2) | instid1(VALU_DEP_1)
	v_rcp_f64_e32 v[158:159], v[156:157]
	s_waitcnt_depctr 0xfff
	v_fma_f64 v[160:161], -v[156:157], v[158:159], 1.0
	v_fma_f64 v[158:159], v[158:159], v[160:161], v[158:159]
	s_delay_alu instid0(VALU_DEP_1) | instskip(NEXT) | instid1(VALU_DEP_1)
	v_fma_f64 v[160:161], -v[156:157], v[158:159], 1.0
	v_fma_f64 v[158:159], v[158:159], v[160:161], v[158:159]
	s_delay_alu instid0(VALU_DEP_1) | instskip(NEXT) | instid1(VALU_DEP_1)
	v_mul_f64 v[160:161], v[162:163], v[158:159]
	v_fma_f64 v[156:157], -v[156:157], v[160:161], v[162:163]
	s_delay_alu instid0(VALU_DEP_1) | instskip(NEXT) | instid1(VALU_DEP_1)
	v_div_fmas_f64 v[156:157], v[156:157], v[158:159], v[160:161]
	v_div_fixup_f64 v[156:157], v[156:157], v[152:153], v[154:155]
	s_delay_alu instid0(VALU_DEP_1) | instskip(NEXT) | instid1(VALU_DEP_1)
	v_fma_f64 v[152:153], v[154:155], v[156:157], v[152:153]
	v_div_scale_f64 v[154:155], null, v[152:153], v[152:153], 1.0
	s_delay_alu instid0(VALU_DEP_1) | instskip(SKIP_2) | instid1(VALU_DEP_1)
	v_rcp_f64_e32 v[158:159], v[154:155]
	s_waitcnt_depctr 0xfff
	v_fma_f64 v[160:161], -v[154:155], v[158:159], 1.0
	v_fma_f64 v[158:159], v[158:159], v[160:161], v[158:159]
	s_delay_alu instid0(VALU_DEP_1) | instskip(NEXT) | instid1(VALU_DEP_1)
	v_fma_f64 v[160:161], -v[154:155], v[158:159], 1.0
	v_fma_f64 v[158:159], v[158:159], v[160:161], v[158:159]
	v_div_scale_f64 v[160:161], vcc_lo, 1.0, v[152:153], 1.0
	s_delay_alu instid0(VALU_DEP_1) | instskip(NEXT) | instid1(VALU_DEP_1)
	v_mul_f64 v[162:163], v[160:161], v[158:159]
	v_fma_f64 v[154:155], -v[154:155], v[162:163], v[160:161]
	s_delay_alu instid0(VALU_DEP_1) | instskip(NEXT) | instid1(VALU_DEP_1)
	v_div_fmas_f64 v[154:155], v[154:155], v[158:159], v[162:163]
	v_div_fixup_f64 v[160:161], v[154:155], v[152:153], 1.0
	s_delay_alu instid0(VALU_DEP_1)
	v_mul_f64 v[158:159], v[156:157], -v[160:161]
.LBB75_106:
	s_or_b32 exec_lo, exec_lo, s3
	ds_store_2addr_b64 v203, v[160:161], v[158:159] offset1:1
.LBB75_107:
	s_or_b32 exec_lo, exec_lo, s4
	s_waitcnt lgkmcnt(0)
	s_barrier
	buffer_gl0_inv
	ds_load_2addr_b64 v[152:155], v203 offset1:1
	s_mov_b32 s3, exec_lo
	s_waitcnt lgkmcnt(0)
	scratch_store_b128 off, v[152:155], off offset:288 ; 16-byte Folded Spill
	v_cmpx_lt_u32_e32 11, v202
	s_cbranch_execz .LBB75_109
; %bb.108:
	scratch_load_b128 v[154:157], off, off offset:288 ; 16-byte Folded Reload
	s_waitcnt vmcnt(0)
	v_mul_f64 v[152:153], v[156:157], v[106:107]
	v_mul_f64 v[106:107], v[154:155], v[106:107]
	s_delay_alu instid0(VALU_DEP_2) | instskip(NEXT) | instid1(VALU_DEP_2)
	v_fma_f64 v[152:153], v[154:155], v[104:105], -v[152:153]
	v_fma_f64 v[106:107], v[156:157], v[104:105], v[106:107]
	ds_load_2addr_b64 v[154:157], v204 offset0:24 offset1:25
	s_waitcnt lgkmcnt(0)
	v_mul_f64 v[104:105], v[156:157], v[106:107]
	s_delay_alu instid0(VALU_DEP_1) | instskip(SKIP_1) | instid1(VALU_DEP_2)
	v_fma_f64 v[104:105], v[154:155], v[152:153], -v[104:105]
	v_mul_f64 v[154:155], v[154:155], v[106:107]
	v_add_f64 v[100:101], v[100:101], -v[104:105]
	s_delay_alu instid0(VALU_DEP_2) | instskip(NEXT) | instid1(VALU_DEP_1)
	v_fma_f64 v[154:155], v[156:157], v[152:153], v[154:155]
	v_add_f64 v[102:103], v[102:103], -v[154:155]
	ds_load_2addr_b64 v[154:157], v204 offset0:26 offset1:27
	s_waitcnt lgkmcnt(0)
	v_mul_f64 v[104:105], v[156:157], v[106:107]
	s_delay_alu instid0(VALU_DEP_1) | instskip(SKIP_1) | instid1(VALU_DEP_2)
	v_fma_f64 v[104:105], v[154:155], v[152:153], -v[104:105]
	v_mul_f64 v[154:155], v[154:155], v[106:107]
	v_add_f64 v[96:97], v[96:97], -v[104:105]
	s_delay_alu instid0(VALU_DEP_2) | instskip(NEXT) | instid1(VALU_DEP_1)
	v_fma_f64 v[154:155], v[156:157], v[152:153], v[154:155]
	v_add_f64 v[98:99], v[98:99], -v[154:155]
	ds_load_2addr_b64 v[154:157], v204 offset0:28 offset1:29
	s_waitcnt lgkmcnt(0)
	v_mul_f64 v[104:105], v[156:157], v[106:107]
	s_delay_alu instid0(VALU_DEP_1) | instskip(SKIP_1) | instid1(VALU_DEP_2)
	v_fma_f64 v[104:105], v[154:155], v[152:153], -v[104:105]
	v_mul_f64 v[154:155], v[154:155], v[106:107]
	v_add_f64 v[92:93], v[92:93], -v[104:105]
	s_delay_alu instid0(VALU_DEP_2) | instskip(NEXT) | instid1(VALU_DEP_1)
	v_fma_f64 v[154:155], v[156:157], v[152:153], v[154:155]
	v_add_f64 v[94:95], v[94:95], -v[154:155]
	ds_load_2addr_b64 v[154:157], v204 offset0:30 offset1:31
	s_waitcnt lgkmcnt(0)
	v_mul_f64 v[104:105], v[156:157], v[106:107]
	s_delay_alu instid0(VALU_DEP_1) | instskip(SKIP_1) | instid1(VALU_DEP_2)
	v_fma_f64 v[104:105], v[154:155], v[152:153], -v[104:105]
	v_mul_f64 v[154:155], v[154:155], v[106:107]
	v_add_f64 v[88:89], v[88:89], -v[104:105]
	s_delay_alu instid0(VALU_DEP_2) | instskip(NEXT) | instid1(VALU_DEP_1)
	v_fma_f64 v[154:155], v[156:157], v[152:153], v[154:155]
	v_add_f64 v[90:91], v[90:91], -v[154:155]
	ds_load_2addr_b64 v[154:157], v204 offset0:32 offset1:33
	s_waitcnt lgkmcnt(0)
	v_mul_f64 v[104:105], v[156:157], v[106:107]
	s_delay_alu instid0(VALU_DEP_1) | instskip(SKIP_1) | instid1(VALU_DEP_2)
	v_fma_f64 v[104:105], v[154:155], v[152:153], -v[104:105]
	v_mul_f64 v[154:155], v[154:155], v[106:107]
	v_add_f64 v[84:85], v[84:85], -v[104:105]
	s_delay_alu instid0(VALU_DEP_2) | instskip(NEXT) | instid1(VALU_DEP_1)
	v_fma_f64 v[154:155], v[156:157], v[152:153], v[154:155]
	v_add_f64 v[86:87], v[86:87], -v[154:155]
	ds_load_2addr_b64 v[154:157], v204 offset0:34 offset1:35
	s_waitcnt lgkmcnt(0)
	v_mul_f64 v[104:105], v[156:157], v[106:107]
	s_delay_alu instid0(VALU_DEP_1) | instskip(SKIP_1) | instid1(VALU_DEP_2)
	v_fma_f64 v[104:105], v[154:155], v[152:153], -v[104:105]
	v_mul_f64 v[154:155], v[154:155], v[106:107]
	v_add_f64 v[80:81], v[80:81], -v[104:105]
	s_delay_alu instid0(VALU_DEP_2) | instskip(NEXT) | instid1(VALU_DEP_1)
	v_fma_f64 v[154:155], v[156:157], v[152:153], v[154:155]
	v_add_f64 v[82:83], v[82:83], -v[154:155]
	ds_load_2addr_b64 v[154:157], v204 offset0:36 offset1:37
	s_waitcnt lgkmcnt(0)
	v_mul_f64 v[104:105], v[156:157], v[106:107]
	s_delay_alu instid0(VALU_DEP_1) | instskip(SKIP_1) | instid1(VALU_DEP_2)
	v_fma_f64 v[104:105], v[154:155], v[152:153], -v[104:105]
	v_mul_f64 v[154:155], v[154:155], v[106:107]
	v_add_f64 v[76:77], v[76:77], -v[104:105]
	s_delay_alu instid0(VALU_DEP_2) | instskip(NEXT) | instid1(VALU_DEP_1)
	v_fma_f64 v[154:155], v[156:157], v[152:153], v[154:155]
	v_add_f64 v[78:79], v[78:79], -v[154:155]
	ds_load_2addr_b64 v[154:157], v204 offset0:38 offset1:39
	s_waitcnt lgkmcnt(0)
	v_mul_f64 v[104:105], v[156:157], v[106:107]
	s_delay_alu instid0(VALU_DEP_1) | instskip(SKIP_1) | instid1(VALU_DEP_2)
	v_fma_f64 v[104:105], v[154:155], v[152:153], -v[104:105]
	v_mul_f64 v[154:155], v[154:155], v[106:107]
	v_add_f64 v[72:73], v[72:73], -v[104:105]
	s_delay_alu instid0(VALU_DEP_2) | instskip(NEXT) | instid1(VALU_DEP_1)
	v_fma_f64 v[154:155], v[156:157], v[152:153], v[154:155]
	v_add_f64 v[74:75], v[74:75], -v[154:155]
	ds_load_2addr_b64 v[154:157], v204 offset0:40 offset1:41
	s_waitcnt lgkmcnt(0)
	v_mul_f64 v[104:105], v[156:157], v[106:107]
	s_delay_alu instid0(VALU_DEP_1) | instskip(SKIP_1) | instid1(VALU_DEP_2)
	v_fma_f64 v[104:105], v[154:155], v[152:153], -v[104:105]
	v_mul_f64 v[154:155], v[154:155], v[106:107]
	v_add_f64 v[68:69], v[68:69], -v[104:105]
	s_delay_alu instid0(VALU_DEP_2) | instskip(NEXT) | instid1(VALU_DEP_1)
	v_fma_f64 v[154:155], v[156:157], v[152:153], v[154:155]
	v_add_f64 v[70:71], v[70:71], -v[154:155]
	ds_load_2addr_b64 v[154:157], v204 offset0:42 offset1:43
	s_waitcnt lgkmcnt(0)
	v_mul_f64 v[104:105], v[156:157], v[106:107]
	s_delay_alu instid0(VALU_DEP_1) | instskip(SKIP_1) | instid1(VALU_DEP_2)
	v_fma_f64 v[104:105], v[154:155], v[152:153], -v[104:105]
	v_mul_f64 v[154:155], v[154:155], v[106:107]
	v_add_f64 v[64:65], v[64:65], -v[104:105]
	s_delay_alu instid0(VALU_DEP_2) | instskip(NEXT) | instid1(VALU_DEP_1)
	v_fma_f64 v[154:155], v[156:157], v[152:153], v[154:155]
	v_add_f64 v[66:67], v[66:67], -v[154:155]
	ds_load_2addr_b64 v[154:157], v204 offset0:44 offset1:45
	s_waitcnt lgkmcnt(0)
	v_mul_f64 v[104:105], v[156:157], v[106:107]
	s_delay_alu instid0(VALU_DEP_1) | instskip(SKIP_1) | instid1(VALU_DEP_2)
	v_fma_f64 v[104:105], v[154:155], v[152:153], -v[104:105]
	v_mul_f64 v[154:155], v[154:155], v[106:107]
	v_add_f64 v[60:61], v[60:61], -v[104:105]
	s_delay_alu instid0(VALU_DEP_2) | instskip(NEXT) | instid1(VALU_DEP_1)
	v_fma_f64 v[154:155], v[156:157], v[152:153], v[154:155]
	v_add_f64 v[62:63], v[62:63], -v[154:155]
	ds_load_2addr_b64 v[154:157], v204 offset0:46 offset1:47
	s_waitcnt lgkmcnt(0)
	v_mul_f64 v[104:105], v[156:157], v[106:107]
	s_delay_alu instid0(VALU_DEP_1) | instskip(SKIP_1) | instid1(VALU_DEP_2)
	v_fma_f64 v[104:105], v[154:155], v[152:153], -v[104:105]
	v_mul_f64 v[154:155], v[154:155], v[106:107]
	v_add_f64 v[56:57], v[56:57], -v[104:105]
	s_delay_alu instid0(VALU_DEP_2) | instskip(NEXT) | instid1(VALU_DEP_1)
	v_fma_f64 v[154:155], v[156:157], v[152:153], v[154:155]
	v_add_f64 v[58:59], v[58:59], -v[154:155]
	ds_load_2addr_b64 v[154:157], v204 offset0:48 offset1:49
	s_waitcnt lgkmcnt(0)
	v_mul_f64 v[104:105], v[156:157], v[106:107]
	s_delay_alu instid0(VALU_DEP_1) | instskip(SKIP_1) | instid1(VALU_DEP_2)
	v_fma_f64 v[104:105], v[154:155], v[152:153], -v[104:105]
	v_mul_f64 v[154:155], v[154:155], v[106:107]
	v_add_f64 v[52:53], v[52:53], -v[104:105]
	s_delay_alu instid0(VALU_DEP_2) | instskip(NEXT) | instid1(VALU_DEP_1)
	v_fma_f64 v[154:155], v[156:157], v[152:153], v[154:155]
	v_add_f64 v[54:55], v[54:55], -v[154:155]
	ds_load_2addr_b64 v[154:157], v204 offset0:50 offset1:51
	s_waitcnt lgkmcnt(0)
	v_mul_f64 v[104:105], v[156:157], v[106:107]
	s_delay_alu instid0(VALU_DEP_1) | instskip(SKIP_1) | instid1(VALU_DEP_2)
	v_fma_f64 v[104:105], v[154:155], v[152:153], -v[104:105]
	v_mul_f64 v[154:155], v[154:155], v[106:107]
	v_add_f64 v[48:49], v[48:49], -v[104:105]
	s_delay_alu instid0(VALU_DEP_2) | instskip(NEXT) | instid1(VALU_DEP_1)
	v_fma_f64 v[154:155], v[156:157], v[152:153], v[154:155]
	v_add_f64 v[50:51], v[50:51], -v[154:155]
	ds_load_2addr_b64 v[154:157], v204 offset0:52 offset1:53
	s_waitcnt lgkmcnt(0)
	v_mul_f64 v[104:105], v[156:157], v[106:107]
	s_delay_alu instid0(VALU_DEP_1) | instskip(SKIP_1) | instid1(VALU_DEP_2)
	v_fma_f64 v[104:105], v[154:155], v[152:153], -v[104:105]
	v_mul_f64 v[154:155], v[154:155], v[106:107]
	v_add_f64 v[44:45], v[44:45], -v[104:105]
	s_delay_alu instid0(VALU_DEP_2) | instskip(NEXT) | instid1(VALU_DEP_1)
	v_fma_f64 v[154:155], v[156:157], v[152:153], v[154:155]
	v_add_f64 v[46:47], v[46:47], -v[154:155]
	ds_load_2addr_b64 v[154:157], v204 offset0:54 offset1:55
	s_waitcnt lgkmcnt(0)
	v_mul_f64 v[104:105], v[156:157], v[106:107]
	s_delay_alu instid0(VALU_DEP_1) | instskip(SKIP_1) | instid1(VALU_DEP_2)
	v_fma_f64 v[104:105], v[154:155], v[152:153], -v[104:105]
	v_mul_f64 v[154:155], v[154:155], v[106:107]
	v_add_f64 v[40:41], v[40:41], -v[104:105]
	s_delay_alu instid0(VALU_DEP_2) | instskip(NEXT) | instid1(VALU_DEP_1)
	v_fma_f64 v[154:155], v[156:157], v[152:153], v[154:155]
	v_add_f64 v[42:43], v[42:43], -v[154:155]
	ds_load_2addr_b64 v[154:157], v204 offset0:56 offset1:57
	s_waitcnt lgkmcnt(0)
	v_mul_f64 v[104:105], v[156:157], v[106:107]
	s_delay_alu instid0(VALU_DEP_1) | instskip(SKIP_1) | instid1(VALU_DEP_2)
	v_fma_f64 v[104:105], v[154:155], v[152:153], -v[104:105]
	v_mul_f64 v[154:155], v[154:155], v[106:107]
	v_add_f64 v[36:37], v[36:37], -v[104:105]
	s_delay_alu instid0(VALU_DEP_2) | instskip(NEXT) | instid1(VALU_DEP_1)
	v_fma_f64 v[154:155], v[156:157], v[152:153], v[154:155]
	v_add_f64 v[38:39], v[38:39], -v[154:155]
	ds_load_2addr_b64 v[154:157], v204 offset0:58 offset1:59
	s_waitcnt lgkmcnt(0)
	v_mul_f64 v[104:105], v[156:157], v[106:107]
	s_delay_alu instid0(VALU_DEP_1) | instskip(SKIP_1) | instid1(VALU_DEP_2)
	v_fma_f64 v[104:105], v[154:155], v[152:153], -v[104:105]
	v_mul_f64 v[154:155], v[154:155], v[106:107]
	v_add_f64 v[32:33], v[32:33], -v[104:105]
	s_delay_alu instid0(VALU_DEP_2) | instskip(NEXT) | instid1(VALU_DEP_1)
	v_fma_f64 v[154:155], v[156:157], v[152:153], v[154:155]
	v_add_f64 v[34:35], v[34:35], -v[154:155]
	ds_load_2addr_b64 v[154:157], v204 offset0:60 offset1:61
	s_waitcnt lgkmcnt(0)
	v_mul_f64 v[104:105], v[156:157], v[106:107]
	s_delay_alu instid0(VALU_DEP_1) | instskip(SKIP_1) | instid1(VALU_DEP_2)
	v_fma_f64 v[104:105], v[154:155], v[152:153], -v[104:105]
	v_mul_f64 v[154:155], v[154:155], v[106:107]
	v_add_f64 v[28:29], v[28:29], -v[104:105]
	s_delay_alu instid0(VALU_DEP_2) | instskip(NEXT) | instid1(VALU_DEP_1)
	v_fma_f64 v[154:155], v[156:157], v[152:153], v[154:155]
	v_add_f64 v[30:31], v[30:31], -v[154:155]
	ds_load_2addr_b64 v[154:157], v204 offset0:62 offset1:63
	s_waitcnt lgkmcnt(0)
	v_mul_f64 v[104:105], v[156:157], v[106:107]
	s_delay_alu instid0(VALU_DEP_1) | instskip(SKIP_1) | instid1(VALU_DEP_2)
	v_fma_f64 v[104:105], v[154:155], v[152:153], -v[104:105]
	v_mul_f64 v[154:155], v[154:155], v[106:107]
	v_add_f64 v[24:25], v[24:25], -v[104:105]
	s_delay_alu instid0(VALU_DEP_2) | instskip(NEXT) | instid1(VALU_DEP_1)
	v_fma_f64 v[154:155], v[156:157], v[152:153], v[154:155]
	v_add_f64 v[26:27], v[26:27], -v[154:155]
	ds_load_2addr_b64 v[154:157], v204 offset0:64 offset1:65
	s_waitcnt lgkmcnt(0)
	v_mul_f64 v[104:105], v[156:157], v[106:107]
	s_delay_alu instid0(VALU_DEP_1) | instskip(SKIP_1) | instid1(VALU_DEP_2)
	v_fma_f64 v[104:105], v[154:155], v[152:153], -v[104:105]
	v_mul_f64 v[154:155], v[154:155], v[106:107]
	v_add_f64 v[20:21], v[20:21], -v[104:105]
	s_delay_alu instid0(VALU_DEP_2) | instskip(NEXT) | instid1(VALU_DEP_1)
	v_fma_f64 v[154:155], v[156:157], v[152:153], v[154:155]
	v_add_f64 v[22:23], v[22:23], -v[154:155]
	ds_load_2addr_b64 v[154:157], v204 offset0:66 offset1:67
	s_waitcnt lgkmcnt(0)
	v_mul_f64 v[104:105], v[156:157], v[106:107]
	s_delay_alu instid0(VALU_DEP_1) | instskip(SKIP_1) | instid1(VALU_DEP_2)
	v_fma_f64 v[104:105], v[154:155], v[152:153], -v[104:105]
	v_mul_f64 v[154:155], v[154:155], v[106:107]
	v_add_f64 v[16:17], v[16:17], -v[104:105]
	s_delay_alu instid0(VALU_DEP_2) | instskip(NEXT) | instid1(VALU_DEP_1)
	v_fma_f64 v[154:155], v[156:157], v[152:153], v[154:155]
	v_add_f64 v[18:19], v[18:19], -v[154:155]
	ds_load_2addr_b64 v[154:157], v204 offset0:68 offset1:69
	s_waitcnt lgkmcnt(0)
	v_mul_f64 v[104:105], v[156:157], v[106:107]
	s_delay_alu instid0(VALU_DEP_1) | instskip(SKIP_1) | instid1(VALU_DEP_2)
	v_fma_f64 v[104:105], v[154:155], v[152:153], -v[104:105]
	v_mul_f64 v[154:155], v[154:155], v[106:107]
	v_add_f64 v[12:13], v[12:13], -v[104:105]
	s_delay_alu instid0(VALU_DEP_2) | instskip(NEXT) | instid1(VALU_DEP_1)
	v_fma_f64 v[154:155], v[156:157], v[152:153], v[154:155]
	v_add_f64 v[14:15], v[14:15], -v[154:155]
	ds_load_2addr_b64 v[154:157], v204 offset0:70 offset1:71
	s_waitcnt lgkmcnt(0)
	v_mul_f64 v[104:105], v[156:157], v[106:107]
	s_delay_alu instid0(VALU_DEP_1) | instskip(SKIP_1) | instid1(VALU_DEP_2)
	v_fma_f64 v[104:105], v[154:155], v[152:153], -v[104:105]
	v_mul_f64 v[154:155], v[154:155], v[106:107]
	v_add_f64 v[8:9], v[8:9], -v[104:105]
	s_delay_alu instid0(VALU_DEP_2) | instskip(NEXT) | instid1(VALU_DEP_1)
	v_fma_f64 v[154:155], v[156:157], v[152:153], v[154:155]
	v_add_f64 v[10:11], v[10:11], -v[154:155]
	ds_load_2addr_b64 v[154:157], v204 offset0:72 offset1:73
	s_waitcnt lgkmcnt(0)
	v_mul_f64 v[104:105], v[156:157], v[106:107]
	s_delay_alu instid0(VALU_DEP_1) | instskip(SKIP_1) | instid1(VALU_DEP_2)
	v_fma_f64 v[104:105], v[154:155], v[152:153], -v[104:105]
	v_mul_f64 v[154:155], v[154:155], v[106:107]
	v_add_f64 v[4:5], v[4:5], -v[104:105]
	s_delay_alu instid0(VALU_DEP_2) | instskip(NEXT) | instid1(VALU_DEP_1)
	v_fma_f64 v[154:155], v[156:157], v[152:153], v[154:155]
	v_add_f64 v[6:7], v[6:7], -v[154:155]
	ds_load_2addr_b64 v[154:157], v204 offset0:74 offset1:75
	s_waitcnt lgkmcnt(0)
	v_mul_f64 v[104:105], v[156:157], v[106:107]
	s_delay_alu instid0(VALU_DEP_1) | instskip(SKIP_1) | instid1(VALU_DEP_2)
	v_fma_f64 v[104:105], v[154:155], v[152:153], -v[104:105]
	v_mul_f64 v[154:155], v[154:155], v[106:107]
	v_add_f64 v[0:1], v[0:1], -v[104:105]
	s_delay_alu instid0(VALU_DEP_2) | instskip(SKIP_1) | instid1(VALU_DEP_2)
	v_fma_f64 v[154:155], v[156:157], v[152:153], v[154:155]
	v_dual_mov_b32 v104, v152 :: v_dual_mov_b32 v105, v153
	v_add_f64 v[2:3], v[2:3], -v[154:155]
.LBB75_109:
	s_or_b32 exec_lo, exec_lo, s3
	s_delay_alu instid0(SALU_CYCLE_1)
	s_mov_b32 s4, exec_lo
	s_waitcnt_vscnt null, 0x0
	s_barrier
	buffer_gl0_inv
	v_cmpx_eq_u32_e32 12, v202
	s_cbranch_execz .LBB75_116
; %bb.110:
	ds_store_2addr_b64 v203, v[100:101], v[102:103] offset1:1
	ds_store_2addr_b64 v204, v[96:97], v[98:99] offset0:26 offset1:27
	ds_store_2addr_b64 v204, v[92:93], v[94:95] offset0:28 offset1:29
	;; [unrolled: 1-line block ×25, first 2 shown]
	ds_load_2addr_b64 v[152:155], v203 offset1:1
	s_waitcnt lgkmcnt(0)
	v_cmp_neq_f64_e32 vcc_lo, 0, v[152:153]
	v_cmp_neq_f64_e64 s3, 0, v[154:155]
	s_delay_alu instid0(VALU_DEP_1) | instskip(NEXT) | instid1(SALU_CYCLE_1)
	s_or_b32 s3, vcc_lo, s3
	s_and_b32 exec_lo, exec_lo, s3
	s_cbranch_execz .LBB75_116
; %bb.111:
	v_cmp_gt_f64_e32 vcc_lo, 0, v[152:153]
	v_xor_b32_e32 v156, 0x80000000, v153
	v_xor_b32_e32 v158, 0x80000000, v155
	s_mov_b32 s3, exec_lo
                                        ; implicit-def: $vgpr160_vgpr161
	s_delay_alu instid0(VALU_DEP_2) | instskip(SKIP_4) | instid1(VALU_DEP_1)
	v_cndmask_b32_e32 v157, v153, v156, vcc_lo
	v_cndmask_b32_e32 v156, v152, v152, vcc_lo
	v_cmp_gt_f64_e32 vcc_lo, 0, v[154:155]
	v_cndmask_b32_e32 v159, v155, v158, vcc_lo
	v_cndmask_b32_e32 v158, v154, v154, vcc_lo
	v_cmpx_ngt_f64_e32 v[156:157], v[158:159]
	s_xor_b32 s3, exec_lo, s3
                                        ; implicit-def: $vgpr156_vgpr157_vgpr158_vgpr159
	s_cbranch_execz .LBB75_113
; %bb.112:
	v_div_scale_f64 v[156:157], null, v[154:155], v[154:155], v[152:153]
	v_div_scale_f64 v[162:163], vcc_lo, v[152:153], v[154:155], v[152:153]
	s_delay_alu instid0(VALU_DEP_2) | instskip(SKIP_2) | instid1(VALU_DEP_1)
	v_rcp_f64_e32 v[158:159], v[156:157]
	s_waitcnt_depctr 0xfff
	v_fma_f64 v[160:161], -v[156:157], v[158:159], 1.0
	v_fma_f64 v[158:159], v[158:159], v[160:161], v[158:159]
	s_delay_alu instid0(VALU_DEP_1) | instskip(NEXT) | instid1(VALU_DEP_1)
	v_fma_f64 v[160:161], -v[156:157], v[158:159], 1.0
	v_fma_f64 v[158:159], v[158:159], v[160:161], v[158:159]
	s_delay_alu instid0(VALU_DEP_1) | instskip(NEXT) | instid1(VALU_DEP_1)
	v_mul_f64 v[160:161], v[162:163], v[158:159]
	v_fma_f64 v[156:157], -v[156:157], v[160:161], v[162:163]
	s_delay_alu instid0(VALU_DEP_1) | instskip(NEXT) | instid1(VALU_DEP_1)
	v_div_fmas_f64 v[156:157], v[156:157], v[158:159], v[160:161]
	v_div_fixup_f64 v[156:157], v[156:157], v[154:155], v[152:153]
	s_delay_alu instid0(VALU_DEP_1) | instskip(NEXT) | instid1(VALU_DEP_1)
	v_fma_f64 v[152:153], v[152:153], v[156:157], v[154:155]
	v_div_scale_f64 v[154:155], null, v[152:153], v[152:153], 1.0
	s_delay_alu instid0(VALU_DEP_1) | instskip(SKIP_2) | instid1(VALU_DEP_1)
	v_rcp_f64_e32 v[158:159], v[154:155]
	s_waitcnt_depctr 0xfff
	v_fma_f64 v[160:161], -v[154:155], v[158:159], 1.0
	v_fma_f64 v[158:159], v[158:159], v[160:161], v[158:159]
	s_delay_alu instid0(VALU_DEP_1) | instskip(NEXT) | instid1(VALU_DEP_1)
	v_fma_f64 v[160:161], -v[154:155], v[158:159], 1.0
	v_fma_f64 v[158:159], v[158:159], v[160:161], v[158:159]
	v_div_scale_f64 v[160:161], vcc_lo, 1.0, v[152:153], 1.0
	s_delay_alu instid0(VALU_DEP_1) | instskip(NEXT) | instid1(VALU_DEP_1)
	v_mul_f64 v[162:163], v[160:161], v[158:159]
	v_fma_f64 v[154:155], -v[154:155], v[162:163], v[160:161]
	s_delay_alu instid0(VALU_DEP_1) | instskip(NEXT) | instid1(VALU_DEP_1)
	v_div_fmas_f64 v[154:155], v[154:155], v[158:159], v[162:163]
	v_div_fixup_f64 v[158:159], v[154:155], v[152:153], 1.0
                                        ; implicit-def: $vgpr152_vgpr153
	s_delay_alu instid0(VALU_DEP_1)
	v_mul_f64 v[160:161], v[156:157], v[158:159]
	v_xor_b32_e32 v159, 0x80000000, v159
.LBB75_113:
	s_and_not1_saveexec_b32 s3, s3
	s_cbranch_execz .LBB75_115
; %bb.114:
	v_div_scale_f64 v[156:157], null, v[152:153], v[152:153], v[154:155]
	v_div_scale_f64 v[162:163], vcc_lo, v[154:155], v[152:153], v[154:155]
	s_delay_alu instid0(VALU_DEP_2) | instskip(SKIP_2) | instid1(VALU_DEP_1)
	v_rcp_f64_e32 v[158:159], v[156:157]
	s_waitcnt_depctr 0xfff
	v_fma_f64 v[160:161], -v[156:157], v[158:159], 1.0
	v_fma_f64 v[158:159], v[158:159], v[160:161], v[158:159]
	s_delay_alu instid0(VALU_DEP_1) | instskip(NEXT) | instid1(VALU_DEP_1)
	v_fma_f64 v[160:161], -v[156:157], v[158:159], 1.0
	v_fma_f64 v[158:159], v[158:159], v[160:161], v[158:159]
	s_delay_alu instid0(VALU_DEP_1) | instskip(NEXT) | instid1(VALU_DEP_1)
	v_mul_f64 v[160:161], v[162:163], v[158:159]
	v_fma_f64 v[156:157], -v[156:157], v[160:161], v[162:163]
	s_delay_alu instid0(VALU_DEP_1) | instskip(NEXT) | instid1(VALU_DEP_1)
	v_div_fmas_f64 v[156:157], v[156:157], v[158:159], v[160:161]
	v_div_fixup_f64 v[156:157], v[156:157], v[152:153], v[154:155]
	s_delay_alu instid0(VALU_DEP_1) | instskip(NEXT) | instid1(VALU_DEP_1)
	v_fma_f64 v[152:153], v[154:155], v[156:157], v[152:153]
	v_div_scale_f64 v[154:155], null, v[152:153], v[152:153], 1.0
	s_delay_alu instid0(VALU_DEP_1) | instskip(SKIP_2) | instid1(VALU_DEP_1)
	v_rcp_f64_e32 v[158:159], v[154:155]
	s_waitcnt_depctr 0xfff
	v_fma_f64 v[160:161], -v[154:155], v[158:159], 1.0
	v_fma_f64 v[158:159], v[158:159], v[160:161], v[158:159]
	s_delay_alu instid0(VALU_DEP_1) | instskip(NEXT) | instid1(VALU_DEP_1)
	v_fma_f64 v[160:161], -v[154:155], v[158:159], 1.0
	v_fma_f64 v[158:159], v[158:159], v[160:161], v[158:159]
	v_div_scale_f64 v[160:161], vcc_lo, 1.0, v[152:153], 1.0
	s_delay_alu instid0(VALU_DEP_1) | instskip(NEXT) | instid1(VALU_DEP_1)
	v_mul_f64 v[162:163], v[160:161], v[158:159]
	v_fma_f64 v[154:155], -v[154:155], v[162:163], v[160:161]
	s_delay_alu instid0(VALU_DEP_1) | instskip(NEXT) | instid1(VALU_DEP_1)
	v_div_fmas_f64 v[154:155], v[154:155], v[158:159], v[162:163]
	v_div_fixup_f64 v[160:161], v[154:155], v[152:153], 1.0
	s_delay_alu instid0(VALU_DEP_1)
	v_mul_f64 v[158:159], v[156:157], -v[160:161]
.LBB75_115:
	s_or_b32 exec_lo, exec_lo, s3
	ds_store_2addr_b64 v203, v[160:161], v[158:159] offset1:1
.LBB75_116:
	s_or_b32 exec_lo, exec_lo, s4
	s_waitcnt lgkmcnt(0)
	s_barrier
	buffer_gl0_inv
	ds_load_2addr_b64 v[152:155], v203 offset1:1
	s_mov_b32 s3, exec_lo
	s_waitcnt lgkmcnt(0)
	scratch_store_b128 off, v[152:155], off offset:304 ; 16-byte Folded Spill
	v_cmpx_lt_u32_e32 12, v202
	s_cbranch_execz .LBB75_118
; %bb.117:
	scratch_load_b128 v[154:157], off, off offset:304 ; 16-byte Folded Reload
	s_waitcnt vmcnt(0)
	v_mul_f64 v[152:153], v[156:157], v[102:103]
	v_mul_f64 v[102:103], v[154:155], v[102:103]
	s_delay_alu instid0(VALU_DEP_2) | instskip(NEXT) | instid1(VALU_DEP_2)
	v_fma_f64 v[152:153], v[154:155], v[100:101], -v[152:153]
	v_fma_f64 v[102:103], v[156:157], v[100:101], v[102:103]
	ds_load_2addr_b64 v[154:157], v204 offset0:26 offset1:27
	s_waitcnt lgkmcnt(0)
	v_mul_f64 v[100:101], v[156:157], v[102:103]
	s_delay_alu instid0(VALU_DEP_1) | instskip(SKIP_1) | instid1(VALU_DEP_2)
	v_fma_f64 v[100:101], v[154:155], v[152:153], -v[100:101]
	v_mul_f64 v[154:155], v[154:155], v[102:103]
	v_add_f64 v[96:97], v[96:97], -v[100:101]
	s_delay_alu instid0(VALU_DEP_2) | instskip(NEXT) | instid1(VALU_DEP_1)
	v_fma_f64 v[154:155], v[156:157], v[152:153], v[154:155]
	v_add_f64 v[98:99], v[98:99], -v[154:155]
	ds_load_2addr_b64 v[154:157], v204 offset0:28 offset1:29
	s_waitcnt lgkmcnt(0)
	v_mul_f64 v[100:101], v[156:157], v[102:103]
	s_delay_alu instid0(VALU_DEP_1) | instskip(SKIP_1) | instid1(VALU_DEP_2)
	v_fma_f64 v[100:101], v[154:155], v[152:153], -v[100:101]
	v_mul_f64 v[154:155], v[154:155], v[102:103]
	v_add_f64 v[92:93], v[92:93], -v[100:101]
	s_delay_alu instid0(VALU_DEP_2) | instskip(NEXT) | instid1(VALU_DEP_1)
	v_fma_f64 v[154:155], v[156:157], v[152:153], v[154:155]
	v_add_f64 v[94:95], v[94:95], -v[154:155]
	;; [unrolled: 10-line block ×24, first 2 shown]
	ds_load_2addr_b64 v[154:157], v204 offset0:74 offset1:75
	s_waitcnt lgkmcnt(0)
	v_mul_f64 v[100:101], v[156:157], v[102:103]
	s_delay_alu instid0(VALU_DEP_1) | instskip(SKIP_1) | instid1(VALU_DEP_2)
	v_fma_f64 v[100:101], v[154:155], v[152:153], -v[100:101]
	v_mul_f64 v[154:155], v[154:155], v[102:103]
	v_add_f64 v[0:1], v[0:1], -v[100:101]
	s_delay_alu instid0(VALU_DEP_2) | instskip(SKIP_1) | instid1(VALU_DEP_2)
	v_fma_f64 v[154:155], v[156:157], v[152:153], v[154:155]
	v_dual_mov_b32 v100, v152 :: v_dual_mov_b32 v101, v153
	v_add_f64 v[2:3], v[2:3], -v[154:155]
.LBB75_118:
	s_or_b32 exec_lo, exec_lo, s3
	s_delay_alu instid0(SALU_CYCLE_1)
	s_mov_b32 s4, exec_lo
	s_waitcnt_vscnt null, 0x0
	s_barrier
	buffer_gl0_inv
	v_cmpx_eq_u32_e32 13, v202
	s_cbranch_execz .LBB75_125
; %bb.119:
	ds_store_2addr_b64 v203, v[96:97], v[98:99] offset1:1
	ds_store_2addr_b64 v204, v[92:93], v[94:95] offset0:28 offset1:29
	ds_store_2addr_b64 v204, v[88:89], v[90:91] offset0:30 offset1:31
	;; [unrolled: 1-line block ×24, first 2 shown]
	ds_load_2addr_b64 v[152:155], v203 offset1:1
	s_waitcnt lgkmcnt(0)
	v_cmp_neq_f64_e32 vcc_lo, 0, v[152:153]
	v_cmp_neq_f64_e64 s3, 0, v[154:155]
	s_delay_alu instid0(VALU_DEP_1) | instskip(NEXT) | instid1(SALU_CYCLE_1)
	s_or_b32 s3, vcc_lo, s3
	s_and_b32 exec_lo, exec_lo, s3
	s_cbranch_execz .LBB75_125
; %bb.120:
	v_cmp_gt_f64_e32 vcc_lo, 0, v[152:153]
	v_xor_b32_e32 v156, 0x80000000, v153
	v_xor_b32_e32 v158, 0x80000000, v155
	s_mov_b32 s3, exec_lo
                                        ; implicit-def: $vgpr160_vgpr161
	s_delay_alu instid0(VALU_DEP_2) | instskip(SKIP_4) | instid1(VALU_DEP_1)
	v_cndmask_b32_e32 v157, v153, v156, vcc_lo
	v_cndmask_b32_e32 v156, v152, v152, vcc_lo
	v_cmp_gt_f64_e32 vcc_lo, 0, v[154:155]
	v_cndmask_b32_e32 v159, v155, v158, vcc_lo
	v_cndmask_b32_e32 v158, v154, v154, vcc_lo
	v_cmpx_ngt_f64_e32 v[156:157], v[158:159]
	s_xor_b32 s3, exec_lo, s3
                                        ; implicit-def: $vgpr156_vgpr157_vgpr158_vgpr159
	s_cbranch_execz .LBB75_122
; %bb.121:
	v_div_scale_f64 v[156:157], null, v[154:155], v[154:155], v[152:153]
	v_div_scale_f64 v[162:163], vcc_lo, v[152:153], v[154:155], v[152:153]
	s_delay_alu instid0(VALU_DEP_2) | instskip(SKIP_2) | instid1(VALU_DEP_1)
	v_rcp_f64_e32 v[158:159], v[156:157]
	s_waitcnt_depctr 0xfff
	v_fma_f64 v[160:161], -v[156:157], v[158:159], 1.0
	v_fma_f64 v[158:159], v[158:159], v[160:161], v[158:159]
	s_delay_alu instid0(VALU_DEP_1) | instskip(NEXT) | instid1(VALU_DEP_1)
	v_fma_f64 v[160:161], -v[156:157], v[158:159], 1.0
	v_fma_f64 v[158:159], v[158:159], v[160:161], v[158:159]
	s_delay_alu instid0(VALU_DEP_1) | instskip(NEXT) | instid1(VALU_DEP_1)
	v_mul_f64 v[160:161], v[162:163], v[158:159]
	v_fma_f64 v[156:157], -v[156:157], v[160:161], v[162:163]
	s_delay_alu instid0(VALU_DEP_1) | instskip(NEXT) | instid1(VALU_DEP_1)
	v_div_fmas_f64 v[156:157], v[156:157], v[158:159], v[160:161]
	v_div_fixup_f64 v[156:157], v[156:157], v[154:155], v[152:153]
	s_delay_alu instid0(VALU_DEP_1) | instskip(NEXT) | instid1(VALU_DEP_1)
	v_fma_f64 v[152:153], v[152:153], v[156:157], v[154:155]
	v_div_scale_f64 v[154:155], null, v[152:153], v[152:153], 1.0
	s_delay_alu instid0(VALU_DEP_1) | instskip(SKIP_2) | instid1(VALU_DEP_1)
	v_rcp_f64_e32 v[158:159], v[154:155]
	s_waitcnt_depctr 0xfff
	v_fma_f64 v[160:161], -v[154:155], v[158:159], 1.0
	v_fma_f64 v[158:159], v[158:159], v[160:161], v[158:159]
	s_delay_alu instid0(VALU_DEP_1) | instskip(NEXT) | instid1(VALU_DEP_1)
	v_fma_f64 v[160:161], -v[154:155], v[158:159], 1.0
	v_fma_f64 v[158:159], v[158:159], v[160:161], v[158:159]
	v_div_scale_f64 v[160:161], vcc_lo, 1.0, v[152:153], 1.0
	s_delay_alu instid0(VALU_DEP_1) | instskip(NEXT) | instid1(VALU_DEP_1)
	v_mul_f64 v[162:163], v[160:161], v[158:159]
	v_fma_f64 v[154:155], -v[154:155], v[162:163], v[160:161]
	s_delay_alu instid0(VALU_DEP_1) | instskip(NEXT) | instid1(VALU_DEP_1)
	v_div_fmas_f64 v[154:155], v[154:155], v[158:159], v[162:163]
	v_div_fixup_f64 v[158:159], v[154:155], v[152:153], 1.0
                                        ; implicit-def: $vgpr152_vgpr153
	s_delay_alu instid0(VALU_DEP_1)
	v_mul_f64 v[160:161], v[156:157], v[158:159]
	v_xor_b32_e32 v159, 0x80000000, v159
.LBB75_122:
	s_and_not1_saveexec_b32 s3, s3
	s_cbranch_execz .LBB75_124
; %bb.123:
	v_div_scale_f64 v[156:157], null, v[152:153], v[152:153], v[154:155]
	v_div_scale_f64 v[162:163], vcc_lo, v[154:155], v[152:153], v[154:155]
	s_delay_alu instid0(VALU_DEP_2) | instskip(SKIP_2) | instid1(VALU_DEP_1)
	v_rcp_f64_e32 v[158:159], v[156:157]
	s_waitcnt_depctr 0xfff
	v_fma_f64 v[160:161], -v[156:157], v[158:159], 1.0
	v_fma_f64 v[158:159], v[158:159], v[160:161], v[158:159]
	s_delay_alu instid0(VALU_DEP_1) | instskip(NEXT) | instid1(VALU_DEP_1)
	v_fma_f64 v[160:161], -v[156:157], v[158:159], 1.0
	v_fma_f64 v[158:159], v[158:159], v[160:161], v[158:159]
	s_delay_alu instid0(VALU_DEP_1) | instskip(NEXT) | instid1(VALU_DEP_1)
	v_mul_f64 v[160:161], v[162:163], v[158:159]
	v_fma_f64 v[156:157], -v[156:157], v[160:161], v[162:163]
	s_delay_alu instid0(VALU_DEP_1) | instskip(NEXT) | instid1(VALU_DEP_1)
	v_div_fmas_f64 v[156:157], v[156:157], v[158:159], v[160:161]
	v_div_fixup_f64 v[156:157], v[156:157], v[152:153], v[154:155]
	s_delay_alu instid0(VALU_DEP_1) | instskip(NEXT) | instid1(VALU_DEP_1)
	v_fma_f64 v[152:153], v[154:155], v[156:157], v[152:153]
	v_div_scale_f64 v[154:155], null, v[152:153], v[152:153], 1.0
	s_delay_alu instid0(VALU_DEP_1) | instskip(SKIP_2) | instid1(VALU_DEP_1)
	v_rcp_f64_e32 v[158:159], v[154:155]
	s_waitcnt_depctr 0xfff
	v_fma_f64 v[160:161], -v[154:155], v[158:159], 1.0
	v_fma_f64 v[158:159], v[158:159], v[160:161], v[158:159]
	s_delay_alu instid0(VALU_DEP_1) | instskip(NEXT) | instid1(VALU_DEP_1)
	v_fma_f64 v[160:161], -v[154:155], v[158:159], 1.0
	v_fma_f64 v[158:159], v[158:159], v[160:161], v[158:159]
	v_div_scale_f64 v[160:161], vcc_lo, 1.0, v[152:153], 1.0
	s_delay_alu instid0(VALU_DEP_1) | instskip(NEXT) | instid1(VALU_DEP_1)
	v_mul_f64 v[162:163], v[160:161], v[158:159]
	v_fma_f64 v[154:155], -v[154:155], v[162:163], v[160:161]
	s_delay_alu instid0(VALU_DEP_1) | instskip(NEXT) | instid1(VALU_DEP_1)
	v_div_fmas_f64 v[154:155], v[154:155], v[158:159], v[162:163]
	v_div_fixup_f64 v[160:161], v[154:155], v[152:153], 1.0
	s_delay_alu instid0(VALU_DEP_1)
	v_mul_f64 v[158:159], v[156:157], -v[160:161]
.LBB75_124:
	s_or_b32 exec_lo, exec_lo, s3
	ds_store_2addr_b64 v203, v[160:161], v[158:159] offset1:1
.LBB75_125:
	s_or_b32 exec_lo, exec_lo, s4
	s_waitcnt lgkmcnt(0)
	s_barrier
	buffer_gl0_inv
	ds_load_2addr_b64 v[152:155], v203 offset1:1
	s_mov_b32 s3, exec_lo
	s_waitcnt lgkmcnt(0)
	scratch_store_b128 off, v[152:155], off offset:320 ; 16-byte Folded Spill
	v_cmpx_lt_u32_e32 13, v202
	s_cbranch_execz .LBB75_127
; %bb.126:
	scratch_load_b128 v[154:157], off, off offset:320 ; 16-byte Folded Reload
	s_waitcnt vmcnt(0)
	v_mul_f64 v[152:153], v[156:157], v[98:99]
	v_mul_f64 v[98:99], v[154:155], v[98:99]
	s_delay_alu instid0(VALU_DEP_2) | instskip(NEXT) | instid1(VALU_DEP_2)
	v_fma_f64 v[152:153], v[154:155], v[96:97], -v[152:153]
	v_fma_f64 v[98:99], v[156:157], v[96:97], v[98:99]
	ds_load_2addr_b64 v[154:157], v204 offset0:28 offset1:29
	s_waitcnt lgkmcnt(0)
	v_mul_f64 v[96:97], v[156:157], v[98:99]
	s_delay_alu instid0(VALU_DEP_1) | instskip(SKIP_1) | instid1(VALU_DEP_2)
	v_fma_f64 v[96:97], v[154:155], v[152:153], -v[96:97]
	v_mul_f64 v[154:155], v[154:155], v[98:99]
	v_add_f64 v[92:93], v[92:93], -v[96:97]
	s_delay_alu instid0(VALU_DEP_2) | instskip(NEXT) | instid1(VALU_DEP_1)
	v_fma_f64 v[154:155], v[156:157], v[152:153], v[154:155]
	v_add_f64 v[94:95], v[94:95], -v[154:155]
	ds_load_2addr_b64 v[154:157], v204 offset0:30 offset1:31
	s_waitcnt lgkmcnt(0)
	v_mul_f64 v[96:97], v[156:157], v[98:99]
	s_delay_alu instid0(VALU_DEP_1) | instskip(SKIP_1) | instid1(VALU_DEP_2)
	v_fma_f64 v[96:97], v[154:155], v[152:153], -v[96:97]
	v_mul_f64 v[154:155], v[154:155], v[98:99]
	v_add_f64 v[88:89], v[88:89], -v[96:97]
	s_delay_alu instid0(VALU_DEP_2) | instskip(NEXT) | instid1(VALU_DEP_1)
	v_fma_f64 v[154:155], v[156:157], v[152:153], v[154:155]
	v_add_f64 v[90:91], v[90:91], -v[154:155]
	;; [unrolled: 10-line block ×23, first 2 shown]
	ds_load_2addr_b64 v[154:157], v204 offset0:74 offset1:75
	s_waitcnt lgkmcnt(0)
	v_mul_f64 v[96:97], v[156:157], v[98:99]
	s_delay_alu instid0(VALU_DEP_1) | instskip(SKIP_1) | instid1(VALU_DEP_2)
	v_fma_f64 v[96:97], v[154:155], v[152:153], -v[96:97]
	v_mul_f64 v[154:155], v[154:155], v[98:99]
	v_add_f64 v[0:1], v[0:1], -v[96:97]
	s_delay_alu instid0(VALU_DEP_2) | instskip(SKIP_1) | instid1(VALU_DEP_2)
	v_fma_f64 v[154:155], v[156:157], v[152:153], v[154:155]
	v_dual_mov_b32 v96, v152 :: v_dual_mov_b32 v97, v153
	v_add_f64 v[2:3], v[2:3], -v[154:155]
.LBB75_127:
	s_or_b32 exec_lo, exec_lo, s3
	s_delay_alu instid0(SALU_CYCLE_1)
	s_mov_b32 s4, exec_lo
	s_waitcnt_vscnt null, 0x0
	s_barrier
	buffer_gl0_inv
	v_cmpx_eq_u32_e32 14, v202
	s_cbranch_execz .LBB75_134
; %bb.128:
	ds_store_2addr_b64 v203, v[92:93], v[94:95] offset1:1
	ds_store_2addr_b64 v204, v[88:89], v[90:91] offset0:30 offset1:31
	ds_store_2addr_b64 v204, v[84:85], v[86:87] offset0:32 offset1:33
	;; [unrolled: 1-line block ×23, first 2 shown]
	ds_load_2addr_b64 v[152:155], v203 offset1:1
	s_waitcnt lgkmcnt(0)
	v_cmp_neq_f64_e32 vcc_lo, 0, v[152:153]
	v_cmp_neq_f64_e64 s3, 0, v[154:155]
	s_delay_alu instid0(VALU_DEP_1) | instskip(NEXT) | instid1(SALU_CYCLE_1)
	s_or_b32 s3, vcc_lo, s3
	s_and_b32 exec_lo, exec_lo, s3
	s_cbranch_execz .LBB75_134
; %bb.129:
	v_cmp_gt_f64_e32 vcc_lo, 0, v[152:153]
	v_xor_b32_e32 v156, 0x80000000, v153
	v_xor_b32_e32 v158, 0x80000000, v155
	s_mov_b32 s3, exec_lo
                                        ; implicit-def: $vgpr160_vgpr161
	s_delay_alu instid0(VALU_DEP_2) | instskip(SKIP_4) | instid1(VALU_DEP_1)
	v_cndmask_b32_e32 v157, v153, v156, vcc_lo
	v_cndmask_b32_e32 v156, v152, v152, vcc_lo
	v_cmp_gt_f64_e32 vcc_lo, 0, v[154:155]
	v_cndmask_b32_e32 v159, v155, v158, vcc_lo
	v_cndmask_b32_e32 v158, v154, v154, vcc_lo
	v_cmpx_ngt_f64_e32 v[156:157], v[158:159]
	s_xor_b32 s3, exec_lo, s3
                                        ; implicit-def: $vgpr156_vgpr157_vgpr158_vgpr159
	s_cbranch_execz .LBB75_131
; %bb.130:
	v_div_scale_f64 v[156:157], null, v[154:155], v[154:155], v[152:153]
	v_div_scale_f64 v[162:163], vcc_lo, v[152:153], v[154:155], v[152:153]
	s_delay_alu instid0(VALU_DEP_2) | instskip(SKIP_2) | instid1(VALU_DEP_1)
	v_rcp_f64_e32 v[158:159], v[156:157]
	s_waitcnt_depctr 0xfff
	v_fma_f64 v[160:161], -v[156:157], v[158:159], 1.0
	v_fma_f64 v[158:159], v[158:159], v[160:161], v[158:159]
	s_delay_alu instid0(VALU_DEP_1) | instskip(NEXT) | instid1(VALU_DEP_1)
	v_fma_f64 v[160:161], -v[156:157], v[158:159], 1.0
	v_fma_f64 v[158:159], v[158:159], v[160:161], v[158:159]
	s_delay_alu instid0(VALU_DEP_1) | instskip(NEXT) | instid1(VALU_DEP_1)
	v_mul_f64 v[160:161], v[162:163], v[158:159]
	v_fma_f64 v[156:157], -v[156:157], v[160:161], v[162:163]
	s_delay_alu instid0(VALU_DEP_1) | instskip(NEXT) | instid1(VALU_DEP_1)
	v_div_fmas_f64 v[156:157], v[156:157], v[158:159], v[160:161]
	v_div_fixup_f64 v[156:157], v[156:157], v[154:155], v[152:153]
	s_delay_alu instid0(VALU_DEP_1) | instskip(NEXT) | instid1(VALU_DEP_1)
	v_fma_f64 v[152:153], v[152:153], v[156:157], v[154:155]
	v_div_scale_f64 v[154:155], null, v[152:153], v[152:153], 1.0
	s_delay_alu instid0(VALU_DEP_1) | instskip(SKIP_2) | instid1(VALU_DEP_1)
	v_rcp_f64_e32 v[158:159], v[154:155]
	s_waitcnt_depctr 0xfff
	v_fma_f64 v[160:161], -v[154:155], v[158:159], 1.0
	v_fma_f64 v[158:159], v[158:159], v[160:161], v[158:159]
	s_delay_alu instid0(VALU_DEP_1) | instskip(NEXT) | instid1(VALU_DEP_1)
	v_fma_f64 v[160:161], -v[154:155], v[158:159], 1.0
	v_fma_f64 v[158:159], v[158:159], v[160:161], v[158:159]
	v_div_scale_f64 v[160:161], vcc_lo, 1.0, v[152:153], 1.0
	s_delay_alu instid0(VALU_DEP_1) | instskip(NEXT) | instid1(VALU_DEP_1)
	v_mul_f64 v[162:163], v[160:161], v[158:159]
	v_fma_f64 v[154:155], -v[154:155], v[162:163], v[160:161]
	s_delay_alu instid0(VALU_DEP_1) | instskip(NEXT) | instid1(VALU_DEP_1)
	v_div_fmas_f64 v[154:155], v[154:155], v[158:159], v[162:163]
	v_div_fixup_f64 v[158:159], v[154:155], v[152:153], 1.0
                                        ; implicit-def: $vgpr152_vgpr153
	s_delay_alu instid0(VALU_DEP_1)
	v_mul_f64 v[160:161], v[156:157], v[158:159]
	v_xor_b32_e32 v159, 0x80000000, v159
.LBB75_131:
	s_and_not1_saveexec_b32 s3, s3
	s_cbranch_execz .LBB75_133
; %bb.132:
	v_div_scale_f64 v[156:157], null, v[152:153], v[152:153], v[154:155]
	v_div_scale_f64 v[162:163], vcc_lo, v[154:155], v[152:153], v[154:155]
	s_delay_alu instid0(VALU_DEP_2) | instskip(SKIP_2) | instid1(VALU_DEP_1)
	v_rcp_f64_e32 v[158:159], v[156:157]
	s_waitcnt_depctr 0xfff
	v_fma_f64 v[160:161], -v[156:157], v[158:159], 1.0
	v_fma_f64 v[158:159], v[158:159], v[160:161], v[158:159]
	s_delay_alu instid0(VALU_DEP_1) | instskip(NEXT) | instid1(VALU_DEP_1)
	v_fma_f64 v[160:161], -v[156:157], v[158:159], 1.0
	v_fma_f64 v[158:159], v[158:159], v[160:161], v[158:159]
	s_delay_alu instid0(VALU_DEP_1) | instskip(NEXT) | instid1(VALU_DEP_1)
	v_mul_f64 v[160:161], v[162:163], v[158:159]
	v_fma_f64 v[156:157], -v[156:157], v[160:161], v[162:163]
	s_delay_alu instid0(VALU_DEP_1) | instskip(NEXT) | instid1(VALU_DEP_1)
	v_div_fmas_f64 v[156:157], v[156:157], v[158:159], v[160:161]
	v_div_fixup_f64 v[156:157], v[156:157], v[152:153], v[154:155]
	s_delay_alu instid0(VALU_DEP_1) | instskip(NEXT) | instid1(VALU_DEP_1)
	v_fma_f64 v[152:153], v[154:155], v[156:157], v[152:153]
	v_div_scale_f64 v[154:155], null, v[152:153], v[152:153], 1.0
	s_delay_alu instid0(VALU_DEP_1) | instskip(SKIP_2) | instid1(VALU_DEP_1)
	v_rcp_f64_e32 v[158:159], v[154:155]
	s_waitcnt_depctr 0xfff
	v_fma_f64 v[160:161], -v[154:155], v[158:159], 1.0
	v_fma_f64 v[158:159], v[158:159], v[160:161], v[158:159]
	s_delay_alu instid0(VALU_DEP_1) | instskip(NEXT) | instid1(VALU_DEP_1)
	v_fma_f64 v[160:161], -v[154:155], v[158:159], 1.0
	v_fma_f64 v[158:159], v[158:159], v[160:161], v[158:159]
	v_div_scale_f64 v[160:161], vcc_lo, 1.0, v[152:153], 1.0
	s_delay_alu instid0(VALU_DEP_1) | instskip(NEXT) | instid1(VALU_DEP_1)
	v_mul_f64 v[162:163], v[160:161], v[158:159]
	v_fma_f64 v[154:155], -v[154:155], v[162:163], v[160:161]
	s_delay_alu instid0(VALU_DEP_1) | instskip(NEXT) | instid1(VALU_DEP_1)
	v_div_fmas_f64 v[154:155], v[154:155], v[158:159], v[162:163]
	v_div_fixup_f64 v[160:161], v[154:155], v[152:153], 1.0
	s_delay_alu instid0(VALU_DEP_1)
	v_mul_f64 v[158:159], v[156:157], -v[160:161]
.LBB75_133:
	s_or_b32 exec_lo, exec_lo, s3
	ds_store_2addr_b64 v203, v[160:161], v[158:159] offset1:1
.LBB75_134:
	s_or_b32 exec_lo, exec_lo, s4
	s_waitcnt lgkmcnt(0)
	s_barrier
	buffer_gl0_inv
	ds_load_2addr_b64 v[152:155], v203 offset1:1
	s_mov_b32 s3, exec_lo
	s_waitcnt lgkmcnt(0)
	scratch_store_b128 off, v[152:155], off offset:336 ; 16-byte Folded Spill
	v_cmpx_lt_u32_e32 14, v202
	s_cbranch_execz .LBB75_136
; %bb.135:
	scratch_load_b128 v[154:157], off, off offset:336 ; 16-byte Folded Reload
	s_waitcnt vmcnt(0)
	v_mul_f64 v[152:153], v[156:157], v[94:95]
	v_mul_f64 v[94:95], v[154:155], v[94:95]
	s_delay_alu instid0(VALU_DEP_2) | instskip(NEXT) | instid1(VALU_DEP_2)
	v_fma_f64 v[152:153], v[154:155], v[92:93], -v[152:153]
	v_fma_f64 v[94:95], v[156:157], v[92:93], v[94:95]
	ds_load_2addr_b64 v[154:157], v204 offset0:30 offset1:31
	s_waitcnt lgkmcnt(0)
	v_mul_f64 v[92:93], v[156:157], v[94:95]
	s_delay_alu instid0(VALU_DEP_1) | instskip(SKIP_1) | instid1(VALU_DEP_2)
	v_fma_f64 v[92:93], v[154:155], v[152:153], -v[92:93]
	v_mul_f64 v[154:155], v[154:155], v[94:95]
	v_add_f64 v[88:89], v[88:89], -v[92:93]
	s_delay_alu instid0(VALU_DEP_2) | instskip(NEXT) | instid1(VALU_DEP_1)
	v_fma_f64 v[154:155], v[156:157], v[152:153], v[154:155]
	v_add_f64 v[90:91], v[90:91], -v[154:155]
	ds_load_2addr_b64 v[154:157], v204 offset0:32 offset1:33
	s_waitcnt lgkmcnt(0)
	v_mul_f64 v[92:93], v[156:157], v[94:95]
	s_delay_alu instid0(VALU_DEP_1) | instskip(SKIP_1) | instid1(VALU_DEP_2)
	v_fma_f64 v[92:93], v[154:155], v[152:153], -v[92:93]
	v_mul_f64 v[154:155], v[154:155], v[94:95]
	v_add_f64 v[84:85], v[84:85], -v[92:93]
	s_delay_alu instid0(VALU_DEP_2) | instskip(NEXT) | instid1(VALU_DEP_1)
	v_fma_f64 v[154:155], v[156:157], v[152:153], v[154:155]
	v_add_f64 v[86:87], v[86:87], -v[154:155]
	;; [unrolled: 10-line block ×22, first 2 shown]
	ds_load_2addr_b64 v[154:157], v204 offset0:74 offset1:75
	s_waitcnt lgkmcnt(0)
	v_mul_f64 v[92:93], v[156:157], v[94:95]
	s_delay_alu instid0(VALU_DEP_1) | instskip(SKIP_1) | instid1(VALU_DEP_2)
	v_fma_f64 v[92:93], v[154:155], v[152:153], -v[92:93]
	v_mul_f64 v[154:155], v[154:155], v[94:95]
	v_add_f64 v[0:1], v[0:1], -v[92:93]
	s_delay_alu instid0(VALU_DEP_2) | instskip(SKIP_1) | instid1(VALU_DEP_2)
	v_fma_f64 v[154:155], v[156:157], v[152:153], v[154:155]
	v_dual_mov_b32 v92, v152 :: v_dual_mov_b32 v93, v153
	v_add_f64 v[2:3], v[2:3], -v[154:155]
.LBB75_136:
	s_or_b32 exec_lo, exec_lo, s3
	s_delay_alu instid0(SALU_CYCLE_1)
	s_mov_b32 s4, exec_lo
	s_waitcnt_vscnt null, 0x0
	s_barrier
	buffer_gl0_inv
	v_cmpx_eq_u32_e32 15, v202
	s_cbranch_execz .LBB75_143
; %bb.137:
	ds_store_2addr_b64 v203, v[88:89], v[90:91] offset1:1
	ds_store_2addr_b64 v204, v[84:85], v[86:87] offset0:32 offset1:33
	ds_store_2addr_b64 v204, v[80:81], v[82:83] offset0:34 offset1:35
	;; [unrolled: 1-line block ×22, first 2 shown]
	ds_load_2addr_b64 v[152:155], v203 offset1:1
	s_waitcnt lgkmcnt(0)
	v_cmp_neq_f64_e32 vcc_lo, 0, v[152:153]
	v_cmp_neq_f64_e64 s3, 0, v[154:155]
	s_delay_alu instid0(VALU_DEP_1) | instskip(NEXT) | instid1(SALU_CYCLE_1)
	s_or_b32 s3, vcc_lo, s3
	s_and_b32 exec_lo, exec_lo, s3
	s_cbranch_execz .LBB75_143
; %bb.138:
	v_cmp_gt_f64_e32 vcc_lo, 0, v[152:153]
	v_xor_b32_e32 v156, 0x80000000, v153
	v_xor_b32_e32 v158, 0x80000000, v155
	s_mov_b32 s3, exec_lo
                                        ; implicit-def: $vgpr160_vgpr161
	s_delay_alu instid0(VALU_DEP_2) | instskip(SKIP_4) | instid1(VALU_DEP_1)
	v_cndmask_b32_e32 v157, v153, v156, vcc_lo
	v_cndmask_b32_e32 v156, v152, v152, vcc_lo
	v_cmp_gt_f64_e32 vcc_lo, 0, v[154:155]
	v_cndmask_b32_e32 v159, v155, v158, vcc_lo
	v_cndmask_b32_e32 v158, v154, v154, vcc_lo
	v_cmpx_ngt_f64_e32 v[156:157], v[158:159]
	s_xor_b32 s3, exec_lo, s3
                                        ; implicit-def: $vgpr156_vgpr157_vgpr158_vgpr159
	s_cbranch_execz .LBB75_140
; %bb.139:
	v_div_scale_f64 v[156:157], null, v[154:155], v[154:155], v[152:153]
	v_div_scale_f64 v[162:163], vcc_lo, v[152:153], v[154:155], v[152:153]
	s_delay_alu instid0(VALU_DEP_2) | instskip(SKIP_2) | instid1(VALU_DEP_1)
	v_rcp_f64_e32 v[158:159], v[156:157]
	s_waitcnt_depctr 0xfff
	v_fma_f64 v[160:161], -v[156:157], v[158:159], 1.0
	v_fma_f64 v[158:159], v[158:159], v[160:161], v[158:159]
	s_delay_alu instid0(VALU_DEP_1) | instskip(NEXT) | instid1(VALU_DEP_1)
	v_fma_f64 v[160:161], -v[156:157], v[158:159], 1.0
	v_fma_f64 v[158:159], v[158:159], v[160:161], v[158:159]
	s_delay_alu instid0(VALU_DEP_1) | instskip(NEXT) | instid1(VALU_DEP_1)
	v_mul_f64 v[160:161], v[162:163], v[158:159]
	v_fma_f64 v[156:157], -v[156:157], v[160:161], v[162:163]
	s_delay_alu instid0(VALU_DEP_1) | instskip(NEXT) | instid1(VALU_DEP_1)
	v_div_fmas_f64 v[156:157], v[156:157], v[158:159], v[160:161]
	v_div_fixup_f64 v[156:157], v[156:157], v[154:155], v[152:153]
	s_delay_alu instid0(VALU_DEP_1) | instskip(NEXT) | instid1(VALU_DEP_1)
	v_fma_f64 v[152:153], v[152:153], v[156:157], v[154:155]
	v_div_scale_f64 v[154:155], null, v[152:153], v[152:153], 1.0
	s_delay_alu instid0(VALU_DEP_1) | instskip(SKIP_2) | instid1(VALU_DEP_1)
	v_rcp_f64_e32 v[158:159], v[154:155]
	s_waitcnt_depctr 0xfff
	v_fma_f64 v[160:161], -v[154:155], v[158:159], 1.0
	v_fma_f64 v[158:159], v[158:159], v[160:161], v[158:159]
	s_delay_alu instid0(VALU_DEP_1) | instskip(NEXT) | instid1(VALU_DEP_1)
	v_fma_f64 v[160:161], -v[154:155], v[158:159], 1.0
	v_fma_f64 v[158:159], v[158:159], v[160:161], v[158:159]
	v_div_scale_f64 v[160:161], vcc_lo, 1.0, v[152:153], 1.0
	s_delay_alu instid0(VALU_DEP_1) | instskip(NEXT) | instid1(VALU_DEP_1)
	v_mul_f64 v[162:163], v[160:161], v[158:159]
	v_fma_f64 v[154:155], -v[154:155], v[162:163], v[160:161]
	s_delay_alu instid0(VALU_DEP_1) | instskip(NEXT) | instid1(VALU_DEP_1)
	v_div_fmas_f64 v[154:155], v[154:155], v[158:159], v[162:163]
	v_div_fixup_f64 v[158:159], v[154:155], v[152:153], 1.0
                                        ; implicit-def: $vgpr152_vgpr153
	s_delay_alu instid0(VALU_DEP_1)
	v_mul_f64 v[160:161], v[156:157], v[158:159]
	v_xor_b32_e32 v159, 0x80000000, v159
.LBB75_140:
	s_and_not1_saveexec_b32 s3, s3
	s_cbranch_execz .LBB75_142
; %bb.141:
	v_div_scale_f64 v[156:157], null, v[152:153], v[152:153], v[154:155]
	v_div_scale_f64 v[162:163], vcc_lo, v[154:155], v[152:153], v[154:155]
	s_delay_alu instid0(VALU_DEP_2) | instskip(SKIP_2) | instid1(VALU_DEP_1)
	v_rcp_f64_e32 v[158:159], v[156:157]
	s_waitcnt_depctr 0xfff
	v_fma_f64 v[160:161], -v[156:157], v[158:159], 1.0
	v_fma_f64 v[158:159], v[158:159], v[160:161], v[158:159]
	s_delay_alu instid0(VALU_DEP_1) | instskip(NEXT) | instid1(VALU_DEP_1)
	v_fma_f64 v[160:161], -v[156:157], v[158:159], 1.0
	v_fma_f64 v[158:159], v[158:159], v[160:161], v[158:159]
	s_delay_alu instid0(VALU_DEP_1) | instskip(NEXT) | instid1(VALU_DEP_1)
	v_mul_f64 v[160:161], v[162:163], v[158:159]
	v_fma_f64 v[156:157], -v[156:157], v[160:161], v[162:163]
	s_delay_alu instid0(VALU_DEP_1) | instskip(NEXT) | instid1(VALU_DEP_1)
	v_div_fmas_f64 v[156:157], v[156:157], v[158:159], v[160:161]
	v_div_fixup_f64 v[156:157], v[156:157], v[152:153], v[154:155]
	s_delay_alu instid0(VALU_DEP_1) | instskip(NEXT) | instid1(VALU_DEP_1)
	v_fma_f64 v[152:153], v[154:155], v[156:157], v[152:153]
	v_div_scale_f64 v[154:155], null, v[152:153], v[152:153], 1.0
	s_delay_alu instid0(VALU_DEP_1) | instskip(SKIP_2) | instid1(VALU_DEP_1)
	v_rcp_f64_e32 v[158:159], v[154:155]
	s_waitcnt_depctr 0xfff
	v_fma_f64 v[160:161], -v[154:155], v[158:159], 1.0
	v_fma_f64 v[158:159], v[158:159], v[160:161], v[158:159]
	s_delay_alu instid0(VALU_DEP_1) | instskip(NEXT) | instid1(VALU_DEP_1)
	v_fma_f64 v[160:161], -v[154:155], v[158:159], 1.0
	v_fma_f64 v[158:159], v[158:159], v[160:161], v[158:159]
	v_div_scale_f64 v[160:161], vcc_lo, 1.0, v[152:153], 1.0
	s_delay_alu instid0(VALU_DEP_1) | instskip(NEXT) | instid1(VALU_DEP_1)
	v_mul_f64 v[162:163], v[160:161], v[158:159]
	v_fma_f64 v[154:155], -v[154:155], v[162:163], v[160:161]
	s_delay_alu instid0(VALU_DEP_1) | instskip(NEXT) | instid1(VALU_DEP_1)
	v_div_fmas_f64 v[154:155], v[154:155], v[158:159], v[162:163]
	v_div_fixup_f64 v[160:161], v[154:155], v[152:153], 1.0
	s_delay_alu instid0(VALU_DEP_1)
	v_mul_f64 v[158:159], v[156:157], -v[160:161]
.LBB75_142:
	s_or_b32 exec_lo, exec_lo, s3
	ds_store_2addr_b64 v203, v[160:161], v[158:159] offset1:1
.LBB75_143:
	s_or_b32 exec_lo, exec_lo, s4
	s_waitcnt lgkmcnt(0)
	s_barrier
	buffer_gl0_inv
	ds_load_2addr_b64 v[152:155], v203 offset1:1
	s_mov_b32 s3, exec_lo
	s_waitcnt lgkmcnt(0)
	scratch_store_b128 off, v[152:155], off offset:352 ; 16-byte Folded Spill
	v_cmpx_lt_u32_e32 15, v202
	s_cbranch_execz .LBB75_145
; %bb.144:
	scratch_load_b128 v[154:157], off, off offset:352 ; 16-byte Folded Reload
	s_waitcnt vmcnt(0)
	v_mul_f64 v[152:153], v[156:157], v[90:91]
	v_mul_f64 v[90:91], v[154:155], v[90:91]
	s_delay_alu instid0(VALU_DEP_2) | instskip(NEXT) | instid1(VALU_DEP_2)
	v_fma_f64 v[152:153], v[154:155], v[88:89], -v[152:153]
	v_fma_f64 v[90:91], v[156:157], v[88:89], v[90:91]
	ds_load_2addr_b64 v[154:157], v204 offset0:32 offset1:33
	s_waitcnt lgkmcnt(0)
	v_mul_f64 v[88:89], v[156:157], v[90:91]
	s_delay_alu instid0(VALU_DEP_1) | instskip(SKIP_1) | instid1(VALU_DEP_2)
	v_fma_f64 v[88:89], v[154:155], v[152:153], -v[88:89]
	v_mul_f64 v[154:155], v[154:155], v[90:91]
	v_add_f64 v[84:85], v[84:85], -v[88:89]
	s_delay_alu instid0(VALU_DEP_2) | instskip(NEXT) | instid1(VALU_DEP_1)
	v_fma_f64 v[154:155], v[156:157], v[152:153], v[154:155]
	v_add_f64 v[86:87], v[86:87], -v[154:155]
	ds_load_2addr_b64 v[154:157], v204 offset0:34 offset1:35
	s_waitcnt lgkmcnt(0)
	v_mul_f64 v[88:89], v[156:157], v[90:91]
	s_delay_alu instid0(VALU_DEP_1) | instskip(SKIP_1) | instid1(VALU_DEP_2)
	v_fma_f64 v[88:89], v[154:155], v[152:153], -v[88:89]
	v_mul_f64 v[154:155], v[154:155], v[90:91]
	v_add_f64 v[80:81], v[80:81], -v[88:89]
	s_delay_alu instid0(VALU_DEP_2) | instskip(NEXT) | instid1(VALU_DEP_1)
	v_fma_f64 v[154:155], v[156:157], v[152:153], v[154:155]
	v_add_f64 v[82:83], v[82:83], -v[154:155]
	;; [unrolled: 10-line block ×21, first 2 shown]
	ds_load_2addr_b64 v[154:157], v204 offset0:74 offset1:75
	s_waitcnt lgkmcnt(0)
	v_mul_f64 v[88:89], v[156:157], v[90:91]
	s_delay_alu instid0(VALU_DEP_1) | instskip(SKIP_1) | instid1(VALU_DEP_2)
	v_fma_f64 v[88:89], v[154:155], v[152:153], -v[88:89]
	v_mul_f64 v[154:155], v[154:155], v[90:91]
	v_add_f64 v[0:1], v[0:1], -v[88:89]
	s_delay_alu instid0(VALU_DEP_2) | instskip(SKIP_1) | instid1(VALU_DEP_2)
	v_fma_f64 v[154:155], v[156:157], v[152:153], v[154:155]
	v_dual_mov_b32 v88, v152 :: v_dual_mov_b32 v89, v153
	v_add_f64 v[2:3], v[2:3], -v[154:155]
.LBB75_145:
	s_or_b32 exec_lo, exec_lo, s3
	s_delay_alu instid0(SALU_CYCLE_1)
	s_mov_b32 s4, exec_lo
	s_waitcnt_vscnt null, 0x0
	s_barrier
	buffer_gl0_inv
	v_cmpx_eq_u32_e32 16, v202
	s_cbranch_execz .LBB75_152
; %bb.146:
	ds_store_2addr_b64 v203, v[84:85], v[86:87] offset1:1
	ds_store_2addr_b64 v204, v[80:81], v[82:83] offset0:34 offset1:35
	ds_store_2addr_b64 v204, v[76:77], v[78:79] offset0:36 offset1:37
	;; [unrolled: 1-line block ×21, first 2 shown]
	ds_load_2addr_b64 v[152:155], v203 offset1:1
	s_waitcnt lgkmcnt(0)
	v_cmp_neq_f64_e32 vcc_lo, 0, v[152:153]
	v_cmp_neq_f64_e64 s3, 0, v[154:155]
	s_delay_alu instid0(VALU_DEP_1) | instskip(NEXT) | instid1(SALU_CYCLE_1)
	s_or_b32 s3, vcc_lo, s3
	s_and_b32 exec_lo, exec_lo, s3
	s_cbranch_execz .LBB75_152
; %bb.147:
	v_cmp_gt_f64_e32 vcc_lo, 0, v[152:153]
	v_xor_b32_e32 v156, 0x80000000, v153
	v_xor_b32_e32 v158, 0x80000000, v155
	s_mov_b32 s3, exec_lo
                                        ; implicit-def: $vgpr160_vgpr161
	s_delay_alu instid0(VALU_DEP_2) | instskip(SKIP_4) | instid1(VALU_DEP_1)
	v_cndmask_b32_e32 v157, v153, v156, vcc_lo
	v_cndmask_b32_e32 v156, v152, v152, vcc_lo
	v_cmp_gt_f64_e32 vcc_lo, 0, v[154:155]
	v_cndmask_b32_e32 v159, v155, v158, vcc_lo
	v_cndmask_b32_e32 v158, v154, v154, vcc_lo
	v_cmpx_ngt_f64_e32 v[156:157], v[158:159]
	s_xor_b32 s3, exec_lo, s3
                                        ; implicit-def: $vgpr156_vgpr157_vgpr158_vgpr159
	s_cbranch_execz .LBB75_149
; %bb.148:
	v_div_scale_f64 v[156:157], null, v[154:155], v[154:155], v[152:153]
	v_div_scale_f64 v[162:163], vcc_lo, v[152:153], v[154:155], v[152:153]
	s_delay_alu instid0(VALU_DEP_2) | instskip(SKIP_2) | instid1(VALU_DEP_1)
	v_rcp_f64_e32 v[158:159], v[156:157]
	s_waitcnt_depctr 0xfff
	v_fma_f64 v[160:161], -v[156:157], v[158:159], 1.0
	v_fma_f64 v[158:159], v[158:159], v[160:161], v[158:159]
	s_delay_alu instid0(VALU_DEP_1) | instskip(NEXT) | instid1(VALU_DEP_1)
	v_fma_f64 v[160:161], -v[156:157], v[158:159], 1.0
	v_fma_f64 v[158:159], v[158:159], v[160:161], v[158:159]
	s_delay_alu instid0(VALU_DEP_1) | instskip(NEXT) | instid1(VALU_DEP_1)
	v_mul_f64 v[160:161], v[162:163], v[158:159]
	v_fma_f64 v[156:157], -v[156:157], v[160:161], v[162:163]
	s_delay_alu instid0(VALU_DEP_1) | instskip(NEXT) | instid1(VALU_DEP_1)
	v_div_fmas_f64 v[156:157], v[156:157], v[158:159], v[160:161]
	v_div_fixup_f64 v[156:157], v[156:157], v[154:155], v[152:153]
	s_delay_alu instid0(VALU_DEP_1) | instskip(NEXT) | instid1(VALU_DEP_1)
	v_fma_f64 v[152:153], v[152:153], v[156:157], v[154:155]
	v_div_scale_f64 v[154:155], null, v[152:153], v[152:153], 1.0
	s_delay_alu instid0(VALU_DEP_1) | instskip(SKIP_2) | instid1(VALU_DEP_1)
	v_rcp_f64_e32 v[158:159], v[154:155]
	s_waitcnt_depctr 0xfff
	v_fma_f64 v[160:161], -v[154:155], v[158:159], 1.0
	v_fma_f64 v[158:159], v[158:159], v[160:161], v[158:159]
	s_delay_alu instid0(VALU_DEP_1) | instskip(NEXT) | instid1(VALU_DEP_1)
	v_fma_f64 v[160:161], -v[154:155], v[158:159], 1.0
	v_fma_f64 v[158:159], v[158:159], v[160:161], v[158:159]
	v_div_scale_f64 v[160:161], vcc_lo, 1.0, v[152:153], 1.0
	s_delay_alu instid0(VALU_DEP_1) | instskip(NEXT) | instid1(VALU_DEP_1)
	v_mul_f64 v[162:163], v[160:161], v[158:159]
	v_fma_f64 v[154:155], -v[154:155], v[162:163], v[160:161]
	s_delay_alu instid0(VALU_DEP_1) | instskip(NEXT) | instid1(VALU_DEP_1)
	v_div_fmas_f64 v[154:155], v[154:155], v[158:159], v[162:163]
	v_div_fixup_f64 v[158:159], v[154:155], v[152:153], 1.0
                                        ; implicit-def: $vgpr152_vgpr153
	s_delay_alu instid0(VALU_DEP_1)
	v_mul_f64 v[160:161], v[156:157], v[158:159]
	v_xor_b32_e32 v159, 0x80000000, v159
.LBB75_149:
	s_and_not1_saveexec_b32 s3, s3
	s_cbranch_execz .LBB75_151
; %bb.150:
	v_div_scale_f64 v[156:157], null, v[152:153], v[152:153], v[154:155]
	v_div_scale_f64 v[162:163], vcc_lo, v[154:155], v[152:153], v[154:155]
	s_delay_alu instid0(VALU_DEP_2) | instskip(SKIP_2) | instid1(VALU_DEP_1)
	v_rcp_f64_e32 v[158:159], v[156:157]
	s_waitcnt_depctr 0xfff
	v_fma_f64 v[160:161], -v[156:157], v[158:159], 1.0
	v_fma_f64 v[158:159], v[158:159], v[160:161], v[158:159]
	s_delay_alu instid0(VALU_DEP_1) | instskip(NEXT) | instid1(VALU_DEP_1)
	v_fma_f64 v[160:161], -v[156:157], v[158:159], 1.0
	v_fma_f64 v[158:159], v[158:159], v[160:161], v[158:159]
	s_delay_alu instid0(VALU_DEP_1) | instskip(NEXT) | instid1(VALU_DEP_1)
	v_mul_f64 v[160:161], v[162:163], v[158:159]
	v_fma_f64 v[156:157], -v[156:157], v[160:161], v[162:163]
	s_delay_alu instid0(VALU_DEP_1) | instskip(NEXT) | instid1(VALU_DEP_1)
	v_div_fmas_f64 v[156:157], v[156:157], v[158:159], v[160:161]
	v_div_fixup_f64 v[156:157], v[156:157], v[152:153], v[154:155]
	s_delay_alu instid0(VALU_DEP_1) | instskip(NEXT) | instid1(VALU_DEP_1)
	v_fma_f64 v[152:153], v[154:155], v[156:157], v[152:153]
	v_div_scale_f64 v[154:155], null, v[152:153], v[152:153], 1.0
	s_delay_alu instid0(VALU_DEP_1) | instskip(SKIP_2) | instid1(VALU_DEP_1)
	v_rcp_f64_e32 v[158:159], v[154:155]
	s_waitcnt_depctr 0xfff
	v_fma_f64 v[160:161], -v[154:155], v[158:159], 1.0
	v_fma_f64 v[158:159], v[158:159], v[160:161], v[158:159]
	s_delay_alu instid0(VALU_DEP_1) | instskip(NEXT) | instid1(VALU_DEP_1)
	v_fma_f64 v[160:161], -v[154:155], v[158:159], 1.0
	v_fma_f64 v[158:159], v[158:159], v[160:161], v[158:159]
	v_div_scale_f64 v[160:161], vcc_lo, 1.0, v[152:153], 1.0
	s_delay_alu instid0(VALU_DEP_1) | instskip(NEXT) | instid1(VALU_DEP_1)
	v_mul_f64 v[162:163], v[160:161], v[158:159]
	v_fma_f64 v[154:155], -v[154:155], v[162:163], v[160:161]
	s_delay_alu instid0(VALU_DEP_1) | instskip(NEXT) | instid1(VALU_DEP_1)
	v_div_fmas_f64 v[154:155], v[154:155], v[158:159], v[162:163]
	v_div_fixup_f64 v[160:161], v[154:155], v[152:153], 1.0
	s_delay_alu instid0(VALU_DEP_1)
	v_mul_f64 v[158:159], v[156:157], -v[160:161]
.LBB75_151:
	s_or_b32 exec_lo, exec_lo, s3
	ds_store_2addr_b64 v203, v[160:161], v[158:159] offset1:1
.LBB75_152:
	s_or_b32 exec_lo, exec_lo, s4
	s_waitcnt lgkmcnt(0)
	s_barrier
	buffer_gl0_inv
	ds_load_2addr_b64 v[152:155], v203 offset1:1
	s_mov_b32 s3, exec_lo
	s_waitcnt lgkmcnt(0)
	scratch_store_b128 off, v[152:155], off offset:368 ; 16-byte Folded Spill
	v_cmpx_lt_u32_e32 16, v202
	s_cbranch_execz .LBB75_154
; %bb.153:
	scratch_load_b128 v[154:157], off, off offset:368 ; 16-byte Folded Reload
	s_waitcnt vmcnt(0)
	v_mul_f64 v[152:153], v[156:157], v[86:87]
	v_mul_f64 v[86:87], v[154:155], v[86:87]
	s_delay_alu instid0(VALU_DEP_2) | instskip(NEXT) | instid1(VALU_DEP_2)
	v_fma_f64 v[152:153], v[154:155], v[84:85], -v[152:153]
	v_fma_f64 v[86:87], v[156:157], v[84:85], v[86:87]
	ds_load_2addr_b64 v[154:157], v204 offset0:34 offset1:35
	s_waitcnt lgkmcnt(0)
	v_mul_f64 v[84:85], v[156:157], v[86:87]
	s_delay_alu instid0(VALU_DEP_1) | instskip(SKIP_1) | instid1(VALU_DEP_2)
	v_fma_f64 v[84:85], v[154:155], v[152:153], -v[84:85]
	v_mul_f64 v[154:155], v[154:155], v[86:87]
	v_add_f64 v[80:81], v[80:81], -v[84:85]
	s_delay_alu instid0(VALU_DEP_2) | instskip(NEXT) | instid1(VALU_DEP_1)
	v_fma_f64 v[154:155], v[156:157], v[152:153], v[154:155]
	v_add_f64 v[82:83], v[82:83], -v[154:155]
	ds_load_2addr_b64 v[154:157], v204 offset0:36 offset1:37
	s_waitcnt lgkmcnt(0)
	v_mul_f64 v[84:85], v[156:157], v[86:87]
	s_delay_alu instid0(VALU_DEP_1) | instskip(SKIP_1) | instid1(VALU_DEP_2)
	v_fma_f64 v[84:85], v[154:155], v[152:153], -v[84:85]
	v_mul_f64 v[154:155], v[154:155], v[86:87]
	v_add_f64 v[76:77], v[76:77], -v[84:85]
	s_delay_alu instid0(VALU_DEP_2) | instskip(NEXT) | instid1(VALU_DEP_1)
	v_fma_f64 v[154:155], v[156:157], v[152:153], v[154:155]
	v_add_f64 v[78:79], v[78:79], -v[154:155]
	;; [unrolled: 10-line block ×20, first 2 shown]
	ds_load_2addr_b64 v[154:157], v204 offset0:74 offset1:75
	s_waitcnt lgkmcnt(0)
	v_mul_f64 v[84:85], v[156:157], v[86:87]
	s_delay_alu instid0(VALU_DEP_1) | instskip(SKIP_1) | instid1(VALU_DEP_2)
	v_fma_f64 v[84:85], v[154:155], v[152:153], -v[84:85]
	v_mul_f64 v[154:155], v[154:155], v[86:87]
	v_add_f64 v[0:1], v[0:1], -v[84:85]
	s_delay_alu instid0(VALU_DEP_2) | instskip(SKIP_1) | instid1(VALU_DEP_2)
	v_fma_f64 v[154:155], v[156:157], v[152:153], v[154:155]
	v_dual_mov_b32 v84, v152 :: v_dual_mov_b32 v85, v153
	v_add_f64 v[2:3], v[2:3], -v[154:155]
.LBB75_154:
	s_or_b32 exec_lo, exec_lo, s3
	s_delay_alu instid0(SALU_CYCLE_1)
	s_mov_b32 s4, exec_lo
	s_waitcnt_vscnt null, 0x0
	s_barrier
	buffer_gl0_inv
	v_cmpx_eq_u32_e32 17, v202
	s_cbranch_execz .LBB75_161
; %bb.155:
	ds_store_2addr_b64 v203, v[80:81], v[82:83] offset1:1
	ds_store_2addr_b64 v204, v[76:77], v[78:79] offset0:36 offset1:37
	ds_store_2addr_b64 v204, v[72:73], v[74:75] offset0:38 offset1:39
	;; [unrolled: 1-line block ×20, first 2 shown]
	ds_load_2addr_b64 v[152:155], v203 offset1:1
	s_waitcnt lgkmcnt(0)
	v_cmp_neq_f64_e32 vcc_lo, 0, v[152:153]
	v_cmp_neq_f64_e64 s3, 0, v[154:155]
	s_delay_alu instid0(VALU_DEP_1) | instskip(NEXT) | instid1(SALU_CYCLE_1)
	s_or_b32 s3, vcc_lo, s3
	s_and_b32 exec_lo, exec_lo, s3
	s_cbranch_execz .LBB75_161
; %bb.156:
	v_cmp_gt_f64_e32 vcc_lo, 0, v[152:153]
	v_xor_b32_e32 v156, 0x80000000, v153
	v_xor_b32_e32 v158, 0x80000000, v155
	s_mov_b32 s3, exec_lo
                                        ; implicit-def: $vgpr160_vgpr161
	s_delay_alu instid0(VALU_DEP_2) | instskip(SKIP_4) | instid1(VALU_DEP_1)
	v_cndmask_b32_e32 v157, v153, v156, vcc_lo
	v_cndmask_b32_e32 v156, v152, v152, vcc_lo
	v_cmp_gt_f64_e32 vcc_lo, 0, v[154:155]
	v_cndmask_b32_e32 v159, v155, v158, vcc_lo
	v_cndmask_b32_e32 v158, v154, v154, vcc_lo
	v_cmpx_ngt_f64_e32 v[156:157], v[158:159]
	s_xor_b32 s3, exec_lo, s3
                                        ; implicit-def: $vgpr156_vgpr157_vgpr158_vgpr159
	s_cbranch_execz .LBB75_158
; %bb.157:
	v_div_scale_f64 v[156:157], null, v[154:155], v[154:155], v[152:153]
	v_div_scale_f64 v[162:163], vcc_lo, v[152:153], v[154:155], v[152:153]
	s_delay_alu instid0(VALU_DEP_2) | instskip(SKIP_2) | instid1(VALU_DEP_1)
	v_rcp_f64_e32 v[158:159], v[156:157]
	s_waitcnt_depctr 0xfff
	v_fma_f64 v[160:161], -v[156:157], v[158:159], 1.0
	v_fma_f64 v[158:159], v[158:159], v[160:161], v[158:159]
	s_delay_alu instid0(VALU_DEP_1) | instskip(NEXT) | instid1(VALU_DEP_1)
	v_fma_f64 v[160:161], -v[156:157], v[158:159], 1.0
	v_fma_f64 v[158:159], v[158:159], v[160:161], v[158:159]
	s_delay_alu instid0(VALU_DEP_1) | instskip(NEXT) | instid1(VALU_DEP_1)
	v_mul_f64 v[160:161], v[162:163], v[158:159]
	v_fma_f64 v[156:157], -v[156:157], v[160:161], v[162:163]
	s_delay_alu instid0(VALU_DEP_1) | instskip(NEXT) | instid1(VALU_DEP_1)
	v_div_fmas_f64 v[156:157], v[156:157], v[158:159], v[160:161]
	v_div_fixup_f64 v[156:157], v[156:157], v[154:155], v[152:153]
	s_delay_alu instid0(VALU_DEP_1) | instskip(NEXT) | instid1(VALU_DEP_1)
	v_fma_f64 v[152:153], v[152:153], v[156:157], v[154:155]
	v_div_scale_f64 v[154:155], null, v[152:153], v[152:153], 1.0
	s_delay_alu instid0(VALU_DEP_1) | instskip(SKIP_2) | instid1(VALU_DEP_1)
	v_rcp_f64_e32 v[158:159], v[154:155]
	s_waitcnt_depctr 0xfff
	v_fma_f64 v[160:161], -v[154:155], v[158:159], 1.0
	v_fma_f64 v[158:159], v[158:159], v[160:161], v[158:159]
	s_delay_alu instid0(VALU_DEP_1) | instskip(NEXT) | instid1(VALU_DEP_1)
	v_fma_f64 v[160:161], -v[154:155], v[158:159], 1.0
	v_fma_f64 v[158:159], v[158:159], v[160:161], v[158:159]
	v_div_scale_f64 v[160:161], vcc_lo, 1.0, v[152:153], 1.0
	s_delay_alu instid0(VALU_DEP_1) | instskip(NEXT) | instid1(VALU_DEP_1)
	v_mul_f64 v[162:163], v[160:161], v[158:159]
	v_fma_f64 v[154:155], -v[154:155], v[162:163], v[160:161]
	s_delay_alu instid0(VALU_DEP_1) | instskip(NEXT) | instid1(VALU_DEP_1)
	v_div_fmas_f64 v[154:155], v[154:155], v[158:159], v[162:163]
	v_div_fixup_f64 v[158:159], v[154:155], v[152:153], 1.0
                                        ; implicit-def: $vgpr152_vgpr153
	s_delay_alu instid0(VALU_DEP_1)
	v_mul_f64 v[160:161], v[156:157], v[158:159]
	v_xor_b32_e32 v159, 0x80000000, v159
.LBB75_158:
	s_and_not1_saveexec_b32 s3, s3
	s_cbranch_execz .LBB75_160
; %bb.159:
	v_div_scale_f64 v[156:157], null, v[152:153], v[152:153], v[154:155]
	v_div_scale_f64 v[162:163], vcc_lo, v[154:155], v[152:153], v[154:155]
	s_delay_alu instid0(VALU_DEP_2) | instskip(SKIP_2) | instid1(VALU_DEP_1)
	v_rcp_f64_e32 v[158:159], v[156:157]
	s_waitcnt_depctr 0xfff
	v_fma_f64 v[160:161], -v[156:157], v[158:159], 1.0
	v_fma_f64 v[158:159], v[158:159], v[160:161], v[158:159]
	s_delay_alu instid0(VALU_DEP_1) | instskip(NEXT) | instid1(VALU_DEP_1)
	v_fma_f64 v[160:161], -v[156:157], v[158:159], 1.0
	v_fma_f64 v[158:159], v[158:159], v[160:161], v[158:159]
	s_delay_alu instid0(VALU_DEP_1) | instskip(NEXT) | instid1(VALU_DEP_1)
	v_mul_f64 v[160:161], v[162:163], v[158:159]
	v_fma_f64 v[156:157], -v[156:157], v[160:161], v[162:163]
	s_delay_alu instid0(VALU_DEP_1) | instskip(NEXT) | instid1(VALU_DEP_1)
	v_div_fmas_f64 v[156:157], v[156:157], v[158:159], v[160:161]
	v_div_fixup_f64 v[156:157], v[156:157], v[152:153], v[154:155]
	s_delay_alu instid0(VALU_DEP_1) | instskip(NEXT) | instid1(VALU_DEP_1)
	v_fma_f64 v[152:153], v[154:155], v[156:157], v[152:153]
	v_div_scale_f64 v[154:155], null, v[152:153], v[152:153], 1.0
	s_delay_alu instid0(VALU_DEP_1) | instskip(SKIP_2) | instid1(VALU_DEP_1)
	v_rcp_f64_e32 v[158:159], v[154:155]
	s_waitcnt_depctr 0xfff
	v_fma_f64 v[160:161], -v[154:155], v[158:159], 1.0
	v_fma_f64 v[158:159], v[158:159], v[160:161], v[158:159]
	s_delay_alu instid0(VALU_DEP_1) | instskip(NEXT) | instid1(VALU_DEP_1)
	v_fma_f64 v[160:161], -v[154:155], v[158:159], 1.0
	v_fma_f64 v[158:159], v[158:159], v[160:161], v[158:159]
	v_div_scale_f64 v[160:161], vcc_lo, 1.0, v[152:153], 1.0
	s_delay_alu instid0(VALU_DEP_1) | instskip(NEXT) | instid1(VALU_DEP_1)
	v_mul_f64 v[162:163], v[160:161], v[158:159]
	v_fma_f64 v[154:155], -v[154:155], v[162:163], v[160:161]
	s_delay_alu instid0(VALU_DEP_1) | instskip(NEXT) | instid1(VALU_DEP_1)
	v_div_fmas_f64 v[154:155], v[154:155], v[158:159], v[162:163]
	v_div_fixup_f64 v[160:161], v[154:155], v[152:153], 1.0
	s_delay_alu instid0(VALU_DEP_1)
	v_mul_f64 v[158:159], v[156:157], -v[160:161]
.LBB75_160:
	s_or_b32 exec_lo, exec_lo, s3
	ds_store_2addr_b64 v203, v[160:161], v[158:159] offset1:1
.LBB75_161:
	s_or_b32 exec_lo, exec_lo, s4
	s_waitcnt lgkmcnt(0)
	s_barrier
	buffer_gl0_inv
	ds_load_2addr_b64 v[152:155], v203 offset1:1
	s_mov_b32 s3, exec_lo
	s_waitcnt lgkmcnt(0)
	scratch_store_b128 off, v[152:155], off offset:384 ; 16-byte Folded Spill
	v_cmpx_lt_u32_e32 17, v202
	s_cbranch_execz .LBB75_163
; %bb.162:
	scratch_load_b128 v[154:157], off, off offset:384 ; 16-byte Folded Reload
	s_waitcnt vmcnt(0)
	v_mul_f64 v[152:153], v[156:157], v[82:83]
	v_mul_f64 v[82:83], v[154:155], v[82:83]
	s_delay_alu instid0(VALU_DEP_2) | instskip(NEXT) | instid1(VALU_DEP_2)
	v_fma_f64 v[152:153], v[154:155], v[80:81], -v[152:153]
	v_fma_f64 v[82:83], v[156:157], v[80:81], v[82:83]
	ds_load_2addr_b64 v[154:157], v204 offset0:36 offset1:37
	s_waitcnt lgkmcnt(0)
	v_mul_f64 v[80:81], v[156:157], v[82:83]
	s_delay_alu instid0(VALU_DEP_1) | instskip(SKIP_1) | instid1(VALU_DEP_2)
	v_fma_f64 v[80:81], v[154:155], v[152:153], -v[80:81]
	v_mul_f64 v[154:155], v[154:155], v[82:83]
	v_add_f64 v[76:77], v[76:77], -v[80:81]
	s_delay_alu instid0(VALU_DEP_2) | instskip(NEXT) | instid1(VALU_DEP_1)
	v_fma_f64 v[154:155], v[156:157], v[152:153], v[154:155]
	v_add_f64 v[78:79], v[78:79], -v[154:155]
	ds_load_2addr_b64 v[154:157], v204 offset0:38 offset1:39
	s_waitcnt lgkmcnt(0)
	v_mul_f64 v[80:81], v[156:157], v[82:83]
	s_delay_alu instid0(VALU_DEP_1) | instskip(SKIP_1) | instid1(VALU_DEP_2)
	v_fma_f64 v[80:81], v[154:155], v[152:153], -v[80:81]
	v_mul_f64 v[154:155], v[154:155], v[82:83]
	v_add_f64 v[72:73], v[72:73], -v[80:81]
	s_delay_alu instid0(VALU_DEP_2) | instskip(NEXT) | instid1(VALU_DEP_1)
	v_fma_f64 v[154:155], v[156:157], v[152:153], v[154:155]
	v_add_f64 v[74:75], v[74:75], -v[154:155]
	;; [unrolled: 10-line block ×19, first 2 shown]
	ds_load_2addr_b64 v[154:157], v204 offset0:74 offset1:75
	s_waitcnt lgkmcnt(0)
	v_mul_f64 v[80:81], v[156:157], v[82:83]
	s_delay_alu instid0(VALU_DEP_1) | instskip(SKIP_1) | instid1(VALU_DEP_2)
	v_fma_f64 v[80:81], v[154:155], v[152:153], -v[80:81]
	v_mul_f64 v[154:155], v[154:155], v[82:83]
	v_add_f64 v[0:1], v[0:1], -v[80:81]
	s_delay_alu instid0(VALU_DEP_2) | instskip(SKIP_1) | instid1(VALU_DEP_2)
	v_fma_f64 v[154:155], v[156:157], v[152:153], v[154:155]
	v_dual_mov_b32 v80, v152 :: v_dual_mov_b32 v81, v153
	v_add_f64 v[2:3], v[2:3], -v[154:155]
.LBB75_163:
	s_or_b32 exec_lo, exec_lo, s3
	s_delay_alu instid0(SALU_CYCLE_1)
	s_mov_b32 s4, exec_lo
	s_waitcnt_vscnt null, 0x0
	s_barrier
	buffer_gl0_inv
	v_cmpx_eq_u32_e32 18, v202
	s_cbranch_execz .LBB75_170
; %bb.164:
	ds_store_2addr_b64 v203, v[76:77], v[78:79] offset1:1
	ds_store_2addr_b64 v204, v[72:73], v[74:75] offset0:38 offset1:39
	ds_store_2addr_b64 v204, v[68:69], v[70:71] offset0:40 offset1:41
	;; [unrolled: 1-line block ×19, first 2 shown]
	ds_load_2addr_b64 v[152:155], v203 offset1:1
	s_waitcnt lgkmcnt(0)
	v_cmp_neq_f64_e32 vcc_lo, 0, v[152:153]
	v_cmp_neq_f64_e64 s3, 0, v[154:155]
	s_delay_alu instid0(VALU_DEP_1) | instskip(NEXT) | instid1(SALU_CYCLE_1)
	s_or_b32 s3, vcc_lo, s3
	s_and_b32 exec_lo, exec_lo, s3
	s_cbranch_execz .LBB75_170
; %bb.165:
	v_cmp_gt_f64_e32 vcc_lo, 0, v[152:153]
	v_xor_b32_e32 v156, 0x80000000, v153
	v_xor_b32_e32 v158, 0x80000000, v155
	s_mov_b32 s3, exec_lo
                                        ; implicit-def: $vgpr160_vgpr161
	s_delay_alu instid0(VALU_DEP_2) | instskip(SKIP_4) | instid1(VALU_DEP_1)
	v_cndmask_b32_e32 v157, v153, v156, vcc_lo
	v_cndmask_b32_e32 v156, v152, v152, vcc_lo
	v_cmp_gt_f64_e32 vcc_lo, 0, v[154:155]
	v_cndmask_b32_e32 v159, v155, v158, vcc_lo
	v_cndmask_b32_e32 v158, v154, v154, vcc_lo
	v_cmpx_ngt_f64_e32 v[156:157], v[158:159]
	s_xor_b32 s3, exec_lo, s3
                                        ; implicit-def: $vgpr156_vgpr157_vgpr158_vgpr159
	s_cbranch_execz .LBB75_167
; %bb.166:
	v_div_scale_f64 v[156:157], null, v[154:155], v[154:155], v[152:153]
	v_div_scale_f64 v[162:163], vcc_lo, v[152:153], v[154:155], v[152:153]
	s_delay_alu instid0(VALU_DEP_2) | instskip(SKIP_2) | instid1(VALU_DEP_1)
	v_rcp_f64_e32 v[158:159], v[156:157]
	s_waitcnt_depctr 0xfff
	v_fma_f64 v[160:161], -v[156:157], v[158:159], 1.0
	v_fma_f64 v[158:159], v[158:159], v[160:161], v[158:159]
	s_delay_alu instid0(VALU_DEP_1) | instskip(NEXT) | instid1(VALU_DEP_1)
	v_fma_f64 v[160:161], -v[156:157], v[158:159], 1.0
	v_fma_f64 v[158:159], v[158:159], v[160:161], v[158:159]
	s_delay_alu instid0(VALU_DEP_1) | instskip(NEXT) | instid1(VALU_DEP_1)
	v_mul_f64 v[160:161], v[162:163], v[158:159]
	v_fma_f64 v[156:157], -v[156:157], v[160:161], v[162:163]
	s_delay_alu instid0(VALU_DEP_1) | instskip(NEXT) | instid1(VALU_DEP_1)
	v_div_fmas_f64 v[156:157], v[156:157], v[158:159], v[160:161]
	v_div_fixup_f64 v[156:157], v[156:157], v[154:155], v[152:153]
	s_delay_alu instid0(VALU_DEP_1) | instskip(NEXT) | instid1(VALU_DEP_1)
	v_fma_f64 v[152:153], v[152:153], v[156:157], v[154:155]
	v_div_scale_f64 v[154:155], null, v[152:153], v[152:153], 1.0
	s_delay_alu instid0(VALU_DEP_1) | instskip(SKIP_2) | instid1(VALU_DEP_1)
	v_rcp_f64_e32 v[158:159], v[154:155]
	s_waitcnt_depctr 0xfff
	v_fma_f64 v[160:161], -v[154:155], v[158:159], 1.0
	v_fma_f64 v[158:159], v[158:159], v[160:161], v[158:159]
	s_delay_alu instid0(VALU_DEP_1) | instskip(NEXT) | instid1(VALU_DEP_1)
	v_fma_f64 v[160:161], -v[154:155], v[158:159], 1.0
	v_fma_f64 v[158:159], v[158:159], v[160:161], v[158:159]
	v_div_scale_f64 v[160:161], vcc_lo, 1.0, v[152:153], 1.0
	s_delay_alu instid0(VALU_DEP_1) | instskip(NEXT) | instid1(VALU_DEP_1)
	v_mul_f64 v[162:163], v[160:161], v[158:159]
	v_fma_f64 v[154:155], -v[154:155], v[162:163], v[160:161]
	s_delay_alu instid0(VALU_DEP_1) | instskip(NEXT) | instid1(VALU_DEP_1)
	v_div_fmas_f64 v[154:155], v[154:155], v[158:159], v[162:163]
	v_div_fixup_f64 v[158:159], v[154:155], v[152:153], 1.0
                                        ; implicit-def: $vgpr152_vgpr153
	s_delay_alu instid0(VALU_DEP_1)
	v_mul_f64 v[160:161], v[156:157], v[158:159]
	v_xor_b32_e32 v159, 0x80000000, v159
.LBB75_167:
	s_and_not1_saveexec_b32 s3, s3
	s_cbranch_execz .LBB75_169
; %bb.168:
	v_div_scale_f64 v[156:157], null, v[152:153], v[152:153], v[154:155]
	v_div_scale_f64 v[162:163], vcc_lo, v[154:155], v[152:153], v[154:155]
	s_delay_alu instid0(VALU_DEP_2) | instskip(SKIP_2) | instid1(VALU_DEP_1)
	v_rcp_f64_e32 v[158:159], v[156:157]
	s_waitcnt_depctr 0xfff
	v_fma_f64 v[160:161], -v[156:157], v[158:159], 1.0
	v_fma_f64 v[158:159], v[158:159], v[160:161], v[158:159]
	s_delay_alu instid0(VALU_DEP_1) | instskip(NEXT) | instid1(VALU_DEP_1)
	v_fma_f64 v[160:161], -v[156:157], v[158:159], 1.0
	v_fma_f64 v[158:159], v[158:159], v[160:161], v[158:159]
	s_delay_alu instid0(VALU_DEP_1) | instskip(NEXT) | instid1(VALU_DEP_1)
	v_mul_f64 v[160:161], v[162:163], v[158:159]
	v_fma_f64 v[156:157], -v[156:157], v[160:161], v[162:163]
	s_delay_alu instid0(VALU_DEP_1) | instskip(NEXT) | instid1(VALU_DEP_1)
	v_div_fmas_f64 v[156:157], v[156:157], v[158:159], v[160:161]
	v_div_fixup_f64 v[156:157], v[156:157], v[152:153], v[154:155]
	s_delay_alu instid0(VALU_DEP_1) | instskip(NEXT) | instid1(VALU_DEP_1)
	v_fma_f64 v[152:153], v[154:155], v[156:157], v[152:153]
	v_div_scale_f64 v[154:155], null, v[152:153], v[152:153], 1.0
	s_delay_alu instid0(VALU_DEP_1) | instskip(SKIP_2) | instid1(VALU_DEP_1)
	v_rcp_f64_e32 v[158:159], v[154:155]
	s_waitcnt_depctr 0xfff
	v_fma_f64 v[160:161], -v[154:155], v[158:159], 1.0
	v_fma_f64 v[158:159], v[158:159], v[160:161], v[158:159]
	s_delay_alu instid0(VALU_DEP_1) | instskip(NEXT) | instid1(VALU_DEP_1)
	v_fma_f64 v[160:161], -v[154:155], v[158:159], 1.0
	v_fma_f64 v[158:159], v[158:159], v[160:161], v[158:159]
	v_div_scale_f64 v[160:161], vcc_lo, 1.0, v[152:153], 1.0
	s_delay_alu instid0(VALU_DEP_1) | instskip(NEXT) | instid1(VALU_DEP_1)
	v_mul_f64 v[162:163], v[160:161], v[158:159]
	v_fma_f64 v[154:155], -v[154:155], v[162:163], v[160:161]
	s_delay_alu instid0(VALU_DEP_1) | instskip(NEXT) | instid1(VALU_DEP_1)
	v_div_fmas_f64 v[154:155], v[154:155], v[158:159], v[162:163]
	v_div_fixup_f64 v[160:161], v[154:155], v[152:153], 1.0
	s_delay_alu instid0(VALU_DEP_1)
	v_mul_f64 v[158:159], v[156:157], -v[160:161]
.LBB75_169:
	s_or_b32 exec_lo, exec_lo, s3
	ds_store_2addr_b64 v203, v[160:161], v[158:159] offset1:1
.LBB75_170:
	s_or_b32 exec_lo, exec_lo, s4
	s_waitcnt lgkmcnt(0)
	s_barrier
	buffer_gl0_inv
	ds_load_2addr_b64 v[152:155], v203 offset1:1
	s_mov_b32 s3, exec_lo
	s_waitcnt lgkmcnt(0)
	scratch_store_b128 off, v[152:155], off offset:400 ; 16-byte Folded Spill
	v_cmpx_lt_u32_e32 18, v202
	s_cbranch_execz .LBB75_172
; %bb.171:
	scratch_load_b128 v[154:157], off, off offset:400 ; 16-byte Folded Reload
	s_waitcnt vmcnt(0)
	v_mul_f64 v[152:153], v[156:157], v[78:79]
	v_mul_f64 v[78:79], v[154:155], v[78:79]
	s_delay_alu instid0(VALU_DEP_2) | instskip(NEXT) | instid1(VALU_DEP_2)
	v_fma_f64 v[152:153], v[154:155], v[76:77], -v[152:153]
	v_fma_f64 v[78:79], v[156:157], v[76:77], v[78:79]
	ds_load_2addr_b64 v[154:157], v204 offset0:38 offset1:39
	s_waitcnt lgkmcnt(0)
	v_mul_f64 v[76:77], v[156:157], v[78:79]
	s_delay_alu instid0(VALU_DEP_1) | instskip(SKIP_1) | instid1(VALU_DEP_2)
	v_fma_f64 v[76:77], v[154:155], v[152:153], -v[76:77]
	v_mul_f64 v[154:155], v[154:155], v[78:79]
	v_add_f64 v[72:73], v[72:73], -v[76:77]
	s_delay_alu instid0(VALU_DEP_2) | instskip(NEXT) | instid1(VALU_DEP_1)
	v_fma_f64 v[154:155], v[156:157], v[152:153], v[154:155]
	v_add_f64 v[74:75], v[74:75], -v[154:155]
	ds_load_2addr_b64 v[154:157], v204 offset0:40 offset1:41
	s_waitcnt lgkmcnt(0)
	v_mul_f64 v[76:77], v[156:157], v[78:79]
	s_delay_alu instid0(VALU_DEP_1) | instskip(SKIP_1) | instid1(VALU_DEP_2)
	v_fma_f64 v[76:77], v[154:155], v[152:153], -v[76:77]
	v_mul_f64 v[154:155], v[154:155], v[78:79]
	v_add_f64 v[68:69], v[68:69], -v[76:77]
	s_delay_alu instid0(VALU_DEP_2) | instskip(NEXT) | instid1(VALU_DEP_1)
	v_fma_f64 v[154:155], v[156:157], v[152:153], v[154:155]
	v_add_f64 v[70:71], v[70:71], -v[154:155]
	;; [unrolled: 10-line block ×18, first 2 shown]
	ds_load_2addr_b64 v[154:157], v204 offset0:74 offset1:75
	s_waitcnt lgkmcnt(0)
	v_mul_f64 v[76:77], v[156:157], v[78:79]
	s_delay_alu instid0(VALU_DEP_1) | instskip(SKIP_1) | instid1(VALU_DEP_2)
	v_fma_f64 v[76:77], v[154:155], v[152:153], -v[76:77]
	v_mul_f64 v[154:155], v[154:155], v[78:79]
	v_add_f64 v[0:1], v[0:1], -v[76:77]
	s_delay_alu instid0(VALU_DEP_2) | instskip(SKIP_1) | instid1(VALU_DEP_2)
	v_fma_f64 v[154:155], v[156:157], v[152:153], v[154:155]
	v_dual_mov_b32 v76, v152 :: v_dual_mov_b32 v77, v153
	v_add_f64 v[2:3], v[2:3], -v[154:155]
.LBB75_172:
	s_or_b32 exec_lo, exec_lo, s3
	s_delay_alu instid0(SALU_CYCLE_1)
	s_mov_b32 s4, exec_lo
	s_waitcnt_vscnt null, 0x0
	s_barrier
	buffer_gl0_inv
	v_cmpx_eq_u32_e32 19, v202
	s_cbranch_execz .LBB75_179
; %bb.173:
	ds_store_2addr_b64 v203, v[72:73], v[74:75] offset1:1
	ds_store_2addr_b64 v204, v[68:69], v[70:71] offset0:40 offset1:41
	ds_store_2addr_b64 v204, v[64:65], v[66:67] offset0:42 offset1:43
	;; [unrolled: 1-line block ×18, first 2 shown]
	ds_load_2addr_b64 v[152:155], v203 offset1:1
	s_waitcnt lgkmcnt(0)
	v_cmp_neq_f64_e32 vcc_lo, 0, v[152:153]
	v_cmp_neq_f64_e64 s3, 0, v[154:155]
	s_delay_alu instid0(VALU_DEP_1) | instskip(NEXT) | instid1(SALU_CYCLE_1)
	s_or_b32 s3, vcc_lo, s3
	s_and_b32 exec_lo, exec_lo, s3
	s_cbranch_execz .LBB75_179
; %bb.174:
	v_cmp_gt_f64_e32 vcc_lo, 0, v[152:153]
	v_xor_b32_e32 v156, 0x80000000, v153
	v_xor_b32_e32 v158, 0x80000000, v155
	s_mov_b32 s3, exec_lo
                                        ; implicit-def: $vgpr160_vgpr161
	s_delay_alu instid0(VALU_DEP_2) | instskip(SKIP_4) | instid1(VALU_DEP_1)
	v_cndmask_b32_e32 v157, v153, v156, vcc_lo
	v_cndmask_b32_e32 v156, v152, v152, vcc_lo
	v_cmp_gt_f64_e32 vcc_lo, 0, v[154:155]
	v_cndmask_b32_e32 v159, v155, v158, vcc_lo
	v_cndmask_b32_e32 v158, v154, v154, vcc_lo
	v_cmpx_ngt_f64_e32 v[156:157], v[158:159]
	s_xor_b32 s3, exec_lo, s3
                                        ; implicit-def: $vgpr156_vgpr157_vgpr158_vgpr159
	s_cbranch_execz .LBB75_176
; %bb.175:
	v_div_scale_f64 v[156:157], null, v[154:155], v[154:155], v[152:153]
	v_div_scale_f64 v[162:163], vcc_lo, v[152:153], v[154:155], v[152:153]
	s_delay_alu instid0(VALU_DEP_2) | instskip(SKIP_2) | instid1(VALU_DEP_1)
	v_rcp_f64_e32 v[158:159], v[156:157]
	s_waitcnt_depctr 0xfff
	v_fma_f64 v[160:161], -v[156:157], v[158:159], 1.0
	v_fma_f64 v[158:159], v[158:159], v[160:161], v[158:159]
	s_delay_alu instid0(VALU_DEP_1) | instskip(NEXT) | instid1(VALU_DEP_1)
	v_fma_f64 v[160:161], -v[156:157], v[158:159], 1.0
	v_fma_f64 v[158:159], v[158:159], v[160:161], v[158:159]
	s_delay_alu instid0(VALU_DEP_1) | instskip(NEXT) | instid1(VALU_DEP_1)
	v_mul_f64 v[160:161], v[162:163], v[158:159]
	v_fma_f64 v[156:157], -v[156:157], v[160:161], v[162:163]
	s_delay_alu instid0(VALU_DEP_1) | instskip(NEXT) | instid1(VALU_DEP_1)
	v_div_fmas_f64 v[156:157], v[156:157], v[158:159], v[160:161]
	v_div_fixup_f64 v[156:157], v[156:157], v[154:155], v[152:153]
	s_delay_alu instid0(VALU_DEP_1) | instskip(NEXT) | instid1(VALU_DEP_1)
	v_fma_f64 v[152:153], v[152:153], v[156:157], v[154:155]
	v_div_scale_f64 v[154:155], null, v[152:153], v[152:153], 1.0
	s_delay_alu instid0(VALU_DEP_1) | instskip(SKIP_2) | instid1(VALU_DEP_1)
	v_rcp_f64_e32 v[158:159], v[154:155]
	s_waitcnt_depctr 0xfff
	v_fma_f64 v[160:161], -v[154:155], v[158:159], 1.0
	v_fma_f64 v[158:159], v[158:159], v[160:161], v[158:159]
	s_delay_alu instid0(VALU_DEP_1) | instskip(NEXT) | instid1(VALU_DEP_1)
	v_fma_f64 v[160:161], -v[154:155], v[158:159], 1.0
	v_fma_f64 v[158:159], v[158:159], v[160:161], v[158:159]
	v_div_scale_f64 v[160:161], vcc_lo, 1.0, v[152:153], 1.0
	s_delay_alu instid0(VALU_DEP_1) | instskip(NEXT) | instid1(VALU_DEP_1)
	v_mul_f64 v[162:163], v[160:161], v[158:159]
	v_fma_f64 v[154:155], -v[154:155], v[162:163], v[160:161]
	s_delay_alu instid0(VALU_DEP_1) | instskip(NEXT) | instid1(VALU_DEP_1)
	v_div_fmas_f64 v[154:155], v[154:155], v[158:159], v[162:163]
	v_div_fixup_f64 v[158:159], v[154:155], v[152:153], 1.0
                                        ; implicit-def: $vgpr152_vgpr153
	s_delay_alu instid0(VALU_DEP_1)
	v_mul_f64 v[160:161], v[156:157], v[158:159]
	v_xor_b32_e32 v159, 0x80000000, v159
.LBB75_176:
	s_and_not1_saveexec_b32 s3, s3
	s_cbranch_execz .LBB75_178
; %bb.177:
	v_div_scale_f64 v[156:157], null, v[152:153], v[152:153], v[154:155]
	v_div_scale_f64 v[162:163], vcc_lo, v[154:155], v[152:153], v[154:155]
	s_delay_alu instid0(VALU_DEP_2) | instskip(SKIP_2) | instid1(VALU_DEP_1)
	v_rcp_f64_e32 v[158:159], v[156:157]
	s_waitcnt_depctr 0xfff
	v_fma_f64 v[160:161], -v[156:157], v[158:159], 1.0
	v_fma_f64 v[158:159], v[158:159], v[160:161], v[158:159]
	s_delay_alu instid0(VALU_DEP_1) | instskip(NEXT) | instid1(VALU_DEP_1)
	v_fma_f64 v[160:161], -v[156:157], v[158:159], 1.0
	v_fma_f64 v[158:159], v[158:159], v[160:161], v[158:159]
	s_delay_alu instid0(VALU_DEP_1) | instskip(NEXT) | instid1(VALU_DEP_1)
	v_mul_f64 v[160:161], v[162:163], v[158:159]
	v_fma_f64 v[156:157], -v[156:157], v[160:161], v[162:163]
	s_delay_alu instid0(VALU_DEP_1) | instskip(NEXT) | instid1(VALU_DEP_1)
	v_div_fmas_f64 v[156:157], v[156:157], v[158:159], v[160:161]
	v_div_fixup_f64 v[156:157], v[156:157], v[152:153], v[154:155]
	s_delay_alu instid0(VALU_DEP_1) | instskip(NEXT) | instid1(VALU_DEP_1)
	v_fma_f64 v[152:153], v[154:155], v[156:157], v[152:153]
	v_div_scale_f64 v[154:155], null, v[152:153], v[152:153], 1.0
	s_delay_alu instid0(VALU_DEP_1) | instskip(SKIP_2) | instid1(VALU_DEP_1)
	v_rcp_f64_e32 v[158:159], v[154:155]
	s_waitcnt_depctr 0xfff
	v_fma_f64 v[160:161], -v[154:155], v[158:159], 1.0
	v_fma_f64 v[158:159], v[158:159], v[160:161], v[158:159]
	s_delay_alu instid0(VALU_DEP_1) | instskip(NEXT) | instid1(VALU_DEP_1)
	v_fma_f64 v[160:161], -v[154:155], v[158:159], 1.0
	v_fma_f64 v[158:159], v[158:159], v[160:161], v[158:159]
	v_div_scale_f64 v[160:161], vcc_lo, 1.0, v[152:153], 1.0
	s_delay_alu instid0(VALU_DEP_1) | instskip(NEXT) | instid1(VALU_DEP_1)
	v_mul_f64 v[162:163], v[160:161], v[158:159]
	v_fma_f64 v[154:155], -v[154:155], v[162:163], v[160:161]
	s_delay_alu instid0(VALU_DEP_1) | instskip(NEXT) | instid1(VALU_DEP_1)
	v_div_fmas_f64 v[154:155], v[154:155], v[158:159], v[162:163]
	v_div_fixup_f64 v[160:161], v[154:155], v[152:153], 1.0
	s_delay_alu instid0(VALU_DEP_1)
	v_mul_f64 v[158:159], v[156:157], -v[160:161]
.LBB75_178:
	s_or_b32 exec_lo, exec_lo, s3
	ds_store_2addr_b64 v203, v[160:161], v[158:159] offset1:1
.LBB75_179:
	s_or_b32 exec_lo, exec_lo, s4
	s_waitcnt lgkmcnt(0)
	s_barrier
	buffer_gl0_inv
	ds_load_2addr_b64 v[152:155], v203 offset1:1
	s_mov_b32 s3, exec_lo
	s_waitcnt lgkmcnt(0)
	scratch_store_b128 off, v[152:155], off offset:416 ; 16-byte Folded Spill
	v_cmpx_lt_u32_e32 19, v202
	s_cbranch_execz .LBB75_181
; %bb.180:
	scratch_load_b128 v[154:157], off, off offset:416 ; 16-byte Folded Reload
	s_waitcnt vmcnt(0)
	v_mul_f64 v[152:153], v[156:157], v[74:75]
	v_mul_f64 v[74:75], v[154:155], v[74:75]
	s_delay_alu instid0(VALU_DEP_2) | instskip(NEXT) | instid1(VALU_DEP_2)
	v_fma_f64 v[152:153], v[154:155], v[72:73], -v[152:153]
	v_fma_f64 v[74:75], v[156:157], v[72:73], v[74:75]
	ds_load_2addr_b64 v[154:157], v204 offset0:40 offset1:41
	s_waitcnt lgkmcnt(0)
	v_mul_f64 v[72:73], v[156:157], v[74:75]
	s_delay_alu instid0(VALU_DEP_1) | instskip(SKIP_1) | instid1(VALU_DEP_2)
	v_fma_f64 v[72:73], v[154:155], v[152:153], -v[72:73]
	v_mul_f64 v[154:155], v[154:155], v[74:75]
	v_add_f64 v[68:69], v[68:69], -v[72:73]
	s_delay_alu instid0(VALU_DEP_2) | instskip(NEXT) | instid1(VALU_DEP_1)
	v_fma_f64 v[154:155], v[156:157], v[152:153], v[154:155]
	v_add_f64 v[70:71], v[70:71], -v[154:155]
	ds_load_2addr_b64 v[154:157], v204 offset0:42 offset1:43
	s_waitcnt lgkmcnt(0)
	v_mul_f64 v[72:73], v[156:157], v[74:75]
	s_delay_alu instid0(VALU_DEP_1) | instskip(SKIP_1) | instid1(VALU_DEP_2)
	v_fma_f64 v[72:73], v[154:155], v[152:153], -v[72:73]
	v_mul_f64 v[154:155], v[154:155], v[74:75]
	v_add_f64 v[64:65], v[64:65], -v[72:73]
	s_delay_alu instid0(VALU_DEP_2) | instskip(NEXT) | instid1(VALU_DEP_1)
	v_fma_f64 v[154:155], v[156:157], v[152:153], v[154:155]
	v_add_f64 v[66:67], v[66:67], -v[154:155]
	;; [unrolled: 10-line block ×17, first 2 shown]
	ds_load_2addr_b64 v[154:157], v204 offset0:74 offset1:75
	s_waitcnt lgkmcnt(0)
	v_mul_f64 v[72:73], v[156:157], v[74:75]
	s_delay_alu instid0(VALU_DEP_1) | instskip(SKIP_1) | instid1(VALU_DEP_2)
	v_fma_f64 v[72:73], v[154:155], v[152:153], -v[72:73]
	v_mul_f64 v[154:155], v[154:155], v[74:75]
	v_add_f64 v[0:1], v[0:1], -v[72:73]
	s_delay_alu instid0(VALU_DEP_2) | instskip(SKIP_1) | instid1(VALU_DEP_2)
	v_fma_f64 v[154:155], v[156:157], v[152:153], v[154:155]
	v_dual_mov_b32 v72, v152 :: v_dual_mov_b32 v73, v153
	v_add_f64 v[2:3], v[2:3], -v[154:155]
.LBB75_181:
	s_or_b32 exec_lo, exec_lo, s3
	s_delay_alu instid0(SALU_CYCLE_1)
	s_mov_b32 s4, exec_lo
	s_waitcnt_vscnt null, 0x0
	s_barrier
	buffer_gl0_inv
	v_cmpx_eq_u32_e32 20, v202
	s_cbranch_execz .LBB75_188
; %bb.182:
	ds_store_2addr_b64 v203, v[68:69], v[70:71] offset1:1
	ds_store_2addr_b64 v204, v[64:65], v[66:67] offset0:42 offset1:43
	ds_store_2addr_b64 v204, v[60:61], v[62:63] offset0:44 offset1:45
	;; [unrolled: 1-line block ×17, first 2 shown]
	ds_load_2addr_b64 v[152:155], v203 offset1:1
	s_waitcnt lgkmcnt(0)
	v_cmp_neq_f64_e32 vcc_lo, 0, v[152:153]
	v_cmp_neq_f64_e64 s3, 0, v[154:155]
	s_delay_alu instid0(VALU_DEP_1) | instskip(NEXT) | instid1(SALU_CYCLE_1)
	s_or_b32 s3, vcc_lo, s3
	s_and_b32 exec_lo, exec_lo, s3
	s_cbranch_execz .LBB75_188
; %bb.183:
	v_cmp_gt_f64_e32 vcc_lo, 0, v[152:153]
	v_xor_b32_e32 v156, 0x80000000, v153
	v_xor_b32_e32 v158, 0x80000000, v155
	s_mov_b32 s3, exec_lo
                                        ; implicit-def: $vgpr160_vgpr161
	s_delay_alu instid0(VALU_DEP_2) | instskip(SKIP_4) | instid1(VALU_DEP_1)
	v_cndmask_b32_e32 v157, v153, v156, vcc_lo
	v_cndmask_b32_e32 v156, v152, v152, vcc_lo
	v_cmp_gt_f64_e32 vcc_lo, 0, v[154:155]
	v_cndmask_b32_e32 v159, v155, v158, vcc_lo
	v_cndmask_b32_e32 v158, v154, v154, vcc_lo
	v_cmpx_ngt_f64_e32 v[156:157], v[158:159]
	s_xor_b32 s3, exec_lo, s3
                                        ; implicit-def: $vgpr156_vgpr157_vgpr158_vgpr159
	s_cbranch_execz .LBB75_185
; %bb.184:
	v_div_scale_f64 v[156:157], null, v[154:155], v[154:155], v[152:153]
	v_div_scale_f64 v[162:163], vcc_lo, v[152:153], v[154:155], v[152:153]
	s_delay_alu instid0(VALU_DEP_2) | instskip(SKIP_2) | instid1(VALU_DEP_1)
	v_rcp_f64_e32 v[158:159], v[156:157]
	s_waitcnt_depctr 0xfff
	v_fma_f64 v[160:161], -v[156:157], v[158:159], 1.0
	v_fma_f64 v[158:159], v[158:159], v[160:161], v[158:159]
	s_delay_alu instid0(VALU_DEP_1) | instskip(NEXT) | instid1(VALU_DEP_1)
	v_fma_f64 v[160:161], -v[156:157], v[158:159], 1.0
	v_fma_f64 v[158:159], v[158:159], v[160:161], v[158:159]
	s_delay_alu instid0(VALU_DEP_1) | instskip(NEXT) | instid1(VALU_DEP_1)
	v_mul_f64 v[160:161], v[162:163], v[158:159]
	v_fma_f64 v[156:157], -v[156:157], v[160:161], v[162:163]
	s_delay_alu instid0(VALU_DEP_1) | instskip(NEXT) | instid1(VALU_DEP_1)
	v_div_fmas_f64 v[156:157], v[156:157], v[158:159], v[160:161]
	v_div_fixup_f64 v[156:157], v[156:157], v[154:155], v[152:153]
	s_delay_alu instid0(VALU_DEP_1) | instskip(NEXT) | instid1(VALU_DEP_1)
	v_fma_f64 v[152:153], v[152:153], v[156:157], v[154:155]
	v_div_scale_f64 v[154:155], null, v[152:153], v[152:153], 1.0
	s_delay_alu instid0(VALU_DEP_1) | instskip(SKIP_2) | instid1(VALU_DEP_1)
	v_rcp_f64_e32 v[158:159], v[154:155]
	s_waitcnt_depctr 0xfff
	v_fma_f64 v[160:161], -v[154:155], v[158:159], 1.0
	v_fma_f64 v[158:159], v[158:159], v[160:161], v[158:159]
	s_delay_alu instid0(VALU_DEP_1) | instskip(NEXT) | instid1(VALU_DEP_1)
	v_fma_f64 v[160:161], -v[154:155], v[158:159], 1.0
	v_fma_f64 v[158:159], v[158:159], v[160:161], v[158:159]
	v_div_scale_f64 v[160:161], vcc_lo, 1.0, v[152:153], 1.0
	s_delay_alu instid0(VALU_DEP_1) | instskip(NEXT) | instid1(VALU_DEP_1)
	v_mul_f64 v[162:163], v[160:161], v[158:159]
	v_fma_f64 v[154:155], -v[154:155], v[162:163], v[160:161]
	s_delay_alu instid0(VALU_DEP_1) | instskip(NEXT) | instid1(VALU_DEP_1)
	v_div_fmas_f64 v[154:155], v[154:155], v[158:159], v[162:163]
	v_div_fixup_f64 v[158:159], v[154:155], v[152:153], 1.0
                                        ; implicit-def: $vgpr152_vgpr153
	s_delay_alu instid0(VALU_DEP_1)
	v_mul_f64 v[160:161], v[156:157], v[158:159]
	v_xor_b32_e32 v159, 0x80000000, v159
.LBB75_185:
	s_and_not1_saveexec_b32 s3, s3
	s_cbranch_execz .LBB75_187
; %bb.186:
	v_div_scale_f64 v[156:157], null, v[152:153], v[152:153], v[154:155]
	v_div_scale_f64 v[162:163], vcc_lo, v[154:155], v[152:153], v[154:155]
	s_delay_alu instid0(VALU_DEP_2) | instskip(SKIP_2) | instid1(VALU_DEP_1)
	v_rcp_f64_e32 v[158:159], v[156:157]
	s_waitcnt_depctr 0xfff
	v_fma_f64 v[160:161], -v[156:157], v[158:159], 1.0
	v_fma_f64 v[158:159], v[158:159], v[160:161], v[158:159]
	s_delay_alu instid0(VALU_DEP_1) | instskip(NEXT) | instid1(VALU_DEP_1)
	v_fma_f64 v[160:161], -v[156:157], v[158:159], 1.0
	v_fma_f64 v[158:159], v[158:159], v[160:161], v[158:159]
	s_delay_alu instid0(VALU_DEP_1) | instskip(NEXT) | instid1(VALU_DEP_1)
	v_mul_f64 v[160:161], v[162:163], v[158:159]
	v_fma_f64 v[156:157], -v[156:157], v[160:161], v[162:163]
	s_delay_alu instid0(VALU_DEP_1) | instskip(NEXT) | instid1(VALU_DEP_1)
	v_div_fmas_f64 v[156:157], v[156:157], v[158:159], v[160:161]
	v_div_fixup_f64 v[156:157], v[156:157], v[152:153], v[154:155]
	s_delay_alu instid0(VALU_DEP_1) | instskip(NEXT) | instid1(VALU_DEP_1)
	v_fma_f64 v[152:153], v[154:155], v[156:157], v[152:153]
	v_div_scale_f64 v[154:155], null, v[152:153], v[152:153], 1.0
	s_delay_alu instid0(VALU_DEP_1) | instskip(SKIP_2) | instid1(VALU_DEP_1)
	v_rcp_f64_e32 v[158:159], v[154:155]
	s_waitcnt_depctr 0xfff
	v_fma_f64 v[160:161], -v[154:155], v[158:159], 1.0
	v_fma_f64 v[158:159], v[158:159], v[160:161], v[158:159]
	s_delay_alu instid0(VALU_DEP_1) | instskip(NEXT) | instid1(VALU_DEP_1)
	v_fma_f64 v[160:161], -v[154:155], v[158:159], 1.0
	v_fma_f64 v[158:159], v[158:159], v[160:161], v[158:159]
	v_div_scale_f64 v[160:161], vcc_lo, 1.0, v[152:153], 1.0
	s_delay_alu instid0(VALU_DEP_1) | instskip(NEXT) | instid1(VALU_DEP_1)
	v_mul_f64 v[162:163], v[160:161], v[158:159]
	v_fma_f64 v[154:155], -v[154:155], v[162:163], v[160:161]
	s_delay_alu instid0(VALU_DEP_1) | instskip(NEXT) | instid1(VALU_DEP_1)
	v_div_fmas_f64 v[154:155], v[154:155], v[158:159], v[162:163]
	v_div_fixup_f64 v[160:161], v[154:155], v[152:153], 1.0
	s_delay_alu instid0(VALU_DEP_1)
	v_mul_f64 v[158:159], v[156:157], -v[160:161]
.LBB75_187:
	s_or_b32 exec_lo, exec_lo, s3
	ds_store_2addr_b64 v203, v[160:161], v[158:159] offset1:1
.LBB75_188:
	s_or_b32 exec_lo, exec_lo, s4
	s_waitcnt lgkmcnt(0)
	s_barrier
	buffer_gl0_inv
	ds_load_2addr_b64 v[152:155], v203 offset1:1
	s_mov_b32 s3, exec_lo
	s_waitcnt lgkmcnt(0)
	scratch_store_b128 off, v[152:155], off offset:432 ; 16-byte Folded Spill
	v_cmpx_lt_u32_e32 20, v202
	s_cbranch_execz .LBB75_190
; %bb.189:
	scratch_load_b128 v[154:157], off, off offset:432 ; 16-byte Folded Reload
	s_waitcnt vmcnt(0)
	v_mul_f64 v[152:153], v[156:157], v[70:71]
	v_mul_f64 v[70:71], v[154:155], v[70:71]
	s_delay_alu instid0(VALU_DEP_2) | instskip(NEXT) | instid1(VALU_DEP_2)
	v_fma_f64 v[152:153], v[154:155], v[68:69], -v[152:153]
	v_fma_f64 v[70:71], v[156:157], v[68:69], v[70:71]
	ds_load_2addr_b64 v[154:157], v204 offset0:42 offset1:43
	s_waitcnt lgkmcnt(0)
	v_mul_f64 v[68:69], v[156:157], v[70:71]
	s_delay_alu instid0(VALU_DEP_1) | instskip(SKIP_1) | instid1(VALU_DEP_2)
	v_fma_f64 v[68:69], v[154:155], v[152:153], -v[68:69]
	v_mul_f64 v[154:155], v[154:155], v[70:71]
	v_add_f64 v[64:65], v[64:65], -v[68:69]
	s_delay_alu instid0(VALU_DEP_2) | instskip(NEXT) | instid1(VALU_DEP_1)
	v_fma_f64 v[154:155], v[156:157], v[152:153], v[154:155]
	v_add_f64 v[66:67], v[66:67], -v[154:155]
	ds_load_2addr_b64 v[154:157], v204 offset0:44 offset1:45
	s_waitcnt lgkmcnt(0)
	v_mul_f64 v[68:69], v[156:157], v[70:71]
	s_delay_alu instid0(VALU_DEP_1) | instskip(SKIP_1) | instid1(VALU_DEP_2)
	v_fma_f64 v[68:69], v[154:155], v[152:153], -v[68:69]
	v_mul_f64 v[154:155], v[154:155], v[70:71]
	v_add_f64 v[60:61], v[60:61], -v[68:69]
	s_delay_alu instid0(VALU_DEP_2) | instskip(NEXT) | instid1(VALU_DEP_1)
	v_fma_f64 v[154:155], v[156:157], v[152:153], v[154:155]
	v_add_f64 v[62:63], v[62:63], -v[154:155]
	;; [unrolled: 10-line block ×16, first 2 shown]
	ds_load_2addr_b64 v[154:157], v204 offset0:74 offset1:75
	s_waitcnt lgkmcnt(0)
	v_mul_f64 v[68:69], v[156:157], v[70:71]
	s_delay_alu instid0(VALU_DEP_1) | instskip(SKIP_1) | instid1(VALU_DEP_2)
	v_fma_f64 v[68:69], v[154:155], v[152:153], -v[68:69]
	v_mul_f64 v[154:155], v[154:155], v[70:71]
	v_add_f64 v[0:1], v[0:1], -v[68:69]
	s_delay_alu instid0(VALU_DEP_2) | instskip(SKIP_1) | instid1(VALU_DEP_2)
	v_fma_f64 v[154:155], v[156:157], v[152:153], v[154:155]
	v_dual_mov_b32 v68, v152 :: v_dual_mov_b32 v69, v153
	v_add_f64 v[2:3], v[2:3], -v[154:155]
.LBB75_190:
	s_or_b32 exec_lo, exec_lo, s3
	s_delay_alu instid0(SALU_CYCLE_1)
	s_mov_b32 s4, exec_lo
	s_waitcnt_vscnt null, 0x0
	s_barrier
	buffer_gl0_inv
	v_cmpx_eq_u32_e32 21, v202
	s_cbranch_execz .LBB75_197
; %bb.191:
	ds_store_2addr_b64 v203, v[64:65], v[66:67] offset1:1
	ds_store_2addr_b64 v204, v[60:61], v[62:63] offset0:44 offset1:45
	ds_store_2addr_b64 v204, v[56:57], v[58:59] offset0:46 offset1:47
	;; [unrolled: 1-line block ×16, first 2 shown]
	ds_load_2addr_b64 v[152:155], v203 offset1:1
	s_waitcnt lgkmcnt(0)
	v_cmp_neq_f64_e32 vcc_lo, 0, v[152:153]
	v_cmp_neq_f64_e64 s3, 0, v[154:155]
	s_delay_alu instid0(VALU_DEP_1) | instskip(NEXT) | instid1(SALU_CYCLE_1)
	s_or_b32 s3, vcc_lo, s3
	s_and_b32 exec_lo, exec_lo, s3
	s_cbranch_execz .LBB75_197
; %bb.192:
	v_cmp_gt_f64_e32 vcc_lo, 0, v[152:153]
	v_xor_b32_e32 v156, 0x80000000, v153
	v_xor_b32_e32 v158, 0x80000000, v155
	s_mov_b32 s3, exec_lo
                                        ; implicit-def: $vgpr160_vgpr161
	s_delay_alu instid0(VALU_DEP_2) | instskip(SKIP_4) | instid1(VALU_DEP_1)
	v_cndmask_b32_e32 v157, v153, v156, vcc_lo
	v_cndmask_b32_e32 v156, v152, v152, vcc_lo
	v_cmp_gt_f64_e32 vcc_lo, 0, v[154:155]
	v_cndmask_b32_e32 v159, v155, v158, vcc_lo
	v_cndmask_b32_e32 v158, v154, v154, vcc_lo
	v_cmpx_ngt_f64_e32 v[156:157], v[158:159]
	s_xor_b32 s3, exec_lo, s3
                                        ; implicit-def: $vgpr156_vgpr157_vgpr158_vgpr159
	s_cbranch_execz .LBB75_194
; %bb.193:
	v_div_scale_f64 v[156:157], null, v[154:155], v[154:155], v[152:153]
	v_div_scale_f64 v[162:163], vcc_lo, v[152:153], v[154:155], v[152:153]
	s_delay_alu instid0(VALU_DEP_2) | instskip(SKIP_2) | instid1(VALU_DEP_1)
	v_rcp_f64_e32 v[158:159], v[156:157]
	s_waitcnt_depctr 0xfff
	v_fma_f64 v[160:161], -v[156:157], v[158:159], 1.0
	v_fma_f64 v[158:159], v[158:159], v[160:161], v[158:159]
	s_delay_alu instid0(VALU_DEP_1) | instskip(NEXT) | instid1(VALU_DEP_1)
	v_fma_f64 v[160:161], -v[156:157], v[158:159], 1.0
	v_fma_f64 v[158:159], v[158:159], v[160:161], v[158:159]
	s_delay_alu instid0(VALU_DEP_1) | instskip(NEXT) | instid1(VALU_DEP_1)
	v_mul_f64 v[160:161], v[162:163], v[158:159]
	v_fma_f64 v[156:157], -v[156:157], v[160:161], v[162:163]
	s_delay_alu instid0(VALU_DEP_1) | instskip(NEXT) | instid1(VALU_DEP_1)
	v_div_fmas_f64 v[156:157], v[156:157], v[158:159], v[160:161]
	v_div_fixup_f64 v[156:157], v[156:157], v[154:155], v[152:153]
	s_delay_alu instid0(VALU_DEP_1) | instskip(NEXT) | instid1(VALU_DEP_1)
	v_fma_f64 v[152:153], v[152:153], v[156:157], v[154:155]
	v_div_scale_f64 v[154:155], null, v[152:153], v[152:153], 1.0
	s_delay_alu instid0(VALU_DEP_1) | instskip(SKIP_2) | instid1(VALU_DEP_1)
	v_rcp_f64_e32 v[158:159], v[154:155]
	s_waitcnt_depctr 0xfff
	v_fma_f64 v[160:161], -v[154:155], v[158:159], 1.0
	v_fma_f64 v[158:159], v[158:159], v[160:161], v[158:159]
	s_delay_alu instid0(VALU_DEP_1) | instskip(NEXT) | instid1(VALU_DEP_1)
	v_fma_f64 v[160:161], -v[154:155], v[158:159], 1.0
	v_fma_f64 v[158:159], v[158:159], v[160:161], v[158:159]
	v_div_scale_f64 v[160:161], vcc_lo, 1.0, v[152:153], 1.0
	s_delay_alu instid0(VALU_DEP_1) | instskip(NEXT) | instid1(VALU_DEP_1)
	v_mul_f64 v[162:163], v[160:161], v[158:159]
	v_fma_f64 v[154:155], -v[154:155], v[162:163], v[160:161]
	s_delay_alu instid0(VALU_DEP_1) | instskip(NEXT) | instid1(VALU_DEP_1)
	v_div_fmas_f64 v[154:155], v[154:155], v[158:159], v[162:163]
	v_div_fixup_f64 v[158:159], v[154:155], v[152:153], 1.0
                                        ; implicit-def: $vgpr152_vgpr153
	s_delay_alu instid0(VALU_DEP_1)
	v_mul_f64 v[160:161], v[156:157], v[158:159]
	v_xor_b32_e32 v159, 0x80000000, v159
.LBB75_194:
	s_and_not1_saveexec_b32 s3, s3
	s_cbranch_execz .LBB75_196
; %bb.195:
	v_div_scale_f64 v[156:157], null, v[152:153], v[152:153], v[154:155]
	v_div_scale_f64 v[162:163], vcc_lo, v[154:155], v[152:153], v[154:155]
	s_delay_alu instid0(VALU_DEP_2) | instskip(SKIP_2) | instid1(VALU_DEP_1)
	v_rcp_f64_e32 v[158:159], v[156:157]
	s_waitcnt_depctr 0xfff
	v_fma_f64 v[160:161], -v[156:157], v[158:159], 1.0
	v_fma_f64 v[158:159], v[158:159], v[160:161], v[158:159]
	s_delay_alu instid0(VALU_DEP_1) | instskip(NEXT) | instid1(VALU_DEP_1)
	v_fma_f64 v[160:161], -v[156:157], v[158:159], 1.0
	v_fma_f64 v[158:159], v[158:159], v[160:161], v[158:159]
	s_delay_alu instid0(VALU_DEP_1) | instskip(NEXT) | instid1(VALU_DEP_1)
	v_mul_f64 v[160:161], v[162:163], v[158:159]
	v_fma_f64 v[156:157], -v[156:157], v[160:161], v[162:163]
	s_delay_alu instid0(VALU_DEP_1) | instskip(NEXT) | instid1(VALU_DEP_1)
	v_div_fmas_f64 v[156:157], v[156:157], v[158:159], v[160:161]
	v_div_fixup_f64 v[156:157], v[156:157], v[152:153], v[154:155]
	s_delay_alu instid0(VALU_DEP_1) | instskip(NEXT) | instid1(VALU_DEP_1)
	v_fma_f64 v[152:153], v[154:155], v[156:157], v[152:153]
	v_div_scale_f64 v[154:155], null, v[152:153], v[152:153], 1.0
	s_delay_alu instid0(VALU_DEP_1) | instskip(SKIP_2) | instid1(VALU_DEP_1)
	v_rcp_f64_e32 v[158:159], v[154:155]
	s_waitcnt_depctr 0xfff
	v_fma_f64 v[160:161], -v[154:155], v[158:159], 1.0
	v_fma_f64 v[158:159], v[158:159], v[160:161], v[158:159]
	s_delay_alu instid0(VALU_DEP_1) | instskip(NEXT) | instid1(VALU_DEP_1)
	v_fma_f64 v[160:161], -v[154:155], v[158:159], 1.0
	v_fma_f64 v[158:159], v[158:159], v[160:161], v[158:159]
	v_div_scale_f64 v[160:161], vcc_lo, 1.0, v[152:153], 1.0
	s_delay_alu instid0(VALU_DEP_1) | instskip(NEXT) | instid1(VALU_DEP_1)
	v_mul_f64 v[162:163], v[160:161], v[158:159]
	v_fma_f64 v[154:155], -v[154:155], v[162:163], v[160:161]
	s_delay_alu instid0(VALU_DEP_1) | instskip(NEXT) | instid1(VALU_DEP_1)
	v_div_fmas_f64 v[154:155], v[154:155], v[158:159], v[162:163]
	v_div_fixup_f64 v[160:161], v[154:155], v[152:153], 1.0
	s_delay_alu instid0(VALU_DEP_1)
	v_mul_f64 v[158:159], v[156:157], -v[160:161]
.LBB75_196:
	s_or_b32 exec_lo, exec_lo, s3
	ds_store_2addr_b64 v203, v[160:161], v[158:159] offset1:1
.LBB75_197:
	s_or_b32 exec_lo, exec_lo, s4
	s_waitcnt lgkmcnt(0)
	s_barrier
	buffer_gl0_inv
	ds_load_2addr_b64 v[152:155], v203 offset1:1
	s_mov_b32 s3, exec_lo
	s_waitcnt lgkmcnt(0)
	scratch_store_b128 off, v[152:155], off offset:448 ; 16-byte Folded Spill
	v_cmpx_lt_u32_e32 21, v202
	s_cbranch_execz .LBB75_199
; %bb.198:
	scratch_load_b128 v[154:157], off, off offset:448 ; 16-byte Folded Reload
	s_waitcnt vmcnt(0)
	v_mul_f64 v[152:153], v[154:155], v[66:67]
	v_mul_f64 v[66:67], v[156:157], v[66:67]
	s_delay_alu instid0(VALU_DEP_2) | instskip(NEXT) | instid1(VALU_DEP_2)
	v_fma_f64 v[152:153], v[156:157], v[64:65], v[152:153]
	v_fma_f64 v[64:65], v[154:155], v[64:65], -v[66:67]
	ds_load_2addr_b64 v[154:157], v204 offset0:44 offset1:45
	s_waitcnt lgkmcnt(0)
	v_mul_f64 v[66:67], v[156:157], v[152:153]
	s_delay_alu instid0(VALU_DEP_1) | instskip(SKIP_1) | instid1(VALU_DEP_2)
	v_fma_f64 v[66:67], v[154:155], v[64:65], -v[66:67]
	v_mul_f64 v[154:155], v[154:155], v[152:153]
	v_add_f64 v[60:61], v[60:61], -v[66:67]
	s_delay_alu instid0(VALU_DEP_2) | instskip(NEXT) | instid1(VALU_DEP_1)
	v_fma_f64 v[154:155], v[156:157], v[64:65], v[154:155]
	v_add_f64 v[62:63], v[62:63], -v[154:155]
	ds_load_2addr_b64 v[154:157], v204 offset0:46 offset1:47
	s_waitcnt lgkmcnt(0)
	v_mul_f64 v[66:67], v[156:157], v[152:153]
	s_delay_alu instid0(VALU_DEP_1) | instskip(SKIP_1) | instid1(VALU_DEP_2)
	v_fma_f64 v[66:67], v[154:155], v[64:65], -v[66:67]
	v_mul_f64 v[154:155], v[154:155], v[152:153]
	v_add_f64 v[56:57], v[56:57], -v[66:67]
	s_delay_alu instid0(VALU_DEP_2) | instskip(NEXT) | instid1(VALU_DEP_1)
	v_fma_f64 v[154:155], v[156:157], v[64:65], v[154:155]
	v_add_f64 v[58:59], v[58:59], -v[154:155]
	;; [unrolled: 10-line block ×15, first 2 shown]
	ds_load_2addr_b64 v[154:157], v204 offset0:74 offset1:75
	s_waitcnt lgkmcnt(0)
	v_mul_f64 v[66:67], v[156:157], v[152:153]
	s_delay_alu instid0(VALU_DEP_1) | instskip(SKIP_1) | instid1(VALU_DEP_2)
	v_fma_f64 v[66:67], v[154:155], v[64:65], -v[66:67]
	v_mul_f64 v[154:155], v[154:155], v[152:153]
	v_add_f64 v[0:1], v[0:1], -v[66:67]
	s_delay_alu instid0(VALU_DEP_2) | instskip(SKIP_1) | instid1(VALU_DEP_2)
	v_fma_f64 v[154:155], v[156:157], v[64:65], v[154:155]
	v_dual_mov_b32 v66, v152 :: v_dual_mov_b32 v67, v153
	v_add_f64 v[2:3], v[2:3], -v[154:155]
.LBB75_199:
	s_or_b32 exec_lo, exec_lo, s3
	s_delay_alu instid0(SALU_CYCLE_1)
	s_mov_b32 s4, exec_lo
	s_waitcnt_vscnt null, 0x0
	s_barrier
	buffer_gl0_inv
	v_cmpx_eq_u32_e32 22, v202
	s_cbranch_execz .LBB75_206
; %bb.200:
	ds_store_2addr_b64 v203, v[60:61], v[62:63] offset1:1
	ds_store_2addr_b64 v204, v[56:57], v[58:59] offset0:46 offset1:47
	ds_store_2addr_b64 v204, v[52:53], v[54:55] offset0:48 offset1:49
	;; [unrolled: 1-line block ×15, first 2 shown]
	ds_load_2addr_b64 v[152:155], v203 offset1:1
	s_waitcnt lgkmcnt(0)
	v_cmp_neq_f64_e32 vcc_lo, 0, v[152:153]
	v_cmp_neq_f64_e64 s3, 0, v[154:155]
	s_delay_alu instid0(VALU_DEP_1) | instskip(NEXT) | instid1(SALU_CYCLE_1)
	s_or_b32 s3, vcc_lo, s3
	s_and_b32 exec_lo, exec_lo, s3
	s_cbranch_execz .LBB75_206
; %bb.201:
	v_cmp_gt_f64_e32 vcc_lo, 0, v[152:153]
	v_xor_b32_e32 v156, 0x80000000, v153
	v_xor_b32_e32 v158, 0x80000000, v155
	s_mov_b32 s3, exec_lo
                                        ; implicit-def: $vgpr160_vgpr161
	s_delay_alu instid0(VALU_DEP_2) | instskip(SKIP_4) | instid1(VALU_DEP_1)
	v_cndmask_b32_e32 v157, v153, v156, vcc_lo
	v_cndmask_b32_e32 v156, v152, v152, vcc_lo
	v_cmp_gt_f64_e32 vcc_lo, 0, v[154:155]
	v_cndmask_b32_e32 v159, v155, v158, vcc_lo
	v_cndmask_b32_e32 v158, v154, v154, vcc_lo
	v_cmpx_ngt_f64_e32 v[156:157], v[158:159]
	s_xor_b32 s3, exec_lo, s3
                                        ; implicit-def: $vgpr156_vgpr157_vgpr158_vgpr159
	s_cbranch_execz .LBB75_203
; %bb.202:
	v_div_scale_f64 v[156:157], null, v[154:155], v[154:155], v[152:153]
	v_div_scale_f64 v[162:163], vcc_lo, v[152:153], v[154:155], v[152:153]
	s_delay_alu instid0(VALU_DEP_2) | instskip(SKIP_2) | instid1(VALU_DEP_1)
	v_rcp_f64_e32 v[158:159], v[156:157]
	s_waitcnt_depctr 0xfff
	v_fma_f64 v[160:161], -v[156:157], v[158:159], 1.0
	v_fma_f64 v[158:159], v[158:159], v[160:161], v[158:159]
	s_delay_alu instid0(VALU_DEP_1) | instskip(NEXT) | instid1(VALU_DEP_1)
	v_fma_f64 v[160:161], -v[156:157], v[158:159], 1.0
	v_fma_f64 v[158:159], v[158:159], v[160:161], v[158:159]
	s_delay_alu instid0(VALU_DEP_1) | instskip(NEXT) | instid1(VALU_DEP_1)
	v_mul_f64 v[160:161], v[162:163], v[158:159]
	v_fma_f64 v[156:157], -v[156:157], v[160:161], v[162:163]
	s_delay_alu instid0(VALU_DEP_1) | instskip(NEXT) | instid1(VALU_DEP_1)
	v_div_fmas_f64 v[156:157], v[156:157], v[158:159], v[160:161]
	v_div_fixup_f64 v[156:157], v[156:157], v[154:155], v[152:153]
	s_delay_alu instid0(VALU_DEP_1) | instskip(NEXT) | instid1(VALU_DEP_1)
	v_fma_f64 v[152:153], v[152:153], v[156:157], v[154:155]
	v_div_scale_f64 v[154:155], null, v[152:153], v[152:153], 1.0
	s_delay_alu instid0(VALU_DEP_1) | instskip(SKIP_2) | instid1(VALU_DEP_1)
	v_rcp_f64_e32 v[158:159], v[154:155]
	s_waitcnt_depctr 0xfff
	v_fma_f64 v[160:161], -v[154:155], v[158:159], 1.0
	v_fma_f64 v[158:159], v[158:159], v[160:161], v[158:159]
	s_delay_alu instid0(VALU_DEP_1) | instskip(NEXT) | instid1(VALU_DEP_1)
	v_fma_f64 v[160:161], -v[154:155], v[158:159], 1.0
	v_fma_f64 v[158:159], v[158:159], v[160:161], v[158:159]
	v_div_scale_f64 v[160:161], vcc_lo, 1.0, v[152:153], 1.0
	s_delay_alu instid0(VALU_DEP_1) | instskip(NEXT) | instid1(VALU_DEP_1)
	v_mul_f64 v[162:163], v[160:161], v[158:159]
	v_fma_f64 v[154:155], -v[154:155], v[162:163], v[160:161]
	s_delay_alu instid0(VALU_DEP_1) | instskip(NEXT) | instid1(VALU_DEP_1)
	v_div_fmas_f64 v[154:155], v[154:155], v[158:159], v[162:163]
	v_div_fixup_f64 v[158:159], v[154:155], v[152:153], 1.0
                                        ; implicit-def: $vgpr152_vgpr153
	s_delay_alu instid0(VALU_DEP_1)
	v_mul_f64 v[160:161], v[156:157], v[158:159]
	v_xor_b32_e32 v159, 0x80000000, v159
.LBB75_203:
	s_and_not1_saveexec_b32 s3, s3
	s_cbranch_execz .LBB75_205
; %bb.204:
	v_div_scale_f64 v[156:157], null, v[152:153], v[152:153], v[154:155]
	v_div_scale_f64 v[162:163], vcc_lo, v[154:155], v[152:153], v[154:155]
	s_delay_alu instid0(VALU_DEP_2) | instskip(SKIP_2) | instid1(VALU_DEP_1)
	v_rcp_f64_e32 v[158:159], v[156:157]
	s_waitcnt_depctr 0xfff
	v_fma_f64 v[160:161], -v[156:157], v[158:159], 1.0
	v_fma_f64 v[158:159], v[158:159], v[160:161], v[158:159]
	s_delay_alu instid0(VALU_DEP_1) | instskip(NEXT) | instid1(VALU_DEP_1)
	v_fma_f64 v[160:161], -v[156:157], v[158:159], 1.0
	v_fma_f64 v[158:159], v[158:159], v[160:161], v[158:159]
	s_delay_alu instid0(VALU_DEP_1) | instskip(NEXT) | instid1(VALU_DEP_1)
	v_mul_f64 v[160:161], v[162:163], v[158:159]
	v_fma_f64 v[156:157], -v[156:157], v[160:161], v[162:163]
	s_delay_alu instid0(VALU_DEP_1) | instskip(NEXT) | instid1(VALU_DEP_1)
	v_div_fmas_f64 v[156:157], v[156:157], v[158:159], v[160:161]
	v_div_fixup_f64 v[156:157], v[156:157], v[152:153], v[154:155]
	s_delay_alu instid0(VALU_DEP_1) | instskip(NEXT) | instid1(VALU_DEP_1)
	v_fma_f64 v[152:153], v[154:155], v[156:157], v[152:153]
	v_div_scale_f64 v[154:155], null, v[152:153], v[152:153], 1.0
	s_delay_alu instid0(VALU_DEP_1) | instskip(SKIP_2) | instid1(VALU_DEP_1)
	v_rcp_f64_e32 v[158:159], v[154:155]
	s_waitcnt_depctr 0xfff
	v_fma_f64 v[160:161], -v[154:155], v[158:159], 1.0
	v_fma_f64 v[158:159], v[158:159], v[160:161], v[158:159]
	s_delay_alu instid0(VALU_DEP_1) | instskip(NEXT) | instid1(VALU_DEP_1)
	v_fma_f64 v[160:161], -v[154:155], v[158:159], 1.0
	v_fma_f64 v[158:159], v[158:159], v[160:161], v[158:159]
	v_div_scale_f64 v[160:161], vcc_lo, 1.0, v[152:153], 1.0
	s_delay_alu instid0(VALU_DEP_1) | instskip(NEXT) | instid1(VALU_DEP_1)
	v_mul_f64 v[162:163], v[160:161], v[158:159]
	v_fma_f64 v[154:155], -v[154:155], v[162:163], v[160:161]
	s_delay_alu instid0(VALU_DEP_1) | instskip(NEXT) | instid1(VALU_DEP_1)
	v_div_fmas_f64 v[154:155], v[154:155], v[158:159], v[162:163]
	v_div_fixup_f64 v[160:161], v[154:155], v[152:153], 1.0
	s_delay_alu instid0(VALU_DEP_1)
	v_mul_f64 v[158:159], v[156:157], -v[160:161]
.LBB75_205:
	s_or_b32 exec_lo, exec_lo, s3
	ds_store_2addr_b64 v203, v[160:161], v[158:159] offset1:1
.LBB75_206:
	s_or_b32 exec_lo, exec_lo, s4
	s_waitcnt lgkmcnt(0)
	s_barrier
	buffer_gl0_inv
	ds_load_2addr_b64 v[152:155], v203 offset1:1
	s_mov_b32 s3, exec_lo
	s_waitcnt lgkmcnt(0)
	scratch_store_b128 off, v[152:155], off offset:464 ; 16-byte Folded Spill
	v_cmpx_lt_u32_e32 22, v202
	s_cbranch_execz .LBB75_208
; %bb.207:
	scratch_load_b128 v[154:157], off, off offset:464 ; 16-byte Folded Reload
	s_waitcnt vmcnt(0)
	v_mul_f64 v[152:153], v[154:155], v[62:63]
	v_mul_f64 v[62:63], v[156:157], v[62:63]
	s_delay_alu instid0(VALU_DEP_2) | instskip(NEXT) | instid1(VALU_DEP_2)
	v_fma_f64 v[152:153], v[156:157], v[60:61], v[152:153]
	v_fma_f64 v[60:61], v[154:155], v[60:61], -v[62:63]
	ds_load_2addr_b64 v[154:157], v204 offset0:46 offset1:47
	s_waitcnt lgkmcnt(0)
	v_mul_f64 v[62:63], v[156:157], v[152:153]
	s_delay_alu instid0(VALU_DEP_1) | instskip(SKIP_1) | instid1(VALU_DEP_2)
	v_fma_f64 v[62:63], v[154:155], v[60:61], -v[62:63]
	v_mul_f64 v[154:155], v[154:155], v[152:153]
	v_add_f64 v[56:57], v[56:57], -v[62:63]
	s_delay_alu instid0(VALU_DEP_2) | instskip(NEXT) | instid1(VALU_DEP_1)
	v_fma_f64 v[154:155], v[156:157], v[60:61], v[154:155]
	v_add_f64 v[58:59], v[58:59], -v[154:155]
	ds_load_2addr_b64 v[154:157], v204 offset0:48 offset1:49
	s_waitcnt lgkmcnt(0)
	v_mul_f64 v[62:63], v[156:157], v[152:153]
	s_delay_alu instid0(VALU_DEP_1) | instskip(SKIP_1) | instid1(VALU_DEP_2)
	v_fma_f64 v[62:63], v[154:155], v[60:61], -v[62:63]
	v_mul_f64 v[154:155], v[154:155], v[152:153]
	v_add_f64 v[52:53], v[52:53], -v[62:63]
	s_delay_alu instid0(VALU_DEP_2) | instskip(NEXT) | instid1(VALU_DEP_1)
	v_fma_f64 v[154:155], v[156:157], v[60:61], v[154:155]
	v_add_f64 v[54:55], v[54:55], -v[154:155]
	;; [unrolled: 10-line block ×14, first 2 shown]
	ds_load_2addr_b64 v[154:157], v204 offset0:74 offset1:75
	s_waitcnt lgkmcnt(0)
	v_mul_f64 v[62:63], v[156:157], v[152:153]
	s_delay_alu instid0(VALU_DEP_1) | instskip(SKIP_1) | instid1(VALU_DEP_2)
	v_fma_f64 v[62:63], v[154:155], v[60:61], -v[62:63]
	v_mul_f64 v[154:155], v[154:155], v[152:153]
	v_add_f64 v[0:1], v[0:1], -v[62:63]
	s_delay_alu instid0(VALU_DEP_2) | instskip(SKIP_1) | instid1(VALU_DEP_2)
	v_fma_f64 v[154:155], v[156:157], v[60:61], v[154:155]
	v_dual_mov_b32 v62, v152 :: v_dual_mov_b32 v63, v153
	v_add_f64 v[2:3], v[2:3], -v[154:155]
.LBB75_208:
	s_or_b32 exec_lo, exec_lo, s3
	s_delay_alu instid0(SALU_CYCLE_1)
	s_mov_b32 s4, exec_lo
	s_waitcnt_vscnt null, 0x0
	s_barrier
	buffer_gl0_inv
	v_cmpx_eq_u32_e32 23, v202
	s_cbranch_execz .LBB75_215
; %bb.209:
	ds_store_2addr_b64 v203, v[56:57], v[58:59] offset1:1
	ds_store_2addr_b64 v204, v[52:53], v[54:55] offset0:48 offset1:49
	ds_store_2addr_b64 v204, v[48:49], v[50:51] offset0:50 offset1:51
	;; [unrolled: 1-line block ×14, first 2 shown]
	ds_load_2addr_b64 v[152:155], v203 offset1:1
	s_waitcnt lgkmcnt(0)
	v_cmp_neq_f64_e32 vcc_lo, 0, v[152:153]
	v_cmp_neq_f64_e64 s3, 0, v[154:155]
	s_delay_alu instid0(VALU_DEP_1) | instskip(NEXT) | instid1(SALU_CYCLE_1)
	s_or_b32 s3, vcc_lo, s3
	s_and_b32 exec_lo, exec_lo, s3
	s_cbranch_execz .LBB75_215
; %bb.210:
	v_cmp_gt_f64_e32 vcc_lo, 0, v[152:153]
	v_xor_b32_e32 v156, 0x80000000, v153
	v_xor_b32_e32 v158, 0x80000000, v155
	s_mov_b32 s3, exec_lo
                                        ; implicit-def: $vgpr160_vgpr161
	s_delay_alu instid0(VALU_DEP_2) | instskip(SKIP_4) | instid1(VALU_DEP_1)
	v_cndmask_b32_e32 v157, v153, v156, vcc_lo
	v_cndmask_b32_e32 v156, v152, v152, vcc_lo
	v_cmp_gt_f64_e32 vcc_lo, 0, v[154:155]
	v_cndmask_b32_e32 v159, v155, v158, vcc_lo
	v_cndmask_b32_e32 v158, v154, v154, vcc_lo
	v_cmpx_ngt_f64_e32 v[156:157], v[158:159]
	s_xor_b32 s3, exec_lo, s3
                                        ; implicit-def: $vgpr156_vgpr157_vgpr158_vgpr159
	s_cbranch_execz .LBB75_212
; %bb.211:
	v_div_scale_f64 v[156:157], null, v[154:155], v[154:155], v[152:153]
	v_div_scale_f64 v[162:163], vcc_lo, v[152:153], v[154:155], v[152:153]
	s_delay_alu instid0(VALU_DEP_2) | instskip(SKIP_2) | instid1(VALU_DEP_1)
	v_rcp_f64_e32 v[158:159], v[156:157]
	s_waitcnt_depctr 0xfff
	v_fma_f64 v[160:161], -v[156:157], v[158:159], 1.0
	v_fma_f64 v[158:159], v[158:159], v[160:161], v[158:159]
	s_delay_alu instid0(VALU_DEP_1) | instskip(NEXT) | instid1(VALU_DEP_1)
	v_fma_f64 v[160:161], -v[156:157], v[158:159], 1.0
	v_fma_f64 v[158:159], v[158:159], v[160:161], v[158:159]
	s_delay_alu instid0(VALU_DEP_1) | instskip(NEXT) | instid1(VALU_DEP_1)
	v_mul_f64 v[160:161], v[162:163], v[158:159]
	v_fma_f64 v[156:157], -v[156:157], v[160:161], v[162:163]
	s_delay_alu instid0(VALU_DEP_1) | instskip(NEXT) | instid1(VALU_DEP_1)
	v_div_fmas_f64 v[156:157], v[156:157], v[158:159], v[160:161]
	v_div_fixup_f64 v[156:157], v[156:157], v[154:155], v[152:153]
	s_delay_alu instid0(VALU_DEP_1) | instskip(NEXT) | instid1(VALU_DEP_1)
	v_fma_f64 v[152:153], v[152:153], v[156:157], v[154:155]
	v_div_scale_f64 v[154:155], null, v[152:153], v[152:153], 1.0
	s_delay_alu instid0(VALU_DEP_1) | instskip(SKIP_2) | instid1(VALU_DEP_1)
	v_rcp_f64_e32 v[158:159], v[154:155]
	s_waitcnt_depctr 0xfff
	v_fma_f64 v[160:161], -v[154:155], v[158:159], 1.0
	v_fma_f64 v[158:159], v[158:159], v[160:161], v[158:159]
	s_delay_alu instid0(VALU_DEP_1) | instskip(NEXT) | instid1(VALU_DEP_1)
	v_fma_f64 v[160:161], -v[154:155], v[158:159], 1.0
	v_fma_f64 v[158:159], v[158:159], v[160:161], v[158:159]
	v_div_scale_f64 v[160:161], vcc_lo, 1.0, v[152:153], 1.0
	s_delay_alu instid0(VALU_DEP_1) | instskip(NEXT) | instid1(VALU_DEP_1)
	v_mul_f64 v[162:163], v[160:161], v[158:159]
	v_fma_f64 v[154:155], -v[154:155], v[162:163], v[160:161]
	s_delay_alu instid0(VALU_DEP_1) | instskip(NEXT) | instid1(VALU_DEP_1)
	v_div_fmas_f64 v[154:155], v[154:155], v[158:159], v[162:163]
	v_div_fixup_f64 v[158:159], v[154:155], v[152:153], 1.0
                                        ; implicit-def: $vgpr152_vgpr153
	s_delay_alu instid0(VALU_DEP_1)
	v_mul_f64 v[160:161], v[156:157], v[158:159]
	v_xor_b32_e32 v159, 0x80000000, v159
.LBB75_212:
	s_and_not1_saveexec_b32 s3, s3
	s_cbranch_execz .LBB75_214
; %bb.213:
	v_div_scale_f64 v[156:157], null, v[152:153], v[152:153], v[154:155]
	v_div_scale_f64 v[162:163], vcc_lo, v[154:155], v[152:153], v[154:155]
	s_delay_alu instid0(VALU_DEP_2) | instskip(SKIP_2) | instid1(VALU_DEP_1)
	v_rcp_f64_e32 v[158:159], v[156:157]
	s_waitcnt_depctr 0xfff
	v_fma_f64 v[160:161], -v[156:157], v[158:159], 1.0
	v_fma_f64 v[158:159], v[158:159], v[160:161], v[158:159]
	s_delay_alu instid0(VALU_DEP_1) | instskip(NEXT) | instid1(VALU_DEP_1)
	v_fma_f64 v[160:161], -v[156:157], v[158:159], 1.0
	v_fma_f64 v[158:159], v[158:159], v[160:161], v[158:159]
	s_delay_alu instid0(VALU_DEP_1) | instskip(NEXT) | instid1(VALU_DEP_1)
	v_mul_f64 v[160:161], v[162:163], v[158:159]
	v_fma_f64 v[156:157], -v[156:157], v[160:161], v[162:163]
	s_delay_alu instid0(VALU_DEP_1) | instskip(NEXT) | instid1(VALU_DEP_1)
	v_div_fmas_f64 v[156:157], v[156:157], v[158:159], v[160:161]
	v_div_fixup_f64 v[156:157], v[156:157], v[152:153], v[154:155]
	s_delay_alu instid0(VALU_DEP_1) | instskip(NEXT) | instid1(VALU_DEP_1)
	v_fma_f64 v[152:153], v[154:155], v[156:157], v[152:153]
	v_div_scale_f64 v[154:155], null, v[152:153], v[152:153], 1.0
	s_delay_alu instid0(VALU_DEP_1) | instskip(SKIP_2) | instid1(VALU_DEP_1)
	v_rcp_f64_e32 v[158:159], v[154:155]
	s_waitcnt_depctr 0xfff
	v_fma_f64 v[160:161], -v[154:155], v[158:159], 1.0
	v_fma_f64 v[158:159], v[158:159], v[160:161], v[158:159]
	s_delay_alu instid0(VALU_DEP_1) | instskip(NEXT) | instid1(VALU_DEP_1)
	v_fma_f64 v[160:161], -v[154:155], v[158:159], 1.0
	v_fma_f64 v[158:159], v[158:159], v[160:161], v[158:159]
	v_div_scale_f64 v[160:161], vcc_lo, 1.0, v[152:153], 1.0
	s_delay_alu instid0(VALU_DEP_1) | instskip(NEXT) | instid1(VALU_DEP_1)
	v_mul_f64 v[162:163], v[160:161], v[158:159]
	v_fma_f64 v[154:155], -v[154:155], v[162:163], v[160:161]
	s_delay_alu instid0(VALU_DEP_1) | instskip(NEXT) | instid1(VALU_DEP_1)
	v_div_fmas_f64 v[154:155], v[154:155], v[158:159], v[162:163]
	v_div_fixup_f64 v[160:161], v[154:155], v[152:153], 1.0
	s_delay_alu instid0(VALU_DEP_1)
	v_mul_f64 v[158:159], v[156:157], -v[160:161]
.LBB75_214:
	s_or_b32 exec_lo, exec_lo, s3
	ds_store_2addr_b64 v203, v[160:161], v[158:159] offset1:1
.LBB75_215:
	s_or_b32 exec_lo, exec_lo, s4
	s_waitcnt lgkmcnt(0)
	s_barrier
	buffer_gl0_inv
	ds_load_2addr_b64 v[152:155], v203 offset1:1
	s_mov_b32 s3, exec_lo
	s_waitcnt lgkmcnt(0)
	scratch_store_b128 off, v[152:155], off offset:480 ; 16-byte Folded Spill
	v_cmpx_lt_u32_e32 23, v202
	s_cbranch_execz .LBB75_217
; %bb.216:
	scratch_load_b128 v[154:157], off, off offset:480 ; 16-byte Folded Reload
	s_waitcnt vmcnt(0)
	v_mul_f64 v[152:153], v[154:155], v[58:59]
	v_mul_f64 v[58:59], v[156:157], v[58:59]
	s_delay_alu instid0(VALU_DEP_2) | instskip(NEXT) | instid1(VALU_DEP_2)
	v_fma_f64 v[152:153], v[156:157], v[56:57], v[152:153]
	v_fma_f64 v[56:57], v[154:155], v[56:57], -v[58:59]
	ds_load_2addr_b64 v[154:157], v204 offset0:48 offset1:49
	s_waitcnt lgkmcnt(0)
	v_mul_f64 v[58:59], v[156:157], v[152:153]
	s_delay_alu instid0(VALU_DEP_1) | instskip(SKIP_1) | instid1(VALU_DEP_2)
	v_fma_f64 v[58:59], v[154:155], v[56:57], -v[58:59]
	v_mul_f64 v[154:155], v[154:155], v[152:153]
	v_add_f64 v[52:53], v[52:53], -v[58:59]
	s_delay_alu instid0(VALU_DEP_2) | instskip(NEXT) | instid1(VALU_DEP_1)
	v_fma_f64 v[154:155], v[156:157], v[56:57], v[154:155]
	v_add_f64 v[54:55], v[54:55], -v[154:155]
	ds_load_2addr_b64 v[154:157], v204 offset0:50 offset1:51
	s_waitcnt lgkmcnt(0)
	v_mul_f64 v[58:59], v[156:157], v[152:153]
	s_delay_alu instid0(VALU_DEP_1) | instskip(SKIP_1) | instid1(VALU_DEP_2)
	v_fma_f64 v[58:59], v[154:155], v[56:57], -v[58:59]
	v_mul_f64 v[154:155], v[154:155], v[152:153]
	v_add_f64 v[48:49], v[48:49], -v[58:59]
	s_delay_alu instid0(VALU_DEP_2) | instskip(NEXT) | instid1(VALU_DEP_1)
	v_fma_f64 v[154:155], v[156:157], v[56:57], v[154:155]
	v_add_f64 v[50:51], v[50:51], -v[154:155]
	;; [unrolled: 10-line block ×13, first 2 shown]
	ds_load_2addr_b64 v[154:157], v204 offset0:74 offset1:75
	s_waitcnt lgkmcnt(0)
	v_mul_f64 v[58:59], v[156:157], v[152:153]
	s_delay_alu instid0(VALU_DEP_1) | instskip(SKIP_1) | instid1(VALU_DEP_2)
	v_fma_f64 v[58:59], v[154:155], v[56:57], -v[58:59]
	v_mul_f64 v[154:155], v[154:155], v[152:153]
	v_add_f64 v[0:1], v[0:1], -v[58:59]
	s_delay_alu instid0(VALU_DEP_2) | instskip(SKIP_1) | instid1(VALU_DEP_2)
	v_fma_f64 v[154:155], v[156:157], v[56:57], v[154:155]
	v_dual_mov_b32 v58, v152 :: v_dual_mov_b32 v59, v153
	v_add_f64 v[2:3], v[2:3], -v[154:155]
.LBB75_217:
	s_or_b32 exec_lo, exec_lo, s3
	s_delay_alu instid0(SALU_CYCLE_1)
	s_mov_b32 s4, exec_lo
	s_waitcnt_vscnt null, 0x0
	s_barrier
	buffer_gl0_inv
	v_cmpx_eq_u32_e32 24, v202
	s_cbranch_execz .LBB75_224
; %bb.218:
	ds_store_2addr_b64 v203, v[52:53], v[54:55] offset1:1
	ds_store_2addr_b64 v204, v[48:49], v[50:51] offset0:50 offset1:51
	ds_store_2addr_b64 v204, v[44:45], v[46:47] offset0:52 offset1:53
	;; [unrolled: 1-line block ×13, first 2 shown]
	ds_load_2addr_b64 v[152:155], v203 offset1:1
	s_waitcnt lgkmcnt(0)
	v_cmp_neq_f64_e32 vcc_lo, 0, v[152:153]
	v_cmp_neq_f64_e64 s3, 0, v[154:155]
	s_delay_alu instid0(VALU_DEP_1) | instskip(NEXT) | instid1(SALU_CYCLE_1)
	s_or_b32 s3, vcc_lo, s3
	s_and_b32 exec_lo, exec_lo, s3
	s_cbranch_execz .LBB75_224
; %bb.219:
	v_cmp_gt_f64_e32 vcc_lo, 0, v[152:153]
	v_xor_b32_e32 v156, 0x80000000, v153
	v_xor_b32_e32 v158, 0x80000000, v155
	s_mov_b32 s3, exec_lo
                                        ; implicit-def: $vgpr160_vgpr161
	s_delay_alu instid0(VALU_DEP_2) | instskip(SKIP_4) | instid1(VALU_DEP_1)
	v_cndmask_b32_e32 v157, v153, v156, vcc_lo
	v_cndmask_b32_e32 v156, v152, v152, vcc_lo
	v_cmp_gt_f64_e32 vcc_lo, 0, v[154:155]
	v_cndmask_b32_e32 v159, v155, v158, vcc_lo
	v_cndmask_b32_e32 v158, v154, v154, vcc_lo
	v_cmpx_ngt_f64_e32 v[156:157], v[158:159]
	s_xor_b32 s3, exec_lo, s3
                                        ; implicit-def: $vgpr156_vgpr157_vgpr158_vgpr159
	s_cbranch_execz .LBB75_221
; %bb.220:
	v_div_scale_f64 v[156:157], null, v[154:155], v[154:155], v[152:153]
	v_div_scale_f64 v[162:163], vcc_lo, v[152:153], v[154:155], v[152:153]
	s_delay_alu instid0(VALU_DEP_2) | instskip(SKIP_2) | instid1(VALU_DEP_1)
	v_rcp_f64_e32 v[158:159], v[156:157]
	s_waitcnt_depctr 0xfff
	v_fma_f64 v[160:161], -v[156:157], v[158:159], 1.0
	v_fma_f64 v[158:159], v[158:159], v[160:161], v[158:159]
	s_delay_alu instid0(VALU_DEP_1) | instskip(NEXT) | instid1(VALU_DEP_1)
	v_fma_f64 v[160:161], -v[156:157], v[158:159], 1.0
	v_fma_f64 v[158:159], v[158:159], v[160:161], v[158:159]
	s_delay_alu instid0(VALU_DEP_1) | instskip(NEXT) | instid1(VALU_DEP_1)
	v_mul_f64 v[160:161], v[162:163], v[158:159]
	v_fma_f64 v[156:157], -v[156:157], v[160:161], v[162:163]
	s_delay_alu instid0(VALU_DEP_1) | instskip(NEXT) | instid1(VALU_DEP_1)
	v_div_fmas_f64 v[156:157], v[156:157], v[158:159], v[160:161]
	v_div_fixup_f64 v[156:157], v[156:157], v[154:155], v[152:153]
	s_delay_alu instid0(VALU_DEP_1) | instskip(NEXT) | instid1(VALU_DEP_1)
	v_fma_f64 v[152:153], v[152:153], v[156:157], v[154:155]
	v_div_scale_f64 v[154:155], null, v[152:153], v[152:153], 1.0
	s_delay_alu instid0(VALU_DEP_1) | instskip(SKIP_2) | instid1(VALU_DEP_1)
	v_rcp_f64_e32 v[158:159], v[154:155]
	s_waitcnt_depctr 0xfff
	v_fma_f64 v[160:161], -v[154:155], v[158:159], 1.0
	v_fma_f64 v[158:159], v[158:159], v[160:161], v[158:159]
	s_delay_alu instid0(VALU_DEP_1) | instskip(NEXT) | instid1(VALU_DEP_1)
	v_fma_f64 v[160:161], -v[154:155], v[158:159], 1.0
	v_fma_f64 v[158:159], v[158:159], v[160:161], v[158:159]
	v_div_scale_f64 v[160:161], vcc_lo, 1.0, v[152:153], 1.0
	s_delay_alu instid0(VALU_DEP_1) | instskip(NEXT) | instid1(VALU_DEP_1)
	v_mul_f64 v[162:163], v[160:161], v[158:159]
	v_fma_f64 v[154:155], -v[154:155], v[162:163], v[160:161]
	s_delay_alu instid0(VALU_DEP_1) | instskip(NEXT) | instid1(VALU_DEP_1)
	v_div_fmas_f64 v[154:155], v[154:155], v[158:159], v[162:163]
	v_div_fixup_f64 v[158:159], v[154:155], v[152:153], 1.0
                                        ; implicit-def: $vgpr152_vgpr153
	s_delay_alu instid0(VALU_DEP_1)
	v_mul_f64 v[160:161], v[156:157], v[158:159]
	v_xor_b32_e32 v159, 0x80000000, v159
.LBB75_221:
	s_and_not1_saveexec_b32 s3, s3
	s_cbranch_execz .LBB75_223
; %bb.222:
	v_div_scale_f64 v[156:157], null, v[152:153], v[152:153], v[154:155]
	v_div_scale_f64 v[162:163], vcc_lo, v[154:155], v[152:153], v[154:155]
	s_delay_alu instid0(VALU_DEP_2) | instskip(SKIP_2) | instid1(VALU_DEP_1)
	v_rcp_f64_e32 v[158:159], v[156:157]
	s_waitcnt_depctr 0xfff
	v_fma_f64 v[160:161], -v[156:157], v[158:159], 1.0
	v_fma_f64 v[158:159], v[158:159], v[160:161], v[158:159]
	s_delay_alu instid0(VALU_DEP_1) | instskip(NEXT) | instid1(VALU_DEP_1)
	v_fma_f64 v[160:161], -v[156:157], v[158:159], 1.0
	v_fma_f64 v[158:159], v[158:159], v[160:161], v[158:159]
	s_delay_alu instid0(VALU_DEP_1) | instskip(NEXT) | instid1(VALU_DEP_1)
	v_mul_f64 v[160:161], v[162:163], v[158:159]
	v_fma_f64 v[156:157], -v[156:157], v[160:161], v[162:163]
	s_delay_alu instid0(VALU_DEP_1) | instskip(NEXT) | instid1(VALU_DEP_1)
	v_div_fmas_f64 v[156:157], v[156:157], v[158:159], v[160:161]
	v_div_fixup_f64 v[156:157], v[156:157], v[152:153], v[154:155]
	s_delay_alu instid0(VALU_DEP_1) | instskip(NEXT) | instid1(VALU_DEP_1)
	v_fma_f64 v[152:153], v[154:155], v[156:157], v[152:153]
	v_div_scale_f64 v[154:155], null, v[152:153], v[152:153], 1.0
	s_delay_alu instid0(VALU_DEP_1) | instskip(SKIP_2) | instid1(VALU_DEP_1)
	v_rcp_f64_e32 v[158:159], v[154:155]
	s_waitcnt_depctr 0xfff
	v_fma_f64 v[160:161], -v[154:155], v[158:159], 1.0
	v_fma_f64 v[158:159], v[158:159], v[160:161], v[158:159]
	s_delay_alu instid0(VALU_DEP_1) | instskip(NEXT) | instid1(VALU_DEP_1)
	v_fma_f64 v[160:161], -v[154:155], v[158:159], 1.0
	v_fma_f64 v[158:159], v[158:159], v[160:161], v[158:159]
	v_div_scale_f64 v[160:161], vcc_lo, 1.0, v[152:153], 1.0
	s_delay_alu instid0(VALU_DEP_1) | instskip(NEXT) | instid1(VALU_DEP_1)
	v_mul_f64 v[162:163], v[160:161], v[158:159]
	v_fma_f64 v[154:155], -v[154:155], v[162:163], v[160:161]
	s_delay_alu instid0(VALU_DEP_1) | instskip(NEXT) | instid1(VALU_DEP_1)
	v_div_fmas_f64 v[154:155], v[154:155], v[158:159], v[162:163]
	v_div_fixup_f64 v[160:161], v[154:155], v[152:153], 1.0
	s_delay_alu instid0(VALU_DEP_1)
	v_mul_f64 v[158:159], v[156:157], -v[160:161]
.LBB75_223:
	s_or_b32 exec_lo, exec_lo, s3
	ds_store_2addr_b64 v203, v[160:161], v[158:159] offset1:1
.LBB75_224:
	s_or_b32 exec_lo, exec_lo, s4
	s_waitcnt lgkmcnt(0)
	s_barrier
	buffer_gl0_inv
	ds_load_2addr_b64 v[152:155], v203 offset1:1
	s_mov_b32 s3, exec_lo
	s_waitcnt lgkmcnt(0)
	scratch_store_b128 off, v[152:155], off offset:496 ; 16-byte Folded Spill
	v_cmpx_lt_u32_e32 24, v202
	s_cbranch_execz .LBB75_226
; %bb.225:
	scratch_load_b128 v[154:157], off, off offset:496 ; 16-byte Folded Reload
	s_waitcnt vmcnt(0)
	v_mul_f64 v[152:153], v[154:155], v[54:55]
	v_mul_f64 v[54:55], v[156:157], v[54:55]
	s_delay_alu instid0(VALU_DEP_2) | instskip(NEXT) | instid1(VALU_DEP_2)
	v_fma_f64 v[152:153], v[156:157], v[52:53], v[152:153]
	v_fma_f64 v[52:53], v[154:155], v[52:53], -v[54:55]
	ds_load_2addr_b64 v[154:157], v204 offset0:50 offset1:51
	s_waitcnt lgkmcnt(0)
	v_mul_f64 v[54:55], v[156:157], v[152:153]
	s_delay_alu instid0(VALU_DEP_1) | instskip(SKIP_1) | instid1(VALU_DEP_2)
	v_fma_f64 v[54:55], v[154:155], v[52:53], -v[54:55]
	v_mul_f64 v[154:155], v[154:155], v[152:153]
	v_add_f64 v[48:49], v[48:49], -v[54:55]
	s_delay_alu instid0(VALU_DEP_2) | instskip(NEXT) | instid1(VALU_DEP_1)
	v_fma_f64 v[154:155], v[156:157], v[52:53], v[154:155]
	v_add_f64 v[50:51], v[50:51], -v[154:155]
	ds_load_2addr_b64 v[154:157], v204 offset0:52 offset1:53
	s_waitcnt lgkmcnt(0)
	v_mul_f64 v[54:55], v[156:157], v[152:153]
	s_delay_alu instid0(VALU_DEP_1) | instskip(SKIP_1) | instid1(VALU_DEP_2)
	v_fma_f64 v[54:55], v[154:155], v[52:53], -v[54:55]
	v_mul_f64 v[154:155], v[154:155], v[152:153]
	v_add_f64 v[44:45], v[44:45], -v[54:55]
	s_delay_alu instid0(VALU_DEP_2) | instskip(NEXT) | instid1(VALU_DEP_1)
	v_fma_f64 v[154:155], v[156:157], v[52:53], v[154:155]
	v_add_f64 v[46:47], v[46:47], -v[154:155]
	;; [unrolled: 10-line block ×12, first 2 shown]
	ds_load_2addr_b64 v[154:157], v204 offset0:74 offset1:75
	s_waitcnt lgkmcnt(0)
	v_mul_f64 v[54:55], v[156:157], v[152:153]
	s_delay_alu instid0(VALU_DEP_1) | instskip(SKIP_1) | instid1(VALU_DEP_2)
	v_fma_f64 v[54:55], v[154:155], v[52:53], -v[54:55]
	v_mul_f64 v[154:155], v[154:155], v[152:153]
	v_add_f64 v[0:1], v[0:1], -v[54:55]
	s_delay_alu instid0(VALU_DEP_2) | instskip(SKIP_1) | instid1(VALU_DEP_2)
	v_fma_f64 v[154:155], v[156:157], v[52:53], v[154:155]
	v_dual_mov_b32 v54, v152 :: v_dual_mov_b32 v55, v153
	v_add_f64 v[2:3], v[2:3], -v[154:155]
.LBB75_226:
	s_or_b32 exec_lo, exec_lo, s3
	s_delay_alu instid0(SALU_CYCLE_1)
	s_mov_b32 s4, exec_lo
	s_waitcnt_vscnt null, 0x0
	s_barrier
	buffer_gl0_inv
	v_cmpx_eq_u32_e32 25, v202
	s_cbranch_execz .LBB75_233
; %bb.227:
	ds_store_2addr_b64 v203, v[48:49], v[50:51] offset1:1
	ds_store_2addr_b64 v204, v[44:45], v[46:47] offset0:52 offset1:53
	ds_store_2addr_b64 v204, v[40:41], v[42:43] offset0:54 offset1:55
	;; [unrolled: 1-line block ×12, first 2 shown]
	ds_load_2addr_b64 v[152:155], v203 offset1:1
	s_waitcnt lgkmcnt(0)
	v_cmp_neq_f64_e32 vcc_lo, 0, v[152:153]
	v_cmp_neq_f64_e64 s3, 0, v[154:155]
	s_delay_alu instid0(VALU_DEP_1) | instskip(NEXT) | instid1(SALU_CYCLE_1)
	s_or_b32 s3, vcc_lo, s3
	s_and_b32 exec_lo, exec_lo, s3
	s_cbranch_execz .LBB75_233
; %bb.228:
	v_cmp_gt_f64_e32 vcc_lo, 0, v[152:153]
	v_xor_b32_e32 v156, 0x80000000, v153
	v_xor_b32_e32 v158, 0x80000000, v155
	s_mov_b32 s3, exec_lo
                                        ; implicit-def: $vgpr160_vgpr161
	s_delay_alu instid0(VALU_DEP_2) | instskip(SKIP_4) | instid1(VALU_DEP_1)
	v_cndmask_b32_e32 v157, v153, v156, vcc_lo
	v_cndmask_b32_e32 v156, v152, v152, vcc_lo
	v_cmp_gt_f64_e32 vcc_lo, 0, v[154:155]
	v_cndmask_b32_e32 v159, v155, v158, vcc_lo
	v_cndmask_b32_e32 v158, v154, v154, vcc_lo
	v_cmpx_ngt_f64_e32 v[156:157], v[158:159]
	s_xor_b32 s3, exec_lo, s3
                                        ; implicit-def: $vgpr156_vgpr157_vgpr158_vgpr159
	s_cbranch_execz .LBB75_230
; %bb.229:
	v_div_scale_f64 v[156:157], null, v[154:155], v[154:155], v[152:153]
	v_div_scale_f64 v[162:163], vcc_lo, v[152:153], v[154:155], v[152:153]
	s_delay_alu instid0(VALU_DEP_2) | instskip(SKIP_2) | instid1(VALU_DEP_1)
	v_rcp_f64_e32 v[158:159], v[156:157]
	s_waitcnt_depctr 0xfff
	v_fma_f64 v[160:161], -v[156:157], v[158:159], 1.0
	v_fma_f64 v[158:159], v[158:159], v[160:161], v[158:159]
	s_delay_alu instid0(VALU_DEP_1) | instskip(NEXT) | instid1(VALU_DEP_1)
	v_fma_f64 v[160:161], -v[156:157], v[158:159], 1.0
	v_fma_f64 v[158:159], v[158:159], v[160:161], v[158:159]
	s_delay_alu instid0(VALU_DEP_1) | instskip(NEXT) | instid1(VALU_DEP_1)
	v_mul_f64 v[160:161], v[162:163], v[158:159]
	v_fma_f64 v[156:157], -v[156:157], v[160:161], v[162:163]
	s_delay_alu instid0(VALU_DEP_1) | instskip(NEXT) | instid1(VALU_DEP_1)
	v_div_fmas_f64 v[156:157], v[156:157], v[158:159], v[160:161]
	v_div_fixup_f64 v[156:157], v[156:157], v[154:155], v[152:153]
	s_delay_alu instid0(VALU_DEP_1) | instskip(NEXT) | instid1(VALU_DEP_1)
	v_fma_f64 v[152:153], v[152:153], v[156:157], v[154:155]
	v_div_scale_f64 v[154:155], null, v[152:153], v[152:153], 1.0
	s_delay_alu instid0(VALU_DEP_1) | instskip(SKIP_2) | instid1(VALU_DEP_1)
	v_rcp_f64_e32 v[158:159], v[154:155]
	s_waitcnt_depctr 0xfff
	v_fma_f64 v[160:161], -v[154:155], v[158:159], 1.0
	v_fma_f64 v[158:159], v[158:159], v[160:161], v[158:159]
	s_delay_alu instid0(VALU_DEP_1) | instskip(NEXT) | instid1(VALU_DEP_1)
	v_fma_f64 v[160:161], -v[154:155], v[158:159], 1.0
	v_fma_f64 v[158:159], v[158:159], v[160:161], v[158:159]
	v_div_scale_f64 v[160:161], vcc_lo, 1.0, v[152:153], 1.0
	s_delay_alu instid0(VALU_DEP_1) | instskip(NEXT) | instid1(VALU_DEP_1)
	v_mul_f64 v[162:163], v[160:161], v[158:159]
	v_fma_f64 v[154:155], -v[154:155], v[162:163], v[160:161]
	s_delay_alu instid0(VALU_DEP_1) | instskip(NEXT) | instid1(VALU_DEP_1)
	v_div_fmas_f64 v[154:155], v[154:155], v[158:159], v[162:163]
	v_div_fixup_f64 v[158:159], v[154:155], v[152:153], 1.0
                                        ; implicit-def: $vgpr152_vgpr153
	s_delay_alu instid0(VALU_DEP_1)
	v_mul_f64 v[160:161], v[156:157], v[158:159]
	v_xor_b32_e32 v159, 0x80000000, v159
.LBB75_230:
	s_and_not1_saveexec_b32 s3, s3
	s_cbranch_execz .LBB75_232
; %bb.231:
	v_div_scale_f64 v[156:157], null, v[152:153], v[152:153], v[154:155]
	v_div_scale_f64 v[162:163], vcc_lo, v[154:155], v[152:153], v[154:155]
	s_delay_alu instid0(VALU_DEP_2) | instskip(SKIP_2) | instid1(VALU_DEP_1)
	v_rcp_f64_e32 v[158:159], v[156:157]
	s_waitcnt_depctr 0xfff
	v_fma_f64 v[160:161], -v[156:157], v[158:159], 1.0
	v_fma_f64 v[158:159], v[158:159], v[160:161], v[158:159]
	s_delay_alu instid0(VALU_DEP_1) | instskip(NEXT) | instid1(VALU_DEP_1)
	v_fma_f64 v[160:161], -v[156:157], v[158:159], 1.0
	v_fma_f64 v[158:159], v[158:159], v[160:161], v[158:159]
	s_delay_alu instid0(VALU_DEP_1) | instskip(NEXT) | instid1(VALU_DEP_1)
	v_mul_f64 v[160:161], v[162:163], v[158:159]
	v_fma_f64 v[156:157], -v[156:157], v[160:161], v[162:163]
	s_delay_alu instid0(VALU_DEP_1) | instskip(NEXT) | instid1(VALU_DEP_1)
	v_div_fmas_f64 v[156:157], v[156:157], v[158:159], v[160:161]
	v_div_fixup_f64 v[156:157], v[156:157], v[152:153], v[154:155]
	s_delay_alu instid0(VALU_DEP_1) | instskip(NEXT) | instid1(VALU_DEP_1)
	v_fma_f64 v[152:153], v[154:155], v[156:157], v[152:153]
	v_div_scale_f64 v[154:155], null, v[152:153], v[152:153], 1.0
	s_delay_alu instid0(VALU_DEP_1) | instskip(SKIP_2) | instid1(VALU_DEP_1)
	v_rcp_f64_e32 v[158:159], v[154:155]
	s_waitcnt_depctr 0xfff
	v_fma_f64 v[160:161], -v[154:155], v[158:159], 1.0
	v_fma_f64 v[158:159], v[158:159], v[160:161], v[158:159]
	s_delay_alu instid0(VALU_DEP_1) | instskip(NEXT) | instid1(VALU_DEP_1)
	v_fma_f64 v[160:161], -v[154:155], v[158:159], 1.0
	v_fma_f64 v[158:159], v[158:159], v[160:161], v[158:159]
	v_div_scale_f64 v[160:161], vcc_lo, 1.0, v[152:153], 1.0
	s_delay_alu instid0(VALU_DEP_1) | instskip(NEXT) | instid1(VALU_DEP_1)
	v_mul_f64 v[162:163], v[160:161], v[158:159]
	v_fma_f64 v[154:155], -v[154:155], v[162:163], v[160:161]
	s_delay_alu instid0(VALU_DEP_1) | instskip(NEXT) | instid1(VALU_DEP_1)
	v_div_fmas_f64 v[154:155], v[154:155], v[158:159], v[162:163]
	v_div_fixup_f64 v[160:161], v[154:155], v[152:153], 1.0
	s_delay_alu instid0(VALU_DEP_1)
	v_mul_f64 v[158:159], v[156:157], -v[160:161]
.LBB75_232:
	s_or_b32 exec_lo, exec_lo, s3
	ds_store_2addr_b64 v203, v[160:161], v[158:159] offset1:1
.LBB75_233:
	s_or_b32 exec_lo, exec_lo, s4
	s_waitcnt lgkmcnt(0)
	s_barrier
	buffer_gl0_inv
	ds_load_2addr_b64 v[152:155], v203 offset1:1
	s_mov_b32 s3, exec_lo
	s_waitcnt lgkmcnt(0)
	scratch_store_b128 off, v[152:155], off offset:512 ; 16-byte Folded Spill
	v_cmpx_lt_u32_e32 25, v202
	s_cbranch_execz .LBB75_235
; %bb.234:
	scratch_load_b128 v[158:161], off, off offset:512 ; 16-byte Folded Reload
	s_waitcnt vmcnt(0)
	v_mul_f64 v[152:153], v[158:159], v[50:51]
	v_mul_f64 v[50:51], v[160:161], v[50:51]
	s_delay_alu instid0(VALU_DEP_2) | instskip(SKIP_4) | instid1(VALU_DEP_1)
	v_fma_f64 v[156:157], v[160:161], v[48:49], v[152:153]
	ds_load_2addr_b64 v[152:155], v204 offset0:52 offset1:53
	v_fma_f64 v[48:49], v[158:159], v[48:49], -v[50:51]
	s_waitcnt lgkmcnt(0)
	v_mul_f64 v[50:51], v[154:155], v[156:157]
	v_fma_f64 v[50:51], v[152:153], v[48:49], -v[50:51]
	v_mul_f64 v[152:153], v[152:153], v[156:157]
	s_delay_alu instid0(VALU_DEP_2) | instskip(NEXT) | instid1(VALU_DEP_2)
	v_add_f64 v[44:45], v[44:45], -v[50:51]
	v_fma_f64 v[152:153], v[154:155], v[48:49], v[152:153]
	s_delay_alu instid0(VALU_DEP_1) | instskip(SKIP_3) | instid1(VALU_DEP_1)
	v_add_f64 v[46:47], v[46:47], -v[152:153]
	ds_load_2addr_b64 v[152:155], v204 offset0:54 offset1:55
	s_waitcnt lgkmcnt(0)
	v_mul_f64 v[50:51], v[154:155], v[156:157]
	v_fma_f64 v[50:51], v[152:153], v[48:49], -v[50:51]
	v_mul_f64 v[152:153], v[152:153], v[156:157]
	s_delay_alu instid0(VALU_DEP_2) | instskip(NEXT) | instid1(VALU_DEP_2)
	v_add_f64 v[40:41], v[40:41], -v[50:51]
	v_fma_f64 v[152:153], v[154:155], v[48:49], v[152:153]
	s_delay_alu instid0(VALU_DEP_1) | instskip(SKIP_3) | instid1(VALU_DEP_1)
	v_add_f64 v[42:43], v[42:43], -v[152:153]
	ds_load_2addr_b64 v[152:155], v204 offset0:56 offset1:57
	;; [unrolled: 10-line block ×11, first 2 shown]
	s_waitcnt lgkmcnt(0)
	v_mul_f64 v[50:51], v[154:155], v[156:157]
	v_fma_f64 v[50:51], v[152:153], v[48:49], -v[50:51]
	v_mul_f64 v[152:153], v[152:153], v[156:157]
	s_delay_alu instid0(VALU_DEP_2) | instskip(NEXT) | instid1(VALU_DEP_2)
	v_add_f64 v[0:1], v[0:1], -v[50:51]
	v_fma_f64 v[152:153], v[154:155], v[48:49], v[152:153]
	v_dual_mov_b32 v50, v156 :: v_dual_mov_b32 v51, v157
	s_delay_alu instid0(VALU_DEP_2)
	v_add_f64 v[2:3], v[2:3], -v[152:153]
.LBB75_235:
	s_or_b32 exec_lo, exec_lo, s3
	s_delay_alu instid0(SALU_CYCLE_1)
	s_mov_b32 s4, exec_lo
	s_waitcnt_vscnt null, 0x0
	s_barrier
	buffer_gl0_inv
	v_cmpx_eq_u32_e32 26, v202
	s_cbranch_execz .LBB75_242
; %bb.236:
	ds_store_2addr_b64 v203, v[44:45], v[46:47] offset1:1
	ds_store_2addr_b64 v204, v[40:41], v[42:43] offset0:54 offset1:55
	ds_store_2addr_b64 v204, v[36:37], v[38:39] offset0:56 offset1:57
	ds_store_2addr_b64 v204, v[32:33], v[34:35] offset0:58 offset1:59
	ds_store_2addr_b64 v204, v[28:29], v[30:31] offset0:60 offset1:61
	ds_store_2addr_b64 v204, v[24:25], v[26:27] offset0:62 offset1:63
	ds_store_2addr_b64 v204, v[20:21], v[22:23] offset0:64 offset1:65
	ds_store_2addr_b64 v204, v[16:17], v[18:19] offset0:66 offset1:67
	ds_store_2addr_b64 v204, v[12:13], v[14:15] offset0:68 offset1:69
	ds_store_2addr_b64 v204, v[8:9], v[10:11] offset0:70 offset1:71
	ds_store_2addr_b64 v204, v[4:5], v[6:7] offset0:72 offset1:73
	ds_store_2addr_b64 v204, v[0:1], v[2:3] offset0:74 offset1:75
	ds_load_2addr_b64 v[152:155], v203 offset1:1
	s_waitcnt lgkmcnt(0)
	v_cmp_neq_f64_e32 vcc_lo, 0, v[152:153]
	v_cmp_neq_f64_e64 s3, 0, v[154:155]
	s_delay_alu instid0(VALU_DEP_1) | instskip(NEXT) | instid1(SALU_CYCLE_1)
	s_or_b32 s3, vcc_lo, s3
	s_and_b32 exec_lo, exec_lo, s3
	s_cbranch_execz .LBB75_242
; %bb.237:
	v_cmp_gt_f64_e32 vcc_lo, 0, v[152:153]
	v_xor_b32_e32 v156, 0x80000000, v153
	v_xor_b32_e32 v158, 0x80000000, v155
	s_mov_b32 s3, exec_lo
                                        ; implicit-def: $vgpr160_vgpr161
	s_delay_alu instid0(VALU_DEP_2) | instskip(SKIP_4) | instid1(VALU_DEP_1)
	v_cndmask_b32_e32 v157, v153, v156, vcc_lo
	v_cndmask_b32_e32 v156, v152, v152, vcc_lo
	v_cmp_gt_f64_e32 vcc_lo, 0, v[154:155]
	v_cndmask_b32_e32 v159, v155, v158, vcc_lo
	v_cndmask_b32_e32 v158, v154, v154, vcc_lo
	v_cmpx_ngt_f64_e32 v[156:157], v[158:159]
	s_xor_b32 s3, exec_lo, s3
                                        ; implicit-def: $vgpr156_vgpr157_vgpr158_vgpr159
	s_cbranch_execz .LBB75_239
; %bb.238:
	v_div_scale_f64 v[156:157], null, v[154:155], v[154:155], v[152:153]
	v_div_scale_f64 v[162:163], vcc_lo, v[152:153], v[154:155], v[152:153]
	s_delay_alu instid0(VALU_DEP_2) | instskip(SKIP_2) | instid1(VALU_DEP_1)
	v_rcp_f64_e32 v[158:159], v[156:157]
	s_waitcnt_depctr 0xfff
	v_fma_f64 v[160:161], -v[156:157], v[158:159], 1.0
	v_fma_f64 v[158:159], v[158:159], v[160:161], v[158:159]
	s_delay_alu instid0(VALU_DEP_1) | instskip(NEXT) | instid1(VALU_DEP_1)
	v_fma_f64 v[160:161], -v[156:157], v[158:159], 1.0
	v_fma_f64 v[158:159], v[158:159], v[160:161], v[158:159]
	s_delay_alu instid0(VALU_DEP_1) | instskip(NEXT) | instid1(VALU_DEP_1)
	v_mul_f64 v[160:161], v[162:163], v[158:159]
	v_fma_f64 v[156:157], -v[156:157], v[160:161], v[162:163]
	s_delay_alu instid0(VALU_DEP_1) | instskip(NEXT) | instid1(VALU_DEP_1)
	v_div_fmas_f64 v[156:157], v[156:157], v[158:159], v[160:161]
	v_div_fixup_f64 v[156:157], v[156:157], v[154:155], v[152:153]
	s_delay_alu instid0(VALU_DEP_1) | instskip(NEXT) | instid1(VALU_DEP_1)
	v_fma_f64 v[152:153], v[152:153], v[156:157], v[154:155]
	v_div_scale_f64 v[154:155], null, v[152:153], v[152:153], 1.0
	s_delay_alu instid0(VALU_DEP_1) | instskip(SKIP_2) | instid1(VALU_DEP_1)
	v_rcp_f64_e32 v[158:159], v[154:155]
	s_waitcnt_depctr 0xfff
	v_fma_f64 v[160:161], -v[154:155], v[158:159], 1.0
	v_fma_f64 v[158:159], v[158:159], v[160:161], v[158:159]
	s_delay_alu instid0(VALU_DEP_1) | instskip(NEXT) | instid1(VALU_DEP_1)
	v_fma_f64 v[160:161], -v[154:155], v[158:159], 1.0
	v_fma_f64 v[158:159], v[158:159], v[160:161], v[158:159]
	v_div_scale_f64 v[160:161], vcc_lo, 1.0, v[152:153], 1.0
	s_delay_alu instid0(VALU_DEP_1) | instskip(NEXT) | instid1(VALU_DEP_1)
	v_mul_f64 v[162:163], v[160:161], v[158:159]
	v_fma_f64 v[154:155], -v[154:155], v[162:163], v[160:161]
	s_delay_alu instid0(VALU_DEP_1) | instskip(NEXT) | instid1(VALU_DEP_1)
	v_div_fmas_f64 v[154:155], v[154:155], v[158:159], v[162:163]
	v_div_fixup_f64 v[158:159], v[154:155], v[152:153], 1.0
                                        ; implicit-def: $vgpr152_vgpr153
	s_delay_alu instid0(VALU_DEP_1)
	v_mul_f64 v[160:161], v[156:157], v[158:159]
	v_xor_b32_e32 v159, 0x80000000, v159
.LBB75_239:
	s_and_not1_saveexec_b32 s3, s3
	s_cbranch_execz .LBB75_241
; %bb.240:
	v_div_scale_f64 v[156:157], null, v[152:153], v[152:153], v[154:155]
	v_div_scale_f64 v[162:163], vcc_lo, v[154:155], v[152:153], v[154:155]
	s_delay_alu instid0(VALU_DEP_2) | instskip(SKIP_2) | instid1(VALU_DEP_1)
	v_rcp_f64_e32 v[158:159], v[156:157]
	s_waitcnt_depctr 0xfff
	v_fma_f64 v[160:161], -v[156:157], v[158:159], 1.0
	v_fma_f64 v[158:159], v[158:159], v[160:161], v[158:159]
	s_delay_alu instid0(VALU_DEP_1) | instskip(NEXT) | instid1(VALU_DEP_1)
	v_fma_f64 v[160:161], -v[156:157], v[158:159], 1.0
	v_fma_f64 v[158:159], v[158:159], v[160:161], v[158:159]
	s_delay_alu instid0(VALU_DEP_1) | instskip(NEXT) | instid1(VALU_DEP_1)
	v_mul_f64 v[160:161], v[162:163], v[158:159]
	v_fma_f64 v[156:157], -v[156:157], v[160:161], v[162:163]
	s_delay_alu instid0(VALU_DEP_1) | instskip(NEXT) | instid1(VALU_DEP_1)
	v_div_fmas_f64 v[156:157], v[156:157], v[158:159], v[160:161]
	v_div_fixup_f64 v[156:157], v[156:157], v[152:153], v[154:155]
	s_delay_alu instid0(VALU_DEP_1) | instskip(NEXT) | instid1(VALU_DEP_1)
	v_fma_f64 v[152:153], v[154:155], v[156:157], v[152:153]
	v_div_scale_f64 v[154:155], null, v[152:153], v[152:153], 1.0
	s_delay_alu instid0(VALU_DEP_1) | instskip(SKIP_2) | instid1(VALU_DEP_1)
	v_rcp_f64_e32 v[158:159], v[154:155]
	s_waitcnt_depctr 0xfff
	v_fma_f64 v[160:161], -v[154:155], v[158:159], 1.0
	v_fma_f64 v[158:159], v[158:159], v[160:161], v[158:159]
	s_delay_alu instid0(VALU_DEP_1) | instskip(NEXT) | instid1(VALU_DEP_1)
	v_fma_f64 v[160:161], -v[154:155], v[158:159], 1.0
	v_fma_f64 v[158:159], v[158:159], v[160:161], v[158:159]
	v_div_scale_f64 v[160:161], vcc_lo, 1.0, v[152:153], 1.0
	s_delay_alu instid0(VALU_DEP_1) | instskip(NEXT) | instid1(VALU_DEP_1)
	v_mul_f64 v[162:163], v[160:161], v[158:159]
	v_fma_f64 v[154:155], -v[154:155], v[162:163], v[160:161]
	s_delay_alu instid0(VALU_DEP_1) | instskip(NEXT) | instid1(VALU_DEP_1)
	v_div_fmas_f64 v[154:155], v[154:155], v[158:159], v[162:163]
	v_div_fixup_f64 v[160:161], v[154:155], v[152:153], 1.0
	s_delay_alu instid0(VALU_DEP_1)
	v_mul_f64 v[158:159], v[156:157], -v[160:161]
.LBB75_241:
	s_or_b32 exec_lo, exec_lo, s3
	ds_store_2addr_b64 v203, v[160:161], v[158:159] offset1:1
.LBB75_242:
	s_or_b32 exec_lo, exec_lo, s4
	s_waitcnt lgkmcnt(0)
	s_barrier
	buffer_gl0_inv
	ds_load_2addr_b64 v[152:155], v203 offset1:1
	s_mov_b32 s3, exec_lo
	s_waitcnt lgkmcnt(0)
	scratch_store_b128 off, v[152:155], off offset:528 ; 16-byte Folded Spill
	v_cmpx_lt_u32_e32 26, v202
	s_cbranch_execz .LBB75_244
; %bb.243:
	scratch_load_b128 v[152:155], off, off offset:528 ; 16-byte Folded Reload
	s_waitcnt vmcnt(0)
	v_mul_f64 v[156:157], v[152:153], v[46:47]
	v_mul_f64 v[46:47], v[154:155], v[46:47]
	s_delay_alu instid0(VALU_DEP_2) | instskip(SKIP_4) | instid1(VALU_DEP_1)
	v_fma_f64 v[160:161], v[154:155], v[44:45], v[156:157]
	ds_load_2addr_b64 v[156:159], v204 offset0:54 offset1:55
	v_fma_f64 v[44:45], v[152:153], v[44:45], -v[46:47]
	s_waitcnt lgkmcnt(0)
	v_mul_f64 v[46:47], v[158:159], v[160:161]
	v_fma_f64 v[46:47], v[156:157], v[44:45], -v[46:47]
	v_mul_f64 v[156:157], v[156:157], v[160:161]
	s_delay_alu instid0(VALU_DEP_2) | instskip(NEXT) | instid1(VALU_DEP_2)
	v_add_f64 v[40:41], v[40:41], -v[46:47]
	v_fma_f64 v[156:157], v[158:159], v[44:45], v[156:157]
	s_delay_alu instid0(VALU_DEP_1) | instskip(SKIP_3) | instid1(VALU_DEP_1)
	v_add_f64 v[42:43], v[42:43], -v[156:157]
	ds_load_2addr_b64 v[156:159], v204 offset0:56 offset1:57
	s_waitcnt lgkmcnt(0)
	v_mul_f64 v[46:47], v[158:159], v[160:161]
	v_fma_f64 v[46:47], v[156:157], v[44:45], -v[46:47]
	v_mul_f64 v[156:157], v[156:157], v[160:161]
	s_delay_alu instid0(VALU_DEP_2) | instskip(NEXT) | instid1(VALU_DEP_2)
	v_add_f64 v[36:37], v[36:37], -v[46:47]
	v_fma_f64 v[156:157], v[158:159], v[44:45], v[156:157]
	s_delay_alu instid0(VALU_DEP_1) | instskip(SKIP_3) | instid1(VALU_DEP_1)
	v_add_f64 v[38:39], v[38:39], -v[156:157]
	ds_load_2addr_b64 v[156:159], v204 offset0:58 offset1:59
	;; [unrolled: 10-line block ×10, first 2 shown]
	s_waitcnt lgkmcnt(0)
	v_mul_f64 v[46:47], v[158:159], v[160:161]
	v_fma_f64 v[46:47], v[156:157], v[44:45], -v[46:47]
	v_mul_f64 v[156:157], v[156:157], v[160:161]
	s_delay_alu instid0(VALU_DEP_2) | instskip(NEXT) | instid1(VALU_DEP_2)
	v_add_f64 v[0:1], v[0:1], -v[46:47]
	v_fma_f64 v[156:157], v[158:159], v[44:45], v[156:157]
	v_dual_mov_b32 v46, v160 :: v_dual_mov_b32 v47, v161
	s_delay_alu instid0(VALU_DEP_2)
	v_add_f64 v[2:3], v[2:3], -v[156:157]
.LBB75_244:
	s_or_b32 exec_lo, exec_lo, s3
	s_delay_alu instid0(SALU_CYCLE_1)
	s_mov_b32 s4, exec_lo
	s_waitcnt_vscnt null, 0x0
	s_barrier
	buffer_gl0_inv
	v_cmpx_eq_u32_e32 27, v202
	s_cbranch_execz .LBB75_251
; %bb.245:
	ds_store_2addr_b64 v203, v[40:41], v[42:43] offset1:1
	ds_store_2addr_b64 v204, v[36:37], v[38:39] offset0:56 offset1:57
	ds_store_2addr_b64 v204, v[32:33], v[34:35] offset0:58 offset1:59
	;; [unrolled: 1-line block ×10, first 2 shown]
	ds_load_2addr_b64 v[156:159], v203 offset1:1
	s_waitcnt lgkmcnt(0)
	v_cmp_neq_f64_e32 vcc_lo, 0, v[156:157]
	v_cmp_neq_f64_e64 s3, 0, v[158:159]
	s_delay_alu instid0(VALU_DEP_1) | instskip(NEXT) | instid1(SALU_CYCLE_1)
	s_or_b32 s3, vcc_lo, s3
	s_and_b32 exec_lo, exec_lo, s3
	s_cbranch_execz .LBB75_251
; %bb.246:
	v_cmp_gt_f64_e32 vcc_lo, 0, v[156:157]
	v_xor_b32_e32 v160, 0x80000000, v157
	v_xor_b32_e32 v162, 0x80000000, v159
	s_mov_b32 s3, exec_lo
                                        ; implicit-def: $vgpr164_vgpr165
	s_delay_alu instid0(VALU_DEP_2) | instskip(SKIP_4) | instid1(VALU_DEP_1)
	v_cndmask_b32_e32 v161, v157, v160, vcc_lo
	v_cndmask_b32_e32 v160, v156, v156, vcc_lo
	v_cmp_gt_f64_e32 vcc_lo, 0, v[158:159]
	v_cndmask_b32_e32 v163, v159, v162, vcc_lo
	v_cndmask_b32_e32 v162, v158, v158, vcc_lo
	v_cmpx_ngt_f64_e32 v[160:161], v[162:163]
	s_xor_b32 s3, exec_lo, s3
                                        ; implicit-def: $vgpr160_vgpr161_vgpr162_vgpr163
	s_cbranch_execz .LBB75_248
; %bb.247:
	v_div_scale_f64 v[160:161], null, v[158:159], v[158:159], v[156:157]
	v_div_scale_f64 v[166:167], vcc_lo, v[156:157], v[158:159], v[156:157]
	s_delay_alu instid0(VALU_DEP_2) | instskip(SKIP_2) | instid1(VALU_DEP_1)
	v_rcp_f64_e32 v[162:163], v[160:161]
	s_waitcnt_depctr 0xfff
	v_fma_f64 v[164:165], -v[160:161], v[162:163], 1.0
	v_fma_f64 v[162:163], v[162:163], v[164:165], v[162:163]
	s_delay_alu instid0(VALU_DEP_1) | instskip(NEXT) | instid1(VALU_DEP_1)
	v_fma_f64 v[164:165], -v[160:161], v[162:163], 1.0
	v_fma_f64 v[162:163], v[162:163], v[164:165], v[162:163]
	s_delay_alu instid0(VALU_DEP_1) | instskip(NEXT) | instid1(VALU_DEP_1)
	v_mul_f64 v[164:165], v[166:167], v[162:163]
	v_fma_f64 v[160:161], -v[160:161], v[164:165], v[166:167]
	s_delay_alu instid0(VALU_DEP_1) | instskip(NEXT) | instid1(VALU_DEP_1)
	v_div_fmas_f64 v[160:161], v[160:161], v[162:163], v[164:165]
	v_div_fixup_f64 v[160:161], v[160:161], v[158:159], v[156:157]
	s_delay_alu instid0(VALU_DEP_1) | instskip(NEXT) | instid1(VALU_DEP_1)
	v_fma_f64 v[156:157], v[156:157], v[160:161], v[158:159]
	v_div_scale_f64 v[158:159], null, v[156:157], v[156:157], 1.0
	s_delay_alu instid0(VALU_DEP_1) | instskip(SKIP_2) | instid1(VALU_DEP_1)
	v_rcp_f64_e32 v[162:163], v[158:159]
	s_waitcnt_depctr 0xfff
	v_fma_f64 v[164:165], -v[158:159], v[162:163], 1.0
	v_fma_f64 v[162:163], v[162:163], v[164:165], v[162:163]
	s_delay_alu instid0(VALU_DEP_1) | instskip(NEXT) | instid1(VALU_DEP_1)
	v_fma_f64 v[164:165], -v[158:159], v[162:163], 1.0
	v_fma_f64 v[162:163], v[162:163], v[164:165], v[162:163]
	v_div_scale_f64 v[164:165], vcc_lo, 1.0, v[156:157], 1.0
	s_delay_alu instid0(VALU_DEP_1) | instskip(NEXT) | instid1(VALU_DEP_1)
	v_mul_f64 v[166:167], v[164:165], v[162:163]
	v_fma_f64 v[158:159], -v[158:159], v[166:167], v[164:165]
	s_delay_alu instid0(VALU_DEP_1) | instskip(NEXT) | instid1(VALU_DEP_1)
	v_div_fmas_f64 v[158:159], v[158:159], v[162:163], v[166:167]
	v_div_fixup_f64 v[162:163], v[158:159], v[156:157], 1.0
                                        ; implicit-def: $vgpr156_vgpr157
	s_delay_alu instid0(VALU_DEP_1)
	v_mul_f64 v[164:165], v[160:161], v[162:163]
	v_xor_b32_e32 v163, 0x80000000, v163
.LBB75_248:
	s_and_not1_saveexec_b32 s3, s3
	s_cbranch_execz .LBB75_250
; %bb.249:
	v_div_scale_f64 v[160:161], null, v[156:157], v[156:157], v[158:159]
	v_div_scale_f64 v[166:167], vcc_lo, v[158:159], v[156:157], v[158:159]
	s_delay_alu instid0(VALU_DEP_2) | instskip(SKIP_2) | instid1(VALU_DEP_1)
	v_rcp_f64_e32 v[162:163], v[160:161]
	s_waitcnt_depctr 0xfff
	v_fma_f64 v[164:165], -v[160:161], v[162:163], 1.0
	v_fma_f64 v[162:163], v[162:163], v[164:165], v[162:163]
	s_delay_alu instid0(VALU_DEP_1) | instskip(NEXT) | instid1(VALU_DEP_1)
	v_fma_f64 v[164:165], -v[160:161], v[162:163], 1.0
	v_fma_f64 v[162:163], v[162:163], v[164:165], v[162:163]
	s_delay_alu instid0(VALU_DEP_1) | instskip(NEXT) | instid1(VALU_DEP_1)
	v_mul_f64 v[164:165], v[166:167], v[162:163]
	v_fma_f64 v[160:161], -v[160:161], v[164:165], v[166:167]
	s_delay_alu instid0(VALU_DEP_1) | instskip(NEXT) | instid1(VALU_DEP_1)
	v_div_fmas_f64 v[160:161], v[160:161], v[162:163], v[164:165]
	v_div_fixup_f64 v[160:161], v[160:161], v[156:157], v[158:159]
	s_delay_alu instid0(VALU_DEP_1) | instskip(NEXT) | instid1(VALU_DEP_1)
	v_fma_f64 v[156:157], v[158:159], v[160:161], v[156:157]
	v_div_scale_f64 v[158:159], null, v[156:157], v[156:157], 1.0
	s_delay_alu instid0(VALU_DEP_1) | instskip(SKIP_2) | instid1(VALU_DEP_1)
	v_rcp_f64_e32 v[162:163], v[158:159]
	s_waitcnt_depctr 0xfff
	v_fma_f64 v[164:165], -v[158:159], v[162:163], 1.0
	v_fma_f64 v[162:163], v[162:163], v[164:165], v[162:163]
	s_delay_alu instid0(VALU_DEP_1) | instskip(NEXT) | instid1(VALU_DEP_1)
	v_fma_f64 v[164:165], -v[158:159], v[162:163], 1.0
	v_fma_f64 v[162:163], v[162:163], v[164:165], v[162:163]
	v_div_scale_f64 v[164:165], vcc_lo, 1.0, v[156:157], 1.0
	s_delay_alu instid0(VALU_DEP_1) | instskip(NEXT) | instid1(VALU_DEP_1)
	v_mul_f64 v[166:167], v[164:165], v[162:163]
	v_fma_f64 v[158:159], -v[158:159], v[166:167], v[164:165]
	s_delay_alu instid0(VALU_DEP_1) | instskip(NEXT) | instid1(VALU_DEP_1)
	v_div_fmas_f64 v[158:159], v[158:159], v[162:163], v[166:167]
	v_div_fixup_f64 v[164:165], v[158:159], v[156:157], 1.0
	s_delay_alu instid0(VALU_DEP_1)
	v_mul_f64 v[162:163], v[160:161], -v[164:165]
.LBB75_250:
	s_or_b32 exec_lo, exec_lo, s3
	ds_store_2addr_b64 v203, v[164:165], v[162:163] offset1:1
.LBB75_251:
	s_or_b32 exec_lo, exec_lo, s4
	s_waitcnt lgkmcnt(0)
	s_barrier
	buffer_gl0_inv
	ds_load_2addr_b64 v[156:159], v203 offset1:1
	s_mov_b32 s3, exec_lo
	v_cmpx_lt_u32_e32 27, v202
	s_cbranch_execz .LBB75_253
; %bb.252:
	s_waitcnt lgkmcnt(0)
	v_mul_f64 v[160:161], v[156:157], v[42:43]
	v_mul_f64 v[42:43], v[158:159], v[42:43]
	s_delay_alu instid0(VALU_DEP_2) | instskip(SKIP_4) | instid1(VALU_DEP_1)
	v_fma_f64 v[164:165], v[158:159], v[40:41], v[160:161]
	ds_load_2addr_b64 v[160:163], v204 offset0:56 offset1:57
	v_fma_f64 v[40:41], v[156:157], v[40:41], -v[42:43]
	s_waitcnt lgkmcnt(0)
	v_mul_f64 v[42:43], v[162:163], v[164:165]
	v_fma_f64 v[42:43], v[160:161], v[40:41], -v[42:43]
	v_mul_f64 v[160:161], v[160:161], v[164:165]
	s_delay_alu instid0(VALU_DEP_2) | instskip(NEXT) | instid1(VALU_DEP_2)
	v_add_f64 v[36:37], v[36:37], -v[42:43]
	v_fma_f64 v[160:161], v[162:163], v[40:41], v[160:161]
	s_delay_alu instid0(VALU_DEP_1) | instskip(SKIP_3) | instid1(VALU_DEP_1)
	v_add_f64 v[38:39], v[38:39], -v[160:161]
	ds_load_2addr_b64 v[160:163], v204 offset0:58 offset1:59
	s_waitcnt lgkmcnt(0)
	v_mul_f64 v[42:43], v[162:163], v[164:165]
	v_fma_f64 v[42:43], v[160:161], v[40:41], -v[42:43]
	v_mul_f64 v[160:161], v[160:161], v[164:165]
	s_delay_alu instid0(VALU_DEP_2) | instskip(NEXT) | instid1(VALU_DEP_2)
	v_add_f64 v[32:33], v[32:33], -v[42:43]
	v_fma_f64 v[160:161], v[162:163], v[40:41], v[160:161]
	s_delay_alu instid0(VALU_DEP_1) | instskip(SKIP_3) | instid1(VALU_DEP_1)
	v_add_f64 v[34:35], v[34:35], -v[160:161]
	ds_load_2addr_b64 v[160:163], v204 offset0:60 offset1:61
	;; [unrolled: 10-line block ×9, first 2 shown]
	s_waitcnt lgkmcnt(0)
	v_mul_f64 v[42:43], v[162:163], v[164:165]
	v_fma_f64 v[42:43], v[160:161], v[40:41], -v[42:43]
	v_mul_f64 v[160:161], v[160:161], v[164:165]
	s_delay_alu instid0(VALU_DEP_2) | instskip(NEXT) | instid1(VALU_DEP_2)
	v_add_f64 v[0:1], v[0:1], -v[42:43]
	v_fma_f64 v[160:161], v[162:163], v[40:41], v[160:161]
	v_dual_mov_b32 v42, v164 :: v_dual_mov_b32 v43, v165
	s_delay_alu instid0(VALU_DEP_2)
	v_add_f64 v[2:3], v[2:3], -v[160:161]
.LBB75_253:
	s_or_b32 exec_lo, exec_lo, s3
	s_delay_alu instid0(SALU_CYCLE_1)
	s_mov_b32 s4, exec_lo
	s_waitcnt lgkmcnt(0)
	s_barrier
	buffer_gl0_inv
	v_cmpx_eq_u32_e32 28, v202
	s_cbranch_execz .LBB75_260
; %bb.254:
	ds_store_2addr_b64 v203, v[36:37], v[38:39] offset1:1
	ds_store_2addr_b64 v204, v[32:33], v[34:35] offset0:58 offset1:59
	ds_store_2addr_b64 v204, v[28:29], v[30:31] offset0:60 offset1:61
	;; [unrolled: 1-line block ×9, first 2 shown]
	ds_load_2addr_b64 v[160:163], v203 offset1:1
	s_waitcnt lgkmcnt(0)
	v_cmp_neq_f64_e32 vcc_lo, 0, v[160:161]
	v_cmp_neq_f64_e64 s3, 0, v[162:163]
	s_delay_alu instid0(VALU_DEP_1) | instskip(NEXT) | instid1(SALU_CYCLE_1)
	s_or_b32 s3, vcc_lo, s3
	s_and_b32 exec_lo, exec_lo, s3
	s_cbranch_execz .LBB75_260
; %bb.255:
	v_cmp_gt_f64_e32 vcc_lo, 0, v[160:161]
	v_xor_b32_e32 v164, 0x80000000, v161
	v_xor_b32_e32 v166, 0x80000000, v163
	s_mov_b32 s3, exec_lo
                                        ; implicit-def: $vgpr168_vgpr169
	s_delay_alu instid0(VALU_DEP_2) | instskip(SKIP_4) | instid1(VALU_DEP_1)
	v_cndmask_b32_e32 v165, v161, v164, vcc_lo
	v_cndmask_b32_e32 v164, v160, v160, vcc_lo
	v_cmp_gt_f64_e32 vcc_lo, 0, v[162:163]
	v_cndmask_b32_e32 v167, v163, v166, vcc_lo
	v_cndmask_b32_e32 v166, v162, v162, vcc_lo
	v_cmpx_ngt_f64_e32 v[164:165], v[166:167]
	s_xor_b32 s3, exec_lo, s3
                                        ; implicit-def: $vgpr164_vgpr165_vgpr166_vgpr167
	s_cbranch_execz .LBB75_257
; %bb.256:
	v_div_scale_f64 v[164:165], null, v[162:163], v[162:163], v[160:161]
	v_div_scale_f64 v[170:171], vcc_lo, v[160:161], v[162:163], v[160:161]
	s_delay_alu instid0(VALU_DEP_2) | instskip(SKIP_2) | instid1(VALU_DEP_1)
	v_rcp_f64_e32 v[166:167], v[164:165]
	s_waitcnt_depctr 0xfff
	v_fma_f64 v[168:169], -v[164:165], v[166:167], 1.0
	v_fma_f64 v[166:167], v[166:167], v[168:169], v[166:167]
	s_delay_alu instid0(VALU_DEP_1) | instskip(NEXT) | instid1(VALU_DEP_1)
	v_fma_f64 v[168:169], -v[164:165], v[166:167], 1.0
	v_fma_f64 v[166:167], v[166:167], v[168:169], v[166:167]
	s_delay_alu instid0(VALU_DEP_1) | instskip(NEXT) | instid1(VALU_DEP_1)
	v_mul_f64 v[168:169], v[170:171], v[166:167]
	v_fma_f64 v[164:165], -v[164:165], v[168:169], v[170:171]
	s_delay_alu instid0(VALU_DEP_1) | instskip(NEXT) | instid1(VALU_DEP_1)
	v_div_fmas_f64 v[164:165], v[164:165], v[166:167], v[168:169]
	v_div_fixup_f64 v[164:165], v[164:165], v[162:163], v[160:161]
	s_delay_alu instid0(VALU_DEP_1) | instskip(NEXT) | instid1(VALU_DEP_1)
	v_fma_f64 v[160:161], v[160:161], v[164:165], v[162:163]
	v_div_scale_f64 v[162:163], null, v[160:161], v[160:161], 1.0
	s_delay_alu instid0(VALU_DEP_1) | instskip(SKIP_2) | instid1(VALU_DEP_1)
	v_rcp_f64_e32 v[166:167], v[162:163]
	s_waitcnt_depctr 0xfff
	v_fma_f64 v[168:169], -v[162:163], v[166:167], 1.0
	v_fma_f64 v[166:167], v[166:167], v[168:169], v[166:167]
	s_delay_alu instid0(VALU_DEP_1) | instskip(NEXT) | instid1(VALU_DEP_1)
	v_fma_f64 v[168:169], -v[162:163], v[166:167], 1.0
	v_fma_f64 v[166:167], v[166:167], v[168:169], v[166:167]
	v_div_scale_f64 v[168:169], vcc_lo, 1.0, v[160:161], 1.0
	s_delay_alu instid0(VALU_DEP_1) | instskip(NEXT) | instid1(VALU_DEP_1)
	v_mul_f64 v[170:171], v[168:169], v[166:167]
	v_fma_f64 v[162:163], -v[162:163], v[170:171], v[168:169]
	s_delay_alu instid0(VALU_DEP_1) | instskip(NEXT) | instid1(VALU_DEP_1)
	v_div_fmas_f64 v[162:163], v[162:163], v[166:167], v[170:171]
	v_div_fixup_f64 v[166:167], v[162:163], v[160:161], 1.0
                                        ; implicit-def: $vgpr160_vgpr161
	s_delay_alu instid0(VALU_DEP_1)
	v_mul_f64 v[168:169], v[164:165], v[166:167]
	v_xor_b32_e32 v167, 0x80000000, v167
.LBB75_257:
	s_and_not1_saveexec_b32 s3, s3
	s_cbranch_execz .LBB75_259
; %bb.258:
	v_div_scale_f64 v[164:165], null, v[160:161], v[160:161], v[162:163]
	v_div_scale_f64 v[170:171], vcc_lo, v[162:163], v[160:161], v[162:163]
	s_delay_alu instid0(VALU_DEP_2) | instskip(SKIP_2) | instid1(VALU_DEP_1)
	v_rcp_f64_e32 v[166:167], v[164:165]
	s_waitcnt_depctr 0xfff
	v_fma_f64 v[168:169], -v[164:165], v[166:167], 1.0
	v_fma_f64 v[166:167], v[166:167], v[168:169], v[166:167]
	s_delay_alu instid0(VALU_DEP_1) | instskip(NEXT) | instid1(VALU_DEP_1)
	v_fma_f64 v[168:169], -v[164:165], v[166:167], 1.0
	v_fma_f64 v[166:167], v[166:167], v[168:169], v[166:167]
	s_delay_alu instid0(VALU_DEP_1) | instskip(NEXT) | instid1(VALU_DEP_1)
	v_mul_f64 v[168:169], v[170:171], v[166:167]
	v_fma_f64 v[164:165], -v[164:165], v[168:169], v[170:171]
	s_delay_alu instid0(VALU_DEP_1) | instskip(NEXT) | instid1(VALU_DEP_1)
	v_div_fmas_f64 v[164:165], v[164:165], v[166:167], v[168:169]
	v_div_fixup_f64 v[164:165], v[164:165], v[160:161], v[162:163]
	s_delay_alu instid0(VALU_DEP_1) | instskip(NEXT) | instid1(VALU_DEP_1)
	v_fma_f64 v[160:161], v[162:163], v[164:165], v[160:161]
	v_div_scale_f64 v[162:163], null, v[160:161], v[160:161], 1.0
	s_delay_alu instid0(VALU_DEP_1) | instskip(SKIP_2) | instid1(VALU_DEP_1)
	v_rcp_f64_e32 v[166:167], v[162:163]
	s_waitcnt_depctr 0xfff
	v_fma_f64 v[168:169], -v[162:163], v[166:167], 1.0
	v_fma_f64 v[166:167], v[166:167], v[168:169], v[166:167]
	s_delay_alu instid0(VALU_DEP_1) | instskip(NEXT) | instid1(VALU_DEP_1)
	v_fma_f64 v[168:169], -v[162:163], v[166:167], 1.0
	v_fma_f64 v[166:167], v[166:167], v[168:169], v[166:167]
	v_div_scale_f64 v[168:169], vcc_lo, 1.0, v[160:161], 1.0
	s_delay_alu instid0(VALU_DEP_1) | instskip(NEXT) | instid1(VALU_DEP_1)
	v_mul_f64 v[170:171], v[168:169], v[166:167]
	v_fma_f64 v[162:163], -v[162:163], v[170:171], v[168:169]
	s_delay_alu instid0(VALU_DEP_1) | instskip(NEXT) | instid1(VALU_DEP_1)
	v_div_fmas_f64 v[162:163], v[162:163], v[166:167], v[170:171]
	v_div_fixup_f64 v[168:169], v[162:163], v[160:161], 1.0
	s_delay_alu instid0(VALU_DEP_1)
	v_mul_f64 v[166:167], v[164:165], -v[168:169]
.LBB75_259:
	s_or_b32 exec_lo, exec_lo, s3
	ds_store_2addr_b64 v203, v[168:169], v[166:167] offset1:1
.LBB75_260:
	s_or_b32 exec_lo, exec_lo, s4
	s_waitcnt lgkmcnt(0)
	s_barrier
	buffer_gl0_inv
	ds_load_2addr_b64 v[160:163], v203 offset1:1
	s_mov_b32 s3, exec_lo
	v_cmpx_lt_u32_e32 28, v202
	s_cbranch_execz .LBB75_262
; %bb.261:
	s_waitcnt lgkmcnt(0)
	v_mul_f64 v[164:165], v[160:161], v[38:39]
	v_mul_f64 v[38:39], v[162:163], v[38:39]
	s_delay_alu instid0(VALU_DEP_2) | instskip(SKIP_4) | instid1(VALU_DEP_1)
	v_fma_f64 v[168:169], v[162:163], v[36:37], v[164:165]
	ds_load_2addr_b64 v[164:167], v204 offset0:58 offset1:59
	v_fma_f64 v[36:37], v[160:161], v[36:37], -v[38:39]
	s_waitcnt lgkmcnt(0)
	v_mul_f64 v[38:39], v[166:167], v[168:169]
	v_fma_f64 v[38:39], v[164:165], v[36:37], -v[38:39]
	v_mul_f64 v[164:165], v[164:165], v[168:169]
	s_delay_alu instid0(VALU_DEP_2) | instskip(NEXT) | instid1(VALU_DEP_2)
	v_add_f64 v[32:33], v[32:33], -v[38:39]
	v_fma_f64 v[164:165], v[166:167], v[36:37], v[164:165]
	s_delay_alu instid0(VALU_DEP_1) | instskip(SKIP_3) | instid1(VALU_DEP_1)
	v_add_f64 v[34:35], v[34:35], -v[164:165]
	ds_load_2addr_b64 v[164:167], v204 offset0:60 offset1:61
	s_waitcnt lgkmcnt(0)
	v_mul_f64 v[38:39], v[166:167], v[168:169]
	v_fma_f64 v[38:39], v[164:165], v[36:37], -v[38:39]
	v_mul_f64 v[164:165], v[164:165], v[168:169]
	s_delay_alu instid0(VALU_DEP_2) | instskip(NEXT) | instid1(VALU_DEP_2)
	v_add_f64 v[28:29], v[28:29], -v[38:39]
	v_fma_f64 v[164:165], v[166:167], v[36:37], v[164:165]
	s_delay_alu instid0(VALU_DEP_1) | instskip(SKIP_3) | instid1(VALU_DEP_1)
	v_add_f64 v[30:31], v[30:31], -v[164:165]
	ds_load_2addr_b64 v[164:167], v204 offset0:62 offset1:63
	;; [unrolled: 10-line block ×8, first 2 shown]
	s_waitcnt lgkmcnt(0)
	v_mul_f64 v[38:39], v[166:167], v[168:169]
	v_fma_f64 v[38:39], v[164:165], v[36:37], -v[38:39]
	v_mul_f64 v[164:165], v[164:165], v[168:169]
	s_delay_alu instid0(VALU_DEP_2) | instskip(NEXT) | instid1(VALU_DEP_2)
	v_add_f64 v[0:1], v[0:1], -v[38:39]
	v_fma_f64 v[164:165], v[166:167], v[36:37], v[164:165]
	v_dual_mov_b32 v38, v168 :: v_dual_mov_b32 v39, v169
	s_delay_alu instid0(VALU_DEP_2)
	v_add_f64 v[2:3], v[2:3], -v[164:165]
.LBB75_262:
	s_or_b32 exec_lo, exec_lo, s3
	s_delay_alu instid0(SALU_CYCLE_1)
	s_mov_b32 s4, exec_lo
	s_waitcnt lgkmcnt(0)
	s_barrier
	buffer_gl0_inv
	v_cmpx_eq_u32_e32 29, v202
	s_cbranch_execz .LBB75_269
; %bb.263:
	ds_store_2addr_b64 v203, v[32:33], v[34:35] offset1:1
	ds_store_2addr_b64 v204, v[28:29], v[30:31] offset0:60 offset1:61
	ds_store_2addr_b64 v204, v[24:25], v[26:27] offset0:62 offset1:63
	;; [unrolled: 1-line block ×8, first 2 shown]
	ds_load_2addr_b64 v[164:167], v203 offset1:1
	s_waitcnt lgkmcnt(0)
	v_cmp_neq_f64_e32 vcc_lo, 0, v[164:165]
	v_cmp_neq_f64_e64 s3, 0, v[166:167]
	s_delay_alu instid0(VALU_DEP_1) | instskip(NEXT) | instid1(SALU_CYCLE_1)
	s_or_b32 s3, vcc_lo, s3
	s_and_b32 exec_lo, exec_lo, s3
	s_cbranch_execz .LBB75_269
; %bb.264:
	v_cmp_gt_f64_e32 vcc_lo, 0, v[164:165]
	v_xor_b32_e32 v168, 0x80000000, v165
	v_xor_b32_e32 v170, 0x80000000, v167
	s_mov_b32 s3, exec_lo
                                        ; implicit-def: $vgpr172_vgpr173
	s_delay_alu instid0(VALU_DEP_2) | instskip(SKIP_4) | instid1(VALU_DEP_1)
	v_cndmask_b32_e32 v169, v165, v168, vcc_lo
	v_cndmask_b32_e32 v168, v164, v164, vcc_lo
	v_cmp_gt_f64_e32 vcc_lo, 0, v[166:167]
	v_cndmask_b32_e32 v171, v167, v170, vcc_lo
	v_cndmask_b32_e32 v170, v166, v166, vcc_lo
	v_cmpx_ngt_f64_e32 v[168:169], v[170:171]
	s_xor_b32 s3, exec_lo, s3
                                        ; implicit-def: $vgpr168_vgpr169_vgpr170_vgpr171
	s_cbranch_execz .LBB75_266
; %bb.265:
	v_div_scale_f64 v[168:169], null, v[166:167], v[166:167], v[164:165]
	v_div_scale_f64 v[174:175], vcc_lo, v[164:165], v[166:167], v[164:165]
	s_delay_alu instid0(VALU_DEP_2) | instskip(SKIP_2) | instid1(VALU_DEP_1)
	v_rcp_f64_e32 v[170:171], v[168:169]
	s_waitcnt_depctr 0xfff
	v_fma_f64 v[172:173], -v[168:169], v[170:171], 1.0
	v_fma_f64 v[170:171], v[170:171], v[172:173], v[170:171]
	s_delay_alu instid0(VALU_DEP_1) | instskip(NEXT) | instid1(VALU_DEP_1)
	v_fma_f64 v[172:173], -v[168:169], v[170:171], 1.0
	v_fma_f64 v[170:171], v[170:171], v[172:173], v[170:171]
	s_delay_alu instid0(VALU_DEP_1) | instskip(NEXT) | instid1(VALU_DEP_1)
	v_mul_f64 v[172:173], v[174:175], v[170:171]
	v_fma_f64 v[168:169], -v[168:169], v[172:173], v[174:175]
	s_delay_alu instid0(VALU_DEP_1) | instskip(NEXT) | instid1(VALU_DEP_1)
	v_div_fmas_f64 v[168:169], v[168:169], v[170:171], v[172:173]
	v_div_fixup_f64 v[168:169], v[168:169], v[166:167], v[164:165]
	s_delay_alu instid0(VALU_DEP_1) | instskip(NEXT) | instid1(VALU_DEP_1)
	v_fma_f64 v[164:165], v[164:165], v[168:169], v[166:167]
	v_div_scale_f64 v[166:167], null, v[164:165], v[164:165], 1.0
	s_delay_alu instid0(VALU_DEP_1) | instskip(SKIP_2) | instid1(VALU_DEP_1)
	v_rcp_f64_e32 v[170:171], v[166:167]
	s_waitcnt_depctr 0xfff
	v_fma_f64 v[172:173], -v[166:167], v[170:171], 1.0
	v_fma_f64 v[170:171], v[170:171], v[172:173], v[170:171]
	s_delay_alu instid0(VALU_DEP_1) | instskip(NEXT) | instid1(VALU_DEP_1)
	v_fma_f64 v[172:173], -v[166:167], v[170:171], 1.0
	v_fma_f64 v[170:171], v[170:171], v[172:173], v[170:171]
	v_div_scale_f64 v[172:173], vcc_lo, 1.0, v[164:165], 1.0
	s_delay_alu instid0(VALU_DEP_1) | instskip(NEXT) | instid1(VALU_DEP_1)
	v_mul_f64 v[174:175], v[172:173], v[170:171]
	v_fma_f64 v[166:167], -v[166:167], v[174:175], v[172:173]
	s_delay_alu instid0(VALU_DEP_1) | instskip(NEXT) | instid1(VALU_DEP_1)
	v_div_fmas_f64 v[166:167], v[166:167], v[170:171], v[174:175]
	v_div_fixup_f64 v[170:171], v[166:167], v[164:165], 1.0
                                        ; implicit-def: $vgpr164_vgpr165
	s_delay_alu instid0(VALU_DEP_1)
	v_mul_f64 v[172:173], v[168:169], v[170:171]
	v_xor_b32_e32 v171, 0x80000000, v171
.LBB75_266:
	s_and_not1_saveexec_b32 s3, s3
	s_cbranch_execz .LBB75_268
; %bb.267:
	v_div_scale_f64 v[168:169], null, v[164:165], v[164:165], v[166:167]
	v_div_scale_f64 v[174:175], vcc_lo, v[166:167], v[164:165], v[166:167]
	s_delay_alu instid0(VALU_DEP_2) | instskip(SKIP_2) | instid1(VALU_DEP_1)
	v_rcp_f64_e32 v[170:171], v[168:169]
	s_waitcnt_depctr 0xfff
	v_fma_f64 v[172:173], -v[168:169], v[170:171], 1.0
	v_fma_f64 v[170:171], v[170:171], v[172:173], v[170:171]
	s_delay_alu instid0(VALU_DEP_1) | instskip(NEXT) | instid1(VALU_DEP_1)
	v_fma_f64 v[172:173], -v[168:169], v[170:171], 1.0
	v_fma_f64 v[170:171], v[170:171], v[172:173], v[170:171]
	s_delay_alu instid0(VALU_DEP_1) | instskip(NEXT) | instid1(VALU_DEP_1)
	v_mul_f64 v[172:173], v[174:175], v[170:171]
	v_fma_f64 v[168:169], -v[168:169], v[172:173], v[174:175]
	s_delay_alu instid0(VALU_DEP_1) | instskip(NEXT) | instid1(VALU_DEP_1)
	v_div_fmas_f64 v[168:169], v[168:169], v[170:171], v[172:173]
	v_div_fixup_f64 v[168:169], v[168:169], v[164:165], v[166:167]
	s_delay_alu instid0(VALU_DEP_1) | instskip(NEXT) | instid1(VALU_DEP_1)
	v_fma_f64 v[164:165], v[166:167], v[168:169], v[164:165]
	v_div_scale_f64 v[166:167], null, v[164:165], v[164:165], 1.0
	s_delay_alu instid0(VALU_DEP_1) | instskip(SKIP_2) | instid1(VALU_DEP_1)
	v_rcp_f64_e32 v[170:171], v[166:167]
	s_waitcnt_depctr 0xfff
	v_fma_f64 v[172:173], -v[166:167], v[170:171], 1.0
	v_fma_f64 v[170:171], v[170:171], v[172:173], v[170:171]
	s_delay_alu instid0(VALU_DEP_1) | instskip(NEXT) | instid1(VALU_DEP_1)
	v_fma_f64 v[172:173], -v[166:167], v[170:171], 1.0
	v_fma_f64 v[170:171], v[170:171], v[172:173], v[170:171]
	v_div_scale_f64 v[172:173], vcc_lo, 1.0, v[164:165], 1.0
	s_delay_alu instid0(VALU_DEP_1) | instskip(NEXT) | instid1(VALU_DEP_1)
	v_mul_f64 v[174:175], v[172:173], v[170:171]
	v_fma_f64 v[166:167], -v[166:167], v[174:175], v[172:173]
	s_delay_alu instid0(VALU_DEP_1) | instskip(NEXT) | instid1(VALU_DEP_1)
	v_div_fmas_f64 v[166:167], v[166:167], v[170:171], v[174:175]
	v_div_fixup_f64 v[172:173], v[166:167], v[164:165], 1.0
	s_delay_alu instid0(VALU_DEP_1)
	v_mul_f64 v[170:171], v[168:169], -v[172:173]
.LBB75_268:
	s_or_b32 exec_lo, exec_lo, s3
	ds_store_2addr_b64 v203, v[172:173], v[170:171] offset1:1
.LBB75_269:
	s_or_b32 exec_lo, exec_lo, s4
	s_waitcnt lgkmcnt(0)
	s_barrier
	buffer_gl0_inv
	ds_load_2addr_b64 v[164:167], v203 offset1:1
	s_mov_b32 s3, exec_lo
	v_cmpx_lt_u32_e32 29, v202
	s_cbranch_execz .LBB75_271
; %bb.270:
	s_waitcnt lgkmcnt(0)
	v_mul_f64 v[168:169], v[164:165], v[34:35]
	v_mul_f64 v[34:35], v[166:167], v[34:35]
	s_delay_alu instid0(VALU_DEP_2) | instskip(SKIP_4) | instid1(VALU_DEP_1)
	v_fma_f64 v[172:173], v[166:167], v[32:33], v[168:169]
	ds_load_2addr_b64 v[168:171], v204 offset0:60 offset1:61
	v_fma_f64 v[32:33], v[164:165], v[32:33], -v[34:35]
	s_waitcnt lgkmcnt(0)
	v_mul_f64 v[34:35], v[170:171], v[172:173]
	v_fma_f64 v[34:35], v[168:169], v[32:33], -v[34:35]
	v_mul_f64 v[168:169], v[168:169], v[172:173]
	s_delay_alu instid0(VALU_DEP_2) | instskip(NEXT) | instid1(VALU_DEP_2)
	v_add_f64 v[28:29], v[28:29], -v[34:35]
	v_fma_f64 v[168:169], v[170:171], v[32:33], v[168:169]
	s_delay_alu instid0(VALU_DEP_1) | instskip(SKIP_3) | instid1(VALU_DEP_1)
	v_add_f64 v[30:31], v[30:31], -v[168:169]
	ds_load_2addr_b64 v[168:171], v204 offset0:62 offset1:63
	s_waitcnt lgkmcnt(0)
	v_mul_f64 v[34:35], v[170:171], v[172:173]
	v_fma_f64 v[34:35], v[168:169], v[32:33], -v[34:35]
	v_mul_f64 v[168:169], v[168:169], v[172:173]
	s_delay_alu instid0(VALU_DEP_2) | instskip(NEXT) | instid1(VALU_DEP_2)
	v_add_f64 v[24:25], v[24:25], -v[34:35]
	v_fma_f64 v[168:169], v[170:171], v[32:33], v[168:169]
	s_delay_alu instid0(VALU_DEP_1) | instskip(SKIP_3) | instid1(VALU_DEP_1)
	v_add_f64 v[26:27], v[26:27], -v[168:169]
	ds_load_2addr_b64 v[168:171], v204 offset0:64 offset1:65
	s_waitcnt lgkmcnt(0)
	v_mul_f64 v[34:35], v[170:171], v[172:173]
	v_fma_f64 v[34:35], v[168:169], v[32:33], -v[34:35]
	v_mul_f64 v[168:169], v[168:169], v[172:173]
	s_delay_alu instid0(VALU_DEP_2) | instskip(NEXT) | instid1(VALU_DEP_2)
	v_add_f64 v[20:21], v[20:21], -v[34:35]
	v_fma_f64 v[168:169], v[170:171], v[32:33], v[168:169]
	s_delay_alu instid0(VALU_DEP_1) | instskip(SKIP_3) | instid1(VALU_DEP_1)
	v_add_f64 v[22:23], v[22:23], -v[168:169]
	ds_load_2addr_b64 v[168:171], v204 offset0:66 offset1:67
	s_waitcnt lgkmcnt(0)
	v_mul_f64 v[34:35], v[170:171], v[172:173]
	v_fma_f64 v[34:35], v[168:169], v[32:33], -v[34:35]
	v_mul_f64 v[168:169], v[168:169], v[172:173]
	s_delay_alu instid0(VALU_DEP_2) | instskip(NEXT) | instid1(VALU_DEP_2)
	v_add_f64 v[16:17], v[16:17], -v[34:35]
	v_fma_f64 v[168:169], v[170:171], v[32:33], v[168:169]
	s_delay_alu instid0(VALU_DEP_1) | instskip(SKIP_3) | instid1(VALU_DEP_1)
	v_add_f64 v[18:19], v[18:19], -v[168:169]
	ds_load_2addr_b64 v[168:171], v204 offset0:68 offset1:69
	s_waitcnt lgkmcnt(0)
	v_mul_f64 v[34:35], v[170:171], v[172:173]
	v_fma_f64 v[34:35], v[168:169], v[32:33], -v[34:35]
	v_mul_f64 v[168:169], v[168:169], v[172:173]
	s_delay_alu instid0(VALU_DEP_2) | instskip(NEXT) | instid1(VALU_DEP_2)
	v_add_f64 v[12:13], v[12:13], -v[34:35]
	v_fma_f64 v[168:169], v[170:171], v[32:33], v[168:169]
	s_delay_alu instid0(VALU_DEP_1) | instskip(SKIP_3) | instid1(VALU_DEP_1)
	v_add_f64 v[14:15], v[14:15], -v[168:169]
	ds_load_2addr_b64 v[168:171], v204 offset0:70 offset1:71
	s_waitcnt lgkmcnt(0)
	v_mul_f64 v[34:35], v[170:171], v[172:173]
	v_fma_f64 v[34:35], v[168:169], v[32:33], -v[34:35]
	v_mul_f64 v[168:169], v[168:169], v[172:173]
	s_delay_alu instid0(VALU_DEP_2) | instskip(NEXT) | instid1(VALU_DEP_2)
	v_add_f64 v[8:9], v[8:9], -v[34:35]
	v_fma_f64 v[168:169], v[170:171], v[32:33], v[168:169]
	s_delay_alu instid0(VALU_DEP_1) | instskip(SKIP_3) | instid1(VALU_DEP_1)
	v_add_f64 v[10:11], v[10:11], -v[168:169]
	ds_load_2addr_b64 v[168:171], v204 offset0:72 offset1:73
	s_waitcnt lgkmcnt(0)
	v_mul_f64 v[34:35], v[170:171], v[172:173]
	v_fma_f64 v[34:35], v[168:169], v[32:33], -v[34:35]
	v_mul_f64 v[168:169], v[168:169], v[172:173]
	s_delay_alu instid0(VALU_DEP_2) | instskip(NEXT) | instid1(VALU_DEP_2)
	v_add_f64 v[4:5], v[4:5], -v[34:35]
	v_fma_f64 v[168:169], v[170:171], v[32:33], v[168:169]
	s_delay_alu instid0(VALU_DEP_1) | instskip(SKIP_3) | instid1(VALU_DEP_1)
	v_add_f64 v[6:7], v[6:7], -v[168:169]
	ds_load_2addr_b64 v[168:171], v204 offset0:74 offset1:75
	s_waitcnt lgkmcnt(0)
	v_mul_f64 v[34:35], v[170:171], v[172:173]
	v_fma_f64 v[34:35], v[168:169], v[32:33], -v[34:35]
	v_mul_f64 v[168:169], v[168:169], v[172:173]
	s_delay_alu instid0(VALU_DEP_2) | instskip(NEXT) | instid1(VALU_DEP_2)
	v_add_f64 v[0:1], v[0:1], -v[34:35]
	v_fma_f64 v[168:169], v[170:171], v[32:33], v[168:169]
	v_dual_mov_b32 v34, v172 :: v_dual_mov_b32 v35, v173
	s_delay_alu instid0(VALU_DEP_2)
	v_add_f64 v[2:3], v[2:3], -v[168:169]
.LBB75_271:
	s_or_b32 exec_lo, exec_lo, s3
	s_delay_alu instid0(SALU_CYCLE_1)
	s_mov_b32 s4, exec_lo
	s_waitcnt lgkmcnt(0)
	s_barrier
	buffer_gl0_inv
	v_cmpx_eq_u32_e32 30, v202
	s_cbranch_execz .LBB75_278
; %bb.272:
	ds_store_2addr_b64 v203, v[28:29], v[30:31] offset1:1
	ds_store_2addr_b64 v204, v[24:25], v[26:27] offset0:62 offset1:63
	ds_store_2addr_b64 v204, v[20:21], v[22:23] offset0:64 offset1:65
	;; [unrolled: 1-line block ×7, first 2 shown]
	ds_load_2addr_b64 v[168:171], v203 offset1:1
	s_waitcnt lgkmcnt(0)
	v_cmp_neq_f64_e32 vcc_lo, 0, v[168:169]
	v_cmp_neq_f64_e64 s3, 0, v[170:171]
	s_delay_alu instid0(VALU_DEP_1) | instskip(NEXT) | instid1(SALU_CYCLE_1)
	s_or_b32 s3, vcc_lo, s3
	s_and_b32 exec_lo, exec_lo, s3
	s_cbranch_execz .LBB75_278
; %bb.273:
	v_cmp_gt_f64_e32 vcc_lo, 0, v[168:169]
	v_xor_b32_e32 v172, 0x80000000, v169
	v_xor_b32_e32 v174, 0x80000000, v171
	s_mov_b32 s3, exec_lo
                                        ; implicit-def: $vgpr176_vgpr177
	s_delay_alu instid0(VALU_DEP_2) | instskip(SKIP_4) | instid1(VALU_DEP_1)
	v_cndmask_b32_e32 v173, v169, v172, vcc_lo
	v_cndmask_b32_e32 v172, v168, v168, vcc_lo
	v_cmp_gt_f64_e32 vcc_lo, 0, v[170:171]
	v_cndmask_b32_e32 v175, v171, v174, vcc_lo
	v_cndmask_b32_e32 v174, v170, v170, vcc_lo
	v_cmpx_ngt_f64_e32 v[172:173], v[174:175]
	s_xor_b32 s3, exec_lo, s3
                                        ; implicit-def: $vgpr172_vgpr173_vgpr174_vgpr175
	s_cbranch_execz .LBB75_275
; %bb.274:
	v_div_scale_f64 v[172:173], null, v[170:171], v[170:171], v[168:169]
	v_div_scale_f64 v[178:179], vcc_lo, v[168:169], v[170:171], v[168:169]
	s_delay_alu instid0(VALU_DEP_2) | instskip(SKIP_2) | instid1(VALU_DEP_1)
	v_rcp_f64_e32 v[174:175], v[172:173]
	s_waitcnt_depctr 0xfff
	v_fma_f64 v[176:177], -v[172:173], v[174:175], 1.0
	v_fma_f64 v[174:175], v[174:175], v[176:177], v[174:175]
	s_delay_alu instid0(VALU_DEP_1) | instskip(NEXT) | instid1(VALU_DEP_1)
	v_fma_f64 v[176:177], -v[172:173], v[174:175], 1.0
	v_fma_f64 v[174:175], v[174:175], v[176:177], v[174:175]
	s_delay_alu instid0(VALU_DEP_1) | instskip(NEXT) | instid1(VALU_DEP_1)
	v_mul_f64 v[176:177], v[178:179], v[174:175]
	v_fma_f64 v[172:173], -v[172:173], v[176:177], v[178:179]
	s_delay_alu instid0(VALU_DEP_1) | instskip(NEXT) | instid1(VALU_DEP_1)
	v_div_fmas_f64 v[172:173], v[172:173], v[174:175], v[176:177]
	v_div_fixup_f64 v[172:173], v[172:173], v[170:171], v[168:169]
	s_delay_alu instid0(VALU_DEP_1) | instskip(NEXT) | instid1(VALU_DEP_1)
	v_fma_f64 v[168:169], v[168:169], v[172:173], v[170:171]
	v_div_scale_f64 v[170:171], null, v[168:169], v[168:169], 1.0
	s_delay_alu instid0(VALU_DEP_1) | instskip(SKIP_2) | instid1(VALU_DEP_1)
	v_rcp_f64_e32 v[174:175], v[170:171]
	s_waitcnt_depctr 0xfff
	v_fma_f64 v[176:177], -v[170:171], v[174:175], 1.0
	v_fma_f64 v[174:175], v[174:175], v[176:177], v[174:175]
	s_delay_alu instid0(VALU_DEP_1) | instskip(NEXT) | instid1(VALU_DEP_1)
	v_fma_f64 v[176:177], -v[170:171], v[174:175], 1.0
	v_fma_f64 v[174:175], v[174:175], v[176:177], v[174:175]
	v_div_scale_f64 v[176:177], vcc_lo, 1.0, v[168:169], 1.0
	s_delay_alu instid0(VALU_DEP_1) | instskip(NEXT) | instid1(VALU_DEP_1)
	v_mul_f64 v[178:179], v[176:177], v[174:175]
	v_fma_f64 v[170:171], -v[170:171], v[178:179], v[176:177]
	s_delay_alu instid0(VALU_DEP_1) | instskip(NEXT) | instid1(VALU_DEP_1)
	v_div_fmas_f64 v[170:171], v[170:171], v[174:175], v[178:179]
	v_div_fixup_f64 v[174:175], v[170:171], v[168:169], 1.0
                                        ; implicit-def: $vgpr168_vgpr169
	s_delay_alu instid0(VALU_DEP_1)
	v_mul_f64 v[176:177], v[172:173], v[174:175]
	v_xor_b32_e32 v175, 0x80000000, v175
.LBB75_275:
	s_and_not1_saveexec_b32 s3, s3
	s_cbranch_execz .LBB75_277
; %bb.276:
	v_div_scale_f64 v[172:173], null, v[168:169], v[168:169], v[170:171]
	v_div_scale_f64 v[178:179], vcc_lo, v[170:171], v[168:169], v[170:171]
	s_delay_alu instid0(VALU_DEP_2) | instskip(SKIP_2) | instid1(VALU_DEP_1)
	v_rcp_f64_e32 v[174:175], v[172:173]
	s_waitcnt_depctr 0xfff
	v_fma_f64 v[176:177], -v[172:173], v[174:175], 1.0
	v_fma_f64 v[174:175], v[174:175], v[176:177], v[174:175]
	s_delay_alu instid0(VALU_DEP_1) | instskip(NEXT) | instid1(VALU_DEP_1)
	v_fma_f64 v[176:177], -v[172:173], v[174:175], 1.0
	v_fma_f64 v[174:175], v[174:175], v[176:177], v[174:175]
	s_delay_alu instid0(VALU_DEP_1) | instskip(NEXT) | instid1(VALU_DEP_1)
	v_mul_f64 v[176:177], v[178:179], v[174:175]
	v_fma_f64 v[172:173], -v[172:173], v[176:177], v[178:179]
	s_delay_alu instid0(VALU_DEP_1) | instskip(NEXT) | instid1(VALU_DEP_1)
	v_div_fmas_f64 v[172:173], v[172:173], v[174:175], v[176:177]
	v_div_fixup_f64 v[172:173], v[172:173], v[168:169], v[170:171]
	s_delay_alu instid0(VALU_DEP_1) | instskip(NEXT) | instid1(VALU_DEP_1)
	v_fma_f64 v[168:169], v[170:171], v[172:173], v[168:169]
	v_div_scale_f64 v[170:171], null, v[168:169], v[168:169], 1.0
	s_delay_alu instid0(VALU_DEP_1) | instskip(SKIP_2) | instid1(VALU_DEP_1)
	v_rcp_f64_e32 v[174:175], v[170:171]
	s_waitcnt_depctr 0xfff
	v_fma_f64 v[176:177], -v[170:171], v[174:175], 1.0
	v_fma_f64 v[174:175], v[174:175], v[176:177], v[174:175]
	s_delay_alu instid0(VALU_DEP_1) | instskip(NEXT) | instid1(VALU_DEP_1)
	v_fma_f64 v[176:177], -v[170:171], v[174:175], 1.0
	v_fma_f64 v[174:175], v[174:175], v[176:177], v[174:175]
	v_div_scale_f64 v[176:177], vcc_lo, 1.0, v[168:169], 1.0
	s_delay_alu instid0(VALU_DEP_1) | instskip(NEXT) | instid1(VALU_DEP_1)
	v_mul_f64 v[178:179], v[176:177], v[174:175]
	v_fma_f64 v[170:171], -v[170:171], v[178:179], v[176:177]
	s_delay_alu instid0(VALU_DEP_1) | instskip(NEXT) | instid1(VALU_DEP_1)
	v_div_fmas_f64 v[170:171], v[170:171], v[174:175], v[178:179]
	v_div_fixup_f64 v[176:177], v[170:171], v[168:169], 1.0
	s_delay_alu instid0(VALU_DEP_1)
	v_mul_f64 v[174:175], v[172:173], -v[176:177]
.LBB75_277:
	s_or_b32 exec_lo, exec_lo, s3
	ds_store_2addr_b64 v203, v[176:177], v[174:175] offset1:1
.LBB75_278:
	s_or_b32 exec_lo, exec_lo, s4
	s_waitcnt lgkmcnt(0)
	s_barrier
	buffer_gl0_inv
	ds_load_2addr_b64 v[168:171], v203 offset1:1
	s_mov_b32 s3, exec_lo
	v_cmpx_lt_u32_e32 30, v202
	s_cbranch_execz .LBB75_280
; %bb.279:
	s_waitcnt lgkmcnt(0)
	v_mul_f64 v[172:173], v[168:169], v[30:31]
	v_mul_f64 v[30:31], v[170:171], v[30:31]
	s_delay_alu instid0(VALU_DEP_2) | instskip(SKIP_4) | instid1(VALU_DEP_1)
	v_fma_f64 v[176:177], v[170:171], v[28:29], v[172:173]
	ds_load_2addr_b64 v[172:175], v204 offset0:62 offset1:63
	v_fma_f64 v[28:29], v[168:169], v[28:29], -v[30:31]
	s_waitcnt lgkmcnt(0)
	v_mul_f64 v[30:31], v[174:175], v[176:177]
	v_fma_f64 v[30:31], v[172:173], v[28:29], -v[30:31]
	v_mul_f64 v[172:173], v[172:173], v[176:177]
	s_delay_alu instid0(VALU_DEP_2) | instskip(NEXT) | instid1(VALU_DEP_2)
	v_add_f64 v[24:25], v[24:25], -v[30:31]
	v_fma_f64 v[172:173], v[174:175], v[28:29], v[172:173]
	s_delay_alu instid0(VALU_DEP_1) | instskip(SKIP_3) | instid1(VALU_DEP_1)
	v_add_f64 v[26:27], v[26:27], -v[172:173]
	ds_load_2addr_b64 v[172:175], v204 offset0:64 offset1:65
	s_waitcnt lgkmcnt(0)
	v_mul_f64 v[30:31], v[174:175], v[176:177]
	v_fma_f64 v[30:31], v[172:173], v[28:29], -v[30:31]
	v_mul_f64 v[172:173], v[172:173], v[176:177]
	s_delay_alu instid0(VALU_DEP_2) | instskip(NEXT) | instid1(VALU_DEP_2)
	v_add_f64 v[20:21], v[20:21], -v[30:31]
	v_fma_f64 v[172:173], v[174:175], v[28:29], v[172:173]
	s_delay_alu instid0(VALU_DEP_1) | instskip(SKIP_3) | instid1(VALU_DEP_1)
	v_add_f64 v[22:23], v[22:23], -v[172:173]
	ds_load_2addr_b64 v[172:175], v204 offset0:66 offset1:67
	;; [unrolled: 10-line block ×6, first 2 shown]
	s_waitcnt lgkmcnt(0)
	v_mul_f64 v[30:31], v[174:175], v[176:177]
	v_fma_f64 v[30:31], v[172:173], v[28:29], -v[30:31]
	v_mul_f64 v[172:173], v[172:173], v[176:177]
	s_delay_alu instid0(VALU_DEP_2) | instskip(NEXT) | instid1(VALU_DEP_2)
	v_add_f64 v[0:1], v[0:1], -v[30:31]
	v_fma_f64 v[172:173], v[174:175], v[28:29], v[172:173]
	v_dual_mov_b32 v30, v176 :: v_dual_mov_b32 v31, v177
	s_delay_alu instid0(VALU_DEP_2)
	v_add_f64 v[2:3], v[2:3], -v[172:173]
.LBB75_280:
	s_or_b32 exec_lo, exec_lo, s3
	s_delay_alu instid0(SALU_CYCLE_1)
	s_mov_b32 s4, exec_lo
	s_waitcnt lgkmcnt(0)
	s_barrier
	buffer_gl0_inv
	v_cmpx_eq_u32_e32 31, v202
	s_cbranch_execz .LBB75_287
; %bb.281:
	ds_store_2addr_b64 v203, v[24:25], v[26:27] offset1:1
	ds_store_2addr_b64 v204, v[20:21], v[22:23] offset0:64 offset1:65
	ds_store_2addr_b64 v204, v[16:17], v[18:19] offset0:66 offset1:67
	;; [unrolled: 1-line block ×6, first 2 shown]
	ds_load_2addr_b64 v[172:175], v203 offset1:1
	s_waitcnt lgkmcnt(0)
	v_cmp_neq_f64_e32 vcc_lo, 0, v[172:173]
	v_cmp_neq_f64_e64 s3, 0, v[174:175]
	s_delay_alu instid0(VALU_DEP_1) | instskip(NEXT) | instid1(SALU_CYCLE_1)
	s_or_b32 s3, vcc_lo, s3
	s_and_b32 exec_lo, exec_lo, s3
	s_cbranch_execz .LBB75_287
; %bb.282:
	v_cmp_gt_f64_e32 vcc_lo, 0, v[172:173]
	v_xor_b32_e32 v176, 0x80000000, v173
	v_xor_b32_e32 v178, 0x80000000, v175
	s_mov_b32 s3, exec_lo
                                        ; implicit-def: $vgpr180_vgpr181
	s_delay_alu instid0(VALU_DEP_2) | instskip(SKIP_4) | instid1(VALU_DEP_1)
	v_cndmask_b32_e32 v177, v173, v176, vcc_lo
	v_cndmask_b32_e32 v176, v172, v172, vcc_lo
	v_cmp_gt_f64_e32 vcc_lo, 0, v[174:175]
	v_cndmask_b32_e32 v179, v175, v178, vcc_lo
	v_cndmask_b32_e32 v178, v174, v174, vcc_lo
	v_cmpx_ngt_f64_e32 v[176:177], v[178:179]
	s_xor_b32 s3, exec_lo, s3
                                        ; implicit-def: $vgpr176_vgpr177_vgpr178_vgpr179
	s_cbranch_execz .LBB75_284
; %bb.283:
	v_div_scale_f64 v[176:177], null, v[174:175], v[174:175], v[172:173]
	v_div_scale_f64 v[182:183], vcc_lo, v[172:173], v[174:175], v[172:173]
	s_delay_alu instid0(VALU_DEP_2) | instskip(SKIP_2) | instid1(VALU_DEP_1)
	v_rcp_f64_e32 v[178:179], v[176:177]
	s_waitcnt_depctr 0xfff
	v_fma_f64 v[180:181], -v[176:177], v[178:179], 1.0
	v_fma_f64 v[178:179], v[178:179], v[180:181], v[178:179]
	s_delay_alu instid0(VALU_DEP_1) | instskip(NEXT) | instid1(VALU_DEP_1)
	v_fma_f64 v[180:181], -v[176:177], v[178:179], 1.0
	v_fma_f64 v[178:179], v[178:179], v[180:181], v[178:179]
	s_delay_alu instid0(VALU_DEP_1) | instskip(NEXT) | instid1(VALU_DEP_1)
	v_mul_f64 v[180:181], v[182:183], v[178:179]
	v_fma_f64 v[176:177], -v[176:177], v[180:181], v[182:183]
	s_delay_alu instid0(VALU_DEP_1) | instskip(NEXT) | instid1(VALU_DEP_1)
	v_div_fmas_f64 v[176:177], v[176:177], v[178:179], v[180:181]
	v_div_fixup_f64 v[176:177], v[176:177], v[174:175], v[172:173]
	s_delay_alu instid0(VALU_DEP_1) | instskip(NEXT) | instid1(VALU_DEP_1)
	v_fma_f64 v[172:173], v[172:173], v[176:177], v[174:175]
	v_div_scale_f64 v[174:175], null, v[172:173], v[172:173], 1.0
	s_delay_alu instid0(VALU_DEP_1) | instskip(SKIP_2) | instid1(VALU_DEP_1)
	v_rcp_f64_e32 v[178:179], v[174:175]
	s_waitcnt_depctr 0xfff
	v_fma_f64 v[180:181], -v[174:175], v[178:179], 1.0
	v_fma_f64 v[178:179], v[178:179], v[180:181], v[178:179]
	s_delay_alu instid0(VALU_DEP_1) | instskip(NEXT) | instid1(VALU_DEP_1)
	v_fma_f64 v[180:181], -v[174:175], v[178:179], 1.0
	v_fma_f64 v[178:179], v[178:179], v[180:181], v[178:179]
	v_div_scale_f64 v[180:181], vcc_lo, 1.0, v[172:173], 1.0
	s_delay_alu instid0(VALU_DEP_1) | instskip(NEXT) | instid1(VALU_DEP_1)
	v_mul_f64 v[182:183], v[180:181], v[178:179]
	v_fma_f64 v[174:175], -v[174:175], v[182:183], v[180:181]
	s_delay_alu instid0(VALU_DEP_1) | instskip(NEXT) | instid1(VALU_DEP_1)
	v_div_fmas_f64 v[174:175], v[174:175], v[178:179], v[182:183]
	v_div_fixup_f64 v[178:179], v[174:175], v[172:173], 1.0
                                        ; implicit-def: $vgpr172_vgpr173
	s_delay_alu instid0(VALU_DEP_1)
	v_mul_f64 v[180:181], v[176:177], v[178:179]
	v_xor_b32_e32 v179, 0x80000000, v179
.LBB75_284:
	s_and_not1_saveexec_b32 s3, s3
	s_cbranch_execz .LBB75_286
; %bb.285:
	v_div_scale_f64 v[176:177], null, v[172:173], v[172:173], v[174:175]
	v_div_scale_f64 v[182:183], vcc_lo, v[174:175], v[172:173], v[174:175]
	s_delay_alu instid0(VALU_DEP_2) | instskip(SKIP_2) | instid1(VALU_DEP_1)
	v_rcp_f64_e32 v[178:179], v[176:177]
	s_waitcnt_depctr 0xfff
	v_fma_f64 v[180:181], -v[176:177], v[178:179], 1.0
	v_fma_f64 v[178:179], v[178:179], v[180:181], v[178:179]
	s_delay_alu instid0(VALU_DEP_1) | instskip(NEXT) | instid1(VALU_DEP_1)
	v_fma_f64 v[180:181], -v[176:177], v[178:179], 1.0
	v_fma_f64 v[178:179], v[178:179], v[180:181], v[178:179]
	s_delay_alu instid0(VALU_DEP_1) | instskip(NEXT) | instid1(VALU_DEP_1)
	v_mul_f64 v[180:181], v[182:183], v[178:179]
	v_fma_f64 v[176:177], -v[176:177], v[180:181], v[182:183]
	s_delay_alu instid0(VALU_DEP_1) | instskip(NEXT) | instid1(VALU_DEP_1)
	v_div_fmas_f64 v[176:177], v[176:177], v[178:179], v[180:181]
	v_div_fixup_f64 v[176:177], v[176:177], v[172:173], v[174:175]
	s_delay_alu instid0(VALU_DEP_1) | instskip(NEXT) | instid1(VALU_DEP_1)
	v_fma_f64 v[172:173], v[174:175], v[176:177], v[172:173]
	v_div_scale_f64 v[174:175], null, v[172:173], v[172:173], 1.0
	s_delay_alu instid0(VALU_DEP_1) | instskip(SKIP_2) | instid1(VALU_DEP_1)
	v_rcp_f64_e32 v[178:179], v[174:175]
	s_waitcnt_depctr 0xfff
	v_fma_f64 v[180:181], -v[174:175], v[178:179], 1.0
	v_fma_f64 v[178:179], v[178:179], v[180:181], v[178:179]
	s_delay_alu instid0(VALU_DEP_1) | instskip(NEXT) | instid1(VALU_DEP_1)
	v_fma_f64 v[180:181], -v[174:175], v[178:179], 1.0
	v_fma_f64 v[178:179], v[178:179], v[180:181], v[178:179]
	v_div_scale_f64 v[180:181], vcc_lo, 1.0, v[172:173], 1.0
	s_delay_alu instid0(VALU_DEP_1) | instskip(NEXT) | instid1(VALU_DEP_1)
	v_mul_f64 v[182:183], v[180:181], v[178:179]
	v_fma_f64 v[174:175], -v[174:175], v[182:183], v[180:181]
	s_delay_alu instid0(VALU_DEP_1) | instskip(NEXT) | instid1(VALU_DEP_1)
	v_div_fmas_f64 v[174:175], v[174:175], v[178:179], v[182:183]
	v_div_fixup_f64 v[180:181], v[174:175], v[172:173], 1.0
	s_delay_alu instid0(VALU_DEP_1)
	v_mul_f64 v[178:179], v[176:177], -v[180:181]
.LBB75_286:
	s_or_b32 exec_lo, exec_lo, s3
	ds_store_2addr_b64 v203, v[180:181], v[178:179] offset1:1
.LBB75_287:
	s_or_b32 exec_lo, exec_lo, s4
	s_waitcnt lgkmcnt(0)
	s_barrier
	buffer_gl0_inv
	ds_load_2addr_b64 v[172:175], v203 offset1:1
	s_mov_b32 s3, exec_lo
	v_cmpx_lt_u32_e32 31, v202
	s_cbranch_execz .LBB75_289
; %bb.288:
	s_waitcnt lgkmcnt(0)
	v_mul_f64 v[176:177], v[172:173], v[26:27]
	v_mul_f64 v[26:27], v[174:175], v[26:27]
	s_delay_alu instid0(VALU_DEP_2) | instskip(SKIP_4) | instid1(VALU_DEP_1)
	v_fma_f64 v[180:181], v[174:175], v[24:25], v[176:177]
	ds_load_2addr_b64 v[176:179], v204 offset0:64 offset1:65
	v_fma_f64 v[24:25], v[172:173], v[24:25], -v[26:27]
	s_waitcnt lgkmcnt(0)
	v_mul_f64 v[26:27], v[178:179], v[180:181]
	v_fma_f64 v[26:27], v[176:177], v[24:25], -v[26:27]
	v_mul_f64 v[176:177], v[176:177], v[180:181]
	s_delay_alu instid0(VALU_DEP_2) | instskip(NEXT) | instid1(VALU_DEP_2)
	v_add_f64 v[20:21], v[20:21], -v[26:27]
	v_fma_f64 v[176:177], v[178:179], v[24:25], v[176:177]
	s_delay_alu instid0(VALU_DEP_1) | instskip(SKIP_3) | instid1(VALU_DEP_1)
	v_add_f64 v[22:23], v[22:23], -v[176:177]
	ds_load_2addr_b64 v[176:179], v204 offset0:66 offset1:67
	s_waitcnt lgkmcnt(0)
	v_mul_f64 v[26:27], v[178:179], v[180:181]
	v_fma_f64 v[26:27], v[176:177], v[24:25], -v[26:27]
	v_mul_f64 v[176:177], v[176:177], v[180:181]
	s_delay_alu instid0(VALU_DEP_2) | instskip(NEXT) | instid1(VALU_DEP_2)
	v_add_f64 v[16:17], v[16:17], -v[26:27]
	v_fma_f64 v[176:177], v[178:179], v[24:25], v[176:177]
	s_delay_alu instid0(VALU_DEP_1) | instskip(SKIP_3) | instid1(VALU_DEP_1)
	v_add_f64 v[18:19], v[18:19], -v[176:177]
	ds_load_2addr_b64 v[176:179], v204 offset0:68 offset1:69
	;; [unrolled: 10-line block ×5, first 2 shown]
	s_waitcnt lgkmcnt(0)
	v_mul_f64 v[26:27], v[178:179], v[180:181]
	v_fma_f64 v[26:27], v[176:177], v[24:25], -v[26:27]
	v_mul_f64 v[176:177], v[176:177], v[180:181]
	s_delay_alu instid0(VALU_DEP_2) | instskip(NEXT) | instid1(VALU_DEP_2)
	v_add_f64 v[0:1], v[0:1], -v[26:27]
	v_fma_f64 v[176:177], v[178:179], v[24:25], v[176:177]
	v_dual_mov_b32 v26, v180 :: v_dual_mov_b32 v27, v181
	s_delay_alu instid0(VALU_DEP_2)
	v_add_f64 v[2:3], v[2:3], -v[176:177]
.LBB75_289:
	s_or_b32 exec_lo, exec_lo, s3
	s_delay_alu instid0(SALU_CYCLE_1)
	s_mov_b32 s4, exec_lo
	s_waitcnt lgkmcnt(0)
	s_barrier
	buffer_gl0_inv
	v_cmpx_eq_u32_e32 32, v202
	s_cbranch_execz .LBB75_296
; %bb.290:
	ds_store_2addr_b64 v203, v[20:21], v[22:23] offset1:1
	ds_store_2addr_b64 v204, v[16:17], v[18:19] offset0:66 offset1:67
	ds_store_2addr_b64 v204, v[12:13], v[14:15] offset0:68 offset1:69
	;; [unrolled: 1-line block ×5, first 2 shown]
	ds_load_2addr_b64 v[176:179], v203 offset1:1
	s_waitcnt lgkmcnt(0)
	v_cmp_neq_f64_e32 vcc_lo, 0, v[176:177]
	v_cmp_neq_f64_e64 s3, 0, v[178:179]
	s_delay_alu instid0(VALU_DEP_1) | instskip(NEXT) | instid1(SALU_CYCLE_1)
	s_or_b32 s3, vcc_lo, s3
	s_and_b32 exec_lo, exec_lo, s3
	s_cbranch_execz .LBB75_296
; %bb.291:
	v_cmp_gt_f64_e32 vcc_lo, 0, v[176:177]
	v_xor_b32_e32 v180, 0x80000000, v177
	v_xor_b32_e32 v182, 0x80000000, v179
	s_mov_b32 s3, exec_lo
                                        ; implicit-def: $vgpr184_vgpr185
	s_delay_alu instid0(VALU_DEP_2) | instskip(SKIP_4) | instid1(VALU_DEP_1)
	v_cndmask_b32_e32 v181, v177, v180, vcc_lo
	v_cndmask_b32_e32 v180, v176, v176, vcc_lo
	v_cmp_gt_f64_e32 vcc_lo, 0, v[178:179]
	v_cndmask_b32_e32 v183, v179, v182, vcc_lo
	v_cndmask_b32_e32 v182, v178, v178, vcc_lo
	v_cmpx_ngt_f64_e32 v[180:181], v[182:183]
	s_xor_b32 s3, exec_lo, s3
                                        ; implicit-def: $vgpr180_vgpr181_vgpr182_vgpr183
	s_cbranch_execz .LBB75_293
; %bb.292:
	v_div_scale_f64 v[180:181], null, v[178:179], v[178:179], v[176:177]
	v_div_scale_f64 v[186:187], vcc_lo, v[176:177], v[178:179], v[176:177]
	s_delay_alu instid0(VALU_DEP_2) | instskip(SKIP_2) | instid1(VALU_DEP_1)
	v_rcp_f64_e32 v[182:183], v[180:181]
	s_waitcnt_depctr 0xfff
	v_fma_f64 v[184:185], -v[180:181], v[182:183], 1.0
	v_fma_f64 v[182:183], v[182:183], v[184:185], v[182:183]
	s_delay_alu instid0(VALU_DEP_1) | instskip(NEXT) | instid1(VALU_DEP_1)
	v_fma_f64 v[184:185], -v[180:181], v[182:183], 1.0
	v_fma_f64 v[182:183], v[182:183], v[184:185], v[182:183]
	s_delay_alu instid0(VALU_DEP_1) | instskip(NEXT) | instid1(VALU_DEP_1)
	v_mul_f64 v[184:185], v[186:187], v[182:183]
	v_fma_f64 v[180:181], -v[180:181], v[184:185], v[186:187]
	s_delay_alu instid0(VALU_DEP_1) | instskip(NEXT) | instid1(VALU_DEP_1)
	v_div_fmas_f64 v[180:181], v[180:181], v[182:183], v[184:185]
	v_div_fixup_f64 v[180:181], v[180:181], v[178:179], v[176:177]
	s_delay_alu instid0(VALU_DEP_1) | instskip(NEXT) | instid1(VALU_DEP_1)
	v_fma_f64 v[176:177], v[176:177], v[180:181], v[178:179]
	v_div_scale_f64 v[178:179], null, v[176:177], v[176:177], 1.0
	s_delay_alu instid0(VALU_DEP_1) | instskip(SKIP_2) | instid1(VALU_DEP_1)
	v_rcp_f64_e32 v[182:183], v[178:179]
	s_waitcnt_depctr 0xfff
	v_fma_f64 v[184:185], -v[178:179], v[182:183], 1.0
	v_fma_f64 v[182:183], v[182:183], v[184:185], v[182:183]
	s_delay_alu instid0(VALU_DEP_1) | instskip(NEXT) | instid1(VALU_DEP_1)
	v_fma_f64 v[184:185], -v[178:179], v[182:183], 1.0
	v_fma_f64 v[182:183], v[182:183], v[184:185], v[182:183]
	v_div_scale_f64 v[184:185], vcc_lo, 1.0, v[176:177], 1.0
	s_delay_alu instid0(VALU_DEP_1) | instskip(NEXT) | instid1(VALU_DEP_1)
	v_mul_f64 v[186:187], v[184:185], v[182:183]
	v_fma_f64 v[178:179], -v[178:179], v[186:187], v[184:185]
	s_delay_alu instid0(VALU_DEP_1) | instskip(NEXT) | instid1(VALU_DEP_1)
	v_div_fmas_f64 v[178:179], v[178:179], v[182:183], v[186:187]
	v_div_fixup_f64 v[182:183], v[178:179], v[176:177], 1.0
                                        ; implicit-def: $vgpr176_vgpr177
	s_delay_alu instid0(VALU_DEP_1)
	v_mul_f64 v[184:185], v[180:181], v[182:183]
	v_xor_b32_e32 v183, 0x80000000, v183
.LBB75_293:
	s_and_not1_saveexec_b32 s3, s3
	s_cbranch_execz .LBB75_295
; %bb.294:
	v_div_scale_f64 v[180:181], null, v[176:177], v[176:177], v[178:179]
	v_div_scale_f64 v[186:187], vcc_lo, v[178:179], v[176:177], v[178:179]
	s_delay_alu instid0(VALU_DEP_2) | instskip(SKIP_2) | instid1(VALU_DEP_1)
	v_rcp_f64_e32 v[182:183], v[180:181]
	s_waitcnt_depctr 0xfff
	v_fma_f64 v[184:185], -v[180:181], v[182:183], 1.0
	v_fma_f64 v[182:183], v[182:183], v[184:185], v[182:183]
	s_delay_alu instid0(VALU_DEP_1) | instskip(NEXT) | instid1(VALU_DEP_1)
	v_fma_f64 v[184:185], -v[180:181], v[182:183], 1.0
	v_fma_f64 v[182:183], v[182:183], v[184:185], v[182:183]
	s_delay_alu instid0(VALU_DEP_1) | instskip(NEXT) | instid1(VALU_DEP_1)
	v_mul_f64 v[184:185], v[186:187], v[182:183]
	v_fma_f64 v[180:181], -v[180:181], v[184:185], v[186:187]
	s_delay_alu instid0(VALU_DEP_1) | instskip(NEXT) | instid1(VALU_DEP_1)
	v_div_fmas_f64 v[180:181], v[180:181], v[182:183], v[184:185]
	v_div_fixup_f64 v[180:181], v[180:181], v[176:177], v[178:179]
	s_delay_alu instid0(VALU_DEP_1) | instskip(NEXT) | instid1(VALU_DEP_1)
	v_fma_f64 v[176:177], v[178:179], v[180:181], v[176:177]
	v_div_scale_f64 v[178:179], null, v[176:177], v[176:177], 1.0
	s_delay_alu instid0(VALU_DEP_1) | instskip(SKIP_2) | instid1(VALU_DEP_1)
	v_rcp_f64_e32 v[182:183], v[178:179]
	s_waitcnt_depctr 0xfff
	v_fma_f64 v[184:185], -v[178:179], v[182:183], 1.0
	v_fma_f64 v[182:183], v[182:183], v[184:185], v[182:183]
	s_delay_alu instid0(VALU_DEP_1) | instskip(NEXT) | instid1(VALU_DEP_1)
	v_fma_f64 v[184:185], -v[178:179], v[182:183], 1.0
	v_fma_f64 v[182:183], v[182:183], v[184:185], v[182:183]
	v_div_scale_f64 v[184:185], vcc_lo, 1.0, v[176:177], 1.0
	s_delay_alu instid0(VALU_DEP_1) | instskip(NEXT) | instid1(VALU_DEP_1)
	v_mul_f64 v[186:187], v[184:185], v[182:183]
	v_fma_f64 v[178:179], -v[178:179], v[186:187], v[184:185]
	s_delay_alu instid0(VALU_DEP_1) | instskip(NEXT) | instid1(VALU_DEP_1)
	v_div_fmas_f64 v[178:179], v[178:179], v[182:183], v[186:187]
	v_div_fixup_f64 v[184:185], v[178:179], v[176:177], 1.0
	s_delay_alu instid0(VALU_DEP_1)
	v_mul_f64 v[182:183], v[180:181], -v[184:185]
.LBB75_295:
	s_or_b32 exec_lo, exec_lo, s3
	ds_store_2addr_b64 v203, v[184:185], v[182:183] offset1:1
.LBB75_296:
	s_or_b32 exec_lo, exec_lo, s4
	s_waitcnt lgkmcnt(0)
	s_barrier
	buffer_gl0_inv
	ds_load_2addr_b64 v[176:179], v203 offset1:1
	s_mov_b32 s3, exec_lo
	v_cmpx_lt_u32_e32 32, v202
	s_cbranch_execz .LBB75_298
; %bb.297:
	s_waitcnt lgkmcnt(0)
	v_mul_f64 v[180:181], v[176:177], v[22:23]
	v_mul_f64 v[22:23], v[178:179], v[22:23]
	s_delay_alu instid0(VALU_DEP_2) | instskip(SKIP_4) | instid1(VALU_DEP_1)
	v_fma_f64 v[184:185], v[178:179], v[20:21], v[180:181]
	ds_load_2addr_b64 v[180:183], v204 offset0:66 offset1:67
	v_fma_f64 v[20:21], v[176:177], v[20:21], -v[22:23]
	s_waitcnt lgkmcnt(0)
	v_mul_f64 v[22:23], v[182:183], v[184:185]
	v_fma_f64 v[22:23], v[180:181], v[20:21], -v[22:23]
	v_mul_f64 v[180:181], v[180:181], v[184:185]
	s_delay_alu instid0(VALU_DEP_2) | instskip(NEXT) | instid1(VALU_DEP_2)
	v_add_f64 v[16:17], v[16:17], -v[22:23]
	v_fma_f64 v[180:181], v[182:183], v[20:21], v[180:181]
	s_delay_alu instid0(VALU_DEP_1) | instskip(SKIP_3) | instid1(VALU_DEP_1)
	v_add_f64 v[18:19], v[18:19], -v[180:181]
	ds_load_2addr_b64 v[180:183], v204 offset0:68 offset1:69
	s_waitcnt lgkmcnt(0)
	v_mul_f64 v[22:23], v[182:183], v[184:185]
	v_fma_f64 v[22:23], v[180:181], v[20:21], -v[22:23]
	v_mul_f64 v[180:181], v[180:181], v[184:185]
	s_delay_alu instid0(VALU_DEP_2) | instskip(NEXT) | instid1(VALU_DEP_2)
	v_add_f64 v[12:13], v[12:13], -v[22:23]
	v_fma_f64 v[180:181], v[182:183], v[20:21], v[180:181]
	s_delay_alu instid0(VALU_DEP_1) | instskip(SKIP_3) | instid1(VALU_DEP_1)
	v_add_f64 v[14:15], v[14:15], -v[180:181]
	ds_load_2addr_b64 v[180:183], v204 offset0:70 offset1:71
	;; [unrolled: 10-line block ×4, first 2 shown]
	s_waitcnt lgkmcnt(0)
	v_mul_f64 v[22:23], v[182:183], v[184:185]
	v_fma_f64 v[22:23], v[180:181], v[20:21], -v[22:23]
	v_mul_f64 v[180:181], v[180:181], v[184:185]
	s_delay_alu instid0(VALU_DEP_2) | instskip(NEXT) | instid1(VALU_DEP_2)
	v_add_f64 v[0:1], v[0:1], -v[22:23]
	v_fma_f64 v[180:181], v[182:183], v[20:21], v[180:181]
	v_dual_mov_b32 v22, v184 :: v_dual_mov_b32 v23, v185
	s_delay_alu instid0(VALU_DEP_2)
	v_add_f64 v[2:3], v[2:3], -v[180:181]
.LBB75_298:
	s_or_b32 exec_lo, exec_lo, s3
	s_delay_alu instid0(SALU_CYCLE_1)
	s_mov_b32 s4, exec_lo
	s_waitcnt lgkmcnt(0)
	s_barrier
	buffer_gl0_inv
	v_cmpx_eq_u32_e32 33, v202
	s_cbranch_execz .LBB75_305
; %bb.299:
	ds_store_2addr_b64 v203, v[16:17], v[18:19] offset1:1
	ds_store_2addr_b64 v204, v[12:13], v[14:15] offset0:68 offset1:69
	ds_store_2addr_b64 v204, v[8:9], v[10:11] offset0:70 offset1:71
	;; [unrolled: 1-line block ×4, first 2 shown]
	ds_load_2addr_b64 v[180:183], v203 offset1:1
	s_waitcnt lgkmcnt(0)
	v_cmp_neq_f64_e32 vcc_lo, 0, v[180:181]
	v_cmp_neq_f64_e64 s3, 0, v[182:183]
	s_delay_alu instid0(VALU_DEP_1) | instskip(NEXT) | instid1(SALU_CYCLE_1)
	s_or_b32 s3, vcc_lo, s3
	s_and_b32 exec_lo, exec_lo, s3
	s_cbranch_execz .LBB75_305
; %bb.300:
	v_cmp_gt_f64_e32 vcc_lo, 0, v[180:181]
	v_xor_b32_e32 v184, 0x80000000, v181
	v_xor_b32_e32 v186, 0x80000000, v183
	s_mov_b32 s3, exec_lo
                                        ; implicit-def: $vgpr188_vgpr189
	s_delay_alu instid0(VALU_DEP_2) | instskip(SKIP_4) | instid1(VALU_DEP_1)
	v_cndmask_b32_e32 v185, v181, v184, vcc_lo
	v_cndmask_b32_e32 v184, v180, v180, vcc_lo
	v_cmp_gt_f64_e32 vcc_lo, 0, v[182:183]
	v_cndmask_b32_e32 v187, v183, v186, vcc_lo
	v_cndmask_b32_e32 v186, v182, v182, vcc_lo
	v_cmpx_ngt_f64_e32 v[184:185], v[186:187]
	s_xor_b32 s3, exec_lo, s3
                                        ; implicit-def: $vgpr184_vgpr185_vgpr186_vgpr187
	s_cbranch_execz .LBB75_302
; %bb.301:
	v_div_scale_f64 v[184:185], null, v[182:183], v[182:183], v[180:181]
	v_div_scale_f64 v[190:191], vcc_lo, v[180:181], v[182:183], v[180:181]
	s_delay_alu instid0(VALU_DEP_2) | instskip(SKIP_2) | instid1(VALU_DEP_1)
	v_rcp_f64_e32 v[186:187], v[184:185]
	s_waitcnt_depctr 0xfff
	v_fma_f64 v[188:189], -v[184:185], v[186:187], 1.0
	v_fma_f64 v[186:187], v[186:187], v[188:189], v[186:187]
	s_delay_alu instid0(VALU_DEP_1) | instskip(NEXT) | instid1(VALU_DEP_1)
	v_fma_f64 v[188:189], -v[184:185], v[186:187], 1.0
	v_fma_f64 v[186:187], v[186:187], v[188:189], v[186:187]
	s_delay_alu instid0(VALU_DEP_1) | instskip(NEXT) | instid1(VALU_DEP_1)
	v_mul_f64 v[188:189], v[190:191], v[186:187]
	v_fma_f64 v[184:185], -v[184:185], v[188:189], v[190:191]
	s_delay_alu instid0(VALU_DEP_1) | instskip(NEXT) | instid1(VALU_DEP_1)
	v_div_fmas_f64 v[184:185], v[184:185], v[186:187], v[188:189]
	v_div_fixup_f64 v[184:185], v[184:185], v[182:183], v[180:181]
	s_delay_alu instid0(VALU_DEP_1) | instskip(NEXT) | instid1(VALU_DEP_1)
	v_fma_f64 v[180:181], v[180:181], v[184:185], v[182:183]
	v_div_scale_f64 v[182:183], null, v[180:181], v[180:181], 1.0
	s_delay_alu instid0(VALU_DEP_1) | instskip(SKIP_2) | instid1(VALU_DEP_1)
	v_rcp_f64_e32 v[186:187], v[182:183]
	s_waitcnt_depctr 0xfff
	v_fma_f64 v[188:189], -v[182:183], v[186:187], 1.0
	v_fma_f64 v[186:187], v[186:187], v[188:189], v[186:187]
	s_delay_alu instid0(VALU_DEP_1) | instskip(NEXT) | instid1(VALU_DEP_1)
	v_fma_f64 v[188:189], -v[182:183], v[186:187], 1.0
	v_fma_f64 v[186:187], v[186:187], v[188:189], v[186:187]
	v_div_scale_f64 v[188:189], vcc_lo, 1.0, v[180:181], 1.0
	s_delay_alu instid0(VALU_DEP_1) | instskip(NEXT) | instid1(VALU_DEP_1)
	v_mul_f64 v[190:191], v[188:189], v[186:187]
	v_fma_f64 v[182:183], -v[182:183], v[190:191], v[188:189]
	s_delay_alu instid0(VALU_DEP_1) | instskip(NEXT) | instid1(VALU_DEP_1)
	v_div_fmas_f64 v[182:183], v[182:183], v[186:187], v[190:191]
	v_div_fixup_f64 v[186:187], v[182:183], v[180:181], 1.0
                                        ; implicit-def: $vgpr180_vgpr181
	s_delay_alu instid0(VALU_DEP_1)
	v_mul_f64 v[188:189], v[184:185], v[186:187]
	v_xor_b32_e32 v187, 0x80000000, v187
.LBB75_302:
	s_and_not1_saveexec_b32 s3, s3
	s_cbranch_execz .LBB75_304
; %bb.303:
	v_div_scale_f64 v[184:185], null, v[180:181], v[180:181], v[182:183]
	v_div_scale_f64 v[190:191], vcc_lo, v[182:183], v[180:181], v[182:183]
	s_delay_alu instid0(VALU_DEP_2) | instskip(SKIP_2) | instid1(VALU_DEP_1)
	v_rcp_f64_e32 v[186:187], v[184:185]
	s_waitcnt_depctr 0xfff
	v_fma_f64 v[188:189], -v[184:185], v[186:187], 1.0
	v_fma_f64 v[186:187], v[186:187], v[188:189], v[186:187]
	s_delay_alu instid0(VALU_DEP_1) | instskip(NEXT) | instid1(VALU_DEP_1)
	v_fma_f64 v[188:189], -v[184:185], v[186:187], 1.0
	v_fma_f64 v[186:187], v[186:187], v[188:189], v[186:187]
	s_delay_alu instid0(VALU_DEP_1) | instskip(NEXT) | instid1(VALU_DEP_1)
	v_mul_f64 v[188:189], v[190:191], v[186:187]
	v_fma_f64 v[184:185], -v[184:185], v[188:189], v[190:191]
	s_delay_alu instid0(VALU_DEP_1) | instskip(NEXT) | instid1(VALU_DEP_1)
	v_div_fmas_f64 v[184:185], v[184:185], v[186:187], v[188:189]
	v_div_fixup_f64 v[184:185], v[184:185], v[180:181], v[182:183]
	s_delay_alu instid0(VALU_DEP_1) | instskip(NEXT) | instid1(VALU_DEP_1)
	v_fma_f64 v[180:181], v[182:183], v[184:185], v[180:181]
	v_div_scale_f64 v[182:183], null, v[180:181], v[180:181], 1.0
	s_delay_alu instid0(VALU_DEP_1) | instskip(SKIP_2) | instid1(VALU_DEP_1)
	v_rcp_f64_e32 v[186:187], v[182:183]
	s_waitcnt_depctr 0xfff
	v_fma_f64 v[188:189], -v[182:183], v[186:187], 1.0
	v_fma_f64 v[186:187], v[186:187], v[188:189], v[186:187]
	s_delay_alu instid0(VALU_DEP_1) | instskip(NEXT) | instid1(VALU_DEP_1)
	v_fma_f64 v[188:189], -v[182:183], v[186:187], 1.0
	v_fma_f64 v[186:187], v[186:187], v[188:189], v[186:187]
	v_div_scale_f64 v[188:189], vcc_lo, 1.0, v[180:181], 1.0
	s_delay_alu instid0(VALU_DEP_1) | instskip(NEXT) | instid1(VALU_DEP_1)
	v_mul_f64 v[190:191], v[188:189], v[186:187]
	v_fma_f64 v[182:183], -v[182:183], v[190:191], v[188:189]
	s_delay_alu instid0(VALU_DEP_1) | instskip(NEXT) | instid1(VALU_DEP_1)
	v_div_fmas_f64 v[182:183], v[182:183], v[186:187], v[190:191]
	v_div_fixup_f64 v[188:189], v[182:183], v[180:181], 1.0
	s_delay_alu instid0(VALU_DEP_1)
	v_mul_f64 v[186:187], v[184:185], -v[188:189]
.LBB75_304:
	s_or_b32 exec_lo, exec_lo, s3
	ds_store_2addr_b64 v203, v[188:189], v[186:187] offset1:1
.LBB75_305:
	s_or_b32 exec_lo, exec_lo, s4
	s_waitcnt lgkmcnt(0)
	s_barrier
	buffer_gl0_inv
	ds_load_2addr_b64 v[180:183], v203 offset1:1
	s_mov_b32 s3, exec_lo
	v_cmpx_lt_u32_e32 33, v202
	s_cbranch_execz .LBB75_307
; %bb.306:
	s_waitcnt lgkmcnt(0)
	v_mul_f64 v[184:185], v[180:181], v[18:19]
	v_mul_f64 v[18:19], v[182:183], v[18:19]
	s_delay_alu instid0(VALU_DEP_2) | instskip(SKIP_4) | instid1(VALU_DEP_1)
	v_fma_f64 v[188:189], v[182:183], v[16:17], v[184:185]
	ds_load_2addr_b64 v[184:187], v204 offset0:68 offset1:69
	v_fma_f64 v[16:17], v[180:181], v[16:17], -v[18:19]
	s_waitcnt lgkmcnt(0)
	v_mul_f64 v[18:19], v[186:187], v[188:189]
	v_fma_f64 v[18:19], v[184:185], v[16:17], -v[18:19]
	v_mul_f64 v[184:185], v[184:185], v[188:189]
	s_delay_alu instid0(VALU_DEP_2) | instskip(NEXT) | instid1(VALU_DEP_2)
	v_add_f64 v[12:13], v[12:13], -v[18:19]
	v_fma_f64 v[184:185], v[186:187], v[16:17], v[184:185]
	s_delay_alu instid0(VALU_DEP_1) | instskip(SKIP_3) | instid1(VALU_DEP_1)
	v_add_f64 v[14:15], v[14:15], -v[184:185]
	ds_load_2addr_b64 v[184:187], v204 offset0:70 offset1:71
	s_waitcnt lgkmcnt(0)
	v_mul_f64 v[18:19], v[186:187], v[188:189]
	v_fma_f64 v[18:19], v[184:185], v[16:17], -v[18:19]
	v_mul_f64 v[184:185], v[184:185], v[188:189]
	s_delay_alu instid0(VALU_DEP_2) | instskip(NEXT) | instid1(VALU_DEP_2)
	v_add_f64 v[8:9], v[8:9], -v[18:19]
	v_fma_f64 v[184:185], v[186:187], v[16:17], v[184:185]
	s_delay_alu instid0(VALU_DEP_1) | instskip(SKIP_3) | instid1(VALU_DEP_1)
	v_add_f64 v[10:11], v[10:11], -v[184:185]
	ds_load_2addr_b64 v[184:187], v204 offset0:72 offset1:73
	;; [unrolled: 10-line block ×3, first 2 shown]
	s_waitcnt lgkmcnt(0)
	v_mul_f64 v[18:19], v[186:187], v[188:189]
	v_fma_f64 v[18:19], v[184:185], v[16:17], -v[18:19]
	v_mul_f64 v[184:185], v[184:185], v[188:189]
	s_delay_alu instid0(VALU_DEP_2) | instskip(NEXT) | instid1(VALU_DEP_2)
	v_add_f64 v[0:1], v[0:1], -v[18:19]
	v_fma_f64 v[184:185], v[186:187], v[16:17], v[184:185]
	v_dual_mov_b32 v18, v188 :: v_dual_mov_b32 v19, v189
	s_delay_alu instid0(VALU_DEP_2)
	v_add_f64 v[2:3], v[2:3], -v[184:185]
.LBB75_307:
	s_or_b32 exec_lo, exec_lo, s3
	s_delay_alu instid0(SALU_CYCLE_1)
	s_mov_b32 s4, exec_lo
	s_waitcnt lgkmcnt(0)
	s_barrier
	buffer_gl0_inv
	v_cmpx_eq_u32_e32 34, v202
	s_cbranch_execz .LBB75_314
; %bb.308:
	ds_store_2addr_b64 v203, v[12:13], v[14:15] offset1:1
	ds_store_2addr_b64 v204, v[8:9], v[10:11] offset0:70 offset1:71
	ds_store_2addr_b64 v204, v[4:5], v[6:7] offset0:72 offset1:73
	;; [unrolled: 1-line block ×3, first 2 shown]
	ds_load_2addr_b64 v[184:187], v203 offset1:1
	s_waitcnt lgkmcnt(0)
	v_cmp_neq_f64_e32 vcc_lo, 0, v[184:185]
	v_cmp_neq_f64_e64 s3, 0, v[186:187]
	s_delay_alu instid0(VALU_DEP_1) | instskip(NEXT) | instid1(SALU_CYCLE_1)
	s_or_b32 s3, vcc_lo, s3
	s_and_b32 exec_lo, exec_lo, s3
	s_cbranch_execz .LBB75_314
; %bb.309:
	v_cmp_gt_f64_e32 vcc_lo, 0, v[184:185]
	v_xor_b32_e32 v188, 0x80000000, v185
	v_xor_b32_e32 v190, 0x80000000, v187
	s_mov_b32 s3, exec_lo
                                        ; implicit-def: $vgpr192_vgpr193
	s_delay_alu instid0(VALU_DEP_2) | instskip(SKIP_4) | instid1(VALU_DEP_1)
	v_cndmask_b32_e32 v189, v185, v188, vcc_lo
	v_cndmask_b32_e32 v188, v184, v184, vcc_lo
	v_cmp_gt_f64_e32 vcc_lo, 0, v[186:187]
	v_cndmask_b32_e32 v191, v187, v190, vcc_lo
	v_cndmask_b32_e32 v190, v186, v186, vcc_lo
	v_cmpx_ngt_f64_e32 v[188:189], v[190:191]
	s_xor_b32 s3, exec_lo, s3
                                        ; implicit-def: $vgpr188_vgpr189_vgpr190_vgpr191
	s_cbranch_execz .LBB75_311
; %bb.310:
	v_div_scale_f64 v[188:189], null, v[186:187], v[186:187], v[184:185]
	v_div_scale_f64 v[194:195], vcc_lo, v[184:185], v[186:187], v[184:185]
	s_delay_alu instid0(VALU_DEP_2) | instskip(SKIP_2) | instid1(VALU_DEP_1)
	v_rcp_f64_e32 v[190:191], v[188:189]
	s_waitcnt_depctr 0xfff
	v_fma_f64 v[192:193], -v[188:189], v[190:191], 1.0
	v_fma_f64 v[190:191], v[190:191], v[192:193], v[190:191]
	s_delay_alu instid0(VALU_DEP_1) | instskip(NEXT) | instid1(VALU_DEP_1)
	v_fma_f64 v[192:193], -v[188:189], v[190:191], 1.0
	v_fma_f64 v[190:191], v[190:191], v[192:193], v[190:191]
	s_delay_alu instid0(VALU_DEP_1) | instskip(NEXT) | instid1(VALU_DEP_1)
	v_mul_f64 v[192:193], v[194:195], v[190:191]
	v_fma_f64 v[188:189], -v[188:189], v[192:193], v[194:195]
	s_delay_alu instid0(VALU_DEP_1) | instskip(NEXT) | instid1(VALU_DEP_1)
	v_div_fmas_f64 v[188:189], v[188:189], v[190:191], v[192:193]
	v_div_fixup_f64 v[188:189], v[188:189], v[186:187], v[184:185]
	s_delay_alu instid0(VALU_DEP_1) | instskip(NEXT) | instid1(VALU_DEP_1)
	v_fma_f64 v[184:185], v[184:185], v[188:189], v[186:187]
	v_div_scale_f64 v[186:187], null, v[184:185], v[184:185], 1.0
	s_delay_alu instid0(VALU_DEP_1) | instskip(SKIP_2) | instid1(VALU_DEP_1)
	v_rcp_f64_e32 v[190:191], v[186:187]
	s_waitcnt_depctr 0xfff
	v_fma_f64 v[192:193], -v[186:187], v[190:191], 1.0
	v_fma_f64 v[190:191], v[190:191], v[192:193], v[190:191]
	s_delay_alu instid0(VALU_DEP_1) | instskip(NEXT) | instid1(VALU_DEP_1)
	v_fma_f64 v[192:193], -v[186:187], v[190:191], 1.0
	v_fma_f64 v[190:191], v[190:191], v[192:193], v[190:191]
	v_div_scale_f64 v[192:193], vcc_lo, 1.0, v[184:185], 1.0
	s_delay_alu instid0(VALU_DEP_1) | instskip(NEXT) | instid1(VALU_DEP_1)
	v_mul_f64 v[194:195], v[192:193], v[190:191]
	v_fma_f64 v[186:187], -v[186:187], v[194:195], v[192:193]
	s_delay_alu instid0(VALU_DEP_1) | instskip(NEXT) | instid1(VALU_DEP_1)
	v_div_fmas_f64 v[186:187], v[186:187], v[190:191], v[194:195]
	v_div_fixup_f64 v[190:191], v[186:187], v[184:185], 1.0
                                        ; implicit-def: $vgpr184_vgpr185
	s_delay_alu instid0(VALU_DEP_1)
	v_mul_f64 v[192:193], v[188:189], v[190:191]
	v_xor_b32_e32 v191, 0x80000000, v191
.LBB75_311:
	s_and_not1_saveexec_b32 s3, s3
	s_cbranch_execz .LBB75_313
; %bb.312:
	v_div_scale_f64 v[188:189], null, v[184:185], v[184:185], v[186:187]
	v_div_scale_f64 v[194:195], vcc_lo, v[186:187], v[184:185], v[186:187]
	s_delay_alu instid0(VALU_DEP_2) | instskip(SKIP_2) | instid1(VALU_DEP_1)
	v_rcp_f64_e32 v[190:191], v[188:189]
	s_waitcnt_depctr 0xfff
	v_fma_f64 v[192:193], -v[188:189], v[190:191], 1.0
	v_fma_f64 v[190:191], v[190:191], v[192:193], v[190:191]
	s_delay_alu instid0(VALU_DEP_1) | instskip(NEXT) | instid1(VALU_DEP_1)
	v_fma_f64 v[192:193], -v[188:189], v[190:191], 1.0
	v_fma_f64 v[190:191], v[190:191], v[192:193], v[190:191]
	s_delay_alu instid0(VALU_DEP_1) | instskip(NEXT) | instid1(VALU_DEP_1)
	v_mul_f64 v[192:193], v[194:195], v[190:191]
	v_fma_f64 v[188:189], -v[188:189], v[192:193], v[194:195]
	s_delay_alu instid0(VALU_DEP_1) | instskip(NEXT) | instid1(VALU_DEP_1)
	v_div_fmas_f64 v[188:189], v[188:189], v[190:191], v[192:193]
	v_div_fixup_f64 v[188:189], v[188:189], v[184:185], v[186:187]
	s_delay_alu instid0(VALU_DEP_1) | instskip(NEXT) | instid1(VALU_DEP_1)
	v_fma_f64 v[184:185], v[186:187], v[188:189], v[184:185]
	v_div_scale_f64 v[186:187], null, v[184:185], v[184:185], 1.0
	s_delay_alu instid0(VALU_DEP_1) | instskip(SKIP_2) | instid1(VALU_DEP_1)
	v_rcp_f64_e32 v[190:191], v[186:187]
	s_waitcnt_depctr 0xfff
	v_fma_f64 v[192:193], -v[186:187], v[190:191], 1.0
	v_fma_f64 v[190:191], v[190:191], v[192:193], v[190:191]
	s_delay_alu instid0(VALU_DEP_1) | instskip(NEXT) | instid1(VALU_DEP_1)
	v_fma_f64 v[192:193], -v[186:187], v[190:191], 1.0
	v_fma_f64 v[190:191], v[190:191], v[192:193], v[190:191]
	v_div_scale_f64 v[192:193], vcc_lo, 1.0, v[184:185], 1.0
	s_delay_alu instid0(VALU_DEP_1) | instskip(NEXT) | instid1(VALU_DEP_1)
	v_mul_f64 v[194:195], v[192:193], v[190:191]
	v_fma_f64 v[186:187], -v[186:187], v[194:195], v[192:193]
	s_delay_alu instid0(VALU_DEP_1) | instskip(NEXT) | instid1(VALU_DEP_1)
	v_div_fmas_f64 v[186:187], v[186:187], v[190:191], v[194:195]
	v_div_fixup_f64 v[192:193], v[186:187], v[184:185], 1.0
	s_delay_alu instid0(VALU_DEP_1)
	v_mul_f64 v[190:191], v[188:189], -v[192:193]
.LBB75_313:
	s_or_b32 exec_lo, exec_lo, s3
	ds_store_2addr_b64 v203, v[192:193], v[190:191] offset1:1
.LBB75_314:
	s_or_b32 exec_lo, exec_lo, s4
	s_waitcnt lgkmcnt(0)
	s_barrier
	buffer_gl0_inv
	ds_load_2addr_b64 v[184:187], v203 offset1:1
	s_mov_b32 s3, exec_lo
	v_cmpx_lt_u32_e32 34, v202
	s_cbranch_execz .LBB75_316
; %bb.315:
	s_waitcnt lgkmcnt(0)
	v_mul_f64 v[188:189], v[184:185], v[14:15]
	v_mul_f64 v[14:15], v[186:187], v[14:15]
	s_delay_alu instid0(VALU_DEP_2) | instskip(SKIP_4) | instid1(VALU_DEP_1)
	v_fma_f64 v[192:193], v[186:187], v[12:13], v[188:189]
	ds_load_2addr_b64 v[188:191], v204 offset0:70 offset1:71
	v_fma_f64 v[12:13], v[184:185], v[12:13], -v[14:15]
	s_waitcnt lgkmcnt(0)
	v_mul_f64 v[14:15], v[190:191], v[192:193]
	v_fma_f64 v[14:15], v[188:189], v[12:13], -v[14:15]
	v_mul_f64 v[188:189], v[188:189], v[192:193]
	s_delay_alu instid0(VALU_DEP_2) | instskip(NEXT) | instid1(VALU_DEP_2)
	v_add_f64 v[8:9], v[8:9], -v[14:15]
	v_fma_f64 v[188:189], v[190:191], v[12:13], v[188:189]
	s_delay_alu instid0(VALU_DEP_1) | instskip(SKIP_3) | instid1(VALU_DEP_1)
	v_add_f64 v[10:11], v[10:11], -v[188:189]
	ds_load_2addr_b64 v[188:191], v204 offset0:72 offset1:73
	s_waitcnt lgkmcnt(0)
	v_mul_f64 v[14:15], v[190:191], v[192:193]
	v_fma_f64 v[14:15], v[188:189], v[12:13], -v[14:15]
	v_mul_f64 v[188:189], v[188:189], v[192:193]
	s_delay_alu instid0(VALU_DEP_2) | instskip(NEXT) | instid1(VALU_DEP_2)
	v_add_f64 v[4:5], v[4:5], -v[14:15]
	v_fma_f64 v[188:189], v[190:191], v[12:13], v[188:189]
	s_delay_alu instid0(VALU_DEP_1) | instskip(SKIP_3) | instid1(VALU_DEP_1)
	v_add_f64 v[6:7], v[6:7], -v[188:189]
	ds_load_2addr_b64 v[188:191], v204 offset0:74 offset1:75
	s_waitcnt lgkmcnt(0)
	v_mul_f64 v[14:15], v[190:191], v[192:193]
	v_fma_f64 v[14:15], v[188:189], v[12:13], -v[14:15]
	v_mul_f64 v[188:189], v[188:189], v[192:193]
	s_delay_alu instid0(VALU_DEP_2) | instskip(NEXT) | instid1(VALU_DEP_2)
	v_add_f64 v[0:1], v[0:1], -v[14:15]
	v_fma_f64 v[188:189], v[190:191], v[12:13], v[188:189]
	v_dual_mov_b32 v14, v192 :: v_dual_mov_b32 v15, v193
	s_delay_alu instid0(VALU_DEP_2)
	v_add_f64 v[2:3], v[2:3], -v[188:189]
.LBB75_316:
	s_or_b32 exec_lo, exec_lo, s3
	s_delay_alu instid0(SALU_CYCLE_1)
	s_mov_b32 s4, exec_lo
	s_waitcnt lgkmcnt(0)
	s_barrier
	buffer_gl0_inv
	v_cmpx_eq_u32_e32 35, v202
	s_cbranch_execz .LBB75_323
; %bb.317:
	ds_store_2addr_b64 v203, v[8:9], v[10:11] offset1:1
	ds_store_2addr_b64 v204, v[4:5], v[6:7] offset0:72 offset1:73
	ds_store_2addr_b64 v204, v[0:1], v[2:3] offset0:74 offset1:75
	ds_load_2addr_b64 v[188:191], v203 offset1:1
	s_waitcnt lgkmcnt(0)
	v_cmp_neq_f64_e32 vcc_lo, 0, v[188:189]
	v_cmp_neq_f64_e64 s3, 0, v[190:191]
	s_delay_alu instid0(VALU_DEP_1) | instskip(NEXT) | instid1(SALU_CYCLE_1)
	s_or_b32 s3, vcc_lo, s3
	s_and_b32 exec_lo, exec_lo, s3
	s_cbranch_execz .LBB75_323
; %bb.318:
	v_cmp_gt_f64_e32 vcc_lo, 0, v[188:189]
	v_xor_b32_e32 v192, 0x80000000, v189
	v_xor_b32_e32 v194, 0x80000000, v191
	s_mov_b32 s3, exec_lo
                                        ; implicit-def: $vgpr196_vgpr197
	s_delay_alu instid0(VALU_DEP_2) | instskip(SKIP_4) | instid1(VALU_DEP_1)
	v_cndmask_b32_e32 v193, v189, v192, vcc_lo
	v_cndmask_b32_e32 v192, v188, v188, vcc_lo
	v_cmp_gt_f64_e32 vcc_lo, 0, v[190:191]
	v_cndmask_b32_e32 v195, v191, v194, vcc_lo
	v_cndmask_b32_e32 v194, v190, v190, vcc_lo
	v_cmpx_ngt_f64_e32 v[192:193], v[194:195]
	s_xor_b32 s3, exec_lo, s3
                                        ; implicit-def: $vgpr192_vgpr193_vgpr194_vgpr195
	s_cbranch_execz .LBB75_320
; %bb.319:
	v_div_scale_f64 v[192:193], null, v[190:191], v[190:191], v[188:189]
	v_div_scale_f64 v[198:199], vcc_lo, v[188:189], v[190:191], v[188:189]
	s_delay_alu instid0(VALU_DEP_2) | instskip(SKIP_2) | instid1(VALU_DEP_1)
	v_rcp_f64_e32 v[194:195], v[192:193]
	s_waitcnt_depctr 0xfff
	v_fma_f64 v[196:197], -v[192:193], v[194:195], 1.0
	v_fma_f64 v[194:195], v[194:195], v[196:197], v[194:195]
	s_delay_alu instid0(VALU_DEP_1) | instskip(NEXT) | instid1(VALU_DEP_1)
	v_fma_f64 v[196:197], -v[192:193], v[194:195], 1.0
	v_fma_f64 v[194:195], v[194:195], v[196:197], v[194:195]
	s_delay_alu instid0(VALU_DEP_1) | instskip(NEXT) | instid1(VALU_DEP_1)
	v_mul_f64 v[196:197], v[198:199], v[194:195]
	v_fma_f64 v[192:193], -v[192:193], v[196:197], v[198:199]
	s_delay_alu instid0(VALU_DEP_1) | instskip(NEXT) | instid1(VALU_DEP_1)
	v_div_fmas_f64 v[192:193], v[192:193], v[194:195], v[196:197]
	v_div_fixup_f64 v[192:193], v[192:193], v[190:191], v[188:189]
	s_delay_alu instid0(VALU_DEP_1) | instskip(NEXT) | instid1(VALU_DEP_1)
	v_fma_f64 v[188:189], v[188:189], v[192:193], v[190:191]
	v_div_scale_f64 v[190:191], null, v[188:189], v[188:189], 1.0
	s_delay_alu instid0(VALU_DEP_1) | instskip(SKIP_2) | instid1(VALU_DEP_1)
	v_rcp_f64_e32 v[194:195], v[190:191]
	s_waitcnt_depctr 0xfff
	v_fma_f64 v[196:197], -v[190:191], v[194:195], 1.0
	v_fma_f64 v[194:195], v[194:195], v[196:197], v[194:195]
	s_delay_alu instid0(VALU_DEP_1) | instskip(NEXT) | instid1(VALU_DEP_1)
	v_fma_f64 v[196:197], -v[190:191], v[194:195], 1.0
	v_fma_f64 v[194:195], v[194:195], v[196:197], v[194:195]
	v_div_scale_f64 v[196:197], vcc_lo, 1.0, v[188:189], 1.0
	s_delay_alu instid0(VALU_DEP_1) | instskip(NEXT) | instid1(VALU_DEP_1)
	v_mul_f64 v[198:199], v[196:197], v[194:195]
	v_fma_f64 v[190:191], -v[190:191], v[198:199], v[196:197]
	s_delay_alu instid0(VALU_DEP_1) | instskip(NEXT) | instid1(VALU_DEP_1)
	v_div_fmas_f64 v[190:191], v[190:191], v[194:195], v[198:199]
	v_div_fixup_f64 v[194:195], v[190:191], v[188:189], 1.0
                                        ; implicit-def: $vgpr188_vgpr189
	s_delay_alu instid0(VALU_DEP_1)
	v_mul_f64 v[196:197], v[192:193], v[194:195]
	v_xor_b32_e32 v195, 0x80000000, v195
.LBB75_320:
	s_and_not1_saveexec_b32 s3, s3
	s_cbranch_execz .LBB75_322
; %bb.321:
	v_div_scale_f64 v[192:193], null, v[188:189], v[188:189], v[190:191]
	v_div_scale_f64 v[198:199], vcc_lo, v[190:191], v[188:189], v[190:191]
	s_delay_alu instid0(VALU_DEP_2) | instskip(SKIP_2) | instid1(VALU_DEP_1)
	v_rcp_f64_e32 v[194:195], v[192:193]
	s_waitcnt_depctr 0xfff
	v_fma_f64 v[196:197], -v[192:193], v[194:195], 1.0
	v_fma_f64 v[194:195], v[194:195], v[196:197], v[194:195]
	s_delay_alu instid0(VALU_DEP_1) | instskip(NEXT) | instid1(VALU_DEP_1)
	v_fma_f64 v[196:197], -v[192:193], v[194:195], 1.0
	v_fma_f64 v[194:195], v[194:195], v[196:197], v[194:195]
	s_delay_alu instid0(VALU_DEP_1) | instskip(NEXT) | instid1(VALU_DEP_1)
	v_mul_f64 v[196:197], v[198:199], v[194:195]
	v_fma_f64 v[192:193], -v[192:193], v[196:197], v[198:199]
	s_delay_alu instid0(VALU_DEP_1) | instskip(NEXT) | instid1(VALU_DEP_1)
	v_div_fmas_f64 v[192:193], v[192:193], v[194:195], v[196:197]
	v_div_fixup_f64 v[192:193], v[192:193], v[188:189], v[190:191]
	s_delay_alu instid0(VALU_DEP_1) | instskip(NEXT) | instid1(VALU_DEP_1)
	v_fma_f64 v[188:189], v[190:191], v[192:193], v[188:189]
	v_div_scale_f64 v[190:191], null, v[188:189], v[188:189], 1.0
	s_delay_alu instid0(VALU_DEP_1) | instskip(SKIP_2) | instid1(VALU_DEP_1)
	v_rcp_f64_e32 v[194:195], v[190:191]
	s_waitcnt_depctr 0xfff
	v_fma_f64 v[196:197], -v[190:191], v[194:195], 1.0
	v_fma_f64 v[194:195], v[194:195], v[196:197], v[194:195]
	s_delay_alu instid0(VALU_DEP_1) | instskip(NEXT) | instid1(VALU_DEP_1)
	v_fma_f64 v[196:197], -v[190:191], v[194:195], 1.0
	v_fma_f64 v[194:195], v[194:195], v[196:197], v[194:195]
	v_div_scale_f64 v[196:197], vcc_lo, 1.0, v[188:189], 1.0
	s_delay_alu instid0(VALU_DEP_1) | instskip(NEXT) | instid1(VALU_DEP_1)
	v_mul_f64 v[198:199], v[196:197], v[194:195]
	v_fma_f64 v[190:191], -v[190:191], v[198:199], v[196:197]
	s_delay_alu instid0(VALU_DEP_1) | instskip(NEXT) | instid1(VALU_DEP_1)
	v_div_fmas_f64 v[190:191], v[190:191], v[194:195], v[198:199]
	v_div_fixup_f64 v[196:197], v[190:191], v[188:189], 1.0
	s_delay_alu instid0(VALU_DEP_1)
	v_mul_f64 v[194:195], v[192:193], -v[196:197]
.LBB75_322:
	s_or_b32 exec_lo, exec_lo, s3
	ds_store_2addr_b64 v203, v[196:197], v[194:195] offset1:1
.LBB75_323:
	s_or_b32 exec_lo, exec_lo, s4
	s_waitcnt lgkmcnt(0)
	s_barrier
	buffer_gl0_inv
	ds_load_2addr_b64 v[188:191], v203 offset1:1
	s_mov_b32 s3, exec_lo
	v_cmpx_lt_u32_e32 35, v202
	s_cbranch_execz .LBB75_325
; %bb.324:
	s_waitcnt lgkmcnt(0)
	v_mul_f64 v[192:193], v[188:189], v[10:11]
	v_mul_f64 v[10:11], v[190:191], v[10:11]
	s_delay_alu instid0(VALU_DEP_2) | instskip(SKIP_4) | instid1(VALU_DEP_1)
	v_fma_f64 v[196:197], v[190:191], v[8:9], v[192:193]
	ds_load_2addr_b64 v[192:195], v204 offset0:72 offset1:73
	v_fma_f64 v[8:9], v[188:189], v[8:9], -v[10:11]
	s_waitcnt lgkmcnt(0)
	v_mul_f64 v[10:11], v[194:195], v[196:197]
	v_fma_f64 v[10:11], v[192:193], v[8:9], -v[10:11]
	v_mul_f64 v[192:193], v[192:193], v[196:197]
	s_delay_alu instid0(VALU_DEP_2) | instskip(NEXT) | instid1(VALU_DEP_2)
	v_add_f64 v[4:5], v[4:5], -v[10:11]
	v_fma_f64 v[192:193], v[194:195], v[8:9], v[192:193]
	s_delay_alu instid0(VALU_DEP_1) | instskip(SKIP_3) | instid1(VALU_DEP_1)
	v_add_f64 v[6:7], v[6:7], -v[192:193]
	ds_load_2addr_b64 v[192:195], v204 offset0:74 offset1:75
	s_waitcnt lgkmcnt(0)
	v_mul_f64 v[10:11], v[194:195], v[196:197]
	v_fma_f64 v[10:11], v[192:193], v[8:9], -v[10:11]
	v_mul_f64 v[192:193], v[192:193], v[196:197]
	s_delay_alu instid0(VALU_DEP_2) | instskip(NEXT) | instid1(VALU_DEP_2)
	v_add_f64 v[0:1], v[0:1], -v[10:11]
	v_fma_f64 v[192:193], v[194:195], v[8:9], v[192:193]
	v_dual_mov_b32 v10, v196 :: v_dual_mov_b32 v11, v197
	s_delay_alu instid0(VALU_DEP_2)
	v_add_f64 v[2:3], v[2:3], -v[192:193]
.LBB75_325:
	s_or_b32 exec_lo, exec_lo, s3
	s_delay_alu instid0(SALU_CYCLE_1)
	s_mov_b32 s4, exec_lo
	s_waitcnt lgkmcnt(0)
	s_barrier
	buffer_gl0_inv
	v_cmpx_eq_u32_e32 36, v202
	s_cbranch_execz .LBB75_332
; %bb.326:
	ds_store_2addr_b64 v203, v[4:5], v[6:7] offset1:1
	ds_store_2addr_b64 v204, v[0:1], v[2:3] offset0:74 offset1:75
	ds_load_2addr_b64 v[192:195], v203 offset1:1
	s_waitcnt lgkmcnt(0)
	v_cmp_neq_f64_e32 vcc_lo, 0, v[192:193]
	v_cmp_neq_f64_e64 s3, 0, v[194:195]
	s_delay_alu instid0(VALU_DEP_1) | instskip(NEXT) | instid1(SALU_CYCLE_1)
	s_or_b32 s3, vcc_lo, s3
	s_and_b32 exec_lo, exec_lo, s3
	s_cbranch_execz .LBB75_332
; %bb.327:
	v_cmp_gt_f64_e32 vcc_lo, 0, v[192:193]
	v_xor_b32_e32 v196, 0x80000000, v193
	v_xor_b32_e32 v198, 0x80000000, v195
	s_mov_b32 s3, exec_lo
                                        ; implicit-def: $vgpr200_vgpr201
	s_delay_alu instid0(VALU_DEP_2) | instskip(SKIP_4) | instid1(VALU_DEP_1)
	v_cndmask_b32_e32 v197, v193, v196, vcc_lo
	v_cndmask_b32_e32 v196, v192, v192, vcc_lo
	v_cmp_gt_f64_e32 vcc_lo, 0, v[194:195]
	v_cndmask_b32_e32 v199, v195, v198, vcc_lo
	v_cndmask_b32_e32 v198, v194, v194, vcc_lo
	v_cmpx_ngt_f64_e32 v[196:197], v[198:199]
	s_xor_b32 s3, exec_lo, s3
                                        ; implicit-def: $vgpr196_vgpr197_vgpr198_vgpr199
	s_cbranch_execz .LBB75_329
; %bb.328:
	v_div_scale_f64 v[196:197], null, v[194:195], v[194:195], v[192:193]
	v_dual_mov_b32 v152, v205 :: v_dual_mov_b32 v153, v206
	v_div_scale_f64 v[205:206], vcc_lo, v[192:193], v[194:195], v[192:193]
	s_delay_alu instid0(VALU_DEP_3) | instskip(SKIP_2) | instid1(VALU_DEP_1)
	v_rcp_f64_e32 v[198:199], v[196:197]
	s_waitcnt_depctr 0xfff
	v_fma_f64 v[200:201], -v[196:197], v[198:199], 1.0
	v_fma_f64 v[198:199], v[198:199], v[200:201], v[198:199]
	s_delay_alu instid0(VALU_DEP_1) | instskip(NEXT) | instid1(VALU_DEP_1)
	v_fma_f64 v[200:201], -v[196:197], v[198:199], 1.0
	v_fma_f64 v[198:199], v[198:199], v[200:201], v[198:199]
	s_delay_alu instid0(VALU_DEP_1) | instskip(NEXT) | instid1(VALU_DEP_1)
	v_mul_f64 v[200:201], v[205:206], v[198:199]
	v_fma_f64 v[196:197], -v[196:197], v[200:201], v[205:206]
	s_delay_alu instid0(VALU_DEP_1) | instskip(NEXT) | instid1(VALU_DEP_1)
	v_div_fmas_f64 v[196:197], v[196:197], v[198:199], v[200:201]
	v_div_fixup_f64 v[196:197], v[196:197], v[194:195], v[192:193]
	s_delay_alu instid0(VALU_DEP_1) | instskip(NEXT) | instid1(VALU_DEP_1)
	v_fma_f64 v[192:193], v[192:193], v[196:197], v[194:195]
	v_div_scale_f64 v[194:195], null, v[192:193], v[192:193], 1.0
	s_delay_alu instid0(VALU_DEP_1) | instskip(SKIP_2) | instid1(VALU_DEP_1)
	v_rcp_f64_e32 v[198:199], v[194:195]
	s_waitcnt_depctr 0xfff
	v_fma_f64 v[200:201], -v[194:195], v[198:199], 1.0
	v_fma_f64 v[198:199], v[198:199], v[200:201], v[198:199]
	s_delay_alu instid0(VALU_DEP_1) | instskip(NEXT) | instid1(VALU_DEP_1)
	v_fma_f64 v[200:201], -v[194:195], v[198:199], 1.0
	v_fma_f64 v[198:199], v[198:199], v[200:201], v[198:199]
	v_div_scale_f64 v[200:201], vcc_lo, 1.0, v[192:193], 1.0
	s_delay_alu instid0(VALU_DEP_1) | instskip(NEXT) | instid1(VALU_DEP_1)
	v_mul_f64 v[205:206], v[200:201], v[198:199]
	v_fma_f64 v[194:195], -v[194:195], v[205:206], v[200:201]
	s_delay_alu instid0(VALU_DEP_1) | instskip(SKIP_1) | instid1(VALU_DEP_2)
	v_div_fmas_f64 v[194:195], v[194:195], v[198:199], v[205:206]
	v_dual_mov_b32 v206, v153 :: v_dual_mov_b32 v205, v152
	v_div_fixup_f64 v[198:199], v[194:195], v[192:193], 1.0
                                        ; implicit-def: $vgpr192_vgpr193
	s_delay_alu instid0(VALU_DEP_1)
	v_mul_f64 v[200:201], v[196:197], v[198:199]
	v_xor_b32_e32 v199, 0x80000000, v199
.LBB75_329:
	s_and_not1_saveexec_b32 s3, s3
	s_cbranch_execz .LBB75_331
; %bb.330:
	v_div_scale_f64 v[196:197], null, v[192:193], v[192:193], v[194:195]
	v_dual_mov_b32 v152, v205 :: v_dual_mov_b32 v153, v206
	v_div_scale_f64 v[205:206], vcc_lo, v[194:195], v[192:193], v[194:195]
	s_delay_alu instid0(VALU_DEP_3) | instskip(SKIP_2) | instid1(VALU_DEP_1)
	v_rcp_f64_e32 v[198:199], v[196:197]
	s_waitcnt_depctr 0xfff
	v_fma_f64 v[200:201], -v[196:197], v[198:199], 1.0
	v_fma_f64 v[198:199], v[198:199], v[200:201], v[198:199]
	s_delay_alu instid0(VALU_DEP_1) | instskip(NEXT) | instid1(VALU_DEP_1)
	v_fma_f64 v[200:201], -v[196:197], v[198:199], 1.0
	v_fma_f64 v[198:199], v[198:199], v[200:201], v[198:199]
	s_delay_alu instid0(VALU_DEP_1) | instskip(NEXT) | instid1(VALU_DEP_1)
	v_mul_f64 v[200:201], v[205:206], v[198:199]
	v_fma_f64 v[196:197], -v[196:197], v[200:201], v[205:206]
	s_delay_alu instid0(VALU_DEP_1) | instskip(NEXT) | instid1(VALU_DEP_1)
	v_div_fmas_f64 v[196:197], v[196:197], v[198:199], v[200:201]
	v_div_fixup_f64 v[196:197], v[196:197], v[192:193], v[194:195]
	s_delay_alu instid0(VALU_DEP_1) | instskip(NEXT) | instid1(VALU_DEP_1)
	v_fma_f64 v[192:193], v[194:195], v[196:197], v[192:193]
	v_div_scale_f64 v[194:195], null, v[192:193], v[192:193], 1.0
	s_delay_alu instid0(VALU_DEP_1) | instskip(SKIP_2) | instid1(VALU_DEP_1)
	v_rcp_f64_e32 v[198:199], v[194:195]
	s_waitcnt_depctr 0xfff
	v_fma_f64 v[200:201], -v[194:195], v[198:199], 1.0
	v_fma_f64 v[198:199], v[198:199], v[200:201], v[198:199]
	s_delay_alu instid0(VALU_DEP_1) | instskip(NEXT) | instid1(VALU_DEP_1)
	v_fma_f64 v[200:201], -v[194:195], v[198:199], 1.0
	v_fma_f64 v[198:199], v[198:199], v[200:201], v[198:199]
	v_div_scale_f64 v[200:201], vcc_lo, 1.0, v[192:193], 1.0
	s_delay_alu instid0(VALU_DEP_1) | instskip(NEXT) | instid1(VALU_DEP_1)
	v_mul_f64 v[205:206], v[200:201], v[198:199]
	v_fma_f64 v[194:195], -v[194:195], v[205:206], v[200:201]
	s_delay_alu instid0(VALU_DEP_1) | instskip(SKIP_1) | instid1(VALU_DEP_2)
	v_div_fmas_f64 v[194:195], v[194:195], v[198:199], v[205:206]
	v_dual_mov_b32 v206, v153 :: v_dual_mov_b32 v205, v152
	v_div_fixup_f64 v[200:201], v[194:195], v[192:193], 1.0
	s_delay_alu instid0(VALU_DEP_1)
	v_mul_f64 v[198:199], v[196:197], -v[200:201]
.LBB75_331:
	s_or_b32 exec_lo, exec_lo, s3
	ds_store_2addr_b64 v203, v[200:201], v[198:199] offset1:1
.LBB75_332:
	s_or_b32 exec_lo, exec_lo, s4
	s_waitcnt lgkmcnt(0)
	s_barrier
	buffer_gl0_inv
	ds_load_2addr_b64 v[192:195], v203 offset1:1
	s_mov_b32 s3, exec_lo
	v_cmpx_lt_u32_e32 36, v202
	s_cbranch_execz .LBB75_334
; %bb.333:
	s_waitcnt lgkmcnt(0)
	v_mul_f64 v[196:197], v[192:193], v[6:7]
	v_mul_f64 v[6:7], v[194:195], v[6:7]
	s_delay_alu instid0(VALU_DEP_2) | instskip(SKIP_4) | instid1(VALU_DEP_1)
	v_fma_f64 v[200:201], v[194:195], v[4:5], v[196:197]
	ds_load_2addr_b64 v[196:199], v204 offset0:74 offset1:75
	v_fma_f64 v[4:5], v[192:193], v[4:5], -v[6:7]
	s_waitcnt lgkmcnt(0)
	v_mul_f64 v[6:7], v[198:199], v[200:201]
	v_fma_f64 v[6:7], v[196:197], v[4:5], -v[6:7]
	v_mul_f64 v[196:197], v[196:197], v[200:201]
	s_delay_alu instid0(VALU_DEP_2) | instskip(NEXT) | instid1(VALU_DEP_2)
	v_add_f64 v[0:1], v[0:1], -v[6:7]
	v_fma_f64 v[196:197], v[198:199], v[4:5], v[196:197]
	v_dual_mov_b32 v6, v200 :: v_dual_mov_b32 v7, v201
	s_delay_alu instid0(VALU_DEP_2)
	v_add_f64 v[2:3], v[2:3], -v[196:197]
.LBB75_334:
	s_or_b32 exec_lo, exec_lo, s3
	s_delay_alu instid0(SALU_CYCLE_1)
	s_mov_b32 s4, exec_lo
	s_waitcnt lgkmcnt(0)
	s_barrier
	buffer_gl0_inv
	v_cmpx_eq_u32_e32 37, v202
	s_cbranch_execz .LBB75_341
; %bb.335:
	v_cmp_neq_f64_e32 vcc_lo, 0, v[0:1]
	v_cmp_neq_f64_e64 s3, 0, v[2:3]
	ds_store_2addr_b64 v203, v[0:1], v[2:3] offset1:1
	s_or_b32 s3, vcc_lo, s3
	s_delay_alu instid0(SALU_CYCLE_1)
	s_and_b32 exec_lo, exec_lo, s3
	s_cbranch_execz .LBB75_341
; %bb.336:
	v_cmp_gt_f64_e32 vcc_lo, 0, v[0:1]
	v_xor_b32_e32 v196, 0x80000000, v1
	v_xor_b32_e32 v198, 0x80000000, v3
	s_mov_b32 s3, exec_lo
                                        ; implicit-def: $vgpr200_vgpr201
	s_delay_alu instid0(VALU_DEP_2) | instskip(SKIP_4) | instid1(VALU_DEP_1)
	v_cndmask_b32_e32 v197, v1, v196, vcc_lo
	v_cndmask_b32_e32 v196, v0, v0, vcc_lo
	v_cmp_gt_f64_e32 vcc_lo, 0, v[2:3]
	v_cndmask_b32_e32 v199, v3, v198, vcc_lo
	v_cndmask_b32_e32 v198, v2, v2, vcc_lo
	v_cmpx_ngt_f64_e32 v[196:197], v[198:199]
	s_xor_b32 s3, exec_lo, s3
                                        ; implicit-def: $vgpr196_vgpr197_vgpr198_vgpr199
	s_cbranch_execz .LBB75_338
; %bb.337:
	v_div_scale_f64 v[196:197], null, v[2:3], v[2:3], v[0:1]
	v_dual_mov_b32 v154, v205 :: v_dual_mov_b32 v155, v206
	v_div_scale_f64 v[204:205], vcc_lo, v[0:1], v[2:3], v[0:1]
	v_dual_mov_b32 v152, v253 :: v_dual_mov_b32 v153, v254
	v_dual_mov_b32 v255, v252 :: v_dual_mov_b32 v254, v251
	;; [unrolled: 1-line block ×16, first 2 shown]
	v_rcp_f64_e32 v[198:199], v[196:197]
	v_dual_mov_b32 v225, v222 :: v_dual_mov_b32 v224, v221
	v_dual_mov_b32 v223, v220 :: v_dual_mov_b32 v222, v219
	;; [unrolled: 1-line block ×8, first 2 shown]
	s_delay_alu instid0(TRANS32_DEP_1) | instskip(NEXT) | instid1(VALU_DEP_1)
	v_fma_f64 v[200:201], -v[196:197], v[198:199], 1.0
	v_fma_f64 v[198:199], v[198:199], v[200:201], v[198:199]
	s_delay_alu instid0(VALU_DEP_1) | instskip(NEXT) | instid1(VALU_DEP_1)
	v_fma_f64 v[200:201], -v[196:197], v[198:199], 1.0
	v_fma_f64 v[198:199], v[198:199], v[200:201], v[198:199]
	s_delay_alu instid0(VALU_DEP_1) | instskip(NEXT) | instid1(VALU_DEP_1)
	v_mul_f64 v[200:201], v[204:205], v[198:199]
	v_fma_f64 v[196:197], -v[196:197], v[200:201], v[204:205]
	s_delay_alu instid0(VALU_DEP_1) | instskip(NEXT) | instid1(VALU_DEP_1)
	v_div_fmas_f64 v[196:197], v[196:197], v[198:199], v[200:201]
	v_div_fixup_f64 v[196:197], v[196:197], v[2:3], v[0:1]
	s_delay_alu instid0(VALU_DEP_1) | instskip(NEXT) | instid1(VALU_DEP_1)
	v_fma_f64 v[198:199], v[0:1], v[196:197], v[2:3]
	v_div_scale_f64 v[200:201], null, v[198:199], v[198:199], 1.0
	s_delay_alu instid0(VALU_DEP_1) | instskip(SKIP_2) | instid1(VALU_DEP_1)
	v_rcp_f64_e32 v[204:205], v[200:201]
	s_waitcnt_depctr 0xfff
	v_fma_f64 v[206:207], -v[200:201], v[204:205], 1.0
	v_fma_f64 v[204:205], v[204:205], v[206:207], v[204:205]
	s_delay_alu instid0(VALU_DEP_1) | instskip(NEXT) | instid1(VALU_DEP_1)
	v_fma_f64 v[206:207], -v[200:201], v[204:205], 1.0
	v_fma_f64 v[204:205], v[204:205], v[206:207], v[204:205]
	v_div_scale_f64 v[206:207], vcc_lo, 1.0, v[198:199], 1.0
	s_delay_alu instid0(VALU_DEP_1) | instskip(NEXT) | instid1(VALU_DEP_1)
	v_mul_f64 v[208:209], v[206:207], v[204:205]
	v_fma_f64 v[200:201], -v[200:201], v[208:209], v[206:207]
	s_delay_alu instid0(VALU_DEP_1)
	v_div_fmas_f64 v[200:201], v[200:201], v[204:205], v[208:209]
	v_dual_mov_b32 v206, v155 :: v_dual_mov_b32 v205, v154
	v_dual_mov_b32 v207, v210 :: v_dual_mov_b32 v208, v211
	;; [unrolled: 1-line block ×19, first 2 shown]
	v_div_fixup_f64 v[198:199], v[200:201], v[198:199], 1.0
	v_dual_mov_b32 v243, v246 :: v_dual_mov_b32 v244, v247
	v_dual_mov_b32 v245, v248 :: v_dual_mov_b32 v246, v249
	;; [unrolled: 1-line block ×6, first 2 shown]
	v_mul_f64 v[200:201], v[196:197], v[198:199]
	v_xor_b32_e32 v199, 0x80000000, v199
.LBB75_338:
	s_and_not1_saveexec_b32 s3, s3
	s_cbranch_execz .LBB75_340
; %bb.339:
	v_div_scale_f64 v[196:197], null, v[0:1], v[0:1], v[2:3]
	v_dual_mov_b32 v154, v205 :: v_dual_mov_b32 v155, v206
	v_div_scale_f64 v[204:205], vcc_lo, v[2:3], v[0:1], v[2:3]
	v_dual_mov_b32 v152, v253 :: v_dual_mov_b32 v153, v254
	v_dual_mov_b32 v255, v252 :: v_dual_mov_b32 v254, v251
	;; [unrolled: 1-line block ×16, first 2 shown]
	v_rcp_f64_e32 v[198:199], v[196:197]
	v_dual_mov_b32 v225, v222 :: v_dual_mov_b32 v224, v221
	v_dual_mov_b32 v223, v220 :: v_dual_mov_b32 v222, v219
	;; [unrolled: 1-line block ×8, first 2 shown]
	s_delay_alu instid0(TRANS32_DEP_1) | instskip(NEXT) | instid1(VALU_DEP_1)
	v_fma_f64 v[200:201], -v[196:197], v[198:199], 1.0
	v_fma_f64 v[198:199], v[198:199], v[200:201], v[198:199]
	s_delay_alu instid0(VALU_DEP_1) | instskip(NEXT) | instid1(VALU_DEP_1)
	v_fma_f64 v[200:201], -v[196:197], v[198:199], 1.0
	v_fma_f64 v[198:199], v[198:199], v[200:201], v[198:199]
	s_delay_alu instid0(VALU_DEP_1) | instskip(NEXT) | instid1(VALU_DEP_1)
	v_mul_f64 v[200:201], v[204:205], v[198:199]
	v_fma_f64 v[196:197], -v[196:197], v[200:201], v[204:205]
	s_delay_alu instid0(VALU_DEP_1) | instskip(NEXT) | instid1(VALU_DEP_1)
	v_div_fmas_f64 v[196:197], v[196:197], v[198:199], v[200:201]
	v_div_fixup_f64 v[196:197], v[196:197], v[0:1], v[2:3]
	s_delay_alu instid0(VALU_DEP_1) | instskip(NEXT) | instid1(VALU_DEP_1)
	v_fma_f64 v[198:199], v[2:3], v[196:197], v[0:1]
	v_div_scale_f64 v[200:201], null, v[198:199], v[198:199], 1.0
	s_delay_alu instid0(VALU_DEP_1) | instskip(SKIP_2) | instid1(VALU_DEP_1)
	v_rcp_f64_e32 v[204:205], v[200:201]
	s_waitcnt_depctr 0xfff
	v_fma_f64 v[206:207], -v[200:201], v[204:205], 1.0
	v_fma_f64 v[204:205], v[204:205], v[206:207], v[204:205]
	s_delay_alu instid0(VALU_DEP_1) | instskip(NEXT) | instid1(VALU_DEP_1)
	v_fma_f64 v[206:207], -v[200:201], v[204:205], 1.0
	v_fma_f64 v[204:205], v[204:205], v[206:207], v[204:205]
	v_div_scale_f64 v[206:207], vcc_lo, 1.0, v[198:199], 1.0
	s_delay_alu instid0(VALU_DEP_1) | instskip(NEXT) | instid1(VALU_DEP_1)
	v_mul_f64 v[208:209], v[206:207], v[204:205]
	v_fma_f64 v[200:201], -v[200:201], v[208:209], v[206:207]
	s_delay_alu instid0(VALU_DEP_1)
	v_div_fmas_f64 v[200:201], v[200:201], v[204:205], v[208:209]
	v_dual_mov_b32 v206, v155 :: v_dual_mov_b32 v205, v154
	v_dual_mov_b32 v207, v210 :: v_dual_mov_b32 v208, v211
	;; [unrolled: 1-line block ×19, first 2 shown]
	v_div_fixup_f64 v[200:201], v[200:201], v[198:199], 1.0
	v_dual_mov_b32 v243, v246 :: v_dual_mov_b32 v244, v247
	v_dual_mov_b32 v245, v248 :: v_dual_mov_b32 v246, v249
	;; [unrolled: 1-line block ×6, first 2 shown]
	v_mul_f64 v[198:199], v[196:197], -v[200:201]
.LBB75_340:
	s_or_b32 exec_lo, exec_lo, s3
	ds_store_2addr_b64 v203, v[200:201], v[198:199] offset1:1
.LBB75_341:
	s_or_b32 exec_lo, exec_lo, s4
	s_waitcnt lgkmcnt(0)
	s_barrier
	buffer_gl0_inv
	ds_load_2addr_b64 v[196:199], v203 offset1:1
	s_mov_b32 s3, exec_lo
	v_cmpx_lt_u32_e32 37, v202
	s_cbranch_execz .LBB75_343
; %bb.342:
	s_waitcnt lgkmcnt(0)
	v_mul_f64 v[200:201], v[198:199], v[2:3]
	v_mul_f64 v[2:3], v[196:197], v[2:3]
	s_delay_alu instid0(VALU_DEP_2) | instskip(NEXT) | instid1(VALU_DEP_2)
	v_fma_f64 v[200:201], v[196:197], v[0:1], -v[200:201]
	v_fma_f64 v[2:3], v[198:199], v[0:1], v[2:3]
	s_delay_alu instid0(VALU_DEP_2)
	v_dual_mov_b32 v0, v200 :: v_dual_mov_b32 v1, v201
.LBB75_343:
	s_or_b32 exec_lo, exec_lo, s3
	s_waitcnt lgkmcnt(0)
	s_barrier
	buffer_gl0_inv
	s_and_saveexec_b32 s12, s2
	s_cbranch_execz .LBB75_346
; %bb.344:
	scratch_load_b128 v[152:155], off, off offset:112 ; 16-byte Folded Reload
	s_load_b64 s[14:15], s[0:1], 0x28
	s_waitcnt vmcnt(0)
	v_cmp_eq_f64_e32 vcc_lo, 0, v[152:153]
	v_cmp_eq_f64_e64 s2, 0, v[154:155]
	scratch_load_b128 v[152:155], off, off offset:128 ; 16-byte Folded Reload
	s_and_b32 s2, vcc_lo, s2
	s_delay_alu instid0(SALU_CYCLE_1)
	v_cndmask_b32_e64 v200, 0, 1, s2
	s_waitcnt vmcnt(0)
	v_cmp_neq_f64_e64 s3, 0, v[152:153]
	v_cmp_neq_f64_e64 s4, 0, v[154:155]
	scratch_load_b128 v[152:155], off, off offset:144 ; 16-byte Folded Reload
	s_or_b32 s3, s3, s4
	s_delay_alu instid0(SALU_CYCLE_1) | instskip(SKIP_1) | instid1(VALU_DEP_1)
	s_or_b32 vcc_lo, s3, s2
	v_cndmask_b32_e32 v200, 2, v200, vcc_lo
	v_cmp_eq_u32_e64 s3, 0, v200
	s_waitcnt vmcnt(0)
	v_cmp_eq_f64_e64 s5, 0, v[152:153]
	v_cmp_eq_f64_e64 s6, 0, v[154:155]
	scratch_load_b128 v[152:155], off, off offset:160 ; 16-byte Folded Reload
	s_and_b32 s4, s5, s6
	s_delay_alu instid0(SALU_CYCLE_1) | instskip(NEXT) | instid1(SALU_CYCLE_1)
	s_and_b32 s3, s4, s3
	v_cndmask_b32_e64 v200, v200, 3, s3
	s_delay_alu instid0(VALU_DEP_1)
	v_cmp_eq_u32_e64 s5, 0, v200
	s_waitcnt vmcnt(0)
	v_cmp_eq_f64_e64 s7, 0, v[152:153]
	v_cmp_eq_f64_e64 s8, 0, v[154:155]
	scratch_load_b128 v[152:155], off, off offset:176 ; 16-byte Folded Reload
	s_and_b32 s6, s7, s8
	s_delay_alu instid0(SALU_CYCLE_1) | instskip(NEXT) | instid1(SALU_CYCLE_1)
	s_and_b32 s5, s6, s5
	v_cndmask_b32_e64 v200, v200, 4, s5
	s_delay_alu instid0(VALU_DEP_1)
	;; [unrolled: 10-line block ×3, first 2 shown]
	v_cmp_eq_u32_e64 s7, 0, v200
	s_waitcnt vmcnt(0)
	v_cmp_eq_f64_e32 vcc_lo, 0, v[152:153]
	v_cmp_eq_f64_e64 s2, 0, v[154:155]
	scratch_load_b128 v[152:155], off, off offset:208 ; 16-byte Folded Reload
	s_and_b32 s2, vcc_lo, s2
	s_delay_alu instid0(SALU_CYCLE_1) | instskip(NEXT) | instid1(SALU_CYCLE_1)
	s_and_b32 s2, s2, s7
	v_cndmask_b32_e64 v200, v200, 6, s2
	s_delay_alu instid0(VALU_DEP_1)
	v_cmp_eq_u32_e32 vcc_lo, 0, v200
	s_waitcnt vmcnt(0)
	v_cmp_eq_f64_e64 s3, 0, v[152:153]
	v_cmp_eq_f64_e64 s4, 0, v[154:155]
	scratch_load_b128 v[152:155], off, off offset:224 ; 16-byte Folded Reload
	s_and_b32 s3, s3, s4
	s_delay_alu instid0(SALU_CYCLE_1) | instskip(NEXT) | instid1(SALU_CYCLE_1)
	s_and_b32 s0, s3, vcc_lo
	v_cndmask_b32_e64 v200, v200, 7, s0
	s_delay_alu instid0(VALU_DEP_1)
	v_cmp_eq_u32_e64 s1, 0, v200
	s_waitcnt vmcnt(0)
	v_cmp_eq_f64_e64 s5, 0, v[152:153]
	v_cmp_eq_f64_e64 s6, 0, v[154:155]
	scratch_load_b128 v[152:155], off, off offset:240 ; 16-byte Folded Reload
	s_and_b32 s3, s5, s6
	s_delay_alu instid0(SALU_CYCLE_1) | instskip(NEXT) | instid1(SALU_CYCLE_1)
	s_and_b32 s1, s3, s1
	v_cndmask_b32_e64 v202, v200, 8, s1
	v_lshlrev_b64 v[200:201], 2, v[211:212]
	s_delay_alu instid0(VALU_DEP_2) | instskip(SKIP_1) | instid1(VALU_DEP_2)
	v_cmp_eq_u32_e64 s4, 0, v202
	s_waitcnt lgkmcnt(0)
	v_add_co_u32 v200, s5, s14, v200
	s_delay_alu instid0(VALU_DEP_1)
	v_add_co_ci_u32_e64 v201, s5, s15, v201, s5
	s_waitcnt vmcnt(0)
	v_cmp_eq_f64_e64 s8, 0, v[152:153]
	v_cmp_eq_f64_e64 s9, 0, v[154:155]
	scratch_load_b128 v[152:155], off, off offset:256 ; 16-byte Folded Reload
	s_and_b32 s6, s8, s9
	s_delay_alu instid0(SALU_CYCLE_1) | instskip(NEXT) | instid1(SALU_CYCLE_1)
	s_and_b32 s4, s6, s4
	v_cndmask_b32_e64 v203, v202, 9, s4
	global_load_b32 v202, v[200:201], off
	v_cmp_eq_u32_e64 s6, 0, v203
	s_waitcnt vmcnt(1)
	v_cmp_eq_f64_e64 s2, 0, v[152:153]
	v_cmp_eq_f64_e64 s7, 0, v[154:155]
	scratch_load_b128 v[152:155], off, off offset:272 ; 16-byte Folded Reload
	s_and_b32 s2, s2, s7
	s_delay_alu instid0(SALU_CYCLE_1) | instskip(NEXT) | instid1(SALU_CYCLE_1)
	s_and_b32 s2, s2, s6
	v_cndmask_b32_e64 v203, v203, 10, s2
	s_delay_alu instid0(VALU_DEP_1)
	v_cmp_eq_u32_e64 s7, 0, v203
	s_waitcnt vmcnt(0)
	v_cmp_eq_f64_e32 vcc_lo, 0, v[152:153]
	v_cmp_eq_f64_e64 s0, 0, v[154:155]
	scratch_load_b128 v[152:155], off, off offset:288 ; 16-byte Folded Reload
	s_and_b32 s0, vcc_lo, s0
	s_delay_alu instid0(SALU_CYCLE_1) | instskip(NEXT) | instid1(SALU_CYCLE_1)
	s_and_b32 s0, s0, s7
	v_cndmask_b32_e64 v203, v203, 11, s0
	s_delay_alu instid0(VALU_DEP_1)
	v_cmp_eq_u32_e64 s7, 0, v203
	s_waitcnt vmcnt(0)
	v_cmp_eq_f64_e64 s1, 0, v[152:153]
	v_cmp_eq_f64_e64 s3, 0, v[154:155]
	scratch_load_b128 v[152:155], off, off offset:304 ; 16-byte Folded Reload
	s_and_b32 s1, s1, s3
	s_delay_alu instid0(SALU_CYCLE_1) | instskip(NEXT) | instid1(SALU_CYCLE_1)
	s_and_b32 s1, s1, s7
	v_cndmask_b32_e64 v203, v203, 12, s1
	s_delay_alu instid0(VALU_DEP_1)
	v_cmp_eq_u32_e64 s7, 0, v203
	s_waitcnt vmcnt(0)
	v_cmp_eq_f64_e64 s4, 0, v[152:153]
	v_cmp_eq_f64_e64 s5, 0, v[154:155]
	scratch_load_b128 v[152:155], off, off offset:320 ; 16-byte Folded Reload
	s_and_b32 s4, s4, s5
	s_delay_alu instid0(SALU_CYCLE_1) | instskip(NEXT) | instid1(SALU_CYCLE_1)
	s_and_b32 s4, s4, s7
	v_cndmask_b32_e64 v203, v203, 13, s4
	s_delay_alu instid0(VALU_DEP_1)
	v_cmp_eq_u32_e64 s7, 0, v203
	s_waitcnt vmcnt(0)
	v_cmp_eq_f64_e64 s2, 0, v[152:153]
	v_cmp_eq_f64_e64 s6, 0, v[154:155]
	scratch_load_b128 v[152:155], off, off offset:336 ; 16-byte Folded Reload
	s_and_b32 s2, s2, s6
	s_delay_alu instid0(SALU_CYCLE_1) | instskip(NEXT) | instid1(SALU_CYCLE_1)
	s_and_b32 s2, s2, s7
	v_cndmask_b32_e64 v203, v203, 14, s2
	s_delay_alu instid0(VALU_DEP_1)
	v_cmp_eq_u32_e64 s7, 0, v203
	s_waitcnt vmcnt(0)
	v_cmp_eq_f64_e32 vcc_lo, 0, v[152:153]
	v_cmp_eq_f64_e64 s0, 0, v[154:155]
	scratch_load_b128 v[152:155], off, off offset:352 ; 16-byte Folded Reload
	s_and_b32 s0, vcc_lo, s0
	s_delay_alu instid0(SALU_CYCLE_1) | instskip(NEXT) | instid1(SALU_CYCLE_1)
	s_and_b32 s0, s0, s7
	v_cndmask_b32_e64 v203, v203, 15, s0
	s_delay_alu instid0(VALU_DEP_1)
	v_cmp_eq_u32_e64 s7, 0, v203
	s_waitcnt vmcnt(0)
	v_cmp_eq_f64_e64 s1, 0, v[152:153]
	v_cmp_eq_f64_e64 s3, 0, v[154:155]
	scratch_load_b128 v[152:155], off, off offset:368 ; 16-byte Folded Reload
	s_and_b32 s1, s1, s3
	s_delay_alu instid0(SALU_CYCLE_1) | instskip(NEXT) | instid1(SALU_CYCLE_1)
	s_and_b32 s1, s1, s7
	v_cndmask_b32_e64 v203, v203, 16, s1
	s_delay_alu instid0(VALU_DEP_1)
	v_cmp_eq_u32_e64 s7, 0, v203
	s_waitcnt vmcnt(0)
	v_cmp_eq_f64_e64 s4, 0, v[152:153]
	v_cmp_eq_f64_e64 s5, 0, v[154:155]
	scratch_load_b128 v[152:155], off, off offset:384 ; 16-byte Folded Reload
	s_and_b32 s4, s4, s5
	s_delay_alu instid0(SALU_CYCLE_1) | instskip(NEXT) | instid1(SALU_CYCLE_1)
	s_and_b32 s4, s4, s7
	v_cndmask_b32_e64 v203, v203, 17, s4
	s_delay_alu instid0(VALU_DEP_1)
	;; [unrolled: 40-line block ×3, first 2 shown]
	v_cmp_eq_u32_e64 s7, 0, v203
	s_waitcnt vmcnt(0)
	v_cmp_eq_f64_e64 s2, 0, v[152:153]
	v_cmp_eq_f64_e64 s6, 0, v[154:155]
	scratch_load_b128 v[152:155], off, off offset:464 ; 16-byte Folded Reload
	s_and_b32 s2, s2, s6
	s_delay_alu instid0(SALU_CYCLE_1) | instskip(NEXT) | instid1(SALU_CYCLE_1)
	s_and_b32 s2, s2, s7
	v_cndmask_b32_e64 v203, v203, 22, s2
	s_delay_alu instid0(VALU_DEP_1)
	v_cmp_eq_u32_e64 s7, 0, v203
	s_waitcnt vmcnt(0)
	v_cmp_eq_f64_e32 vcc_lo, 0, v[152:153]
	v_cmp_eq_f64_e64 s0, 0, v[154:155]
	scratch_load_b128 v[152:155], off, off offset:480 ; 16-byte Folded Reload
	s_and_b32 s0, vcc_lo, s0
	s_delay_alu instid0(SALU_CYCLE_1) | instskip(NEXT) | instid1(SALU_CYCLE_1)
	s_and_b32 s0, s0, s7
	v_cndmask_b32_e64 v203, v203, 23, s0
	s_delay_alu instid0(VALU_DEP_1)
	v_cmp_eq_u32_e64 s7, 0, v203
	s_waitcnt vmcnt(0)
	v_cmp_eq_f64_e64 s1, 0, v[152:153]
	v_cmp_eq_f64_e64 s3, 0, v[154:155]
	scratch_load_b128 v[152:155], off, off offset:496 ; 16-byte Folded Reload
	s_and_b32 s1, s1, s3
	v_cmp_eq_f64_e64 s3, 0, v[158:159]
	s_and_b32 s1, s1, s7
	s_waitcnt vmcnt(0)
	v_cmp_eq_f64_e64 s4, 0, v[152:153]
	v_cmp_eq_f64_e64 s5, 0, v[154:155]
	scratch_load_b128 v[152:155], off, off offset:512 ; 16-byte Folded Reload
	s_and_b32 s4, s4, s5
	v_cmp_eq_f64_e64 s5, 0, v[162:163]
	s_waitcnt vmcnt(0)
	v_cmp_eq_f64_e64 s2, 0, v[152:153]
	v_cmp_eq_f64_e64 s6, 0, v[154:155]
	scratch_load_b128 v[152:155], off, off offset:528 ; 16-byte Folded Reload
	s_and_b32 s2, s2, s6
	v_cmp_eq_f64_e64 s6, 0, v[166:167]
	s_waitcnt vmcnt(0)
	v_cmp_eq_f64_e32 vcc_lo, 0, v[152:153]
	v_cmp_eq_f64_e64 s0, 0, v[154:155]
	v_cndmask_b32_e64 v152, v203, 24, s1
	v_cmp_eq_f64_e64 s1, 0, v[156:157]
	s_delay_alu instid0(VALU_DEP_2) | instskip(NEXT) | instid1(VALU_DEP_1)
	v_cmp_eq_u32_e64 s7, 0, v152
	s_and_b32 s4, s4, s7
	s_delay_alu instid0(SALU_CYCLE_1) | instskip(SKIP_1) | instid1(VALU_DEP_2)
	v_cndmask_b32_e64 v152, v152, 25, s4
	v_cmp_eq_f64_e64 s4, 0, v[160:161]
	v_cmp_eq_u32_e64 s7, 0, v152
	s_delay_alu instid0(VALU_DEP_1) | instskip(NEXT) | instid1(SALU_CYCLE_1)
	s_and_b32 s2, s2, s7
	v_cndmask_b32_e64 v152, v152, 26, s2
	v_cmp_eq_f64_e64 s2, 0, v[164:165]
	s_delay_alu instid0(VALU_DEP_2) | instskip(SKIP_2) | instid1(VALU_DEP_2)
	v_cmp_eq_u32_e64 s7, 0, v152
	s_and_b32 s0, vcc_lo, s0
	v_cmp_eq_f64_e32 vcc_lo, 0, v[168:169]
	s_and_b32 s0, s0, s7
	s_and_b32 s1, s1, s3
	v_cndmask_b32_e64 v152, v152, 27, s0
	v_cmp_eq_f64_e64 s0, 0, v[170:171]
	v_cmp_eq_f64_e64 s3, 0, v[174:175]
	s_delay_alu instid0(VALU_DEP_3) | instskip(NEXT) | instid1(VALU_DEP_1)
	v_cmp_eq_u32_e64 s7, 0, v152
	s_and_b32 s1, s1, s7
	s_and_b32 s4, s4, s5
	v_cndmask_b32_e64 v152, v152, 28, s1
	v_cmp_eq_f64_e64 s1, 0, v[172:173]
	v_cmp_eq_f64_e64 s5, 0, v[178:179]
	s_delay_alu instid0(VALU_DEP_3) | instskip(NEXT) | instid1(VALU_DEP_1)
	v_cmp_eq_u32_e64 s7, 0, v152
	;; [unrolled: 7-line block ×3, first 2 shown]
	s_and_b32 s2, s2, s7
	s_delay_alu instid0(SALU_CYCLE_1) | instskip(SKIP_3) | instid1(VALU_DEP_3)
	v_cndmask_b32_e64 v152, v152, 30, s2
	v_cmp_eq_f64_e64 s2, 0, v[180:181]
	s_and_b32 s0, vcc_lo, s0
	v_cmp_eq_f64_e32 vcc_lo, 0, v[184:185]
	v_cmp_eq_u32_e64 s7, 0, v152
	s_delay_alu instid0(VALU_DEP_1) | instskip(NEXT) | instid1(SALU_CYCLE_1)
	s_and_b32 s0, s0, s7
	v_cndmask_b32_e64 v152, v152, 31, s0
	v_cmp_eq_f64_e64 s0, 0, v[186:187]
	s_and_b32 s1, s1, s3
	v_cmp_eq_f64_e64 s3, 0, v[190:191]
	s_delay_alu instid0(VALU_DEP_3) | instskip(NEXT) | instid1(VALU_DEP_1)
	v_cmp_eq_u32_e64 s7, 0, v152
	s_and_b32 s1, s1, s7
	s_delay_alu instid0(SALU_CYCLE_1) | instskip(SKIP_3) | instid1(VALU_DEP_3)
	v_cndmask_b32_e64 v152, v152, 32, s1
	v_cmp_eq_f64_e64 s1, 0, v[188:189]
	s_and_b32 s4, s4, s5
	v_cmp_eq_f64_e64 s5, 0, v[194:195]
	v_cmp_eq_u32_e64 s7, 0, v152
	s_delay_alu instid0(VALU_DEP_1) | instskip(NEXT) | instid1(SALU_CYCLE_1)
	s_and_b32 s4, s4, s7
	v_cndmask_b32_e64 v152, v152, 33, s4
	v_cmp_eq_f64_e64 s4, 0, v[192:193]
	s_and_b32 s2, s2, s6
	v_cmp_eq_f64_e64 s6, 0, v[198:199]
	s_delay_alu instid0(VALU_DEP_3) | instskip(NEXT) | instid1(VALU_DEP_1)
	v_cmp_eq_u32_e64 s7, 0, v152
	s_and_b32 s2, s2, s7
	s_delay_alu instid0(SALU_CYCLE_1) | instskip(SKIP_2) | instid1(VALU_DEP_2)
	v_cndmask_b32_e64 v152, v152, 34, s2
	v_cmp_eq_f64_e64 s2, 0, v[196:197]
	s_and_b32 s0, vcc_lo, s0
	v_cmp_eq_u32_e64 s7, 0, v152
	s_delay_alu instid0(VALU_DEP_1) | instskip(NEXT) | instid1(SALU_CYCLE_1)
	s_and_b32 s0, s0, s7
	v_cndmask_b32_e64 v152, v152, 35, s0
	s_and_b32 s0, s1, s3
	s_delay_alu instid0(VALU_DEP_1) | instskip(SKIP_1) | instid1(SALU_CYCLE_1)
	v_cmp_eq_u32_e32 vcc_lo, 0, v152
	s_and_b32 s0, s0, vcc_lo
	v_cndmask_b32_e64 v152, v152, 36, s0
	s_and_b32 s0, s4, s5
	s_delay_alu instid0(VALU_DEP_1) | instskip(SKIP_1) | instid1(SALU_CYCLE_1)
	v_cmp_eq_u32_e32 vcc_lo, 0, v152
	s_and_b32 s0, s0, vcc_lo
	v_cndmask_b32_e64 v152, v152, 37, s0
	s_and_b32 s0, s2, s6
	s_delay_alu instid0(VALU_DEP_1) | instskip(SKIP_3) | instid1(VALU_DEP_1)
	v_cmp_eq_u32_e32 vcc_lo, 0, v152
	s_and_b32 s0, s0, vcc_lo
	v_cmp_eq_u32_e32 vcc_lo, 0, v202
	v_cndmask_b32_e64 v152, v152, 38, s0
	v_cmp_ne_u32_e64 s0, 0, v152
	s_delay_alu instid0(VALU_DEP_1) | instskip(NEXT) | instid1(SALU_CYCLE_1)
	s_and_b32 s0, vcc_lo, s0
	s_and_b32 exec_lo, exec_lo, s0
	s_cbranch_execz .LBB75_346
; %bb.345:
	v_add_nc_u32_e32 v152, s11, v152
	global_store_b32 v[200:201], v152, off
.LBB75_346:
	s_or_b32 exec_lo, exec_lo, s12
	scratch_load_b64 v[152:153], off, off offset:96 ; 8-byte Folded Reload
	s_waitcnt vmcnt(0)
	global_store_b128 v[152:153], v[148:151], off
	scratch_load_b64 v[148:149], off, off offset:104 ; 8-byte Folded Reload
	s_waitcnt vmcnt(0)
	global_store_b128 v[148:149], v[144:147], off
	;; [unrolled: 3-line block ×13, first 2 shown]
	scratch_load_b64 v[100:101], off, off   ; 8-byte Folded Reload
	s_waitcnt vmcnt(0)
	s_clause 0x18
	global_store_b128 v[100:101], v[96:99], off
	global_store_b128 v[205:206], v[92:95], off
	;; [unrolled: 1-line block ×25, first 2 shown]
.LBB75_347:
	s_nop 0
	s_sendmsg sendmsg(MSG_DEALLOC_VGPRS)
	s_endpgm
	.section	.rodata,"a",@progbits
	.p2align	6, 0x0
	.amdhsa_kernel _ZN9rocsolver6v33100L23getf2_npvt_small_kernelILi38E19rocblas_complex_numIdEiiPKPS3_EEvT1_T3_lS7_lPT2_S7_S7_
		.amdhsa_group_segment_fixed_size 0
		.amdhsa_private_segment_fixed_size 548
		.amdhsa_kernarg_size 312
		.amdhsa_user_sgpr_count 14
		.amdhsa_user_sgpr_dispatch_ptr 0
		.amdhsa_user_sgpr_queue_ptr 0
		.amdhsa_user_sgpr_kernarg_segment_ptr 1
		.amdhsa_user_sgpr_dispatch_id 0
		.amdhsa_user_sgpr_private_segment_size 0
		.amdhsa_wavefront_size32 1
		.amdhsa_uses_dynamic_stack 0
		.amdhsa_enable_private_segment 1
		.amdhsa_system_sgpr_workgroup_id_x 1
		.amdhsa_system_sgpr_workgroup_id_y 1
		.amdhsa_system_sgpr_workgroup_id_z 0
		.amdhsa_system_sgpr_workgroup_info 0
		.amdhsa_system_vgpr_workitem_id 1
		.amdhsa_next_free_vgpr 256
		.amdhsa_next_free_sgpr 16
		.amdhsa_reserve_vcc 1
		.amdhsa_float_round_mode_32 0
		.amdhsa_float_round_mode_16_64 0
		.amdhsa_float_denorm_mode_32 3
		.amdhsa_float_denorm_mode_16_64 3
		.amdhsa_dx10_clamp 1
		.amdhsa_ieee_mode 1
		.amdhsa_fp16_overflow 0
		.amdhsa_workgroup_processor_mode 1
		.amdhsa_memory_ordered 1
		.amdhsa_forward_progress 0
		.amdhsa_shared_vgpr_count 0
		.amdhsa_exception_fp_ieee_invalid_op 0
		.amdhsa_exception_fp_denorm_src 0
		.amdhsa_exception_fp_ieee_div_zero 0
		.amdhsa_exception_fp_ieee_overflow 0
		.amdhsa_exception_fp_ieee_underflow 0
		.amdhsa_exception_fp_ieee_inexact 0
		.amdhsa_exception_int_div_zero 0
	.end_amdhsa_kernel
	.section	.text._ZN9rocsolver6v33100L23getf2_npvt_small_kernelILi38E19rocblas_complex_numIdEiiPKPS3_EEvT1_T3_lS7_lPT2_S7_S7_,"axG",@progbits,_ZN9rocsolver6v33100L23getf2_npvt_small_kernelILi38E19rocblas_complex_numIdEiiPKPS3_EEvT1_T3_lS7_lPT2_S7_S7_,comdat
.Lfunc_end75:
	.size	_ZN9rocsolver6v33100L23getf2_npvt_small_kernelILi38E19rocblas_complex_numIdEiiPKPS3_EEvT1_T3_lS7_lPT2_S7_S7_, .Lfunc_end75-_ZN9rocsolver6v33100L23getf2_npvt_small_kernelILi38E19rocblas_complex_numIdEiiPKPS3_EEvT1_T3_lS7_lPT2_S7_S7_
                                        ; -- End function
	.section	.AMDGPU.csdata,"",@progbits
; Kernel info:
; codeLenInByte = 86780
; NumSgprs: 18
; NumVgprs: 256
; ScratchSize: 548
; MemoryBound: 1
; FloatMode: 240
; IeeeMode: 1
; LDSByteSize: 0 bytes/workgroup (compile time only)
; SGPRBlocks: 2
; VGPRBlocks: 31
; NumSGPRsForWavesPerEU: 18
; NumVGPRsForWavesPerEU: 256
; Occupancy: 5
; WaveLimiterHint : 1
; COMPUTE_PGM_RSRC2:SCRATCH_EN: 1
; COMPUTE_PGM_RSRC2:USER_SGPR: 14
; COMPUTE_PGM_RSRC2:TRAP_HANDLER: 0
; COMPUTE_PGM_RSRC2:TGID_X_EN: 1
; COMPUTE_PGM_RSRC2:TGID_Y_EN: 1
; COMPUTE_PGM_RSRC2:TGID_Z_EN: 0
; COMPUTE_PGM_RSRC2:TIDIG_COMP_CNT: 1
	.section	.text._ZN9rocsolver6v33100L18getf2_small_kernelILi39E19rocblas_complex_numIdEiiPKPS3_EEvT1_T3_lS7_lPS7_llPT2_S7_S7_S9_l,"axG",@progbits,_ZN9rocsolver6v33100L18getf2_small_kernelILi39E19rocblas_complex_numIdEiiPKPS3_EEvT1_T3_lS7_lPS7_llPT2_S7_S7_S9_l,comdat
	.globl	_ZN9rocsolver6v33100L18getf2_small_kernelILi39E19rocblas_complex_numIdEiiPKPS3_EEvT1_T3_lS7_lPS7_llPT2_S7_S7_S9_l ; -- Begin function _ZN9rocsolver6v33100L18getf2_small_kernelILi39E19rocblas_complex_numIdEiiPKPS3_EEvT1_T3_lS7_lPS7_llPT2_S7_S7_S9_l
	.p2align	8
	.type	_ZN9rocsolver6v33100L18getf2_small_kernelILi39E19rocblas_complex_numIdEiiPKPS3_EEvT1_T3_lS7_lPS7_llPT2_S7_S7_S9_l,@function
_ZN9rocsolver6v33100L18getf2_small_kernelILi39E19rocblas_complex_numIdEiiPKPS3_EEvT1_T3_lS7_lPS7_llPT2_S7_S7_S9_l: ; @_ZN9rocsolver6v33100L18getf2_small_kernelILi39E19rocblas_complex_numIdEiiPKPS3_EEvT1_T3_lS7_lPS7_llPT2_S7_S7_S9_l
; %bb.0:
	s_clause 0x1
	s_load_b32 s2, s[0:1], 0x6c
	s_load_b64 s[12:13], s[0:1], 0x48
	v_bfe_u32 v156, v0, 10, 10
	s_waitcnt lgkmcnt(0)
	s_lshr_b32 s2, s2, 16
	s_delay_alu instid0(VALU_DEP_1) | instid1(SALU_CYCLE_1)
	v_mad_u64_u32 v[160:161], null, s15, s2, v[156:157]
	s_mov_b32 s2, exec_lo
	s_delay_alu instid0(VALU_DEP_1)
	v_cmpx_gt_i32_e64 s12, v160
	s_cbranch_execz .LBB76_822
; %bb.1:
	s_clause 0x1
	s_load_b128 s[4:7], s[0:1], 0x8
	s_load_b128 s[8:11], s[0:1], 0x50
	v_ashrrev_i32_e32 v161, 31, v160
	v_mov_b32_e32 v162, 0
	v_mov_b32_e32 v163, 0
	s_delay_alu instid0(VALU_DEP_3) | instskip(SKIP_1) | instid1(VALU_DEP_1)
	v_lshlrev_b64 v[1:2], 3, v[160:161]
	s_waitcnt lgkmcnt(0)
	v_add_co_u32 v1, vcc_lo, s4, v1
	s_delay_alu instid0(VALU_DEP_2)
	v_add_co_ci_u32_e32 v2, vcc_lo, s5, v2, vcc_lo
	s_cmp_eq_u64 s[8:9], 0
	s_cselect_b32 s4, -1, 0
	global_load_b64 v[1:2], v[1:2], off
	s_and_b32 vcc_lo, exec_lo, s4
	s_cbranch_vccnz .LBB76_3
; %bb.2:
	v_mul_lo_u32 v5, v161, s10
	v_mul_lo_u32 v6, v160, s11
	v_mad_u64_u32 v[3:4], null, v160, s10, 0
	s_delay_alu instid0(VALU_DEP_1) | instskip(NEXT) | instid1(VALU_DEP_1)
	v_add3_u32 v4, v4, v6, v5
	v_lshlrev_b64 v[3:4], 2, v[3:4]
	s_delay_alu instid0(VALU_DEP_1) | instskip(NEXT) | instid1(VALU_DEP_2)
	v_add_co_u32 v162, vcc_lo, s8, v3
	v_add_co_ci_u32_e32 v163, vcc_lo, s9, v4, vcc_lo
.LBB76_3:
	s_clause 0x1
	s_load_b32 s8, s[0:1], 0x18
	s_load_b32 s5, s[0:1], 0x0
	v_and_b32_e32 v171, 0x3ff, v0
	s_lshl_b64 s[2:3], s[6:7], 4
	s_waitcnt vmcnt(0)
	v_add_co_u32 v167, vcc_lo, v1, s2
	s_delay_alu instid0(VALU_DEP_2) | instskip(SKIP_1) | instid1(VALU_DEP_2)
	v_lshlrev_b32_e32 v157, 4, v171
	v_add_co_ci_u32_e32 v168, vcc_lo, s3, v2, vcc_lo
	v_add_co_u32 v2, vcc_lo, v167, v157
	s_delay_alu instid0(VALU_DEP_2)
	v_add_co_ci_u32_e32 v3, vcc_lo, 0, v168, vcc_lo
	s_waitcnt lgkmcnt(0)
	v_add3_u32 v0, s8, s8, v171
	s_ashr_i32 s9, s8, 31
	s_max_i32 s2, s5, 39
	s_lshl_b64 s[10:11], s[8:9], 4
	s_cmp_lt_i32 s5, 2
	v_add_nc_u32_e32 v4, s8, v0
	v_add_co_u32 v6, vcc_lo, v2, s10
	v_add_co_ci_u32_e32 v7, vcc_lo, s11, v3, vcc_lo
	s_delay_alu instid0(VALU_DEP_3)
	v_ashrrev_i32_e32 v5, 31, v4
	v_add_nc_u32_e32 v8, s8, v4
	s_clause 0x1
	global_load_b128 v[52:55], v[2:3], off
	global_load_b128 v[48:51], v[6:7], off
	v_ashrrev_i32_e32 v1, 31, v0
	v_lshlrev_b64 v[2:3], 4, v[4:5]
	v_ashrrev_i32_e32 v9, 31, v8
	v_add_nc_u32_e32 v4, s8, v8
	s_delay_alu instid0(VALU_DEP_4) | instskip(NEXT) | instid1(VALU_DEP_3)
	v_lshlrev_b64 v[0:1], 4, v[0:1]
	v_lshlrev_b64 v[6:7], 4, v[8:9]
	s_delay_alu instid0(VALU_DEP_3) | instskip(SKIP_1) | instid1(VALU_DEP_4)
	v_add_nc_u32_e32 v8, s8, v4
	v_ashrrev_i32_e32 v5, 31, v4
	v_add_co_u32 v0, vcc_lo, v167, v0
	v_add_co_ci_u32_e32 v1, vcc_lo, v168, v1, vcc_lo
	s_delay_alu instid0(VALU_DEP_4) | instskip(SKIP_3) | instid1(VALU_DEP_4)
	v_add_nc_u32_e32 v10, s8, v8
	v_ashrrev_i32_e32 v9, 31, v8
	v_add_co_u32 v2, vcc_lo, v167, v2
	v_lshlrev_b64 v[4:5], 4, v[4:5]
	v_add_nc_u32_e32 v12, s8, v10
	v_ashrrev_i32_e32 v11, 31, v10
	v_add_co_ci_u32_e32 v3, vcc_lo, v168, v3, vcc_lo
	v_add_co_u32 v6, vcc_lo, v167, v6
	s_delay_alu instid0(VALU_DEP_4) | instskip(SKIP_3) | instid1(VALU_DEP_4)
	v_add_nc_u32_e32 v14, s8, v12
	v_lshlrev_b64 v[8:9], 4, v[8:9]
	v_ashrrev_i32_e32 v13, 31, v12
	v_add_co_ci_u32_e32 v7, vcc_lo, v168, v7, vcc_lo
	v_add_nc_u32_e32 v16, s8, v14
	v_add_co_u32 v4, vcc_lo, v167, v4
	v_lshlrev_b64 v[10:11], 4, v[10:11]
	v_ashrrev_i32_e32 v15, 31, v14
	s_delay_alu instid0(VALU_DEP_4) | instskip(SKIP_2) | instid1(VALU_DEP_3)
	v_add_nc_u32_e32 v18, s8, v16
	v_add_co_ci_u32_e32 v5, vcc_lo, v168, v5, vcc_lo
	v_add_co_u32 v8, vcc_lo, v167, v8
	v_add_nc_u32_e32 v20, s8, v18
	v_lshlrev_b64 v[12:13], 4, v[12:13]
	v_ashrrev_i32_e32 v17, 31, v16
	v_add_co_ci_u32_e32 v9, vcc_lo, v168, v9, vcc_lo
	s_delay_alu instid0(VALU_DEP_4) | instskip(SKIP_3) | instid1(VALU_DEP_4)
	v_add_nc_u32_e32 v22, s8, v20
	v_add_co_u32 v10, vcc_lo, v167, v10
	v_lshlrev_b64 v[14:15], 4, v[14:15]
	v_ashrrev_i32_e32 v19, 31, v18
	v_add_nc_u32_e32 v24, s8, v22
	v_add_co_ci_u32_e32 v11, vcc_lo, v168, v11, vcc_lo
	v_add_co_u32 v12, vcc_lo, v167, v12
	s_delay_alu instid0(VALU_DEP_3) | instskip(SKIP_3) | instid1(VALU_DEP_4)
	v_add_nc_u32_e32 v26, s8, v24
	v_lshlrev_b64 v[16:17], 4, v[16:17]
	v_ashrrev_i32_e32 v21, 31, v20
	v_add_co_ci_u32_e32 v13, vcc_lo, v168, v13, vcc_lo
	v_add_nc_u32_e32 v28, s8, v26
	v_add_co_u32 v14, vcc_lo, v167, v14
	v_lshlrev_b64 v[18:19], 4, v[18:19]
	v_ashrrev_i32_e32 v23, 31, v22
	s_delay_alu instid0(VALU_DEP_4) | instskip(SKIP_2) | instid1(VALU_DEP_3)
	v_add_nc_u32_e32 v30, s8, v28
	v_add_co_ci_u32_e32 v15, vcc_lo, v168, v15, vcc_lo
	v_add_co_u32 v16, vcc_lo, v167, v16
	v_add_nc_u32_e32 v32, s8, v30
	v_lshlrev_b64 v[20:21], 4, v[20:21]
	v_ashrrev_i32_e32 v25, 31, v24
	v_add_co_ci_u32_e32 v17, vcc_lo, v168, v17, vcc_lo
	s_delay_alu instid0(VALU_DEP_4) | instskip(SKIP_3) | instid1(VALU_DEP_4)
	v_add_nc_u32_e32 v34, s8, v32
	v_add_co_u32 v18, vcc_lo, v167, v18
	v_lshlrev_b64 v[22:23], 4, v[22:23]
	v_ashrrev_i32_e32 v27, 31, v26
	v_add_nc_u32_e32 v36, s8, v34
	v_add_co_ci_u32_e32 v19, vcc_lo, v168, v19, vcc_lo
	v_add_co_u32 v20, vcc_lo, v167, v20
	s_delay_alu instid0(VALU_DEP_3) | instskip(SKIP_3) | instid1(VALU_DEP_4)
	v_add_nc_u32_e32 v38, s8, v36
	v_lshlrev_b64 v[24:25], 4, v[24:25]
	v_ashrrev_i32_e32 v29, 31, v28
	v_add_co_ci_u32_e32 v21, vcc_lo, v168, v21, vcc_lo
	v_add_nc_u32_e32 v40, s8, v38
	v_add_co_u32 v22, vcc_lo, v167, v22
	v_lshlrev_b64 v[26:27], 4, v[26:27]
	v_ashrrev_i32_e32 v31, 31, v30
	v_add_co_ci_u32_e32 v23, vcc_lo, v168, v23, vcc_lo
	v_add_co_u32 v24, vcc_lo, v167, v24
	v_lshlrev_b64 v[28:29], 4, v[28:29]
	v_ashrrev_i32_e32 v33, 31, v32
	v_add_nc_u32_e32 v42, s8, v40
	v_add_co_ci_u32_e32 v25, vcc_lo, v168, v25, vcc_lo
	v_add_co_u32 v26, vcc_lo, v167, v26
	v_lshlrev_b64 v[30:31], 4, v[30:31]
	v_ashrrev_i32_e32 v35, 31, v34
	v_add_co_ci_u32_e32 v27, vcc_lo, v168, v27, vcc_lo
	v_add_co_u32 v28, vcc_lo, v167, v28
	v_lshlrev_b64 v[32:33], 4, v[32:33]
	v_add_nc_u32_e32 v44, s8, v42
	v_ashrrev_i32_e32 v37, 31, v36
	v_add_co_ci_u32_e32 v29, vcc_lo, v168, v29, vcc_lo
	v_add_co_u32 v30, vcc_lo, v167, v30
	v_lshlrev_b64 v[34:35], 4, v[34:35]
	v_ashrrev_i32_e32 v39, 31, v38
	v_add_co_ci_u32_e32 v31, vcc_lo, v168, v31, vcc_lo
	v_add_nc_u32_e32 v46, s8, v44
	v_add_co_u32 v32, vcc_lo, v167, v32
	v_lshlrev_b64 v[36:37], 4, v[36:37]
	v_ashrrev_i32_e32 v41, 31, v40
	v_add_co_ci_u32_e32 v33, vcc_lo, v168, v33, vcc_lo
	v_add_co_u32 v34, vcc_lo, v167, v34
	v_lshlrev_b64 v[38:39], 4, v[38:39]
	v_ashrrev_i32_e32 v43, 31, v42
	v_add_nc_u32_e32 v56, s8, v46
	v_add_co_ci_u32_e32 v35, vcc_lo, v168, v35, vcc_lo
	v_add_co_u32 v36, vcc_lo, v167, v36
	v_lshlrev_b64 v[40:41], 4, v[40:41]
	v_ashrrev_i32_e32 v45, 31, v44
	v_add_co_ci_u32_e32 v37, vcc_lo, v168, v37, vcc_lo
	v_add_co_u32 v38, vcc_lo, v167, v38
	v_lshlrev_b64 v[42:43], 4, v[42:43]
	v_add_nc_u32_e32 v58, s8, v56
	v_ashrrev_i32_e32 v47, 31, v46
	v_add_co_ci_u32_e32 v39, vcc_lo, v168, v39, vcc_lo
	v_add_co_u32 v40, vcc_lo, v167, v40
	v_lshlrev_b64 v[44:45], 4, v[44:45]
	v_ashrrev_i32_e32 v57, 31, v56
	v_add_co_ci_u32_e32 v41, vcc_lo, v168, v41, vcc_lo
	v_add_nc_u32_e32 v60, s8, v58
	v_add_co_u32 v42, vcc_lo, v167, v42
	v_lshlrev_b64 v[46:47], 4, v[46:47]
	v_ashrrev_i32_e32 v59, 31, v58
	v_add_co_ci_u32_e32 v43, vcc_lo, v168, v43, vcc_lo
	v_add_co_u32 v44, vcc_lo, v167, v44
	v_lshlrev_b64 v[56:57], 4, v[56:57]
	v_add_nc_u32_e32 v62, s8, v60
	v_add_co_ci_u32_e32 v45, vcc_lo, v168, v45, vcc_lo
	v_add_co_u32 v46, vcc_lo, v167, v46
	v_lshlrev_b64 v[58:59], 4, v[58:59]
	v_ashrrev_i32_e32 v61, 31, v60
	v_add_co_ci_u32_e32 v47, vcc_lo, v168, v47, vcc_lo
	v_add_co_u32 v56, vcc_lo, v167, v56
	v_ashrrev_i32_e32 v63, 31, v62
	v_add_nc_u32_e32 v64, s8, v62
	v_add_co_ci_u32_e32 v57, vcc_lo, v168, v57, vcc_lo
	v_lshlrev_b64 v[60:61], 4, v[60:61]
	v_add_co_u32 v158, vcc_lo, v167, v58
	v_add_co_ci_u32_e32 v159, vcc_lo, v168, v59, vcc_lo
	v_lshlrev_b64 v[58:59], 4, v[62:63]
	v_ashrrev_i32_e32 v65, 31, v64
	v_add_nc_u32_e32 v62, s8, v64
	v_add_co_u32 v164, vcc_lo, v167, v60
	v_add_co_ci_u32_e32 v165, vcc_lo, v168, v61, vcc_lo
	s_delay_alu instid0(VALU_DEP_4) | instskip(NEXT) | instid1(VALU_DEP_4)
	v_lshlrev_b64 v[60:61], 4, v[64:65]
	v_ashrrev_i32_e32 v63, 31, v62
	v_add_nc_u32_e32 v64, s8, v62
	v_add_co_u32 v169, vcc_lo, v167, v58
	v_add_co_ci_u32_e32 v170, vcc_lo, v168, v59, vcc_lo
	s_delay_alu instid0(VALU_DEP_4) | instskip(NEXT) | instid1(VALU_DEP_4)
	;; [unrolled: 6-line block ×7, first 2 shown]
	v_lshlrev_b64 v[60:61], 4, v[64:65]
	v_add_nc_u32_e32 v64, s8, v62
	v_ashrrev_i32_e32 v63, 31, v62
	v_add_co_u32 v182, vcc_lo, v167, v58
	v_add_co_ci_u32_e32 v183, vcc_lo, v168, v59, vcc_lo
	s_delay_alu instid0(VALU_DEP_4) | instskip(NEXT) | instid1(VALU_DEP_4)
	v_ashrrev_i32_e32 v65, 31, v64
	v_lshlrev_b64 v[58:59], 4, v[62:63]
	v_add_co_u32 v184, vcc_lo, v167, v60
	v_add_co_ci_u32_e32 v185, vcc_lo, v168, v61, vcc_lo
	s_delay_alu instid0(VALU_DEP_4) | instskip(NEXT) | instid1(VALU_DEP_4)
	v_lshlrev_b64 v[60:61], 4, v[64:65]
	v_add_co_u32 v186, vcc_lo, v167, v58
	v_add_co_ci_u32_e32 v187, vcc_lo, v168, v59, vcc_lo
	s_delay_alu instid0(VALU_DEP_3) | instskip(NEXT) | instid1(VALU_DEP_4)
	v_add_co_u32 v188, vcc_lo, v167, v60
	v_add_co_ci_u32_e32 v189, vcc_lo, v168, v61, vcc_lo
	s_clause 0x1f
	global_load_b128 v[152:155], v[0:1], off
	global_load_b128 v[148:151], v[2:3], off
	;; [unrolled: 1-line block ×32, first 2 shown]
	s_clause 0x4
	global_load_b128 v[16:19], v[180:181], off
	global_load_b128 v[12:15], v[182:183], off
	;; [unrolled: 1-line block ×5, first 2 shown]
	v_mul_lo_u32 v164, s2, v156
	s_delay_alu instid0(VALU_DEP_1) | instskip(SKIP_2) | instid1(VALU_DEP_3)
	v_lshl_add_u32 v166, v164, 4, 0
	v_lshlrev_b32_e32 v170, 4, v164
	v_mov_b32_e32 v164, 0
	v_add_nc_u32_e32 v156, v166, v157
	s_waitcnt vmcnt(38)
	ds_store_2addr_b64 v156, v[52:53], v[54:55] offset1:1
	s_waitcnt vmcnt(0) lgkmcnt(0)
	s_barrier
	buffer_gl0_inv
	ds_load_2addr_b64 v[156:159], v166 offset1:1
	s_cbranch_scc1 .LBB76_6
; %bb.4:
	v_add3_u32 v165, v170, 0, 16
	v_mov_b32_e32 v164, 0
	s_mov_b32 s6, 1
	s_set_inst_prefetch_distance 0x1
	.p2align	6
.LBB76_5:                               ; =>This Inner Loop Header: Depth=1
	ds_load_2addr_b64 v[172:175], v165 offset1:1
	s_waitcnt lgkmcnt(1)
	v_cmp_gt_f64_e32 vcc_lo, 0, v[156:157]
	v_xor_b32_e32 v169, 0x80000000, v157
	v_cmp_gt_f64_e64 s2, 0, v[158:159]
	v_xor_b32_e32 v176, 0x80000000, v159
	v_add_nc_u32_e32 v165, 16, v165
	s_waitcnt lgkmcnt(0)
	v_cmp_gt_f64_e64 s3, 0, v[172:173]
	v_mov_b32_e32 v180, v172
	v_dual_mov_b32 v182, v174 :: v_dual_cndmask_b32 v177, v157, v169
	v_xor_b32_e32 v169, 0x80000000, v173
	v_cndmask_b32_e64 v179, v159, v176, s2
	v_xor_b32_e32 v176, 0x80000000, v175
	v_cndmask_b32_e64 v178, v158, v158, s2
	s_delay_alu instid0(VALU_DEP_4) | instskip(SKIP_1) | instid1(VALU_DEP_1)
	v_cndmask_b32_e64 v181, v173, v169, s3
	v_cmp_gt_f64_e64 s3, 0, v[174:175]
	v_cndmask_b32_e64 v183, v175, v176, s3
	v_cndmask_b32_e32 v176, v156, v156, vcc_lo
	s_delay_alu instid0(VALU_DEP_2) | instskip(NEXT) | instid1(VALU_DEP_2)
	v_add_f64 v[180:181], v[180:181], v[182:183]
	v_add_f64 v[176:177], v[176:177], v[178:179]
	s_delay_alu instid0(VALU_DEP_1)
	v_cmp_lt_f64_e32 vcc_lo, v[176:177], v[180:181]
	v_cndmask_b32_e32 v159, v159, v175, vcc_lo
	v_dual_cndmask_b32 v157, v157, v173 :: v_dual_cndmask_b32 v156, v156, v172
	v_cndmask_b32_e32 v158, v158, v174, vcc_lo
	v_cndmask_b32_e64 v164, v164, s6, vcc_lo
	s_add_i32 s6, s6, 1
	s_delay_alu instid0(SALU_CYCLE_1)
	s_cmp_eq_u32 s5, s6
	s_cbranch_scc0 .LBB76_5
.LBB76_6:
	s_set_inst_prefetch_distance 0x2
	s_waitcnt lgkmcnt(0)
	v_cmp_neq_f64_e32 vcc_lo, 0, v[156:157]
	v_cmp_neq_f64_e64 s2, 0, v[158:159]
	v_mov_b32_e32 v169, 1
	v_mov_b32_e32 v173, 1
	s_delay_alu instid0(VALU_DEP_3) | instskip(NEXT) | instid1(SALU_CYCLE_1)
	s_or_b32 s2, vcc_lo, s2
	s_and_saveexec_b32 s3, s2
	s_cbranch_execz .LBB76_12
; %bb.7:
	v_cmp_gt_f64_e32 vcc_lo, 0, v[156:157]
	v_cmp_gt_f64_e64 s2, 0, v[158:159]
	v_xor_b32_e32 v165, 0x80000000, v157
	v_xor_b32_e32 v169, 0x80000000, v159
                                        ; implicit-def: $sgpr6
                                        ; implicit-def: $sgpr7
	s_delay_alu instid0(VALU_DEP_2) | instskip(NEXT) | instid1(VALU_DEP_2)
	v_dual_cndmask_b32 v173, v157, v165 :: v_dual_cndmask_b32 v172, v156, v156
	v_cndmask_b32_e64 v175, v159, v169, s2
	v_cndmask_b32_e64 v174, v158, v158, s2
	s_mov_b32 s2, exec_lo
	s_delay_alu instid0(VALU_DEP_1)
	v_cmpx_ngt_f64_e32 v[172:173], v[174:175]
	s_xor_b32 s2, exec_lo, s2
	s_cbranch_execz .LBB76_9
; %bb.8:
	v_div_scale_f64 v[172:173], null, v[158:159], v[158:159], v[156:157]
	v_div_scale_f64 v[178:179], vcc_lo, v[156:157], v[158:159], v[156:157]
	s_mov_b32 s7, 2
	s_mov_b32 s6, 0
	s_delay_alu instid0(VALU_DEP_2) | instskip(SKIP_2) | instid1(VALU_DEP_1)
	v_rcp_f64_e32 v[174:175], v[172:173]
	s_waitcnt_depctr 0xfff
	v_fma_f64 v[176:177], -v[172:173], v[174:175], 1.0
	v_fma_f64 v[174:175], v[174:175], v[176:177], v[174:175]
	s_delay_alu instid0(VALU_DEP_1) | instskip(NEXT) | instid1(VALU_DEP_1)
	v_fma_f64 v[176:177], -v[172:173], v[174:175], 1.0
	v_fma_f64 v[174:175], v[174:175], v[176:177], v[174:175]
	s_delay_alu instid0(VALU_DEP_1) | instskip(NEXT) | instid1(VALU_DEP_1)
	v_mul_f64 v[176:177], v[178:179], v[174:175]
	v_fma_f64 v[172:173], -v[172:173], v[176:177], v[178:179]
	s_delay_alu instid0(VALU_DEP_1) | instskip(NEXT) | instid1(VALU_DEP_1)
	v_div_fmas_f64 v[172:173], v[172:173], v[174:175], v[176:177]
	v_div_fixup_f64 v[172:173], v[172:173], v[158:159], v[156:157]
	s_delay_alu instid0(VALU_DEP_1) | instskip(NEXT) | instid1(VALU_DEP_1)
	v_fma_f64 v[156:157], v[156:157], v[172:173], v[158:159]
	v_div_scale_f64 v[158:159], null, v[156:157], v[156:157], 1.0
	s_delay_alu instid0(VALU_DEP_1) | instskip(SKIP_2) | instid1(VALU_DEP_1)
	v_rcp_f64_e32 v[174:175], v[158:159]
	s_waitcnt_depctr 0xfff
	v_fma_f64 v[176:177], -v[158:159], v[174:175], 1.0
	v_fma_f64 v[174:175], v[174:175], v[176:177], v[174:175]
	s_delay_alu instid0(VALU_DEP_1) | instskip(NEXT) | instid1(VALU_DEP_1)
	v_fma_f64 v[176:177], -v[158:159], v[174:175], 1.0
	v_fma_f64 v[174:175], v[174:175], v[176:177], v[174:175]
	v_div_scale_f64 v[176:177], vcc_lo, 1.0, v[156:157], 1.0
	s_delay_alu instid0(VALU_DEP_1) | instskip(NEXT) | instid1(VALU_DEP_1)
	v_mul_f64 v[178:179], v[176:177], v[174:175]
	v_fma_f64 v[158:159], -v[158:159], v[178:179], v[176:177]
	s_delay_alu instid0(VALU_DEP_1) | instskip(NEXT) | instid1(VALU_DEP_1)
	v_div_fmas_f64 v[158:159], v[158:159], v[174:175], v[178:179]
	v_div_fixup_f64 v[158:159], v[158:159], v[156:157], 1.0
	s_delay_alu instid0(VALU_DEP_1)
	v_mul_f64 v[156:157], v[172:173], v[158:159]
	v_xor_b32_e32 v159, 0x80000000, v159
.LBB76_9:
	s_or_saveexec_b32 s2, s2
	v_mov_b32_e32 v173, s6
	v_mov_b32_e32 v169, s7
	s_xor_b32 exec_lo, exec_lo, s2
	s_cbranch_execz .LBB76_11
; %bb.10:
	s_delay_alu instid0(VALU_DEP_4) | instskip(SKIP_2) | instid1(VALU_DEP_3)
	v_div_scale_f64 v[172:173], null, v[156:157], v[156:157], v[158:159]
	v_div_scale_f64 v[178:179], vcc_lo, v[158:159], v[156:157], v[158:159]
	v_mov_b32_e32 v169, 2
	v_rcp_f64_e32 v[174:175], v[172:173]
	s_waitcnt_depctr 0xfff
	v_fma_f64 v[176:177], -v[172:173], v[174:175], 1.0
	s_delay_alu instid0(VALU_DEP_1) | instskip(NEXT) | instid1(VALU_DEP_1)
	v_fma_f64 v[174:175], v[174:175], v[176:177], v[174:175]
	v_fma_f64 v[176:177], -v[172:173], v[174:175], 1.0
	s_delay_alu instid0(VALU_DEP_1) | instskip(NEXT) | instid1(VALU_DEP_1)
	v_fma_f64 v[174:175], v[174:175], v[176:177], v[174:175]
	v_mul_f64 v[176:177], v[178:179], v[174:175]
	s_delay_alu instid0(VALU_DEP_1) | instskip(NEXT) | instid1(VALU_DEP_1)
	v_fma_f64 v[172:173], -v[172:173], v[176:177], v[178:179]
	v_div_fmas_f64 v[172:173], v[172:173], v[174:175], v[176:177]
	s_delay_alu instid0(VALU_DEP_1) | instskip(NEXT) | instid1(VALU_DEP_1)
	v_div_fixup_f64 v[172:173], v[172:173], v[156:157], v[158:159]
	v_fma_f64 v[156:157], v[158:159], v[172:173], v[156:157]
	s_delay_alu instid0(VALU_DEP_1) | instskip(NEXT) | instid1(VALU_DEP_1)
	v_div_scale_f64 v[158:159], null, v[156:157], v[156:157], 1.0
	v_rcp_f64_e32 v[174:175], v[158:159]
	s_waitcnt_depctr 0xfff
	v_fma_f64 v[176:177], -v[158:159], v[174:175], 1.0
	s_delay_alu instid0(VALU_DEP_1) | instskip(NEXT) | instid1(VALU_DEP_1)
	v_fma_f64 v[174:175], v[174:175], v[176:177], v[174:175]
	v_fma_f64 v[176:177], -v[158:159], v[174:175], 1.0
	s_delay_alu instid0(VALU_DEP_1) | instskip(SKIP_1) | instid1(VALU_DEP_1)
	v_fma_f64 v[174:175], v[174:175], v[176:177], v[174:175]
	v_div_scale_f64 v[176:177], vcc_lo, 1.0, v[156:157], 1.0
	v_mul_f64 v[178:179], v[176:177], v[174:175]
	s_delay_alu instid0(VALU_DEP_1) | instskip(NEXT) | instid1(VALU_DEP_1)
	v_fma_f64 v[158:159], -v[158:159], v[178:179], v[176:177]
	v_div_fmas_f64 v[158:159], v[158:159], v[174:175], v[178:179]
	s_delay_alu instid0(VALU_DEP_1) | instskip(NEXT) | instid1(VALU_DEP_1)
	v_div_fixup_f64 v[156:157], v[158:159], v[156:157], 1.0
	v_mul_f64 v[158:159], v[172:173], -v[156:157]
	v_mov_b32_e32 v173, 0
.LBB76_11:
	s_or_b32 exec_lo, exec_lo, s2
.LBB76_12:
	s_delay_alu instid0(SALU_CYCLE_1) | instskip(NEXT) | instid1(SALU_CYCLE_1)
	s_or_b32 exec_lo, exec_lo, s3
	s_mov_b32 s2, exec_lo
	v_cmpx_ne_u32_e64 v171, v164
	s_xor_b32 s2, exec_lo, s2
	s_cbranch_execz .LBB76_18
; %bb.13:
	s_mov_b32 s3, exec_lo
	v_cmpx_eq_u32_e32 0, v171
	s_cbranch_execz .LBB76_17
; %bb.14:
	v_cmp_ne_u32_e32 vcc_lo, 0, v164
	s_xor_b32 s6, s4, -1
	s_delay_alu instid0(SALU_CYCLE_1) | instskip(NEXT) | instid1(SALU_CYCLE_1)
	s_and_b32 s7, s6, vcc_lo
	s_and_saveexec_b32 s6, s7
	s_cbranch_execz .LBB76_16
; %bb.15:
	v_ashrrev_i32_e32 v165, 31, v164
	s_delay_alu instid0(VALU_DEP_1) | instskip(NEXT) | instid1(VALU_DEP_1)
	v_lshlrev_b64 v[171:172], 2, v[164:165]
	v_add_co_u32 v171, vcc_lo, v162, v171
	s_delay_alu instid0(VALU_DEP_2)
	v_add_co_ci_u32_e32 v172, vcc_lo, v163, v172, vcc_lo
	s_clause 0x1
	flat_load_b32 v165, v[171:172]
	flat_load_b32 v174, v[162:163]
	s_waitcnt vmcnt(1) lgkmcnt(1)
	flat_store_b32 v[162:163], v165
	s_waitcnt vmcnt(0) lgkmcnt(1)
	flat_store_b32 v[171:172], v174
.LBB76_16:
	s_or_b32 exec_lo, exec_lo, s6
	v_mov_b32_e32 v171, v164
.LBB76_17:
	s_or_b32 exec_lo, exec_lo, s3
.LBB76_18:
	s_or_saveexec_b32 s2, s2
	s_delay_alu instid0(VALU_DEP_1)
	v_mov_b32_e32 v172, v171
	s_xor_b32 exec_lo, exec_lo, s2
	s_cbranch_execz .LBB76_20
; %bb.19:
	v_mov_b32_e32 v172, 0
	ds_store_2addr_b64 v166, v[48:49], v[50:51] offset0:2 offset1:3
	ds_store_2addr_b64 v166, v[152:153], v[154:155] offset0:4 offset1:5
	;; [unrolled: 1-line block ×38, first 2 shown]
.LBB76_20:
	s_or_b32 exec_lo, exec_lo, s2
	s_delay_alu instid0(SALU_CYCLE_1)
	s_mov_b32 s2, exec_lo
	s_waitcnt lgkmcnt(0)
	s_waitcnt_vscnt null, 0x0
	s_barrier
	buffer_gl0_inv
	v_cmpx_lt_i32_e32 0, v172
	s_cbranch_execz .LBB76_22
; %bb.21:
	v_mul_f64 v[164:165], v[158:159], v[54:55]
	v_mul_f64 v[54:55], v[156:157], v[54:55]
	s_delay_alu instid0(VALU_DEP_2) | instskip(NEXT) | instid1(VALU_DEP_2)
	v_fma_f64 v[164:165], v[156:157], v[52:53], -v[164:165]
	v_fma_f64 v[54:55], v[158:159], v[52:53], v[54:55]
	ds_load_2addr_b64 v[156:159], v166 offset0:2 offset1:3
	s_waitcnt lgkmcnt(0)
	v_mul_f64 v[52:53], v[158:159], v[54:55]
	s_delay_alu instid0(VALU_DEP_1) | instskip(SKIP_1) | instid1(VALU_DEP_2)
	v_fma_f64 v[52:53], v[156:157], v[164:165], -v[52:53]
	v_mul_f64 v[156:157], v[156:157], v[54:55]
	v_add_f64 v[48:49], v[48:49], -v[52:53]
	s_delay_alu instid0(VALU_DEP_2) | instskip(NEXT) | instid1(VALU_DEP_1)
	v_fma_f64 v[156:157], v[158:159], v[164:165], v[156:157]
	v_add_f64 v[50:51], v[50:51], -v[156:157]
	ds_load_2addr_b64 v[156:159], v166 offset0:4 offset1:5
	s_waitcnt lgkmcnt(0)
	v_mul_f64 v[52:53], v[158:159], v[54:55]
	s_delay_alu instid0(VALU_DEP_1) | instskip(SKIP_1) | instid1(VALU_DEP_2)
	v_fma_f64 v[52:53], v[156:157], v[164:165], -v[52:53]
	v_mul_f64 v[156:157], v[156:157], v[54:55]
	v_add_f64 v[152:153], v[152:153], -v[52:53]
	s_delay_alu instid0(VALU_DEP_2) | instskip(NEXT) | instid1(VALU_DEP_1)
	v_fma_f64 v[156:157], v[158:159], v[164:165], v[156:157]
	v_add_f64 v[154:155], v[154:155], -v[156:157]
	;; [unrolled: 10-line block ×37, first 2 shown]
	ds_load_2addr_b64 v[156:159], v166 offset0:76 offset1:77
	s_waitcnt lgkmcnt(0)
	v_mul_f64 v[52:53], v[158:159], v[54:55]
	s_delay_alu instid0(VALU_DEP_1) | instskip(SKIP_1) | instid1(VALU_DEP_2)
	v_fma_f64 v[52:53], v[156:157], v[164:165], -v[52:53]
	v_mul_f64 v[156:157], v[156:157], v[54:55]
	v_add_f64 v[0:1], v[0:1], -v[52:53]
	s_delay_alu instid0(VALU_DEP_2) | instskip(SKIP_1) | instid1(VALU_DEP_2)
	v_fma_f64 v[156:157], v[158:159], v[164:165], v[156:157]
	v_dual_mov_b32 v52, v164 :: v_dual_mov_b32 v53, v165
	v_add_f64 v[2:3], v[2:3], -v[156:157]
.LBB76_22:
	s_or_b32 exec_lo, exec_lo, s2
	v_lshl_add_u32 v156, v172, 4, v166
	s_barrier
	buffer_gl0_inv
	v_mov_b32_e32 v164, 1
	ds_store_2addr_b64 v156, v[48:49], v[50:51] offset1:1
	s_waitcnt lgkmcnt(0)
	s_barrier
	buffer_gl0_inv
	ds_load_2addr_b64 v[156:159], v166 offset0:2 offset1:3
	s_cmp_lt_i32 s5, 3
	s_cbranch_scc1 .LBB76_25
; %bb.23:
	v_add3_u32 v165, v170, 0, 32
	v_mov_b32_e32 v164, 1
	s_mov_b32 s6, 2
	s_set_inst_prefetch_distance 0x1
	.p2align	6
.LBB76_24:                              ; =>This Inner Loop Header: Depth=1
	ds_load_2addr_b64 v[174:177], v165 offset1:1
	s_waitcnt lgkmcnt(1)
	v_cmp_gt_f64_e32 vcc_lo, 0, v[156:157]
	v_xor_b32_e32 v178, 0x80000000, v157
	v_cmp_gt_f64_e64 s2, 0, v[158:159]
	v_xor_b32_e32 v180, 0x80000000, v159
	v_add_nc_u32_e32 v165, 16, v165
	s_waitcnt lgkmcnt(0)
	v_cmp_gt_f64_e64 s3, 0, v[174:175]
	v_mov_b32_e32 v182, v174
	v_dual_mov_b32 v184, v176 :: v_dual_cndmask_b32 v179, v157, v178
	v_xor_b32_e32 v178, 0x80000000, v175
	v_cndmask_b32_e64 v181, v159, v180, s2
	v_xor_b32_e32 v180, 0x80000000, v177
	s_delay_alu instid0(VALU_DEP_3) | instskip(SKIP_2) | instid1(VALU_DEP_2)
	v_cndmask_b32_e64 v183, v175, v178, s3
	v_cmp_gt_f64_e64 s3, 0, v[176:177]
	v_cndmask_b32_e32 v178, v156, v156, vcc_lo
	v_cndmask_b32_e64 v185, v177, v180, s3
	v_cndmask_b32_e64 v180, v158, v158, s2
	s_delay_alu instid0(VALU_DEP_2) | instskip(NEXT) | instid1(VALU_DEP_2)
	v_add_f64 v[182:183], v[182:183], v[184:185]
	v_add_f64 v[178:179], v[178:179], v[180:181]
	s_delay_alu instid0(VALU_DEP_1)
	v_cmp_lt_f64_e32 vcc_lo, v[178:179], v[182:183]
	v_cndmask_b32_e32 v159, v159, v177, vcc_lo
	v_dual_cndmask_b32 v157, v157, v175 :: v_dual_cndmask_b32 v156, v156, v174
	v_cndmask_b32_e32 v158, v158, v176, vcc_lo
	v_cndmask_b32_e64 v164, v164, s6, vcc_lo
	s_add_i32 s6, s6, 1
	s_delay_alu instid0(SALU_CYCLE_1)
	s_cmp_lg_u32 s5, s6
	s_cbranch_scc1 .LBB76_24
.LBB76_25:
	s_set_inst_prefetch_distance 0x2
	s_waitcnt lgkmcnt(0)
	v_cmp_neq_f64_e32 vcc_lo, 0, v[156:157]
	v_cmp_neq_f64_e64 s2, 0, v[158:159]
	s_delay_alu instid0(VALU_DEP_1) | instskip(NEXT) | instid1(SALU_CYCLE_1)
	s_or_b32 s2, vcc_lo, s2
	s_and_saveexec_b32 s3, s2
	s_cbranch_execz .LBB76_31
; %bb.26:
	v_cmp_gt_f64_e32 vcc_lo, 0, v[156:157]
	v_cmp_gt_f64_e64 s2, 0, v[158:159]
	v_xor_b32_e32 v165, 0x80000000, v157
	v_xor_b32_e32 v169, 0x80000000, v159
	s_delay_alu instid0(VALU_DEP_2) | instskip(NEXT) | instid1(VALU_DEP_2)
	v_dual_cndmask_b32 v175, v157, v165 :: v_dual_cndmask_b32 v174, v156, v156
	v_cndmask_b32_e64 v177, v159, v169, s2
	v_cndmask_b32_e64 v176, v158, v158, s2
	s_mov_b32 s2, exec_lo
	s_delay_alu instid0(VALU_DEP_1)
	v_cmpx_ngt_f64_e32 v[174:175], v[176:177]
	s_xor_b32 s2, exec_lo, s2
	s_cbranch_execz .LBB76_28
; %bb.27:
	v_div_scale_f64 v[174:175], null, v[158:159], v[158:159], v[156:157]
	v_div_scale_f64 v[180:181], vcc_lo, v[156:157], v[158:159], v[156:157]
	s_delay_alu instid0(VALU_DEP_2) | instskip(SKIP_2) | instid1(VALU_DEP_1)
	v_rcp_f64_e32 v[176:177], v[174:175]
	s_waitcnt_depctr 0xfff
	v_fma_f64 v[178:179], -v[174:175], v[176:177], 1.0
	v_fma_f64 v[176:177], v[176:177], v[178:179], v[176:177]
	s_delay_alu instid0(VALU_DEP_1) | instskip(NEXT) | instid1(VALU_DEP_1)
	v_fma_f64 v[178:179], -v[174:175], v[176:177], 1.0
	v_fma_f64 v[176:177], v[176:177], v[178:179], v[176:177]
	s_delay_alu instid0(VALU_DEP_1) | instskip(NEXT) | instid1(VALU_DEP_1)
	v_mul_f64 v[178:179], v[180:181], v[176:177]
	v_fma_f64 v[174:175], -v[174:175], v[178:179], v[180:181]
	s_delay_alu instid0(VALU_DEP_1) | instskip(NEXT) | instid1(VALU_DEP_1)
	v_div_fmas_f64 v[174:175], v[174:175], v[176:177], v[178:179]
	v_div_fixup_f64 v[174:175], v[174:175], v[158:159], v[156:157]
	s_delay_alu instid0(VALU_DEP_1) | instskip(NEXT) | instid1(VALU_DEP_1)
	v_fma_f64 v[156:157], v[156:157], v[174:175], v[158:159]
	v_div_scale_f64 v[158:159], null, v[156:157], v[156:157], 1.0
	s_delay_alu instid0(VALU_DEP_1) | instskip(SKIP_2) | instid1(VALU_DEP_1)
	v_rcp_f64_e32 v[176:177], v[158:159]
	s_waitcnt_depctr 0xfff
	v_fma_f64 v[178:179], -v[158:159], v[176:177], 1.0
	v_fma_f64 v[176:177], v[176:177], v[178:179], v[176:177]
	s_delay_alu instid0(VALU_DEP_1) | instskip(NEXT) | instid1(VALU_DEP_1)
	v_fma_f64 v[178:179], -v[158:159], v[176:177], 1.0
	v_fma_f64 v[176:177], v[176:177], v[178:179], v[176:177]
	v_div_scale_f64 v[178:179], vcc_lo, 1.0, v[156:157], 1.0
	s_delay_alu instid0(VALU_DEP_1) | instskip(NEXT) | instid1(VALU_DEP_1)
	v_mul_f64 v[180:181], v[178:179], v[176:177]
	v_fma_f64 v[158:159], -v[158:159], v[180:181], v[178:179]
	s_delay_alu instid0(VALU_DEP_1) | instskip(NEXT) | instid1(VALU_DEP_1)
	v_div_fmas_f64 v[158:159], v[158:159], v[176:177], v[180:181]
	v_div_fixup_f64 v[158:159], v[158:159], v[156:157], 1.0
	s_delay_alu instid0(VALU_DEP_1)
	v_mul_f64 v[156:157], v[174:175], v[158:159]
	v_xor_b32_e32 v159, 0x80000000, v159
.LBB76_28:
	s_and_not1_saveexec_b32 s2, s2
	s_cbranch_execz .LBB76_30
; %bb.29:
	s_delay_alu instid0(VALU_DEP_1) | instskip(SKIP_1) | instid1(VALU_DEP_2)
	v_div_scale_f64 v[174:175], null, v[156:157], v[156:157], v[158:159]
	v_div_scale_f64 v[180:181], vcc_lo, v[158:159], v[156:157], v[158:159]
	v_rcp_f64_e32 v[176:177], v[174:175]
	s_waitcnt_depctr 0xfff
	v_fma_f64 v[178:179], -v[174:175], v[176:177], 1.0
	s_delay_alu instid0(VALU_DEP_1) | instskip(NEXT) | instid1(VALU_DEP_1)
	v_fma_f64 v[176:177], v[176:177], v[178:179], v[176:177]
	v_fma_f64 v[178:179], -v[174:175], v[176:177], 1.0
	s_delay_alu instid0(VALU_DEP_1) | instskip(NEXT) | instid1(VALU_DEP_1)
	v_fma_f64 v[176:177], v[176:177], v[178:179], v[176:177]
	v_mul_f64 v[178:179], v[180:181], v[176:177]
	s_delay_alu instid0(VALU_DEP_1) | instskip(NEXT) | instid1(VALU_DEP_1)
	v_fma_f64 v[174:175], -v[174:175], v[178:179], v[180:181]
	v_div_fmas_f64 v[174:175], v[174:175], v[176:177], v[178:179]
	s_delay_alu instid0(VALU_DEP_1) | instskip(NEXT) | instid1(VALU_DEP_1)
	v_div_fixup_f64 v[174:175], v[174:175], v[156:157], v[158:159]
	v_fma_f64 v[156:157], v[158:159], v[174:175], v[156:157]
	s_delay_alu instid0(VALU_DEP_1) | instskip(NEXT) | instid1(VALU_DEP_1)
	v_div_scale_f64 v[158:159], null, v[156:157], v[156:157], 1.0
	v_rcp_f64_e32 v[176:177], v[158:159]
	s_waitcnt_depctr 0xfff
	v_fma_f64 v[178:179], -v[158:159], v[176:177], 1.0
	s_delay_alu instid0(VALU_DEP_1) | instskip(NEXT) | instid1(VALU_DEP_1)
	v_fma_f64 v[176:177], v[176:177], v[178:179], v[176:177]
	v_fma_f64 v[178:179], -v[158:159], v[176:177], 1.0
	s_delay_alu instid0(VALU_DEP_1) | instskip(SKIP_1) | instid1(VALU_DEP_1)
	v_fma_f64 v[176:177], v[176:177], v[178:179], v[176:177]
	v_div_scale_f64 v[178:179], vcc_lo, 1.0, v[156:157], 1.0
	v_mul_f64 v[180:181], v[178:179], v[176:177]
	s_delay_alu instid0(VALU_DEP_1) | instskip(NEXT) | instid1(VALU_DEP_1)
	v_fma_f64 v[158:159], -v[158:159], v[180:181], v[178:179]
	v_div_fmas_f64 v[158:159], v[158:159], v[176:177], v[180:181]
	s_delay_alu instid0(VALU_DEP_1) | instskip(NEXT) | instid1(VALU_DEP_1)
	v_div_fixup_f64 v[156:157], v[158:159], v[156:157], 1.0
	v_mul_f64 v[158:159], v[174:175], -v[156:157]
.LBB76_30:
	s_or_b32 exec_lo, exec_lo, s2
	v_mov_b32_e32 v169, v173
.LBB76_31:
	s_or_b32 exec_lo, exec_lo, s3
	s_delay_alu instid0(SALU_CYCLE_1)
	s_mov_b32 s2, exec_lo
	v_cmpx_ne_u32_e64 v172, v164
	s_xor_b32 s2, exec_lo, s2
	s_cbranch_execz .LBB76_37
; %bb.32:
	s_mov_b32 s3, exec_lo
	v_cmpx_eq_u32_e32 1, v172
	s_cbranch_execz .LBB76_36
; %bb.33:
	v_cmp_ne_u32_e32 vcc_lo, 1, v164
	s_xor_b32 s6, s4, -1
	s_delay_alu instid0(SALU_CYCLE_1) | instskip(NEXT) | instid1(SALU_CYCLE_1)
	s_and_b32 s7, s6, vcc_lo
	s_and_saveexec_b32 s6, s7
	s_cbranch_execz .LBB76_35
; %bb.34:
	v_ashrrev_i32_e32 v165, 31, v164
	s_delay_alu instid0(VALU_DEP_1) | instskip(NEXT) | instid1(VALU_DEP_1)
	v_lshlrev_b64 v[171:172], 2, v[164:165]
	v_add_co_u32 v171, vcc_lo, v162, v171
	s_delay_alu instid0(VALU_DEP_2)
	v_add_co_ci_u32_e32 v172, vcc_lo, v163, v172, vcc_lo
	s_clause 0x1
	flat_load_b32 v165, v[171:172]
	flat_load_b32 v173, v[162:163] offset:4
	s_waitcnt vmcnt(1) lgkmcnt(1)
	flat_store_b32 v[162:163], v165 offset:4
	s_waitcnt vmcnt(0) lgkmcnt(1)
	flat_store_b32 v[171:172], v173
.LBB76_35:
	s_or_b32 exec_lo, exec_lo, s6
	v_mov_b32_e32 v172, v164
	v_mov_b32_e32 v171, v164
.LBB76_36:
	s_or_b32 exec_lo, exec_lo, s3
.LBB76_37:
	s_and_not1_saveexec_b32 s2, s2
	s_cbranch_execz .LBB76_39
; %bb.38:
	v_mov_b32_e32 v172, 1
	ds_store_2addr_b64 v166, v[152:153], v[154:155] offset0:4 offset1:5
	ds_store_2addr_b64 v166, v[148:149], v[150:151] offset0:6 offset1:7
	;; [unrolled: 1-line block ×37, first 2 shown]
.LBB76_39:
	s_or_b32 exec_lo, exec_lo, s2
	s_delay_alu instid0(SALU_CYCLE_1)
	s_mov_b32 s2, exec_lo
	s_waitcnt lgkmcnt(0)
	s_waitcnt_vscnt null, 0x0
	s_barrier
	buffer_gl0_inv
	v_cmpx_lt_i32_e32 1, v172
	s_cbranch_execz .LBB76_41
; %bb.40:
	v_mul_f64 v[164:165], v[158:159], v[50:51]
	v_mul_f64 v[50:51], v[156:157], v[50:51]
	s_delay_alu instid0(VALU_DEP_2) | instskip(NEXT) | instid1(VALU_DEP_2)
	v_fma_f64 v[164:165], v[156:157], v[48:49], -v[164:165]
	v_fma_f64 v[50:51], v[158:159], v[48:49], v[50:51]
	ds_load_2addr_b64 v[156:159], v166 offset0:4 offset1:5
	s_waitcnt lgkmcnt(0)
	v_mul_f64 v[48:49], v[158:159], v[50:51]
	s_delay_alu instid0(VALU_DEP_1) | instskip(SKIP_1) | instid1(VALU_DEP_2)
	v_fma_f64 v[48:49], v[156:157], v[164:165], -v[48:49]
	v_mul_f64 v[156:157], v[156:157], v[50:51]
	v_add_f64 v[152:153], v[152:153], -v[48:49]
	s_delay_alu instid0(VALU_DEP_2) | instskip(NEXT) | instid1(VALU_DEP_1)
	v_fma_f64 v[156:157], v[158:159], v[164:165], v[156:157]
	v_add_f64 v[154:155], v[154:155], -v[156:157]
	ds_load_2addr_b64 v[156:159], v166 offset0:6 offset1:7
	s_waitcnt lgkmcnt(0)
	v_mul_f64 v[48:49], v[158:159], v[50:51]
	s_delay_alu instid0(VALU_DEP_1) | instskip(SKIP_1) | instid1(VALU_DEP_2)
	v_fma_f64 v[48:49], v[156:157], v[164:165], -v[48:49]
	v_mul_f64 v[156:157], v[156:157], v[50:51]
	v_add_f64 v[148:149], v[148:149], -v[48:49]
	s_delay_alu instid0(VALU_DEP_2) | instskip(NEXT) | instid1(VALU_DEP_1)
	v_fma_f64 v[156:157], v[158:159], v[164:165], v[156:157]
	v_add_f64 v[150:151], v[150:151], -v[156:157]
	;; [unrolled: 10-line block ×36, first 2 shown]
	ds_load_2addr_b64 v[156:159], v166 offset0:76 offset1:77
	s_waitcnt lgkmcnt(0)
	v_mul_f64 v[48:49], v[158:159], v[50:51]
	s_delay_alu instid0(VALU_DEP_1) | instskip(SKIP_1) | instid1(VALU_DEP_2)
	v_fma_f64 v[48:49], v[156:157], v[164:165], -v[48:49]
	v_mul_f64 v[156:157], v[156:157], v[50:51]
	v_add_f64 v[0:1], v[0:1], -v[48:49]
	s_delay_alu instid0(VALU_DEP_2) | instskip(SKIP_1) | instid1(VALU_DEP_2)
	v_fma_f64 v[156:157], v[158:159], v[164:165], v[156:157]
	v_dual_mov_b32 v48, v164 :: v_dual_mov_b32 v49, v165
	v_add_f64 v[2:3], v[2:3], -v[156:157]
.LBB76_41:
	s_or_b32 exec_lo, exec_lo, s2
	v_lshl_add_u32 v156, v172, 4, v166
	s_barrier
	buffer_gl0_inv
	v_mov_b32_e32 v164, 2
	ds_store_2addr_b64 v156, v[152:153], v[154:155] offset1:1
	s_waitcnt lgkmcnt(0)
	s_barrier
	buffer_gl0_inv
	ds_load_2addr_b64 v[156:159], v166 offset0:4 offset1:5
	s_cmp_lt_i32 s5, 4
	s_cbranch_scc1 .LBB76_44
; %bb.42:
	v_add3_u32 v165, v170, 0, 48
	v_mov_b32_e32 v164, 2
	s_mov_b32 s6, 3
	s_set_inst_prefetch_distance 0x1
	.p2align	6
.LBB76_43:                              ; =>This Inner Loop Header: Depth=1
	ds_load_2addr_b64 v[173:176], v165 offset1:1
	s_waitcnt lgkmcnt(1)
	v_cmp_gt_f64_e32 vcc_lo, 0, v[156:157]
	v_xor_b32_e32 v177, 0x80000000, v157
	v_cmp_gt_f64_e64 s2, 0, v[158:159]
	v_xor_b32_e32 v179, 0x80000000, v159
	v_add_nc_u32_e32 v165, 16, v165
	s_waitcnt lgkmcnt(0)
	v_cmp_gt_f64_e64 s3, 0, v[173:174]
	v_mov_b32_e32 v181, v173
	v_dual_mov_b32 v183, v175 :: v_dual_cndmask_b32 v178, v157, v177
	v_xor_b32_e32 v177, 0x80000000, v174
	v_cndmask_b32_e64 v180, v159, v179, s2
	v_xor_b32_e32 v179, 0x80000000, v176
	s_delay_alu instid0(VALU_DEP_3) | instskip(SKIP_2) | instid1(VALU_DEP_2)
	v_cndmask_b32_e64 v182, v174, v177, s3
	v_cmp_gt_f64_e64 s3, 0, v[175:176]
	v_cndmask_b32_e32 v177, v156, v156, vcc_lo
	v_cndmask_b32_e64 v184, v176, v179, s3
	v_cndmask_b32_e64 v179, v158, v158, s2
	s_delay_alu instid0(VALU_DEP_2) | instskip(NEXT) | instid1(VALU_DEP_2)
	v_add_f64 v[181:182], v[181:182], v[183:184]
	v_add_f64 v[177:178], v[177:178], v[179:180]
	s_delay_alu instid0(VALU_DEP_1) | instskip(SKIP_4) | instid1(SALU_CYCLE_1)
	v_cmp_lt_f64_e32 vcc_lo, v[177:178], v[181:182]
	v_dual_cndmask_b32 v158, v158, v175 :: v_dual_cndmask_b32 v157, v157, v174
	v_dual_cndmask_b32 v156, v156, v173 :: v_dual_cndmask_b32 v159, v159, v176
	v_cndmask_b32_e64 v164, v164, s6, vcc_lo
	s_add_i32 s6, s6, 1
	s_cmp_lg_u32 s5, s6
	s_cbranch_scc1 .LBB76_43
.LBB76_44:
	s_set_inst_prefetch_distance 0x2
	s_waitcnt lgkmcnt(0)
	v_cmp_eq_f64_e32 vcc_lo, 0, v[156:157]
	v_cmp_eq_f64_e64 s2, 0, v[158:159]
	s_delay_alu instid0(VALU_DEP_1) | instskip(NEXT) | instid1(SALU_CYCLE_1)
	s_and_b32 s2, vcc_lo, s2
	s_and_saveexec_b32 s3, s2
	s_delay_alu instid0(SALU_CYCLE_1)
	s_xor_b32 s2, exec_lo, s3
; %bb.45:
	v_cmp_ne_u32_e32 vcc_lo, 0, v169
	v_cndmask_b32_e32 v169, 3, v169, vcc_lo
; %bb.46:
	s_and_not1_saveexec_b32 s3, s2
	s_cbranch_execz .LBB76_52
; %bb.47:
	v_cmp_gt_f64_e32 vcc_lo, 0, v[156:157]
	v_cmp_gt_f64_e64 s2, 0, v[158:159]
	v_xor_b32_e32 v165, 0x80000000, v157
	v_xor_b32_e32 v173, 0x80000000, v159
	s_delay_alu instid0(VALU_DEP_2) | instskip(NEXT) | instid1(VALU_DEP_2)
	v_cndmask_b32_e32 v174, v157, v165, vcc_lo
	v_cndmask_b32_e64 v176, v159, v173, s2
	v_cndmask_b32_e32 v173, v156, v156, vcc_lo
	v_cndmask_b32_e64 v175, v158, v158, s2
	s_mov_b32 s2, exec_lo
	s_delay_alu instid0(VALU_DEP_1)
	v_cmpx_ngt_f64_e32 v[173:174], v[175:176]
	s_xor_b32 s2, exec_lo, s2
	s_cbranch_execz .LBB76_49
; %bb.48:
	v_div_scale_f64 v[173:174], null, v[158:159], v[158:159], v[156:157]
	v_div_scale_f64 v[179:180], vcc_lo, v[156:157], v[158:159], v[156:157]
	s_delay_alu instid0(VALU_DEP_2) | instskip(SKIP_2) | instid1(VALU_DEP_1)
	v_rcp_f64_e32 v[175:176], v[173:174]
	s_waitcnt_depctr 0xfff
	v_fma_f64 v[177:178], -v[173:174], v[175:176], 1.0
	v_fma_f64 v[175:176], v[175:176], v[177:178], v[175:176]
	s_delay_alu instid0(VALU_DEP_1) | instskip(NEXT) | instid1(VALU_DEP_1)
	v_fma_f64 v[177:178], -v[173:174], v[175:176], 1.0
	v_fma_f64 v[175:176], v[175:176], v[177:178], v[175:176]
	s_delay_alu instid0(VALU_DEP_1) | instskip(NEXT) | instid1(VALU_DEP_1)
	v_mul_f64 v[177:178], v[179:180], v[175:176]
	v_fma_f64 v[173:174], -v[173:174], v[177:178], v[179:180]
	s_delay_alu instid0(VALU_DEP_1) | instskip(NEXT) | instid1(VALU_DEP_1)
	v_div_fmas_f64 v[173:174], v[173:174], v[175:176], v[177:178]
	v_div_fixup_f64 v[173:174], v[173:174], v[158:159], v[156:157]
	s_delay_alu instid0(VALU_DEP_1) | instskip(NEXT) | instid1(VALU_DEP_1)
	v_fma_f64 v[156:157], v[156:157], v[173:174], v[158:159]
	v_div_scale_f64 v[158:159], null, v[156:157], v[156:157], 1.0
	s_delay_alu instid0(VALU_DEP_1) | instskip(SKIP_2) | instid1(VALU_DEP_1)
	v_rcp_f64_e32 v[175:176], v[158:159]
	s_waitcnt_depctr 0xfff
	v_fma_f64 v[177:178], -v[158:159], v[175:176], 1.0
	v_fma_f64 v[175:176], v[175:176], v[177:178], v[175:176]
	s_delay_alu instid0(VALU_DEP_1) | instskip(NEXT) | instid1(VALU_DEP_1)
	v_fma_f64 v[177:178], -v[158:159], v[175:176], 1.0
	v_fma_f64 v[175:176], v[175:176], v[177:178], v[175:176]
	v_div_scale_f64 v[177:178], vcc_lo, 1.0, v[156:157], 1.0
	s_delay_alu instid0(VALU_DEP_1) | instskip(NEXT) | instid1(VALU_DEP_1)
	v_mul_f64 v[179:180], v[177:178], v[175:176]
	v_fma_f64 v[158:159], -v[158:159], v[179:180], v[177:178]
	s_delay_alu instid0(VALU_DEP_1) | instskip(NEXT) | instid1(VALU_DEP_1)
	v_div_fmas_f64 v[158:159], v[158:159], v[175:176], v[179:180]
	v_div_fixup_f64 v[158:159], v[158:159], v[156:157], 1.0
	s_delay_alu instid0(VALU_DEP_1)
	v_mul_f64 v[156:157], v[173:174], v[158:159]
	v_xor_b32_e32 v159, 0x80000000, v159
.LBB76_49:
	s_and_not1_saveexec_b32 s2, s2
	s_cbranch_execz .LBB76_51
; %bb.50:
	s_delay_alu instid0(VALU_DEP_1) | instskip(SKIP_1) | instid1(VALU_DEP_2)
	v_div_scale_f64 v[173:174], null, v[156:157], v[156:157], v[158:159]
	v_div_scale_f64 v[179:180], vcc_lo, v[158:159], v[156:157], v[158:159]
	v_rcp_f64_e32 v[175:176], v[173:174]
	s_waitcnt_depctr 0xfff
	v_fma_f64 v[177:178], -v[173:174], v[175:176], 1.0
	s_delay_alu instid0(VALU_DEP_1) | instskip(NEXT) | instid1(VALU_DEP_1)
	v_fma_f64 v[175:176], v[175:176], v[177:178], v[175:176]
	v_fma_f64 v[177:178], -v[173:174], v[175:176], 1.0
	s_delay_alu instid0(VALU_DEP_1) | instskip(NEXT) | instid1(VALU_DEP_1)
	v_fma_f64 v[175:176], v[175:176], v[177:178], v[175:176]
	v_mul_f64 v[177:178], v[179:180], v[175:176]
	s_delay_alu instid0(VALU_DEP_1) | instskip(NEXT) | instid1(VALU_DEP_1)
	v_fma_f64 v[173:174], -v[173:174], v[177:178], v[179:180]
	v_div_fmas_f64 v[173:174], v[173:174], v[175:176], v[177:178]
	s_delay_alu instid0(VALU_DEP_1) | instskip(NEXT) | instid1(VALU_DEP_1)
	v_div_fixup_f64 v[173:174], v[173:174], v[156:157], v[158:159]
	v_fma_f64 v[156:157], v[158:159], v[173:174], v[156:157]
	s_delay_alu instid0(VALU_DEP_1) | instskip(NEXT) | instid1(VALU_DEP_1)
	v_div_scale_f64 v[158:159], null, v[156:157], v[156:157], 1.0
	v_rcp_f64_e32 v[175:176], v[158:159]
	s_waitcnt_depctr 0xfff
	v_fma_f64 v[177:178], -v[158:159], v[175:176], 1.0
	s_delay_alu instid0(VALU_DEP_1) | instskip(NEXT) | instid1(VALU_DEP_1)
	v_fma_f64 v[175:176], v[175:176], v[177:178], v[175:176]
	v_fma_f64 v[177:178], -v[158:159], v[175:176], 1.0
	s_delay_alu instid0(VALU_DEP_1) | instskip(SKIP_1) | instid1(VALU_DEP_1)
	v_fma_f64 v[175:176], v[175:176], v[177:178], v[175:176]
	v_div_scale_f64 v[177:178], vcc_lo, 1.0, v[156:157], 1.0
	v_mul_f64 v[179:180], v[177:178], v[175:176]
	s_delay_alu instid0(VALU_DEP_1) | instskip(NEXT) | instid1(VALU_DEP_1)
	v_fma_f64 v[158:159], -v[158:159], v[179:180], v[177:178]
	v_div_fmas_f64 v[158:159], v[158:159], v[175:176], v[179:180]
	s_delay_alu instid0(VALU_DEP_1) | instskip(NEXT) | instid1(VALU_DEP_1)
	v_div_fixup_f64 v[156:157], v[158:159], v[156:157], 1.0
	v_mul_f64 v[158:159], v[173:174], -v[156:157]
.LBB76_51:
	s_or_b32 exec_lo, exec_lo, s2
.LBB76_52:
	s_delay_alu instid0(SALU_CYCLE_1) | instskip(NEXT) | instid1(SALU_CYCLE_1)
	s_or_b32 exec_lo, exec_lo, s3
	s_mov_b32 s2, exec_lo
	v_cmpx_ne_u32_e64 v172, v164
	s_xor_b32 s2, exec_lo, s2
	s_cbranch_execz .LBB76_58
; %bb.53:
	s_mov_b32 s3, exec_lo
	v_cmpx_eq_u32_e32 2, v172
	s_cbranch_execz .LBB76_57
; %bb.54:
	v_cmp_ne_u32_e32 vcc_lo, 2, v164
	s_xor_b32 s6, s4, -1
	s_delay_alu instid0(SALU_CYCLE_1) | instskip(NEXT) | instid1(SALU_CYCLE_1)
	s_and_b32 s7, s6, vcc_lo
	s_and_saveexec_b32 s6, s7
	s_cbranch_execz .LBB76_56
; %bb.55:
	v_ashrrev_i32_e32 v165, 31, v164
	s_delay_alu instid0(VALU_DEP_1) | instskip(NEXT) | instid1(VALU_DEP_1)
	v_lshlrev_b64 v[171:172], 2, v[164:165]
	v_add_co_u32 v171, vcc_lo, v162, v171
	s_delay_alu instid0(VALU_DEP_2)
	v_add_co_ci_u32_e32 v172, vcc_lo, v163, v172, vcc_lo
	s_clause 0x1
	flat_load_b32 v165, v[171:172]
	flat_load_b32 v173, v[162:163] offset:8
	s_waitcnt vmcnt(1) lgkmcnt(1)
	flat_store_b32 v[162:163], v165 offset:8
	s_waitcnt vmcnt(0) lgkmcnt(1)
	flat_store_b32 v[171:172], v173
.LBB76_56:
	s_or_b32 exec_lo, exec_lo, s6
	v_mov_b32_e32 v172, v164
	v_mov_b32_e32 v171, v164
.LBB76_57:
	s_or_b32 exec_lo, exec_lo, s3
.LBB76_58:
	s_and_not1_saveexec_b32 s2, s2
	s_cbranch_execz .LBB76_60
; %bb.59:
	v_mov_b32_e32 v172, 2
	ds_store_2addr_b64 v166, v[148:149], v[150:151] offset0:6 offset1:7
	ds_store_2addr_b64 v166, v[144:145], v[146:147] offset0:8 offset1:9
	;; [unrolled: 1-line block ×36, first 2 shown]
.LBB76_60:
	s_or_b32 exec_lo, exec_lo, s2
	s_delay_alu instid0(SALU_CYCLE_1)
	s_mov_b32 s2, exec_lo
	s_waitcnt lgkmcnt(0)
	s_waitcnt_vscnt null, 0x0
	s_barrier
	buffer_gl0_inv
	v_cmpx_lt_i32_e32 2, v172
	s_cbranch_execz .LBB76_62
; %bb.61:
	v_mul_f64 v[164:165], v[158:159], v[154:155]
	v_mul_f64 v[154:155], v[156:157], v[154:155]
	s_delay_alu instid0(VALU_DEP_2) | instskip(NEXT) | instid1(VALU_DEP_2)
	v_fma_f64 v[164:165], v[156:157], v[152:153], -v[164:165]
	v_fma_f64 v[154:155], v[158:159], v[152:153], v[154:155]
	ds_load_2addr_b64 v[156:159], v166 offset0:6 offset1:7
	s_waitcnt lgkmcnt(0)
	v_mul_f64 v[152:153], v[158:159], v[154:155]
	s_delay_alu instid0(VALU_DEP_1) | instskip(SKIP_1) | instid1(VALU_DEP_2)
	v_fma_f64 v[152:153], v[156:157], v[164:165], -v[152:153]
	v_mul_f64 v[156:157], v[156:157], v[154:155]
	v_add_f64 v[148:149], v[148:149], -v[152:153]
	s_delay_alu instid0(VALU_DEP_2) | instskip(NEXT) | instid1(VALU_DEP_1)
	v_fma_f64 v[156:157], v[158:159], v[164:165], v[156:157]
	v_add_f64 v[150:151], v[150:151], -v[156:157]
	ds_load_2addr_b64 v[156:159], v166 offset0:8 offset1:9
	s_waitcnt lgkmcnt(0)
	v_mul_f64 v[152:153], v[158:159], v[154:155]
	s_delay_alu instid0(VALU_DEP_1) | instskip(SKIP_1) | instid1(VALU_DEP_2)
	v_fma_f64 v[152:153], v[156:157], v[164:165], -v[152:153]
	v_mul_f64 v[156:157], v[156:157], v[154:155]
	v_add_f64 v[144:145], v[144:145], -v[152:153]
	s_delay_alu instid0(VALU_DEP_2) | instskip(NEXT) | instid1(VALU_DEP_1)
	v_fma_f64 v[156:157], v[158:159], v[164:165], v[156:157]
	v_add_f64 v[146:147], v[146:147], -v[156:157]
	;; [unrolled: 10-line block ×35, first 2 shown]
	ds_load_2addr_b64 v[156:159], v166 offset0:76 offset1:77
	s_waitcnt lgkmcnt(0)
	v_mul_f64 v[152:153], v[158:159], v[154:155]
	s_delay_alu instid0(VALU_DEP_1) | instskip(SKIP_1) | instid1(VALU_DEP_2)
	v_fma_f64 v[152:153], v[156:157], v[164:165], -v[152:153]
	v_mul_f64 v[156:157], v[156:157], v[154:155]
	v_add_f64 v[0:1], v[0:1], -v[152:153]
	s_delay_alu instid0(VALU_DEP_2) | instskip(SKIP_1) | instid1(VALU_DEP_2)
	v_fma_f64 v[156:157], v[158:159], v[164:165], v[156:157]
	v_dual_mov_b32 v152, v164 :: v_dual_mov_b32 v153, v165
	v_add_f64 v[2:3], v[2:3], -v[156:157]
.LBB76_62:
	s_or_b32 exec_lo, exec_lo, s2
	v_lshl_add_u32 v156, v172, 4, v166
	s_barrier
	buffer_gl0_inv
	v_mov_b32_e32 v164, 3
	ds_store_2addr_b64 v156, v[148:149], v[150:151] offset1:1
	s_waitcnt lgkmcnt(0)
	s_barrier
	buffer_gl0_inv
	ds_load_2addr_b64 v[156:159], v166 offset0:6 offset1:7
	s_cmp_lt_i32 s5, 5
	s_mov_b32 s6, 4
	s_cbranch_scc1 .LBB76_65
; %bb.63:
	v_add3_u32 v165, v170, 0, 64
	v_mov_b32_e32 v164, 3
	s_set_inst_prefetch_distance 0x1
	.p2align	6
.LBB76_64:                              ; =>This Inner Loop Header: Depth=1
	ds_load_2addr_b64 v[173:176], v165 offset1:1
	s_waitcnt lgkmcnt(1)
	v_cmp_gt_f64_e32 vcc_lo, 0, v[156:157]
	v_xor_b32_e32 v177, 0x80000000, v157
	v_cmp_gt_f64_e64 s2, 0, v[158:159]
	v_xor_b32_e32 v179, 0x80000000, v159
	v_add_nc_u32_e32 v165, 16, v165
	s_waitcnt lgkmcnt(0)
	v_cmp_gt_f64_e64 s3, 0, v[173:174]
	v_mov_b32_e32 v181, v173
	v_dual_mov_b32 v183, v175 :: v_dual_cndmask_b32 v178, v157, v177
	v_xor_b32_e32 v177, 0x80000000, v174
	v_cndmask_b32_e64 v180, v159, v179, s2
	v_xor_b32_e32 v179, 0x80000000, v176
	s_delay_alu instid0(VALU_DEP_3) | instskip(SKIP_2) | instid1(VALU_DEP_2)
	v_cndmask_b32_e64 v182, v174, v177, s3
	v_cmp_gt_f64_e64 s3, 0, v[175:176]
	v_cndmask_b32_e32 v177, v156, v156, vcc_lo
	v_cndmask_b32_e64 v184, v176, v179, s3
	v_cndmask_b32_e64 v179, v158, v158, s2
	s_delay_alu instid0(VALU_DEP_2) | instskip(NEXT) | instid1(VALU_DEP_2)
	v_add_f64 v[181:182], v[181:182], v[183:184]
	v_add_f64 v[177:178], v[177:178], v[179:180]
	s_delay_alu instid0(VALU_DEP_1) | instskip(SKIP_4) | instid1(SALU_CYCLE_1)
	v_cmp_lt_f64_e32 vcc_lo, v[177:178], v[181:182]
	v_dual_cndmask_b32 v158, v158, v175 :: v_dual_cndmask_b32 v157, v157, v174
	v_dual_cndmask_b32 v156, v156, v173 :: v_dual_cndmask_b32 v159, v159, v176
	v_cndmask_b32_e64 v164, v164, s6, vcc_lo
	s_add_i32 s6, s6, 1
	s_cmp_lg_u32 s5, s6
	s_cbranch_scc1 .LBB76_64
.LBB76_65:
	s_set_inst_prefetch_distance 0x2
	s_waitcnt lgkmcnt(0)
	v_cmp_eq_f64_e32 vcc_lo, 0, v[156:157]
	v_cmp_eq_f64_e64 s2, 0, v[158:159]
	s_delay_alu instid0(VALU_DEP_1) | instskip(NEXT) | instid1(SALU_CYCLE_1)
	s_and_b32 s2, vcc_lo, s2
	s_and_saveexec_b32 s3, s2
	s_delay_alu instid0(SALU_CYCLE_1)
	s_xor_b32 s2, exec_lo, s3
; %bb.66:
	v_cmp_ne_u32_e32 vcc_lo, 0, v169
	v_cndmask_b32_e32 v169, 4, v169, vcc_lo
; %bb.67:
	s_and_not1_saveexec_b32 s3, s2
	s_cbranch_execz .LBB76_73
; %bb.68:
	v_cmp_gt_f64_e32 vcc_lo, 0, v[156:157]
	v_cmp_gt_f64_e64 s2, 0, v[158:159]
	v_xor_b32_e32 v165, 0x80000000, v157
	v_xor_b32_e32 v173, 0x80000000, v159
	s_delay_alu instid0(VALU_DEP_2) | instskip(NEXT) | instid1(VALU_DEP_2)
	v_cndmask_b32_e32 v174, v157, v165, vcc_lo
	v_cndmask_b32_e64 v176, v159, v173, s2
	v_cndmask_b32_e32 v173, v156, v156, vcc_lo
	v_cndmask_b32_e64 v175, v158, v158, s2
	s_mov_b32 s2, exec_lo
	s_delay_alu instid0(VALU_DEP_1)
	v_cmpx_ngt_f64_e32 v[173:174], v[175:176]
	s_xor_b32 s2, exec_lo, s2
	s_cbranch_execz .LBB76_70
; %bb.69:
	v_div_scale_f64 v[173:174], null, v[158:159], v[158:159], v[156:157]
	v_div_scale_f64 v[179:180], vcc_lo, v[156:157], v[158:159], v[156:157]
	s_delay_alu instid0(VALU_DEP_2) | instskip(SKIP_2) | instid1(VALU_DEP_1)
	v_rcp_f64_e32 v[175:176], v[173:174]
	s_waitcnt_depctr 0xfff
	v_fma_f64 v[177:178], -v[173:174], v[175:176], 1.0
	v_fma_f64 v[175:176], v[175:176], v[177:178], v[175:176]
	s_delay_alu instid0(VALU_DEP_1) | instskip(NEXT) | instid1(VALU_DEP_1)
	v_fma_f64 v[177:178], -v[173:174], v[175:176], 1.0
	v_fma_f64 v[175:176], v[175:176], v[177:178], v[175:176]
	s_delay_alu instid0(VALU_DEP_1) | instskip(NEXT) | instid1(VALU_DEP_1)
	v_mul_f64 v[177:178], v[179:180], v[175:176]
	v_fma_f64 v[173:174], -v[173:174], v[177:178], v[179:180]
	s_delay_alu instid0(VALU_DEP_1) | instskip(NEXT) | instid1(VALU_DEP_1)
	v_div_fmas_f64 v[173:174], v[173:174], v[175:176], v[177:178]
	v_div_fixup_f64 v[173:174], v[173:174], v[158:159], v[156:157]
	s_delay_alu instid0(VALU_DEP_1) | instskip(NEXT) | instid1(VALU_DEP_1)
	v_fma_f64 v[156:157], v[156:157], v[173:174], v[158:159]
	v_div_scale_f64 v[158:159], null, v[156:157], v[156:157], 1.0
	s_delay_alu instid0(VALU_DEP_1) | instskip(SKIP_2) | instid1(VALU_DEP_1)
	v_rcp_f64_e32 v[175:176], v[158:159]
	s_waitcnt_depctr 0xfff
	v_fma_f64 v[177:178], -v[158:159], v[175:176], 1.0
	v_fma_f64 v[175:176], v[175:176], v[177:178], v[175:176]
	s_delay_alu instid0(VALU_DEP_1) | instskip(NEXT) | instid1(VALU_DEP_1)
	v_fma_f64 v[177:178], -v[158:159], v[175:176], 1.0
	v_fma_f64 v[175:176], v[175:176], v[177:178], v[175:176]
	v_div_scale_f64 v[177:178], vcc_lo, 1.0, v[156:157], 1.0
	s_delay_alu instid0(VALU_DEP_1) | instskip(NEXT) | instid1(VALU_DEP_1)
	v_mul_f64 v[179:180], v[177:178], v[175:176]
	v_fma_f64 v[158:159], -v[158:159], v[179:180], v[177:178]
	s_delay_alu instid0(VALU_DEP_1) | instskip(NEXT) | instid1(VALU_DEP_1)
	v_div_fmas_f64 v[158:159], v[158:159], v[175:176], v[179:180]
	v_div_fixup_f64 v[158:159], v[158:159], v[156:157], 1.0
	s_delay_alu instid0(VALU_DEP_1)
	v_mul_f64 v[156:157], v[173:174], v[158:159]
	v_xor_b32_e32 v159, 0x80000000, v159
.LBB76_70:
	s_and_not1_saveexec_b32 s2, s2
	s_cbranch_execz .LBB76_72
; %bb.71:
	s_delay_alu instid0(VALU_DEP_1) | instskip(SKIP_1) | instid1(VALU_DEP_2)
	v_div_scale_f64 v[173:174], null, v[156:157], v[156:157], v[158:159]
	v_div_scale_f64 v[179:180], vcc_lo, v[158:159], v[156:157], v[158:159]
	v_rcp_f64_e32 v[175:176], v[173:174]
	s_waitcnt_depctr 0xfff
	v_fma_f64 v[177:178], -v[173:174], v[175:176], 1.0
	s_delay_alu instid0(VALU_DEP_1) | instskip(NEXT) | instid1(VALU_DEP_1)
	v_fma_f64 v[175:176], v[175:176], v[177:178], v[175:176]
	v_fma_f64 v[177:178], -v[173:174], v[175:176], 1.0
	s_delay_alu instid0(VALU_DEP_1) | instskip(NEXT) | instid1(VALU_DEP_1)
	v_fma_f64 v[175:176], v[175:176], v[177:178], v[175:176]
	v_mul_f64 v[177:178], v[179:180], v[175:176]
	s_delay_alu instid0(VALU_DEP_1) | instskip(NEXT) | instid1(VALU_DEP_1)
	v_fma_f64 v[173:174], -v[173:174], v[177:178], v[179:180]
	v_div_fmas_f64 v[173:174], v[173:174], v[175:176], v[177:178]
	s_delay_alu instid0(VALU_DEP_1) | instskip(NEXT) | instid1(VALU_DEP_1)
	v_div_fixup_f64 v[173:174], v[173:174], v[156:157], v[158:159]
	v_fma_f64 v[156:157], v[158:159], v[173:174], v[156:157]
	s_delay_alu instid0(VALU_DEP_1) | instskip(NEXT) | instid1(VALU_DEP_1)
	v_div_scale_f64 v[158:159], null, v[156:157], v[156:157], 1.0
	v_rcp_f64_e32 v[175:176], v[158:159]
	s_waitcnt_depctr 0xfff
	v_fma_f64 v[177:178], -v[158:159], v[175:176], 1.0
	s_delay_alu instid0(VALU_DEP_1) | instskip(NEXT) | instid1(VALU_DEP_1)
	v_fma_f64 v[175:176], v[175:176], v[177:178], v[175:176]
	v_fma_f64 v[177:178], -v[158:159], v[175:176], 1.0
	s_delay_alu instid0(VALU_DEP_1) | instskip(SKIP_1) | instid1(VALU_DEP_1)
	v_fma_f64 v[175:176], v[175:176], v[177:178], v[175:176]
	v_div_scale_f64 v[177:178], vcc_lo, 1.0, v[156:157], 1.0
	v_mul_f64 v[179:180], v[177:178], v[175:176]
	s_delay_alu instid0(VALU_DEP_1) | instskip(NEXT) | instid1(VALU_DEP_1)
	v_fma_f64 v[158:159], -v[158:159], v[179:180], v[177:178]
	v_div_fmas_f64 v[158:159], v[158:159], v[175:176], v[179:180]
	s_delay_alu instid0(VALU_DEP_1) | instskip(NEXT) | instid1(VALU_DEP_1)
	v_div_fixup_f64 v[156:157], v[158:159], v[156:157], 1.0
	v_mul_f64 v[158:159], v[173:174], -v[156:157]
.LBB76_72:
	s_or_b32 exec_lo, exec_lo, s2
.LBB76_73:
	s_delay_alu instid0(SALU_CYCLE_1) | instskip(NEXT) | instid1(SALU_CYCLE_1)
	s_or_b32 exec_lo, exec_lo, s3
	s_mov_b32 s2, exec_lo
	v_cmpx_ne_u32_e64 v172, v164
	s_xor_b32 s2, exec_lo, s2
	s_cbranch_execz .LBB76_79
; %bb.74:
	s_mov_b32 s3, exec_lo
	v_cmpx_eq_u32_e32 3, v172
	s_cbranch_execz .LBB76_78
; %bb.75:
	v_cmp_ne_u32_e32 vcc_lo, 3, v164
	s_xor_b32 s6, s4, -1
	s_delay_alu instid0(SALU_CYCLE_1) | instskip(NEXT) | instid1(SALU_CYCLE_1)
	s_and_b32 s7, s6, vcc_lo
	s_and_saveexec_b32 s6, s7
	s_cbranch_execz .LBB76_77
; %bb.76:
	v_ashrrev_i32_e32 v165, 31, v164
	s_delay_alu instid0(VALU_DEP_1) | instskip(NEXT) | instid1(VALU_DEP_1)
	v_lshlrev_b64 v[171:172], 2, v[164:165]
	v_add_co_u32 v171, vcc_lo, v162, v171
	s_delay_alu instid0(VALU_DEP_2)
	v_add_co_ci_u32_e32 v172, vcc_lo, v163, v172, vcc_lo
	s_clause 0x1
	flat_load_b32 v165, v[171:172]
	flat_load_b32 v173, v[162:163] offset:12
	s_waitcnt vmcnt(1) lgkmcnt(1)
	flat_store_b32 v[162:163], v165 offset:12
	s_waitcnt vmcnt(0) lgkmcnt(1)
	flat_store_b32 v[171:172], v173
.LBB76_77:
	s_or_b32 exec_lo, exec_lo, s6
	v_mov_b32_e32 v172, v164
	v_mov_b32_e32 v171, v164
.LBB76_78:
	s_or_b32 exec_lo, exec_lo, s3
.LBB76_79:
	s_and_not1_saveexec_b32 s2, s2
	s_cbranch_execz .LBB76_81
; %bb.80:
	v_mov_b32_e32 v172, 3
	ds_store_2addr_b64 v166, v[144:145], v[146:147] offset0:8 offset1:9
	ds_store_2addr_b64 v166, v[140:141], v[142:143] offset0:10 offset1:11
	;; [unrolled: 1-line block ×35, first 2 shown]
.LBB76_81:
	s_or_b32 exec_lo, exec_lo, s2
	s_delay_alu instid0(SALU_CYCLE_1)
	s_mov_b32 s2, exec_lo
	s_waitcnt lgkmcnt(0)
	s_waitcnt_vscnt null, 0x0
	s_barrier
	buffer_gl0_inv
	v_cmpx_lt_i32_e32 3, v172
	s_cbranch_execz .LBB76_83
; %bb.82:
	v_mul_f64 v[164:165], v[158:159], v[150:151]
	v_mul_f64 v[150:151], v[156:157], v[150:151]
	s_delay_alu instid0(VALU_DEP_2) | instskip(NEXT) | instid1(VALU_DEP_2)
	v_fma_f64 v[164:165], v[156:157], v[148:149], -v[164:165]
	v_fma_f64 v[150:151], v[158:159], v[148:149], v[150:151]
	ds_load_2addr_b64 v[156:159], v166 offset0:8 offset1:9
	s_waitcnt lgkmcnt(0)
	v_mul_f64 v[148:149], v[158:159], v[150:151]
	s_delay_alu instid0(VALU_DEP_1) | instskip(SKIP_1) | instid1(VALU_DEP_2)
	v_fma_f64 v[148:149], v[156:157], v[164:165], -v[148:149]
	v_mul_f64 v[156:157], v[156:157], v[150:151]
	v_add_f64 v[144:145], v[144:145], -v[148:149]
	s_delay_alu instid0(VALU_DEP_2) | instskip(NEXT) | instid1(VALU_DEP_1)
	v_fma_f64 v[156:157], v[158:159], v[164:165], v[156:157]
	v_add_f64 v[146:147], v[146:147], -v[156:157]
	ds_load_2addr_b64 v[156:159], v166 offset0:10 offset1:11
	s_waitcnt lgkmcnt(0)
	v_mul_f64 v[148:149], v[158:159], v[150:151]
	s_delay_alu instid0(VALU_DEP_1) | instskip(SKIP_1) | instid1(VALU_DEP_2)
	v_fma_f64 v[148:149], v[156:157], v[164:165], -v[148:149]
	v_mul_f64 v[156:157], v[156:157], v[150:151]
	v_add_f64 v[140:141], v[140:141], -v[148:149]
	s_delay_alu instid0(VALU_DEP_2) | instskip(NEXT) | instid1(VALU_DEP_1)
	v_fma_f64 v[156:157], v[158:159], v[164:165], v[156:157]
	v_add_f64 v[142:143], v[142:143], -v[156:157]
	ds_load_2addr_b64 v[156:159], v166 offset0:12 offset1:13
	s_waitcnt lgkmcnt(0)
	v_mul_f64 v[148:149], v[158:159], v[150:151]
	s_delay_alu instid0(VALU_DEP_1) | instskip(SKIP_1) | instid1(VALU_DEP_2)
	v_fma_f64 v[148:149], v[156:157], v[164:165], -v[148:149]
	v_mul_f64 v[156:157], v[156:157], v[150:151]
	v_add_f64 v[136:137], v[136:137], -v[148:149]
	s_delay_alu instid0(VALU_DEP_2) | instskip(NEXT) | instid1(VALU_DEP_1)
	v_fma_f64 v[156:157], v[158:159], v[164:165], v[156:157]
	v_add_f64 v[138:139], v[138:139], -v[156:157]
	ds_load_2addr_b64 v[156:159], v166 offset0:14 offset1:15
	s_waitcnt lgkmcnt(0)
	v_mul_f64 v[148:149], v[158:159], v[150:151]
	s_delay_alu instid0(VALU_DEP_1) | instskip(SKIP_1) | instid1(VALU_DEP_2)
	v_fma_f64 v[148:149], v[156:157], v[164:165], -v[148:149]
	v_mul_f64 v[156:157], v[156:157], v[150:151]
	v_add_f64 v[132:133], v[132:133], -v[148:149]
	s_delay_alu instid0(VALU_DEP_2) | instskip(NEXT) | instid1(VALU_DEP_1)
	v_fma_f64 v[156:157], v[158:159], v[164:165], v[156:157]
	v_add_f64 v[134:135], v[134:135], -v[156:157]
	ds_load_2addr_b64 v[156:159], v166 offset0:16 offset1:17
	s_waitcnt lgkmcnt(0)
	v_mul_f64 v[148:149], v[158:159], v[150:151]
	s_delay_alu instid0(VALU_DEP_1) | instskip(SKIP_1) | instid1(VALU_DEP_2)
	v_fma_f64 v[148:149], v[156:157], v[164:165], -v[148:149]
	v_mul_f64 v[156:157], v[156:157], v[150:151]
	v_add_f64 v[128:129], v[128:129], -v[148:149]
	s_delay_alu instid0(VALU_DEP_2) | instskip(NEXT) | instid1(VALU_DEP_1)
	v_fma_f64 v[156:157], v[158:159], v[164:165], v[156:157]
	v_add_f64 v[130:131], v[130:131], -v[156:157]
	ds_load_2addr_b64 v[156:159], v166 offset0:18 offset1:19
	s_waitcnt lgkmcnt(0)
	v_mul_f64 v[148:149], v[158:159], v[150:151]
	s_delay_alu instid0(VALU_DEP_1) | instskip(SKIP_1) | instid1(VALU_DEP_2)
	v_fma_f64 v[148:149], v[156:157], v[164:165], -v[148:149]
	v_mul_f64 v[156:157], v[156:157], v[150:151]
	v_add_f64 v[124:125], v[124:125], -v[148:149]
	s_delay_alu instid0(VALU_DEP_2) | instskip(NEXT) | instid1(VALU_DEP_1)
	v_fma_f64 v[156:157], v[158:159], v[164:165], v[156:157]
	v_add_f64 v[126:127], v[126:127], -v[156:157]
	ds_load_2addr_b64 v[156:159], v166 offset0:20 offset1:21
	s_waitcnt lgkmcnt(0)
	v_mul_f64 v[148:149], v[158:159], v[150:151]
	s_delay_alu instid0(VALU_DEP_1) | instskip(SKIP_1) | instid1(VALU_DEP_2)
	v_fma_f64 v[148:149], v[156:157], v[164:165], -v[148:149]
	v_mul_f64 v[156:157], v[156:157], v[150:151]
	v_add_f64 v[120:121], v[120:121], -v[148:149]
	s_delay_alu instid0(VALU_DEP_2) | instskip(NEXT) | instid1(VALU_DEP_1)
	v_fma_f64 v[156:157], v[158:159], v[164:165], v[156:157]
	v_add_f64 v[122:123], v[122:123], -v[156:157]
	ds_load_2addr_b64 v[156:159], v166 offset0:22 offset1:23
	s_waitcnt lgkmcnt(0)
	v_mul_f64 v[148:149], v[158:159], v[150:151]
	s_delay_alu instid0(VALU_DEP_1) | instskip(SKIP_1) | instid1(VALU_DEP_2)
	v_fma_f64 v[148:149], v[156:157], v[164:165], -v[148:149]
	v_mul_f64 v[156:157], v[156:157], v[150:151]
	v_add_f64 v[116:117], v[116:117], -v[148:149]
	s_delay_alu instid0(VALU_DEP_2) | instskip(NEXT) | instid1(VALU_DEP_1)
	v_fma_f64 v[156:157], v[158:159], v[164:165], v[156:157]
	v_add_f64 v[118:119], v[118:119], -v[156:157]
	ds_load_2addr_b64 v[156:159], v166 offset0:24 offset1:25
	s_waitcnt lgkmcnt(0)
	v_mul_f64 v[148:149], v[158:159], v[150:151]
	s_delay_alu instid0(VALU_DEP_1) | instskip(SKIP_1) | instid1(VALU_DEP_2)
	v_fma_f64 v[148:149], v[156:157], v[164:165], -v[148:149]
	v_mul_f64 v[156:157], v[156:157], v[150:151]
	v_add_f64 v[112:113], v[112:113], -v[148:149]
	s_delay_alu instid0(VALU_DEP_2) | instskip(NEXT) | instid1(VALU_DEP_1)
	v_fma_f64 v[156:157], v[158:159], v[164:165], v[156:157]
	v_add_f64 v[114:115], v[114:115], -v[156:157]
	ds_load_2addr_b64 v[156:159], v166 offset0:26 offset1:27
	s_waitcnt lgkmcnt(0)
	v_mul_f64 v[148:149], v[158:159], v[150:151]
	s_delay_alu instid0(VALU_DEP_1) | instskip(SKIP_1) | instid1(VALU_DEP_2)
	v_fma_f64 v[148:149], v[156:157], v[164:165], -v[148:149]
	v_mul_f64 v[156:157], v[156:157], v[150:151]
	v_add_f64 v[108:109], v[108:109], -v[148:149]
	s_delay_alu instid0(VALU_DEP_2) | instskip(NEXT) | instid1(VALU_DEP_1)
	v_fma_f64 v[156:157], v[158:159], v[164:165], v[156:157]
	v_add_f64 v[110:111], v[110:111], -v[156:157]
	ds_load_2addr_b64 v[156:159], v166 offset0:28 offset1:29
	s_waitcnt lgkmcnt(0)
	v_mul_f64 v[148:149], v[158:159], v[150:151]
	s_delay_alu instid0(VALU_DEP_1) | instskip(SKIP_1) | instid1(VALU_DEP_2)
	v_fma_f64 v[148:149], v[156:157], v[164:165], -v[148:149]
	v_mul_f64 v[156:157], v[156:157], v[150:151]
	v_add_f64 v[104:105], v[104:105], -v[148:149]
	s_delay_alu instid0(VALU_DEP_2) | instskip(NEXT) | instid1(VALU_DEP_1)
	v_fma_f64 v[156:157], v[158:159], v[164:165], v[156:157]
	v_add_f64 v[106:107], v[106:107], -v[156:157]
	ds_load_2addr_b64 v[156:159], v166 offset0:30 offset1:31
	s_waitcnt lgkmcnt(0)
	v_mul_f64 v[148:149], v[158:159], v[150:151]
	s_delay_alu instid0(VALU_DEP_1) | instskip(SKIP_1) | instid1(VALU_DEP_2)
	v_fma_f64 v[148:149], v[156:157], v[164:165], -v[148:149]
	v_mul_f64 v[156:157], v[156:157], v[150:151]
	v_add_f64 v[100:101], v[100:101], -v[148:149]
	s_delay_alu instid0(VALU_DEP_2) | instskip(NEXT) | instid1(VALU_DEP_1)
	v_fma_f64 v[156:157], v[158:159], v[164:165], v[156:157]
	v_add_f64 v[102:103], v[102:103], -v[156:157]
	ds_load_2addr_b64 v[156:159], v166 offset0:32 offset1:33
	s_waitcnt lgkmcnt(0)
	v_mul_f64 v[148:149], v[158:159], v[150:151]
	s_delay_alu instid0(VALU_DEP_1) | instskip(SKIP_1) | instid1(VALU_DEP_2)
	v_fma_f64 v[148:149], v[156:157], v[164:165], -v[148:149]
	v_mul_f64 v[156:157], v[156:157], v[150:151]
	v_add_f64 v[96:97], v[96:97], -v[148:149]
	s_delay_alu instid0(VALU_DEP_2) | instskip(NEXT) | instid1(VALU_DEP_1)
	v_fma_f64 v[156:157], v[158:159], v[164:165], v[156:157]
	v_add_f64 v[98:99], v[98:99], -v[156:157]
	ds_load_2addr_b64 v[156:159], v166 offset0:34 offset1:35
	s_waitcnt lgkmcnt(0)
	v_mul_f64 v[148:149], v[158:159], v[150:151]
	s_delay_alu instid0(VALU_DEP_1) | instskip(SKIP_1) | instid1(VALU_DEP_2)
	v_fma_f64 v[148:149], v[156:157], v[164:165], -v[148:149]
	v_mul_f64 v[156:157], v[156:157], v[150:151]
	v_add_f64 v[92:93], v[92:93], -v[148:149]
	s_delay_alu instid0(VALU_DEP_2) | instskip(NEXT) | instid1(VALU_DEP_1)
	v_fma_f64 v[156:157], v[158:159], v[164:165], v[156:157]
	v_add_f64 v[94:95], v[94:95], -v[156:157]
	ds_load_2addr_b64 v[156:159], v166 offset0:36 offset1:37
	s_waitcnt lgkmcnt(0)
	v_mul_f64 v[148:149], v[158:159], v[150:151]
	s_delay_alu instid0(VALU_DEP_1) | instskip(SKIP_1) | instid1(VALU_DEP_2)
	v_fma_f64 v[148:149], v[156:157], v[164:165], -v[148:149]
	v_mul_f64 v[156:157], v[156:157], v[150:151]
	v_add_f64 v[88:89], v[88:89], -v[148:149]
	s_delay_alu instid0(VALU_DEP_2) | instskip(NEXT) | instid1(VALU_DEP_1)
	v_fma_f64 v[156:157], v[158:159], v[164:165], v[156:157]
	v_add_f64 v[90:91], v[90:91], -v[156:157]
	ds_load_2addr_b64 v[156:159], v166 offset0:38 offset1:39
	s_waitcnt lgkmcnt(0)
	v_mul_f64 v[148:149], v[158:159], v[150:151]
	s_delay_alu instid0(VALU_DEP_1) | instskip(SKIP_1) | instid1(VALU_DEP_2)
	v_fma_f64 v[148:149], v[156:157], v[164:165], -v[148:149]
	v_mul_f64 v[156:157], v[156:157], v[150:151]
	v_add_f64 v[84:85], v[84:85], -v[148:149]
	s_delay_alu instid0(VALU_DEP_2) | instskip(NEXT) | instid1(VALU_DEP_1)
	v_fma_f64 v[156:157], v[158:159], v[164:165], v[156:157]
	v_add_f64 v[86:87], v[86:87], -v[156:157]
	ds_load_2addr_b64 v[156:159], v166 offset0:40 offset1:41
	s_waitcnt lgkmcnt(0)
	v_mul_f64 v[148:149], v[158:159], v[150:151]
	s_delay_alu instid0(VALU_DEP_1) | instskip(SKIP_1) | instid1(VALU_DEP_2)
	v_fma_f64 v[148:149], v[156:157], v[164:165], -v[148:149]
	v_mul_f64 v[156:157], v[156:157], v[150:151]
	v_add_f64 v[80:81], v[80:81], -v[148:149]
	s_delay_alu instid0(VALU_DEP_2) | instskip(NEXT) | instid1(VALU_DEP_1)
	v_fma_f64 v[156:157], v[158:159], v[164:165], v[156:157]
	v_add_f64 v[82:83], v[82:83], -v[156:157]
	ds_load_2addr_b64 v[156:159], v166 offset0:42 offset1:43
	s_waitcnt lgkmcnt(0)
	v_mul_f64 v[148:149], v[158:159], v[150:151]
	s_delay_alu instid0(VALU_DEP_1) | instskip(SKIP_1) | instid1(VALU_DEP_2)
	v_fma_f64 v[148:149], v[156:157], v[164:165], -v[148:149]
	v_mul_f64 v[156:157], v[156:157], v[150:151]
	v_add_f64 v[76:77], v[76:77], -v[148:149]
	s_delay_alu instid0(VALU_DEP_2) | instskip(NEXT) | instid1(VALU_DEP_1)
	v_fma_f64 v[156:157], v[158:159], v[164:165], v[156:157]
	v_add_f64 v[78:79], v[78:79], -v[156:157]
	ds_load_2addr_b64 v[156:159], v166 offset0:44 offset1:45
	s_waitcnt lgkmcnt(0)
	v_mul_f64 v[148:149], v[158:159], v[150:151]
	s_delay_alu instid0(VALU_DEP_1) | instskip(SKIP_1) | instid1(VALU_DEP_2)
	v_fma_f64 v[148:149], v[156:157], v[164:165], -v[148:149]
	v_mul_f64 v[156:157], v[156:157], v[150:151]
	v_add_f64 v[72:73], v[72:73], -v[148:149]
	s_delay_alu instid0(VALU_DEP_2) | instskip(NEXT) | instid1(VALU_DEP_1)
	v_fma_f64 v[156:157], v[158:159], v[164:165], v[156:157]
	v_add_f64 v[74:75], v[74:75], -v[156:157]
	ds_load_2addr_b64 v[156:159], v166 offset0:46 offset1:47
	s_waitcnt lgkmcnt(0)
	v_mul_f64 v[148:149], v[158:159], v[150:151]
	s_delay_alu instid0(VALU_DEP_1) | instskip(SKIP_1) | instid1(VALU_DEP_2)
	v_fma_f64 v[148:149], v[156:157], v[164:165], -v[148:149]
	v_mul_f64 v[156:157], v[156:157], v[150:151]
	v_add_f64 v[68:69], v[68:69], -v[148:149]
	s_delay_alu instid0(VALU_DEP_2) | instskip(NEXT) | instid1(VALU_DEP_1)
	v_fma_f64 v[156:157], v[158:159], v[164:165], v[156:157]
	v_add_f64 v[70:71], v[70:71], -v[156:157]
	ds_load_2addr_b64 v[156:159], v166 offset0:48 offset1:49
	s_waitcnt lgkmcnt(0)
	v_mul_f64 v[148:149], v[158:159], v[150:151]
	s_delay_alu instid0(VALU_DEP_1) | instskip(SKIP_1) | instid1(VALU_DEP_2)
	v_fma_f64 v[148:149], v[156:157], v[164:165], -v[148:149]
	v_mul_f64 v[156:157], v[156:157], v[150:151]
	v_add_f64 v[64:65], v[64:65], -v[148:149]
	s_delay_alu instid0(VALU_DEP_2) | instskip(NEXT) | instid1(VALU_DEP_1)
	v_fma_f64 v[156:157], v[158:159], v[164:165], v[156:157]
	v_add_f64 v[66:67], v[66:67], -v[156:157]
	ds_load_2addr_b64 v[156:159], v166 offset0:50 offset1:51
	s_waitcnt lgkmcnt(0)
	v_mul_f64 v[148:149], v[158:159], v[150:151]
	s_delay_alu instid0(VALU_DEP_1) | instskip(SKIP_1) | instid1(VALU_DEP_2)
	v_fma_f64 v[148:149], v[156:157], v[164:165], -v[148:149]
	v_mul_f64 v[156:157], v[156:157], v[150:151]
	v_add_f64 v[60:61], v[60:61], -v[148:149]
	s_delay_alu instid0(VALU_DEP_2) | instskip(NEXT) | instid1(VALU_DEP_1)
	v_fma_f64 v[156:157], v[158:159], v[164:165], v[156:157]
	v_add_f64 v[62:63], v[62:63], -v[156:157]
	ds_load_2addr_b64 v[156:159], v166 offset0:52 offset1:53
	s_waitcnt lgkmcnt(0)
	v_mul_f64 v[148:149], v[158:159], v[150:151]
	s_delay_alu instid0(VALU_DEP_1) | instskip(SKIP_1) | instid1(VALU_DEP_2)
	v_fma_f64 v[148:149], v[156:157], v[164:165], -v[148:149]
	v_mul_f64 v[156:157], v[156:157], v[150:151]
	v_add_f64 v[56:57], v[56:57], -v[148:149]
	s_delay_alu instid0(VALU_DEP_2) | instskip(NEXT) | instid1(VALU_DEP_1)
	v_fma_f64 v[156:157], v[158:159], v[164:165], v[156:157]
	v_add_f64 v[58:59], v[58:59], -v[156:157]
	ds_load_2addr_b64 v[156:159], v166 offset0:54 offset1:55
	s_waitcnt lgkmcnt(0)
	v_mul_f64 v[148:149], v[158:159], v[150:151]
	s_delay_alu instid0(VALU_DEP_1) | instskip(SKIP_1) | instid1(VALU_DEP_2)
	v_fma_f64 v[148:149], v[156:157], v[164:165], -v[148:149]
	v_mul_f64 v[156:157], v[156:157], v[150:151]
	v_add_f64 v[44:45], v[44:45], -v[148:149]
	s_delay_alu instid0(VALU_DEP_2) | instskip(NEXT) | instid1(VALU_DEP_1)
	v_fma_f64 v[156:157], v[158:159], v[164:165], v[156:157]
	v_add_f64 v[46:47], v[46:47], -v[156:157]
	ds_load_2addr_b64 v[156:159], v166 offset0:56 offset1:57
	s_waitcnt lgkmcnt(0)
	v_mul_f64 v[148:149], v[158:159], v[150:151]
	s_delay_alu instid0(VALU_DEP_1) | instskip(SKIP_1) | instid1(VALU_DEP_2)
	v_fma_f64 v[148:149], v[156:157], v[164:165], -v[148:149]
	v_mul_f64 v[156:157], v[156:157], v[150:151]
	v_add_f64 v[40:41], v[40:41], -v[148:149]
	s_delay_alu instid0(VALU_DEP_2) | instskip(NEXT) | instid1(VALU_DEP_1)
	v_fma_f64 v[156:157], v[158:159], v[164:165], v[156:157]
	v_add_f64 v[42:43], v[42:43], -v[156:157]
	ds_load_2addr_b64 v[156:159], v166 offset0:58 offset1:59
	s_waitcnt lgkmcnt(0)
	v_mul_f64 v[148:149], v[158:159], v[150:151]
	s_delay_alu instid0(VALU_DEP_1) | instskip(SKIP_1) | instid1(VALU_DEP_2)
	v_fma_f64 v[148:149], v[156:157], v[164:165], -v[148:149]
	v_mul_f64 v[156:157], v[156:157], v[150:151]
	v_add_f64 v[36:37], v[36:37], -v[148:149]
	s_delay_alu instid0(VALU_DEP_2) | instskip(NEXT) | instid1(VALU_DEP_1)
	v_fma_f64 v[156:157], v[158:159], v[164:165], v[156:157]
	v_add_f64 v[38:39], v[38:39], -v[156:157]
	ds_load_2addr_b64 v[156:159], v166 offset0:60 offset1:61
	s_waitcnt lgkmcnt(0)
	v_mul_f64 v[148:149], v[158:159], v[150:151]
	s_delay_alu instid0(VALU_DEP_1) | instskip(SKIP_1) | instid1(VALU_DEP_2)
	v_fma_f64 v[148:149], v[156:157], v[164:165], -v[148:149]
	v_mul_f64 v[156:157], v[156:157], v[150:151]
	v_add_f64 v[32:33], v[32:33], -v[148:149]
	s_delay_alu instid0(VALU_DEP_2) | instskip(NEXT) | instid1(VALU_DEP_1)
	v_fma_f64 v[156:157], v[158:159], v[164:165], v[156:157]
	v_add_f64 v[34:35], v[34:35], -v[156:157]
	ds_load_2addr_b64 v[156:159], v166 offset0:62 offset1:63
	s_waitcnt lgkmcnt(0)
	v_mul_f64 v[148:149], v[158:159], v[150:151]
	s_delay_alu instid0(VALU_DEP_1) | instskip(SKIP_1) | instid1(VALU_DEP_2)
	v_fma_f64 v[148:149], v[156:157], v[164:165], -v[148:149]
	v_mul_f64 v[156:157], v[156:157], v[150:151]
	v_add_f64 v[28:29], v[28:29], -v[148:149]
	s_delay_alu instid0(VALU_DEP_2) | instskip(NEXT) | instid1(VALU_DEP_1)
	v_fma_f64 v[156:157], v[158:159], v[164:165], v[156:157]
	v_add_f64 v[30:31], v[30:31], -v[156:157]
	ds_load_2addr_b64 v[156:159], v166 offset0:64 offset1:65
	s_waitcnt lgkmcnt(0)
	v_mul_f64 v[148:149], v[158:159], v[150:151]
	s_delay_alu instid0(VALU_DEP_1) | instskip(SKIP_1) | instid1(VALU_DEP_2)
	v_fma_f64 v[148:149], v[156:157], v[164:165], -v[148:149]
	v_mul_f64 v[156:157], v[156:157], v[150:151]
	v_add_f64 v[24:25], v[24:25], -v[148:149]
	s_delay_alu instid0(VALU_DEP_2) | instskip(NEXT) | instid1(VALU_DEP_1)
	v_fma_f64 v[156:157], v[158:159], v[164:165], v[156:157]
	v_add_f64 v[26:27], v[26:27], -v[156:157]
	ds_load_2addr_b64 v[156:159], v166 offset0:66 offset1:67
	s_waitcnt lgkmcnt(0)
	v_mul_f64 v[148:149], v[158:159], v[150:151]
	s_delay_alu instid0(VALU_DEP_1) | instskip(SKIP_1) | instid1(VALU_DEP_2)
	v_fma_f64 v[148:149], v[156:157], v[164:165], -v[148:149]
	v_mul_f64 v[156:157], v[156:157], v[150:151]
	v_add_f64 v[20:21], v[20:21], -v[148:149]
	s_delay_alu instid0(VALU_DEP_2) | instskip(NEXT) | instid1(VALU_DEP_1)
	v_fma_f64 v[156:157], v[158:159], v[164:165], v[156:157]
	v_add_f64 v[22:23], v[22:23], -v[156:157]
	ds_load_2addr_b64 v[156:159], v166 offset0:68 offset1:69
	s_waitcnt lgkmcnt(0)
	v_mul_f64 v[148:149], v[158:159], v[150:151]
	s_delay_alu instid0(VALU_DEP_1) | instskip(SKIP_1) | instid1(VALU_DEP_2)
	v_fma_f64 v[148:149], v[156:157], v[164:165], -v[148:149]
	v_mul_f64 v[156:157], v[156:157], v[150:151]
	v_add_f64 v[16:17], v[16:17], -v[148:149]
	s_delay_alu instid0(VALU_DEP_2) | instskip(NEXT) | instid1(VALU_DEP_1)
	v_fma_f64 v[156:157], v[158:159], v[164:165], v[156:157]
	v_add_f64 v[18:19], v[18:19], -v[156:157]
	ds_load_2addr_b64 v[156:159], v166 offset0:70 offset1:71
	s_waitcnt lgkmcnt(0)
	v_mul_f64 v[148:149], v[158:159], v[150:151]
	s_delay_alu instid0(VALU_DEP_1) | instskip(SKIP_1) | instid1(VALU_DEP_2)
	v_fma_f64 v[148:149], v[156:157], v[164:165], -v[148:149]
	v_mul_f64 v[156:157], v[156:157], v[150:151]
	v_add_f64 v[12:13], v[12:13], -v[148:149]
	s_delay_alu instid0(VALU_DEP_2) | instskip(NEXT) | instid1(VALU_DEP_1)
	v_fma_f64 v[156:157], v[158:159], v[164:165], v[156:157]
	v_add_f64 v[14:15], v[14:15], -v[156:157]
	ds_load_2addr_b64 v[156:159], v166 offset0:72 offset1:73
	s_waitcnt lgkmcnt(0)
	v_mul_f64 v[148:149], v[158:159], v[150:151]
	s_delay_alu instid0(VALU_DEP_1) | instskip(SKIP_1) | instid1(VALU_DEP_2)
	v_fma_f64 v[148:149], v[156:157], v[164:165], -v[148:149]
	v_mul_f64 v[156:157], v[156:157], v[150:151]
	v_add_f64 v[8:9], v[8:9], -v[148:149]
	s_delay_alu instid0(VALU_DEP_2) | instskip(NEXT) | instid1(VALU_DEP_1)
	v_fma_f64 v[156:157], v[158:159], v[164:165], v[156:157]
	v_add_f64 v[10:11], v[10:11], -v[156:157]
	ds_load_2addr_b64 v[156:159], v166 offset0:74 offset1:75
	s_waitcnt lgkmcnt(0)
	v_mul_f64 v[148:149], v[158:159], v[150:151]
	s_delay_alu instid0(VALU_DEP_1) | instskip(SKIP_1) | instid1(VALU_DEP_2)
	v_fma_f64 v[148:149], v[156:157], v[164:165], -v[148:149]
	v_mul_f64 v[156:157], v[156:157], v[150:151]
	v_add_f64 v[4:5], v[4:5], -v[148:149]
	s_delay_alu instid0(VALU_DEP_2) | instskip(NEXT) | instid1(VALU_DEP_1)
	v_fma_f64 v[156:157], v[158:159], v[164:165], v[156:157]
	v_add_f64 v[6:7], v[6:7], -v[156:157]
	ds_load_2addr_b64 v[156:159], v166 offset0:76 offset1:77
	s_waitcnt lgkmcnt(0)
	v_mul_f64 v[148:149], v[158:159], v[150:151]
	s_delay_alu instid0(VALU_DEP_1) | instskip(SKIP_1) | instid1(VALU_DEP_2)
	v_fma_f64 v[148:149], v[156:157], v[164:165], -v[148:149]
	v_mul_f64 v[156:157], v[156:157], v[150:151]
	v_add_f64 v[0:1], v[0:1], -v[148:149]
	s_delay_alu instid0(VALU_DEP_2) | instskip(SKIP_1) | instid1(VALU_DEP_2)
	v_fma_f64 v[156:157], v[158:159], v[164:165], v[156:157]
	v_dual_mov_b32 v148, v164 :: v_dual_mov_b32 v149, v165
	v_add_f64 v[2:3], v[2:3], -v[156:157]
.LBB76_83:
	s_or_b32 exec_lo, exec_lo, s2
	v_lshl_add_u32 v156, v172, 4, v166
	s_barrier
	buffer_gl0_inv
	v_mov_b32_e32 v164, 4
	ds_store_2addr_b64 v156, v[144:145], v[146:147] offset1:1
	s_waitcnt lgkmcnt(0)
	s_barrier
	buffer_gl0_inv
	ds_load_2addr_b64 v[156:159], v166 offset0:8 offset1:9
	s_cmp_lt_i32 s5, 6
	s_cbranch_scc1 .LBB76_86
; %bb.84:
	v_add3_u32 v165, v170, 0, 0x50
	v_mov_b32_e32 v164, 4
	s_mov_b32 s6, 5
	s_set_inst_prefetch_distance 0x1
	.p2align	6
.LBB76_85:                              ; =>This Inner Loop Header: Depth=1
	ds_load_2addr_b64 v[173:176], v165 offset1:1
	s_waitcnt lgkmcnt(1)
	v_cmp_gt_f64_e32 vcc_lo, 0, v[156:157]
	v_xor_b32_e32 v177, 0x80000000, v157
	v_cmp_gt_f64_e64 s2, 0, v[158:159]
	v_xor_b32_e32 v179, 0x80000000, v159
	v_add_nc_u32_e32 v165, 16, v165
	s_waitcnt lgkmcnt(0)
	v_cmp_gt_f64_e64 s3, 0, v[173:174]
	v_mov_b32_e32 v181, v173
	v_dual_mov_b32 v183, v175 :: v_dual_cndmask_b32 v178, v157, v177
	v_xor_b32_e32 v177, 0x80000000, v174
	v_cndmask_b32_e64 v180, v159, v179, s2
	v_xor_b32_e32 v179, 0x80000000, v176
	s_delay_alu instid0(VALU_DEP_3) | instskip(SKIP_2) | instid1(VALU_DEP_2)
	v_cndmask_b32_e64 v182, v174, v177, s3
	v_cmp_gt_f64_e64 s3, 0, v[175:176]
	v_cndmask_b32_e32 v177, v156, v156, vcc_lo
	v_cndmask_b32_e64 v184, v176, v179, s3
	v_cndmask_b32_e64 v179, v158, v158, s2
	s_delay_alu instid0(VALU_DEP_2) | instskip(NEXT) | instid1(VALU_DEP_2)
	v_add_f64 v[181:182], v[181:182], v[183:184]
	v_add_f64 v[177:178], v[177:178], v[179:180]
	s_delay_alu instid0(VALU_DEP_1) | instskip(SKIP_4) | instid1(SALU_CYCLE_1)
	v_cmp_lt_f64_e32 vcc_lo, v[177:178], v[181:182]
	v_dual_cndmask_b32 v158, v158, v175 :: v_dual_cndmask_b32 v157, v157, v174
	v_dual_cndmask_b32 v156, v156, v173 :: v_dual_cndmask_b32 v159, v159, v176
	v_cndmask_b32_e64 v164, v164, s6, vcc_lo
	s_add_i32 s6, s6, 1
	s_cmp_lg_u32 s5, s6
	s_cbranch_scc1 .LBB76_85
.LBB76_86:
	s_set_inst_prefetch_distance 0x2
	s_waitcnt lgkmcnt(0)
	v_cmp_eq_f64_e32 vcc_lo, 0, v[156:157]
	v_cmp_eq_f64_e64 s2, 0, v[158:159]
	s_delay_alu instid0(VALU_DEP_1) | instskip(NEXT) | instid1(SALU_CYCLE_1)
	s_and_b32 s2, vcc_lo, s2
	s_and_saveexec_b32 s3, s2
	s_delay_alu instid0(SALU_CYCLE_1)
	s_xor_b32 s2, exec_lo, s3
; %bb.87:
	v_cmp_ne_u32_e32 vcc_lo, 0, v169
	v_cndmask_b32_e32 v169, 5, v169, vcc_lo
; %bb.88:
	s_and_not1_saveexec_b32 s3, s2
	s_cbranch_execz .LBB76_94
; %bb.89:
	v_cmp_gt_f64_e32 vcc_lo, 0, v[156:157]
	v_cmp_gt_f64_e64 s2, 0, v[158:159]
	v_xor_b32_e32 v165, 0x80000000, v157
	v_xor_b32_e32 v173, 0x80000000, v159
	s_delay_alu instid0(VALU_DEP_2) | instskip(NEXT) | instid1(VALU_DEP_2)
	v_cndmask_b32_e32 v174, v157, v165, vcc_lo
	v_cndmask_b32_e64 v176, v159, v173, s2
	v_cndmask_b32_e32 v173, v156, v156, vcc_lo
	v_cndmask_b32_e64 v175, v158, v158, s2
	s_mov_b32 s2, exec_lo
	s_delay_alu instid0(VALU_DEP_1)
	v_cmpx_ngt_f64_e32 v[173:174], v[175:176]
	s_xor_b32 s2, exec_lo, s2
	s_cbranch_execz .LBB76_91
; %bb.90:
	v_div_scale_f64 v[173:174], null, v[158:159], v[158:159], v[156:157]
	v_div_scale_f64 v[179:180], vcc_lo, v[156:157], v[158:159], v[156:157]
	s_delay_alu instid0(VALU_DEP_2) | instskip(SKIP_2) | instid1(VALU_DEP_1)
	v_rcp_f64_e32 v[175:176], v[173:174]
	s_waitcnt_depctr 0xfff
	v_fma_f64 v[177:178], -v[173:174], v[175:176], 1.0
	v_fma_f64 v[175:176], v[175:176], v[177:178], v[175:176]
	s_delay_alu instid0(VALU_DEP_1) | instskip(NEXT) | instid1(VALU_DEP_1)
	v_fma_f64 v[177:178], -v[173:174], v[175:176], 1.0
	v_fma_f64 v[175:176], v[175:176], v[177:178], v[175:176]
	s_delay_alu instid0(VALU_DEP_1) | instskip(NEXT) | instid1(VALU_DEP_1)
	v_mul_f64 v[177:178], v[179:180], v[175:176]
	v_fma_f64 v[173:174], -v[173:174], v[177:178], v[179:180]
	s_delay_alu instid0(VALU_DEP_1) | instskip(NEXT) | instid1(VALU_DEP_1)
	v_div_fmas_f64 v[173:174], v[173:174], v[175:176], v[177:178]
	v_div_fixup_f64 v[173:174], v[173:174], v[158:159], v[156:157]
	s_delay_alu instid0(VALU_DEP_1) | instskip(NEXT) | instid1(VALU_DEP_1)
	v_fma_f64 v[156:157], v[156:157], v[173:174], v[158:159]
	v_div_scale_f64 v[158:159], null, v[156:157], v[156:157], 1.0
	s_delay_alu instid0(VALU_DEP_1) | instskip(SKIP_2) | instid1(VALU_DEP_1)
	v_rcp_f64_e32 v[175:176], v[158:159]
	s_waitcnt_depctr 0xfff
	v_fma_f64 v[177:178], -v[158:159], v[175:176], 1.0
	v_fma_f64 v[175:176], v[175:176], v[177:178], v[175:176]
	s_delay_alu instid0(VALU_DEP_1) | instskip(NEXT) | instid1(VALU_DEP_1)
	v_fma_f64 v[177:178], -v[158:159], v[175:176], 1.0
	v_fma_f64 v[175:176], v[175:176], v[177:178], v[175:176]
	v_div_scale_f64 v[177:178], vcc_lo, 1.0, v[156:157], 1.0
	s_delay_alu instid0(VALU_DEP_1) | instskip(NEXT) | instid1(VALU_DEP_1)
	v_mul_f64 v[179:180], v[177:178], v[175:176]
	v_fma_f64 v[158:159], -v[158:159], v[179:180], v[177:178]
	s_delay_alu instid0(VALU_DEP_1) | instskip(NEXT) | instid1(VALU_DEP_1)
	v_div_fmas_f64 v[158:159], v[158:159], v[175:176], v[179:180]
	v_div_fixup_f64 v[158:159], v[158:159], v[156:157], 1.0
	s_delay_alu instid0(VALU_DEP_1)
	v_mul_f64 v[156:157], v[173:174], v[158:159]
	v_xor_b32_e32 v159, 0x80000000, v159
.LBB76_91:
	s_and_not1_saveexec_b32 s2, s2
	s_cbranch_execz .LBB76_93
; %bb.92:
	s_delay_alu instid0(VALU_DEP_1) | instskip(SKIP_1) | instid1(VALU_DEP_2)
	v_div_scale_f64 v[173:174], null, v[156:157], v[156:157], v[158:159]
	v_div_scale_f64 v[179:180], vcc_lo, v[158:159], v[156:157], v[158:159]
	v_rcp_f64_e32 v[175:176], v[173:174]
	s_waitcnt_depctr 0xfff
	v_fma_f64 v[177:178], -v[173:174], v[175:176], 1.0
	s_delay_alu instid0(VALU_DEP_1) | instskip(NEXT) | instid1(VALU_DEP_1)
	v_fma_f64 v[175:176], v[175:176], v[177:178], v[175:176]
	v_fma_f64 v[177:178], -v[173:174], v[175:176], 1.0
	s_delay_alu instid0(VALU_DEP_1) | instskip(NEXT) | instid1(VALU_DEP_1)
	v_fma_f64 v[175:176], v[175:176], v[177:178], v[175:176]
	v_mul_f64 v[177:178], v[179:180], v[175:176]
	s_delay_alu instid0(VALU_DEP_1) | instskip(NEXT) | instid1(VALU_DEP_1)
	v_fma_f64 v[173:174], -v[173:174], v[177:178], v[179:180]
	v_div_fmas_f64 v[173:174], v[173:174], v[175:176], v[177:178]
	s_delay_alu instid0(VALU_DEP_1) | instskip(NEXT) | instid1(VALU_DEP_1)
	v_div_fixup_f64 v[173:174], v[173:174], v[156:157], v[158:159]
	v_fma_f64 v[156:157], v[158:159], v[173:174], v[156:157]
	s_delay_alu instid0(VALU_DEP_1) | instskip(NEXT) | instid1(VALU_DEP_1)
	v_div_scale_f64 v[158:159], null, v[156:157], v[156:157], 1.0
	v_rcp_f64_e32 v[175:176], v[158:159]
	s_waitcnt_depctr 0xfff
	v_fma_f64 v[177:178], -v[158:159], v[175:176], 1.0
	s_delay_alu instid0(VALU_DEP_1) | instskip(NEXT) | instid1(VALU_DEP_1)
	v_fma_f64 v[175:176], v[175:176], v[177:178], v[175:176]
	v_fma_f64 v[177:178], -v[158:159], v[175:176], 1.0
	s_delay_alu instid0(VALU_DEP_1) | instskip(SKIP_1) | instid1(VALU_DEP_1)
	v_fma_f64 v[175:176], v[175:176], v[177:178], v[175:176]
	v_div_scale_f64 v[177:178], vcc_lo, 1.0, v[156:157], 1.0
	v_mul_f64 v[179:180], v[177:178], v[175:176]
	s_delay_alu instid0(VALU_DEP_1) | instskip(NEXT) | instid1(VALU_DEP_1)
	v_fma_f64 v[158:159], -v[158:159], v[179:180], v[177:178]
	v_div_fmas_f64 v[158:159], v[158:159], v[175:176], v[179:180]
	s_delay_alu instid0(VALU_DEP_1) | instskip(NEXT) | instid1(VALU_DEP_1)
	v_div_fixup_f64 v[156:157], v[158:159], v[156:157], 1.0
	v_mul_f64 v[158:159], v[173:174], -v[156:157]
.LBB76_93:
	s_or_b32 exec_lo, exec_lo, s2
.LBB76_94:
	s_delay_alu instid0(SALU_CYCLE_1) | instskip(NEXT) | instid1(SALU_CYCLE_1)
	s_or_b32 exec_lo, exec_lo, s3
	s_mov_b32 s2, exec_lo
	v_cmpx_ne_u32_e64 v172, v164
	s_xor_b32 s2, exec_lo, s2
	s_cbranch_execz .LBB76_100
; %bb.95:
	s_mov_b32 s3, exec_lo
	v_cmpx_eq_u32_e32 4, v172
	s_cbranch_execz .LBB76_99
; %bb.96:
	v_cmp_ne_u32_e32 vcc_lo, 4, v164
	s_xor_b32 s6, s4, -1
	s_delay_alu instid0(SALU_CYCLE_1) | instskip(NEXT) | instid1(SALU_CYCLE_1)
	s_and_b32 s7, s6, vcc_lo
	s_and_saveexec_b32 s6, s7
	s_cbranch_execz .LBB76_98
; %bb.97:
	v_ashrrev_i32_e32 v165, 31, v164
	s_delay_alu instid0(VALU_DEP_1) | instskip(NEXT) | instid1(VALU_DEP_1)
	v_lshlrev_b64 v[171:172], 2, v[164:165]
	v_add_co_u32 v171, vcc_lo, v162, v171
	s_delay_alu instid0(VALU_DEP_2)
	v_add_co_ci_u32_e32 v172, vcc_lo, v163, v172, vcc_lo
	s_clause 0x1
	flat_load_b32 v165, v[171:172]
	flat_load_b32 v173, v[162:163] offset:16
	s_waitcnt vmcnt(1) lgkmcnt(1)
	flat_store_b32 v[162:163], v165 offset:16
	s_waitcnt vmcnt(0) lgkmcnt(1)
	flat_store_b32 v[171:172], v173
.LBB76_98:
	s_or_b32 exec_lo, exec_lo, s6
	v_mov_b32_e32 v172, v164
	v_mov_b32_e32 v171, v164
.LBB76_99:
	s_or_b32 exec_lo, exec_lo, s3
.LBB76_100:
	s_and_not1_saveexec_b32 s2, s2
	s_cbranch_execz .LBB76_102
; %bb.101:
	v_mov_b32_e32 v172, 4
	ds_store_2addr_b64 v166, v[140:141], v[142:143] offset0:10 offset1:11
	ds_store_2addr_b64 v166, v[136:137], v[138:139] offset0:12 offset1:13
	;; [unrolled: 1-line block ×34, first 2 shown]
.LBB76_102:
	s_or_b32 exec_lo, exec_lo, s2
	s_delay_alu instid0(SALU_CYCLE_1)
	s_mov_b32 s2, exec_lo
	s_waitcnt lgkmcnt(0)
	s_waitcnt_vscnt null, 0x0
	s_barrier
	buffer_gl0_inv
	v_cmpx_lt_i32_e32 4, v172
	s_cbranch_execz .LBB76_104
; %bb.103:
	v_mul_f64 v[164:165], v[158:159], v[146:147]
	v_mul_f64 v[146:147], v[156:157], v[146:147]
	s_delay_alu instid0(VALU_DEP_2) | instskip(NEXT) | instid1(VALU_DEP_2)
	v_fma_f64 v[164:165], v[156:157], v[144:145], -v[164:165]
	v_fma_f64 v[146:147], v[158:159], v[144:145], v[146:147]
	ds_load_2addr_b64 v[156:159], v166 offset0:10 offset1:11
	s_waitcnt lgkmcnt(0)
	v_mul_f64 v[144:145], v[158:159], v[146:147]
	s_delay_alu instid0(VALU_DEP_1) | instskip(SKIP_1) | instid1(VALU_DEP_2)
	v_fma_f64 v[144:145], v[156:157], v[164:165], -v[144:145]
	v_mul_f64 v[156:157], v[156:157], v[146:147]
	v_add_f64 v[140:141], v[140:141], -v[144:145]
	s_delay_alu instid0(VALU_DEP_2) | instskip(NEXT) | instid1(VALU_DEP_1)
	v_fma_f64 v[156:157], v[158:159], v[164:165], v[156:157]
	v_add_f64 v[142:143], v[142:143], -v[156:157]
	ds_load_2addr_b64 v[156:159], v166 offset0:12 offset1:13
	s_waitcnt lgkmcnt(0)
	v_mul_f64 v[144:145], v[158:159], v[146:147]
	s_delay_alu instid0(VALU_DEP_1) | instskip(SKIP_1) | instid1(VALU_DEP_2)
	v_fma_f64 v[144:145], v[156:157], v[164:165], -v[144:145]
	v_mul_f64 v[156:157], v[156:157], v[146:147]
	v_add_f64 v[136:137], v[136:137], -v[144:145]
	s_delay_alu instid0(VALU_DEP_2) | instskip(NEXT) | instid1(VALU_DEP_1)
	v_fma_f64 v[156:157], v[158:159], v[164:165], v[156:157]
	v_add_f64 v[138:139], v[138:139], -v[156:157]
	;; [unrolled: 10-line block ×33, first 2 shown]
	ds_load_2addr_b64 v[156:159], v166 offset0:76 offset1:77
	s_waitcnt lgkmcnt(0)
	v_mul_f64 v[144:145], v[158:159], v[146:147]
	s_delay_alu instid0(VALU_DEP_1) | instskip(SKIP_1) | instid1(VALU_DEP_2)
	v_fma_f64 v[144:145], v[156:157], v[164:165], -v[144:145]
	v_mul_f64 v[156:157], v[156:157], v[146:147]
	v_add_f64 v[0:1], v[0:1], -v[144:145]
	s_delay_alu instid0(VALU_DEP_2) | instskip(SKIP_1) | instid1(VALU_DEP_2)
	v_fma_f64 v[156:157], v[158:159], v[164:165], v[156:157]
	v_dual_mov_b32 v144, v164 :: v_dual_mov_b32 v145, v165
	v_add_f64 v[2:3], v[2:3], -v[156:157]
.LBB76_104:
	s_or_b32 exec_lo, exec_lo, s2
	v_lshl_add_u32 v156, v172, 4, v166
	s_barrier
	buffer_gl0_inv
	v_mov_b32_e32 v164, 5
	ds_store_2addr_b64 v156, v[140:141], v[142:143] offset1:1
	s_waitcnt lgkmcnt(0)
	s_barrier
	buffer_gl0_inv
	ds_load_2addr_b64 v[156:159], v166 offset0:10 offset1:11
	s_cmp_lt_i32 s5, 7
	s_cbranch_scc1 .LBB76_107
; %bb.105:
	v_add3_u32 v165, v170, 0, 0x60
	v_mov_b32_e32 v164, 5
	s_mov_b32 s6, 6
	s_set_inst_prefetch_distance 0x1
	.p2align	6
.LBB76_106:                             ; =>This Inner Loop Header: Depth=1
	ds_load_2addr_b64 v[173:176], v165 offset1:1
	s_waitcnt lgkmcnt(1)
	v_cmp_gt_f64_e32 vcc_lo, 0, v[156:157]
	v_xor_b32_e32 v177, 0x80000000, v157
	v_cmp_gt_f64_e64 s2, 0, v[158:159]
	v_xor_b32_e32 v179, 0x80000000, v159
	v_add_nc_u32_e32 v165, 16, v165
	s_waitcnt lgkmcnt(0)
	v_cmp_gt_f64_e64 s3, 0, v[173:174]
	v_mov_b32_e32 v181, v173
	v_dual_mov_b32 v183, v175 :: v_dual_cndmask_b32 v178, v157, v177
	v_xor_b32_e32 v177, 0x80000000, v174
	v_cndmask_b32_e64 v180, v159, v179, s2
	v_xor_b32_e32 v179, 0x80000000, v176
	s_delay_alu instid0(VALU_DEP_3) | instskip(SKIP_2) | instid1(VALU_DEP_2)
	v_cndmask_b32_e64 v182, v174, v177, s3
	v_cmp_gt_f64_e64 s3, 0, v[175:176]
	v_cndmask_b32_e32 v177, v156, v156, vcc_lo
	v_cndmask_b32_e64 v184, v176, v179, s3
	v_cndmask_b32_e64 v179, v158, v158, s2
	s_delay_alu instid0(VALU_DEP_2) | instskip(NEXT) | instid1(VALU_DEP_2)
	v_add_f64 v[181:182], v[181:182], v[183:184]
	v_add_f64 v[177:178], v[177:178], v[179:180]
	s_delay_alu instid0(VALU_DEP_1) | instskip(SKIP_4) | instid1(SALU_CYCLE_1)
	v_cmp_lt_f64_e32 vcc_lo, v[177:178], v[181:182]
	v_dual_cndmask_b32 v158, v158, v175 :: v_dual_cndmask_b32 v157, v157, v174
	v_dual_cndmask_b32 v156, v156, v173 :: v_dual_cndmask_b32 v159, v159, v176
	v_cndmask_b32_e64 v164, v164, s6, vcc_lo
	s_add_i32 s6, s6, 1
	s_cmp_lg_u32 s5, s6
	s_cbranch_scc1 .LBB76_106
.LBB76_107:
	s_set_inst_prefetch_distance 0x2
	s_waitcnt lgkmcnt(0)
	v_cmp_eq_f64_e32 vcc_lo, 0, v[156:157]
	v_cmp_eq_f64_e64 s2, 0, v[158:159]
	s_delay_alu instid0(VALU_DEP_1) | instskip(NEXT) | instid1(SALU_CYCLE_1)
	s_and_b32 s2, vcc_lo, s2
	s_and_saveexec_b32 s3, s2
	s_delay_alu instid0(SALU_CYCLE_1)
	s_xor_b32 s2, exec_lo, s3
; %bb.108:
	v_cmp_ne_u32_e32 vcc_lo, 0, v169
	v_cndmask_b32_e32 v169, 6, v169, vcc_lo
; %bb.109:
	s_and_not1_saveexec_b32 s3, s2
	s_cbranch_execz .LBB76_115
; %bb.110:
	v_cmp_gt_f64_e32 vcc_lo, 0, v[156:157]
	v_cmp_gt_f64_e64 s2, 0, v[158:159]
	v_xor_b32_e32 v165, 0x80000000, v157
	v_xor_b32_e32 v173, 0x80000000, v159
	s_delay_alu instid0(VALU_DEP_2) | instskip(NEXT) | instid1(VALU_DEP_2)
	v_cndmask_b32_e32 v174, v157, v165, vcc_lo
	v_cndmask_b32_e64 v176, v159, v173, s2
	v_cndmask_b32_e32 v173, v156, v156, vcc_lo
	v_cndmask_b32_e64 v175, v158, v158, s2
	s_mov_b32 s2, exec_lo
	s_delay_alu instid0(VALU_DEP_1)
	v_cmpx_ngt_f64_e32 v[173:174], v[175:176]
	s_xor_b32 s2, exec_lo, s2
	s_cbranch_execz .LBB76_112
; %bb.111:
	v_div_scale_f64 v[173:174], null, v[158:159], v[158:159], v[156:157]
	v_div_scale_f64 v[179:180], vcc_lo, v[156:157], v[158:159], v[156:157]
	s_delay_alu instid0(VALU_DEP_2) | instskip(SKIP_2) | instid1(VALU_DEP_1)
	v_rcp_f64_e32 v[175:176], v[173:174]
	s_waitcnt_depctr 0xfff
	v_fma_f64 v[177:178], -v[173:174], v[175:176], 1.0
	v_fma_f64 v[175:176], v[175:176], v[177:178], v[175:176]
	s_delay_alu instid0(VALU_DEP_1) | instskip(NEXT) | instid1(VALU_DEP_1)
	v_fma_f64 v[177:178], -v[173:174], v[175:176], 1.0
	v_fma_f64 v[175:176], v[175:176], v[177:178], v[175:176]
	s_delay_alu instid0(VALU_DEP_1) | instskip(NEXT) | instid1(VALU_DEP_1)
	v_mul_f64 v[177:178], v[179:180], v[175:176]
	v_fma_f64 v[173:174], -v[173:174], v[177:178], v[179:180]
	s_delay_alu instid0(VALU_DEP_1) | instskip(NEXT) | instid1(VALU_DEP_1)
	v_div_fmas_f64 v[173:174], v[173:174], v[175:176], v[177:178]
	v_div_fixup_f64 v[173:174], v[173:174], v[158:159], v[156:157]
	s_delay_alu instid0(VALU_DEP_1) | instskip(NEXT) | instid1(VALU_DEP_1)
	v_fma_f64 v[156:157], v[156:157], v[173:174], v[158:159]
	v_div_scale_f64 v[158:159], null, v[156:157], v[156:157], 1.0
	s_delay_alu instid0(VALU_DEP_1) | instskip(SKIP_2) | instid1(VALU_DEP_1)
	v_rcp_f64_e32 v[175:176], v[158:159]
	s_waitcnt_depctr 0xfff
	v_fma_f64 v[177:178], -v[158:159], v[175:176], 1.0
	v_fma_f64 v[175:176], v[175:176], v[177:178], v[175:176]
	s_delay_alu instid0(VALU_DEP_1) | instskip(NEXT) | instid1(VALU_DEP_1)
	v_fma_f64 v[177:178], -v[158:159], v[175:176], 1.0
	v_fma_f64 v[175:176], v[175:176], v[177:178], v[175:176]
	v_div_scale_f64 v[177:178], vcc_lo, 1.0, v[156:157], 1.0
	s_delay_alu instid0(VALU_DEP_1) | instskip(NEXT) | instid1(VALU_DEP_1)
	v_mul_f64 v[179:180], v[177:178], v[175:176]
	v_fma_f64 v[158:159], -v[158:159], v[179:180], v[177:178]
	s_delay_alu instid0(VALU_DEP_1) | instskip(NEXT) | instid1(VALU_DEP_1)
	v_div_fmas_f64 v[158:159], v[158:159], v[175:176], v[179:180]
	v_div_fixup_f64 v[158:159], v[158:159], v[156:157], 1.0
	s_delay_alu instid0(VALU_DEP_1)
	v_mul_f64 v[156:157], v[173:174], v[158:159]
	v_xor_b32_e32 v159, 0x80000000, v159
.LBB76_112:
	s_and_not1_saveexec_b32 s2, s2
	s_cbranch_execz .LBB76_114
; %bb.113:
	s_delay_alu instid0(VALU_DEP_1) | instskip(SKIP_1) | instid1(VALU_DEP_2)
	v_div_scale_f64 v[173:174], null, v[156:157], v[156:157], v[158:159]
	v_div_scale_f64 v[179:180], vcc_lo, v[158:159], v[156:157], v[158:159]
	v_rcp_f64_e32 v[175:176], v[173:174]
	s_waitcnt_depctr 0xfff
	v_fma_f64 v[177:178], -v[173:174], v[175:176], 1.0
	s_delay_alu instid0(VALU_DEP_1) | instskip(NEXT) | instid1(VALU_DEP_1)
	v_fma_f64 v[175:176], v[175:176], v[177:178], v[175:176]
	v_fma_f64 v[177:178], -v[173:174], v[175:176], 1.0
	s_delay_alu instid0(VALU_DEP_1) | instskip(NEXT) | instid1(VALU_DEP_1)
	v_fma_f64 v[175:176], v[175:176], v[177:178], v[175:176]
	v_mul_f64 v[177:178], v[179:180], v[175:176]
	s_delay_alu instid0(VALU_DEP_1) | instskip(NEXT) | instid1(VALU_DEP_1)
	v_fma_f64 v[173:174], -v[173:174], v[177:178], v[179:180]
	v_div_fmas_f64 v[173:174], v[173:174], v[175:176], v[177:178]
	s_delay_alu instid0(VALU_DEP_1) | instskip(NEXT) | instid1(VALU_DEP_1)
	v_div_fixup_f64 v[173:174], v[173:174], v[156:157], v[158:159]
	v_fma_f64 v[156:157], v[158:159], v[173:174], v[156:157]
	s_delay_alu instid0(VALU_DEP_1) | instskip(NEXT) | instid1(VALU_DEP_1)
	v_div_scale_f64 v[158:159], null, v[156:157], v[156:157], 1.0
	v_rcp_f64_e32 v[175:176], v[158:159]
	s_waitcnt_depctr 0xfff
	v_fma_f64 v[177:178], -v[158:159], v[175:176], 1.0
	s_delay_alu instid0(VALU_DEP_1) | instskip(NEXT) | instid1(VALU_DEP_1)
	v_fma_f64 v[175:176], v[175:176], v[177:178], v[175:176]
	v_fma_f64 v[177:178], -v[158:159], v[175:176], 1.0
	s_delay_alu instid0(VALU_DEP_1) | instskip(SKIP_1) | instid1(VALU_DEP_1)
	v_fma_f64 v[175:176], v[175:176], v[177:178], v[175:176]
	v_div_scale_f64 v[177:178], vcc_lo, 1.0, v[156:157], 1.0
	v_mul_f64 v[179:180], v[177:178], v[175:176]
	s_delay_alu instid0(VALU_DEP_1) | instskip(NEXT) | instid1(VALU_DEP_1)
	v_fma_f64 v[158:159], -v[158:159], v[179:180], v[177:178]
	v_div_fmas_f64 v[158:159], v[158:159], v[175:176], v[179:180]
	s_delay_alu instid0(VALU_DEP_1) | instskip(NEXT) | instid1(VALU_DEP_1)
	v_div_fixup_f64 v[156:157], v[158:159], v[156:157], 1.0
	v_mul_f64 v[158:159], v[173:174], -v[156:157]
.LBB76_114:
	s_or_b32 exec_lo, exec_lo, s2
.LBB76_115:
	s_delay_alu instid0(SALU_CYCLE_1) | instskip(NEXT) | instid1(SALU_CYCLE_1)
	s_or_b32 exec_lo, exec_lo, s3
	s_mov_b32 s2, exec_lo
	v_cmpx_ne_u32_e64 v172, v164
	s_xor_b32 s2, exec_lo, s2
	s_cbranch_execz .LBB76_121
; %bb.116:
	s_mov_b32 s3, exec_lo
	v_cmpx_eq_u32_e32 5, v172
	s_cbranch_execz .LBB76_120
; %bb.117:
	v_cmp_ne_u32_e32 vcc_lo, 5, v164
	s_xor_b32 s6, s4, -1
	s_delay_alu instid0(SALU_CYCLE_1) | instskip(NEXT) | instid1(SALU_CYCLE_1)
	s_and_b32 s7, s6, vcc_lo
	s_and_saveexec_b32 s6, s7
	s_cbranch_execz .LBB76_119
; %bb.118:
	v_ashrrev_i32_e32 v165, 31, v164
	s_delay_alu instid0(VALU_DEP_1) | instskip(NEXT) | instid1(VALU_DEP_1)
	v_lshlrev_b64 v[171:172], 2, v[164:165]
	v_add_co_u32 v171, vcc_lo, v162, v171
	s_delay_alu instid0(VALU_DEP_2)
	v_add_co_ci_u32_e32 v172, vcc_lo, v163, v172, vcc_lo
	s_clause 0x1
	flat_load_b32 v165, v[171:172]
	flat_load_b32 v173, v[162:163] offset:20
	s_waitcnt vmcnt(1) lgkmcnt(1)
	flat_store_b32 v[162:163], v165 offset:20
	s_waitcnt vmcnt(0) lgkmcnt(1)
	flat_store_b32 v[171:172], v173
.LBB76_119:
	s_or_b32 exec_lo, exec_lo, s6
	v_mov_b32_e32 v172, v164
	v_mov_b32_e32 v171, v164
.LBB76_120:
	s_or_b32 exec_lo, exec_lo, s3
.LBB76_121:
	s_and_not1_saveexec_b32 s2, s2
	s_cbranch_execz .LBB76_123
; %bb.122:
	v_mov_b32_e32 v172, 5
	ds_store_2addr_b64 v166, v[136:137], v[138:139] offset0:12 offset1:13
	ds_store_2addr_b64 v166, v[132:133], v[134:135] offset0:14 offset1:15
	;; [unrolled: 1-line block ×33, first 2 shown]
.LBB76_123:
	s_or_b32 exec_lo, exec_lo, s2
	s_delay_alu instid0(SALU_CYCLE_1)
	s_mov_b32 s2, exec_lo
	s_waitcnt lgkmcnt(0)
	s_waitcnt_vscnt null, 0x0
	s_barrier
	buffer_gl0_inv
	v_cmpx_lt_i32_e32 5, v172
	s_cbranch_execz .LBB76_125
; %bb.124:
	v_mul_f64 v[164:165], v[158:159], v[142:143]
	v_mul_f64 v[142:143], v[156:157], v[142:143]
	s_delay_alu instid0(VALU_DEP_2) | instskip(NEXT) | instid1(VALU_DEP_2)
	v_fma_f64 v[164:165], v[156:157], v[140:141], -v[164:165]
	v_fma_f64 v[142:143], v[158:159], v[140:141], v[142:143]
	ds_load_2addr_b64 v[156:159], v166 offset0:12 offset1:13
	s_waitcnt lgkmcnt(0)
	v_mul_f64 v[140:141], v[158:159], v[142:143]
	s_delay_alu instid0(VALU_DEP_1) | instskip(SKIP_1) | instid1(VALU_DEP_2)
	v_fma_f64 v[140:141], v[156:157], v[164:165], -v[140:141]
	v_mul_f64 v[156:157], v[156:157], v[142:143]
	v_add_f64 v[136:137], v[136:137], -v[140:141]
	s_delay_alu instid0(VALU_DEP_2) | instskip(NEXT) | instid1(VALU_DEP_1)
	v_fma_f64 v[156:157], v[158:159], v[164:165], v[156:157]
	v_add_f64 v[138:139], v[138:139], -v[156:157]
	ds_load_2addr_b64 v[156:159], v166 offset0:14 offset1:15
	s_waitcnt lgkmcnt(0)
	v_mul_f64 v[140:141], v[158:159], v[142:143]
	s_delay_alu instid0(VALU_DEP_1) | instskip(SKIP_1) | instid1(VALU_DEP_2)
	v_fma_f64 v[140:141], v[156:157], v[164:165], -v[140:141]
	v_mul_f64 v[156:157], v[156:157], v[142:143]
	v_add_f64 v[132:133], v[132:133], -v[140:141]
	s_delay_alu instid0(VALU_DEP_2) | instskip(NEXT) | instid1(VALU_DEP_1)
	v_fma_f64 v[156:157], v[158:159], v[164:165], v[156:157]
	v_add_f64 v[134:135], v[134:135], -v[156:157]
	;; [unrolled: 10-line block ×32, first 2 shown]
	ds_load_2addr_b64 v[156:159], v166 offset0:76 offset1:77
	s_waitcnt lgkmcnt(0)
	v_mul_f64 v[140:141], v[158:159], v[142:143]
	s_delay_alu instid0(VALU_DEP_1) | instskip(SKIP_1) | instid1(VALU_DEP_2)
	v_fma_f64 v[140:141], v[156:157], v[164:165], -v[140:141]
	v_mul_f64 v[156:157], v[156:157], v[142:143]
	v_add_f64 v[0:1], v[0:1], -v[140:141]
	s_delay_alu instid0(VALU_DEP_2) | instskip(SKIP_1) | instid1(VALU_DEP_2)
	v_fma_f64 v[156:157], v[158:159], v[164:165], v[156:157]
	v_dual_mov_b32 v140, v164 :: v_dual_mov_b32 v141, v165
	v_add_f64 v[2:3], v[2:3], -v[156:157]
.LBB76_125:
	s_or_b32 exec_lo, exec_lo, s2
	v_lshl_add_u32 v156, v172, 4, v166
	s_barrier
	buffer_gl0_inv
	v_mov_b32_e32 v164, 6
	ds_store_2addr_b64 v156, v[136:137], v[138:139] offset1:1
	s_waitcnt lgkmcnt(0)
	s_barrier
	buffer_gl0_inv
	ds_load_2addr_b64 v[156:159], v166 offset0:12 offset1:13
	s_cmp_lt_i32 s5, 8
	s_cbranch_scc1 .LBB76_128
; %bb.126:
	v_add3_u32 v165, v170, 0, 0x70
	v_mov_b32_e32 v164, 6
	s_mov_b32 s6, 7
	s_set_inst_prefetch_distance 0x1
	.p2align	6
.LBB76_127:                             ; =>This Inner Loop Header: Depth=1
	ds_load_2addr_b64 v[173:176], v165 offset1:1
	s_waitcnt lgkmcnt(1)
	v_cmp_gt_f64_e32 vcc_lo, 0, v[156:157]
	v_xor_b32_e32 v177, 0x80000000, v157
	v_cmp_gt_f64_e64 s2, 0, v[158:159]
	v_xor_b32_e32 v179, 0x80000000, v159
	v_add_nc_u32_e32 v165, 16, v165
	s_waitcnt lgkmcnt(0)
	v_cmp_gt_f64_e64 s3, 0, v[173:174]
	v_mov_b32_e32 v181, v173
	v_dual_mov_b32 v183, v175 :: v_dual_cndmask_b32 v178, v157, v177
	v_xor_b32_e32 v177, 0x80000000, v174
	v_cndmask_b32_e64 v180, v159, v179, s2
	v_xor_b32_e32 v179, 0x80000000, v176
	s_delay_alu instid0(VALU_DEP_3) | instskip(SKIP_2) | instid1(VALU_DEP_2)
	v_cndmask_b32_e64 v182, v174, v177, s3
	v_cmp_gt_f64_e64 s3, 0, v[175:176]
	v_cndmask_b32_e32 v177, v156, v156, vcc_lo
	v_cndmask_b32_e64 v184, v176, v179, s3
	v_cndmask_b32_e64 v179, v158, v158, s2
	s_delay_alu instid0(VALU_DEP_2) | instskip(NEXT) | instid1(VALU_DEP_2)
	v_add_f64 v[181:182], v[181:182], v[183:184]
	v_add_f64 v[177:178], v[177:178], v[179:180]
	s_delay_alu instid0(VALU_DEP_1) | instskip(SKIP_4) | instid1(SALU_CYCLE_1)
	v_cmp_lt_f64_e32 vcc_lo, v[177:178], v[181:182]
	v_dual_cndmask_b32 v158, v158, v175 :: v_dual_cndmask_b32 v157, v157, v174
	v_dual_cndmask_b32 v156, v156, v173 :: v_dual_cndmask_b32 v159, v159, v176
	v_cndmask_b32_e64 v164, v164, s6, vcc_lo
	s_add_i32 s6, s6, 1
	s_cmp_lg_u32 s5, s6
	s_cbranch_scc1 .LBB76_127
.LBB76_128:
	s_set_inst_prefetch_distance 0x2
	s_waitcnt lgkmcnt(0)
	v_cmp_eq_f64_e32 vcc_lo, 0, v[156:157]
	v_cmp_eq_f64_e64 s2, 0, v[158:159]
	s_delay_alu instid0(VALU_DEP_1) | instskip(NEXT) | instid1(SALU_CYCLE_1)
	s_and_b32 s2, vcc_lo, s2
	s_and_saveexec_b32 s3, s2
	s_delay_alu instid0(SALU_CYCLE_1)
	s_xor_b32 s2, exec_lo, s3
; %bb.129:
	v_cmp_ne_u32_e32 vcc_lo, 0, v169
	v_cndmask_b32_e32 v169, 7, v169, vcc_lo
; %bb.130:
	s_and_not1_saveexec_b32 s3, s2
	s_cbranch_execz .LBB76_136
; %bb.131:
	v_cmp_gt_f64_e32 vcc_lo, 0, v[156:157]
	v_cmp_gt_f64_e64 s2, 0, v[158:159]
	v_xor_b32_e32 v165, 0x80000000, v157
	v_xor_b32_e32 v173, 0x80000000, v159
	s_delay_alu instid0(VALU_DEP_2) | instskip(NEXT) | instid1(VALU_DEP_2)
	v_cndmask_b32_e32 v174, v157, v165, vcc_lo
	v_cndmask_b32_e64 v176, v159, v173, s2
	v_cndmask_b32_e32 v173, v156, v156, vcc_lo
	v_cndmask_b32_e64 v175, v158, v158, s2
	s_mov_b32 s2, exec_lo
	s_delay_alu instid0(VALU_DEP_1)
	v_cmpx_ngt_f64_e32 v[173:174], v[175:176]
	s_xor_b32 s2, exec_lo, s2
	s_cbranch_execz .LBB76_133
; %bb.132:
	v_div_scale_f64 v[173:174], null, v[158:159], v[158:159], v[156:157]
	v_div_scale_f64 v[179:180], vcc_lo, v[156:157], v[158:159], v[156:157]
	s_delay_alu instid0(VALU_DEP_2) | instskip(SKIP_2) | instid1(VALU_DEP_1)
	v_rcp_f64_e32 v[175:176], v[173:174]
	s_waitcnt_depctr 0xfff
	v_fma_f64 v[177:178], -v[173:174], v[175:176], 1.0
	v_fma_f64 v[175:176], v[175:176], v[177:178], v[175:176]
	s_delay_alu instid0(VALU_DEP_1) | instskip(NEXT) | instid1(VALU_DEP_1)
	v_fma_f64 v[177:178], -v[173:174], v[175:176], 1.0
	v_fma_f64 v[175:176], v[175:176], v[177:178], v[175:176]
	s_delay_alu instid0(VALU_DEP_1) | instskip(NEXT) | instid1(VALU_DEP_1)
	v_mul_f64 v[177:178], v[179:180], v[175:176]
	v_fma_f64 v[173:174], -v[173:174], v[177:178], v[179:180]
	s_delay_alu instid0(VALU_DEP_1) | instskip(NEXT) | instid1(VALU_DEP_1)
	v_div_fmas_f64 v[173:174], v[173:174], v[175:176], v[177:178]
	v_div_fixup_f64 v[173:174], v[173:174], v[158:159], v[156:157]
	s_delay_alu instid0(VALU_DEP_1) | instskip(NEXT) | instid1(VALU_DEP_1)
	v_fma_f64 v[156:157], v[156:157], v[173:174], v[158:159]
	v_div_scale_f64 v[158:159], null, v[156:157], v[156:157], 1.0
	s_delay_alu instid0(VALU_DEP_1) | instskip(SKIP_2) | instid1(VALU_DEP_1)
	v_rcp_f64_e32 v[175:176], v[158:159]
	s_waitcnt_depctr 0xfff
	v_fma_f64 v[177:178], -v[158:159], v[175:176], 1.0
	v_fma_f64 v[175:176], v[175:176], v[177:178], v[175:176]
	s_delay_alu instid0(VALU_DEP_1) | instskip(NEXT) | instid1(VALU_DEP_1)
	v_fma_f64 v[177:178], -v[158:159], v[175:176], 1.0
	v_fma_f64 v[175:176], v[175:176], v[177:178], v[175:176]
	v_div_scale_f64 v[177:178], vcc_lo, 1.0, v[156:157], 1.0
	s_delay_alu instid0(VALU_DEP_1) | instskip(NEXT) | instid1(VALU_DEP_1)
	v_mul_f64 v[179:180], v[177:178], v[175:176]
	v_fma_f64 v[158:159], -v[158:159], v[179:180], v[177:178]
	s_delay_alu instid0(VALU_DEP_1) | instskip(NEXT) | instid1(VALU_DEP_1)
	v_div_fmas_f64 v[158:159], v[158:159], v[175:176], v[179:180]
	v_div_fixup_f64 v[158:159], v[158:159], v[156:157], 1.0
	s_delay_alu instid0(VALU_DEP_1)
	v_mul_f64 v[156:157], v[173:174], v[158:159]
	v_xor_b32_e32 v159, 0x80000000, v159
.LBB76_133:
	s_and_not1_saveexec_b32 s2, s2
	s_cbranch_execz .LBB76_135
; %bb.134:
	s_delay_alu instid0(VALU_DEP_1) | instskip(SKIP_1) | instid1(VALU_DEP_2)
	v_div_scale_f64 v[173:174], null, v[156:157], v[156:157], v[158:159]
	v_div_scale_f64 v[179:180], vcc_lo, v[158:159], v[156:157], v[158:159]
	v_rcp_f64_e32 v[175:176], v[173:174]
	s_waitcnt_depctr 0xfff
	v_fma_f64 v[177:178], -v[173:174], v[175:176], 1.0
	s_delay_alu instid0(VALU_DEP_1) | instskip(NEXT) | instid1(VALU_DEP_1)
	v_fma_f64 v[175:176], v[175:176], v[177:178], v[175:176]
	v_fma_f64 v[177:178], -v[173:174], v[175:176], 1.0
	s_delay_alu instid0(VALU_DEP_1) | instskip(NEXT) | instid1(VALU_DEP_1)
	v_fma_f64 v[175:176], v[175:176], v[177:178], v[175:176]
	v_mul_f64 v[177:178], v[179:180], v[175:176]
	s_delay_alu instid0(VALU_DEP_1) | instskip(NEXT) | instid1(VALU_DEP_1)
	v_fma_f64 v[173:174], -v[173:174], v[177:178], v[179:180]
	v_div_fmas_f64 v[173:174], v[173:174], v[175:176], v[177:178]
	s_delay_alu instid0(VALU_DEP_1) | instskip(NEXT) | instid1(VALU_DEP_1)
	v_div_fixup_f64 v[173:174], v[173:174], v[156:157], v[158:159]
	v_fma_f64 v[156:157], v[158:159], v[173:174], v[156:157]
	s_delay_alu instid0(VALU_DEP_1) | instskip(NEXT) | instid1(VALU_DEP_1)
	v_div_scale_f64 v[158:159], null, v[156:157], v[156:157], 1.0
	v_rcp_f64_e32 v[175:176], v[158:159]
	s_waitcnt_depctr 0xfff
	v_fma_f64 v[177:178], -v[158:159], v[175:176], 1.0
	s_delay_alu instid0(VALU_DEP_1) | instskip(NEXT) | instid1(VALU_DEP_1)
	v_fma_f64 v[175:176], v[175:176], v[177:178], v[175:176]
	v_fma_f64 v[177:178], -v[158:159], v[175:176], 1.0
	s_delay_alu instid0(VALU_DEP_1) | instskip(SKIP_1) | instid1(VALU_DEP_1)
	v_fma_f64 v[175:176], v[175:176], v[177:178], v[175:176]
	v_div_scale_f64 v[177:178], vcc_lo, 1.0, v[156:157], 1.0
	v_mul_f64 v[179:180], v[177:178], v[175:176]
	s_delay_alu instid0(VALU_DEP_1) | instskip(NEXT) | instid1(VALU_DEP_1)
	v_fma_f64 v[158:159], -v[158:159], v[179:180], v[177:178]
	v_div_fmas_f64 v[158:159], v[158:159], v[175:176], v[179:180]
	s_delay_alu instid0(VALU_DEP_1) | instskip(NEXT) | instid1(VALU_DEP_1)
	v_div_fixup_f64 v[156:157], v[158:159], v[156:157], 1.0
	v_mul_f64 v[158:159], v[173:174], -v[156:157]
.LBB76_135:
	s_or_b32 exec_lo, exec_lo, s2
.LBB76_136:
	s_delay_alu instid0(SALU_CYCLE_1) | instskip(NEXT) | instid1(SALU_CYCLE_1)
	s_or_b32 exec_lo, exec_lo, s3
	s_mov_b32 s2, exec_lo
	v_cmpx_ne_u32_e64 v172, v164
	s_xor_b32 s2, exec_lo, s2
	s_cbranch_execz .LBB76_142
; %bb.137:
	s_mov_b32 s3, exec_lo
	v_cmpx_eq_u32_e32 6, v172
	s_cbranch_execz .LBB76_141
; %bb.138:
	v_cmp_ne_u32_e32 vcc_lo, 6, v164
	s_xor_b32 s6, s4, -1
	s_delay_alu instid0(SALU_CYCLE_1) | instskip(NEXT) | instid1(SALU_CYCLE_1)
	s_and_b32 s7, s6, vcc_lo
	s_and_saveexec_b32 s6, s7
	s_cbranch_execz .LBB76_140
; %bb.139:
	v_ashrrev_i32_e32 v165, 31, v164
	s_delay_alu instid0(VALU_DEP_1) | instskip(NEXT) | instid1(VALU_DEP_1)
	v_lshlrev_b64 v[171:172], 2, v[164:165]
	v_add_co_u32 v171, vcc_lo, v162, v171
	s_delay_alu instid0(VALU_DEP_2)
	v_add_co_ci_u32_e32 v172, vcc_lo, v163, v172, vcc_lo
	s_clause 0x1
	flat_load_b32 v165, v[171:172]
	flat_load_b32 v173, v[162:163] offset:24
	s_waitcnt vmcnt(1) lgkmcnt(1)
	flat_store_b32 v[162:163], v165 offset:24
	s_waitcnt vmcnt(0) lgkmcnt(1)
	flat_store_b32 v[171:172], v173
.LBB76_140:
	s_or_b32 exec_lo, exec_lo, s6
	v_mov_b32_e32 v172, v164
	v_mov_b32_e32 v171, v164
.LBB76_141:
	s_or_b32 exec_lo, exec_lo, s3
.LBB76_142:
	s_and_not1_saveexec_b32 s2, s2
	s_cbranch_execz .LBB76_144
; %bb.143:
	v_mov_b32_e32 v172, 6
	ds_store_2addr_b64 v166, v[132:133], v[134:135] offset0:14 offset1:15
	ds_store_2addr_b64 v166, v[128:129], v[130:131] offset0:16 offset1:17
	;; [unrolled: 1-line block ×32, first 2 shown]
.LBB76_144:
	s_or_b32 exec_lo, exec_lo, s2
	s_delay_alu instid0(SALU_CYCLE_1)
	s_mov_b32 s2, exec_lo
	s_waitcnt lgkmcnt(0)
	s_waitcnt_vscnt null, 0x0
	s_barrier
	buffer_gl0_inv
	v_cmpx_lt_i32_e32 6, v172
	s_cbranch_execz .LBB76_146
; %bb.145:
	v_mul_f64 v[164:165], v[158:159], v[138:139]
	v_mul_f64 v[138:139], v[156:157], v[138:139]
	s_delay_alu instid0(VALU_DEP_2) | instskip(NEXT) | instid1(VALU_DEP_2)
	v_fma_f64 v[164:165], v[156:157], v[136:137], -v[164:165]
	v_fma_f64 v[138:139], v[158:159], v[136:137], v[138:139]
	ds_load_2addr_b64 v[156:159], v166 offset0:14 offset1:15
	s_waitcnt lgkmcnt(0)
	v_mul_f64 v[136:137], v[158:159], v[138:139]
	s_delay_alu instid0(VALU_DEP_1) | instskip(SKIP_1) | instid1(VALU_DEP_2)
	v_fma_f64 v[136:137], v[156:157], v[164:165], -v[136:137]
	v_mul_f64 v[156:157], v[156:157], v[138:139]
	v_add_f64 v[132:133], v[132:133], -v[136:137]
	s_delay_alu instid0(VALU_DEP_2) | instskip(NEXT) | instid1(VALU_DEP_1)
	v_fma_f64 v[156:157], v[158:159], v[164:165], v[156:157]
	v_add_f64 v[134:135], v[134:135], -v[156:157]
	ds_load_2addr_b64 v[156:159], v166 offset0:16 offset1:17
	s_waitcnt lgkmcnt(0)
	v_mul_f64 v[136:137], v[158:159], v[138:139]
	s_delay_alu instid0(VALU_DEP_1) | instskip(SKIP_1) | instid1(VALU_DEP_2)
	v_fma_f64 v[136:137], v[156:157], v[164:165], -v[136:137]
	v_mul_f64 v[156:157], v[156:157], v[138:139]
	v_add_f64 v[128:129], v[128:129], -v[136:137]
	s_delay_alu instid0(VALU_DEP_2) | instskip(NEXT) | instid1(VALU_DEP_1)
	v_fma_f64 v[156:157], v[158:159], v[164:165], v[156:157]
	v_add_f64 v[130:131], v[130:131], -v[156:157]
	ds_load_2addr_b64 v[156:159], v166 offset0:18 offset1:19
	s_waitcnt lgkmcnt(0)
	v_mul_f64 v[136:137], v[158:159], v[138:139]
	s_delay_alu instid0(VALU_DEP_1) | instskip(SKIP_1) | instid1(VALU_DEP_2)
	v_fma_f64 v[136:137], v[156:157], v[164:165], -v[136:137]
	v_mul_f64 v[156:157], v[156:157], v[138:139]
	v_add_f64 v[124:125], v[124:125], -v[136:137]
	s_delay_alu instid0(VALU_DEP_2) | instskip(NEXT) | instid1(VALU_DEP_1)
	v_fma_f64 v[156:157], v[158:159], v[164:165], v[156:157]
	v_add_f64 v[126:127], v[126:127], -v[156:157]
	ds_load_2addr_b64 v[156:159], v166 offset0:20 offset1:21
	s_waitcnt lgkmcnt(0)
	v_mul_f64 v[136:137], v[158:159], v[138:139]
	s_delay_alu instid0(VALU_DEP_1) | instskip(SKIP_1) | instid1(VALU_DEP_2)
	v_fma_f64 v[136:137], v[156:157], v[164:165], -v[136:137]
	v_mul_f64 v[156:157], v[156:157], v[138:139]
	v_add_f64 v[120:121], v[120:121], -v[136:137]
	s_delay_alu instid0(VALU_DEP_2) | instskip(NEXT) | instid1(VALU_DEP_1)
	v_fma_f64 v[156:157], v[158:159], v[164:165], v[156:157]
	v_add_f64 v[122:123], v[122:123], -v[156:157]
	ds_load_2addr_b64 v[156:159], v166 offset0:22 offset1:23
	s_waitcnt lgkmcnt(0)
	v_mul_f64 v[136:137], v[158:159], v[138:139]
	s_delay_alu instid0(VALU_DEP_1) | instskip(SKIP_1) | instid1(VALU_DEP_2)
	v_fma_f64 v[136:137], v[156:157], v[164:165], -v[136:137]
	v_mul_f64 v[156:157], v[156:157], v[138:139]
	v_add_f64 v[116:117], v[116:117], -v[136:137]
	s_delay_alu instid0(VALU_DEP_2) | instskip(NEXT) | instid1(VALU_DEP_1)
	v_fma_f64 v[156:157], v[158:159], v[164:165], v[156:157]
	v_add_f64 v[118:119], v[118:119], -v[156:157]
	ds_load_2addr_b64 v[156:159], v166 offset0:24 offset1:25
	s_waitcnt lgkmcnt(0)
	v_mul_f64 v[136:137], v[158:159], v[138:139]
	s_delay_alu instid0(VALU_DEP_1) | instskip(SKIP_1) | instid1(VALU_DEP_2)
	v_fma_f64 v[136:137], v[156:157], v[164:165], -v[136:137]
	v_mul_f64 v[156:157], v[156:157], v[138:139]
	v_add_f64 v[112:113], v[112:113], -v[136:137]
	s_delay_alu instid0(VALU_DEP_2) | instskip(NEXT) | instid1(VALU_DEP_1)
	v_fma_f64 v[156:157], v[158:159], v[164:165], v[156:157]
	v_add_f64 v[114:115], v[114:115], -v[156:157]
	ds_load_2addr_b64 v[156:159], v166 offset0:26 offset1:27
	s_waitcnt lgkmcnt(0)
	v_mul_f64 v[136:137], v[158:159], v[138:139]
	s_delay_alu instid0(VALU_DEP_1) | instskip(SKIP_1) | instid1(VALU_DEP_2)
	v_fma_f64 v[136:137], v[156:157], v[164:165], -v[136:137]
	v_mul_f64 v[156:157], v[156:157], v[138:139]
	v_add_f64 v[108:109], v[108:109], -v[136:137]
	s_delay_alu instid0(VALU_DEP_2) | instskip(NEXT) | instid1(VALU_DEP_1)
	v_fma_f64 v[156:157], v[158:159], v[164:165], v[156:157]
	v_add_f64 v[110:111], v[110:111], -v[156:157]
	ds_load_2addr_b64 v[156:159], v166 offset0:28 offset1:29
	s_waitcnt lgkmcnt(0)
	v_mul_f64 v[136:137], v[158:159], v[138:139]
	s_delay_alu instid0(VALU_DEP_1) | instskip(SKIP_1) | instid1(VALU_DEP_2)
	v_fma_f64 v[136:137], v[156:157], v[164:165], -v[136:137]
	v_mul_f64 v[156:157], v[156:157], v[138:139]
	v_add_f64 v[104:105], v[104:105], -v[136:137]
	s_delay_alu instid0(VALU_DEP_2) | instskip(NEXT) | instid1(VALU_DEP_1)
	v_fma_f64 v[156:157], v[158:159], v[164:165], v[156:157]
	v_add_f64 v[106:107], v[106:107], -v[156:157]
	ds_load_2addr_b64 v[156:159], v166 offset0:30 offset1:31
	s_waitcnt lgkmcnt(0)
	v_mul_f64 v[136:137], v[158:159], v[138:139]
	s_delay_alu instid0(VALU_DEP_1) | instskip(SKIP_1) | instid1(VALU_DEP_2)
	v_fma_f64 v[136:137], v[156:157], v[164:165], -v[136:137]
	v_mul_f64 v[156:157], v[156:157], v[138:139]
	v_add_f64 v[100:101], v[100:101], -v[136:137]
	s_delay_alu instid0(VALU_DEP_2) | instskip(NEXT) | instid1(VALU_DEP_1)
	v_fma_f64 v[156:157], v[158:159], v[164:165], v[156:157]
	v_add_f64 v[102:103], v[102:103], -v[156:157]
	ds_load_2addr_b64 v[156:159], v166 offset0:32 offset1:33
	s_waitcnt lgkmcnt(0)
	v_mul_f64 v[136:137], v[158:159], v[138:139]
	s_delay_alu instid0(VALU_DEP_1) | instskip(SKIP_1) | instid1(VALU_DEP_2)
	v_fma_f64 v[136:137], v[156:157], v[164:165], -v[136:137]
	v_mul_f64 v[156:157], v[156:157], v[138:139]
	v_add_f64 v[96:97], v[96:97], -v[136:137]
	s_delay_alu instid0(VALU_DEP_2) | instskip(NEXT) | instid1(VALU_DEP_1)
	v_fma_f64 v[156:157], v[158:159], v[164:165], v[156:157]
	v_add_f64 v[98:99], v[98:99], -v[156:157]
	ds_load_2addr_b64 v[156:159], v166 offset0:34 offset1:35
	s_waitcnt lgkmcnt(0)
	v_mul_f64 v[136:137], v[158:159], v[138:139]
	s_delay_alu instid0(VALU_DEP_1) | instskip(SKIP_1) | instid1(VALU_DEP_2)
	v_fma_f64 v[136:137], v[156:157], v[164:165], -v[136:137]
	v_mul_f64 v[156:157], v[156:157], v[138:139]
	v_add_f64 v[92:93], v[92:93], -v[136:137]
	s_delay_alu instid0(VALU_DEP_2) | instskip(NEXT) | instid1(VALU_DEP_1)
	v_fma_f64 v[156:157], v[158:159], v[164:165], v[156:157]
	v_add_f64 v[94:95], v[94:95], -v[156:157]
	ds_load_2addr_b64 v[156:159], v166 offset0:36 offset1:37
	s_waitcnt lgkmcnt(0)
	v_mul_f64 v[136:137], v[158:159], v[138:139]
	s_delay_alu instid0(VALU_DEP_1) | instskip(SKIP_1) | instid1(VALU_DEP_2)
	v_fma_f64 v[136:137], v[156:157], v[164:165], -v[136:137]
	v_mul_f64 v[156:157], v[156:157], v[138:139]
	v_add_f64 v[88:89], v[88:89], -v[136:137]
	s_delay_alu instid0(VALU_DEP_2) | instskip(NEXT) | instid1(VALU_DEP_1)
	v_fma_f64 v[156:157], v[158:159], v[164:165], v[156:157]
	v_add_f64 v[90:91], v[90:91], -v[156:157]
	ds_load_2addr_b64 v[156:159], v166 offset0:38 offset1:39
	s_waitcnt lgkmcnt(0)
	v_mul_f64 v[136:137], v[158:159], v[138:139]
	s_delay_alu instid0(VALU_DEP_1) | instskip(SKIP_1) | instid1(VALU_DEP_2)
	v_fma_f64 v[136:137], v[156:157], v[164:165], -v[136:137]
	v_mul_f64 v[156:157], v[156:157], v[138:139]
	v_add_f64 v[84:85], v[84:85], -v[136:137]
	s_delay_alu instid0(VALU_DEP_2) | instskip(NEXT) | instid1(VALU_DEP_1)
	v_fma_f64 v[156:157], v[158:159], v[164:165], v[156:157]
	v_add_f64 v[86:87], v[86:87], -v[156:157]
	ds_load_2addr_b64 v[156:159], v166 offset0:40 offset1:41
	s_waitcnt lgkmcnt(0)
	v_mul_f64 v[136:137], v[158:159], v[138:139]
	s_delay_alu instid0(VALU_DEP_1) | instskip(SKIP_1) | instid1(VALU_DEP_2)
	v_fma_f64 v[136:137], v[156:157], v[164:165], -v[136:137]
	v_mul_f64 v[156:157], v[156:157], v[138:139]
	v_add_f64 v[80:81], v[80:81], -v[136:137]
	s_delay_alu instid0(VALU_DEP_2) | instskip(NEXT) | instid1(VALU_DEP_1)
	v_fma_f64 v[156:157], v[158:159], v[164:165], v[156:157]
	v_add_f64 v[82:83], v[82:83], -v[156:157]
	ds_load_2addr_b64 v[156:159], v166 offset0:42 offset1:43
	s_waitcnt lgkmcnt(0)
	v_mul_f64 v[136:137], v[158:159], v[138:139]
	s_delay_alu instid0(VALU_DEP_1) | instskip(SKIP_1) | instid1(VALU_DEP_2)
	v_fma_f64 v[136:137], v[156:157], v[164:165], -v[136:137]
	v_mul_f64 v[156:157], v[156:157], v[138:139]
	v_add_f64 v[76:77], v[76:77], -v[136:137]
	s_delay_alu instid0(VALU_DEP_2) | instskip(NEXT) | instid1(VALU_DEP_1)
	v_fma_f64 v[156:157], v[158:159], v[164:165], v[156:157]
	v_add_f64 v[78:79], v[78:79], -v[156:157]
	ds_load_2addr_b64 v[156:159], v166 offset0:44 offset1:45
	s_waitcnt lgkmcnt(0)
	v_mul_f64 v[136:137], v[158:159], v[138:139]
	s_delay_alu instid0(VALU_DEP_1) | instskip(SKIP_1) | instid1(VALU_DEP_2)
	v_fma_f64 v[136:137], v[156:157], v[164:165], -v[136:137]
	v_mul_f64 v[156:157], v[156:157], v[138:139]
	v_add_f64 v[72:73], v[72:73], -v[136:137]
	s_delay_alu instid0(VALU_DEP_2) | instskip(NEXT) | instid1(VALU_DEP_1)
	v_fma_f64 v[156:157], v[158:159], v[164:165], v[156:157]
	v_add_f64 v[74:75], v[74:75], -v[156:157]
	ds_load_2addr_b64 v[156:159], v166 offset0:46 offset1:47
	s_waitcnt lgkmcnt(0)
	v_mul_f64 v[136:137], v[158:159], v[138:139]
	s_delay_alu instid0(VALU_DEP_1) | instskip(SKIP_1) | instid1(VALU_DEP_2)
	v_fma_f64 v[136:137], v[156:157], v[164:165], -v[136:137]
	v_mul_f64 v[156:157], v[156:157], v[138:139]
	v_add_f64 v[68:69], v[68:69], -v[136:137]
	s_delay_alu instid0(VALU_DEP_2) | instskip(NEXT) | instid1(VALU_DEP_1)
	v_fma_f64 v[156:157], v[158:159], v[164:165], v[156:157]
	v_add_f64 v[70:71], v[70:71], -v[156:157]
	ds_load_2addr_b64 v[156:159], v166 offset0:48 offset1:49
	s_waitcnt lgkmcnt(0)
	v_mul_f64 v[136:137], v[158:159], v[138:139]
	s_delay_alu instid0(VALU_DEP_1) | instskip(SKIP_1) | instid1(VALU_DEP_2)
	v_fma_f64 v[136:137], v[156:157], v[164:165], -v[136:137]
	v_mul_f64 v[156:157], v[156:157], v[138:139]
	v_add_f64 v[64:65], v[64:65], -v[136:137]
	s_delay_alu instid0(VALU_DEP_2) | instskip(NEXT) | instid1(VALU_DEP_1)
	v_fma_f64 v[156:157], v[158:159], v[164:165], v[156:157]
	v_add_f64 v[66:67], v[66:67], -v[156:157]
	ds_load_2addr_b64 v[156:159], v166 offset0:50 offset1:51
	s_waitcnt lgkmcnt(0)
	v_mul_f64 v[136:137], v[158:159], v[138:139]
	s_delay_alu instid0(VALU_DEP_1) | instskip(SKIP_1) | instid1(VALU_DEP_2)
	v_fma_f64 v[136:137], v[156:157], v[164:165], -v[136:137]
	v_mul_f64 v[156:157], v[156:157], v[138:139]
	v_add_f64 v[60:61], v[60:61], -v[136:137]
	s_delay_alu instid0(VALU_DEP_2) | instskip(NEXT) | instid1(VALU_DEP_1)
	v_fma_f64 v[156:157], v[158:159], v[164:165], v[156:157]
	v_add_f64 v[62:63], v[62:63], -v[156:157]
	ds_load_2addr_b64 v[156:159], v166 offset0:52 offset1:53
	s_waitcnt lgkmcnt(0)
	v_mul_f64 v[136:137], v[158:159], v[138:139]
	s_delay_alu instid0(VALU_DEP_1) | instskip(SKIP_1) | instid1(VALU_DEP_2)
	v_fma_f64 v[136:137], v[156:157], v[164:165], -v[136:137]
	v_mul_f64 v[156:157], v[156:157], v[138:139]
	v_add_f64 v[56:57], v[56:57], -v[136:137]
	s_delay_alu instid0(VALU_DEP_2) | instskip(NEXT) | instid1(VALU_DEP_1)
	v_fma_f64 v[156:157], v[158:159], v[164:165], v[156:157]
	v_add_f64 v[58:59], v[58:59], -v[156:157]
	ds_load_2addr_b64 v[156:159], v166 offset0:54 offset1:55
	s_waitcnt lgkmcnt(0)
	v_mul_f64 v[136:137], v[158:159], v[138:139]
	s_delay_alu instid0(VALU_DEP_1) | instskip(SKIP_1) | instid1(VALU_DEP_2)
	v_fma_f64 v[136:137], v[156:157], v[164:165], -v[136:137]
	v_mul_f64 v[156:157], v[156:157], v[138:139]
	v_add_f64 v[44:45], v[44:45], -v[136:137]
	s_delay_alu instid0(VALU_DEP_2) | instskip(NEXT) | instid1(VALU_DEP_1)
	v_fma_f64 v[156:157], v[158:159], v[164:165], v[156:157]
	v_add_f64 v[46:47], v[46:47], -v[156:157]
	ds_load_2addr_b64 v[156:159], v166 offset0:56 offset1:57
	s_waitcnt lgkmcnt(0)
	v_mul_f64 v[136:137], v[158:159], v[138:139]
	s_delay_alu instid0(VALU_DEP_1) | instskip(SKIP_1) | instid1(VALU_DEP_2)
	v_fma_f64 v[136:137], v[156:157], v[164:165], -v[136:137]
	v_mul_f64 v[156:157], v[156:157], v[138:139]
	v_add_f64 v[40:41], v[40:41], -v[136:137]
	s_delay_alu instid0(VALU_DEP_2) | instskip(NEXT) | instid1(VALU_DEP_1)
	v_fma_f64 v[156:157], v[158:159], v[164:165], v[156:157]
	v_add_f64 v[42:43], v[42:43], -v[156:157]
	ds_load_2addr_b64 v[156:159], v166 offset0:58 offset1:59
	s_waitcnt lgkmcnt(0)
	v_mul_f64 v[136:137], v[158:159], v[138:139]
	s_delay_alu instid0(VALU_DEP_1) | instskip(SKIP_1) | instid1(VALU_DEP_2)
	v_fma_f64 v[136:137], v[156:157], v[164:165], -v[136:137]
	v_mul_f64 v[156:157], v[156:157], v[138:139]
	v_add_f64 v[36:37], v[36:37], -v[136:137]
	s_delay_alu instid0(VALU_DEP_2) | instskip(NEXT) | instid1(VALU_DEP_1)
	v_fma_f64 v[156:157], v[158:159], v[164:165], v[156:157]
	v_add_f64 v[38:39], v[38:39], -v[156:157]
	ds_load_2addr_b64 v[156:159], v166 offset0:60 offset1:61
	s_waitcnt lgkmcnt(0)
	v_mul_f64 v[136:137], v[158:159], v[138:139]
	s_delay_alu instid0(VALU_DEP_1) | instskip(SKIP_1) | instid1(VALU_DEP_2)
	v_fma_f64 v[136:137], v[156:157], v[164:165], -v[136:137]
	v_mul_f64 v[156:157], v[156:157], v[138:139]
	v_add_f64 v[32:33], v[32:33], -v[136:137]
	s_delay_alu instid0(VALU_DEP_2) | instskip(NEXT) | instid1(VALU_DEP_1)
	v_fma_f64 v[156:157], v[158:159], v[164:165], v[156:157]
	v_add_f64 v[34:35], v[34:35], -v[156:157]
	ds_load_2addr_b64 v[156:159], v166 offset0:62 offset1:63
	s_waitcnt lgkmcnt(0)
	v_mul_f64 v[136:137], v[158:159], v[138:139]
	s_delay_alu instid0(VALU_DEP_1) | instskip(SKIP_1) | instid1(VALU_DEP_2)
	v_fma_f64 v[136:137], v[156:157], v[164:165], -v[136:137]
	v_mul_f64 v[156:157], v[156:157], v[138:139]
	v_add_f64 v[28:29], v[28:29], -v[136:137]
	s_delay_alu instid0(VALU_DEP_2) | instskip(NEXT) | instid1(VALU_DEP_1)
	v_fma_f64 v[156:157], v[158:159], v[164:165], v[156:157]
	v_add_f64 v[30:31], v[30:31], -v[156:157]
	ds_load_2addr_b64 v[156:159], v166 offset0:64 offset1:65
	s_waitcnt lgkmcnt(0)
	v_mul_f64 v[136:137], v[158:159], v[138:139]
	s_delay_alu instid0(VALU_DEP_1) | instskip(SKIP_1) | instid1(VALU_DEP_2)
	v_fma_f64 v[136:137], v[156:157], v[164:165], -v[136:137]
	v_mul_f64 v[156:157], v[156:157], v[138:139]
	v_add_f64 v[24:25], v[24:25], -v[136:137]
	s_delay_alu instid0(VALU_DEP_2) | instskip(NEXT) | instid1(VALU_DEP_1)
	v_fma_f64 v[156:157], v[158:159], v[164:165], v[156:157]
	v_add_f64 v[26:27], v[26:27], -v[156:157]
	ds_load_2addr_b64 v[156:159], v166 offset0:66 offset1:67
	s_waitcnt lgkmcnt(0)
	v_mul_f64 v[136:137], v[158:159], v[138:139]
	s_delay_alu instid0(VALU_DEP_1) | instskip(SKIP_1) | instid1(VALU_DEP_2)
	v_fma_f64 v[136:137], v[156:157], v[164:165], -v[136:137]
	v_mul_f64 v[156:157], v[156:157], v[138:139]
	v_add_f64 v[20:21], v[20:21], -v[136:137]
	s_delay_alu instid0(VALU_DEP_2) | instskip(NEXT) | instid1(VALU_DEP_1)
	v_fma_f64 v[156:157], v[158:159], v[164:165], v[156:157]
	v_add_f64 v[22:23], v[22:23], -v[156:157]
	ds_load_2addr_b64 v[156:159], v166 offset0:68 offset1:69
	s_waitcnt lgkmcnt(0)
	v_mul_f64 v[136:137], v[158:159], v[138:139]
	s_delay_alu instid0(VALU_DEP_1) | instskip(SKIP_1) | instid1(VALU_DEP_2)
	v_fma_f64 v[136:137], v[156:157], v[164:165], -v[136:137]
	v_mul_f64 v[156:157], v[156:157], v[138:139]
	v_add_f64 v[16:17], v[16:17], -v[136:137]
	s_delay_alu instid0(VALU_DEP_2) | instskip(NEXT) | instid1(VALU_DEP_1)
	v_fma_f64 v[156:157], v[158:159], v[164:165], v[156:157]
	v_add_f64 v[18:19], v[18:19], -v[156:157]
	ds_load_2addr_b64 v[156:159], v166 offset0:70 offset1:71
	s_waitcnt lgkmcnt(0)
	v_mul_f64 v[136:137], v[158:159], v[138:139]
	s_delay_alu instid0(VALU_DEP_1) | instskip(SKIP_1) | instid1(VALU_DEP_2)
	v_fma_f64 v[136:137], v[156:157], v[164:165], -v[136:137]
	v_mul_f64 v[156:157], v[156:157], v[138:139]
	v_add_f64 v[12:13], v[12:13], -v[136:137]
	s_delay_alu instid0(VALU_DEP_2) | instskip(NEXT) | instid1(VALU_DEP_1)
	v_fma_f64 v[156:157], v[158:159], v[164:165], v[156:157]
	v_add_f64 v[14:15], v[14:15], -v[156:157]
	ds_load_2addr_b64 v[156:159], v166 offset0:72 offset1:73
	s_waitcnt lgkmcnt(0)
	v_mul_f64 v[136:137], v[158:159], v[138:139]
	s_delay_alu instid0(VALU_DEP_1) | instskip(SKIP_1) | instid1(VALU_DEP_2)
	v_fma_f64 v[136:137], v[156:157], v[164:165], -v[136:137]
	v_mul_f64 v[156:157], v[156:157], v[138:139]
	v_add_f64 v[8:9], v[8:9], -v[136:137]
	s_delay_alu instid0(VALU_DEP_2) | instskip(NEXT) | instid1(VALU_DEP_1)
	v_fma_f64 v[156:157], v[158:159], v[164:165], v[156:157]
	v_add_f64 v[10:11], v[10:11], -v[156:157]
	ds_load_2addr_b64 v[156:159], v166 offset0:74 offset1:75
	s_waitcnt lgkmcnt(0)
	v_mul_f64 v[136:137], v[158:159], v[138:139]
	s_delay_alu instid0(VALU_DEP_1) | instskip(SKIP_1) | instid1(VALU_DEP_2)
	v_fma_f64 v[136:137], v[156:157], v[164:165], -v[136:137]
	v_mul_f64 v[156:157], v[156:157], v[138:139]
	v_add_f64 v[4:5], v[4:5], -v[136:137]
	s_delay_alu instid0(VALU_DEP_2) | instskip(NEXT) | instid1(VALU_DEP_1)
	v_fma_f64 v[156:157], v[158:159], v[164:165], v[156:157]
	v_add_f64 v[6:7], v[6:7], -v[156:157]
	ds_load_2addr_b64 v[156:159], v166 offset0:76 offset1:77
	s_waitcnt lgkmcnt(0)
	v_mul_f64 v[136:137], v[158:159], v[138:139]
	s_delay_alu instid0(VALU_DEP_1) | instskip(SKIP_1) | instid1(VALU_DEP_2)
	v_fma_f64 v[136:137], v[156:157], v[164:165], -v[136:137]
	v_mul_f64 v[156:157], v[156:157], v[138:139]
	v_add_f64 v[0:1], v[0:1], -v[136:137]
	s_delay_alu instid0(VALU_DEP_2) | instskip(SKIP_1) | instid1(VALU_DEP_2)
	v_fma_f64 v[156:157], v[158:159], v[164:165], v[156:157]
	v_dual_mov_b32 v136, v164 :: v_dual_mov_b32 v137, v165
	v_add_f64 v[2:3], v[2:3], -v[156:157]
.LBB76_146:
	s_or_b32 exec_lo, exec_lo, s2
	v_lshl_add_u32 v156, v172, 4, v166
	s_barrier
	buffer_gl0_inv
	v_mov_b32_e32 v164, 7
	ds_store_2addr_b64 v156, v[132:133], v[134:135] offset1:1
	s_waitcnt lgkmcnt(0)
	s_barrier
	buffer_gl0_inv
	ds_load_2addr_b64 v[156:159], v166 offset0:14 offset1:15
	s_cmp_lt_i32 s5, 9
	s_cbranch_scc1 .LBB76_149
; %bb.147:
	v_add3_u32 v165, v170, 0, 0x80
	v_mov_b32_e32 v164, 7
	s_mov_b32 s6, 8
	s_set_inst_prefetch_distance 0x1
	.p2align	6
.LBB76_148:                             ; =>This Inner Loop Header: Depth=1
	ds_load_2addr_b64 v[173:176], v165 offset1:1
	s_waitcnt lgkmcnt(1)
	v_cmp_gt_f64_e32 vcc_lo, 0, v[156:157]
	v_xor_b32_e32 v177, 0x80000000, v157
	v_cmp_gt_f64_e64 s2, 0, v[158:159]
	v_xor_b32_e32 v179, 0x80000000, v159
	v_add_nc_u32_e32 v165, 16, v165
	s_waitcnt lgkmcnt(0)
	v_cmp_gt_f64_e64 s3, 0, v[173:174]
	v_mov_b32_e32 v181, v173
	v_dual_mov_b32 v183, v175 :: v_dual_cndmask_b32 v178, v157, v177
	v_xor_b32_e32 v177, 0x80000000, v174
	v_cndmask_b32_e64 v180, v159, v179, s2
	v_xor_b32_e32 v179, 0x80000000, v176
	s_delay_alu instid0(VALU_DEP_3) | instskip(SKIP_2) | instid1(VALU_DEP_2)
	v_cndmask_b32_e64 v182, v174, v177, s3
	v_cmp_gt_f64_e64 s3, 0, v[175:176]
	v_cndmask_b32_e32 v177, v156, v156, vcc_lo
	v_cndmask_b32_e64 v184, v176, v179, s3
	v_cndmask_b32_e64 v179, v158, v158, s2
	s_delay_alu instid0(VALU_DEP_2) | instskip(NEXT) | instid1(VALU_DEP_2)
	v_add_f64 v[181:182], v[181:182], v[183:184]
	v_add_f64 v[177:178], v[177:178], v[179:180]
	s_delay_alu instid0(VALU_DEP_1) | instskip(SKIP_4) | instid1(SALU_CYCLE_1)
	v_cmp_lt_f64_e32 vcc_lo, v[177:178], v[181:182]
	v_dual_cndmask_b32 v158, v158, v175 :: v_dual_cndmask_b32 v157, v157, v174
	v_dual_cndmask_b32 v156, v156, v173 :: v_dual_cndmask_b32 v159, v159, v176
	v_cndmask_b32_e64 v164, v164, s6, vcc_lo
	s_add_i32 s6, s6, 1
	s_cmp_lg_u32 s5, s6
	s_cbranch_scc1 .LBB76_148
.LBB76_149:
	s_set_inst_prefetch_distance 0x2
	s_waitcnt lgkmcnt(0)
	v_cmp_eq_f64_e32 vcc_lo, 0, v[156:157]
	v_cmp_eq_f64_e64 s2, 0, v[158:159]
	s_delay_alu instid0(VALU_DEP_1) | instskip(NEXT) | instid1(SALU_CYCLE_1)
	s_and_b32 s2, vcc_lo, s2
	s_and_saveexec_b32 s3, s2
	s_delay_alu instid0(SALU_CYCLE_1)
	s_xor_b32 s2, exec_lo, s3
; %bb.150:
	v_cmp_ne_u32_e32 vcc_lo, 0, v169
	v_cndmask_b32_e32 v169, 8, v169, vcc_lo
; %bb.151:
	s_and_not1_saveexec_b32 s3, s2
	s_cbranch_execz .LBB76_157
; %bb.152:
	v_cmp_gt_f64_e32 vcc_lo, 0, v[156:157]
	v_cmp_gt_f64_e64 s2, 0, v[158:159]
	v_xor_b32_e32 v165, 0x80000000, v157
	v_xor_b32_e32 v173, 0x80000000, v159
	s_delay_alu instid0(VALU_DEP_2) | instskip(NEXT) | instid1(VALU_DEP_2)
	v_cndmask_b32_e32 v174, v157, v165, vcc_lo
	v_cndmask_b32_e64 v176, v159, v173, s2
	v_cndmask_b32_e32 v173, v156, v156, vcc_lo
	v_cndmask_b32_e64 v175, v158, v158, s2
	s_mov_b32 s2, exec_lo
	s_delay_alu instid0(VALU_DEP_1)
	v_cmpx_ngt_f64_e32 v[173:174], v[175:176]
	s_xor_b32 s2, exec_lo, s2
	s_cbranch_execz .LBB76_154
; %bb.153:
	v_div_scale_f64 v[173:174], null, v[158:159], v[158:159], v[156:157]
	v_div_scale_f64 v[179:180], vcc_lo, v[156:157], v[158:159], v[156:157]
	s_delay_alu instid0(VALU_DEP_2) | instskip(SKIP_2) | instid1(VALU_DEP_1)
	v_rcp_f64_e32 v[175:176], v[173:174]
	s_waitcnt_depctr 0xfff
	v_fma_f64 v[177:178], -v[173:174], v[175:176], 1.0
	v_fma_f64 v[175:176], v[175:176], v[177:178], v[175:176]
	s_delay_alu instid0(VALU_DEP_1) | instskip(NEXT) | instid1(VALU_DEP_1)
	v_fma_f64 v[177:178], -v[173:174], v[175:176], 1.0
	v_fma_f64 v[175:176], v[175:176], v[177:178], v[175:176]
	s_delay_alu instid0(VALU_DEP_1) | instskip(NEXT) | instid1(VALU_DEP_1)
	v_mul_f64 v[177:178], v[179:180], v[175:176]
	v_fma_f64 v[173:174], -v[173:174], v[177:178], v[179:180]
	s_delay_alu instid0(VALU_DEP_1) | instskip(NEXT) | instid1(VALU_DEP_1)
	v_div_fmas_f64 v[173:174], v[173:174], v[175:176], v[177:178]
	v_div_fixup_f64 v[173:174], v[173:174], v[158:159], v[156:157]
	s_delay_alu instid0(VALU_DEP_1) | instskip(NEXT) | instid1(VALU_DEP_1)
	v_fma_f64 v[156:157], v[156:157], v[173:174], v[158:159]
	v_div_scale_f64 v[158:159], null, v[156:157], v[156:157], 1.0
	s_delay_alu instid0(VALU_DEP_1) | instskip(SKIP_2) | instid1(VALU_DEP_1)
	v_rcp_f64_e32 v[175:176], v[158:159]
	s_waitcnt_depctr 0xfff
	v_fma_f64 v[177:178], -v[158:159], v[175:176], 1.0
	v_fma_f64 v[175:176], v[175:176], v[177:178], v[175:176]
	s_delay_alu instid0(VALU_DEP_1) | instskip(NEXT) | instid1(VALU_DEP_1)
	v_fma_f64 v[177:178], -v[158:159], v[175:176], 1.0
	v_fma_f64 v[175:176], v[175:176], v[177:178], v[175:176]
	v_div_scale_f64 v[177:178], vcc_lo, 1.0, v[156:157], 1.0
	s_delay_alu instid0(VALU_DEP_1) | instskip(NEXT) | instid1(VALU_DEP_1)
	v_mul_f64 v[179:180], v[177:178], v[175:176]
	v_fma_f64 v[158:159], -v[158:159], v[179:180], v[177:178]
	s_delay_alu instid0(VALU_DEP_1) | instskip(NEXT) | instid1(VALU_DEP_1)
	v_div_fmas_f64 v[158:159], v[158:159], v[175:176], v[179:180]
	v_div_fixup_f64 v[158:159], v[158:159], v[156:157], 1.0
	s_delay_alu instid0(VALU_DEP_1)
	v_mul_f64 v[156:157], v[173:174], v[158:159]
	v_xor_b32_e32 v159, 0x80000000, v159
.LBB76_154:
	s_and_not1_saveexec_b32 s2, s2
	s_cbranch_execz .LBB76_156
; %bb.155:
	s_delay_alu instid0(VALU_DEP_1) | instskip(SKIP_1) | instid1(VALU_DEP_2)
	v_div_scale_f64 v[173:174], null, v[156:157], v[156:157], v[158:159]
	v_div_scale_f64 v[179:180], vcc_lo, v[158:159], v[156:157], v[158:159]
	v_rcp_f64_e32 v[175:176], v[173:174]
	s_waitcnt_depctr 0xfff
	v_fma_f64 v[177:178], -v[173:174], v[175:176], 1.0
	s_delay_alu instid0(VALU_DEP_1) | instskip(NEXT) | instid1(VALU_DEP_1)
	v_fma_f64 v[175:176], v[175:176], v[177:178], v[175:176]
	v_fma_f64 v[177:178], -v[173:174], v[175:176], 1.0
	s_delay_alu instid0(VALU_DEP_1) | instskip(NEXT) | instid1(VALU_DEP_1)
	v_fma_f64 v[175:176], v[175:176], v[177:178], v[175:176]
	v_mul_f64 v[177:178], v[179:180], v[175:176]
	s_delay_alu instid0(VALU_DEP_1) | instskip(NEXT) | instid1(VALU_DEP_1)
	v_fma_f64 v[173:174], -v[173:174], v[177:178], v[179:180]
	v_div_fmas_f64 v[173:174], v[173:174], v[175:176], v[177:178]
	s_delay_alu instid0(VALU_DEP_1) | instskip(NEXT) | instid1(VALU_DEP_1)
	v_div_fixup_f64 v[173:174], v[173:174], v[156:157], v[158:159]
	v_fma_f64 v[156:157], v[158:159], v[173:174], v[156:157]
	s_delay_alu instid0(VALU_DEP_1) | instskip(NEXT) | instid1(VALU_DEP_1)
	v_div_scale_f64 v[158:159], null, v[156:157], v[156:157], 1.0
	v_rcp_f64_e32 v[175:176], v[158:159]
	s_waitcnt_depctr 0xfff
	v_fma_f64 v[177:178], -v[158:159], v[175:176], 1.0
	s_delay_alu instid0(VALU_DEP_1) | instskip(NEXT) | instid1(VALU_DEP_1)
	v_fma_f64 v[175:176], v[175:176], v[177:178], v[175:176]
	v_fma_f64 v[177:178], -v[158:159], v[175:176], 1.0
	s_delay_alu instid0(VALU_DEP_1) | instskip(SKIP_1) | instid1(VALU_DEP_1)
	v_fma_f64 v[175:176], v[175:176], v[177:178], v[175:176]
	v_div_scale_f64 v[177:178], vcc_lo, 1.0, v[156:157], 1.0
	v_mul_f64 v[179:180], v[177:178], v[175:176]
	s_delay_alu instid0(VALU_DEP_1) | instskip(NEXT) | instid1(VALU_DEP_1)
	v_fma_f64 v[158:159], -v[158:159], v[179:180], v[177:178]
	v_div_fmas_f64 v[158:159], v[158:159], v[175:176], v[179:180]
	s_delay_alu instid0(VALU_DEP_1) | instskip(NEXT) | instid1(VALU_DEP_1)
	v_div_fixup_f64 v[156:157], v[158:159], v[156:157], 1.0
	v_mul_f64 v[158:159], v[173:174], -v[156:157]
.LBB76_156:
	s_or_b32 exec_lo, exec_lo, s2
.LBB76_157:
	s_delay_alu instid0(SALU_CYCLE_1) | instskip(NEXT) | instid1(SALU_CYCLE_1)
	s_or_b32 exec_lo, exec_lo, s3
	s_mov_b32 s2, exec_lo
	v_cmpx_ne_u32_e64 v172, v164
	s_xor_b32 s2, exec_lo, s2
	s_cbranch_execz .LBB76_163
; %bb.158:
	s_mov_b32 s3, exec_lo
	v_cmpx_eq_u32_e32 7, v172
	s_cbranch_execz .LBB76_162
; %bb.159:
	v_cmp_ne_u32_e32 vcc_lo, 7, v164
	s_xor_b32 s6, s4, -1
	s_delay_alu instid0(SALU_CYCLE_1) | instskip(NEXT) | instid1(SALU_CYCLE_1)
	s_and_b32 s7, s6, vcc_lo
	s_and_saveexec_b32 s6, s7
	s_cbranch_execz .LBB76_161
; %bb.160:
	v_ashrrev_i32_e32 v165, 31, v164
	s_delay_alu instid0(VALU_DEP_1) | instskip(NEXT) | instid1(VALU_DEP_1)
	v_lshlrev_b64 v[171:172], 2, v[164:165]
	v_add_co_u32 v171, vcc_lo, v162, v171
	s_delay_alu instid0(VALU_DEP_2)
	v_add_co_ci_u32_e32 v172, vcc_lo, v163, v172, vcc_lo
	s_clause 0x1
	flat_load_b32 v165, v[171:172]
	flat_load_b32 v173, v[162:163] offset:28
	s_waitcnt vmcnt(1) lgkmcnt(1)
	flat_store_b32 v[162:163], v165 offset:28
	s_waitcnt vmcnt(0) lgkmcnt(1)
	flat_store_b32 v[171:172], v173
.LBB76_161:
	s_or_b32 exec_lo, exec_lo, s6
	v_mov_b32_e32 v172, v164
	v_mov_b32_e32 v171, v164
.LBB76_162:
	s_or_b32 exec_lo, exec_lo, s3
.LBB76_163:
	s_and_not1_saveexec_b32 s2, s2
	s_cbranch_execz .LBB76_165
; %bb.164:
	v_mov_b32_e32 v172, 7
	ds_store_2addr_b64 v166, v[128:129], v[130:131] offset0:16 offset1:17
	ds_store_2addr_b64 v166, v[124:125], v[126:127] offset0:18 offset1:19
	;; [unrolled: 1-line block ×31, first 2 shown]
.LBB76_165:
	s_or_b32 exec_lo, exec_lo, s2
	s_delay_alu instid0(SALU_CYCLE_1)
	s_mov_b32 s2, exec_lo
	s_waitcnt lgkmcnt(0)
	s_waitcnt_vscnt null, 0x0
	s_barrier
	buffer_gl0_inv
	v_cmpx_lt_i32_e32 7, v172
	s_cbranch_execz .LBB76_167
; %bb.166:
	v_mul_f64 v[164:165], v[158:159], v[134:135]
	v_mul_f64 v[134:135], v[156:157], v[134:135]
	s_delay_alu instid0(VALU_DEP_2) | instskip(NEXT) | instid1(VALU_DEP_2)
	v_fma_f64 v[164:165], v[156:157], v[132:133], -v[164:165]
	v_fma_f64 v[134:135], v[158:159], v[132:133], v[134:135]
	ds_load_2addr_b64 v[156:159], v166 offset0:16 offset1:17
	s_waitcnt lgkmcnt(0)
	v_mul_f64 v[132:133], v[158:159], v[134:135]
	s_delay_alu instid0(VALU_DEP_1) | instskip(SKIP_1) | instid1(VALU_DEP_2)
	v_fma_f64 v[132:133], v[156:157], v[164:165], -v[132:133]
	v_mul_f64 v[156:157], v[156:157], v[134:135]
	v_add_f64 v[128:129], v[128:129], -v[132:133]
	s_delay_alu instid0(VALU_DEP_2) | instskip(NEXT) | instid1(VALU_DEP_1)
	v_fma_f64 v[156:157], v[158:159], v[164:165], v[156:157]
	v_add_f64 v[130:131], v[130:131], -v[156:157]
	ds_load_2addr_b64 v[156:159], v166 offset0:18 offset1:19
	s_waitcnt lgkmcnt(0)
	v_mul_f64 v[132:133], v[158:159], v[134:135]
	s_delay_alu instid0(VALU_DEP_1) | instskip(SKIP_1) | instid1(VALU_DEP_2)
	v_fma_f64 v[132:133], v[156:157], v[164:165], -v[132:133]
	v_mul_f64 v[156:157], v[156:157], v[134:135]
	v_add_f64 v[124:125], v[124:125], -v[132:133]
	s_delay_alu instid0(VALU_DEP_2) | instskip(NEXT) | instid1(VALU_DEP_1)
	v_fma_f64 v[156:157], v[158:159], v[164:165], v[156:157]
	v_add_f64 v[126:127], v[126:127], -v[156:157]
	;; [unrolled: 10-line block ×30, first 2 shown]
	ds_load_2addr_b64 v[156:159], v166 offset0:76 offset1:77
	s_waitcnt lgkmcnt(0)
	v_mul_f64 v[132:133], v[158:159], v[134:135]
	s_delay_alu instid0(VALU_DEP_1) | instskip(SKIP_1) | instid1(VALU_DEP_2)
	v_fma_f64 v[132:133], v[156:157], v[164:165], -v[132:133]
	v_mul_f64 v[156:157], v[156:157], v[134:135]
	v_add_f64 v[0:1], v[0:1], -v[132:133]
	s_delay_alu instid0(VALU_DEP_2) | instskip(SKIP_1) | instid1(VALU_DEP_2)
	v_fma_f64 v[156:157], v[158:159], v[164:165], v[156:157]
	v_dual_mov_b32 v132, v164 :: v_dual_mov_b32 v133, v165
	v_add_f64 v[2:3], v[2:3], -v[156:157]
.LBB76_167:
	s_or_b32 exec_lo, exec_lo, s2
	v_lshl_add_u32 v156, v172, 4, v166
	s_barrier
	buffer_gl0_inv
	v_mov_b32_e32 v164, 8
	ds_store_2addr_b64 v156, v[128:129], v[130:131] offset1:1
	s_waitcnt lgkmcnt(0)
	s_barrier
	buffer_gl0_inv
	ds_load_2addr_b64 v[156:159], v166 offset0:16 offset1:17
	s_cmp_lt_i32 s5, 10
	s_cbranch_scc1 .LBB76_170
; %bb.168:
	v_add3_u32 v165, v170, 0, 0x90
	v_mov_b32_e32 v164, 8
	s_mov_b32 s6, 9
	s_set_inst_prefetch_distance 0x1
	.p2align	6
.LBB76_169:                             ; =>This Inner Loop Header: Depth=1
	ds_load_2addr_b64 v[173:176], v165 offset1:1
	s_waitcnt lgkmcnt(1)
	v_cmp_gt_f64_e32 vcc_lo, 0, v[156:157]
	v_xor_b32_e32 v177, 0x80000000, v157
	v_cmp_gt_f64_e64 s2, 0, v[158:159]
	v_xor_b32_e32 v179, 0x80000000, v159
	v_add_nc_u32_e32 v165, 16, v165
	s_waitcnt lgkmcnt(0)
	v_cmp_gt_f64_e64 s3, 0, v[173:174]
	v_mov_b32_e32 v181, v173
	v_dual_mov_b32 v183, v175 :: v_dual_cndmask_b32 v178, v157, v177
	v_xor_b32_e32 v177, 0x80000000, v174
	v_cndmask_b32_e64 v180, v159, v179, s2
	v_xor_b32_e32 v179, 0x80000000, v176
	s_delay_alu instid0(VALU_DEP_3) | instskip(SKIP_2) | instid1(VALU_DEP_2)
	v_cndmask_b32_e64 v182, v174, v177, s3
	v_cmp_gt_f64_e64 s3, 0, v[175:176]
	v_cndmask_b32_e32 v177, v156, v156, vcc_lo
	v_cndmask_b32_e64 v184, v176, v179, s3
	v_cndmask_b32_e64 v179, v158, v158, s2
	s_delay_alu instid0(VALU_DEP_2) | instskip(NEXT) | instid1(VALU_DEP_2)
	v_add_f64 v[181:182], v[181:182], v[183:184]
	v_add_f64 v[177:178], v[177:178], v[179:180]
	s_delay_alu instid0(VALU_DEP_1) | instskip(SKIP_4) | instid1(SALU_CYCLE_1)
	v_cmp_lt_f64_e32 vcc_lo, v[177:178], v[181:182]
	v_dual_cndmask_b32 v158, v158, v175 :: v_dual_cndmask_b32 v157, v157, v174
	v_dual_cndmask_b32 v156, v156, v173 :: v_dual_cndmask_b32 v159, v159, v176
	v_cndmask_b32_e64 v164, v164, s6, vcc_lo
	s_add_i32 s6, s6, 1
	s_cmp_lg_u32 s5, s6
	s_cbranch_scc1 .LBB76_169
.LBB76_170:
	s_set_inst_prefetch_distance 0x2
	s_waitcnt lgkmcnt(0)
	v_cmp_eq_f64_e32 vcc_lo, 0, v[156:157]
	v_cmp_eq_f64_e64 s2, 0, v[158:159]
	s_delay_alu instid0(VALU_DEP_1) | instskip(NEXT) | instid1(SALU_CYCLE_1)
	s_and_b32 s2, vcc_lo, s2
	s_and_saveexec_b32 s3, s2
	s_delay_alu instid0(SALU_CYCLE_1)
	s_xor_b32 s2, exec_lo, s3
; %bb.171:
	v_cmp_ne_u32_e32 vcc_lo, 0, v169
	v_cndmask_b32_e32 v169, 9, v169, vcc_lo
; %bb.172:
	s_and_not1_saveexec_b32 s3, s2
	s_cbranch_execz .LBB76_178
; %bb.173:
	v_cmp_gt_f64_e32 vcc_lo, 0, v[156:157]
	v_cmp_gt_f64_e64 s2, 0, v[158:159]
	v_xor_b32_e32 v165, 0x80000000, v157
	v_xor_b32_e32 v173, 0x80000000, v159
	s_delay_alu instid0(VALU_DEP_2) | instskip(NEXT) | instid1(VALU_DEP_2)
	v_cndmask_b32_e32 v174, v157, v165, vcc_lo
	v_cndmask_b32_e64 v176, v159, v173, s2
	v_cndmask_b32_e32 v173, v156, v156, vcc_lo
	v_cndmask_b32_e64 v175, v158, v158, s2
	s_mov_b32 s2, exec_lo
	s_delay_alu instid0(VALU_DEP_1)
	v_cmpx_ngt_f64_e32 v[173:174], v[175:176]
	s_xor_b32 s2, exec_lo, s2
	s_cbranch_execz .LBB76_175
; %bb.174:
	v_div_scale_f64 v[173:174], null, v[158:159], v[158:159], v[156:157]
	v_div_scale_f64 v[179:180], vcc_lo, v[156:157], v[158:159], v[156:157]
	s_delay_alu instid0(VALU_DEP_2) | instskip(SKIP_2) | instid1(VALU_DEP_1)
	v_rcp_f64_e32 v[175:176], v[173:174]
	s_waitcnt_depctr 0xfff
	v_fma_f64 v[177:178], -v[173:174], v[175:176], 1.0
	v_fma_f64 v[175:176], v[175:176], v[177:178], v[175:176]
	s_delay_alu instid0(VALU_DEP_1) | instskip(NEXT) | instid1(VALU_DEP_1)
	v_fma_f64 v[177:178], -v[173:174], v[175:176], 1.0
	v_fma_f64 v[175:176], v[175:176], v[177:178], v[175:176]
	s_delay_alu instid0(VALU_DEP_1) | instskip(NEXT) | instid1(VALU_DEP_1)
	v_mul_f64 v[177:178], v[179:180], v[175:176]
	v_fma_f64 v[173:174], -v[173:174], v[177:178], v[179:180]
	s_delay_alu instid0(VALU_DEP_1) | instskip(NEXT) | instid1(VALU_DEP_1)
	v_div_fmas_f64 v[173:174], v[173:174], v[175:176], v[177:178]
	v_div_fixup_f64 v[173:174], v[173:174], v[158:159], v[156:157]
	s_delay_alu instid0(VALU_DEP_1) | instskip(NEXT) | instid1(VALU_DEP_1)
	v_fma_f64 v[156:157], v[156:157], v[173:174], v[158:159]
	v_div_scale_f64 v[158:159], null, v[156:157], v[156:157], 1.0
	s_delay_alu instid0(VALU_DEP_1) | instskip(SKIP_2) | instid1(VALU_DEP_1)
	v_rcp_f64_e32 v[175:176], v[158:159]
	s_waitcnt_depctr 0xfff
	v_fma_f64 v[177:178], -v[158:159], v[175:176], 1.0
	v_fma_f64 v[175:176], v[175:176], v[177:178], v[175:176]
	s_delay_alu instid0(VALU_DEP_1) | instskip(NEXT) | instid1(VALU_DEP_1)
	v_fma_f64 v[177:178], -v[158:159], v[175:176], 1.0
	v_fma_f64 v[175:176], v[175:176], v[177:178], v[175:176]
	v_div_scale_f64 v[177:178], vcc_lo, 1.0, v[156:157], 1.0
	s_delay_alu instid0(VALU_DEP_1) | instskip(NEXT) | instid1(VALU_DEP_1)
	v_mul_f64 v[179:180], v[177:178], v[175:176]
	v_fma_f64 v[158:159], -v[158:159], v[179:180], v[177:178]
	s_delay_alu instid0(VALU_DEP_1) | instskip(NEXT) | instid1(VALU_DEP_1)
	v_div_fmas_f64 v[158:159], v[158:159], v[175:176], v[179:180]
	v_div_fixup_f64 v[158:159], v[158:159], v[156:157], 1.0
	s_delay_alu instid0(VALU_DEP_1)
	v_mul_f64 v[156:157], v[173:174], v[158:159]
	v_xor_b32_e32 v159, 0x80000000, v159
.LBB76_175:
	s_and_not1_saveexec_b32 s2, s2
	s_cbranch_execz .LBB76_177
; %bb.176:
	s_delay_alu instid0(VALU_DEP_1) | instskip(SKIP_1) | instid1(VALU_DEP_2)
	v_div_scale_f64 v[173:174], null, v[156:157], v[156:157], v[158:159]
	v_div_scale_f64 v[179:180], vcc_lo, v[158:159], v[156:157], v[158:159]
	v_rcp_f64_e32 v[175:176], v[173:174]
	s_waitcnt_depctr 0xfff
	v_fma_f64 v[177:178], -v[173:174], v[175:176], 1.0
	s_delay_alu instid0(VALU_DEP_1) | instskip(NEXT) | instid1(VALU_DEP_1)
	v_fma_f64 v[175:176], v[175:176], v[177:178], v[175:176]
	v_fma_f64 v[177:178], -v[173:174], v[175:176], 1.0
	s_delay_alu instid0(VALU_DEP_1) | instskip(NEXT) | instid1(VALU_DEP_1)
	v_fma_f64 v[175:176], v[175:176], v[177:178], v[175:176]
	v_mul_f64 v[177:178], v[179:180], v[175:176]
	s_delay_alu instid0(VALU_DEP_1) | instskip(NEXT) | instid1(VALU_DEP_1)
	v_fma_f64 v[173:174], -v[173:174], v[177:178], v[179:180]
	v_div_fmas_f64 v[173:174], v[173:174], v[175:176], v[177:178]
	s_delay_alu instid0(VALU_DEP_1) | instskip(NEXT) | instid1(VALU_DEP_1)
	v_div_fixup_f64 v[173:174], v[173:174], v[156:157], v[158:159]
	v_fma_f64 v[156:157], v[158:159], v[173:174], v[156:157]
	s_delay_alu instid0(VALU_DEP_1) | instskip(NEXT) | instid1(VALU_DEP_1)
	v_div_scale_f64 v[158:159], null, v[156:157], v[156:157], 1.0
	v_rcp_f64_e32 v[175:176], v[158:159]
	s_waitcnt_depctr 0xfff
	v_fma_f64 v[177:178], -v[158:159], v[175:176], 1.0
	s_delay_alu instid0(VALU_DEP_1) | instskip(NEXT) | instid1(VALU_DEP_1)
	v_fma_f64 v[175:176], v[175:176], v[177:178], v[175:176]
	v_fma_f64 v[177:178], -v[158:159], v[175:176], 1.0
	s_delay_alu instid0(VALU_DEP_1) | instskip(SKIP_1) | instid1(VALU_DEP_1)
	v_fma_f64 v[175:176], v[175:176], v[177:178], v[175:176]
	v_div_scale_f64 v[177:178], vcc_lo, 1.0, v[156:157], 1.0
	v_mul_f64 v[179:180], v[177:178], v[175:176]
	s_delay_alu instid0(VALU_DEP_1) | instskip(NEXT) | instid1(VALU_DEP_1)
	v_fma_f64 v[158:159], -v[158:159], v[179:180], v[177:178]
	v_div_fmas_f64 v[158:159], v[158:159], v[175:176], v[179:180]
	s_delay_alu instid0(VALU_DEP_1) | instskip(NEXT) | instid1(VALU_DEP_1)
	v_div_fixup_f64 v[156:157], v[158:159], v[156:157], 1.0
	v_mul_f64 v[158:159], v[173:174], -v[156:157]
.LBB76_177:
	s_or_b32 exec_lo, exec_lo, s2
.LBB76_178:
	s_delay_alu instid0(SALU_CYCLE_1) | instskip(NEXT) | instid1(SALU_CYCLE_1)
	s_or_b32 exec_lo, exec_lo, s3
	s_mov_b32 s2, exec_lo
	v_cmpx_ne_u32_e64 v172, v164
	s_xor_b32 s2, exec_lo, s2
	s_cbranch_execz .LBB76_184
; %bb.179:
	s_mov_b32 s3, exec_lo
	v_cmpx_eq_u32_e32 8, v172
	s_cbranch_execz .LBB76_183
; %bb.180:
	v_cmp_ne_u32_e32 vcc_lo, 8, v164
	s_xor_b32 s6, s4, -1
	s_delay_alu instid0(SALU_CYCLE_1) | instskip(NEXT) | instid1(SALU_CYCLE_1)
	s_and_b32 s7, s6, vcc_lo
	s_and_saveexec_b32 s6, s7
	s_cbranch_execz .LBB76_182
; %bb.181:
	v_ashrrev_i32_e32 v165, 31, v164
	s_delay_alu instid0(VALU_DEP_1) | instskip(NEXT) | instid1(VALU_DEP_1)
	v_lshlrev_b64 v[171:172], 2, v[164:165]
	v_add_co_u32 v171, vcc_lo, v162, v171
	s_delay_alu instid0(VALU_DEP_2)
	v_add_co_ci_u32_e32 v172, vcc_lo, v163, v172, vcc_lo
	s_clause 0x1
	flat_load_b32 v165, v[171:172]
	flat_load_b32 v173, v[162:163] offset:32
	s_waitcnt vmcnt(1) lgkmcnt(1)
	flat_store_b32 v[162:163], v165 offset:32
	s_waitcnt vmcnt(0) lgkmcnt(1)
	flat_store_b32 v[171:172], v173
.LBB76_182:
	s_or_b32 exec_lo, exec_lo, s6
	v_mov_b32_e32 v172, v164
	v_mov_b32_e32 v171, v164
.LBB76_183:
	s_or_b32 exec_lo, exec_lo, s3
.LBB76_184:
	s_and_not1_saveexec_b32 s2, s2
	s_cbranch_execz .LBB76_186
; %bb.185:
	v_mov_b32_e32 v172, 8
	ds_store_2addr_b64 v166, v[124:125], v[126:127] offset0:18 offset1:19
	ds_store_2addr_b64 v166, v[120:121], v[122:123] offset0:20 offset1:21
	;; [unrolled: 1-line block ×30, first 2 shown]
.LBB76_186:
	s_or_b32 exec_lo, exec_lo, s2
	s_delay_alu instid0(SALU_CYCLE_1)
	s_mov_b32 s2, exec_lo
	s_waitcnt lgkmcnt(0)
	s_waitcnt_vscnt null, 0x0
	s_barrier
	buffer_gl0_inv
	v_cmpx_lt_i32_e32 8, v172
	s_cbranch_execz .LBB76_188
; %bb.187:
	v_mul_f64 v[164:165], v[158:159], v[130:131]
	v_mul_f64 v[130:131], v[156:157], v[130:131]
	s_delay_alu instid0(VALU_DEP_2) | instskip(NEXT) | instid1(VALU_DEP_2)
	v_fma_f64 v[164:165], v[156:157], v[128:129], -v[164:165]
	v_fma_f64 v[130:131], v[158:159], v[128:129], v[130:131]
	ds_load_2addr_b64 v[156:159], v166 offset0:18 offset1:19
	s_waitcnt lgkmcnt(0)
	v_mul_f64 v[128:129], v[158:159], v[130:131]
	s_delay_alu instid0(VALU_DEP_1) | instskip(SKIP_1) | instid1(VALU_DEP_2)
	v_fma_f64 v[128:129], v[156:157], v[164:165], -v[128:129]
	v_mul_f64 v[156:157], v[156:157], v[130:131]
	v_add_f64 v[124:125], v[124:125], -v[128:129]
	s_delay_alu instid0(VALU_DEP_2) | instskip(NEXT) | instid1(VALU_DEP_1)
	v_fma_f64 v[156:157], v[158:159], v[164:165], v[156:157]
	v_add_f64 v[126:127], v[126:127], -v[156:157]
	ds_load_2addr_b64 v[156:159], v166 offset0:20 offset1:21
	s_waitcnt lgkmcnt(0)
	v_mul_f64 v[128:129], v[158:159], v[130:131]
	s_delay_alu instid0(VALU_DEP_1) | instskip(SKIP_1) | instid1(VALU_DEP_2)
	v_fma_f64 v[128:129], v[156:157], v[164:165], -v[128:129]
	v_mul_f64 v[156:157], v[156:157], v[130:131]
	v_add_f64 v[120:121], v[120:121], -v[128:129]
	s_delay_alu instid0(VALU_DEP_2) | instskip(NEXT) | instid1(VALU_DEP_1)
	v_fma_f64 v[156:157], v[158:159], v[164:165], v[156:157]
	v_add_f64 v[122:123], v[122:123], -v[156:157]
	;; [unrolled: 10-line block ×29, first 2 shown]
	ds_load_2addr_b64 v[156:159], v166 offset0:76 offset1:77
	s_waitcnt lgkmcnt(0)
	v_mul_f64 v[128:129], v[158:159], v[130:131]
	s_delay_alu instid0(VALU_DEP_1) | instskip(SKIP_1) | instid1(VALU_DEP_2)
	v_fma_f64 v[128:129], v[156:157], v[164:165], -v[128:129]
	v_mul_f64 v[156:157], v[156:157], v[130:131]
	v_add_f64 v[0:1], v[0:1], -v[128:129]
	s_delay_alu instid0(VALU_DEP_2) | instskip(SKIP_1) | instid1(VALU_DEP_2)
	v_fma_f64 v[156:157], v[158:159], v[164:165], v[156:157]
	v_dual_mov_b32 v128, v164 :: v_dual_mov_b32 v129, v165
	v_add_f64 v[2:3], v[2:3], -v[156:157]
.LBB76_188:
	s_or_b32 exec_lo, exec_lo, s2
	v_lshl_add_u32 v156, v172, 4, v166
	s_barrier
	buffer_gl0_inv
	v_mov_b32_e32 v164, 9
	ds_store_2addr_b64 v156, v[124:125], v[126:127] offset1:1
	s_waitcnt lgkmcnt(0)
	s_barrier
	buffer_gl0_inv
	ds_load_2addr_b64 v[156:159], v166 offset0:18 offset1:19
	s_cmp_lt_i32 s5, 11
	s_cbranch_scc1 .LBB76_191
; %bb.189:
	v_add3_u32 v165, v170, 0, 0xa0
	v_mov_b32_e32 v164, 9
	s_mov_b32 s6, 10
	s_set_inst_prefetch_distance 0x1
	.p2align	6
.LBB76_190:                             ; =>This Inner Loop Header: Depth=1
	ds_load_2addr_b64 v[173:176], v165 offset1:1
	s_waitcnt lgkmcnt(1)
	v_cmp_gt_f64_e32 vcc_lo, 0, v[156:157]
	v_xor_b32_e32 v177, 0x80000000, v157
	v_cmp_gt_f64_e64 s2, 0, v[158:159]
	v_xor_b32_e32 v179, 0x80000000, v159
	v_add_nc_u32_e32 v165, 16, v165
	s_waitcnt lgkmcnt(0)
	v_cmp_gt_f64_e64 s3, 0, v[173:174]
	v_mov_b32_e32 v181, v173
	v_dual_mov_b32 v183, v175 :: v_dual_cndmask_b32 v178, v157, v177
	v_xor_b32_e32 v177, 0x80000000, v174
	v_cndmask_b32_e64 v180, v159, v179, s2
	v_xor_b32_e32 v179, 0x80000000, v176
	s_delay_alu instid0(VALU_DEP_3) | instskip(SKIP_2) | instid1(VALU_DEP_2)
	v_cndmask_b32_e64 v182, v174, v177, s3
	v_cmp_gt_f64_e64 s3, 0, v[175:176]
	v_cndmask_b32_e32 v177, v156, v156, vcc_lo
	v_cndmask_b32_e64 v184, v176, v179, s3
	v_cndmask_b32_e64 v179, v158, v158, s2
	s_delay_alu instid0(VALU_DEP_2) | instskip(NEXT) | instid1(VALU_DEP_2)
	v_add_f64 v[181:182], v[181:182], v[183:184]
	v_add_f64 v[177:178], v[177:178], v[179:180]
	s_delay_alu instid0(VALU_DEP_1) | instskip(SKIP_4) | instid1(SALU_CYCLE_1)
	v_cmp_lt_f64_e32 vcc_lo, v[177:178], v[181:182]
	v_dual_cndmask_b32 v158, v158, v175 :: v_dual_cndmask_b32 v157, v157, v174
	v_dual_cndmask_b32 v156, v156, v173 :: v_dual_cndmask_b32 v159, v159, v176
	v_cndmask_b32_e64 v164, v164, s6, vcc_lo
	s_add_i32 s6, s6, 1
	s_cmp_lg_u32 s5, s6
	s_cbranch_scc1 .LBB76_190
.LBB76_191:
	s_set_inst_prefetch_distance 0x2
	s_waitcnt lgkmcnt(0)
	v_cmp_eq_f64_e32 vcc_lo, 0, v[156:157]
	v_cmp_eq_f64_e64 s2, 0, v[158:159]
	s_delay_alu instid0(VALU_DEP_1) | instskip(NEXT) | instid1(SALU_CYCLE_1)
	s_and_b32 s2, vcc_lo, s2
	s_and_saveexec_b32 s3, s2
	s_delay_alu instid0(SALU_CYCLE_1)
	s_xor_b32 s2, exec_lo, s3
; %bb.192:
	v_cmp_ne_u32_e32 vcc_lo, 0, v169
	v_cndmask_b32_e32 v169, 10, v169, vcc_lo
; %bb.193:
	s_and_not1_saveexec_b32 s3, s2
	s_cbranch_execz .LBB76_199
; %bb.194:
	v_cmp_gt_f64_e32 vcc_lo, 0, v[156:157]
	v_cmp_gt_f64_e64 s2, 0, v[158:159]
	v_xor_b32_e32 v165, 0x80000000, v157
	v_xor_b32_e32 v173, 0x80000000, v159
	s_delay_alu instid0(VALU_DEP_2) | instskip(NEXT) | instid1(VALU_DEP_2)
	v_cndmask_b32_e32 v174, v157, v165, vcc_lo
	v_cndmask_b32_e64 v176, v159, v173, s2
	v_cndmask_b32_e32 v173, v156, v156, vcc_lo
	v_cndmask_b32_e64 v175, v158, v158, s2
	s_mov_b32 s2, exec_lo
	s_delay_alu instid0(VALU_DEP_1)
	v_cmpx_ngt_f64_e32 v[173:174], v[175:176]
	s_xor_b32 s2, exec_lo, s2
	s_cbranch_execz .LBB76_196
; %bb.195:
	v_div_scale_f64 v[173:174], null, v[158:159], v[158:159], v[156:157]
	v_div_scale_f64 v[179:180], vcc_lo, v[156:157], v[158:159], v[156:157]
	s_delay_alu instid0(VALU_DEP_2) | instskip(SKIP_2) | instid1(VALU_DEP_1)
	v_rcp_f64_e32 v[175:176], v[173:174]
	s_waitcnt_depctr 0xfff
	v_fma_f64 v[177:178], -v[173:174], v[175:176], 1.0
	v_fma_f64 v[175:176], v[175:176], v[177:178], v[175:176]
	s_delay_alu instid0(VALU_DEP_1) | instskip(NEXT) | instid1(VALU_DEP_1)
	v_fma_f64 v[177:178], -v[173:174], v[175:176], 1.0
	v_fma_f64 v[175:176], v[175:176], v[177:178], v[175:176]
	s_delay_alu instid0(VALU_DEP_1) | instskip(NEXT) | instid1(VALU_DEP_1)
	v_mul_f64 v[177:178], v[179:180], v[175:176]
	v_fma_f64 v[173:174], -v[173:174], v[177:178], v[179:180]
	s_delay_alu instid0(VALU_DEP_1) | instskip(NEXT) | instid1(VALU_DEP_1)
	v_div_fmas_f64 v[173:174], v[173:174], v[175:176], v[177:178]
	v_div_fixup_f64 v[173:174], v[173:174], v[158:159], v[156:157]
	s_delay_alu instid0(VALU_DEP_1) | instskip(NEXT) | instid1(VALU_DEP_1)
	v_fma_f64 v[156:157], v[156:157], v[173:174], v[158:159]
	v_div_scale_f64 v[158:159], null, v[156:157], v[156:157], 1.0
	s_delay_alu instid0(VALU_DEP_1) | instskip(SKIP_2) | instid1(VALU_DEP_1)
	v_rcp_f64_e32 v[175:176], v[158:159]
	s_waitcnt_depctr 0xfff
	v_fma_f64 v[177:178], -v[158:159], v[175:176], 1.0
	v_fma_f64 v[175:176], v[175:176], v[177:178], v[175:176]
	s_delay_alu instid0(VALU_DEP_1) | instskip(NEXT) | instid1(VALU_DEP_1)
	v_fma_f64 v[177:178], -v[158:159], v[175:176], 1.0
	v_fma_f64 v[175:176], v[175:176], v[177:178], v[175:176]
	v_div_scale_f64 v[177:178], vcc_lo, 1.0, v[156:157], 1.0
	s_delay_alu instid0(VALU_DEP_1) | instskip(NEXT) | instid1(VALU_DEP_1)
	v_mul_f64 v[179:180], v[177:178], v[175:176]
	v_fma_f64 v[158:159], -v[158:159], v[179:180], v[177:178]
	s_delay_alu instid0(VALU_DEP_1) | instskip(NEXT) | instid1(VALU_DEP_1)
	v_div_fmas_f64 v[158:159], v[158:159], v[175:176], v[179:180]
	v_div_fixup_f64 v[158:159], v[158:159], v[156:157], 1.0
	s_delay_alu instid0(VALU_DEP_1)
	v_mul_f64 v[156:157], v[173:174], v[158:159]
	v_xor_b32_e32 v159, 0x80000000, v159
.LBB76_196:
	s_and_not1_saveexec_b32 s2, s2
	s_cbranch_execz .LBB76_198
; %bb.197:
	s_delay_alu instid0(VALU_DEP_1) | instskip(SKIP_1) | instid1(VALU_DEP_2)
	v_div_scale_f64 v[173:174], null, v[156:157], v[156:157], v[158:159]
	v_div_scale_f64 v[179:180], vcc_lo, v[158:159], v[156:157], v[158:159]
	v_rcp_f64_e32 v[175:176], v[173:174]
	s_waitcnt_depctr 0xfff
	v_fma_f64 v[177:178], -v[173:174], v[175:176], 1.0
	s_delay_alu instid0(VALU_DEP_1) | instskip(NEXT) | instid1(VALU_DEP_1)
	v_fma_f64 v[175:176], v[175:176], v[177:178], v[175:176]
	v_fma_f64 v[177:178], -v[173:174], v[175:176], 1.0
	s_delay_alu instid0(VALU_DEP_1) | instskip(NEXT) | instid1(VALU_DEP_1)
	v_fma_f64 v[175:176], v[175:176], v[177:178], v[175:176]
	v_mul_f64 v[177:178], v[179:180], v[175:176]
	s_delay_alu instid0(VALU_DEP_1) | instskip(NEXT) | instid1(VALU_DEP_1)
	v_fma_f64 v[173:174], -v[173:174], v[177:178], v[179:180]
	v_div_fmas_f64 v[173:174], v[173:174], v[175:176], v[177:178]
	s_delay_alu instid0(VALU_DEP_1) | instskip(NEXT) | instid1(VALU_DEP_1)
	v_div_fixup_f64 v[173:174], v[173:174], v[156:157], v[158:159]
	v_fma_f64 v[156:157], v[158:159], v[173:174], v[156:157]
	s_delay_alu instid0(VALU_DEP_1) | instskip(NEXT) | instid1(VALU_DEP_1)
	v_div_scale_f64 v[158:159], null, v[156:157], v[156:157], 1.0
	v_rcp_f64_e32 v[175:176], v[158:159]
	s_waitcnt_depctr 0xfff
	v_fma_f64 v[177:178], -v[158:159], v[175:176], 1.0
	s_delay_alu instid0(VALU_DEP_1) | instskip(NEXT) | instid1(VALU_DEP_1)
	v_fma_f64 v[175:176], v[175:176], v[177:178], v[175:176]
	v_fma_f64 v[177:178], -v[158:159], v[175:176], 1.0
	s_delay_alu instid0(VALU_DEP_1) | instskip(SKIP_1) | instid1(VALU_DEP_1)
	v_fma_f64 v[175:176], v[175:176], v[177:178], v[175:176]
	v_div_scale_f64 v[177:178], vcc_lo, 1.0, v[156:157], 1.0
	v_mul_f64 v[179:180], v[177:178], v[175:176]
	s_delay_alu instid0(VALU_DEP_1) | instskip(NEXT) | instid1(VALU_DEP_1)
	v_fma_f64 v[158:159], -v[158:159], v[179:180], v[177:178]
	v_div_fmas_f64 v[158:159], v[158:159], v[175:176], v[179:180]
	s_delay_alu instid0(VALU_DEP_1) | instskip(NEXT) | instid1(VALU_DEP_1)
	v_div_fixup_f64 v[156:157], v[158:159], v[156:157], 1.0
	v_mul_f64 v[158:159], v[173:174], -v[156:157]
.LBB76_198:
	s_or_b32 exec_lo, exec_lo, s2
.LBB76_199:
	s_delay_alu instid0(SALU_CYCLE_1) | instskip(NEXT) | instid1(SALU_CYCLE_1)
	s_or_b32 exec_lo, exec_lo, s3
	s_mov_b32 s2, exec_lo
	v_cmpx_ne_u32_e64 v172, v164
	s_xor_b32 s2, exec_lo, s2
	s_cbranch_execz .LBB76_205
; %bb.200:
	s_mov_b32 s3, exec_lo
	v_cmpx_eq_u32_e32 9, v172
	s_cbranch_execz .LBB76_204
; %bb.201:
	v_cmp_ne_u32_e32 vcc_lo, 9, v164
	s_xor_b32 s6, s4, -1
	s_delay_alu instid0(SALU_CYCLE_1) | instskip(NEXT) | instid1(SALU_CYCLE_1)
	s_and_b32 s7, s6, vcc_lo
	s_and_saveexec_b32 s6, s7
	s_cbranch_execz .LBB76_203
; %bb.202:
	v_ashrrev_i32_e32 v165, 31, v164
	s_delay_alu instid0(VALU_DEP_1) | instskip(NEXT) | instid1(VALU_DEP_1)
	v_lshlrev_b64 v[171:172], 2, v[164:165]
	v_add_co_u32 v171, vcc_lo, v162, v171
	s_delay_alu instid0(VALU_DEP_2)
	v_add_co_ci_u32_e32 v172, vcc_lo, v163, v172, vcc_lo
	s_clause 0x1
	flat_load_b32 v165, v[171:172]
	flat_load_b32 v173, v[162:163] offset:36
	s_waitcnt vmcnt(1) lgkmcnt(1)
	flat_store_b32 v[162:163], v165 offset:36
	s_waitcnt vmcnt(0) lgkmcnt(1)
	flat_store_b32 v[171:172], v173
.LBB76_203:
	s_or_b32 exec_lo, exec_lo, s6
	v_mov_b32_e32 v172, v164
	v_mov_b32_e32 v171, v164
.LBB76_204:
	s_or_b32 exec_lo, exec_lo, s3
.LBB76_205:
	s_and_not1_saveexec_b32 s2, s2
	s_cbranch_execz .LBB76_207
; %bb.206:
	v_mov_b32_e32 v172, 9
	ds_store_2addr_b64 v166, v[120:121], v[122:123] offset0:20 offset1:21
	ds_store_2addr_b64 v166, v[116:117], v[118:119] offset0:22 offset1:23
	;; [unrolled: 1-line block ×29, first 2 shown]
.LBB76_207:
	s_or_b32 exec_lo, exec_lo, s2
	s_delay_alu instid0(SALU_CYCLE_1)
	s_mov_b32 s2, exec_lo
	s_waitcnt lgkmcnt(0)
	s_waitcnt_vscnt null, 0x0
	s_barrier
	buffer_gl0_inv
	v_cmpx_lt_i32_e32 9, v172
	s_cbranch_execz .LBB76_209
; %bb.208:
	v_mul_f64 v[164:165], v[158:159], v[126:127]
	v_mul_f64 v[126:127], v[156:157], v[126:127]
	s_delay_alu instid0(VALU_DEP_2) | instskip(NEXT) | instid1(VALU_DEP_2)
	v_fma_f64 v[164:165], v[156:157], v[124:125], -v[164:165]
	v_fma_f64 v[126:127], v[158:159], v[124:125], v[126:127]
	ds_load_2addr_b64 v[156:159], v166 offset0:20 offset1:21
	s_waitcnt lgkmcnt(0)
	v_mul_f64 v[124:125], v[158:159], v[126:127]
	s_delay_alu instid0(VALU_DEP_1) | instskip(SKIP_1) | instid1(VALU_DEP_2)
	v_fma_f64 v[124:125], v[156:157], v[164:165], -v[124:125]
	v_mul_f64 v[156:157], v[156:157], v[126:127]
	v_add_f64 v[120:121], v[120:121], -v[124:125]
	s_delay_alu instid0(VALU_DEP_2) | instskip(NEXT) | instid1(VALU_DEP_1)
	v_fma_f64 v[156:157], v[158:159], v[164:165], v[156:157]
	v_add_f64 v[122:123], v[122:123], -v[156:157]
	ds_load_2addr_b64 v[156:159], v166 offset0:22 offset1:23
	s_waitcnt lgkmcnt(0)
	v_mul_f64 v[124:125], v[158:159], v[126:127]
	s_delay_alu instid0(VALU_DEP_1) | instskip(SKIP_1) | instid1(VALU_DEP_2)
	v_fma_f64 v[124:125], v[156:157], v[164:165], -v[124:125]
	v_mul_f64 v[156:157], v[156:157], v[126:127]
	v_add_f64 v[116:117], v[116:117], -v[124:125]
	s_delay_alu instid0(VALU_DEP_2) | instskip(NEXT) | instid1(VALU_DEP_1)
	v_fma_f64 v[156:157], v[158:159], v[164:165], v[156:157]
	v_add_f64 v[118:119], v[118:119], -v[156:157]
	ds_load_2addr_b64 v[156:159], v166 offset0:24 offset1:25
	s_waitcnt lgkmcnt(0)
	v_mul_f64 v[124:125], v[158:159], v[126:127]
	s_delay_alu instid0(VALU_DEP_1) | instskip(SKIP_1) | instid1(VALU_DEP_2)
	v_fma_f64 v[124:125], v[156:157], v[164:165], -v[124:125]
	v_mul_f64 v[156:157], v[156:157], v[126:127]
	v_add_f64 v[112:113], v[112:113], -v[124:125]
	s_delay_alu instid0(VALU_DEP_2) | instskip(NEXT) | instid1(VALU_DEP_1)
	v_fma_f64 v[156:157], v[158:159], v[164:165], v[156:157]
	v_add_f64 v[114:115], v[114:115], -v[156:157]
	ds_load_2addr_b64 v[156:159], v166 offset0:26 offset1:27
	s_waitcnt lgkmcnt(0)
	v_mul_f64 v[124:125], v[158:159], v[126:127]
	s_delay_alu instid0(VALU_DEP_1) | instskip(SKIP_1) | instid1(VALU_DEP_2)
	v_fma_f64 v[124:125], v[156:157], v[164:165], -v[124:125]
	v_mul_f64 v[156:157], v[156:157], v[126:127]
	v_add_f64 v[108:109], v[108:109], -v[124:125]
	s_delay_alu instid0(VALU_DEP_2) | instskip(NEXT) | instid1(VALU_DEP_1)
	v_fma_f64 v[156:157], v[158:159], v[164:165], v[156:157]
	v_add_f64 v[110:111], v[110:111], -v[156:157]
	ds_load_2addr_b64 v[156:159], v166 offset0:28 offset1:29
	s_waitcnt lgkmcnt(0)
	v_mul_f64 v[124:125], v[158:159], v[126:127]
	s_delay_alu instid0(VALU_DEP_1) | instskip(SKIP_1) | instid1(VALU_DEP_2)
	v_fma_f64 v[124:125], v[156:157], v[164:165], -v[124:125]
	v_mul_f64 v[156:157], v[156:157], v[126:127]
	v_add_f64 v[104:105], v[104:105], -v[124:125]
	s_delay_alu instid0(VALU_DEP_2) | instskip(NEXT) | instid1(VALU_DEP_1)
	v_fma_f64 v[156:157], v[158:159], v[164:165], v[156:157]
	v_add_f64 v[106:107], v[106:107], -v[156:157]
	ds_load_2addr_b64 v[156:159], v166 offset0:30 offset1:31
	s_waitcnt lgkmcnt(0)
	v_mul_f64 v[124:125], v[158:159], v[126:127]
	s_delay_alu instid0(VALU_DEP_1) | instskip(SKIP_1) | instid1(VALU_DEP_2)
	v_fma_f64 v[124:125], v[156:157], v[164:165], -v[124:125]
	v_mul_f64 v[156:157], v[156:157], v[126:127]
	v_add_f64 v[100:101], v[100:101], -v[124:125]
	s_delay_alu instid0(VALU_DEP_2) | instskip(NEXT) | instid1(VALU_DEP_1)
	v_fma_f64 v[156:157], v[158:159], v[164:165], v[156:157]
	v_add_f64 v[102:103], v[102:103], -v[156:157]
	ds_load_2addr_b64 v[156:159], v166 offset0:32 offset1:33
	s_waitcnt lgkmcnt(0)
	v_mul_f64 v[124:125], v[158:159], v[126:127]
	s_delay_alu instid0(VALU_DEP_1) | instskip(SKIP_1) | instid1(VALU_DEP_2)
	v_fma_f64 v[124:125], v[156:157], v[164:165], -v[124:125]
	v_mul_f64 v[156:157], v[156:157], v[126:127]
	v_add_f64 v[96:97], v[96:97], -v[124:125]
	s_delay_alu instid0(VALU_DEP_2) | instskip(NEXT) | instid1(VALU_DEP_1)
	v_fma_f64 v[156:157], v[158:159], v[164:165], v[156:157]
	v_add_f64 v[98:99], v[98:99], -v[156:157]
	ds_load_2addr_b64 v[156:159], v166 offset0:34 offset1:35
	s_waitcnt lgkmcnt(0)
	v_mul_f64 v[124:125], v[158:159], v[126:127]
	s_delay_alu instid0(VALU_DEP_1) | instskip(SKIP_1) | instid1(VALU_DEP_2)
	v_fma_f64 v[124:125], v[156:157], v[164:165], -v[124:125]
	v_mul_f64 v[156:157], v[156:157], v[126:127]
	v_add_f64 v[92:93], v[92:93], -v[124:125]
	s_delay_alu instid0(VALU_DEP_2) | instskip(NEXT) | instid1(VALU_DEP_1)
	v_fma_f64 v[156:157], v[158:159], v[164:165], v[156:157]
	v_add_f64 v[94:95], v[94:95], -v[156:157]
	ds_load_2addr_b64 v[156:159], v166 offset0:36 offset1:37
	s_waitcnt lgkmcnt(0)
	v_mul_f64 v[124:125], v[158:159], v[126:127]
	s_delay_alu instid0(VALU_DEP_1) | instskip(SKIP_1) | instid1(VALU_DEP_2)
	v_fma_f64 v[124:125], v[156:157], v[164:165], -v[124:125]
	v_mul_f64 v[156:157], v[156:157], v[126:127]
	v_add_f64 v[88:89], v[88:89], -v[124:125]
	s_delay_alu instid0(VALU_DEP_2) | instskip(NEXT) | instid1(VALU_DEP_1)
	v_fma_f64 v[156:157], v[158:159], v[164:165], v[156:157]
	v_add_f64 v[90:91], v[90:91], -v[156:157]
	ds_load_2addr_b64 v[156:159], v166 offset0:38 offset1:39
	s_waitcnt lgkmcnt(0)
	v_mul_f64 v[124:125], v[158:159], v[126:127]
	s_delay_alu instid0(VALU_DEP_1) | instskip(SKIP_1) | instid1(VALU_DEP_2)
	v_fma_f64 v[124:125], v[156:157], v[164:165], -v[124:125]
	v_mul_f64 v[156:157], v[156:157], v[126:127]
	v_add_f64 v[84:85], v[84:85], -v[124:125]
	s_delay_alu instid0(VALU_DEP_2) | instskip(NEXT) | instid1(VALU_DEP_1)
	v_fma_f64 v[156:157], v[158:159], v[164:165], v[156:157]
	v_add_f64 v[86:87], v[86:87], -v[156:157]
	ds_load_2addr_b64 v[156:159], v166 offset0:40 offset1:41
	s_waitcnt lgkmcnt(0)
	v_mul_f64 v[124:125], v[158:159], v[126:127]
	s_delay_alu instid0(VALU_DEP_1) | instskip(SKIP_1) | instid1(VALU_DEP_2)
	v_fma_f64 v[124:125], v[156:157], v[164:165], -v[124:125]
	v_mul_f64 v[156:157], v[156:157], v[126:127]
	v_add_f64 v[80:81], v[80:81], -v[124:125]
	s_delay_alu instid0(VALU_DEP_2) | instskip(NEXT) | instid1(VALU_DEP_1)
	v_fma_f64 v[156:157], v[158:159], v[164:165], v[156:157]
	v_add_f64 v[82:83], v[82:83], -v[156:157]
	ds_load_2addr_b64 v[156:159], v166 offset0:42 offset1:43
	s_waitcnt lgkmcnt(0)
	v_mul_f64 v[124:125], v[158:159], v[126:127]
	s_delay_alu instid0(VALU_DEP_1) | instskip(SKIP_1) | instid1(VALU_DEP_2)
	v_fma_f64 v[124:125], v[156:157], v[164:165], -v[124:125]
	v_mul_f64 v[156:157], v[156:157], v[126:127]
	v_add_f64 v[76:77], v[76:77], -v[124:125]
	s_delay_alu instid0(VALU_DEP_2) | instskip(NEXT) | instid1(VALU_DEP_1)
	v_fma_f64 v[156:157], v[158:159], v[164:165], v[156:157]
	v_add_f64 v[78:79], v[78:79], -v[156:157]
	ds_load_2addr_b64 v[156:159], v166 offset0:44 offset1:45
	s_waitcnt lgkmcnt(0)
	v_mul_f64 v[124:125], v[158:159], v[126:127]
	s_delay_alu instid0(VALU_DEP_1) | instskip(SKIP_1) | instid1(VALU_DEP_2)
	v_fma_f64 v[124:125], v[156:157], v[164:165], -v[124:125]
	v_mul_f64 v[156:157], v[156:157], v[126:127]
	v_add_f64 v[72:73], v[72:73], -v[124:125]
	s_delay_alu instid0(VALU_DEP_2) | instskip(NEXT) | instid1(VALU_DEP_1)
	v_fma_f64 v[156:157], v[158:159], v[164:165], v[156:157]
	v_add_f64 v[74:75], v[74:75], -v[156:157]
	ds_load_2addr_b64 v[156:159], v166 offset0:46 offset1:47
	s_waitcnt lgkmcnt(0)
	v_mul_f64 v[124:125], v[158:159], v[126:127]
	s_delay_alu instid0(VALU_DEP_1) | instskip(SKIP_1) | instid1(VALU_DEP_2)
	v_fma_f64 v[124:125], v[156:157], v[164:165], -v[124:125]
	v_mul_f64 v[156:157], v[156:157], v[126:127]
	v_add_f64 v[68:69], v[68:69], -v[124:125]
	s_delay_alu instid0(VALU_DEP_2) | instskip(NEXT) | instid1(VALU_DEP_1)
	v_fma_f64 v[156:157], v[158:159], v[164:165], v[156:157]
	v_add_f64 v[70:71], v[70:71], -v[156:157]
	ds_load_2addr_b64 v[156:159], v166 offset0:48 offset1:49
	s_waitcnt lgkmcnt(0)
	v_mul_f64 v[124:125], v[158:159], v[126:127]
	s_delay_alu instid0(VALU_DEP_1) | instskip(SKIP_1) | instid1(VALU_DEP_2)
	v_fma_f64 v[124:125], v[156:157], v[164:165], -v[124:125]
	v_mul_f64 v[156:157], v[156:157], v[126:127]
	v_add_f64 v[64:65], v[64:65], -v[124:125]
	s_delay_alu instid0(VALU_DEP_2) | instskip(NEXT) | instid1(VALU_DEP_1)
	v_fma_f64 v[156:157], v[158:159], v[164:165], v[156:157]
	v_add_f64 v[66:67], v[66:67], -v[156:157]
	ds_load_2addr_b64 v[156:159], v166 offset0:50 offset1:51
	s_waitcnt lgkmcnt(0)
	v_mul_f64 v[124:125], v[158:159], v[126:127]
	s_delay_alu instid0(VALU_DEP_1) | instskip(SKIP_1) | instid1(VALU_DEP_2)
	v_fma_f64 v[124:125], v[156:157], v[164:165], -v[124:125]
	v_mul_f64 v[156:157], v[156:157], v[126:127]
	v_add_f64 v[60:61], v[60:61], -v[124:125]
	s_delay_alu instid0(VALU_DEP_2) | instskip(NEXT) | instid1(VALU_DEP_1)
	v_fma_f64 v[156:157], v[158:159], v[164:165], v[156:157]
	v_add_f64 v[62:63], v[62:63], -v[156:157]
	ds_load_2addr_b64 v[156:159], v166 offset0:52 offset1:53
	s_waitcnt lgkmcnt(0)
	v_mul_f64 v[124:125], v[158:159], v[126:127]
	s_delay_alu instid0(VALU_DEP_1) | instskip(SKIP_1) | instid1(VALU_DEP_2)
	v_fma_f64 v[124:125], v[156:157], v[164:165], -v[124:125]
	v_mul_f64 v[156:157], v[156:157], v[126:127]
	v_add_f64 v[56:57], v[56:57], -v[124:125]
	s_delay_alu instid0(VALU_DEP_2) | instskip(NEXT) | instid1(VALU_DEP_1)
	v_fma_f64 v[156:157], v[158:159], v[164:165], v[156:157]
	v_add_f64 v[58:59], v[58:59], -v[156:157]
	ds_load_2addr_b64 v[156:159], v166 offset0:54 offset1:55
	s_waitcnt lgkmcnt(0)
	v_mul_f64 v[124:125], v[158:159], v[126:127]
	s_delay_alu instid0(VALU_DEP_1) | instskip(SKIP_1) | instid1(VALU_DEP_2)
	v_fma_f64 v[124:125], v[156:157], v[164:165], -v[124:125]
	v_mul_f64 v[156:157], v[156:157], v[126:127]
	v_add_f64 v[44:45], v[44:45], -v[124:125]
	s_delay_alu instid0(VALU_DEP_2) | instskip(NEXT) | instid1(VALU_DEP_1)
	v_fma_f64 v[156:157], v[158:159], v[164:165], v[156:157]
	v_add_f64 v[46:47], v[46:47], -v[156:157]
	ds_load_2addr_b64 v[156:159], v166 offset0:56 offset1:57
	s_waitcnt lgkmcnt(0)
	v_mul_f64 v[124:125], v[158:159], v[126:127]
	s_delay_alu instid0(VALU_DEP_1) | instskip(SKIP_1) | instid1(VALU_DEP_2)
	v_fma_f64 v[124:125], v[156:157], v[164:165], -v[124:125]
	v_mul_f64 v[156:157], v[156:157], v[126:127]
	v_add_f64 v[40:41], v[40:41], -v[124:125]
	s_delay_alu instid0(VALU_DEP_2) | instskip(NEXT) | instid1(VALU_DEP_1)
	v_fma_f64 v[156:157], v[158:159], v[164:165], v[156:157]
	v_add_f64 v[42:43], v[42:43], -v[156:157]
	ds_load_2addr_b64 v[156:159], v166 offset0:58 offset1:59
	s_waitcnt lgkmcnt(0)
	v_mul_f64 v[124:125], v[158:159], v[126:127]
	s_delay_alu instid0(VALU_DEP_1) | instskip(SKIP_1) | instid1(VALU_DEP_2)
	v_fma_f64 v[124:125], v[156:157], v[164:165], -v[124:125]
	v_mul_f64 v[156:157], v[156:157], v[126:127]
	v_add_f64 v[36:37], v[36:37], -v[124:125]
	s_delay_alu instid0(VALU_DEP_2) | instskip(NEXT) | instid1(VALU_DEP_1)
	v_fma_f64 v[156:157], v[158:159], v[164:165], v[156:157]
	v_add_f64 v[38:39], v[38:39], -v[156:157]
	ds_load_2addr_b64 v[156:159], v166 offset0:60 offset1:61
	s_waitcnt lgkmcnt(0)
	v_mul_f64 v[124:125], v[158:159], v[126:127]
	s_delay_alu instid0(VALU_DEP_1) | instskip(SKIP_1) | instid1(VALU_DEP_2)
	v_fma_f64 v[124:125], v[156:157], v[164:165], -v[124:125]
	v_mul_f64 v[156:157], v[156:157], v[126:127]
	v_add_f64 v[32:33], v[32:33], -v[124:125]
	s_delay_alu instid0(VALU_DEP_2) | instskip(NEXT) | instid1(VALU_DEP_1)
	v_fma_f64 v[156:157], v[158:159], v[164:165], v[156:157]
	v_add_f64 v[34:35], v[34:35], -v[156:157]
	ds_load_2addr_b64 v[156:159], v166 offset0:62 offset1:63
	s_waitcnt lgkmcnt(0)
	v_mul_f64 v[124:125], v[158:159], v[126:127]
	s_delay_alu instid0(VALU_DEP_1) | instskip(SKIP_1) | instid1(VALU_DEP_2)
	v_fma_f64 v[124:125], v[156:157], v[164:165], -v[124:125]
	v_mul_f64 v[156:157], v[156:157], v[126:127]
	v_add_f64 v[28:29], v[28:29], -v[124:125]
	s_delay_alu instid0(VALU_DEP_2) | instskip(NEXT) | instid1(VALU_DEP_1)
	v_fma_f64 v[156:157], v[158:159], v[164:165], v[156:157]
	v_add_f64 v[30:31], v[30:31], -v[156:157]
	ds_load_2addr_b64 v[156:159], v166 offset0:64 offset1:65
	s_waitcnt lgkmcnt(0)
	v_mul_f64 v[124:125], v[158:159], v[126:127]
	s_delay_alu instid0(VALU_DEP_1) | instskip(SKIP_1) | instid1(VALU_DEP_2)
	v_fma_f64 v[124:125], v[156:157], v[164:165], -v[124:125]
	v_mul_f64 v[156:157], v[156:157], v[126:127]
	v_add_f64 v[24:25], v[24:25], -v[124:125]
	s_delay_alu instid0(VALU_DEP_2) | instskip(NEXT) | instid1(VALU_DEP_1)
	v_fma_f64 v[156:157], v[158:159], v[164:165], v[156:157]
	v_add_f64 v[26:27], v[26:27], -v[156:157]
	ds_load_2addr_b64 v[156:159], v166 offset0:66 offset1:67
	s_waitcnt lgkmcnt(0)
	v_mul_f64 v[124:125], v[158:159], v[126:127]
	s_delay_alu instid0(VALU_DEP_1) | instskip(SKIP_1) | instid1(VALU_DEP_2)
	v_fma_f64 v[124:125], v[156:157], v[164:165], -v[124:125]
	v_mul_f64 v[156:157], v[156:157], v[126:127]
	v_add_f64 v[20:21], v[20:21], -v[124:125]
	s_delay_alu instid0(VALU_DEP_2) | instskip(NEXT) | instid1(VALU_DEP_1)
	v_fma_f64 v[156:157], v[158:159], v[164:165], v[156:157]
	v_add_f64 v[22:23], v[22:23], -v[156:157]
	ds_load_2addr_b64 v[156:159], v166 offset0:68 offset1:69
	s_waitcnt lgkmcnt(0)
	v_mul_f64 v[124:125], v[158:159], v[126:127]
	s_delay_alu instid0(VALU_DEP_1) | instskip(SKIP_1) | instid1(VALU_DEP_2)
	v_fma_f64 v[124:125], v[156:157], v[164:165], -v[124:125]
	v_mul_f64 v[156:157], v[156:157], v[126:127]
	v_add_f64 v[16:17], v[16:17], -v[124:125]
	s_delay_alu instid0(VALU_DEP_2) | instskip(NEXT) | instid1(VALU_DEP_1)
	v_fma_f64 v[156:157], v[158:159], v[164:165], v[156:157]
	v_add_f64 v[18:19], v[18:19], -v[156:157]
	ds_load_2addr_b64 v[156:159], v166 offset0:70 offset1:71
	s_waitcnt lgkmcnt(0)
	v_mul_f64 v[124:125], v[158:159], v[126:127]
	s_delay_alu instid0(VALU_DEP_1) | instskip(SKIP_1) | instid1(VALU_DEP_2)
	v_fma_f64 v[124:125], v[156:157], v[164:165], -v[124:125]
	v_mul_f64 v[156:157], v[156:157], v[126:127]
	v_add_f64 v[12:13], v[12:13], -v[124:125]
	s_delay_alu instid0(VALU_DEP_2) | instskip(NEXT) | instid1(VALU_DEP_1)
	v_fma_f64 v[156:157], v[158:159], v[164:165], v[156:157]
	v_add_f64 v[14:15], v[14:15], -v[156:157]
	ds_load_2addr_b64 v[156:159], v166 offset0:72 offset1:73
	s_waitcnt lgkmcnt(0)
	v_mul_f64 v[124:125], v[158:159], v[126:127]
	s_delay_alu instid0(VALU_DEP_1) | instskip(SKIP_1) | instid1(VALU_DEP_2)
	v_fma_f64 v[124:125], v[156:157], v[164:165], -v[124:125]
	v_mul_f64 v[156:157], v[156:157], v[126:127]
	v_add_f64 v[8:9], v[8:9], -v[124:125]
	s_delay_alu instid0(VALU_DEP_2) | instskip(NEXT) | instid1(VALU_DEP_1)
	v_fma_f64 v[156:157], v[158:159], v[164:165], v[156:157]
	v_add_f64 v[10:11], v[10:11], -v[156:157]
	ds_load_2addr_b64 v[156:159], v166 offset0:74 offset1:75
	s_waitcnt lgkmcnt(0)
	v_mul_f64 v[124:125], v[158:159], v[126:127]
	s_delay_alu instid0(VALU_DEP_1) | instskip(SKIP_1) | instid1(VALU_DEP_2)
	v_fma_f64 v[124:125], v[156:157], v[164:165], -v[124:125]
	v_mul_f64 v[156:157], v[156:157], v[126:127]
	v_add_f64 v[4:5], v[4:5], -v[124:125]
	s_delay_alu instid0(VALU_DEP_2) | instskip(NEXT) | instid1(VALU_DEP_1)
	v_fma_f64 v[156:157], v[158:159], v[164:165], v[156:157]
	v_add_f64 v[6:7], v[6:7], -v[156:157]
	ds_load_2addr_b64 v[156:159], v166 offset0:76 offset1:77
	s_waitcnt lgkmcnt(0)
	v_mul_f64 v[124:125], v[158:159], v[126:127]
	s_delay_alu instid0(VALU_DEP_1) | instskip(SKIP_1) | instid1(VALU_DEP_2)
	v_fma_f64 v[124:125], v[156:157], v[164:165], -v[124:125]
	v_mul_f64 v[156:157], v[156:157], v[126:127]
	v_add_f64 v[0:1], v[0:1], -v[124:125]
	s_delay_alu instid0(VALU_DEP_2) | instskip(SKIP_1) | instid1(VALU_DEP_2)
	v_fma_f64 v[156:157], v[158:159], v[164:165], v[156:157]
	v_dual_mov_b32 v124, v164 :: v_dual_mov_b32 v125, v165
	v_add_f64 v[2:3], v[2:3], -v[156:157]
.LBB76_209:
	s_or_b32 exec_lo, exec_lo, s2
	v_lshl_add_u32 v156, v172, 4, v166
	s_barrier
	buffer_gl0_inv
	v_mov_b32_e32 v164, 10
	ds_store_2addr_b64 v156, v[120:121], v[122:123] offset1:1
	s_waitcnt lgkmcnt(0)
	s_barrier
	buffer_gl0_inv
	ds_load_2addr_b64 v[156:159], v166 offset0:20 offset1:21
	s_cmp_lt_i32 s5, 12
	s_cbranch_scc1 .LBB76_212
; %bb.210:
	v_add3_u32 v165, v170, 0, 0xb0
	v_mov_b32_e32 v164, 10
	s_mov_b32 s6, 11
	s_set_inst_prefetch_distance 0x1
	.p2align	6
.LBB76_211:                             ; =>This Inner Loop Header: Depth=1
	ds_load_2addr_b64 v[173:176], v165 offset1:1
	s_waitcnt lgkmcnt(1)
	v_cmp_gt_f64_e32 vcc_lo, 0, v[156:157]
	v_xor_b32_e32 v177, 0x80000000, v157
	v_cmp_gt_f64_e64 s2, 0, v[158:159]
	v_xor_b32_e32 v179, 0x80000000, v159
	v_add_nc_u32_e32 v165, 16, v165
	s_waitcnt lgkmcnt(0)
	v_cmp_gt_f64_e64 s3, 0, v[173:174]
	v_mov_b32_e32 v181, v173
	v_dual_mov_b32 v183, v175 :: v_dual_cndmask_b32 v178, v157, v177
	v_xor_b32_e32 v177, 0x80000000, v174
	v_cndmask_b32_e64 v180, v159, v179, s2
	v_xor_b32_e32 v179, 0x80000000, v176
	s_delay_alu instid0(VALU_DEP_3) | instskip(SKIP_2) | instid1(VALU_DEP_2)
	v_cndmask_b32_e64 v182, v174, v177, s3
	v_cmp_gt_f64_e64 s3, 0, v[175:176]
	v_cndmask_b32_e32 v177, v156, v156, vcc_lo
	v_cndmask_b32_e64 v184, v176, v179, s3
	v_cndmask_b32_e64 v179, v158, v158, s2
	s_delay_alu instid0(VALU_DEP_2) | instskip(NEXT) | instid1(VALU_DEP_2)
	v_add_f64 v[181:182], v[181:182], v[183:184]
	v_add_f64 v[177:178], v[177:178], v[179:180]
	s_delay_alu instid0(VALU_DEP_1) | instskip(SKIP_4) | instid1(SALU_CYCLE_1)
	v_cmp_lt_f64_e32 vcc_lo, v[177:178], v[181:182]
	v_dual_cndmask_b32 v158, v158, v175 :: v_dual_cndmask_b32 v157, v157, v174
	v_dual_cndmask_b32 v156, v156, v173 :: v_dual_cndmask_b32 v159, v159, v176
	v_cndmask_b32_e64 v164, v164, s6, vcc_lo
	s_add_i32 s6, s6, 1
	s_cmp_lg_u32 s5, s6
	s_cbranch_scc1 .LBB76_211
.LBB76_212:
	s_set_inst_prefetch_distance 0x2
	s_waitcnt lgkmcnt(0)
	v_cmp_eq_f64_e32 vcc_lo, 0, v[156:157]
	v_cmp_eq_f64_e64 s2, 0, v[158:159]
	s_delay_alu instid0(VALU_DEP_1) | instskip(NEXT) | instid1(SALU_CYCLE_1)
	s_and_b32 s2, vcc_lo, s2
	s_and_saveexec_b32 s3, s2
	s_delay_alu instid0(SALU_CYCLE_1)
	s_xor_b32 s2, exec_lo, s3
; %bb.213:
	v_cmp_ne_u32_e32 vcc_lo, 0, v169
	v_cndmask_b32_e32 v169, 11, v169, vcc_lo
; %bb.214:
	s_and_not1_saveexec_b32 s3, s2
	s_cbranch_execz .LBB76_220
; %bb.215:
	v_cmp_gt_f64_e32 vcc_lo, 0, v[156:157]
	v_cmp_gt_f64_e64 s2, 0, v[158:159]
	v_xor_b32_e32 v165, 0x80000000, v157
	v_xor_b32_e32 v173, 0x80000000, v159
	s_delay_alu instid0(VALU_DEP_2) | instskip(NEXT) | instid1(VALU_DEP_2)
	v_cndmask_b32_e32 v174, v157, v165, vcc_lo
	v_cndmask_b32_e64 v176, v159, v173, s2
	v_cndmask_b32_e32 v173, v156, v156, vcc_lo
	v_cndmask_b32_e64 v175, v158, v158, s2
	s_mov_b32 s2, exec_lo
	s_delay_alu instid0(VALU_DEP_1)
	v_cmpx_ngt_f64_e32 v[173:174], v[175:176]
	s_xor_b32 s2, exec_lo, s2
	s_cbranch_execz .LBB76_217
; %bb.216:
	v_div_scale_f64 v[173:174], null, v[158:159], v[158:159], v[156:157]
	v_div_scale_f64 v[179:180], vcc_lo, v[156:157], v[158:159], v[156:157]
	s_delay_alu instid0(VALU_DEP_2) | instskip(SKIP_2) | instid1(VALU_DEP_1)
	v_rcp_f64_e32 v[175:176], v[173:174]
	s_waitcnt_depctr 0xfff
	v_fma_f64 v[177:178], -v[173:174], v[175:176], 1.0
	v_fma_f64 v[175:176], v[175:176], v[177:178], v[175:176]
	s_delay_alu instid0(VALU_DEP_1) | instskip(NEXT) | instid1(VALU_DEP_1)
	v_fma_f64 v[177:178], -v[173:174], v[175:176], 1.0
	v_fma_f64 v[175:176], v[175:176], v[177:178], v[175:176]
	s_delay_alu instid0(VALU_DEP_1) | instskip(NEXT) | instid1(VALU_DEP_1)
	v_mul_f64 v[177:178], v[179:180], v[175:176]
	v_fma_f64 v[173:174], -v[173:174], v[177:178], v[179:180]
	s_delay_alu instid0(VALU_DEP_1) | instskip(NEXT) | instid1(VALU_DEP_1)
	v_div_fmas_f64 v[173:174], v[173:174], v[175:176], v[177:178]
	v_div_fixup_f64 v[173:174], v[173:174], v[158:159], v[156:157]
	s_delay_alu instid0(VALU_DEP_1) | instskip(NEXT) | instid1(VALU_DEP_1)
	v_fma_f64 v[156:157], v[156:157], v[173:174], v[158:159]
	v_div_scale_f64 v[158:159], null, v[156:157], v[156:157], 1.0
	s_delay_alu instid0(VALU_DEP_1) | instskip(SKIP_2) | instid1(VALU_DEP_1)
	v_rcp_f64_e32 v[175:176], v[158:159]
	s_waitcnt_depctr 0xfff
	v_fma_f64 v[177:178], -v[158:159], v[175:176], 1.0
	v_fma_f64 v[175:176], v[175:176], v[177:178], v[175:176]
	s_delay_alu instid0(VALU_DEP_1) | instskip(NEXT) | instid1(VALU_DEP_1)
	v_fma_f64 v[177:178], -v[158:159], v[175:176], 1.0
	v_fma_f64 v[175:176], v[175:176], v[177:178], v[175:176]
	v_div_scale_f64 v[177:178], vcc_lo, 1.0, v[156:157], 1.0
	s_delay_alu instid0(VALU_DEP_1) | instskip(NEXT) | instid1(VALU_DEP_1)
	v_mul_f64 v[179:180], v[177:178], v[175:176]
	v_fma_f64 v[158:159], -v[158:159], v[179:180], v[177:178]
	s_delay_alu instid0(VALU_DEP_1) | instskip(NEXT) | instid1(VALU_DEP_1)
	v_div_fmas_f64 v[158:159], v[158:159], v[175:176], v[179:180]
	v_div_fixup_f64 v[158:159], v[158:159], v[156:157], 1.0
	s_delay_alu instid0(VALU_DEP_1)
	v_mul_f64 v[156:157], v[173:174], v[158:159]
	v_xor_b32_e32 v159, 0x80000000, v159
.LBB76_217:
	s_and_not1_saveexec_b32 s2, s2
	s_cbranch_execz .LBB76_219
; %bb.218:
	s_delay_alu instid0(VALU_DEP_1) | instskip(SKIP_1) | instid1(VALU_DEP_2)
	v_div_scale_f64 v[173:174], null, v[156:157], v[156:157], v[158:159]
	v_div_scale_f64 v[179:180], vcc_lo, v[158:159], v[156:157], v[158:159]
	v_rcp_f64_e32 v[175:176], v[173:174]
	s_waitcnt_depctr 0xfff
	v_fma_f64 v[177:178], -v[173:174], v[175:176], 1.0
	s_delay_alu instid0(VALU_DEP_1) | instskip(NEXT) | instid1(VALU_DEP_1)
	v_fma_f64 v[175:176], v[175:176], v[177:178], v[175:176]
	v_fma_f64 v[177:178], -v[173:174], v[175:176], 1.0
	s_delay_alu instid0(VALU_DEP_1) | instskip(NEXT) | instid1(VALU_DEP_1)
	v_fma_f64 v[175:176], v[175:176], v[177:178], v[175:176]
	v_mul_f64 v[177:178], v[179:180], v[175:176]
	s_delay_alu instid0(VALU_DEP_1) | instskip(NEXT) | instid1(VALU_DEP_1)
	v_fma_f64 v[173:174], -v[173:174], v[177:178], v[179:180]
	v_div_fmas_f64 v[173:174], v[173:174], v[175:176], v[177:178]
	s_delay_alu instid0(VALU_DEP_1) | instskip(NEXT) | instid1(VALU_DEP_1)
	v_div_fixup_f64 v[173:174], v[173:174], v[156:157], v[158:159]
	v_fma_f64 v[156:157], v[158:159], v[173:174], v[156:157]
	s_delay_alu instid0(VALU_DEP_1) | instskip(NEXT) | instid1(VALU_DEP_1)
	v_div_scale_f64 v[158:159], null, v[156:157], v[156:157], 1.0
	v_rcp_f64_e32 v[175:176], v[158:159]
	s_waitcnt_depctr 0xfff
	v_fma_f64 v[177:178], -v[158:159], v[175:176], 1.0
	s_delay_alu instid0(VALU_DEP_1) | instskip(NEXT) | instid1(VALU_DEP_1)
	v_fma_f64 v[175:176], v[175:176], v[177:178], v[175:176]
	v_fma_f64 v[177:178], -v[158:159], v[175:176], 1.0
	s_delay_alu instid0(VALU_DEP_1) | instskip(SKIP_1) | instid1(VALU_DEP_1)
	v_fma_f64 v[175:176], v[175:176], v[177:178], v[175:176]
	v_div_scale_f64 v[177:178], vcc_lo, 1.0, v[156:157], 1.0
	v_mul_f64 v[179:180], v[177:178], v[175:176]
	s_delay_alu instid0(VALU_DEP_1) | instskip(NEXT) | instid1(VALU_DEP_1)
	v_fma_f64 v[158:159], -v[158:159], v[179:180], v[177:178]
	v_div_fmas_f64 v[158:159], v[158:159], v[175:176], v[179:180]
	s_delay_alu instid0(VALU_DEP_1) | instskip(NEXT) | instid1(VALU_DEP_1)
	v_div_fixup_f64 v[156:157], v[158:159], v[156:157], 1.0
	v_mul_f64 v[158:159], v[173:174], -v[156:157]
.LBB76_219:
	s_or_b32 exec_lo, exec_lo, s2
.LBB76_220:
	s_delay_alu instid0(SALU_CYCLE_1) | instskip(NEXT) | instid1(SALU_CYCLE_1)
	s_or_b32 exec_lo, exec_lo, s3
	s_mov_b32 s2, exec_lo
	v_cmpx_ne_u32_e64 v172, v164
	s_xor_b32 s2, exec_lo, s2
	s_cbranch_execz .LBB76_226
; %bb.221:
	s_mov_b32 s3, exec_lo
	v_cmpx_eq_u32_e32 10, v172
	s_cbranch_execz .LBB76_225
; %bb.222:
	v_cmp_ne_u32_e32 vcc_lo, 10, v164
	s_xor_b32 s6, s4, -1
	s_delay_alu instid0(SALU_CYCLE_1) | instskip(NEXT) | instid1(SALU_CYCLE_1)
	s_and_b32 s7, s6, vcc_lo
	s_and_saveexec_b32 s6, s7
	s_cbranch_execz .LBB76_224
; %bb.223:
	v_ashrrev_i32_e32 v165, 31, v164
	s_delay_alu instid0(VALU_DEP_1) | instskip(NEXT) | instid1(VALU_DEP_1)
	v_lshlrev_b64 v[171:172], 2, v[164:165]
	v_add_co_u32 v171, vcc_lo, v162, v171
	s_delay_alu instid0(VALU_DEP_2)
	v_add_co_ci_u32_e32 v172, vcc_lo, v163, v172, vcc_lo
	s_clause 0x1
	flat_load_b32 v165, v[171:172]
	flat_load_b32 v173, v[162:163] offset:40
	s_waitcnt vmcnt(1) lgkmcnt(1)
	flat_store_b32 v[162:163], v165 offset:40
	s_waitcnt vmcnt(0) lgkmcnt(1)
	flat_store_b32 v[171:172], v173
.LBB76_224:
	s_or_b32 exec_lo, exec_lo, s6
	v_mov_b32_e32 v172, v164
	v_mov_b32_e32 v171, v164
.LBB76_225:
	s_or_b32 exec_lo, exec_lo, s3
.LBB76_226:
	s_and_not1_saveexec_b32 s2, s2
	s_cbranch_execz .LBB76_228
; %bb.227:
	v_mov_b32_e32 v172, 10
	ds_store_2addr_b64 v166, v[116:117], v[118:119] offset0:22 offset1:23
	ds_store_2addr_b64 v166, v[112:113], v[114:115] offset0:24 offset1:25
	;; [unrolled: 1-line block ×28, first 2 shown]
.LBB76_228:
	s_or_b32 exec_lo, exec_lo, s2
	s_delay_alu instid0(SALU_CYCLE_1)
	s_mov_b32 s2, exec_lo
	s_waitcnt lgkmcnt(0)
	s_waitcnt_vscnt null, 0x0
	s_barrier
	buffer_gl0_inv
	v_cmpx_lt_i32_e32 10, v172
	s_cbranch_execz .LBB76_230
; %bb.229:
	v_mul_f64 v[164:165], v[158:159], v[122:123]
	v_mul_f64 v[122:123], v[156:157], v[122:123]
	s_delay_alu instid0(VALU_DEP_2) | instskip(NEXT) | instid1(VALU_DEP_2)
	v_fma_f64 v[164:165], v[156:157], v[120:121], -v[164:165]
	v_fma_f64 v[122:123], v[158:159], v[120:121], v[122:123]
	ds_load_2addr_b64 v[156:159], v166 offset0:22 offset1:23
	s_waitcnt lgkmcnt(0)
	v_mul_f64 v[120:121], v[158:159], v[122:123]
	s_delay_alu instid0(VALU_DEP_1) | instskip(SKIP_1) | instid1(VALU_DEP_2)
	v_fma_f64 v[120:121], v[156:157], v[164:165], -v[120:121]
	v_mul_f64 v[156:157], v[156:157], v[122:123]
	v_add_f64 v[116:117], v[116:117], -v[120:121]
	s_delay_alu instid0(VALU_DEP_2) | instskip(NEXT) | instid1(VALU_DEP_1)
	v_fma_f64 v[156:157], v[158:159], v[164:165], v[156:157]
	v_add_f64 v[118:119], v[118:119], -v[156:157]
	ds_load_2addr_b64 v[156:159], v166 offset0:24 offset1:25
	s_waitcnt lgkmcnt(0)
	v_mul_f64 v[120:121], v[158:159], v[122:123]
	s_delay_alu instid0(VALU_DEP_1) | instskip(SKIP_1) | instid1(VALU_DEP_2)
	v_fma_f64 v[120:121], v[156:157], v[164:165], -v[120:121]
	v_mul_f64 v[156:157], v[156:157], v[122:123]
	v_add_f64 v[112:113], v[112:113], -v[120:121]
	s_delay_alu instid0(VALU_DEP_2) | instskip(NEXT) | instid1(VALU_DEP_1)
	v_fma_f64 v[156:157], v[158:159], v[164:165], v[156:157]
	v_add_f64 v[114:115], v[114:115], -v[156:157]
	ds_load_2addr_b64 v[156:159], v166 offset0:26 offset1:27
	s_waitcnt lgkmcnt(0)
	v_mul_f64 v[120:121], v[158:159], v[122:123]
	s_delay_alu instid0(VALU_DEP_1) | instskip(SKIP_1) | instid1(VALU_DEP_2)
	v_fma_f64 v[120:121], v[156:157], v[164:165], -v[120:121]
	v_mul_f64 v[156:157], v[156:157], v[122:123]
	v_add_f64 v[108:109], v[108:109], -v[120:121]
	s_delay_alu instid0(VALU_DEP_2) | instskip(NEXT) | instid1(VALU_DEP_1)
	v_fma_f64 v[156:157], v[158:159], v[164:165], v[156:157]
	v_add_f64 v[110:111], v[110:111], -v[156:157]
	ds_load_2addr_b64 v[156:159], v166 offset0:28 offset1:29
	s_waitcnt lgkmcnt(0)
	v_mul_f64 v[120:121], v[158:159], v[122:123]
	s_delay_alu instid0(VALU_DEP_1) | instskip(SKIP_1) | instid1(VALU_DEP_2)
	v_fma_f64 v[120:121], v[156:157], v[164:165], -v[120:121]
	v_mul_f64 v[156:157], v[156:157], v[122:123]
	v_add_f64 v[104:105], v[104:105], -v[120:121]
	s_delay_alu instid0(VALU_DEP_2) | instskip(NEXT) | instid1(VALU_DEP_1)
	v_fma_f64 v[156:157], v[158:159], v[164:165], v[156:157]
	v_add_f64 v[106:107], v[106:107], -v[156:157]
	ds_load_2addr_b64 v[156:159], v166 offset0:30 offset1:31
	s_waitcnt lgkmcnt(0)
	v_mul_f64 v[120:121], v[158:159], v[122:123]
	s_delay_alu instid0(VALU_DEP_1) | instskip(SKIP_1) | instid1(VALU_DEP_2)
	v_fma_f64 v[120:121], v[156:157], v[164:165], -v[120:121]
	v_mul_f64 v[156:157], v[156:157], v[122:123]
	v_add_f64 v[100:101], v[100:101], -v[120:121]
	s_delay_alu instid0(VALU_DEP_2) | instskip(NEXT) | instid1(VALU_DEP_1)
	v_fma_f64 v[156:157], v[158:159], v[164:165], v[156:157]
	v_add_f64 v[102:103], v[102:103], -v[156:157]
	ds_load_2addr_b64 v[156:159], v166 offset0:32 offset1:33
	s_waitcnt lgkmcnt(0)
	v_mul_f64 v[120:121], v[158:159], v[122:123]
	s_delay_alu instid0(VALU_DEP_1) | instskip(SKIP_1) | instid1(VALU_DEP_2)
	v_fma_f64 v[120:121], v[156:157], v[164:165], -v[120:121]
	v_mul_f64 v[156:157], v[156:157], v[122:123]
	v_add_f64 v[96:97], v[96:97], -v[120:121]
	s_delay_alu instid0(VALU_DEP_2) | instskip(NEXT) | instid1(VALU_DEP_1)
	v_fma_f64 v[156:157], v[158:159], v[164:165], v[156:157]
	v_add_f64 v[98:99], v[98:99], -v[156:157]
	ds_load_2addr_b64 v[156:159], v166 offset0:34 offset1:35
	s_waitcnt lgkmcnt(0)
	v_mul_f64 v[120:121], v[158:159], v[122:123]
	s_delay_alu instid0(VALU_DEP_1) | instskip(SKIP_1) | instid1(VALU_DEP_2)
	v_fma_f64 v[120:121], v[156:157], v[164:165], -v[120:121]
	v_mul_f64 v[156:157], v[156:157], v[122:123]
	v_add_f64 v[92:93], v[92:93], -v[120:121]
	s_delay_alu instid0(VALU_DEP_2) | instskip(NEXT) | instid1(VALU_DEP_1)
	v_fma_f64 v[156:157], v[158:159], v[164:165], v[156:157]
	v_add_f64 v[94:95], v[94:95], -v[156:157]
	ds_load_2addr_b64 v[156:159], v166 offset0:36 offset1:37
	s_waitcnt lgkmcnt(0)
	v_mul_f64 v[120:121], v[158:159], v[122:123]
	s_delay_alu instid0(VALU_DEP_1) | instskip(SKIP_1) | instid1(VALU_DEP_2)
	v_fma_f64 v[120:121], v[156:157], v[164:165], -v[120:121]
	v_mul_f64 v[156:157], v[156:157], v[122:123]
	v_add_f64 v[88:89], v[88:89], -v[120:121]
	s_delay_alu instid0(VALU_DEP_2) | instskip(NEXT) | instid1(VALU_DEP_1)
	v_fma_f64 v[156:157], v[158:159], v[164:165], v[156:157]
	v_add_f64 v[90:91], v[90:91], -v[156:157]
	ds_load_2addr_b64 v[156:159], v166 offset0:38 offset1:39
	s_waitcnt lgkmcnt(0)
	v_mul_f64 v[120:121], v[158:159], v[122:123]
	s_delay_alu instid0(VALU_DEP_1) | instskip(SKIP_1) | instid1(VALU_DEP_2)
	v_fma_f64 v[120:121], v[156:157], v[164:165], -v[120:121]
	v_mul_f64 v[156:157], v[156:157], v[122:123]
	v_add_f64 v[84:85], v[84:85], -v[120:121]
	s_delay_alu instid0(VALU_DEP_2) | instskip(NEXT) | instid1(VALU_DEP_1)
	v_fma_f64 v[156:157], v[158:159], v[164:165], v[156:157]
	v_add_f64 v[86:87], v[86:87], -v[156:157]
	ds_load_2addr_b64 v[156:159], v166 offset0:40 offset1:41
	s_waitcnt lgkmcnt(0)
	v_mul_f64 v[120:121], v[158:159], v[122:123]
	s_delay_alu instid0(VALU_DEP_1) | instskip(SKIP_1) | instid1(VALU_DEP_2)
	v_fma_f64 v[120:121], v[156:157], v[164:165], -v[120:121]
	v_mul_f64 v[156:157], v[156:157], v[122:123]
	v_add_f64 v[80:81], v[80:81], -v[120:121]
	s_delay_alu instid0(VALU_DEP_2) | instskip(NEXT) | instid1(VALU_DEP_1)
	v_fma_f64 v[156:157], v[158:159], v[164:165], v[156:157]
	v_add_f64 v[82:83], v[82:83], -v[156:157]
	ds_load_2addr_b64 v[156:159], v166 offset0:42 offset1:43
	s_waitcnt lgkmcnt(0)
	v_mul_f64 v[120:121], v[158:159], v[122:123]
	s_delay_alu instid0(VALU_DEP_1) | instskip(SKIP_1) | instid1(VALU_DEP_2)
	v_fma_f64 v[120:121], v[156:157], v[164:165], -v[120:121]
	v_mul_f64 v[156:157], v[156:157], v[122:123]
	v_add_f64 v[76:77], v[76:77], -v[120:121]
	s_delay_alu instid0(VALU_DEP_2) | instskip(NEXT) | instid1(VALU_DEP_1)
	v_fma_f64 v[156:157], v[158:159], v[164:165], v[156:157]
	v_add_f64 v[78:79], v[78:79], -v[156:157]
	ds_load_2addr_b64 v[156:159], v166 offset0:44 offset1:45
	s_waitcnt lgkmcnt(0)
	v_mul_f64 v[120:121], v[158:159], v[122:123]
	s_delay_alu instid0(VALU_DEP_1) | instskip(SKIP_1) | instid1(VALU_DEP_2)
	v_fma_f64 v[120:121], v[156:157], v[164:165], -v[120:121]
	v_mul_f64 v[156:157], v[156:157], v[122:123]
	v_add_f64 v[72:73], v[72:73], -v[120:121]
	s_delay_alu instid0(VALU_DEP_2) | instskip(NEXT) | instid1(VALU_DEP_1)
	v_fma_f64 v[156:157], v[158:159], v[164:165], v[156:157]
	v_add_f64 v[74:75], v[74:75], -v[156:157]
	ds_load_2addr_b64 v[156:159], v166 offset0:46 offset1:47
	s_waitcnt lgkmcnt(0)
	v_mul_f64 v[120:121], v[158:159], v[122:123]
	s_delay_alu instid0(VALU_DEP_1) | instskip(SKIP_1) | instid1(VALU_DEP_2)
	v_fma_f64 v[120:121], v[156:157], v[164:165], -v[120:121]
	v_mul_f64 v[156:157], v[156:157], v[122:123]
	v_add_f64 v[68:69], v[68:69], -v[120:121]
	s_delay_alu instid0(VALU_DEP_2) | instskip(NEXT) | instid1(VALU_DEP_1)
	v_fma_f64 v[156:157], v[158:159], v[164:165], v[156:157]
	v_add_f64 v[70:71], v[70:71], -v[156:157]
	ds_load_2addr_b64 v[156:159], v166 offset0:48 offset1:49
	s_waitcnt lgkmcnt(0)
	v_mul_f64 v[120:121], v[158:159], v[122:123]
	s_delay_alu instid0(VALU_DEP_1) | instskip(SKIP_1) | instid1(VALU_DEP_2)
	v_fma_f64 v[120:121], v[156:157], v[164:165], -v[120:121]
	v_mul_f64 v[156:157], v[156:157], v[122:123]
	v_add_f64 v[64:65], v[64:65], -v[120:121]
	s_delay_alu instid0(VALU_DEP_2) | instskip(NEXT) | instid1(VALU_DEP_1)
	v_fma_f64 v[156:157], v[158:159], v[164:165], v[156:157]
	v_add_f64 v[66:67], v[66:67], -v[156:157]
	ds_load_2addr_b64 v[156:159], v166 offset0:50 offset1:51
	s_waitcnt lgkmcnt(0)
	v_mul_f64 v[120:121], v[158:159], v[122:123]
	s_delay_alu instid0(VALU_DEP_1) | instskip(SKIP_1) | instid1(VALU_DEP_2)
	v_fma_f64 v[120:121], v[156:157], v[164:165], -v[120:121]
	v_mul_f64 v[156:157], v[156:157], v[122:123]
	v_add_f64 v[60:61], v[60:61], -v[120:121]
	s_delay_alu instid0(VALU_DEP_2) | instskip(NEXT) | instid1(VALU_DEP_1)
	v_fma_f64 v[156:157], v[158:159], v[164:165], v[156:157]
	v_add_f64 v[62:63], v[62:63], -v[156:157]
	ds_load_2addr_b64 v[156:159], v166 offset0:52 offset1:53
	s_waitcnt lgkmcnt(0)
	v_mul_f64 v[120:121], v[158:159], v[122:123]
	s_delay_alu instid0(VALU_DEP_1) | instskip(SKIP_1) | instid1(VALU_DEP_2)
	v_fma_f64 v[120:121], v[156:157], v[164:165], -v[120:121]
	v_mul_f64 v[156:157], v[156:157], v[122:123]
	v_add_f64 v[56:57], v[56:57], -v[120:121]
	s_delay_alu instid0(VALU_DEP_2) | instskip(NEXT) | instid1(VALU_DEP_1)
	v_fma_f64 v[156:157], v[158:159], v[164:165], v[156:157]
	v_add_f64 v[58:59], v[58:59], -v[156:157]
	ds_load_2addr_b64 v[156:159], v166 offset0:54 offset1:55
	s_waitcnt lgkmcnt(0)
	v_mul_f64 v[120:121], v[158:159], v[122:123]
	s_delay_alu instid0(VALU_DEP_1) | instskip(SKIP_1) | instid1(VALU_DEP_2)
	v_fma_f64 v[120:121], v[156:157], v[164:165], -v[120:121]
	v_mul_f64 v[156:157], v[156:157], v[122:123]
	v_add_f64 v[44:45], v[44:45], -v[120:121]
	s_delay_alu instid0(VALU_DEP_2) | instskip(NEXT) | instid1(VALU_DEP_1)
	v_fma_f64 v[156:157], v[158:159], v[164:165], v[156:157]
	v_add_f64 v[46:47], v[46:47], -v[156:157]
	ds_load_2addr_b64 v[156:159], v166 offset0:56 offset1:57
	s_waitcnt lgkmcnt(0)
	v_mul_f64 v[120:121], v[158:159], v[122:123]
	s_delay_alu instid0(VALU_DEP_1) | instskip(SKIP_1) | instid1(VALU_DEP_2)
	v_fma_f64 v[120:121], v[156:157], v[164:165], -v[120:121]
	v_mul_f64 v[156:157], v[156:157], v[122:123]
	v_add_f64 v[40:41], v[40:41], -v[120:121]
	s_delay_alu instid0(VALU_DEP_2) | instskip(NEXT) | instid1(VALU_DEP_1)
	v_fma_f64 v[156:157], v[158:159], v[164:165], v[156:157]
	v_add_f64 v[42:43], v[42:43], -v[156:157]
	ds_load_2addr_b64 v[156:159], v166 offset0:58 offset1:59
	s_waitcnt lgkmcnt(0)
	v_mul_f64 v[120:121], v[158:159], v[122:123]
	s_delay_alu instid0(VALU_DEP_1) | instskip(SKIP_1) | instid1(VALU_DEP_2)
	v_fma_f64 v[120:121], v[156:157], v[164:165], -v[120:121]
	v_mul_f64 v[156:157], v[156:157], v[122:123]
	v_add_f64 v[36:37], v[36:37], -v[120:121]
	s_delay_alu instid0(VALU_DEP_2) | instskip(NEXT) | instid1(VALU_DEP_1)
	v_fma_f64 v[156:157], v[158:159], v[164:165], v[156:157]
	v_add_f64 v[38:39], v[38:39], -v[156:157]
	ds_load_2addr_b64 v[156:159], v166 offset0:60 offset1:61
	s_waitcnt lgkmcnt(0)
	v_mul_f64 v[120:121], v[158:159], v[122:123]
	s_delay_alu instid0(VALU_DEP_1) | instskip(SKIP_1) | instid1(VALU_DEP_2)
	v_fma_f64 v[120:121], v[156:157], v[164:165], -v[120:121]
	v_mul_f64 v[156:157], v[156:157], v[122:123]
	v_add_f64 v[32:33], v[32:33], -v[120:121]
	s_delay_alu instid0(VALU_DEP_2) | instskip(NEXT) | instid1(VALU_DEP_1)
	v_fma_f64 v[156:157], v[158:159], v[164:165], v[156:157]
	v_add_f64 v[34:35], v[34:35], -v[156:157]
	ds_load_2addr_b64 v[156:159], v166 offset0:62 offset1:63
	s_waitcnt lgkmcnt(0)
	v_mul_f64 v[120:121], v[158:159], v[122:123]
	s_delay_alu instid0(VALU_DEP_1) | instskip(SKIP_1) | instid1(VALU_DEP_2)
	v_fma_f64 v[120:121], v[156:157], v[164:165], -v[120:121]
	v_mul_f64 v[156:157], v[156:157], v[122:123]
	v_add_f64 v[28:29], v[28:29], -v[120:121]
	s_delay_alu instid0(VALU_DEP_2) | instskip(NEXT) | instid1(VALU_DEP_1)
	v_fma_f64 v[156:157], v[158:159], v[164:165], v[156:157]
	v_add_f64 v[30:31], v[30:31], -v[156:157]
	ds_load_2addr_b64 v[156:159], v166 offset0:64 offset1:65
	s_waitcnt lgkmcnt(0)
	v_mul_f64 v[120:121], v[158:159], v[122:123]
	s_delay_alu instid0(VALU_DEP_1) | instskip(SKIP_1) | instid1(VALU_DEP_2)
	v_fma_f64 v[120:121], v[156:157], v[164:165], -v[120:121]
	v_mul_f64 v[156:157], v[156:157], v[122:123]
	v_add_f64 v[24:25], v[24:25], -v[120:121]
	s_delay_alu instid0(VALU_DEP_2) | instskip(NEXT) | instid1(VALU_DEP_1)
	v_fma_f64 v[156:157], v[158:159], v[164:165], v[156:157]
	v_add_f64 v[26:27], v[26:27], -v[156:157]
	ds_load_2addr_b64 v[156:159], v166 offset0:66 offset1:67
	s_waitcnt lgkmcnt(0)
	v_mul_f64 v[120:121], v[158:159], v[122:123]
	s_delay_alu instid0(VALU_DEP_1) | instskip(SKIP_1) | instid1(VALU_DEP_2)
	v_fma_f64 v[120:121], v[156:157], v[164:165], -v[120:121]
	v_mul_f64 v[156:157], v[156:157], v[122:123]
	v_add_f64 v[20:21], v[20:21], -v[120:121]
	s_delay_alu instid0(VALU_DEP_2) | instskip(NEXT) | instid1(VALU_DEP_1)
	v_fma_f64 v[156:157], v[158:159], v[164:165], v[156:157]
	v_add_f64 v[22:23], v[22:23], -v[156:157]
	ds_load_2addr_b64 v[156:159], v166 offset0:68 offset1:69
	s_waitcnt lgkmcnt(0)
	v_mul_f64 v[120:121], v[158:159], v[122:123]
	s_delay_alu instid0(VALU_DEP_1) | instskip(SKIP_1) | instid1(VALU_DEP_2)
	v_fma_f64 v[120:121], v[156:157], v[164:165], -v[120:121]
	v_mul_f64 v[156:157], v[156:157], v[122:123]
	v_add_f64 v[16:17], v[16:17], -v[120:121]
	s_delay_alu instid0(VALU_DEP_2) | instskip(NEXT) | instid1(VALU_DEP_1)
	v_fma_f64 v[156:157], v[158:159], v[164:165], v[156:157]
	v_add_f64 v[18:19], v[18:19], -v[156:157]
	ds_load_2addr_b64 v[156:159], v166 offset0:70 offset1:71
	s_waitcnt lgkmcnt(0)
	v_mul_f64 v[120:121], v[158:159], v[122:123]
	s_delay_alu instid0(VALU_DEP_1) | instskip(SKIP_1) | instid1(VALU_DEP_2)
	v_fma_f64 v[120:121], v[156:157], v[164:165], -v[120:121]
	v_mul_f64 v[156:157], v[156:157], v[122:123]
	v_add_f64 v[12:13], v[12:13], -v[120:121]
	s_delay_alu instid0(VALU_DEP_2) | instskip(NEXT) | instid1(VALU_DEP_1)
	v_fma_f64 v[156:157], v[158:159], v[164:165], v[156:157]
	v_add_f64 v[14:15], v[14:15], -v[156:157]
	ds_load_2addr_b64 v[156:159], v166 offset0:72 offset1:73
	s_waitcnt lgkmcnt(0)
	v_mul_f64 v[120:121], v[158:159], v[122:123]
	s_delay_alu instid0(VALU_DEP_1) | instskip(SKIP_1) | instid1(VALU_DEP_2)
	v_fma_f64 v[120:121], v[156:157], v[164:165], -v[120:121]
	v_mul_f64 v[156:157], v[156:157], v[122:123]
	v_add_f64 v[8:9], v[8:9], -v[120:121]
	s_delay_alu instid0(VALU_DEP_2) | instskip(NEXT) | instid1(VALU_DEP_1)
	v_fma_f64 v[156:157], v[158:159], v[164:165], v[156:157]
	v_add_f64 v[10:11], v[10:11], -v[156:157]
	ds_load_2addr_b64 v[156:159], v166 offset0:74 offset1:75
	s_waitcnt lgkmcnt(0)
	v_mul_f64 v[120:121], v[158:159], v[122:123]
	s_delay_alu instid0(VALU_DEP_1) | instskip(SKIP_1) | instid1(VALU_DEP_2)
	v_fma_f64 v[120:121], v[156:157], v[164:165], -v[120:121]
	v_mul_f64 v[156:157], v[156:157], v[122:123]
	v_add_f64 v[4:5], v[4:5], -v[120:121]
	s_delay_alu instid0(VALU_DEP_2) | instskip(NEXT) | instid1(VALU_DEP_1)
	v_fma_f64 v[156:157], v[158:159], v[164:165], v[156:157]
	v_add_f64 v[6:7], v[6:7], -v[156:157]
	ds_load_2addr_b64 v[156:159], v166 offset0:76 offset1:77
	s_waitcnt lgkmcnt(0)
	v_mul_f64 v[120:121], v[158:159], v[122:123]
	s_delay_alu instid0(VALU_DEP_1) | instskip(SKIP_1) | instid1(VALU_DEP_2)
	v_fma_f64 v[120:121], v[156:157], v[164:165], -v[120:121]
	v_mul_f64 v[156:157], v[156:157], v[122:123]
	v_add_f64 v[0:1], v[0:1], -v[120:121]
	s_delay_alu instid0(VALU_DEP_2) | instskip(SKIP_1) | instid1(VALU_DEP_2)
	v_fma_f64 v[156:157], v[158:159], v[164:165], v[156:157]
	v_dual_mov_b32 v120, v164 :: v_dual_mov_b32 v121, v165
	v_add_f64 v[2:3], v[2:3], -v[156:157]
.LBB76_230:
	s_or_b32 exec_lo, exec_lo, s2
	v_lshl_add_u32 v156, v172, 4, v166
	s_barrier
	buffer_gl0_inv
	v_mov_b32_e32 v164, 11
	ds_store_2addr_b64 v156, v[116:117], v[118:119] offset1:1
	s_waitcnt lgkmcnt(0)
	s_barrier
	buffer_gl0_inv
	ds_load_2addr_b64 v[156:159], v166 offset0:22 offset1:23
	s_cmp_lt_i32 s5, 13
	s_cbranch_scc1 .LBB76_233
; %bb.231:
	v_add3_u32 v165, v170, 0, 0xc0
	v_mov_b32_e32 v164, 11
	s_mov_b32 s6, 12
	s_set_inst_prefetch_distance 0x1
	.p2align	6
.LBB76_232:                             ; =>This Inner Loop Header: Depth=1
	ds_load_2addr_b64 v[173:176], v165 offset1:1
	s_waitcnt lgkmcnt(1)
	v_cmp_gt_f64_e32 vcc_lo, 0, v[156:157]
	v_xor_b32_e32 v177, 0x80000000, v157
	v_cmp_gt_f64_e64 s2, 0, v[158:159]
	v_xor_b32_e32 v179, 0x80000000, v159
	v_add_nc_u32_e32 v165, 16, v165
	s_waitcnt lgkmcnt(0)
	v_cmp_gt_f64_e64 s3, 0, v[173:174]
	v_mov_b32_e32 v181, v173
	v_dual_mov_b32 v183, v175 :: v_dual_cndmask_b32 v178, v157, v177
	v_xor_b32_e32 v177, 0x80000000, v174
	v_cndmask_b32_e64 v180, v159, v179, s2
	v_xor_b32_e32 v179, 0x80000000, v176
	s_delay_alu instid0(VALU_DEP_3) | instskip(SKIP_2) | instid1(VALU_DEP_2)
	v_cndmask_b32_e64 v182, v174, v177, s3
	v_cmp_gt_f64_e64 s3, 0, v[175:176]
	v_cndmask_b32_e32 v177, v156, v156, vcc_lo
	v_cndmask_b32_e64 v184, v176, v179, s3
	v_cndmask_b32_e64 v179, v158, v158, s2
	s_delay_alu instid0(VALU_DEP_2) | instskip(NEXT) | instid1(VALU_DEP_2)
	v_add_f64 v[181:182], v[181:182], v[183:184]
	v_add_f64 v[177:178], v[177:178], v[179:180]
	s_delay_alu instid0(VALU_DEP_1) | instskip(SKIP_4) | instid1(SALU_CYCLE_1)
	v_cmp_lt_f64_e32 vcc_lo, v[177:178], v[181:182]
	v_dual_cndmask_b32 v158, v158, v175 :: v_dual_cndmask_b32 v157, v157, v174
	v_dual_cndmask_b32 v156, v156, v173 :: v_dual_cndmask_b32 v159, v159, v176
	v_cndmask_b32_e64 v164, v164, s6, vcc_lo
	s_add_i32 s6, s6, 1
	s_cmp_lg_u32 s5, s6
	s_cbranch_scc1 .LBB76_232
.LBB76_233:
	s_set_inst_prefetch_distance 0x2
	s_waitcnt lgkmcnt(0)
	v_cmp_eq_f64_e32 vcc_lo, 0, v[156:157]
	v_cmp_eq_f64_e64 s2, 0, v[158:159]
	s_delay_alu instid0(VALU_DEP_1) | instskip(NEXT) | instid1(SALU_CYCLE_1)
	s_and_b32 s2, vcc_lo, s2
	s_and_saveexec_b32 s3, s2
	s_delay_alu instid0(SALU_CYCLE_1)
	s_xor_b32 s2, exec_lo, s3
; %bb.234:
	v_cmp_ne_u32_e32 vcc_lo, 0, v169
	v_cndmask_b32_e32 v169, 12, v169, vcc_lo
; %bb.235:
	s_and_not1_saveexec_b32 s3, s2
	s_cbranch_execz .LBB76_241
; %bb.236:
	v_cmp_gt_f64_e32 vcc_lo, 0, v[156:157]
	v_cmp_gt_f64_e64 s2, 0, v[158:159]
	v_xor_b32_e32 v165, 0x80000000, v157
	v_xor_b32_e32 v173, 0x80000000, v159
	s_delay_alu instid0(VALU_DEP_2) | instskip(NEXT) | instid1(VALU_DEP_2)
	v_cndmask_b32_e32 v174, v157, v165, vcc_lo
	v_cndmask_b32_e64 v176, v159, v173, s2
	v_cndmask_b32_e32 v173, v156, v156, vcc_lo
	v_cndmask_b32_e64 v175, v158, v158, s2
	s_mov_b32 s2, exec_lo
	s_delay_alu instid0(VALU_DEP_1)
	v_cmpx_ngt_f64_e32 v[173:174], v[175:176]
	s_xor_b32 s2, exec_lo, s2
	s_cbranch_execz .LBB76_238
; %bb.237:
	v_div_scale_f64 v[173:174], null, v[158:159], v[158:159], v[156:157]
	v_div_scale_f64 v[179:180], vcc_lo, v[156:157], v[158:159], v[156:157]
	s_delay_alu instid0(VALU_DEP_2) | instskip(SKIP_2) | instid1(VALU_DEP_1)
	v_rcp_f64_e32 v[175:176], v[173:174]
	s_waitcnt_depctr 0xfff
	v_fma_f64 v[177:178], -v[173:174], v[175:176], 1.0
	v_fma_f64 v[175:176], v[175:176], v[177:178], v[175:176]
	s_delay_alu instid0(VALU_DEP_1) | instskip(NEXT) | instid1(VALU_DEP_1)
	v_fma_f64 v[177:178], -v[173:174], v[175:176], 1.0
	v_fma_f64 v[175:176], v[175:176], v[177:178], v[175:176]
	s_delay_alu instid0(VALU_DEP_1) | instskip(NEXT) | instid1(VALU_DEP_1)
	v_mul_f64 v[177:178], v[179:180], v[175:176]
	v_fma_f64 v[173:174], -v[173:174], v[177:178], v[179:180]
	s_delay_alu instid0(VALU_DEP_1) | instskip(NEXT) | instid1(VALU_DEP_1)
	v_div_fmas_f64 v[173:174], v[173:174], v[175:176], v[177:178]
	v_div_fixup_f64 v[173:174], v[173:174], v[158:159], v[156:157]
	s_delay_alu instid0(VALU_DEP_1) | instskip(NEXT) | instid1(VALU_DEP_1)
	v_fma_f64 v[156:157], v[156:157], v[173:174], v[158:159]
	v_div_scale_f64 v[158:159], null, v[156:157], v[156:157], 1.0
	s_delay_alu instid0(VALU_DEP_1) | instskip(SKIP_2) | instid1(VALU_DEP_1)
	v_rcp_f64_e32 v[175:176], v[158:159]
	s_waitcnt_depctr 0xfff
	v_fma_f64 v[177:178], -v[158:159], v[175:176], 1.0
	v_fma_f64 v[175:176], v[175:176], v[177:178], v[175:176]
	s_delay_alu instid0(VALU_DEP_1) | instskip(NEXT) | instid1(VALU_DEP_1)
	v_fma_f64 v[177:178], -v[158:159], v[175:176], 1.0
	v_fma_f64 v[175:176], v[175:176], v[177:178], v[175:176]
	v_div_scale_f64 v[177:178], vcc_lo, 1.0, v[156:157], 1.0
	s_delay_alu instid0(VALU_DEP_1) | instskip(NEXT) | instid1(VALU_DEP_1)
	v_mul_f64 v[179:180], v[177:178], v[175:176]
	v_fma_f64 v[158:159], -v[158:159], v[179:180], v[177:178]
	s_delay_alu instid0(VALU_DEP_1) | instskip(NEXT) | instid1(VALU_DEP_1)
	v_div_fmas_f64 v[158:159], v[158:159], v[175:176], v[179:180]
	v_div_fixup_f64 v[158:159], v[158:159], v[156:157], 1.0
	s_delay_alu instid0(VALU_DEP_1)
	v_mul_f64 v[156:157], v[173:174], v[158:159]
	v_xor_b32_e32 v159, 0x80000000, v159
.LBB76_238:
	s_and_not1_saveexec_b32 s2, s2
	s_cbranch_execz .LBB76_240
; %bb.239:
	s_delay_alu instid0(VALU_DEP_1) | instskip(SKIP_1) | instid1(VALU_DEP_2)
	v_div_scale_f64 v[173:174], null, v[156:157], v[156:157], v[158:159]
	v_div_scale_f64 v[179:180], vcc_lo, v[158:159], v[156:157], v[158:159]
	v_rcp_f64_e32 v[175:176], v[173:174]
	s_waitcnt_depctr 0xfff
	v_fma_f64 v[177:178], -v[173:174], v[175:176], 1.0
	s_delay_alu instid0(VALU_DEP_1) | instskip(NEXT) | instid1(VALU_DEP_1)
	v_fma_f64 v[175:176], v[175:176], v[177:178], v[175:176]
	v_fma_f64 v[177:178], -v[173:174], v[175:176], 1.0
	s_delay_alu instid0(VALU_DEP_1) | instskip(NEXT) | instid1(VALU_DEP_1)
	v_fma_f64 v[175:176], v[175:176], v[177:178], v[175:176]
	v_mul_f64 v[177:178], v[179:180], v[175:176]
	s_delay_alu instid0(VALU_DEP_1) | instskip(NEXT) | instid1(VALU_DEP_1)
	v_fma_f64 v[173:174], -v[173:174], v[177:178], v[179:180]
	v_div_fmas_f64 v[173:174], v[173:174], v[175:176], v[177:178]
	s_delay_alu instid0(VALU_DEP_1) | instskip(NEXT) | instid1(VALU_DEP_1)
	v_div_fixup_f64 v[173:174], v[173:174], v[156:157], v[158:159]
	v_fma_f64 v[156:157], v[158:159], v[173:174], v[156:157]
	s_delay_alu instid0(VALU_DEP_1) | instskip(NEXT) | instid1(VALU_DEP_1)
	v_div_scale_f64 v[158:159], null, v[156:157], v[156:157], 1.0
	v_rcp_f64_e32 v[175:176], v[158:159]
	s_waitcnt_depctr 0xfff
	v_fma_f64 v[177:178], -v[158:159], v[175:176], 1.0
	s_delay_alu instid0(VALU_DEP_1) | instskip(NEXT) | instid1(VALU_DEP_1)
	v_fma_f64 v[175:176], v[175:176], v[177:178], v[175:176]
	v_fma_f64 v[177:178], -v[158:159], v[175:176], 1.0
	s_delay_alu instid0(VALU_DEP_1) | instskip(SKIP_1) | instid1(VALU_DEP_1)
	v_fma_f64 v[175:176], v[175:176], v[177:178], v[175:176]
	v_div_scale_f64 v[177:178], vcc_lo, 1.0, v[156:157], 1.0
	v_mul_f64 v[179:180], v[177:178], v[175:176]
	s_delay_alu instid0(VALU_DEP_1) | instskip(NEXT) | instid1(VALU_DEP_1)
	v_fma_f64 v[158:159], -v[158:159], v[179:180], v[177:178]
	v_div_fmas_f64 v[158:159], v[158:159], v[175:176], v[179:180]
	s_delay_alu instid0(VALU_DEP_1) | instskip(NEXT) | instid1(VALU_DEP_1)
	v_div_fixup_f64 v[156:157], v[158:159], v[156:157], 1.0
	v_mul_f64 v[158:159], v[173:174], -v[156:157]
.LBB76_240:
	s_or_b32 exec_lo, exec_lo, s2
.LBB76_241:
	s_delay_alu instid0(SALU_CYCLE_1) | instskip(NEXT) | instid1(SALU_CYCLE_1)
	s_or_b32 exec_lo, exec_lo, s3
	s_mov_b32 s2, exec_lo
	v_cmpx_ne_u32_e64 v172, v164
	s_xor_b32 s2, exec_lo, s2
	s_cbranch_execz .LBB76_247
; %bb.242:
	s_mov_b32 s3, exec_lo
	v_cmpx_eq_u32_e32 11, v172
	s_cbranch_execz .LBB76_246
; %bb.243:
	v_cmp_ne_u32_e32 vcc_lo, 11, v164
	s_xor_b32 s6, s4, -1
	s_delay_alu instid0(SALU_CYCLE_1) | instskip(NEXT) | instid1(SALU_CYCLE_1)
	s_and_b32 s7, s6, vcc_lo
	s_and_saveexec_b32 s6, s7
	s_cbranch_execz .LBB76_245
; %bb.244:
	v_ashrrev_i32_e32 v165, 31, v164
	s_delay_alu instid0(VALU_DEP_1) | instskip(NEXT) | instid1(VALU_DEP_1)
	v_lshlrev_b64 v[171:172], 2, v[164:165]
	v_add_co_u32 v171, vcc_lo, v162, v171
	s_delay_alu instid0(VALU_DEP_2)
	v_add_co_ci_u32_e32 v172, vcc_lo, v163, v172, vcc_lo
	s_clause 0x1
	flat_load_b32 v165, v[171:172]
	flat_load_b32 v173, v[162:163] offset:44
	s_waitcnt vmcnt(1) lgkmcnt(1)
	flat_store_b32 v[162:163], v165 offset:44
	s_waitcnt vmcnt(0) lgkmcnt(1)
	flat_store_b32 v[171:172], v173
.LBB76_245:
	s_or_b32 exec_lo, exec_lo, s6
	v_mov_b32_e32 v172, v164
	v_mov_b32_e32 v171, v164
.LBB76_246:
	s_or_b32 exec_lo, exec_lo, s3
.LBB76_247:
	s_and_not1_saveexec_b32 s2, s2
	s_cbranch_execz .LBB76_249
; %bb.248:
	v_mov_b32_e32 v172, 11
	ds_store_2addr_b64 v166, v[112:113], v[114:115] offset0:24 offset1:25
	ds_store_2addr_b64 v166, v[108:109], v[110:111] offset0:26 offset1:27
	;; [unrolled: 1-line block ×27, first 2 shown]
.LBB76_249:
	s_or_b32 exec_lo, exec_lo, s2
	s_delay_alu instid0(SALU_CYCLE_1)
	s_mov_b32 s2, exec_lo
	s_waitcnt lgkmcnt(0)
	s_waitcnt_vscnt null, 0x0
	s_barrier
	buffer_gl0_inv
	v_cmpx_lt_i32_e32 11, v172
	s_cbranch_execz .LBB76_251
; %bb.250:
	v_mul_f64 v[164:165], v[158:159], v[118:119]
	v_mul_f64 v[118:119], v[156:157], v[118:119]
	s_delay_alu instid0(VALU_DEP_2) | instskip(NEXT) | instid1(VALU_DEP_2)
	v_fma_f64 v[164:165], v[156:157], v[116:117], -v[164:165]
	v_fma_f64 v[118:119], v[158:159], v[116:117], v[118:119]
	ds_load_2addr_b64 v[156:159], v166 offset0:24 offset1:25
	s_waitcnt lgkmcnt(0)
	v_mul_f64 v[116:117], v[158:159], v[118:119]
	s_delay_alu instid0(VALU_DEP_1) | instskip(SKIP_1) | instid1(VALU_DEP_2)
	v_fma_f64 v[116:117], v[156:157], v[164:165], -v[116:117]
	v_mul_f64 v[156:157], v[156:157], v[118:119]
	v_add_f64 v[112:113], v[112:113], -v[116:117]
	s_delay_alu instid0(VALU_DEP_2) | instskip(NEXT) | instid1(VALU_DEP_1)
	v_fma_f64 v[156:157], v[158:159], v[164:165], v[156:157]
	v_add_f64 v[114:115], v[114:115], -v[156:157]
	ds_load_2addr_b64 v[156:159], v166 offset0:26 offset1:27
	s_waitcnt lgkmcnt(0)
	v_mul_f64 v[116:117], v[158:159], v[118:119]
	s_delay_alu instid0(VALU_DEP_1) | instskip(SKIP_1) | instid1(VALU_DEP_2)
	v_fma_f64 v[116:117], v[156:157], v[164:165], -v[116:117]
	v_mul_f64 v[156:157], v[156:157], v[118:119]
	v_add_f64 v[108:109], v[108:109], -v[116:117]
	s_delay_alu instid0(VALU_DEP_2) | instskip(NEXT) | instid1(VALU_DEP_1)
	v_fma_f64 v[156:157], v[158:159], v[164:165], v[156:157]
	v_add_f64 v[110:111], v[110:111], -v[156:157]
	;; [unrolled: 10-line block ×26, first 2 shown]
	ds_load_2addr_b64 v[156:159], v166 offset0:76 offset1:77
	s_waitcnt lgkmcnt(0)
	v_mul_f64 v[116:117], v[158:159], v[118:119]
	s_delay_alu instid0(VALU_DEP_1) | instskip(SKIP_1) | instid1(VALU_DEP_2)
	v_fma_f64 v[116:117], v[156:157], v[164:165], -v[116:117]
	v_mul_f64 v[156:157], v[156:157], v[118:119]
	v_add_f64 v[0:1], v[0:1], -v[116:117]
	s_delay_alu instid0(VALU_DEP_2) | instskip(SKIP_1) | instid1(VALU_DEP_2)
	v_fma_f64 v[156:157], v[158:159], v[164:165], v[156:157]
	v_dual_mov_b32 v116, v164 :: v_dual_mov_b32 v117, v165
	v_add_f64 v[2:3], v[2:3], -v[156:157]
.LBB76_251:
	s_or_b32 exec_lo, exec_lo, s2
	v_lshl_add_u32 v156, v172, 4, v166
	s_barrier
	buffer_gl0_inv
	v_mov_b32_e32 v164, 12
	ds_store_2addr_b64 v156, v[112:113], v[114:115] offset1:1
	s_waitcnt lgkmcnt(0)
	s_barrier
	buffer_gl0_inv
	ds_load_2addr_b64 v[156:159], v166 offset0:24 offset1:25
	s_cmp_lt_i32 s5, 14
	s_cbranch_scc1 .LBB76_254
; %bb.252:
	v_add3_u32 v165, v170, 0, 0xd0
	v_mov_b32_e32 v164, 12
	s_mov_b32 s6, 13
	s_set_inst_prefetch_distance 0x1
	.p2align	6
.LBB76_253:                             ; =>This Inner Loop Header: Depth=1
	ds_load_2addr_b64 v[173:176], v165 offset1:1
	s_waitcnt lgkmcnt(1)
	v_cmp_gt_f64_e32 vcc_lo, 0, v[156:157]
	v_xor_b32_e32 v177, 0x80000000, v157
	v_cmp_gt_f64_e64 s2, 0, v[158:159]
	v_xor_b32_e32 v179, 0x80000000, v159
	v_add_nc_u32_e32 v165, 16, v165
	s_waitcnt lgkmcnt(0)
	v_cmp_gt_f64_e64 s3, 0, v[173:174]
	v_mov_b32_e32 v181, v173
	v_dual_mov_b32 v183, v175 :: v_dual_cndmask_b32 v178, v157, v177
	v_xor_b32_e32 v177, 0x80000000, v174
	v_cndmask_b32_e64 v180, v159, v179, s2
	v_xor_b32_e32 v179, 0x80000000, v176
	s_delay_alu instid0(VALU_DEP_3) | instskip(SKIP_2) | instid1(VALU_DEP_2)
	v_cndmask_b32_e64 v182, v174, v177, s3
	v_cmp_gt_f64_e64 s3, 0, v[175:176]
	v_cndmask_b32_e32 v177, v156, v156, vcc_lo
	v_cndmask_b32_e64 v184, v176, v179, s3
	v_cndmask_b32_e64 v179, v158, v158, s2
	s_delay_alu instid0(VALU_DEP_2) | instskip(NEXT) | instid1(VALU_DEP_2)
	v_add_f64 v[181:182], v[181:182], v[183:184]
	v_add_f64 v[177:178], v[177:178], v[179:180]
	s_delay_alu instid0(VALU_DEP_1) | instskip(SKIP_4) | instid1(SALU_CYCLE_1)
	v_cmp_lt_f64_e32 vcc_lo, v[177:178], v[181:182]
	v_dual_cndmask_b32 v158, v158, v175 :: v_dual_cndmask_b32 v157, v157, v174
	v_dual_cndmask_b32 v156, v156, v173 :: v_dual_cndmask_b32 v159, v159, v176
	v_cndmask_b32_e64 v164, v164, s6, vcc_lo
	s_add_i32 s6, s6, 1
	s_cmp_lg_u32 s5, s6
	s_cbranch_scc1 .LBB76_253
.LBB76_254:
	s_set_inst_prefetch_distance 0x2
	s_waitcnt lgkmcnt(0)
	v_cmp_eq_f64_e32 vcc_lo, 0, v[156:157]
	v_cmp_eq_f64_e64 s2, 0, v[158:159]
	s_delay_alu instid0(VALU_DEP_1) | instskip(NEXT) | instid1(SALU_CYCLE_1)
	s_and_b32 s2, vcc_lo, s2
	s_and_saveexec_b32 s3, s2
	s_delay_alu instid0(SALU_CYCLE_1)
	s_xor_b32 s2, exec_lo, s3
; %bb.255:
	v_cmp_ne_u32_e32 vcc_lo, 0, v169
	v_cndmask_b32_e32 v169, 13, v169, vcc_lo
; %bb.256:
	s_and_not1_saveexec_b32 s3, s2
	s_cbranch_execz .LBB76_262
; %bb.257:
	v_cmp_gt_f64_e32 vcc_lo, 0, v[156:157]
	v_cmp_gt_f64_e64 s2, 0, v[158:159]
	v_xor_b32_e32 v165, 0x80000000, v157
	v_xor_b32_e32 v173, 0x80000000, v159
	s_delay_alu instid0(VALU_DEP_2) | instskip(NEXT) | instid1(VALU_DEP_2)
	v_cndmask_b32_e32 v174, v157, v165, vcc_lo
	v_cndmask_b32_e64 v176, v159, v173, s2
	v_cndmask_b32_e32 v173, v156, v156, vcc_lo
	v_cndmask_b32_e64 v175, v158, v158, s2
	s_mov_b32 s2, exec_lo
	s_delay_alu instid0(VALU_DEP_1)
	v_cmpx_ngt_f64_e32 v[173:174], v[175:176]
	s_xor_b32 s2, exec_lo, s2
	s_cbranch_execz .LBB76_259
; %bb.258:
	v_div_scale_f64 v[173:174], null, v[158:159], v[158:159], v[156:157]
	v_div_scale_f64 v[179:180], vcc_lo, v[156:157], v[158:159], v[156:157]
	s_delay_alu instid0(VALU_DEP_2) | instskip(SKIP_2) | instid1(VALU_DEP_1)
	v_rcp_f64_e32 v[175:176], v[173:174]
	s_waitcnt_depctr 0xfff
	v_fma_f64 v[177:178], -v[173:174], v[175:176], 1.0
	v_fma_f64 v[175:176], v[175:176], v[177:178], v[175:176]
	s_delay_alu instid0(VALU_DEP_1) | instskip(NEXT) | instid1(VALU_DEP_1)
	v_fma_f64 v[177:178], -v[173:174], v[175:176], 1.0
	v_fma_f64 v[175:176], v[175:176], v[177:178], v[175:176]
	s_delay_alu instid0(VALU_DEP_1) | instskip(NEXT) | instid1(VALU_DEP_1)
	v_mul_f64 v[177:178], v[179:180], v[175:176]
	v_fma_f64 v[173:174], -v[173:174], v[177:178], v[179:180]
	s_delay_alu instid0(VALU_DEP_1) | instskip(NEXT) | instid1(VALU_DEP_1)
	v_div_fmas_f64 v[173:174], v[173:174], v[175:176], v[177:178]
	v_div_fixup_f64 v[173:174], v[173:174], v[158:159], v[156:157]
	s_delay_alu instid0(VALU_DEP_1) | instskip(NEXT) | instid1(VALU_DEP_1)
	v_fma_f64 v[156:157], v[156:157], v[173:174], v[158:159]
	v_div_scale_f64 v[158:159], null, v[156:157], v[156:157], 1.0
	s_delay_alu instid0(VALU_DEP_1) | instskip(SKIP_2) | instid1(VALU_DEP_1)
	v_rcp_f64_e32 v[175:176], v[158:159]
	s_waitcnt_depctr 0xfff
	v_fma_f64 v[177:178], -v[158:159], v[175:176], 1.0
	v_fma_f64 v[175:176], v[175:176], v[177:178], v[175:176]
	s_delay_alu instid0(VALU_DEP_1) | instskip(NEXT) | instid1(VALU_DEP_1)
	v_fma_f64 v[177:178], -v[158:159], v[175:176], 1.0
	v_fma_f64 v[175:176], v[175:176], v[177:178], v[175:176]
	v_div_scale_f64 v[177:178], vcc_lo, 1.0, v[156:157], 1.0
	s_delay_alu instid0(VALU_DEP_1) | instskip(NEXT) | instid1(VALU_DEP_1)
	v_mul_f64 v[179:180], v[177:178], v[175:176]
	v_fma_f64 v[158:159], -v[158:159], v[179:180], v[177:178]
	s_delay_alu instid0(VALU_DEP_1) | instskip(NEXT) | instid1(VALU_DEP_1)
	v_div_fmas_f64 v[158:159], v[158:159], v[175:176], v[179:180]
	v_div_fixup_f64 v[158:159], v[158:159], v[156:157], 1.0
	s_delay_alu instid0(VALU_DEP_1)
	v_mul_f64 v[156:157], v[173:174], v[158:159]
	v_xor_b32_e32 v159, 0x80000000, v159
.LBB76_259:
	s_and_not1_saveexec_b32 s2, s2
	s_cbranch_execz .LBB76_261
; %bb.260:
	s_delay_alu instid0(VALU_DEP_1) | instskip(SKIP_1) | instid1(VALU_DEP_2)
	v_div_scale_f64 v[173:174], null, v[156:157], v[156:157], v[158:159]
	v_div_scale_f64 v[179:180], vcc_lo, v[158:159], v[156:157], v[158:159]
	v_rcp_f64_e32 v[175:176], v[173:174]
	s_waitcnt_depctr 0xfff
	v_fma_f64 v[177:178], -v[173:174], v[175:176], 1.0
	s_delay_alu instid0(VALU_DEP_1) | instskip(NEXT) | instid1(VALU_DEP_1)
	v_fma_f64 v[175:176], v[175:176], v[177:178], v[175:176]
	v_fma_f64 v[177:178], -v[173:174], v[175:176], 1.0
	s_delay_alu instid0(VALU_DEP_1) | instskip(NEXT) | instid1(VALU_DEP_1)
	v_fma_f64 v[175:176], v[175:176], v[177:178], v[175:176]
	v_mul_f64 v[177:178], v[179:180], v[175:176]
	s_delay_alu instid0(VALU_DEP_1) | instskip(NEXT) | instid1(VALU_DEP_1)
	v_fma_f64 v[173:174], -v[173:174], v[177:178], v[179:180]
	v_div_fmas_f64 v[173:174], v[173:174], v[175:176], v[177:178]
	s_delay_alu instid0(VALU_DEP_1) | instskip(NEXT) | instid1(VALU_DEP_1)
	v_div_fixup_f64 v[173:174], v[173:174], v[156:157], v[158:159]
	v_fma_f64 v[156:157], v[158:159], v[173:174], v[156:157]
	s_delay_alu instid0(VALU_DEP_1) | instskip(NEXT) | instid1(VALU_DEP_1)
	v_div_scale_f64 v[158:159], null, v[156:157], v[156:157], 1.0
	v_rcp_f64_e32 v[175:176], v[158:159]
	s_waitcnt_depctr 0xfff
	v_fma_f64 v[177:178], -v[158:159], v[175:176], 1.0
	s_delay_alu instid0(VALU_DEP_1) | instskip(NEXT) | instid1(VALU_DEP_1)
	v_fma_f64 v[175:176], v[175:176], v[177:178], v[175:176]
	v_fma_f64 v[177:178], -v[158:159], v[175:176], 1.0
	s_delay_alu instid0(VALU_DEP_1) | instskip(SKIP_1) | instid1(VALU_DEP_1)
	v_fma_f64 v[175:176], v[175:176], v[177:178], v[175:176]
	v_div_scale_f64 v[177:178], vcc_lo, 1.0, v[156:157], 1.0
	v_mul_f64 v[179:180], v[177:178], v[175:176]
	s_delay_alu instid0(VALU_DEP_1) | instskip(NEXT) | instid1(VALU_DEP_1)
	v_fma_f64 v[158:159], -v[158:159], v[179:180], v[177:178]
	v_div_fmas_f64 v[158:159], v[158:159], v[175:176], v[179:180]
	s_delay_alu instid0(VALU_DEP_1) | instskip(NEXT) | instid1(VALU_DEP_1)
	v_div_fixup_f64 v[156:157], v[158:159], v[156:157], 1.0
	v_mul_f64 v[158:159], v[173:174], -v[156:157]
.LBB76_261:
	s_or_b32 exec_lo, exec_lo, s2
.LBB76_262:
	s_delay_alu instid0(SALU_CYCLE_1) | instskip(NEXT) | instid1(SALU_CYCLE_1)
	s_or_b32 exec_lo, exec_lo, s3
	s_mov_b32 s2, exec_lo
	v_cmpx_ne_u32_e64 v172, v164
	s_xor_b32 s2, exec_lo, s2
	s_cbranch_execz .LBB76_268
; %bb.263:
	s_mov_b32 s3, exec_lo
	v_cmpx_eq_u32_e32 12, v172
	s_cbranch_execz .LBB76_267
; %bb.264:
	v_cmp_ne_u32_e32 vcc_lo, 12, v164
	s_xor_b32 s6, s4, -1
	s_delay_alu instid0(SALU_CYCLE_1) | instskip(NEXT) | instid1(SALU_CYCLE_1)
	s_and_b32 s7, s6, vcc_lo
	s_and_saveexec_b32 s6, s7
	s_cbranch_execz .LBB76_266
; %bb.265:
	v_ashrrev_i32_e32 v165, 31, v164
	s_delay_alu instid0(VALU_DEP_1) | instskip(NEXT) | instid1(VALU_DEP_1)
	v_lshlrev_b64 v[171:172], 2, v[164:165]
	v_add_co_u32 v171, vcc_lo, v162, v171
	s_delay_alu instid0(VALU_DEP_2)
	v_add_co_ci_u32_e32 v172, vcc_lo, v163, v172, vcc_lo
	s_clause 0x1
	flat_load_b32 v165, v[171:172]
	flat_load_b32 v173, v[162:163] offset:48
	s_waitcnt vmcnt(1) lgkmcnt(1)
	flat_store_b32 v[162:163], v165 offset:48
	s_waitcnt vmcnt(0) lgkmcnt(1)
	flat_store_b32 v[171:172], v173
.LBB76_266:
	s_or_b32 exec_lo, exec_lo, s6
	v_mov_b32_e32 v172, v164
	v_mov_b32_e32 v171, v164
.LBB76_267:
	s_or_b32 exec_lo, exec_lo, s3
.LBB76_268:
	s_and_not1_saveexec_b32 s2, s2
	s_cbranch_execz .LBB76_270
; %bb.269:
	v_mov_b32_e32 v172, 12
	ds_store_2addr_b64 v166, v[108:109], v[110:111] offset0:26 offset1:27
	ds_store_2addr_b64 v166, v[104:105], v[106:107] offset0:28 offset1:29
	;; [unrolled: 1-line block ×26, first 2 shown]
.LBB76_270:
	s_or_b32 exec_lo, exec_lo, s2
	s_delay_alu instid0(SALU_CYCLE_1)
	s_mov_b32 s2, exec_lo
	s_waitcnt lgkmcnt(0)
	s_waitcnt_vscnt null, 0x0
	s_barrier
	buffer_gl0_inv
	v_cmpx_lt_i32_e32 12, v172
	s_cbranch_execz .LBB76_272
; %bb.271:
	v_mul_f64 v[164:165], v[158:159], v[114:115]
	v_mul_f64 v[114:115], v[156:157], v[114:115]
	s_delay_alu instid0(VALU_DEP_2) | instskip(NEXT) | instid1(VALU_DEP_2)
	v_fma_f64 v[164:165], v[156:157], v[112:113], -v[164:165]
	v_fma_f64 v[114:115], v[158:159], v[112:113], v[114:115]
	ds_load_2addr_b64 v[156:159], v166 offset0:26 offset1:27
	s_waitcnt lgkmcnt(0)
	v_mul_f64 v[112:113], v[158:159], v[114:115]
	s_delay_alu instid0(VALU_DEP_1) | instskip(SKIP_1) | instid1(VALU_DEP_2)
	v_fma_f64 v[112:113], v[156:157], v[164:165], -v[112:113]
	v_mul_f64 v[156:157], v[156:157], v[114:115]
	v_add_f64 v[108:109], v[108:109], -v[112:113]
	s_delay_alu instid0(VALU_DEP_2) | instskip(NEXT) | instid1(VALU_DEP_1)
	v_fma_f64 v[156:157], v[158:159], v[164:165], v[156:157]
	v_add_f64 v[110:111], v[110:111], -v[156:157]
	ds_load_2addr_b64 v[156:159], v166 offset0:28 offset1:29
	s_waitcnt lgkmcnt(0)
	v_mul_f64 v[112:113], v[158:159], v[114:115]
	s_delay_alu instid0(VALU_DEP_1) | instskip(SKIP_1) | instid1(VALU_DEP_2)
	v_fma_f64 v[112:113], v[156:157], v[164:165], -v[112:113]
	v_mul_f64 v[156:157], v[156:157], v[114:115]
	v_add_f64 v[104:105], v[104:105], -v[112:113]
	s_delay_alu instid0(VALU_DEP_2) | instskip(NEXT) | instid1(VALU_DEP_1)
	v_fma_f64 v[156:157], v[158:159], v[164:165], v[156:157]
	v_add_f64 v[106:107], v[106:107], -v[156:157]
	;; [unrolled: 10-line block ×25, first 2 shown]
	ds_load_2addr_b64 v[156:159], v166 offset0:76 offset1:77
	s_waitcnt lgkmcnt(0)
	v_mul_f64 v[112:113], v[158:159], v[114:115]
	s_delay_alu instid0(VALU_DEP_1) | instskip(SKIP_1) | instid1(VALU_DEP_2)
	v_fma_f64 v[112:113], v[156:157], v[164:165], -v[112:113]
	v_mul_f64 v[156:157], v[156:157], v[114:115]
	v_add_f64 v[0:1], v[0:1], -v[112:113]
	s_delay_alu instid0(VALU_DEP_2) | instskip(SKIP_1) | instid1(VALU_DEP_2)
	v_fma_f64 v[156:157], v[158:159], v[164:165], v[156:157]
	v_dual_mov_b32 v112, v164 :: v_dual_mov_b32 v113, v165
	v_add_f64 v[2:3], v[2:3], -v[156:157]
.LBB76_272:
	s_or_b32 exec_lo, exec_lo, s2
	v_lshl_add_u32 v156, v172, 4, v166
	s_barrier
	buffer_gl0_inv
	v_mov_b32_e32 v164, 13
	ds_store_2addr_b64 v156, v[108:109], v[110:111] offset1:1
	s_waitcnt lgkmcnt(0)
	s_barrier
	buffer_gl0_inv
	ds_load_2addr_b64 v[156:159], v166 offset0:26 offset1:27
	s_cmp_lt_i32 s5, 15
	s_cbranch_scc1 .LBB76_275
; %bb.273:
	v_add3_u32 v165, v170, 0, 0xe0
	v_mov_b32_e32 v164, 13
	s_mov_b32 s6, 14
	s_set_inst_prefetch_distance 0x1
	.p2align	6
.LBB76_274:                             ; =>This Inner Loop Header: Depth=1
	ds_load_2addr_b64 v[173:176], v165 offset1:1
	s_waitcnt lgkmcnt(1)
	v_cmp_gt_f64_e32 vcc_lo, 0, v[156:157]
	v_xor_b32_e32 v177, 0x80000000, v157
	v_cmp_gt_f64_e64 s2, 0, v[158:159]
	v_xor_b32_e32 v179, 0x80000000, v159
	v_add_nc_u32_e32 v165, 16, v165
	s_waitcnt lgkmcnt(0)
	v_cmp_gt_f64_e64 s3, 0, v[173:174]
	v_mov_b32_e32 v181, v173
	v_dual_mov_b32 v183, v175 :: v_dual_cndmask_b32 v178, v157, v177
	v_xor_b32_e32 v177, 0x80000000, v174
	v_cndmask_b32_e64 v180, v159, v179, s2
	v_xor_b32_e32 v179, 0x80000000, v176
	s_delay_alu instid0(VALU_DEP_3) | instskip(SKIP_2) | instid1(VALU_DEP_2)
	v_cndmask_b32_e64 v182, v174, v177, s3
	v_cmp_gt_f64_e64 s3, 0, v[175:176]
	v_cndmask_b32_e32 v177, v156, v156, vcc_lo
	v_cndmask_b32_e64 v184, v176, v179, s3
	v_cndmask_b32_e64 v179, v158, v158, s2
	s_delay_alu instid0(VALU_DEP_2) | instskip(NEXT) | instid1(VALU_DEP_2)
	v_add_f64 v[181:182], v[181:182], v[183:184]
	v_add_f64 v[177:178], v[177:178], v[179:180]
	s_delay_alu instid0(VALU_DEP_1) | instskip(SKIP_4) | instid1(SALU_CYCLE_1)
	v_cmp_lt_f64_e32 vcc_lo, v[177:178], v[181:182]
	v_dual_cndmask_b32 v158, v158, v175 :: v_dual_cndmask_b32 v157, v157, v174
	v_dual_cndmask_b32 v156, v156, v173 :: v_dual_cndmask_b32 v159, v159, v176
	v_cndmask_b32_e64 v164, v164, s6, vcc_lo
	s_add_i32 s6, s6, 1
	s_cmp_lg_u32 s5, s6
	s_cbranch_scc1 .LBB76_274
.LBB76_275:
	s_set_inst_prefetch_distance 0x2
	s_waitcnt lgkmcnt(0)
	v_cmp_eq_f64_e32 vcc_lo, 0, v[156:157]
	v_cmp_eq_f64_e64 s2, 0, v[158:159]
	s_delay_alu instid0(VALU_DEP_1) | instskip(NEXT) | instid1(SALU_CYCLE_1)
	s_and_b32 s2, vcc_lo, s2
	s_and_saveexec_b32 s3, s2
	s_delay_alu instid0(SALU_CYCLE_1)
	s_xor_b32 s2, exec_lo, s3
; %bb.276:
	v_cmp_ne_u32_e32 vcc_lo, 0, v169
	v_cndmask_b32_e32 v169, 14, v169, vcc_lo
; %bb.277:
	s_and_not1_saveexec_b32 s3, s2
	s_cbranch_execz .LBB76_283
; %bb.278:
	v_cmp_gt_f64_e32 vcc_lo, 0, v[156:157]
	v_cmp_gt_f64_e64 s2, 0, v[158:159]
	v_xor_b32_e32 v165, 0x80000000, v157
	v_xor_b32_e32 v173, 0x80000000, v159
	s_delay_alu instid0(VALU_DEP_2) | instskip(NEXT) | instid1(VALU_DEP_2)
	v_cndmask_b32_e32 v174, v157, v165, vcc_lo
	v_cndmask_b32_e64 v176, v159, v173, s2
	v_cndmask_b32_e32 v173, v156, v156, vcc_lo
	v_cndmask_b32_e64 v175, v158, v158, s2
	s_mov_b32 s2, exec_lo
	s_delay_alu instid0(VALU_DEP_1)
	v_cmpx_ngt_f64_e32 v[173:174], v[175:176]
	s_xor_b32 s2, exec_lo, s2
	s_cbranch_execz .LBB76_280
; %bb.279:
	v_div_scale_f64 v[173:174], null, v[158:159], v[158:159], v[156:157]
	v_div_scale_f64 v[179:180], vcc_lo, v[156:157], v[158:159], v[156:157]
	s_delay_alu instid0(VALU_DEP_2) | instskip(SKIP_2) | instid1(VALU_DEP_1)
	v_rcp_f64_e32 v[175:176], v[173:174]
	s_waitcnt_depctr 0xfff
	v_fma_f64 v[177:178], -v[173:174], v[175:176], 1.0
	v_fma_f64 v[175:176], v[175:176], v[177:178], v[175:176]
	s_delay_alu instid0(VALU_DEP_1) | instskip(NEXT) | instid1(VALU_DEP_1)
	v_fma_f64 v[177:178], -v[173:174], v[175:176], 1.0
	v_fma_f64 v[175:176], v[175:176], v[177:178], v[175:176]
	s_delay_alu instid0(VALU_DEP_1) | instskip(NEXT) | instid1(VALU_DEP_1)
	v_mul_f64 v[177:178], v[179:180], v[175:176]
	v_fma_f64 v[173:174], -v[173:174], v[177:178], v[179:180]
	s_delay_alu instid0(VALU_DEP_1) | instskip(NEXT) | instid1(VALU_DEP_1)
	v_div_fmas_f64 v[173:174], v[173:174], v[175:176], v[177:178]
	v_div_fixup_f64 v[173:174], v[173:174], v[158:159], v[156:157]
	s_delay_alu instid0(VALU_DEP_1) | instskip(NEXT) | instid1(VALU_DEP_1)
	v_fma_f64 v[156:157], v[156:157], v[173:174], v[158:159]
	v_div_scale_f64 v[158:159], null, v[156:157], v[156:157], 1.0
	s_delay_alu instid0(VALU_DEP_1) | instskip(SKIP_2) | instid1(VALU_DEP_1)
	v_rcp_f64_e32 v[175:176], v[158:159]
	s_waitcnt_depctr 0xfff
	v_fma_f64 v[177:178], -v[158:159], v[175:176], 1.0
	v_fma_f64 v[175:176], v[175:176], v[177:178], v[175:176]
	s_delay_alu instid0(VALU_DEP_1) | instskip(NEXT) | instid1(VALU_DEP_1)
	v_fma_f64 v[177:178], -v[158:159], v[175:176], 1.0
	v_fma_f64 v[175:176], v[175:176], v[177:178], v[175:176]
	v_div_scale_f64 v[177:178], vcc_lo, 1.0, v[156:157], 1.0
	s_delay_alu instid0(VALU_DEP_1) | instskip(NEXT) | instid1(VALU_DEP_1)
	v_mul_f64 v[179:180], v[177:178], v[175:176]
	v_fma_f64 v[158:159], -v[158:159], v[179:180], v[177:178]
	s_delay_alu instid0(VALU_DEP_1) | instskip(NEXT) | instid1(VALU_DEP_1)
	v_div_fmas_f64 v[158:159], v[158:159], v[175:176], v[179:180]
	v_div_fixup_f64 v[158:159], v[158:159], v[156:157], 1.0
	s_delay_alu instid0(VALU_DEP_1)
	v_mul_f64 v[156:157], v[173:174], v[158:159]
	v_xor_b32_e32 v159, 0x80000000, v159
.LBB76_280:
	s_and_not1_saveexec_b32 s2, s2
	s_cbranch_execz .LBB76_282
; %bb.281:
	s_delay_alu instid0(VALU_DEP_1) | instskip(SKIP_1) | instid1(VALU_DEP_2)
	v_div_scale_f64 v[173:174], null, v[156:157], v[156:157], v[158:159]
	v_div_scale_f64 v[179:180], vcc_lo, v[158:159], v[156:157], v[158:159]
	v_rcp_f64_e32 v[175:176], v[173:174]
	s_waitcnt_depctr 0xfff
	v_fma_f64 v[177:178], -v[173:174], v[175:176], 1.0
	s_delay_alu instid0(VALU_DEP_1) | instskip(NEXT) | instid1(VALU_DEP_1)
	v_fma_f64 v[175:176], v[175:176], v[177:178], v[175:176]
	v_fma_f64 v[177:178], -v[173:174], v[175:176], 1.0
	s_delay_alu instid0(VALU_DEP_1) | instskip(NEXT) | instid1(VALU_DEP_1)
	v_fma_f64 v[175:176], v[175:176], v[177:178], v[175:176]
	v_mul_f64 v[177:178], v[179:180], v[175:176]
	s_delay_alu instid0(VALU_DEP_1) | instskip(NEXT) | instid1(VALU_DEP_1)
	v_fma_f64 v[173:174], -v[173:174], v[177:178], v[179:180]
	v_div_fmas_f64 v[173:174], v[173:174], v[175:176], v[177:178]
	s_delay_alu instid0(VALU_DEP_1) | instskip(NEXT) | instid1(VALU_DEP_1)
	v_div_fixup_f64 v[173:174], v[173:174], v[156:157], v[158:159]
	v_fma_f64 v[156:157], v[158:159], v[173:174], v[156:157]
	s_delay_alu instid0(VALU_DEP_1) | instskip(NEXT) | instid1(VALU_DEP_1)
	v_div_scale_f64 v[158:159], null, v[156:157], v[156:157], 1.0
	v_rcp_f64_e32 v[175:176], v[158:159]
	s_waitcnt_depctr 0xfff
	v_fma_f64 v[177:178], -v[158:159], v[175:176], 1.0
	s_delay_alu instid0(VALU_DEP_1) | instskip(NEXT) | instid1(VALU_DEP_1)
	v_fma_f64 v[175:176], v[175:176], v[177:178], v[175:176]
	v_fma_f64 v[177:178], -v[158:159], v[175:176], 1.0
	s_delay_alu instid0(VALU_DEP_1) | instskip(SKIP_1) | instid1(VALU_DEP_1)
	v_fma_f64 v[175:176], v[175:176], v[177:178], v[175:176]
	v_div_scale_f64 v[177:178], vcc_lo, 1.0, v[156:157], 1.0
	v_mul_f64 v[179:180], v[177:178], v[175:176]
	s_delay_alu instid0(VALU_DEP_1) | instskip(NEXT) | instid1(VALU_DEP_1)
	v_fma_f64 v[158:159], -v[158:159], v[179:180], v[177:178]
	v_div_fmas_f64 v[158:159], v[158:159], v[175:176], v[179:180]
	s_delay_alu instid0(VALU_DEP_1) | instskip(NEXT) | instid1(VALU_DEP_1)
	v_div_fixup_f64 v[156:157], v[158:159], v[156:157], 1.0
	v_mul_f64 v[158:159], v[173:174], -v[156:157]
.LBB76_282:
	s_or_b32 exec_lo, exec_lo, s2
.LBB76_283:
	s_delay_alu instid0(SALU_CYCLE_1) | instskip(NEXT) | instid1(SALU_CYCLE_1)
	s_or_b32 exec_lo, exec_lo, s3
	s_mov_b32 s2, exec_lo
	v_cmpx_ne_u32_e64 v172, v164
	s_xor_b32 s2, exec_lo, s2
	s_cbranch_execz .LBB76_289
; %bb.284:
	s_mov_b32 s3, exec_lo
	v_cmpx_eq_u32_e32 13, v172
	s_cbranch_execz .LBB76_288
; %bb.285:
	v_cmp_ne_u32_e32 vcc_lo, 13, v164
	s_xor_b32 s6, s4, -1
	s_delay_alu instid0(SALU_CYCLE_1) | instskip(NEXT) | instid1(SALU_CYCLE_1)
	s_and_b32 s7, s6, vcc_lo
	s_and_saveexec_b32 s6, s7
	s_cbranch_execz .LBB76_287
; %bb.286:
	v_ashrrev_i32_e32 v165, 31, v164
	s_delay_alu instid0(VALU_DEP_1) | instskip(NEXT) | instid1(VALU_DEP_1)
	v_lshlrev_b64 v[171:172], 2, v[164:165]
	v_add_co_u32 v171, vcc_lo, v162, v171
	s_delay_alu instid0(VALU_DEP_2)
	v_add_co_ci_u32_e32 v172, vcc_lo, v163, v172, vcc_lo
	s_clause 0x1
	flat_load_b32 v165, v[171:172]
	flat_load_b32 v173, v[162:163] offset:52
	s_waitcnt vmcnt(1) lgkmcnt(1)
	flat_store_b32 v[162:163], v165 offset:52
	s_waitcnt vmcnt(0) lgkmcnt(1)
	flat_store_b32 v[171:172], v173
.LBB76_287:
	s_or_b32 exec_lo, exec_lo, s6
	v_mov_b32_e32 v172, v164
	v_mov_b32_e32 v171, v164
.LBB76_288:
	s_or_b32 exec_lo, exec_lo, s3
.LBB76_289:
	s_and_not1_saveexec_b32 s2, s2
	s_cbranch_execz .LBB76_291
; %bb.290:
	v_mov_b32_e32 v172, 13
	ds_store_2addr_b64 v166, v[104:105], v[106:107] offset0:28 offset1:29
	ds_store_2addr_b64 v166, v[100:101], v[102:103] offset0:30 offset1:31
	;; [unrolled: 1-line block ×25, first 2 shown]
.LBB76_291:
	s_or_b32 exec_lo, exec_lo, s2
	s_delay_alu instid0(SALU_CYCLE_1)
	s_mov_b32 s2, exec_lo
	s_waitcnt lgkmcnt(0)
	s_waitcnt_vscnt null, 0x0
	s_barrier
	buffer_gl0_inv
	v_cmpx_lt_i32_e32 13, v172
	s_cbranch_execz .LBB76_293
; %bb.292:
	v_mul_f64 v[164:165], v[158:159], v[110:111]
	v_mul_f64 v[110:111], v[156:157], v[110:111]
	s_delay_alu instid0(VALU_DEP_2) | instskip(NEXT) | instid1(VALU_DEP_2)
	v_fma_f64 v[164:165], v[156:157], v[108:109], -v[164:165]
	v_fma_f64 v[110:111], v[158:159], v[108:109], v[110:111]
	ds_load_2addr_b64 v[156:159], v166 offset0:28 offset1:29
	s_waitcnt lgkmcnt(0)
	v_mul_f64 v[108:109], v[158:159], v[110:111]
	s_delay_alu instid0(VALU_DEP_1) | instskip(SKIP_1) | instid1(VALU_DEP_2)
	v_fma_f64 v[108:109], v[156:157], v[164:165], -v[108:109]
	v_mul_f64 v[156:157], v[156:157], v[110:111]
	v_add_f64 v[104:105], v[104:105], -v[108:109]
	s_delay_alu instid0(VALU_DEP_2) | instskip(NEXT) | instid1(VALU_DEP_1)
	v_fma_f64 v[156:157], v[158:159], v[164:165], v[156:157]
	v_add_f64 v[106:107], v[106:107], -v[156:157]
	ds_load_2addr_b64 v[156:159], v166 offset0:30 offset1:31
	s_waitcnt lgkmcnt(0)
	v_mul_f64 v[108:109], v[158:159], v[110:111]
	s_delay_alu instid0(VALU_DEP_1) | instskip(SKIP_1) | instid1(VALU_DEP_2)
	v_fma_f64 v[108:109], v[156:157], v[164:165], -v[108:109]
	v_mul_f64 v[156:157], v[156:157], v[110:111]
	v_add_f64 v[100:101], v[100:101], -v[108:109]
	s_delay_alu instid0(VALU_DEP_2) | instskip(NEXT) | instid1(VALU_DEP_1)
	v_fma_f64 v[156:157], v[158:159], v[164:165], v[156:157]
	v_add_f64 v[102:103], v[102:103], -v[156:157]
	;; [unrolled: 10-line block ×24, first 2 shown]
	ds_load_2addr_b64 v[156:159], v166 offset0:76 offset1:77
	s_waitcnt lgkmcnt(0)
	v_mul_f64 v[108:109], v[158:159], v[110:111]
	s_delay_alu instid0(VALU_DEP_1) | instskip(SKIP_1) | instid1(VALU_DEP_2)
	v_fma_f64 v[108:109], v[156:157], v[164:165], -v[108:109]
	v_mul_f64 v[156:157], v[156:157], v[110:111]
	v_add_f64 v[0:1], v[0:1], -v[108:109]
	s_delay_alu instid0(VALU_DEP_2) | instskip(SKIP_1) | instid1(VALU_DEP_2)
	v_fma_f64 v[156:157], v[158:159], v[164:165], v[156:157]
	v_dual_mov_b32 v108, v164 :: v_dual_mov_b32 v109, v165
	v_add_f64 v[2:3], v[2:3], -v[156:157]
.LBB76_293:
	s_or_b32 exec_lo, exec_lo, s2
	v_lshl_add_u32 v156, v172, 4, v166
	s_barrier
	buffer_gl0_inv
	v_mov_b32_e32 v164, 14
	ds_store_2addr_b64 v156, v[104:105], v[106:107] offset1:1
	s_waitcnt lgkmcnt(0)
	s_barrier
	buffer_gl0_inv
	ds_load_2addr_b64 v[156:159], v166 offset0:28 offset1:29
	s_cmp_lt_i32 s5, 16
	s_cbranch_scc1 .LBB76_296
; %bb.294:
	v_add3_u32 v165, v170, 0, 0xf0
	v_mov_b32_e32 v164, 14
	s_mov_b32 s6, 15
	s_set_inst_prefetch_distance 0x1
	.p2align	6
.LBB76_295:                             ; =>This Inner Loop Header: Depth=1
	ds_load_2addr_b64 v[173:176], v165 offset1:1
	s_waitcnt lgkmcnt(1)
	v_cmp_gt_f64_e32 vcc_lo, 0, v[156:157]
	v_xor_b32_e32 v177, 0x80000000, v157
	v_cmp_gt_f64_e64 s2, 0, v[158:159]
	v_xor_b32_e32 v179, 0x80000000, v159
	v_add_nc_u32_e32 v165, 16, v165
	s_waitcnt lgkmcnt(0)
	v_cmp_gt_f64_e64 s3, 0, v[173:174]
	v_mov_b32_e32 v181, v173
	v_dual_mov_b32 v183, v175 :: v_dual_cndmask_b32 v178, v157, v177
	v_xor_b32_e32 v177, 0x80000000, v174
	v_cndmask_b32_e64 v180, v159, v179, s2
	v_xor_b32_e32 v179, 0x80000000, v176
	s_delay_alu instid0(VALU_DEP_3) | instskip(SKIP_2) | instid1(VALU_DEP_2)
	v_cndmask_b32_e64 v182, v174, v177, s3
	v_cmp_gt_f64_e64 s3, 0, v[175:176]
	v_cndmask_b32_e32 v177, v156, v156, vcc_lo
	v_cndmask_b32_e64 v184, v176, v179, s3
	v_cndmask_b32_e64 v179, v158, v158, s2
	s_delay_alu instid0(VALU_DEP_2) | instskip(NEXT) | instid1(VALU_DEP_2)
	v_add_f64 v[181:182], v[181:182], v[183:184]
	v_add_f64 v[177:178], v[177:178], v[179:180]
	s_delay_alu instid0(VALU_DEP_1) | instskip(SKIP_4) | instid1(SALU_CYCLE_1)
	v_cmp_lt_f64_e32 vcc_lo, v[177:178], v[181:182]
	v_dual_cndmask_b32 v158, v158, v175 :: v_dual_cndmask_b32 v157, v157, v174
	v_dual_cndmask_b32 v156, v156, v173 :: v_dual_cndmask_b32 v159, v159, v176
	v_cndmask_b32_e64 v164, v164, s6, vcc_lo
	s_add_i32 s6, s6, 1
	s_cmp_lg_u32 s5, s6
	s_cbranch_scc1 .LBB76_295
.LBB76_296:
	s_set_inst_prefetch_distance 0x2
	s_waitcnt lgkmcnt(0)
	v_cmp_eq_f64_e32 vcc_lo, 0, v[156:157]
	v_cmp_eq_f64_e64 s2, 0, v[158:159]
	s_delay_alu instid0(VALU_DEP_1) | instskip(NEXT) | instid1(SALU_CYCLE_1)
	s_and_b32 s2, vcc_lo, s2
	s_and_saveexec_b32 s3, s2
	s_delay_alu instid0(SALU_CYCLE_1)
	s_xor_b32 s2, exec_lo, s3
; %bb.297:
	v_cmp_ne_u32_e32 vcc_lo, 0, v169
	v_cndmask_b32_e32 v169, 15, v169, vcc_lo
; %bb.298:
	s_and_not1_saveexec_b32 s3, s2
	s_cbranch_execz .LBB76_304
; %bb.299:
	v_cmp_gt_f64_e32 vcc_lo, 0, v[156:157]
	v_cmp_gt_f64_e64 s2, 0, v[158:159]
	v_xor_b32_e32 v165, 0x80000000, v157
	v_xor_b32_e32 v173, 0x80000000, v159
	s_delay_alu instid0(VALU_DEP_2) | instskip(NEXT) | instid1(VALU_DEP_2)
	v_cndmask_b32_e32 v174, v157, v165, vcc_lo
	v_cndmask_b32_e64 v176, v159, v173, s2
	v_cndmask_b32_e32 v173, v156, v156, vcc_lo
	v_cndmask_b32_e64 v175, v158, v158, s2
	s_mov_b32 s2, exec_lo
	s_delay_alu instid0(VALU_DEP_1)
	v_cmpx_ngt_f64_e32 v[173:174], v[175:176]
	s_xor_b32 s2, exec_lo, s2
	s_cbranch_execz .LBB76_301
; %bb.300:
	v_div_scale_f64 v[173:174], null, v[158:159], v[158:159], v[156:157]
	v_div_scale_f64 v[179:180], vcc_lo, v[156:157], v[158:159], v[156:157]
	s_delay_alu instid0(VALU_DEP_2) | instskip(SKIP_2) | instid1(VALU_DEP_1)
	v_rcp_f64_e32 v[175:176], v[173:174]
	s_waitcnt_depctr 0xfff
	v_fma_f64 v[177:178], -v[173:174], v[175:176], 1.0
	v_fma_f64 v[175:176], v[175:176], v[177:178], v[175:176]
	s_delay_alu instid0(VALU_DEP_1) | instskip(NEXT) | instid1(VALU_DEP_1)
	v_fma_f64 v[177:178], -v[173:174], v[175:176], 1.0
	v_fma_f64 v[175:176], v[175:176], v[177:178], v[175:176]
	s_delay_alu instid0(VALU_DEP_1) | instskip(NEXT) | instid1(VALU_DEP_1)
	v_mul_f64 v[177:178], v[179:180], v[175:176]
	v_fma_f64 v[173:174], -v[173:174], v[177:178], v[179:180]
	s_delay_alu instid0(VALU_DEP_1) | instskip(NEXT) | instid1(VALU_DEP_1)
	v_div_fmas_f64 v[173:174], v[173:174], v[175:176], v[177:178]
	v_div_fixup_f64 v[173:174], v[173:174], v[158:159], v[156:157]
	s_delay_alu instid0(VALU_DEP_1) | instskip(NEXT) | instid1(VALU_DEP_1)
	v_fma_f64 v[156:157], v[156:157], v[173:174], v[158:159]
	v_div_scale_f64 v[158:159], null, v[156:157], v[156:157], 1.0
	s_delay_alu instid0(VALU_DEP_1) | instskip(SKIP_2) | instid1(VALU_DEP_1)
	v_rcp_f64_e32 v[175:176], v[158:159]
	s_waitcnt_depctr 0xfff
	v_fma_f64 v[177:178], -v[158:159], v[175:176], 1.0
	v_fma_f64 v[175:176], v[175:176], v[177:178], v[175:176]
	s_delay_alu instid0(VALU_DEP_1) | instskip(NEXT) | instid1(VALU_DEP_1)
	v_fma_f64 v[177:178], -v[158:159], v[175:176], 1.0
	v_fma_f64 v[175:176], v[175:176], v[177:178], v[175:176]
	v_div_scale_f64 v[177:178], vcc_lo, 1.0, v[156:157], 1.0
	s_delay_alu instid0(VALU_DEP_1) | instskip(NEXT) | instid1(VALU_DEP_1)
	v_mul_f64 v[179:180], v[177:178], v[175:176]
	v_fma_f64 v[158:159], -v[158:159], v[179:180], v[177:178]
	s_delay_alu instid0(VALU_DEP_1) | instskip(NEXT) | instid1(VALU_DEP_1)
	v_div_fmas_f64 v[158:159], v[158:159], v[175:176], v[179:180]
	v_div_fixup_f64 v[158:159], v[158:159], v[156:157], 1.0
	s_delay_alu instid0(VALU_DEP_1)
	v_mul_f64 v[156:157], v[173:174], v[158:159]
	v_xor_b32_e32 v159, 0x80000000, v159
.LBB76_301:
	s_and_not1_saveexec_b32 s2, s2
	s_cbranch_execz .LBB76_303
; %bb.302:
	s_delay_alu instid0(VALU_DEP_1) | instskip(SKIP_1) | instid1(VALU_DEP_2)
	v_div_scale_f64 v[173:174], null, v[156:157], v[156:157], v[158:159]
	v_div_scale_f64 v[179:180], vcc_lo, v[158:159], v[156:157], v[158:159]
	v_rcp_f64_e32 v[175:176], v[173:174]
	s_waitcnt_depctr 0xfff
	v_fma_f64 v[177:178], -v[173:174], v[175:176], 1.0
	s_delay_alu instid0(VALU_DEP_1) | instskip(NEXT) | instid1(VALU_DEP_1)
	v_fma_f64 v[175:176], v[175:176], v[177:178], v[175:176]
	v_fma_f64 v[177:178], -v[173:174], v[175:176], 1.0
	s_delay_alu instid0(VALU_DEP_1) | instskip(NEXT) | instid1(VALU_DEP_1)
	v_fma_f64 v[175:176], v[175:176], v[177:178], v[175:176]
	v_mul_f64 v[177:178], v[179:180], v[175:176]
	s_delay_alu instid0(VALU_DEP_1) | instskip(NEXT) | instid1(VALU_DEP_1)
	v_fma_f64 v[173:174], -v[173:174], v[177:178], v[179:180]
	v_div_fmas_f64 v[173:174], v[173:174], v[175:176], v[177:178]
	s_delay_alu instid0(VALU_DEP_1) | instskip(NEXT) | instid1(VALU_DEP_1)
	v_div_fixup_f64 v[173:174], v[173:174], v[156:157], v[158:159]
	v_fma_f64 v[156:157], v[158:159], v[173:174], v[156:157]
	s_delay_alu instid0(VALU_DEP_1) | instskip(NEXT) | instid1(VALU_DEP_1)
	v_div_scale_f64 v[158:159], null, v[156:157], v[156:157], 1.0
	v_rcp_f64_e32 v[175:176], v[158:159]
	s_waitcnt_depctr 0xfff
	v_fma_f64 v[177:178], -v[158:159], v[175:176], 1.0
	s_delay_alu instid0(VALU_DEP_1) | instskip(NEXT) | instid1(VALU_DEP_1)
	v_fma_f64 v[175:176], v[175:176], v[177:178], v[175:176]
	v_fma_f64 v[177:178], -v[158:159], v[175:176], 1.0
	s_delay_alu instid0(VALU_DEP_1) | instskip(SKIP_1) | instid1(VALU_DEP_1)
	v_fma_f64 v[175:176], v[175:176], v[177:178], v[175:176]
	v_div_scale_f64 v[177:178], vcc_lo, 1.0, v[156:157], 1.0
	v_mul_f64 v[179:180], v[177:178], v[175:176]
	s_delay_alu instid0(VALU_DEP_1) | instskip(NEXT) | instid1(VALU_DEP_1)
	v_fma_f64 v[158:159], -v[158:159], v[179:180], v[177:178]
	v_div_fmas_f64 v[158:159], v[158:159], v[175:176], v[179:180]
	s_delay_alu instid0(VALU_DEP_1) | instskip(NEXT) | instid1(VALU_DEP_1)
	v_div_fixup_f64 v[156:157], v[158:159], v[156:157], 1.0
	v_mul_f64 v[158:159], v[173:174], -v[156:157]
.LBB76_303:
	s_or_b32 exec_lo, exec_lo, s2
.LBB76_304:
	s_delay_alu instid0(SALU_CYCLE_1) | instskip(NEXT) | instid1(SALU_CYCLE_1)
	s_or_b32 exec_lo, exec_lo, s3
	s_mov_b32 s2, exec_lo
	v_cmpx_ne_u32_e64 v172, v164
	s_xor_b32 s2, exec_lo, s2
	s_cbranch_execz .LBB76_310
; %bb.305:
	s_mov_b32 s3, exec_lo
	v_cmpx_eq_u32_e32 14, v172
	s_cbranch_execz .LBB76_309
; %bb.306:
	v_cmp_ne_u32_e32 vcc_lo, 14, v164
	s_xor_b32 s6, s4, -1
	s_delay_alu instid0(SALU_CYCLE_1) | instskip(NEXT) | instid1(SALU_CYCLE_1)
	s_and_b32 s7, s6, vcc_lo
	s_and_saveexec_b32 s6, s7
	s_cbranch_execz .LBB76_308
; %bb.307:
	v_ashrrev_i32_e32 v165, 31, v164
	s_delay_alu instid0(VALU_DEP_1) | instskip(NEXT) | instid1(VALU_DEP_1)
	v_lshlrev_b64 v[171:172], 2, v[164:165]
	v_add_co_u32 v171, vcc_lo, v162, v171
	s_delay_alu instid0(VALU_DEP_2)
	v_add_co_ci_u32_e32 v172, vcc_lo, v163, v172, vcc_lo
	s_clause 0x1
	flat_load_b32 v165, v[171:172]
	flat_load_b32 v173, v[162:163] offset:56
	s_waitcnt vmcnt(1) lgkmcnt(1)
	flat_store_b32 v[162:163], v165 offset:56
	s_waitcnt vmcnt(0) lgkmcnt(1)
	flat_store_b32 v[171:172], v173
.LBB76_308:
	s_or_b32 exec_lo, exec_lo, s6
	v_mov_b32_e32 v172, v164
	v_mov_b32_e32 v171, v164
.LBB76_309:
	s_or_b32 exec_lo, exec_lo, s3
.LBB76_310:
	s_and_not1_saveexec_b32 s2, s2
	s_cbranch_execz .LBB76_312
; %bb.311:
	v_mov_b32_e32 v172, 14
	ds_store_2addr_b64 v166, v[100:101], v[102:103] offset0:30 offset1:31
	ds_store_2addr_b64 v166, v[96:97], v[98:99] offset0:32 offset1:33
	;; [unrolled: 1-line block ×24, first 2 shown]
.LBB76_312:
	s_or_b32 exec_lo, exec_lo, s2
	s_delay_alu instid0(SALU_CYCLE_1)
	s_mov_b32 s2, exec_lo
	s_waitcnt lgkmcnt(0)
	s_waitcnt_vscnt null, 0x0
	s_barrier
	buffer_gl0_inv
	v_cmpx_lt_i32_e32 14, v172
	s_cbranch_execz .LBB76_314
; %bb.313:
	v_mul_f64 v[164:165], v[158:159], v[106:107]
	v_mul_f64 v[106:107], v[156:157], v[106:107]
	s_delay_alu instid0(VALU_DEP_2) | instskip(NEXT) | instid1(VALU_DEP_2)
	v_fma_f64 v[164:165], v[156:157], v[104:105], -v[164:165]
	v_fma_f64 v[106:107], v[158:159], v[104:105], v[106:107]
	ds_load_2addr_b64 v[156:159], v166 offset0:30 offset1:31
	s_waitcnt lgkmcnt(0)
	v_mul_f64 v[104:105], v[158:159], v[106:107]
	s_delay_alu instid0(VALU_DEP_1) | instskip(SKIP_1) | instid1(VALU_DEP_2)
	v_fma_f64 v[104:105], v[156:157], v[164:165], -v[104:105]
	v_mul_f64 v[156:157], v[156:157], v[106:107]
	v_add_f64 v[100:101], v[100:101], -v[104:105]
	s_delay_alu instid0(VALU_DEP_2) | instskip(NEXT) | instid1(VALU_DEP_1)
	v_fma_f64 v[156:157], v[158:159], v[164:165], v[156:157]
	v_add_f64 v[102:103], v[102:103], -v[156:157]
	ds_load_2addr_b64 v[156:159], v166 offset0:32 offset1:33
	s_waitcnt lgkmcnt(0)
	v_mul_f64 v[104:105], v[158:159], v[106:107]
	s_delay_alu instid0(VALU_DEP_1) | instskip(SKIP_1) | instid1(VALU_DEP_2)
	v_fma_f64 v[104:105], v[156:157], v[164:165], -v[104:105]
	v_mul_f64 v[156:157], v[156:157], v[106:107]
	v_add_f64 v[96:97], v[96:97], -v[104:105]
	s_delay_alu instid0(VALU_DEP_2) | instskip(NEXT) | instid1(VALU_DEP_1)
	v_fma_f64 v[156:157], v[158:159], v[164:165], v[156:157]
	v_add_f64 v[98:99], v[98:99], -v[156:157]
	;; [unrolled: 10-line block ×23, first 2 shown]
	ds_load_2addr_b64 v[156:159], v166 offset0:76 offset1:77
	s_waitcnt lgkmcnt(0)
	v_mul_f64 v[104:105], v[158:159], v[106:107]
	s_delay_alu instid0(VALU_DEP_1) | instskip(SKIP_1) | instid1(VALU_DEP_2)
	v_fma_f64 v[104:105], v[156:157], v[164:165], -v[104:105]
	v_mul_f64 v[156:157], v[156:157], v[106:107]
	v_add_f64 v[0:1], v[0:1], -v[104:105]
	s_delay_alu instid0(VALU_DEP_2) | instskip(SKIP_1) | instid1(VALU_DEP_2)
	v_fma_f64 v[156:157], v[158:159], v[164:165], v[156:157]
	v_dual_mov_b32 v104, v164 :: v_dual_mov_b32 v105, v165
	v_add_f64 v[2:3], v[2:3], -v[156:157]
.LBB76_314:
	s_or_b32 exec_lo, exec_lo, s2
	v_lshl_add_u32 v156, v172, 4, v166
	s_barrier
	buffer_gl0_inv
	v_mov_b32_e32 v164, 15
	ds_store_2addr_b64 v156, v[100:101], v[102:103] offset1:1
	s_waitcnt lgkmcnt(0)
	s_barrier
	buffer_gl0_inv
	ds_load_2addr_b64 v[156:159], v166 offset0:30 offset1:31
	s_cmp_lt_i32 s5, 17
	s_cbranch_scc1 .LBB76_317
; %bb.315:
	v_add3_u32 v165, v170, 0, 0x100
	v_mov_b32_e32 v164, 15
	s_mov_b32 s6, 16
	s_set_inst_prefetch_distance 0x1
	.p2align	6
.LBB76_316:                             ; =>This Inner Loop Header: Depth=1
	ds_load_2addr_b64 v[173:176], v165 offset1:1
	s_waitcnt lgkmcnt(1)
	v_cmp_gt_f64_e32 vcc_lo, 0, v[156:157]
	v_xor_b32_e32 v177, 0x80000000, v157
	v_cmp_gt_f64_e64 s2, 0, v[158:159]
	v_xor_b32_e32 v179, 0x80000000, v159
	v_add_nc_u32_e32 v165, 16, v165
	s_waitcnt lgkmcnt(0)
	v_cmp_gt_f64_e64 s3, 0, v[173:174]
	v_mov_b32_e32 v181, v173
	v_dual_mov_b32 v183, v175 :: v_dual_cndmask_b32 v178, v157, v177
	v_xor_b32_e32 v177, 0x80000000, v174
	v_cndmask_b32_e64 v180, v159, v179, s2
	v_xor_b32_e32 v179, 0x80000000, v176
	s_delay_alu instid0(VALU_DEP_3) | instskip(SKIP_2) | instid1(VALU_DEP_2)
	v_cndmask_b32_e64 v182, v174, v177, s3
	v_cmp_gt_f64_e64 s3, 0, v[175:176]
	v_cndmask_b32_e32 v177, v156, v156, vcc_lo
	v_cndmask_b32_e64 v184, v176, v179, s3
	v_cndmask_b32_e64 v179, v158, v158, s2
	s_delay_alu instid0(VALU_DEP_2) | instskip(NEXT) | instid1(VALU_DEP_2)
	v_add_f64 v[181:182], v[181:182], v[183:184]
	v_add_f64 v[177:178], v[177:178], v[179:180]
	s_delay_alu instid0(VALU_DEP_1) | instskip(SKIP_4) | instid1(SALU_CYCLE_1)
	v_cmp_lt_f64_e32 vcc_lo, v[177:178], v[181:182]
	v_dual_cndmask_b32 v158, v158, v175 :: v_dual_cndmask_b32 v157, v157, v174
	v_dual_cndmask_b32 v156, v156, v173 :: v_dual_cndmask_b32 v159, v159, v176
	v_cndmask_b32_e64 v164, v164, s6, vcc_lo
	s_add_i32 s6, s6, 1
	s_cmp_lg_u32 s5, s6
	s_cbranch_scc1 .LBB76_316
.LBB76_317:
	s_set_inst_prefetch_distance 0x2
	s_waitcnt lgkmcnt(0)
	v_cmp_eq_f64_e32 vcc_lo, 0, v[156:157]
	v_cmp_eq_f64_e64 s2, 0, v[158:159]
	s_delay_alu instid0(VALU_DEP_1) | instskip(NEXT) | instid1(SALU_CYCLE_1)
	s_and_b32 s2, vcc_lo, s2
	s_and_saveexec_b32 s3, s2
	s_delay_alu instid0(SALU_CYCLE_1)
	s_xor_b32 s2, exec_lo, s3
; %bb.318:
	v_cmp_ne_u32_e32 vcc_lo, 0, v169
	v_cndmask_b32_e32 v169, 16, v169, vcc_lo
; %bb.319:
	s_and_not1_saveexec_b32 s3, s2
	s_cbranch_execz .LBB76_325
; %bb.320:
	v_cmp_gt_f64_e32 vcc_lo, 0, v[156:157]
	v_cmp_gt_f64_e64 s2, 0, v[158:159]
	v_xor_b32_e32 v165, 0x80000000, v157
	v_xor_b32_e32 v173, 0x80000000, v159
	s_delay_alu instid0(VALU_DEP_2) | instskip(NEXT) | instid1(VALU_DEP_2)
	v_cndmask_b32_e32 v174, v157, v165, vcc_lo
	v_cndmask_b32_e64 v176, v159, v173, s2
	v_cndmask_b32_e32 v173, v156, v156, vcc_lo
	v_cndmask_b32_e64 v175, v158, v158, s2
	s_mov_b32 s2, exec_lo
	s_delay_alu instid0(VALU_DEP_1)
	v_cmpx_ngt_f64_e32 v[173:174], v[175:176]
	s_xor_b32 s2, exec_lo, s2
	s_cbranch_execz .LBB76_322
; %bb.321:
	v_div_scale_f64 v[173:174], null, v[158:159], v[158:159], v[156:157]
	v_div_scale_f64 v[179:180], vcc_lo, v[156:157], v[158:159], v[156:157]
	s_delay_alu instid0(VALU_DEP_2) | instskip(SKIP_2) | instid1(VALU_DEP_1)
	v_rcp_f64_e32 v[175:176], v[173:174]
	s_waitcnt_depctr 0xfff
	v_fma_f64 v[177:178], -v[173:174], v[175:176], 1.0
	v_fma_f64 v[175:176], v[175:176], v[177:178], v[175:176]
	s_delay_alu instid0(VALU_DEP_1) | instskip(NEXT) | instid1(VALU_DEP_1)
	v_fma_f64 v[177:178], -v[173:174], v[175:176], 1.0
	v_fma_f64 v[175:176], v[175:176], v[177:178], v[175:176]
	s_delay_alu instid0(VALU_DEP_1) | instskip(NEXT) | instid1(VALU_DEP_1)
	v_mul_f64 v[177:178], v[179:180], v[175:176]
	v_fma_f64 v[173:174], -v[173:174], v[177:178], v[179:180]
	s_delay_alu instid0(VALU_DEP_1) | instskip(NEXT) | instid1(VALU_DEP_1)
	v_div_fmas_f64 v[173:174], v[173:174], v[175:176], v[177:178]
	v_div_fixup_f64 v[173:174], v[173:174], v[158:159], v[156:157]
	s_delay_alu instid0(VALU_DEP_1) | instskip(NEXT) | instid1(VALU_DEP_1)
	v_fma_f64 v[156:157], v[156:157], v[173:174], v[158:159]
	v_div_scale_f64 v[158:159], null, v[156:157], v[156:157], 1.0
	s_delay_alu instid0(VALU_DEP_1) | instskip(SKIP_2) | instid1(VALU_DEP_1)
	v_rcp_f64_e32 v[175:176], v[158:159]
	s_waitcnt_depctr 0xfff
	v_fma_f64 v[177:178], -v[158:159], v[175:176], 1.0
	v_fma_f64 v[175:176], v[175:176], v[177:178], v[175:176]
	s_delay_alu instid0(VALU_DEP_1) | instskip(NEXT) | instid1(VALU_DEP_1)
	v_fma_f64 v[177:178], -v[158:159], v[175:176], 1.0
	v_fma_f64 v[175:176], v[175:176], v[177:178], v[175:176]
	v_div_scale_f64 v[177:178], vcc_lo, 1.0, v[156:157], 1.0
	s_delay_alu instid0(VALU_DEP_1) | instskip(NEXT) | instid1(VALU_DEP_1)
	v_mul_f64 v[179:180], v[177:178], v[175:176]
	v_fma_f64 v[158:159], -v[158:159], v[179:180], v[177:178]
	s_delay_alu instid0(VALU_DEP_1) | instskip(NEXT) | instid1(VALU_DEP_1)
	v_div_fmas_f64 v[158:159], v[158:159], v[175:176], v[179:180]
	v_div_fixup_f64 v[158:159], v[158:159], v[156:157], 1.0
	s_delay_alu instid0(VALU_DEP_1)
	v_mul_f64 v[156:157], v[173:174], v[158:159]
	v_xor_b32_e32 v159, 0x80000000, v159
.LBB76_322:
	s_and_not1_saveexec_b32 s2, s2
	s_cbranch_execz .LBB76_324
; %bb.323:
	s_delay_alu instid0(VALU_DEP_1) | instskip(SKIP_1) | instid1(VALU_DEP_2)
	v_div_scale_f64 v[173:174], null, v[156:157], v[156:157], v[158:159]
	v_div_scale_f64 v[179:180], vcc_lo, v[158:159], v[156:157], v[158:159]
	v_rcp_f64_e32 v[175:176], v[173:174]
	s_waitcnt_depctr 0xfff
	v_fma_f64 v[177:178], -v[173:174], v[175:176], 1.0
	s_delay_alu instid0(VALU_DEP_1) | instskip(NEXT) | instid1(VALU_DEP_1)
	v_fma_f64 v[175:176], v[175:176], v[177:178], v[175:176]
	v_fma_f64 v[177:178], -v[173:174], v[175:176], 1.0
	s_delay_alu instid0(VALU_DEP_1) | instskip(NEXT) | instid1(VALU_DEP_1)
	v_fma_f64 v[175:176], v[175:176], v[177:178], v[175:176]
	v_mul_f64 v[177:178], v[179:180], v[175:176]
	s_delay_alu instid0(VALU_DEP_1) | instskip(NEXT) | instid1(VALU_DEP_1)
	v_fma_f64 v[173:174], -v[173:174], v[177:178], v[179:180]
	v_div_fmas_f64 v[173:174], v[173:174], v[175:176], v[177:178]
	s_delay_alu instid0(VALU_DEP_1) | instskip(NEXT) | instid1(VALU_DEP_1)
	v_div_fixup_f64 v[173:174], v[173:174], v[156:157], v[158:159]
	v_fma_f64 v[156:157], v[158:159], v[173:174], v[156:157]
	s_delay_alu instid0(VALU_DEP_1) | instskip(NEXT) | instid1(VALU_DEP_1)
	v_div_scale_f64 v[158:159], null, v[156:157], v[156:157], 1.0
	v_rcp_f64_e32 v[175:176], v[158:159]
	s_waitcnt_depctr 0xfff
	v_fma_f64 v[177:178], -v[158:159], v[175:176], 1.0
	s_delay_alu instid0(VALU_DEP_1) | instskip(NEXT) | instid1(VALU_DEP_1)
	v_fma_f64 v[175:176], v[175:176], v[177:178], v[175:176]
	v_fma_f64 v[177:178], -v[158:159], v[175:176], 1.0
	s_delay_alu instid0(VALU_DEP_1) | instskip(SKIP_1) | instid1(VALU_DEP_1)
	v_fma_f64 v[175:176], v[175:176], v[177:178], v[175:176]
	v_div_scale_f64 v[177:178], vcc_lo, 1.0, v[156:157], 1.0
	v_mul_f64 v[179:180], v[177:178], v[175:176]
	s_delay_alu instid0(VALU_DEP_1) | instskip(NEXT) | instid1(VALU_DEP_1)
	v_fma_f64 v[158:159], -v[158:159], v[179:180], v[177:178]
	v_div_fmas_f64 v[158:159], v[158:159], v[175:176], v[179:180]
	s_delay_alu instid0(VALU_DEP_1) | instskip(NEXT) | instid1(VALU_DEP_1)
	v_div_fixup_f64 v[156:157], v[158:159], v[156:157], 1.0
	v_mul_f64 v[158:159], v[173:174], -v[156:157]
.LBB76_324:
	s_or_b32 exec_lo, exec_lo, s2
.LBB76_325:
	s_delay_alu instid0(SALU_CYCLE_1) | instskip(NEXT) | instid1(SALU_CYCLE_1)
	s_or_b32 exec_lo, exec_lo, s3
	s_mov_b32 s2, exec_lo
	v_cmpx_ne_u32_e64 v172, v164
	s_xor_b32 s2, exec_lo, s2
	s_cbranch_execz .LBB76_331
; %bb.326:
	s_mov_b32 s3, exec_lo
	v_cmpx_eq_u32_e32 15, v172
	s_cbranch_execz .LBB76_330
; %bb.327:
	v_cmp_ne_u32_e32 vcc_lo, 15, v164
	s_xor_b32 s6, s4, -1
	s_delay_alu instid0(SALU_CYCLE_1) | instskip(NEXT) | instid1(SALU_CYCLE_1)
	s_and_b32 s7, s6, vcc_lo
	s_and_saveexec_b32 s6, s7
	s_cbranch_execz .LBB76_329
; %bb.328:
	v_ashrrev_i32_e32 v165, 31, v164
	s_delay_alu instid0(VALU_DEP_1) | instskip(NEXT) | instid1(VALU_DEP_1)
	v_lshlrev_b64 v[171:172], 2, v[164:165]
	v_add_co_u32 v171, vcc_lo, v162, v171
	s_delay_alu instid0(VALU_DEP_2)
	v_add_co_ci_u32_e32 v172, vcc_lo, v163, v172, vcc_lo
	s_clause 0x1
	flat_load_b32 v165, v[171:172]
	flat_load_b32 v173, v[162:163] offset:60
	s_waitcnt vmcnt(1) lgkmcnt(1)
	flat_store_b32 v[162:163], v165 offset:60
	s_waitcnt vmcnt(0) lgkmcnt(1)
	flat_store_b32 v[171:172], v173
.LBB76_329:
	s_or_b32 exec_lo, exec_lo, s6
	v_mov_b32_e32 v172, v164
	v_mov_b32_e32 v171, v164
.LBB76_330:
	s_or_b32 exec_lo, exec_lo, s3
.LBB76_331:
	s_and_not1_saveexec_b32 s2, s2
	s_cbranch_execz .LBB76_333
; %bb.332:
	v_mov_b32_e32 v172, 15
	ds_store_2addr_b64 v166, v[96:97], v[98:99] offset0:32 offset1:33
	ds_store_2addr_b64 v166, v[92:93], v[94:95] offset0:34 offset1:35
	;; [unrolled: 1-line block ×23, first 2 shown]
.LBB76_333:
	s_or_b32 exec_lo, exec_lo, s2
	s_delay_alu instid0(SALU_CYCLE_1)
	s_mov_b32 s2, exec_lo
	s_waitcnt lgkmcnt(0)
	s_waitcnt_vscnt null, 0x0
	s_barrier
	buffer_gl0_inv
	v_cmpx_lt_i32_e32 15, v172
	s_cbranch_execz .LBB76_335
; %bb.334:
	v_mul_f64 v[164:165], v[158:159], v[102:103]
	v_mul_f64 v[102:103], v[156:157], v[102:103]
	s_delay_alu instid0(VALU_DEP_2) | instskip(NEXT) | instid1(VALU_DEP_2)
	v_fma_f64 v[164:165], v[156:157], v[100:101], -v[164:165]
	v_fma_f64 v[102:103], v[158:159], v[100:101], v[102:103]
	ds_load_2addr_b64 v[156:159], v166 offset0:32 offset1:33
	s_waitcnt lgkmcnt(0)
	v_mul_f64 v[100:101], v[158:159], v[102:103]
	s_delay_alu instid0(VALU_DEP_1) | instskip(SKIP_1) | instid1(VALU_DEP_2)
	v_fma_f64 v[100:101], v[156:157], v[164:165], -v[100:101]
	v_mul_f64 v[156:157], v[156:157], v[102:103]
	v_add_f64 v[96:97], v[96:97], -v[100:101]
	s_delay_alu instid0(VALU_DEP_2) | instskip(NEXT) | instid1(VALU_DEP_1)
	v_fma_f64 v[156:157], v[158:159], v[164:165], v[156:157]
	v_add_f64 v[98:99], v[98:99], -v[156:157]
	ds_load_2addr_b64 v[156:159], v166 offset0:34 offset1:35
	s_waitcnt lgkmcnt(0)
	v_mul_f64 v[100:101], v[158:159], v[102:103]
	s_delay_alu instid0(VALU_DEP_1) | instskip(SKIP_1) | instid1(VALU_DEP_2)
	v_fma_f64 v[100:101], v[156:157], v[164:165], -v[100:101]
	v_mul_f64 v[156:157], v[156:157], v[102:103]
	v_add_f64 v[92:93], v[92:93], -v[100:101]
	s_delay_alu instid0(VALU_DEP_2) | instskip(NEXT) | instid1(VALU_DEP_1)
	v_fma_f64 v[156:157], v[158:159], v[164:165], v[156:157]
	v_add_f64 v[94:95], v[94:95], -v[156:157]
	;; [unrolled: 10-line block ×22, first 2 shown]
	ds_load_2addr_b64 v[156:159], v166 offset0:76 offset1:77
	s_waitcnt lgkmcnt(0)
	v_mul_f64 v[100:101], v[158:159], v[102:103]
	s_delay_alu instid0(VALU_DEP_1) | instskip(SKIP_1) | instid1(VALU_DEP_2)
	v_fma_f64 v[100:101], v[156:157], v[164:165], -v[100:101]
	v_mul_f64 v[156:157], v[156:157], v[102:103]
	v_add_f64 v[0:1], v[0:1], -v[100:101]
	s_delay_alu instid0(VALU_DEP_2) | instskip(SKIP_1) | instid1(VALU_DEP_2)
	v_fma_f64 v[156:157], v[158:159], v[164:165], v[156:157]
	v_dual_mov_b32 v100, v164 :: v_dual_mov_b32 v101, v165
	v_add_f64 v[2:3], v[2:3], -v[156:157]
.LBB76_335:
	s_or_b32 exec_lo, exec_lo, s2
	v_lshl_add_u32 v156, v172, 4, v166
	s_barrier
	buffer_gl0_inv
	v_mov_b32_e32 v164, 16
	ds_store_2addr_b64 v156, v[96:97], v[98:99] offset1:1
	s_waitcnt lgkmcnt(0)
	s_barrier
	buffer_gl0_inv
	ds_load_2addr_b64 v[156:159], v166 offset0:32 offset1:33
	s_cmp_lt_i32 s5, 18
	s_cbranch_scc1 .LBB76_338
; %bb.336:
	v_add3_u32 v165, v170, 0, 0x110
	v_mov_b32_e32 v164, 16
	s_mov_b32 s6, 17
	s_set_inst_prefetch_distance 0x1
	.p2align	6
.LBB76_337:                             ; =>This Inner Loop Header: Depth=1
	ds_load_2addr_b64 v[173:176], v165 offset1:1
	s_waitcnt lgkmcnt(1)
	v_cmp_gt_f64_e32 vcc_lo, 0, v[156:157]
	v_xor_b32_e32 v177, 0x80000000, v157
	v_cmp_gt_f64_e64 s2, 0, v[158:159]
	v_xor_b32_e32 v179, 0x80000000, v159
	v_add_nc_u32_e32 v165, 16, v165
	s_waitcnt lgkmcnt(0)
	v_cmp_gt_f64_e64 s3, 0, v[173:174]
	v_mov_b32_e32 v181, v173
	v_dual_mov_b32 v183, v175 :: v_dual_cndmask_b32 v178, v157, v177
	v_xor_b32_e32 v177, 0x80000000, v174
	v_cndmask_b32_e64 v180, v159, v179, s2
	v_xor_b32_e32 v179, 0x80000000, v176
	s_delay_alu instid0(VALU_DEP_3) | instskip(SKIP_2) | instid1(VALU_DEP_2)
	v_cndmask_b32_e64 v182, v174, v177, s3
	v_cmp_gt_f64_e64 s3, 0, v[175:176]
	v_cndmask_b32_e32 v177, v156, v156, vcc_lo
	v_cndmask_b32_e64 v184, v176, v179, s3
	v_cndmask_b32_e64 v179, v158, v158, s2
	s_delay_alu instid0(VALU_DEP_2) | instskip(NEXT) | instid1(VALU_DEP_2)
	v_add_f64 v[181:182], v[181:182], v[183:184]
	v_add_f64 v[177:178], v[177:178], v[179:180]
	s_delay_alu instid0(VALU_DEP_1) | instskip(SKIP_4) | instid1(SALU_CYCLE_1)
	v_cmp_lt_f64_e32 vcc_lo, v[177:178], v[181:182]
	v_dual_cndmask_b32 v158, v158, v175 :: v_dual_cndmask_b32 v157, v157, v174
	v_dual_cndmask_b32 v156, v156, v173 :: v_dual_cndmask_b32 v159, v159, v176
	v_cndmask_b32_e64 v164, v164, s6, vcc_lo
	s_add_i32 s6, s6, 1
	s_cmp_lg_u32 s5, s6
	s_cbranch_scc1 .LBB76_337
.LBB76_338:
	s_set_inst_prefetch_distance 0x2
	s_waitcnt lgkmcnt(0)
	v_cmp_eq_f64_e32 vcc_lo, 0, v[156:157]
	v_cmp_eq_f64_e64 s2, 0, v[158:159]
	s_delay_alu instid0(VALU_DEP_1) | instskip(NEXT) | instid1(SALU_CYCLE_1)
	s_and_b32 s2, vcc_lo, s2
	s_and_saveexec_b32 s3, s2
	s_delay_alu instid0(SALU_CYCLE_1)
	s_xor_b32 s2, exec_lo, s3
; %bb.339:
	v_cmp_ne_u32_e32 vcc_lo, 0, v169
	v_cndmask_b32_e32 v169, 17, v169, vcc_lo
; %bb.340:
	s_and_not1_saveexec_b32 s3, s2
	s_cbranch_execz .LBB76_346
; %bb.341:
	v_cmp_gt_f64_e32 vcc_lo, 0, v[156:157]
	v_cmp_gt_f64_e64 s2, 0, v[158:159]
	v_xor_b32_e32 v165, 0x80000000, v157
	v_xor_b32_e32 v173, 0x80000000, v159
	s_delay_alu instid0(VALU_DEP_2) | instskip(NEXT) | instid1(VALU_DEP_2)
	v_cndmask_b32_e32 v174, v157, v165, vcc_lo
	v_cndmask_b32_e64 v176, v159, v173, s2
	v_cndmask_b32_e32 v173, v156, v156, vcc_lo
	v_cndmask_b32_e64 v175, v158, v158, s2
	s_mov_b32 s2, exec_lo
	s_delay_alu instid0(VALU_DEP_1)
	v_cmpx_ngt_f64_e32 v[173:174], v[175:176]
	s_xor_b32 s2, exec_lo, s2
	s_cbranch_execz .LBB76_343
; %bb.342:
	v_div_scale_f64 v[173:174], null, v[158:159], v[158:159], v[156:157]
	v_div_scale_f64 v[179:180], vcc_lo, v[156:157], v[158:159], v[156:157]
	s_delay_alu instid0(VALU_DEP_2) | instskip(SKIP_2) | instid1(VALU_DEP_1)
	v_rcp_f64_e32 v[175:176], v[173:174]
	s_waitcnt_depctr 0xfff
	v_fma_f64 v[177:178], -v[173:174], v[175:176], 1.0
	v_fma_f64 v[175:176], v[175:176], v[177:178], v[175:176]
	s_delay_alu instid0(VALU_DEP_1) | instskip(NEXT) | instid1(VALU_DEP_1)
	v_fma_f64 v[177:178], -v[173:174], v[175:176], 1.0
	v_fma_f64 v[175:176], v[175:176], v[177:178], v[175:176]
	s_delay_alu instid0(VALU_DEP_1) | instskip(NEXT) | instid1(VALU_DEP_1)
	v_mul_f64 v[177:178], v[179:180], v[175:176]
	v_fma_f64 v[173:174], -v[173:174], v[177:178], v[179:180]
	s_delay_alu instid0(VALU_DEP_1) | instskip(NEXT) | instid1(VALU_DEP_1)
	v_div_fmas_f64 v[173:174], v[173:174], v[175:176], v[177:178]
	v_div_fixup_f64 v[173:174], v[173:174], v[158:159], v[156:157]
	s_delay_alu instid0(VALU_DEP_1) | instskip(NEXT) | instid1(VALU_DEP_1)
	v_fma_f64 v[156:157], v[156:157], v[173:174], v[158:159]
	v_div_scale_f64 v[158:159], null, v[156:157], v[156:157], 1.0
	s_delay_alu instid0(VALU_DEP_1) | instskip(SKIP_2) | instid1(VALU_DEP_1)
	v_rcp_f64_e32 v[175:176], v[158:159]
	s_waitcnt_depctr 0xfff
	v_fma_f64 v[177:178], -v[158:159], v[175:176], 1.0
	v_fma_f64 v[175:176], v[175:176], v[177:178], v[175:176]
	s_delay_alu instid0(VALU_DEP_1) | instskip(NEXT) | instid1(VALU_DEP_1)
	v_fma_f64 v[177:178], -v[158:159], v[175:176], 1.0
	v_fma_f64 v[175:176], v[175:176], v[177:178], v[175:176]
	v_div_scale_f64 v[177:178], vcc_lo, 1.0, v[156:157], 1.0
	s_delay_alu instid0(VALU_DEP_1) | instskip(NEXT) | instid1(VALU_DEP_1)
	v_mul_f64 v[179:180], v[177:178], v[175:176]
	v_fma_f64 v[158:159], -v[158:159], v[179:180], v[177:178]
	s_delay_alu instid0(VALU_DEP_1) | instskip(NEXT) | instid1(VALU_DEP_1)
	v_div_fmas_f64 v[158:159], v[158:159], v[175:176], v[179:180]
	v_div_fixup_f64 v[158:159], v[158:159], v[156:157], 1.0
	s_delay_alu instid0(VALU_DEP_1)
	v_mul_f64 v[156:157], v[173:174], v[158:159]
	v_xor_b32_e32 v159, 0x80000000, v159
.LBB76_343:
	s_and_not1_saveexec_b32 s2, s2
	s_cbranch_execz .LBB76_345
; %bb.344:
	s_delay_alu instid0(VALU_DEP_1) | instskip(SKIP_1) | instid1(VALU_DEP_2)
	v_div_scale_f64 v[173:174], null, v[156:157], v[156:157], v[158:159]
	v_div_scale_f64 v[179:180], vcc_lo, v[158:159], v[156:157], v[158:159]
	v_rcp_f64_e32 v[175:176], v[173:174]
	s_waitcnt_depctr 0xfff
	v_fma_f64 v[177:178], -v[173:174], v[175:176], 1.0
	s_delay_alu instid0(VALU_DEP_1) | instskip(NEXT) | instid1(VALU_DEP_1)
	v_fma_f64 v[175:176], v[175:176], v[177:178], v[175:176]
	v_fma_f64 v[177:178], -v[173:174], v[175:176], 1.0
	s_delay_alu instid0(VALU_DEP_1) | instskip(NEXT) | instid1(VALU_DEP_1)
	v_fma_f64 v[175:176], v[175:176], v[177:178], v[175:176]
	v_mul_f64 v[177:178], v[179:180], v[175:176]
	s_delay_alu instid0(VALU_DEP_1) | instskip(NEXT) | instid1(VALU_DEP_1)
	v_fma_f64 v[173:174], -v[173:174], v[177:178], v[179:180]
	v_div_fmas_f64 v[173:174], v[173:174], v[175:176], v[177:178]
	s_delay_alu instid0(VALU_DEP_1) | instskip(NEXT) | instid1(VALU_DEP_1)
	v_div_fixup_f64 v[173:174], v[173:174], v[156:157], v[158:159]
	v_fma_f64 v[156:157], v[158:159], v[173:174], v[156:157]
	s_delay_alu instid0(VALU_DEP_1) | instskip(NEXT) | instid1(VALU_DEP_1)
	v_div_scale_f64 v[158:159], null, v[156:157], v[156:157], 1.0
	v_rcp_f64_e32 v[175:176], v[158:159]
	s_waitcnt_depctr 0xfff
	v_fma_f64 v[177:178], -v[158:159], v[175:176], 1.0
	s_delay_alu instid0(VALU_DEP_1) | instskip(NEXT) | instid1(VALU_DEP_1)
	v_fma_f64 v[175:176], v[175:176], v[177:178], v[175:176]
	v_fma_f64 v[177:178], -v[158:159], v[175:176], 1.0
	s_delay_alu instid0(VALU_DEP_1) | instskip(SKIP_1) | instid1(VALU_DEP_1)
	v_fma_f64 v[175:176], v[175:176], v[177:178], v[175:176]
	v_div_scale_f64 v[177:178], vcc_lo, 1.0, v[156:157], 1.0
	v_mul_f64 v[179:180], v[177:178], v[175:176]
	s_delay_alu instid0(VALU_DEP_1) | instskip(NEXT) | instid1(VALU_DEP_1)
	v_fma_f64 v[158:159], -v[158:159], v[179:180], v[177:178]
	v_div_fmas_f64 v[158:159], v[158:159], v[175:176], v[179:180]
	s_delay_alu instid0(VALU_DEP_1) | instskip(NEXT) | instid1(VALU_DEP_1)
	v_div_fixup_f64 v[156:157], v[158:159], v[156:157], 1.0
	v_mul_f64 v[158:159], v[173:174], -v[156:157]
.LBB76_345:
	s_or_b32 exec_lo, exec_lo, s2
.LBB76_346:
	s_delay_alu instid0(SALU_CYCLE_1) | instskip(NEXT) | instid1(SALU_CYCLE_1)
	s_or_b32 exec_lo, exec_lo, s3
	s_mov_b32 s2, exec_lo
	v_cmpx_ne_u32_e64 v172, v164
	s_xor_b32 s2, exec_lo, s2
	s_cbranch_execz .LBB76_352
; %bb.347:
	s_mov_b32 s3, exec_lo
	v_cmpx_eq_u32_e32 16, v172
	s_cbranch_execz .LBB76_351
; %bb.348:
	v_cmp_ne_u32_e32 vcc_lo, 16, v164
	s_xor_b32 s6, s4, -1
	s_delay_alu instid0(SALU_CYCLE_1) | instskip(NEXT) | instid1(SALU_CYCLE_1)
	s_and_b32 s7, s6, vcc_lo
	s_and_saveexec_b32 s6, s7
	s_cbranch_execz .LBB76_350
; %bb.349:
	v_ashrrev_i32_e32 v165, 31, v164
	s_delay_alu instid0(VALU_DEP_1) | instskip(NEXT) | instid1(VALU_DEP_1)
	v_lshlrev_b64 v[171:172], 2, v[164:165]
	v_add_co_u32 v171, vcc_lo, v162, v171
	s_delay_alu instid0(VALU_DEP_2)
	v_add_co_ci_u32_e32 v172, vcc_lo, v163, v172, vcc_lo
	s_clause 0x1
	flat_load_b32 v165, v[171:172]
	flat_load_b32 v173, v[162:163] offset:64
	s_waitcnt vmcnt(1) lgkmcnt(1)
	flat_store_b32 v[162:163], v165 offset:64
	s_waitcnt vmcnt(0) lgkmcnt(1)
	flat_store_b32 v[171:172], v173
.LBB76_350:
	s_or_b32 exec_lo, exec_lo, s6
	v_mov_b32_e32 v172, v164
	v_mov_b32_e32 v171, v164
.LBB76_351:
	s_or_b32 exec_lo, exec_lo, s3
.LBB76_352:
	s_and_not1_saveexec_b32 s2, s2
	s_cbranch_execz .LBB76_354
; %bb.353:
	v_mov_b32_e32 v172, 16
	ds_store_2addr_b64 v166, v[92:93], v[94:95] offset0:34 offset1:35
	ds_store_2addr_b64 v166, v[88:89], v[90:91] offset0:36 offset1:37
	;; [unrolled: 1-line block ×22, first 2 shown]
.LBB76_354:
	s_or_b32 exec_lo, exec_lo, s2
	s_delay_alu instid0(SALU_CYCLE_1)
	s_mov_b32 s2, exec_lo
	s_waitcnt lgkmcnt(0)
	s_waitcnt_vscnt null, 0x0
	s_barrier
	buffer_gl0_inv
	v_cmpx_lt_i32_e32 16, v172
	s_cbranch_execz .LBB76_356
; %bb.355:
	v_mul_f64 v[164:165], v[158:159], v[98:99]
	v_mul_f64 v[98:99], v[156:157], v[98:99]
	s_delay_alu instid0(VALU_DEP_2) | instskip(NEXT) | instid1(VALU_DEP_2)
	v_fma_f64 v[164:165], v[156:157], v[96:97], -v[164:165]
	v_fma_f64 v[98:99], v[158:159], v[96:97], v[98:99]
	ds_load_2addr_b64 v[156:159], v166 offset0:34 offset1:35
	s_waitcnt lgkmcnt(0)
	v_mul_f64 v[96:97], v[158:159], v[98:99]
	s_delay_alu instid0(VALU_DEP_1) | instskip(SKIP_1) | instid1(VALU_DEP_2)
	v_fma_f64 v[96:97], v[156:157], v[164:165], -v[96:97]
	v_mul_f64 v[156:157], v[156:157], v[98:99]
	v_add_f64 v[92:93], v[92:93], -v[96:97]
	s_delay_alu instid0(VALU_DEP_2) | instskip(NEXT) | instid1(VALU_DEP_1)
	v_fma_f64 v[156:157], v[158:159], v[164:165], v[156:157]
	v_add_f64 v[94:95], v[94:95], -v[156:157]
	ds_load_2addr_b64 v[156:159], v166 offset0:36 offset1:37
	s_waitcnt lgkmcnt(0)
	v_mul_f64 v[96:97], v[158:159], v[98:99]
	s_delay_alu instid0(VALU_DEP_1) | instskip(SKIP_1) | instid1(VALU_DEP_2)
	v_fma_f64 v[96:97], v[156:157], v[164:165], -v[96:97]
	v_mul_f64 v[156:157], v[156:157], v[98:99]
	v_add_f64 v[88:89], v[88:89], -v[96:97]
	s_delay_alu instid0(VALU_DEP_2) | instskip(NEXT) | instid1(VALU_DEP_1)
	v_fma_f64 v[156:157], v[158:159], v[164:165], v[156:157]
	v_add_f64 v[90:91], v[90:91], -v[156:157]
	;; [unrolled: 10-line block ×21, first 2 shown]
	ds_load_2addr_b64 v[156:159], v166 offset0:76 offset1:77
	s_waitcnt lgkmcnt(0)
	v_mul_f64 v[96:97], v[158:159], v[98:99]
	s_delay_alu instid0(VALU_DEP_1) | instskip(SKIP_1) | instid1(VALU_DEP_2)
	v_fma_f64 v[96:97], v[156:157], v[164:165], -v[96:97]
	v_mul_f64 v[156:157], v[156:157], v[98:99]
	v_add_f64 v[0:1], v[0:1], -v[96:97]
	s_delay_alu instid0(VALU_DEP_2) | instskip(SKIP_1) | instid1(VALU_DEP_2)
	v_fma_f64 v[156:157], v[158:159], v[164:165], v[156:157]
	v_dual_mov_b32 v96, v164 :: v_dual_mov_b32 v97, v165
	v_add_f64 v[2:3], v[2:3], -v[156:157]
.LBB76_356:
	s_or_b32 exec_lo, exec_lo, s2
	v_lshl_add_u32 v156, v172, 4, v166
	s_barrier
	buffer_gl0_inv
	v_mov_b32_e32 v164, 17
	ds_store_2addr_b64 v156, v[92:93], v[94:95] offset1:1
	s_waitcnt lgkmcnt(0)
	s_barrier
	buffer_gl0_inv
	ds_load_2addr_b64 v[156:159], v166 offset0:34 offset1:35
	s_cmp_lt_i32 s5, 19
	s_cbranch_scc1 .LBB76_359
; %bb.357:
	v_add3_u32 v165, v170, 0, 0x120
	v_mov_b32_e32 v164, 17
	s_mov_b32 s6, 18
	s_set_inst_prefetch_distance 0x1
	.p2align	6
.LBB76_358:                             ; =>This Inner Loop Header: Depth=1
	ds_load_2addr_b64 v[173:176], v165 offset1:1
	s_waitcnt lgkmcnt(1)
	v_cmp_gt_f64_e32 vcc_lo, 0, v[156:157]
	v_xor_b32_e32 v177, 0x80000000, v157
	v_cmp_gt_f64_e64 s2, 0, v[158:159]
	v_xor_b32_e32 v179, 0x80000000, v159
	v_add_nc_u32_e32 v165, 16, v165
	s_waitcnt lgkmcnt(0)
	v_cmp_gt_f64_e64 s3, 0, v[173:174]
	v_mov_b32_e32 v181, v173
	v_dual_mov_b32 v183, v175 :: v_dual_cndmask_b32 v178, v157, v177
	v_xor_b32_e32 v177, 0x80000000, v174
	v_cndmask_b32_e64 v180, v159, v179, s2
	v_xor_b32_e32 v179, 0x80000000, v176
	s_delay_alu instid0(VALU_DEP_3) | instskip(SKIP_2) | instid1(VALU_DEP_2)
	v_cndmask_b32_e64 v182, v174, v177, s3
	v_cmp_gt_f64_e64 s3, 0, v[175:176]
	v_cndmask_b32_e32 v177, v156, v156, vcc_lo
	v_cndmask_b32_e64 v184, v176, v179, s3
	v_cndmask_b32_e64 v179, v158, v158, s2
	s_delay_alu instid0(VALU_DEP_2) | instskip(NEXT) | instid1(VALU_DEP_2)
	v_add_f64 v[181:182], v[181:182], v[183:184]
	v_add_f64 v[177:178], v[177:178], v[179:180]
	s_delay_alu instid0(VALU_DEP_1) | instskip(SKIP_4) | instid1(SALU_CYCLE_1)
	v_cmp_lt_f64_e32 vcc_lo, v[177:178], v[181:182]
	v_dual_cndmask_b32 v158, v158, v175 :: v_dual_cndmask_b32 v157, v157, v174
	v_dual_cndmask_b32 v156, v156, v173 :: v_dual_cndmask_b32 v159, v159, v176
	v_cndmask_b32_e64 v164, v164, s6, vcc_lo
	s_add_i32 s6, s6, 1
	s_cmp_lg_u32 s5, s6
	s_cbranch_scc1 .LBB76_358
.LBB76_359:
	s_set_inst_prefetch_distance 0x2
	s_waitcnt lgkmcnt(0)
	v_cmp_eq_f64_e32 vcc_lo, 0, v[156:157]
	v_cmp_eq_f64_e64 s2, 0, v[158:159]
	s_delay_alu instid0(VALU_DEP_1) | instskip(NEXT) | instid1(SALU_CYCLE_1)
	s_and_b32 s2, vcc_lo, s2
	s_and_saveexec_b32 s3, s2
	s_delay_alu instid0(SALU_CYCLE_1)
	s_xor_b32 s2, exec_lo, s3
; %bb.360:
	v_cmp_ne_u32_e32 vcc_lo, 0, v169
	v_cndmask_b32_e32 v169, 18, v169, vcc_lo
; %bb.361:
	s_and_not1_saveexec_b32 s3, s2
	s_cbranch_execz .LBB76_367
; %bb.362:
	v_cmp_gt_f64_e32 vcc_lo, 0, v[156:157]
	v_cmp_gt_f64_e64 s2, 0, v[158:159]
	v_xor_b32_e32 v165, 0x80000000, v157
	v_xor_b32_e32 v173, 0x80000000, v159
	s_delay_alu instid0(VALU_DEP_2) | instskip(NEXT) | instid1(VALU_DEP_2)
	v_cndmask_b32_e32 v174, v157, v165, vcc_lo
	v_cndmask_b32_e64 v176, v159, v173, s2
	v_cndmask_b32_e32 v173, v156, v156, vcc_lo
	v_cndmask_b32_e64 v175, v158, v158, s2
	s_mov_b32 s2, exec_lo
	s_delay_alu instid0(VALU_DEP_1)
	v_cmpx_ngt_f64_e32 v[173:174], v[175:176]
	s_xor_b32 s2, exec_lo, s2
	s_cbranch_execz .LBB76_364
; %bb.363:
	v_div_scale_f64 v[173:174], null, v[158:159], v[158:159], v[156:157]
	v_div_scale_f64 v[179:180], vcc_lo, v[156:157], v[158:159], v[156:157]
	s_delay_alu instid0(VALU_DEP_2) | instskip(SKIP_2) | instid1(VALU_DEP_1)
	v_rcp_f64_e32 v[175:176], v[173:174]
	s_waitcnt_depctr 0xfff
	v_fma_f64 v[177:178], -v[173:174], v[175:176], 1.0
	v_fma_f64 v[175:176], v[175:176], v[177:178], v[175:176]
	s_delay_alu instid0(VALU_DEP_1) | instskip(NEXT) | instid1(VALU_DEP_1)
	v_fma_f64 v[177:178], -v[173:174], v[175:176], 1.0
	v_fma_f64 v[175:176], v[175:176], v[177:178], v[175:176]
	s_delay_alu instid0(VALU_DEP_1) | instskip(NEXT) | instid1(VALU_DEP_1)
	v_mul_f64 v[177:178], v[179:180], v[175:176]
	v_fma_f64 v[173:174], -v[173:174], v[177:178], v[179:180]
	s_delay_alu instid0(VALU_DEP_1) | instskip(NEXT) | instid1(VALU_DEP_1)
	v_div_fmas_f64 v[173:174], v[173:174], v[175:176], v[177:178]
	v_div_fixup_f64 v[173:174], v[173:174], v[158:159], v[156:157]
	s_delay_alu instid0(VALU_DEP_1) | instskip(NEXT) | instid1(VALU_DEP_1)
	v_fma_f64 v[156:157], v[156:157], v[173:174], v[158:159]
	v_div_scale_f64 v[158:159], null, v[156:157], v[156:157], 1.0
	s_delay_alu instid0(VALU_DEP_1) | instskip(SKIP_2) | instid1(VALU_DEP_1)
	v_rcp_f64_e32 v[175:176], v[158:159]
	s_waitcnt_depctr 0xfff
	v_fma_f64 v[177:178], -v[158:159], v[175:176], 1.0
	v_fma_f64 v[175:176], v[175:176], v[177:178], v[175:176]
	s_delay_alu instid0(VALU_DEP_1) | instskip(NEXT) | instid1(VALU_DEP_1)
	v_fma_f64 v[177:178], -v[158:159], v[175:176], 1.0
	v_fma_f64 v[175:176], v[175:176], v[177:178], v[175:176]
	v_div_scale_f64 v[177:178], vcc_lo, 1.0, v[156:157], 1.0
	s_delay_alu instid0(VALU_DEP_1) | instskip(NEXT) | instid1(VALU_DEP_1)
	v_mul_f64 v[179:180], v[177:178], v[175:176]
	v_fma_f64 v[158:159], -v[158:159], v[179:180], v[177:178]
	s_delay_alu instid0(VALU_DEP_1) | instskip(NEXT) | instid1(VALU_DEP_1)
	v_div_fmas_f64 v[158:159], v[158:159], v[175:176], v[179:180]
	v_div_fixup_f64 v[158:159], v[158:159], v[156:157], 1.0
	s_delay_alu instid0(VALU_DEP_1)
	v_mul_f64 v[156:157], v[173:174], v[158:159]
	v_xor_b32_e32 v159, 0x80000000, v159
.LBB76_364:
	s_and_not1_saveexec_b32 s2, s2
	s_cbranch_execz .LBB76_366
; %bb.365:
	s_delay_alu instid0(VALU_DEP_1) | instskip(SKIP_1) | instid1(VALU_DEP_2)
	v_div_scale_f64 v[173:174], null, v[156:157], v[156:157], v[158:159]
	v_div_scale_f64 v[179:180], vcc_lo, v[158:159], v[156:157], v[158:159]
	v_rcp_f64_e32 v[175:176], v[173:174]
	s_waitcnt_depctr 0xfff
	v_fma_f64 v[177:178], -v[173:174], v[175:176], 1.0
	s_delay_alu instid0(VALU_DEP_1) | instskip(NEXT) | instid1(VALU_DEP_1)
	v_fma_f64 v[175:176], v[175:176], v[177:178], v[175:176]
	v_fma_f64 v[177:178], -v[173:174], v[175:176], 1.0
	s_delay_alu instid0(VALU_DEP_1) | instskip(NEXT) | instid1(VALU_DEP_1)
	v_fma_f64 v[175:176], v[175:176], v[177:178], v[175:176]
	v_mul_f64 v[177:178], v[179:180], v[175:176]
	s_delay_alu instid0(VALU_DEP_1) | instskip(NEXT) | instid1(VALU_DEP_1)
	v_fma_f64 v[173:174], -v[173:174], v[177:178], v[179:180]
	v_div_fmas_f64 v[173:174], v[173:174], v[175:176], v[177:178]
	s_delay_alu instid0(VALU_DEP_1) | instskip(NEXT) | instid1(VALU_DEP_1)
	v_div_fixup_f64 v[173:174], v[173:174], v[156:157], v[158:159]
	v_fma_f64 v[156:157], v[158:159], v[173:174], v[156:157]
	s_delay_alu instid0(VALU_DEP_1) | instskip(NEXT) | instid1(VALU_DEP_1)
	v_div_scale_f64 v[158:159], null, v[156:157], v[156:157], 1.0
	v_rcp_f64_e32 v[175:176], v[158:159]
	s_waitcnt_depctr 0xfff
	v_fma_f64 v[177:178], -v[158:159], v[175:176], 1.0
	s_delay_alu instid0(VALU_DEP_1) | instskip(NEXT) | instid1(VALU_DEP_1)
	v_fma_f64 v[175:176], v[175:176], v[177:178], v[175:176]
	v_fma_f64 v[177:178], -v[158:159], v[175:176], 1.0
	s_delay_alu instid0(VALU_DEP_1) | instskip(SKIP_1) | instid1(VALU_DEP_1)
	v_fma_f64 v[175:176], v[175:176], v[177:178], v[175:176]
	v_div_scale_f64 v[177:178], vcc_lo, 1.0, v[156:157], 1.0
	v_mul_f64 v[179:180], v[177:178], v[175:176]
	s_delay_alu instid0(VALU_DEP_1) | instskip(NEXT) | instid1(VALU_DEP_1)
	v_fma_f64 v[158:159], -v[158:159], v[179:180], v[177:178]
	v_div_fmas_f64 v[158:159], v[158:159], v[175:176], v[179:180]
	s_delay_alu instid0(VALU_DEP_1) | instskip(NEXT) | instid1(VALU_DEP_1)
	v_div_fixup_f64 v[156:157], v[158:159], v[156:157], 1.0
	v_mul_f64 v[158:159], v[173:174], -v[156:157]
.LBB76_366:
	s_or_b32 exec_lo, exec_lo, s2
.LBB76_367:
	s_delay_alu instid0(SALU_CYCLE_1) | instskip(NEXT) | instid1(SALU_CYCLE_1)
	s_or_b32 exec_lo, exec_lo, s3
	s_mov_b32 s2, exec_lo
	v_cmpx_ne_u32_e64 v172, v164
	s_xor_b32 s2, exec_lo, s2
	s_cbranch_execz .LBB76_373
; %bb.368:
	s_mov_b32 s3, exec_lo
	v_cmpx_eq_u32_e32 17, v172
	s_cbranch_execz .LBB76_372
; %bb.369:
	v_cmp_ne_u32_e32 vcc_lo, 17, v164
	s_xor_b32 s6, s4, -1
	s_delay_alu instid0(SALU_CYCLE_1) | instskip(NEXT) | instid1(SALU_CYCLE_1)
	s_and_b32 s7, s6, vcc_lo
	s_and_saveexec_b32 s6, s7
	s_cbranch_execz .LBB76_371
; %bb.370:
	v_ashrrev_i32_e32 v165, 31, v164
	s_delay_alu instid0(VALU_DEP_1) | instskip(NEXT) | instid1(VALU_DEP_1)
	v_lshlrev_b64 v[171:172], 2, v[164:165]
	v_add_co_u32 v171, vcc_lo, v162, v171
	s_delay_alu instid0(VALU_DEP_2)
	v_add_co_ci_u32_e32 v172, vcc_lo, v163, v172, vcc_lo
	s_clause 0x1
	flat_load_b32 v165, v[171:172]
	flat_load_b32 v173, v[162:163] offset:68
	s_waitcnt vmcnt(1) lgkmcnt(1)
	flat_store_b32 v[162:163], v165 offset:68
	s_waitcnt vmcnt(0) lgkmcnt(1)
	flat_store_b32 v[171:172], v173
.LBB76_371:
	s_or_b32 exec_lo, exec_lo, s6
	v_mov_b32_e32 v172, v164
	v_mov_b32_e32 v171, v164
.LBB76_372:
	s_or_b32 exec_lo, exec_lo, s3
.LBB76_373:
	s_and_not1_saveexec_b32 s2, s2
	s_cbranch_execz .LBB76_375
; %bb.374:
	v_mov_b32_e32 v172, 17
	ds_store_2addr_b64 v166, v[88:89], v[90:91] offset0:36 offset1:37
	ds_store_2addr_b64 v166, v[84:85], v[86:87] offset0:38 offset1:39
	;; [unrolled: 1-line block ×21, first 2 shown]
.LBB76_375:
	s_or_b32 exec_lo, exec_lo, s2
	s_delay_alu instid0(SALU_CYCLE_1)
	s_mov_b32 s2, exec_lo
	s_waitcnt lgkmcnt(0)
	s_waitcnt_vscnt null, 0x0
	s_barrier
	buffer_gl0_inv
	v_cmpx_lt_i32_e32 17, v172
	s_cbranch_execz .LBB76_377
; %bb.376:
	v_mul_f64 v[164:165], v[158:159], v[94:95]
	v_mul_f64 v[94:95], v[156:157], v[94:95]
	s_delay_alu instid0(VALU_DEP_2) | instskip(NEXT) | instid1(VALU_DEP_2)
	v_fma_f64 v[164:165], v[156:157], v[92:93], -v[164:165]
	v_fma_f64 v[94:95], v[158:159], v[92:93], v[94:95]
	ds_load_2addr_b64 v[156:159], v166 offset0:36 offset1:37
	s_waitcnt lgkmcnt(0)
	v_mul_f64 v[92:93], v[158:159], v[94:95]
	s_delay_alu instid0(VALU_DEP_1) | instskip(SKIP_1) | instid1(VALU_DEP_2)
	v_fma_f64 v[92:93], v[156:157], v[164:165], -v[92:93]
	v_mul_f64 v[156:157], v[156:157], v[94:95]
	v_add_f64 v[88:89], v[88:89], -v[92:93]
	s_delay_alu instid0(VALU_DEP_2) | instskip(NEXT) | instid1(VALU_DEP_1)
	v_fma_f64 v[156:157], v[158:159], v[164:165], v[156:157]
	v_add_f64 v[90:91], v[90:91], -v[156:157]
	ds_load_2addr_b64 v[156:159], v166 offset0:38 offset1:39
	s_waitcnt lgkmcnt(0)
	v_mul_f64 v[92:93], v[158:159], v[94:95]
	s_delay_alu instid0(VALU_DEP_1) | instskip(SKIP_1) | instid1(VALU_DEP_2)
	v_fma_f64 v[92:93], v[156:157], v[164:165], -v[92:93]
	v_mul_f64 v[156:157], v[156:157], v[94:95]
	v_add_f64 v[84:85], v[84:85], -v[92:93]
	s_delay_alu instid0(VALU_DEP_2) | instskip(NEXT) | instid1(VALU_DEP_1)
	v_fma_f64 v[156:157], v[158:159], v[164:165], v[156:157]
	v_add_f64 v[86:87], v[86:87], -v[156:157]
	;; [unrolled: 10-line block ×20, first 2 shown]
	ds_load_2addr_b64 v[156:159], v166 offset0:76 offset1:77
	s_waitcnt lgkmcnt(0)
	v_mul_f64 v[92:93], v[158:159], v[94:95]
	s_delay_alu instid0(VALU_DEP_1) | instskip(SKIP_1) | instid1(VALU_DEP_2)
	v_fma_f64 v[92:93], v[156:157], v[164:165], -v[92:93]
	v_mul_f64 v[156:157], v[156:157], v[94:95]
	v_add_f64 v[0:1], v[0:1], -v[92:93]
	s_delay_alu instid0(VALU_DEP_2) | instskip(SKIP_1) | instid1(VALU_DEP_2)
	v_fma_f64 v[156:157], v[158:159], v[164:165], v[156:157]
	v_dual_mov_b32 v92, v164 :: v_dual_mov_b32 v93, v165
	v_add_f64 v[2:3], v[2:3], -v[156:157]
.LBB76_377:
	s_or_b32 exec_lo, exec_lo, s2
	v_lshl_add_u32 v156, v172, 4, v166
	s_barrier
	buffer_gl0_inv
	v_mov_b32_e32 v164, 18
	ds_store_2addr_b64 v156, v[88:89], v[90:91] offset1:1
	s_waitcnt lgkmcnt(0)
	s_barrier
	buffer_gl0_inv
	ds_load_2addr_b64 v[156:159], v166 offset0:36 offset1:37
	s_cmp_lt_i32 s5, 20
	s_cbranch_scc1 .LBB76_380
; %bb.378:
	v_add3_u32 v165, v170, 0, 0x130
	v_mov_b32_e32 v164, 18
	s_mov_b32 s6, 19
	s_set_inst_prefetch_distance 0x1
	.p2align	6
.LBB76_379:                             ; =>This Inner Loop Header: Depth=1
	ds_load_2addr_b64 v[173:176], v165 offset1:1
	s_waitcnt lgkmcnt(1)
	v_cmp_gt_f64_e32 vcc_lo, 0, v[156:157]
	v_xor_b32_e32 v177, 0x80000000, v157
	v_cmp_gt_f64_e64 s2, 0, v[158:159]
	v_xor_b32_e32 v179, 0x80000000, v159
	v_add_nc_u32_e32 v165, 16, v165
	s_waitcnt lgkmcnt(0)
	v_cmp_gt_f64_e64 s3, 0, v[173:174]
	v_mov_b32_e32 v181, v173
	v_dual_mov_b32 v183, v175 :: v_dual_cndmask_b32 v178, v157, v177
	v_xor_b32_e32 v177, 0x80000000, v174
	v_cndmask_b32_e64 v180, v159, v179, s2
	v_xor_b32_e32 v179, 0x80000000, v176
	s_delay_alu instid0(VALU_DEP_3) | instskip(SKIP_2) | instid1(VALU_DEP_2)
	v_cndmask_b32_e64 v182, v174, v177, s3
	v_cmp_gt_f64_e64 s3, 0, v[175:176]
	v_cndmask_b32_e32 v177, v156, v156, vcc_lo
	v_cndmask_b32_e64 v184, v176, v179, s3
	v_cndmask_b32_e64 v179, v158, v158, s2
	s_delay_alu instid0(VALU_DEP_2) | instskip(NEXT) | instid1(VALU_DEP_2)
	v_add_f64 v[181:182], v[181:182], v[183:184]
	v_add_f64 v[177:178], v[177:178], v[179:180]
	s_delay_alu instid0(VALU_DEP_1) | instskip(SKIP_4) | instid1(SALU_CYCLE_1)
	v_cmp_lt_f64_e32 vcc_lo, v[177:178], v[181:182]
	v_dual_cndmask_b32 v158, v158, v175 :: v_dual_cndmask_b32 v157, v157, v174
	v_dual_cndmask_b32 v156, v156, v173 :: v_dual_cndmask_b32 v159, v159, v176
	v_cndmask_b32_e64 v164, v164, s6, vcc_lo
	s_add_i32 s6, s6, 1
	s_cmp_lg_u32 s5, s6
	s_cbranch_scc1 .LBB76_379
.LBB76_380:
	s_set_inst_prefetch_distance 0x2
	s_waitcnt lgkmcnt(0)
	v_cmp_eq_f64_e32 vcc_lo, 0, v[156:157]
	v_cmp_eq_f64_e64 s2, 0, v[158:159]
	s_delay_alu instid0(VALU_DEP_1) | instskip(NEXT) | instid1(SALU_CYCLE_1)
	s_and_b32 s2, vcc_lo, s2
	s_and_saveexec_b32 s3, s2
	s_delay_alu instid0(SALU_CYCLE_1)
	s_xor_b32 s2, exec_lo, s3
; %bb.381:
	v_cmp_ne_u32_e32 vcc_lo, 0, v169
	v_cndmask_b32_e32 v169, 19, v169, vcc_lo
; %bb.382:
	s_and_not1_saveexec_b32 s3, s2
	s_cbranch_execz .LBB76_388
; %bb.383:
	v_cmp_gt_f64_e32 vcc_lo, 0, v[156:157]
	v_cmp_gt_f64_e64 s2, 0, v[158:159]
	v_xor_b32_e32 v165, 0x80000000, v157
	v_xor_b32_e32 v173, 0x80000000, v159
	s_delay_alu instid0(VALU_DEP_2) | instskip(NEXT) | instid1(VALU_DEP_2)
	v_cndmask_b32_e32 v174, v157, v165, vcc_lo
	v_cndmask_b32_e64 v176, v159, v173, s2
	v_cndmask_b32_e32 v173, v156, v156, vcc_lo
	v_cndmask_b32_e64 v175, v158, v158, s2
	s_mov_b32 s2, exec_lo
	s_delay_alu instid0(VALU_DEP_1)
	v_cmpx_ngt_f64_e32 v[173:174], v[175:176]
	s_xor_b32 s2, exec_lo, s2
	s_cbranch_execz .LBB76_385
; %bb.384:
	v_div_scale_f64 v[173:174], null, v[158:159], v[158:159], v[156:157]
	v_div_scale_f64 v[179:180], vcc_lo, v[156:157], v[158:159], v[156:157]
	s_delay_alu instid0(VALU_DEP_2) | instskip(SKIP_2) | instid1(VALU_DEP_1)
	v_rcp_f64_e32 v[175:176], v[173:174]
	s_waitcnt_depctr 0xfff
	v_fma_f64 v[177:178], -v[173:174], v[175:176], 1.0
	v_fma_f64 v[175:176], v[175:176], v[177:178], v[175:176]
	s_delay_alu instid0(VALU_DEP_1) | instskip(NEXT) | instid1(VALU_DEP_1)
	v_fma_f64 v[177:178], -v[173:174], v[175:176], 1.0
	v_fma_f64 v[175:176], v[175:176], v[177:178], v[175:176]
	s_delay_alu instid0(VALU_DEP_1) | instskip(NEXT) | instid1(VALU_DEP_1)
	v_mul_f64 v[177:178], v[179:180], v[175:176]
	v_fma_f64 v[173:174], -v[173:174], v[177:178], v[179:180]
	s_delay_alu instid0(VALU_DEP_1) | instskip(NEXT) | instid1(VALU_DEP_1)
	v_div_fmas_f64 v[173:174], v[173:174], v[175:176], v[177:178]
	v_div_fixup_f64 v[173:174], v[173:174], v[158:159], v[156:157]
	s_delay_alu instid0(VALU_DEP_1) | instskip(NEXT) | instid1(VALU_DEP_1)
	v_fma_f64 v[156:157], v[156:157], v[173:174], v[158:159]
	v_div_scale_f64 v[158:159], null, v[156:157], v[156:157], 1.0
	s_delay_alu instid0(VALU_DEP_1) | instskip(SKIP_2) | instid1(VALU_DEP_1)
	v_rcp_f64_e32 v[175:176], v[158:159]
	s_waitcnt_depctr 0xfff
	v_fma_f64 v[177:178], -v[158:159], v[175:176], 1.0
	v_fma_f64 v[175:176], v[175:176], v[177:178], v[175:176]
	s_delay_alu instid0(VALU_DEP_1) | instskip(NEXT) | instid1(VALU_DEP_1)
	v_fma_f64 v[177:178], -v[158:159], v[175:176], 1.0
	v_fma_f64 v[175:176], v[175:176], v[177:178], v[175:176]
	v_div_scale_f64 v[177:178], vcc_lo, 1.0, v[156:157], 1.0
	s_delay_alu instid0(VALU_DEP_1) | instskip(NEXT) | instid1(VALU_DEP_1)
	v_mul_f64 v[179:180], v[177:178], v[175:176]
	v_fma_f64 v[158:159], -v[158:159], v[179:180], v[177:178]
	s_delay_alu instid0(VALU_DEP_1) | instskip(NEXT) | instid1(VALU_DEP_1)
	v_div_fmas_f64 v[158:159], v[158:159], v[175:176], v[179:180]
	v_div_fixup_f64 v[158:159], v[158:159], v[156:157], 1.0
	s_delay_alu instid0(VALU_DEP_1)
	v_mul_f64 v[156:157], v[173:174], v[158:159]
	v_xor_b32_e32 v159, 0x80000000, v159
.LBB76_385:
	s_and_not1_saveexec_b32 s2, s2
	s_cbranch_execz .LBB76_387
; %bb.386:
	s_delay_alu instid0(VALU_DEP_1) | instskip(SKIP_1) | instid1(VALU_DEP_2)
	v_div_scale_f64 v[173:174], null, v[156:157], v[156:157], v[158:159]
	v_div_scale_f64 v[179:180], vcc_lo, v[158:159], v[156:157], v[158:159]
	v_rcp_f64_e32 v[175:176], v[173:174]
	s_waitcnt_depctr 0xfff
	v_fma_f64 v[177:178], -v[173:174], v[175:176], 1.0
	s_delay_alu instid0(VALU_DEP_1) | instskip(NEXT) | instid1(VALU_DEP_1)
	v_fma_f64 v[175:176], v[175:176], v[177:178], v[175:176]
	v_fma_f64 v[177:178], -v[173:174], v[175:176], 1.0
	s_delay_alu instid0(VALU_DEP_1) | instskip(NEXT) | instid1(VALU_DEP_1)
	v_fma_f64 v[175:176], v[175:176], v[177:178], v[175:176]
	v_mul_f64 v[177:178], v[179:180], v[175:176]
	s_delay_alu instid0(VALU_DEP_1) | instskip(NEXT) | instid1(VALU_DEP_1)
	v_fma_f64 v[173:174], -v[173:174], v[177:178], v[179:180]
	v_div_fmas_f64 v[173:174], v[173:174], v[175:176], v[177:178]
	s_delay_alu instid0(VALU_DEP_1) | instskip(NEXT) | instid1(VALU_DEP_1)
	v_div_fixup_f64 v[173:174], v[173:174], v[156:157], v[158:159]
	v_fma_f64 v[156:157], v[158:159], v[173:174], v[156:157]
	s_delay_alu instid0(VALU_DEP_1) | instskip(NEXT) | instid1(VALU_DEP_1)
	v_div_scale_f64 v[158:159], null, v[156:157], v[156:157], 1.0
	v_rcp_f64_e32 v[175:176], v[158:159]
	s_waitcnt_depctr 0xfff
	v_fma_f64 v[177:178], -v[158:159], v[175:176], 1.0
	s_delay_alu instid0(VALU_DEP_1) | instskip(NEXT) | instid1(VALU_DEP_1)
	v_fma_f64 v[175:176], v[175:176], v[177:178], v[175:176]
	v_fma_f64 v[177:178], -v[158:159], v[175:176], 1.0
	s_delay_alu instid0(VALU_DEP_1) | instskip(SKIP_1) | instid1(VALU_DEP_1)
	v_fma_f64 v[175:176], v[175:176], v[177:178], v[175:176]
	v_div_scale_f64 v[177:178], vcc_lo, 1.0, v[156:157], 1.0
	v_mul_f64 v[179:180], v[177:178], v[175:176]
	s_delay_alu instid0(VALU_DEP_1) | instskip(NEXT) | instid1(VALU_DEP_1)
	v_fma_f64 v[158:159], -v[158:159], v[179:180], v[177:178]
	v_div_fmas_f64 v[158:159], v[158:159], v[175:176], v[179:180]
	s_delay_alu instid0(VALU_DEP_1) | instskip(NEXT) | instid1(VALU_DEP_1)
	v_div_fixup_f64 v[156:157], v[158:159], v[156:157], 1.0
	v_mul_f64 v[158:159], v[173:174], -v[156:157]
.LBB76_387:
	s_or_b32 exec_lo, exec_lo, s2
.LBB76_388:
	s_delay_alu instid0(SALU_CYCLE_1) | instskip(NEXT) | instid1(SALU_CYCLE_1)
	s_or_b32 exec_lo, exec_lo, s3
	s_mov_b32 s2, exec_lo
	v_cmpx_ne_u32_e64 v172, v164
	s_xor_b32 s2, exec_lo, s2
	s_cbranch_execz .LBB76_394
; %bb.389:
	s_mov_b32 s3, exec_lo
	v_cmpx_eq_u32_e32 18, v172
	s_cbranch_execz .LBB76_393
; %bb.390:
	v_cmp_ne_u32_e32 vcc_lo, 18, v164
	s_xor_b32 s6, s4, -1
	s_delay_alu instid0(SALU_CYCLE_1) | instskip(NEXT) | instid1(SALU_CYCLE_1)
	s_and_b32 s7, s6, vcc_lo
	s_and_saveexec_b32 s6, s7
	s_cbranch_execz .LBB76_392
; %bb.391:
	v_ashrrev_i32_e32 v165, 31, v164
	s_delay_alu instid0(VALU_DEP_1) | instskip(NEXT) | instid1(VALU_DEP_1)
	v_lshlrev_b64 v[171:172], 2, v[164:165]
	v_add_co_u32 v171, vcc_lo, v162, v171
	s_delay_alu instid0(VALU_DEP_2)
	v_add_co_ci_u32_e32 v172, vcc_lo, v163, v172, vcc_lo
	s_clause 0x1
	flat_load_b32 v165, v[171:172]
	flat_load_b32 v173, v[162:163] offset:72
	s_waitcnt vmcnt(1) lgkmcnt(1)
	flat_store_b32 v[162:163], v165 offset:72
	s_waitcnt vmcnt(0) lgkmcnt(1)
	flat_store_b32 v[171:172], v173
.LBB76_392:
	s_or_b32 exec_lo, exec_lo, s6
	v_mov_b32_e32 v172, v164
	v_mov_b32_e32 v171, v164
.LBB76_393:
	s_or_b32 exec_lo, exec_lo, s3
.LBB76_394:
	s_and_not1_saveexec_b32 s2, s2
	s_cbranch_execz .LBB76_396
; %bb.395:
	v_mov_b32_e32 v172, 18
	ds_store_2addr_b64 v166, v[84:85], v[86:87] offset0:38 offset1:39
	ds_store_2addr_b64 v166, v[80:81], v[82:83] offset0:40 offset1:41
	;; [unrolled: 1-line block ×20, first 2 shown]
.LBB76_396:
	s_or_b32 exec_lo, exec_lo, s2
	s_delay_alu instid0(SALU_CYCLE_1)
	s_mov_b32 s2, exec_lo
	s_waitcnt lgkmcnt(0)
	s_waitcnt_vscnt null, 0x0
	s_barrier
	buffer_gl0_inv
	v_cmpx_lt_i32_e32 18, v172
	s_cbranch_execz .LBB76_398
; %bb.397:
	v_mul_f64 v[164:165], v[158:159], v[90:91]
	v_mul_f64 v[90:91], v[156:157], v[90:91]
	s_delay_alu instid0(VALU_DEP_2) | instskip(NEXT) | instid1(VALU_DEP_2)
	v_fma_f64 v[164:165], v[156:157], v[88:89], -v[164:165]
	v_fma_f64 v[90:91], v[158:159], v[88:89], v[90:91]
	ds_load_2addr_b64 v[156:159], v166 offset0:38 offset1:39
	s_waitcnt lgkmcnt(0)
	v_mul_f64 v[88:89], v[158:159], v[90:91]
	s_delay_alu instid0(VALU_DEP_1) | instskip(SKIP_1) | instid1(VALU_DEP_2)
	v_fma_f64 v[88:89], v[156:157], v[164:165], -v[88:89]
	v_mul_f64 v[156:157], v[156:157], v[90:91]
	v_add_f64 v[84:85], v[84:85], -v[88:89]
	s_delay_alu instid0(VALU_DEP_2) | instskip(NEXT) | instid1(VALU_DEP_1)
	v_fma_f64 v[156:157], v[158:159], v[164:165], v[156:157]
	v_add_f64 v[86:87], v[86:87], -v[156:157]
	ds_load_2addr_b64 v[156:159], v166 offset0:40 offset1:41
	s_waitcnt lgkmcnt(0)
	v_mul_f64 v[88:89], v[158:159], v[90:91]
	s_delay_alu instid0(VALU_DEP_1) | instskip(SKIP_1) | instid1(VALU_DEP_2)
	v_fma_f64 v[88:89], v[156:157], v[164:165], -v[88:89]
	v_mul_f64 v[156:157], v[156:157], v[90:91]
	v_add_f64 v[80:81], v[80:81], -v[88:89]
	s_delay_alu instid0(VALU_DEP_2) | instskip(NEXT) | instid1(VALU_DEP_1)
	v_fma_f64 v[156:157], v[158:159], v[164:165], v[156:157]
	v_add_f64 v[82:83], v[82:83], -v[156:157]
	;; [unrolled: 10-line block ×19, first 2 shown]
	ds_load_2addr_b64 v[156:159], v166 offset0:76 offset1:77
	s_waitcnt lgkmcnt(0)
	v_mul_f64 v[88:89], v[158:159], v[90:91]
	s_delay_alu instid0(VALU_DEP_1) | instskip(SKIP_1) | instid1(VALU_DEP_2)
	v_fma_f64 v[88:89], v[156:157], v[164:165], -v[88:89]
	v_mul_f64 v[156:157], v[156:157], v[90:91]
	v_add_f64 v[0:1], v[0:1], -v[88:89]
	s_delay_alu instid0(VALU_DEP_2) | instskip(SKIP_1) | instid1(VALU_DEP_2)
	v_fma_f64 v[156:157], v[158:159], v[164:165], v[156:157]
	v_dual_mov_b32 v88, v164 :: v_dual_mov_b32 v89, v165
	v_add_f64 v[2:3], v[2:3], -v[156:157]
.LBB76_398:
	s_or_b32 exec_lo, exec_lo, s2
	v_lshl_add_u32 v156, v172, 4, v166
	s_barrier
	buffer_gl0_inv
	v_mov_b32_e32 v164, 19
	ds_store_2addr_b64 v156, v[84:85], v[86:87] offset1:1
	s_waitcnt lgkmcnt(0)
	s_barrier
	buffer_gl0_inv
	ds_load_2addr_b64 v[156:159], v166 offset0:38 offset1:39
	s_cmp_lt_i32 s5, 21
	s_cbranch_scc1 .LBB76_401
; %bb.399:
	v_add3_u32 v165, v170, 0, 0x140
	v_mov_b32_e32 v164, 19
	s_mov_b32 s6, 20
	s_set_inst_prefetch_distance 0x1
	.p2align	6
.LBB76_400:                             ; =>This Inner Loop Header: Depth=1
	ds_load_2addr_b64 v[173:176], v165 offset1:1
	s_waitcnt lgkmcnt(1)
	v_cmp_gt_f64_e32 vcc_lo, 0, v[156:157]
	v_xor_b32_e32 v177, 0x80000000, v157
	v_cmp_gt_f64_e64 s2, 0, v[158:159]
	v_xor_b32_e32 v179, 0x80000000, v159
	v_add_nc_u32_e32 v165, 16, v165
	s_waitcnt lgkmcnt(0)
	v_cmp_gt_f64_e64 s3, 0, v[173:174]
	v_mov_b32_e32 v181, v173
	v_dual_mov_b32 v183, v175 :: v_dual_cndmask_b32 v178, v157, v177
	v_xor_b32_e32 v177, 0x80000000, v174
	v_cndmask_b32_e64 v180, v159, v179, s2
	v_xor_b32_e32 v179, 0x80000000, v176
	s_delay_alu instid0(VALU_DEP_3) | instskip(SKIP_2) | instid1(VALU_DEP_2)
	v_cndmask_b32_e64 v182, v174, v177, s3
	v_cmp_gt_f64_e64 s3, 0, v[175:176]
	v_cndmask_b32_e32 v177, v156, v156, vcc_lo
	v_cndmask_b32_e64 v184, v176, v179, s3
	v_cndmask_b32_e64 v179, v158, v158, s2
	s_delay_alu instid0(VALU_DEP_2) | instskip(NEXT) | instid1(VALU_DEP_2)
	v_add_f64 v[181:182], v[181:182], v[183:184]
	v_add_f64 v[177:178], v[177:178], v[179:180]
	s_delay_alu instid0(VALU_DEP_1) | instskip(SKIP_4) | instid1(SALU_CYCLE_1)
	v_cmp_lt_f64_e32 vcc_lo, v[177:178], v[181:182]
	v_dual_cndmask_b32 v158, v158, v175 :: v_dual_cndmask_b32 v157, v157, v174
	v_dual_cndmask_b32 v156, v156, v173 :: v_dual_cndmask_b32 v159, v159, v176
	v_cndmask_b32_e64 v164, v164, s6, vcc_lo
	s_add_i32 s6, s6, 1
	s_cmp_lg_u32 s5, s6
	s_cbranch_scc1 .LBB76_400
.LBB76_401:
	s_set_inst_prefetch_distance 0x2
	s_waitcnt lgkmcnt(0)
	v_cmp_eq_f64_e32 vcc_lo, 0, v[156:157]
	v_cmp_eq_f64_e64 s2, 0, v[158:159]
	s_delay_alu instid0(VALU_DEP_1) | instskip(NEXT) | instid1(SALU_CYCLE_1)
	s_and_b32 s2, vcc_lo, s2
	s_and_saveexec_b32 s3, s2
	s_delay_alu instid0(SALU_CYCLE_1)
	s_xor_b32 s2, exec_lo, s3
; %bb.402:
	v_cmp_ne_u32_e32 vcc_lo, 0, v169
	v_cndmask_b32_e32 v169, 20, v169, vcc_lo
; %bb.403:
	s_and_not1_saveexec_b32 s3, s2
	s_cbranch_execz .LBB76_409
; %bb.404:
	v_cmp_gt_f64_e32 vcc_lo, 0, v[156:157]
	v_cmp_gt_f64_e64 s2, 0, v[158:159]
	v_xor_b32_e32 v165, 0x80000000, v157
	v_xor_b32_e32 v173, 0x80000000, v159
	s_delay_alu instid0(VALU_DEP_2) | instskip(NEXT) | instid1(VALU_DEP_2)
	v_cndmask_b32_e32 v174, v157, v165, vcc_lo
	v_cndmask_b32_e64 v176, v159, v173, s2
	v_cndmask_b32_e32 v173, v156, v156, vcc_lo
	v_cndmask_b32_e64 v175, v158, v158, s2
	s_mov_b32 s2, exec_lo
	s_delay_alu instid0(VALU_DEP_1)
	v_cmpx_ngt_f64_e32 v[173:174], v[175:176]
	s_xor_b32 s2, exec_lo, s2
	s_cbranch_execz .LBB76_406
; %bb.405:
	v_div_scale_f64 v[173:174], null, v[158:159], v[158:159], v[156:157]
	v_div_scale_f64 v[179:180], vcc_lo, v[156:157], v[158:159], v[156:157]
	s_delay_alu instid0(VALU_DEP_2) | instskip(SKIP_2) | instid1(VALU_DEP_1)
	v_rcp_f64_e32 v[175:176], v[173:174]
	s_waitcnt_depctr 0xfff
	v_fma_f64 v[177:178], -v[173:174], v[175:176], 1.0
	v_fma_f64 v[175:176], v[175:176], v[177:178], v[175:176]
	s_delay_alu instid0(VALU_DEP_1) | instskip(NEXT) | instid1(VALU_DEP_1)
	v_fma_f64 v[177:178], -v[173:174], v[175:176], 1.0
	v_fma_f64 v[175:176], v[175:176], v[177:178], v[175:176]
	s_delay_alu instid0(VALU_DEP_1) | instskip(NEXT) | instid1(VALU_DEP_1)
	v_mul_f64 v[177:178], v[179:180], v[175:176]
	v_fma_f64 v[173:174], -v[173:174], v[177:178], v[179:180]
	s_delay_alu instid0(VALU_DEP_1) | instskip(NEXT) | instid1(VALU_DEP_1)
	v_div_fmas_f64 v[173:174], v[173:174], v[175:176], v[177:178]
	v_div_fixup_f64 v[173:174], v[173:174], v[158:159], v[156:157]
	s_delay_alu instid0(VALU_DEP_1) | instskip(NEXT) | instid1(VALU_DEP_1)
	v_fma_f64 v[156:157], v[156:157], v[173:174], v[158:159]
	v_div_scale_f64 v[158:159], null, v[156:157], v[156:157], 1.0
	s_delay_alu instid0(VALU_DEP_1) | instskip(SKIP_2) | instid1(VALU_DEP_1)
	v_rcp_f64_e32 v[175:176], v[158:159]
	s_waitcnt_depctr 0xfff
	v_fma_f64 v[177:178], -v[158:159], v[175:176], 1.0
	v_fma_f64 v[175:176], v[175:176], v[177:178], v[175:176]
	s_delay_alu instid0(VALU_DEP_1) | instskip(NEXT) | instid1(VALU_DEP_1)
	v_fma_f64 v[177:178], -v[158:159], v[175:176], 1.0
	v_fma_f64 v[175:176], v[175:176], v[177:178], v[175:176]
	v_div_scale_f64 v[177:178], vcc_lo, 1.0, v[156:157], 1.0
	s_delay_alu instid0(VALU_DEP_1) | instskip(NEXT) | instid1(VALU_DEP_1)
	v_mul_f64 v[179:180], v[177:178], v[175:176]
	v_fma_f64 v[158:159], -v[158:159], v[179:180], v[177:178]
	s_delay_alu instid0(VALU_DEP_1) | instskip(NEXT) | instid1(VALU_DEP_1)
	v_div_fmas_f64 v[158:159], v[158:159], v[175:176], v[179:180]
	v_div_fixup_f64 v[158:159], v[158:159], v[156:157], 1.0
	s_delay_alu instid0(VALU_DEP_1)
	v_mul_f64 v[156:157], v[173:174], v[158:159]
	v_xor_b32_e32 v159, 0x80000000, v159
.LBB76_406:
	s_and_not1_saveexec_b32 s2, s2
	s_cbranch_execz .LBB76_408
; %bb.407:
	s_delay_alu instid0(VALU_DEP_1) | instskip(SKIP_1) | instid1(VALU_DEP_2)
	v_div_scale_f64 v[173:174], null, v[156:157], v[156:157], v[158:159]
	v_div_scale_f64 v[179:180], vcc_lo, v[158:159], v[156:157], v[158:159]
	v_rcp_f64_e32 v[175:176], v[173:174]
	s_waitcnt_depctr 0xfff
	v_fma_f64 v[177:178], -v[173:174], v[175:176], 1.0
	s_delay_alu instid0(VALU_DEP_1) | instskip(NEXT) | instid1(VALU_DEP_1)
	v_fma_f64 v[175:176], v[175:176], v[177:178], v[175:176]
	v_fma_f64 v[177:178], -v[173:174], v[175:176], 1.0
	s_delay_alu instid0(VALU_DEP_1) | instskip(NEXT) | instid1(VALU_DEP_1)
	v_fma_f64 v[175:176], v[175:176], v[177:178], v[175:176]
	v_mul_f64 v[177:178], v[179:180], v[175:176]
	s_delay_alu instid0(VALU_DEP_1) | instskip(NEXT) | instid1(VALU_DEP_1)
	v_fma_f64 v[173:174], -v[173:174], v[177:178], v[179:180]
	v_div_fmas_f64 v[173:174], v[173:174], v[175:176], v[177:178]
	s_delay_alu instid0(VALU_DEP_1) | instskip(NEXT) | instid1(VALU_DEP_1)
	v_div_fixup_f64 v[173:174], v[173:174], v[156:157], v[158:159]
	v_fma_f64 v[156:157], v[158:159], v[173:174], v[156:157]
	s_delay_alu instid0(VALU_DEP_1) | instskip(NEXT) | instid1(VALU_DEP_1)
	v_div_scale_f64 v[158:159], null, v[156:157], v[156:157], 1.0
	v_rcp_f64_e32 v[175:176], v[158:159]
	s_waitcnt_depctr 0xfff
	v_fma_f64 v[177:178], -v[158:159], v[175:176], 1.0
	s_delay_alu instid0(VALU_DEP_1) | instskip(NEXT) | instid1(VALU_DEP_1)
	v_fma_f64 v[175:176], v[175:176], v[177:178], v[175:176]
	v_fma_f64 v[177:178], -v[158:159], v[175:176], 1.0
	s_delay_alu instid0(VALU_DEP_1) | instskip(SKIP_1) | instid1(VALU_DEP_1)
	v_fma_f64 v[175:176], v[175:176], v[177:178], v[175:176]
	v_div_scale_f64 v[177:178], vcc_lo, 1.0, v[156:157], 1.0
	v_mul_f64 v[179:180], v[177:178], v[175:176]
	s_delay_alu instid0(VALU_DEP_1) | instskip(NEXT) | instid1(VALU_DEP_1)
	v_fma_f64 v[158:159], -v[158:159], v[179:180], v[177:178]
	v_div_fmas_f64 v[158:159], v[158:159], v[175:176], v[179:180]
	s_delay_alu instid0(VALU_DEP_1) | instskip(NEXT) | instid1(VALU_DEP_1)
	v_div_fixup_f64 v[156:157], v[158:159], v[156:157], 1.0
	v_mul_f64 v[158:159], v[173:174], -v[156:157]
.LBB76_408:
	s_or_b32 exec_lo, exec_lo, s2
.LBB76_409:
	s_delay_alu instid0(SALU_CYCLE_1) | instskip(NEXT) | instid1(SALU_CYCLE_1)
	s_or_b32 exec_lo, exec_lo, s3
	s_mov_b32 s2, exec_lo
	v_cmpx_ne_u32_e64 v172, v164
	s_xor_b32 s2, exec_lo, s2
	s_cbranch_execz .LBB76_415
; %bb.410:
	s_mov_b32 s3, exec_lo
	v_cmpx_eq_u32_e32 19, v172
	s_cbranch_execz .LBB76_414
; %bb.411:
	v_cmp_ne_u32_e32 vcc_lo, 19, v164
	s_xor_b32 s6, s4, -1
	s_delay_alu instid0(SALU_CYCLE_1) | instskip(NEXT) | instid1(SALU_CYCLE_1)
	s_and_b32 s7, s6, vcc_lo
	s_and_saveexec_b32 s6, s7
	s_cbranch_execz .LBB76_413
; %bb.412:
	v_ashrrev_i32_e32 v165, 31, v164
	s_delay_alu instid0(VALU_DEP_1) | instskip(NEXT) | instid1(VALU_DEP_1)
	v_lshlrev_b64 v[171:172], 2, v[164:165]
	v_add_co_u32 v171, vcc_lo, v162, v171
	s_delay_alu instid0(VALU_DEP_2)
	v_add_co_ci_u32_e32 v172, vcc_lo, v163, v172, vcc_lo
	s_clause 0x1
	flat_load_b32 v165, v[171:172]
	flat_load_b32 v173, v[162:163] offset:76
	s_waitcnt vmcnt(1) lgkmcnt(1)
	flat_store_b32 v[162:163], v165 offset:76
	s_waitcnt vmcnt(0) lgkmcnt(1)
	flat_store_b32 v[171:172], v173
.LBB76_413:
	s_or_b32 exec_lo, exec_lo, s6
	v_mov_b32_e32 v172, v164
	v_mov_b32_e32 v171, v164
.LBB76_414:
	s_or_b32 exec_lo, exec_lo, s3
.LBB76_415:
	s_and_not1_saveexec_b32 s2, s2
	s_cbranch_execz .LBB76_417
; %bb.416:
	v_mov_b32_e32 v172, 19
	ds_store_2addr_b64 v166, v[80:81], v[82:83] offset0:40 offset1:41
	ds_store_2addr_b64 v166, v[76:77], v[78:79] offset0:42 offset1:43
	;; [unrolled: 1-line block ×19, first 2 shown]
.LBB76_417:
	s_or_b32 exec_lo, exec_lo, s2
	s_delay_alu instid0(SALU_CYCLE_1)
	s_mov_b32 s2, exec_lo
	s_waitcnt lgkmcnt(0)
	s_waitcnt_vscnt null, 0x0
	s_barrier
	buffer_gl0_inv
	v_cmpx_lt_i32_e32 19, v172
	s_cbranch_execz .LBB76_419
; %bb.418:
	v_mul_f64 v[164:165], v[158:159], v[86:87]
	v_mul_f64 v[86:87], v[156:157], v[86:87]
	s_delay_alu instid0(VALU_DEP_2) | instskip(NEXT) | instid1(VALU_DEP_2)
	v_fma_f64 v[164:165], v[156:157], v[84:85], -v[164:165]
	v_fma_f64 v[86:87], v[158:159], v[84:85], v[86:87]
	ds_load_2addr_b64 v[156:159], v166 offset0:40 offset1:41
	s_waitcnt lgkmcnt(0)
	v_mul_f64 v[84:85], v[158:159], v[86:87]
	s_delay_alu instid0(VALU_DEP_1) | instskip(SKIP_1) | instid1(VALU_DEP_2)
	v_fma_f64 v[84:85], v[156:157], v[164:165], -v[84:85]
	v_mul_f64 v[156:157], v[156:157], v[86:87]
	v_add_f64 v[80:81], v[80:81], -v[84:85]
	s_delay_alu instid0(VALU_DEP_2) | instskip(NEXT) | instid1(VALU_DEP_1)
	v_fma_f64 v[156:157], v[158:159], v[164:165], v[156:157]
	v_add_f64 v[82:83], v[82:83], -v[156:157]
	ds_load_2addr_b64 v[156:159], v166 offset0:42 offset1:43
	s_waitcnt lgkmcnt(0)
	v_mul_f64 v[84:85], v[158:159], v[86:87]
	s_delay_alu instid0(VALU_DEP_1) | instskip(SKIP_1) | instid1(VALU_DEP_2)
	v_fma_f64 v[84:85], v[156:157], v[164:165], -v[84:85]
	v_mul_f64 v[156:157], v[156:157], v[86:87]
	v_add_f64 v[76:77], v[76:77], -v[84:85]
	s_delay_alu instid0(VALU_DEP_2) | instskip(NEXT) | instid1(VALU_DEP_1)
	v_fma_f64 v[156:157], v[158:159], v[164:165], v[156:157]
	v_add_f64 v[78:79], v[78:79], -v[156:157]
	;; [unrolled: 10-line block ×18, first 2 shown]
	ds_load_2addr_b64 v[156:159], v166 offset0:76 offset1:77
	s_waitcnt lgkmcnt(0)
	v_mul_f64 v[84:85], v[158:159], v[86:87]
	s_delay_alu instid0(VALU_DEP_1) | instskip(SKIP_1) | instid1(VALU_DEP_2)
	v_fma_f64 v[84:85], v[156:157], v[164:165], -v[84:85]
	v_mul_f64 v[156:157], v[156:157], v[86:87]
	v_add_f64 v[0:1], v[0:1], -v[84:85]
	s_delay_alu instid0(VALU_DEP_2) | instskip(SKIP_1) | instid1(VALU_DEP_2)
	v_fma_f64 v[156:157], v[158:159], v[164:165], v[156:157]
	v_dual_mov_b32 v84, v164 :: v_dual_mov_b32 v85, v165
	v_add_f64 v[2:3], v[2:3], -v[156:157]
.LBB76_419:
	s_or_b32 exec_lo, exec_lo, s2
	v_lshl_add_u32 v156, v172, 4, v166
	s_barrier
	buffer_gl0_inv
	v_mov_b32_e32 v164, 20
	ds_store_2addr_b64 v156, v[80:81], v[82:83] offset1:1
	s_waitcnt lgkmcnt(0)
	s_barrier
	buffer_gl0_inv
	ds_load_2addr_b64 v[156:159], v166 offset0:40 offset1:41
	s_cmp_lt_i32 s5, 22
	s_cbranch_scc1 .LBB76_422
; %bb.420:
	v_add3_u32 v165, v170, 0, 0x150
	v_mov_b32_e32 v164, 20
	s_mov_b32 s6, 21
	s_set_inst_prefetch_distance 0x1
	.p2align	6
.LBB76_421:                             ; =>This Inner Loop Header: Depth=1
	ds_load_2addr_b64 v[173:176], v165 offset1:1
	s_waitcnt lgkmcnt(1)
	v_cmp_gt_f64_e32 vcc_lo, 0, v[156:157]
	v_xor_b32_e32 v177, 0x80000000, v157
	v_cmp_gt_f64_e64 s2, 0, v[158:159]
	v_xor_b32_e32 v179, 0x80000000, v159
	v_add_nc_u32_e32 v165, 16, v165
	s_waitcnt lgkmcnt(0)
	v_cmp_gt_f64_e64 s3, 0, v[173:174]
	v_mov_b32_e32 v181, v173
	v_dual_mov_b32 v183, v175 :: v_dual_cndmask_b32 v178, v157, v177
	v_xor_b32_e32 v177, 0x80000000, v174
	v_cndmask_b32_e64 v180, v159, v179, s2
	v_xor_b32_e32 v179, 0x80000000, v176
	s_delay_alu instid0(VALU_DEP_3) | instskip(SKIP_2) | instid1(VALU_DEP_2)
	v_cndmask_b32_e64 v182, v174, v177, s3
	v_cmp_gt_f64_e64 s3, 0, v[175:176]
	v_cndmask_b32_e32 v177, v156, v156, vcc_lo
	v_cndmask_b32_e64 v184, v176, v179, s3
	v_cndmask_b32_e64 v179, v158, v158, s2
	s_delay_alu instid0(VALU_DEP_2) | instskip(NEXT) | instid1(VALU_DEP_2)
	v_add_f64 v[181:182], v[181:182], v[183:184]
	v_add_f64 v[177:178], v[177:178], v[179:180]
	s_delay_alu instid0(VALU_DEP_1) | instskip(SKIP_4) | instid1(SALU_CYCLE_1)
	v_cmp_lt_f64_e32 vcc_lo, v[177:178], v[181:182]
	v_dual_cndmask_b32 v158, v158, v175 :: v_dual_cndmask_b32 v157, v157, v174
	v_dual_cndmask_b32 v156, v156, v173 :: v_dual_cndmask_b32 v159, v159, v176
	v_cndmask_b32_e64 v164, v164, s6, vcc_lo
	s_add_i32 s6, s6, 1
	s_cmp_lg_u32 s5, s6
	s_cbranch_scc1 .LBB76_421
.LBB76_422:
	s_set_inst_prefetch_distance 0x2
	s_waitcnt lgkmcnt(0)
	v_cmp_eq_f64_e32 vcc_lo, 0, v[156:157]
	v_cmp_eq_f64_e64 s2, 0, v[158:159]
	s_delay_alu instid0(VALU_DEP_1) | instskip(NEXT) | instid1(SALU_CYCLE_1)
	s_and_b32 s2, vcc_lo, s2
	s_and_saveexec_b32 s3, s2
	s_delay_alu instid0(SALU_CYCLE_1)
	s_xor_b32 s2, exec_lo, s3
; %bb.423:
	v_cmp_ne_u32_e32 vcc_lo, 0, v169
	v_cndmask_b32_e32 v169, 21, v169, vcc_lo
; %bb.424:
	s_and_not1_saveexec_b32 s3, s2
	s_cbranch_execz .LBB76_430
; %bb.425:
	v_cmp_gt_f64_e32 vcc_lo, 0, v[156:157]
	v_cmp_gt_f64_e64 s2, 0, v[158:159]
	v_xor_b32_e32 v165, 0x80000000, v157
	v_xor_b32_e32 v173, 0x80000000, v159
	s_delay_alu instid0(VALU_DEP_2) | instskip(NEXT) | instid1(VALU_DEP_2)
	v_cndmask_b32_e32 v174, v157, v165, vcc_lo
	v_cndmask_b32_e64 v176, v159, v173, s2
	v_cndmask_b32_e32 v173, v156, v156, vcc_lo
	v_cndmask_b32_e64 v175, v158, v158, s2
	s_mov_b32 s2, exec_lo
	s_delay_alu instid0(VALU_DEP_1)
	v_cmpx_ngt_f64_e32 v[173:174], v[175:176]
	s_xor_b32 s2, exec_lo, s2
	s_cbranch_execz .LBB76_427
; %bb.426:
	v_div_scale_f64 v[173:174], null, v[158:159], v[158:159], v[156:157]
	v_div_scale_f64 v[179:180], vcc_lo, v[156:157], v[158:159], v[156:157]
	s_delay_alu instid0(VALU_DEP_2) | instskip(SKIP_2) | instid1(VALU_DEP_1)
	v_rcp_f64_e32 v[175:176], v[173:174]
	s_waitcnt_depctr 0xfff
	v_fma_f64 v[177:178], -v[173:174], v[175:176], 1.0
	v_fma_f64 v[175:176], v[175:176], v[177:178], v[175:176]
	s_delay_alu instid0(VALU_DEP_1) | instskip(NEXT) | instid1(VALU_DEP_1)
	v_fma_f64 v[177:178], -v[173:174], v[175:176], 1.0
	v_fma_f64 v[175:176], v[175:176], v[177:178], v[175:176]
	s_delay_alu instid0(VALU_DEP_1) | instskip(NEXT) | instid1(VALU_DEP_1)
	v_mul_f64 v[177:178], v[179:180], v[175:176]
	v_fma_f64 v[173:174], -v[173:174], v[177:178], v[179:180]
	s_delay_alu instid0(VALU_DEP_1) | instskip(NEXT) | instid1(VALU_DEP_1)
	v_div_fmas_f64 v[173:174], v[173:174], v[175:176], v[177:178]
	v_div_fixup_f64 v[173:174], v[173:174], v[158:159], v[156:157]
	s_delay_alu instid0(VALU_DEP_1) | instskip(NEXT) | instid1(VALU_DEP_1)
	v_fma_f64 v[156:157], v[156:157], v[173:174], v[158:159]
	v_div_scale_f64 v[158:159], null, v[156:157], v[156:157], 1.0
	s_delay_alu instid0(VALU_DEP_1) | instskip(SKIP_2) | instid1(VALU_DEP_1)
	v_rcp_f64_e32 v[175:176], v[158:159]
	s_waitcnt_depctr 0xfff
	v_fma_f64 v[177:178], -v[158:159], v[175:176], 1.0
	v_fma_f64 v[175:176], v[175:176], v[177:178], v[175:176]
	s_delay_alu instid0(VALU_DEP_1) | instskip(NEXT) | instid1(VALU_DEP_1)
	v_fma_f64 v[177:178], -v[158:159], v[175:176], 1.0
	v_fma_f64 v[175:176], v[175:176], v[177:178], v[175:176]
	v_div_scale_f64 v[177:178], vcc_lo, 1.0, v[156:157], 1.0
	s_delay_alu instid0(VALU_DEP_1) | instskip(NEXT) | instid1(VALU_DEP_1)
	v_mul_f64 v[179:180], v[177:178], v[175:176]
	v_fma_f64 v[158:159], -v[158:159], v[179:180], v[177:178]
	s_delay_alu instid0(VALU_DEP_1) | instskip(NEXT) | instid1(VALU_DEP_1)
	v_div_fmas_f64 v[158:159], v[158:159], v[175:176], v[179:180]
	v_div_fixup_f64 v[158:159], v[158:159], v[156:157], 1.0
	s_delay_alu instid0(VALU_DEP_1)
	v_mul_f64 v[156:157], v[173:174], v[158:159]
	v_xor_b32_e32 v159, 0x80000000, v159
.LBB76_427:
	s_and_not1_saveexec_b32 s2, s2
	s_cbranch_execz .LBB76_429
; %bb.428:
	s_delay_alu instid0(VALU_DEP_1) | instskip(SKIP_1) | instid1(VALU_DEP_2)
	v_div_scale_f64 v[173:174], null, v[156:157], v[156:157], v[158:159]
	v_div_scale_f64 v[179:180], vcc_lo, v[158:159], v[156:157], v[158:159]
	v_rcp_f64_e32 v[175:176], v[173:174]
	s_waitcnt_depctr 0xfff
	v_fma_f64 v[177:178], -v[173:174], v[175:176], 1.0
	s_delay_alu instid0(VALU_DEP_1) | instskip(NEXT) | instid1(VALU_DEP_1)
	v_fma_f64 v[175:176], v[175:176], v[177:178], v[175:176]
	v_fma_f64 v[177:178], -v[173:174], v[175:176], 1.0
	s_delay_alu instid0(VALU_DEP_1) | instskip(NEXT) | instid1(VALU_DEP_1)
	v_fma_f64 v[175:176], v[175:176], v[177:178], v[175:176]
	v_mul_f64 v[177:178], v[179:180], v[175:176]
	s_delay_alu instid0(VALU_DEP_1) | instskip(NEXT) | instid1(VALU_DEP_1)
	v_fma_f64 v[173:174], -v[173:174], v[177:178], v[179:180]
	v_div_fmas_f64 v[173:174], v[173:174], v[175:176], v[177:178]
	s_delay_alu instid0(VALU_DEP_1) | instskip(NEXT) | instid1(VALU_DEP_1)
	v_div_fixup_f64 v[173:174], v[173:174], v[156:157], v[158:159]
	v_fma_f64 v[156:157], v[158:159], v[173:174], v[156:157]
	s_delay_alu instid0(VALU_DEP_1) | instskip(NEXT) | instid1(VALU_DEP_1)
	v_div_scale_f64 v[158:159], null, v[156:157], v[156:157], 1.0
	v_rcp_f64_e32 v[175:176], v[158:159]
	s_waitcnt_depctr 0xfff
	v_fma_f64 v[177:178], -v[158:159], v[175:176], 1.0
	s_delay_alu instid0(VALU_DEP_1) | instskip(NEXT) | instid1(VALU_DEP_1)
	v_fma_f64 v[175:176], v[175:176], v[177:178], v[175:176]
	v_fma_f64 v[177:178], -v[158:159], v[175:176], 1.0
	s_delay_alu instid0(VALU_DEP_1) | instskip(SKIP_1) | instid1(VALU_DEP_1)
	v_fma_f64 v[175:176], v[175:176], v[177:178], v[175:176]
	v_div_scale_f64 v[177:178], vcc_lo, 1.0, v[156:157], 1.0
	v_mul_f64 v[179:180], v[177:178], v[175:176]
	s_delay_alu instid0(VALU_DEP_1) | instskip(NEXT) | instid1(VALU_DEP_1)
	v_fma_f64 v[158:159], -v[158:159], v[179:180], v[177:178]
	v_div_fmas_f64 v[158:159], v[158:159], v[175:176], v[179:180]
	s_delay_alu instid0(VALU_DEP_1) | instskip(NEXT) | instid1(VALU_DEP_1)
	v_div_fixup_f64 v[156:157], v[158:159], v[156:157], 1.0
	v_mul_f64 v[158:159], v[173:174], -v[156:157]
.LBB76_429:
	s_or_b32 exec_lo, exec_lo, s2
.LBB76_430:
	s_delay_alu instid0(SALU_CYCLE_1) | instskip(NEXT) | instid1(SALU_CYCLE_1)
	s_or_b32 exec_lo, exec_lo, s3
	s_mov_b32 s2, exec_lo
	v_cmpx_ne_u32_e64 v172, v164
	s_xor_b32 s2, exec_lo, s2
	s_cbranch_execz .LBB76_436
; %bb.431:
	s_mov_b32 s3, exec_lo
	v_cmpx_eq_u32_e32 20, v172
	s_cbranch_execz .LBB76_435
; %bb.432:
	v_cmp_ne_u32_e32 vcc_lo, 20, v164
	s_xor_b32 s6, s4, -1
	s_delay_alu instid0(SALU_CYCLE_1) | instskip(NEXT) | instid1(SALU_CYCLE_1)
	s_and_b32 s7, s6, vcc_lo
	s_and_saveexec_b32 s6, s7
	s_cbranch_execz .LBB76_434
; %bb.433:
	v_ashrrev_i32_e32 v165, 31, v164
	s_delay_alu instid0(VALU_DEP_1) | instskip(NEXT) | instid1(VALU_DEP_1)
	v_lshlrev_b64 v[171:172], 2, v[164:165]
	v_add_co_u32 v171, vcc_lo, v162, v171
	s_delay_alu instid0(VALU_DEP_2)
	v_add_co_ci_u32_e32 v172, vcc_lo, v163, v172, vcc_lo
	s_clause 0x1
	flat_load_b32 v165, v[171:172]
	flat_load_b32 v173, v[162:163] offset:80
	s_waitcnt vmcnt(1) lgkmcnt(1)
	flat_store_b32 v[162:163], v165 offset:80
	s_waitcnt vmcnt(0) lgkmcnt(1)
	flat_store_b32 v[171:172], v173
.LBB76_434:
	s_or_b32 exec_lo, exec_lo, s6
	v_mov_b32_e32 v172, v164
	v_mov_b32_e32 v171, v164
.LBB76_435:
	s_or_b32 exec_lo, exec_lo, s3
.LBB76_436:
	s_and_not1_saveexec_b32 s2, s2
	s_cbranch_execz .LBB76_438
; %bb.437:
	v_mov_b32_e32 v172, 20
	ds_store_2addr_b64 v166, v[76:77], v[78:79] offset0:42 offset1:43
	ds_store_2addr_b64 v166, v[72:73], v[74:75] offset0:44 offset1:45
	;; [unrolled: 1-line block ×18, first 2 shown]
.LBB76_438:
	s_or_b32 exec_lo, exec_lo, s2
	s_delay_alu instid0(SALU_CYCLE_1)
	s_mov_b32 s2, exec_lo
	s_waitcnt lgkmcnt(0)
	s_waitcnt_vscnt null, 0x0
	s_barrier
	buffer_gl0_inv
	v_cmpx_lt_i32_e32 20, v172
	s_cbranch_execz .LBB76_440
; %bb.439:
	v_mul_f64 v[164:165], v[158:159], v[82:83]
	v_mul_f64 v[82:83], v[156:157], v[82:83]
	s_delay_alu instid0(VALU_DEP_2) | instskip(NEXT) | instid1(VALU_DEP_2)
	v_fma_f64 v[164:165], v[156:157], v[80:81], -v[164:165]
	v_fma_f64 v[82:83], v[158:159], v[80:81], v[82:83]
	ds_load_2addr_b64 v[156:159], v166 offset0:42 offset1:43
	s_waitcnt lgkmcnt(0)
	v_mul_f64 v[80:81], v[158:159], v[82:83]
	s_delay_alu instid0(VALU_DEP_1) | instskip(SKIP_1) | instid1(VALU_DEP_2)
	v_fma_f64 v[80:81], v[156:157], v[164:165], -v[80:81]
	v_mul_f64 v[156:157], v[156:157], v[82:83]
	v_add_f64 v[76:77], v[76:77], -v[80:81]
	s_delay_alu instid0(VALU_DEP_2) | instskip(NEXT) | instid1(VALU_DEP_1)
	v_fma_f64 v[156:157], v[158:159], v[164:165], v[156:157]
	v_add_f64 v[78:79], v[78:79], -v[156:157]
	ds_load_2addr_b64 v[156:159], v166 offset0:44 offset1:45
	s_waitcnt lgkmcnt(0)
	v_mul_f64 v[80:81], v[158:159], v[82:83]
	s_delay_alu instid0(VALU_DEP_1) | instskip(SKIP_1) | instid1(VALU_DEP_2)
	v_fma_f64 v[80:81], v[156:157], v[164:165], -v[80:81]
	v_mul_f64 v[156:157], v[156:157], v[82:83]
	v_add_f64 v[72:73], v[72:73], -v[80:81]
	s_delay_alu instid0(VALU_DEP_2) | instskip(NEXT) | instid1(VALU_DEP_1)
	v_fma_f64 v[156:157], v[158:159], v[164:165], v[156:157]
	v_add_f64 v[74:75], v[74:75], -v[156:157]
	;; [unrolled: 10-line block ×17, first 2 shown]
	ds_load_2addr_b64 v[156:159], v166 offset0:76 offset1:77
	s_waitcnt lgkmcnt(0)
	v_mul_f64 v[80:81], v[158:159], v[82:83]
	s_delay_alu instid0(VALU_DEP_1) | instskip(SKIP_1) | instid1(VALU_DEP_2)
	v_fma_f64 v[80:81], v[156:157], v[164:165], -v[80:81]
	v_mul_f64 v[156:157], v[156:157], v[82:83]
	v_add_f64 v[0:1], v[0:1], -v[80:81]
	s_delay_alu instid0(VALU_DEP_2) | instskip(SKIP_1) | instid1(VALU_DEP_2)
	v_fma_f64 v[156:157], v[158:159], v[164:165], v[156:157]
	v_dual_mov_b32 v80, v164 :: v_dual_mov_b32 v81, v165
	v_add_f64 v[2:3], v[2:3], -v[156:157]
.LBB76_440:
	s_or_b32 exec_lo, exec_lo, s2
	v_lshl_add_u32 v156, v172, 4, v166
	s_barrier
	buffer_gl0_inv
	v_mov_b32_e32 v164, 21
	ds_store_2addr_b64 v156, v[76:77], v[78:79] offset1:1
	s_waitcnt lgkmcnt(0)
	s_barrier
	buffer_gl0_inv
	ds_load_2addr_b64 v[156:159], v166 offset0:42 offset1:43
	s_cmp_lt_i32 s5, 23
	s_cbranch_scc1 .LBB76_443
; %bb.441:
	v_add3_u32 v165, v170, 0, 0x160
	v_mov_b32_e32 v164, 21
	s_mov_b32 s6, 22
	s_set_inst_prefetch_distance 0x1
	.p2align	6
.LBB76_442:                             ; =>This Inner Loop Header: Depth=1
	ds_load_2addr_b64 v[173:176], v165 offset1:1
	s_waitcnt lgkmcnt(1)
	v_cmp_gt_f64_e32 vcc_lo, 0, v[156:157]
	v_xor_b32_e32 v177, 0x80000000, v157
	v_cmp_gt_f64_e64 s2, 0, v[158:159]
	v_xor_b32_e32 v179, 0x80000000, v159
	v_add_nc_u32_e32 v165, 16, v165
	s_waitcnt lgkmcnt(0)
	v_cmp_gt_f64_e64 s3, 0, v[173:174]
	v_mov_b32_e32 v181, v173
	v_dual_mov_b32 v183, v175 :: v_dual_cndmask_b32 v178, v157, v177
	v_xor_b32_e32 v177, 0x80000000, v174
	v_cndmask_b32_e64 v180, v159, v179, s2
	v_xor_b32_e32 v179, 0x80000000, v176
	s_delay_alu instid0(VALU_DEP_3) | instskip(SKIP_2) | instid1(VALU_DEP_2)
	v_cndmask_b32_e64 v182, v174, v177, s3
	v_cmp_gt_f64_e64 s3, 0, v[175:176]
	v_cndmask_b32_e32 v177, v156, v156, vcc_lo
	v_cndmask_b32_e64 v184, v176, v179, s3
	v_cndmask_b32_e64 v179, v158, v158, s2
	s_delay_alu instid0(VALU_DEP_2) | instskip(NEXT) | instid1(VALU_DEP_2)
	v_add_f64 v[181:182], v[181:182], v[183:184]
	v_add_f64 v[177:178], v[177:178], v[179:180]
	s_delay_alu instid0(VALU_DEP_1) | instskip(SKIP_4) | instid1(SALU_CYCLE_1)
	v_cmp_lt_f64_e32 vcc_lo, v[177:178], v[181:182]
	v_dual_cndmask_b32 v158, v158, v175 :: v_dual_cndmask_b32 v157, v157, v174
	v_dual_cndmask_b32 v156, v156, v173 :: v_dual_cndmask_b32 v159, v159, v176
	v_cndmask_b32_e64 v164, v164, s6, vcc_lo
	s_add_i32 s6, s6, 1
	s_cmp_lg_u32 s5, s6
	s_cbranch_scc1 .LBB76_442
.LBB76_443:
	s_set_inst_prefetch_distance 0x2
	s_waitcnt lgkmcnt(0)
	v_cmp_eq_f64_e32 vcc_lo, 0, v[156:157]
	v_cmp_eq_f64_e64 s2, 0, v[158:159]
	s_delay_alu instid0(VALU_DEP_1) | instskip(NEXT) | instid1(SALU_CYCLE_1)
	s_and_b32 s2, vcc_lo, s2
	s_and_saveexec_b32 s3, s2
	s_delay_alu instid0(SALU_CYCLE_1)
	s_xor_b32 s2, exec_lo, s3
; %bb.444:
	v_cmp_ne_u32_e32 vcc_lo, 0, v169
	v_cndmask_b32_e32 v169, 22, v169, vcc_lo
; %bb.445:
	s_and_not1_saveexec_b32 s3, s2
	s_cbranch_execz .LBB76_451
; %bb.446:
	v_cmp_gt_f64_e32 vcc_lo, 0, v[156:157]
	v_cmp_gt_f64_e64 s2, 0, v[158:159]
	v_xor_b32_e32 v165, 0x80000000, v157
	v_xor_b32_e32 v173, 0x80000000, v159
	s_delay_alu instid0(VALU_DEP_2) | instskip(NEXT) | instid1(VALU_DEP_2)
	v_cndmask_b32_e32 v174, v157, v165, vcc_lo
	v_cndmask_b32_e64 v176, v159, v173, s2
	v_cndmask_b32_e32 v173, v156, v156, vcc_lo
	v_cndmask_b32_e64 v175, v158, v158, s2
	s_mov_b32 s2, exec_lo
	s_delay_alu instid0(VALU_DEP_1)
	v_cmpx_ngt_f64_e32 v[173:174], v[175:176]
	s_xor_b32 s2, exec_lo, s2
	s_cbranch_execz .LBB76_448
; %bb.447:
	v_div_scale_f64 v[173:174], null, v[158:159], v[158:159], v[156:157]
	v_div_scale_f64 v[179:180], vcc_lo, v[156:157], v[158:159], v[156:157]
	s_delay_alu instid0(VALU_DEP_2) | instskip(SKIP_2) | instid1(VALU_DEP_1)
	v_rcp_f64_e32 v[175:176], v[173:174]
	s_waitcnt_depctr 0xfff
	v_fma_f64 v[177:178], -v[173:174], v[175:176], 1.0
	v_fma_f64 v[175:176], v[175:176], v[177:178], v[175:176]
	s_delay_alu instid0(VALU_DEP_1) | instskip(NEXT) | instid1(VALU_DEP_1)
	v_fma_f64 v[177:178], -v[173:174], v[175:176], 1.0
	v_fma_f64 v[175:176], v[175:176], v[177:178], v[175:176]
	s_delay_alu instid0(VALU_DEP_1) | instskip(NEXT) | instid1(VALU_DEP_1)
	v_mul_f64 v[177:178], v[179:180], v[175:176]
	v_fma_f64 v[173:174], -v[173:174], v[177:178], v[179:180]
	s_delay_alu instid0(VALU_DEP_1) | instskip(NEXT) | instid1(VALU_DEP_1)
	v_div_fmas_f64 v[173:174], v[173:174], v[175:176], v[177:178]
	v_div_fixup_f64 v[173:174], v[173:174], v[158:159], v[156:157]
	s_delay_alu instid0(VALU_DEP_1) | instskip(NEXT) | instid1(VALU_DEP_1)
	v_fma_f64 v[156:157], v[156:157], v[173:174], v[158:159]
	v_div_scale_f64 v[158:159], null, v[156:157], v[156:157], 1.0
	s_delay_alu instid0(VALU_DEP_1) | instskip(SKIP_2) | instid1(VALU_DEP_1)
	v_rcp_f64_e32 v[175:176], v[158:159]
	s_waitcnt_depctr 0xfff
	v_fma_f64 v[177:178], -v[158:159], v[175:176], 1.0
	v_fma_f64 v[175:176], v[175:176], v[177:178], v[175:176]
	s_delay_alu instid0(VALU_DEP_1) | instskip(NEXT) | instid1(VALU_DEP_1)
	v_fma_f64 v[177:178], -v[158:159], v[175:176], 1.0
	v_fma_f64 v[175:176], v[175:176], v[177:178], v[175:176]
	v_div_scale_f64 v[177:178], vcc_lo, 1.0, v[156:157], 1.0
	s_delay_alu instid0(VALU_DEP_1) | instskip(NEXT) | instid1(VALU_DEP_1)
	v_mul_f64 v[179:180], v[177:178], v[175:176]
	v_fma_f64 v[158:159], -v[158:159], v[179:180], v[177:178]
	s_delay_alu instid0(VALU_DEP_1) | instskip(NEXT) | instid1(VALU_DEP_1)
	v_div_fmas_f64 v[158:159], v[158:159], v[175:176], v[179:180]
	v_div_fixup_f64 v[158:159], v[158:159], v[156:157], 1.0
	s_delay_alu instid0(VALU_DEP_1)
	v_mul_f64 v[156:157], v[173:174], v[158:159]
	v_xor_b32_e32 v159, 0x80000000, v159
.LBB76_448:
	s_and_not1_saveexec_b32 s2, s2
	s_cbranch_execz .LBB76_450
; %bb.449:
	s_delay_alu instid0(VALU_DEP_1) | instskip(SKIP_1) | instid1(VALU_DEP_2)
	v_div_scale_f64 v[173:174], null, v[156:157], v[156:157], v[158:159]
	v_div_scale_f64 v[179:180], vcc_lo, v[158:159], v[156:157], v[158:159]
	v_rcp_f64_e32 v[175:176], v[173:174]
	s_waitcnt_depctr 0xfff
	v_fma_f64 v[177:178], -v[173:174], v[175:176], 1.0
	s_delay_alu instid0(VALU_DEP_1) | instskip(NEXT) | instid1(VALU_DEP_1)
	v_fma_f64 v[175:176], v[175:176], v[177:178], v[175:176]
	v_fma_f64 v[177:178], -v[173:174], v[175:176], 1.0
	s_delay_alu instid0(VALU_DEP_1) | instskip(NEXT) | instid1(VALU_DEP_1)
	v_fma_f64 v[175:176], v[175:176], v[177:178], v[175:176]
	v_mul_f64 v[177:178], v[179:180], v[175:176]
	s_delay_alu instid0(VALU_DEP_1) | instskip(NEXT) | instid1(VALU_DEP_1)
	v_fma_f64 v[173:174], -v[173:174], v[177:178], v[179:180]
	v_div_fmas_f64 v[173:174], v[173:174], v[175:176], v[177:178]
	s_delay_alu instid0(VALU_DEP_1) | instskip(NEXT) | instid1(VALU_DEP_1)
	v_div_fixup_f64 v[173:174], v[173:174], v[156:157], v[158:159]
	v_fma_f64 v[156:157], v[158:159], v[173:174], v[156:157]
	s_delay_alu instid0(VALU_DEP_1) | instskip(NEXT) | instid1(VALU_DEP_1)
	v_div_scale_f64 v[158:159], null, v[156:157], v[156:157], 1.0
	v_rcp_f64_e32 v[175:176], v[158:159]
	s_waitcnt_depctr 0xfff
	v_fma_f64 v[177:178], -v[158:159], v[175:176], 1.0
	s_delay_alu instid0(VALU_DEP_1) | instskip(NEXT) | instid1(VALU_DEP_1)
	v_fma_f64 v[175:176], v[175:176], v[177:178], v[175:176]
	v_fma_f64 v[177:178], -v[158:159], v[175:176], 1.0
	s_delay_alu instid0(VALU_DEP_1) | instskip(SKIP_1) | instid1(VALU_DEP_1)
	v_fma_f64 v[175:176], v[175:176], v[177:178], v[175:176]
	v_div_scale_f64 v[177:178], vcc_lo, 1.0, v[156:157], 1.0
	v_mul_f64 v[179:180], v[177:178], v[175:176]
	s_delay_alu instid0(VALU_DEP_1) | instskip(NEXT) | instid1(VALU_DEP_1)
	v_fma_f64 v[158:159], -v[158:159], v[179:180], v[177:178]
	v_div_fmas_f64 v[158:159], v[158:159], v[175:176], v[179:180]
	s_delay_alu instid0(VALU_DEP_1) | instskip(NEXT) | instid1(VALU_DEP_1)
	v_div_fixup_f64 v[156:157], v[158:159], v[156:157], 1.0
	v_mul_f64 v[158:159], v[173:174], -v[156:157]
.LBB76_450:
	s_or_b32 exec_lo, exec_lo, s2
.LBB76_451:
	s_delay_alu instid0(SALU_CYCLE_1) | instskip(NEXT) | instid1(SALU_CYCLE_1)
	s_or_b32 exec_lo, exec_lo, s3
	s_mov_b32 s2, exec_lo
	v_cmpx_ne_u32_e64 v172, v164
	s_xor_b32 s2, exec_lo, s2
	s_cbranch_execz .LBB76_457
; %bb.452:
	s_mov_b32 s3, exec_lo
	v_cmpx_eq_u32_e32 21, v172
	s_cbranch_execz .LBB76_456
; %bb.453:
	v_cmp_ne_u32_e32 vcc_lo, 21, v164
	s_xor_b32 s6, s4, -1
	s_delay_alu instid0(SALU_CYCLE_1) | instskip(NEXT) | instid1(SALU_CYCLE_1)
	s_and_b32 s7, s6, vcc_lo
	s_and_saveexec_b32 s6, s7
	s_cbranch_execz .LBB76_455
; %bb.454:
	v_ashrrev_i32_e32 v165, 31, v164
	s_delay_alu instid0(VALU_DEP_1) | instskip(NEXT) | instid1(VALU_DEP_1)
	v_lshlrev_b64 v[171:172], 2, v[164:165]
	v_add_co_u32 v171, vcc_lo, v162, v171
	s_delay_alu instid0(VALU_DEP_2)
	v_add_co_ci_u32_e32 v172, vcc_lo, v163, v172, vcc_lo
	s_clause 0x1
	flat_load_b32 v165, v[171:172]
	flat_load_b32 v173, v[162:163] offset:84
	s_waitcnt vmcnt(1) lgkmcnt(1)
	flat_store_b32 v[162:163], v165 offset:84
	s_waitcnt vmcnt(0) lgkmcnt(1)
	flat_store_b32 v[171:172], v173
.LBB76_455:
	s_or_b32 exec_lo, exec_lo, s6
	v_mov_b32_e32 v172, v164
	v_mov_b32_e32 v171, v164
.LBB76_456:
	s_or_b32 exec_lo, exec_lo, s3
.LBB76_457:
	s_and_not1_saveexec_b32 s2, s2
	s_cbranch_execz .LBB76_459
; %bb.458:
	v_mov_b32_e32 v172, 21
	ds_store_2addr_b64 v166, v[72:73], v[74:75] offset0:44 offset1:45
	ds_store_2addr_b64 v166, v[68:69], v[70:71] offset0:46 offset1:47
	;; [unrolled: 1-line block ×17, first 2 shown]
.LBB76_459:
	s_or_b32 exec_lo, exec_lo, s2
	s_delay_alu instid0(SALU_CYCLE_1)
	s_mov_b32 s2, exec_lo
	s_waitcnt lgkmcnt(0)
	s_waitcnt_vscnt null, 0x0
	s_barrier
	buffer_gl0_inv
	v_cmpx_lt_i32_e32 21, v172
	s_cbranch_execz .LBB76_461
; %bb.460:
	v_mul_f64 v[164:165], v[158:159], v[78:79]
	v_mul_f64 v[78:79], v[156:157], v[78:79]
	s_delay_alu instid0(VALU_DEP_2) | instskip(NEXT) | instid1(VALU_DEP_2)
	v_fma_f64 v[164:165], v[156:157], v[76:77], -v[164:165]
	v_fma_f64 v[78:79], v[158:159], v[76:77], v[78:79]
	ds_load_2addr_b64 v[156:159], v166 offset0:44 offset1:45
	s_waitcnt lgkmcnt(0)
	v_mul_f64 v[76:77], v[158:159], v[78:79]
	s_delay_alu instid0(VALU_DEP_1) | instskip(SKIP_1) | instid1(VALU_DEP_2)
	v_fma_f64 v[76:77], v[156:157], v[164:165], -v[76:77]
	v_mul_f64 v[156:157], v[156:157], v[78:79]
	v_add_f64 v[72:73], v[72:73], -v[76:77]
	s_delay_alu instid0(VALU_DEP_2) | instskip(NEXT) | instid1(VALU_DEP_1)
	v_fma_f64 v[156:157], v[158:159], v[164:165], v[156:157]
	v_add_f64 v[74:75], v[74:75], -v[156:157]
	ds_load_2addr_b64 v[156:159], v166 offset0:46 offset1:47
	s_waitcnt lgkmcnt(0)
	v_mul_f64 v[76:77], v[158:159], v[78:79]
	s_delay_alu instid0(VALU_DEP_1) | instskip(SKIP_1) | instid1(VALU_DEP_2)
	v_fma_f64 v[76:77], v[156:157], v[164:165], -v[76:77]
	v_mul_f64 v[156:157], v[156:157], v[78:79]
	v_add_f64 v[68:69], v[68:69], -v[76:77]
	s_delay_alu instid0(VALU_DEP_2) | instskip(NEXT) | instid1(VALU_DEP_1)
	v_fma_f64 v[156:157], v[158:159], v[164:165], v[156:157]
	v_add_f64 v[70:71], v[70:71], -v[156:157]
	;; [unrolled: 10-line block ×16, first 2 shown]
	ds_load_2addr_b64 v[156:159], v166 offset0:76 offset1:77
	s_waitcnt lgkmcnt(0)
	v_mul_f64 v[76:77], v[158:159], v[78:79]
	s_delay_alu instid0(VALU_DEP_1) | instskip(SKIP_1) | instid1(VALU_DEP_2)
	v_fma_f64 v[76:77], v[156:157], v[164:165], -v[76:77]
	v_mul_f64 v[156:157], v[156:157], v[78:79]
	v_add_f64 v[0:1], v[0:1], -v[76:77]
	s_delay_alu instid0(VALU_DEP_2) | instskip(SKIP_1) | instid1(VALU_DEP_2)
	v_fma_f64 v[156:157], v[158:159], v[164:165], v[156:157]
	v_dual_mov_b32 v76, v164 :: v_dual_mov_b32 v77, v165
	v_add_f64 v[2:3], v[2:3], -v[156:157]
.LBB76_461:
	s_or_b32 exec_lo, exec_lo, s2
	v_lshl_add_u32 v156, v172, 4, v166
	s_barrier
	buffer_gl0_inv
	v_mov_b32_e32 v164, 22
	ds_store_2addr_b64 v156, v[72:73], v[74:75] offset1:1
	s_waitcnt lgkmcnt(0)
	s_barrier
	buffer_gl0_inv
	ds_load_2addr_b64 v[156:159], v166 offset0:44 offset1:45
	s_cmp_lt_i32 s5, 24
	s_cbranch_scc1 .LBB76_464
; %bb.462:
	v_add3_u32 v165, v170, 0, 0x170
	v_mov_b32_e32 v164, 22
	s_mov_b32 s6, 23
	s_set_inst_prefetch_distance 0x1
	.p2align	6
.LBB76_463:                             ; =>This Inner Loop Header: Depth=1
	ds_load_2addr_b64 v[173:176], v165 offset1:1
	s_waitcnt lgkmcnt(1)
	v_cmp_gt_f64_e32 vcc_lo, 0, v[156:157]
	v_xor_b32_e32 v177, 0x80000000, v157
	v_cmp_gt_f64_e64 s2, 0, v[158:159]
	v_xor_b32_e32 v179, 0x80000000, v159
	v_add_nc_u32_e32 v165, 16, v165
	s_waitcnt lgkmcnt(0)
	v_cmp_gt_f64_e64 s3, 0, v[173:174]
	v_mov_b32_e32 v181, v173
	v_dual_mov_b32 v183, v175 :: v_dual_cndmask_b32 v178, v157, v177
	v_xor_b32_e32 v177, 0x80000000, v174
	v_cndmask_b32_e64 v180, v159, v179, s2
	v_xor_b32_e32 v179, 0x80000000, v176
	s_delay_alu instid0(VALU_DEP_3) | instskip(SKIP_2) | instid1(VALU_DEP_2)
	v_cndmask_b32_e64 v182, v174, v177, s3
	v_cmp_gt_f64_e64 s3, 0, v[175:176]
	v_cndmask_b32_e32 v177, v156, v156, vcc_lo
	v_cndmask_b32_e64 v184, v176, v179, s3
	v_cndmask_b32_e64 v179, v158, v158, s2
	s_delay_alu instid0(VALU_DEP_2) | instskip(NEXT) | instid1(VALU_DEP_2)
	v_add_f64 v[181:182], v[181:182], v[183:184]
	v_add_f64 v[177:178], v[177:178], v[179:180]
	s_delay_alu instid0(VALU_DEP_1) | instskip(SKIP_4) | instid1(SALU_CYCLE_1)
	v_cmp_lt_f64_e32 vcc_lo, v[177:178], v[181:182]
	v_dual_cndmask_b32 v158, v158, v175 :: v_dual_cndmask_b32 v157, v157, v174
	v_dual_cndmask_b32 v156, v156, v173 :: v_dual_cndmask_b32 v159, v159, v176
	v_cndmask_b32_e64 v164, v164, s6, vcc_lo
	s_add_i32 s6, s6, 1
	s_cmp_lg_u32 s5, s6
	s_cbranch_scc1 .LBB76_463
.LBB76_464:
	s_set_inst_prefetch_distance 0x2
	s_waitcnt lgkmcnt(0)
	v_cmp_eq_f64_e32 vcc_lo, 0, v[156:157]
	v_cmp_eq_f64_e64 s2, 0, v[158:159]
	s_delay_alu instid0(VALU_DEP_1) | instskip(NEXT) | instid1(SALU_CYCLE_1)
	s_and_b32 s2, vcc_lo, s2
	s_and_saveexec_b32 s3, s2
	s_delay_alu instid0(SALU_CYCLE_1)
	s_xor_b32 s2, exec_lo, s3
; %bb.465:
	v_cmp_ne_u32_e32 vcc_lo, 0, v169
	v_cndmask_b32_e32 v169, 23, v169, vcc_lo
; %bb.466:
	s_and_not1_saveexec_b32 s3, s2
	s_cbranch_execz .LBB76_472
; %bb.467:
	v_cmp_gt_f64_e32 vcc_lo, 0, v[156:157]
	v_cmp_gt_f64_e64 s2, 0, v[158:159]
	v_xor_b32_e32 v165, 0x80000000, v157
	v_xor_b32_e32 v173, 0x80000000, v159
	s_delay_alu instid0(VALU_DEP_2) | instskip(NEXT) | instid1(VALU_DEP_2)
	v_cndmask_b32_e32 v174, v157, v165, vcc_lo
	v_cndmask_b32_e64 v176, v159, v173, s2
	v_cndmask_b32_e32 v173, v156, v156, vcc_lo
	v_cndmask_b32_e64 v175, v158, v158, s2
	s_mov_b32 s2, exec_lo
	s_delay_alu instid0(VALU_DEP_1)
	v_cmpx_ngt_f64_e32 v[173:174], v[175:176]
	s_xor_b32 s2, exec_lo, s2
	s_cbranch_execz .LBB76_469
; %bb.468:
	v_div_scale_f64 v[173:174], null, v[158:159], v[158:159], v[156:157]
	v_div_scale_f64 v[179:180], vcc_lo, v[156:157], v[158:159], v[156:157]
	s_delay_alu instid0(VALU_DEP_2) | instskip(SKIP_2) | instid1(VALU_DEP_1)
	v_rcp_f64_e32 v[175:176], v[173:174]
	s_waitcnt_depctr 0xfff
	v_fma_f64 v[177:178], -v[173:174], v[175:176], 1.0
	v_fma_f64 v[175:176], v[175:176], v[177:178], v[175:176]
	s_delay_alu instid0(VALU_DEP_1) | instskip(NEXT) | instid1(VALU_DEP_1)
	v_fma_f64 v[177:178], -v[173:174], v[175:176], 1.0
	v_fma_f64 v[175:176], v[175:176], v[177:178], v[175:176]
	s_delay_alu instid0(VALU_DEP_1) | instskip(NEXT) | instid1(VALU_DEP_1)
	v_mul_f64 v[177:178], v[179:180], v[175:176]
	v_fma_f64 v[173:174], -v[173:174], v[177:178], v[179:180]
	s_delay_alu instid0(VALU_DEP_1) | instskip(NEXT) | instid1(VALU_DEP_1)
	v_div_fmas_f64 v[173:174], v[173:174], v[175:176], v[177:178]
	v_div_fixup_f64 v[173:174], v[173:174], v[158:159], v[156:157]
	s_delay_alu instid0(VALU_DEP_1) | instskip(NEXT) | instid1(VALU_DEP_1)
	v_fma_f64 v[156:157], v[156:157], v[173:174], v[158:159]
	v_div_scale_f64 v[158:159], null, v[156:157], v[156:157], 1.0
	s_delay_alu instid0(VALU_DEP_1) | instskip(SKIP_2) | instid1(VALU_DEP_1)
	v_rcp_f64_e32 v[175:176], v[158:159]
	s_waitcnt_depctr 0xfff
	v_fma_f64 v[177:178], -v[158:159], v[175:176], 1.0
	v_fma_f64 v[175:176], v[175:176], v[177:178], v[175:176]
	s_delay_alu instid0(VALU_DEP_1) | instskip(NEXT) | instid1(VALU_DEP_1)
	v_fma_f64 v[177:178], -v[158:159], v[175:176], 1.0
	v_fma_f64 v[175:176], v[175:176], v[177:178], v[175:176]
	v_div_scale_f64 v[177:178], vcc_lo, 1.0, v[156:157], 1.0
	s_delay_alu instid0(VALU_DEP_1) | instskip(NEXT) | instid1(VALU_DEP_1)
	v_mul_f64 v[179:180], v[177:178], v[175:176]
	v_fma_f64 v[158:159], -v[158:159], v[179:180], v[177:178]
	s_delay_alu instid0(VALU_DEP_1) | instskip(NEXT) | instid1(VALU_DEP_1)
	v_div_fmas_f64 v[158:159], v[158:159], v[175:176], v[179:180]
	v_div_fixup_f64 v[158:159], v[158:159], v[156:157], 1.0
	s_delay_alu instid0(VALU_DEP_1)
	v_mul_f64 v[156:157], v[173:174], v[158:159]
	v_xor_b32_e32 v159, 0x80000000, v159
.LBB76_469:
	s_and_not1_saveexec_b32 s2, s2
	s_cbranch_execz .LBB76_471
; %bb.470:
	s_delay_alu instid0(VALU_DEP_1) | instskip(SKIP_1) | instid1(VALU_DEP_2)
	v_div_scale_f64 v[173:174], null, v[156:157], v[156:157], v[158:159]
	v_div_scale_f64 v[179:180], vcc_lo, v[158:159], v[156:157], v[158:159]
	v_rcp_f64_e32 v[175:176], v[173:174]
	s_waitcnt_depctr 0xfff
	v_fma_f64 v[177:178], -v[173:174], v[175:176], 1.0
	s_delay_alu instid0(VALU_DEP_1) | instskip(NEXT) | instid1(VALU_DEP_1)
	v_fma_f64 v[175:176], v[175:176], v[177:178], v[175:176]
	v_fma_f64 v[177:178], -v[173:174], v[175:176], 1.0
	s_delay_alu instid0(VALU_DEP_1) | instskip(NEXT) | instid1(VALU_DEP_1)
	v_fma_f64 v[175:176], v[175:176], v[177:178], v[175:176]
	v_mul_f64 v[177:178], v[179:180], v[175:176]
	s_delay_alu instid0(VALU_DEP_1) | instskip(NEXT) | instid1(VALU_DEP_1)
	v_fma_f64 v[173:174], -v[173:174], v[177:178], v[179:180]
	v_div_fmas_f64 v[173:174], v[173:174], v[175:176], v[177:178]
	s_delay_alu instid0(VALU_DEP_1) | instskip(NEXT) | instid1(VALU_DEP_1)
	v_div_fixup_f64 v[173:174], v[173:174], v[156:157], v[158:159]
	v_fma_f64 v[156:157], v[158:159], v[173:174], v[156:157]
	s_delay_alu instid0(VALU_DEP_1) | instskip(NEXT) | instid1(VALU_DEP_1)
	v_div_scale_f64 v[158:159], null, v[156:157], v[156:157], 1.0
	v_rcp_f64_e32 v[175:176], v[158:159]
	s_waitcnt_depctr 0xfff
	v_fma_f64 v[177:178], -v[158:159], v[175:176], 1.0
	s_delay_alu instid0(VALU_DEP_1) | instskip(NEXT) | instid1(VALU_DEP_1)
	v_fma_f64 v[175:176], v[175:176], v[177:178], v[175:176]
	v_fma_f64 v[177:178], -v[158:159], v[175:176], 1.0
	s_delay_alu instid0(VALU_DEP_1) | instskip(SKIP_1) | instid1(VALU_DEP_1)
	v_fma_f64 v[175:176], v[175:176], v[177:178], v[175:176]
	v_div_scale_f64 v[177:178], vcc_lo, 1.0, v[156:157], 1.0
	v_mul_f64 v[179:180], v[177:178], v[175:176]
	s_delay_alu instid0(VALU_DEP_1) | instskip(NEXT) | instid1(VALU_DEP_1)
	v_fma_f64 v[158:159], -v[158:159], v[179:180], v[177:178]
	v_div_fmas_f64 v[158:159], v[158:159], v[175:176], v[179:180]
	s_delay_alu instid0(VALU_DEP_1) | instskip(NEXT) | instid1(VALU_DEP_1)
	v_div_fixup_f64 v[156:157], v[158:159], v[156:157], 1.0
	v_mul_f64 v[158:159], v[173:174], -v[156:157]
.LBB76_471:
	s_or_b32 exec_lo, exec_lo, s2
.LBB76_472:
	s_delay_alu instid0(SALU_CYCLE_1) | instskip(NEXT) | instid1(SALU_CYCLE_1)
	s_or_b32 exec_lo, exec_lo, s3
	s_mov_b32 s2, exec_lo
	v_cmpx_ne_u32_e64 v172, v164
	s_xor_b32 s2, exec_lo, s2
	s_cbranch_execz .LBB76_478
; %bb.473:
	s_mov_b32 s3, exec_lo
	v_cmpx_eq_u32_e32 22, v172
	s_cbranch_execz .LBB76_477
; %bb.474:
	v_cmp_ne_u32_e32 vcc_lo, 22, v164
	s_xor_b32 s6, s4, -1
	s_delay_alu instid0(SALU_CYCLE_1) | instskip(NEXT) | instid1(SALU_CYCLE_1)
	s_and_b32 s7, s6, vcc_lo
	s_and_saveexec_b32 s6, s7
	s_cbranch_execz .LBB76_476
; %bb.475:
	v_ashrrev_i32_e32 v165, 31, v164
	s_delay_alu instid0(VALU_DEP_1) | instskip(NEXT) | instid1(VALU_DEP_1)
	v_lshlrev_b64 v[171:172], 2, v[164:165]
	v_add_co_u32 v171, vcc_lo, v162, v171
	s_delay_alu instid0(VALU_DEP_2)
	v_add_co_ci_u32_e32 v172, vcc_lo, v163, v172, vcc_lo
	s_clause 0x1
	flat_load_b32 v165, v[171:172]
	flat_load_b32 v173, v[162:163] offset:88
	s_waitcnt vmcnt(1) lgkmcnt(1)
	flat_store_b32 v[162:163], v165 offset:88
	s_waitcnt vmcnt(0) lgkmcnt(1)
	flat_store_b32 v[171:172], v173
.LBB76_476:
	s_or_b32 exec_lo, exec_lo, s6
	v_mov_b32_e32 v172, v164
	v_mov_b32_e32 v171, v164
.LBB76_477:
	s_or_b32 exec_lo, exec_lo, s3
.LBB76_478:
	s_and_not1_saveexec_b32 s2, s2
	s_cbranch_execz .LBB76_480
; %bb.479:
	v_mov_b32_e32 v172, 22
	ds_store_2addr_b64 v166, v[68:69], v[70:71] offset0:46 offset1:47
	ds_store_2addr_b64 v166, v[64:65], v[66:67] offset0:48 offset1:49
	;; [unrolled: 1-line block ×16, first 2 shown]
.LBB76_480:
	s_or_b32 exec_lo, exec_lo, s2
	s_delay_alu instid0(SALU_CYCLE_1)
	s_mov_b32 s2, exec_lo
	s_waitcnt lgkmcnt(0)
	s_waitcnt_vscnt null, 0x0
	s_barrier
	buffer_gl0_inv
	v_cmpx_lt_i32_e32 22, v172
	s_cbranch_execz .LBB76_482
; %bb.481:
	v_mul_f64 v[164:165], v[156:157], v[74:75]
	v_mul_f64 v[74:75], v[158:159], v[74:75]
	s_delay_alu instid0(VALU_DEP_2) | instskip(NEXT) | instid1(VALU_DEP_2)
	v_fma_f64 v[164:165], v[158:159], v[72:73], v[164:165]
	v_fma_f64 v[72:73], v[156:157], v[72:73], -v[74:75]
	ds_load_2addr_b64 v[156:159], v166 offset0:46 offset1:47
	s_waitcnt lgkmcnt(0)
	v_mul_f64 v[74:75], v[158:159], v[164:165]
	s_delay_alu instid0(VALU_DEP_1) | instskip(SKIP_1) | instid1(VALU_DEP_2)
	v_fma_f64 v[74:75], v[156:157], v[72:73], -v[74:75]
	v_mul_f64 v[156:157], v[156:157], v[164:165]
	v_add_f64 v[68:69], v[68:69], -v[74:75]
	s_delay_alu instid0(VALU_DEP_2) | instskip(NEXT) | instid1(VALU_DEP_1)
	v_fma_f64 v[156:157], v[158:159], v[72:73], v[156:157]
	v_add_f64 v[70:71], v[70:71], -v[156:157]
	ds_load_2addr_b64 v[156:159], v166 offset0:48 offset1:49
	s_waitcnt lgkmcnt(0)
	v_mul_f64 v[74:75], v[158:159], v[164:165]
	s_delay_alu instid0(VALU_DEP_1) | instskip(SKIP_1) | instid1(VALU_DEP_2)
	v_fma_f64 v[74:75], v[156:157], v[72:73], -v[74:75]
	v_mul_f64 v[156:157], v[156:157], v[164:165]
	v_add_f64 v[64:65], v[64:65], -v[74:75]
	s_delay_alu instid0(VALU_DEP_2) | instskip(NEXT) | instid1(VALU_DEP_1)
	v_fma_f64 v[156:157], v[158:159], v[72:73], v[156:157]
	v_add_f64 v[66:67], v[66:67], -v[156:157]
	;; [unrolled: 10-line block ×15, first 2 shown]
	ds_load_2addr_b64 v[156:159], v166 offset0:76 offset1:77
	s_waitcnt lgkmcnt(0)
	v_mul_f64 v[74:75], v[158:159], v[164:165]
	s_delay_alu instid0(VALU_DEP_1) | instskip(SKIP_1) | instid1(VALU_DEP_2)
	v_fma_f64 v[74:75], v[156:157], v[72:73], -v[74:75]
	v_mul_f64 v[156:157], v[156:157], v[164:165]
	v_add_f64 v[0:1], v[0:1], -v[74:75]
	s_delay_alu instid0(VALU_DEP_2) | instskip(SKIP_1) | instid1(VALU_DEP_2)
	v_fma_f64 v[156:157], v[158:159], v[72:73], v[156:157]
	v_dual_mov_b32 v74, v164 :: v_dual_mov_b32 v75, v165
	v_add_f64 v[2:3], v[2:3], -v[156:157]
.LBB76_482:
	s_or_b32 exec_lo, exec_lo, s2
	v_lshl_add_u32 v156, v172, 4, v166
	s_barrier
	buffer_gl0_inv
	v_mov_b32_e32 v164, 23
	ds_store_2addr_b64 v156, v[68:69], v[70:71] offset1:1
	s_waitcnt lgkmcnt(0)
	s_barrier
	buffer_gl0_inv
	ds_load_2addr_b64 v[156:159], v166 offset0:46 offset1:47
	s_cmp_lt_i32 s5, 25
	s_cbranch_scc1 .LBB76_485
; %bb.483:
	v_add3_u32 v165, v170, 0, 0x180
	v_mov_b32_e32 v164, 23
	s_mov_b32 s6, 24
	s_set_inst_prefetch_distance 0x1
	.p2align	6
.LBB76_484:                             ; =>This Inner Loop Header: Depth=1
	ds_load_2addr_b64 v[173:176], v165 offset1:1
	s_waitcnt lgkmcnt(1)
	v_cmp_gt_f64_e32 vcc_lo, 0, v[156:157]
	v_xor_b32_e32 v177, 0x80000000, v157
	v_cmp_gt_f64_e64 s2, 0, v[158:159]
	v_xor_b32_e32 v179, 0x80000000, v159
	v_add_nc_u32_e32 v165, 16, v165
	s_waitcnt lgkmcnt(0)
	v_cmp_gt_f64_e64 s3, 0, v[173:174]
	v_mov_b32_e32 v181, v173
	v_dual_mov_b32 v183, v175 :: v_dual_cndmask_b32 v178, v157, v177
	v_xor_b32_e32 v177, 0x80000000, v174
	v_cndmask_b32_e64 v180, v159, v179, s2
	v_xor_b32_e32 v179, 0x80000000, v176
	s_delay_alu instid0(VALU_DEP_3) | instskip(SKIP_2) | instid1(VALU_DEP_2)
	v_cndmask_b32_e64 v182, v174, v177, s3
	v_cmp_gt_f64_e64 s3, 0, v[175:176]
	v_cndmask_b32_e32 v177, v156, v156, vcc_lo
	v_cndmask_b32_e64 v184, v176, v179, s3
	v_cndmask_b32_e64 v179, v158, v158, s2
	s_delay_alu instid0(VALU_DEP_2) | instskip(NEXT) | instid1(VALU_DEP_2)
	v_add_f64 v[181:182], v[181:182], v[183:184]
	v_add_f64 v[177:178], v[177:178], v[179:180]
	s_delay_alu instid0(VALU_DEP_1) | instskip(SKIP_4) | instid1(SALU_CYCLE_1)
	v_cmp_lt_f64_e32 vcc_lo, v[177:178], v[181:182]
	v_dual_cndmask_b32 v158, v158, v175 :: v_dual_cndmask_b32 v157, v157, v174
	v_dual_cndmask_b32 v156, v156, v173 :: v_dual_cndmask_b32 v159, v159, v176
	v_cndmask_b32_e64 v164, v164, s6, vcc_lo
	s_add_i32 s6, s6, 1
	s_cmp_lg_u32 s5, s6
	s_cbranch_scc1 .LBB76_484
.LBB76_485:
	s_set_inst_prefetch_distance 0x2
	s_waitcnt lgkmcnt(0)
	v_cmp_eq_f64_e32 vcc_lo, 0, v[156:157]
	v_cmp_eq_f64_e64 s2, 0, v[158:159]
	s_delay_alu instid0(VALU_DEP_1) | instskip(NEXT) | instid1(SALU_CYCLE_1)
	s_and_b32 s2, vcc_lo, s2
	s_and_saveexec_b32 s3, s2
	s_delay_alu instid0(SALU_CYCLE_1)
	s_xor_b32 s2, exec_lo, s3
; %bb.486:
	v_cmp_ne_u32_e32 vcc_lo, 0, v169
	v_cndmask_b32_e32 v169, 24, v169, vcc_lo
; %bb.487:
	s_and_not1_saveexec_b32 s3, s2
	s_cbranch_execz .LBB76_493
; %bb.488:
	v_cmp_gt_f64_e32 vcc_lo, 0, v[156:157]
	v_cmp_gt_f64_e64 s2, 0, v[158:159]
	v_xor_b32_e32 v165, 0x80000000, v157
	v_xor_b32_e32 v173, 0x80000000, v159
	s_delay_alu instid0(VALU_DEP_2) | instskip(NEXT) | instid1(VALU_DEP_2)
	v_cndmask_b32_e32 v174, v157, v165, vcc_lo
	v_cndmask_b32_e64 v176, v159, v173, s2
	v_cndmask_b32_e32 v173, v156, v156, vcc_lo
	v_cndmask_b32_e64 v175, v158, v158, s2
	s_mov_b32 s2, exec_lo
	s_delay_alu instid0(VALU_DEP_1)
	v_cmpx_ngt_f64_e32 v[173:174], v[175:176]
	s_xor_b32 s2, exec_lo, s2
	s_cbranch_execz .LBB76_490
; %bb.489:
	v_div_scale_f64 v[173:174], null, v[158:159], v[158:159], v[156:157]
	v_div_scale_f64 v[179:180], vcc_lo, v[156:157], v[158:159], v[156:157]
	s_delay_alu instid0(VALU_DEP_2) | instskip(SKIP_2) | instid1(VALU_DEP_1)
	v_rcp_f64_e32 v[175:176], v[173:174]
	s_waitcnt_depctr 0xfff
	v_fma_f64 v[177:178], -v[173:174], v[175:176], 1.0
	v_fma_f64 v[175:176], v[175:176], v[177:178], v[175:176]
	s_delay_alu instid0(VALU_DEP_1) | instskip(NEXT) | instid1(VALU_DEP_1)
	v_fma_f64 v[177:178], -v[173:174], v[175:176], 1.0
	v_fma_f64 v[175:176], v[175:176], v[177:178], v[175:176]
	s_delay_alu instid0(VALU_DEP_1) | instskip(NEXT) | instid1(VALU_DEP_1)
	v_mul_f64 v[177:178], v[179:180], v[175:176]
	v_fma_f64 v[173:174], -v[173:174], v[177:178], v[179:180]
	s_delay_alu instid0(VALU_DEP_1) | instskip(NEXT) | instid1(VALU_DEP_1)
	v_div_fmas_f64 v[173:174], v[173:174], v[175:176], v[177:178]
	v_div_fixup_f64 v[173:174], v[173:174], v[158:159], v[156:157]
	s_delay_alu instid0(VALU_DEP_1) | instskip(NEXT) | instid1(VALU_DEP_1)
	v_fma_f64 v[156:157], v[156:157], v[173:174], v[158:159]
	v_div_scale_f64 v[158:159], null, v[156:157], v[156:157], 1.0
	s_delay_alu instid0(VALU_DEP_1) | instskip(SKIP_2) | instid1(VALU_DEP_1)
	v_rcp_f64_e32 v[175:176], v[158:159]
	s_waitcnt_depctr 0xfff
	v_fma_f64 v[177:178], -v[158:159], v[175:176], 1.0
	v_fma_f64 v[175:176], v[175:176], v[177:178], v[175:176]
	s_delay_alu instid0(VALU_DEP_1) | instskip(NEXT) | instid1(VALU_DEP_1)
	v_fma_f64 v[177:178], -v[158:159], v[175:176], 1.0
	v_fma_f64 v[175:176], v[175:176], v[177:178], v[175:176]
	v_div_scale_f64 v[177:178], vcc_lo, 1.0, v[156:157], 1.0
	s_delay_alu instid0(VALU_DEP_1) | instskip(NEXT) | instid1(VALU_DEP_1)
	v_mul_f64 v[179:180], v[177:178], v[175:176]
	v_fma_f64 v[158:159], -v[158:159], v[179:180], v[177:178]
	s_delay_alu instid0(VALU_DEP_1) | instskip(NEXT) | instid1(VALU_DEP_1)
	v_div_fmas_f64 v[158:159], v[158:159], v[175:176], v[179:180]
	v_div_fixup_f64 v[158:159], v[158:159], v[156:157], 1.0
	s_delay_alu instid0(VALU_DEP_1)
	v_mul_f64 v[156:157], v[173:174], v[158:159]
	v_xor_b32_e32 v159, 0x80000000, v159
.LBB76_490:
	s_and_not1_saveexec_b32 s2, s2
	s_cbranch_execz .LBB76_492
; %bb.491:
	s_delay_alu instid0(VALU_DEP_1) | instskip(SKIP_1) | instid1(VALU_DEP_2)
	v_div_scale_f64 v[173:174], null, v[156:157], v[156:157], v[158:159]
	v_div_scale_f64 v[179:180], vcc_lo, v[158:159], v[156:157], v[158:159]
	v_rcp_f64_e32 v[175:176], v[173:174]
	s_waitcnt_depctr 0xfff
	v_fma_f64 v[177:178], -v[173:174], v[175:176], 1.0
	s_delay_alu instid0(VALU_DEP_1) | instskip(NEXT) | instid1(VALU_DEP_1)
	v_fma_f64 v[175:176], v[175:176], v[177:178], v[175:176]
	v_fma_f64 v[177:178], -v[173:174], v[175:176], 1.0
	s_delay_alu instid0(VALU_DEP_1) | instskip(NEXT) | instid1(VALU_DEP_1)
	v_fma_f64 v[175:176], v[175:176], v[177:178], v[175:176]
	v_mul_f64 v[177:178], v[179:180], v[175:176]
	s_delay_alu instid0(VALU_DEP_1) | instskip(NEXT) | instid1(VALU_DEP_1)
	v_fma_f64 v[173:174], -v[173:174], v[177:178], v[179:180]
	v_div_fmas_f64 v[173:174], v[173:174], v[175:176], v[177:178]
	s_delay_alu instid0(VALU_DEP_1) | instskip(NEXT) | instid1(VALU_DEP_1)
	v_div_fixup_f64 v[173:174], v[173:174], v[156:157], v[158:159]
	v_fma_f64 v[156:157], v[158:159], v[173:174], v[156:157]
	s_delay_alu instid0(VALU_DEP_1) | instskip(NEXT) | instid1(VALU_DEP_1)
	v_div_scale_f64 v[158:159], null, v[156:157], v[156:157], 1.0
	v_rcp_f64_e32 v[175:176], v[158:159]
	s_waitcnt_depctr 0xfff
	v_fma_f64 v[177:178], -v[158:159], v[175:176], 1.0
	s_delay_alu instid0(VALU_DEP_1) | instskip(NEXT) | instid1(VALU_DEP_1)
	v_fma_f64 v[175:176], v[175:176], v[177:178], v[175:176]
	v_fma_f64 v[177:178], -v[158:159], v[175:176], 1.0
	s_delay_alu instid0(VALU_DEP_1) | instskip(SKIP_1) | instid1(VALU_DEP_1)
	v_fma_f64 v[175:176], v[175:176], v[177:178], v[175:176]
	v_div_scale_f64 v[177:178], vcc_lo, 1.0, v[156:157], 1.0
	v_mul_f64 v[179:180], v[177:178], v[175:176]
	s_delay_alu instid0(VALU_DEP_1) | instskip(NEXT) | instid1(VALU_DEP_1)
	v_fma_f64 v[158:159], -v[158:159], v[179:180], v[177:178]
	v_div_fmas_f64 v[158:159], v[158:159], v[175:176], v[179:180]
	s_delay_alu instid0(VALU_DEP_1) | instskip(NEXT) | instid1(VALU_DEP_1)
	v_div_fixup_f64 v[156:157], v[158:159], v[156:157], 1.0
	v_mul_f64 v[158:159], v[173:174], -v[156:157]
.LBB76_492:
	s_or_b32 exec_lo, exec_lo, s2
.LBB76_493:
	s_delay_alu instid0(SALU_CYCLE_1) | instskip(NEXT) | instid1(SALU_CYCLE_1)
	s_or_b32 exec_lo, exec_lo, s3
	s_mov_b32 s2, exec_lo
	v_cmpx_ne_u32_e64 v172, v164
	s_xor_b32 s2, exec_lo, s2
	s_cbranch_execz .LBB76_499
; %bb.494:
	s_mov_b32 s3, exec_lo
	v_cmpx_eq_u32_e32 23, v172
	s_cbranch_execz .LBB76_498
; %bb.495:
	v_cmp_ne_u32_e32 vcc_lo, 23, v164
	s_xor_b32 s6, s4, -1
	s_delay_alu instid0(SALU_CYCLE_1) | instskip(NEXT) | instid1(SALU_CYCLE_1)
	s_and_b32 s7, s6, vcc_lo
	s_and_saveexec_b32 s6, s7
	s_cbranch_execz .LBB76_497
; %bb.496:
	v_ashrrev_i32_e32 v165, 31, v164
	s_delay_alu instid0(VALU_DEP_1) | instskip(NEXT) | instid1(VALU_DEP_1)
	v_lshlrev_b64 v[171:172], 2, v[164:165]
	v_add_co_u32 v171, vcc_lo, v162, v171
	s_delay_alu instid0(VALU_DEP_2)
	v_add_co_ci_u32_e32 v172, vcc_lo, v163, v172, vcc_lo
	s_clause 0x1
	flat_load_b32 v165, v[171:172]
	flat_load_b32 v173, v[162:163] offset:92
	s_waitcnt vmcnt(1) lgkmcnt(1)
	flat_store_b32 v[162:163], v165 offset:92
	s_waitcnt vmcnt(0) lgkmcnt(1)
	flat_store_b32 v[171:172], v173
.LBB76_497:
	s_or_b32 exec_lo, exec_lo, s6
	v_mov_b32_e32 v172, v164
	v_mov_b32_e32 v171, v164
.LBB76_498:
	s_or_b32 exec_lo, exec_lo, s3
.LBB76_499:
	s_and_not1_saveexec_b32 s2, s2
	s_cbranch_execz .LBB76_501
; %bb.500:
	v_mov_b32_e32 v172, 23
	ds_store_2addr_b64 v166, v[64:65], v[66:67] offset0:48 offset1:49
	ds_store_2addr_b64 v166, v[60:61], v[62:63] offset0:50 offset1:51
	;; [unrolled: 1-line block ×15, first 2 shown]
.LBB76_501:
	s_or_b32 exec_lo, exec_lo, s2
	s_delay_alu instid0(SALU_CYCLE_1)
	s_mov_b32 s2, exec_lo
	s_waitcnt lgkmcnt(0)
	s_waitcnt_vscnt null, 0x0
	s_barrier
	buffer_gl0_inv
	v_cmpx_lt_i32_e32 23, v172
	s_cbranch_execz .LBB76_503
; %bb.502:
	v_mul_f64 v[164:165], v[156:157], v[70:71]
	v_mul_f64 v[70:71], v[158:159], v[70:71]
	s_delay_alu instid0(VALU_DEP_2) | instskip(NEXT) | instid1(VALU_DEP_2)
	v_fma_f64 v[164:165], v[158:159], v[68:69], v[164:165]
	v_fma_f64 v[68:69], v[156:157], v[68:69], -v[70:71]
	ds_load_2addr_b64 v[156:159], v166 offset0:48 offset1:49
	s_waitcnt lgkmcnt(0)
	v_mul_f64 v[70:71], v[158:159], v[164:165]
	s_delay_alu instid0(VALU_DEP_1) | instskip(SKIP_1) | instid1(VALU_DEP_2)
	v_fma_f64 v[70:71], v[156:157], v[68:69], -v[70:71]
	v_mul_f64 v[156:157], v[156:157], v[164:165]
	v_add_f64 v[64:65], v[64:65], -v[70:71]
	s_delay_alu instid0(VALU_DEP_2) | instskip(NEXT) | instid1(VALU_DEP_1)
	v_fma_f64 v[156:157], v[158:159], v[68:69], v[156:157]
	v_add_f64 v[66:67], v[66:67], -v[156:157]
	ds_load_2addr_b64 v[156:159], v166 offset0:50 offset1:51
	s_waitcnt lgkmcnt(0)
	v_mul_f64 v[70:71], v[158:159], v[164:165]
	s_delay_alu instid0(VALU_DEP_1) | instskip(SKIP_1) | instid1(VALU_DEP_2)
	v_fma_f64 v[70:71], v[156:157], v[68:69], -v[70:71]
	v_mul_f64 v[156:157], v[156:157], v[164:165]
	v_add_f64 v[60:61], v[60:61], -v[70:71]
	s_delay_alu instid0(VALU_DEP_2) | instskip(NEXT) | instid1(VALU_DEP_1)
	v_fma_f64 v[156:157], v[158:159], v[68:69], v[156:157]
	v_add_f64 v[62:63], v[62:63], -v[156:157]
	;; [unrolled: 10-line block ×14, first 2 shown]
	ds_load_2addr_b64 v[156:159], v166 offset0:76 offset1:77
	s_waitcnt lgkmcnt(0)
	v_mul_f64 v[70:71], v[158:159], v[164:165]
	s_delay_alu instid0(VALU_DEP_1) | instskip(SKIP_1) | instid1(VALU_DEP_2)
	v_fma_f64 v[70:71], v[156:157], v[68:69], -v[70:71]
	v_mul_f64 v[156:157], v[156:157], v[164:165]
	v_add_f64 v[0:1], v[0:1], -v[70:71]
	s_delay_alu instid0(VALU_DEP_2) | instskip(SKIP_1) | instid1(VALU_DEP_2)
	v_fma_f64 v[156:157], v[158:159], v[68:69], v[156:157]
	v_dual_mov_b32 v70, v164 :: v_dual_mov_b32 v71, v165
	v_add_f64 v[2:3], v[2:3], -v[156:157]
.LBB76_503:
	s_or_b32 exec_lo, exec_lo, s2
	v_lshl_add_u32 v156, v172, 4, v166
	s_barrier
	buffer_gl0_inv
	v_mov_b32_e32 v164, 24
	ds_store_2addr_b64 v156, v[64:65], v[66:67] offset1:1
	s_waitcnt lgkmcnt(0)
	s_barrier
	buffer_gl0_inv
	ds_load_2addr_b64 v[156:159], v166 offset0:48 offset1:49
	s_cmp_lt_i32 s5, 26
	s_cbranch_scc1 .LBB76_506
; %bb.504:
	v_add3_u32 v165, v170, 0, 0x190
	v_mov_b32_e32 v164, 24
	s_mov_b32 s6, 25
	s_set_inst_prefetch_distance 0x1
	.p2align	6
.LBB76_505:                             ; =>This Inner Loop Header: Depth=1
	ds_load_2addr_b64 v[173:176], v165 offset1:1
	s_waitcnt lgkmcnt(1)
	v_cmp_gt_f64_e32 vcc_lo, 0, v[156:157]
	v_xor_b32_e32 v177, 0x80000000, v157
	v_cmp_gt_f64_e64 s2, 0, v[158:159]
	v_xor_b32_e32 v179, 0x80000000, v159
	v_add_nc_u32_e32 v165, 16, v165
	s_waitcnt lgkmcnt(0)
	v_cmp_gt_f64_e64 s3, 0, v[173:174]
	v_mov_b32_e32 v181, v173
	v_dual_mov_b32 v183, v175 :: v_dual_cndmask_b32 v178, v157, v177
	v_xor_b32_e32 v177, 0x80000000, v174
	v_cndmask_b32_e64 v180, v159, v179, s2
	v_xor_b32_e32 v179, 0x80000000, v176
	s_delay_alu instid0(VALU_DEP_3) | instskip(SKIP_2) | instid1(VALU_DEP_2)
	v_cndmask_b32_e64 v182, v174, v177, s3
	v_cmp_gt_f64_e64 s3, 0, v[175:176]
	v_cndmask_b32_e32 v177, v156, v156, vcc_lo
	v_cndmask_b32_e64 v184, v176, v179, s3
	v_cndmask_b32_e64 v179, v158, v158, s2
	s_delay_alu instid0(VALU_DEP_2) | instskip(NEXT) | instid1(VALU_DEP_2)
	v_add_f64 v[181:182], v[181:182], v[183:184]
	v_add_f64 v[177:178], v[177:178], v[179:180]
	s_delay_alu instid0(VALU_DEP_1) | instskip(SKIP_4) | instid1(SALU_CYCLE_1)
	v_cmp_lt_f64_e32 vcc_lo, v[177:178], v[181:182]
	v_dual_cndmask_b32 v158, v158, v175 :: v_dual_cndmask_b32 v157, v157, v174
	v_dual_cndmask_b32 v156, v156, v173 :: v_dual_cndmask_b32 v159, v159, v176
	v_cndmask_b32_e64 v164, v164, s6, vcc_lo
	s_add_i32 s6, s6, 1
	s_cmp_lg_u32 s5, s6
	s_cbranch_scc1 .LBB76_505
.LBB76_506:
	s_set_inst_prefetch_distance 0x2
	s_waitcnt lgkmcnt(0)
	v_cmp_eq_f64_e32 vcc_lo, 0, v[156:157]
	v_cmp_eq_f64_e64 s2, 0, v[158:159]
	s_delay_alu instid0(VALU_DEP_1) | instskip(NEXT) | instid1(SALU_CYCLE_1)
	s_and_b32 s2, vcc_lo, s2
	s_and_saveexec_b32 s3, s2
	s_delay_alu instid0(SALU_CYCLE_1)
	s_xor_b32 s2, exec_lo, s3
; %bb.507:
	v_cmp_ne_u32_e32 vcc_lo, 0, v169
	v_cndmask_b32_e32 v169, 25, v169, vcc_lo
; %bb.508:
	s_and_not1_saveexec_b32 s3, s2
	s_cbranch_execz .LBB76_514
; %bb.509:
	v_cmp_gt_f64_e32 vcc_lo, 0, v[156:157]
	v_cmp_gt_f64_e64 s2, 0, v[158:159]
	v_xor_b32_e32 v165, 0x80000000, v157
	v_xor_b32_e32 v173, 0x80000000, v159
	s_delay_alu instid0(VALU_DEP_2) | instskip(NEXT) | instid1(VALU_DEP_2)
	v_cndmask_b32_e32 v174, v157, v165, vcc_lo
	v_cndmask_b32_e64 v176, v159, v173, s2
	v_cndmask_b32_e32 v173, v156, v156, vcc_lo
	v_cndmask_b32_e64 v175, v158, v158, s2
	s_mov_b32 s2, exec_lo
	s_delay_alu instid0(VALU_DEP_1)
	v_cmpx_ngt_f64_e32 v[173:174], v[175:176]
	s_xor_b32 s2, exec_lo, s2
	s_cbranch_execz .LBB76_511
; %bb.510:
	v_div_scale_f64 v[173:174], null, v[158:159], v[158:159], v[156:157]
	v_div_scale_f64 v[179:180], vcc_lo, v[156:157], v[158:159], v[156:157]
	s_delay_alu instid0(VALU_DEP_2) | instskip(SKIP_2) | instid1(VALU_DEP_1)
	v_rcp_f64_e32 v[175:176], v[173:174]
	s_waitcnt_depctr 0xfff
	v_fma_f64 v[177:178], -v[173:174], v[175:176], 1.0
	v_fma_f64 v[175:176], v[175:176], v[177:178], v[175:176]
	s_delay_alu instid0(VALU_DEP_1) | instskip(NEXT) | instid1(VALU_DEP_1)
	v_fma_f64 v[177:178], -v[173:174], v[175:176], 1.0
	v_fma_f64 v[175:176], v[175:176], v[177:178], v[175:176]
	s_delay_alu instid0(VALU_DEP_1) | instskip(NEXT) | instid1(VALU_DEP_1)
	v_mul_f64 v[177:178], v[179:180], v[175:176]
	v_fma_f64 v[173:174], -v[173:174], v[177:178], v[179:180]
	s_delay_alu instid0(VALU_DEP_1) | instskip(NEXT) | instid1(VALU_DEP_1)
	v_div_fmas_f64 v[173:174], v[173:174], v[175:176], v[177:178]
	v_div_fixup_f64 v[173:174], v[173:174], v[158:159], v[156:157]
	s_delay_alu instid0(VALU_DEP_1) | instskip(NEXT) | instid1(VALU_DEP_1)
	v_fma_f64 v[156:157], v[156:157], v[173:174], v[158:159]
	v_div_scale_f64 v[158:159], null, v[156:157], v[156:157], 1.0
	s_delay_alu instid0(VALU_DEP_1) | instskip(SKIP_2) | instid1(VALU_DEP_1)
	v_rcp_f64_e32 v[175:176], v[158:159]
	s_waitcnt_depctr 0xfff
	v_fma_f64 v[177:178], -v[158:159], v[175:176], 1.0
	v_fma_f64 v[175:176], v[175:176], v[177:178], v[175:176]
	s_delay_alu instid0(VALU_DEP_1) | instskip(NEXT) | instid1(VALU_DEP_1)
	v_fma_f64 v[177:178], -v[158:159], v[175:176], 1.0
	v_fma_f64 v[175:176], v[175:176], v[177:178], v[175:176]
	v_div_scale_f64 v[177:178], vcc_lo, 1.0, v[156:157], 1.0
	s_delay_alu instid0(VALU_DEP_1) | instskip(NEXT) | instid1(VALU_DEP_1)
	v_mul_f64 v[179:180], v[177:178], v[175:176]
	v_fma_f64 v[158:159], -v[158:159], v[179:180], v[177:178]
	s_delay_alu instid0(VALU_DEP_1) | instskip(NEXT) | instid1(VALU_DEP_1)
	v_div_fmas_f64 v[158:159], v[158:159], v[175:176], v[179:180]
	v_div_fixup_f64 v[158:159], v[158:159], v[156:157], 1.0
	s_delay_alu instid0(VALU_DEP_1)
	v_mul_f64 v[156:157], v[173:174], v[158:159]
	v_xor_b32_e32 v159, 0x80000000, v159
.LBB76_511:
	s_and_not1_saveexec_b32 s2, s2
	s_cbranch_execz .LBB76_513
; %bb.512:
	s_delay_alu instid0(VALU_DEP_1) | instskip(SKIP_1) | instid1(VALU_DEP_2)
	v_div_scale_f64 v[173:174], null, v[156:157], v[156:157], v[158:159]
	v_div_scale_f64 v[179:180], vcc_lo, v[158:159], v[156:157], v[158:159]
	v_rcp_f64_e32 v[175:176], v[173:174]
	s_waitcnt_depctr 0xfff
	v_fma_f64 v[177:178], -v[173:174], v[175:176], 1.0
	s_delay_alu instid0(VALU_DEP_1) | instskip(NEXT) | instid1(VALU_DEP_1)
	v_fma_f64 v[175:176], v[175:176], v[177:178], v[175:176]
	v_fma_f64 v[177:178], -v[173:174], v[175:176], 1.0
	s_delay_alu instid0(VALU_DEP_1) | instskip(NEXT) | instid1(VALU_DEP_1)
	v_fma_f64 v[175:176], v[175:176], v[177:178], v[175:176]
	v_mul_f64 v[177:178], v[179:180], v[175:176]
	s_delay_alu instid0(VALU_DEP_1) | instskip(NEXT) | instid1(VALU_DEP_1)
	v_fma_f64 v[173:174], -v[173:174], v[177:178], v[179:180]
	v_div_fmas_f64 v[173:174], v[173:174], v[175:176], v[177:178]
	s_delay_alu instid0(VALU_DEP_1) | instskip(NEXT) | instid1(VALU_DEP_1)
	v_div_fixup_f64 v[173:174], v[173:174], v[156:157], v[158:159]
	v_fma_f64 v[156:157], v[158:159], v[173:174], v[156:157]
	s_delay_alu instid0(VALU_DEP_1) | instskip(NEXT) | instid1(VALU_DEP_1)
	v_div_scale_f64 v[158:159], null, v[156:157], v[156:157], 1.0
	v_rcp_f64_e32 v[175:176], v[158:159]
	s_waitcnt_depctr 0xfff
	v_fma_f64 v[177:178], -v[158:159], v[175:176], 1.0
	s_delay_alu instid0(VALU_DEP_1) | instskip(NEXT) | instid1(VALU_DEP_1)
	v_fma_f64 v[175:176], v[175:176], v[177:178], v[175:176]
	v_fma_f64 v[177:178], -v[158:159], v[175:176], 1.0
	s_delay_alu instid0(VALU_DEP_1) | instskip(SKIP_1) | instid1(VALU_DEP_1)
	v_fma_f64 v[175:176], v[175:176], v[177:178], v[175:176]
	v_div_scale_f64 v[177:178], vcc_lo, 1.0, v[156:157], 1.0
	v_mul_f64 v[179:180], v[177:178], v[175:176]
	s_delay_alu instid0(VALU_DEP_1) | instskip(NEXT) | instid1(VALU_DEP_1)
	v_fma_f64 v[158:159], -v[158:159], v[179:180], v[177:178]
	v_div_fmas_f64 v[158:159], v[158:159], v[175:176], v[179:180]
	s_delay_alu instid0(VALU_DEP_1) | instskip(NEXT) | instid1(VALU_DEP_1)
	v_div_fixup_f64 v[156:157], v[158:159], v[156:157], 1.0
	v_mul_f64 v[158:159], v[173:174], -v[156:157]
.LBB76_513:
	s_or_b32 exec_lo, exec_lo, s2
.LBB76_514:
	s_delay_alu instid0(SALU_CYCLE_1) | instskip(NEXT) | instid1(SALU_CYCLE_1)
	s_or_b32 exec_lo, exec_lo, s3
	s_mov_b32 s2, exec_lo
	v_cmpx_ne_u32_e64 v172, v164
	s_xor_b32 s2, exec_lo, s2
	s_cbranch_execz .LBB76_520
; %bb.515:
	s_mov_b32 s3, exec_lo
	v_cmpx_eq_u32_e32 24, v172
	s_cbranch_execz .LBB76_519
; %bb.516:
	v_cmp_ne_u32_e32 vcc_lo, 24, v164
	s_xor_b32 s6, s4, -1
	s_delay_alu instid0(SALU_CYCLE_1) | instskip(NEXT) | instid1(SALU_CYCLE_1)
	s_and_b32 s7, s6, vcc_lo
	s_and_saveexec_b32 s6, s7
	s_cbranch_execz .LBB76_518
; %bb.517:
	v_ashrrev_i32_e32 v165, 31, v164
	s_delay_alu instid0(VALU_DEP_1) | instskip(NEXT) | instid1(VALU_DEP_1)
	v_lshlrev_b64 v[171:172], 2, v[164:165]
	v_add_co_u32 v171, vcc_lo, v162, v171
	s_delay_alu instid0(VALU_DEP_2)
	v_add_co_ci_u32_e32 v172, vcc_lo, v163, v172, vcc_lo
	s_clause 0x1
	flat_load_b32 v165, v[171:172]
	flat_load_b32 v173, v[162:163] offset:96
	s_waitcnt vmcnt(1) lgkmcnt(1)
	flat_store_b32 v[162:163], v165 offset:96
	s_waitcnt vmcnt(0) lgkmcnt(1)
	flat_store_b32 v[171:172], v173
.LBB76_518:
	s_or_b32 exec_lo, exec_lo, s6
	v_mov_b32_e32 v172, v164
	v_mov_b32_e32 v171, v164
.LBB76_519:
	s_or_b32 exec_lo, exec_lo, s3
.LBB76_520:
	s_and_not1_saveexec_b32 s2, s2
	s_cbranch_execz .LBB76_522
; %bb.521:
	v_mov_b32_e32 v172, 24
	ds_store_2addr_b64 v166, v[60:61], v[62:63] offset0:50 offset1:51
	ds_store_2addr_b64 v166, v[56:57], v[58:59] offset0:52 offset1:53
	ds_store_2addr_b64 v166, v[44:45], v[46:47] offset0:54 offset1:55
	ds_store_2addr_b64 v166, v[40:41], v[42:43] offset0:56 offset1:57
	ds_store_2addr_b64 v166, v[36:37], v[38:39] offset0:58 offset1:59
	ds_store_2addr_b64 v166, v[32:33], v[34:35] offset0:60 offset1:61
	ds_store_2addr_b64 v166, v[28:29], v[30:31] offset0:62 offset1:63
	ds_store_2addr_b64 v166, v[24:25], v[26:27] offset0:64 offset1:65
	ds_store_2addr_b64 v166, v[20:21], v[22:23] offset0:66 offset1:67
	ds_store_2addr_b64 v166, v[16:17], v[18:19] offset0:68 offset1:69
	ds_store_2addr_b64 v166, v[12:13], v[14:15] offset0:70 offset1:71
	ds_store_2addr_b64 v166, v[8:9], v[10:11] offset0:72 offset1:73
	ds_store_2addr_b64 v166, v[4:5], v[6:7] offset0:74 offset1:75
	ds_store_2addr_b64 v166, v[0:1], v[2:3] offset0:76 offset1:77
.LBB76_522:
	s_or_b32 exec_lo, exec_lo, s2
	s_delay_alu instid0(SALU_CYCLE_1)
	s_mov_b32 s2, exec_lo
	s_waitcnt lgkmcnt(0)
	s_waitcnt_vscnt null, 0x0
	s_barrier
	buffer_gl0_inv
	v_cmpx_lt_i32_e32 24, v172
	s_cbranch_execz .LBB76_524
; %bb.523:
	v_mul_f64 v[164:165], v[156:157], v[66:67]
	v_mul_f64 v[66:67], v[158:159], v[66:67]
	s_delay_alu instid0(VALU_DEP_2) | instskip(NEXT) | instid1(VALU_DEP_2)
	v_fma_f64 v[164:165], v[158:159], v[64:65], v[164:165]
	v_fma_f64 v[64:65], v[156:157], v[64:65], -v[66:67]
	ds_load_2addr_b64 v[156:159], v166 offset0:50 offset1:51
	s_waitcnt lgkmcnt(0)
	v_mul_f64 v[66:67], v[158:159], v[164:165]
	s_delay_alu instid0(VALU_DEP_1) | instskip(SKIP_1) | instid1(VALU_DEP_2)
	v_fma_f64 v[66:67], v[156:157], v[64:65], -v[66:67]
	v_mul_f64 v[156:157], v[156:157], v[164:165]
	v_add_f64 v[60:61], v[60:61], -v[66:67]
	s_delay_alu instid0(VALU_DEP_2) | instskip(NEXT) | instid1(VALU_DEP_1)
	v_fma_f64 v[156:157], v[158:159], v[64:65], v[156:157]
	v_add_f64 v[62:63], v[62:63], -v[156:157]
	ds_load_2addr_b64 v[156:159], v166 offset0:52 offset1:53
	s_waitcnt lgkmcnt(0)
	v_mul_f64 v[66:67], v[158:159], v[164:165]
	s_delay_alu instid0(VALU_DEP_1) | instskip(SKIP_1) | instid1(VALU_DEP_2)
	v_fma_f64 v[66:67], v[156:157], v[64:65], -v[66:67]
	v_mul_f64 v[156:157], v[156:157], v[164:165]
	v_add_f64 v[56:57], v[56:57], -v[66:67]
	s_delay_alu instid0(VALU_DEP_2) | instskip(NEXT) | instid1(VALU_DEP_1)
	v_fma_f64 v[156:157], v[158:159], v[64:65], v[156:157]
	v_add_f64 v[58:59], v[58:59], -v[156:157]
	ds_load_2addr_b64 v[156:159], v166 offset0:54 offset1:55
	s_waitcnt lgkmcnt(0)
	v_mul_f64 v[66:67], v[158:159], v[164:165]
	s_delay_alu instid0(VALU_DEP_1) | instskip(SKIP_1) | instid1(VALU_DEP_2)
	v_fma_f64 v[66:67], v[156:157], v[64:65], -v[66:67]
	v_mul_f64 v[156:157], v[156:157], v[164:165]
	v_add_f64 v[44:45], v[44:45], -v[66:67]
	s_delay_alu instid0(VALU_DEP_2) | instskip(NEXT) | instid1(VALU_DEP_1)
	v_fma_f64 v[156:157], v[158:159], v[64:65], v[156:157]
	v_add_f64 v[46:47], v[46:47], -v[156:157]
	ds_load_2addr_b64 v[156:159], v166 offset0:56 offset1:57
	s_waitcnt lgkmcnt(0)
	v_mul_f64 v[66:67], v[158:159], v[164:165]
	s_delay_alu instid0(VALU_DEP_1) | instskip(SKIP_1) | instid1(VALU_DEP_2)
	v_fma_f64 v[66:67], v[156:157], v[64:65], -v[66:67]
	v_mul_f64 v[156:157], v[156:157], v[164:165]
	v_add_f64 v[40:41], v[40:41], -v[66:67]
	s_delay_alu instid0(VALU_DEP_2) | instskip(NEXT) | instid1(VALU_DEP_1)
	v_fma_f64 v[156:157], v[158:159], v[64:65], v[156:157]
	v_add_f64 v[42:43], v[42:43], -v[156:157]
	ds_load_2addr_b64 v[156:159], v166 offset0:58 offset1:59
	s_waitcnt lgkmcnt(0)
	v_mul_f64 v[66:67], v[158:159], v[164:165]
	s_delay_alu instid0(VALU_DEP_1) | instskip(SKIP_1) | instid1(VALU_DEP_2)
	v_fma_f64 v[66:67], v[156:157], v[64:65], -v[66:67]
	v_mul_f64 v[156:157], v[156:157], v[164:165]
	v_add_f64 v[36:37], v[36:37], -v[66:67]
	s_delay_alu instid0(VALU_DEP_2) | instskip(NEXT) | instid1(VALU_DEP_1)
	v_fma_f64 v[156:157], v[158:159], v[64:65], v[156:157]
	v_add_f64 v[38:39], v[38:39], -v[156:157]
	ds_load_2addr_b64 v[156:159], v166 offset0:60 offset1:61
	s_waitcnt lgkmcnt(0)
	v_mul_f64 v[66:67], v[158:159], v[164:165]
	s_delay_alu instid0(VALU_DEP_1) | instskip(SKIP_1) | instid1(VALU_DEP_2)
	v_fma_f64 v[66:67], v[156:157], v[64:65], -v[66:67]
	v_mul_f64 v[156:157], v[156:157], v[164:165]
	v_add_f64 v[32:33], v[32:33], -v[66:67]
	s_delay_alu instid0(VALU_DEP_2) | instskip(NEXT) | instid1(VALU_DEP_1)
	v_fma_f64 v[156:157], v[158:159], v[64:65], v[156:157]
	v_add_f64 v[34:35], v[34:35], -v[156:157]
	ds_load_2addr_b64 v[156:159], v166 offset0:62 offset1:63
	s_waitcnt lgkmcnt(0)
	v_mul_f64 v[66:67], v[158:159], v[164:165]
	s_delay_alu instid0(VALU_DEP_1) | instskip(SKIP_1) | instid1(VALU_DEP_2)
	v_fma_f64 v[66:67], v[156:157], v[64:65], -v[66:67]
	v_mul_f64 v[156:157], v[156:157], v[164:165]
	v_add_f64 v[28:29], v[28:29], -v[66:67]
	s_delay_alu instid0(VALU_DEP_2) | instskip(NEXT) | instid1(VALU_DEP_1)
	v_fma_f64 v[156:157], v[158:159], v[64:65], v[156:157]
	v_add_f64 v[30:31], v[30:31], -v[156:157]
	ds_load_2addr_b64 v[156:159], v166 offset0:64 offset1:65
	s_waitcnt lgkmcnt(0)
	v_mul_f64 v[66:67], v[158:159], v[164:165]
	s_delay_alu instid0(VALU_DEP_1) | instskip(SKIP_1) | instid1(VALU_DEP_2)
	v_fma_f64 v[66:67], v[156:157], v[64:65], -v[66:67]
	v_mul_f64 v[156:157], v[156:157], v[164:165]
	v_add_f64 v[24:25], v[24:25], -v[66:67]
	s_delay_alu instid0(VALU_DEP_2) | instskip(NEXT) | instid1(VALU_DEP_1)
	v_fma_f64 v[156:157], v[158:159], v[64:65], v[156:157]
	v_add_f64 v[26:27], v[26:27], -v[156:157]
	ds_load_2addr_b64 v[156:159], v166 offset0:66 offset1:67
	s_waitcnt lgkmcnt(0)
	v_mul_f64 v[66:67], v[158:159], v[164:165]
	s_delay_alu instid0(VALU_DEP_1) | instskip(SKIP_1) | instid1(VALU_DEP_2)
	v_fma_f64 v[66:67], v[156:157], v[64:65], -v[66:67]
	v_mul_f64 v[156:157], v[156:157], v[164:165]
	v_add_f64 v[20:21], v[20:21], -v[66:67]
	s_delay_alu instid0(VALU_DEP_2) | instskip(NEXT) | instid1(VALU_DEP_1)
	v_fma_f64 v[156:157], v[158:159], v[64:65], v[156:157]
	v_add_f64 v[22:23], v[22:23], -v[156:157]
	ds_load_2addr_b64 v[156:159], v166 offset0:68 offset1:69
	s_waitcnt lgkmcnt(0)
	v_mul_f64 v[66:67], v[158:159], v[164:165]
	s_delay_alu instid0(VALU_DEP_1) | instskip(SKIP_1) | instid1(VALU_DEP_2)
	v_fma_f64 v[66:67], v[156:157], v[64:65], -v[66:67]
	v_mul_f64 v[156:157], v[156:157], v[164:165]
	v_add_f64 v[16:17], v[16:17], -v[66:67]
	s_delay_alu instid0(VALU_DEP_2) | instskip(NEXT) | instid1(VALU_DEP_1)
	v_fma_f64 v[156:157], v[158:159], v[64:65], v[156:157]
	v_add_f64 v[18:19], v[18:19], -v[156:157]
	ds_load_2addr_b64 v[156:159], v166 offset0:70 offset1:71
	s_waitcnt lgkmcnt(0)
	v_mul_f64 v[66:67], v[158:159], v[164:165]
	s_delay_alu instid0(VALU_DEP_1) | instskip(SKIP_1) | instid1(VALU_DEP_2)
	v_fma_f64 v[66:67], v[156:157], v[64:65], -v[66:67]
	v_mul_f64 v[156:157], v[156:157], v[164:165]
	v_add_f64 v[12:13], v[12:13], -v[66:67]
	s_delay_alu instid0(VALU_DEP_2) | instskip(NEXT) | instid1(VALU_DEP_1)
	v_fma_f64 v[156:157], v[158:159], v[64:65], v[156:157]
	v_add_f64 v[14:15], v[14:15], -v[156:157]
	ds_load_2addr_b64 v[156:159], v166 offset0:72 offset1:73
	s_waitcnt lgkmcnt(0)
	v_mul_f64 v[66:67], v[158:159], v[164:165]
	s_delay_alu instid0(VALU_DEP_1) | instskip(SKIP_1) | instid1(VALU_DEP_2)
	v_fma_f64 v[66:67], v[156:157], v[64:65], -v[66:67]
	v_mul_f64 v[156:157], v[156:157], v[164:165]
	v_add_f64 v[8:9], v[8:9], -v[66:67]
	s_delay_alu instid0(VALU_DEP_2) | instskip(NEXT) | instid1(VALU_DEP_1)
	v_fma_f64 v[156:157], v[158:159], v[64:65], v[156:157]
	v_add_f64 v[10:11], v[10:11], -v[156:157]
	ds_load_2addr_b64 v[156:159], v166 offset0:74 offset1:75
	s_waitcnt lgkmcnt(0)
	v_mul_f64 v[66:67], v[158:159], v[164:165]
	s_delay_alu instid0(VALU_DEP_1) | instskip(SKIP_1) | instid1(VALU_DEP_2)
	v_fma_f64 v[66:67], v[156:157], v[64:65], -v[66:67]
	v_mul_f64 v[156:157], v[156:157], v[164:165]
	v_add_f64 v[4:5], v[4:5], -v[66:67]
	s_delay_alu instid0(VALU_DEP_2) | instskip(NEXT) | instid1(VALU_DEP_1)
	v_fma_f64 v[156:157], v[158:159], v[64:65], v[156:157]
	v_add_f64 v[6:7], v[6:7], -v[156:157]
	ds_load_2addr_b64 v[156:159], v166 offset0:76 offset1:77
	s_waitcnt lgkmcnt(0)
	v_mul_f64 v[66:67], v[158:159], v[164:165]
	s_delay_alu instid0(VALU_DEP_1) | instskip(SKIP_1) | instid1(VALU_DEP_2)
	v_fma_f64 v[66:67], v[156:157], v[64:65], -v[66:67]
	v_mul_f64 v[156:157], v[156:157], v[164:165]
	v_add_f64 v[0:1], v[0:1], -v[66:67]
	s_delay_alu instid0(VALU_DEP_2) | instskip(SKIP_1) | instid1(VALU_DEP_2)
	v_fma_f64 v[156:157], v[158:159], v[64:65], v[156:157]
	v_dual_mov_b32 v66, v164 :: v_dual_mov_b32 v67, v165
	v_add_f64 v[2:3], v[2:3], -v[156:157]
.LBB76_524:
	s_or_b32 exec_lo, exec_lo, s2
	v_lshl_add_u32 v156, v172, 4, v166
	s_barrier
	buffer_gl0_inv
	v_mov_b32_e32 v164, 25
	ds_store_2addr_b64 v156, v[60:61], v[62:63] offset1:1
	s_waitcnt lgkmcnt(0)
	s_barrier
	buffer_gl0_inv
	ds_load_2addr_b64 v[156:159], v166 offset0:50 offset1:51
	s_cmp_lt_i32 s5, 27
	s_cbranch_scc1 .LBB76_527
; %bb.525:
	v_add3_u32 v165, v170, 0, 0x1a0
	v_mov_b32_e32 v164, 25
	s_mov_b32 s6, 26
	s_set_inst_prefetch_distance 0x1
	.p2align	6
.LBB76_526:                             ; =>This Inner Loop Header: Depth=1
	ds_load_2addr_b64 v[173:176], v165 offset1:1
	s_waitcnt lgkmcnt(1)
	v_cmp_gt_f64_e32 vcc_lo, 0, v[156:157]
	v_xor_b32_e32 v177, 0x80000000, v157
	v_cmp_gt_f64_e64 s2, 0, v[158:159]
	v_xor_b32_e32 v179, 0x80000000, v159
	v_add_nc_u32_e32 v165, 16, v165
	s_waitcnt lgkmcnt(0)
	v_cmp_gt_f64_e64 s3, 0, v[173:174]
	v_mov_b32_e32 v181, v173
	v_dual_mov_b32 v183, v175 :: v_dual_cndmask_b32 v178, v157, v177
	v_xor_b32_e32 v177, 0x80000000, v174
	v_cndmask_b32_e64 v180, v159, v179, s2
	v_xor_b32_e32 v179, 0x80000000, v176
	s_delay_alu instid0(VALU_DEP_3) | instskip(SKIP_2) | instid1(VALU_DEP_2)
	v_cndmask_b32_e64 v182, v174, v177, s3
	v_cmp_gt_f64_e64 s3, 0, v[175:176]
	v_cndmask_b32_e32 v177, v156, v156, vcc_lo
	v_cndmask_b32_e64 v184, v176, v179, s3
	v_cndmask_b32_e64 v179, v158, v158, s2
	s_delay_alu instid0(VALU_DEP_2) | instskip(NEXT) | instid1(VALU_DEP_2)
	v_add_f64 v[181:182], v[181:182], v[183:184]
	v_add_f64 v[177:178], v[177:178], v[179:180]
	s_delay_alu instid0(VALU_DEP_1) | instskip(SKIP_4) | instid1(SALU_CYCLE_1)
	v_cmp_lt_f64_e32 vcc_lo, v[177:178], v[181:182]
	v_dual_cndmask_b32 v158, v158, v175 :: v_dual_cndmask_b32 v157, v157, v174
	v_dual_cndmask_b32 v156, v156, v173 :: v_dual_cndmask_b32 v159, v159, v176
	v_cndmask_b32_e64 v164, v164, s6, vcc_lo
	s_add_i32 s6, s6, 1
	s_cmp_lg_u32 s5, s6
	s_cbranch_scc1 .LBB76_526
.LBB76_527:
	s_set_inst_prefetch_distance 0x2
	s_waitcnt lgkmcnt(0)
	v_cmp_eq_f64_e32 vcc_lo, 0, v[156:157]
	v_cmp_eq_f64_e64 s2, 0, v[158:159]
	s_delay_alu instid0(VALU_DEP_1) | instskip(NEXT) | instid1(SALU_CYCLE_1)
	s_and_b32 s2, vcc_lo, s2
	s_and_saveexec_b32 s3, s2
	s_delay_alu instid0(SALU_CYCLE_1)
	s_xor_b32 s2, exec_lo, s3
; %bb.528:
	v_cmp_ne_u32_e32 vcc_lo, 0, v169
	v_cndmask_b32_e32 v169, 26, v169, vcc_lo
; %bb.529:
	s_and_not1_saveexec_b32 s3, s2
	s_cbranch_execz .LBB76_535
; %bb.530:
	v_cmp_gt_f64_e32 vcc_lo, 0, v[156:157]
	v_cmp_gt_f64_e64 s2, 0, v[158:159]
	v_xor_b32_e32 v165, 0x80000000, v157
	v_xor_b32_e32 v173, 0x80000000, v159
	s_delay_alu instid0(VALU_DEP_2) | instskip(NEXT) | instid1(VALU_DEP_2)
	v_cndmask_b32_e32 v174, v157, v165, vcc_lo
	v_cndmask_b32_e64 v176, v159, v173, s2
	v_cndmask_b32_e32 v173, v156, v156, vcc_lo
	v_cndmask_b32_e64 v175, v158, v158, s2
	s_mov_b32 s2, exec_lo
	s_delay_alu instid0(VALU_DEP_1)
	v_cmpx_ngt_f64_e32 v[173:174], v[175:176]
	s_xor_b32 s2, exec_lo, s2
	s_cbranch_execz .LBB76_532
; %bb.531:
	v_div_scale_f64 v[173:174], null, v[158:159], v[158:159], v[156:157]
	v_div_scale_f64 v[179:180], vcc_lo, v[156:157], v[158:159], v[156:157]
	s_delay_alu instid0(VALU_DEP_2) | instskip(SKIP_2) | instid1(VALU_DEP_1)
	v_rcp_f64_e32 v[175:176], v[173:174]
	s_waitcnt_depctr 0xfff
	v_fma_f64 v[177:178], -v[173:174], v[175:176], 1.0
	v_fma_f64 v[175:176], v[175:176], v[177:178], v[175:176]
	s_delay_alu instid0(VALU_DEP_1) | instskip(NEXT) | instid1(VALU_DEP_1)
	v_fma_f64 v[177:178], -v[173:174], v[175:176], 1.0
	v_fma_f64 v[175:176], v[175:176], v[177:178], v[175:176]
	s_delay_alu instid0(VALU_DEP_1) | instskip(NEXT) | instid1(VALU_DEP_1)
	v_mul_f64 v[177:178], v[179:180], v[175:176]
	v_fma_f64 v[173:174], -v[173:174], v[177:178], v[179:180]
	s_delay_alu instid0(VALU_DEP_1) | instskip(NEXT) | instid1(VALU_DEP_1)
	v_div_fmas_f64 v[173:174], v[173:174], v[175:176], v[177:178]
	v_div_fixup_f64 v[173:174], v[173:174], v[158:159], v[156:157]
	s_delay_alu instid0(VALU_DEP_1) | instskip(NEXT) | instid1(VALU_DEP_1)
	v_fma_f64 v[156:157], v[156:157], v[173:174], v[158:159]
	v_div_scale_f64 v[158:159], null, v[156:157], v[156:157], 1.0
	s_delay_alu instid0(VALU_DEP_1) | instskip(SKIP_2) | instid1(VALU_DEP_1)
	v_rcp_f64_e32 v[175:176], v[158:159]
	s_waitcnt_depctr 0xfff
	v_fma_f64 v[177:178], -v[158:159], v[175:176], 1.0
	v_fma_f64 v[175:176], v[175:176], v[177:178], v[175:176]
	s_delay_alu instid0(VALU_DEP_1) | instskip(NEXT) | instid1(VALU_DEP_1)
	v_fma_f64 v[177:178], -v[158:159], v[175:176], 1.0
	v_fma_f64 v[175:176], v[175:176], v[177:178], v[175:176]
	v_div_scale_f64 v[177:178], vcc_lo, 1.0, v[156:157], 1.0
	s_delay_alu instid0(VALU_DEP_1) | instskip(NEXT) | instid1(VALU_DEP_1)
	v_mul_f64 v[179:180], v[177:178], v[175:176]
	v_fma_f64 v[158:159], -v[158:159], v[179:180], v[177:178]
	s_delay_alu instid0(VALU_DEP_1) | instskip(NEXT) | instid1(VALU_DEP_1)
	v_div_fmas_f64 v[158:159], v[158:159], v[175:176], v[179:180]
	v_div_fixup_f64 v[158:159], v[158:159], v[156:157], 1.0
	s_delay_alu instid0(VALU_DEP_1)
	v_mul_f64 v[156:157], v[173:174], v[158:159]
	v_xor_b32_e32 v159, 0x80000000, v159
.LBB76_532:
	s_and_not1_saveexec_b32 s2, s2
	s_cbranch_execz .LBB76_534
; %bb.533:
	s_delay_alu instid0(VALU_DEP_1) | instskip(SKIP_1) | instid1(VALU_DEP_2)
	v_div_scale_f64 v[173:174], null, v[156:157], v[156:157], v[158:159]
	v_div_scale_f64 v[179:180], vcc_lo, v[158:159], v[156:157], v[158:159]
	v_rcp_f64_e32 v[175:176], v[173:174]
	s_waitcnt_depctr 0xfff
	v_fma_f64 v[177:178], -v[173:174], v[175:176], 1.0
	s_delay_alu instid0(VALU_DEP_1) | instskip(NEXT) | instid1(VALU_DEP_1)
	v_fma_f64 v[175:176], v[175:176], v[177:178], v[175:176]
	v_fma_f64 v[177:178], -v[173:174], v[175:176], 1.0
	s_delay_alu instid0(VALU_DEP_1) | instskip(NEXT) | instid1(VALU_DEP_1)
	v_fma_f64 v[175:176], v[175:176], v[177:178], v[175:176]
	v_mul_f64 v[177:178], v[179:180], v[175:176]
	s_delay_alu instid0(VALU_DEP_1) | instskip(NEXT) | instid1(VALU_DEP_1)
	v_fma_f64 v[173:174], -v[173:174], v[177:178], v[179:180]
	v_div_fmas_f64 v[173:174], v[173:174], v[175:176], v[177:178]
	s_delay_alu instid0(VALU_DEP_1) | instskip(NEXT) | instid1(VALU_DEP_1)
	v_div_fixup_f64 v[173:174], v[173:174], v[156:157], v[158:159]
	v_fma_f64 v[156:157], v[158:159], v[173:174], v[156:157]
	s_delay_alu instid0(VALU_DEP_1) | instskip(NEXT) | instid1(VALU_DEP_1)
	v_div_scale_f64 v[158:159], null, v[156:157], v[156:157], 1.0
	v_rcp_f64_e32 v[175:176], v[158:159]
	s_waitcnt_depctr 0xfff
	v_fma_f64 v[177:178], -v[158:159], v[175:176], 1.0
	s_delay_alu instid0(VALU_DEP_1) | instskip(NEXT) | instid1(VALU_DEP_1)
	v_fma_f64 v[175:176], v[175:176], v[177:178], v[175:176]
	v_fma_f64 v[177:178], -v[158:159], v[175:176], 1.0
	s_delay_alu instid0(VALU_DEP_1) | instskip(SKIP_1) | instid1(VALU_DEP_1)
	v_fma_f64 v[175:176], v[175:176], v[177:178], v[175:176]
	v_div_scale_f64 v[177:178], vcc_lo, 1.0, v[156:157], 1.0
	v_mul_f64 v[179:180], v[177:178], v[175:176]
	s_delay_alu instid0(VALU_DEP_1) | instskip(NEXT) | instid1(VALU_DEP_1)
	v_fma_f64 v[158:159], -v[158:159], v[179:180], v[177:178]
	v_div_fmas_f64 v[158:159], v[158:159], v[175:176], v[179:180]
	s_delay_alu instid0(VALU_DEP_1) | instskip(NEXT) | instid1(VALU_DEP_1)
	v_div_fixup_f64 v[156:157], v[158:159], v[156:157], 1.0
	v_mul_f64 v[158:159], v[173:174], -v[156:157]
.LBB76_534:
	s_or_b32 exec_lo, exec_lo, s2
.LBB76_535:
	s_delay_alu instid0(SALU_CYCLE_1) | instskip(NEXT) | instid1(SALU_CYCLE_1)
	s_or_b32 exec_lo, exec_lo, s3
	s_mov_b32 s2, exec_lo
	v_cmpx_ne_u32_e64 v172, v164
	s_xor_b32 s2, exec_lo, s2
	s_cbranch_execz .LBB76_541
; %bb.536:
	s_mov_b32 s3, exec_lo
	v_cmpx_eq_u32_e32 25, v172
	s_cbranch_execz .LBB76_540
; %bb.537:
	v_cmp_ne_u32_e32 vcc_lo, 25, v164
	s_xor_b32 s6, s4, -1
	s_delay_alu instid0(SALU_CYCLE_1) | instskip(NEXT) | instid1(SALU_CYCLE_1)
	s_and_b32 s7, s6, vcc_lo
	s_and_saveexec_b32 s6, s7
	s_cbranch_execz .LBB76_539
; %bb.538:
	v_ashrrev_i32_e32 v165, 31, v164
	s_delay_alu instid0(VALU_DEP_1) | instskip(NEXT) | instid1(VALU_DEP_1)
	v_lshlrev_b64 v[171:172], 2, v[164:165]
	v_add_co_u32 v171, vcc_lo, v162, v171
	s_delay_alu instid0(VALU_DEP_2)
	v_add_co_ci_u32_e32 v172, vcc_lo, v163, v172, vcc_lo
	s_clause 0x1
	flat_load_b32 v165, v[171:172]
	flat_load_b32 v173, v[162:163] offset:100
	s_waitcnt vmcnt(1) lgkmcnt(1)
	flat_store_b32 v[162:163], v165 offset:100
	s_waitcnt vmcnt(0) lgkmcnt(1)
	flat_store_b32 v[171:172], v173
.LBB76_539:
	s_or_b32 exec_lo, exec_lo, s6
	v_mov_b32_e32 v172, v164
	v_mov_b32_e32 v171, v164
.LBB76_540:
	s_or_b32 exec_lo, exec_lo, s3
.LBB76_541:
	s_and_not1_saveexec_b32 s2, s2
	s_cbranch_execz .LBB76_543
; %bb.542:
	v_mov_b32_e32 v172, 25
	ds_store_2addr_b64 v166, v[56:57], v[58:59] offset0:52 offset1:53
	ds_store_2addr_b64 v166, v[44:45], v[46:47] offset0:54 offset1:55
	;; [unrolled: 1-line block ×13, first 2 shown]
.LBB76_543:
	s_or_b32 exec_lo, exec_lo, s2
	s_delay_alu instid0(SALU_CYCLE_1)
	s_mov_b32 s2, exec_lo
	s_waitcnt lgkmcnt(0)
	s_waitcnt_vscnt null, 0x0
	s_barrier
	buffer_gl0_inv
	v_cmpx_lt_i32_e32 25, v172
	s_cbranch_execz .LBB76_545
; %bb.544:
	v_mul_f64 v[164:165], v[156:157], v[62:63]
	v_mul_f64 v[62:63], v[158:159], v[62:63]
	s_delay_alu instid0(VALU_DEP_2) | instskip(NEXT) | instid1(VALU_DEP_2)
	v_fma_f64 v[164:165], v[158:159], v[60:61], v[164:165]
	v_fma_f64 v[60:61], v[156:157], v[60:61], -v[62:63]
	ds_load_2addr_b64 v[156:159], v166 offset0:52 offset1:53
	s_waitcnt lgkmcnt(0)
	v_mul_f64 v[62:63], v[158:159], v[164:165]
	s_delay_alu instid0(VALU_DEP_1) | instskip(SKIP_1) | instid1(VALU_DEP_2)
	v_fma_f64 v[62:63], v[156:157], v[60:61], -v[62:63]
	v_mul_f64 v[156:157], v[156:157], v[164:165]
	v_add_f64 v[56:57], v[56:57], -v[62:63]
	s_delay_alu instid0(VALU_DEP_2) | instskip(NEXT) | instid1(VALU_DEP_1)
	v_fma_f64 v[156:157], v[158:159], v[60:61], v[156:157]
	v_add_f64 v[58:59], v[58:59], -v[156:157]
	ds_load_2addr_b64 v[156:159], v166 offset0:54 offset1:55
	s_waitcnt lgkmcnt(0)
	v_mul_f64 v[62:63], v[158:159], v[164:165]
	s_delay_alu instid0(VALU_DEP_1) | instskip(SKIP_1) | instid1(VALU_DEP_2)
	v_fma_f64 v[62:63], v[156:157], v[60:61], -v[62:63]
	v_mul_f64 v[156:157], v[156:157], v[164:165]
	v_add_f64 v[44:45], v[44:45], -v[62:63]
	s_delay_alu instid0(VALU_DEP_2) | instskip(NEXT) | instid1(VALU_DEP_1)
	v_fma_f64 v[156:157], v[158:159], v[60:61], v[156:157]
	v_add_f64 v[46:47], v[46:47], -v[156:157]
	;; [unrolled: 10-line block ×12, first 2 shown]
	ds_load_2addr_b64 v[156:159], v166 offset0:76 offset1:77
	s_waitcnt lgkmcnt(0)
	v_mul_f64 v[62:63], v[158:159], v[164:165]
	s_delay_alu instid0(VALU_DEP_1) | instskip(SKIP_1) | instid1(VALU_DEP_2)
	v_fma_f64 v[62:63], v[156:157], v[60:61], -v[62:63]
	v_mul_f64 v[156:157], v[156:157], v[164:165]
	v_add_f64 v[0:1], v[0:1], -v[62:63]
	s_delay_alu instid0(VALU_DEP_2) | instskip(SKIP_1) | instid1(VALU_DEP_2)
	v_fma_f64 v[156:157], v[158:159], v[60:61], v[156:157]
	v_dual_mov_b32 v62, v164 :: v_dual_mov_b32 v63, v165
	v_add_f64 v[2:3], v[2:3], -v[156:157]
.LBB76_545:
	s_or_b32 exec_lo, exec_lo, s2
	v_lshl_add_u32 v156, v172, 4, v166
	s_barrier
	buffer_gl0_inv
	v_mov_b32_e32 v164, 26
	ds_store_2addr_b64 v156, v[56:57], v[58:59] offset1:1
	s_waitcnt lgkmcnt(0)
	s_barrier
	buffer_gl0_inv
	ds_load_2addr_b64 v[156:159], v166 offset0:52 offset1:53
	s_cmp_lt_i32 s5, 28
	s_cbranch_scc1 .LBB76_548
; %bb.546:
	v_add3_u32 v165, v170, 0, 0x1b0
	v_mov_b32_e32 v164, 26
	s_mov_b32 s6, 27
	s_set_inst_prefetch_distance 0x1
	.p2align	6
.LBB76_547:                             ; =>This Inner Loop Header: Depth=1
	ds_load_2addr_b64 v[173:176], v165 offset1:1
	s_waitcnt lgkmcnt(1)
	v_cmp_gt_f64_e32 vcc_lo, 0, v[156:157]
	v_xor_b32_e32 v177, 0x80000000, v157
	v_cmp_gt_f64_e64 s2, 0, v[158:159]
	v_xor_b32_e32 v179, 0x80000000, v159
	v_add_nc_u32_e32 v165, 16, v165
	s_waitcnt lgkmcnt(0)
	v_cmp_gt_f64_e64 s3, 0, v[173:174]
	v_mov_b32_e32 v181, v173
	v_dual_mov_b32 v183, v175 :: v_dual_cndmask_b32 v178, v157, v177
	v_xor_b32_e32 v177, 0x80000000, v174
	v_cndmask_b32_e64 v180, v159, v179, s2
	v_xor_b32_e32 v179, 0x80000000, v176
	s_delay_alu instid0(VALU_DEP_3) | instskip(SKIP_2) | instid1(VALU_DEP_2)
	v_cndmask_b32_e64 v182, v174, v177, s3
	v_cmp_gt_f64_e64 s3, 0, v[175:176]
	v_cndmask_b32_e32 v177, v156, v156, vcc_lo
	v_cndmask_b32_e64 v184, v176, v179, s3
	v_cndmask_b32_e64 v179, v158, v158, s2
	s_delay_alu instid0(VALU_DEP_2) | instskip(NEXT) | instid1(VALU_DEP_2)
	v_add_f64 v[181:182], v[181:182], v[183:184]
	v_add_f64 v[177:178], v[177:178], v[179:180]
	s_delay_alu instid0(VALU_DEP_1) | instskip(SKIP_4) | instid1(SALU_CYCLE_1)
	v_cmp_lt_f64_e32 vcc_lo, v[177:178], v[181:182]
	v_dual_cndmask_b32 v158, v158, v175 :: v_dual_cndmask_b32 v157, v157, v174
	v_dual_cndmask_b32 v156, v156, v173 :: v_dual_cndmask_b32 v159, v159, v176
	v_cndmask_b32_e64 v164, v164, s6, vcc_lo
	s_add_i32 s6, s6, 1
	s_cmp_lg_u32 s5, s6
	s_cbranch_scc1 .LBB76_547
.LBB76_548:
	s_set_inst_prefetch_distance 0x2
	s_waitcnt lgkmcnt(0)
	v_cmp_eq_f64_e32 vcc_lo, 0, v[156:157]
	v_cmp_eq_f64_e64 s2, 0, v[158:159]
	s_delay_alu instid0(VALU_DEP_1) | instskip(NEXT) | instid1(SALU_CYCLE_1)
	s_and_b32 s2, vcc_lo, s2
	s_and_saveexec_b32 s3, s2
	s_delay_alu instid0(SALU_CYCLE_1)
	s_xor_b32 s2, exec_lo, s3
; %bb.549:
	v_cmp_ne_u32_e32 vcc_lo, 0, v169
	v_cndmask_b32_e32 v169, 27, v169, vcc_lo
; %bb.550:
	s_and_not1_saveexec_b32 s3, s2
	s_cbranch_execz .LBB76_556
; %bb.551:
	v_cmp_gt_f64_e32 vcc_lo, 0, v[156:157]
	v_cmp_gt_f64_e64 s2, 0, v[158:159]
	v_xor_b32_e32 v165, 0x80000000, v157
	v_xor_b32_e32 v173, 0x80000000, v159
	s_delay_alu instid0(VALU_DEP_2) | instskip(NEXT) | instid1(VALU_DEP_2)
	v_cndmask_b32_e32 v174, v157, v165, vcc_lo
	v_cndmask_b32_e64 v176, v159, v173, s2
	v_cndmask_b32_e32 v173, v156, v156, vcc_lo
	v_cndmask_b32_e64 v175, v158, v158, s2
	s_mov_b32 s2, exec_lo
	s_delay_alu instid0(VALU_DEP_1)
	v_cmpx_ngt_f64_e32 v[173:174], v[175:176]
	s_xor_b32 s2, exec_lo, s2
	s_cbranch_execz .LBB76_553
; %bb.552:
	v_div_scale_f64 v[173:174], null, v[158:159], v[158:159], v[156:157]
	v_div_scale_f64 v[179:180], vcc_lo, v[156:157], v[158:159], v[156:157]
	s_delay_alu instid0(VALU_DEP_2) | instskip(SKIP_2) | instid1(VALU_DEP_1)
	v_rcp_f64_e32 v[175:176], v[173:174]
	s_waitcnt_depctr 0xfff
	v_fma_f64 v[177:178], -v[173:174], v[175:176], 1.0
	v_fma_f64 v[175:176], v[175:176], v[177:178], v[175:176]
	s_delay_alu instid0(VALU_DEP_1) | instskip(NEXT) | instid1(VALU_DEP_1)
	v_fma_f64 v[177:178], -v[173:174], v[175:176], 1.0
	v_fma_f64 v[175:176], v[175:176], v[177:178], v[175:176]
	s_delay_alu instid0(VALU_DEP_1) | instskip(NEXT) | instid1(VALU_DEP_1)
	v_mul_f64 v[177:178], v[179:180], v[175:176]
	v_fma_f64 v[173:174], -v[173:174], v[177:178], v[179:180]
	s_delay_alu instid0(VALU_DEP_1) | instskip(NEXT) | instid1(VALU_DEP_1)
	v_div_fmas_f64 v[173:174], v[173:174], v[175:176], v[177:178]
	v_div_fixup_f64 v[173:174], v[173:174], v[158:159], v[156:157]
	s_delay_alu instid0(VALU_DEP_1) | instskip(NEXT) | instid1(VALU_DEP_1)
	v_fma_f64 v[156:157], v[156:157], v[173:174], v[158:159]
	v_div_scale_f64 v[158:159], null, v[156:157], v[156:157], 1.0
	s_delay_alu instid0(VALU_DEP_1) | instskip(SKIP_2) | instid1(VALU_DEP_1)
	v_rcp_f64_e32 v[175:176], v[158:159]
	s_waitcnt_depctr 0xfff
	v_fma_f64 v[177:178], -v[158:159], v[175:176], 1.0
	v_fma_f64 v[175:176], v[175:176], v[177:178], v[175:176]
	s_delay_alu instid0(VALU_DEP_1) | instskip(NEXT) | instid1(VALU_DEP_1)
	v_fma_f64 v[177:178], -v[158:159], v[175:176], 1.0
	v_fma_f64 v[175:176], v[175:176], v[177:178], v[175:176]
	v_div_scale_f64 v[177:178], vcc_lo, 1.0, v[156:157], 1.0
	s_delay_alu instid0(VALU_DEP_1) | instskip(NEXT) | instid1(VALU_DEP_1)
	v_mul_f64 v[179:180], v[177:178], v[175:176]
	v_fma_f64 v[158:159], -v[158:159], v[179:180], v[177:178]
	s_delay_alu instid0(VALU_DEP_1) | instskip(NEXT) | instid1(VALU_DEP_1)
	v_div_fmas_f64 v[158:159], v[158:159], v[175:176], v[179:180]
	v_div_fixup_f64 v[158:159], v[158:159], v[156:157], 1.0
	s_delay_alu instid0(VALU_DEP_1)
	v_mul_f64 v[156:157], v[173:174], v[158:159]
	v_xor_b32_e32 v159, 0x80000000, v159
.LBB76_553:
	s_and_not1_saveexec_b32 s2, s2
	s_cbranch_execz .LBB76_555
; %bb.554:
	s_delay_alu instid0(VALU_DEP_1) | instskip(SKIP_1) | instid1(VALU_DEP_2)
	v_div_scale_f64 v[173:174], null, v[156:157], v[156:157], v[158:159]
	v_div_scale_f64 v[179:180], vcc_lo, v[158:159], v[156:157], v[158:159]
	v_rcp_f64_e32 v[175:176], v[173:174]
	s_waitcnt_depctr 0xfff
	v_fma_f64 v[177:178], -v[173:174], v[175:176], 1.0
	s_delay_alu instid0(VALU_DEP_1) | instskip(NEXT) | instid1(VALU_DEP_1)
	v_fma_f64 v[175:176], v[175:176], v[177:178], v[175:176]
	v_fma_f64 v[177:178], -v[173:174], v[175:176], 1.0
	s_delay_alu instid0(VALU_DEP_1) | instskip(NEXT) | instid1(VALU_DEP_1)
	v_fma_f64 v[175:176], v[175:176], v[177:178], v[175:176]
	v_mul_f64 v[177:178], v[179:180], v[175:176]
	s_delay_alu instid0(VALU_DEP_1) | instskip(NEXT) | instid1(VALU_DEP_1)
	v_fma_f64 v[173:174], -v[173:174], v[177:178], v[179:180]
	v_div_fmas_f64 v[173:174], v[173:174], v[175:176], v[177:178]
	s_delay_alu instid0(VALU_DEP_1) | instskip(NEXT) | instid1(VALU_DEP_1)
	v_div_fixup_f64 v[173:174], v[173:174], v[156:157], v[158:159]
	v_fma_f64 v[156:157], v[158:159], v[173:174], v[156:157]
	s_delay_alu instid0(VALU_DEP_1) | instskip(NEXT) | instid1(VALU_DEP_1)
	v_div_scale_f64 v[158:159], null, v[156:157], v[156:157], 1.0
	v_rcp_f64_e32 v[175:176], v[158:159]
	s_waitcnt_depctr 0xfff
	v_fma_f64 v[177:178], -v[158:159], v[175:176], 1.0
	s_delay_alu instid0(VALU_DEP_1) | instskip(NEXT) | instid1(VALU_DEP_1)
	v_fma_f64 v[175:176], v[175:176], v[177:178], v[175:176]
	v_fma_f64 v[177:178], -v[158:159], v[175:176], 1.0
	s_delay_alu instid0(VALU_DEP_1) | instskip(SKIP_1) | instid1(VALU_DEP_1)
	v_fma_f64 v[175:176], v[175:176], v[177:178], v[175:176]
	v_div_scale_f64 v[177:178], vcc_lo, 1.0, v[156:157], 1.0
	v_mul_f64 v[179:180], v[177:178], v[175:176]
	s_delay_alu instid0(VALU_DEP_1) | instskip(NEXT) | instid1(VALU_DEP_1)
	v_fma_f64 v[158:159], -v[158:159], v[179:180], v[177:178]
	v_div_fmas_f64 v[158:159], v[158:159], v[175:176], v[179:180]
	s_delay_alu instid0(VALU_DEP_1) | instskip(NEXT) | instid1(VALU_DEP_1)
	v_div_fixup_f64 v[156:157], v[158:159], v[156:157], 1.0
	v_mul_f64 v[158:159], v[173:174], -v[156:157]
.LBB76_555:
	s_or_b32 exec_lo, exec_lo, s2
.LBB76_556:
	s_delay_alu instid0(SALU_CYCLE_1) | instskip(NEXT) | instid1(SALU_CYCLE_1)
	s_or_b32 exec_lo, exec_lo, s3
	s_mov_b32 s2, exec_lo
	v_cmpx_ne_u32_e64 v172, v164
	s_xor_b32 s2, exec_lo, s2
	s_cbranch_execz .LBB76_562
; %bb.557:
	s_mov_b32 s3, exec_lo
	v_cmpx_eq_u32_e32 26, v172
	s_cbranch_execz .LBB76_561
; %bb.558:
	v_cmp_ne_u32_e32 vcc_lo, 26, v164
	s_xor_b32 s6, s4, -1
	s_delay_alu instid0(SALU_CYCLE_1) | instskip(NEXT) | instid1(SALU_CYCLE_1)
	s_and_b32 s7, s6, vcc_lo
	s_and_saveexec_b32 s6, s7
	s_cbranch_execz .LBB76_560
; %bb.559:
	v_ashrrev_i32_e32 v165, 31, v164
	s_delay_alu instid0(VALU_DEP_1) | instskip(NEXT) | instid1(VALU_DEP_1)
	v_lshlrev_b64 v[171:172], 2, v[164:165]
	v_add_co_u32 v171, vcc_lo, v162, v171
	s_delay_alu instid0(VALU_DEP_2)
	v_add_co_ci_u32_e32 v172, vcc_lo, v163, v172, vcc_lo
	s_clause 0x1
	flat_load_b32 v165, v[171:172]
	flat_load_b32 v173, v[162:163] offset:104
	s_waitcnt vmcnt(1) lgkmcnt(1)
	flat_store_b32 v[162:163], v165 offset:104
	s_waitcnt vmcnt(0) lgkmcnt(1)
	flat_store_b32 v[171:172], v173
.LBB76_560:
	s_or_b32 exec_lo, exec_lo, s6
	v_mov_b32_e32 v172, v164
	v_mov_b32_e32 v171, v164
.LBB76_561:
	s_or_b32 exec_lo, exec_lo, s3
.LBB76_562:
	s_and_not1_saveexec_b32 s2, s2
	s_cbranch_execz .LBB76_564
; %bb.563:
	v_mov_b32_e32 v172, 26
	ds_store_2addr_b64 v166, v[44:45], v[46:47] offset0:54 offset1:55
	ds_store_2addr_b64 v166, v[40:41], v[42:43] offset0:56 offset1:57
	;; [unrolled: 1-line block ×12, first 2 shown]
.LBB76_564:
	s_or_b32 exec_lo, exec_lo, s2
	s_delay_alu instid0(SALU_CYCLE_1)
	s_mov_b32 s2, exec_lo
	s_waitcnt lgkmcnt(0)
	s_waitcnt_vscnt null, 0x0
	s_barrier
	buffer_gl0_inv
	v_cmpx_lt_i32_e32 26, v172
	s_cbranch_execz .LBB76_566
; %bb.565:
	v_mul_f64 v[164:165], v[156:157], v[58:59]
	v_mul_f64 v[58:59], v[158:159], v[58:59]
	s_delay_alu instid0(VALU_DEP_2) | instskip(NEXT) | instid1(VALU_DEP_2)
	v_fma_f64 v[164:165], v[158:159], v[56:57], v[164:165]
	v_fma_f64 v[56:57], v[156:157], v[56:57], -v[58:59]
	ds_load_2addr_b64 v[156:159], v166 offset0:54 offset1:55
	s_waitcnt lgkmcnt(0)
	v_mul_f64 v[58:59], v[158:159], v[164:165]
	s_delay_alu instid0(VALU_DEP_1) | instskip(SKIP_1) | instid1(VALU_DEP_2)
	v_fma_f64 v[58:59], v[156:157], v[56:57], -v[58:59]
	v_mul_f64 v[156:157], v[156:157], v[164:165]
	v_add_f64 v[44:45], v[44:45], -v[58:59]
	s_delay_alu instid0(VALU_DEP_2) | instskip(NEXT) | instid1(VALU_DEP_1)
	v_fma_f64 v[156:157], v[158:159], v[56:57], v[156:157]
	v_add_f64 v[46:47], v[46:47], -v[156:157]
	ds_load_2addr_b64 v[156:159], v166 offset0:56 offset1:57
	s_waitcnt lgkmcnt(0)
	v_mul_f64 v[58:59], v[158:159], v[164:165]
	s_delay_alu instid0(VALU_DEP_1) | instskip(SKIP_1) | instid1(VALU_DEP_2)
	v_fma_f64 v[58:59], v[156:157], v[56:57], -v[58:59]
	v_mul_f64 v[156:157], v[156:157], v[164:165]
	v_add_f64 v[40:41], v[40:41], -v[58:59]
	s_delay_alu instid0(VALU_DEP_2) | instskip(NEXT) | instid1(VALU_DEP_1)
	v_fma_f64 v[156:157], v[158:159], v[56:57], v[156:157]
	v_add_f64 v[42:43], v[42:43], -v[156:157]
	;; [unrolled: 10-line block ×11, first 2 shown]
	ds_load_2addr_b64 v[156:159], v166 offset0:76 offset1:77
	s_waitcnt lgkmcnt(0)
	v_mul_f64 v[58:59], v[158:159], v[164:165]
	s_delay_alu instid0(VALU_DEP_1) | instskip(SKIP_1) | instid1(VALU_DEP_2)
	v_fma_f64 v[58:59], v[156:157], v[56:57], -v[58:59]
	v_mul_f64 v[156:157], v[156:157], v[164:165]
	v_add_f64 v[0:1], v[0:1], -v[58:59]
	s_delay_alu instid0(VALU_DEP_2) | instskip(SKIP_1) | instid1(VALU_DEP_2)
	v_fma_f64 v[156:157], v[158:159], v[56:57], v[156:157]
	v_dual_mov_b32 v58, v164 :: v_dual_mov_b32 v59, v165
	v_add_f64 v[2:3], v[2:3], -v[156:157]
.LBB76_566:
	s_or_b32 exec_lo, exec_lo, s2
	v_lshl_add_u32 v156, v172, 4, v166
	s_barrier
	buffer_gl0_inv
	v_mov_b32_e32 v164, 27
	ds_store_2addr_b64 v156, v[44:45], v[46:47] offset1:1
	s_waitcnt lgkmcnt(0)
	s_barrier
	buffer_gl0_inv
	ds_load_2addr_b64 v[156:159], v166 offset0:54 offset1:55
	s_cmp_lt_i32 s5, 29
	s_cbranch_scc1 .LBB76_569
; %bb.567:
	v_add3_u32 v165, v170, 0, 0x1c0
	v_mov_b32_e32 v164, 27
	s_mov_b32 s6, 28
	s_set_inst_prefetch_distance 0x1
	.p2align	6
.LBB76_568:                             ; =>This Inner Loop Header: Depth=1
	ds_load_2addr_b64 v[173:176], v165 offset1:1
	s_waitcnt lgkmcnt(1)
	v_cmp_gt_f64_e32 vcc_lo, 0, v[156:157]
	v_xor_b32_e32 v177, 0x80000000, v157
	v_cmp_gt_f64_e64 s2, 0, v[158:159]
	v_xor_b32_e32 v179, 0x80000000, v159
	v_add_nc_u32_e32 v165, 16, v165
	s_waitcnt lgkmcnt(0)
	v_cmp_gt_f64_e64 s3, 0, v[173:174]
	v_mov_b32_e32 v181, v173
	v_dual_mov_b32 v183, v175 :: v_dual_cndmask_b32 v178, v157, v177
	v_xor_b32_e32 v177, 0x80000000, v174
	v_cndmask_b32_e64 v180, v159, v179, s2
	v_xor_b32_e32 v179, 0x80000000, v176
	s_delay_alu instid0(VALU_DEP_3) | instskip(SKIP_2) | instid1(VALU_DEP_2)
	v_cndmask_b32_e64 v182, v174, v177, s3
	v_cmp_gt_f64_e64 s3, 0, v[175:176]
	v_cndmask_b32_e32 v177, v156, v156, vcc_lo
	v_cndmask_b32_e64 v184, v176, v179, s3
	v_cndmask_b32_e64 v179, v158, v158, s2
	s_delay_alu instid0(VALU_DEP_2) | instskip(NEXT) | instid1(VALU_DEP_2)
	v_add_f64 v[181:182], v[181:182], v[183:184]
	v_add_f64 v[177:178], v[177:178], v[179:180]
	s_delay_alu instid0(VALU_DEP_1) | instskip(SKIP_4) | instid1(SALU_CYCLE_1)
	v_cmp_lt_f64_e32 vcc_lo, v[177:178], v[181:182]
	v_dual_cndmask_b32 v158, v158, v175 :: v_dual_cndmask_b32 v157, v157, v174
	v_dual_cndmask_b32 v156, v156, v173 :: v_dual_cndmask_b32 v159, v159, v176
	v_cndmask_b32_e64 v164, v164, s6, vcc_lo
	s_add_i32 s6, s6, 1
	s_cmp_lg_u32 s5, s6
	s_cbranch_scc1 .LBB76_568
.LBB76_569:
	s_set_inst_prefetch_distance 0x2
	s_waitcnt lgkmcnt(0)
	v_cmp_eq_f64_e32 vcc_lo, 0, v[156:157]
	v_cmp_eq_f64_e64 s2, 0, v[158:159]
	s_delay_alu instid0(VALU_DEP_1) | instskip(NEXT) | instid1(SALU_CYCLE_1)
	s_and_b32 s2, vcc_lo, s2
	s_and_saveexec_b32 s3, s2
	s_delay_alu instid0(SALU_CYCLE_1)
	s_xor_b32 s2, exec_lo, s3
; %bb.570:
	v_cmp_ne_u32_e32 vcc_lo, 0, v169
	v_cndmask_b32_e32 v169, 28, v169, vcc_lo
; %bb.571:
	s_and_not1_saveexec_b32 s3, s2
	s_cbranch_execz .LBB76_577
; %bb.572:
	v_cmp_gt_f64_e32 vcc_lo, 0, v[156:157]
	v_cmp_gt_f64_e64 s2, 0, v[158:159]
	v_xor_b32_e32 v165, 0x80000000, v157
	v_xor_b32_e32 v173, 0x80000000, v159
	s_delay_alu instid0(VALU_DEP_2) | instskip(NEXT) | instid1(VALU_DEP_2)
	v_cndmask_b32_e32 v174, v157, v165, vcc_lo
	v_cndmask_b32_e64 v176, v159, v173, s2
	v_cndmask_b32_e32 v173, v156, v156, vcc_lo
	v_cndmask_b32_e64 v175, v158, v158, s2
	s_mov_b32 s2, exec_lo
	s_delay_alu instid0(VALU_DEP_1)
	v_cmpx_ngt_f64_e32 v[173:174], v[175:176]
	s_xor_b32 s2, exec_lo, s2
	s_cbranch_execz .LBB76_574
; %bb.573:
	v_div_scale_f64 v[173:174], null, v[158:159], v[158:159], v[156:157]
	v_div_scale_f64 v[179:180], vcc_lo, v[156:157], v[158:159], v[156:157]
	s_delay_alu instid0(VALU_DEP_2) | instskip(SKIP_2) | instid1(VALU_DEP_1)
	v_rcp_f64_e32 v[175:176], v[173:174]
	s_waitcnt_depctr 0xfff
	v_fma_f64 v[177:178], -v[173:174], v[175:176], 1.0
	v_fma_f64 v[175:176], v[175:176], v[177:178], v[175:176]
	s_delay_alu instid0(VALU_DEP_1) | instskip(NEXT) | instid1(VALU_DEP_1)
	v_fma_f64 v[177:178], -v[173:174], v[175:176], 1.0
	v_fma_f64 v[175:176], v[175:176], v[177:178], v[175:176]
	s_delay_alu instid0(VALU_DEP_1) | instskip(NEXT) | instid1(VALU_DEP_1)
	v_mul_f64 v[177:178], v[179:180], v[175:176]
	v_fma_f64 v[173:174], -v[173:174], v[177:178], v[179:180]
	s_delay_alu instid0(VALU_DEP_1) | instskip(NEXT) | instid1(VALU_DEP_1)
	v_div_fmas_f64 v[173:174], v[173:174], v[175:176], v[177:178]
	v_div_fixup_f64 v[173:174], v[173:174], v[158:159], v[156:157]
	s_delay_alu instid0(VALU_DEP_1) | instskip(NEXT) | instid1(VALU_DEP_1)
	v_fma_f64 v[156:157], v[156:157], v[173:174], v[158:159]
	v_div_scale_f64 v[158:159], null, v[156:157], v[156:157], 1.0
	s_delay_alu instid0(VALU_DEP_1) | instskip(SKIP_2) | instid1(VALU_DEP_1)
	v_rcp_f64_e32 v[175:176], v[158:159]
	s_waitcnt_depctr 0xfff
	v_fma_f64 v[177:178], -v[158:159], v[175:176], 1.0
	v_fma_f64 v[175:176], v[175:176], v[177:178], v[175:176]
	s_delay_alu instid0(VALU_DEP_1) | instskip(NEXT) | instid1(VALU_DEP_1)
	v_fma_f64 v[177:178], -v[158:159], v[175:176], 1.0
	v_fma_f64 v[175:176], v[175:176], v[177:178], v[175:176]
	v_div_scale_f64 v[177:178], vcc_lo, 1.0, v[156:157], 1.0
	s_delay_alu instid0(VALU_DEP_1) | instskip(NEXT) | instid1(VALU_DEP_1)
	v_mul_f64 v[179:180], v[177:178], v[175:176]
	v_fma_f64 v[158:159], -v[158:159], v[179:180], v[177:178]
	s_delay_alu instid0(VALU_DEP_1) | instskip(NEXT) | instid1(VALU_DEP_1)
	v_div_fmas_f64 v[158:159], v[158:159], v[175:176], v[179:180]
	v_div_fixup_f64 v[158:159], v[158:159], v[156:157], 1.0
	s_delay_alu instid0(VALU_DEP_1)
	v_mul_f64 v[156:157], v[173:174], v[158:159]
	v_xor_b32_e32 v159, 0x80000000, v159
.LBB76_574:
	s_and_not1_saveexec_b32 s2, s2
	s_cbranch_execz .LBB76_576
; %bb.575:
	s_delay_alu instid0(VALU_DEP_1) | instskip(SKIP_1) | instid1(VALU_DEP_2)
	v_div_scale_f64 v[173:174], null, v[156:157], v[156:157], v[158:159]
	v_div_scale_f64 v[179:180], vcc_lo, v[158:159], v[156:157], v[158:159]
	v_rcp_f64_e32 v[175:176], v[173:174]
	s_waitcnt_depctr 0xfff
	v_fma_f64 v[177:178], -v[173:174], v[175:176], 1.0
	s_delay_alu instid0(VALU_DEP_1) | instskip(NEXT) | instid1(VALU_DEP_1)
	v_fma_f64 v[175:176], v[175:176], v[177:178], v[175:176]
	v_fma_f64 v[177:178], -v[173:174], v[175:176], 1.0
	s_delay_alu instid0(VALU_DEP_1) | instskip(NEXT) | instid1(VALU_DEP_1)
	v_fma_f64 v[175:176], v[175:176], v[177:178], v[175:176]
	v_mul_f64 v[177:178], v[179:180], v[175:176]
	s_delay_alu instid0(VALU_DEP_1) | instskip(NEXT) | instid1(VALU_DEP_1)
	v_fma_f64 v[173:174], -v[173:174], v[177:178], v[179:180]
	v_div_fmas_f64 v[173:174], v[173:174], v[175:176], v[177:178]
	s_delay_alu instid0(VALU_DEP_1) | instskip(NEXT) | instid1(VALU_DEP_1)
	v_div_fixup_f64 v[173:174], v[173:174], v[156:157], v[158:159]
	v_fma_f64 v[156:157], v[158:159], v[173:174], v[156:157]
	s_delay_alu instid0(VALU_DEP_1) | instskip(NEXT) | instid1(VALU_DEP_1)
	v_div_scale_f64 v[158:159], null, v[156:157], v[156:157], 1.0
	v_rcp_f64_e32 v[175:176], v[158:159]
	s_waitcnt_depctr 0xfff
	v_fma_f64 v[177:178], -v[158:159], v[175:176], 1.0
	s_delay_alu instid0(VALU_DEP_1) | instskip(NEXT) | instid1(VALU_DEP_1)
	v_fma_f64 v[175:176], v[175:176], v[177:178], v[175:176]
	v_fma_f64 v[177:178], -v[158:159], v[175:176], 1.0
	s_delay_alu instid0(VALU_DEP_1) | instskip(SKIP_1) | instid1(VALU_DEP_1)
	v_fma_f64 v[175:176], v[175:176], v[177:178], v[175:176]
	v_div_scale_f64 v[177:178], vcc_lo, 1.0, v[156:157], 1.0
	v_mul_f64 v[179:180], v[177:178], v[175:176]
	s_delay_alu instid0(VALU_DEP_1) | instskip(NEXT) | instid1(VALU_DEP_1)
	v_fma_f64 v[158:159], -v[158:159], v[179:180], v[177:178]
	v_div_fmas_f64 v[158:159], v[158:159], v[175:176], v[179:180]
	s_delay_alu instid0(VALU_DEP_1) | instskip(NEXT) | instid1(VALU_DEP_1)
	v_div_fixup_f64 v[156:157], v[158:159], v[156:157], 1.0
	v_mul_f64 v[158:159], v[173:174], -v[156:157]
.LBB76_576:
	s_or_b32 exec_lo, exec_lo, s2
.LBB76_577:
	s_delay_alu instid0(SALU_CYCLE_1) | instskip(NEXT) | instid1(SALU_CYCLE_1)
	s_or_b32 exec_lo, exec_lo, s3
	s_mov_b32 s2, exec_lo
	v_cmpx_ne_u32_e64 v172, v164
	s_xor_b32 s2, exec_lo, s2
	s_cbranch_execz .LBB76_583
; %bb.578:
	s_mov_b32 s3, exec_lo
	v_cmpx_eq_u32_e32 27, v172
	s_cbranch_execz .LBB76_582
; %bb.579:
	v_cmp_ne_u32_e32 vcc_lo, 27, v164
	s_xor_b32 s6, s4, -1
	s_delay_alu instid0(SALU_CYCLE_1) | instskip(NEXT) | instid1(SALU_CYCLE_1)
	s_and_b32 s7, s6, vcc_lo
	s_and_saveexec_b32 s6, s7
	s_cbranch_execz .LBB76_581
; %bb.580:
	v_ashrrev_i32_e32 v165, 31, v164
	s_delay_alu instid0(VALU_DEP_1) | instskip(NEXT) | instid1(VALU_DEP_1)
	v_lshlrev_b64 v[171:172], 2, v[164:165]
	v_add_co_u32 v171, vcc_lo, v162, v171
	s_delay_alu instid0(VALU_DEP_2)
	v_add_co_ci_u32_e32 v172, vcc_lo, v163, v172, vcc_lo
	s_clause 0x1
	flat_load_b32 v165, v[171:172]
	flat_load_b32 v173, v[162:163] offset:108
	s_waitcnt vmcnt(1) lgkmcnt(1)
	flat_store_b32 v[162:163], v165 offset:108
	s_waitcnt vmcnt(0) lgkmcnt(1)
	flat_store_b32 v[171:172], v173
.LBB76_581:
	s_or_b32 exec_lo, exec_lo, s6
	v_mov_b32_e32 v172, v164
	v_mov_b32_e32 v171, v164
.LBB76_582:
	s_or_b32 exec_lo, exec_lo, s3
.LBB76_583:
	s_and_not1_saveexec_b32 s2, s2
	s_cbranch_execz .LBB76_585
; %bb.584:
	v_mov_b32_e32 v172, 27
	ds_store_2addr_b64 v166, v[40:41], v[42:43] offset0:56 offset1:57
	ds_store_2addr_b64 v166, v[36:37], v[38:39] offset0:58 offset1:59
	;; [unrolled: 1-line block ×11, first 2 shown]
.LBB76_585:
	s_or_b32 exec_lo, exec_lo, s2
	s_delay_alu instid0(SALU_CYCLE_1)
	s_mov_b32 s2, exec_lo
	s_waitcnt lgkmcnt(0)
	s_waitcnt_vscnt null, 0x0
	s_barrier
	buffer_gl0_inv
	v_cmpx_lt_i32_e32 27, v172
	s_cbranch_execz .LBB76_587
; %bb.586:
	v_mul_f64 v[164:165], v[156:157], v[46:47]
	v_mul_f64 v[46:47], v[158:159], v[46:47]
	s_delay_alu instid0(VALU_DEP_2) | instskip(NEXT) | instid1(VALU_DEP_2)
	v_fma_f64 v[164:165], v[158:159], v[44:45], v[164:165]
	v_fma_f64 v[44:45], v[156:157], v[44:45], -v[46:47]
	ds_load_2addr_b64 v[156:159], v166 offset0:56 offset1:57
	s_waitcnt lgkmcnt(0)
	v_mul_f64 v[46:47], v[158:159], v[164:165]
	s_delay_alu instid0(VALU_DEP_1) | instskip(SKIP_1) | instid1(VALU_DEP_2)
	v_fma_f64 v[46:47], v[156:157], v[44:45], -v[46:47]
	v_mul_f64 v[156:157], v[156:157], v[164:165]
	v_add_f64 v[40:41], v[40:41], -v[46:47]
	s_delay_alu instid0(VALU_DEP_2) | instskip(NEXT) | instid1(VALU_DEP_1)
	v_fma_f64 v[156:157], v[158:159], v[44:45], v[156:157]
	v_add_f64 v[42:43], v[42:43], -v[156:157]
	ds_load_2addr_b64 v[156:159], v166 offset0:58 offset1:59
	s_waitcnt lgkmcnt(0)
	v_mul_f64 v[46:47], v[158:159], v[164:165]
	s_delay_alu instid0(VALU_DEP_1) | instskip(SKIP_1) | instid1(VALU_DEP_2)
	v_fma_f64 v[46:47], v[156:157], v[44:45], -v[46:47]
	v_mul_f64 v[156:157], v[156:157], v[164:165]
	v_add_f64 v[36:37], v[36:37], -v[46:47]
	s_delay_alu instid0(VALU_DEP_2) | instskip(NEXT) | instid1(VALU_DEP_1)
	v_fma_f64 v[156:157], v[158:159], v[44:45], v[156:157]
	v_add_f64 v[38:39], v[38:39], -v[156:157]
	;; [unrolled: 10-line block ×10, first 2 shown]
	ds_load_2addr_b64 v[156:159], v166 offset0:76 offset1:77
	s_waitcnt lgkmcnt(0)
	v_mul_f64 v[46:47], v[158:159], v[164:165]
	s_delay_alu instid0(VALU_DEP_1) | instskip(SKIP_1) | instid1(VALU_DEP_2)
	v_fma_f64 v[46:47], v[156:157], v[44:45], -v[46:47]
	v_mul_f64 v[156:157], v[156:157], v[164:165]
	v_add_f64 v[0:1], v[0:1], -v[46:47]
	s_delay_alu instid0(VALU_DEP_2) | instskip(SKIP_1) | instid1(VALU_DEP_2)
	v_fma_f64 v[156:157], v[158:159], v[44:45], v[156:157]
	v_dual_mov_b32 v46, v164 :: v_dual_mov_b32 v47, v165
	v_add_f64 v[2:3], v[2:3], -v[156:157]
.LBB76_587:
	s_or_b32 exec_lo, exec_lo, s2
	v_lshl_add_u32 v156, v172, 4, v166
	s_barrier
	buffer_gl0_inv
	v_mov_b32_e32 v164, 28
	ds_store_2addr_b64 v156, v[40:41], v[42:43] offset1:1
	s_waitcnt lgkmcnt(0)
	s_barrier
	buffer_gl0_inv
	ds_load_2addr_b64 v[156:159], v166 offset0:56 offset1:57
	s_cmp_lt_i32 s5, 30
	s_cbranch_scc1 .LBB76_590
; %bb.588:
	v_add3_u32 v165, v170, 0, 0x1d0
	v_mov_b32_e32 v164, 28
	s_mov_b32 s6, 29
	s_set_inst_prefetch_distance 0x1
	.p2align	6
.LBB76_589:                             ; =>This Inner Loop Header: Depth=1
	ds_load_2addr_b64 v[173:176], v165 offset1:1
	s_waitcnt lgkmcnt(1)
	v_cmp_gt_f64_e32 vcc_lo, 0, v[156:157]
	v_xor_b32_e32 v177, 0x80000000, v157
	v_cmp_gt_f64_e64 s2, 0, v[158:159]
	v_xor_b32_e32 v179, 0x80000000, v159
	v_add_nc_u32_e32 v165, 16, v165
	s_waitcnt lgkmcnt(0)
	v_cmp_gt_f64_e64 s3, 0, v[173:174]
	v_mov_b32_e32 v181, v173
	v_dual_mov_b32 v183, v175 :: v_dual_cndmask_b32 v178, v157, v177
	v_xor_b32_e32 v177, 0x80000000, v174
	v_cndmask_b32_e64 v180, v159, v179, s2
	v_xor_b32_e32 v179, 0x80000000, v176
	s_delay_alu instid0(VALU_DEP_3) | instskip(SKIP_2) | instid1(VALU_DEP_2)
	v_cndmask_b32_e64 v182, v174, v177, s3
	v_cmp_gt_f64_e64 s3, 0, v[175:176]
	v_cndmask_b32_e32 v177, v156, v156, vcc_lo
	v_cndmask_b32_e64 v184, v176, v179, s3
	v_cndmask_b32_e64 v179, v158, v158, s2
	s_delay_alu instid0(VALU_DEP_2) | instskip(NEXT) | instid1(VALU_DEP_2)
	v_add_f64 v[181:182], v[181:182], v[183:184]
	v_add_f64 v[177:178], v[177:178], v[179:180]
	s_delay_alu instid0(VALU_DEP_1) | instskip(SKIP_4) | instid1(SALU_CYCLE_1)
	v_cmp_lt_f64_e32 vcc_lo, v[177:178], v[181:182]
	v_dual_cndmask_b32 v158, v158, v175 :: v_dual_cndmask_b32 v157, v157, v174
	v_dual_cndmask_b32 v156, v156, v173 :: v_dual_cndmask_b32 v159, v159, v176
	v_cndmask_b32_e64 v164, v164, s6, vcc_lo
	s_add_i32 s6, s6, 1
	s_cmp_lg_u32 s5, s6
	s_cbranch_scc1 .LBB76_589
.LBB76_590:
	s_set_inst_prefetch_distance 0x2
	s_waitcnt lgkmcnt(0)
	v_cmp_eq_f64_e32 vcc_lo, 0, v[156:157]
	v_cmp_eq_f64_e64 s2, 0, v[158:159]
	s_delay_alu instid0(VALU_DEP_1) | instskip(NEXT) | instid1(SALU_CYCLE_1)
	s_and_b32 s2, vcc_lo, s2
	s_and_saveexec_b32 s3, s2
	s_delay_alu instid0(SALU_CYCLE_1)
	s_xor_b32 s2, exec_lo, s3
; %bb.591:
	v_cmp_ne_u32_e32 vcc_lo, 0, v169
	v_cndmask_b32_e32 v169, 29, v169, vcc_lo
; %bb.592:
	s_and_not1_saveexec_b32 s3, s2
	s_cbranch_execz .LBB76_598
; %bb.593:
	v_cmp_gt_f64_e32 vcc_lo, 0, v[156:157]
	v_cmp_gt_f64_e64 s2, 0, v[158:159]
	v_xor_b32_e32 v165, 0x80000000, v157
	v_xor_b32_e32 v173, 0x80000000, v159
	s_delay_alu instid0(VALU_DEP_2) | instskip(NEXT) | instid1(VALU_DEP_2)
	v_cndmask_b32_e32 v174, v157, v165, vcc_lo
	v_cndmask_b32_e64 v176, v159, v173, s2
	v_cndmask_b32_e32 v173, v156, v156, vcc_lo
	v_cndmask_b32_e64 v175, v158, v158, s2
	s_mov_b32 s2, exec_lo
	s_delay_alu instid0(VALU_DEP_1)
	v_cmpx_ngt_f64_e32 v[173:174], v[175:176]
	s_xor_b32 s2, exec_lo, s2
	s_cbranch_execz .LBB76_595
; %bb.594:
	v_div_scale_f64 v[173:174], null, v[158:159], v[158:159], v[156:157]
	v_div_scale_f64 v[179:180], vcc_lo, v[156:157], v[158:159], v[156:157]
	s_delay_alu instid0(VALU_DEP_2) | instskip(SKIP_2) | instid1(VALU_DEP_1)
	v_rcp_f64_e32 v[175:176], v[173:174]
	s_waitcnt_depctr 0xfff
	v_fma_f64 v[177:178], -v[173:174], v[175:176], 1.0
	v_fma_f64 v[175:176], v[175:176], v[177:178], v[175:176]
	s_delay_alu instid0(VALU_DEP_1) | instskip(NEXT) | instid1(VALU_DEP_1)
	v_fma_f64 v[177:178], -v[173:174], v[175:176], 1.0
	v_fma_f64 v[175:176], v[175:176], v[177:178], v[175:176]
	s_delay_alu instid0(VALU_DEP_1) | instskip(NEXT) | instid1(VALU_DEP_1)
	v_mul_f64 v[177:178], v[179:180], v[175:176]
	v_fma_f64 v[173:174], -v[173:174], v[177:178], v[179:180]
	s_delay_alu instid0(VALU_DEP_1) | instskip(NEXT) | instid1(VALU_DEP_1)
	v_div_fmas_f64 v[173:174], v[173:174], v[175:176], v[177:178]
	v_div_fixup_f64 v[173:174], v[173:174], v[158:159], v[156:157]
	s_delay_alu instid0(VALU_DEP_1) | instskip(NEXT) | instid1(VALU_DEP_1)
	v_fma_f64 v[156:157], v[156:157], v[173:174], v[158:159]
	v_div_scale_f64 v[158:159], null, v[156:157], v[156:157], 1.0
	s_delay_alu instid0(VALU_DEP_1) | instskip(SKIP_2) | instid1(VALU_DEP_1)
	v_rcp_f64_e32 v[175:176], v[158:159]
	s_waitcnt_depctr 0xfff
	v_fma_f64 v[177:178], -v[158:159], v[175:176], 1.0
	v_fma_f64 v[175:176], v[175:176], v[177:178], v[175:176]
	s_delay_alu instid0(VALU_DEP_1) | instskip(NEXT) | instid1(VALU_DEP_1)
	v_fma_f64 v[177:178], -v[158:159], v[175:176], 1.0
	v_fma_f64 v[175:176], v[175:176], v[177:178], v[175:176]
	v_div_scale_f64 v[177:178], vcc_lo, 1.0, v[156:157], 1.0
	s_delay_alu instid0(VALU_DEP_1) | instskip(NEXT) | instid1(VALU_DEP_1)
	v_mul_f64 v[179:180], v[177:178], v[175:176]
	v_fma_f64 v[158:159], -v[158:159], v[179:180], v[177:178]
	s_delay_alu instid0(VALU_DEP_1) | instskip(NEXT) | instid1(VALU_DEP_1)
	v_div_fmas_f64 v[158:159], v[158:159], v[175:176], v[179:180]
	v_div_fixup_f64 v[158:159], v[158:159], v[156:157], 1.0
	s_delay_alu instid0(VALU_DEP_1)
	v_mul_f64 v[156:157], v[173:174], v[158:159]
	v_xor_b32_e32 v159, 0x80000000, v159
.LBB76_595:
	s_and_not1_saveexec_b32 s2, s2
	s_cbranch_execz .LBB76_597
; %bb.596:
	s_delay_alu instid0(VALU_DEP_1) | instskip(SKIP_1) | instid1(VALU_DEP_2)
	v_div_scale_f64 v[173:174], null, v[156:157], v[156:157], v[158:159]
	v_div_scale_f64 v[179:180], vcc_lo, v[158:159], v[156:157], v[158:159]
	v_rcp_f64_e32 v[175:176], v[173:174]
	s_waitcnt_depctr 0xfff
	v_fma_f64 v[177:178], -v[173:174], v[175:176], 1.0
	s_delay_alu instid0(VALU_DEP_1) | instskip(NEXT) | instid1(VALU_DEP_1)
	v_fma_f64 v[175:176], v[175:176], v[177:178], v[175:176]
	v_fma_f64 v[177:178], -v[173:174], v[175:176], 1.0
	s_delay_alu instid0(VALU_DEP_1) | instskip(NEXT) | instid1(VALU_DEP_1)
	v_fma_f64 v[175:176], v[175:176], v[177:178], v[175:176]
	v_mul_f64 v[177:178], v[179:180], v[175:176]
	s_delay_alu instid0(VALU_DEP_1) | instskip(NEXT) | instid1(VALU_DEP_1)
	v_fma_f64 v[173:174], -v[173:174], v[177:178], v[179:180]
	v_div_fmas_f64 v[173:174], v[173:174], v[175:176], v[177:178]
	s_delay_alu instid0(VALU_DEP_1) | instskip(NEXT) | instid1(VALU_DEP_1)
	v_div_fixup_f64 v[173:174], v[173:174], v[156:157], v[158:159]
	v_fma_f64 v[156:157], v[158:159], v[173:174], v[156:157]
	s_delay_alu instid0(VALU_DEP_1) | instskip(NEXT) | instid1(VALU_DEP_1)
	v_div_scale_f64 v[158:159], null, v[156:157], v[156:157], 1.0
	v_rcp_f64_e32 v[175:176], v[158:159]
	s_waitcnt_depctr 0xfff
	v_fma_f64 v[177:178], -v[158:159], v[175:176], 1.0
	s_delay_alu instid0(VALU_DEP_1) | instskip(NEXT) | instid1(VALU_DEP_1)
	v_fma_f64 v[175:176], v[175:176], v[177:178], v[175:176]
	v_fma_f64 v[177:178], -v[158:159], v[175:176], 1.0
	s_delay_alu instid0(VALU_DEP_1) | instskip(SKIP_1) | instid1(VALU_DEP_1)
	v_fma_f64 v[175:176], v[175:176], v[177:178], v[175:176]
	v_div_scale_f64 v[177:178], vcc_lo, 1.0, v[156:157], 1.0
	v_mul_f64 v[179:180], v[177:178], v[175:176]
	s_delay_alu instid0(VALU_DEP_1) | instskip(NEXT) | instid1(VALU_DEP_1)
	v_fma_f64 v[158:159], -v[158:159], v[179:180], v[177:178]
	v_div_fmas_f64 v[158:159], v[158:159], v[175:176], v[179:180]
	s_delay_alu instid0(VALU_DEP_1) | instskip(NEXT) | instid1(VALU_DEP_1)
	v_div_fixup_f64 v[156:157], v[158:159], v[156:157], 1.0
	v_mul_f64 v[158:159], v[173:174], -v[156:157]
.LBB76_597:
	s_or_b32 exec_lo, exec_lo, s2
.LBB76_598:
	s_delay_alu instid0(SALU_CYCLE_1) | instskip(NEXT) | instid1(SALU_CYCLE_1)
	s_or_b32 exec_lo, exec_lo, s3
	s_mov_b32 s2, exec_lo
	v_cmpx_ne_u32_e64 v172, v164
	s_xor_b32 s2, exec_lo, s2
	s_cbranch_execz .LBB76_604
; %bb.599:
	s_mov_b32 s3, exec_lo
	v_cmpx_eq_u32_e32 28, v172
	s_cbranch_execz .LBB76_603
; %bb.600:
	v_cmp_ne_u32_e32 vcc_lo, 28, v164
	s_xor_b32 s6, s4, -1
	s_delay_alu instid0(SALU_CYCLE_1) | instskip(NEXT) | instid1(SALU_CYCLE_1)
	s_and_b32 s7, s6, vcc_lo
	s_and_saveexec_b32 s6, s7
	s_cbranch_execz .LBB76_602
; %bb.601:
	v_ashrrev_i32_e32 v165, 31, v164
	s_delay_alu instid0(VALU_DEP_1) | instskip(NEXT) | instid1(VALU_DEP_1)
	v_lshlrev_b64 v[171:172], 2, v[164:165]
	v_add_co_u32 v171, vcc_lo, v162, v171
	s_delay_alu instid0(VALU_DEP_2)
	v_add_co_ci_u32_e32 v172, vcc_lo, v163, v172, vcc_lo
	s_clause 0x1
	flat_load_b32 v165, v[171:172]
	flat_load_b32 v173, v[162:163] offset:112
	s_waitcnt vmcnt(1) lgkmcnt(1)
	flat_store_b32 v[162:163], v165 offset:112
	s_waitcnt vmcnt(0) lgkmcnt(1)
	flat_store_b32 v[171:172], v173
.LBB76_602:
	s_or_b32 exec_lo, exec_lo, s6
	v_mov_b32_e32 v172, v164
	v_mov_b32_e32 v171, v164
.LBB76_603:
	s_or_b32 exec_lo, exec_lo, s3
.LBB76_604:
	s_and_not1_saveexec_b32 s2, s2
	s_cbranch_execz .LBB76_606
; %bb.605:
	v_mov_b32_e32 v172, 28
	ds_store_2addr_b64 v166, v[36:37], v[38:39] offset0:58 offset1:59
	ds_store_2addr_b64 v166, v[32:33], v[34:35] offset0:60 offset1:61
	;; [unrolled: 1-line block ×10, first 2 shown]
.LBB76_606:
	s_or_b32 exec_lo, exec_lo, s2
	s_delay_alu instid0(SALU_CYCLE_1)
	s_mov_b32 s2, exec_lo
	s_waitcnt lgkmcnt(0)
	s_waitcnt_vscnt null, 0x0
	s_barrier
	buffer_gl0_inv
	v_cmpx_lt_i32_e32 28, v172
	s_cbranch_execz .LBB76_608
; %bb.607:
	v_mul_f64 v[164:165], v[156:157], v[42:43]
	v_mul_f64 v[42:43], v[158:159], v[42:43]
	ds_load_2addr_b64 v[173:176], v166 offset0:58 offset1:59
	ds_load_2addr_b64 v[177:180], v166 offset0:60 offset1:61
	;; [unrolled: 1-line block ×10, first 2 shown]
	v_fma_f64 v[158:159], v[158:159], v[40:41], v[164:165]
	v_fma_f64 v[40:41], v[156:157], v[40:41], -v[42:43]
	s_waitcnt lgkmcnt(9)
	s_delay_alu instid0(VALU_DEP_2)
	v_mul_f64 v[42:43], v[175:176], v[158:159]
	v_mul_f64 v[156:157], v[173:174], v[158:159]
	s_waitcnt lgkmcnt(8)
	v_mul_f64 v[164:165], v[179:180], v[158:159]
	v_mul_f64 v[213:214], v[177:178], v[158:159]
	s_waitcnt lgkmcnt(7)
	v_mul_f64 v[215:216], v[183:184], v[158:159]
	v_mul_f64 v[217:218], v[181:182], v[158:159]
	s_waitcnt lgkmcnt(6)
	v_mul_f64 v[219:220], v[187:188], v[158:159]
	v_mul_f64 v[221:222], v[185:186], v[158:159]
	s_waitcnt lgkmcnt(5)
	v_mul_f64 v[223:224], v[191:192], v[158:159]
	v_mul_f64 v[225:226], v[189:190], v[158:159]
	s_waitcnt lgkmcnt(4)
	v_mul_f64 v[227:228], v[195:196], v[158:159]
	v_mul_f64 v[229:230], v[193:194], v[158:159]
	s_waitcnt lgkmcnt(3)
	v_mul_f64 v[231:232], v[199:200], v[158:159]
	v_mul_f64 v[233:234], v[197:198], v[158:159]
	s_waitcnt lgkmcnt(2)
	v_mul_f64 v[235:236], v[203:204], v[158:159]
	v_mul_f64 v[237:238], v[201:202], v[158:159]
	s_waitcnt lgkmcnt(1)
	v_mul_f64 v[239:240], v[207:208], v[158:159]
	v_mul_f64 v[241:242], v[205:206], v[158:159]
	s_waitcnt lgkmcnt(0)
	v_mul_f64 v[243:244], v[211:212], v[158:159]
	v_mul_f64 v[245:246], v[209:210], v[158:159]
	v_fma_f64 v[42:43], v[173:174], v[40:41], -v[42:43]
	v_fma_f64 v[156:157], v[175:176], v[40:41], v[156:157]
	v_fma_f64 v[164:165], v[177:178], v[40:41], -v[164:165]
	v_fma_f64 v[173:174], v[179:180], v[40:41], v[213:214]
	;; [unrolled: 2-line block ×10, first 2 shown]
	v_add_f64 v[36:37], v[36:37], -v[42:43]
	v_add_f64 v[38:39], v[38:39], -v[156:157]
	;; [unrolled: 1-line block ×20, first 2 shown]
	v_dual_mov_b32 v42, v158 :: v_dual_mov_b32 v43, v159
.LBB76_608:
	s_or_b32 exec_lo, exec_lo, s2
	v_lshl_add_u32 v156, v172, 4, v166
	s_barrier
	buffer_gl0_inv
	v_mov_b32_e32 v164, 29
	ds_store_2addr_b64 v156, v[36:37], v[38:39] offset1:1
	s_waitcnt lgkmcnt(0)
	s_barrier
	buffer_gl0_inv
	ds_load_2addr_b64 v[156:159], v166 offset0:58 offset1:59
	s_cmp_lt_i32 s5, 31
	s_cbranch_scc1 .LBB76_611
; %bb.609:
	v_add3_u32 v165, v170, 0, 0x1e0
	v_mov_b32_e32 v164, 29
	s_mov_b32 s6, 30
	s_set_inst_prefetch_distance 0x1
	.p2align	6
.LBB76_610:                             ; =>This Inner Loop Header: Depth=1
	ds_load_2addr_b64 v[173:176], v165 offset1:1
	s_waitcnt lgkmcnt(1)
	v_cmp_gt_f64_e32 vcc_lo, 0, v[156:157]
	v_xor_b32_e32 v177, 0x80000000, v157
	v_cmp_gt_f64_e64 s2, 0, v[158:159]
	v_xor_b32_e32 v179, 0x80000000, v159
	v_add_nc_u32_e32 v165, 16, v165
	s_waitcnt lgkmcnt(0)
	v_cmp_gt_f64_e64 s3, 0, v[173:174]
	v_mov_b32_e32 v181, v173
	v_dual_mov_b32 v183, v175 :: v_dual_cndmask_b32 v178, v157, v177
	v_xor_b32_e32 v177, 0x80000000, v174
	v_cndmask_b32_e64 v180, v159, v179, s2
	v_xor_b32_e32 v179, 0x80000000, v176
	s_delay_alu instid0(VALU_DEP_3) | instskip(SKIP_2) | instid1(VALU_DEP_2)
	v_cndmask_b32_e64 v182, v174, v177, s3
	v_cmp_gt_f64_e64 s3, 0, v[175:176]
	v_cndmask_b32_e32 v177, v156, v156, vcc_lo
	v_cndmask_b32_e64 v184, v176, v179, s3
	v_cndmask_b32_e64 v179, v158, v158, s2
	s_delay_alu instid0(VALU_DEP_2) | instskip(NEXT) | instid1(VALU_DEP_2)
	v_add_f64 v[181:182], v[181:182], v[183:184]
	v_add_f64 v[177:178], v[177:178], v[179:180]
	s_delay_alu instid0(VALU_DEP_1) | instskip(SKIP_4) | instid1(SALU_CYCLE_1)
	v_cmp_lt_f64_e32 vcc_lo, v[177:178], v[181:182]
	v_dual_cndmask_b32 v158, v158, v175 :: v_dual_cndmask_b32 v157, v157, v174
	v_dual_cndmask_b32 v156, v156, v173 :: v_dual_cndmask_b32 v159, v159, v176
	v_cndmask_b32_e64 v164, v164, s6, vcc_lo
	s_add_i32 s6, s6, 1
	s_cmp_lg_u32 s5, s6
	s_cbranch_scc1 .LBB76_610
.LBB76_611:
	s_set_inst_prefetch_distance 0x2
	s_waitcnt lgkmcnt(0)
	v_cmp_eq_f64_e32 vcc_lo, 0, v[156:157]
	v_cmp_eq_f64_e64 s2, 0, v[158:159]
	s_delay_alu instid0(VALU_DEP_1) | instskip(NEXT) | instid1(SALU_CYCLE_1)
	s_and_b32 s2, vcc_lo, s2
	s_and_saveexec_b32 s3, s2
	s_delay_alu instid0(SALU_CYCLE_1)
	s_xor_b32 s2, exec_lo, s3
; %bb.612:
	v_cmp_ne_u32_e32 vcc_lo, 0, v169
	v_cndmask_b32_e32 v169, 30, v169, vcc_lo
; %bb.613:
	s_and_not1_saveexec_b32 s3, s2
	s_cbranch_execz .LBB76_619
; %bb.614:
	v_cmp_gt_f64_e32 vcc_lo, 0, v[156:157]
	v_cmp_gt_f64_e64 s2, 0, v[158:159]
	v_xor_b32_e32 v165, 0x80000000, v157
	v_xor_b32_e32 v173, 0x80000000, v159
	s_delay_alu instid0(VALU_DEP_2) | instskip(NEXT) | instid1(VALU_DEP_2)
	v_cndmask_b32_e32 v174, v157, v165, vcc_lo
	v_cndmask_b32_e64 v176, v159, v173, s2
	v_cndmask_b32_e32 v173, v156, v156, vcc_lo
	v_cndmask_b32_e64 v175, v158, v158, s2
	s_mov_b32 s2, exec_lo
	s_delay_alu instid0(VALU_DEP_1)
	v_cmpx_ngt_f64_e32 v[173:174], v[175:176]
	s_xor_b32 s2, exec_lo, s2
	s_cbranch_execz .LBB76_616
; %bb.615:
	v_div_scale_f64 v[173:174], null, v[158:159], v[158:159], v[156:157]
	v_div_scale_f64 v[179:180], vcc_lo, v[156:157], v[158:159], v[156:157]
	s_delay_alu instid0(VALU_DEP_2) | instskip(SKIP_2) | instid1(VALU_DEP_1)
	v_rcp_f64_e32 v[175:176], v[173:174]
	s_waitcnt_depctr 0xfff
	v_fma_f64 v[177:178], -v[173:174], v[175:176], 1.0
	v_fma_f64 v[175:176], v[175:176], v[177:178], v[175:176]
	s_delay_alu instid0(VALU_DEP_1) | instskip(NEXT) | instid1(VALU_DEP_1)
	v_fma_f64 v[177:178], -v[173:174], v[175:176], 1.0
	v_fma_f64 v[175:176], v[175:176], v[177:178], v[175:176]
	s_delay_alu instid0(VALU_DEP_1) | instskip(NEXT) | instid1(VALU_DEP_1)
	v_mul_f64 v[177:178], v[179:180], v[175:176]
	v_fma_f64 v[173:174], -v[173:174], v[177:178], v[179:180]
	s_delay_alu instid0(VALU_DEP_1) | instskip(NEXT) | instid1(VALU_DEP_1)
	v_div_fmas_f64 v[173:174], v[173:174], v[175:176], v[177:178]
	v_div_fixup_f64 v[173:174], v[173:174], v[158:159], v[156:157]
	s_delay_alu instid0(VALU_DEP_1) | instskip(NEXT) | instid1(VALU_DEP_1)
	v_fma_f64 v[156:157], v[156:157], v[173:174], v[158:159]
	v_div_scale_f64 v[158:159], null, v[156:157], v[156:157], 1.0
	s_delay_alu instid0(VALU_DEP_1) | instskip(SKIP_2) | instid1(VALU_DEP_1)
	v_rcp_f64_e32 v[175:176], v[158:159]
	s_waitcnt_depctr 0xfff
	v_fma_f64 v[177:178], -v[158:159], v[175:176], 1.0
	v_fma_f64 v[175:176], v[175:176], v[177:178], v[175:176]
	s_delay_alu instid0(VALU_DEP_1) | instskip(NEXT) | instid1(VALU_DEP_1)
	v_fma_f64 v[177:178], -v[158:159], v[175:176], 1.0
	v_fma_f64 v[175:176], v[175:176], v[177:178], v[175:176]
	v_div_scale_f64 v[177:178], vcc_lo, 1.0, v[156:157], 1.0
	s_delay_alu instid0(VALU_DEP_1) | instskip(NEXT) | instid1(VALU_DEP_1)
	v_mul_f64 v[179:180], v[177:178], v[175:176]
	v_fma_f64 v[158:159], -v[158:159], v[179:180], v[177:178]
	s_delay_alu instid0(VALU_DEP_1) | instskip(NEXT) | instid1(VALU_DEP_1)
	v_div_fmas_f64 v[158:159], v[158:159], v[175:176], v[179:180]
	v_div_fixup_f64 v[158:159], v[158:159], v[156:157], 1.0
	s_delay_alu instid0(VALU_DEP_1)
	v_mul_f64 v[156:157], v[173:174], v[158:159]
	v_xor_b32_e32 v159, 0x80000000, v159
.LBB76_616:
	s_and_not1_saveexec_b32 s2, s2
	s_cbranch_execz .LBB76_618
; %bb.617:
	s_delay_alu instid0(VALU_DEP_1) | instskip(SKIP_1) | instid1(VALU_DEP_2)
	v_div_scale_f64 v[173:174], null, v[156:157], v[156:157], v[158:159]
	v_div_scale_f64 v[179:180], vcc_lo, v[158:159], v[156:157], v[158:159]
	v_rcp_f64_e32 v[175:176], v[173:174]
	s_waitcnt_depctr 0xfff
	v_fma_f64 v[177:178], -v[173:174], v[175:176], 1.0
	s_delay_alu instid0(VALU_DEP_1) | instskip(NEXT) | instid1(VALU_DEP_1)
	v_fma_f64 v[175:176], v[175:176], v[177:178], v[175:176]
	v_fma_f64 v[177:178], -v[173:174], v[175:176], 1.0
	s_delay_alu instid0(VALU_DEP_1) | instskip(NEXT) | instid1(VALU_DEP_1)
	v_fma_f64 v[175:176], v[175:176], v[177:178], v[175:176]
	v_mul_f64 v[177:178], v[179:180], v[175:176]
	s_delay_alu instid0(VALU_DEP_1) | instskip(NEXT) | instid1(VALU_DEP_1)
	v_fma_f64 v[173:174], -v[173:174], v[177:178], v[179:180]
	v_div_fmas_f64 v[173:174], v[173:174], v[175:176], v[177:178]
	s_delay_alu instid0(VALU_DEP_1) | instskip(NEXT) | instid1(VALU_DEP_1)
	v_div_fixup_f64 v[173:174], v[173:174], v[156:157], v[158:159]
	v_fma_f64 v[156:157], v[158:159], v[173:174], v[156:157]
	s_delay_alu instid0(VALU_DEP_1) | instskip(NEXT) | instid1(VALU_DEP_1)
	v_div_scale_f64 v[158:159], null, v[156:157], v[156:157], 1.0
	v_rcp_f64_e32 v[175:176], v[158:159]
	s_waitcnt_depctr 0xfff
	v_fma_f64 v[177:178], -v[158:159], v[175:176], 1.0
	s_delay_alu instid0(VALU_DEP_1) | instskip(NEXT) | instid1(VALU_DEP_1)
	v_fma_f64 v[175:176], v[175:176], v[177:178], v[175:176]
	v_fma_f64 v[177:178], -v[158:159], v[175:176], 1.0
	s_delay_alu instid0(VALU_DEP_1) | instskip(SKIP_1) | instid1(VALU_DEP_1)
	v_fma_f64 v[175:176], v[175:176], v[177:178], v[175:176]
	v_div_scale_f64 v[177:178], vcc_lo, 1.0, v[156:157], 1.0
	v_mul_f64 v[179:180], v[177:178], v[175:176]
	s_delay_alu instid0(VALU_DEP_1) | instskip(NEXT) | instid1(VALU_DEP_1)
	v_fma_f64 v[158:159], -v[158:159], v[179:180], v[177:178]
	v_div_fmas_f64 v[158:159], v[158:159], v[175:176], v[179:180]
	s_delay_alu instid0(VALU_DEP_1) | instskip(NEXT) | instid1(VALU_DEP_1)
	v_div_fixup_f64 v[156:157], v[158:159], v[156:157], 1.0
	v_mul_f64 v[158:159], v[173:174], -v[156:157]
.LBB76_618:
	s_or_b32 exec_lo, exec_lo, s2
.LBB76_619:
	s_delay_alu instid0(SALU_CYCLE_1) | instskip(NEXT) | instid1(SALU_CYCLE_1)
	s_or_b32 exec_lo, exec_lo, s3
	s_mov_b32 s2, exec_lo
	v_cmpx_ne_u32_e64 v172, v164
	s_xor_b32 s2, exec_lo, s2
	s_cbranch_execz .LBB76_625
; %bb.620:
	s_mov_b32 s3, exec_lo
	v_cmpx_eq_u32_e32 29, v172
	s_cbranch_execz .LBB76_624
; %bb.621:
	v_cmp_ne_u32_e32 vcc_lo, 29, v164
	s_xor_b32 s6, s4, -1
	s_delay_alu instid0(SALU_CYCLE_1) | instskip(NEXT) | instid1(SALU_CYCLE_1)
	s_and_b32 s7, s6, vcc_lo
	s_and_saveexec_b32 s6, s7
	s_cbranch_execz .LBB76_623
; %bb.622:
	v_ashrrev_i32_e32 v165, 31, v164
	s_delay_alu instid0(VALU_DEP_1) | instskip(NEXT) | instid1(VALU_DEP_1)
	v_lshlrev_b64 v[171:172], 2, v[164:165]
	v_add_co_u32 v171, vcc_lo, v162, v171
	s_delay_alu instid0(VALU_DEP_2)
	v_add_co_ci_u32_e32 v172, vcc_lo, v163, v172, vcc_lo
	s_clause 0x1
	flat_load_b32 v165, v[171:172]
	flat_load_b32 v173, v[162:163] offset:116
	s_waitcnt vmcnt(1) lgkmcnt(1)
	flat_store_b32 v[162:163], v165 offset:116
	s_waitcnt vmcnt(0) lgkmcnt(1)
	flat_store_b32 v[171:172], v173
.LBB76_623:
	s_or_b32 exec_lo, exec_lo, s6
	v_mov_b32_e32 v172, v164
	v_mov_b32_e32 v171, v164
.LBB76_624:
	s_or_b32 exec_lo, exec_lo, s3
.LBB76_625:
	s_and_not1_saveexec_b32 s2, s2
	s_cbranch_execz .LBB76_627
; %bb.626:
	v_mov_b32_e32 v172, 29
	ds_store_2addr_b64 v166, v[32:33], v[34:35] offset0:60 offset1:61
	ds_store_2addr_b64 v166, v[28:29], v[30:31] offset0:62 offset1:63
	;; [unrolled: 1-line block ×9, first 2 shown]
.LBB76_627:
	s_or_b32 exec_lo, exec_lo, s2
	s_delay_alu instid0(SALU_CYCLE_1)
	s_mov_b32 s2, exec_lo
	s_waitcnt lgkmcnt(0)
	s_waitcnt_vscnt null, 0x0
	s_barrier
	buffer_gl0_inv
	v_cmpx_lt_i32_e32 29, v172
	s_cbranch_execz .LBB76_629
; %bb.628:
	v_mul_f64 v[164:165], v[156:157], v[38:39]
	v_mul_f64 v[38:39], v[158:159], v[38:39]
	ds_load_2addr_b64 v[173:176], v166 offset0:60 offset1:61
	ds_load_2addr_b64 v[177:180], v166 offset0:62 offset1:63
	;; [unrolled: 1-line block ×9, first 2 shown]
	v_fma_f64 v[158:159], v[158:159], v[36:37], v[164:165]
	v_fma_f64 v[36:37], v[156:157], v[36:37], -v[38:39]
	s_waitcnt lgkmcnt(8)
	s_delay_alu instid0(VALU_DEP_2)
	v_mul_f64 v[38:39], v[175:176], v[158:159]
	v_mul_f64 v[156:157], v[173:174], v[158:159]
	s_waitcnt lgkmcnt(7)
	v_mul_f64 v[164:165], v[179:180], v[158:159]
	v_mul_f64 v[209:210], v[177:178], v[158:159]
	s_waitcnt lgkmcnt(6)
	;; [unrolled: 3-line block ×8, first 2 shown]
	v_mul_f64 v[235:236], v[207:208], v[158:159]
	v_mul_f64 v[237:238], v[205:206], v[158:159]
	v_fma_f64 v[38:39], v[173:174], v[36:37], -v[38:39]
	v_fma_f64 v[156:157], v[175:176], v[36:37], v[156:157]
	v_fma_f64 v[164:165], v[177:178], v[36:37], -v[164:165]
	v_fma_f64 v[173:174], v[179:180], v[36:37], v[209:210]
	;; [unrolled: 2-line block ×9, first 2 shown]
	v_add_f64 v[32:33], v[32:33], -v[38:39]
	v_add_f64 v[34:35], v[34:35], -v[156:157]
	;; [unrolled: 1-line block ×18, first 2 shown]
	v_dual_mov_b32 v38, v158 :: v_dual_mov_b32 v39, v159
.LBB76_629:
	s_or_b32 exec_lo, exec_lo, s2
	v_lshl_add_u32 v156, v172, 4, v166
	s_barrier
	buffer_gl0_inv
	v_mov_b32_e32 v164, 30
	ds_store_2addr_b64 v156, v[32:33], v[34:35] offset1:1
	s_waitcnt lgkmcnt(0)
	s_barrier
	buffer_gl0_inv
	ds_load_2addr_b64 v[156:159], v166 offset0:60 offset1:61
	s_cmp_lt_i32 s5, 32
	s_cbranch_scc1 .LBB76_632
; %bb.630:
	v_add3_u32 v165, v170, 0, 0x1f0
	v_mov_b32_e32 v164, 30
	s_mov_b32 s6, 31
	s_set_inst_prefetch_distance 0x1
	.p2align	6
.LBB76_631:                             ; =>This Inner Loop Header: Depth=1
	ds_load_2addr_b64 v[173:176], v165 offset1:1
	s_waitcnt lgkmcnt(1)
	v_cmp_gt_f64_e32 vcc_lo, 0, v[156:157]
	v_xor_b32_e32 v177, 0x80000000, v157
	v_cmp_gt_f64_e64 s2, 0, v[158:159]
	v_xor_b32_e32 v179, 0x80000000, v159
	v_add_nc_u32_e32 v165, 16, v165
	s_waitcnt lgkmcnt(0)
	v_cmp_gt_f64_e64 s3, 0, v[173:174]
	v_mov_b32_e32 v181, v173
	v_dual_mov_b32 v183, v175 :: v_dual_cndmask_b32 v178, v157, v177
	v_xor_b32_e32 v177, 0x80000000, v174
	v_cndmask_b32_e64 v180, v159, v179, s2
	v_xor_b32_e32 v179, 0x80000000, v176
	s_delay_alu instid0(VALU_DEP_3) | instskip(SKIP_2) | instid1(VALU_DEP_2)
	v_cndmask_b32_e64 v182, v174, v177, s3
	v_cmp_gt_f64_e64 s3, 0, v[175:176]
	v_cndmask_b32_e32 v177, v156, v156, vcc_lo
	v_cndmask_b32_e64 v184, v176, v179, s3
	v_cndmask_b32_e64 v179, v158, v158, s2
	s_delay_alu instid0(VALU_DEP_2) | instskip(NEXT) | instid1(VALU_DEP_2)
	v_add_f64 v[181:182], v[181:182], v[183:184]
	v_add_f64 v[177:178], v[177:178], v[179:180]
	s_delay_alu instid0(VALU_DEP_1) | instskip(SKIP_4) | instid1(SALU_CYCLE_1)
	v_cmp_lt_f64_e32 vcc_lo, v[177:178], v[181:182]
	v_dual_cndmask_b32 v158, v158, v175 :: v_dual_cndmask_b32 v157, v157, v174
	v_dual_cndmask_b32 v156, v156, v173 :: v_dual_cndmask_b32 v159, v159, v176
	v_cndmask_b32_e64 v164, v164, s6, vcc_lo
	s_add_i32 s6, s6, 1
	s_cmp_lg_u32 s5, s6
	s_cbranch_scc1 .LBB76_631
.LBB76_632:
	s_set_inst_prefetch_distance 0x2
	s_waitcnt lgkmcnt(0)
	v_cmp_eq_f64_e32 vcc_lo, 0, v[156:157]
	v_cmp_eq_f64_e64 s2, 0, v[158:159]
	s_delay_alu instid0(VALU_DEP_1) | instskip(NEXT) | instid1(SALU_CYCLE_1)
	s_and_b32 s2, vcc_lo, s2
	s_and_saveexec_b32 s3, s2
	s_delay_alu instid0(SALU_CYCLE_1)
	s_xor_b32 s2, exec_lo, s3
; %bb.633:
	v_cmp_ne_u32_e32 vcc_lo, 0, v169
	v_cndmask_b32_e32 v169, 31, v169, vcc_lo
; %bb.634:
	s_and_not1_saveexec_b32 s3, s2
	s_cbranch_execz .LBB76_640
; %bb.635:
	v_cmp_gt_f64_e32 vcc_lo, 0, v[156:157]
	v_cmp_gt_f64_e64 s2, 0, v[158:159]
	v_xor_b32_e32 v165, 0x80000000, v157
	v_xor_b32_e32 v173, 0x80000000, v159
	s_delay_alu instid0(VALU_DEP_2) | instskip(NEXT) | instid1(VALU_DEP_2)
	v_cndmask_b32_e32 v174, v157, v165, vcc_lo
	v_cndmask_b32_e64 v176, v159, v173, s2
	v_cndmask_b32_e32 v173, v156, v156, vcc_lo
	v_cndmask_b32_e64 v175, v158, v158, s2
	s_mov_b32 s2, exec_lo
	s_delay_alu instid0(VALU_DEP_1)
	v_cmpx_ngt_f64_e32 v[173:174], v[175:176]
	s_xor_b32 s2, exec_lo, s2
	s_cbranch_execz .LBB76_637
; %bb.636:
	v_div_scale_f64 v[173:174], null, v[158:159], v[158:159], v[156:157]
	v_div_scale_f64 v[179:180], vcc_lo, v[156:157], v[158:159], v[156:157]
	s_delay_alu instid0(VALU_DEP_2) | instskip(SKIP_2) | instid1(VALU_DEP_1)
	v_rcp_f64_e32 v[175:176], v[173:174]
	s_waitcnt_depctr 0xfff
	v_fma_f64 v[177:178], -v[173:174], v[175:176], 1.0
	v_fma_f64 v[175:176], v[175:176], v[177:178], v[175:176]
	s_delay_alu instid0(VALU_DEP_1) | instskip(NEXT) | instid1(VALU_DEP_1)
	v_fma_f64 v[177:178], -v[173:174], v[175:176], 1.0
	v_fma_f64 v[175:176], v[175:176], v[177:178], v[175:176]
	s_delay_alu instid0(VALU_DEP_1) | instskip(NEXT) | instid1(VALU_DEP_1)
	v_mul_f64 v[177:178], v[179:180], v[175:176]
	v_fma_f64 v[173:174], -v[173:174], v[177:178], v[179:180]
	s_delay_alu instid0(VALU_DEP_1) | instskip(NEXT) | instid1(VALU_DEP_1)
	v_div_fmas_f64 v[173:174], v[173:174], v[175:176], v[177:178]
	v_div_fixup_f64 v[173:174], v[173:174], v[158:159], v[156:157]
	s_delay_alu instid0(VALU_DEP_1) | instskip(NEXT) | instid1(VALU_DEP_1)
	v_fma_f64 v[156:157], v[156:157], v[173:174], v[158:159]
	v_div_scale_f64 v[158:159], null, v[156:157], v[156:157], 1.0
	s_delay_alu instid0(VALU_DEP_1) | instskip(SKIP_2) | instid1(VALU_DEP_1)
	v_rcp_f64_e32 v[175:176], v[158:159]
	s_waitcnt_depctr 0xfff
	v_fma_f64 v[177:178], -v[158:159], v[175:176], 1.0
	v_fma_f64 v[175:176], v[175:176], v[177:178], v[175:176]
	s_delay_alu instid0(VALU_DEP_1) | instskip(NEXT) | instid1(VALU_DEP_1)
	v_fma_f64 v[177:178], -v[158:159], v[175:176], 1.0
	v_fma_f64 v[175:176], v[175:176], v[177:178], v[175:176]
	v_div_scale_f64 v[177:178], vcc_lo, 1.0, v[156:157], 1.0
	s_delay_alu instid0(VALU_DEP_1) | instskip(NEXT) | instid1(VALU_DEP_1)
	v_mul_f64 v[179:180], v[177:178], v[175:176]
	v_fma_f64 v[158:159], -v[158:159], v[179:180], v[177:178]
	s_delay_alu instid0(VALU_DEP_1) | instskip(NEXT) | instid1(VALU_DEP_1)
	v_div_fmas_f64 v[158:159], v[158:159], v[175:176], v[179:180]
	v_div_fixup_f64 v[158:159], v[158:159], v[156:157], 1.0
	s_delay_alu instid0(VALU_DEP_1)
	v_mul_f64 v[156:157], v[173:174], v[158:159]
	v_xor_b32_e32 v159, 0x80000000, v159
.LBB76_637:
	s_and_not1_saveexec_b32 s2, s2
	s_cbranch_execz .LBB76_639
; %bb.638:
	s_delay_alu instid0(VALU_DEP_1) | instskip(SKIP_1) | instid1(VALU_DEP_2)
	v_div_scale_f64 v[173:174], null, v[156:157], v[156:157], v[158:159]
	v_div_scale_f64 v[179:180], vcc_lo, v[158:159], v[156:157], v[158:159]
	v_rcp_f64_e32 v[175:176], v[173:174]
	s_waitcnt_depctr 0xfff
	v_fma_f64 v[177:178], -v[173:174], v[175:176], 1.0
	s_delay_alu instid0(VALU_DEP_1) | instskip(NEXT) | instid1(VALU_DEP_1)
	v_fma_f64 v[175:176], v[175:176], v[177:178], v[175:176]
	v_fma_f64 v[177:178], -v[173:174], v[175:176], 1.0
	s_delay_alu instid0(VALU_DEP_1) | instskip(NEXT) | instid1(VALU_DEP_1)
	v_fma_f64 v[175:176], v[175:176], v[177:178], v[175:176]
	v_mul_f64 v[177:178], v[179:180], v[175:176]
	s_delay_alu instid0(VALU_DEP_1) | instskip(NEXT) | instid1(VALU_DEP_1)
	v_fma_f64 v[173:174], -v[173:174], v[177:178], v[179:180]
	v_div_fmas_f64 v[173:174], v[173:174], v[175:176], v[177:178]
	s_delay_alu instid0(VALU_DEP_1) | instskip(NEXT) | instid1(VALU_DEP_1)
	v_div_fixup_f64 v[173:174], v[173:174], v[156:157], v[158:159]
	v_fma_f64 v[156:157], v[158:159], v[173:174], v[156:157]
	s_delay_alu instid0(VALU_DEP_1) | instskip(NEXT) | instid1(VALU_DEP_1)
	v_div_scale_f64 v[158:159], null, v[156:157], v[156:157], 1.0
	v_rcp_f64_e32 v[175:176], v[158:159]
	s_waitcnt_depctr 0xfff
	v_fma_f64 v[177:178], -v[158:159], v[175:176], 1.0
	s_delay_alu instid0(VALU_DEP_1) | instskip(NEXT) | instid1(VALU_DEP_1)
	v_fma_f64 v[175:176], v[175:176], v[177:178], v[175:176]
	v_fma_f64 v[177:178], -v[158:159], v[175:176], 1.0
	s_delay_alu instid0(VALU_DEP_1) | instskip(SKIP_1) | instid1(VALU_DEP_1)
	v_fma_f64 v[175:176], v[175:176], v[177:178], v[175:176]
	v_div_scale_f64 v[177:178], vcc_lo, 1.0, v[156:157], 1.0
	v_mul_f64 v[179:180], v[177:178], v[175:176]
	s_delay_alu instid0(VALU_DEP_1) | instskip(NEXT) | instid1(VALU_DEP_1)
	v_fma_f64 v[158:159], -v[158:159], v[179:180], v[177:178]
	v_div_fmas_f64 v[158:159], v[158:159], v[175:176], v[179:180]
	s_delay_alu instid0(VALU_DEP_1) | instskip(NEXT) | instid1(VALU_DEP_1)
	v_div_fixup_f64 v[156:157], v[158:159], v[156:157], 1.0
	v_mul_f64 v[158:159], v[173:174], -v[156:157]
.LBB76_639:
	s_or_b32 exec_lo, exec_lo, s2
.LBB76_640:
	s_delay_alu instid0(SALU_CYCLE_1) | instskip(NEXT) | instid1(SALU_CYCLE_1)
	s_or_b32 exec_lo, exec_lo, s3
	s_mov_b32 s2, exec_lo
	v_cmpx_ne_u32_e64 v172, v164
	s_xor_b32 s2, exec_lo, s2
	s_cbranch_execz .LBB76_646
; %bb.641:
	s_mov_b32 s3, exec_lo
	v_cmpx_eq_u32_e32 30, v172
	s_cbranch_execz .LBB76_645
; %bb.642:
	v_cmp_ne_u32_e32 vcc_lo, 30, v164
	s_xor_b32 s6, s4, -1
	s_delay_alu instid0(SALU_CYCLE_1) | instskip(NEXT) | instid1(SALU_CYCLE_1)
	s_and_b32 s7, s6, vcc_lo
	s_and_saveexec_b32 s6, s7
	s_cbranch_execz .LBB76_644
; %bb.643:
	v_ashrrev_i32_e32 v165, 31, v164
	s_delay_alu instid0(VALU_DEP_1) | instskip(NEXT) | instid1(VALU_DEP_1)
	v_lshlrev_b64 v[171:172], 2, v[164:165]
	v_add_co_u32 v171, vcc_lo, v162, v171
	s_delay_alu instid0(VALU_DEP_2)
	v_add_co_ci_u32_e32 v172, vcc_lo, v163, v172, vcc_lo
	s_clause 0x1
	flat_load_b32 v165, v[171:172]
	flat_load_b32 v173, v[162:163] offset:120
	s_waitcnt vmcnt(1) lgkmcnt(1)
	flat_store_b32 v[162:163], v165 offset:120
	s_waitcnt vmcnt(0) lgkmcnt(1)
	flat_store_b32 v[171:172], v173
.LBB76_644:
	s_or_b32 exec_lo, exec_lo, s6
	v_mov_b32_e32 v172, v164
	v_mov_b32_e32 v171, v164
.LBB76_645:
	s_or_b32 exec_lo, exec_lo, s3
.LBB76_646:
	s_and_not1_saveexec_b32 s2, s2
	s_cbranch_execz .LBB76_648
; %bb.647:
	v_mov_b32_e32 v172, 30
	ds_store_2addr_b64 v166, v[28:29], v[30:31] offset0:62 offset1:63
	ds_store_2addr_b64 v166, v[24:25], v[26:27] offset0:64 offset1:65
	;; [unrolled: 1-line block ×8, first 2 shown]
.LBB76_648:
	s_or_b32 exec_lo, exec_lo, s2
	s_delay_alu instid0(SALU_CYCLE_1)
	s_mov_b32 s2, exec_lo
	s_waitcnt lgkmcnt(0)
	s_waitcnt_vscnt null, 0x0
	s_barrier
	buffer_gl0_inv
	v_cmpx_lt_i32_e32 30, v172
	s_cbranch_execz .LBB76_650
; %bb.649:
	v_mul_f64 v[164:165], v[156:157], v[34:35]
	v_mul_f64 v[34:35], v[158:159], v[34:35]
	ds_load_2addr_b64 v[173:176], v166 offset0:62 offset1:63
	ds_load_2addr_b64 v[177:180], v166 offset0:64 offset1:65
	;; [unrolled: 1-line block ×8, first 2 shown]
	v_fma_f64 v[158:159], v[158:159], v[32:33], v[164:165]
	v_fma_f64 v[32:33], v[156:157], v[32:33], -v[34:35]
	s_waitcnt lgkmcnt(7)
	s_delay_alu instid0(VALU_DEP_2)
	v_mul_f64 v[34:35], v[175:176], v[158:159]
	v_mul_f64 v[156:157], v[173:174], v[158:159]
	s_waitcnt lgkmcnt(6)
	v_mul_f64 v[164:165], v[179:180], v[158:159]
	v_mul_f64 v[205:206], v[177:178], v[158:159]
	s_waitcnt lgkmcnt(5)
	v_mul_f64 v[207:208], v[183:184], v[158:159]
	v_mul_f64 v[209:210], v[181:182], v[158:159]
	s_waitcnt lgkmcnt(4)
	v_mul_f64 v[211:212], v[187:188], v[158:159]
	v_mul_f64 v[213:214], v[185:186], v[158:159]
	s_waitcnt lgkmcnt(3)
	v_mul_f64 v[215:216], v[191:192], v[158:159]
	v_mul_f64 v[217:218], v[189:190], v[158:159]
	s_waitcnt lgkmcnt(2)
	v_mul_f64 v[219:220], v[195:196], v[158:159]
	v_mul_f64 v[221:222], v[193:194], v[158:159]
	s_waitcnt lgkmcnt(1)
	v_mul_f64 v[223:224], v[199:200], v[158:159]
	v_mul_f64 v[225:226], v[197:198], v[158:159]
	s_waitcnt lgkmcnt(0)
	v_mul_f64 v[227:228], v[203:204], v[158:159]
	v_mul_f64 v[229:230], v[201:202], v[158:159]
	v_fma_f64 v[34:35], v[173:174], v[32:33], -v[34:35]
	v_fma_f64 v[156:157], v[175:176], v[32:33], v[156:157]
	v_fma_f64 v[164:165], v[177:178], v[32:33], -v[164:165]
	v_fma_f64 v[173:174], v[179:180], v[32:33], v[205:206]
	;; [unrolled: 2-line block ×8, first 2 shown]
	v_add_f64 v[28:29], v[28:29], -v[34:35]
	v_add_f64 v[30:31], v[30:31], -v[156:157]
	;; [unrolled: 1-line block ×16, first 2 shown]
	v_dual_mov_b32 v34, v158 :: v_dual_mov_b32 v35, v159
.LBB76_650:
	s_or_b32 exec_lo, exec_lo, s2
	v_lshl_add_u32 v156, v172, 4, v166
	s_barrier
	buffer_gl0_inv
	v_mov_b32_e32 v164, 31
	ds_store_2addr_b64 v156, v[28:29], v[30:31] offset1:1
	s_waitcnt lgkmcnt(0)
	s_barrier
	buffer_gl0_inv
	ds_load_2addr_b64 v[156:159], v166 offset0:62 offset1:63
	s_cmp_lt_i32 s5, 33
	s_cbranch_scc1 .LBB76_653
; %bb.651:
	v_add3_u32 v165, v170, 0, 0x200
	v_mov_b32_e32 v164, 31
	s_mov_b32 s6, 32
	s_set_inst_prefetch_distance 0x1
	.p2align	6
.LBB76_652:                             ; =>This Inner Loop Header: Depth=1
	ds_load_2addr_b64 v[173:176], v165 offset1:1
	s_waitcnt lgkmcnt(1)
	v_cmp_gt_f64_e32 vcc_lo, 0, v[156:157]
	v_xor_b32_e32 v177, 0x80000000, v157
	v_cmp_gt_f64_e64 s2, 0, v[158:159]
	v_xor_b32_e32 v179, 0x80000000, v159
	v_add_nc_u32_e32 v165, 16, v165
	s_waitcnt lgkmcnt(0)
	v_cmp_gt_f64_e64 s3, 0, v[173:174]
	v_mov_b32_e32 v181, v173
	v_dual_mov_b32 v183, v175 :: v_dual_cndmask_b32 v178, v157, v177
	v_xor_b32_e32 v177, 0x80000000, v174
	v_cndmask_b32_e64 v180, v159, v179, s2
	v_xor_b32_e32 v179, 0x80000000, v176
	s_delay_alu instid0(VALU_DEP_3) | instskip(SKIP_2) | instid1(VALU_DEP_2)
	v_cndmask_b32_e64 v182, v174, v177, s3
	v_cmp_gt_f64_e64 s3, 0, v[175:176]
	v_cndmask_b32_e32 v177, v156, v156, vcc_lo
	v_cndmask_b32_e64 v184, v176, v179, s3
	v_cndmask_b32_e64 v179, v158, v158, s2
	s_delay_alu instid0(VALU_DEP_2) | instskip(NEXT) | instid1(VALU_DEP_2)
	v_add_f64 v[181:182], v[181:182], v[183:184]
	v_add_f64 v[177:178], v[177:178], v[179:180]
	s_delay_alu instid0(VALU_DEP_1) | instskip(SKIP_4) | instid1(SALU_CYCLE_1)
	v_cmp_lt_f64_e32 vcc_lo, v[177:178], v[181:182]
	v_dual_cndmask_b32 v158, v158, v175 :: v_dual_cndmask_b32 v157, v157, v174
	v_dual_cndmask_b32 v156, v156, v173 :: v_dual_cndmask_b32 v159, v159, v176
	v_cndmask_b32_e64 v164, v164, s6, vcc_lo
	s_add_i32 s6, s6, 1
	s_cmp_lg_u32 s5, s6
	s_cbranch_scc1 .LBB76_652
.LBB76_653:
	s_set_inst_prefetch_distance 0x2
	s_waitcnt lgkmcnt(0)
	v_cmp_eq_f64_e32 vcc_lo, 0, v[156:157]
	v_cmp_eq_f64_e64 s2, 0, v[158:159]
	s_delay_alu instid0(VALU_DEP_1) | instskip(NEXT) | instid1(SALU_CYCLE_1)
	s_and_b32 s2, vcc_lo, s2
	s_and_saveexec_b32 s3, s2
	s_delay_alu instid0(SALU_CYCLE_1)
	s_xor_b32 s2, exec_lo, s3
; %bb.654:
	v_cmp_ne_u32_e32 vcc_lo, 0, v169
	v_cndmask_b32_e32 v169, 32, v169, vcc_lo
; %bb.655:
	s_and_not1_saveexec_b32 s3, s2
	s_cbranch_execz .LBB76_661
; %bb.656:
	v_cmp_gt_f64_e32 vcc_lo, 0, v[156:157]
	v_cmp_gt_f64_e64 s2, 0, v[158:159]
	v_xor_b32_e32 v165, 0x80000000, v157
	v_xor_b32_e32 v173, 0x80000000, v159
	s_delay_alu instid0(VALU_DEP_2) | instskip(NEXT) | instid1(VALU_DEP_2)
	v_cndmask_b32_e32 v174, v157, v165, vcc_lo
	v_cndmask_b32_e64 v176, v159, v173, s2
	v_cndmask_b32_e32 v173, v156, v156, vcc_lo
	v_cndmask_b32_e64 v175, v158, v158, s2
	s_mov_b32 s2, exec_lo
	s_delay_alu instid0(VALU_DEP_1)
	v_cmpx_ngt_f64_e32 v[173:174], v[175:176]
	s_xor_b32 s2, exec_lo, s2
	s_cbranch_execz .LBB76_658
; %bb.657:
	v_div_scale_f64 v[173:174], null, v[158:159], v[158:159], v[156:157]
	v_div_scale_f64 v[179:180], vcc_lo, v[156:157], v[158:159], v[156:157]
	s_delay_alu instid0(VALU_DEP_2) | instskip(SKIP_2) | instid1(VALU_DEP_1)
	v_rcp_f64_e32 v[175:176], v[173:174]
	s_waitcnt_depctr 0xfff
	v_fma_f64 v[177:178], -v[173:174], v[175:176], 1.0
	v_fma_f64 v[175:176], v[175:176], v[177:178], v[175:176]
	s_delay_alu instid0(VALU_DEP_1) | instskip(NEXT) | instid1(VALU_DEP_1)
	v_fma_f64 v[177:178], -v[173:174], v[175:176], 1.0
	v_fma_f64 v[175:176], v[175:176], v[177:178], v[175:176]
	s_delay_alu instid0(VALU_DEP_1) | instskip(NEXT) | instid1(VALU_DEP_1)
	v_mul_f64 v[177:178], v[179:180], v[175:176]
	v_fma_f64 v[173:174], -v[173:174], v[177:178], v[179:180]
	s_delay_alu instid0(VALU_DEP_1) | instskip(NEXT) | instid1(VALU_DEP_1)
	v_div_fmas_f64 v[173:174], v[173:174], v[175:176], v[177:178]
	v_div_fixup_f64 v[173:174], v[173:174], v[158:159], v[156:157]
	s_delay_alu instid0(VALU_DEP_1) | instskip(NEXT) | instid1(VALU_DEP_1)
	v_fma_f64 v[156:157], v[156:157], v[173:174], v[158:159]
	v_div_scale_f64 v[158:159], null, v[156:157], v[156:157], 1.0
	s_delay_alu instid0(VALU_DEP_1) | instskip(SKIP_2) | instid1(VALU_DEP_1)
	v_rcp_f64_e32 v[175:176], v[158:159]
	s_waitcnt_depctr 0xfff
	v_fma_f64 v[177:178], -v[158:159], v[175:176], 1.0
	v_fma_f64 v[175:176], v[175:176], v[177:178], v[175:176]
	s_delay_alu instid0(VALU_DEP_1) | instskip(NEXT) | instid1(VALU_DEP_1)
	v_fma_f64 v[177:178], -v[158:159], v[175:176], 1.0
	v_fma_f64 v[175:176], v[175:176], v[177:178], v[175:176]
	v_div_scale_f64 v[177:178], vcc_lo, 1.0, v[156:157], 1.0
	s_delay_alu instid0(VALU_DEP_1) | instskip(NEXT) | instid1(VALU_DEP_1)
	v_mul_f64 v[179:180], v[177:178], v[175:176]
	v_fma_f64 v[158:159], -v[158:159], v[179:180], v[177:178]
	s_delay_alu instid0(VALU_DEP_1) | instskip(NEXT) | instid1(VALU_DEP_1)
	v_div_fmas_f64 v[158:159], v[158:159], v[175:176], v[179:180]
	v_div_fixup_f64 v[158:159], v[158:159], v[156:157], 1.0
	s_delay_alu instid0(VALU_DEP_1)
	v_mul_f64 v[156:157], v[173:174], v[158:159]
	v_xor_b32_e32 v159, 0x80000000, v159
.LBB76_658:
	s_and_not1_saveexec_b32 s2, s2
	s_cbranch_execz .LBB76_660
; %bb.659:
	s_delay_alu instid0(VALU_DEP_1) | instskip(SKIP_1) | instid1(VALU_DEP_2)
	v_div_scale_f64 v[173:174], null, v[156:157], v[156:157], v[158:159]
	v_div_scale_f64 v[179:180], vcc_lo, v[158:159], v[156:157], v[158:159]
	v_rcp_f64_e32 v[175:176], v[173:174]
	s_waitcnt_depctr 0xfff
	v_fma_f64 v[177:178], -v[173:174], v[175:176], 1.0
	s_delay_alu instid0(VALU_DEP_1) | instskip(NEXT) | instid1(VALU_DEP_1)
	v_fma_f64 v[175:176], v[175:176], v[177:178], v[175:176]
	v_fma_f64 v[177:178], -v[173:174], v[175:176], 1.0
	s_delay_alu instid0(VALU_DEP_1) | instskip(NEXT) | instid1(VALU_DEP_1)
	v_fma_f64 v[175:176], v[175:176], v[177:178], v[175:176]
	v_mul_f64 v[177:178], v[179:180], v[175:176]
	s_delay_alu instid0(VALU_DEP_1) | instskip(NEXT) | instid1(VALU_DEP_1)
	v_fma_f64 v[173:174], -v[173:174], v[177:178], v[179:180]
	v_div_fmas_f64 v[173:174], v[173:174], v[175:176], v[177:178]
	s_delay_alu instid0(VALU_DEP_1) | instskip(NEXT) | instid1(VALU_DEP_1)
	v_div_fixup_f64 v[173:174], v[173:174], v[156:157], v[158:159]
	v_fma_f64 v[156:157], v[158:159], v[173:174], v[156:157]
	s_delay_alu instid0(VALU_DEP_1) | instskip(NEXT) | instid1(VALU_DEP_1)
	v_div_scale_f64 v[158:159], null, v[156:157], v[156:157], 1.0
	v_rcp_f64_e32 v[175:176], v[158:159]
	s_waitcnt_depctr 0xfff
	v_fma_f64 v[177:178], -v[158:159], v[175:176], 1.0
	s_delay_alu instid0(VALU_DEP_1) | instskip(NEXT) | instid1(VALU_DEP_1)
	v_fma_f64 v[175:176], v[175:176], v[177:178], v[175:176]
	v_fma_f64 v[177:178], -v[158:159], v[175:176], 1.0
	s_delay_alu instid0(VALU_DEP_1) | instskip(SKIP_1) | instid1(VALU_DEP_1)
	v_fma_f64 v[175:176], v[175:176], v[177:178], v[175:176]
	v_div_scale_f64 v[177:178], vcc_lo, 1.0, v[156:157], 1.0
	v_mul_f64 v[179:180], v[177:178], v[175:176]
	s_delay_alu instid0(VALU_DEP_1) | instskip(NEXT) | instid1(VALU_DEP_1)
	v_fma_f64 v[158:159], -v[158:159], v[179:180], v[177:178]
	v_div_fmas_f64 v[158:159], v[158:159], v[175:176], v[179:180]
	s_delay_alu instid0(VALU_DEP_1) | instskip(NEXT) | instid1(VALU_DEP_1)
	v_div_fixup_f64 v[156:157], v[158:159], v[156:157], 1.0
	v_mul_f64 v[158:159], v[173:174], -v[156:157]
.LBB76_660:
	s_or_b32 exec_lo, exec_lo, s2
.LBB76_661:
	s_delay_alu instid0(SALU_CYCLE_1) | instskip(NEXT) | instid1(SALU_CYCLE_1)
	s_or_b32 exec_lo, exec_lo, s3
	s_mov_b32 s2, exec_lo
	v_cmpx_ne_u32_e64 v172, v164
	s_xor_b32 s2, exec_lo, s2
	s_cbranch_execz .LBB76_667
; %bb.662:
	s_mov_b32 s3, exec_lo
	v_cmpx_eq_u32_e32 31, v172
	s_cbranch_execz .LBB76_666
; %bb.663:
	v_cmp_ne_u32_e32 vcc_lo, 31, v164
	s_xor_b32 s6, s4, -1
	s_delay_alu instid0(SALU_CYCLE_1) | instskip(NEXT) | instid1(SALU_CYCLE_1)
	s_and_b32 s7, s6, vcc_lo
	s_and_saveexec_b32 s6, s7
	s_cbranch_execz .LBB76_665
; %bb.664:
	v_ashrrev_i32_e32 v165, 31, v164
	s_delay_alu instid0(VALU_DEP_1) | instskip(NEXT) | instid1(VALU_DEP_1)
	v_lshlrev_b64 v[171:172], 2, v[164:165]
	v_add_co_u32 v171, vcc_lo, v162, v171
	s_delay_alu instid0(VALU_DEP_2)
	v_add_co_ci_u32_e32 v172, vcc_lo, v163, v172, vcc_lo
	s_clause 0x1
	flat_load_b32 v165, v[171:172]
	flat_load_b32 v173, v[162:163] offset:124
	s_waitcnt vmcnt(1) lgkmcnt(1)
	flat_store_b32 v[162:163], v165 offset:124
	s_waitcnt vmcnt(0) lgkmcnt(1)
	flat_store_b32 v[171:172], v173
.LBB76_665:
	s_or_b32 exec_lo, exec_lo, s6
	v_mov_b32_e32 v172, v164
	v_mov_b32_e32 v171, v164
.LBB76_666:
	s_or_b32 exec_lo, exec_lo, s3
.LBB76_667:
	s_and_not1_saveexec_b32 s2, s2
	s_cbranch_execz .LBB76_669
; %bb.668:
	v_mov_b32_e32 v172, 31
	ds_store_2addr_b64 v166, v[24:25], v[26:27] offset0:64 offset1:65
	ds_store_2addr_b64 v166, v[20:21], v[22:23] offset0:66 offset1:67
	;; [unrolled: 1-line block ×7, first 2 shown]
.LBB76_669:
	s_or_b32 exec_lo, exec_lo, s2
	s_delay_alu instid0(SALU_CYCLE_1)
	s_mov_b32 s2, exec_lo
	s_waitcnt lgkmcnt(0)
	s_waitcnt_vscnt null, 0x0
	s_barrier
	buffer_gl0_inv
	v_cmpx_lt_i32_e32 31, v172
	s_cbranch_execz .LBB76_671
; %bb.670:
	v_mul_f64 v[164:165], v[156:157], v[30:31]
	v_mul_f64 v[30:31], v[158:159], v[30:31]
	ds_load_2addr_b64 v[173:176], v166 offset0:64 offset1:65
	ds_load_2addr_b64 v[177:180], v166 offset0:66 offset1:67
	;; [unrolled: 1-line block ×7, first 2 shown]
	v_fma_f64 v[158:159], v[158:159], v[28:29], v[164:165]
	v_fma_f64 v[28:29], v[156:157], v[28:29], -v[30:31]
	s_waitcnt lgkmcnt(6)
	s_delay_alu instid0(VALU_DEP_2)
	v_mul_f64 v[30:31], v[175:176], v[158:159]
	v_mul_f64 v[156:157], v[173:174], v[158:159]
	s_waitcnt lgkmcnt(5)
	v_mul_f64 v[164:165], v[179:180], v[158:159]
	v_mul_f64 v[201:202], v[177:178], v[158:159]
	s_waitcnt lgkmcnt(4)
	;; [unrolled: 3-line block ×6, first 2 shown]
	v_mul_f64 v[219:220], v[199:200], v[158:159]
	v_mul_f64 v[221:222], v[197:198], v[158:159]
	v_fma_f64 v[30:31], v[173:174], v[28:29], -v[30:31]
	v_fma_f64 v[156:157], v[175:176], v[28:29], v[156:157]
	v_fma_f64 v[164:165], v[177:178], v[28:29], -v[164:165]
	v_fma_f64 v[173:174], v[179:180], v[28:29], v[201:202]
	;; [unrolled: 2-line block ×7, first 2 shown]
	v_add_f64 v[24:25], v[24:25], -v[30:31]
	v_add_f64 v[26:27], v[26:27], -v[156:157]
	;; [unrolled: 1-line block ×14, first 2 shown]
	v_dual_mov_b32 v30, v158 :: v_dual_mov_b32 v31, v159
.LBB76_671:
	s_or_b32 exec_lo, exec_lo, s2
	v_lshl_add_u32 v156, v172, 4, v166
	s_barrier
	buffer_gl0_inv
	v_mov_b32_e32 v164, 32
	ds_store_2addr_b64 v156, v[24:25], v[26:27] offset1:1
	s_waitcnt lgkmcnt(0)
	s_barrier
	buffer_gl0_inv
	ds_load_2addr_b64 v[156:159], v166 offset0:64 offset1:65
	s_cmp_lt_i32 s5, 34
	s_cbranch_scc1 .LBB76_674
; %bb.672:
	v_add3_u32 v165, v170, 0, 0x210
	v_mov_b32_e32 v164, 32
	s_mov_b32 s6, 33
	s_set_inst_prefetch_distance 0x1
	.p2align	6
.LBB76_673:                             ; =>This Inner Loop Header: Depth=1
	ds_load_2addr_b64 v[173:176], v165 offset1:1
	s_waitcnt lgkmcnt(1)
	v_cmp_gt_f64_e32 vcc_lo, 0, v[156:157]
	v_xor_b32_e32 v177, 0x80000000, v157
	v_cmp_gt_f64_e64 s2, 0, v[158:159]
	v_xor_b32_e32 v179, 0x80000000, v159
	v_add_nc_u32_e32 v165, 16, v165
	s_waitcnt lgkmcnt(0)
	v_cmp_gt_f64_e64 s3, 0, v[173:174]
	v_mov_b32_e32 v181, v173
	v_dual_mov_b32 v183, v175 :: v_dual_cndmask_b32 v178, v157, v177
	v_xor_b32_e32 v177, 0x80000000, v174
	v_cndmask_b32_e64 v180, v159, v179, s2
	v_xor_b32_e32 v179, 0x80000000, v176
	s_delay_alu instid0(VALU_DEP_3) | instskip(SKIP_2) | instid1(VALU_DEP_2)
	v_cndmask_b32_e64 v182, v174, v177, s3
	v_cmp_gt_f64_e64 s3, 0, v[175:176]
	v_cndmask_b32_e32 v177, v156, v156, vcc_lo
	v_cndmask_b32_e64 v184, v176, v179, s3
	v_cndmask_b32_e64 v179, v158, v158, s2
	s_delay_alu instid0(VALU_DEP_2) | instskip(NEXT) | instid1(VALU_DEP_2)
	v_add_f64 v[181:182], v[181:182], v[183:184]
	v_add_f64 v[177:178], v[177:178], v[179:180]
	s_delay_alu instid0(VALU_DEP_1) | instskip(SKIP_4) | instid1(SALU_CYCLE_1)
	v_cmp_lt_f64_e32 vcc_lo, v[177:178], v[181:182]
	v_dual_cndmask_b32 v158, v158, v175 :: v_dual_cndmask_b32 v157, v157, v174
	v_dual_cndmask_b32 v156, v156, v173 :: v_dual_cndmask_b32 v159, v159, v176
	v_cndmask_b32_e64 v164, v164, s6, vcc_lo
	s_add_i32 s6, s6, 1
	s_cmp_lg_u32 s5, s6
	s_cbranch_scc1 .LBB76_673
.LBB76_674:
	s_set_inst_prefetch_distance 0x2
	s_waitcnt lgkmcnt(0)
	v_cmp_eq_f64_e32 vcc_lo, 0, v[156:157]
	v_cmp_eq_f64_e64 s2, 0, v[158:159]
	s_delay_alu instid0(VALU_DEP_1) | instskip(NEXT) | instid1(SALU_CYCLE_1)
	s_and_b32 s2, vcc_lo, s2
	s_and_saveexec_b32 s3, s2
	s_delay_alu instid0(SALU_CYCLE_1)
	s_xor_b32 s2, exec_lo, s3
; %bb.675:
	v_cmp_ne_u32_e32 vcc_lo, 0, v169
	v_cndmask_b32_e32 v169, 33, v169, vcc_lo
; %bb.676:
	s_and_not1_saveexec_b32 s3, s2
	s_cbranch_execz .LBB76_682
; %bb.677:
	v_cmp_gt_f64_e32 vcc_lo, 0, v[156:157]
	v_cmp_gt_f64_e64 s2, 0, v[158:159]
	v_xor_b32_e32 v165, 0x80000000, v157
	v_xor_b32_e32 v173, 0x80000000, v159
	s_delay_alu instid0(VALU_DEP_2) | instskip(NEXT) | instid1(VALU_DEP_2)
	v_cndmask_b32_e32 v174, v157, v165, vcc_lo
	v_cndmask_b32_e64 v176, v159, v173, s2
	v_cndmask_b32_e32 v173, v156, v156, vcc_lo
	v_cndmask_b32_e64 v175, v158, v158, s2
	s_mov_b32 s2, exec_lo
	s_delay_alu instid0(VALU_DEP_1)
	v_cmpx_ngt_f64_e32 v[173:174], v[175:176]
	s_xor_b32 s2, exec_lo, s2
	s_cbranch_execz .LBB76_679
; %bb.678:
	v_div_scale_f64 v[173:174], null, v[158:159], v[158:159], v[156:157]
	v_div_scale_f64 v[179:180], vcc_lo, v[156:157], v[158:159], v[156:157]
	s_delay_alu instid0(VALU_DEP_2) | instskip(SKIP_2) | instid1(VALU_DEP_1)
	v_rcp_f64_e32 v[175:176], v[173:174]
	s_waitcnt_depctr 0xfff
	v_fma_f64 v[177:178], -v[173:174], v[175:176], 1.0
	v_fma_f64 v[175:176], v[175:176], v[177:178], v[175:176]
	s_delay_alu instid0(VALU_DEP_1) | instskip(NEXT) | instid1(VALU_DEP_1)
	v_fma_f64 v[177:178], -v[173:174], v[175:176], 1.0
	v_fma_f64 v[175:176], v[175:176], v[177:178], v[175:176]
	s_delay_alu instid0(VALU_DEP_1) | instskip(NEXT) | instid1(VALU_DEP_1)
	v_mul_f64 v[177:178], v[179:180], v[175:176]
	v_fma_f64 v[173:174], -v[173:174], v[177:178], v[179:180]
	s_delay_alu instid0(VALU_DEP_1) | instskip(NEXT) | instid1(VALU_DEP_1)
	v_div_fmas_f64 v[173:174], v[173:174], v[175:176], v[177:178]
	v_div_fixup_f64 v[173:174], v[173:174], v[158:159], v[156:157]
	s_delay_alu instid0(VALU_DEP_1) | instskip(NEXT) | instid1(VALU_DEP_1)
	v_fma_f64 v[156:157], v[156:157], v[173:174], v[158:159]
	v_div_scale_f64 v[158:159], null, v[156:157], v[156:157], 1.0
	s_delay_alu instid0(VALU_DEP_1) | instskip(SKIP_2) | instid1(VALU_DEP_1)
	v_rcp_f64_e32 v[175:176], v[158:159]
	s_waitcnt_depctr 0xfff
	v_fma_f64 v[177:178], -v[158:159], v[175:176], 1.0
	v_fma_f64 v[175:176], v[175:176], v[177:178], v[175:176]
	s_delay_alu instid0(VALU_DEP_1) | instskip(NEXT) | instid1(VALU_DEP_1)
	v_fma_f64 v[177:178], -v[158:159], v[175:176], 1.0
	v_fma_f64 v[175:176], v[175:176], v[177:178], v[175:176]
	v_div_scale_f64 v[177:178], vcc_lo, 1.0, v[156:157], 1.0
	s_delay_alu instid0(VALU_DEP_1) | instskip(NEXT) | instid1(VALU_DEP_1)
	v_mul_f64 v[179:180], v[177:178], v[175:176]
	v_fma_f64 v[158:159], -v[158:159], v[179:180], v[177:178]
	s_delay_alu instid0(VALU_DEP_1) | instskip(NEXT) | instid1(VALU_DEP_1)
	v_div_fmas_f64 v[158:159], v[158:159], v[175:176], v[179:180]
	v_div_fixup_f64 v[158:159], v[158:159], v[156:157], 1.0
	s_delay_alu instid0(VALU_DEP_1)
	v_mul_f64 v[156:157], v[173:174], v[158:159]
	v_xor_b32_e32 v159, 0x80000000, v159
.LBB76_679:
	s_and_not1_saveexec_b32 s2, s2
	s_cbranch_execz .LBB76_681
; %bb.680:
	s_delay_alu instid0(VALU_DEP_1) | instskip(SKIP_1) | instid1(VALU_DEP_2)
	v_div_scale_f64 v[173:174], null, v[156:157], v[156:157], v[158:159]
	v_div_scale_f64 v[179:180], vcc_lo, v[158:159], v[156:157], v[158:159]
	v_rcp_f64_e32 v[175:176], v[173:174]
	s_waitcnt_depctr 0xfff
	v_fma_f64 v[177:178], -v[173:174], v[175:176], 1.0
	s_delay_alu instid0(VALU_DEP_1) | instskip(NEXT) | instid1(VALU_DEP_1)
	v_fma_f64 v[175:176], v[175:176], v[177:178], v[175:176]
	v_fma_f64 v[177:178], -v[173:174], v[175:176], 1.0
	s_delay_alu instid0(VALU_DEP_1) | instskip(NEXT) | instid1(VALU_DEP_1)
	v_fma_f64 v[175:176], v[175:176], v[177:178], v[175:176]
	v_mul_f64 v[177:178], v[179:180], v[175:176]
	s_delay_alu instid0(VALU_DEP_1) | instskip(NEXT) | instid1(VALU_DEP_1)
	v_fma_f64 v[173:174], -v[173:174], v[177:178], v[179:180]
	v_div_fmas_f64 v[173:174], v[173:174], v[175:176], v[177:178]
	s_delay_alu instid0(VALU_DEP_1) | instskip(NEXT) | instid1(VALU_DEP_1)
	v_div_fixup_f64 v[173:174], v[173:174], v[156:157], v[158:159]
	v_fma_f64 v[156:157], v[158:159], v[173:174], v[156:157]
	s_delay_alu instid0(VALU_DEP_1) | instskip(NEXT) | instid1(VALU_DEP_1)
	v_div_scale_f64 v[158:159], null, v[156:157], v[156:157], 1.0
	v_rcp_f64_e32 v[175:176], v[158:159]
	s_waitcnt_depctr 0xfff
	v_fma_f64 v[177:178], -v[158:159], v[175:176], 1.0
	s_delay_alu instid0(VALU_DEP_1) | instskip(NEXT) | instid1(VALU_DEP_1)
	v_fma_f64 v[175:176], v[175:176], v[177:178], v[175:176]
	v_fma_f64 v[177:178], -v[158:159], v[175:176], 1.0
	s_delay_alu instid0(VALU_DEP_1) | instskip(SKIP_1) | instid1(VALU_DEP_1)
	v_fma_f64 v[175:176], v[175:176], v[177:178], v[175:176]
	v_div_scale_f64 v[177:178], vcc_lo, 1.0, v[156:157], 1.0
	v_mul_f64 v[179:180], v[177:178], v[175:176]
	s_delay_alu instid0(VALU_DEP_1) | instskip(NEXT) | instid1(VALU_DEP_1)
	v_fma_f64 v[158:159], -v[158:159], v[179:180], v[177:178]
	v_div_fmas_f64 v[158:159], v[158:159], v[175:176], v[179:180]
	s_delay_alu instid0(VALU_DEP_1) | instskip(NEXT) | instid1(VALU_DEP_1)
	v_div_fixup_f64 v[156:157], v[158:159], v[156:157], 1.0
	v_mul_f64 v[158:159], v[173:174], -v[156:157]
.LBB76_681:
	s_or_b32 exec_lo, exec_lo, s2
.LBB76_682:
	s_delay_alu instid0(SALU_CYCLE_1) | instskip(NEXT) | instid1(SALU_CYCLE_1)
	s_or_b32 exec_lo, exec_lo, s3
	s_mov_b32 s2, exec_lo
	v_cmpx_ne_u32_e64 v172, v164
	s_xor_b32 s2, exec_lo, s2
	s_cbranch_execz .LBB76_688
; %bb.683:
	s_mov_b32 s3, exec_lo
	v_cmpx_eq_u32_e32 32, v172
	s_cbranch_execz .LBB76_687
; %bb.684:
	v_cmp_ne_u32_e32 vcc_lo, 32, v164
	s_xor_b32 s6, s4, -1
	s_delay_alu instid0(SALU_CYCLE_1) | instskip(NEXT) | instid1(SALU_CYCLE_1)
	s_and_b32 s7, s6, vcc_lo
	s_and_saveexec_b32 s6, s7
	s_cbranch_execz .LBB76_686
; %bb.685:
	v_ashrrev_i32_e32 v165, 31, v164
	s_delay_alu instid0(VALU_DEP_1) | instskip(NEXT) | instid1(VALU_DEP_1)
	v_lshlrev_b64 v[171:172], 2, v[164:165]
	v_add_co_u32 v171, vcc_lo, v162, v171
	s_delay_alu instid0(VALU_DEP_2)
	v_add_co_ci_u32_e32 v172, vcc_lo, v163, v172, vcc_lo
	s_clause 0x1
	flat_load_b32 v165, v[171:172]
	flat_load_b32 v173, v[162:163] offset:128
	s_waitcnt vmcnt(1) lgkmcnt(1)
	flat_store_b32 v[162:163], v165 offset:128
	s_waitcnt vmcnt(0) lgkmcnt(1)
	flat_store_b32 v[171:172], v173
.LBB76_686:
	s_or_b32 exec_lo, exec_lo, s6
	v_mov_b32_e32 v172, v164
	v_mov_b32_e32 v171, v164
.LBB76_687:
	s_or_b32 exec_lo, exec_lo, s3
.LBB76_688:
	s_and_not1_saveexec_b32 s2, s2
	s_cbranch_execz .LBB76_690
; %bb.689:
	v_mov_b32_e32 v172, 32
	ds_store_2addr_b64 v166, v[20:21], v[22:23] offset0:66 offset1:67
	ds_store_2addr_b64 v166, v[16:17], v[18:19] offset0:68 offset1:69
	;; [unrolled: 1-line block ×6, first 2 shown]
.LBB76_690:
	s_or_b32 exec_lo, exec_lo, s2
	s_delay_alu instid0(SALU_CYCLE_1)
	s_mov_b32 s2, exec_lo
	s_waitcnt lgkmcnt(0)
	s_waitcnt_vscnt null, 0x0
	s_barrier
	buffer_gl0_inv
	v_cmpx_lt_i32_e32 32, v172
	s_cbranch_execz .LBB76_692
; %bb.691:
	v_mul_f64 v[164:165], v[156:157], v[26:27]
	v_mul_f64 v[26:27], v[158:159], v[26:27]
	ds_load_2addr_b64 v[173:176], v166 offset0:66 offset1:67
	ds_load_2addr_b64 v[177:180], v166 offset0:68 offset1:69
	;; [unrolled: 1-line block ×6, first 2 shown]
	v_fma_f64 v[158:159], v[158:159], v[24:25], v[164:165]
	v_fma_f64 v[24:25], v[156:157], v[24:25], -v[26:27]
	s_waitcnt lgkmcnt(5)
	s_delay_alu instid0(VALU_DEP_2)
	v_mul_f64 v[26:27], v[175:176], v[158:159]
	v_mul_f64 v[156:157], v[173:174], v[158:159]
	s_waitcnt lgkmcnt(4)
	v_mul_f64 v[164:165], v[179:180], v[158:159]
	v_mul_f64 v[197:198], v[177:178], v[158:159]
	s_waitcnt lgkmcnt(3)
	;; [unrolled: 3-line block ×5, first 2 shown]
	v_mul_f64 v[211:212], v[195:196], v[158:159]
	v_mul_f64 v[213:214], v[193:194], v[158:159]
	v_fma_f64 v[26:27], v[173:174], v[24:25], -v[26:27]
	v_fma_f64 v[156:157], v[175:176], v[24:25], v[156:157]
	v_fma_f64 v[164:165], v[177:178], v[24:25], -v[164:165]
	v_fma_f64 v[173:174], v[179:180], v[24:25], v[197:198]
	;; [unrolled: 2-line block ×6, first 2 shown]
	v_add_f64 v[20:21], v[20:21], -v[26:27]
	v_add_f64 v[22:23], v[22:23], -v[156:157]
	;; [unrolled: 1-line block ×12, first 2 shown]
	v_dual_mov_b32 v26, v158 :: v_dual_mov_b32 v27, v159
.LBB76_692:
	s_or_b32 exec_lo, exec_lo, s2
	v_lshl_add_u32 v156, v172, 4, v166
	s_barrier
	buffer_gl0_inv
	v_mov_b32_e32 v164, 33
	ds_store_2addr_b64 v156, v[20:21], v[22:23] offset1:1
	s_waitcnt lgkmcnt(0)
	s_barrier
	buffer_gl0_inv
	ds_load_2addr_b64 v[156:159], v166 offset0:66 offset1:67
	s_cmp_lt_i32 s5, 35
	s_cbranch_scc1 .LBB76_695
; %bb.693:
	v_add3_u32 v165, v170, 0, 0x220
	v_mov_b32_e32 v164, 33
	s_mov_b32 s6, 34
	s_set_inst_prefetch_distance 0x1
	.p2align	6
.LBB76_694:                             ; =>This Inner Loop Header: Depth=1
	ds_load_2addr_b64 v[173:176], v165 offset1:1
	s_waitcnt lgkmcnt(1)
	v_cmp_gt_f64_e32 vcc_lo, 0, v[156:157]
	v_xor_b32_e32 v177, 0x80000000, v157
	v_cmp_gt_f64_e64 s2, 0, v[158:159]
	v_xor_b32_e32 v179, 0x80000000, v159
	v_add_nc_u32_e32 v165, 16, v165
	s_waitcnt lgkmcnt(0)
	v_cmp_gt_f64_e64 s3, 0, v[173:174]
	v_mov_b32_e32 v181, v173
	v_dual_mov_b32 v183, v175 :: v_dual_cndmask_b32 v178, v157, v177
	v_xor_b32_e32 v177, 0x80000000, v174
	v_cndmask_b32_e64 v180, v159, v179, s2
	v_xor_b32_e32 v179, 0x80000000, v176
	s_delay_alu instid0(VALU_DEP_3) | instskip(SKIP_2) | instid1(VALU_DEP_2)
	v_cndmask_b32_e64 v182, v174, v177, s3
	v_cmp_gt_f64_e64 s3, 0, v[175:176]
	v_cndmask_b32_e32 v177, v156, v156, vcc_lo
	v_cndmask_b32_e64 v184, v176, v179, s3
	v_cndmask_b32_e64 v179, v158, v158, s2
	s_delay_alu instid0(VALU_DEP_2) | instskip(NEXT) | instid1(VALU_DEP_2)
	v_add_f64 v[181:182], v[181:182], v[183:184]
	v_add_f64 v[177:178], v[177:178], v[179:180]
	s_delay_alu instid0(VALU_DEP_1) | instskip(SKIP_4) | instid1(SALU_CYCLE_1)
	v_cmp_lt_f64_e32 vcc_lo, v[177:178], v[181:182]
	v_dual_cndmask_b32 v158, v158, v175 :: v_dual_cndmask_b32 v157, v157, v174
	v_dual_cndmask_b32 v156, v156, v173 :: v_dual_cndmask_b32 v159, v159, v176
	v_cndmask_b32_e64 v164, v164, s6, vcc_lo
	s_add_i32 s6, s6, 1
	s_cmp_lg_u32 s5, s6
	s_cbranch_scc1 .LBB76_694
.LBB76_695:
	s_set_inst_prefetch_distance 0x2
	s_waitcnt lgkmcnt(0)
	v_cmp_eq_f64_e32 vcc_lo, 0, v[156:157]
	v_cmp_eq_f64_e64 s2, 0, v[158:159]
	s_delay_alu instid0(VALU_DEP_1) | instskip(NEXT) | instid1(SALU_CYCLE_1)
	s_and_b32 s2, vcc_lo, s2
	s_and_saveexec_b32 s3, s2
	s_delay_alu instid0(SALU_CYCLE_1)
	s_xor_b32 s2, exec_lo, s3
; %bb.696:
	v_cmp_ne_u32_e32 vcc_lo, 0, v169
	v_cndmask_b32_e32 v169, 34, v169, vcc_lo
; %bb.697:
	s_and_not1_saveexec_b32 s3, s2
	s_cbranch_execz .LBB76_703
; %bb.698:
	v_cmp_gt_f64_e32 vcc_lo, 0, v[156:157]
	v_cmp_gt_f64_e64 s2, 0, v[158:159]
	v_xor_b32_e32 v165, 0x80000000, v157
	v_xor_b32_e32 v173, 0x80000000, v159
	s_delay_alu instid0(VALU_DEP_2) | instskip(NEXT) | instid1(VALU_DEP_2)
	v_cndmask_b32_e32 v174, v157, v165, vcc_lo
	v_cndmask_b32_e64 v176, v159, v173, s2
	v_cndmask_b32_e32 v173, v156, v156, vcc_lo
	v_cndmask_b32_e64 v175, v158, v158, s2
	s_mov_b32 s2, exec_lo
	s_delay_alu instid0(VALU_DEP_1)
	v_cmpx_ngt_f64_e32 v[173:174], v[175:176]
	s_xor_b32 s2, exec_lo, s2
	s_cbranch_execz .LBB76_700
; %bb.699:
	v_div_scale_f64 v[173:174], null, v[158:159], v[158:159], v[156:157]
	v_div_scale_f64 v[179:180], vcc_lo, v[156:157], v[158:159], v[156:157]
	s_delay_alu instid0(VALU_DEP_2) | instskip(SKIP_2) | instid1(VALU_DEP_1)
	v_rcp_f64_e32 v[175:176], v[173:174]
	s_waitcnt_depctr 0xfff
	v_fma_f64 v[177:178], -v[173:174], v[175:176], 1.0
	v_fma_f64 v[175:176], v[175:176], v[177:178], v[175:176]
	s_delay_alu instid0(VALU_DEP_1) | instskip(NEXT) | instid1(VALU_DEP_1)
	v_fma_f64 v[177:178], -v[173:174], v[175:176], 1.0
	v_fma_f64 v[175:176], v[175:176], v[177:178], v[175:176]
	s_delay_alu instid0(VALU_DEP_1) | instskip(NEXT) | instid1(VALU_DEP_1)
	v_mul_f64 v[177:178], v[179:180], v[175:176]
	v_fma_f64 v[173:174], -v[173:174], v[177:178], v[179:180]
	s_delay_alu instid0(VALU_DEP_1) | instskip(NEXT) | instid1(VALU_DEP_1)
	v_div_fmas_f64 v[173:174], v[173:174], v[175:176], v[177:178]
	v_div_fixup_f64 v[173:174], v[173:174], v[158:159], v[156:157]
	s_delay_alu instid0(VALU_DEP_1) | instskip(NEXT) | instid1(VALU_DEP_1)
	v_fma_f64 v[156:157], v[156:157], v[173:174], v[158:159]
	v_div_scale_f64 v[158:159], null, v[156:157], v[156:157], 1.0
	s_delay_alu instid0(VALU_DEP_1) | instskip(SKIP_2) | instid1(VALU_DEP_1)
	v_rcp_f64_e32 v[175:176], v[158:159]
	s_waitcnt_depctr 0xfff
	v_fma_f64 v[177:178], -v[158:159], v[175:176], 1.0
	v_fma_f64 v[175:176], v[175:176], v[177:178], v[175:176]
	s_delay_alu instid0(VALU_DEP_1) | instskip(NEXT) | instid1(VALU_DEP_1)
	v_fma_f64 v[177:178], -v[158:159], v[175:176], 1.0
	v_fma_f64 v[175:176], v[175:176], v[177:178], v[175:176]
	v_div_scale_f64 v[177:178], vcc_lo, 1.0, v[156:157], 1.0
	s_delay_alu instid0(VALU_DEP_1) | instskip(NEXT) | instid1(VALU_DEP_1)
	v_mul_f64 v[179:180], v[177:178], v[175:176]
	v_fma_f64 v[158:159], -v[158:159], v[179:180], v[177:178]
	s_delay_alu instid0(VALU_DEP_1) | instskip(NEXT) | instid1(VALU_DEP_1)
	v_div_fmas_f64 v[158:159], v[158:159], v[175:176], v[179:180]
	v_div_fixup_f64 v[158:159], v[158:159], v[156:157], 1.0
	s_delay_alu instid0(VALU_DEP_1)
	v_mul_f64 v[156:157], v[173:174], v[158:159]
	v_xor_b32_e32 v159, 0x80000000, v159
.LBB76_700:
	s_and_not1_saveexec_b32 s2, s2
	s_cbranch_execz .LBB76_702
; %bb.701:
	s_delay_alu instid0(VALU_DEP_1) | instskip(SKIP_1) | instid1(VALU_DEP_2)
	v_div_scale_f64 v[173:174], null, v[156:157], v[156:157], v[158:159]
	v_div_scale_f64 v[179:180], vcc_lo, v[158:159], v[156:157], v[158:159]
	v_rcp_f64_e32 v[175:176], v[173:174]
	s_waitcnt_depctr 0xfff
	v_fma_f64 v[177:178], -v[173:174], v[175:176], 1.0
	s_delay_alu instid0(VALU_DEP_1) | instskip(NEXT) | instid1(VALU_DEP_1)
	v_fma_f64 v[175:176], v[175:176], v[177:178], v[175:176]
	v_fma_f64 v[177:178], -v[173:174], v[175:176], 1.0
	s_delay_alu instid0(VALU_DEP_1) | instskip(NEXT) | instid1(VALU_DEP_1)
	v_fma_f64 v[175:176], v[175:176], v[177:178], v[175:176]
	v_mul_f64 v[177:178], v[179:180], v[175:176]
	s_delay_alu instid0(VALU_DEP_1) | instskip(NEXT) | instid1(VALU_DEP_1)
	v_fma_f64 v[173:174], -v[173:174], v[177:178], v[179:180]
	v_div_fmas_f64 v[173:174], v[173:174], v[175:176], v[177:178]
	s_delay_alu instid0(VALU_DEP_1) | instskip(NEXT) | instid1(VALU_DEP_1)
	v_div_fixup_f64 v[173:174], v[173:174], v[156:157], v[158:159]
	v_fma_f64 v[156:157], v[158:159], v[173:174], v[156:157]
	s_delay_alu instid0(VALU_DEP_1) | instskip(NEXT) | instid1(VALU_DEP_1)
	v_div_scale_f64 v[158:159], null, v[156:157], v[156:157], 1.0
	v_rcp_f64_e32 v[175:176], v[158:159]
	s_waitcnt_depctr 0xfff
	v_fma_f64 v[177:178], -v[158:159], v[175:176], 1.0
	s_delay_alu instid0(VALU_DEP_1) | instskip(NEXT) | instid1(VALU_DEP_1)
	v_fma_f64 v[175:176], v[175:176], v[177:178], v[175:176]
	v_fma_f64 v[177:178], -v[158:159], v[175:176], 1.0
	s_delay_alu instid0(VALU_DEP_1) | instskip(SKIP_1) | instid1(VALU_DEP_1)
	v_fma_f64 v[175:176], v[175:176], v[177:178], v[175:176]
	v_div_scale_f64 v[177:178], vcc_lo, 1.0, v[156:157], 1.0
	v_mul_f64 v[179:180], v[177:178], v[175:176]
	s_delay_alu instid0(VALU_DEP_1) | instskip(NEXT) | instid1(VALU_DEP_1)
	v_fma_f64 v[158:159], -v[158:159], v[179:180], v[177:178]
	v_div_fmas_f64 v[158:159], v[158:159], v[175:176], v[179:180]
	s_delay_alu instid0(VALU_DEP_1) | instskip(NEXT) | instid1(VALU_DEP_1)
	v_div_fixup_f64 v[156:157], v[158:159], v[156:157], 1.0
	v_mul_f64 v[158:159], v[173:174], -v[156:157]
.LBB76_702:
	s_or_b32 exec_lo, exec_lo, s2
.LBB76_703:
	s_delay_alu instid0(SALU_CYCLE_1) | instskip(NEXT) | instid1(SALU_CYCLE_1)
	s_or_b32 exec_lo, exec_lo, s3
	s_mov_b32 s2, exec_lo
	v_cmpx_ne_u32_e64 v172, v164
	s_xor_b32 s2, exec_lo, s2
	s_cbranch_execz .LBB76_709
; %bb.704:
	s_mov_b32 s3, exec_lo
	v_cmpx_eq_u32_e32 33, v172
	s_cbranch_execz .LBB76_708
; %bb.705:
	v_cmp_ne_u32_e32 vcc_lo, 33, v164
	s_xor_b32 s6, s4, -1
	s_delay_alu instid0(SALU_CYCLE_1) | instskip(NEXT) | instid1(SALU_CYCLE_1)
	s_and_b32 s7, s6, vcc_lo
	s_and_saveexec_b32 s6, s7
	s_cbranch_execz .LBB76_707
; %bb.706:
	v_ashrrev_i32_e32 v165, 31, v164
	s_delay_alu instid0(VALU_DEP_1) | instskip(NEXT) | instid1(VALU_DEP_1)
	v_lshlrev_b64 v[171:172], 2, v[164:165]
	v_add_co_u32 v171, vcc_lo, v162, v171
	s_delay_alu instid0(VALU_DEP_2)
	v_add_co_ci_u32_e32 v172, vcc_lo, v163, v172, vcc_lo
	s_clause 0x1
	flat_load_b32 v165, v[171:172]
	flat_load_b32 v173, v[162:163] offset:132
	s_waitcnt vmcnt(1) lgkmcnt(1)
	flat_store_b32 v[162:163], v165 offset:132
	s_waitcnt vmcnt(0) lgkmcnt(1)
	flat_store_b32 v[171:172], v173
.LBB76_707:
	s_or_b32 exec_lo, exec_lo, s6
	v_mov_b32_e32 v172, v164
	v_mov_b32_e32 v171, v164
.LBB76_708:
	s_or_b32 exec_lo, exec_lo, s3
.LBB76_709:
	s_and_not1_saveexec_b32 s2, s2
	s_cbranch_execz .LBB76_711
; %bb.710:
	v_mov_b32_e32 v172, 33
	ds_store_2addr_b64 v166, v[16:17], v[18:19] offset0:68 offset1:69
	ds_store_2addr_b64 v166, v[12:13], v[14:15] offset0:70 offset1:71
	;; [unrolled: 1-line block ×5, first 2 shown]
.LBB76_711:
	s_or_b32 exec_lo, exec_lo, s2
	s_delay_alu instid0(SALU_CYCLE_1)
	s_mov_b32 s2, exec_lo
	s_waitcnt lgkmcnt(0)
	s_waitcnt_vscnt null, 0x0
	s_barrier
	buffer_gl0_inv
	v_cmpx_lt_i32_e32 33, v172
	s_cbranch_execz .LBB76_713
; %bb.712:
	v_mul_f64 v[164:165], v[156:157], v[22:23]
	v_mul_f64 v[22:23], v[158:159], v[22:23]
	ds_load_2addr_b64 v[173:176], v166 offset0:68 offset1:69
	ds_load_2addr_b64 v[177:180], v166 offset0:70 offset1:71
	;; [unrolled: 1-line block ×5, first 2 shown]
	v_fma_f64 v[158:159], v[158:159], v[20:21], v[164:165]
	v_fma_f64 v[20:21], v[156:157], v[20:21], -v[22:23]
	s_waitcnt lgkmcnt(4)
	s_delay_alu instid0(VALU_DEP_2)
	v_mul_f64 v[22:23], v[175:176], v[158:159]
	v_mul_f64 v[156:157], v[173:174], v[158:159]
	s_waitcnt lgkmcnt(3)
	v_mul_f64 v[164:165], v[179:180], v[158:159]
	v_mul_f64 v[193:194], v[177:178], v[158:159]
	s_waitcnt lgkmcnt(2)
	;; [unrolled: 3-line block ×4, first 2 shown]
	v_mul_f64 v[203:204], v[191:192], v[158:159]
	v_mul_f64 v[205:206], v[189:190], v[158:159]
	v_fma_f64 v[22:23], v[173:174], v[20:21], -v[22:23]
	v_fma_f64 v[156:157], v[175:176], v[20:21], v[156:157]
	v_fma_f64 v[164:165], v[177:178], v[20:21], -v[164:165]
	v_fma_f64 v[173:174], v[179:180], v[20:21], v[193:194]
	;; [unrolled: 2-line block ×5, first 2 shown]
	v_add_f64 v[16:17], v[16:17], -v[22:23]
	v_add_f64 v[18:19], v[18:19], -v[156:157]
	;; [unrolled: 1-line block ×10, first 2 shown]
	v_dual_mov_b32 v22, v158 :: v_dual_mov_b32 v23, v159
.LBB76_713:
	s_or_b32 exec_lo, exec_lo, s2
	v_lshl_add_u32 v156, v172, 4, v166
	s_barrier
	buffer_gl0_inv
	v_mov_b32_e32 v164, 34
	ds_store_2addr_b64 v156, v[16:17], v[18:19] offset1:1
	s_waitcnt lgkmcnt(0)
	s_barrier
	buffer_gl0_inv
	ds_load_2addr_b64 v[156:159], v166 offset0:68 offset1:69
	s_cmp_lt_i32 s5, 36
	s_cbranch_scc1 .LBB76_716
; %bb.714:
	v_add3_u32 v165, v170, 0, 0x230
	v_mov_b32_e32 v164, 34
	s_mov_b32 s6, 35
	s_set_inst_prefetch_distance 0x1
	.p2align	6
.LBB76_715:                             ; =>This Inner Loop Header: Depth=1
	ds_load_2addr_b64 v[173:176], v165 offset1:1
	s_waitcnt lgkmcnt(1)
	v_cmp_gt_f64_e32 vcc_lo, 0, v[156:157]
	v_xor_b32_e32 v177, 0x80000000, v157
	v_cmp_gt_f64_e64 s2, 0, v[158:159]
	v_xor_b32_e32 v179, 0x80000000, v159
	v_add_nc_u32_e32 v165, 16, v165
	s_waitcnt lgkmcnt(0)
	v_cmp_gt_f64_e64 s3, 0, v[173:174]
	v_mov_b32_e32 v181, v173
	v_dual_mov_b32 v183, v175 :: v_dual_cndmask_b32 v178, v157, v177
	v_xor_b32_e32 v177, 0x80000000, v174
	v_cndmask_b32_e64 v180, v159, v179, s2
	v_xor_b32_e32 v179, 0x80000000, v176
	s_delay_alu instid0(VALU_DEP_3) | instskip(SKIP_2) | instid1(VALU_DEP_2)
	v_cndmask_b32_e64 v182, v174, v177, s3
	v_cmp_gt_f64_e64 s3, 0, v[175:176]
	v_cndmask_b32_e32 v177, v156, v156, vcc_lo
	v_cndmask_b32_e64 v184, v176, v179, s3
	v_cndmask_b32_e64 v179, v158, v158, s2
	s_delay_alu instid0(VALU_DEP_2) | instskip(NEXT) | instid1(VALU_DEP_2)
	v_add_f64 v[181:182], v[181:182], v[183:184]
	v_add_f64 v[177:178], v[177:178], v[179:180]
	s_delay_alu instid0(VALU_DEP_1) | instskip(SKIP_4) | instid1(SALU_CYCLE_1)
	v_cmp_lt_f64_e32 vcc_lo, v[177:178], v[181:182]
	v_dual_cndmask_b32 v158, v158, v175 :: v_dual_cndmask_b32 v157, v157, v174
	v_dual_cndmask_b32 v156, v156, v173 :: v_dual_cndmask_b32 v159, v159, v176
	v_cndmask_b32_e64 v164, v164, s6, vcc_lo
	s_add_i32 s6, s6, 1
	s_cmp_lg_u32 s5, s6
	s_cbranch_scc1 .LBB76_715
.LBB76_716:
	s_set_inst_prefetch_distance 0x2
	s_waitcnt lgkmcnt(0)
	v_cmp_eq_f64_e32 vcc_lo, 0, v[156:157]
	v_cmp_eq_f64_e64 s2, 0, v[158:159]
	s_delay_alu instid0(VALU_DEP_1) | instskip(NEXT) | instid1(SALU_CYCLE_1)
	s_and_b32 s2, vcc_lo, s2
	s_and_saveexec_b32 s3, s2
	s_delay_alu instid0(SALU_CYCLE_1)
	s_xor_b32 s2, exec_lo, s3
; %bb.717:
	v_cmp_ne_u32_e32 vcc_lo, 0, v169
	v_cndmask_b32_e32 v169, 35, v169, vcc_lo
; %bb.718:
	s_and_not1_saveexec_b32 s3, s2
	s_cbranch_execz .LBB76_724
; %bb.719:
	v_cmp_gt_f64_e32 vcc_lo, 0, v[156:157]
	v_cmp_gt_f64_e64 s2, 0, v[158:159]
	v_xor_b32_e32 v165, 0x80000000, v157
	v_xor_b32_e32 v173, 0x80000000, v159
	s_delay_alu instid0(VALU_DEP_2) | instskip(NEXT) | instid1(VALU_DEP_2)
	v_cndmask_b32_e32 v174, v157, v165, vcc_lo
	v_cndmask_b32_e64 v176, v159, v173, s2
	v_cndmask_b32_e32 v173, v156, v156, vcc_lo
	v_cndmask_b32_e64 v175, v158, v158, s2
	s_mov_b32 s2, exec_lo
	s_delay_alu instid0(VALU_DEP_1)
	v_cmpx_ngt_f64_e32 v[173:174], v[175:176]
	s_xor_b32 s2, exec_lo, s2
	s_cbranch_execz .LBB76_721
; %bb.720:
	v_div_scale_f64 v[173:174], null, v[158:159], v[158:159], v[156:157]
	v_div_scale_f64 v[179:180], vcc_lo, v[156:157], v[158:159], v[156:157]
	s_delay_alu instid0(VALU_DEP_2) | instskip(SKIP_2) | instid1(VALU_DEP_1)
	v_rcp_f64_e32 v[175:176], v[173:174]
	s_waitcnt_depctr 0xfff
	v_fma_f64 v[177:178], -v[173:174], v[175:176], 1.0
	v_fma_f64 v[175:176], v[175:176], v[177:178], v[175:176]
	s_delay_alu instid0(VALU_DEP_1) | instskip(NEXT) | instid1(VALU_DEP_1)
	v_fma_f64 v[177:178], -v[173:174], v[175:176], 1.0
	v_fma_f64 v[175:176], v[175:176], v[177:178], v[175:176]
	s_delay_alu instid0(VALU_DEP_1) | instskip(NEXT) | instid1(VALU_DEP_1)
	v_mul_f64 v[177:178], v[179:180], v[175:176]
	v_fma_f64 v[173:174], -v[173:174], v[177:178], v[179:180]
	s_delay_alu instid0(VALU_DEP_1) | instskip(NEXT) | instid1(VALU_DEP_1)
	v_div_fmas_f64 v[173:174], v[173:174], v[175:176], v[177:178]
	v_div_fixup_f64 v[173:174], v[173:174], v[158:159], v[156:157]
	s_delay_alu instid0(VALU_DEP_1) | instskip(NEXT) | instid1(VALU_DEP_1)
	v_fma_f64 v[156:157], v[156:157], v[173:174], v[158:159]
	v_div_scale_f64 v[158:159], null, v[156:157], v[156:157], 1.0
	s_delay_alu instid0(VALU_DEP_1) | instskip(SKIP_2) | instid1(VALU_DEP_1)
	v_rcp_f64_e32 v[175:176], v[158:159]
	s_waitcnt_depctr 0xfff
	v_fma_f64 v[177:178], -v[158:159], v[175:176], 1.0
	v_fma_f64 v[175:176], v[175:176], v[177:178], v[175:176]
	s_delay_alu instid0(VALU_DEP_1) | instskip(NEXT) | instid1(VALU_DEP_1)
	v_fma_f64 v[177:178], -v[158:159], v[175:176], 1.0
	v_fma_f64 v[175:176], v[175:176], v[177:178], v[175:176]
	v_div_scale_f64 v[177:178], vcc_lo, 1.0, v[156:157], 1.0
	s_delay_alu instid0(VALU_DEP_1) | instskip(NEXT) | instid1(VALU_DEP_1)
	v_mul_f64 v[179:180], v[177:178], v[175:176]
	v_fma_f64 v[158:159], -v[158:159], v[179:180], v[177:178]
	s_delay_alu instid0(VALU_DEP_1) | instskip(NEXT) | instid1(VALU_DEP_1)
	v_div_fmas_f64 v[158:159], v[158:159], v[175:176], v[179:180]
	v_div_fixup_f64 v[158:159], v[158:159], v[156:157], 1.0
	s_delay_alu instid0(VALU_DEP_1)
	v_mul_f64 v[156:157], v[173:174], v[158:159]
	v_xor_b32_e32 v159, 0x80000000, v159
.LBB76_721:
	s_and_not1_saveexec_b32 s2, s2
	s_cbranch_execz .LBB76_723
; %bb.722:
	s_delay_alu instid0(VALU_DEP_1) | instskip(SKIP_1) | instid1(VALU_DEP_2)
	v_div_scale_f64 v[173:174], null, v[156:157], v[156:157], v[158:159]
	v_div_scale_f64 v[179:180], vcc_lo, v[158:159], v[156:157], v[158:159]
	v_rcp_f64_e32 v[175:176], v[173:174]
	s_waitcnt_depctr 0xfff
	v_fma_f64 v[177:178], -v[173:174], v[175:176], 1.0
	s_delay_alu instid0(VALU_DEP_1) | instskip(NEXT) | instid1(VALU_DEP_1)
	v_fma_f64 v[175:176], v[175:176], v[177:178], v[175:176]
	v_fma_f64 v[177:178], -v[173:174], v[175:176], 1.0
	s_delay_alu instid0(VALU_DEP_1) | instskip(NEXT) | instid1(VALU_DEP_1)
	v_fma_f64 v[175:176], v[175:176], v[177:178], v[175:176]
	v_mul_f64 v[177:178], v[179:180], v[175:176]
	s_delay_alu instid0(VALU_DEP_1) | instskip(NEXT) | instid1(VALU_DEP_1)
	v_fma_f64 v[173:174], -v[173:174], v[177:178], v[179:180]
	v_div_fmas_f64 v[173:174], v[173:174], v[175:176], v[177:178]
	s_delay_alu instid0(VALU_DEP_1) | instskip(NEXT) | instid1(VALU_DEP_1)
	v_div_fixup_f64 v[173:174], v[173:174], v[156:157], v[158:159]
	v_fma_f64 v[156:157], v[158:159], v[173:174], v[156:157]
	s_delay_alu instid0(VALU_DEP_1) | instskip(NEXT) | instid1(VALU_DEP_1)
	v_div_scale_f64 v[158:159], null, v[156:157], v[156:157], 1.0
	v_rcp_f64_e32 v[175:176], v[158:159]
	s_waitcnt_depctr 0xfff
	v_fma_f64 v[177:178], -v[158:159], v[175:176], 1.0
	s_delay_alu instid0(VALU_DEP_1) | instskip(NEXT) | instid1(VALU_DEP_1)
	v_fma_f64 v[175:176], v[175:176], v[177:178], v[175:176]
	v_fma_f64 v[177:178], -v[158:159], v[175:176], 1.0
	s_delay_alu instid0(VALU_DEP_1) | instskip(SKIP_1) | instid1(VALU_DEP_1)
	v_fma_f64 v[175:176], v[175:176], v[177:178], v[175:176]
	v_div_scale_f64 v[177:178], vcc_lo, 1.0, v[156:157], 1.0
	v_mul_f64 v[179:180], v[177:178], v[175:176]
	s_delay_alu instid0(VALU_DEP_1) | instskip(NEXT) | instid1(VALU_DEP_1)
	v_fma_f64 v[158:159], -v[158:159], v[179:180], v[177:178]
	v_div_fmas_f64 v[158:159], v[158:159], v[175:176], v[179:180]
	s_delay_alu instid0(VALU_DEP_1) | instskip(NEXT) | instid1(VALU_DEP_1)
	v_div_fixup_f64 v[156:157], v[158:159], v[156:157], 1.0
	v_mul_f64 v[158:159], v[173:174], -v[156:157]
.LBB76_723:
	s_or_b32 exec_lo, exec_lo, s2
.LBB76_724:
	s_delay_alu instid0(SALU_CYCLE_1) | instskip(NEXT) | instid1(SALU_CYCLE_1)
	s_or_b32 exec_lo, exec_lo, s3
	s_mov_b32 s2, exec_lo
	v_cmpx_ne_u32_e64 v172, v164
	s_xor_b32 s2, exec_lo, s2
	s_cbranch_execz .LBB76_730
; %bb.725:
	s_mov_b32 s3, exec_lo
	v_cmpx_eq_u32_e32 34, v172
	s_cbranch_execz .LBB76_729
; %bb.726:
	v_cmp_ne_u32_e32 vcc_lo, 34, v164
	s_xor_b32 s6, s4, -1
	s_delay_alu instid0(SALU_CYCLE_1) | instskip(NEXT) | instid1(SALU_CYCLE_1)
	s_and_b32 s7, s6, vcc_lo
	s_and_saveexec_b32 s6, s7
	s_cbranch_execz .LBB76_728
; %bb.727:
	v_ashrrev_i32_e32 v165, 31, v164
	s_delay_alu instid0(VALU_DEP_1) | instskip(NEXT) | instid1(VALU_DEP_1)
	v_lshlrev_b64 v[171:172], 2, v[164:165]
	v_add_co_u32 v171, vcc_lo, v162, v171
	s_delay_alu instid0(VALU_DEP_2)
	v_add_co_ci_u32_e32 v172, vcc_lo, v163, v172, vcc_lo
	s_clause 0x1
	flat_load_b32 v165, v[171:172]
	flat_load_b32 v173, v[162:163] offset:136
	s_waitcnt vmcnt(1) lgkmcnt(1)
	flat_store_b32 v[162:163], v165 offset:136
	s_waitcnt vmcnt(0) lgkmcnt(1)
	flat_store_b32 v[171:172], v173
.LBB76_728:
	s_or_b32 exec_lo, exec_lo, s6
	v_mov_b32_e32 v172, v164
	v_mov_b32_e32 v171, v164
.LBB76_729:
	s_or_b32 exec_lo, exec_lo, s3
.LBB76_730:
	s_and_not1_saveexec_b32 s2, s2
	s_cbranch_execz .LBB76_732
; %bb.731:
	v_mov_b32_e32 v172, 34
	ds_store_2addr_b64 v166, v[12:13], v[14:15] offset0:70 offset1:71
	ds_store_2addr_b64 v166, v[8:9], v[10:11] offset0:72 offset1:73
	;; [unrolled: 1-line block ×4, first 2 shown]
.LBB76_732:
	s_or_b32 exec_lo, exec_lo, s2
	s_delay_alu instid0(SALU_CYCLE_1)
	s_mov_b32 s2, exec_lo
	s_waitcnt lgkmcnt(0)
	s_waitcnt_vscnt null, 0x0
	s_barrier
	buffer_gl0_inv
	v_cmpx_lt_i32_e32 34, v172
	s_cbranch_execz .LBB76_734
; %bb.733:
	v_mul_f64 v[164:165], v[156:157], v[18:19]
	v_mul_f64 v[18:19], v[158:159], v[18:19]
	ds_load_2addr_b64 v[173:176], v166 offset0:70 offset1:71
	ds_load_2addr_b64 v[177:180], v166 offset0:72 offset1:73
	;; [unrolled: 1-line block ×4, first 2 shown]
	v_fma_f64 v[158:159], v[158:159], v[16:17], v[164:165]
	v_fma_f64 v[16:17], v[156:157], v[16:17], -v[18:19]
	s_waitcnt lgkmcnt(3)
	s_delay_alu instid0(VALU_DEP_2)
	v_mul_f64 v[18:19], v[175:176], v[158:159]
	v_mul_f64 v[156:157], v[173:174], v[158:159]
	s_waitcnt lgkmcnt(2)
	v_mul_f64 v[164:165], v[179:180], v[158:159]
	v_mul_f64 v[189:190], v[177:178], v[158:159]
	s_waitcnt lgkmcnt(1)
	;; [unrolled: 3-line block ×3, first 2 shown]
	v_mul_f64 v[195:196], v[187:188], v[158:159]
	v_mul_f64 v[197:198], v[185:186], v[158:159]
	v_fma_f64 v[18:19], v[173:174], v[16:17], -v[18:19]
	v_fma_f64 v[156:157], v[175:176], v[16:17], v[156:157]
	v_fma_f64 v[164:165], v[177:178], v[16:17], -v[164:165]
	v_fma_f64 v[173:174], v[179:180], v[16:17], v[189:190]
	;; [unrolled: 2-line block ×4, first 2 shown]
	v_add_f64 v[12:13], v[12:13], -v[18:19]
	v_add_f64 v[14:15], v[14:15], -v[156:157]
	;; [unrolled: 1-line block ×8, first 2 shown]
	v_dual_mov_b32 v18, v158 :: v_dual_mov_b32 v19, v159
.LBB76_734:
	s_or_b32 exec_lo, exec_lo, s2
	v_lshl_add_u32 v156, v172, 4, v166
	s_barrier
	buffer_gl0_inv
	v_mov_b32_e32 v164, 35
	ds_store_2addr_b64 v156, v[12:13], v[14:15] offset1:1
	s_waitcnt lgkmcnt(0)
	s_barrier
	buffer_gl0_inv
	ds_load_2addr_b64 v[156:159], v166 offset0:70 offset1:71
	s_cmp_lt_i32 s5, 37
	s_cbranch_scc1 .LBB76_737
; %bb.735:
	v_add3_u32 v165, v170, 0, 0x240
	v_mov_b32_e32 v164, 35
	s_mov_b32 s6, 36
	s_set_inst_prefetch_distance 0x1
	.p2align	6
.LBB76_736:                             ; =>This Inner Loop Header: Depth=1
	ds_load_2addr_b64 v[173:176], v165 offset1:1
	s_waitcnt lgkmcnt(1)
	v_cmp_gt_f64_e32 vcc_lo, 0, v[156:157]
	v_xor_b32_e32 v177, 0x80000000, v157
	v_cmp_gt_f64_e64 s2, 0, v[158:159]
	v_xor_b32_e32 v179, 0x80000000, v159
	v_add_nc_u32_e32 v165, 16, v165
	s_waitcnt lgkmcnt(0)
	v_cmp_gt_f64_e64 s3, 0, v[173:174]
	v_mov_b32_e32 v181, v173
	v_dual_mov_b32 v183, v175 :: v_dual_cndmask_b32 v178, v157, v177
	v_xor_b32_e32 v177, 0x80000000, v174
	v_cndmask_b32_e64 v180, v159, v179, s2
	v_xor_b32_e32 v179, 0x80000000, v176
	s_delay_alu instid0(VALU_DEP_3) | instskip(SKIP_2) | instid1(VALU_DEP_2)
	v_cndmask_b32_e64 v182, v174, v177, s3
	v_cmp_gt_f64_e64 s3, 0, v[175:176]
	v_cndmask_b32_e32 v177, v156, v156, vcc_lo
	v_cndmask_b32_e64 v184, v176, v179, s3
	v_cndmask_b32_e64 v179, v158, v158, s2
	s_delay_alu instid0(VALU_DEP_2) | instskip(NEXT) | instid1(VALU_DEP_2)
	v_add_f64 v[181:182], v[181:182], v[183:184]
	v_add_f64 v[177:178], v[177:178], v[179:180]
	s_delay_alu instid0(VALU_DEP_1) | instskip(SKIP_4) | instid1(SALU_CYCLE_1)
	v_cmp_lt_f64_e32 vcc_lo, v[177:178], v[181:182]
	v_dual_cndmask_b32 v158, v158, v175 :: v_dual_cndmask_b32 v157, v157, v174
	v_dual_cndmask_b32 v156, v156, v173 :: v_dual_cndmask_b32 v159, v159, v176
	v_cndmask_b32_e64 v164, v164, s6, vcc_lo
	s_add_i32 s6, s6, 1
	s_cmp_lg_u32 s5, s6
	s_cbranch_scc1 .LBB76_736
.LBB76_737:
	s_set_inst_prefetch_distance 0x2
	s_waitcnt lgkmcnt(0)
	v_cmp_eq_f64_e32 vcc_lo, 0, v[156:157]
	v_cmp_eq_f64_e64 s2, 0, v[158:159]
	s_delay_alu instid0(VALU_DEP_1) | instskip(NEXT) | instid1(SALU_CYCLE_1)
	s_and_b32 s2, vcc_lo, s2
	s_and_saveexec_b32 s3, s2
	s_delay_alu instid0(SALU_CYCLE_1)
	s_xor_b32 s2, exec_lo, s3
; %bb.738:
	v_cmp_ne_u32_e32 vcc_lo, 0, v169
	v_cndmask_b32_e32 v169, 36, v169, vcc_lo
; %bb.739:
	s_and_not1_saveexec_b32 s3, s2
	s_cbranch_execz .LBB76_745
; %bb.740:
	v_cmp_gt_f64_e32 vcc_lo, 0, v[156:157]
	v_cmp_gt_f64_e64 s2, 0, v[158:159]
	v_xor_b32_e32 v165, 0x80000000, v157
	v_xor_b32_e32 v173, 0x80000000, v159
	s_delay_alu instid0(VALU_DEP_2) | instskip(NEXT) | instid1(VALU_DEP_2)
	v_cndmask_b32_e32 v174, v157, v165, vcc_lo
	v_cndmask_b32_e64 v176, v159, v173, s2
	v_cndmask_b32_e32 v173, v156, v156, vcc_lo
	v_cndmask_b32_e64 v175, v158, v158, s2
	s_mov_b32 s2, exec_lo
	s_delay_alu instid0(VALU_DEP_1)
	v_cmpx_ngt_f64_e32 v[173:174], v[175:176]
	s_xor_b32 s2, exec_lo, s2
	s_cbranch_execz .LBB76_742
; %bb.741:
	v_div_scale_f64 v[173:174], null, v[158:159], v[158:159], v[156:157]
	v_div_scale_f64 v[179:180], vcc_lo, v[156:157], v[158:159], v[156:157]
	s_delay_alu instid0(VALU_DEP_2) | instskip(SKIP_2) | instid1(VALU_DEP_1)
	v_rcp_f64_e32 v[175:176], v[173:174]
	s_waitcnt_depctr 0xfff
	v_fma_f64 v[177:178], -v[173:174], v[175:176], 1.0
	v_fma_f64 v[175:176], v[175:176], v[177:178], v[175:176]
	s_delay_alu instid0(VALU_DEP_1) | instskip(NEXT) | instid1(VALU_DEP_1)
	v_fma_f64 v[177:178], -v[173:174], v[175:176], 1.0
	v_fma_f64 v[175:176], v[175:176], v[177:178], v[175:176]
	s_delay_alu instid0(VALU_DEP_1) | instskip(NEXT) | instid1(VALU_DEP_1)
	v_mul_f64 v[177:178], v[179:180], v[175:176]
	v_fma_f64 v[173:174], -v[173:174], v[177:178], v[179:180]
	s_delay_alu instid0(VALU_DEP_1) | instskip(NEXT) | instid1(VALU_DEP_1)
	v_div_fmas_f64 v[173:174], v[173:174], v[175:176], v[177:178]
	v_div_fixup_f64 v[173:174], v[173:174], v[158:159], v[156:157]
	s_delay_alu instid0(VALU_DEP_1) | instskip(NEXT) | instid1(VALU_DEP_1)
	v_fma_f64 v[156:157], v[156:157], v[173:174], v[158:159]
	v_div_scale_f64 v[158:159], null, v[156:157], v[156:157], 1.0
	s_delay_alu instid0(VALU_DEP_1) | instskip(SKIP_2) | instid1(VALU_DEP_1)
	v_rcp_f64_e32 v[175:176], v[158:159]
	s_waitcnt_depctr 0xfff
	v_fma_f64 v[177:178], -v[158:159], v[175:176], 1.0
	v_fma_f64 v[175:176], v[175:176], v[177:178], v[175:176]
	s_delay_alu instid0(VALU_DEP_1) | instskip(NEXT) | instid1(VALU_DEP_1)
	v_fma_f64 v[177:178], -v[158:159], v[175:176], 1.0
	v_fma_f64 v[175:176], v[175:176], v[177:178], v[175:176]
	v_div_scale_f64 v[177:178], vcc_lo, 1.0, v[156:157], 1.0
	s_delay_alu instid0(VALU_DEP_1) | instskip(NEXT) | instid1(VALU_DEP_1)
	v_mul_f64 v[179:180], v[177:178], v[175:176]
	v_fma_f64 v[158:159], -v[158:159], v[179:180], v[177:178]
	s_delay_alu instid0(VALU_DEP_1) | instskip(NEXT) | instid1(VALU_DEP_1)
	v_div_fmas_f64 v[158:159], v[158:159], v[175:176], v[179:180]
	v_div_fixup_f64 v[158:159], v[158:159], v[156:157], 1.0
	s_delay_alu instid0(VALU_DEP_1)
	v_mul_f64 v[156:157], v[173:174], v[158:159]
	v_xor_b32_e32 v159, 0x80000000, v159
.LBB76_742:
	s_and_not1_saveexec_b32 s2, s2
	s_cbranch_execz .LBB76_744
; %bb.743:
	s_delay_alu instid0(VALU_DEP_1) | instskip(SKIP_1) | instid1(VALU_DEP_2)
	v_div_scale_f64 v[173:174], null, v[156:157], v[156:157], v[158:159]
	v_div_scale_f64 v[179:180], vcc_lo, v[158:159], v[156:157], v[158:159]
	v_rcp_f64_e32 v[175:176], v[173:174]
	s_waitcnt_depctr 0xfff
	v_fma_f64 v[177:178], -v[173:174], v[175:176], 1.0
	s_delay_alu instid0(VALU_DEP_1) | instskip(NEXT) | instid1(VALU_DEP_1)
	v_fma_f64 v[175:176], v[175:176], v[177:178], v[175:176]
	v_fma_f64 v[177:178], -v[173:174], v[175:176], 1.0
	s_delay_alu instid0(VALU_DEP_1) | instskip(NEXT) | instid1(VALU_DEP_1)
	v_fma_f64 v[175:176], v[175:176], v[177:178], v[175:176]
	v_mul_f64 v[177:178], v[179:180], v[175:176]
	s_delay_alu instid0(VALU_DEP_1) | instskip(NEXT) | instid1(VALU_DEP_1)
	v_fma_f64 v[173:174], -v[173:174], v[177:178], v[179:180]
	v_div_fmas_f64 v[173:174], v[173:174], v[175:176], v[177:178]
	s_delay_alu instid0(VALU_DEP_1) | instskip(NEXT) | instid1(VALU_DEP_1)
	v_div_fixup_f64 v[173:174], v[173:174], v[156:157], v[158:159]
	v_fma_f64 v[156:157], v[158:159], v[173:174], v[156:157]
	s_delay_alu instid0(VALU_DEP_1) | instskip(NEXT) | instid1(VALU_DEP_1)
	v_div_scale_f64 v[158:159], null, v[156:157], v[156:157], 1.0
	v_rcp_f64_e32 v[175:176], v[158:159]
	s_waitcnt_depctr 0xfff
	v_fma_f64 v[177:178], -v[158:159], v[175:176], 1.0
	s_delay_alu instid0(VALU_DEP_1) | instskip(NEXT) | instid1(VALU_DEP_1)
	v_fma_f64 v[175:176], v[175:176], v[177:178], v[175:176]
	v_fma_f64 v[177:178], -v[158:159], v[175:176], 1.0
	s_delay_alu instid0(VALU_DEP_1) | instskip(SKIP_1) | instid1(VALU_DEP_1)
	v_fma_f64 v[175:176], v[175:176], v[177:178], v[175:176]
	v_div_scale_f64 v[177:178], vcc_lo, 1.0, v[156:157], 1.0
	v_mul_f64 v[179:180], v[177:178], v[175:176]
	s_delay_alu instid0(VALU_DEP_1) | instskip(NEXT) | instid1(VALU_DEP_1)
	v_fma_f64 v[158:159], -v[158:159], v[179:180], v[177:178]
	v_div_fmas_f64 v[158:159], v[158:159], v[175:176], v[179:180]
	s_delay_alu instid0(VALU_DEP_1) | instskip(NEXT) | instid1(VALU_DEP_1)
	v_div_fixup_f64 v[156:157], v[158:159], v[156:157], 1.0
	v_mul_f64 v[158:159], v[173:174], -v[156:157]
.LBB76_744:
	s_or_b32 exec_lo, exec_lo, s2
.LBB76_745:
	s_delay_alu instid0(SALU_CYCLE_1) | instskip(NEXT) | instid1(SALU_CYCLE_1)
	s_or_b32 exec_lo, exec_lo, s3
	s_mov_b32 s2, exec_lo
	v_cmpx_ne_u32_e64 v172, v164
	s_xor_b32 s2, exec_lo, s2
	s_cbranch_execz .LBB76_751
; %bb.746:
	s_mov_b32 s3, exec_lo
	v_cmpx_eq_u32_e32 35, v172
	s_cbranch_execz .LBB76_750
; %bb.747:
	v_cmp_ne_u32_e32 vcc_lo, 35, v164
	s_xor_b32 s6, s4, -1
	s_delay_alu instid0(SALU_CYCLE_1) | instskip(NEXT) | instid1(SALU_CYCLE_1)
	s_and_b32 s7, s6, vcc_lo
	s_and_saveexec_b32 s6, s7
	s_cbranch_execz .LBB76_749
; %bb.748:
	v_ashrrev_i32_e32 v165, 31, v164
	s_delay_alu instid0(VALU_DEP_1) | instskip(NEXT) | instid1(VALU_DEP_1)
	v_lshlrev_b64 v[171:172], 2, v[164:165]
	v_add_co_u32 v171, vcc_lo, v162, v171
	s_delay_alu instid0(VALU_DEP_2)
	v_add_co_ci_u32_e32 v172, vcc_lo, v163, v172, vcc_lo
	s_clause 0x1
	flat_load_b32 v165, v[171:172]
	flat_load_b32 v173, v[162:163] offset:140
	s_waitcnt vmcnt(1) lgkmcnt(1)
	flat_store_b32 v[162:163], v165 offset:140
	s_waitcnt vmcnt(0) lgkmcnt(1)
	flat_store_b32 v[171:172], v173
.LBB76_749:
	s_or_b32 exec_lo, exec_lo, s6
	v_mov_b32_e32 v172, v164
	v_mov_b32_e32 v171, v164
.LBB76_750:
	s_or_b32 exec_lo, exec_lo, s3
.LBB76_751:
	s_and_not1_saveexec_b32 s2, s2
	s_cbranch_execz .LBB76_753
; %bb.752:
	v_mov_b32_e32 v172, 35
	ds_store_2addr_b64 v166, v[8:9], v[10:11] offset0:72 offset1:73
	ds_store_2addr_b64 v166, v[4:5], v[6:7] offset0:74 offset1:75
	;; [unrolled: 1-line block ×3, first 2 shown]
.LBB76_753:
	s_or_b32 exec_lo, exec_lo, s2
	s_delay_alu instid0(SALU_CYCLE_1)
	s_mov_b32 s2, exec_lo
	s_waitcnt lgkmcnt(0)
	s_waitcnt_vscnt null, 0x0
	s_barrier
	buffer_gl0_inv
	v_cmpx_lt_i32_e32 35, v172
	s_cbranch_execz .LBB76_755
; %bb.754:
	v_mul_f64 v[164:165], v[156:157], v[14:15]
	v_mul_f64 v[14:15], v[158:159], v[14:15]
	ds_load_2addr_b64 v[173:176], v166 offset0:72 offset1:73
	ds_load_2addr_b64 v[177:180], v166 offset0:74 offset1:75
	;; [unrolled: 1-line block ×3, first 2 shown]
	v_fma_f64 v[158:159], v[158:159], v[12:13], v[164:165]
	v_fma_f64 v[12:13], v[156:157], v[12:13], -v[14:15]
	s_waitcnt lgkmcnt(2)
	s_delay_alu instid0(VALU_DEP_2)
	v_mul_f64 v[14:15], v[175:176], v[158:159]
	v_mul_f64 v[156:157], v[173:174], v[158:159]
	s_waitcnt lgkmcnt(1)
	v_mul_f64 v[164:165], v[179:180], v[158:159]
	v_mul_f64 v[185:186], v[177:178], v[158:159]
	s_waitcnt lgkmcnt(0)
	v_mul_f64 v[187:188], v[183:184], v[158:159]
	v_mul_f64 v[189:190], v[181:182], v[158:159]
	v_fma_f64 v[14:15], v[173:174], v[12:13], -v[14:15]
	v_fma_f64 v[156:157], v[175:176], v[12:13], v[156:157]
	v_fma_f64 v[164:165], v[177:178], v[12:13], -v[164:165]
	v_fma_f64 v[173:174], v[179:180], v[12:13], v[185:186]
	;; [unrolled: 2-line block ×3, first 2 shown]
	v_add_f64 v[8:9], v[8:9], -v[14:15]
	v_add_f64 v[10:11], v[10:11], -v[156:157]
	;; [unrolled: 1-line block ×6, first 2 shown]
	v_dual_mov_b32 v14, v158 :: v_dual_mov_b32 v15, v159
.LBB76_755:
	s_or_b32 exec_lo, exec_lo, s2
	v_lshl_add_u32 v156, v172, 4, v166
	s_barrier
	buffer_gl0_inv
	v_mov_b32_e32 v164, 36
	ds_store_2addr_b64 v156, v[8:9], v[10:11] offset1:1
	s_waitcnt lgkmcnt(0)
	s_barrier
	buffer_gl0_inv
	ds_load_2addr_b64 v[156:159], v166 offset0:72 offset1:73
	s_cmp_lt_i32 s5, 38
	s_cbranch_scc1 .LBB76_758
; %bb.756:
	v_add3_u32 v165, v170, 0, 0x250
	v_mov_b32_e32 v164, 36
	s_mov_b32 s6, 37
	s_set_inst_prefetch_distance 0x1
	.p2align	6
.LBB76_757:                             ; =>This Inner Loop Header: Depth=1
	ds_load_2addr_b64 v[173:176], v165 offset1:1
	s_waitcnt lgkmcnt(1)
	v_cmp_gt_f64_e32 vcc_lo, 0, v[156:157]
	v_xor_b32_e32 v177, 0x80000000, v157
	v_cmp_gt_f64_e64 s2, 0, v[158:159]
	v_xor_b32_e32 v179, 0x80000000, v159
	v_add_nc_u32_e32 v165, 16, v165
	s_waitcnt lgkmcnt(0)
	v_cmp_gt_f64_e64 s3, 0, v[173:174]
	v_mov_b32_e32 v181, v173
	v_dual_mov_b32 v183, v175 :: v_dual_cndmask_b32 v178, v157, v177
	v_xor_b32_e32 v177, 0x80000000, v174
	v_cndmask_b32_e64 v180, v159, v179, s2
	v_xor_b32_e32 v179, 0x80000000, v176
	s_delay_alu instid0(VALU_DEP_3) | instskip(SKIP_2) | instid1(VALU_DEP_2)
	v_cndmask_b32_e64 v182, v174, v177, s3
	v_cmp_gt_f64_e64 s3, 0, v[175:176]
	v_cndmask_b32_e32 v177, v156, v156, vcc_lo
	v_cndmask_b32_e64 v184, v176, v179, s3
	v_cndmask_b32_e64 v179, v158, v158, s2
	s_delay_alu instid0(VALU_DEP_2) | instskip(NEXT) | instid1(VALU_DEP_2)
	v_add_f64 v[181:182], v[181:182], v[183:184]
	v_add_f64 v[177:178], v[177:178], v[179:180]
	s_delay_alu instid0(VALU_DEP_1) | instskip(SKIP_4) | instid1(SALU_CYCLE_1)
	v_cmp_lt_f64_e32 vcc_lo, v[177:178], v[181:182]
	v_dual_cndmask_b32 v158, v158, v175 :: v_dual_cndmask_b32 v157, v157, v174
	v_dual_cndmask_b32 v156, v156, v173 :: v_dual_cndmask_b32 v159, v159, v176
	v_cndmask_b32_e64 v164, v164, s6, vcc_lo
	s_add_i32 s6, s6, 1
	s_cmp_lg_u32 s5, s6
	s_cbranch_scc1 .LBB76_757
.LBB76_758:
	s_set_inst_prefetch_distance 0x2
	s_waitcnt lgkmcnt(0)
	v_cmp_eq_f64_e32 vcc_lo, 0, v[156:157]
	v_cmp_eq_f64_e64 s2, 0, v[158:159]
	s_delay_alu instid0(VALU_DEP_1) | instskip(NEXT) | instid1(SALU_CYCLE_1)
	s_and_b32 s2, vcc_lo, s2
	s_and_saveexec_b32 s3, s2
	s_delay_alu instid0(SALU_CYCLE_1)
	s_xor_b32 s2, exec_lo, s3
; %bb.759:
	v_cmp_ne_u32_e32 vcc_lo, 0, v169
	v_cndmask_b32_e32 v169, 37, v169, vcc_lo
; %bb.760:
	s_and_not1_saveexec_b32 s3, s2
	s_cbranch_execz .LBB76_766
; %bb.761:
	v_cmp_gt_f64_e32 vcc_lo, 0, v[156:157]
	v_cmp_gt_f64_e64 s2, 0, v[158:159]
	v_xor_b32_e32 v165, 0x80000000, v157
	v_xor_b32_e32 v173, 0x80000000, v159
	s_delay_alu instid0(VALU_DEP_2) | instskip(NEXT) | instid1(VALU_DEP_2)
	v_cndmask_b32_e32 v174, v157, v165, vcc_lo
	v_cndmask_b32_e64 v176, v159, v173, s2
	v_cndmask_b32_e32 v173, v156, v156, vcc_lo
	v_cndmask_b32_e64 v175, v158, v158, s2
	s_mov_b32 s2, exec_lo
	s_delay_alu instid0(VALU_DEP_1)
	v_cmpx_ngt_f64_e32 v[173:174], v[175:176]
	s_xor_b32 s2, exec_lo, s2
	s_cbranch_execz .LBB76_763
; %bb.762:
	v_div_scale_f64 v[173:174], null, v[158:159], v[158:159], v[156:157]
	v_div_scale_f64 v[179:180], vcc_lo, v[156:157], v[158:159], v[156:157]
	s_delay_alu instid0(VALU_DEP_2) | instskip(SKIP_2) | instid1(VALU_DEP_1)
	v_rcp_f64_e32 v[175:176], v[173:174]
	s_waitcnt_depctr 0xfff
	v_fma_f64 v[177:178], -v[173:174], v[175:176], 1.0
	v_fma_f64 v[175:176], v[175:176], v[177:178], v[175:176]
	s_delay_alu instid0(VALU_DEP_1) | instskip(NEXT) | instid1(VALU_DEP_1)
	v_fma_f64 v[177:178], -v[173:174], v[175:176], 1.0
	v_fma_f64 v[175:176], v[175:176], v[177:178], v[175:176]
	s_delay_alu instid0(VALU_DEP_1) | instskip(NEXT) | instid1(VALU_DEP_1)
	v_mul_f64 v[177:178], v[179:180], v[175:176]
	v_fma_f64 v[173:174], -v[173:174], v[177:178], v[179:180]
	s_delay_alu instid0(VALU_DEP_1) | instskip(NEXT) | instid1(VALU_DEP_1)
	v_div_fmas_f64 v[173:174], v[173:174], v[175:176], v[177:178]
	v_div_fixup_f64 v[173:174], v[173:174], v[158:159], v[156:157]
	s_delay_alu instid0(VALU_DEP_1) | instskip(NEXT) | instid1(VALU_DEP_1)
	v_fma_f64 v[156:157], v[156:157], v[173:174], v[158:159]
	v_div_scale_f64 v[158:159], null, v[156:157], v[156:157], 1.0
	s_delay_alu instid0(VALU_DEP_1) | instskip(SKIP_2) | instid1(VALU_DEP_1)
	v_rcp_f64_e32 v[175:176], v[158:159]
	s_waitcnt_depctr 0xfff
	v_fma_f64 v[177:178], -v[158:159], v[175:176], 1.0
	v_fma_f64 v[175:176], v[175:176], v[177:178], v[175:176]
	s_delay_alu instid0(VALU_DEP_1) | instskip(NEXT) | instid1(VALU_DEP_1)
	v_fma_f64 v[177:178], -v[158:159], v[175:176], 1.0
	v_fma_f64 v[175:176], v[175:176], v[177:178], v[175:176]
	v_div_scale_f64 v[177:178], vcc_lo, 1.0, v[156:157], 1.0
	s_delay_alu instid0(VALU_DEP_1) | instskip(NEXT) | instid1(VALU_DEP_1)
	v_mul_f64 v[179:180], v[177:178], v[175:176]
	v_fma_f64 v[158:159], -v[158:159], v[179:180], v[177:178]
	s_delay_alu instid0(VALU_DEP_1) | instskip(NEXT) | instid1(VALU_DEP_1)
	v_div_fmas_f64 v[158:159], v[158:159], v[175:176], v[179:180]
	v_div_fixup_f64 v[158:159], v[158:159], v[156:157], 1.0
	s_delay_alu instid0(VALU_DEP_1)
	v_mul_f64 v[156:157], v[173:174], v[158:159]
	v_xor_b32_e32 v159, 0x80000000, v159
.LBB76_763:
	s_and_not1_saveexec_b32 s2, s2
	s_cbranch_execz .LBB76_765
; %bb.764:
	s_delay_alu instid0(VALU_DEP_1) | instskip(SKIP_1) | instid1(VALU_DEP_2)
	v_div_scale_f64 v[173:174], null, v[156:157], v[156:157], v[158:159]
	v_div_scale_f64 v[179:180], vcc_lo, v[158:159], v[156:157], v[158:159]
	v_rcp_f64_e32 v[175:176], v[173:174]
	s_waitcnt_depctr 0xfff
	v_fma_f64 v[177:178], -v[173:174], v[175:176], 1.0
	s_delay_alu instid0(VALU_DEP_1) | instskip(NEXT) | instid1(VALU_DEP_1)
	v_fma_f64 v[175:176], v[175:176], v[177:178], v[175:176]
	v_fma_f64 v[177:178], -v[173:174], v[175:176], 1.0
	s_delay_alu instid0(VALU_DEP_1) | instskip(NEXT) | instid1(VALU_DEP_1)
	v_fma_f64 v[175:176], v[175:176], v[177:178], v[175:176]
	v_mul_f64 v[177:178], v[179:180], v[175:176]
	s_delay_alu instid0(VALU_DEP_1) | instskip(NEXT) | instid1(VALU_DEP_1)
	v_fma_f64 v[173:174], -v[173:174], v[177:178], v[179:180]
	v_div_fmas_f64 v[173:174], v[173:174], v[175:176], v[177:178]
	s_delay_alu instid0(VALU_DEP_1) | instskip(NEXT) | instid1(VALU_DEP_1)
	v_div_fixup_f64 v[173:174], v[173:174], v[156:157], v[158:159]
	v_fma_f64 v[156:157], v[158:159], v[173:174], v[156:157]
	s_delay_alu instid0(VALU_DEP_1) | instskip(NEXT) | instid1(VALU_DEP_1)
	v_div_scale_f64 v[158:159], null, v[156:157], v[156:157], 1.0
	v_rcp_f64_e32 v[175:176], v[158:159]
	s_waitcnt_depctr 0xfff
	v_fma_f64 v[177:178], -v[158:159], v[175:176], 1.0
	s_delay_alu instid0(VALU_DEP_1) | instskip(NEXT) | instid1(VALU_DEP_1)
	v_fma_f64 v[175:176], v[175:176], v[177:178], v[175:176]
	v_fma_f64 v[177:178], -v[158:159], v[175:176], 1.0
	s_delay_alu instid0(VALU_DEP_1) | instskip(SKIP_1) | instid1(VALU_DEP_1)
	v_fma_f64 v[175:176], v[175:176], v[177:178], v[175:176]
	v_div_scale_f64 v[177:178], vcc_lo, 1.0, v[156:157], 1.0
	v_mul_f64 v[179:180], v[177:178], v[175:176]
	s_delay_alu instid0(VALU_DEP_1) | instskip(NEXT) | instid1(VALU_DEP_1)
	v_fma_f64 v[158:159], -v[158:159], v[179:180], v[177:178]
	v_div_fmas_f64 v[158:159], v[158:159], v[175:176], v[179:180]
	s_delay_alu instid0(VALU_DEP_1) | instskip(NEXT) | instid1(VALU_DEP_1)
	v_div_fixup_f64 v[156:157], v[158:159], v[156:157], 1.0
	v_mul_f64 v[158:159], v[173:174], -v[156:157]
.LBB76_765:
	s_or_b32 exec_lo, exec_lo, s2
.LBB76_766:
	s_delay_alu instid0(SALU_CYCLE_1) | instskip(NEXT) | instid1(SALU_CYCLE_1)
	s_or_b32 exec_lo, exec_lo, s3
	s_mov_b32 s2, exec_lo
	v_cmpx_ne_u32_e64 v172, v164
	s_xor_b32 s2, exec_lo, s2
	s_cbranch_execz .LBB76_772
; %bb.767:
	s_mov_b32 s3, exec_lo
	v_cmpx_eq_u32_e32 36, v172
	s_cbranch_execz .LBB76_771
; %bb.768:
	v_cmp_ne_u32_e32 vcc_lo, 36, v164
	s_xor_b32 s6, s4, -1
	s_delay_alu instid0(SALU_CYCLE_1) | instskip(NEXT) | instid1(SALU_CYCLE_1)
	s_and_b32 s7, s6, vcc_lo
	s_and_saveexec_b32 s6, s7
	s_cbranch_execz .LBB76_770
; %bb.769:
	v_ashrrev_i32_e32 v165, 31, v164
	s_delay_alu instid0(VALU_DEP_1) | instskip(NEXT) | instid1(VALU_DEP_1)
	v_lshlrev_b64 v[171:172], 2, v[164:165]
	v_add_co_u32 v171, vcc_lo, v162, v171
	s_delay_alu instid0(VALU_DEP_2)
	v_add_co_ci_u32_e32 v172, vcc_lo, v163, v172, vcc_lo
	s_clause 0x1
	flat_load_b32 v165, v[171:172]
	flat_load_b32 v173, v[162:163] offset:144
	s_waitcnt vmcnt(1) lgkmcnt(1)
	flat_store_b32 v[162:163], v165 offset:144
	s_waitcnt vmcnt(0) lgkmcnt(1)
	flat_store_b32 v[171:172], v173
.LBB76_770:
	s_or_b32 exec_lo, exec_lo, s6
	v_mov_b32_e32 v172, v164
	v_mov_b32_e32 v171, v164
.LBB76_771:
	s_or_b32 exec_lo, exec_lo, s3
.LBB76_772:
	s_and_not1_saveexec_b32 s2, s2
	s_cbranch_execz .LBB76_774
; %bb.773:
	v_mov_b32_e32 v172, 36
	ds_store_2addr_b64 v166, v[4:5], v[6:7] offset0:74 offset1:75
	ds_store_2addr_b64 v166, v[0:1], v[2:3] offset0:76 offset1:77
.LBB76_774:
	s_or_b32 exec_lo, exec_lo, s2
	s_delay_alu instid0(SALU_CYCLE_1)
	s_mov_b32 s2, exec_lo
	s_waitcnt lgkmcnt(0)
	s_waitcnt_vscnt null, 0x0
	s_barrier
	buffer_gl0_inv
	v_cmpx_lt_i32_e32 36, v172
	s_cbranch_execz .LBB76_776
; %bb.775:
	v_mul_f64 v[164:165], v[156:157], v[10:11]
	v_mul_f64 v[10:11], v[158:159], v[10:11]
	ds_load_2addr_b64 v[173:176], v166 offset0:74 offset1:75
	ds_load_2addr_b64 v[177:180], v166 offset0:76 offset1:77
	v_fma_f64 v[158:159], v[158:159], v[8:9], v[164:165]
	v_fma_f64 v[8:9], v[156:157], v[8:9], -v[10:11]
	s_waitcnt lgkmcnt(1)
	s_delay_alu instid0(VALU_DEP_2) | instskip(SKIP_4) | instid1(VALU_DEP_4)
	v_mul_f64 v[10:11], v[175:176], v[158:159]
	v_mul_f64 v[156:157], v[173:174], v[158:159]
	s_waitcnt lgkmcnt(0)
	v_mul_f64 v[164:165], v[179:180], v[158:159]
	v_mul_f64 v[181:182], v[177:178], v[158:159]
	v_fma_f64 v[10:11], v[173:174], v[8:9], -v[10:11]
	s_delay_alu instid0(VALU_DEP_4) | instskip(NEXT) | instid1(VALU_DEP_4)
	v_fma_f64 v[156:157], v[175:176], v[8:9], v[156:157]
	v_fma_f64 v[164:165], v[177:178], v[8:9], -v[164:165]
	s_delay_alu instid0(VALU_DEP_4) | instskip(NEXT) | instid1(VALU_DEP_4)
	v_fma_f64 v[173:174], v[179:180], v[8:9], v[181:182]
	v_add_f64 v[4:5], v[4:5], -v[10:11]
	s_delay_alu instid0(VALU_DEP_4) | instskip(NEXT) | instid1(VALU_DEP_4)
	v_add_f64 v[6:7], v[6:7], -v[156:157]
	v_add_f64 v[0:1], v[0:1], -v[164:165]
	s_delay_alu instid0(VALU_DEP_4)
	v_add_f64 v[2:3], v[2:3], -v[173:174]
	v_dual_mov_b32 v10, v158 :: v_dual_mov_b32 v11, v159
.LBB76_776:
	s_or_b32 exec_lo, exec_lo, s2
	v_lshl_add_u32 v156, v172, 4, v166
	s_barrier
	buffer_gl0_inv
	v_mov_b32_e32 v164, 37
	ds_store_2addr_b64 v156, v[4:5], v[6:7] offset1:1
	s_waitcnt lgkmcnt(0)
	s_barrier
	buffer_gl0_inv
	ds_load_2addr_b64 v[156:159], v166 offset0:74 offset1:75
	s_cmp_lt_i32 s5, 39
	s_cbranch_scc1 .LBB76_779
; %bb.777:
	v_add3_u32 v165, v170, 0, 0x260
	v_mov_b32_e32 v164, 37
	s_mov_b32 s6, 38
	s_set_inst_prefetch_distance 0x1
	.p2align	6
.LBB76_778:                             ; =>This Inner Loop Header: Depth=1
	ds_load_2addr_b64 v[173:176], v165 offset1:1
	s_waitcnt lgkmcnt(1)
	v_cmp_gt_f64_e32 vcc_lo, 0, v[156:157]
	v_xor_b32_e32 v177, 0x80000000, v157
	v_cmp_gt_f64_e64 s2, 0, v[158:159]
	v_xor_b32_e32 v179, 0x80000000, v159
	v_add_nc_u32_e32 v165, 16, v165
	s_waitcnt lgkmcnt(0)
	v_cmp_gt_f64_e64 s3, 0, v[173:174]
	v_mov_b32_e32 v181, v173
	v_dual_mov_b32 v183, v175 :: v_dual_cndmask_b32 v178, v157, v177
	v_xor_b32_e32 v177, 0x80000000, v174
	v_cndmask_b32_e64 v180, v159, v179, s2
	v_xor_b32_e32 v179, 0x80000000, v176
	s_delay_alu instid0(VALU_DEP_3) | instskip(SKIP_2) | instid1(VALU_DEP_2)
	v_cndmask_b32_e64 v182, v174, v177, s3
	v_cmp_gt_f64_e64 s3, 0, v[175:176]
	v_cndmask_b32_e32 v177, v156, v156, vcc_lo
	v_cndmask_b32_e64 v184, v176, v179, s3
	v_cndmask_b32_e64 v179, v158, v158, s2
	s_delay_alu instid0(VALU_DEP_2) | instskip(NEXT) | instid1(VALU_DEP_2)
	v_add_f64 v[181:182], v[181:182], v[183:184]
	v_add_f64 v[177:178], v[177:178], v[179:180]
	s_delay_alu instid0(VALU_DEP_1) | instskip(SKIP_4) | instid1(SALU_CYCLE_1)
	v_cmp_lt_f64_e32 vcc_lo, v[177:178], v[181:182]
	v_dual_cndmask_b32 v158, v158, v175 :: v_dual_cndmask_b32 v157, v157, v174
	v_dual_cndmask_b32 v156, v156, v173 :: v_dual_cndmask_b32 v159, v159, v176
	v_cndmask_b32_e64 v164, v164, s6, vcc_lo
	s_add_i32 s6, s6, 1
	s_cmp_lg_u32 s5, s6
	s_cbranch_scc1 .LBB76_778
.LBB76_779:
	s_set_inst_prefetch_distance 0x2
	s_waitcnt lgkmcnt(0)
	v_cmp_eq_f64_e32 vcc_lo, 0, v[156:157]
	v_cmp_eq_f64_e64 s2, 0, v[158:159]
	s_delay_alu instid0(VALU_DEP_1) | instskip(NEXT) | instid1(SALU_CYCLE_1)
	s_and_b32 s2, vcc_lo, s2
	s_and_saveexec_b32 s3, s2
	s_delay_alu instid0(SALU_CYCLE_1)
	s_xor_b32 s2, exec_lo, s3
; %bb.780:
	v_cmp_ne_u32_e32 vcc_lo, 0, v169
	v_cndmask_b32_e32 v169, 38, v169, vcc_lo
; %bb.781:
	s_and_not1_saveexec_b32 s3, s2
	s_cbranch_execz .LBB76_787
; %bb.782:
	v_cmp_gt_f64_e32 vcc_lo, 0, v[156:157]
	v_cmp_gt_f64_e64 s2, 0, v[158:159]
	v_xor_b32_e32 v165, 0x80000000, v157
	v_xor_b32_e32 v173, 0x80000000, v159
	s_delay_alu instid0(VALU_DEP_2) | instskip(NEXT) | instid1(VALU_DEP_2)
	v_cndmask_b32_e32 v174, v157, v165, vcc_lo
	v_cndmask_b32_e64 v176, v159, v173, s2
	v_cndmask_b32_e32 v173, v156, v156, vcc_lo
	v_cndmask_b32_e64 v175, v158, v158, s2
	s_mov_b32 s2, exec_lo
	s_delay_alu instid0(VALU_DEP_1)
	v_cmpx_ngt_f64_e32 v[173:174], v[175:176]
	s_xor_b32 s2, exec_lo, s2
	s_cbranch_execz .LBB76_784
; %bb.783:
	v_div_scale_f64 v[173:174], null, v[158:159], v[158:159], v[156:157]
	v_div_scale_f64 v[179:180], vcc_lo, v[156:157], v[158:159], v[156:157]
	s_delay_alu instid0(VALU_DEP_2) | instskip(SKIP_2) | instid1(VALU_DEP_1)
	v_rcp_f64_e32 v[175:176], v[173:174]
	s_waitcnt_depctr 0xfff
	v_fma_f64 v[177:178], -v[173:174], v[175:176], 1.0
	v_fma_f64 v[175:176], v[175:176], v[177:178], v[175:176]
	s_delay_alu instid0(VALU_DEP_1) | instskip(NEXT) | instid1(VALU_DEP_1)
	v_fma_f64 v[177:178], -v[173:174], v[175:176], 1.0
	v_fma_f64 v[175:176], v[175:176], v[177:178], v[175:176]
	s_delay_alu instid0(VALU_DEP_1) | instskip(NEXT) | instid1(VALU_DEP_1)
	v_mul_f64 v[177:178], v[179:180], v[175:176]
	v_fma_f64 v[173:174], -v[173:174], v[177:178], v[179:180]
	s_delay_alu instid0(VALU_DEP_1) | instskip(NEXT) | instid1(VALU_DEP_1)
	v_div_fmas_f64 v[173:174], v[173:174], v[175:176], v[177:178]
	v_div_fixup_f64 v[173:174], v[173:174], v[158:159], v[156:157]
	s_delay_alu instid0(VALU_DEP_1) | instskip(NEXT) | instid1(VALU_DEP_1)
	v_fma_f64 v[156:157], v[156:157], v[173:174], v[158:159]
	v_div_scale_f64 v[158:159], null, v[156:157], v[156:157], 1.0
	s_delay_alu instid0(VALU_DEP_1) | instskip(SKIP_2) | instid1(VALU_DEP_1)
	v_rcp_f64_e32 v[175:176], v[158:159]
	s_waitcnt_depctr 0xfff
	v_fma_f64 v[177:178], -v[158:159], v[175:176], 1.0
	v_fma_f64 v[175:176], v[175:176], v[177:178], v[175:176]
	s_delay_alu instid0(VALU_DEP_1) | instskip(NEXT) | instid1(VALU_DEP_1)
	v_fma_f64 v[177:178], -v[158:159], v[175:176], 1.0
	v_fma_f64 v[175:176], v[175:176], v[177:178], v[175:176]
	v_div_scale_f64 v[177:178], vcc_lo, 1.0, v[156:157], 1.0
	s_delay_alu instid0(VALU_DEP_1) | instskip(NEXT) | instid1(VALU_DEP_1)
	v_mul_f64 v[179:180], v[177:178], v[175:176]
	v_fma_f64 v[158:159], -v[158:159], v[179:180], v[177:178]
	s_delay_alu instid0(VALU_DEP_1) | instskip(NEXT) | instid1(VALU_DEP_1)
	v_div_fmas_f64 v[158:159], v[158:159], v[175:176], v[179:180]
	v_div_fixup_f64 v[158:159], v[158:159], v[156:157], 1.0
	s_delay_alu instid0(VALU_DEP_1)
	v_mul_f64 v[156:157], v[173:174], v[158:159]
	v_xor_b32_e32 v159, 0x80000000, v159
.LBB76_784:
	s_and_not1_saveexec_b32 s2, s2
	s_cbranch_execz .LBB76_786
; %bb.785:
	s_delay_alu instid0(VALU_DEP_1) | instskip(SKIP_1) | instid1(VALU_DEP_2)
	v_div_scale_f64 v[173:174], null, v[156:157], v[156:157], v[158:159]
	v_div_scale_f64 v[179:180], vcc_lo, v[158:159], v[156:157], v[158:159]
	v_rcp_f64_e32 v[175:176], v[173:174]
	s_waitcnt_depctr 0xfff
	v_fma_f64 v[177:178], -v[173:174], v[175:176], 1.0
	s_delay_alu instid0(VALU_DEP_1) | instskip(NEXT) | instid1(VALU_DEP_1)
	v_fma_f64 v[175:176], v[175:176], v[177:178], v[175:176]
	v_fma_f64 v[177:178], -v[173:174], v[175:176], 1.0
	s_delay_alu instid0(VALU_DEP_1) | instskip(NEXT) | instid1(VALU_DEP_1)
	v_fma_f64 v[175:176], v[175:176], v[177:178], v[175:176]
	v_mul_f64 v[177:178], v[179:180], v[175:176]
	s_delay_alu instid0(VALU_DEP_1) | instskip(NEXT) | instid1(VALU_DEP_1)
	v_fma_f64 v[173:174], -v[173:174], v[177:178], v[179:180]
	v_div_fmas_f64 v[173:174], v[173:174], v[175:176], v[177:178]
	s_delay_alu instid0(VALU_DEP_1) | instskip(NEXT) | instid1(VALU_DEP_1)
	v_div_fixup_f64 v[173:174], v[173:174], v[156:157], v[158:159]
	v_fma_f64 v[156:157], v[158:159], v[173:174], v[156:157]
	s_delay_alu instid0(VALU_DEP_1) | instskip(NEXT) | instid1(VALU_DEP_1)
	v_div_scale_f64 v[158:159], null, v[156:157], v[156:157], 1.0
	v_rcp_f64_e32 v[175:176], v[158:159]
	s_waitcnt_depctr 0xfff
	v_fma_f64 v[177:178], -v[158:159], v[175:176], 1.0
	s_delay_alu instid0(VALU_DEP_1) | instskip(NEXT) | instid1(VALU_DEP_1)
	v_fma_f64 v[175:176], v[175:176], v[177:178], v[175:176]
	v_fma_f64 v[177:178], -v[158:159], v[175:176], 1.0
	s_delay_alu instid0(VALU_DEP_1) | instskip(SKIP_1) | instid1(VALU_DEP_1)
	v_fma_f64 v[175:176], v[175:176], v[177:178], v[175:176]
	v_div_scale_f64 v[177:178], vcc_lo, 1.0, v[156:157], 1.0
	v_mul_f64 v[179:180], v[177:178], v[175:176]
	s_delay_alu instid0(VALU_DEP_1) | instskip(NEXT) | instid1(VALU_DEP_1)
	v_fma_f64 v[158:159], -v[158:159], v[179:180], v[177:178]
	v_div_fmas_f64 v[158:159], v[158:159], v[175:176], v[179:180]
	s_delay_alu instid0(VALU_DEP_1) | instskip(NEXT) | instid1(VALU_DEP_1)
	v_div_fixup_f64 v[156:157], v[158:159], v[156:157], 1.0
	v_mul_f64 v[158:159], v[173:174], -v[156:157]
.LBB76_786:
	s_or_b32 exec_lo, exec_lo, s2
.LBB76_787:
	s_delay_alu instid0(SALU_CYCLE_1) | instskip(NEXT) | instid1(SALU_CYCLE_1)
	s_or_b32 exec_lo, exec_lo, s3
	s_mov_b32 s2, exec_lo
	v_cmpx_ne_u32_e64 v172, v164
	s_xor_b32 s2, exec_lo, s2
	s_cbranch_execz .LBB76_793
; %bb.788:
	s_mov_b32 s3, exec_lo
	v_cmpx_eq_u32_e32 37, v172
	s_cbranch_execz .LBB76_792
; %bb.789:
	v_cmp_ne_u32_e32 vcc_lo, 37, v164
	s_xor_b32 s6, s4, -1
	s_delay_alu instid0(SALU_CYCLE_1) | instskip(NEXT) | instid1(SALU_CYCLE_1)
	s_and_b32 s7, s6, vcc_lo
	s_and_saveexec_b32 s6, s7
	s_cbranch_execz .LBB76_791
; %bb.790:
	v_ashrrev_i32_e32 v165, 31, v164
	s_delay_alu instid0(VALU_DEP_1) | instskip(NEXT) | instid1(VALU_DEP_1)
	v_lshlrev_b64 v[171:172], 2, v[164:165]
	v_add_co_u32 v171, vcc_lo, v162, v171
	s_delay_alu instid0(VALU_DEP_2)
	v_add_co_ci_u32_e32 v172, vcc_lo, v163, v172, vcc_lo
	s_clause 0x1
	flat_load_b32 v165, v[171:172]
	flat_load_b32 v173, v[162:163] offset:148
	s_waitcnt vmcnt(1) lgkmcnt(1)
	flat_store_b32 v[162:163], v165 offset:148
	s_waitcnt vmcnt(0) lgkmcnt(1)
	flat_store_b32 v[171:172], v173
.LBB76_791:
	s_or_b32 exec_lo, exec_lo, s6
	v_mov_b32_e32 v172, v164
	v_mov_b32_e32 v171, v164
.LBB76_792:
	s_or_b32 exec_lo, exec_lo, s3
.LBB76_793:
	s_and_not1_saveexec_b32 s2, s2
	s_cbranch_execz .LBB76_795
; %bb.794:
	v_mov_b32_e32 v172, 37
	ds_store_2addr_b64 v166, v[0:1], v[2:3] offset0:76 offset1:77
.LBB76_795:
	s_or_b32 exec_lo, exec_lo, s2
	s_delay_alu instid0(SALU_CYCLE_1)
	s_mov_b32 s2, exec_lo
	s_waitcnt lgkmcnt(0)
	s_waitcnt_vscnt null, 0x0
	s_barrier
	buffer_gl0_inv
	v_cmpx_lt_i32_e32 37, v172
	s_cbranch_execz .LBB76_797
; %bb.796:
	v_mul_f64 v[164:165], v[156:157], v[6:7]
	v_mul_f64 v[6:7], v[158:159], v[6:7]
	ds_load_2addr_b64 v[173:176], v166 offset0:76 offset1:77
	v_fma_f64 v[158:159], v[158:159], v[4:5], v[164:165]
	v_fma_f64 v[4:5], v[156:157], v[4:5], -v[6:7]
	s_waitcnt lgkmcnt(0)
	s_delay_alu instid0(VALU_DEP_2) | instskip(SKIP_1) | instid1(VALU_DEP_2)
	v_mul_f64 v[6:7], v[175:176], v[158:159]
	v_mul_f64 v[156:157], v[173:174], v[158:159]
	v_fma_f64 v[6:7], v[173:174], v[4:5], -v[6:7]
	s_delay_alu instid0(VALU_DEP_2) | instskip(NEXT) | instid1(VALU_DEP_2)
	v_fma_f64 v[156:157], v[175:176], v[4:5], v[156:157]
	v_add_f64 v[0:1], v[0:1], -v[6:7]
	s_delay_alu instid0(VALU_DEP_2)
	v_add_f64 v[2:3], v[2:3], -v[156:157]
	v_dual_mov_b32 v6, v158 :: v_dual_mov_b32 v7, v159
.LBB76_797:
	s_or_b32 exec_lo, exec_lo, s2
	v_lshl_add_u32 v156, v172, 4, v166
	s_barrier
	buffer_gl0_inv
	v_mov_b32_e32 v164, 38
	ds_store_2addr_b64 v156, v[0:1], v[2:3] offset1:1
	s_waitcnt lgkmcnt(0)
	s_barrier
	buffer_gl0_inv
	ds_load_2addr_b64 v[156:159], v166 offset0:76 offset1:77
	s_cmp_lt_i32 s5, 40
	s_cbranch_scc1 .LBB76_800
; %bb.798:
	v_add3_u32 v165, v170, 0, 0x270
	v_mov_b32_e32 v164, 38
	s_mov_b32 s6, 39
	s_set_inst_prefetch_distance 0x1
	.p2align	6
.LBB76_799:                             ; =>This Inner Loop Header: Depth=1
	ds_load_2addr_b64 v[173:176], v165 offset1:1
	s_waitcnt lgkmcnt(1)
	v_cmp_gt_f64_e32 vcc_lo, 0, v[156:157]
	v_xor_b32_e32 v166, 0x80000000, v157
	v_cmp_gt_f64_e64 s2, 0, v[158:159]
	v_xor_b32_e32 v170, 0x80000000, v159
	v_add_nc_u32_e32 v165, 16, v165
	s_waitcnt lgkmcnt(0)
	v_cmp_gt_f64_e64 s3, 0, v[173:174]
	v_mov_b32_e32 v181, v173
	v_dual_mov_b32 v183, v175 :: v_dual_cndmask_b32 v178, v157, v166
	v_xor_b32_e32 v166, 0x80000000, v174
	v_cndmask_b32_e64 v180, v159, v170, s2
	v_xor_b32_e32 v170, 0x80000000, v176
	v_cndmask_b32_e32 v177, v156, v156, vcc_lo
	v_cndmask_b32_e64 v179, v158, v158, s2
	s_delay_alu instid0(VALU_DEP_1) | instskip(SKIP_2) | instid1(VALU_DEP_1)
	v_add_f64 v[177:178], v[177:178], v[179:180]
	v_cndmask_b32_e64 v182, v174, v166, s3
	v_cmp_gt_f64_e64 s3, 0, v[175:176]
	v_cndmask_b32_e64 v184, v176, v170, s3
	s_delay_alu instid0(VALU_DEP_1) | instskip(NEXT) | instid1(VALU_DEP_1)
	v_add_f64 v[181:182], v[181:182], v[183:184]
	v_cmp_lt_f64_e32 vcc_lo, v[177:178], v[181:182]
	v_dual_cndmask_b32 v158, v158, v175 :: v_dual_cndmask_b32 v157, v157, v174
	v_dual_cndmask_b32 v156, v156, v173 :: v_dual_cndmask_b32 v159, v159, v176
	v_cndmask_b32_e64 v164, v164, s6, vcc_lo
	s_add_i32 s6, s6, 1
	s_delay_alu instid0(SALU_CYCLE_1)
	s_cmp_lg_u32 s5, s6
	s_cbranch_scc1 .LBB76_799
.LBB76_800:
	s_set_inst_prefetch_distance 0x2
	s_waitcnt lgkmcnt(0)
	v_cmp_eq_f64_e32 vcc_lo, 0, v[156:157]
	v_cmp_eq_f64_e64 s2, 0, v[158:159]
	s_delay_alu instid0(VALU_DEP_1) | instskip(NEXT) | instid1(SALU_CYCLE_1)
	s_and_b32 s2, vcc_lo, s2
	s_and_saveexec_b32 s3, s2
	s_delay_alu instid0(SALU_CYCLE_1)
	s_xor_b32 s2, exec_lo, s3
; %bb.801:
	v_cmp_ne_u32_e32 vcc_lo, 0, v169
	v_cndmask_b32_e32 v169, 39, v169, vcc_lo
; %bb.802:
	s_and_not1_saveexec_b32 s3, s2
	s_cbranch_execz .LBB76_808
; %bb.803:
	v_cmp_gt_f64_e32 vcc_lo, 0, v[156:157]
	v_cmp_gt_f64_e64 s2, 0, v[158:159]
	v_xor_b32_e32 v165, 0x80000000, v157
	v_xor_b32_e32 v170, 0x80000000, v159
	s_delay_alu instid0(VALU_DEP_2) | instskip(NEXT) | instid1(VALU_DEP_2)
	v_dual_cndmask_b32 v166, v157, v165 :: v_dual_cndmask_b32 v165, v156, v156
	v_cndmask_b32_e64 v174, v159, v170, s2
	v_cndmask_b32_e64 v173, v158, v158, s2
	s_mov_b32 s2, exec_lo
	s_delay_alu instid0(VALU_DEP_1)
	v_cmpx_ngt_f64_e32 v[165:166], v[173:174]
	s_xor_b32 s2, exec_lo, s2
	s_cbranch_execz .LBB76_805
; %bb.804:
	v_div_scale_f64 v[165:166], null, v[158:159], v[158:159], v[156:157]
	v_div_scale_f64 v[177:178], vcc_lo, v[156:157], v[158:159], v[156:157]
	s_delay_alu instid0(VALU_DEP_2) | instskip(SKIP_2) | instid1(VALU_DEP_1)
	v_rcp_f64_e32 v[173:174], v[165:166]
	s_waitcnt_depctr 0xfff
	v_fma_f64 v[175:176], -v[165:166], v[173:174], 1.0
	v_fma_f64 v[173:174], v[173:174], v[175:176], v[173:174]
	s_delay_alu instid0(VALU_DEP_1) | instskip(NEXT) | instid1(VALU_DEP_1)
	v_fma_f64 v[175:176], -v[165:166], v[173:174], 1.0
	v_fma_f64 v[173:174], v[173:174], v[175:176], v[173:174]
	s_delay_alu instid0(VALU_DEP_1) | instskip(NEXT) | instid1(VALU_DEP_1)
	v_mul_f64 v[175:176], v[177:178], v[173:174]
	v_fma_f64 v[165:166], -v[165:166], v[175:176], v[177:178]
	s_delay_alu instid0(VALU_DEP_1) | instskip(NEXT) | instid1(VALU_DEP_1)
	v_div_fmas_f64 v[165:166], v[165:166], v[173:174], v[175:176]
	v_div_fixup_f64 v[165:166], v[165:166], v[158:159], v[156:157]
	s_delay_alu instid0(VALU_DEP_1) | instskip(NEXT) | instid1(VALU_DEP_1)
	v_fma_f64 v[156:157], v[156:157], v[165:166], v[158:159]
	v_div_scale_f64 v[158:159], null, v[156:157], v[156:157], 1.0
	s_delay_alu instid0(VALU_DEP_1) | instskip(SKIP_2) | instid1(VALU_DEP_1)
	v_rcp_f64_e32 v[173:174], v[158:159]
	s_waitcnt_depctr 0xfff
	v_fma_f64 v[175:176], -v[158:159], v[173:174], 1.0
	v_fma_f64 v[173:174], v[173:174], v[175:176], v[173:174]
	s_delay_alu instid0(VALU_DEP_1) | instskip(NEXT) | instid1(VALU_DEP_1)
	v_fma_f64 v[175:176], -v[158:159], v[173:174], 1.0
	v_fma_f64 v[173:174], v[173:174], v[175:176], v[173:174]
	v_div_scale_f64 v[175:176], vcc_lo, 1.0, v[156:157], 1.0
	s_delay_alu instid0(VALU_DEP_1) | instskip(NEXT) | instid1(VALU_DEP_1)
	v_mul_f64 v[177:178], v[175:176], v[173:174]
	v_fma_f64 v[158:159], -v[158:159], v[177:178], v[175:176]
	s_delay_alu instid0(VALU_DEP_1) | instskip(NEXT) | instid1(VALU_DEP_1)
	v_div_fmas_f64 v[158:159], v[158:159], v[173:174], v[177:178]
	v_div_fixup_f64 v[158:159], v[158:159], v[156:157], 1.0
	s_delay_alu instid0(VALU_DEP_1)
	v_mul_f64 v[156:157], v[165:166], v[158:159]
	v_xor_b32_e32 v159, 0x80000000, v159
.LBB76_805:
	s_and_not1_saveexec_b32 s2, s2
	s_cbranch_execz .LBB76_807
; %bb.806:
	s_delay_alu instid0(VALU_DEP_1) | instskip(SKIP_1) | instid1(VALU_DEP_2)
	v_div_scale_f64 v[165:166], null, v[156:157], v[156:157], v[158:159]
	v_div_scale_f64 v[177:178], vcc_lo, v[158:159], v[156:157], v[158:159]
	v_rcp_f64_e32 v[173:174], v[165:166]
	s_waitcnt_depctr 0xfff
	v_fma_f64 v[175:176], -v[165:166], v[173:174], 1.0
	s_delay_alu instid0(VALU_DEP_1) | instskip(NEXT) | instid1(VALU_DEP_1)
	v_fma_f64 v[173:174], v[173:174], v[175:176], v[173:174]
	v_fma_f64 v[175:176], -v[165:166], v[173:174], 1.0
	s_delay_alu instid0(VALU_DEP_1) | instskip(NEXT) | instid1(VALU_DEP_1)
	v_fma_f64 v[173:174], v[173:174], v[175:176], v[173:174]
	v_mul_f64 v[175:176], v[177:178], v[173:174]
	s_delay_alu instid0(VALU_DEP_1) | instskip(NEXT) | instid1(VALU_DEP_1)
	v_fma_f64 v[165:166], -v[165:166], v[175:176], v[177:178]
	v_div_fmas_f64 v[165:166], v[165:166], v[173:174], v[175:176]
	s_delay_alu instid0(VALU_DEP_1) | instskip(NEXT) | instid1(VALU_DEP_1)
	v_div_fixup_f64 v[165:166], v[165:166], v[156:157], v[158:159]
	v_fma_f64 v[156:157], v[158:159], v[165:166], v[156:157]
	s_delay_alu instid0(VALU_DEP_1) | instskip(NEXT) | instid1(VALU_DEP_1)
	v_div_scale_f64 v[158:159], null, v[156:157], v[156:157], 1.0
	v_rcp_f64_e32 v[173:174], v[158:159]
	s_waitcnt_depctr 0xfff
	v_fma_f64 v[175:176], -v[158:159], v[173:174], 1.0
	s_delay_alu instid0(VALU_DEP_1) | instskip(NEXT) | instid1(VALU_DEP_1)
	v_fma_f64 v[173:174], v[173:174], v[175:176], v[173:174]
	v_fma_f64 v[175:176], -v[158:159], v[173:174], 1.0
	s_delay_alu instid0(VALU_DEP_1) | instskip(SKIP_1) | instid1(VALU_DEP_1)
	v_fma_f64 v[173:174], v[173:174], v[175:176], v[173:174]
	v_div_scale_f64 v[175:176], vcc_lo, 1.0, v[156:157], 1.0
	v_mul_f64 v[177:178], v[175:176], v[173:174]
	s_delay_alu instid0(VALU_DEP_1) | instskip(NEXT) | instid1(VALU_DEP_1)
	v_fma_f64 v[158:159], -v[158:159], v[177:178], v[175:176]
	v_div_fmas_f64 v[158:159], v[158:159], v[173:174], v[177:178]
	s_delay_alu instid0(VALU_DEP_1) | instskip(NEXT) | instid1(VALU_DEP_1)
	v_div_fixup_f64 v[156:157], v[158:159], v[156:157], 1.0
	v_mul_f64 v[158:159], v[165:166], -v[156:157]
.LBB76_807:
	s_or_b32 exec_lo, exec_lo, s2
.LBB76_808:
	s_delay_alu instid0(SALU_CYCLE_1)
	s_or_b32 exec_lo, exec_lo, s3
	v_mov_b32_e32 v165, 38
	s_mov_b32 s2, exec_lo
	v_cmpx_ne_u32_e64 v172, v164
	s_cbranch_execz .LBB76_814
; %bb.809:
	s_mov_b32 s3, exec_lo
	v_cmpx_eq_u32_e32 38, v172
	s_cbranch_execz .LBB76_813
; %bb.810:
	v_cmp_ne_u32_e32 vcc_lo, 38, v164
	s_xor_b32 s4, s4, -1
	s_delay_alu instid0(SALU_CYCLE_1) | instskip(NEXT) | instid1(SALU_CYCLE_1)
	s_and_b32 s5, s4, vcc_lo
	s_and_saveexec_b32 s4, s5
	s_cbranch_execz .LBB76_812
; %bb.811:
	v_ashrrev_i32_e32 v165, 31, v164
	s_delay_alu instid0(VALU_DEP_1) | instskip(NEXT) | instid1(VALU_DEP_1)
	v_lshlrev_b64 v[165:166], 2, v[164:165]
	v_add_co_u32 v165, vcc_lo, v162, v165
	s_delay_alu instid0(VALU_DEP_2)
	v_add_co_ci_u32_e32 v166, vcc_lo, v163, v166, vcc_lo
	s_clause 0x1
	flat_load_b32 v170, v[165:166]
	flat_load_b32 v171, v[162:163] offset:152
	s_waitcnt vmcnt(1) lgkmcnt(1)
	flat_store_b32 v[162:163], v170 offset:152
	s_waitcnt vmcnt(0) lgkmcnt(1)
	flat_store_b32 v[165:166], v171
.LBB76_812:
	s_or_b32 exec_lo, exec_lo, s4
	v_mov_b32_e32 v172, v164
	v_mov_b32_e32 v171, v164
.LBB76_813:
	s_or_b32 exec_lo, exec_lo, s3
	s_delay_alu instid0(VALU_DEP_2)
	v_mov_b32_e32 v165, v172
.LBB76_814:
	s_or_b32 exec_lo, exec_lo, s2
	s_delay_alu instid0(SALU_CYCLE_1)
	s_mov_b32 s2, exec_lo
	s_waitcnt lgkmcnt(0)
	s_waitcnt_vscnt null, 0x0
	s_barrier
	buffer_gl0_inv
	v_cmpx_lt_i32_e32 38, v165
; %bb.815:
	v_mul_f64 v[162:163], v[158:159], v[2:3]
	v_mul_f64 v[2:3], v[156:157], v[2:3]
	s_delay_alu instid0(VALU_DEP_2) | instskip(NEXT) | instid1(VALU_DEP_2)
	v_fma_f64 v[156:157], v[156:157], v[0:1], -v[162:163]
	v_fma_f64 v[2:3], v[158:159], v[0:1], v[2:3]
	s_delay_alu instid0(VALU_DEP_2)
	v_dual_mov_b32 v0, v156 :: v_dual_mov_b32 v1, v157
; %bb.816:
	s_or_b32 exec_lo, exec_lo, s2
	s_load_b256 s[0:7], s[0:1], 0x28
	v_ashrrev_i32_e32 v166, 31, v165
	s_mov_b32 s9, exec_lo
	s_waitcnt lgkmcnt(0)
	s_barrier
	buffer_gl0_inv
	v_cmpx_gt_i32_e32 39, v165
	s_cbranch_execz .LBB76_818
; %bb.817:
	v_mul_lo_u32 v158, v161, s4
	v_mul_lo_u32 v159, v160, s5
	v_mad_u64_u32 v[156:157], null, v160, s4, 0
	s_lshl_b64 s[2:3], s[2:3], 2
	s_delay_alu instid0(SALU_CYCLE_1) | instskip(SKIP_1) | instid1(VALU_DEP_1)
	s_add_u32 s0, s2, s0
	s_addc_u32 s1, s3, s1
	v_add3_u32 v157, v157, v159, v158
	v_lshlrev_b64 v[158:159], 2, v[165:166]
	s_delay_alu instid0(VALU_DEP_2) | instskip(NEXT) | instid1(VALU_DEP_1)
	v_lshlrev_b64 v[156:157], 2, v[156:157]
	v_add_co_u32 v156, vcc_lo, s0, v156
	s_delay_alu instid0(VALU_DEP_2) | instskip(NEXT) | instid1(VALU_DEP_2)
	v_add_co_ci_u32_e32 v157, vcc_lo, s1, v157, vcc_lo
	v_add_co_u32 v156, vcc_lo, v156, v158
	s_delay_alu instid0(VALU_DEP_2)
	v_add_co_ci_u32_e32 v157, vcc_lo, v157, v159, vcc_lo
	v_add3_u32 v158, v171, s13, 1
	global_store_b32 v[156:157], v158, off
.LBB76_818:
	s_or_b32 exec_lo, exec_lo, s9
	s_delay_alu instid0(SALU_CYCLE_1)
	s_mov_b32 s1, exec_lo
	v_cmpx_eq_u32_e32 0, v165
	s_cbranch_execz .LBB76_821
; %bb.819:
	v_lshlrev_b64 v[156:157], 2, v[160:161]
	v_cmp_lt_i32_e64 s0, 0, v169
	s_delay_alu instid0(VALU_DEP_2) | instskip(NEXT) | instid1(VALU_DEP_3)
	v_add_co_u32 v156, vcc_lo, s6, v156
	v_add_co_ci_u32_e32 v157, vcc_lo, s7, v157, vcc_lo
	global_load_b32 v158, v[156:157], off
	s_waitcnt vmcnt(0)
	v_cmp_eq_u32_e32 vcc_lo, 0, v158
	s_and_b32 s0, vcc_lo, s0
	s_delay_alu instid0(SALU_CYCLE_1)
	s_and_b32 exec_lo, exec_lo, s0
	s_cbranch_execz .LBB76_821
; %bb.820:
	v_add_nc_u32_e32 v158, s13, v169
	global_store_b32 v[156:157], v158, off
.LBB76_821:
	s_or_b32 exec_lo, exec_lo, s1
	v_lshlrev_b64 v[158:159], 4, v[165:166]
	v_add3_u32 v156, s8, s8, v165
	s_delay_alu instid0(VALU_DEP_1) | instskip(NEXT) | instid1(VALU_DEP_3)
	v_add_nc_u32_e32 v160, s8, v156
	v_add_co_u32 v158, vcc_lo, v167, v158
	s_delay_alu instid0(VALU_DEP_4) | instskip(SKIP_1) | instid1(VALU_DEP_3)
	v_add_co_ci_u32_e32 v159, vcc_lo, v168, v159, vcc_lo
	v_ashrrev_i32_e32 v157, 31, v156
	v_add_co_u32 v162, vcc_lo, v158, s10
	s_delay_alu instid0(VALU_DEP_3)
	v_add_co_ci_u32_e32 v163, vcc_lo, s11, v159, vcc_lo
	v_ashrrev_i32_e32 v161, 31, v160
	global_store_b128 v[158:159], v[52:55], off
	v_lshlrev_b64 v[156:157], 4, v[156:157]
	global_store_b128 v[162:163], v[48:51], off
	v_add_nc_u32_e32 v48, s8, v160
	v_lshlrev_b64 v[52:53], 4, v[160:161]
	v_add_co_u32 v50, vcc_lo, v167, v156
	s_delay_alu instid0(VALU_DEP_3) | instskip(SKIP_3) | instid1(VALU_DEP_4)
	v_add_nc_u32_e32 v54, s8, v48
	v_ashrrev_i32_e32 v49, 31, v48
	v_add_co_ci_u32_e32 v51, vcc_lo, v168, v157, vcc_lo
	v_add_co_u32 v52, vcc_lo, v167, v52
	v_add_nc_u32_e32 v156, s8, v54
	v_ashrrev_i32_e32 v55, 31, v54
	v_add_co_ci_u32_e32 v53, vcc_lo, v168, v53, vcc_lo
	v_lshlrev_b64 v[48:49], 4, v[48:49]
	s_delay_alu instid0(VALU_DEP_4)
	v_ashrrev_i32_e32 v157, 31, v156
	s_clause 0x1
	global_store_b128 v[50:51], v[152:155], off
	global_store_b128 v[52:53], v[148:151], off
	v_lshlrev_b64 v[50:51], 4, v[54:55]
	v_add_nc_u32_e32 v54, s8, v156
	v_add_co_u32 v48, vcc_lo, v167, v48
	v_lshlrev_b64 v[52:53], 4, v[156:157]
	v_add_co_ci_u32_e32 v49, vcc_lo, v168, v49, vcc_lo
	v_add_co_u32 v50, vcc_lo, v167, v50
	v_add_co_ci_u32_e32 v51, vcc_lo, v168, v51, vcc_lo
	s_delay_alu instid0(VALU_DEP_4)
	v_add_co_u32 v52, vcc_lo, v167, v52
	v_add_nc_u32_e32 v148, s8, v54
	v_add_co_ci_u32_e32 v53, vcc_lo, v168, v53, vcc_lo
	v_ashrrev_i32_e32 v55, 31, v54
	global_store_b128 v[48:49], v[144:147], off
	v_ashrrev_i32_e32 v149, 31, v148
	s_clause 0x1
	global_store_b128 v[50:51], v[140:143], off
	global_store_b128 v[52:53], v[136:139], off
	v_add_nc_u32_e32 v52, s8, v148
	v_lshlrev_b64 v[48:49], 4, v[54:55]
	v_lshlrev_b64 v[50:51], 4, v[148:149]
	s_delay_alu instid0(VALU_DEP_3) | instskip(SKIP_1) | instid1(VALU_DEP_4)
	v_add_nc_u32_e32 v54, s8, v52
	v_ashrrev_i32_e32 v53, 31, v52
	v_add_co_u32 v48, vcc_lo, v167, v48
	v_add_co_ci_u32_e32 v49, vcc_lo, v168, v49, vcc_lo
	s_delay_alu instid0(VALU_DEP_4)
	v_add_nc_u32_e32 v136, s8, v54
	v_add_co_u32 v50, vcc_lo, v167, v50
	v_ashrrev_i32_e32 v55, 31, v54
	v_lshlrev_b64 v[52:53], 4, v[52:53]
	v_add_co_ci_u32_e32 v51, vcc_lo, v168, v51, vcc_lo
	v_ashrrev_i32_e32 v137, 31, v136
	s_clause 0x1
	global_store_b128 v[48:49], v[132:135], off
	global_store_b128 v[50:51], v[128:131], off
	v_lshlrev_b64 v[48:49], 4, v[54:55]
	v_add_co_u32 v50, vcc_lo, v167, v52
	v_add_co_ci_u32_e32 v51, vcc_lo, v168, v53, vcc_lo
	v_lshlrev_b64 v[52:53], 4, v[136:137]
	v_add_nc_u32_e32 v54, s8, v136
	v_add_co_u32 v48, vcc_lo, v167, v48
	v_add_co_ci_u32_e32 v49, vcc_lo, v168, v49, vcc_lo
	s_delay_alu instid0(VALU_DEP_4) | instskip(NEXT) | instid1(VALU_DEP_4)
	v_add_co_u32 v52, vcc_lo, v167, v52
	v_add_nc_u32_e32 v128, s8, v54
	v_add_co_ci_u32_e32 v53, vcc_lo, v168, v53, vcc_lo
	v_ashrrev_i32_e32 v55, 31, v54
	global_store_b128 v[50:51], v[124:127], off
	v_ashrrev_i32_e32 v129, 31, v128
	s_clause 0x1
	global_store_b128 v[48:49], v[120:123], off
	global_store_b128 v[52:53], v[116:119], off
	v_add_nc_u32_e32 v52, s8, v128
	v_lshlrev_b64 v[50:51], 4, v[54:55]
	v_lshlrev_b64 v[48:49], 4, v[128:129]
	s_delay_alu instid0(VALU_DEP_3) | instskip(SKIP_1) | instid1(VALU_DEP_4)
	v_add_nc_u32_e32 v54, s8, v52
	v_ashrrev_i32_e32 v53, 31, v52
	v_add_co_u32 v50, vcc_lo, v167, v50
	v_add_co_ci_u32_e32 v51, vcc_lo, v168, v51, vcc_lo
	s_delay_alu instid0(VALU_DEP_4)
	v_add_nc_u32_e32 v116, s8, v54
	v_add_co_u32 v48, vcc_lo, v167, v48
	v_ashrrev_i32_e32 v55, 31, v54
	v_lshlrev_b64 v[52:53], 4, v[52:53]
	v_add_co_ci_u32_e32 v49, vcc_lo, v168, v49, vcc_lo
	v_ashrrev_i32_e32 v117, 31, v116
	s_clause 0x1
	global_store_b128 v[50:51], v[112:115], off
	global_store_b128 v[48:49], v[108:111], off
	v_lshlrev_b64 v[48:49], 4, v[54:55]
	v_add_co_u32 v50, vcc_lo, v167, v52
	v_add_co_ci_u32_e32 v51, vcc_lo, v168, v53, vcc_lo
	v_lshlrev_b64 v[52:53], 4, v[116:117]
	v_add_nc_u32_e32 v54, s8, v116
	v_add_co_u32 v48, vcc_lo, v167, v48
	v_add_co_ci_u32_e32 v49, vcc_lo, v168, v49, vcc_lo
	s_delay_alu instid0(VALU_DEP_4) | instskip(NEXT) | instid1(VALU_DEP_4)
	;; [unrolled: 35-line block ×4, first 2 shown]
	v_add_co_u32 v52, vcc_lo, v167, v52
	v_add_nc_u32_e32 v68, s8, v54
	v_add_co_ci_u32_e32 v53, vcc_lo, v168, v53, vcc_lo
	v_ashrrev_i32_e32 v55, 31, v54
	global_store_b128 v[50:51], v[64:67], off
	v_ashrrev_i32_e32 v69, 31, v68
	s_clause 0x1
	global_store_b128 v[48:49], v[60:63], off
	global_store_b128 v[52:53], v[56:59], off
	v_add_nc_u32_e32 v52, s8, v68
	v_lshlrev_b64 v[50:51], 4, v[54:55]
	v_lshlrev_b64 v[48:49], 4, v[68:69]
	s_delay_alu instid0(VALU_DEP_3) | instskip(SKIP_1) | instid1(VALU_DEP_4)
	v_add_nc_u32_e32 v54, s8, v52
	v_ashrrev_i32_e32 v53, 31, v52
	v_add_co_u32 v50, vcc_lo, v167, v50
	v_add_co_ci_u32_e32 v51, vcc_lo, v168, v51, vcc_lo
	s_delay_alu instid0(VALU_DEP_4)
	v_add_nc_u32_e32 v56, s8, v54
	v_add_co_u32 v48, vcc_lo, v167, v48
	v_ashrrev_i32_e32 v55, 31, v54
	v_add_co_ci_u32_e32 v49, vcc_lo, v168, v49, vcc_lo
	v_lshlrev_b64 v[52:53], 4, v[52:53]
	v_ashrrev_i32_e32 v57, 31, v56
	s_clause 0x1
	global_store_b128 v[50:51], v[44:47], off
	global_store_b128 v[48:49], v[40:43], off
	v_lshlrev_b64 v[40:41], 4, v[54:55]
	v_add_nc_u32_e32 v46, s8, v56
	v_add_co_u32 v42, vcc_lo, v167, v52
	v_lshlrev_b64 v[44:45], 4, v[56:57]
	v_add_co_ci_u32_e32 v43, vcc_lo, v168, v53, vcc_lo
	v_add_co_u32 v40, vcc_lo, v167, v40
	v_add_nc_u32_e32 v48, s8, v46
	v_add_co_ci_u32_e32 v41, vcc_lo, v168, v41, vcc_lo
	v_ashrrev_i32_e32 v47, 31, v46
	v_add_co_u32 v44, vcc_lo, v167, v44
	v_add_co_ci_u32_e32 v45, vcc_lo, v168, v45, vcc_lo
	v_ashrrev_i32_e32 v49, 31, v48
	global_store_b128 v[42:43], v[36:39], off
	v_lshlrev_b64 v[36:37], 4, v[46:47]
	s_clause 0x1
	global_store_b128 v[40:41], v[32:35], off
	global_store_b128 v[44:45], v[28:31], off
	v_add_nc_u32_e32 v30, s8, v48
	v_lshlrev_b64 v[28:29], 4, v[48:49]
	v_add_co_u32 v32, vcc_lo, v167, v36
	s_delay_alu instid0(VALU_DEP_3) | instskip(SKIP_1) | instid1(VALU_DEP_4)
	v_add_nc_u32_e32 v34, s8, v30
	v_add_co_ci_u32_e32 v33, vcc_lo, v168, v37, vcc_lo
	v_add_co_u32 v28, vcc_lo, v167, v28
	v_add_co_ci_u32_e32 v29, vcc_lo, v168, v29, vcc_lo
	s_delay_alu instid0(VALU_DEP_4)
	v_add_nc_u32_e32 v36, s8, v34
	v_ashrrev_i32_e32 v31, 31, v30
	s_clause 0x1
	global_store_b128 v[32:33], v[24:27], off
	global_store_b128 v[28:29], v[20:23], off
	v_ashrrev_i32_e32 v35, 31, v34
	v_add_nc_u32_e32 v22, s8, v36
	v_lshlrev_b64 v[24:25], 4, v[30:31]
	v_ashrrev_i32_e32 v37, 31, v36
	s_delay_alu instid0(VALU_DEP_4) | instskip(NEXT) | instid1(VALU_DEP_4)
	v_lshlrev_b64 v[20:21], 4, v[34:35]
	v_add_nc_u32_e32 v28, s8, v22
	v_ashrrev_i32_e32 v23, 31, v22
	v_add_co_u32 v24, vcc_lo, v167, v24
	v_lshlrev_b64 v[26:27], 4, v[36:37]
	s_delay_alu instid0(VALU_DEP_4)
	v_ashrrev_i32_e32 v29, 31, v28
	v_add_co_ci_u32_e32 v25, vcc_lo, v168, v25, vcc_lo
	v_add_co_u32 v20, vcc_lo, v167, v20
	v_lshlrev_b64 v[22:23], 4, v[22:23]
	v_add_co_ci_u32_e32 v21, vcc_lo, v168, v21, vcc_lo
	v_add_co_u32 v26, vcc_lo, v167, v26
	v_lshlrev_b64 v[28:29], 4, v[28:29]
	v_add_co_ci_u32_e32 v27, vcc_lo, v168, v27, vcc_lo
	v_add_co_u32 v22, vcc_lo, v167, v22
	v_add_co_ci_u32_e32 v23, vcc_lo, v168, v23, vcc_lo
	s_delay_alu instid0(VALU_DEP_4)
	v_add_co_u32 v28, vcc_lo, v167, v28
	v_add_co_ci_u32_e32 v29, vcc_lo, v168, v29, vcc_lo
	s_clause 0x4
	global_store_b128 v[24:25], v[16:19], off
	global_store_b128 v[20:21], v[12:15], off
	;; [unrolled: 1-line block ×5, first 2 shown]
.LBB76_822:
	s_nop 0
	s_sendmsg sendmsg(MSG_DEALLOC_VGPRS)
	s_endpgm
	.section	.rodata,"a",@progbits
	.p2align	6, 0x0
	.amdhsa_kernel _ZN9rocsolver6v33100L18getf2_small_kernelILi39E19rocblas_complex_numIdEiiPKPS3_EEvT1_T3_lS7_lPS7_llPT2_S7_S7_S9_l
		.amdhsa_group_segment_fixed_size 0
		.amdhsa_private_segment_fixed_size 0
		.amdhsa_kernarg_size 352
		.amdhsa_user_sgpr_count 14
		.amdhsa_user_sgpr_dispatch_ptr 0
		.amdhsa_user_sgpr_queue_ptr 0
		.amdhsa_user_sgpr_kernarg_segment_ptr 1
		.amdhsa_user_sgpr_dispatch_id 0
		.amdhsa_user_sgpr_private_segment_size 0
		.amdhsa_wavefront_size32 1
		.amdhsa_uses_dynamic_stack 0
		.amdhsa_enable_private_segment 0
		.amdhsa_system_sgpr_workgroup_id_x 1
		.amdhsa_system_sgpr_workgroup_id_y 1
		.amdhsa_system_sgpr_workgroup_id_z 0
		.amdhsa_system_sgpr_workgroup_info 0
		.amdhsa_system_vgpr_workitem_id 1
		.amdhsa_next_free_vgpr 247
		.amdhsa_next_free_sgpr 16
		.amdhsa_reserve_vcc 1
		.amdhsa_float_round_mode_32 0
		.amdhsa_float_round_mode_16_64 0
		.amdhsa_float_denorm_mode_32 3
		.amdhsa_float_denorm_mode_16_64 3
		.amdhsa_dx10_clamp 1
		.amdhsa_ieee_mode 1
		.amdhsa_fp16_overflow 0
		.amdhsa_workgroup_processor_mode 1
		.amdhsa_memory_ordered 1
		.amdhsa_forward_progress 0
		.amdhsa_shared_vgpr_count 0
		.amdhsa_exception_fp_ieee_invalid_op 0
		.amdhsa_exception_fp_denorm_src 0
		.amdhsa_exception_fp_ieee_div_zero 0
		.amdhsa_exception_fp_ieee_overflow 0
		.amdhsa_exception_fp_ieee_underflow 0
		.amdhsa_exception_fp_ieee_inexact 0
		.amdhsa_exception_int_div_zero 0
	.end_amdhsa_kernel
	.section	.text._ZN9rocsolver6v33100L18getf2_small_kernelILi39E19rocblas_complex_numIdEiiPKPS3_EEvT1_T3_lS7_lPS7_llPT2_S7_S7_S9_l,"axG",@progbits,_ZN9rocsolver6v33100L18getf2_small_kernelILi39E19rocblas_complex_numIdEiiPKPS3_EEvT1_T3_lS7_lPS7_llPT2_S7_S7_S9_l,comdat
.Lfunc_end76:
	.size	_ZN9rocsolver6v33100L18getf2_small_kernelILi39E19rocblas_complex_numIdEiiPKPS3_EEvT1_T3_lS7_lPS7_llPT2_S7_S7_S9_l, .Lfunc_end76-_ZN9rocsolver6v33100L18getf2_small_kernelILi39E19rocblas_complex_numIdEiiPKPS3_EEvT1_T3_lS7_lPS7_llPT2_S7_S7_S9_l
                                        ; -- End function
	.section	.AMDGPU.csdata,"",@progbits
; Kernel info:
; codeLenInByte = 104564
; NumSgprs: 18
; NumVgprs: 247
; ScratchSize: 0
; MemoryBound: 0
; FloatMode: 240
; IeeeMode: 1
; LDSByteSize: 0 bytes/workgroup (compile time only)
; SGPRBlocks: 2
; VGPRBlocks: 30
; NumSGPRsForWavesPerEU: 18
; NumVGPRsForWavesPerEU: 247
; Occupancy: 5
; WaveLimiterHint : 1
; COMPUTE_PGM_RSRC2:SCRATCH_EN: 0
; COMPUTE_PGM_RSRC2:USER_SGPR: 14
; COMPUTE_PGM_RSRC2:TRAP_HANDLER: 0
; COMPUTE_PGM_RSRC2:TGID_X_EN: 1
; COMPUTE_PGM_RSRC2:TGID_Y_EN: 1
; COMPUTE_PGM_RSRC2:TGID_Z_EN: 0
; COMPUTE_PGM_RSRC2:TIDIG_COMP_CNT: 1
	.section	.text._ZN9rocsolver6v33100L23getf2_npvt_small_kernelILi39E19rocblas_complex_numIdEiiPKPS3_EEvT1_T3_lS7_lPT2_S7_S7_,"axG",@progbits,_ZN9rocsolver6v33100L23getf2_npvt_small_kernelILi39E19rocblas_complex_numIdEiiPKPS3_EEvT1_T3_lS7_lPT2_S7_S7_,comdat
	.globl	_ZN9rocsolver6v33100L23getf2_npvt_small_kernelILi39E19rocblas_complex_numIdEiiPKPS3_EEvT1_T3_lS7_lPT2_S7_S7_ ; -- Begin function _ZN9rocsolver6v33100L23getf2_npvt_small_kernelILi39E19rocblas_complex_numIdEiiPKPS3_EEvT1_T3_lS7_lPT2_S7_S7_
	.p2align	8
	.type	_ZN9rocsolver6v33100L23getf2_npvt_small_kernelILi39E19rocblas_complex_numIdEiiPKPS3_EEvT1_T3_lS7_lPT2_S7_S7_,@function
_ZN9rocsolver6v33100L23getf2_npvt_small_kernelILi39E19rocblas_complex_numIdEiiPKPS3_EEvT1_T3_lS7_lPT2_S7_S7_: ; @_ZN9rocsolver6v33100L23getf2_npvt_small_kernelILi39E19rocblas_complex_numIdEiiPKPS3_EEvT1_T3_lS7_lPT2_S7_S7_
; %bb.0:
	s_clause 0x1
	s_load_b32 s2, s[0:1], 0x44
	s_load_b64 s[10:11], s[0:1], 0x30
	v_bfe_u32 v156, v0, 10, 10
	s_waitcnt lgkmcnt(0)
	s_lshr_b32 s8, s2, 16
	s_mov_b32 s2, exec_lo
	s_delay_alu instid0(VALU_DEP_1) | instskip(NEXT) | instid1(VALU_DEP_1)
	v_mad_u64_u32 v[225:226], null, s15, s8, v[156:157]
	v_cmpx_gt_i32_e64 s10, v225
	s_cbranch_execz .LBB77_356
; %bb.1:
	s_clause 0x1
	s_load_b128 s[4:7], s[0:1], 0x8
	s_load_b32 s2, s[0:1], 0x18
	v_ashrrev_i32_e32 v226, 31, v225
	v_and_b32_e32 v214, 0x3ff, v0
	v_lshlrev_b32_e32 v157, 4, v156
	s_mulk_i32 s8, 0x270
	v_mad_u32_u24 v216, 0x270, v156, 0
	v_lshlrev_b64 v[1:2], 3, v[225:226]
	v_lshlrev_b32_e32 v77, 4, v214
	v_add3_u32 v215, 0, s8, v157
	s_waitcnt lgkmcnt(0)
	s_delay_alu instid0(VALU_DEP_3) | instskip(NEXT) | instid1(VALU_DEP_4)
	v_add_co_u32 v1, vcc_lo, s4, v1
	v_add_co_ci_u32_e32 v2, vcc_lo, s5, v2, vcc_lo
	v_add3_u32 v3, s2, s2, v214
	s_lshl_b64 s[6:7], s[6:7], 4
	s_ashr_i32 s3, s2, 31
	global_load_b64 v[1:2], v[1:2], off
	s_lshl_b64 s[4:5], s[2:3], 4
	v_add_nc_u32_e32 v5, s2, v3
	v_ashrrev_i32_e32 v4, 31, v3
	v_cmp_ne_u32_e64 s3, 0, v214
	s_delay_alu instid0(VALU_DEP_3) | instskip(SKIP_1) | instid1(VALU_DEP_4)
	v_add_nc_u32_e32 v7, s2, v5
	v_ashrrev_i32_e32 v6, 31, v5
	v_lshlrev_b64 v[3:4], 4, v[3:4]
	s_delay_alu instid0(VALU_DEP_3) | instskip(SKIP_1) | instid1(VALU_DEP_4)
	v_add_nc_u32_e32 v9, s2, v7
	v_ashrrev_i32_e32 v8, 31, v7
	v_lshlrev_b64 v[5:6], 4, v[5:6]
	s_delay_alu instid0(VALU_DEP_3) | instskip(SKIP_1) | instid1(VALU_DEP_4)
	v_add_nc_u32_e32 v11, s2, v9
	v_ashrrev_i32_e32 v10, 31, v9
	v_lshlrev_b64 v[7:8], 4, v[7:8]
	s_delay_alu instid0(VALU_DEP_3) | instskip(SKIP_1) | instid1(VALU_DEP_4)
	v_add_nc_u32_e32 v13, s2, v11
	v_ashrrev_i32_e32 v12, 31, v11
	v_lshlrev_b64 v[9:10], 4, v[9:10]
	s_delay_alu instid0(VALU_DEP_3) | instskip(SKIP_1) | instid1(VALU_DEP_4)
	v_add_nc_u32_e32 v15, s2, v13
	v_ashrrev_i32_e32 v14, 31, v13
	v_lshlrev_b64 v[11:12], 4, v[11:12]
	s_delay_alu instid0(VALU_DEP_3) | instskip(SKIP_1) | instid1(VALU_DEP_4)
	v_add_nc_u32_e32 v17, s2, v15
	v_ashrrev_i32_e32 v16, 31, v15
	v_lshlrev_b64 v[13:14], 4, v[13:14]
	s_delay_alu instid0(VALU_DEP_3) | instskip(SKIP_1) | instid1(VALU_DEP_4)
	v_add_nc_u32_e32 v19, s2, v17
	v_ashrrev_i32_e32 v18, 31, v17
	v_lshlrev_b64 v[15:16], 4, v[15:16]
	s_delay_alu instid0(VALU_DEP_3) | instskip(SKIP_1) | instid1(VALU_DEP_4)
	v_add_nc_u32_e32 v21, s2, v19
	v_ashrrev_i32_e32 v20, 31, v19
	v_lshlrev_b64 v[17:18], 4, v[17:18]
	s_delay_alu instid0(VALU_DEP_3) | instskip(SKIP_1) | instid1(VALU_DEP_4)
	v_add_nc_u32_e32 v23, s2, v21
	v_ashrrev_i32_e32 v22, 31, v21
	v_lshlrev_b64 v[19:20], 4, v[19:20]
	s_delay_alu instid0(VALU_DEP_3) | instskip(SKIP_1) | instid1(VALU_DEP_4)
	v_add_nc_u32_e32 v25, s2, v23
	v_ashrrev_i32_e32 v24, 31, v23
	v_lshlrev_b64 v[21:22], 4, v[21:22]
	s_delay_alu instid0(VALU_DEP_3) | instskip(SKIP_1) | instid1(VALU_DEP_4)
	v_add_nc_u32_e32 v27, s2, v25
	v_ashrrev_i32_e32 v26, 31, v25
	v_lshlrev_b64 v[23:24], 4, v[23:24]
	s_delay_alu instid0(VALU_DEP_3) | instskip(SKIP_1) | instid1(VALU_DEP_4)
	v_add_nc_u32_e32 v29, s2, v27
	v_ashrrev_i32_e32 v28, 31, v27
	v_lshlrev_b64 v[25:26], 4, v[25:26]
	s_delay_alu instid0(VALU_DEP_3) | instskip(SKIP_1) | instid1(VALU_DEP_4)
	v_add_nc_u32_e32 v31, s2, v29
	v_ashrrev_i32_e32 v30, 31, v29
	v_lshlrev_b64 v[27:28], 4, v[27:28]
	s_delay_alu instid0(VALU_DEP_3) | instskip(SKIP_1) | instid1(VALU_DEP_4)
	v_add_nc_u32_e32 v33, s2, v31
	v_ashrrev_i32_e32 v32, 31, v31
	v_lshlrev_b64 v[29:30], 4, v[29:30]
	s_delay_alu instid0(VALU_DEP_3) | instskip(SKIP_1) | instid1(VALU_DEP_4)
	v_add_nc_u32_e32 v35, s2, v33
	v_ashrrev_i32_e32 v34, 31, v33
	v_lshlrev_b64 v[31:32], 4, v[31:32]
	s_delay_alu instid0(VALU_DEP_3) | instskip(SKIP_1) | instid1(VALU_DEP_4)
	v_add_nc_u32_e32 v37, s2, v35
	v_ashrrev_i32_e32 v36, 31, v35
	v_lshlrev_b64 v[33:34], 4, v[33:34]
	s_delay_alu instid0(VALU_DEP_3) | instskip(SKIP_1) | instid1(VALU_DEP_4)
	v_add_nc_u32_e32 v39, s2, v37
	v_ashrrev_i32_e32 v38, 31, v37
	v_lshlrev_b64 v[35:36], 4, v[35:36]
	s_delay_alu instid0(VALU_DEP_3) | instskip(SKIP_1) | instid1(VALU_DEP_4)
	v_add_nc_u32_e32 v41, s2, v39
	v_ashrrev_i32_e32 v40, 31, v39
	v_lshlrev_b64 v[37:38], 4, v[37:38]
	s_delay_alu instid0(VALU_DEP_3) | instskip(SKIP_1) | instid1(VALU_DEP_4)
	v_add_nc_u32_e32 v43, s2, v41
	v_ashrrev_i32_e32 v42, 31, v41
	v_lshlrev_b64 v[39:40], 4, v[39:40]
	s_delay_alu instid0(VALU_DEP_3) | instskip(SKIP_1) | instid1(VALU_DEP_4)
	v_add_nc_u32_e32 v45, s2, v43
	v_ashrrev_i32_e32 v44, 31, v43
	v_lshlrev_b64 v[41:42], 4, v[41:42]
	s_delay_alu instid0(VALU_DEP_3) | instskip(SKIP_1) | instid1(VALU_DEP_4)
	v_add_nc_u32_e32 v47, s2, v45
	v_ashrrev_i32_e32 v46, 31, v45
	v_lshlrev_b64 v[43:44], 4, v[43:44]
	s_delay_alu instid0(VALU_DEP_3) | instskip(SKIP_1) | instid1(VALU_DEP_4)
	v_add_nc_u32_e32 v49, s2, v47
	v_ashrrev_i32_e32 v48, 31, v47
	v_lshlrev_b64 v[45:46], 4, v[45:46]
	s_delay_alu instid0(VALU_DEP_3) | instskip(SKIP_1) | instid1(VALU_DEP_4)
	v_add_nc_u32_e32 v51, s2, v49
	v_ashrrev_i32_e32 v50, 31, v49
	v_lshlrev_b64 v[47:48], 4, v[47:48]
	s_delay_alu instid0(VALU_DEP_3) | instskip(SKIP_1) | instid1(VALU_DEP_4)
	v_add_nc_u32_e32 v53, s2, v51
	v_ashrrev_i32_e32 v52, 31, v51
	v_lshlrev_b64 v[49:50], 4, v[49:50]
	s_delay_alu instid0(VALU_DEP_3) | instskip(SKIP_1) | instid1(VALU_DEP_4)
	v_add_nc_u32_e32 v55, s2, v53
	v_ashrrev_i32_e32 v54, 31, v53
	v_lshlrev_b64 v[51:52], 4, v[51:52]
	s_delay_alu instid0(VALU_DEP_3) | instskip(SKIP_1) | instid1(VALU_DEP_4)
	v_add_nc_u32_e32 v57, s2, v55
	v_ashrrev_i32_e32 v56, 31, v55
	v_lshlrev_b64 v[53:54], 4, v[53:54]
	s_delay_alu instid0(VALU_DEP_3) | instskip(SKIP_1) | instid1(VALU_DEP_4)
	v_add_nc_u32_e32 v59, s2, v57
	v_ashrrev_i32_e32 v58, 31, v57
	v_lshlrev_b64 v[55:56], 4, v[55:56]
	s_delay_alu instid0(VALU_DEP_3) | instskip(SKIP_1) | instid1(VALU_DEP_4)
	v_add_nc_u32_e32 v61, s2, v59
	v_ashrrev_i32_e32 v60, 31, v59
	v_lshlrev_b64 v[57:58], 4, v[57:58]
	s_delay_alu instid0(VALU_DEP_3) | instskip(SKIP_1) | instid1(VALU_DEP_4)
	v_add_nc_u32_e32 v63, s2, v61
	v_ashrrev_i32_e32 v62, 31, v61
	v_lshlrev_b64 v[59:60], 4, v[59:60]
	s_delay_alu instid0(VALU_DEP_3) | instskip(SKIP_1) | instid1(VALU_DEP_4)
	v_add_nc_u32_e32 v65, s2, v63
	v_ashrrev_i32_e32 v64, 31, v63
	v_lshlrev_b64 v[61:62], 4, v[61:62]
	s_delay_alu instid0(VALU_DEP_3) | instskip(SKIP_1) | instid1(VALU_DEP_4)
	v_add_nc_u32_e32 v67, s2, v65
	v_ashrrev_i32_e32 v66, 31, v65
	v_lshlrev_b64 v[63:64], 4, v[63:64]
	s_delay_alu instid0(VALU_DEP_3) | instskip(SKIP_1) | instid1(VALU_DEP_4)
	v_add_nc_u32_e32 v69, s2, v67
	v_ashrrev_i32_e32 v68, 31, v67
	v_lshlrev_b64 v[65:66], 4, v[65:66]
	s_delay_alu instid0(VALU_DEP_3) | instskip(SKIP_1) | instid1(VALU_DEP_4)
	v_add_nc_u32_e32 v71, s2, v69
	v_ashrrev_i32_e32 v70, 31, v69
	v_lshlrev_b64 v[67:68], 4, v[67:68]
	s_delay_alu instid0(VALU_DEP_3) | instskip(SKIP_1) | instid1(VALU_DEP_4)
	v_add_nc_u32_e32 v73, s2, v71
	v_ashrrev_i32_e32 v72, 31, v71
	v_lshlrev_b64 v[69:70], 4, v[69:70]
	s_delay_alu instid0(VALU_DEP_3) | instskip(SKIP_1) | instid1(VALU_DEP_4)
	v_add_nc_u32_e32 v75, s2, v73
	v_ashrrev_i32_e32 v74, 31, v73
	v_lshlrev_b64 v[71:72], 4, v[71:72]
	v_cmp_eq_u32_e64 s2, 0, v214
	s_delay_alu instid0(VALU_DEP_4) | instskip(NEXT) | instid1(VALU_DEP_4)
	v_ashrrev_i32_e32 v76, 31, v75
	v_lshlrev_b64 v[73:74], 4, v[73:74]
	s_waitcnt vmcnt(0)
	v_add_co_u32 v78, vcc_lo, v1, s6
	v_add_co_ci_u32_e32 v2, vcc_lo, s7, v2, vcc_lo
	v_lshlrev_b64 v[0:1], 4, v[75:76]
	s_delay_alu instid0(VALU_DEP_3) | instskip(NEXT) | instid1(VALU_DEP_3)
	v_add_co_u32 v148, vcc_lo, v78, v77
	v_add_co_ci_u32_e32 v149, vcc_lo, 0, v2, vcc_lo
	v_add_co_u32 v93, vcc_lo, v78, v3
	v_add_co_ci_u32_e32 v94, vcc_lo, v2, v4, vcc_lo
	;; [unrolled: 2-line block ×37, first 2 shown]
	s_clause 0x12
	scratch_store_b64 off, v[93:94], off offset:144
	scratch_store_b64 off, v[91:92], off offset:136
	;; [unrolled: 1-line block ×18, first 2 shown]
	scratch_store_b64 off, v[3:4], off
	v_add_co_u32 v221, vcc_lo, v78, v0
	s_clause 0x1f
	global_load_b128 v[144:147], v[93:94], off
	global_load_b128 v[140:143], v[91:92], off
	;; [unrolled: 1-line block ×32, first 2 shown]
	s_clause 0x3
	global_load_b128 v[16:19], v[227:228], off
	global_load_b128 v[12:15], v[229:230], off
	;; [unrolled: 1-line block ×4, first 2 shown]
	v_add_co_ci_u32_e32 v222, vcc_lo, v2, v1, vcc_lo
	v_add_co_u32 v0, vcc_lo, v148, s4
	v_add_co_ci_u32_e32 v1, vcc_lo, s5, v149, vcc_lo
	scratch_store_b64 off, v[148:149], off offset:152 ; 8-byte Folded Spill
	global_load_b128 v[152:155], v[148:149], off
	scratch_store_b64 off, v[0:1], off offset:160 ; 8-byte Folded Spill
	s_clause 0x1
	global_load_b128 v[148:151], v[0:1], off
	global_load_b128 v[0:3], v[221:222], off
	s_and_saveexec_b32 s5, s2
	s_cbranch_execz .LBB77_8
; %bb.2:
	s_waitcnt vmcnt(2)
	ds_store_2addr_b64 v215, v[152:153], v[154:155] offset1:1
	s_waitcnt vmcnt(1)
	ds_store_2addr_b64 v216, v[148:149], v[150:151] offset0:2 offset1:3
	ds_store_2addr_b64 v216, v[144:145], v[146:147] offset0:4 offset1:5
	;; [unrolled: 1-line block ×37, first 2 shown]
	s_waitcnt vmcnt(0)
	ds_store_2addr_b64 v216, v[0:1], v[2:3] offset0:76 offset1:77
	ds_load_2addr_b64 v[156:159], v215 offset1:1
	s_waitcnt lgkmcnt(0)
	v_cmp_neq_f64_e32 vcc_lo, 0, v[156:157]
	v_cmp_neq_f64_e64 s4, 0, v[158:159]
	s_delay_alu instid0(VALU_DEP_1) | instskip(NEXT) | instid1(SALU_CYCLE_1)
	s_or_b32 s4, vcc_lo, s4
	s_and_b32 exec_lo, exec_lo, s4
	s_cbranch_execz .LBB77_8
; %bb.3:
	v_cmp_gt_f64_e32 vcc_lo, 0, v[156:157]
	v_cmp_gt_f64_e64 s4, 0, v[158:159]
	v_xor_b32_e32 v160, 0x80000000, v157
	v_xor_b32_e32 v162, 0x80000000, v159
                                        ; implicit-def: $vgpr164_vgpr165
	s_delay_alu instid0(VALU_DEP_2) | instskip(NEXT) | instid1(VALU_DEP_2)
	v_cndmask_b32_e32 v161, v157, v160, vcc_lo
	v_cndmask_b32_e64 v163, v159, v162, s4
	v_cndmask_b32_e32 v160, v156, v156, vcc_lo
	v_cndmask_b32_e64 v162, v158, v158, s4
	s_mov_b32 s4, exec_lo
	s_delay_alu instid0(VALU_DEP_1)
	v_cmpx_ngt_f64_e32 v[160:161], v[162:163]
	s_xor_b32 s4, exec_lo, s4
                                        ; implicit-def: $vgpr160_vgpr161_vgpr162_vgpr163
	s_cbranch_execz .LBB77_5
; %bb.4:
	v_div_scale_f64 v[160:161], null, v[158:159], v[158:159], v[156:157]
	v_div_scale_f64 v[166:167], vcc_lo, v[156:157], v[158:159], v[156:157]
	s_delay_alu instid0(VALU_DEP_2) | instskip(SKIP_2) | instid1(VALU_DEP_1)
	v_rcp_f64_e32 v[162:163], v[160:161]
	s_waitcnt_depctr 0xfff
	v_fma_f64 v[164:165], -v[160:161], v[162:163], 1.0
	v_fma_f64 v[162:163], v[162:163], v[164:165], v[162:163]
	s_delay_alu instid0(VALU_DEP_1) | instskip(NEXT) | instid1(VALU_DEP_1)
	v_fma_f64 v[164:165], -v[160:161], v[162:163], 1.0
	v_fma_f64 v[162:163], v[162:163], v[164:165], v[162:163]
	s_delay_alu instid0(VALU_DEP_1) | instskip(NEXT) | instid1(VALU_DEP_1)
	v_mul_f64 v[164:165], v[166:167], v[162:163]
	v_fma_f64 v[160:161], -v[160:161], v[164:165], v[166:167]
	s_delay_alu instid0(VALU_DEP_1) | instskip(NEXT) | instid1(VALU_DEP_1)
	v_div_fmas_f64 v[160:161], v[160:161], v[162:163], v[164:165]
	v_div_fixup_f64 v[160:161], v[160:161], v[158:159], v[156:157]
	s_delay_alu instid0(VALU_DEP_1) | instskip(NEXT) | instid1(VALU_DEP_1)
	v_fma_f64 v[156:157], v[156:157], v[160:161], v[158:159]
	v_div_scale_f64 v[158:159], null, v[156:157], v[156:157], 1.0
	s_delay_alu instid0(VALU_DEP_1) | instskip(SKIP_2) | instid1(VALU_DEP_1)
	v_rcp_f64_e32 v[162:163], v[158:159]
	s_waitcnt_depctr 0xfff
	v_fma_f64 v[164:165], -v[158:159], v[162:163], 1.0
	v_fma_f64 v[162:163], v[162:163], v[164:165], v[162:163]
	s_delay_alu instid0(VALU_DEP_1) | instskip(NEXT) | instid1(VALU_DEP_1)
	v_fma_f64 v[164:165], -v[158:159], v[162:163], 1.0
	v_fma_f64 v[162:163], v[162:163], v[164:165], v[162:163]
	v_div_scale_f64 v[164:165], vcc_lo, 1.0, v[156:157], 1.0
	s_delay_alu instid0(VALU_DEP_1) | instskip(NEXT) | instid1(VALU_DEP_1)
	v_mul_f64 v[166:167], v[164:165], v[162:163]
	v_fma_f64 v[158:159], -v[158:159], v[166:167], v[164:165]
	s_delay_alu instid0(VALU_DEP_1) | instskip(NEXT) | instid1(VALU_DEP_1)
	v_div_fmas_f64 v[158:159], v[158:159], v[162:163], v[166:167]
	v_div_fixup_f64 v[162:163], v[158:159], v[156:157], 1.0
                                        ; implicit-def: $vgpr156_vgpr157
	s_delay_alu instid0(VALU_DEP_1)
	v_mul_f64 v[164:165], v[160:161], v[162:163]
	v_xor_b32_e32 v163, 0x80000000, v163
.LBB77_5:
	s_and_not1_saveexec_b32 s4, s4
	s_cbranch_execz .LBB77_7
; %bb.6:
	v_div_scale_f64 v[160:161], null, v[156:157], v[156:157], v[158:159]
	v_div_scale_f64 v[166:167], vcc_lo, v[158:159], v[156:157], v[158:159]
	s_delay_alu instid0(VALU_DEP_2) | instskip(SKIP_2) | instid1(VALU_DEP_1)
	v_rcp_f64_e32 v[162:163], v[160:161]
	s_waitcnt_depctr 0xfff
	v_fma_f64 v[164:165], -v[160:161], v[162:163], 1.0
	v_fma_f64 v[162:163], v[162:163], v[164:165], v[162:163]
	s_delay_alu instid0(VALU_DEP_1) | instskip(NEXT) | instid1(VALU_DEP_1)
	v_fma_f64 v[164:165], -v[160:161], v[162:163], 1.0
	v_fma_f64 v[162:163], v[162:163], v[164:165], v[162:163]
	s_delay_alu instid0(VALU_DEP_1) | instskip(NEXT) | instid1(VALU_DEP_1)
	v_mul_f64 v[164:165], v[166:167], v[162:163]
	v_fma_f64 v[160:161], -v[160:161], v[164:165], v[166:167]
	s_delay_alu instid0(VALU_DEP_1) | instskip(NEXT) | instid1(VALU_DEP_1)
	v_div_fmas_f64 v[160:161], v[160:161], v[162:163], v[164:165]
	v_div_fixup_f64 v[160:161], v[160:161], v[156:157], v[158:159]
	s_delay_alu instid0(VALU_DEP_1) | instskip(NEXT) | instid1(VALU_DEP_1)
	v_fma_f64 v[156:157], v[158:159], v[160:161], v[156:157]
	v_div_scale_f64 v[158:159], null, v[156:157], v[156:157], 1.0
	s_delay_alu instid0(VALU_DEP_1) | instskip(SKIP_2) | instid1(VALU_DEP_1)
	v_rcp_f64_e32 v[162:163], v[158:159]
	s_waitcnt_depctr 0xfff
	v_fma_f64 v[164:165], -v[158:159], v[162:163], 1.0
	v_fma_f64 v[162:163], v[162:163], v[164:165], v[162:163]
	s_delay_alu instid0(VALU_DEP_1) | instskip(NEXT) | instid1(VALU_DEP_1)
	v_fma_f64 v[164:165], -v[158:159], v[162:163], 1.0
	v_fma_f64 v[162:163], v[162:163], v[164:165], v[162:163]
	v_div_scale_f64 v[164:165], vcc_lo, 1.0, v[156:157], 1.0
	s_delay_alu instid0(VALU_DEP_1) | instskip(NEXT) | instid1(VALU_DEP_1)
	v_mul_f64 v[166:167], v[164:165], v[162:163]
	v_fma_f64 v[158:159], -v[158:159], v[166:167], v[164:165]
	s_delay_alu instid0(VALU_DEP_1) | instskip(NEXT) | instid1(VALU_DEP_1)
	v_div_fmas_f64 v[158:159], v[158:159], v[162:163], v[166:167]
	v_div_fixup_f64 v[164:165], v[158:159], v[156:157], 1.0
	s_delay_alu instid0(VALU_DEP_1)
	v_mul_f64 v[162:163], v[160:161], -v[164:165]
.LBB77_7:
	s_or_b32 exec_lo, exec_lo, s4
	ds_store_2addr_b64 v215, v[164:165], v[162:163] offset1:1
.LBB77_8:
	s_or_b32 exec_lo, exec_lo, s5
	s_waitcnt vmcnt(0) lgkmcnt(0)
	s_waitcnt_vscnt null, 0x0
	s_barrier
	buffer_gl0_inv
	ds_load_2addr_b64 v[156:159], v215 offset1:1
	s_waitcnt lgkmcnt(0)
	scratch_store_b128 off, v[156:159], off offset:168 ; 16-byte Folded Spill
	s_and_saveexec_b32 s4, s3
	s_cbranch_execz .LBB77_10
; %bb.9:
	scratch_load_b128 v[158:161], off, off offset:168 ; 16-byte Folded Reload
	s_waitcnt vmcnt(0)
	v_mul_f64 v[156:157], v[160:161], v[154:155]
	v_mul_f64 v[154:155], v[158:159], v[154:155]
	s_delay_alu instid0(VALU_DEP_2) | instskip(NEXT) | instid1(VALU_DEP_2)
	v_fma_f64 v[156:157], v[158:159], v[152:153], -v[156:157]
	v_fma_f64 v[154:155], v[160:161], v[152:153], v[154:155]
	ds_load_2addr_b64 v[158:161], v216 offset0:2 offset1:3
	s_waitcnt lgkmcnt(0)
	v_mul_f64 v[152:153], v[160:161], v[154:155]
	s_delay_alu instid0(VALU_DEP_1) | instskip(SKIP_1) | instid1(VALU_DEP_2)
	v_fma_f64 v[152:153], v[158:159], v[156:157], -v[152:153]
	v_mul_f64 v[158:159], v[158:159], v[154:155]
	v_add_f64 v[148:149], v[148:149], -v[152:153]
	s_delay_alu instid0(VALU_DEP_2) | instskip(NEXT) | instid1(VALU_DEP_1)
	v_fma_f64 v[158:159], v[160:161], v[156:157], v[158:159]
	v_add_f64 v[150:151], v[150:151], -v[158:159]
	ds_load_2addr_b64 v[158:161], v216 offset0:4 offset1:5
	s_waitcnt lgkmcnt(0)
	v_mul_f64 v[152:153], v[160:161], v[154:155]
	s_delay_alu instid0(VALU_DEP_1) | instskip(SKIP_1) | instid1(VALU_DEP_2)
	v_fma_f64 v[152:153], v[158:159], v[156:157], -v[152:153]
	v_mul_f64 v[158:159], v[158:159], v[154:155]
	v_add_f64 v[144:145], v[144:145], -v[152:153]
	s_delay_alu instid0(VALU_DEP_2) | instskip(NEXT) | instid1(VALU_DEP_1)
	v_fma_f64 v[158:159], v[160:161], v[156:157], v[158:159]
	v_add_f64 v[146:147], v[146:147], -v[158:159]
	;; [unrolled: 10-line block ×37, first 2 shown]
	ds_load_2addr_b64 v[158:161], v216 offset0:76 offset1:77
	s_waitcnt lgkmcnt(0)
	v_mul_f64 v[152:153], v[160:161], v[154:155]
	s_delay_alu instid0(VALU_DEP_1) | instskip(SKIP_1) | instid1(VALU_DEP_2)
	v_fma_f64 v[152:153], v[158:159], v[156:157], -v[152:153]
	v_mul_f64 v[158:159], v[158:159], v[154:155]
	v_add_f64 v[0:1], v[0:1], -v[152:153]
	s_delay_alu instid0(VALU_DEP_2) | instskip(SKIP_1) | instid1(VALU_DEP_2)
	v_fma_f64 v[158:159], v[160:161], v[156:157], v[158:159]
	v_dual_mov_b32 v152, v156 :: v_dual_mov_b32 v153, v157
	v_add_f64 v[2:3], v[2:3], -v[158:159]
.LBB77_10:
	s_or_b32 exec_lo, exec_lo, s4
	s_delay_alu instid0(SALU_CYCLE_1)
	s_mov_b32 s4, exec_lo
	s_waitcnt_vscnt null, 0x0
	s_barrier
	buffer_gl0_inv
	v_cmpx_eq_u32_e32 1, v214
	s_cbranch_execz .LBB77_17
; %bb.11:
	ds_store_2addr_b64 v215, v[148:149], v[150:151] offset1:1
	ds_store_2addr_b64 v216, v[144:145], v[146:147] offset0:4 offset1:5
	ds_store_2addr_b64 v216, v[140:141], v[142:143] offset0:6 offset1:7
	ds_store_2addr_b64 v216, v[136:137], v[138:139] offset0:8 offset1:9
	ds_store_2addr_b64 v216, v[132:133], v[134:135] offset0:10 offset1:11
	ds_store_2addr_b64 v216, v[128:129], v[130:131] offset0:12 offset1:13
	ds_store_2addr_b64 v216, v[124:125], v[126:127] offset0:14 offset1:15
	ds_store_2addr_b64 v216, v[120:121], v[122:123] offset0:16 offset1:17
	ds_store_2addr_b64 v216, v[116:117], v[118:119] offset0:18 offset1:19
	ds_store_2addr_b64 v216, v[112:113], v[114:115] offset0:20 offset1:21
	ds_store_2addr_b64 v216, v[108:109], v[110:111] offset0:22 offset1:23
	ds_store_2addr_b64 v216, v[104:105], v[106:107] offset0:24 offset1:25
	ds_store_2addr_b64 v216, v[100:101], v[102:103] offset0:26 offset1:27
	ds_store_2addr_b64 v216, v[96:97], v[98:99] offset0:28 offset1:29
	ds_store_2addr_b64 v216, v[92:93], v[94:95] offset0:30 offset1:31
	ds_store_2addr_b64 v216, v[88:89], v[90:91] offset0:32 offset1:33
	ds_store_2addr_b64 v216, v[84:85], v[86:87] offset0:34 offset1:35
	ds_store_2addr_b64 v216, v[80:81], v[82:83] offset0:36 offset1:37
	ds_store_2addr_b64 v216, v[76:77], v[78:79] offset0:38 offset1:39
	ds_store_2addr_b64 v216, v[72:73], v[74:75] offset0:40 offset1:41
	ds_store_2addr_b64 v216, v[68:69], v[70:71] offset0:42 offset1:43
	ds_store_2addr_b64 v216, v[64:65], v[66:67] offset0:44 offset1:45
	ds_store_2addr_b64 v216, v[60:61], v[62:63] offset0:46 offset1:47
	ds_store_2addr_b64 v216, v[56:57], v[58:59] offset0:48 offset1:49
	ds_store_2addr_b64 v216, v[52:53], v[54:55] offset0:50 offset1:51
	ds_store_2addr_b64 v216, v[48:49], v[50:51] offset0:52 offset1:53
	ds_store_2addr_b64 v216, v[44:45], v[46:47] offset0:54 offset1:55
	ds_store_2addr_b64 v216, v[40:41], v[42:43] offset0:56 offset1:57
	ds_store_2addr_b64 v216, v[36:37], v[38:39] offset0:58 offset1:59
	ds_store_2addr_b64 v216, v[32:33], v[34:35] offset0:60 offset1:61
	ds_store_2addr_b64 v216, v[28:29], v[30:31] offset0:62 offset1:63
	ds_store_2addr_b64 v216, v[24:25], v[26:27] offset0:64 offset1:65
	ds_store_2addr_b64 v216, v[20:21], v[22:23] offset0:66 offset1:67
	ds_store_2addr_b64 v216, v[16:17], v[18:19] offset0:68 offset1:69
	ds_store_2addr_b64 v216, v[12:13], v[14:15] offset0:70 offset1:71
	ds_store_2addr_b64 v216, v[8:9], v[10:11] offset0:72 offset1:73
	ds_store_2addr_b64 v216, v[4:5], v[6:7] offset0:74 offset1:75
	ds_store_2addr_b64 v216, v[0:1], v[2:3] offset0:76 offset1:77
	ds_load_2addr_b64 v[156:159], v215 offset1:1
	s_waitcnt lgkmcnt(0)
	v_cmp_neq_f64_e32 vcc_lo, 0, v[156:157]
	v_cmp_neq_f64_e64 s3, 0, v[158:159]
	s_delay_alu instid0(VALU_DEP_1) | instskip(NEXT) | instid1(SALU_CYCLE_1)
	s_or_b32 s3, vcc_lo, s3
	s_and_b32 exec_lo, exec_lo, s3
	s_cbranch_execz .LBB77_17
; %bb.12:
	v_cmp_gt_f64_e32 vcc_lo, 0, v[156:157]
	v_cmp_gt_f64_e64 s3, 0, v[158:159]
	v_xor_b32_e32 v160, 0x80000000, v157
	v_xor_b32_e32 v162, 0x80000000, v159
                                        ; implicit-def: $vgpr164_vgpr165
	s_delay_alu instid0(VALU_DEP_2) | instskip(NEXT) | instid1(VALU_DEP_2)
	v_cndmask_b32_e32 v161, v157, v160, vcc_lo
	v_cndmask_b32_e64 v163, v159, v162, s3
	v_cndmask_b32_e32 v160, v156, v156, vcc_lo
	v_cndmask_b32_e64 v162, v158, v158, s3
	s_mov_b32 s3, exec_lo
	s_delay_alu instid0(VALU_DEP_1)
	v_cmpx_ngt_f64_e32 v[160:161], v[162:163]
	s_xor_b32 s3, exec_lo, s3
                                        ; implicit-def: $vgpr160_vgpr161_vgpr162_vgpr163
	s_cbranch_execz .LBB77_14
; %bb.13:
	v_div_scale_f64 v[160:161], null, v[158:159], v[158:159], v[156:157]
	v_div_scale_f64 v[166:167], vcc_lo, v[156:157], v[158:159], v[156:157]
	s_delay_alu instid0(VALU_DEP_2) | instskip(SKIP_2) | instid1(VALU_DEP_1)
	v_rcp_f64_e32 v[162:163], v[160:161]
	s_waitcnt_depctr 0xfff
	v_fma_f64 v[164:165], -v[160:161], v[162:163], 1.0
	v_fma_f64 v[162:163], v[162:163], v[164:165], v[162:163]
	s_delay_alu instid0(VALU_DEP_1) | instskip(NEXT) | instid1(VALU_DEP_1)
	v_fma_f64 v[164:165], -v[160:161], v[162:163], 1.0
	v_fma_f64 v[162:163], v[162:163], v[164:165], v[162:163]
	s_delay_alu instid0(VALU_DEP_1) | instskip(NEXT) | instid1(VALU_DEP_1)
	v_mul_f64 v[164:165], v[166:167], v[162:163]
	v_fma_f64 v[160:161], -v[160:161], v[164:165], v[166:167]
	s_delay_alu instid0(VALU_DEP_1) | instskip(NEXT) | instid1(VALU_DEP_1)
	v_div_fmas_f64 v[160:161], v[160:161], v[162:163], v[164:165]
	v_div_fixup_f64 v[160:161], v[160:161], v[158:159], v[156:157]
	s_delay_alu instid0(VALU_DEP_1) | instskip(NEXT) | instid1(VALU_DEP_1)
	v_fma_f64 v[156:157], v[156:157], v[160:161], v[158:159]
	v_div_scale_f64 v[158:159], null, v[156:157], v[156:157], 1.0
	s_delay_alu instid0(VALU_DEP_1) | instskip(SKIP_2) | instid1(VALU_DEP_1)
	v_rcp_f64_e32 v[162:163], v[158:159]
	s_waitcnt_depctr 0xfff
	v_fma_f64 v[164:165], -v[158:159], v[162:163], 1.0
	v_fma_f64 v[162:163], v[162:163], v[164:165], v[162:163]
	s_delay_alu instid0(VALU_DEP_1) | instskip(NEXT) | instid1(VALU_DEP_1)
	v_fma_f64 v[164:165], -v[158:159], v[162:163], 1.0
	v_fma_f64 v[162:163], v[162:163], v[164:165], v[162:163]
	v_div_scale_f64 v[164:165], vcc_lo, 1.0, v[156:157], 1.0
	s_delay_alu instid0(VALU_DEP_1) | instskip(NEXT) | instid1(VALU_DEP_1)
	v_mul_f64 v[166:167], v[164:165], v[162:163]
	v_fma_f64 v[158:159], -v[158:159], v[166:167], v[164:165]
	s_delay_alu instid0(VALU_DEP_1) | instskip(NEXT) | instid1(VALU_DEP_1)
	v_div_fmas_f64 v[158:159], v[158:159], v[162:163], v[166:167]
	v_div_fixup_f64 v[162:163], v[158:159], v[156:157], 1.0
                                        ; implicit-def: $vgpr156_vgpr157
	s_delay_alu instid0(VALU_DEP_1)
	v_mul_f64 v[164:165], v[160:161], v[162:163]
	v_xor_b32_e32 v163, 0x80000000, v163
.LBB77_14:
	s_and_not1_saveexec_b32 s3, s3
	s_cbranch_execz .LBB77_16
; %bb.15:
	v_div_scale_f64 v[160:161], null, v[156:157], v[156:157], v[158:159]
	v_div_scale_f64 v[166:167], vcc_lo, v[158:159], v[156:157], v[158:159]
	s_delay_alu instid0(VALU_DEP_2) | instskip(SKIP_2) | instid1(VALU_DEP_1)
	v_rcp_f64_e32 v[162:163], v[160:161]
	s_waitcnt_depctr 0xfff
	v_fma_f64 v[164:165], -v[160:161], v[162:163], 1.0
	v_fma_f64 v[162:163], v[162:163], v[164:165], v[162:163]
	s_delay_alu instid0(VALU_DEP_1) | instskip(NEXT) | instid1(VALU_DEP_1)
	v_fma_f64 v[164:165], -v[160:161], v[162:163], 1.0
	v_fma_f64 v[162:163], v[162:163], v[164:165], v[162:163]
	s_delay_alu instid0(VALU_DEP_1) | instskip(NEXT) | instid1(VALU_DEP_1)
	v_mul_f64 v[164:165], v[166:167], v[162:163]
	v_fma_f64 v[160:161], -v[160:161], v[164:165], v[166:167]
	s_delay_alu instid0(VALU_DEP_1) | instskip(NEXT) | instid1(VALU_DEP_1)
	v_div_fmas_f64 v[160:161], v[160:161], v[162:163], v[164:165]
	v_div_fixup_f64 v[160:161], v[160:161], v[156:157], v[158:159]
	s_delay_alu instid0(VALU_DEP_1) | instskip(NEXT) | instid1(VALU_DEP_1)
	v_fma_f64 v[156:157], v[158:159], v[160:161], v[156:157]
	v_div_scale_f64 v[158:159], null, v[156:157], v[156:157], 1.0
	s_delay_alu instid0(VALU_DEP_1) | instskip(SKIP_2) | instid1(VALU_DEP_1)
	v_rcp_f64_e32 v[162:163], v[158:159]
	s_waitcnt_depctr 0xfff
	v_fma_f64 v[164:165], -v[158:159], v[162:163], 1.0
	v_fma_f64 v[162:163], v[162:163], v[164:165], v[162:163]
	s_delay_alu instid0(VALU_DEP_1) | instskip(NEXT) | instid1(VALU_DEP_1)
	v_fma_f64 v[164:165], -v[158:159], v[162:163], 1.0
	v_fma_f64 v[162:163], v[162:163], v[164:165], v[162:163]
	v_div_scale_f64 v[164:165], vcc_lo, 1.0, v[156:157], 1.0
	s_delay_alu instid0(VALU_DEP_1) | instskip(NEXT) | instid1(VALU_DEP_1)
	v_mul_f64 v[166:167], v[164:165], v[162:163]
	v_fma_f64 v[158:159], -v[158:159], v[166:167], v[164:165]
	s_delay_alu instid0(VALU_DEP_1) | instskip(NEXT) | instid1(VALU_DEP_1)
	v_div_fmas_f64 v[158:159], v[158:159], v[162:163], v[166:167]
	v_div_fixup_f64 v[164:165], v[158:159], v[156:157], 1.0
	s_delay_alu instid0(VALU_DEP_1)
	v_mul_f64 v[162:163], v[160:161], -v[164:165]
.LBB77_16:
	s_or_b32 exec_lo, exec_lo, s3
	ds_store_2addr_b64 v215, v[164:165], v[162:163] offset1:1
.LBB77_17:
	s_or_b32 exec_lo, exec_lo, s4
	s_waitcnt lgkmcnt(0)
	s_barrier
	buffer_gl0_inv
	ds_load_2addr_b64 v[156:159], v215 offset1:1
	s_mov_b32 s3, exec_lo
	s_waitcnt lgkmcnt(0)
	scratch_store_b128 off, v[156:159], off offset:184 ; 16-byte Folded Spill
	v_cmpx_lt_u32_e32 1, v214
	s_cbranch_execz .LBB77_19
; %bb.18:
	scratch_load_b128 v[158:161], off, off offset:184 ; 16-byte Folded Reload
	s_waitcnt vmcnt(0)
	v_mul_f64 v[156:157], v[160:161], v[150:151]
	v_mul_f64 v[150:151], v[158:159], v[150:151]
	s_delay_alu instid0(VALU_DEP_2) | instskip(NEXT) | instid1(VALU_DEP_2)
	v_fma_f64 v[156:157], v[158:159], v[148:149], -v[156:157]
	v_fma_f64 v[150:151], v[160:161], v[148:149], v[150:151]
	ds_load_2addr_b64 v[158:161], v216 offset0:4 offset1:5
	s_waitcnt lgkmcnt(0)
	v_mul_f64 v[148:149], v[160:161], v[150:151]
	s_delay_alu instid0(VALU_DEP_1) | instskip(SKIP_1) | instid1(VALU_DEP_2)
	v_fma_f64 v[148:149], v[158:159], v[156:157], -v[148:149]
	v_mul_f64 v[158:159], v[158:159], v[150:151]
	v_add_f64 v[144:145], v[144:145], -v[148:149]
	s_delay_alu instid0(VALU_DEP_2) | instskip(NEXT) | instid1(VALU_DEP_1)
	v_fma_f64 v[158:159], v[160:161], v[156:157], v[158:159]
	v_add_f64 v[146:147], v[146:147], -v[158:159]
	ds_load_2addr_b64 v[158:161], v216 offset0:6 offset1:7
	s_waitcnt lgkmcnt(0)
	v_mul_f64 v[148:149], v[160:161], v[150:151]
	s_delay_alu instid0(VALU_DEP_1) | instskip(SKIP_1) | instid1(VALU_DEP_2)
	v_fma_f64 v[148:149], v[158:159], v[156:157], -v[148:149]
	v_mul_f64 v[158:159], v[158:159], v[150:151]
	v_add_f64 v[140:141], v[140:141], -v[148:149]
	s_delay_alu instid0(VALU_DEP_2) | instskip(NEXT) | instid1(VALU_DEP_1)
	v_fma_f64 v[158:159], v[160:161], v[156:157], v[158:159]
	v_add_f64 v[142:143], v[142:143], -v[158:159]
	;; [unrolled: 10-line block ×36, first 2 shown]
	ds_load_2addr_b64 v[158:161], v216 offset0:76 offset1:77
	s_waitcnt lgkmcnt(0)
	v_mul_f64 v[148:149], v[160:161], v[150:151]
	s_delay_alu instid0(VALU_DEP_1) | instskip(SKIP_1) | instid1(VALU_DEP_2)
	v_fma_f64 v[148:149], v[158:159], v[156:157], -v[148:149]
	v_mul_f64 v[158:159], v[158:159], v[150:151]
	v_add_f64 v[0:1], v[0:1], -v[148:149]
	s_delay_alu instid0(VALU_DEP_2) | instskip(SKIP_1) | instid1(VALU_DEP_2)
	v_fma_f64 v[158:159], v[160:161], v[156:157], v[158:159]
	v_dual_mov_b32 v148, v156 :: v_dual_mov_b32 v149, v157
	v_add_f64 v[2:3], v[2:3], -v[158:159]
.LBB77_19:
	s_or_b32 exec_lo, exec_lo, s3
	s_delay_alu instid0(SALU_CYCLE_1)
	s_mov_b32 s4, exec_lo
	s_waitcnt_vscnt null, 0x0
	s_barrier
	buffer_gl0_inv
	v_cmpx_eq_u32_e32 2, v214
	s_cbranch_execz .LBB77_26
; %bb.20:
	ds_store_2addr_b64 v215, v[144:145], v[146:147] offset1:1
	ds_store_2addr_b64 v216, v[140:141], v[142:143] offset0:6 offset1:7
	ds_store_2addr_b64 v216, v[136:137], v[138:139] offset0:8 offset1:9
	;; [unrolled: 1-line block ×36, first 2 shown]
	ds_load_2addr_b64 v[156:159], v215 offset1:1
	s_waitcnt lgkmcnt(0)
	v_cmp_neq_f64_e32 vcc_lo, 0, v[156:157]
	v_cmp_neq_f64_e64 s3, 0, v[158:159]
	s_delay_alu instid0(VALU_DEP_1) | instskip(NEXT) | instid1(SALU_CYCLE_1)
	s_or_b32 s3, vcc_lo, s3
	s_and_b32 exec_lo, exec_lo, s3
	s_cbranch_execz .LBB77_26
; %bb.21:
	v_cmp_gt_f64_e32 vcc_lo, 0, v[156:157]
	v_cmp_gt_f64_e64 s3, 0, v[158:159]
	v_xor_b32_e32 v160, 0x80000000, v157
	v_xor_b32_e32 v162, 0x80000000, v159
                                        ; implicit-def: $vgpr164_vgpr165
	s_delay_alu instid0(VALU_DEP_2) | instskip(NEXT) | instid1(VALU_DEP_2)
	v_cndmask_b32_e32 v161, v157, v160, vcc_lo
	v_cndmask_b32_e64 v163, v159, v162, s3
	v_cndmask_b32_e32 v160, v156, v156, vcc_lo
	v_cndmask_b32_e64 v162, v158, v158, s3
	s_mov_b32 s3, exec_lo
	s_delay_alu instid0(VALU_DEP_1)
	v_cmpx_ngt_f64_e32 v[160:161], v[162:163]
	s_xor_b32 s3, exec_lo, s3
                                        ; implicit-def: $vgpr160_vgpr161_vgpr162_vgpr163
	s_cbranch_execz .LBB77_23
; %bb.22:
	v_div_scale_f64 v[160:161], null, v[158:159], v[158:159], v[156:157]
	v_div_scale_f64 v[166:167], vcc_lo, v[156:157], v[158:159], v[156:157]
	s_delay_alu instid0(VALU_DEP_2) | instskip(SKIP_2) | instid1(VALU_DEP_1)
	v_rcp_f64_e32 v[162:163], v[160:161]
	s_waitcnt_depctr 0xfff
	v_fma_f64 v[164:165], -v[160:161], v[162:163], 1.0
	v_fma_f64 v[162:163], v[162:163], v[164:165], v[162:163]
	s_delay_alu instid0(VALU_DEP_1) | instskip(NEXT) | instid1(VALU_DEP_1)
	v_fma_f64 v[164:165], -v[160:161], v[162:163], 1.0
	v_fma_f64 v[162:163], v[162:163], v[164:165], v[162:163]
	s_delay_alu instid0(VALU_DEP_1) | instskip(NEXT) | instid1(VALU_DEP_1)
	v_mul_f64 v[164:165], v[166:167], v[162:163]
	v_fma_f64 v[160:161], -v[160:161], v[164:165], v[166:167]
	s_delay_alu instid0(VALU_DEP_1) | instskip(NEXT) | instid1(VALU_DEP_1)
	v_div_fmas_f64 v[160:161], v[160:161], v[162:163], v[164:165]
	v_div_fixup_f64 v[160:161], v[160:161], v[158:159], v[156:157]
	s_delay_alu instid0(VALU_DEP_1) | instskip(NEXT) | instid1(VALU_DEP_1)
	v_fma_f64 v[156:157], v[156:157], v[160:161], v[158:159]
	v_div_scale_f64 v[158:159], null, v[156:157], v[156:157], 1.0
	s_delay_alu instid0(VALU_DEP_1) | instskip(SKIP_2) | instid1(VALU_DEP_1)
	v_rcp_f64_e32 v[162:163], v[158:159]
	s_waitcnt_depctr 0xfff
	v_fma_f64 v[164:165], -v[158:159], v[162:163], 1.0
	v_fma_f64 v[162:163], v[162:163], v[164:165], v[162:163]
	s_delay_alu instid0(VALU_DEP_1) | instskip(NEXT) | instid1(VALU_DEP_1)
	v_fma_f64 v[164:165], -v[158:159], v[162:163], 1.0
	v_fma_f64 v[162:163], v[162:163], v[164:165], v[162:163]
	v_div_scale_f64 v[164:165], vcc_lo, 1.0, v[156:157], 1.0
	s_delay_alu instid0(VALU_DEP_1) | instskip(NEXT) | instid1(VALU_DEP_1)
	v_mul_f64 v[166:167], v[164:165], v[162:163]
	v_fma_f64 v[158:159], -v[158:159], v[166:167], v[164:165]
	s_delay_alu instid0(VALU_DEP_1) | instskip(NEXT) | instid1(VALU_DEP_1)
	v_div_fmas_f64 v[158:159], v[158:159], v[162:163], v[166:167]
	v_div_fixup_f64 v[162:163], v[158:159], v[156:157], 1.0
                                        ; implicit-def: $vgpr156_vgpr157
	s_delay_alu instid0(VALU_DEP_1)
	v_mul_f64 v[164:165], v[160:161], v[162:163]
	v_xor_b32_e32 v163, 0x80000000, v163
.LBB77_23:
	s_and_not1_saveexec_b32 s3, s3
	s_cbranch_execz .LBB77_25
; %bb.24:
	v_div_scale_f64 v[160:161], null, v[156:157], v[156:157], v[158:159]
	v_div_scale_f64 v[166:167], vcc_lo, v[158:159], v[156:157], v[158:159]
	s_delay_alu instid0(VALU_DEP_2) | instskip(SKIP_2) | instid1(VALU_DEP_1)
	v_rcp_f64_e32 v[162:163], v[160:161]
	s_waitcnt_depctr 0xfff
	v_fma_f64 v[164:165], -v[160:161], v[162:163], 1.0
	v_fma_f64 v[162:163], v[162:163], v[164:165], v[162:163]
	s_delay_alu instid0(VALU_DEP_1) | instskip(NEXT) | instid1(VALU_DEP_1)
	v_fma_f64 v[164:165], -v[160:161], v[162:163], 1.0
	v_fma_f64 v[162:163], v[162:163], v[164:165], v[162:163]
	s_delay_alu instid0(VALU_DEP_1) | instskip(NEXT) | instid1(VALU_DEP_1)
	v_mul_f64 v[164:165], v[166:167], v[162:163]
	v_fma_f64 v[160:161], -v[160:161], v[164:165], v[166:167]
	s_delay_alu instid0(VALU_DEP_1) | instskip(NEXT) | instid1(VALU_DEP_1)
	v_div_fmas_f64 v[160:161], v[160:161], v[162:163], v[164:165]
	v_div_fixup_f64 v[160:161], v[160:161], v[156:157], v[158:159]
	s_delay_alu instid0(VALU_DEP_1) | instskip(NEXT) | instid1(VALU_DEP_1)
	v_fma_f64 v[156:157], v[158:159], v[160:161], v[156:157]
	v_div_scale_f64 v[158:159], null, v[156:157], v[156:157], 1.0
	s_delay_alu instid0(VALU_DEP_1) | instskip(SKIP_2) | instid1(VALU_DEP_1)
	v_rcp_f64_e32 v[162:163], v[158:159]
	s_waitcnt_depctr 0xfff
	v_fma_f64 v[164:165], -v[158:159], v[162:163], 1.0
	v_fma_f64 v[162:163], v[162:163], v[164:165], v[162:163]
	s_delay_alu instid0(VALU_DEP_1) | instskip(NEXT) | instid1(VALU_DEP_1)
	v_fma_f64 v[164:165], -v[158:159], v[162:163], 1.0
	v_fma_f64 v[162:163], v[162:163], v[164:165], v[162:163]
	v_div_scale_f64 v[164:165], vcc_lo, 1.0, v[156:157], 1.0
	s_delay_alu instid0(VALU_DEP_1) | instskip(NEXT) | instid1(VALU_DEP_1)
	v_mul_f64 v[166:167], v[164:165], v[162:163]
	v_fma_f64 v[158:159], -v[158:159], v[166:167], v[164:165]
	s_delay_alu instid0(VALU_DEP_1) | instskip(NEXT) | instid1(VALU_DEP_1)
	v_div_fmas_f64 v[158:159], v[158:159], v[162:163], v[166:167]
	v_div_fixup_f64 v[164:165], v[158:159], v[156:157], 1.0
	s_delay_alu instid0(VALU_DEP_1)
	v_mul_f64 v[162:163], v[160:161], -v[164:165]
.LBB77_25:
	s_or_b32 exec_lo, exec_lo, s3
	ds_store_2addr_b64 v215, v[164:165], v[162:163] offset1:1
.LBB77_26:
	s_or_b32 exec_lo, exec_lo, s4
	s_waitcnt lgkmcnt(0)
	s_barrier
	buffer_gl0_inv
	ds_load_2addr_b64 v[156:159], v215 offset1:1
	s_mov_b32 s3, exec_lo
	s_waitcnt lgkmcnt(0)
	scratch_store_b128 off, v[156:159], off offset:200 ; 16-byte Folded Spill
	v_cmpx_lt_u32_e32 2, v214
	s_cbranch_execz .LBB77_28
; %bb.27:
	scratch_load_b128 v[158:161], off, off offset:200 ; 16-byte Folded Reload
	s_waitcnt vmcnt(0)
	v_mul_f64 v[156:157], v[160:161], v[146:147]
	v_mul_f64 v[146:147], v[158:159], v[146:147]
	s_delay_alu instid0(VALU_DEP_2) | instskip(NEXT) | instid1(VALU_DEP_2)
	v_fma_f64 v[156:157], v[158:159], v[144:145], -v[156:157]
	v_fma_f64 v[146:147], v[160:161], v[144:145], v[146:147]
	ds_load_2addr_b64 v[158:161], v216 offset0:6 offset1:7
	s_waitcnt lgkmcnt(0)
	v_mul_f64 v[144:145], v[160:161], v[146:147]
	s_delay_alu instid0(VALU_DEP_1) | instskip(SKIP_1) | instid1(VALU_DEP_2)
	v_fma_f64 v[144:145], v[158:159], v[156:157], -v[144:145]
	v_mul_f64 v[158:159], v[158:159], v[146:147]
	v_add_f64 v[140:141], v[140:141], -v[144:145]
	s_delay_alu instid0(VALU_DEP_2) | instskip(NEXT) | instid1(VALU_DEP_1)
	v_fma_f64 v[158:159], v[160:161], v[156:157], v[158:159]
	v_add_f64 v[142:143], v[142:143], -v[158:159]
	ds_load_2addr_b64 v[158:161], v216 offset0:8 offset1:9
	s_waitcnt lgkmcnt(0)
	v_mul_f64 v[144:145], v[160:161], v[146:147]
	s_delay_alu instid0(VALU_DEP_1) | instskip(SKIP_1) | instid1(VALU_DEP_2)
	v_fma_f64 v[144:145], v[158:159], v[156:157], -v[144:145]
	v_mul_f64 v[158:159], v[158:159], v[146:147]
	v_add_f64 v[136:137], v[136:137], -v[144:145]
	s_delay_alu instid0(VALU_DEP_2) | instskip(NEXT) | instid1(VALU_DEP_1)
	v_fma_f64 v[158:159], v[160:161], v[156:157], v[158:159]
	v_add_f64 v[138:139], v[138:139], -v[158:159]
	;; [unrolled: 10-line block ×35, first 2 shown]
	ds_load_2addr_b64 v[158:161], v216 offset0:76 offset1:77
	s_waitcnt lgkmcnt(0)
	v_mul_f64 v[144:145], v[160:161], v[146:147]
	s_delay_alu instid0(VALU_DEP_1) | instskip(SKIP_1) | instid1(VALU_DEP_2)
	v_fma_f64 v[144:145], v[158:159], v[156:157], -v[144:145]
	v_mul_f64 v[158:159], v[158:159], v[146:147]
	v_add_f64 v[0:1], v[0:1], -v[144:145]
	s_delay_alu instid0(VALU_DEP_2) | instskip(SKIP_1) | instid1(VALU_DEP_2)
	v_fma_f64 v[158:159], v[160:161], v[156:157], v[158:159]
	v_dual_mov_b32 v144, v156 :: v_dual_mov_b32 v145, v157
	v_add_f64 v[2:3], v[2:3], -v[158:159]
.LBB77_28:
	s_or_b32 exec_lo, exec_lo, s3
	s_delay_alu instid0(SALU_CYCLE_1)
	s_mov_b32 s4, exec_lo
	s_waitcnt_vscnt null, 0x0
	s_barrier
	buffer_gl0_inv
	v_cmpx_eq_u32_e32 3, v214
	s_cbranch_execz .LBB77_35
; %bb.29:
	ds_store_2addr_b64 v215, v[140:141], v[142:143] offset1:1
	ds_store_2addr_b64 v216, v[136:137], v[138:139] offset0:8 offset1:9
	ds_store_2addr_b64 v216, v[132:133], v[134:135] offset0:10 offset1:11
	;; [unrolled: 1-line block ×35, first 2 shown]
	ds_load_2addr_b64 v[156:159], v215 offset1:1
	s_waitcnt lgkmcnt(0)
	v_cmp_neq_f64_e32 vcc_lo, 0, v[156:157]
	v_cmp_neq_f64_e64 s3, 0, v[158:159]
	s_delay_alu instid0(VALU_DEP_1) | instskip(NEXT) | instid1(SALU_CYCLE_1)
	s_or_b32 s3, vcc_lo, s3
	s_and_b32 exec_lo, exec_lo, s3
	s_cbranch_execz .LBB77_35
; %bb.30:
	v_cmp_gt_f64_e32 vcc_lo, 0, v[156:157]
	v_xor_b32_e32 v160, 0x80000000, v157
	v_xor_b32_e32 v162, 0x80000000, v159
	s_mov_b32 s3, exec_lo
                                        ; implicit-def: $vgpr164_vgpr165
	s_delay_alu instid0(VALU_DEP_2) | instskip(SKIP_4) | instid1(VALU_DEP_1)
	v_cndmask_b32_e32 v161, v157, v160, vcc_lo
	v_cndmask_b32_e32 v160, v156, v156, vcc_lo
	v_cmp_gt_f64_e32 vcc_lo, 0, v[158:159]
	v_cndmask_b32_e32 v163, v159, v162, vcc_lo
	v_cndmask_b32_e32 v162, v158, v158, vcc_lo
	v_cmpx_ngt_f64_e32 v[160:161], v[162:163]
	s_xor_b32 s3, exec_lo, s3
                                        ; implicit-def: $vgpr160_vgpr161_vgpr162_vgpr163
	s_cbranch_execz .LBB77_32
; %bb.31:
	v_div_scale_f64 v[160:161], null, v[158:159], v[158:159], v[156:157]
	v_div_scale_f64 v[166:167], vcc_lo, v[156:157], v[158:159], v[156:157]
	s_delay_alu instid0(VALU_DEP_2) | instskip(SKIP_2) | instid1(VALU_DEP_1)
	v_rcp_f64_e32 v[162:163], v[160:161]
	s_waitcnt_depctr 0xfff
	v_fma_f64 v[164:165], -v[160:161], v[162:163], 1.0
	v_fma_f64 v[162:163], v[162:163], v[164:165], v[162:163]
	s_delay_alu instid0(VALU_DEP_1) | instskip(NEXT) | instid1(VALU_DEP_1)
	v_fma_f64 v[164:165], -v[160:161], v[162:163], 1.0
	v_fma_f64 v[162:163], v[162:163], v[164:165], v[162:163]
	s_delay_alu instid0(VALU_DEP_1) | instskip(NEXT) | instid1(VALU_DEP_1)
	v_mul_f64 v[164:165], v[166:167], v[162:163]
	v_fma_f64 v[160:161], -v[160:161], v[164:165], v[166:167]
	s_delay_alu instid0(VALU_DEP_1) | instskip(NEXT) | instid1(VALU_DEP_1)
	v_div_fmas_f64 v[160:161], v[160:161], v[162:163], v[164:165]
	v_div_fixup_f64 v[160:161], v[160:161], v[158:159], v[156:157]
	s_delay_alu instid0(VALU_DEP_1) | instskip(NEXT) | instid1(VALU_DEP_1)
	v_fma_f64 v[156:157], v[156:157], v[160:161], v[158:159]
	v_div_scale_f64 v[158:159], null, v[156:157], v[156:157], 1.0
	s_delay_alu instid0(VALU_DEP_1) | instskip(SKIP_2) | instid1(VALU_DEP_1)
	v_rcp_f64_e32 v[162:163], v[158:159]
	s_waitcnt_depctr 0xfff
	v_fma_f64 v[164:165], -v[158:159], v[162:163], 1.0
	v_fma_f64 v[162:163], v[162:163], v[164:165], v[162:163]
	s_delay_alu instid0(VALU_DEP_1) | instskip(NEXT) | instid1(VALU_DEP_1)
	v_fma_f64 v[164:165], -v[158:159], v[162:163], 1.0
	v_fma_f64 v[162:163], v[162:163], v[164:165], v[162:163]
	v_div_scale_f64 v[164:165], vcc_lo, 1.0, v[156:157], 1.0
	s_delay_alu instid0(VALU_DEP_1) | instskip(NEXT) | instid1(VALU_DEP_1)
	v_mul_f64 v[166:167], v[164:165], v[162:163]
	v_fma_f64 v[158:159], -v[158:159], v[166:167], v[164:165]
	s_delay_alu instid0(VALU_DEP_1) | instskip(NEXT) | instid1(VALU_DEP_1)
	v_div_fmas_f64 v[158:159], v[158:159], v[162:163], v[166:167]
	v_div_fixup_f64 v[162:163], v[158:159], v[156:157], 1.0
                                        ; implicit-def: $vgpr156_vgpr157
	s_delay_alu instid0(VALU_DEP_1)
	v_mul_f64 v[164:165], v[160:161], v[162:163]
	v_xor_b32_e32 v163, 0x80000000, v163
.LBB77_32:
	s_and_not1_saveexec_b32 s3, s3
	s_cbranch_execz .LBB77_34
; %bb.33:
	v_div_scale_f64 v[160:161], null, v[156:157], v[156:157], v[158:159]
	v_div_scale_f64 v[166:167], vcc_lo, v[158:159], v[156:157], v[158:159]
	s_delay_alu instid0(VALU_DEP_2) | instskip(SKIP_2) | instid1(VALU_DEP_1)
	v_rcp_f64_e32 v[162:163], v[160:161]
	s_waitcnt_depctr 0xfff
	v_fma_f64 v[164:165], -v[160:161], v[162:163], 1.0
	v_fma_f64 v[162:163], v[162:163], v[164:165], v[162:163]
	s_delay_alu instid0(VALU_DEP_1) | instskip(NEXT) | instid1(VALU_DEP_1)
	v_fma_f64 v[164:165], -v[160:161], v[162:163], 1.0
	v_fma_f64 v[162:163], v[162:163], v[164:165], v[162:163]
	s_delay_alu instid0(VALU_DEP_1) | instskip(NEXT) | instid1(VALU_DEP_1)
	v_mul_f64 v[164:165], v[166:167], v[162:163]
	v_fma_f64 v[160:161], -v[160:161], v[164:165], v[166:167]
	s_delay_alu instid0(VALU_DEP_1) | instskip(NEXT) | instid1(VALU_DEP_1)
	v_div_fmas_f64 v[160:161], v[160:161], v[162:163], v[164:165]
	v_div_fixup_f64 v[160:161], v[160:161], v[156:157], v[158:159]
	s_delay_alu instid0(VALU_DEP_1) | instskip(NEXT) | instid1(VALU_DEP_1)
	v_fma_f64 v[156:157], v[158:159], v[160:161], v[156:157]
	v_div_scale_f64 v[158:159], null, v[156:157], v[156:157], 1.0
	s_delay_alu instid0(VALU_DEP_1) | instskip(SKIP_2) | instid1(VALU_DEP_1)
	v_rcp_f64_e32 v[162:163], v[158:159]
	s_waitcnt_depctr 0xfff
	v_fma_f64 v[164:165], -v[158:159], v[162:163], 1.0
	v_fma_f64 v[162:163], v[162:163], v[164:165], v[162:163]
	s_delay_alu instid0(VALU_DEP_1) | instskip(NEXT) | instid1(VALU_DEP_1)
	v_fma_f64 v[164:165], -v[158:159], v[162:163], 1.0
	v_fma_f64 v[162:163], v[162:163], v[164:165], v[162:163]
	v_div_scale_f64 v[164:165], vcc_lo, 1.0, v[156:157], 1.0
	s_delay_alu instid0(VALU_DEP_1) | instskip(NEXT) | instid1(VALU_DEP_1)
	v_mul_f64 v[166:167], v[164:165], v[162:163]
	v_fma_f64 v[158:159], -v[158:159], v[166:167], v[164:165]
	s_delay_alu instid0(VALU_DEP_1) | instskip(NEXT) | instid1(VALU_DEP_1)
	v_div_fmas_f64 v[158:159], v[158:159], v[162:163], v[166:167]
	v_div_fixup_f64 v[164:165], v[158:159], v[156:157], 1.0
	s_delay_alu instid0(VALU_DEP_1)
	v_mul_f64 v[162:163], v[160:161], -v[164:165]
.LBB77_34:
	s_or_b32 exec_lo, exec_lo, s3
	ds_store_2addr_b64 v215, v[164:165], v[162:163] offset1:1
.LBB77_35:
	s_or_b32 exec_lo, exec_lo, s4
	s_waitcnt lgkmcnt(0)
	s_barrier
	buffer_gl0_inv
	ds_load_2addr_b64 v[156:159], v215 offset1:1
	s_mov_b32 s3, exec_lo
	s_waitcnt lgkmcnt(0)
	scratch_store_b128 off, v[156:159], off offset:216 ; 16-byte Folded Spill
	v_cmpx_lt_u32_e32 3, v214
	s_cbranch_execz .LBB77_37
; %bb.36:
	scratch_load_b128 v[158:161], off, off offset:216 ; 16-byte Folded Reload
	s_waitcnt vmcnt(0)
	v_mul_f64 v[156:157], v[160:161], v[142:143]
	v_mul_f64 v[142:143], v[158:159], v[142:143]
	s_delay_alu instid0(VALU_DEP_2) | instskip(NEXT) | instid1(VALU_DEP_2)
	v_fma_f64 v[156:157], v[158:159], v[140:141], -v[156:157]
	v_fma_f64 v[142:143], v[160:161], v[140:141], v[142:143]
	ds_load_2addr_b64 v[158:161], v216 offset0:8 offset1:9
	s_waitcnt lgkmcnt(0)
	v_mul_f64 v[140:141], v[160:161], v[142:143]
	s_delay_alu instid0(VALU_DEP_1) | instskip(SKIP_1) | instid1(VALU_DEP_2)
	v_fma_f64 v[140:141], v[158:159], v[156:157], -v[140:141]
	v_mul_f64 v[158:159], v[158:159], v[142:143]
	v_add_f64 v[136:137], v[136:137], -v[140:141]
	s_delay_alu instid0(VALU_DEP_2) | instskip(NEXT) | instid1(VALU_DEP_1)
	v_fma_f64 v[158:159], v[160:161], v[156:157], v[158:159]
	v_add_f64 v[138:139], v[138:139], -v[158:159]
	ds_load_2addr_b64 v[158:161], v216 offset0:10 offset1:11
	s_waitcnt lgkmcnt(0)
	v_mul_f64 v[140:141], v[160:161], v[142:143]
	s_delay_alu instid0(VALU_DEP_1) | instskip(SKIP_1) | instid1(VALU_DEP_2)
	v_fma_f64 v[140:141], v[158:159], v[156:157], -v[140:141]
	v_mul_f64 v[158:159], v[158:159], v[142:143]
	v_add_f64 v[132:133], v[132:133], -v[140:141]
	s_delay_alu instid0(VALU_DEP_2) | instskip(NEXT) | instid1(VALU_DEP_1)
	v_fma_f64 v[158:159], v[160:161], v[156:157], v[158:159]
	v_add_f64 v[134:135], v[134:135], -v[158:159]
	;; [unrolled: 10-line block ×34, first 2 shown]
	ds_load_2addr_b64 v[158:161], v216 offset0:76 offset1:77
	s_waitcnt lgkmcnt(0)
	v_mul_f64 v[140:141], v[160:161], v[142:143]
	s_delay_alu instid0(VALU_DEP_1) | instskip(SKIP_1) | instid1(VALU_DEP_2)
	v_fma_f64 v[140:141], v[158:159], v[156:157], -v[140:141]
	v_mul_f64 v[158:159], v[158:159], v[142:143]
	v_add_f64 v[0:1], v[0:1], -v[140:141]
	s_delay_alu instid0(VALU_DEP_2) | instskip(SKIP_1) | instid1(VALU_DEP_2)
	v_fma_f64 v[158:159], v[160:161], v[156:157], v[158:159]
	v_dual_mov_b32 v140, v156 :: v_dual_mov_b32 v141, v157
	v_add_f64 v[2:3], v[2:3], -v[158:159]
.LBB77_37:
	s_or_b32 exec_lo, exec_lo, s3
	s_delay_alu instid0(SALU_CYCLE_1)
	s_mov_b32 s4, exec_lo
	s_waitcnt_vscnt null, 0x0
	s_barrier
	buffer_gl0_inv
	v_cmpx_eq_u32_e32 4, v214
	s_cbranch_execz .LBB77_44
; %bb.38:
	ds_store_2addr_b64 v215, v[136:137], v[138:139] offset1:1
	ds_store_2addr_b64 v216, v[132:133], v[134:135] offset0:10 offset1:11
	ds_store_2addr_b64 v216, v[128:129], v[130:131] offset0:12 offset1:13
	;; [unrolled: 1-line block ×34, first 2 shown]
	ds_load_2addr_b64 v[156:159], v215 offset1:1
	s_waitcnt lgkmcnt(0)
	v_cmp_neq_f64_e32 vcc_lo, 0, v[156:157]
	v_cmp_neq_f64_e64 s3, 0, v[158:159]
	s_delay_alu instid0(VALU_DEP_1) | instskip(NEXT) | instid1(SALU_CYCLE_1)
	s_or_b32 s3, vcc_lo, s3
	s_and_b32 exec_lo, exec_lo, s3
	s_cbranch_execz .LBB77_44
; %bb.39:
	v_cmp_gt_f64_e32 vcc_lo, 0, v[156:157]
	v_xor_b32_e32 v160, 0x80000000, v157
	v_xor_b32_e32 v162, 0x80000000, v159
	s_mov_b32 s3, exec_lo
                                        ; implicit-def: $vgpr164_vgpr165
	s_delay_alu instid0(VALU_DEP_2) | instskip(SKIP_4) | instid1(VALU_DEP_1)
	v_cndmask_b32_e32 v161, v157, v160, vcc_lo
	v_cndmask_b32_e32 v160, v156, v156, vcc_lo
	v_cmp_gt_f64_e32 vcc_lo, 0, v[158:159]
	v_cndmask_b32_e32 v163, v159, v162, vcc_lo
	v_cndmask_b32_e32 v162, v158, v158, vcc_lo
	v_cmpx_ngt_f64_e32 v[160:161], v[162:163]
	s_xor_b32 s3, exec_lo, s3
                                        ; implicit-def: $vgpr160_vgpr161_vgpr162_vgpr163
	s_cbranch_execz .LBB77_41
; %bb.40:
	v_div_scale_f64 v[160:161], null, v[158:159], v[158:159], v[156:157]
	v_div_scale_f64 v[166:167], vcc_lo, v[156:157], v[158:159], v[156:157]
	s_delay_alu instid0(VALU_DEP_2) | instskip(SKIP_2) | instid1(VALU_DEP_1)
	v_rcp_f64_e32 v[162:163], v[160:161]
	s_waitcnt_depctr 0xfff
	v_fma_f64 v[164:165], -v[160:161], v[162:163], 1.0
	v_fma_f64 v[162:163], v[162:163], v[164:165], v[162:163]
	s_delay_alu instid0(VALU_DEP_1) | instskip(NEXT) | instid1(VALU_DEP_1)
	v_fma_f64 v[164:165], -v[160:161], v[162:163], 1.0
	v_fma_f64 v[162:163], v[162:163], v[164:165], v[162:163]
	s_delay_alu instid0(VALU_DEP_1) | instskip(NEXT) | instid1(VALU_DEP_1)
	v_mul_f64 v[164:165], v[166:167], v[162:163]
	v_fma_f64 v[160:161], -v[160:161], v[164:165], v[166:167]
	s_delay_alu instid0(VALU_DEP_1) | instskip(NEXT) | instid1(VALU_DEP_1)
	v_div_fmas_f64 v[160:161], v[160:161], v[162:163], v[164:165]
	v_div_fixup_f64 v[160:161], v[160:161], v[158:159], v[156:157]
	s_delay_alu instid0(VALU_DEP_1) | instskip(NEXT) | instid1(VALU_DEP_1)
	v_fma_f64 v[156:157], v[156:157], v[160:161], v[158:159]
	v_div_scale_f64 v[158:159], null, v[156:157], v[156:157], 1.0
	s_delay_alu instid0(VALU_DEP_1) | instskip(SKIP_2) | instid1(VALU_DEP_1)
	v_rcp_f64_e32 v[162:163], v[158:159]
	s_waitcnt_depctr 0xfff
	v_fma_f64 v[164:165], -v[158:159], v[162:163], 1.0
	v_fma_f64 v[162:163], v[162:163], v[164:165], v[162:163]
	s_delay_alu instid0(VALU_DEP_1) | instskip(NEXT) | instid1(VALU_DEP_1)
	v_fma_f64 v[164:165], -v[158:159], v[162:163], 1.0
	v_fma_f64 v[162:163], v[162:163], v[164:165], v[162:163]
	v_div_scale_f64 v[164:165], vcc_lo, 1.0, v[156:157], 1.0
	s_delay_alu instid0(VALU_DEP_1) | instskip(NEXT) | instid1(VALU_DEP_1)
	v_mul_f64 v[166:167], v[164:165], v[162:163]
	v_fma_f64 v[158:159], -v[158:159], v[166:167], v[164:165]
	s_delay_alu instid0(VALU_DEP_1) | instskip(NEXT) | instid1(VALU_DEP_1)
	v_div_fmas_f64 v[158:159], v[158:159], v[162:163], v[166:167]
	v_div_fixup_f64 v[162:163], v[158:159], v[156:157], 1.0
                                        ; implicit-def: $vgpr156_vgpr157
	s_delay_alu instid0(VALU_DEP_1)
	v_mul_f64 v[164:165], v[160:161], v[162:163]
	v_xor_b32_e32 v163, 0x80000000, v163
.LBB77_41:
	s_and_not1_saveexec_b32 s3, s3
	s_cbranch_execz .LBB77_43
; %bb.42:
	v_div_scale_f64 v[160:161], null, v[156:157], v[156:157], v[158:159]
	v_div_scale_f64 v[166:167], vcc_lo, v[158:159], v[156:157], v[158:159]
	s_delay_alu instid0(VALU_DEP_2) | instskip(SKIP_2) | instid1(VALU_DEP_1)
	v_rcp_f64_e32 v[162:163], v[160:161]
	s_waitcnt_depctr 0xfff
	v_fma_f64 v[164:165], -v[160:161], v[162:163], 1.0
	v_fma_f64 v[162:163], v[162:163], v[164:165], v[162:163]
	s_delay_alu instid0(VALU_DEP_1) | instskip(NEXT) | instid1(VALU_DEP_1)
	v_fma_f64 v[164:165], -v[160:161], v[162:163], 1.0
	v_fma_f64 v[162:163], v[162:163], v[164:165], v[162:163]
	s_delay_alu instid0(VALU_DEP_1) | instskip(NEXT) | instid1(VALU_DEP_1)
	v_mul_f64 v[164:165], v[166:167], v[162:163]
	v_fma_f64 v[160:161], -v[160:161], v[164:165], v[166:167]
	s_delay_alu instid0(VALU_DEP_1) | instskip(NEXT) | instid1(VALU_DEP_1)
	v_div_fmas_f64 v[160:161], v[160:161], v[162:163], v[164:165]
	v_div_fixup_f64 v[160:161], v[160:161], v[156:157], v[158:159]
	s_delay_alu instid0(VALU_DEP_1) | instskip(NEXT) | instid1(VALU_DEP_1)
	v_fma_f64 v[156:157], v[158:159], v[160:161], v[156:157]
	v_div_scale_f64 v[158:159], null, v[156:157], v[156:157], 1.0
	s_delay_alu instid0(VALU_DEP_1) | instskip(SKIP_2) | instid1(VALU_DEP_1)
	v_rcp_f64_e32 v[162:163], v[158:159]
	s_waitcnt_depctr 0xfff
	v_fma_f64 v[164:165], -v[158:159], v[162:163], 1.0
	v_fma_f64 v[162:163], v[162:163], v[164:165], v[162:163]
	s_delay_alu instid0(VALU_DEP_1) | instskip(NEXT) | instid1(VALU_DEP_1)
	v_fma_f64 v[164:165], -v[158:159], v[162:163], 1.0
	v_fma_f64 v[162:163], v[162:163], v[164:165], v[162:163]
	v_div_scale_f64 v[164:165], vcc_lo, 1.0, v[156:157], 1.0
	s_delay_alu instid0(VALU_DEP_1) | instskip(NEXT) | instid1(VALU_DEP_1)
	v_mul_f64 v[166:167], v[164:165], v[162:163]
	v_fma_f64 v[158:159], -v[158:159], v[166:167], v[164:165]
	s_delay_alu instid0(VALU_DEP_1) | instskip(NEXT) | instid1(VALU_DEP_1)
	v_div_fmas_f64 v[158:159], v[158:159], v[162:163], v[166:167]
	v_div_fixup_f64 v[164:165], v[158:159], v[156:157], 1.0
	s_delay_alu instid0(VALU_DEP_1)
	v_mul_f64 v[162:163], v[160:161], -v[164:165]
.LBB77_43:
	s_or_b32 exec_lo, exec_lo, s3
	ds_store_2addr_b64 v215, v[164:165], v[162:163] offset1:1
.LBB77_44:
	s_or_b32 exec_lo, exec_lo, s4
	s_waitcnt lgkmcnt(0)
	s_barrier
	buffer_gl0_inv
	ds_load_2addr_b64 v[156:159], v215 offset1:1
	s_mov_b32 s3, exec_lo
	s_waitcnt lgkmcnt(0)
	scratch_store_b128 off, v[156:159], off offset:232 ; 16-byte Folded Spill
	v_cmpx_lt_u32_e32 4, v214
	s_cbranch_execz .LBB77_46
; %bb.45:
	scratch_load_b128 v[158:161], off, off offset:232 ; 16-byte Folded Reload
	s_waitcnt vmcnt(0)
	v_mul_f64 v[156:157], v[160:161], v[138:139]
	v_mul_f64 v[138:139], v[158:159], v[138:139]
	s_delay_alu instid0(VALU_DEP_2) | instskip(NEXT) | instid1(VALU_DEP_2)
	v_fma_f64 v[156:157], v[158:159], v[136:137], -v[156:157]
	v_fma_f64 v[138:139], v[160:161], v[136:137], v[138:139]
	ds_load_2addr_b64 v[158:161], v216 offset0:10 offset1:11
	s_waitcnt lgkmcnt(0)
	v_mul_f64 v[136:137], v[160:161], v[138:139]
	s_delay_alu instid0(VALU_DEP_1) | instskip(SKIP_1) | instid1(VALU_DEP_2)
	v_fma_f64 v[136:137], v[158:159], v[156:157], -v[136:137]
	v_mul_f64 v[158:159], v[158:159], v[138:139]
	v_add_f64 v[132:133], v[132:133], -v[136:137]
	s_delay_alu instid0(VALU_DEP_2) | instskip(NEXT) | instid1(VALU_DEP_1)
	v_fma_f64 v[158:159], v[160:161], v[156:157], v[158:159]
	v_add_f64 v[134:135], v[134:135], -v[158:159]
	ds_load_2addr_b64 v[158:161], v216 offset0:12 offset1:13
	s_waitcnt lgkmcnt(0)
	v_mul_f64 v[136:137], v[160:161], v[138:139]
	s_delay_alu instid0(VALU_DEP_1) | instskip(SKIP_1) | instid1(VALU_DEP_2)
	v_fma_f64 v[136:137], v[158:159], v[156:157], -v[136:137]
	v_mul_f64 v[158:159], v[158:159], v[138:139]
	v_add_f64 v[128:129], v[128:129], -v[136:137]
	s_delay_alu instid0(VALU_DEP_2) | instskip(NEXT) | instid1(VALU_DEP_1)
	v_fma_f64 v[158:159], v[160:161], v[156:157], v[158:159]
	v_add_f64 v[130:131], v[130:131], -v[158:159]
	;; [unrolled: 10-line block ×33, first 2 shown]
	ds_load_2addr_b64 v[158:161], v216 offset0:76 offset1:77
	s_waitcnt lgkmcnt(0)
	v_mul_f64 v[136:137], v[160:161], v[138:139]
	s_delay_alu instid0(VALU_DEP_1) | instskip(SKIP_1) | instid1(VALU_DEP_2)
	v_fma_f64 v[136:137], v[158:159], v[156:157], -v[136:137]
	v_mul_f64 v[158:159], v[158:159], v[138:139]
	v_add_f64 v[0:1], v[0:1], -v[136:137]
	s_delay_alu instid0(VALU_DEP_2) | instskip(SKIP_1) | instid1(VALU_DEP_2)
	v_fma_f64 v[158:159], v[160:161], v[156:157], v[158:159]
	v_dual_mov_b32 v136, v156 :: v_dual_mov_b32 v137, v157
	v_add_f64 v[2:3], v[2:3], -v[158:159]
.LBB77_46:
	s_or_b32 exec_lo, exec_lo, s3
	s_delay_alu instid0(SALU_CYCLE_1)
	s_mov_b32 s4, exec_lo
	s_waitcnt_vscnt null, 0x0
	s_barrier
	buffer_gl0_inv
	v_cmpx_eq_u32_e32 5, v214
	s_cbranch_execz .LBB77_53
; %bb.47:
	ds_store_2addr_b64 v215, v[132:133], v[134:135] offset1:1
	ds_store_2addr_b64 v216, v[128:129], v[130:131] offset0:12 offset1:13
	ds_store_2addr_b64 v216, v[124:125], v[126:127] offset0:14 offset1:15
	;; [unrolled: 1-line block ×33, first 2 shown]
	ds_load_2addr_b64 v[156:159], v215 offset1:1
	s_waitcnt lgkmcnt(0)
	v_cmp_neq_f64_e32 vcc_lo, 0, v[156:157]
	v_cmp_neq_f64_e64 s3, 0, v[158:159]
	s_delay_alu instid0(VALU_DEP_1) | instskip(NEXT) | instid1(SALU_CYCLE_1)
	s_or_b32 s3, vcc_lo, s3
	s_and_b32 exec_lo, exec_lo, s3
	s_cbranch_execz .LBB77_53
; %bb.48:
	v_cmp_gt_f64_e32 vcc_lo, 0, v[156:157]
	v_xor_b32_e32 v160, 0x80000000, v157
	v_xor_b32_e32 v162, 0x80000000, v159
	s_mov_b32 s3, exec_lo
                                        ; implicit-def: $vgpr164_vgpr165
	s_delay_alu instid0(VALU_DEP_2) | instskip(SKIP_4) | instid1(VALU_DEP_1)
	v_cndmask_b32_e32 v161, v157, v160, vcc_lo
	v_cndmask_b32_e32 v160, v156, v156, vcc_lo
	v_cmp_gt_f64_e32 vcc_lo, 0, v[158:159]
	v_cndmask_b32_e32 v163, v159, v162, vcc_lo
	v_cndmask_b32_e32 v162, v158, v158, vcc_lo
	v_cmpx_ngt_f64_e32 v[160:161], v[162:163]
	s_xor_b32 s3, exec_lo, s3
                                        ; implicit-def: $vgpr160_vgpr161_vgpr162_vgpr163
	s_cbranch_execz .LBB77_50
; %bb.49:
	v_div_scale_f64 v[160:161], null, v[158:159], v[158:159], v[156:157]
	v_div_scale_f64 v[166:167], vcc_lo, v[156:157], v[158:159], v[156:157]
	s_delay_alu instid0(VALU_DEP_2) | instskip(SKIP_2) | instid1(VALU_DEP_1)
	v_rcp_f64_e32 v[162:163], v[160:161]
	s_waitcnt_depctr 0xfff
	v_fma_f64 v[164:165], -v[160:161], v[162:163], 1.0
	v_fma_f64 v[162:163], v[162:163], v[164:165], v[162:163]
	s_delay_alu instid0(VALU_DEP_1) | instskip(NEXT) | instid1(VALU_DEP_1)
	v_fma_f64 v[164:165], -v[160:161], v[162:163], 1.0
	v_fma_f64 v[162:163], v[162:163], v[164:165], v[162:163]
	s_delay_alu instid0(VALU_DEP_1) | instskip(NEXT) | instid1(VALU_DEP_1)
	v_mul_f64 v[164:165], v[166:167], v[162:163]
	v_fma_f64 v[160:161], -v[160:161], v[164:165], v[166:167]
	s_delay_alu instid0(VALU_DEP_1) | instskip(NEXT) | instid1(VALU_DEP_1)
	v_div_fmas_f64 v[160:161], v[160:161], v[162:163], v[164:165]
	v_div_fixup_f64 v[160:161], v[160:161], v[158:159], v[156:157]
	s_delay_alu instid0(VALU_DEP_1) | instskip(NEXT) | instid1(VALU_DEP_1)
	v_fma_f64 v[156:157], v[156:157], v[160:161], v[158:159]
	v_div_scale_f64 v[158:159], null, v[156:157], v[156:157], 1.0
	s_delay_alu instid0(VALU_DEP_1) | instskip(SKIP_2) | instid1(VALU_DEP_1)
	v_rcp_f64_e32 v[162:163], v[158:159]
	s_waitcnt_depctr 0xfff
	v_fma_f64 v[164:165], -v[158:159], v[162:163], 1.0
	v_fma_f64 v[162:163], v[162:163], v[164:165], v[162:163]
	s_delay_alu instid0(VALU_DEP_1) | instskip(NEXT) | instid1(VALU_DEP_1)
	v_fma_f64 v[164:165], -v[158:159], v[162:163], 1.0
	v_fma_f64 v[162:163], v[162:163], v[164:165], v[162:163]
	v_div_scale_f64 v[164:165], vcc_lo, 1.0, v[156:157], 1.0
	s_delay_alu instid0(VALU_DEP_1) | instskip(NEXT) | instid1(VALU_DEP_1)
	v_mul_f64 v[166:167], v[164:165], v[162:163]
	v_fma_f64 v[158:159], -v[158:159], v[166:167], v[164:165]
	s_delay_alu instid0(VALU_DEP_1) | instskip(NEXT) | instid1(VALU_DEP_1)
	v_div_fmas_f64 v[158:159], v[158:159], v[162:163], v[166:167]
	v_div_fixup_f64 v[162:163], v[158:159], v[156:157], 1.0
                                        ; implicit-def: $vgpr156_vgpr157
	s_delay_alu instid0(VALU_DEP_1)
	v_mul_f64 v[164:165], v[160:161], v[162:163]
	v_xor_b32_e32 v163, 0x80000000, v163
.LBB77_50:
	s_and_not1_saveexec_b32 s3, s3
	s_cbranch_execz .LBB77_52
; %bb.51:
	v_div_scale_f64 v[160:161], null, v[156:157], v[156:157], v[158:159]
	v_div_scale_f64 v[166:167], vcc_lo, v[158:159], v[156:157], v[158:159]
	s_delay_alu instid0(VALU_DEP_2) | instskip(SKIP_2) | instid1(VALU_DEP_1)
	v_rcp_f64_e32 v[162:163], v[160:161]
	s_waitcnt_depctr 0xfff
	v_fma_f64 v[164:165], -v[160:161], v[162:163], 1.0
	v_fma_f64 v[162:163], v[162:163], v[164:165], v[162:163]
	s_delay_alu instid0(VALU_DEP_1) | instskip(NEXT) | instid1(VALU_DEP_1)
	v_fma_f64 v[164:165], -v[160:161], v[162:163], 1.0
	v_fma_f64 v[162:163], v[162:163], v[164:165], v[162:163]
	s_delay_alu instid0(VALU_DEP_1) | instskip(NEXT) | instid1(VALU_DEP_1)
	v_mul_f64 v[164:165], v[166:167], v[162:163]
	v_fma_f64 v[160:161], -v[160:161], v[164:165], v[166:167]
	s_delay_alu instid0(VALU_DEP_1) | instskip(NEXT) | instid1(VALU_DEP_1)
	v_div_fmas_f64 v[160:161], v[160:161], v[162:163], v[164:165]
	v_div_fixup_f64 v[160:161], v[160:161], v[156:157], v[158:159]
	s_delay_alu instid0(VALU_DEP_1) | instskip(NEXT) | instid1(VALU_DEP_1)
	v_fma_f64 v[156:157], v[158:159], v[160:161], v[156:157]
	v_div_scale_f64 v[158:159], null, v[156:157], v[156:157], 1.0
	s_delay_alu instid0(VALU_DEP_1) | instskip(SKIP_2) | instid1(VALU_DEP_1)
	v_rcp_f64_e32 v[162:163], v[158:159]
	s_waitcnt_depctr 0xfff
	v_fma_f64 v[164:165], -v[158:159], v[162:163], 1.0
	v_fma_f64 v[162:163], v[162:163], v[164:165], v[162:163]
	s_delay_alu instid0(VALU_DEP_1) | instskip(NEXT) | instid1(VALU_DEP_1)
	v_fma_f64 v[164:165], -v[158:159], v[162:163], 1.0
	v_fma_f64 v[162:163], v[162:163], v[164:165], v[162:163]
	v_div_scale_f64 v[164:165], vcc_lo, 1.0, v[156:157], 1.0
	s_delay_alu instid0(VALU_DEP_1) | instskip(NEXT) | instid1(VALU_DEP_1)
	v_mul_f64 v[166:167], v[164:165], v[162:163]
	v_fma_f64 v[158:159], -v[158:159], v[166:167], v[164:165]
	s_delay_alu instid0(VALU_DEP_1) | instskip(NEXT) | instid1(VALU_DEP_1)
	v_div_fmas_f64 v[158:159], v[158:159], v[162:163], v[166:167]
	v_div_fixup_f64 v[164:165], v[158:159], v[156:157], 1.0
	s_delay_alu instid0(VALU_DEP_1)
	v_mul_f64 v[162:163], v[160:161], -v[164:165]
.LBB77_52:
	s_or_b32 exec_lo, exec_lo, s3
	ds_store_2addr_b64 v215, v[164:165], v[162:163] offset1:1
.LBB77_53:
	s_or_b32 exec_lo, exec_lo, s4
	s_waitcnt lgkmcnt(0)
	s_barrier
	buffer_gl0_inv
	ds_load_2addr_b64 v[156:159], v215 offset1:1
	s_mov_b32 s3, exec_lo
	s_waitcnt lgkmcnt(0)
	scratch_store_b128 off, v[156:159], off offset:248 ; 16-byte Folded Spill
	v_cmpx_lt_u32_e32 5, v214
	s_cbranch_execz .LBB77_55
; %bb.54:
	scratch_load_b128 v[158:161], off, off offset:248 ; 16-byte Folded Reload
	s_waitcnt vmcnt(0)
	v_mul_f64 v[156:157], v[160:161], v[134:135]
	v_mul_f64 v[134:135], v[158:159], v[134:135]
	s_delay_alu instid0(VALU_DEP_2) | instskip(NEXT) | instid1(VALU_DEP_2)
	v_fma_f64 v[156:157], v[158:159], v[132:133], -v[156:157]
	v_fma_f64 v[134:135], v[160:161], v[132:133], v[134:135]
	ds_load_2addr_b64 v[158:161], v216 offset0:12 offset1:13
	s_waitcnt lgkmcnt(0)
	v_mul_f64 v[132:133], v[160:161], v[134:135]
	s_delay_alu instid0(VALU_DEP_1) | instskip(SKIP_1) | instid1(VALU_DEP_2)
	v_fma_f64 v[132:133], v[158:159], v[156:157], -v[132:133]
	v_mul_f64 v[158:159], v[158:159], v[134:135]
	v_add_f64 v[128:129], v[128:129], -v[132:133]
	s_delay_alu instid0(VALU_DEP_2) | instskip(NEXT) | instid1(VALU_DEP_1)
	v_fma_f64 v[158:159], v[160:161], v[156:157], v[158:159]
	v_add_f64 v[130:131], v[130:131], -v[158:159]
	ds_load_2addr_b64 v[158:161], v216 offset0:14 offset1:15
	s_waitcnt lgkmcnt(0)
	v_mul_f64 v[132:133], v[160:161], v[134:135]
	s_delay_alu instid0(VALU_DEP_1) | instskip(SKIP_1) | instid1(VALU_DEP_2)
	v_fma_f64 v[132:133], v[158:159], v[156:157], -v[132:133]
	v_mul_f64 v[158:159], v[158:159], v[134:135]
	v_add_f64 v[124:125], v[124:125], -v[132:133]
	s_delay_alu instid0(VALU_DEP_2) | instskip(NEXT) | instid1(VALU_DEP_1)
	v_fma_f64 v[158:159], v[160:161], v[156:157], v[158:159]
	v_add_f64 v[126:127], v[126:127], -v[158:159]
	;; [unrolled: 10-line block ×32, first 2 shown]
	ds_load_2addr_b64 v[158:161], v216 offset0:76 offset1:77
	s_waitcnt lgkmcnt(0)
	v_mul_f64 v[132:133], v[160:161], v[134:135]
	s_delay_alu instid0(VALU_DEP_1) | instskip(SKIP_1) | instid1(VALU_DEP_2)
	v_fma_f64 v[132:133], v[158:159], v[156:157], -v[132:133]
	v_mul_f64 v[158:159], v[158:159], v[134:135]
	v_add_f64 v[0:1], v[0:1], -v[132:133]
	s_delay_alu instid0(VALU_DEP_2) | instskip(SKIP_1) | instid1(VALU_DEP_2)
	v_fma_f64 v[158:159], v[160:161], v[156:157], v[158:159]
	v_dual_mov_b32 v132, v156 :: v_dual_mov_b32 v133, v157
	v_add_f64 v[2:3], v[2:3], -v[158:159]
.LBB77_55:
	s_or_b32 exec_lo, exec_lo, s3
	s_delay_alu instid0(SALU_CYCLE_1)
	s_mov_b32 s4, exec_lo
	s_waitcnt_vscnt null, 0x0
	s_barrier
	buffer_gl0_inv
	v_cmpx_eq_u32_e32 6, v214
	s_cbranch_execz .LBB77_62
; %bb.56:
	ds_store_2addr_b64 v215, v[128:129], v[130:131] offset1:1
	ds_store_2addr_b64 v216, v[124:125], v[126:127] offset0:14 offset1:15
	ds_store_2addr_b64 v216, v[120:121], v[122:123] offset0:16 offset1:17
	;; [unrolled: 1-line block ×32, first 2 shown]
	ds_load_2addr_b64 v[156:159], v215 offset1:1
	s_waitcnt lgkmcnt(0)
	v_cmp_neq_f64_e32 vcc_lo, 0, v[156:157]
	v_cmp_neq_f64_e64 s3, 0, v[158:159]
	s_delay_alu instid0(VALU_DEP_1) | instskip(NEXT) | instid1(SALU_CYCLE_1)
	s_or_b32 s3, vcc_lo, s3
	s_and_b32 exec_lo, exec_lo, s3
	s_cbranch_execz .LBB77_62
; %bb.57:
	v_cmp_gt_f64_e32 vcc_lo, 0, v[156:157]
	v_xor_b32_e32 v160, 0x80000000, v157
	v_xor_b32_e32 v162, 0x80000000, v159
	s_mov_b32 s3, exec_lo
                                        ; implicit-def: $vgpr164_vgpr165
	s_delay_alu instid0(VALU_DEP_2) | instskip(SKIP_4) | instid1(VALU_DEP_1)
	v_cndmask_b32_e32 v161, v157, v160, vcc_lo
	v_cndmask_b32_e32 v160, v156, v156, vcc_lo
	v_cmp_gt_f64_e32 vcc_lo, 0, v[158:159]
	v_cndmask_b32_e32 v163, v159, v162, vcc_lo
	v_cndmask_b32_e32 v162, v158, v158, vcc_lo
	v_cmpx_ngt_f64_e32 v[160:161], v[162:163]
	s_xor_b32 s3, exec_lo, s3
                                        ; implicit-def: $vgpr160_vgpr161_vgpr162_vgpr163
	s_cbranch_execz .LBB77_59
; %bb.58:
	v_div_scale_f64 v[160:161], null, v[158:159], v[158:159], v[156:157]
	v_div_scale_f64 v[166:167], vcc_lo, v[156:157], v[158:159], v[156:157]
	s_delay_alu instid0(VALU_DEP_2) | instskip(SKIP_2) | instid1(VALU_DEP_1)
	v_rcp_f64_e32 v[162:163], v[160:161]
	s_waitcnt_depctr 0xfff
	v_fma_f64 v[164:165], -v[160:161], v[162:163], 1.0
	v_fma_f64 v[162:163], v[162:163], v[164:165], v[162:163]
	s_delay_alu instid0(VALU_DEP_1) | instskip(NEXT) | instid1(VALU_DEP_1)
	v_fma_f64 v[164:165], -v[160:161], v[162:163], 1.0
	v_fma_f64 v[162:163], v[162:163], v[164:165], v[162:163]
	s_delay_alu instid0(VALU_DEP_1) | instskip(NEXT) | instid1(VALU_DEP_1)
	v_mul_f64 v[164:165], v[166:167], v[162:163]
	v_fma_f64 v[160:161], -v[160:161], v[164:165], v[166:167]
	s_delay_alu instid0(VALU_DEP_1) | instskip(NEXT) | instid1(VALU_DEP_1)
	v_div_fmas_f64 v[160:161], v[160:161], v[162:163], v[164:165]
	v_div_fixup_f64 v[160:161], v[160:161], v[158:159], v[156:157]
	s_delay_alu instid0(VALU_DEP_1) | instskip(NEXT) | instid1(VALU_DEP_1)
	v_fma_f64 v[156:157], v[156:157], v[160:161], v[158:159]
	v_div_scale_f64 v[158:159], null, v[156:157], v[156:157], 1.0
	s_delay_alu instid0(VALU_DEP_1) | instskip(SKIP_2) | instid1(VALU_DEP_1)
	v_rcp_f64_e32 v[162:163], v[158:159]
	s_waitcnt_depctr 0xfff
	v_fma_f64 v[164:165], -v[158:159], v[162:163], 1.0
	v_fma_f64 v[162:163], v[162:163], v[164:165], v[162:163]
	s_delay_alu instid0(VALU_DEP_1) | instskip(NEXT) | instid1(VALU_DEP_1)
	v_fma_f64 v[164:165], -v[158:159], v[162:163], 1.0
	v_fma_f64 v[162:163], v[162:163], v[164:165], v[162:163]
	v_div_scale_f64 v[164:165], vcc_lo, 1.0, v[156:157], 1.0
	s_delay_alu instid0(VALU_DEP_1) | instskip(NEXT) | instid1(VALU_DEP_1)
	v_mul_f64 v[166:167], v[164:165], v[162:163]
	v_fma_f64 v[158:159], -v[158:159], v[166:167], v[164:165]
	s_delay_alu instid0(VALU_DEP_1) | instskip(NEXT) | instid1(VALU_DEP_1)
	v_div_fmas_f64 v[158:159], v[158:159], v[162:163], v[166:167]
	v_div_fixup_f64 v[162:163], v[158:159], v[156:157], 1.0
                                        ; implicit-def: $vgpr156_vgpr157
	s_delay_alu instid0(VALU_DEP_1)
	v_mul_f64 v[164:165], v[160:161], v[162:163]
	v_xor_b32_e32 v163, 0x80000000, v163
.LBB77_59:
	s_and_not1_saveexec_b32 s3, s3
	s_cbranch_execz .LBB77_61
; %bb.60:
	v_div_scale_f64 v[160:161], null, v[156:157], v[156:157], v[158:159]
	v_div_scale_f64 v[166:167], vcc_lo, v[158:159], v[156:157], v[158:159]
	s_delay_alu instid0(VALU_DEP_2) | instskip(SKIP_2) | instid1(VALU_DEP_1)
	v_rcp_f64_e32 v[162:163], v[160:161]
	s_waitcnt_depctr 0xfff
	v_fma_f64 v[164:165], -v[160:161], v[162:163], 1.0
	v_fma_f64 v[162:163], v[162:163], v[164:165], v[162:163]
	s_delay_alu instid0(VALU_DEP_1) | instskip(NEXT) | instid1(VALU_DEP_1)
	v_fma_f64 v[164:165], -v[160:161], v[162:163], 1.0
	v_fma_f64 v[162:163], v[162:163], v[164:165], v[162:163]
	s_delay_alu instid0(VALU_DEP_1) | instskip(NEXT) | instid1(VALU_DEP_1)
	v_mul_f64 v[164:165], v[166:167], v[162:163]
	v_fma_f64 v[160:161], -v[160:161], v[164:165], v[166:167]
	s_delay_alu instid0(VALU_DEP_1) | instskip(NEXT) | instid1(VALU_DEP_1)
	v_div_fmas_f64 v[160:161], v[160:161], v[162:163], v[164:165]
	v_div_fixup_f64 v[160:161], v[160:161], v[156:157], v[158:159]
	s_delay_alu instid0(VALU_DEP_1) | instskip(NEXT) | instid1(VALU_DEP_1)
	v_fma_f64 v[156:157], v[158:159], v[160:161], v[156:157]
	v_div_scale_f64 v[158:159], null, v[156:157], v[156:157], 1.0
	s_delay_alu instid0(VALU_DEP_1) | instskip(SKIP_2) | instid1(VALU_DEP_1)
	v_rcp_f64_e32 v[162:163], v[158:159]
	s_waitcnt_depctr 0xfff
	v_fma_f64 v[164:165], -v[158:159], v[162:163], 1.0
	v_fma_f64 v[162:163], v[162:163], v[164:165], v[162:163]
	s_delay_alu instid0(VALU_DEP_1) | instskip(NEXT) | instid1(VALU_DEP_1)
	v_fma_f64 v[164:165], -v[158:159], v[162:163], 1.0
	v_fma_f64 v[162:163], v[162:163], v[164:165], v[162:163]
	v_div_scale_f64 v[164:165], vcc_lo, 1.0, v[156:157], 1.0
	s_delay_alu instid0(VALU_DEP_1) | instskip(NEXT) | instid1(VALU_DEP_1)
	v_mul_f64 v[166:167], v[164:165], v[162:163]
	v_fma_f64 v[158:159], -v[158:159], v[166:167], v[164:165]
	s_delay_alu instid0(VALU_DEP_1) | instskip(NEXT) | instid1(VALU_DEP_1)
	v_div_fmas_f64 v[158:159], v[158:159], v[162:163], v[166:167]
	v_div_fixup_f64 v[164:165], v[158:159], v[156:157], 1.0
	s_delay_alu instid0(VALU_DEP_1)
	v_mul_f64 v[162:163], v[160:161], -v[164:165]
.LBB77_61:
	s_or_b32 exec_lo, exec_lo, s3
	ds_store_2addr_b64 v215, v[164:165], v[162:163] offset1:1
.LBB77_62:
	s_or_b32 exec_lo, exec_lo, s4
	s_waitcnt lgkmcnt(0)
	s_barrier
	buffer_gl0_inv
	ds_load_2addr_b64 v[156:159], v215 offset1:1
	s_mov_b32 s3, exec_lo
	s_waitcnt lgkmcnt(0)
	scratch_store_b128 off, v[156:159], off offset:264 ; 16-byte Folded Spill
	v_cmpx_lt_u32_e32 6, v214
	s_cbranch_execz .LBB77_64
; %bb.63:
	scratch_load_b128 v[158:161], off, off offset:264 ; 16-byte Folded Reload
	s_waitcnt vmcnt(0)
	v_mul_f64 v[156:157], v[160:161], v[130:131]
	v_mul_f64 v[130:131], v[158:159], v[130:131]
	s_delay_alu instid0(VALU_DEP_2) | instskip(NEXT) | instid1(VALU_DEP_2)
	v_fma_f64 v[156:157], v[158:159], v[128:129], -v[156:157]
	v_fma_f64 v[130:131], v[160:161], v[128:129], v[130:131]
	ds_load_2addr_b64 v[158:161], v216 offset0:14 offset1:15
	s_waitcnt lgkmcnt(0)
	v_mul_f64 v[128:129], v[160:161], v[130:131]
	s_delay_alu instid0(VALU_DEP_1) | instskip(SKIP_1) | instid1(VALU_DEP_2)
	v_fma_f64 v[128:129], v[158:159], v[156:157], -v[128:129]
	v_mul_f64 v[158:159], v[158:159], v[130:131]
	v_add_f64 v[124:125], v[124:125], -v[128:129]
	s_delay_alu instid0(VALU_DEP_2) | instskip(NEXT) | instid1(VALU_DEP_1)
	v_fma_f64 v[158:159], v[160:161], v[156:157], v[158:159]
	v_add_f64 v[126:127], v[126:127], -v[158:159]
	ds_load_2addr_b64 v[158:161], v216 offset0:16 offset1:17
	s_waitcnt lgkmcnt(0)
	v_mul_f64 v[128:129], v[160:161], v[130:131]
	s_delay_alu instid0(VALU_DEP_1) | instskip(SKIP_1) | instid1(VALU_DEP_2)
	v_fma_f64 v[128:129], v[158:159], v[156:157], -v[128:129]
	v_mul_f64 v[158:159], v[158:159], v[130:131]
	v_add_f64 v[120:121], v[120:121], -v[128:129]
	s_delay_alu instid0(VALU_DEP_2) | instskip(NEXT) | instid1(VALU_DEP_1)
	v_fma_f64 v[158:159], v[160:161], v[156:157], v[158:159]
	v_add_f64 v[122:123], v[122:123], -v[158:159]
	;; [unrolled: 10-line block ×31, first 2 shown]
	ds_load_2addr_b64 v[158:161], v216 offset0:76 offset1:77
	s_waitcnt lgkmcnt(0)
	v_mul_f64 v[128:129], v[160:161], v[130:131]
	s_delay_alu instid0(VALU_DEP_1) | instskip(SKIP_1) | instid1(VALU_DEP_2)
	v_fma_f64 v[128:129], v[158:159], v[156:157], -v[128:129]
	v_mul_f64 v[158:159], v[158:159], v[130:131]
	v_add_f64 v[0:1], v[0:1], -v[128:129]
	s_delay_alu instid0(VALU_DEP_2) | instskip(SKIP_1) | instid1(VALU_DEP_2)
	v_fma_f64 v[158:159], v[160:161], v[156:157], v[158:159]
	v_dual_mov_b32 v128, v156 :: v_dual_mov_b32 v129, v157
	v_add_f64 v[2:3], v[2:3], -v[158:159]
.LBB77_64:
	s_or_b32 exec_lo, exec_lo, s3
	s_delay_alu instid0(SALU_CYCLE_1)
	s_mov_b32 s4, exec_lo
	s_waitcnt_vscnt null, 0x0
	s_barrier
	buffer_gl0_inv
	v_cmpx_eq_u32_e32 7, v214
	s_cbranch_execz .LBB77_71
; %bb.65:
	ds_store_2addr_b64 v215, v[124:125], v[126:127] offset1:1
	ds_store_2addr_b64 v216, v[120:121], v[122:123] offset0:16 offset1:17
	ds_store_2addr_b64 v216, v[116:117], v[118:119] offset0:18 offset1:19
	;; [unrolled: 1-line block ×31, first 2 shown]
	ds_load_2addr_b64 v[156:159], v215 offset1:1
	s_waitcnt lgkmcnt(0)
	v_cmp_neq_f64_e32 vcc_lo, 0, v[156:157]
	v_cmp_neq_f64_e64 s3, 0, v[158:159]
	s_delay_alu instid0(VALU_DEP_1) | instskip(NEXT) | instid1(SALU_CYCLE_1)
	s_or_b32 s3, vcc_lo, s3
	s_and_b32 exec_lo, exec_lo, s3
	s_cbranch_execz .LBB77_71
; %bb.66:
	v_cmp_gt_f64_e32 vcc_lo, 0, v[156:157]
	v_xor_b32_e32 v160, 0x80000000, v157
	v_xor_b32_e32 v162, 0x80000000, v159
	s_mov_b32 s3, exec_lo
                                        ; implicit-def: $vgpr164_vgpr165
	s_delay_alu instid0(VALU_DEP_2) | instskip(SKIP_4) | instid1(VALU_DEP_1)
	v_cndmask_b32_e32 v161, v157, v160, vcc_lo
	v_cndmask_b32_e32 v160, v156, v156, vcc_lo
	v_cmp_gt_f64_e32 vcc_lo, 0, v[158:159]
	v_cndmask_b32_e32 v163, v159, v162, vcc_lo
	v_cndmask_b32_e32 v162, v158, v158, vcc_lo
	v_cmpx_ngt_f64_e32 v[160:161], v[162:163]
	s_xor_b32 s3, exec_lo, s3
                                        ; implicit-def: $vgpr160_vgpr161_vgpr162_vgpr163
	s_cbranch_execz .LBB77_68
; %bb.67:
	v_div_scale_f64 v[160:161], null, v[158:159], v[158:159], v[156:157]
	v_div_scale_f64 v[166:167], vcc_lo, v[156:157], v[158:159], v[156:157]
	s_delay_alu instid0(VALU_DEP_2) | instskip(SKIP_2) | instid1(VALU_DEP_1)
	v_rcp_f64_e32 v[162:163], v[160:161]
	s_waitcnt_depctr 0xfff
	v_fma_f64 v[164:165], -v[160:161], v[162:163], 1.0
	v_fma_f64 v[162:163], v[162:163], v[164:165], v[162:163]
	s_delay_alu instid0(VALU_DEP_1) | instskip(NEXT) | instid1(VALU_DEP_1)
	v_fma_f64 v[164:165], -v[160:161], v[162:163], 1.0
	v_fma_f64 v[162:163], v[162:163], v[164:165], v[162:163]
	s_delay_alu instid0(VALU_DEP_1) | instskip(NEXT) | instid1(VALU_DEP_1)
	v_mul_f64 v[164:165], v[166:167], v[162:163]
	v_fma_f64 v[160:161], -v[160:161], v[164:165], v[166:167]
	s_delay_alu instid0(VALU_DEP_1) | instskip(NEXT) | instid1(VALU_DEP_1)
	v_div_fmas_f64 v[160:161], v[160:161], v[162:163], v[164:165]
	v_div_fixup_f64 v[160:161], v[160:161], v[158:159], v[156:157]
	s_delay_alu instid0(VALU_DEP_1) | instskip(NEXT) | instid1(VALU_DEP_1)
	v_fma_f64 v[156:157], v[156:157], v[160:161], v[158:159]
	v_div_scale_f64 v[158:159], null, v[156:157], v[156:157], 1.0
	s_delay_alu instid0(VALU_DEP_1) | instskip(SKIP_2) | instid1(VALU_DEP_1)
	v_rcp_f64_e32 v[162:163], v[158:159]
	s_waitcnt_depctr 0xfff
	v_fma_f64 v[164:165], -v[158:159], v[162:163], 1.0
	v_fma_f64 v[162:163], v[162:163], v[164:165], v[162:163]
	s_delay_alu instid0(VALU_DEP_1) | instskip(NEXT) | instid1(VALU_DEP_1)
	v_fma_f64 v[164:165], -v[158:159], v[162:163], 1.0
	v_fma_f64 v[162:163], v[162:163], v[164:165], v[162:163]
	v_div_scale_f64 v[164:165], vcc_lo, 1.0, v[156:157], 1.0
	s_delay_alu instid0(VALU_DEP_1) | instskip(NEXT) | instid1(VALU_DEP_1)
	v_mul_f64 v[166:167], v[164:165], v[162:163]
	v_fma_f64 v[158:159], -v[158:159], v[166:167], v[164:165]
	s_delay_alu instid0(VALU_DEP_1) | instskip(NEXT) | instid1(VALU_DEP_1)
	v_div_fmas_f64 v[158:159], v[158:159], v[162:163], v[166:167]
	v_div_fixup_f64 v[162:163], v[158:159], v[156:157], 1.0
                                        ; implicit-def: $vgpr156_vgpr157
	s_delay_alu instid0(VALU_DEP_1)
	v_mul_f64 v[164:165], v[160:161], v[162:163]
	v_xor_b32_e32 v163, 0x80000000, v163
.LBB77_68:
	s_and_not1_saveexec_b32 s3, s3
	s_cbranch_execz .LBB77_70
; %bb.69:
	v_div_scale_f64 v[160:161], null, v[156:157], v[156:157], v[158:159]
	v_div_scale_f64 v[166:167], vcc_lo, v[158:159], v[156:157], v[158:159]
	s_delay_alu instid0(VALU_DEP_2) | instskip(SKIP_2) | instid1(VALU_DEP_1)
	v_rcp_f64_e32 v[162:163], v[160:161]
	s_waitcnt_depctr 0xfff
	v_fma_f64 v[164:165], -v[160:161], v[162:163], 1.0
	v_fma_f64 v[162:163], v[162:163], v[164:165], v[162:163]
	s_delay_alu instid0(VALU_DEP_1) | instskip(NEXT) | instid1(VALU_DEP_1)
	v_fma_f64 v[164:165], -v[160:161], v[162:163], 1.0
	v_fma_f64 v[162:163], v[162:163], v[164:165], v[162:163]
	s_delay_alu instid0(VALU_DEP_1) | instskip(NEXT) | instid1(VALU_DEP_1)
	v_mul_f64 v[164:165], v[166:167], v[162:163]
	v_fma_f64 v[160:161], -v[160:161], v[164:165], v[166:167]
	s_delay_alu instid0(VALU_DEP_1) | instskip(NEXT) | instid1(VALU_DEP_1)
	v_div_fmas_f64 v[160:161], v[160:161], v[162:163], v[164:165]
	v_div_fixup_f64 v[160:161], v[160:161], v[156:157], v[158:159]
	s_delay_alu instid0(VALU_DEP_1) | instskip(NEXT) | instid1(VALU_DEP_1)
	v_fma_f64 v[156:157], v[158:159], v[160:161], v[156:157]
	v_div_scale_f64 v[158:159], null, v[156:157], v[156:157], 1.0
	s_delay_alu instid0(VALU_DEP_1) | instskip(SKIP_2) | instid1(VALU_DEP_1)
	v_rcp_f64_e32 v[162:163], v[158:159]
	s_waitcnt_depctr 0xfff
	v_fma_f64 v[164:165], -v[158:159], v[162:163], 1.0
	v_fma_f64 v[162:163], v[162:163], v[164:165], v[162:163]
	s_delay_alu instid0(VALU_DEP_1) | instskip(NEXT) | instid1(VALU_DEP_1)
	v_fma_f64 v[164:165], -v[158:159], v[162:163], 1.0
	v_fma_f64 v[162:163], v[162:163], v[164:165], v[162:163]
	v_div_scale_f64 v[164:165], vcc_lo, 1.0, v[156:157], 1.0
	s_delay_alu instid0(VALU_DEP_1) | instskip(NEXT) | instid1(VALU_DEP_1)
	v_mul_f64 v[166:167], v[164:165], v[162:163]
	v_fma_f64 v[158:159], -v[158:159], v[166:167], v[164:165]
	s_delay_alu instid0(VALU_DEP_1) | instskip(NEXT) | instid1(VALU_DEP_1)
	v_div_fmas_f64 v[158:159], v[158:159], v[162:163], v[166:167]
	v_div_fixup_f64 v[164:165], v[158:159], v[156:157], 1.0
	s_delay_alu instid0(VALU_DEP_1)
	v_mul_f64 v[162:163], v[160:161], -v[164:165]
.LBB77_70:
	s_or_b32 exec_lo, exec_lo, s3
	ds_store_2addr_b64 v215, v[164:165], v[162:163] offset1:1
.LBB77_71:
	s_or_b32 exec_lo, exec_lo, s4
	s_waitcnt lgkmcnt(0)
	s_barrier
	buffer_gl0_inv
	ds_load_2addr_b64 v[156:159], v215 offset1:1
	s_mov_b32 s3, exec_lo
	s_waitcnt lgkmcnt(0)
	scratch_store_b128 off, v[156:159], off offset:280 ; 16-byte Folded Spill
	v_cmpx_lt_u32_e32 7, v214
	s_cbranch_execz .LBB77_73
; %bb.72:
	scratch_load_b128 v[158:161], off, off offset:280 ; 16-byte Folded Reload
	s_waitcnt vmcnt(0)
	v_mul_f64 v[156:157], v[160:161], v[126:127]
	v_mul_f64 v[126:127], v[158:159], v[126:127]
	s_delay_alu instid0(VALU_DEP_2) | instskip(NEXT) | instid1(VALU_DEP_2)
	v_fma_f64 v[156:157], v[158:159], v[124:125], -v[156:157]
	v_fma_f64 v[126:127], v[160:161], v[124:125], v[126:127]
	ds_load_2addr_b64 v[158:161], v216 offset0:16 offset1:17
	s_waitcnt lgkmcnt(0)
	v_mul_f64 v[124:125], v[160:161], v[126:127]
	s_delay_alu instid0(VALU_DEP_1) | instskip(SKIP_1) | instid1(VALU_DEP_2)
	v_fma_f64 v[124:125], v[158:159], v[156:157], -v[124:125]
	v_mul_f64 v[158:159], v[158:159], v[126:127]
	v_add_f64 v[120:121], v[120:121], -v[124:125]
	s_delay_alu instid0(VALU_DEP_2) | instskip(NEXT) | instid1(VALU_DEP_1)
	v_fma_f64 v[158:159], v[160:161], v[156:157], v[158:159]
	v_add_f64 v[122:123], v[122:123], -v[158:159]
	ds_load_2addr_b64 v[158:161], v216 offset0:18 offset1:19
	s_waitcnt lgkmcnt(0)
	v_mul_f64 v[124:125], v[160:161], v[126:127]
	s_delay_alu instid0(VALU_DEP_1) | instskip(SKIP_1) | instid1(VALU_DEP_2)
	v_fma_f64 v[124:125], v[158:159], v[156:157], -v[124:125]
	v_mul_f64 v[158:159], v[158:159], v[126:127]
	v_add_f64 v[116:117], v[116:117], -v[124:125]
	s_delay_alu instid0(VALU_DEP_2) | instskip(NEXT) | instid1(VALU_DEP_1)
	v_fma_f64 v[158:159], v[160:161], v[156:157], v[158:159]
	v_add_f64 v[118:119], v[118:119], -v[158:159]
	;; [unrolled: 10-line block ×30, first 2 shown]
	ds_load_2addr_b64 v[158:161], v216 offset0:76 offset1:77
	s_waitcnt lgkmcnt(0)
	v_mul_f64 v[124:125], v[160:161], v[126:127]
	s_delay_alu instid0(VALU_DEP_1) | instskip(SKIP_1) | instid1(VALU_DEP_2)
	v_fma_f64 v[124:125], v[158:159], v[156:157], -v[124:125]
	v_mul_f64 v[158:159], v[158:159], v[126:127]
	v_add_f64 v[0:1], v[0:1], -v[124:125]
	s_delay_alu instid0(VALU_DEP_2) | instskip(SKIP_1) | instid1(VALU_DEP_2)
	v_fma_f64 v[158:159], v[160:161], v[156:157], v[158:159]
	v_dual_mov_b32 v124, v156 :: v_dual_mov_b32 v125, v157
	v_add_f64 v[2:3], v[2:3], -v[158:159]
.LBB77_73:
	s_or_b32 exec_lo, exec_lo, s3
	s_delay_alu instid0(SALU_CYCLE_1)
	s_mov_b32 s4, exec_lo
	s_waitcnt_vscnt null, 0x0
	s_barrier
	buffer_gl0_inv
	v_cmpx_eq_u32_e32 8, v214
	s_cbranch_execz .LBB77_80
; %bb.74:
	ds_store_2addr_b64 v215, v[120:121], v[122:123] offset1:1
	ds_store_2addr_b64 v216, v[116:117], v[118:119] offset0:18 offset1:19
	ds_store_2addr_b64 v216, v[112:113], v[114:115] offset0:20 offset1:21
	;; [unrolled: 1-line block ×30, first 2 shown]
	ds_load_2addr_b64 v[156:159], v215 offset1:1
	s_waitcnt lgkmcnt(0)
	v_cmp_neq_f64_e32 vcc_lo, 0, v[156:157]
	v_cmp_neq_f64_e64 s3, 0, v[158:159]
	s_delay_alu instid0(VALU_DEP_1) | instskip(NEXT) | instid1(SALU_CYCLE_1)
	s_or_b32 s3, vcc_lo, s3
	s_and_b32 exec_lo, exec_lo, s3
	s_cbranch_execz .LBB77_80
; %bb.75:
	v_cmp_gt_f64_e32 vcc_lo, 0, v[156:157]
	v_xor_b32_e32 v160, 0x80000000, v157
	v_xor_b32_e32 v162, 0x80000000, v159
	s_mov_b32 s3, exec_lo
                                        ; implicit-def: $vgpr164_vgpr165
	s_delay_alu instid0(VALU_DEP_2) | instskip(SKIP_4) | instid1(VALU_DEP_1)
	v_cndmask_b32_e32 v161, v157, v160, vcc_lo
	v_cndmask_b32_e32 v160, v156, v156, vcc_lo
	v_cmp_gt_f64_e32 vcc_lo, 0, v[158:159]
	v_cndmask_b32_e32 v163, v159, v162, vcc_lo
	v_cndmask_b32_e32 v162, v158, v158, vcc_lo
	v_cmpx_ngt_f64_e32 v[160:161], v[162:163]
	s_xor_b32 s3, exec_lo, s3
                                        ; implicit-def: $vgpr160_vgpr161_vgpr162_vgpr163
	s_cbranch_execz .LBB77_77
; %bb.76:
	v_div_scale_f64 v[160:161], null, v[158:159], v[158:159], v[156:157]
	v_div_scale_f64 v[166:167], vcc_lo, v[156:157], v[158:159], v[156:157]
	s_delay_alu instid0(VALU_DEP_2) | instskip(SKIP_2) | instid1(VALU_DEP_1)
	v_rcp_f64_e32 v[162:163], v[160:161]
	s_waitcnt_depctr 0xfff
	v_fma_f64 v[164:165], -v[160:161], v[162:163], 1.0
	v_fma_f64 v[162:163], v[162:163], v[164:165], v[162:163]
	s_delay_alu instid0(VALU_DEP_1) | instskip(NEXT) | instid1(VALU_DEP_1)
	v_fma_f64 v[164:165], -v[160:161], v[162:163], 1.0
	v_fma_f64 v[162:163], v[162:163], v[164:165], v[162:163]
	s_delay_alu instid0(VALU_DEP_1) | instskip(NEXT) | instid1(VALU_DEP_1)
	v_mul_f64 v[164:165], v[166:167], v[162:163]
	v_fma_f64 v[160:161], -v[160:161], v[164:165], v[166:167]
	s_delay_alu instid0(VALU_DEP_1) | instskip(NEXT) | instid1(VALU_DEP_1)
	v_div_fmas_f64 v[160:161], v[160:161], v[162:163], v[164:165]
	v_div_fixup_f64 v[160:161], v[160:161], v[158:159], v[156:157]
	s_delay_alu instid0(VALU_DEP_1) | instskip(NEXT) | instid1(VALU_DEP_1)
	v_fma_f64 v[156:157], v[156:157], v[160:161], v[158:159]
	v_div_scale_f64 v[158:159], null, v[156:157], v[156:157], 1.0
	s_delay_alu instid0(VALU_DEP_1) | instskip(SKIP_2) | instid1(VALU_DEP_1)
	v_rcp_f64_e32 v[162:163], v[158:159]
	s_waitcnt_depctr 0xfff
	v_fma_f64 v[164:165], -v[158:159], v[162:163], 1.0
	v_fma_f64 v[162:163], v[162:163], v[164:165], v[162:163]
	s_delay_alu instid0(VALU_DEP_1) | instskip(NEXT) | instid1(VALU_DEP_1)
	v_fma_f64 v[164:165], -v[158:159], v[162:163], 1.0
	v_fma_f64 v[162:163], v[162:163], v[164:165], v[162:163]
	v_div_scale_f64 v[164:165], vcc_lo, 1.0, v[156:157], 1.0
	s_delay_alu instid0(VALU_DEP_1) | instskip(NEXT) | instid1(VALU_DEP_1)
	v_mul_f64 v[166:167], v[164:165], v[162:163]
	v_fma_f64 v[158:159], -v[158:159], v[166:167], v[164:165]
	s_delay_alu instid0(VALU_DEP_1) | instskip(NEXT) | instid1(VALU_DEP_1)
	v_div_fmas_f64 v[158:159], v[158:159], v[162:163], v[166:167]
	v_div_fixup_f64 v[162:163], v[158:159], v[156:157], 1.0
                                        ; implicit-def: $vgpr156_vgpr157
	s_delay_alu instid0(VALU_DEP_1)
	v_mul_f64 v[164:165], v[160:161], v[162:163]
	v_xor_b32_e32 v163, 0x80000000, v163
.LBB77_77:
	s_and_not1_saveexec_b32 s3, s3
	s_cbranch_execz .LBB77_79
; %bb.78:
	v_div_scale_f64 v[160:161], null, v[156:157], v[156:157], v[158:159]
	v_div_scale_f64 v[166:167], vcc_lo, v[158:159], v[156:157], v[158:159]
	s_delay_alu instid0(VALU_DEP_2) | instskip(SKIP_2) | instid1(VALU_DEP_1)
	v_rcp_f64_e32 v[162:163], v[160:161]
	s_waitcnt_depctr 0xfff
	v_fma_f64 v[164:165], -v[160:161], v[162:163], 1.0
	v_fma_f64 v[162:163], v[162:163], v[164:165], v[162:163]
	s_delay_alu instid0(VALU_DEP_1) | instskip(NEXT) | instid1(VALU_DEP_1)
	v_fma_f64 v[164:165], -v[160:161], v[162:163], 1.0
	v_fma_f64 v[162:163], v[162:163], v[164:165], v[162:163]
	s_delay_alu instid0(VALU_DEP_1) | instskip(NEXT) | instid1(VALU_DEP_1)
	v_mul_f64 v[164:165], v[166:167], v[162:163]
	v_fma_f64 v[160:161], -v[160:161], v[164:165], v[166:167]
	s_delay_alu instid0(VALU_DEP_1) | instskip(NEXT) | instid1(VALU_DEP_1)
	v_div_fmas_f64 v[160:161], v[160:161], v[162:163], v[164:165]
	v_div_fixup_f64 v[160:161], v[160:161], v[156:157], v[158:159]
	s_delay_alu instid0(VALU_DEP_1) | instskip(NEXT) | instid1(VALU_DEP_1)
	v_fma_f64 v[156:157], v[158:159], v[160:161], v[156:157]
	v_div_scale_f64 v[158:159], null, v[156:157], v[156:157], 1.0
	s_delay_alu instid0(VALU_DEP_1) | instskip(SKIP_2) | instid1(VALU_DEP_1)
	v_rcp_f64_e32 v[162:163], v[158:159]
	s_waitcnt_depctr 0xfff
	v_fma_f64 v[164:165], -v[158:159], v[162:163], 1.0
	v_fma_f64 v[162:163], v[162:163], v[164:165], v[162:163]
	s_delay_alu instid0(VALU_DEP_1) | instskip(NEXT) | instid1(VALU_DEP_1)
	v_fma_f64 v[164:165], -v[158:159], v[162:163], 1.0
	v_fma_f64 v[162:163], v[162:163], v[164:165], v[162:163]
	v_div_scale_f64 v[164:165], vcc_lo, 1.0, v[156:157], 1.0
	s_delay_alu instid0(VALU_DEP_1) | instskip(NEXT) | instid1(VALU_DEP_1)
	v_mul_f64 v[166:167], v[164:165], v[162:163]
	v_fma_f64 v[158:159], -v[158:159], v[166:167], v[164:165]
	s_delay_alu instid0(VALU_DEP_1) | instskip(NEXT) | instid1(VALU_DEP_1)
	v_div_fmas_f64 v[158:159], v[158:159], v[162:163], v[166:167]
	v_div_fixup_f64 v[164:165], v[158:159], v[156:157], 1.0
	s_delay_alu instid0(VALU_DEP_1)
	v_mul_f64 v[162:163], v[160:161], -v[164:165]
.LBB77_79:
	s_or_b32 exec_lo, exec_lo, s3
	ds_store_2addr_b64 v215, v[164:165], v[162:163] offset1:1
.LBB77_80:
	s_or_b32 exec_lo, exec_lo, s4
	s_waitcnt lgkmcnt(0)
	s_barrier
	buffer_gl0_inv
	ds_load_2addr_b64 v[156:159], v215 offset1:1
	s_mov_b32 s3, exec_lo
	s_waitcnt lgkmcnt(0)
	scratch_store_b128 off, v[156:159], off offset:296 ; 16-byte Folded Spill
	v_cmpx_lt_u32_e32 8, v214
	s_cbranch_execz .LBB77_82
; %bb.81:
	scratch_load_b128 v[158:161], off, off offset:296 ; 16-byte Folded Reload
	s_waitcnt vmcnt(0)
	v_mul_f64 v[156:157], v[160:161], v[122:123]
	v_mul_f64 v[122:123], v[158:159], v[122:123]
	s_delay_alu instid0(VALU_DEP_2) | instskip(NEXT) | instid1(VALU_DEP_2)
	v_fma_f64 v[156:157], v[158:159], v[120:121], -v[156:157]
	v_fma_f64 v[122:123], v[160:161], v[120:121], v[122:123]
	ds_load_2addr_b64 v[158:161], v216 offset0:18 offset1:19
	s_waitcnt lgkmcnt(0)
	v_mul_f64 v[120:121], v[160:161], v[122:123]
	s_delay_alu instid0(VALU_DEP_1) | instskip(SKIP_1) | instid1(VALU_DEP_2)
	v_fma_f64 v[120:121], v[158:159], v[156:157], -v[120:121]
	v_mul_f64 v[158:159], v[158:159], v[122:123]
	v_add_f64 v[116:117], v[116:117], -v[120:121]
	s_delay_alu instid0(VALU_DEP_2) | instskip(NEXT) | instid1(VALU_DEP_1)
	v_fma_f64 v[158:159], v[160:161], v[156:157], v[158:159]
	v_add_f64 v[118:119], v[118:119], -v[158:159]
	ds_load_2addr_b64 v[158:161], v216 offset0:20 offset1:21
	s_waitcnt lgkmcnt(0)
	v_mul_f64 v[120:121], v[160:161], v[122:123]
	s_delay_alu instid0(VALU_DEP_1) | instskip(SKIP_1) | instid1(VALU_DEP_2)
	v_fma_f64 v[120:121], v[158:159], v[156:157], -v[120:121]
	v_mul_f64 v[158:159], v[158:159], v[122:123]
	v_add_f64 v[112:113], v[112:113], -v[120:121]
	s_delay_alu instid0(VALU_DEP_2) | instskip(NEXT) | instid1(VALU_DEP_1)
	v_fma_f64 v[158:159], v[160:161], v[156:157], v[158:159]
	v_add_f64 v[114:115], v[114:115], -v[158:159]
	;; [unrolled: 10-line block ×29, first 2 shown]
	ds_load_2addr_b64 v[158:161], v216 offset0:76 offset1:77
	s_waitcnt lgkmcnt(0)
	v_mul_f64 v[120:121], v[160:161], v[122:123]
	s_delay_alu instid0(VALU_DEP_1) | instskip(SKIP_1) | instid1(VALU_DEP_2)
	v_fma_f64 v[120:121], v[158:159], v[156:157], -v[120:121]
	v_mul_f64 v[158:159], v[158:159], v[122:123]
	v_add_f64 v[0:1], v[0:1], -v[120:121]
	s_delay_alu instid0(VALU_DEP_2) | instskip(SKIP_1) | instid1(VALU_DEP_2)
	v_fma_f64 v[158:159], v[160:161], v[156:157], v[158:159]
	v_dual_mov_b32 v120, v156 :: v_dual_mov_b32 v121, v157
	v_add_f64 v[2:3], v[2:3], -v[158:159]
.LBB77_82:
	s_or_b32 exec_lo, exec_lo, s3
	s_delay_alu instid0(SALU_CYCLE_1)
	s_mov_b32 s4, exec_lo
	s_waitcnt_vscnt null, 0x0
	s_barrier
	buffer_gl0_inv
	v_cmpx_eq_u32_e32 9, v214
	s_cbranch_execz .LBB77_89
; %bb.83:
	ds_store_2addr_b64 v215, v[116:117], v[118:119] offset1:1
	ds_store_2addr_b64 v216, v[112:113], v[114:115] offset0:20 offset1:21
	ds_store_2addr_b64 v216, v[108:109], v[110:111] offset0:22 offset1:23
	;; [unrolled: 1-line block ×29, first 2 shown]
	ds_load_2addr_b64 v[156:159], v215 offset1:1
	s_waitcnt lgkmcnt(0)
	v_cmp_neq_f64_e32 vcc_lo, 0, v[156:157]
	v_cmp_neq_f64_e64 s3, 0, v[158:159]
	s_delay_alu instid0(VALU_DEP_1) | instskip(NEXT) | instid1(SALU_CYCLE_1)
	s_or_b32 s3, vcc_lo, s3
	s_and_b32 exec_lo, exec_lo, s3
	s_cbranch_execz .LBB77_89
; %bb.84:
	v_cmp_gt_f64_e32 vcc_lo, 0, v[156:157]
	v_xor_b32_e32 v160, 0x80000000, v157
	v_xor_b32_e32 v162, 0x80000000, v159
	s_mov_b32 s3, exec_lo
                                        ; implicit-def: $vgpr164_vgpr165
	s_delay_alu instid0(VALU_DEP_2) | instskip(SKIP_4) | instid1(VALU_DEP_1)
	v_cndmask_b32_e32 v161, v157, v160, vcc_lo
	v_cndmask_b32_e32 v160, v156, v156, vcc_lo
	v_cmp_gt_f64_e32 vcc_lo, 0, v[158:159]
	v_cndmask_b32_e32 v163, v159, v162, vcc_lo
	v_cndmask_b32_e32 v162, v158, v158, vcc_lo
	v_cmpx_ngt_f64_e32 v[160:161], v[162:163]
	s_xor_b32 s3, exec_lo, s3
                                        ; implicit-def: $vgpr160_vgpr161_vgpr162_vgpr163
	s_cbranch_execz .LBB77_86
; %bb.85:
	v_div_scale_f64 v[160:161], null, v[158:159], v[158:159], v[156:157]
	v_div_scale_f64 v[166:167], vcc_lo, v[156:157], v[158:159], v[156:157]
	s_delay_alu instid0(VALU_DEP_2) | instskip(SKIP_2) | instid1(VALU_DEP_1)
	v_rcp_f64_e32 v[162:163], v[160:161]
	s_waitcnt_depctr 0xfff
	v_fma_f64 v[164:165], -v[160:161], v[162:163], 1.0
	v_fma_f64 v[162:163], v[162:163], v[164:165], v[162:163]
	s_delay_alu instid0(VALU_DEP_1) | instskip(NEXT) | instid1(VALU_DEP_1)
	v_fma_f64 v[164:165], -v[160:161], v[162:163], 1.0
	v_fma_f64 v[162:163], v[162:163], v[164:165], v[162:163]
	s_delay_alu instid0(VALU_DEP_1) | instskip(NEXT) | instid1(VALU_DEP_1)
	v_mul_f64 v[164:165], v[166:167], v[162:163]
	v_fma_f64 v[160:161], -v[160:161], v[164:165], v[166:167]
	s_delay_alu instid0(VALU_DEP_1) | instskip(NEXT) | instid1(VALU_DEP_1)
	v_div_fmas_f64 v[160:161], v[160:161], v[162:163], v[164:165]
	v_div_fixup_f64 v[160:161], v[160:161], v[158:159], v[156:157]
	s_delay_alu instid0(VALU_DEP_1) | instskip(NEXT) | instid1(VALU_DEP_1)
	v_fma_f64 v[156:157], v[156:157], v[160:161], v[158:159]
	v_div_scale_f64 v[158:159], null, v[156:157], v[156:157], 1.0
	s_delay_alu instid0(VALU_DEP_1) | instskip(SKIP_2) | instid1(VALU_DEP_1)
	v_rcp_f64_e32 v[162:163], v[158:159]
	s_waitcnt_depctr 0xfff
	v_fma_f64 v[164:165], -v[158:159], v[162:163], 1.0
	v_fma_f64 v[162:163], v[162:163], v[164:165], v[162:163]
	s_delay_alu instid0(VALU_DEP_1) | instskip(NEXT) | instid1(VALU_DEP_1)
	v_fma_f64 v[164:165], -v[158:159], v[162:163], 1.0
	v_fma_f64 v[162:163], v[162:163], v[164:165], v[162:163]
	v_div_scale_f64 v[164:165], vcc_lo, 1.0, v[156:157], 1.0
	s_delay_alu instid0(VALU_DEP_1) | instskip(NEXT) | instid1(VALU_DEP_1)
	v_mul_f64 v[166:167], v[164:165], v[162:163]
	v_fma_f64 v[158:159], -v[158:159], v[166:167], v[164:165]
	s_delay_alu instid0(VALU_DEP_1) | instskip(NEXT) | instid1(VALU_DEP_1)
	v_div_fmas_f64 v[158:159], v[158:159], v[162:163], v[166:167]
	v_div_fixup_f64 v[162:163], v[158:159], v[156:157], 1.0
                                        ; implicit-def: $vgpr156_vgpr157
	s_delay_alu instid0(VALU_DEP_1)
	v_mul_f64 v[164:165], v[160:161], v[162:163]
	v_xor_b32_e32 v163, 0x80000000, v163
.LBB77_86:
	s_and_not1_saveexec_b32 s3, s3
	s_cbranch_execz .LBB77_88
; %bb.87:
	v_div_scale_f64 v[160:161], null, v[156:157], v[156:157], v[158:159]
	v_div_scale_f64 v[166:167], vcc_lo, v[158:159], v[156:157], v[158:159]
	s_delay_alu instid0(VALU_DEP_2) | instskip(SKIP_2) | instid1(VALU_DEP_1)
	v_rcp_f64_e32 v[162:163], v[160:161]
	s_waitcnt_depctr 0xfff
	v_fma_f64 v[164:165], -v[160:161], v[162:163], 1.0
	v_fma_f64 v[162:163], v[162:163], v[164:165], v[162:163]
	s_delay_alu instid0(VALU_DEP_1) | instskip(NEXT) | instid1(VALU_DEP_1)
	v_fma_f64 v[164:165], -v[160:161], v[162:163], 1.0
	v_fma_f64 v[162:163], v[162:163], v[164:165], v[162:163]
	s_delay_alu instid0(VALU_DEP_1) | instskip(NEXT) | instid1(VALU_DEP_1)
	v_mul_f64 v[164:165], v[166:167], v[162:163]
	v_fma_f64 v[160:161], -v[160:161], v[164:165], v[166:167]
	s_delay_alu instid0(VALU_DEP_1) | instskip(NEXT) | instid1(VALU_DEP_1)
	v_div_fmas_f64 v[160:161], v[160:161], v[162:163], v[164:165]
	v_div_fixup_f64 v[160:161], v[160:161], v[156:157], v[158:159]
	s_delay_alu instid0(VALU_DEP_1) | instskip(NEXT) | instid1(VALU_DEP_1)
	v_fma_f64 v[156:157], v[158:159], v[160:161], v[156:157]
	v_div_scale_f64 v[158:159], null, v[156:157], v[156:157], 1.0
	s_delay_alu instid0(VALU_DEP_1) | instskip(SKIP_2) | instid1(VALU_DEP_1)
	v_rcp_f64_e32 v[162:163], v[158:159]
	s_waitcnt_depctr 0xfff
	v_fma_f64 v[164:165], -v[158:159], v[162:163], 1.0
	v_fma_f64 v[162:163], v[162:163], v[164:165], v[162:163]
	s_delay_alu instid0(VALU_DEP_1) | instskip(NEXT) | instid1(VALU_DEP_1)
	v_fma_f64 v[164:165], -v[158:159], v[162:163], 1.0
	v_fma_f64 v[162:163], v[162:163], v[164:165], v[162:163]
	v_div_scale_f64 v[164:165], vcc_lo, 1.0, v[156:157], 1.0
	s_delay_alu instid0(VALU_DEP_1) | instskip(NEXT) | instid1(VALU_DEP_1)
	v_mul_f64 v[166:167], v[164:165], v[162:163]
	v_fma_f64 v[158:159], -v[158:159], v[166:167], v[164:165]
	s_delay_alu instid0(VALU_DEP_1) | instskip(NEXT) | instid1(VALU_DEP_1)
	v_div_fmas_f64 v[158:159], v[158:159], v[162:163], v[166:167]
	v_div_fixup_f64 v[164:165], v[158:159], v[156:157], 1.0
	s_delay_alu instid0(VALU_DEP_1)
	v_mul_f64 v[162:163], v[160:161], -v[164:165]
.LBB77_88:
	s_or_b32 exec_lo, exec_lo, s3
	ds_store_2addr_b64 v215, v[164:165], v[162:163] offset1:1
.LBB77_89:
	s_or_b32 exec_lo, exec_lo, s4
	s_waitcnt lgkmcnt(0)
	s_barrier
	buffer_gl0_inv
	ds_load_2addr_b64 v[156:159], v215 offset1:1
	s_mov_b32 s3, exec_lo
	s_waitcnt lgkmcnt(0)
	scratch_store_b128 off, v[156:159], off offset:312 ; 16-byte Folded Spill
	v_cmpx_lt_u32_e32 9, v214
	s_cbranch_execz .LBB77_91
; %bb.90:
	scratch_load_b128 v[158:161], off, off offset:312 ; 16-byte Folded Reload
	s_waitcnt vmcnt(0)
	v_mul_f64 v[156:157], v[160:161], v[118:119]
	v_mul_f64 v[118:119], v[158:159], v[118:119]
	s_delay_alu instid0(VALU_DEP_2) | instskip(NEXT) | instid1(VALU_DEP_2)
	v_fma_f64 v[156:157], v[158:159], v[116:117], -v[156:157]
	v_fma_f64 v[118:119], v[160:161], v[116:117], v[118:119]
	ds_load_2addr_b64 v[158:161], v216 offset0:20 offset1:21
	s_waitcnt lgkmcnt(0)
	v_mul_f64 v[116:117], v[160:161], v[118:119]
	s_delay_alu instid0(VALU_DEP_1) | instskip(SKIP_1) | instid1(VALU_DEP_2)
	v_fma_f64 v[116:117], v[158:159], v[156:157], -v[116:117]
	v_mul_f64 v[158:159], v[158:159], v[118:119]
	v_add_f64 v[112:113], v[112:113], -v[116:117]
	s_delay_alu instid0(VALU_DEP_2) | instskip(NEXT) | instid1(VALU_DEP_1)
	v_fma_f64 v[158:159], v[160:161], v[156:157], v[158:159]
	v_add_f64 v[114:115], v[114:115], -v[158:159]
	ds_load_2addr_b64 v[158:161], v216 offset0:22 offset1:23
	s_waitcnt lgkmcnt(0)
	v_mul_f64 v[116:117], v[160:161], v[118:119]
	s_delay_alu instid0(VALU_DEP_1) | instskip(SKIP_1) | instid1(VALU_DEP_2)
	v_fma_f64 v[116:117], v[158:159], v[156:157], -v[116:117]
	v_mul_f64 v[158:159], v[158:159], v[118:119]
	v_add_f64 v[108:109], v[108:109], -v[116:117]
	s_delay_alu instid0(VALU_DEP_2) | instskip(NEXT) | instid1(VALU_DEP_1)
	v_fma_f64 v[158:159], v[160:161], v[156:157], v[158:159]
	v_add_f64 v[110:111], v[110:111], -v[158:159]
	;; [unrolled: 10-line block ×28, first 2 shown]
	ds_load_2addr_b64 v[158:161], v216 offset0:76 offset1:77
	s_waitcnt lgkmcnt(0)
	v_mul_f64 v[116:117], v[160:161], v[118:119]
	s_delay_alu instid0(VALU_DEP_1) | instskip(SKIP_1) | instid1(VALU_DEP_2)
	v_fma_f64 v[116:117], v[158:159], v[156:157], -v[116:117]
	v_mul_f64 v[158:159], v[158:159], v[118:119]
	v_add_f64 v[0:1], v[0:1], -v[116:117]
	s_delay_alu instid0(VALU_DEP_2) | instskip(SKIP_1) | instid1(VALU_DEP_2)
	v_fma_f64 v[158:159], v[160:161], v[156:157], v[158:159]
	v_dual_mov_b32 v116, v156 :: v_dual_mov_b32 v117, v157
	v_add_f64 v[2:3], v[2:3], -v[158:159]
.LBB77_91:
	s_or_b32 exec_lo, exec_lo, s3
	s_delay_alu instid0(SALU_CYCLE_1)
	s_mov_b32 s4, exec_lo
	s_waitcnt_vscnt null, 0x0
	s_barrier
	buffer_gl0_inv
	v_cmpx_eq_u32_e32 10, v214
	s_cbranch_execz .LBB77_98
; %bb.92:
	ds_store_2addr_b64 v215, v[112:113], v[114:115] offset1:1
	ds_store_2addr_b64 v216, v[108:109], v[110:111] offset0:22 offset1:23
	ds_store_2addr_b64 v216, v[104:105], v[106:107] offset0:24 offset1:25
	;; [unrolled: 1-line block ×28, first 2 shown]
	ds_load_2addr_b64 v[156:159], v215 offset1:1
	s_waitcnt lgkmcnt(0)
	v_cmp_neq_f64_e32 vcc_lo, 0, v[156:157]
	v_cmp_neq_f64_e64 s3, 0, v[158:159]
	s_delay_alu instid0(VALU_DEP_1) | instskip(NEXT) | instid1(SALU_CYCLE_1)
	s_or_b32 s3, vcc_lo, s3
	s_and_b32 exec_lo, exec_lo, s3
	s_cbranch_execz .LBB77_98
; %bb.93:
	v_cmp_gt_f64_e32 vcc_lo, 0, v[156:157]
	v_xor_b32_e32 v160, 0x80000000, v157
	v_xor_b32_e32 v162, 0x80000000, v159
	s_mov_b32 s3, exec_lo
                                        ; implicit-def: $vgpr164_vgpr165
	s_delay_alu instid0(VALU_DEP_2) | instskip(SKIP_4) | instid1(VALU_DEP_1)
	v_cndmask_b32_e32 v161, v157, v160, vcc_lo
	v_cndmask_b32_e32 v160, v156, v156, vcc_lo
	v_cmp_gt_f64_e32 vcc_lo, 0, v[158:159]
	v_cndmask_b32_e32 v163, v159, v162, vcc_lo
	v_cndmask_b32_e32 v162, v158, v158, vcc_lo
	v_cmpx_ngt_f64_e32 v[160:161], v[162:163]
	s_xor_b32 s3, exec_lo, s3
                                        ; implicit-def: $vgpr160_vgpr161_vgpr162_vgpr163
	s_cbranch_execz .LBB77_95
; %bb.94:
	v_div_scale_f64 v[160:161], null, v[158:159], v[158:159], v[156:157]
	v_div_scale_f64 v[166:167], vcc_lo, v[156:157], v[158:159], v[156:157]
	s_delay_alu instid0(VALU_DEP_2) | instskip(SKIP_2) | instid1(VALU_DEP_1)
	v_rcp_f64_e32 v[162:163], v[160:161]
	s_waitcnt_depctr 0xfff
	v_fma_f64 v[164:165], -v[160:161], v[162:163], 1.0
	v_fma_f64 v[162:163], v[162:163], v[164:165], v[162:163]
	s_delay_alu instid0(VALU_DEP_1) | instskip(NEXT) | instid1(VALU_DEP_1)
	v_fma_f64 v[164:165], -v[160:161], v[162:163], 1.0
	v_fma_f64 v[162:163], v[162:163], v[164:165], v[162:163]
	s_delay_alu instid0(VALU_DEP_1) | instskip(NEXT) | instid1(VALU_DEP_1)
	v_mul_f64 v[164:165], v[166:167], v[162:163]
	v_fma_f64 v[160:161], -v[160:161], v[164:165], v[166:167]
	s_delay_alu instid0(VALU_DEP_1) | instskip(NEXT) | instid1(VALU_DEP_1)
	v_div_fmas_f64 v[160:161], v[160:161], v[162:163], v[164:165]
	v_div_fixup_f64 v[160:161], v[160:161], v[158:159], v[156:157]
	s_delay_alu instid0(VALU_DEP_1) | instskip(NEXT) | instid1(VALU_DEP_1)
	v_fma_f64 v[156:157], v[156:157], v[160:161], v[158:159]
	v_div_scale_f64 v[158:159], null, v[156:157], v[156:157], 1.0
	s_delay_alu instid0(VALU_DEP_1) | instskip(SKIP_2) | instid1(VALU_DEP_1)
	v_rcp_f64_e32 v[162:163], v[158:159]
	s_waitcnt_depctr 0xfff
	v_fma_f64 v[164:165], -v[158:159], v[162:163], 1.0
	v_fma_f64 v[162:163], v[162:163], v[164:165], v[162:163]
	s_delay_alu instid0(VALU_DEP_1) | instskip(NEXT) | instid1(VALU_DEP_1)
	v_fma_f64 v[164:165], -v[158:159], v[162:163], 1.0
	v_fma_f64 v[162:163], v[162:163], v[164:165], v[162:163]
	v_div_scale_f64 v[164:165], vcc_lo, 1.0, v[156:157], 1.0
	s_delay_alu instid0(VALU_DEP_1) | instskip(NEXT) | instid1(VALU_DEP_1)
	v_mul_f64 v[166:167], v[164:165], v[162:163]
	v_fma_f64 v[158:159], -v[158:159], v[166:167], v[164:165]
	s_delay_alu instid0(VALU_DEP_1) | instskip(NEXT) | instid1(VALU_DEP_1)
	v_div_fmas_f64 v[158:159], v[158:159], v[162:163], v[166:167]
	v_div_fixup_f64 v[162:163], v[158:159], v[156:157], 1.0
                                        ; implicit-def: $vgpr156_vgpr157
	s_delay_alu instid0(VALU_DEP_1)
	v_mul_f64 v[164:165], v[160:161], v[162:163]
	v_xor_b32_e32 v163, 0x80000000, v163
.LBB77_95:
	s_and_not1_saveexec_b32 s3, s3
	s_cbranch_execz .LBB77_97
; %bb.96:
	v_div_scale_f64 v[160:161], null, v[156:157], v[156:157], v[158:159]
	v_div_scale_f64 v[166:167], vcc_lo, v[158:159], v[156:157], v[158:159]
	s_delay_alu instid0(VALU_DEP_2) | instskip(SKIP_2) | instid1(VALU_DEP_1)
	v_rcp_f64_e32 v[162:163], v[160:161]
	s_waitcnt_depctr 0xfff
	v_fma_f64 v[164:165], -v[160:161], v[162:163], 1.0
	v_fma_f64 v[162:163], v[162:163], v[164:165], v[162:163]
	s_delay_alu instid0(VALU_DEP_1) | instskip(NEXT) | instid1(VALU_DEP_1)
	v_fma_f64 v[164:165], -v[160:161], v[162:163], 1.0
	v_fma_f64 v[162:163], v[162:163], v[164:165], v[162:163]
	s_delay_alu instid0(VALU_DEP_1) | instskip(NEXT) | instid1(VALU_DEP_1)
	v_mul_f64 v[164:165], v[166:167], v[162:163]
	v_fma_f64 v[160:161], -v[160:161], v[164:165], v[166:167]
	s_delay_alu instid0(VALU_DEP_1) | instskip(NEXT) | instid1(VALU_DEP_1)
	v_div_fmas_f64 v[160:161], v[160:161], v[162:163], v[164:165]
	v_div_fixup_f64 v[160:161], v[160:161], v[156:157], v[158:159]
	s_delay_alu instid0(VALU_DEP_1) | instskip(NEXT) | instid1(VALU_DEP_1)
	v_fma_f64 v[156:157], v[158:159], v[160:161], v[156:157]
	v_div_scale_f64 v[158:159], null, v[156:157], v[156:157], 1.0
	s_delay_alu instid0(VALU_DEP_1) | instskip(SKIP_2) | instid1(VALU_DEP_1)
	v_rcp_f64_e32 v[162:163], v[158:159]
	s_waitcnt_depctr 0xfff
	v_fma_f64 v[164:165], -v[158:159], v[162:163], 1.0
	v_fma_f64 v[162:163], v[162:163], v[164:165], v[162:163]
	s_delay_alu instid0(VALU_DEP_1) | instskip(NEXT) | instid1(VALU_DEP_1)
	v_fma_f64 v[164:165], -v[158:159], v[162:163], 1.0
	v_fma_f64 v[162:163], v[162:163], v[164:165], v[162:163]
	v_div_scale_f64 v[164:165], vcc_lo, 1.0, v[156:157], 1.0
	s_delay_alu instid0(VALU_DEP_1) | instskip(NEXT) | instid1(VALU_DEP_1)
	v_mul_f64 v[166:167], v[164:165], v[162:163]
	v_fma_f64 v[158:159], -v[158:159], v[166:167], v[164:165]
	s_delay_alu instid0(VALU_DEP_1) | instskip(NEXT) | instid1(VALU_DEP_1)
	v_div_fmas_f64 v[158:159], v[158:159], v[162:163], v[166:167]
	v_div_fixup_f64 v[164:165], v[158:159], v[156:157], 1.0
	s_delay_alu instid0(VALU_DEP_1)
	v_mul_f64 v[162:163], v[160:161], -v[164:165]
.LBB77_97:
	s_or_b32 exec_lo, exec_lo, s3
	ds_store_2addr_b64 v215, v[164:165], v[162:163] offset1:1
.LBB77_98:
	s_or_b32 exec_lo, exec_lo, s4
	s_waitcnt lgkmcnt(0)
	s_barrier
	buffer_gl0_inv
	ds_load_2addr_b64 v[156:159], v215 offset1:1
	s_mov_b32 s3, exec_lo
	s_waitcnt lgkmcnt(0)
	scratch_store_b128 off, v[156:159], off offset:328 ; 16-byte Folded Spill
	v_cmpx_lt_u32_e32 10, v214
	s_cbranch_execz .LBB77_100
; %bb.99:
	scratch_load_b128 v[158:161], off, off offset:328 ; 16-byte Folded Reload
	s_waitcnt vmcnt(0)
	v_mul_f64 v[156:157], v[160:161], v[114:115]
	v_mul_f64 v[114:115], v[158:159], v[114:115]
	s_delay_alu instid0(VALU_DEP_2) | instskip(NEXT) | instid1(VALU_DEP_2)
	v_fma_f64 v[156:157], v[158:159], v[112:113], -v[156:157]
	v_fma_f64 v[114:115], v[160:161], v[112:113], v[114:115]
	ds_load_2addr_b64 v[158:161], v216 offset0:22 offset1:23
	s_waitcnt lgkmcnt(0)
	v_mul_f64 v[112:113], v[160:161], v[114:115]
	s_delay_alu instid0(VALU_DEP_1) | instskip(SKIP_1) | instid1(VALU_DEP_2)
	v_fma_f64 v[112:113], v[158:159], v[156:157], -v[112:113]
	v_mul_f64 v[158:159], v[158:159], v[114:115]
	v_add_f64 v[108:109], v[108:109], -v[112:113]
	s_delay_alu instid0(VALU_DEP_2) | instskip(NEXT) | instid1(VALU_DEP_1)
	v_fma_f64 v[158:159], v[160:161], v[156:157], v[158:159]
	v_add_f64 v[110:111], v[110:111], -v[158:159]
	ds_load_2addr_b64 v[158:161], v216 offset0:24 offset1:25
	s_waitcnt lgkmcnt(0)
	v_mul_f64 v[112:113], v[160:161], v[114:115]
	s_delay_alu instid0(VALU_DEP_1) | instskip(SKIP_1) | instid1(VALU_DEP_2)
	v_fma_f64 v[112:113], v[158:159], v[156:157], -v[112:113]
	v_mul_f64 v[158:159], v[158:159], v[114:115]
	v_add_f64 v[104:105], v[104:105], -v[112:113]
	s_delay_alu instid0(VALU_DEP_2) | instskip(NEXT) | instid1(VALU_DEP_1)
	v_fma_f64 v[158:159], v[160:161], v[156:157], v[158:159]
	v_add_f64 v[106:107], v[106:107], -v[158:159]
	;; [unrolled: 10-line block ×27, first 2 shown]
	ds_load_2addr_b64 v[158:161], v216 offset0:76 offset1:77
	s_waitcnt lgkmcnt(0)
	v_mul_f64 v[112:113], v[160:161], v[114:115]
	s_delay_alu instid0(VALU_DEP_1) | instskip(SKIP_1) | instid1(VALU_DEP_2)
	v_fma_f64 v[112:113], v[158:159], v[156:157], -v[112:113]
	v_mul_f64 v[158:159], v[158:159], v[114:115]
	v_add_f64 v[0:1], v[0:1], -v[112:113]
	s_delay_alu instid0(VALU_DEP_2) | instskip(SKIP_1) | instid1(VALU_DEP_2)
	v_fma_f64 v[158:159], v[160:161], v[156:157], v[158:159]
	v_dual_mov_b32 v112, v156 :: v_dual_mov_b32 v113, v157
	v_add_f64 v[2:3], v[2:3], -v[158:159]
.LBB77_100:
	s_or_b32 exec_lo, exec_lo, s3
	s_delay_alu instid0(SALU_CYCLE_1)
	s_mov_b32 s4, exec_lo
	s_waitcnt_vscnt null, 0x0
	s_barrier
	buffer_gl0_inv
	v_cmpx_eq_u32_e32 11, v214
	s_cbranch_execz .LBB77_107
; %bb.101:
	ds_store_2addr_b64 v215, v[108:109], v[110:111] offset1:1
	ds_store_2addr_b64 v216, v[104:105], v[106:107] offset0:24 offset1:25
	ds_store_2addr_b64 v216, v[100:101], v[102:103] offset0:26 offset1:27
	ds_store_2addr_b64 v216, v[96:97], v[98:99] offset0:28 offset1:29
	ds_store_2addr_b64 v216, v[92:93], v[94:95] offset0:30 offset1:31
	ds_store_2addr_b64 v216, v[88:89], v[90:91] offset0:32 offset1:33
	ds_store_2addr_b64 v216, v[84:85], v[86:87] offset0:34 offset1:35
	ds_store_2addr_b64 v216, v[80:81], v[82:83] offset0:36 offset1:37
	ds_store_2addr_b64 v216, v[76:77], v[78:79] offset0:38 offset1:39
	ds_store_2addr_b64 v216, v[72:73], v[74:75] offset0:40 offset1:41
	ds_store_2addr_b64 v216, v[68:69], v[70:71] offset0:42 offset1:43
	ds_store_2addr_b64 v216, v[64:65], v[66:67] offset0:44 offset1:45
	ds_store_2addr_b64 v216, v[60:61], v[62:63] offset0:46 offset1:47
	ds_store_2addr_b64 v216, v[56:57], v[58:59] offset0:48 offset1:49
	ds_store_2addr_b64 v216, v[52:53], v[54:55] offset0:50 offset1:51
	ds_store_2addr_b64 v216, v[48:49], v[50:51] offset0:52 offset1:53
	ds_store_2addr_b64 v216, v[44:45], v[46:47] offset0:54 offset1:55
	ds_store_2addr_b64 v216, v[40:41], v[42:43] offset0:56 offset1:57
	ds_store_2addr_b64 v216, v[36:37], v[38:39] offset0:58 offset1:59
	ds_store_2addr_b64 v216, v[32:33], v[34:35] offset0:60 offset1:61
	ds_store_2addr_b64 v216, v[28:29], v[30:31] offset0:62 offset1:63
	ds_store_2addr_b64 v216, v[24:25], v[26:27] offset0:64 offset1:65
	ds_store_2addr_b64 v216, v[20:21], v[22:23] offset0:66 offset1:67
	ds_store_2addr_b64 v216, v[16:17], v[18:19] offset0:68 offset1:69
	ds_store_2addr_b64 v216, v[12:13], v[14:15] offset0:70 offset1:71
	ds_store_2addr_b64 v216, v[8:9], v[10:11] offset0:72 offset1:73
	ds_store_2addr_b64 v216, v[4:5], v[6:7] offset0:74 offset1:75
	ds_store_2addr_b64 v216, v[0:1], v[2:3] offset0:76 offset1:77
	ds_load_2addr_b64 v[156:159], v215 offset1:1
	s_waitcnt lgkmcnt(0)
	v_cmp_neq_f64_e32 vcc_lo, 0, v[156:157]
	v_cmp_neq_f64_e64 s3, 0, v[158:159]
	s_delay_alu instid0(VALU_DEP_1) | instskip(NEXT) | instid1(SALU_CYCLE_1)
	s_or_b32 s3, vcc_lo, s3
	s_and_b32 exec_lo, exec_lo, s3
	s_cbranch_execz .LBB77_107
; %bb.102:
	v_cmp_gt_f64_e32 vcc_lo, 0, v[156:157]
	v_xor_b32_e32 v160, 0x80000000, v157
	v_xor_b32_e32 v162, 0x80000000, v159
	s_mov_b32 s3, exec_lo
                                        ; implicit-def: $vgpr164_vgpr165
	s_delay_alu instid0(VALU_DEP_2) | instskip(SKIP_4) | instid1(VALU_DEP_1)
	v_cndmask_b32_e32 v161, v157, v160, vcc_lo
	v_cndmask_b32_e32 v160, v156, v156, vcc_lo
	v_cmp_gt_f64_e32 vcc_lo, 0, v[158:159]
	v_cndmask_b32_e32 v163, v159, v162, vcc_lo
	v_cndmask_b32_e32 v162, v158, v158, vcc_lo
	v_cmpx_ngt_f64_e32 v[160:161], v[162:163]
	s_xor_b32 s3, exec_lo, s3
                                        ; implicit-def: $vgpr160_vgpr161_vgpr162_vgpr163
	s_cbranch_execz .LBB77_104
; %bb.103:
	v_div_scale_f64 v[160:161], null, v[158:159], v[158:159], v[156:157]
	v_div_scale_f64 v[166:167], vcc_lo, v[156:157], v[158:159], v[156:157]
	s_delay_alu instid0(VALU_DEP_2) | instskip(SKIP_2) | instid1(VALU_DEP_1)
	v_rcp_f64_e32 v[162:163], v[160:161]
	s_waitcnt_depctr 0xfff
	v_fma_f64 v[164:165], -v[160:161], v[162:163], 1.0
	v_fma_f64 v[162:163], v[162:163], v[164:165], v[162:163]
	s_delay_alu instid0(VALU_DEP_1) | instskip(NEXT) | instid1(VALU_DEP_1)
	v_fma_f64 v[164:165], -v[160:161], v[162:163], 1.0
	v_fma_f64 v[162:163], v[162:163], v[164:165], v[162:163]
	s_delay_alu instid0(VALU_DEP_1) | instskip(NEXT) | instid1(VALU_DEP_1)
	v_mul_f64 v[164:165], v[166:167], v[162:163]
	v_fma_f64 v[160:161], -v[160:161], v[164:165], v[166:167]
	s_delay_alu instid0(VALU_DEP_1) | instskip(NEXT) | instid1(VALU_DEP_1)
	v_div_fmas_f64 v[160:161], v[160:161], v[162:163], v[164:165]
	v_div_fixup_f64 v[160:161], v[160:161], v[158:159], v[156:157]
	s_delay_alu instid0(VALU_DEP_1) | instskip(NEXT) | instid1(VALU_DEP_1)
	v_fma_f64 v[156:157], v[156:157], v[160:161], v[158:159]
	v_div_scale_f64 v[158:159], null, v[156:157], v[156:157], 1.0
	s_delay_alu instid0(VALU_DEP_1) | instskip(SKIP_2) | instid1(VALU_DEP_1)
	v_rcp_f64_e32 v[162:163], v[158:159]
	s_waitcnt_depctr 0xfff
	v_fma_f64 v[164:165], -v[158:159], v[162:163], 1.0
	v_fma_f64 v[162:163], v[162:163], v[164:165], v[162:163]
	s_delay_alu instid0(VALU_DEP_1) | instskip(NEXT) | instid1(VALU_DEP_1)
	v_fma_f64 v[164:165], -v[158:159], v[162:163], 1.0
	v_fma_f64 v[162:163], v[162:163], v[164:165], v[162:163]
	v_div_scale_f64 v[164:165], vcc_lo, 1.0, v[156:157], 1.0
	s_delay_alu instid0(VALU_DEP_1) | instskip(NEXT) | instid1(VALU_DEP_1)
	v_mul_f64 v[166:167], v[164:165], v[162:163]
	v_fma_f64 v[158:159], -v[158:159], v[166:167], v[164:165]
	s_delay_alu instid0(VALU_DEP_1) | instskip(NEXT) | instid1(VALU_DEP_1)
	v_div_fmas_f64 v[158:159], v[158:159], v[162:163], v[166:167]
	v_div_fixup_f64 v[162:163], v[158:159], v[156:157], 1.0
                                        ; implicit-def: $vgpr156_vgpr157
	s_delay_alu instid0(VALU_DEP_1)
	v_mul_f64 v[164:165], v[160:161], v[162:163]
	v_xor_b32_e32 v163, 0x80000000, v163
.LBB77_104:
	s_and_not1_saveexec_b32 s3, s3
	s_cbranch_execz .LBB77_106
; %bb.105:
	v_div_scale_f64 v[160:161], null, v[156:157], v[156:157], v[158:159]
	v_div_scale_f64 v[166:167], vcc_lo, v[158:159], v[156:157], v[158:159]
	s_delay_alu instid0(VALU_DEP_2) | instskip(SKIP_2) | instid1(VALU_DEP_1)
	v_rcp_f64_e32 v[162:163], v[160:161]
	s_waitcnt_depctr 0xfff
	v_fma_f64 v[164:165], -v[160:161], v[162:163], 1.0
	v_fma_f64 v[162:163], v[162:163], v[164:165], v[162:163]
	s_delay_alu instid0(VALU_DEP_1) | instskip(NEXT) | instid1(VALU_DEP_1)
	v_fma_f64 v[164:165], -v[160:161], v[162:163], 1.0
	v_fma_f64 v[162:163], v[162:163], v[164:165], v[162:163]
	s_delay_alu instid0(VALU_DEP_1) | instskip(NEXT) | instid1(VALU_DEP_1)
	v_mul_f64 v[164:165], v[166:167], v[162:163]
	v_fma_f64 v[160:161], -v[160:161], v[164:165], v[166:167]
	s_delay_alu instid0(VALU_DEP_1) | instskip(NEXT) | instid1(VALU_DEP_1)
	v_div_fmas_f64 v[160:161], v[160:161], v[162:163], v[164:165]
	v_div_fixup_f64 v[160:161], v[160:161], v[156:157], v[158:159]
	s_delay_alu instid0(VALU_DEP_1) | instskip(NEXT) | instid1(VALU_DEP_1)
	v_fma_f64 v[156:157], v[158:159], v[160:161], v[156:157]
	v_div_scale_f64 v[158:159], null, v[156:157], v[156:157], 1.0
	s_delay_alu instid0(VALU_DEP_1) | instskip(SKIP_2) | instid1(VALU_DEP_1)
	v_rcp_f64_e32 v[162:163], v[158:159]
	s_waitcnt_depctr 0xfff
	v_fma_f64 v[164:165], -v[158:159], v[162:163], 1.0
	v_fma_f64 v[162:163], v[162:163], v[164:165], v[162:163]
	s_delay_alu instid0(VALU_DEP_1) | instskip(NEXT) | instid1(VALU_DEP_1)
	v_fma_f64 v[164:165], -v[158:159], v[162:163], 1.0
	v_fma_f64 v[162:163], v[162:163], v[164:165], v[162:163]
	v_div_scale_f64 v[164:165], vcc_lo, 1.0, v[156:157], 1.0
	s_delay_alu instid0(VALU_DEP_1) | instskip(NEXT) | instid1(VALU_DEP_1)
	v_mul_f64 v[166:167], v[164:165], v[162:163]
	v_fma_f64 v[158:159], -v[158:159], v[166:167], v[164:165]
	s_delay_alu instid0(VALU_DEP_1) | instskip(NEXT) | instid1(VALU_DEP_1)
	v_div_fmas_f64 v[158:159], v[158:159], v[162:163], v[166:167]
	v_div_fixup_f64 v[164:165], v[158:159], v[156:157], 1.0
	s_delay_alu instid0(VALU_DEP_1)
	v_mul_f64 v[162:163], v[160:161], -v[164:165]
.LBB77_106:
	s_or_b32 exec_lo, exec_lo, s3
	ds_store_2addr_b64 v215, v[164:165], v[162:163] offset1:1
.LBB77_107:
	s_or_b32 exec_lo, exec_lo, s4
	s_waitcnt lgkmcnt(0)
	s_barrier
	buffer_gl0_inv
	ds_load_2addr_b64 v[156:159], v215 offset1:1
	s_mov_b32 s3, exec_lo
	s_waitcnt lgkmcnt(0)
	scratch_store_b128 off, v[156:159], off offset:344 ; 16-byte Folded Spill
	v_cmpx_lt_u32_e32 11, v214
	s_cbranch_execz .LBB77_109
; %bb.108:
	scratch_load_b128 v[158:161], off, off offset:344 ; 16-byte Folded Reload
	s_waitcnt vmcnt(0)
	v_mul_f64 v[156:157], v[160:161], v[110:111]
	v_mul_f64 v[110:111], v[158:159], v[110:111]
	s_delay_alu instid0(VALU_DEP_2) | instskip(NEXT) | instid1(VALU_DEP_2)
	v_fma_f64 v[156:157], v[158:159], v[108:109], -v[156:157]
	v_fma_f64 v[110:111], v[160:161], v[108:109], v[110:111]
	ds_load_2addr_b64 v[158:161], v216 offset0:24 offset1:25
	s_waitcnt lgkmcnt(0)
	v_mul_f64 v[108:109], v[160:161], v[110:111]
	s_delay_alu instid0(VALU_DEP_1) | instskip(SKIP_1) | instid1(VALU_DEP_2)
	v_fma_f64 v[108:109], v[158:159], v[156:157], -v[108:109]
	v_mul_f64 v[158:159], v[158:159], v[110:111]
	v_add_f64 v[104:105], v[104:105], -v[108:109]
	s_delay_alu instid0(VALU_DEP_2) | instskip(NEXT) | instid1(VALU_DEP_1)
	v_fma_f64 v[158:159], v[160:161], v[156:157], v[158:159]
	v_add_f64 v[106:107], v[106:107], -v[158:159]
	ds_load_2addr_b64 v[158:161], v216 offset0:26 offset1:27
	s_waitcnt lgkmcnt(0)
	v_mul_f64 v[108:109], v[160:161], v[110:111]
	s_delay_alu instid0(VALU_DEP_1) | instskip(SKIP_1) | instid1(VALU_DEP_2)
	v_fma_f64 v[108:109], v[158:159], v[156:157], -v[108:109]
	v_mul_f64 v[158:159], v[158:159], v[110:111]
	v_add_f64 v[100:101], v[100:101], -v[108:109]
	s_delay_alu instid0(VALU_DEP_2) | instskip(NEXT) | instid1(VALU_DEP_1)
	v_fma_f64 v[158:159], v[160:161], v[156:157], v[158:159]
	v_add_f64 v[102:103], v[102:103], -v[158:159]
	;; [unrolled: 10-line block ×26, first 2 shown]
	ds_load_2addr_b64 v[158:161], v216 offset0:76 offset1:77
	s_waitcnt lgkmcnt(0)
	v_mul_f64 v[108:109], v[160:161], v[110:111]
	s_delay_alu instid0(VALU_DEP_1) | instskip(SKIP_1) | instid1(VALU_DEP_2)
	v_fma_f64 v[108:109], v[158:159], v[156:157], -v[108:109]
	v_mul_f64 v[158:159], v[158:159], v[110:111]
	v_add_f64 v[0:1], v[0:1], -v[108:109]
	s_delay_alu instid0(VALU_DEP_2) | instskip(SKIP_1) | instid1(VALU_DEP_2)
	v_fma_f64 v[158:159], v[160:161], v[156:157], v[158:159]
	v_dual_mov_b32 v108, v156 :: v_dual_mov_b32 v109, v157
	v_add_f64 v[2:3], v[2:3], -v[158:159]
.LBB77_109:
	s_or_b32 exec_lo, exec_lo, s3
	s_delay_alu instid0(SALU_CYCLE_1)
	s_mov_b32 s4, exec_lo
	s_waitcnt_vscnt null, 0x0
	s_barrier
	buffer_gl0_inv
	v_cmpx_eq_u32_e32 12, v214
	s_cbranch_execz .LBB77_116
; %bb.110:
	ds_store_2addr_b64 v215, v[104:105], v[106:107] offset1:1
	ds_store_2addr_b64 v216, v[100:101], v[102:103] offset0:26 offset1:27
	ds_store_2addr_b64 v216, v[96:97], v[98:99] offset0:28 offset1:29
	;; [unrolled: 1-line block ×26, first 2 shown]
	ds_load_2addr_b64 v[156:159], v215 offset1:1
	s_waitcnt lgkmcnt(0)
	v_cmp_neq_f64_e32 vcc_lo, 0, v[156:157]
	v_cmp_neq_f64_e64 s3, 0, v[158:159]
	s_delay_alu instid0(VALU_DEP_1) | instskip(NEXT) | instid1(SALU_CYCLE_1)
	s_or_b32 s3, vcc_lo, s3
	s_and_b32 exec_lo, exec_lo, s3
	s_cbranch_execz .LBB77_116
; %bb.111:
	v_cmp_gt_f64_e32 vcc_lo, 0, v[156:157]
	v_xor_b32_e32 v160, 0x80000000, v157
	v_xor_b32_e32 v162, 0x80000000, v159
	s_mov_b32 s3, exec_lo
                                        ; implicit-def: $vgpr164_vgpr165
	s_delay_alu instid0(VALU_DEP_2) | instskip(SKIP_4) | instid1(VALU_DEP_1)
	v_cndmask_b32_e32 v161, v157, v160, vcc_lo
	v_cndmask_b32_e32 v160, v156, v156, vcc_lo
	v_cmp_gt_f64_e32 vcc_lo, 0, v[158:159]
	v_cndmask_b32_e32 v163, v159, v162, vcc_lo
	v_cndmask_b32_e32 v162, v158, v158, vcc_lo
	v_cmpx_ngt_f64_e32 v[160:161], v[162:163]
	s_xor_b32 s3, exec_lo, s3
                                        ; implicit-def: $vgpr160_vgpr161_vgpr162_vgpr163
	s_cbranch_execz .LBB77_113
; %bb.112:
	v_div_scale_f64 v[160:161], null, v[158:159], v[158:159], v[156:157]
	v_div_scale_f64 v[166:167], vcc_lo, v[156:157], v[158:159], v[156:157]
	s_delay_alu instid0(VALU_DEP_2) | instskip(SKIP_2) | instid1(VALU_DEP_1)
	v_rcp_f64_e32 v[162:163], v[160:161]
	s_waitcnt_depctr 0xfff
	v_fma_f64 v[164:165], -v[160:161], v[162:163], 1.0
	v_fma_f64 v[162:163], v[162:163], v[164:165], v[162:163]
	s_delay_alu instid0(VALU_DEP_1) | instskip(NEXT) | instid1(VALU_DEP_1)
	v_fma_f64 v[164:165], -v[160:161], v[162:163], 1.0
	v_fma_f64 v[162:163], v[162:163], v[164:165], v[162:163]
	s_delay_alu instid0(VALU_DEP_1) | instskip(NEXT) | instid1(VALU_DEP_1)
	v_mul_f64 v[164:165], v[166:167], v[162:163]
	v_fma_f64 v[160:161], -v[160:161], v[164:165], v[166:167]
	s_delay_alu instid0(VALU_DEP_1) | instskip(NEXT) | instid1(VALU_DEP_1)
	v_div_fmas_f64 v[160:161], v[160:161], v[162:163], v[164:165]
	v_div_fixup_f64 v[160:161], v[160:161], v[158:159], v[156:157]
	s_delay_alu instid0(VALU_DEP_1) | instskip(NEXT) | instid1(VALU_DEP_1)
	v_fma_f64 v[156:157], v[156:157], v[160:161], v[158:159]
	v_div_scale_f64 v[158:159], null, v[156:157], v[156:157], 1.0
	s_delay_alu instid0(VALU_DEP_1) | instskip(SKIP_2) | instid1(VALU_DEP_1)
	v_rcp_f64_e32 v[162:163], v[158:159]
	s_waitcnt_depctr 0xfff
	v_fma_f64 v[164:165], -v[158:159], v[162:163], 1.0
	v_fma_f64 v[162:163], v[162:163], v[164:165], v[162:163]
	s_delay_alu instid0(VALU_DEP_1) | instskip(NEXT) | instid1(VALU_DEP_1)
	v_fma_f64 v[164:165], -v[158:159], v[162:163], 1.0
	v_fma_f64 v[162:163], v[162:163], v[164:165], v[162:163]
	v_div_scale_f64 v[164:165], vcc_lo, 1.0, v[156:157], 1.0
	s_delay_alu instid0(VALU_DEP_1) | instskip(NEXT) | instid1(VALU_DEP_1)
	v_mul_f64 v[166:167], v[164:165], v[162:163]
	v_fma_f64 v[158:159], -v[158:159], v[166:167], v[164:165]
	s_delay_alu instid0(VALU_DEP_1) | instskip(NEXT) | instid1(VALU_DEP_1)
	v_div_fmas_f64 v[158:159], v[158:159], v[162:163], v[166:167]
	v_div_fixup_f64 v[162:163], v[158:159], v[156:157], 1.0
                                        ; implicit-def: $vgpr156_vgpr157
	s_delay_alu instid0(VALU_DEP_1)
	v_mul_f64 v[164:165], v[160:161], v[162:163]
	v_xor_b32_e32 v163, 0x80000000, v163
.LBB77_113:
	s_and_not1_saveexec_b32 s3, s3
	s_cbranch_execz .LBB77_115
; %bb.114:
	v_div_scale_f64 v[160:161], null, v[156:157], v[156:157], v[158:159]
	v_div_scale_f64 v[166:167], vcc_lo, v[158:159], v[156:157], v[158:159]
	s_delay_alu instid0(VALU_DEP_2) | instskip(SKIP_2) | instid1(VALU_DEP_1)
	v_rcp_f64_e32 v[162:163], v[160:161]
	s_waitcnt_depctr 0xfff
	v_fma_f64 v[164:165], -v[160:161], v[162:163], 1.0
	v_fma_f64 v[162:163], v[162:163], v[164:165], v[162:163]
	s_delay_alu instid0(VALU_DEP_1) | instskip(NEXT) | instid1(VALU_DEP_1)
	v_fma_f64 v[164:165], -v[160:161], v[162:163], 1.0
	v_fma_f64 v[162:163], v[162:163], v[164:165], v[162:163]
	s_delay_alu instid0(VALU_DEP_1) | instskip(NEXT) | instid1(VALU_DEP_1)
	v_mul_f64 v[164:165], v[166:167], v[162:163]
	v_fma_f64 v[160:161], -v[160:161], v[164:165], v[166:167]
	s_delay_alu instid0(VALU_DEP_1) | instskip(NEXT) | instid1(VALU_DEP_1)
	v_div_fmas_f64 v[160:161], v[160:161], v[162:163], v[164:165]
	v_div_fixup_f64 v[160:161], v[160:161], v[156:157], v[158:159]
	s_delay_alu instid0(VALU_DEP_1) | instskip(NEXT) | instid1(VALU_DEP_1)
	v_fma_f64 v[156:157], v[158:159], v[160:161], v[156:157]
	v_div_scale_f64 v[158:159], null, v[156:157], v[156:157], 1.0
	s_delay_alu instid0(VALU_DEP_1) | instskip(SKIP_2) | instid1(VALU_DEP_1)
	v_rcp_f64_e32 v[162:163], v[158:159]
	s_waitcnt_depctr 0xfff
	v_fma_f64 v[164:165], -v[158:159], v[162:163], 1.0
	v_fma_f64 v[162:163], v[162:163], v[164:165], v[162:163]
	s_delay_alu instid0(VALU_DEP_1) | instskip(NEXT) | instid1(VALU_DEP_1)
	v_fma_f64 v[164:165], -v[158:159], v[162:163], 1.0
	v_fma_f64 v[162:163], v[162:163], v[164:165], v[162:163]
	v_div_scale_f64 v[164:165], vcc_lo, 1.0, v[156:157], 1.0
	s_delay_alu instid0(VALU_DEP_1) | instskip(NEXT) | instid1(VALU_DEP_1)
	v_mul_f64 v[166:167], v[164:165], v[162:163]
	v_fma_f64 v[158:159], -v[158:159], v[166:167], v[164:165]
	s_delay_alu instid0(VALU_DEP_1) | instskip(NEXT) | instid1(VALU_DEP_1)
	v_div_fmas_f64 v[158:159], v[158:159], v[162:163], v[166:167]
	v_div_fixup_f64 v[164:165], v[158:159], v[156:157], 1.0
	s_delay_alu instid0(VALU_DEP_1)
	v_mul_f64 v[162:163], v[160:161], -v[164:165]
.LBB77_115:
	s_or_b32 exec_lo, exec_lo, s3
	ds_store_2addr_b64 v215, v[164:165], v[162:163] offset1:1
.LBB77_116:
	s_or_b32 exec_lo, exec_lo, s4
	s_waitcnt lgkmcnt(0)
	s_barrier
	buffer_gl0_inv
	ds_load_2addr_b64 v[156:159], v215 offset1:1
	s_mov_b32 s3, exec_lo
	s_waitcnt lgkmcnt(0)
	scratch_store_b128 off, v[156:159], off offset:360 ; 16-byte Folded Spill
	v_cmpx_lt_u32_e32 12, v214
	s_cbranch_execz .LBB77_118
; %bb.117:
	scratch_load_b128 v[158:161], off, off offset:360 ; 16-byte Folded Reload
	s_waitcnt vmcnt(0)
	v_mul_f64 v[156:157], v[160:161], v[106:107]
	v_mul_f64 v[106:107], v[158:159], v[106:107]
	s_delay_alu instid0(VALU_DEP_2) | instskip(NEXT) | instid1(VALU_DEP_2)
	v_fma_f64 v[156:157], v[158:159], v[104:105], -v[156:157]
	v_fma_f64 v[106:107], v[160:161], v[104:105], v[106:107]
	ds_load_2addr_b64 v[158:161], v216 offset0:26 offset1:27
	s_waitcnt lgkmcnt(0)
	v_mul_f64 v[104:105], v[160:161], v[106:107]
	s_delay_alu instid0(VALU_DEP_1) | instskip(SKIP_1) | instid1(VALU_DEP_2)
	v_fma_f64 v[104:105], v[158:159], v[156:157], -v[104:105]
	v_mul_f64 v[158:159], v[158:159], v[106:107]
	v_add_f64 v[100:101], v[100:101], -v[104:105]
	s_delay_alu instid0(VALU_DEP_2) | instskip(NEXT) | instid1(VALU_DEP_1)
	v_fma_f64 v[158:159], v[160:161], v[156:157], v[158:159]
	v_add_f64 v[102:103], v[102:103], -v[158:159]
	ds_load_2addr_b64 v[158:161], v216 offset0:28 offset1:29
	s_waitcnt lgkmcnt(0)
	v_mul_f64 v[104:105], v[160:161], v[106:107]
	s_delay_alu instid0(VALU_DEP_1) | instskip(SKIP_1) | instid1(VALU_DEP_2)
	v_fma_f64 v[104:105], v[158:159], v[156:157], -v[104:105]
	v_mul_f64 v[158:159], v[158:159], v[106:107]
	v_add_f64 v[96:97], v[96:97], -v[104:105]
	s_delay_alu instid0(VALU_DEP_2) | instskip(NEXT) | instid1(VALU_DEP_1)
	v_fma_f64 v[158:159], v[160:161], v[156:157], v[158:159]
	v_add_f64 v[98:99], v[98:99], -v[158:159]
	;; [unrolled: 10-line block ×25, first 2 shown]
	ds_load_2addr_b64 v[158:161], v216 offset0:76 offset1:77
	s_waitcnt lgkmcnt(0)
	v_mul_f64 v[104:105], v[160:161], v[106:107]
	s_delay_alu instid0(VALU_DEP_1) | instskip(SKIP_1) | instid1(VALU_DEP_2)
	v_fma_f64 v[104:105], v[158:159], v[156:157], -v[104:105]
	v_mul_f64 v[158:159], v[158:159], v[106:107]
	v_add_f64 v[0:1], v[0:1], -v[104:105]
	s_delay_alu instid0(VALU_DEP_2) | instskip(SKIP_1) | instid1(VALU_DEP_2)
	v_fma_f64 v[158:159], v[160:161], v[156:157], v[158:159]
	v_dual_mov_b32 v104, v156 :: v_dual_mov_b32 v105, v157
	v_add_f64 v[2:3], v[2:3], -v[158:159]
.LBB77_118:
	s_or_b32 exec_lo, exec_lo, s3
	s_delay_alu instid0(SALU_CYCLE_1)
	s_mov_b32 s4, exec_lo
	s_waitcnt_vscnt null, 0x0
	s_barrier
	buffer_gl0_inv
	v_cmpx_eq_u32_e32 13, v214
	s_cbranch_execz .LBB77_125
; %bb.119:
	ds_store_2addr_b64 v215, v[100:101], v[102:103] offset1:1
	ds_store_2addr_b64 v216, v[96:97], v[98:99] offset0:28 offset1:29
	ds_store_2addr_b64 v216, v[92:93], v[94:95] offset0:30 offset1:31
	;; [unrolled: 1-line block ×25, first 2 shown]
	ds_load_2addr_b64 v[156:159], v215 offset1:1
	s_waitcnt lgkmcnt(0)
	v_cmp_neq_f64_e32 vcc_lo, 0, v[156:157]
	v_cmp_neq_f64_e64 s3, 0, v[158:159]
	s_delay_alu instid0(VALU_DEP_1) | instskip(NEXT) | instid1(SALU_CYCLE_1)
	s_or_b32 s3, vcc_lo, s3
	s_and_b32 exec_lo, exec_lo, s3
	s_cbranch_execz .LBB77_125
; %bb.120:
	v_cmp_gt_f64_e32 vcc_lo, 0, v[156:157]
	v_xor_b32_e32 v160, 0x80000000, v157
	v_xor_b32_e32 v162, 0x80000000, v159
	s_mov_b32 s3, exec_lo
                                        ; implicit-def: $vgpr164_vgpr165
	s_delay_alu instid0(VALU_DEP_2) | instskip(SKIP_4) | instid1(VALU_DEP_1)
	v_cndmask_b32_e32 v161, v157, v160, vcc_lo
	v_cndmask_b32_e32 v160, v156, v156, vcc_lo
	v_cmp_gt_f64_e32 vcc_lo, 0, v[158:159]
	v_cndmask_b32_e32 v163, v159, v162, vcc_lo
	v_cndmask_b32_e32 v162, v158, v158, vcc_lo
	v_cmpx_ngt_f64_e32 v[160:161], v[162:163]
	s_xor_b32 s3, exec_lo, s3
                                        ; implicit-def: $vgpr160_vgpr161_vgpr162_vgpr163
	s_cbranch_execz .LBB77_122
; %bb.121:
	v_div_scale_f64 v[160:161], null, v[158:159], v[158:159], v[156:157]
	v_div_scale_f64 v[166:167], vcc_lo, v[156:157], v[158:159], v[156:157]
	s_delay_alu instid0(VALU_DEP_2) | instskip(SKIP_2) | instid1(VALU_DEP_1)
	v_rcp_f64_e32 v[162:163], v[160:161]
	s_waitcnt_depctr 0xfff
	v_fma_f64 v[164:165], -v[160:161], v[162:163], 1.0
	v_fma_f64 v[162:163], v[162:163], v[164:165], v[162:163]
	s_delay_alu instid0(VALU_DEP_1) | instskip(NEXT) | instid1(VALU_DEP_1)
	v_fma_f64 v[164:165], -v[160:161], v[162:163], 1.0
	v_fma_f64 v[162:163], v[162:163], v[164:165], v[162:163]
	s_delay_alu instid0(VALU_DEP_1) | instskip(NEXT) | instid1(VALU_DEP_1)
	v_mul_f64 v[164:165], v[166:167], v[162:163]
	v_fma_f64 v[160:161], -v[160:161], v[164:165], v[166:167]
	s_delay_alu instid0(VALU_DEP_1) | instskip(NEXT) | instid1(VALU_DEP_1)
	v_div_fmas_f64 v[160:161], v[160:161], v[162:163], v[164:165]
	v_div_fixup_f64 v[160:161], v[160:161], v[158:159], v[156:157]
	s_delay_alu instid0(VALU_DEP_1) | instskip(NEXT) | instid1(VALU_DEP_1)
	v_fma_f64 v[156:157], v[156:157], v[160:161], v[158:159]
	v_div_scale_f64 v[158:159], null, v[156:157], v[156:157], 1.0
	s_delay_alu instid0(VALU_DEP_1) | instskip(SKIP_2) | instid1(VALU_DEP_1)
	v_rcp_f64_e32 v[162:163], v[158:159]
	s_waitcnt_depctr 0xfff
	v_fma_f64 v[164:165], -v[158:159], v[162:163], 1.0
	v_fma_f64 v[162:163], v[162:163], v[164:165], v[162:163]
	s_delay_alu instid0(VALU_DEP_1) | instskip(NEXT) | instid1(VALU_DEP_1)
	v_fma_f64 v[164:165], -v[158:159], v[162:163], 1.0
	v_fma_f64 v[162:163], v[162:163], v[164:165], v[162:163]
	v_div_scale_f64 v[164:165], vcc_lo, 1.0, v[156:157], 1.0
	s_delay_alu instid0(VALU_DEP_1) | instskip(NEXT) | instid1(VALU_DEP_1)
	v_mul_f64 v[166:167], v[164:165], v[162:163]
	v_fma_f64 v[158:159], -v[158:159], v[166:167], v[164:165]
	s_delay_alu instid0(VALU_DEP_1) | instskip(NEXT) | instid1(VALU_DEP_1)
	v_div_fmas_f64 v[158:159], v[158:159], v[162:163], v[166:167]
	v_div_fixup_f64 v[162:163], v[158:159], v[156:157], 1.0
                                        ; implicit-def: $vgpr156_vgpr157
	s_delay_alu instid0(VALU_DEP_1)
	v_mul_f64 v[164:165], v[160:161], v[162:163]
	v_xor_b32_e32 v163, 0x80000000, v163
.LBB77_122:
	s_and_not1_saveexec_b32 s3, s3
	s_cbranch_execz .LBB77_124
; %bb.123:
	v_div_scale_f64 v[160:161], null, v[156:157], v[156:157], v[158:159]
	v_div_scale_f64 v[166:167], vcc_lo, v[158:159], v[156:157], v[158:159]
	s_delay_alu instid0(VALU_DEP_2) | instskip(SKIP_2) | instid1(VALU_DEP_1)
	v_rcp_f64_e32 v[162:163], v[160:161]
	s_waitcnt_depctr 0xfff
	v_fma_f64 v[164:165], -v[160:161], v[162:163], 1.0
	v_fma_f64 v[162:163], v[162:163], v[164:165], v[162:163]
	s_delay_alu instid0(VALU_DEP_1) | instskip(NEXT) | instid1(VALU_DEP_1)
	v_fma_f64 v[164:165], -v[160:161], v[162:163], 1.0
	v_fma_f64 v[162:163], v[162:163], v[164:165], v[162:163]
	s_delay_alu instid0(VALU_DEP_1) | instskip(NEXT) | instid1(VALU_DEP_1)
	v_mul_f64 v[164:165], v[166:167], v[162:163]
	v_fma_f64 v[160:161], -v[160:161], v[164:165], v[166:167]
	s_delay_alu instid0(VALU_DEP_1) | instskip(NEXT) | instid1(VALU_DEP_1)
	v_div_fmas_f64 v[160:161], v[160:161], v[162:163], v[164:165]
	v_div_fixup_f64 v[160:161], v[160:161], v[156:157], v[158:159]
	s_delay_alu instid0(VALU_DEP_1) | instskip(NEXT) | instid1(VALU_DEP_1)
	v_fma_f64 v[156:157], v[158:159], v[160:161], v[156:157]
	v_div_scale_f64 v[158:159], null, v[156:157], v[156:157], 1.0
	s_delay_alu instid0(VALU_DEP_1) | instskip(SKIP_2) | instid1(VALU_DEP_1)
	v_rcp_f64_e32 v[162:163], v[158:159]
	s_waitcnt_depctr 0xfff
	v_fma_f64 v[164:165], -v[158:159], v[162:163], 1.0
	v_fma_f64 v[162:163], v[162:163], v[164:165], v[162:163]
	s_delay_alu instid0(VALU_DEP_1) | instskip(NEXT) | instid1(VALU_DEP_1)
	v_fma_f64 v[164:165], -v[158:159], v[162:163], 1.0
	v_fma_f64 v[162:163], v[162:163], v[164:165], v[162:163]
	v_div_scale_f64 v[164:165], vcc_lo, 1.0, v[156:157], 1.0
	s_delay_alu instid0(VALU_DEP_1) | instskip(NEXT) | instid1(VALU_DEP_1)
	v_mul_f64 v[166:167], v[164:165], v[162:163]
	v_fma_f64 v[158:159], -v[158:159], v[166:167], v[164:165]
	s_delay_alu instid0(VALU_DEP_1) | instskip(NEXT) | instid1(VALU_DEP_1)
	v_div_fmas_f64 v[158:159], v[158:159], v[162:163], v[166:167]
	v_div_fixup_f64 v[164:165], v[158:159], v[156:157], 1.0
	s_delay_alu instid0(VALU_DEP_1)
	v_mul_f64 v[162:163], v[160:161], -v[164:165]
.LBB77_124:
	s_or_b32 exec_lo, exec_lo, s3
	ds_store_2addr_b64 v215, v[164:165], v[162:163] offset1:1
.LBB77_125:
	s_or_b32 exec_lo, exec_lo, s4
	s_waitcnt lgkmcnt(0)
	s_barrier
	buffer_gl0_inv
	ds_load_2addr_b64 v[156:159], v215 offset1:1
	s_mov_b32 s3, exec_lo
	s_waitcnt lgkmcnt(0)
	scratch_store_b128 off, v[156:159], off offset:376 ; 16-byte Folded Spill
	v_cmpx_lt_u32_e32 13, v214
	s_cbranch_execz .LBB77_127
; %bb.126:
	scratch_load_b128 v[158:161], off, off offset:376 ; 16-byte Folded Reload
	s_waitcnt vmcnt(0)
	v_mul_f64 v[156:157], v[160:161], v[102:103]
	v_mul_f64 v[102:103], v[158:159], v[102:103]
	s_delay_alu instid0(VALU_DEP_2) | instskip(NEXT) | instid1(VALU_DEP_2)
	v_fma_f64 v[156:157], v[158:159], v[100:101], -v[156:157]
	v_fma_f64 v[102:103], v[160:161], v[100:101], v[102:103]
	ds_load_2addr_b64 v[158:161], v216 offset0:28 offset1:29
	s_waitcnt lgkmcnt(0)
	v_mul_f64 v[100:101], v[160:161], v[102:103]
	s_delay_alu instid0(VALU_DEP_1) | instskip(SKIP_1) | instid1(VALU_DEP_2)
	v_fma_f64 v[100:101], v[158:159], v[156:157], -v[100:101]
	v_mul_f64 v[158:159], v[158:159], v[102:103]
	v_add_f64 v[96:97], v[96:97], -v[100:101]
	s_delay_alu instid0(VALU_DEP_2) | instskip(NEXT) | instid1(VALU_DEP_1)
	v_fma_f64 v[158:159], v[160:161], v[156:157], v[158:159]
	v_add_f64 v[98:99], v[98:99], -v[158:159]
	ds_load_2addr_b64 v[158:161], v216 offset0:30 offset1:31
	s_waitcnt lgkmcnt(0)
	v_mul_f64 v[100:101], v[160:161], v[102:103]
	s_delay_alu instid0(VALU_DEP_1) | instskip(SKIP_1) | instid1(VALU_DEP_2)
	v_fma_f64 v[100:101], v[158:159], v[156:157], -v[100:101]
	v_mul_f64 v[158:159], v[158:159], v[102:103]
	v_add_f64 v[92:93], v[92:93], -v[100:101]
	s_delay_alu instid0(VALU_DEP_2) | instskip(NEXT) | instid1(VALU_DEP_1)
	v_fma_f64 v[158:159], v[160:161], v[156:157], v[158:159]
	v_add_f64 v[94:95], v[94:95], -v[158:159]
	;; [unrolled: 10-line block ×24, first 2 shown]
	ds_load_2addr_b64 v[158:161], v216 offset0:76 offset1:77
	s_waitcnt lgkmcnt(0)
	v_mul_f64 v[100:101], v[160:161], v[102:103]
	s_delay_alu instid0(VALU_DEP_1) | instskip(SKIP_1) | instid1(VALU_DEP_2)
	v_fma_f64 v[100:101], v[158:159], v[156:157], -v[100:101]
	v_mul_f64 v[158:159], v[158:159], v[102:103]
	v_add_f64 v[0:1], v[0:1], -v[100:101]
	s_delay_alu instid0(VALU_DEP_2) | instskip(SKIP_1) | instid1(VALU_DEP_2)
	v_fma_f64 v[158:159], v[160:161], v[156:157], v[158:159]
	v_dual_mov_b32 v100, v156 :: v_dual_mov_b32 v101, v157
	v_add_f64 v[2:3], v[2:3], -v[158:159]
.LBB77_127:
	s_or_b32 exec_lo, exec_lo, s3
	s_delay_alu instid0(SALU_CYCLE_1)
	s_mov_b32 s4, exec_lo
	s_waitcnt_vscnt null, 0x0
	s_barrier
	buffer_gl0_inv
	v_cmpx_eq_u32_e32 14, v214
	s_cbranch_execz .LBB77_134
; %bb.128:
	ds_store_2addr_b64 v215, v[96:97], v[98:99] offset1:1
	ds_store_2addr_b64 v216, v[92:93], v[94:95] offset0:30 offset1:31
	ds_store_2addr_b64 v216, v[88:89], v[90:91] offset0:32 offset1:33
	;; [unrolled: 1-line block ×24, first 2 shown]
	ds_load_2addr_b64 v[156:159], v215 offset1:1
	s_waitcnt lgkmcnt(0)
	v_cmp_neq_f64_e32 vcc_lo, 0, v[156:157]
	v_cmp_neq_f64_e64 s3, 0, v[158:159]
	s_delay_alu instid0(VALU_DEP_1) | instskip(NEXT) | instid1(SALU_CYCLE_1)
	s_or_b32 s3, vcc_lo, s3
	s_and_b32 exec_lo, exec_lo, s3
	s_cbranch_execz .LBB77_134
; %bb.129:
	v_cmp_gt_f64_e32 vcc_lo, 0, v[156:157]
	v_xor_b32_e32 v160, 0x80000000, v157
	v_xor_b32_e32 v162, 0x80000000, v159
	s_mov_b32 s3, exec_lo
                                        ; implicit-def: $vgpr164_vgpr165
	s_delay_alu instid0(VALU_DEP_2) | instskip(SKIP_4) | instid1(VALU_DEP_1)
	v_cndmask_b32_e32 v161, v157, v160, vcc_lo
	v_cndmask_b32_e32 v160, v156, v156, vcc_lo
	v_cmp_gt_f64_e32 vcc_lo, 0, v[158:159]
	v_cndmask_b32_e32 v163, v159, v162, vcc_lo
	v_cndmask_b32_e32 v162, v158, v158, vcc_lo
	v_cmpx_ngt_f64_e32 v[160:161], v[162:163]
	s_xor_b32 s3, exec_lo, s3
                                        ; implicit-def: $vgpr160_vgpr161_vgpr162_vgpr163
	s_cbranch_execz .LBB77_131
; %bb.130:
	v_div_scale_f64 v[160:161], null, v[158:159], v[158:159], v[156:157]
	v_div_scale_f64 v[166:167], vcc_lo, v[156:157], v[158:159], v[156:157]
	s_delay_alu instid0(VALU_DEP_2) | instskip(SKIP_2) | instid1(VALU_DEP_1)
	v_rcp_f64_e32 v[162:163], v[160:161]
	s_waitcnt_depctr 0xfff
	v_fma_f64 v[164:165], -v[160:161], v[162:163], 1.0
	v_fma_f64 v[162:163], v[162:163], v[164:165], v[162:163]
	s_delay_alu instid0(VALU_DEP_1) | instskip(NEXT) | instid1(VALU_DEP_1)
	v_fma_f64 v[164:165], -v[160:161], v[162:163], 1.0
	v_fma_f64 v[162:163], v[162:163], v[164:165], v[162:163]
	s_delay_alu instid0(VALU_DEP_1) | instskip(NEXT) | instid1(VALU_DEP_1)
	v_mul_f64 v[164:165], v[166:167], v[162:163]
	v_fma_f64 v[160:161], -v[160:161], v[164:165], v[166:167]
	s_delay_alu instid0(VALU_DEP_1) | instskip(NEXT) | instid1(VALU_DEP_1)
	v_div_fmas_f64 v[160:161], v[160:161], v[162:163], v[164:165]
	v_div_fixup_f64 v[160:161], v[160:161], v[158:159], v[156:157]
	s_delay_alu instid0(VALU_DEP_1) | instskip(NEXT) | instid1(VALU_DEP_1)
	v_fma_f64 v[156:157], v[156:157], v[160:161], v[158:159]
	v_div_scale_f64 v[158:159], null, v[156:157], v[156:157], 1.0
	s_delay_alu instid0(VALU_DEP_1) | instskip(SKIP_2) | instid1(VALU_DEP_1)
	v_rcp_f64_e32 v[162:163], v[158:159]
	s_waitcnt_depctr 0xfff
	v_fma_f64 v[164:165], -v[158:159], v[162:163], 1.0
	v_fma_f64 v[162:163], v[162:163], v[164:165], v[162:163]
	s_delay_alu instid0(VALU_DEP_1) | instskip(NEXT) | instid1(VALU_DEP_1)
	v_fma_f64 v[164:165], -v[158:159], v[162:163], 1.0
	v_fma_f64 v[162:163], v[162:163], v[164:165], v[162:163]
	v_div_scale_f64 v[164:165], vcc_lo, 1.0, v[156:157], 1.0
	s_delay_alu instid0(VALU_DEP_1) | instskip(NEXT) | instid1(VALU_DEP_1)
	v_mul_f64 v[166:167], v[164:165], v[162:163]
	v_fma_f64 v[158:159], -v[158:159], v[166:167], v[164:165]
	s_delay_alu instid0(VALU_DEP_1) | instskip(NEXT) | instid1(VALU_DEP_1)
	v_div_fmas_f64 v[158:159], v[158:159], v[162:163], v[166:167]
	v_div_fixup_f64 v[162:163], v[158:159], v[156:157], 1.0
                                        ; implicit-def: $vgpr156_vgpr157
	s_delay_alu instid0(VALU_DEP_1)
	v_mul_f64 v[164:165], v[160:161], v[162:163]
	v_xor_b32_e32 v163, 0x80000000, v163
.LBB77_131:
	s_and_not1_saveexec_b32 s3, s3
	s_cbranch_execz .LBB77_133
; %bb.132:
	v_div_scale_f64 v[160:161], null, v[156:157], v[156:157], v[158:159]
	v_div_scale_f64 v[166:167], vcc_lo, v[158:159], v[156:157], v[158:159]
	s_delay_alu instid0(VALU_DEP_2) | instskip(SKIP_2) | instid1(VALU_DEP_1)
	v_rcp_f64_e32 v[162:163], v[160:161]
	s_waitcnt_depctr 0xfff
	v_fma_f64 v[164:165], -v[160:161], v[162:163], 1.0
	v_fma_f64 v[162:163], v[162:163], v[164:165], v[162:163]
	s_delay_alu instid0(VALU_DEP_1) | instskip(NEXT) | instid1(VALU_DEP_1)
	v_fma_f64 v[164:165], -v[160:161], v[162:163], 1.0
	v_fma_f64 v[162:163], v[162:163], v[164:165], v[162:163]
	s_delay_alu instid0(VALU_DEP_1) | instskip(NEXT) | instid1(VALU_DEP_1)
	v_mul_f64 v[164:165], v[166:167], v[162:163]
	v_fma_f64 v[160:161], -v[160:161], v[164:165], v[166:167]
	s_delay_alu instid0(VALU_DEP_1) | instskip(NEXT) | instid1(VALU_DEP_1)
	v_div_fmas_f64 v[160:161], v[160:161], v[162:163], v[164:165]
	v_div_fixup_f64 v[160:161], v[160:161], v[156:157], v[158:159]
	s_delay_alu instid0(VALU_DEP_1) | instskip(NEXT) | instid1(VALU_DEP_1)
	v_fma_f64 v[156:157], v[158:159], v[160:161], v[156:157]
	v_div_scale_f64 v[158:159], null, v[156:157], v[156:157], 1.0
	s_delay_alu instid0(VALU_DEP_1) | instskip(SKIP_2) | instid1(VALU_DEP_1)
	v_rcp_f64_e32 v[162:163], v[158:159]
	s_waitcnt_depctr 0xfff
	v_fma_f64 v[164:165], -v[158:159], v[162:163], 1.0
	v_fma_f64 v[162:163], v[162:163], v[164:165], v[162:163]
	s_delay_alu instid0(VALU_DEP_1) | instskip(NEXT) | instid1(VALU_DEP_1)
	v_fma_f64 v[164:165], -v[158:159], v[162:163], 1.0
	v_fma_f64 v[162:163], v[162:163], v[164:165], v[162:163]
	v_div_scale_f64 v[164:165], vcc_lo, 1.0, v[156:157], 1.0
	s_delay_alu instid0(VALU_DEP_1) | instskip(NEXT) | instid1(VALU_DEP_1)
	v_mul_f64 v[166:167], v[164:165], v[162:163]
	v_fma_f64 v[158:159], -v[158:159], v[166:167], v[164:165]
	s_delay_alu instid0(VALU_DEP_1) | instskip(NEXT) | instid1(VALU_DEP_1)
	v_div_fmas_f64 v[158:159], v[158:159], v[162:163], v[166:167]
	v_div_fixup_f64 v[164:165], v[158:159], v[156:157], 1.0
	s_delay_alu instid0(VALU_DEP_1)
	v_mul_f64 v[162:163], v[160:161], -v[164:165]
.LBB77_133:
	s_or_b32 exec_lo, exec_lo, s3
	ds_store_2addr_b64 v215, v[164:165], v[162:163] offset1:1
.LBB77_134:
	s_or_b32 exec_lo, exec_lo, s4
	s_waitcnt lgkmcnt(0)
	s_barrier
	buffer_gl0_inv
	ds_load_2addr_b64 v[156:159], v215 offset1:1
	s_mov_b32 s3, exec_lo
	s_waitcnt lgkmcnt(0)
	scratch_store_b128 off, v[156:159], off offset:392 ; 16-byte Folded Spill
	v_cmpx_lt_u32_e32 14, v214
	s_cbranch_execz .LBB77_136
; %bb.135:
	scratch_load_b128 v[158:161], off, off offset:392 ; 16-byte Folded Reload
	s_waitcnt vmcnt(0)
	v_mul_f64 v[156:157], v[160:161], v[98:99]
	v_mul_f64 v[98:99], v[158:159], v[98:99]
	s_delay_alu instid0(VALU_DEP_2) | instskip(NEXT) | instid1(VALU_DEP_2)
	v_fma_f64 v[156:157], v[158:159], v[96:97], -v[156:157]
	v_fma_f64 v[98:99], v[160:161], v[96:97], v[98:99]
	ds_load_2addr_b64 v[158:161], v216 offset0:30 offset1:31
	s_waitcnt lgkmcnt(0)
	v_mul_f64 v[96:97], v[160:161], v[98:99]
	s_delay_alu instid0(VALU_DEP_1) | instskip(SKIP_1) | instid1(VALU_DEP_2)
	v_fma_f64 v[96:97], v[158:159], v[156:157], -v[96:97]
	v_mul_f64 v[158:159], v[158:159], v[98:99]
	v_add_f64 v[92:93], v[92:93], -v[96:97]
	s_delay_alu instid0(VALU_DEP_2) | instskip(NEXT) | instid1(VALU_DEP_1)
	v_fma_f64 v[158:159], v[160:161], v[156:157], v[158:159]
	v_add_f64 v[94:95], v[94:95], -v[158:159]
	ds_load_2addr_b64 v[158:161], v216 offset0:32 offset1:33
	s_waitcnt lgkmcnt(0)
	v_mul_f64 v[96:97], v[160:161], v[98:99]
	s_delay_alu instid0(VALU_DEP_1) | instskip(SKIP_1) | instid1(VALU_DEP_2)
	v_fma_f64 v[96:97], v[158:159], v[156:157], -v[96:97]
	v_mul_f64 v[158:159], v[158:159], v[98:99]
	v_add_f64 v[88:89], v[88:89], -v[96:97]
	s_delay_alu instid0(VALU_DEP_2) | instskip(NEXT) | instid1(VALU_DEP_1)
	v_fma_f64 v[158:159], v[160:161], v[156:157], v[158:159]
	v_add_f64 v[90:91], v[90:91], -v[158:159]
	;; [unrolled: 10-line block ×23, first 2 shown]
	ds_load_2addr_b64 v[158:161], v216 offset0:76 offset1:77
	s_waitcnt lgkmcnt(0)
	v_mul_f64 v[96:97], v[160:161], v[98:99]
	s_delay_alu instid0(VALU_DEP_1) | instskip(SKIP_1) | instid1(VALU_DEP_2)
	v_fma_f64 v[96:97], v[158:159], v[156:157], -v[96:97]
	v_mul_f64 v[158:159], v[158:159], v[98:99]
	v_add_f64 v[0:1], v[0:1], -v[96:97]
	s_delay_alu instid0(VALU_DEP_2) | instskip(SKIP_1) | instid1(VALU_DEP_2)
	v_fma_f64 v[158:159], v[160:161], v[156:157], v[158:159]
	v_dual_mov_b32 v96, v156 :: v_dual_mov_b32 v97, v157
	v_add_f64 v[2:3], v[2:3], -v[158:159]
.LBB77_136:
	s_or_b32 exec_lo, exec_lo, s3
	s_delay_alu instid0(SALU_CYCLE_1)
	s_mov_b32 s4, exec_lo
	s_waitcnt_vscnt null, 0x0
	s_barrier
	buffer_gl0_inv
	v_cmpx_eq_u32_e32 15, v214
	s_cbranch_execz .LBB77_143
; %bb.137:
	ds_store_2addr_b64 v215, v[92:93], v[94:95] offset1:1
	ds_store_2addr_b64 v216, v[88:89], v[90:91] offset0:32 offset1:33
	ds_store_2addr_b64 v216, v[84:85], v[86:87] offset0:34 offset1:35
	;; [unrolled: 1-line block ×23, first 2 shown]
	ds_load_2addr_b64 v[156:159], v215 offset1:1
	s_waitcnt lgkmcnt(0)
	v_cmp_neq_f64_e32 vcc_lo, 0, v[156:157]
	v_cmp_neq_f64_e64 s3, 0, v[158:159]
	s_delay_alu instid0(VALU_DEP_1) | instskip(NEXT) | instid1(SALU_CYCLE_1)
	s_or_b32 s3, vcc_lo, s3
	s_and_b32 exec_lo, exec_lo, s3
	s_cbranch_execz .LBB77_143
; %bb.138:
	v_cmp_gt_f64_e32 vcc_lo, 0, v[156:157]
	v_xor_b32_e32 v160, 0x80000000, v157
	v_xor_b32_e32 v162, 0x80000000, v159
	s_mov_b32 s3, exec_lo
                                        ; implicit-def: $vgpr164_vgpr165
	s_delay_alu instid0(VALU_DEP_2) | instskip(SKIP_4) | instid1(VALU_DEP_1)
	v_cndmask_b32_e32 v161, v157, v160, vcc_lo
	v_cndmask_b32_e32 v160, v156, v156, vcc_lo
	v_cmp_gt_f64_e32 vcc_lo, 0, v[158:159]
	v_cndmask_b32_e32 v163, v159, v162, vcc_lo
	v_cndmask_b32_e32 v162, v158, v158, vcc_lo
	v_cmpx_ngt_f64_e32 v[160:161], v[162:163]
	s_xor_b32 s3, exec_lo, s3
                                        ; implicit-def: $vgpr160_vgpr161_vgpr162_vgpr163
	s_cbranch_execz .LBB77_140
; %bb.139:
	v_div_scale_f64 v[160:161], null, v[158:159], v[158:159], v[156:157]
	v_div_scale_f64 v[166:167], vcc_lo, v[156:157], v[158:159], v[156:157]
	s_delay_alu instid0(VALU_DEP_2) | instskip(SKIP_2) | instid1(VALU_DEP_1)
	v_rcp_f64_e32 v[162:163], v[160:161]
	s_waitcnt_depctr 0xfff
	v_fma_f64 v[164:165], -v[160:161], v[162:163], 1.0
	v_fma_f64 v[162:163], v[162:163], v[164:165], v[162:163]
	s_delay_alu instid0(VALU_DEP_1) | instskip(NEXT) | instid1(VALU_DEP_1)
	v_fma_f64 v[164:165], -v[160:161], v[162:163], 1.0
	v_fma_f64 v[162:163], v[162:163], v[164:165], v[162:163]
	s_delay_alu instid0(VALU_DEP_1) | instskip(NEXT) | instid1(VALU_DEP_1)
	v_mul_f64 v[164:165], v[166:167], v[162:163]
	v_fma_f64 v[160:161], -v[160:161], v[164:165], v[166:167]
	s_delay_alu instid0(VALU_DEP_1) | instskip(NEXT) | instid1(VALU_DEP_1)
	v_div_fmas_f64 v[160:161], v[160:161], v[162:163], v[164:165]
	v_div_fixup_f64 v[160:161], v[160:161], v[158:159], v[156:157]
	s_delay_alu instid0(VALU_DEP_1) | instskip(NEXT) | instid1(VALU_DEP_1)
	v_fma_f64 v[156:157], v[156:157], v[160:161], v[158:159]
	v_div_scale_f64 v[158:159], null, v[156:157], v[156:157], 1.0
	s_delay_alu instid0(VALU_DEP_1) | instskip(SKIP_2) | instid1(VALU_DEP_1)
	v_rcp_f64_e32 v[162:163], v[158:159]
	s_waitcnt_depctr 0xfff
	v_fma_f64 v[164:165], -v[158:159], v[162:163], 1.0
	v_fma_f64 v[162:163], v[162:163], v[164:165], v[162:163]
	s_delay_alu instid0(VALU_DEP_1) | instskip(NEXT) | instid1(VALU_DEP_1)
	v_fma_f64 v[164:165], -v[158:159], v[162:163], 1.0
	v_fma_f64 v[162:163], v[162:163], v[164:165], v[162:163]
	v_div_scale_f64 v[164:165], vcc_lo, 1.0, v[156:157], 1.0
	s_delay_alu instid0(VALU_DEP_1) | instskip(NEXT) | instid1(VALU_DEP_1)
	v_mul_f64 v[166:167], v[164:165], v[162:163]
	v_fma_f64 v[158:159], -v[158:159], v[166:167], v[164:165]
	s_delay_alu instid0(VALU_DEP_1) | instskip(NEXT) | instid1(VALU_DEP_1)
	v_div_fmas_f64 v[158:159], v[158:159], v[162:163], v[166:167]
	v_div_fixup_f64 v[162:163], v[158:159], v[156:157], 1.0
                                        ; implicit-def: $vgpr156_vgpr157
	s_delay_alu instid0(VALU_DEP_1)
	v_mul_f64 v[164:165], v[160:161], v[162:163]
	v_xor_b32_e32 v163, 0x80000000, v163
.LBB77_140:
	s_and_not1_saveexec_b32 s3, s3
	s_cbranch_execz .LBB77_142
; %bb.141:
	v_div_scale_f64 v[160:161], null, v[156:157], v[156:157], v[158:159]
	v_div_scale_f64 v[166:167], vcc_lo, v[158:159], v[156:157], v[158:159]
	s_delay_alu instid0(VALU_DEP_2) | instskip(SKIP_2) | instid1(VALU_DEP_1)
	v_rcp_f64_e32 v[162:163], v[160:161]
	s_waitcnt_depctr 0xfff
	v_fma_f64 v[164:165], -v[160:161], v[162:163], 1.0
	v_fma_f64 v[162:163], v[162:163], v[164:165], v[162:163]
	s_delay_alu instid0(VALU_DEP_1) | instskip(NEXT) | instid1(VALU_DEP_1)
	v_fma_f64 v[164:165], -v[160:161], v[162:163], 1.0
	v_fma_f64 v[162:163], v[162:163], v[164:165], v[162:163]
	s_delay_alu instid0(VALU_DEP_1) | instskip(NEXT) | instid1(VALU_DEP_1)
	v_mul_f64 v[164:165], v[166:167], v[162:163]
	v_fma_f64 v[160:161], -v[160:161], v[164:165], v[166:167]
	s_delay_alu instid0(VALU_DEP_1) | instskip(NEXT) | instid1(VALU_DEP_1)
	v_div_fmas_f64 v[160:161], v[160:161], v[162:163], v[164:165]
	v_div_fixup_f64 v[160:161], v[160:161], v[156:157], v[158:159]
	s_delay_alu instid0(VALU_DEP_1) | instskip(NEXT) | instid1(VALU_DEP_1)
	v_fma_f64 v[156:157], v[158:159], v[160:161], v[156:157]
	v_div_scale_f64 v[158:159], null, v[156:157], v[156:157], 1.0
	s_delay_alu instid0(VALU_DEP_1) | instskip(SKIP_2) | instid1(VALU_DEP_1)
	v_rcp_f64_e32 v[162:163], v[158:159]
	s_waitcnt_depctr 0xfff
	v_fma_f64 v[164:165], -v[158:159], v[162:163], 1.0
	v_fma_f64 v[162:163], v[162:163], v[164:165], v[162:163]
	s_delay_alu instid0(VALU_DEP_1) | instskip(NEXT) | instid1(VALU_DEP_1)
	v_fma_f64 v[164:165], -v[158:159], v[162:163], 1.0
	v_fma_f64 v[162:163], v[162:163], v[164:165], v[162:163]
	v_div_scale_f64 v[164:165], vcc_lo, 1.0, v[156:157], 1.0
	s_delay_alu instid0(VALU_DEP_1) | instskip(NEXT) | instid1(VALU_DEP_1)
	v_mul_f64 v[166:167], v[164:165], v[162:163]
	v_fma_f64 v[158:159], -v[158:159], v[166:167], v[164:165]
	s_delay_alu instid0(VALU_DEP_1) | instskip(NEXT) | instid1(VALU_DEP_1)
	v_div_fmas_f64 v[158:159], v[158:159], v[162:163], v[166:167]
	v_div_fixup_f64 v[164:165], v[158:159], v[156:157], 1.0
	s_delay_alu instid0(VALU_DEP_1)
	v_mul_f64 v[162:163], v[160:161], -v[164:165]
.LBB77_142:
	s_or_b32 exec_lo, exec_lo, s3
	ds_store_2addr_b64 v215, v[164:165], v[162:163] offset1:1
.LBB77_143:
	s_or_b32 exec_lo, exec_lo, s4
	s_waitcnt lgkmcnt(0)
	s_barrier
	buffer_gl0_inv
	ds_load_2addr_b64 v[156:159], v215 offset1:1
	s_mov_b32 s3, exec_lo
	s_waitcnt lgkmcnt(0)
	scratch_store_b128 off, v[156:159], off offset:408 ; 16-byte Folded Spill
	v_cmpx_lt_u32_e32 15, v214
	s_cbranch_execz .LBB77_145
; %bb.144:
	scratch_load_b128 v[158:161], off, off offset:408 ; 16-byte Folded Reload
	s_waitcnt vmcnt(0)
	v_mul_f64 v[156:157], v[160:161], v[94:95]
	v_mul_f64 v[94:95], v[158:159], v[94:95]
	s_delay_alu instid0(VALU_DEP_2) | instskip(NEXT) | instid1(VALU_DEP_2)
	v_fma_f64 v[156:157], v[158:159], v[92:93], -v[156:157]
	v_fma_f64 v[94:95], v[160:161], v[92:93], v[94:95]
	ds_load_2addr_b64 v[158:161], v216 offset0:32 offset1:33
	s_waitcnt lgkmcnt(0)
	v_mul_f64 v[92:93], v[160:161], v[94:95]
	s_delay_alu instid0(VALU_DEP_1) | instskip(SKIP_1) | instid1(VALU_DEP_2)
	v_fma_f64 v[92:93], v[158:159], v[156:157], -v[92:93]
	v_mul_f64 v[158:159], v[158:159], v[94:95]
	v_add_f64 v[88:89], v[88:89], -v[92:93]
	s_delay_alu instid0(VALU_DEP_2) | instskip(NEXT) | instid1(VALU_DEP_1)
	v_fma_f64 v[158:159], v[160:161], v[156:157], v[158:159]
	v_add_f64 v[90:91], v[90:91], -v[158:159]
	ds_load_2addr_b64 v[158:161], v216 offset0:34 offset1:35
	s_waitcnt lgkmcnt(0)
	v_mul_f64 v[92:93], v[160:161], v[94:95]
	s_delay_alu instid0(VALU_DEP_1) | instskip(SKIP_1) | instid1(VALU_DEP_2)
	v_fma_f64 v[92:93], v[158:159], v[156:157], -v[92:93]
	v_mul_f64 v[158:159], v[158:159], v[94:95]
	v_add_f64 v[84:85], v[84:85], -v[92:93]
	s_delay_alu instid0(VALU_DEP_2) | instskip(NEXT) | instid1(VALU_DEP_1)
	v_fma_f64 v[158:159], v[160:161], v[156:157], v[158:159]
	v_add_f64 v[86:87], v[86:87], -v[158:159]
	;; [unrolled: 10-line block ×22, first 2 shown]
	ds_load_2addr_b64 v[158:161], v216 offset0:76 offset1:77
	s_waitcnt lgkmcnt(0)
	v_mul_f64 v[92:93], v[160:161], v[94:95]
	s_delay_alu instid0(VALU_DEP_1) | instskip(SKIP_1) | instid1(VALU_DEP_2)
	v_fma_f64 v[92:93], v[158:159], v[156:157], -v[92:93]
	v_mul_f64 v[158:159], v[158:159], v[94:95]
	v_add_f64 v[0:1], v[0:1], -v[92:93]
	s_delay_alu instid0(VALU_DEP_2) | instskip(SKIP_1) | instid1(VALU_DEP_2)
	v_fma_f64 v[158:159], v[160:161], v[156:157], v[158:159]
	v_dual_mov_b32 v92, v156 :: v_dual_mov_b32 v93, v157
	v_add_f64 v[2:3], v[2:3], -v[158:159]
.LBB77_145:
	s_or_b32 exec_lo, exec_lo, s3
	s_delay_alu instid0(SALU_CYCLE_1)
	s_mov_b32 s4, exec_lo
	s_waitcnt_vscnt null, 0x0
	s_barrier
	buffer_gl0_inv
	v_cmpx_eq_u32_e32 16, v214
	s_cbranch_execz .LBB77_152
; %bb.146:
	ds_store_2addr_b64 v215, v[88:89], v[90:91] offset1:1
	ds_store_2addr_b64 v216, v[84:85], v[86:87] offset0:34 offset1:35
	ds_store_2addr_b64 v216, v[80:81], v[82:83] offset0:36 offset1:37
	;; [unrolled: 1-line block ×22, first 2 shown]
	ds_load_2addr_b64 v[156:159], v215 offset1:1
	s_waitcnt lgkmcnt(0)
	v_cmp_neq_f64_e32 vcc_lo, 0, v[156:157]
	v_cmp_neq_f64_e64 s3, 0, v[158:159]
	s_delay_alu instid0(VALU_DEP_1) | instskip(NEXT) | instid1(SALU_CYCLE_1)
	s_or_b32 s3, vcc_lo, s3
	s_and_b32 exec_lo, exec_lo, s3
	s_cbranch_execz .LBB77_152
; %bb.147:
	v_cmp_gt_f64_e32 vcc_lo, 0, v[156:157]
	v_xor_b32_e32 v160, 0x80000000, v157
	v_xor_b32_e32 v162, 0x80000000, v159
	s_mov_b32 s3, exec_lo
                                        ; implicit-def: $vgpr164_vgpr165
	s_delay_alu instid0(VALU_DEP_2) | instskip(SKIP_4) | instid1(VALU_DEP_1)
	v_cndmask_b32_e32 v161, v157, v160, vcc_lo
	v_cndmask_b32_e32 v160, v156, v156, vcc_lo
	v_cmp_gt_f64_e32 vcc_lo, 0, v[158:159]
	v_cndmask_b32_e32 v163, v159, v162, vcc_lo
	v_cndmask_b32_e32 v162, v158, v158, vcc_lo
	v_cmpx_ngt_f64_e32 v[160:161], v[162:163]
	s_xor_b32 s3, exec_lo, s3
                                        ; implicit-def: $vgpr160_vgpr161_vgpr162_vgpr163
	s_cbranch_execz .LBB77_149
; %bb.148:
	v_div_scale_f64 v[160:161], null, v[158:159], v[158:159], v[156:157]
	v_div_scale_f64 v[166:167], vcc_lo, v[156:157], v[158:159], v[156:157]
	s_delay_alu instid0(VALU_DEP_2) | instskip(SKIP_2) | instid1(VALU_DEP_1)
	v_rcp_f64_e32 v[162:163], v[160:161]
	s_waitcnt_depctr 0xfff
	v_fma_f64 v[164:165], -v[160:161], v[162:163], 1.0
	v_fma_f64 v[162:163], v[162:163], v[164:165], v[162:163]
	s_delay_alu instid0(VALU_DEP_1) | instskip(NEXT) | instid1(VALU_DEP_1)
	v_fma_f64 v[164:165], -v[160:161], v[162:163], 1.0
	v_fma_f64 v[162:163], v[162:163], v[164:165], v[162:163]
	s_delay_alu instid0(VALU_DEP_1) | instskip(NEXT) | instid1(VALU_DEP_1)
	v_mul_f64 v[164:165], v[166:167], v[162:163]
	v_fma_f64 v[160:161], -v[160:161], v[164:165], v[166:167]
	s_delay_alu instid0(VALU_DEP_1) | instskip(NEXT) | instid1(VALU_DEP_1)
	v_div_fmas_f64 v[160:161], v[160:161], v[162:163], v[164:165]
	v_div_fixup_f64 v[160:161], v[160:161], v[158:159], v[156:157]
	s_delay_alu instid0(VALU_DEP_1) | instskip(NEXT) | instid1(VALU_DEP_1)
	v_fma_f64 v[156:157], v[156:157], v[160:161], v[158:159]
	v_div_scale_f64 v[158:159], null, v[156:157], v[156:157], 1.0
	s_delay_alu instid0(VALU_DEP_1) | instskip(SKIP_2) | instid1(VALU_DEP_1)
	v_rcp_f64_e32 v[162:163], v[158:159]
	s_waitcnt_depctr 0xfff
	v_fma_f64 v[164:165], -v[158:159], v[162:163], 1.0
	v_fma_f64 v[162:163], v[162:163], v[164:165], v[162:163]
	s_delay_alu instid0(VALU_DEP_1) | instskip(NEXT) | instid1(VALU_DEP_1)
	v_fma_f64 v[164:165], -v[158:159], v[162:163], 1.0
	v_fma_f64 v[162:163], v[162:163], v[164:165], v[162:163]
	v_div_scale_f64 v[164:165], vcc_lo, 1.0, v[156:157], 1.0
	s_delay_alu instid0(VALU_DEP_1) | instskip(NEXT) | instid1(VALU_DEP_1)
	v_mul_f64 v[166:167], v[164:165], v[162:163]
	v_fma_f64 v[158:159], -v[158:159], v[166:167], v[164:165]
	s_delay_alu instid0(VALU_DEP_1) | instskip(NEXT) | instid1(VALU_DEP_1)
	v_div_fmas_f64 v[158:159], v[158:159], v[162:163], v[166:167]
	v_div_fixup_f64 v[162:163], v[158:159], v[156:157], 1.0
                                        ; implicit-def: $vgpr156_vgpr157
	s_delay_alu instid0(VALU_DEP_1)
	v_mul_f64 v[164:165], v[160:161], v[162:163]
	v_xor_b32_e32 v163, 0x80000000, v163
.LBB77_149:
	s_and_not1_saveexec_b32 s3, s3
	s_cbranch_execz .LBB77_151
; %bb.150:
	v_div_scale_f64 v[160:161], null, v[156:157], v[156:157], v[158:159]
	v_div_scale_f64 v[166:167], vcc_lo, v[158:159], v[156:157], v[158:159]
	s_delay_alu instid0(VALU_DEP_2) | instskip(SKIP_2) | instid1(VALU_DEP_1)
	v_rcp_f64_e32 v[162:163], v[160:161]
	s_waitcnt_depctr 0xfff
	v_fma_f64 v[164:165], -v[160:161], v[162:163], 1.0
	v_fma_f64 v[162:163], v[162:163], v[164:165], v[162:163]
	s_delay_alu instid0(VALU_DEP_1) | instskip(NEXT) | instid1(VALU_DEP_1)
	v_fma_f64 v[164:165], -v[160:161], v[162:163], 1.0
	v_fma_f64 v[162:163], v[162:163], v[164:165], v[162:163]
	s_delay_alu instid0(VALU_DEP_1) | instskip(NEXT) | instid1(VALU_DEP_1)
	v_mul_f64 v[164:165], v[166:167], v[162:163]
	v_fma_f64 v[160:161], -v[160:161], v[164:165], v[166:167]
	s_delay_alu instid0(VALU_DEP_1) | instskip(NEXT) | instid1(VALU_DEP_1)
	v_div_fmas_f64 v[160:161], v[160:161], v[162:163], v[164:165]
	v_div_fixup_f64 v[160:161], v[160:161], v[156:157], v[158:159]
	s_delay_alu instid0(VALU_DEP_1) | instskip(NEXT) | instid1(VALU_DEP_1)
	v_fma_f64 v[156:157], v[158:159], v[160:161], v[156:157]
	v_div_scale_f64 v[158:159], null, v[156:157], v[156:157], 1.0
	s_delay_alu instid0(VALU_DEP_1) | instskip(SKIP_2) | instid1(VALU_DEP_1)
	v_rcp_f64_e32 v[162:163], v[158:159]
	s_waitcnt_depctr 0xfff
	v_fma_f64 v[164:165], -v[158:159], v[162:163], 1.0
	v_fma_f64 v[162:163], v[162:163], v[164:165], v[162:163]
	s_delay_alu instid0(VALU_DEP_1) | instskip(NEXT) | instid1(VALU_DEP_1)
	v_fma_f64 v[164:165], -v[158:159], v[162:163], 1.0
	v_fma_f64 v[162:163], v[162:163], v[164:165], v[162:163]
	v_div_scale_f64 v[164:165], vcc_lo, 1.0, v[156:157], 1.0
	s_delay_alu instid0(VALU_DEP_1) | instskip(NEXT) | instid1(VALU_DEP_1)
	v_mul_f64 v[166:167], v[164:165], v[162:163]
	v_fma_f64 v[158:159], -v[158:159], v[166:167], v[164:165]
	s_delay_alu instid0(VALU_DEP_1) | instskip(NEXT) | instid1(VALU_DEP_1)
	v_div_fmas_f64 v[158:159], v[158:159], v[162:163], v[166:167]
	v_div_fixup_f64 v[164:165], v[158:159], v[156:157], 1.0
	s_delay_alu instid0(VALU_DEP_1)
	v_mul_f64 v[162:163], v[160:161], -v[164:165]
.LBB77_151:
	s_or_b32 exec_lo, exec_lo, s3
	ds_store_2addr_b64 v215, v[164:165], v[162:163] offset1:1
.LBB77_152:
	s_or_b32 exec_lo, exec_lo, s4
	s_waitcnt lgkmcnt(0)
	s_barrier
	buffer_gl0_inv
	ds_load_2addr_b64 v[156:159], v215 offset1:1
	s_mov_b32 s3, exec_lo
	s_waitcnt lgkmcnt(0)
	scratch_store_b128 off, v[156:159], off offset:424 ; 16-byte Folded Spill
	v_cmpx_lt_u32_e32 16, v214
	s_cbranch_execz .LBB77_154
; %bb.153:
	scratch_load_b128 v[158:161], off, off offset:424 ; 16-byte Folded Reload
	s_waitcnt vmcnt(0)
	v_mul_f64 v[156:157], v[160:161], v[90:91]
	v_mul_f64 v[90:91], v[158:159], v[90:91]
	s_delay_alu instid0(VALU_DEP_2) | instskip(NEXT) | instid1(VALU_DEP_2)
	v_fma_f64 v[156:157], v[158:159], v[88:89], -v[156:157]
	v_fma_f64 v[90:91], v[160:161], v[88:89], v[90:91]
	ds_load_2addr_b64 v[158:161], v216 offset0:34 offset1:35
	s_waitcnt lgkmcnt(0)
	v_mul_f64 v[88:89], v[160:161], v[90:91]
	s_delay_alu instid0(VALU_DEP_1) | instskip(SKIP_1) | instid1(VALU_DEP_2)
	v_fma_f64 v[88:89], v[158:159], v[156:157], -v[88:89]
	v_mul_f64 v[158:159], v[158:159], v[90:91]
	v_add_f64 v[84:85], v[84:85], -v[88:89]
	s_delay_alu instid0(VALU_DEP_2) | instskip(NEXT) | instid1(VALU_DEP_1)
	v_fma_f64 v[158:159], v[160:161], v[156:157], v[158:159]
	v_add_f64 v[86:87], v[86:87], -v[158:159]
	ds_load_2addr_b64 v[158:161], v216 offset0:36 offset1:37
	s_waitcnt lgkmcnt(0)
	v_mul_f64 v[88:89], v[160:161], v[90:91]
	s_delay_alu instid0(VALU_DEP_1) | instskip(SKIP_1) | instid1(VALU_DEP_2)
	v_fma_f64 v[88:89], v[158:159], v[156:157], -v[88:89]
	v_mul_f64 v[158:159], v[158:159], v[90:91]
	v_add_f64 v[80:81], v[80:81], -v[88:89]
	s_delay_alu instid0(VALU_DEP_2) | instskip(NEXT) | instid1(VALU_DEP_1)
	v_fma_f64 v[158:159], v[160:161], v[156:157], v[158:159]
	v_add_f64 v[82:83], v[82:83], -v[158:159]
	;; [unrolled: 10-line block ×21, first 2 shown]
	ds_load_2addr_b64 v[158:161], v216 offset0:76 offset1:77
	s_waitcnt lgkmcnt(0)
	v_mul_f64 v[88:89], v[160:161], v[90:91]
	s_delay_alu instid0(VALU_DEP_1) | instskip(SKIP_1) | instid1(VALU_DEP_2)
	v_fma_f64 v[88:89], v[158:159], v[156:157], -v[88:89]
	v_mul_f64 v[158:159], v[158:159], v[90:91]
	v_add_f64 v[0:1], v[0:1], -v[88:89]
	s_delay_alu instid0(VALU_DEP_2) | instskip(SKIP_1) | instid1(VALU_DEP_2)
	v_fma_f64 v[158:159], v[160:161], v[156:157], v[158:159]
	v_dual_mov_b32 v88, v156 :: v_dual_mov_b32 v89, v157
	v_add_f64 v[2:3], v[2:3], -v[158:159]
.LBB77_154:
	s_or_b32 exec_lo, exec_lo, s3
	s_delay_alu instid0(SALU_CYCLE_1)
	s_mov_b32 s4, exec_lo
	s_waitcnt_vscnt null, 0x0
	s_barrier
	buffer_gl0_inv
	v_cmpx_eq_u32_e32 17, v214
	s_cbranch_execz .LBB77_161
; %bb.155:
	ds_store_2addr_b64 v215, v[84:85], v[86:87] offset1:1
	ds_store_2addr_b64 v216, v[80:81], v[82:83] offset0:36 offset1:37
	ds_store_2addr_b64 v216, v[76:77], v[78:79] offset0:38 offset1:39
	;; [unrolled: 1-line block ×21, first 2 shown]
	ds_load_2addr_b64 v[156:159], v215 offset1:1
	s_waitcnt lgkmcnt(0)
	v_cmp_neq_f64_e32 vcc_lo, 0, v[156:157]
	v_cmp_neq_f64_e64 s3, 0, v[158:159]
	s_delay_alu instid0(VALU_DEP_1) | instskip(NEXT) | instid1(SALU_CYCLE_1)
	s_or_b32 s3, vcc_lo, s3
	s_and_b32 exec_lo, exec_lo, s3
	s_cbranch_execz .LBB77_161
; %bb.156:
	v_cmp_gt_f64_e32 vcc_lo, 0, v[156:157]
	v_xor_b32_e32 v160, 0x80000000, v157
	v_xor_b32_e32 v162, 0x80000000, v159
	s_mov_b32 s3, exec_lo
                                        ; implicit-def: $vgpr164_vgpr165
	s_delay_alu instid0(VALU_DEP_2) | instskip(SKIP_4) | instid1(VALU_DEP_1)
	v_cndmask_b32_e32 v161, v157, v160, vcc_lo
	v_cndmask_b32_e32 v160, v156, v156, vcc_lo
	v_cmp_gt_f64_e32 vcc_lo, 0, v[158:159]
	v_cndmask_b32_e32 v163, v159, v162, vcc_lo
	v_cndmask_b32_e32 v162, v158, v158, vcc_lo
	v_cmpx_ngt_f64_e32 v[160:161], v[162:163]
	s_xor_b32 s3, exec_lo, s3
                                        ; implicit-def: $vgpr160_vgpr161_vgpr162_vgpr163
	s_cbranch_execz .LBB77_158
; %bb.157:
	v_div_scale_f64 v[160:161], null, v[158:159], v[158:159], v[156:157]
	v_div_scale_f64 v[166:167], vcc_lo, v[156:157], v[158:159], v[156:157]
	s_delay_alu instid0(VALU_DEP_2) | instskip(SKIP_2) | instid1(VALU_DEP_1)
	v_rcp_f64_e32 v[162:163], v[160:161]
	s_waitcnt_depctr 0xfff
	v_fma_f64 v[164:165], -v[160:161], v[162:163], 1.0
	v_fma_f64 v[162:163], v[162:163], v[164:165], v[162:163]
	s_delay_alu instid0(VALU_DEP_1) | instskip(NEXT) | instid1(VALU_DEP_1)
	v_fma_f64 v[164:165], -v[160:161], v[162:163], 1.0
	v_fma_f64 v[162:163], v[162:163], v[164:165], v[162:163]
	s_delay_alu instid0(VALU_DEP_1) | instskip(NEXT) | instid1(VALU_DEP_1)
	v_mul_f64 v[164:165], v[166:167], v[162:163]
	v_fma_f64 v[160:161], -v[160:161], v[164:165], v[166:167]
	s_delay_alu instid0(VALU_DEP_1) | instskip(NEXT) | instid1(VALU_DEP_1)
	v_div_fmas_f64 v[160:161], v[160:161], v[162:163], v[164:165]
	v_div_fixup_f64 v[160:161], v[160:161], v[158:159], v[156:157]
	s_delay_alu instid0(VALU_DEP_1) | instskip(NEXT) | instid1(VALU_DEP_1)
	v_fma_f64 v[156:157], v[156:157], v[160:161], v[158:159]
	v_div_scale_f64 v[158:159], null, v[156:157], v[156:157], 1.0
	s_delay_alu instid0(VALU_DEP_1) | instskip(SKIP_2) | instid1(VALU_DEP_1)
	v_rcp_f64_e32 v[162:163], v[158:159]
	s_waitcnt_depctr 0xfff
	v_fma_f64 v[164:165], -v[158:159], v[162:163], 1.0
	v_fma_f64 v[162:163], v[162:163], v[164:165], v[162:163]
	s_delay_alu instid0(VALU_DEP_1) | instskip(NEXT) | instid1(VALU_DEP_1)
	v_fma_f64 v[164:165], -v[158:159], v[162:163], 1.0
	v_fma_f64 v[162:163], v[162:163], v[164:165], v[162:163]
	v_div_scale_f64 v[164:165], vcc_lo, 1.0, v[156:157], 1.0
	s_delay_alu instid0(VALU_DEP_1) | instskip(NEXT) | instid1(VALU_DEP_1)
	v_mul_f64 v[166:167], v[164:165], v[162:163]
	v_fma_f64 v[158:159], -v[158:159], v[166:167], v[164:165]
	s_delay_alu instid0(VALU_DEP_1) | instskip(NEXT) | instid1(VALU_DEP_1)
	v_div_fmas_f64 v[158:159], v[158:159], v[162:163], v[166:167]
	v_div_fixup_f64 v[162:163], v[158:159], v[156:157], 1.0
                                        ; implicit-def: $vgpr156_vgpr157
	s_delay_alu instid0(VALU_DEP_1)
	v_mul_f64 v[164:165], v[160:161], v[162:163]
	v_xor_b32_e32 v163, 0x80000000, v163
.LBB77_158:
	s_and_not1_saveexec_b32 s3, s3
	s_cbranch_execz .LBB77_160
; %bb.159:
	v_div_scale_f64 v[160:161], null, v[156:157], v[156:157], v[158:159]
	v_div_scale_f64 v[166:167], vcc_lo, v[158:159], v[156:157], v[158:159]
	s_delay_alu instid0(VALU_DEP_2) | instskip(SKIP_2) | instid1(VALU_DEP_1)
	v_rcp_f64_e32 v[162:163], v[160:161]
	s_waitcnt_depctr 0xfff
	v_fma_f64 v[164:165], -v[160:161], v[162:163], 1.0
	v_fma_f64 v[162:163], v[162:163], v[164:165], v[162:163]
	s_delay_alu instid0(VALU_DEP_1) | instskip(NEXT) | instid1(VALU_DEP_1)
	v_fma_f64 v[164:165], -v[160:161], v[162:163], 1.0
	v_fma_f64 v[162:163], v[162:163], v[164:165], v[162:163]
	s_delay_alu instid0(VALU_DEP_1) | instskip(NEXT) | instid1(VALU_DEP_1)
	v_mul_f64 v[164:165], v[166:167], v[162:163]
	v_fma_f64 v[160:161], -v[160:161], v[164:165], v[166:167]
	s_delay_alu instid0(VALU_DEP_1) | instskip(NEXT) | instid1(VALU_DEP_1)
	v_div_fmas_f64 v[160:161], v[160:161], v[162:163], v[164:165]
	v_div_fixup_f64 v[160:161], v[160:161], v[156:157], v[158:159]
	s_delay_alu instid0(VALU_DEP_1) | instskip(NEXT) | instid1(VALU_DEP_1)
	v_fma_f64 v[156:157], v[158:159], v[160:161], v[156:157]
	v_div_scale_f64 v[158:159], null, v[156:157], v[156:157], 1.0
	s_delay_alu instid0(VALU_DEP_1) | instskip(SKIP_2) | instid1(VALU_DEP_1)
	v_rcp_f64_e32 v[162:163], v[158:159]
	s_waitcnt_depctr 0xfff
	v_fma_f64 v[164:165], -v[158:159], v[162:163], 1.0
	v_fma_f64 v[162:163], v[162:163], v[164:165], v[162:163]
	s_delay_alu instid0(VALU_DEP_1) | instskip(NEXT) | instid1(VALU_DEP_1)
	v_fma_f64 v[164:165], -v[158:159], v[162:163], 1.0
	v_fma_f64 v[162:163], v[162:163], v[164:165], v[162:163]
	v_div_scale_f64 v[164:165], vcc_lo, 1.0, v[156:157], 1.0
	s_delay_alu instid0(VALU_DEP_1) | instskip(NEXT) | instid1(VALU_DEP_1)
	v_mul_f64 v[166:167], v[164:165], v[162:163]
	v_fma_f64 v[158:159], -v[158:159], v[166:167], v[164:165]
	s_delay_alu instid0(VALU_DEP_1) | instskip(NEXT) | instid1(VALU_DEP_1)
	v_div_fmas_f64 v[158:159], v[158:159], v[162:163], v[166:167]
	v_div_fixup_f64 v[164:165], v[158:159], v[156:157], 1.0
	s_delay_alu instid0(VALU_DEP_1)
	v_mul_f64 v[162:163], v[160:161], -v[164:165]
.LBB77_160:
	s_or_b32 exec_lo, exec_lo, s3
	ds_store_2addr_b64 v215, v[164:165], v[162:163] offset1:1
.LBB77_161:
	s_or_b32 exec_lo, exec_lo, s4
	s_waitcnt lgkmcnt(0)
	s_barrier
	buffer_gl0_inv
	ds_load_2addr_b64 v[156:159], v215 offset1:1
	s_mov_b32 s3, exec_lo
	s_waitcnt lgkmcnt(0)
	scratch_store_b128 off, v[156:159], off offset:440 ; 16-byte Folded Spill
	v_cmpx_lt_u32_e32 17, v214
	s_cbranch_execz .LBB77_163
; %bb.162:
	scratch_load_b128 v[158:161], off, off offset:440 ; 16-byte Folded Reload
	s_waitcnt vmcnt(0)
	v_mul_f64 v[156:157], v[160:161], v[86:87]
	v_mul_f64 v[86:87], v[158:159], v[86:87]
	s_delay_alu instid0(VALU_DEP_2) | instskip(NEXT) | instid1(VALU_DEP_2)
	v_fma_f64 v[156:157], v[158:159], v[84:85], -v[156:157]
	v_fma_f64 v[86:87], v[160:161], v[84:85], v[86:87]
	ds_load_2addr_b64 v[158:161], v216 offset0:36 offset1:37
	s_waitcnt lgkmcnt(0)
	v_mul_f64 v[84:85], v[160:161], v[86:87]
	s_delay_alu instid0(VALU_DEP_1) | instskip(SKIP_1) | instid1(VALU_DEP_2)
	v_fma_f64 v[84:85], v[158:159], v[156:157], -v[84:85]
	v_mul_f64 v[158:159], v[158:159], v[86:87]
	v_add_f64 v[80:81], v[80:81], -v[84:85]
	s_delay_alu instid0(VALU_DEP_2) | instskip(NEXT) | instid1(VALU_DEP_1)
	v_fma_f64 v[158:159], v[160:161], v[156:157], v[158:159]
	v_add_f64 v[82:83], v[82:83], -v[158:159]
	ds_load_2addr_b64 v[158:161], v216 offset0:38 offset1:39
	s_waitcnt lgkmcnt(0)
	v_mul_f64 v[84:85], v[160:161], v[86:87]
	s_delay_alu instid0(VALU_DEP_1) | instskip(SKIP_1) | instid1(VALU_DEP_2)
	v_fma_f64 v[84:85], v[158:159], v[156:157], -v[84:85]
	v_mul_f64 v[158:159], v[158:159], v[86:87]
	v_add_f64 v[76:77], v[76:77], -v[84:85]
	s_delay_alu instid0(VALU_DEP_2) | instskip(NEXT) | instid1(VALU_DEP_1)
	v_fma_f64 v[158:159], v[160:161], v[156:157], v[158:159]
	v_add_f64 v[78:79], v[78:79], -v[158:159]
	;; [unrolled: 10-line block ×20, first 2 shown]
	ds_load_2addr_b64 v[158:161], v216 offset0:76 offset1:77
	s_waitcnt lgkmcnt(0)
	v_mul_f64 v[84:85], v[160:161], v[86:87]
	s_delay_alu instid0(VALU_DEP_1) | instskip(SKIP_1) | instid1(VALU_DEP_2)
	v_fma_f64 v[84:85], v[158:159], v[156:157], -v[84:85]
	v_mul_f64 v[158:159], v[158:159], v[86:87]
	v_add_f64 v[0:1], v[0:1], -v[84:85]
	s_delay_alu instid0(VALU_DEP_2) | instskip(SKIP_1) | instid1(VALU_DEP_2)
	v_fma_f64 v[158:159], v[160:161], v[156:157], v[158:159]
	v_dual_mov_b32 v84, v156 :: v_dual_mov_b32 v85, v157
	v_add_f64 v[2:3], v[2:3], -v[158:159]
.LBB77_163:
	s_or_b32 exec_lo, exec_lo, s3
	s_delay_alu instid0(SALU_CYCLE_1)
	s_mov_b32 s4, exec_lo
	s_waitcnt_vscnt null, 0x0
	s_barrier
	buffer_gl0_inv
	v_cmpx_eq_u32_e32 18, v214
	s_cbranch_execz .LBB77_170
; %bb.164:
	ds_store_2addr_b64 v215, v[80:81], v[82:83] offset1:1
	ds_store_2addr_b64 v216, v[76:77], v[78:79] offset0:38 offset1:39
	ds_store_2addr_b64 v216, v[72:73], v[74:75] offset0:40 offset1:41
	;; [unrolled: 1-line block ×20, first 2 shown]
	ds_load_2addr_b64 v[156:159], v215 offset1:1
	s_waitcnt lgkmcnt(0)
	v_cmp_neq_f64_e32 vcc_lo, 0, v[156:157]
	v_cmp_neq_f64_e64 s3, 0, v[158:159]
	s_delay_alu instid0(VALU_DEP_1) | instskip(NEXT) | instid1(SALU_CYCLE_1)
	s_or_b32 s3, vcc_lo, s3
	s_and_b32 exec_lo, exec_lo, s3
	s_cbranch_execz .LBB77_170
; %bb.165:
	v_cmp_gt_f64_e32 vcc_lo, 0, v[156:157]
	v_xor_b32_e32 v160, 0x80000000, v157
	v_xor_b32_e32 v162, 0x80000000, v159
	s_mov_b32 s3, exec_lo
                                        ; implicit-def: $vgpr164_vgpr165
	s_delay_alu instid0(VALU_DEP_2) | instskip(SKIP_4) | instid1(VALU_DEP_1)
	v_cndmask_b32_e32 v161, v157, v160, vcc_lo
	v_cndmask_b32_e32 v160, v156, v156, vcc_lo
	v_cmp_gt_f64_e32 vcc_lo, 0, v[158:159]
	v_cndmask_b32_e32 v163, v159, v162, vcc_lo
	v_cndmask_b32_e32 v162, v158, v158, vcc_lo
	v_cmpx_ngt_f64_e32 v[160:161], v[162:163]
	s_xor_b32 s3, exec_lo, s3
                                        ; implicit-def: $vgpr160_vgpr161_vgpr162_vgpr163
	s_cbranch_execz .LBB77_167
; %bb.166:
	v_div_scale_f64 v[160:161], null, v[158:159], v[158:159], v[156:157]
	v_div_scale_f64 v[166:167], vcc_lo, v[156:157], v[158:159], v[156:157]
	s_delay_alu instid0(VALU_DEP_2) | instskip(SKIP_2) | instid1(VALU_DEP_1)
	v_rcp_f64_e32 v[162:163], v[160:161]
	s_waitcnt_depctr 0xfff
	v_fma_f64 v[164:165], -v[160:161], v[162:163], 1.0
	v_fma_f64 v[162:163], v[162:163], v[164:165], v[162:163]
	s_delay_alu instid0(VALU_DEP_1) | instskip(NEXT) | instid1(VALU_DEP_1)
	v_fma_f64 v[164:165], -v[160:161], v[162:163], 1.0
	v_fma_f64 v[162:163], v[162:163], v[164:165], v[162:163]
	s_delay_alu instid0(VALU_DEP_1) | instskip(NEXT) | instid1(VALU_DEP_1)
	v_mul_f64 v[164:165], v[166:167], v[162:163]
	v_fma_f64 v[160:161], -v[160:161], v[164:165], v[166:167]
	s_delay_alu instid0(VALU_DEP_1) | instskip(NEXT) | instid1(VALU_DEP_1)
	v_div_fmas_f64 v[160:161], v[160:161], v[162:163], v[164:165]
	v_div_fixup_f64 v[160:161], v[160:161], v[158:159], v[156:157]
	s_delay_alu instid0(VALU_DEP_1) | instskip(NEXT) | instid1(VALU_DEP_1)
	v_fma_f64 v[156:157], v[156:157], v[160:161], v[158:159]
	v_div_scale_f64 v[158:159], null, v[156:157], v[156:157], 1.0
	s_delay_alu instid0(VALU_DEP_1) | instskip(SKIP_2) | instid1(VALU_DEP_1)
	v_rcp_f64_e32 v[162:163], v[158:159]
	s_waitcnt_depctr 0xfff
	v_fma_f64 v[164:165], -v[158:159], v[162:163], 1.0
	v_fma_f64 v[162:163], v[162:163], v[164:165], v[162:163]
	s_delay_alu instid0(VALU_DEP_1) | instskip(NEXT) | instid1(VALU_DEP_1)
	v_fma_f64 v[164:165], -v[158:159], v[162:163], 1.0
	v_fma_f64 v[162:163], v[162:163], v[164:165], v[162:163]
	v_div_scale_f64 v[164:165], vcc_lo, 1.0, v[156:157], 1.0
	s_delay_alu instid0(VALU_DEP_1) | instskip(NEXT) | instid1(VALU_DEP_1)
	v_mul_f64 v[166:167], v[164:165], v[162:163]
	v_fma_f64 v[158:159], -v[158:159], v[166:167], v[164:165]
	s_delay_alu instid0(VALU_DEP_1) | instskip(NEXT) | instid1(VALU_DEP_1)
	v_div_fmas_f64 v[158:159], v[158:159], v[162:163], v[166:167]
	v_div_fixup_f64 v[162:163], v[158:159], v[156:157], 1.0
                                        ; implicit-def: $vgpr156_vgpr157
	s_delay_alu instid0(VALU_DEP_1)
	v_mul_f64 v[164:165], v[160:161], v[162:163]
	v_xor_b32_e32 v163, 0x80000000, v163
.LBB77_167:
	s_and_not1_saveexec_b32 s3, s3
	s_cbranch_execz .LBB77_169
; %bb.168:
	v_div_scale_f64 v[160:161], null, v[156:157], v[156:157], v[158:159]
	v_div_scale_f64 v[166:167], vcc_lo, v[158:159], v[156:157], v[158:159]
	s_delay_alu instid0(VALU_DEP_2) | instskip(SKIP_2) | instid1(VALU_DEP_1)
	v_rcp_f64_e32 v[162:163], v[160:161]
	s_waitcnt_depctr 0xfff
	v_fma_f64 v[164:165], -v[160:161], v[162:163], 1.0
	v_fma_f64 v[162:163], v[162:163], v[164:165], v[162:163]
	s_delay_alu instid0(VALU_DEP_1) | instskip(NEXT) | instid1(VALU_DEP_1)
	v_fma_f64 v[164:165], -v[160:161], v[162:163], 1.0
	v_fma_f64 v[162:163], v[162:163], v[164:165], v[162:163]
	s_delay_alu instid0(VALU_DEP_1) | instskip(NEXT) | instid1(VALU_DEP_1)
	v_mul_f64 v[164:165], v[166:167], v[162:163]
	v_fma_f64 v[160:161], -v[160:161], v[164:165], v[166:167]
	s_delay_alu instid0(VALU_DEP_1) | instskip(NEXT) | instid1(VALU_DEP_1)
	v_div_fmas_f64 v[160:161], v[160:161], v[162:163], v[164:165]
	v_div_fixup_f64 v[160:161], v[160:161], v[156:157], v[158:159]
	s_delay_alu instid0(VALU_DEP_1) | instskip(NEXT) | instid1(VALU_DEP_1)
	v_fma_f64 v[156:157], v[158:159], v[160:161], v[156:157]
	v_div_scale_f64 v[158:159], null, v[156:157], v[156:157], 1.0
	s_delay_alu instid0(VALU_DEP_1) | instskip(SKIP_2) | instid1(VALU_DEP_1)
	v_rcp_f64_e32 v[162:163], v[158:159]
	s_waitcnt_depctr 0xfff
	v_fma_f64 v[164:165], -v[158:159], v[162:163], 1.0
	v_fma_f64 v[162:163], v[162:163], v[164:165], v[162:163]
	s_delay_alu instid0(VALU_DEP_1) | instskip(NEXT) | instid1(VALU_DEP_1)
	v_fma_f64 v[164:165], -v[158:159], v[162:163], 1.0
	v_fma_f64 v[162:163], v[162:163], v[164:165], v[162:163]
	v_div_scale_f64 v[164:165], vcc_lo, 1.0, v[156:157], 1.0
	s_delay_alu instid0(VALU_DEP_1) | instskip(NEXT) | instid1(VALU_DEP_1)
	v_mul_f64 v[166:167], v[164:165], v[162:163]
	v_fma_f64 v[158:159], -v[158:159], v[166:167], v[164:165]
	s_delay_alu instid0(VALU_DEP_1) | instskip(NEXT) | instid1(VALU_DEP_1)
	v_div_fmas_f64 v[158:159], v[158:159], v[162:163], v[166:167]
	v_div_fixup_f64 v[164:165], v[158:159], v[156:157], 1.0
	s_delay_alu instid0(VALU_DEP_1)
	v_mul_f64 v[162:163], v[160:161], -v[164:165]
.LBB77_169:
	s_or_b32 exec_lo, exec_lo, s3
	ds_store_2addr_b64 v215, v[164:165], v[162:163] offset1:1
.LBB77_170:
	s_or_b32 exec_lo, exec_lo, s4
	s_waitcnt lgkmcnt(0)
	s_barrier
	buffer_gl0_inv
	ds_load_2addr_b64 v[156:159], v215 offset1:1
	s_mov_b32 s3, exec_lo
	s_waitcnt lgkmcnt(0)
	scratch_store_b128 off, v[156:159], off offset:456 ; 16-byte Folded Spill
	v_cmpx_lt_u32_e32 18, v214
	s_cbranch_execz .LBB77_172
; %bb.171:
	scratch_load_b128 v[158:161], off, off offset:456 ; 16-byte Folded Reload
	s_waitcnt vmcnt(0)
	v_mul_f64 v[156:157], v[160:161], v[82:83]
	v_mul_f64 v[82:83], v[158:159], v[82:83]
	s_delay_alu instid0(VALU_DEP_2) | instskip(NEXT) | instid1(VALU_DEP_2)
	v_fma_f64 v[156:157], v[158:159], v[80:81], -v[156:157]
	v_fma_f64 v[82:83], v[160:161], v[80:81], v[82:83]
	ds_load_2addr_b64 v[158:161], v216 offset0:38 offset1:39
	s_waitcnt lgkmcnt(0)
	v_mul_f64 v[80:81], v[160:161], v[82:83]
	s_delay_alu instid0(VALU_DEP_1) | instskip(SKIP_1) | instid1(VALU_DEP_2)
	v_fma_f64 v[80:81], v[158:159], v[156:157], -v[80:81]
	v_mul_f64 v[158:159], v[158:159], v[82:83]
	v_add_f64 v[76:77], v[76:77], -v[80:81]
	s_delay_alu instid0(VALU_DEP_2) | instskip(NEXT) | instid1(VALU_DEP_1)
	v_fma_f64 v[158:159], v[160:161], v[156:157], v[158:159]
	v_add_f64 v[78:79], v[78:79], -v[158:159]
	ds_load_2addr_b64 v[158:161], v216 offset0:40 offset1:41
	s_waitcnt lgkmcnt(0)
	v_mul_f64 v[80:81], v[160:161], v[82:83]
	s_delay_alu instid0(VALU_DEP_1) | instskip(SKIP_1) | instid1(VALU_DEP_2)
	v_fma_f64 v[80:81], v[158:159], v[156:157], -v[80:81]
	v_mul_f64 v[158:159], v[158:159], v[82:83]
	v_add_f64 v[72:73], v[72:73], -v[80:81]
	s_delay_alu instid0(VALU_DEP_2) | instskip(NEXT) | instid1(VALU_DEP_1)
	v_fma_f64 v[158:159], v[160:161], v[156:157], v[158:159]
	v_add_f64 v[74:75], v[74:75], -v[158:159]
	;; [unrolled: 10-line block ×19, first 2 shown]
	ds_load_2addr_b64 v[158:161], v216 offset0:76 offset1:77
	s_waitcnt lgkmcnt(0)
	v_mul_f64 v[80:81], v[160:161], v[82:83]
	s_delay_alu instid0(VALU_DEP_1) | instskip(SKIP_1) | instid1(VALU_DEP_2)
	v_fma_f64 v[80:81], v[158:159], v[156:157], -v[80:81]
	v_mul_f64 v[158:159], v[158:159], v[82:83]
	v_add_f64 v[0:1], v[0:1], -v[80:81]
	s_delay_alu instid0(VALU_DEP_2) | instskip(SKIP_1) | instid1(VALU_DEP_2)
	v_fma_f64 v[158:159], v[160:161], v[156:157], v[158:159]
	v_dual_mov_b32 v80, v156 :: v_dual_mov_b32 v81, v157
	v_add_f64 v[2:3], v[2:3], -v[158:159]
.LBB77_172:
	s_or_b32 exec_lo, exec_lo, s3
	s_delay_alu instid0(SALU_CYCLE_1)
	s_mov_b32 s4, exec_lo
	s_waitcnt_vscnt null, 0x0
	s_barrier
	buffer_gl0_inv
	v_cmpx_eq_u32_e32 19, v214
	s_cbranch_execz .LBB77_179
; %bb.173:
	ds_store_2addr_b64 v215, v[76:77], v[78:79] offset1:1
	ds_store_2addr_b64 v216, v[72:73], v[74:75] offset0:40 offset1:41
	ds_store_2addr_b64 v216, v[68:69], v[70:71] offset0:42 offset1:43
	;; [unrolled: 1-line block ×19, first 2 shown]
	ds_load_2addr_b64 v[156:159], v215 offset1:1
	s_waitcnt lgkmcnt(0)
	v_cmp_neq_f64_e32 vcc_lo, 0, v[156:157]
	v_cmp_neq_f64_e64 s3, 0, v[158:159]
	s_delay_alu instid0(VALU_DEP_1) | instskip(NEXT) | instid1(SALU_CYCLE_1)
	s_or_b32 s3, vcc_lo, s3
	s_and_b32 exec_lo, exec_lo, s3
	s_cbranch_execz .LBB77_179
; %bb.174:
	v_cmp_gt_f64_e32 vcc_lo, 0, v[156:157]
	v_xor_b32_e32 v160, 0x80000000, v157
	v_xor_b32_e32 v162, 0x80000000, v159
	s_mov_b32 s3, exec_lo
                                        ; implicit-def: $vgpr164_vgpr165
	s_delay_alu instid0(VALU_DEP_2) | instskip(SKIP_4) | instid1(VALU_DEP_1)
	v_cndmask_b32_e32 v161, v157, v160, vcc_lo
	v_cndmask_b32_e32 v160, v156, v156, vcc_lo
	v_cmp_gt_f64_e32 vcc_lo, 0, v[158:159]
	v_cndmask_b32_e32 v163, v159, v162, vcc_lo
	v_cndmask_b32_e32 v162, v158, v158, vcc_lo
	v_cmpx_ngt_f64_e32 v[160:161], v[162:163]
	s_xor_b32 s3, exec_lo, s3
                                        ; implicit-def: $vgpr160_vgpr161_vgpr162_vgpr163
	s_cbranch_execz .LBB77_176
; %bb.175:
	v_div_scale_f64 v[160:161], null, v[158:159], v[158:159], v[156:157]
	v_div_scale_f64 v[166:167], vcc_lo, v[156:157], v[158:159], v[156:157]
	s_delay_alu instid0(VALU_DEP_2) | instskip(SKIP_2) | instid1(VALU_DEP_1)
	v_rcp_f64_e32 v[162:163], v[160:161]
	s_waitcnt_depctr 0xfff
	v_fma_f64 v[164:165], -v[160:161], v[162:163], 1.0
	v_fma_f64 v[162:163], v[162:163], v[164:165], v[162:163]
	s_delay_alu instid0(VALU_DEP_1) | instskip(NEXT) | instid1(VALU_DEP_1)
	v_fma_f64 v[164:165], -v[160:161], v[162:163], 1.0
	v_fma_f64 v[162:163], v[162:163], v[164:165], v[162:163]
	s_delay_alu instid0(VALU_DEP_1) | instskip(NEXT) | instid1(VALU_DEP_1)
	v_mul_f64 v[164:165], v[166:167], v[162:163]
	v_fma_f64 v[160:161], -v[160:161], v[164:165], v[166:167]
	s_delay_alu instid0(VALU_DEP_1) | instskip(NEXT) | instid1(VALU_DEP_1)
	v_div_fmas_f64 v[160:161], v[160:161], v[162:163], v[164:165]
	v_div_fixup_f64 v[160:161], v[160:161], v[158:159], v[156:157]
	s_delay_alu instid0(VALU_DEP_1) | instskip(NEXT) | instid1(VALU_DEP_1)
	v_fma_f64 v[156:157], v[156:157], v[160:161], v[158:159]
	v_div_scale_f64 v[158:159], null, v[156:157], v[156:157], 1.0
	s_delay_alu instid0(VALU_DEP_1) | instskip(SKIP_2) | instid1(VALU_DEP_1)
	v_rcp_f64_e32 v[162:163], v[158:159]
	s_waitcnt_depctr 0xfff
	v_fma_f64 v[164:165], -v[158:159], v[162:163], 1.0
	v_fma_f64 v[162:163], v[162:163], v[164:165], v[162:163]
	s_delay_alu instid0(VALU_DEP_1) | instskip(NEXT) | instid1(VALU_DEP_1)
	v_fma_f64 v[164:165], -v[158:159], v[162:163], 1.0
	v_fma_f64 v[162:163], v[162:163], v[164:165], v[162:163]
	v_div_scale_f64 v[164:165], vcc_lo, 1.0, v[156:157], 1.0
	s_delay_alu instid0(VALU_DEP_1) | instskip(NEXT) | instid1(VALU_DEP_1)
	v_mul_f64 v[166:167], v[164:165], v[162:163]
	v_fma_f64 v[158:159], -v[158:159], v[166:167], v[164:165]
	s_delay_alu instid0(VALU_DEP_1) | instskip(NEXT) | instid1(VALU_DEP_1)
	v_div_fmas_f64 v[158:159], v[158:159], v[162:163], v[166:167]
	v_div_fixup_f64 v[162:163], v[158:159], v[156:157], 1.0
                                        ; implicit-def: $vgpr156_vgpr157
	s_delay_alu instid0(VALU_DEP_1)
	v_mul_f64 v[164:165], v[160:161], v[162:163]
	v_xor_b32_e32 v163, 0x80000000, v163
.LBB77_176:
	s_and_not1_saveexec_b32 s3, s3
	s_cbranch_execz .LBB77_178
; %bb.177:
	v_div_scale_f64 v[160:161], null, v[156:157], v[156:157], v[158:159]
	v_div_scale_f64 v[166:167], vcc_lo, v[158:159], v[156:157], v[158:159]
	s_delay_alu instid0(VALU_DEP_2) | instskip(SKIP_2) | instid1(VALU_DEP_1)
	v_rcp_f64_e32 v[162:163], v[160:161]
	s_waitcnt_depctr 0xfff
	v_fma_f64 v[164:165], -v[160:161], v[162:163], 1.0
	v_fma_f64 v[162:163], v[162:163], v[164:165], v[162:163]
	s_delay_alu instid0(VALU_DEP_1) | instskip(NEXT) | instid1(VALU_DEP_1)
	v_fma_f64 v[164:165], -v[160:161], v[162:163], 1.0
	v_fma_f64 v[162:163], v[162:163], v[164:165], v[162:163]
	s_delay_alu instid0(VALU_DEP_1) | instskip(NEXT) | instid1(VALU_DEP_1)
	v_mul_f64 v[164:165], v[166:167], v[162:163]
	v_fma_f64 v[160:161], -v[160:161], v[164:165], v[166:167]
	s_delay_alu instid0(VALU_DEP_1) | instskip(NEXT) | instid1(VALU_DEP_1)
	v_div_fmas_f64 v[160:161], v[160:161], v[162:163], v[164:165]
	v_div_fixup_f64 v[160:161], v[160:161], v[156:157], v[158:159]
	s_delay_alu instid0(VALU_DEP_1) | instskip(NEXT) | instid1(VALU_DEP_1)
	v_fma_f64 v[156:157], v[158:159], v[160:161], v[156:157]
	v_div_scale_f64 v[158:159], null, v[156:157], v[156:157], 1.0
	s_delay_alu instid0(VALU_DEP_1) | instskip(SKIP_2) | instid1(VALU_DEP_1)
	v_rcp_f64_e32 v[162:163], v[158:159]
	s_waitcnt_depctr 0xfff
	v_fma_f64 v[164:165], -v[158:159], v[162:163], 1.0
	v_fma_f64 v[162:163], v[162:163], v[164:165], v[162:163]
	s_delay_alu instid0(VALU_DEP_1) | instskip(NEXT) | instid1(VALU_DEP_1)
	v_fma_f64 v[164:165], -v[158:159], v[162:163], 1.0
	v_fma_f64 v[162:163], v[162:163], v[164:165], v[162:163]
	v_div_scale_f64 v[164:165], vcc_lo, 1.0, v[156:157], 1.0
	s_delay_alu instid0(VALU_DEP_1) | instskip(NEXT) | instid1(VALU_DEP_1)
	v_mul_f64 v[166:167], v[164:165], v[162:163]
	v_fma_f64 v[158:159], -v[158:159], v[166:167], v[164:165]
	s_delay_alu instid0(VALU_DEP_1) | instskip(NEXT) | instid1(VALU_DEP_1)
	v_div_fmas_f64 v[158:159], v[158:159], v[162:163], v[166:167]
	v_div_fixup_f64 v[164:165], v[158:159], v[156:157], 1.0
	s_delay_alu instid0(VALU_DEP_1)
	v_mul_f64 v[162:163], v[160:161], -v[164:165]
.LBB77_178:
	s_or_b32 exec_lo, exec_lo, s3
	ds_store_2addr_b64 v215, v[164:165], v[162:163] offset1:1
.LBB77_179:
	s_or_b32 exec_lo, exec_lo, s4
	s_waitcnt lgkmcnt(0)
	s_barrier
	buffer_gl0_inv
	ds_load_2addr_b64 v[156:159], v215 offset1:1
	s_mov_b32 s3, exec_lo
	s_waitcnt lgkmcnt(0)
	scratch_store_b128 off, v[156:159], off offset:472 ; 16-byte Folded Spill
	v_cmpx_lt_u32_e32 19, v214
	s_cbranch_execz .LBB77_181
; %bb.180:
	scratch_load_b128 v[158:161], off, off offset:472 ; 16-byte Folded Reload
	s_waitcnt vmcnt(0)
	v_mul_f64 v[156:157], v[160:161], v[78:79]
	v_mul_f64 v[78:79], v[158:159], v[78:79]
	s_delay_alu instid0(VALU_DEP_2) | instskip(NEXT) | instid1(VALU_DEP_2)
	v_fma_f64 v[156:157], v[158:159], v[76:77], -v[156:157]
	v_fma_f64 v[78:79], v[160:161], v[76:77], v[78:79]
	ds_load_2addr_b64 v[158:161], v216 offset0:40 offset1:41
	s_waitcnt lgkmcnt(0)
	v_mul_f64 v[76:77], v[160:161], v[78:79]
	s_delay_alu instid0(VALU_DEP_1) | instskip(SKIP_1) | instid1(VALU_DEP_2)
	v_fma_f64 v[76:77], v[158:159], v[156:157], -v[76:77]
	v_mul_f64 v[158:159], v[158:159], v[78:79]
	v_add_f64 v[72:73], v[72:73], -v[76:77]
	s_delay_alu instid0(VALU_DEP_2) | instskip(NEXT) | instid1(VALU_DEP_1)
	v_fma_f64 v[158:159], v[160:161], v[156:157], v[158:159]
	v_add_f64 v[74:75], v[74:75], -v[158:159]
	ds_load_2addr_b64 v[158:161], v216 offset0:42 offset1:43
	s_waitcnt lgkmcnt(0)
	v_mul_f64 v[76:77], v[160:161], v[78:79]
	s_delay_alu instid0(VALU_DEP_1) | instskip(SKIP_1) | instid1(VALU_DEP_2)
	v_fma_f64 v[76:77], v[158:159], v[156:157], -v[76:77]
	v_mul_f64 v[158:159], v[158:159], v[78:79]
	v_add_f64 v[68:69], v[68:69], -v[76:77]
	s_delay_alu instid0(VALU_DEP_2) | instskip(NEXT) | instid1(VALU_DEP_1)
	v_fma_f64 v[158:159], v[160:161], v[156:157], v[158:159]
	v_add_f64 v[70:71], v[70:71], -v[158:159]
	ds_load_2addr_b64 v[158:161], v216 offset0:44 offset1:45
	s_waitcnt lgkmcnt(0)
	v_mul_f64 v[76:77], v[160:161], v[78:79]
	s_delay_alu instid0(VALU_DEP_1) | instskip(SKIP_1) | instid1(VALU_DEP_2)
	v_fma_f64 v[76:77], v[158:159], v[156:157], -v[76:77]
	v_mul_f64 v[158:159], v[158:159], v[78:79]
	v_add_f64 v[64:65], v[64:65], -v[76:77]
	s_delay_alu instid0(VALU_DEP_2) | instskip(NEXT) | instid1(VALU_DEP_1)
	v_fma_f64 v[158:159], v[160:161], v[156:157], v[158:159]
	v_add_f64 v[66:67], v[66:67], -v[158:159]
	ds_load_2addr_b64 v[158:161], v216 offset0:46 offset1:47
	s_waitcnt lgkmcnt(0)
	v_mul_f64 v[76:77], v[160:161], v[78:79]
	s_delay_alu instid0(VALU_DEP_1) | instskip(SKIP_1) | instid1(VALU_DEP_2)
	v_fma_f64 v[76:77], v[158:159], v[156:157], -v[76:77]
	v_mul_f64 v[158:159], v[158:159], v[78:79]
	v_add_f64 v[60:61], v[60:61], -v[76:77]
	s_delay_alu instid0(VALU_DEP_2) | instskip(NEXT) | instid1(VALU_DEP_1)
	v_fma_f64 v[158:159], v[160:161], v[156:157], v[158:159]
	v_add_f64 v[62:63], v[62:63], -v[158:159]
	ds_load_2addr_b64 v[158:161], v216 offset0:48 offset1:49
	s_waitcnt lgkmcnt(0)
	v_mul_f64 v[76:77], v[160:161], v[78:79]
	s_delay_alu instid0(VALU_DEP_1) | instskip(SKIP_1) | instid1(VALU_DEP_2)
	v_fma_f64 v[76:77], v[158:159], v[156:157], -v[76:77]
	v_mul_f64 v[158:159], v[158:159], v[78:79]
	v_add_f64 v[56:57], v[56:57], -v[76:77]
	s_delay_alu instid0(VALU_DEP_2) | instskip(NEXT) | instid1(VALU_DEP_1)
	v_fma_f64 v[158:159], v[160:161], v[156:157], v[158:159]
	v_add_f64 v[58:59], v[58:59], -v[158:159]
	ds_load_2addr_b64 v[158:161], v216 offset0:50 offset1:51
	s_waitcnt lgkmcnt(0)
	v_mul_f64 v[76:77], v[160:161], v[78:79]
	s_delay_alu instid0(VALU_DEP_1) | instskip(SKIP_1) | instid1(VALU_DEP_2)
	v_fma_f64 v[76:77], v[158:159], v[156:157], -v[76:77]
	v_mul_f64 v[158:159], v[158:159], v[78:79]
	v_add_f64 v[52:53], v[52:53], -v[76:77]
	s_delay_alu instid0(VALU_DEP_2) | instskip(NEXT) | instid1(VALU_DEP_1)
	v_fma_f64 v[158:159], v[160:161], v[156:157], v[158:159]
	v_add_f64 v[54:55], v[54:55], -v[158:159]
	ds_load_2addr_b64 v[158:161], v216 offset0:52 offset1:53
	s_waitcnt lgkmcnt(0)
	v_mul_f64 v[76:77], v[160:161], v[78:79]
	s_delay_alu instid0(VALU_DEP_1) | instskip(SKIP_1) | instid1(VALU_DEP_2)
	v_fma_f64 v[76:77], v[158:159], v[156:157], -v[76:77]
	v_mul_f64 v[158:159], v[158:159], v[78:79]
	v_add_f64 v[48:49], v[48:49], -v[76:77]
	s_delay_alu instid0(VALU_DEP_2) | instskip(NEXT) | instid1(VALU_DEP_1)
	v_fma_f64 v[158:159], v[160:161], v[156:157], v[158:159]
	v_add_f64 v[50:51], v[50:51], -v[158:159]
	ds_load_2addr_b64 v[158:161], v216 offset0:54 offset1:55
	s_waitcnt lgkmcnt(0)
	v_mul_f64 v[76:77], v[160:161], v[78:79]
	s_delay_alu instid0(VALU_DEP_1) | instskip(SKIP_1) | instid1(VALU_DEP_2)
	v_fma_f64 v[76:77], v[158:159], v[156:157], -v[76:77]
	v_mul_f64 v[158:159], v[158:159], v[78:79]
	v_add_f64 v[44:45], v[44:45], -v[76:77]
	s_delay_alu instid0(VALU_DEP_2) | instskip(NEXT) | instid1(VALU_DEP_1)
	v_fma_f64 v[158:159], v[160:161], v[156:157], v[158:159]
	v_add_f64 v[46:47], v[46:47], -v[158:159]
	ds_load_2addr_b64 v[158:161], v216 offset0:56 offset1:57
	s_waitcnt lgkmcnt(0)
	v_mul_f64 v[76:77], v[160:161], v[78:79]
	s_delay_alu instid0(VALU_DEP_1) | instskip(SKIP_1) | instid1(VALU_DEP_2)
	v_fma_f64 v[76:77], v[158:159], v[156:157], -v[76:77]
	v_mul_f64 v[158:159], v[158:159], v[78:79]
	v_add_f64 v[40:41], v[40:41], -v[76:77]
	s_delay_alu instid0(VALU_DEP_2) | instskip(NEXT) | instid1(VALU_DEP_1)
	v_fma_f64 v[158:159], v[160:161], v[156:157], v[158:159]
	v_add_f64 v[42:43], v[42:43], -v[158:159]
	ds_load_2addr_b64 v[158:161], v216 offset0:58 offset1:59
	s_waitcnt lgkmcnt(0)
	v_mul_f64 v[76:77], v[160:161], v[78:79]
	s_delay_alu instid0(VALU_DEP_1) | instskip(SKIP_1) | instid1(VALU_DEP_2)
	v_fma_f64 v[76:77], v[158:159], v[156:157], -v[76:77]
	v_mul_f64 v[158:159], v[158:159], v[78:79]
	v_add_f64 v[36:37], v[36:37], -v[76:77]
	s_delay_alu instid0(VALU_DEP_2) | instskip(NEXT) | instid1(VALU_DEP_1)
	v_fma_f64 v[158:159], v[160:161], v[156:157], v[158:159]
	v_add_f64 v[38:39], v[38:39], -v[158:159]
	ds_load_2addr_b64 v[158:161], v216 offset0:60 offset1:61
	s_waitcnt lgkmcnt(0)
	v_mul_f64 v[76:77], v[160:161], v[78:79]
	s_delay_alu instid0(VALU_DEP_1) | instskip(SKIP_1) | instid1(VALU_DEP_2)
	v_fma_f64 v[76:77], v[158:159], v[156:157], -v[76:77]
	v_mul_f64 v[158:159], v[158:159], v[78:79]
	v_add_f64 v[32:33], v[32:33], -v[76:77]
	s_delay_alu instid0(VALU_DEP_2) | instskip(NEXT) | instid1(VALU_DEP_1)
	v_fma_f64 v[158:159], v[160:161], v[156:157], v[158:159]
	v_add_f64 v[34:35], v[34:35], -v[158:159]
	ds_load_2addr_b64 v[158:161], v216 offset0:62 offset1:63
	s_waitcnt lgkmcnt(0)
	v_mul_f64 v[76:77], v[160:161], v[78:79]
	s_delay_alu instid0(VALU_DEP_1) | instskip(SKIP_1) | instid1(VALU_DEP_2)
	v_fma_f64 v[76:77], v[158:159], v[156:157], -v[76:77]
	v_mul_f64 v[158:159], v[158:159], v[78:79]
	v_add_f64 v[28:29], v[28:29], -v[76:77]
	s_delay_alu instid0(VALU_DEP_2) | instskip(NEXT) | instid1(VALU_DEP_1)
	v_fma_f64 v[158:159], v[160:161], v[156:157], v[158:159]
	v_add_f64 v[30:31], v[30:31], -v[158:159]
	ds_load_2addr_b64 v[158:161], v216 offset0:64 offset1:65
	s_waitcnt lgkmcnt(0)
	v_mul_f64 v[76:77], v[160:161], v[78:79]
	s_delay_alu instid0(VALU_DEP_1) | instskip(SKIP_1) | instid1(VALU_DEP_2)
	v_fma_f64 v[76:77], v[158:159], v[156:157], -v[76:77]
	v_mul_f64 v[158:159], v[158:159], v[78:79]
	v_add_f64 v[24:25], v[24:25], -v[76:77]
	s_delay_alu instid0(VALU_DEP_2) | instskip(NEXT) | instid1(VALU_DEP_1)
	v_fma_f64 v[158:159], v[160:161], v[156:157], v[158:159]
	v_add_f64 v[26:27], v[26:27], -v[158:159]
	ds_load_2addr_b64 v[158:161], v216 offset0:66 offset1:67
	s_waitcnt lgkmcnt(0)
	v_mul_f64 v[76:77], v[160:161], v[78:79]
	s_delay_alu instid0(VALU_DEP_1) | instskip(SKIP_1) | instid1(VALU_DEP_2)
	v_fma_f64 v[76:77], v[158:159], v[156:157], -v[76:77]
	v_mul_f64 v[158:159], v[158:159], v[78:79]
	v_add_f64 v[20:21], v[20:21], -v[76:77]
	s_delay_alu instid0(VALU_DEP_2) | instskip(NEXT) | instid1(VALU_DEP_1)
	v_fma_f64 v[158:159], v[160:161], v[156:157], v[158:159]
	v_add_f64 v[22:23], v[22:23], -v[158:159]
	ds_load_2addr_b64 v[158:161], v216 offset0:68 offset1:69
	s_waitcnt lgkmcnt(0)
	v_mul_f64 v[76:77], v[160:161], v[78:79]
	s_delay_alu instid0(VALU_DEP_1) | instskip(SKIP_1) | instid1(VALU_DEP_2)
	v_fma_f64 v[76:77], v[158:159], v[156:157], -v[76:77]
	v_mul_f64 v[158:159], v[158:159], v[78:79]
	v_add_f64 v[16:17], v[16:17], -v[76:77]
	s_delay_alu instid0(VALU_DEP_2) | instskip(NEXT) | instid1(VALU_DEP_1)
	v_fma_f64 v[158:159], v[160:161], v[156:157], v[158:159]
	v_add_f64 v[18:19], v[18:19], -v[158:159]
	ds_load_2addr_b64 v[158:161], v216 offset0:70 offset1:71
	s_waitcnt lgkmcnt(0)
	v_mul_f64 v[76:77], v[160:161], v[78:79]
	s_delay_alu instid0(VALU_DEP_1) | instskip(SKIP_1) | instid1(VALU_DEP_2)
	v_fma_f64 v[76:77], v[158:159], v[156:157], -v[76:77]
	v_mul_f64 v[158:159], v[158:159], v[78:79]
	v_add_f64 v[12:13], v[12:13], -v[76:77]
	s_delay_alu instid0(VALU_DEP_2) | instskip(NEXT) | instid1(VALU_DEP_1)
	v_fma_f64 v[158:159], v[160:161], v[156:157], v[158:159]
	v_add_f64 v[14:15], v[14:15], -v[158:159]
	ds_load_2addr_b64 v[158:161], v216 offset0:72 offset1:73
	s_waitcnt lgkmcnt(0)
	v_mul_f64 v[76:77], v[160:161], v[78:79]
	s_delay_alu instid0(VALU_DEP_1) | instskip(SKIP_1) | instid1(VALU_DEP_2)
	v_fma_f64 v[76:77], v[158:159], v[156:157], -v[76:77]
	v_mul_f64 v[158:159], v[158:159], v[78:79]
	v_add_f64 v[8:9], v[8:9], -v[76:77]
	s_delay_alu instid0(VALU_DEP_2) | instskip(NEXT) | instid1(VALU_DEP_1)
	v_fma_f64 v[158:159], v[160:161], v[156:157], v[158:159]
	v_add_f64 v[10:11], v[10:11], -v[158:159]
	ds_load_2addr_b64 v[158:161], v216 offset0:74 offset1:75
	s_waitcnt lgkmcnt(0)
	v_mul_f64 v[76:77], v[160:161], v[78:79]
	s_delay_alu instid0(VALU_DEP_1) | instskip(SKIP_1) | instid1(VALU_DEP_2)
	v_fma_f64 v[76:77], v[158:159], v[156:157], -v[76:77]
	v_mul_f64 v[158:159], v[158:159], v[78:79]
	v_add_f64 v[4:5], v[4:5], -v[76:77]
	s_delay_alu instid0(VALU_DEP_2) | instskip(NEXT) | instid1(VALU_DEP_1)
	v_fma_f64 v[158:159], v[160:161], v[156:157], v[158:159]
	v_add_f64 v[6:7], v[6:7], -v[158:159]
	ds_load_2addr_b64 v[158:161], v216 offset0:76 offset1:77
	s_waitcnt lgkmcnt(0)
	v_mul_f64 v[76:77], v[160:161], v[78:79]
	s_delay_alu instid0(VALU_DEP_1) | instskip(SKIP_1) | instid1(VALU_DEP_2)
	v_fma_f64 v[76:77], v[158:159], v[156:157], -v[76:77]
	v_mul_f64 v[158:159], v[158:159], v[78:79]
	v_add_f64 v[0:1], v[0:1], -v[76:77]
	s_delay_alu instid0(VALU_DEP_2) | instskip(SKIP_1) | instid1(VALU_DEP_2)
	v_fma_f64 v[158:159], v[160:161], v[156:157], v[158:159]
	v_dual_mov_b32 v76, v156 :: v_dual_mov_b32 v77, v157
	v_add_f64 v[2:3], v[2:3], -v[158:159]
.LBB77_181:
	s_or_b32 exec_lo, exec_lo, s3
	s_delay_alu instid0(SALU_CYCLE_1)
	s_mov_b32 s4, exec_lo
	s_waitcnt_vscnt null, 0x0
	s_barrier
	buffer_gl0_inv
	v_cmpx_eq_u32_e32 20, v214
	s_cbranch_execz .LBB77_188
; %bb.182:
	ds_store_2addr_b64 v215, v[72:73], v[74:75] offset1:1
	ds_store_2addr_b64 v216, v[68:69], v[70:71] offset0:42 offset1:43
	ds_store_2addr_b64 v216, v[64:65], v[66:67] offset0:44 offset1:45
	;; [unrolled: 1-line block ×18, first 2 shown]
	ds_load_2addr_b64 v[156:159], v215 offset1:1
	s_waitcnt lgkmcnt(0)
	v_cmp_neq_f64_e32 vcc_lo, 0, v[156:157]
	v_cmp_neq_f64_e64 s3, 0, v[158:159]
	s_delay_alu instid0(VALU_DEP_1) | instskip(NEXT) | instid1(SALU_CYCLE_1)
	s_or_b32 s3, vcc_lo, s3
	s_and_b32 exec_lo, exec_lo, s3
	s_cbranch_execz .LBB77_188
; %bb.183:
	v_cmp_gt_f64_e32 vcc_lo, 0, v[156:157]
	v_xor_b32_e32 v160, 0x80000000, v157
	v_xor_b32_e32 v162, 0x80000000, v159
	s_mov_b32 s3, exec_lo
                                        ; implicit-def: $vgpr164_vgpr165
	s_delay_alu instid0(VALU_DEP_2) | instskip(SKIP_4) | instid1(VALU_DEP_1)
	v_cndmask_b32_e32 v161, v157, v160, vcc_lo
	v_cndmask_b32_e32 v160, v156, v156, vcc_lo
	v_cmp_gt_f64_e32 vcc_lo, 0, v[158:159]
	v_cndmask_b32_e32 v163, v159, v162, vcc_lo
	v_cndmask_b32_e32 v162, v158, v158, vcc_lo
	v_cmpx_ngt_f64_e32 v[160:161], v[162:163]
	s_xor_b32 s3, exec_lo, s3
                                        ; implicit-def: $vgpr160_vgpr161_vgpr162_vgpr163
	s_cbranch_execz .LBB77_185
; %bb.184:
	v_div_scale_f64 v[160:161], null, v[158:159], v[158:159], v[156:157]
	v_div_scale_f64 v[166:167], vcc_lo, v[156:157], v[158:159], v[156:157]
	s_delay_alu instid0(VALU_DEP_2) | instskip(SKIP_2) | instid1(VALU_DEP_1)
	v_rcp_f64_e32 v[162:163], v[160:161]
	s_waitcnt_depctr 0xfff
	v_fma_f64 v[164:165], -v[160:161], v[162:163], 1.0
	v_fma_f64 v[162:163], v[162:163], v[164:165], v[162:163]
	s_delay_alu instid0(VALU_DEP_1) | instskip(NEXT) | instid1(VALU_DEP_1)
	v_fma_f64 v[164:165], -v[160:161], v[162:163], 1.0
	v_fma_f64 v[162:163], v[162:163], v[164:165], v[162:163]
	s_delay_alu instid0(VALU_DEP_1) | instskip(NEXT) | instid1(VALU_DEP_1)
	v_mul_f64 v[164:165], v[166:167], v[162:163]
	v_fma_f64 v[160:161], -v[160:161], v[164:165], v[166:167]
	s_delay_alu instid0(VALU_DEP_1) | instskip(NEXT) | instid1(VALU_DEP_1)
	v_div_fmas_f64 v[160:161], v[160:161], v[162:163], v[164:165]
	v_div_fixup_f64 v[160:161], v[160:161], v[158:159], v[156:157]
	s_delay_alu instid0(VALU_DEP_1) | instskip(NEXT) | instid1(VALU_DEP_1)
	v_fma_f64 v[156:157], v[156:157], v[160:161], v[158:159]
	v_div_scale_f64 v[158:159], null, v[156:157], v[156:157], 1.0
	s_delay_alu instid0(VALU_DEP_1) | instskip(SKIP_2) | instid1(VALU_DEP_1)
	v_rcp_f64_e32 v[162:163], v[158:159]
	s_waitcnt_depctr 0xfff
	v_fma_f64 v[164:165], -v[158:159], v[162:163], 1.0
	v_fma_f64 v[162:163], v[162:163], v[164:165], v[162:163]
	s_delay_alu instid0(VALU_DEP_1) | instskip(NEXT) | instid1(VALU_DEP_1)
	v_fma_f64 v[164:165], -v[158:159], v[162:163], 1.0
	v_fma_f64 v[162:163], v[162:163], v[164:165], v[162:163]
	v_div_scale_f64 v[164:165], vcc_lo, 1.0, v[156:157], 1.0
	s_delay_alu instid0(VALU_DEP_1) | instskip(NEXT) | instid1(VALU_DEP_1)
	v_mul_f64 v[166:167], v[164:165], v[162:163]
	v_fma_f64 v[158:159], -v[158:159], v[166:167], v[164:165]
	s_delay_alu instid0(VALU_DEP_1) | instskip(NEXT) | instid1(VALU_DEP_1)
	v_div_fmas_f64 v[158:159], v[158:159], v[162:163], v[166:167]
	v_div_fixup_f64 v[162:163], v[158:159], v[156:157], 1.0
                                        ; implicit-def: $vgpr156_vgpr157
	s_delay_alu instid0(VALU_DEP_1)
	v_mul_f64 v[164:165], v[160:161], v[162:163]
	v_xor_b32_e32 v163, 0x80000000, v163
.LBB77_185:
	s_and_not1_saveexec_b32 s3, s3
	s_cbranch_execz .LBB77_187
; %bb.186:
	v_div_scale_f64 v[160:161], null, v[156:157], v[156:157], v[158:159]
	v_div_scale_f64 v[166:167], vcc_lo, v[158:159], v[156:157], v[158:159]
	s_delay_alu instid0(VALU_DEP_2) | instskip(SKIP_2) | instid1(VALU_DEP_1)
	v_rcp_f64_e32 v[162:163], v[160:161]
	s_waitcnt_depctr 0xfff
	v_fma_f64 v[164:165], -v[160:161], v[162:163], 1.0
	v_fma_f64 v[162:163], v[162:163], v[164:165], v[162:163]
	s_delay_alu instid0(VALU_DEP_1) | instskip(NEXT) | instid1(VALU_DEP_1)
	v_fma_f64 v[164:165], -v[160:161], v[162:163], 1.0
	v_fma_f64 v[162:163], v[162:163], v[164:165], v[162:163]
	s_delay_alu instid0(VALU_DEP_1) | instskip(NEXT) | instid1(VALU_DEP_1)
	v_mul_f64 v[164:165], v[166:167], v[162:163]
	v_fma_f64 v[160:161], -v[160:161], v[164:165], v[166:167]
	s_delay_alu instid0(VALU_DEP_1) | instskip(NEXT) | instid1(VALU_DEP_1)
	v_div_fmas_f64 v[160:161], v[160:161], v[162:163], v[164:165]
	v_div_fixup_f64 v[160:161], v[160:161], v[156:157], v[158:159]
	s_delay_alu instid0(VALU_DEP_1) | instskip(NEXT) | instid1(VALU_DEP_1)
	v_fma_f64 v[156:157], v[158:159], v[160:161], v[156:157]
	v_div_scale_f64 v[158:159], null, v[156:157], v[156:157], 1.0
	s_delay_alu instid0(VALU_DEP_1) | instskip(SKIP_2) | instid1(VALU_DEP_1)
	v_rcp_f64_e32 v[162:163], v[158:159]
	s_waitcnt_depctr 0xfff
	v_fma_f64 v[164:165], -v[158:159], v[162:163], 1.0
	v_fma_f64 v[162:163], v[162:163], v[164:165], v[162:163]
	s_delay_alu instid0(VALU_DEP_1) | instskip(NEXT) | instid1(VALU_DEP_1)
	v_fma_f64 v[164:165], -v[158:159], v[162:163], 1.0
	v_fma_f64 v[162:163], v[162:163], v[164:165], v[162:163]
	v_div_scale_f64 v[164:165], vcc_lo, 1.0, v[156:157], 1.0
	s_delay_alu instid0(VALU_DEP_1) | instskip(NEXT) | instid1(VALU_DEP_1)
	v_mul_f64 v[166:167], v[164:165], v[162:163]
	v_fma_f64 v[158:159], -v[158:159], v[166:167], v[164:165]
	s_delay_alu instid0(VALU_DEP_1) | instskip(NEXT) | instid1(VALU_DEP_1)
	v_div_fmas_f64 v[158:159], v[158:159], v[162:163], v[166:167]
	v_div_fixup_f64 v[164:165], v[158:159], v[156:157], 1.0
	s_delay_alu instid0(VALU_DEP_1)
	v_mul_f64 v[162:163], v[160:161], -v[164:165]
.LBB77_187:
	s_or_b32 exec_lo, exec_lo, s3
	ds_store_2addr_b64 v215, v[164:165], v[162:163] offset1:1
.LBB77_188:
	s_or_b32 exec_lo, exec_lo, s4
	s_waitcnt lgkmcnt(0)
	s_barrier
	buffer_gl0_inv
	ds_load_2addr_b64 v[156:159], v215 offset1:1
	s_mov_b32 s3, exec_lo
	s_waitcnt lgkmcnt(0)
	scratch_store_b128 off, v[156:159], off offset:488 ; 16-byte Folded Spill
	v_cmpx_lt_u32_e32 20, v214
	s_cbranch_execz .LBB77_190
; %bb.189:
	scratch_load_b128 v[158:161], off, off offset:488 ; 16-byte Folded Reload
	s_waitcnt vmcnt(0)
	v_mul_f64 v[156:157], v[160:161], v[74:75]
	v_mul_f64 v[74:75], v[158:159], v[74:75]
	s_delay_alu instid0(VALU_DEP_2) | instskip(NEXT) | instid1(VALU_DEP_2)
	v_fma_f64 v[156:157], v[158:159], v[72:73], -v[156:157]
	v_fma_f64 v[74:75], v[160:161], v[72:73], v[74:75]
	ds_load_2addr_b64 v[158:161], v216 offset0:42 offset1:43
	s_waitcnt lgkmcnt(0)
	v_mul_f64 v[72:73], v[160:161], v[74:75]
	s_delay_alu instid0(VALU_DEP_1) | instskip(SKIP_1) | instid1(VALU_DEP_2)
	v_fma_f64 v[72:73], v[158:159], v[156:157], -v[72:73]
	v_mul_f64 v[158:159], v[158:159], v[74:75]
	v_add_f64 v[68:69], v[68:69], -v[72:73]
	s_delay_alu instid0(VALU_DEP_2) | instskip(NEXT) | instid1(VALU_DEP_1)
	v_fma_f64 v[158:159], v[160:161], v[156:157], v[158:159]
	v_add_f64 v[70:71], v[70:71], -v[158:159]
	ds_load_2addr_b64 v[158:161], v216 offset0:44 offset1:45
	s_waitcnt lgkmcnt(0)
	v_mul_f64 v[72:73], v[160:161], v[74:75]
	s_delay_alu instid0(VALU_DEP_1) | instskip(SKIP_1) | instid1(VALU_DEP_2)
	v_fma_f64 v[72:73], v[158:159], v[156:157], -v[72:73]
	v_mul_f64 v[158:159], v[158:159], v[74:75]
	v_add_f64 v[64:65], v[64:65], -v[72:73]
	s_delay_alu instid0(VALU_DEP_2) | instskip(NEXT) | instid1(VALU_DEP_1)
	v_fma_f64 v[158:159], v[160:161], v[156:157], v[158:159]
	v_add_f64 v[66:67], v[66:67], -v[158:159]
	;; [unrolled: 10-line block ×17, first 2 shown]
	ds_load_2addr_b64 v[158:161], v216 offset0:76 offset1:77
	s_waitcnt lgkmcnt(0)
	v_mul_f64 v[72:73], v[160:161], v[74:75]
	s_delay_alu instid0(VALU_DEP_1) | instskip(SKIP_1) | instid1(VALU_DEP_2)
	v_fma_f64 v[72:73], v[158:159], v[156:157], -v[72:73]
	v_mul_f64 v[158:159], v[158:159], v[74:75]
	v_add_f64 v[0:1], v[0:1], -v[72:73]
	s_delay_alu instid0(VALU_DEP_2) | instskip(SKIP_1) | instid1(VALU_DEP_2)
	v_fma_f64 v[158:159], v[160:161], v[156:157], v[158:159]
	v_dual_mov_b32 v72, v156 :: v_dual_mov_b32 v73, v157
	v_add_f64 v[2:3], v[2:3], -v[158:159]
.LBB77_190:
	s_or_b32 exec_lo, exec_lo, s3
	s_delay_alu instid0(SALU_CYCLE_1)
	s_mov_b32 s4, exec_lo
	s_waitcnt_vscnt null, 0x0
	s_barrier
	buffer_gl0_inv
	v_cmpx_eq_u32_e32 21, v214
	s_cbranch_execz .LBB77_197
; %bb.191:
	ds_store_2addr_b64 v215, v[68:69], v[70:71] offset1:1
	ds_store_2addr_b64 v216, v[64:65], v[66:67] offset0:44 offset1:45
	ds_store_2addr_b64 v216, v[60:61], v[62:63] offset0:46 offset1:47
	;; [unrolled: 1-line block ×17, first 2 shown]
	ds_load_2addr_b64 v[156:159], v215 offset1:1
	s_waitcnt lgkmcnt(0)
	v_cmp_neq_f64_e32 vcc_lo, 0, v[156:157]
	v_cmp_neq_f64_e64 s3, 0, v[158:159]
	s_delay_alu instid0(VALU_DEP_1) | instskip(NEXT) | instid1(SALU_CYCLE_1)
	s_or_b32 s3, vcc_lo, s3
	s_and_b32 exec_lo, exec_lo, s3
	s_cbranch_execz .LBB77_197
; %bb.192:
	v_cmp_gt_f64_e32 vcc_lo, 0, v[156:157]
	v_xor_b32_e32 v160, 0x80000000, v157
	v_xor_b32_e32 v162, 0x80000000, v159
	s_mov_b32 s3, exec_lo
                                        ; implicit-def: $vgpr164_vgpr165
	s_delay_alu instid0(VALU_DEP_2) | instskip(SKIP_4) | instid1(VALU_DEP_1)
	v_cndmask_b32_e32 v161, v157, v160, vcc_lo
	v_cndmask_b32_e32 v160, v156, v156, vcc_lo
	v_cmp_gt_f64_e32 vcc_lo, 0, v[158:159]
	v_cndmask_b32_e32 v163, v159, v162, vcc_lo
	v_cndmask_b32_e32 v162, v158, v158, vcc_lo
	v_cmpx_ngt_f64_e32 v[160:161], v[162:163]
	s_xor_b32 s3, exec_lo, s3
                                        ; implicit-def: $vgpr160_vgpr161_vgpr162_vgpr163
	s_cbranch_execz .LBB77_194
; %bb.193:
	v_div_scale_f64 v[160:161], null, v[158:159], v[158:159], v[156:157]
	v_div_scale_f64 v[166:167], vcc_lo, v[156:157], v[158:159], v[156:157]
	s_delay_alu instid0(VALU_DEP_2) | instskip(SKIP_2) | instid1(VALU_DEP_1)
	v_rcp_f64_e32 v[162:163], v[160:161]
	s_waitcnt_depctr 0xfff
	v_fma_f64 v[164:165], -v[160:161], v[162:163], 1.0
	v_fma_f64 v[162:163], v[162:163], v[164:165], v[162:163]
	s_delay_alu instid0(VALU_DEP_1) | instskip(NEXT) | instid1(VALU_DEP_1)
	v_fma_f64 v[164:165], -v[160:161], v[162:163], 1.0
	v_fma_f64 v[162:163], v[162:163], v[164:165], v[162:163]
	s_delay_alu instid0(VALU_DEP_1) | instskip(NEXT) | instid1(VALU_DEP_1)
	v_mul_f64 v[164:165], v[166:167], v[162:163]
	v_fma_f64 v[160:161], -v[160:161], v[164:165], v[166:167]
	s_delay_alu instid0(VALU_DEP_1) | instskip(NEXT) | instid1(VALU_DEP_1)
	v_div_fmas_f64 v[160:161], v[160:161], v[162:163], v[164:165]
	v_div_fixup_f64 v[160:161], v[160:161], v[158:159], v[156:157]
	s_delay_alu instid0(VALU_DEP_1) | instskip(NEXT) | instid1(VALU_DEP_1)
	v_fma_f64 v[156:157], v[156:157], v[160:161], v[158:159]
	v_div_scale_f64 v[158:159], null, v[156:157], v[156:157], 1.0
	s_delay_alu instid0(VALU_DEP_1) | instskip(SKIP_2) | instid1(VALU_DEP_1)
	v_rcp_f64_e32 v[162:163], v[158:159]
	s_waitcnt_depctr 0xfff
	v_fma_f64 v[164:165], -v[158:159], v[162:163], 1.0
	v_fma_f64 v[162:163], v[162:163], v[164:165], v[162:163]
	s_delay_alu instid0(VALU_DEP_1) | instskip(NEXT) | instid1(VALU_DEP_1)
	v_fma_f64 v[164:165], -v[158:159], v[162:163], 1.0
	v_fma_f64 v[162:163], v[162:163], v[164:165], v[162:163]
	v_div_scale_f64 v[164:165], vcc_lo, 1.0, v[156:157], 1.0
	s_delay_alu instid0(VALU_DEP_1) | instskip(NEXT) | instid1(VALU_DEP_1)
	v_mul_f64 v[166:167], v[164:165], v[162:163]
	v_fma_f64 v[158:159], -v[158:159], v[166:167], v[164:165]
	s_delay_alu instid0(VALU_DEP_1) | instskip(NEXT) | instid1(VALU_DEP_1)
	v_div_fmas_f64 v[158:159], v[158:159], v[162:163], v[166:167]
	v_div_fixup_f64 v[162:163], v[158:159], v[156:157], 1.0
                                        ; implicit-def: $vgpr156_vgpr157
	s_delay_alu instid0(VALU_DEP_1)
	v_mul_f64 v[164:165], v[160:161], v[162:163]
	v_xor_b32_e32 v163, 0x80000000, v163
.LBB77_194:
	s_and_not1_saveexec_b32 s3, s3
	s_cbranch_execz .LBB77_196
; %bb.195:
	v_div_scale_f64 v[160:161], null, v[156:157], v[156:157], v[158:159]
	v_div_scale_f64 v[166:167], vcc_lo, v[158:159], v[156:157], v[158:159]
	s_delay_alu instid0(VALU_DEP_2) | instskip(SKIP_2) | instid1(VALU_DEP_1)
	v_rcp_f64_e32 v[162:163], v[160:161]
	s_waitcnt_depctr 0xfff
	v_fma_f64 v[164:165], -v[160:161], v[162:163], 1.0
	v_fma_f64 v[162:163], v[162:163], v[164:165], v[162:163]
	s_delay_alu instid0(VALU_DEP_1) | instskip(NEXT) | instid1(VALU_DEP_1)
	v_fma_f64 v[164:165], -v[160:161], v[162:163], 1.0
	v_fma_f64 v[162:163], v[162:163], v[164:165], v[162:163]
	s_delay_alu instid0(VALU_DEP_1) | instskip(NEXT) | instid1(VALU_DEP_1)
	v_mul_f64 v[164:165], v[166:167], v[162:163]
	v_fma_f64 v[160:161], -v[160:161], v[164:165], v[166:167]
	s_delay_alu instid0(VALU_DEP_1) | instskip(NEXT) | instid1(VALU_DEP_1)
	v_div_fmas_f64 v[160:161], v[160:161], v[162:163], v[164:165]
	v_div_fixup_f64 v[160:161], v[160:161], v[156:157], v[158:159]
	s_delay_alu instid0(VALU_DEP_1) | instskip(NEXT) | instid1(VALU_DEP_1)
	v_fma_f64 v[156:157], v[158:159], v[160:161], v[156:157]
	v_div_scale_f64 v[158:159], null, v[156:157], v[156:157], 1.0
	s_delay_alu instid0(VALU_DEP_1) | instskip(SKIP_2) | instid1(VALU_DEP_1)
	v_rcp_f64_e32 v[162:163], v[158:159]
	s_waitcnt_depctr 0xfff
	v_fma_f64 v[164:165], -v[158:159], v[162:163], 1.0
	v_fma_f64 v[162:163], v[162:163], v[164:165], v[162:163]
	s_delay_alu instid0(VALU_DEP_1) | instskip(NEXT) | instid1(VALU_DEP_1)
	v_fma_f64 v[164:165], -v[158:159], v[162:163], 1.0
	v_fma_f64 v[162:163], v[162:163], v[164:165], v[162:163]
	v_div_scale_f64 v[164:165], vcc_lo, 1.0, v[156:157], 1.0
	s_delay_alu instid0(VALU_DEP_1) | instskip(NEXT) | instid1(VALU_DEP_1)
	v_mul_f64 v[166:167], v[164:165], v[162:163]
	v_fma_f64 v[158:159], -v[158:159], v[166:167], v[164:165]
	s_delay_alu instid0(VALU_DEP_1) | instskip(NEXT) | instid1(VALU_DEP_1)
	v_div_fmas_f64 v[158:159], v[158:159], v[162:163], v[166:167]
	v_div_fixup_f64 v[164:165], v[158:159], v[156:157], 1.0
	s_delay_alu instid0(VALU_DEP_1)
	v_mul_f64 v[162:163], v[160:161], -v[164:165]
.LBB77_196:
	s_or_b32 exec_lo, exec_lo, s3
	ds_store_2addr_b64 v215, v[164:165], v[162:163] offset1:1
.LBB77_197:
	s_or_b32 exec_lo, exec_lo, s4
	s_waitcnt lgkmcnt(0)
	s_barrier
	buffer_gl0_inv
	ds_load_2addr_b64 v[156:159], v215 offset1:1
	s_mov_b32 s3, exec_lo
	s_waitcnt lgkmcnt(0)
	scratch_store_b128 off, v[156:159], off offset:504 ; 16-byte Folded Spill
	v_cmpx_lt_u32_e32 21, v214
	s_cbranch_execz .LBB77_199
; %bb.198:
	scratch_load_b128 v[158:161], off, off offset:504 ; 16-byte Folded Reload
	s_waitcnt vmcnt(0)
	v_mul_f64 v[156:157], v[160:161], v[70:71]
	v_mul_f64 v[70:71], v[158:159], v[70:71]
	s_delay_alu instid0(VALU_DEP_2) | instskip(NEXT) | instid1(VALU_DEP_2)
	v_fma_f64 v[156:157], v[158:159], v[68:69], -v[156:157]
	v_fma_f64 v[70:71], v[160:161], v[68:69], v[70:71]
	ds_load_2addr_b64 v[158:161], v216 offset0:44 offset1:45
	s_waitcnt lgkmcnt(0)
	v_mul_f64 v[68:69], v[160:161], v[70:71]
	s_delay_alu instid0(VALU_DEP_1) | instskip(SKIP_1) | instid1(VALU_DEP_2)
	v_fma_f64 v[68:69], v[158:159], v[156:157], -v[68:69]
	v_mul_f64 v[158:159], v[158:159], v[70:71]
	v_add_f64 v[64:65], v[64:65], -v[68:69]
	s_delay_alu instid0(VALU_DEP_2) | instskip(NEXT) | instid1(VALU_DEP_1)
	v_fma_f64 v[158:159], v[160:161], v[156:157], v[158:159]
	v_add_f64 v[66:67], v[66:67], -v[158:159]
	ds_load_2addr_b64 v[158:161], v216 offset0:46 offset1:47
	s_waitcnt lgkmcnt(0)
	v_mul_f64 v[68:69], v[160:161], v[70:71]
	s_delay_alu instid0(VALU_DEP_1) | instskip(SKIP_1) | instid1(VALU_DEP_2)
	v_fma_f64 v[68:69], v[158:159], v[156:157], -v[68:69]
	v_mul_f64 v[158:159], v[158:159], v[70:71]
	v_add_f64 v[60:61], v[60:61], -v[68:69]
	s_delay_alu instid0(VALU_DEP_2) | instskip(NEXT) | instid1(VALU_DEP_1)
	v_fma_f64 v[158:159], v[160:161], v[156:157], v[158:159]
	v_add_f64 v[62:63], v[62:63], -v[158:159]
	;; [unrolled: 10-line block ×16, first 2 shown]
	ds_load_2addr_b64 v[158:161], v216 offset0:76 offset1:77
	s_waitcnt lgkmcnt(0)
	v_mul_f64 v[68:69], v[160:161], v[70:71]
	s_delay_alu instid0(VALU_DEP_1) | instskip(SKIP_1) | instid1(VALU_DEP_2)
	v_fma_f64 v[68:69], v[158:159], v[156:157], -v[68:69]
	v_mul_f64 v[158:159], v[158:159], v[70:71]
	v_add_f64 v[0:1], v[0:1], -v[68:69]
	s_delay_alu instid0(VALU_DEP_2) | instskip(SKIP_1) | instid1(VALU_DEP_2)
	v_fma_f64 v[158:159], v[160:161], v[156:157], v[158:159]
	v_dual_mov_b32 v68, v156 :: v_dual_mov_b32 v69, v157
	v_add_f64 v[2:3], v[2:3], -v[158:159]
.LBB77_199:
	s_or_b32 exec_lo, exec_lo, s3
	s_delay_alu instid0(SALU_CYCLE_1)
	s_mov_b32 s4, exec_lo
	s_waitcnt_vscnt null, 0x0
	s_barrier
	buffer_gl0_inv
	v_cmpx_eq_u32_e32 22, v214
	s_cbranch_execz .LBB77_206
; %bb.200:
	ds_store_2addr_b64 v215, v[64:65], v[66:67] offset1:1
	ds_store_2addr_b64 v216, v[60:61], v[62:63] offset0:46 offset1:47
	ds_store_2addr_b64 v216, v[56:57], v[58:59] offset0:48 offset1:49
	ds_store_2addr_b64 v216, v[52:53], v[54:55] offset0:50 offset1:51
	ds_store_2addr_b64 v216, v[48:49], v[50:51] offset0:52 offset1:53
	ds_store_2addr_b64 v216, v[44:45], v[46:47] offset0:54 offset1:55
	ds_store_2addr_b64 v216, v[40:41], v[42:43] offset0:56 offset1:57
	ds_store_2addr_b64 v216, v[36:37], v[38:39] offset0:58 offset1:59
	ds_store_2addr_b64 v216, v[32:33], v[34:35] offset0:60 offset1:61
	ds_store_2addr_b64 v216, v[28:29], v[30:31] offset0:62 offset1:63
	ds_store_2addr_b64 v216, v[24:25], v[26:27] offset0:64 offset1:65
	ds_store_2addr_b64 v216, v[20:21], v[22:23] offset0:66 offset1:67
	ds_store_2addr_b64 v216, v[16:17], v[18:19] offset0:68 offset1:69
	ds_store_2addr_b64 v216, v[12:13], v[14:15] offset0:70 offset1:71
	ds_store_2addr_b64 v216, v[8:9], v[10:11] offset0:72 offset1:73
	ds_store_2addr_b64 v216, v[4:5], v[6:7] offset0:74 offset1:75
	ds_store_2addr_b64 v216, v[0:1], v[2:3] offset0:76 offset1:77
	ds_load_2addr_b64 v[156:159], v215 offset1:1
	s_waitcnt lgkmcnt(0)
	v_cmp_neq_f64_e32 vcc_lo, 0, v[156:157]
	v_cmp_neq_f64_e64 s3, 0, v[158:159]
	s_delay_alu instid0(VALU_DEP_1) | instskip(NEXT) | instid1(SALU_CYCLE_1)
	s_or_b32 s3, vcc_lo, s3
	s_and_b32 exec_lo, exec_lo, s3
	s_cbranch_execz .LBB77_206
; %bb.201:
	v_cmp_gt_f64_e32 vcc_lo, 0, v[156:157]
	v_xor_b32_e32 v160, 0x80000000, v157
	v_xor_b32_e32 v162, 0x80000000, v159
	s_mov_b32 s3, exec_lo
                                        ; implicit-def: $vgpr164_vgpr165
	s_delay_alu instid0(VALU_DEP_2) | instskip(SKIP_4) | instid1(VALU_DEP_1)
	v_cndmask_b32_e32 v161, v157, v160, vcc_lo
	v_cndmask_b32_e32 v160, v156, v156, vcc_lo
	v_cmp_gt_f64_e32 vcc_lo, 0, v[158:159]
	v_cndmask_b32_e32 v163, v159, v162, vcc_lo
	v_cndmask_b32_e32 v162, v158, v158, vcc_lo
	v_cmpx_ngt_f64_e32 v[160:161], v[162:163]
	s_xor_b32 s3, exec_lo, s3
                                        ; implicit-def: $vgpr160_vgpr161_vgpr162_vgpr163
	s_cbranch_execz .LBB77_203
; %bb.202:
	v_div_scale_f64 v[160:161], null, v[158:159], v[158:159], v[156:157]
	v_div_scale_f64 v[166:167], vcc_lo, v[156:157], v[158:159], v[156:157]
	s_delay_alu instid0(VALU_DEP_2) | instskip(SKIP_2) | instid1(VALU_DEP_1)
	v_rcp_f64_e32 v[162:163], v[160:161]
	s_waitcnt_depctr 0xfff
	v_fma_f64 v[164:165], -v[160:161], v[162:163], 1.0
	v_fma_f64 v[162:163], v[162:163], v[164:165], v[162:163]
	s_delay_alu instid0(VALU_DEP_1) | instskip(NEXT) | instid1(VALU_DEP_1)
	v_fma_f64 v[164:165], -v[160:161], v[162:163], 1.0
	v_fma_f64 v[162:163], v[162:163], v[164:165], v[162:163]
	s_delay_alu instid0(VALU_DEP_1) | instskip(NEXT) | instid1(VALU_DEP_1)
	v_mul_f64 v[164:165], v[166:167], v[162:163]
	v_fma_f64 v[160:161], -v[160:161], v[164:165], v[166:167]
	s_delay_alu instid0(VALU_DEP_1) | instskip(NEXT) | instid1(VALU_DEP_1)
	v_div_fmas_f64 v[160:161], v[160:161], v[162:163], v[164:165]
	v_div_fixup_f64 v[160:161], v[160:161], v[158:159], v[156:157]
	s_delay_alu instid0(VALU_DEP_1) | instskip(NEXT) | instid1(VALU_DEP_1)
	v_fma_f64 v[156:157], v[156:157], v[160:161], v[158:159]
	v_div_scale_f64 v[158:159], null, v[156:157], v[156:157], 1.0
	s_delay_alu instid0(VALU_DEP_1) | instskip(SKIP_2) | instid1(VALU_DEP_1)
	v_rcp_f64_e32 v[162:163], v[158:159]
	s_waitcnt_depctr 0xfff
	v_fma_f64 v[164:165], -v[158:159], v[162:163], 1.0
	v_fma_f64 v[162:163], v[162:163], v[164:165], v[162:163]
	s_delay_alu instid0(VALU_DEP_1) | instskip(NEXT) | instid1(VALU_DEP_1)
	v_fma_f64 v[164:165], -v[158:159], v[162:163], 1.0
	v_fma_f64 v[162:163], v[162:163], v[164:165], v[162:163]
	v_div_scale_f64 v[164:165], vcc_lo, 1.0, v[156:157], 1.0
	s_delay_alu instid0(VALU_DEP_1) | instskip(NEXT) | instid1(VALU_DEP_1)
	v_mul_f64 v[166:167], v[164:165], v[162:163]
	v_fma_f64 v[158:159], -v[158:159], v[166:167], v[164:165]
	s_delay_alu instid0(VALU_DEP_1) | instskip(NEXT) | instid1(VALU_DEP_1)
	v_div_fmas_f64 v[158:159], v[158:159], v[162:163], v[166:167]
	v_div_fixup_f64 v[162:163], v[158:159], v[156:157], 1.0
                                        ; implicit-def: $vgpr156_vgpr157
	s_delay_alu instid0(VALU_DEP_1)
	v_mul_f64 v[164:165], v[160:161], v[162:163]
	v_xor_b32_e32 v163, 0x80000000, v163
.LBB77_203:
	s_and_not1_saveexec_b32 s3, s3
	s_cbranch_execz .LBB77_205
; %bb.204:
	v_div_scale_f64 v[160:161], null, v[156:157], v[156:157], v[158:159]
	v_div_scale_f64 v[166:167], vcc_lo, v[158:159], v[156:157], v[158:159]
	s_delay_alu instid0(VALU_DEP_2) | instskip(SKIP_2) | instid1(VALU_DEP_1)
	v_rcp_f64_e32 v[162:163], v[160:161]
	s_waitcnt_depctr 0xfff
	v_fma_f64 v[164:165], -v[160:161], v[162:163], 1.0
	v_fma_f64 v[162:163], v[162:163], v[164:165], v[162:163]
	s_delay_alu instid0(VALU_DEP_1) | instskip(NEXT) | instid1(VALU_DEP_1)
	v_fma_f64 v[164:165], -v[160:161], v[162:163], 1.0
	v_fma_f64 v[162:163], v[162:163], v[164:165], v[162:163]
	s_delay_alu instid0(VALU_DEP_1) | instskip(NEXT) | instid1(VALU_DEP_1)
	v_mul_f64 v[164:165], v[166:167], v[162:163]
	v_fma_f64 v[160:161], -v[160:161], v[164:165], v[166:167]
	s_delay_alu instid0(VALU_DEP_1) | instskip(NEXT) | instid1(VALU_DEP_1)
	v_div_fmas_f64 v[160:161], v[160:161], v[162:163], v[164:165]
	v_div_fixup_f64 v[160:161], v[160:161], v[156:157], v[158:159]
	s_delay_alu instid0(VALU_DEP_1) | instskip(NEXT) | instid1(VALU_DEP_1)
	v_fma_f64 v[156:157], v[158:159], v[160:161], v[156:157]
	v_div_scale_f64 v[158:159], null, v[156:157], v[156:157], 1.0
	s_delay_alu instid0(VALU_DEP_1) | instskip(SKIP_2) | instid1(VALU_DEP_1)
	v_rcp_f64_e32 v[162:163], v[158:159]
	s_waitcnt_depctr 0xfff
	v_fma_f64 v[164:165], -v[158:159], v[162:163], 1.0
	v_fma_f64 v[162:163], v[162:163], v[164:165], v[162:163]
	s_delay_alu instid0(VALU_DEP_1) | instskip(NEXT) | instid1(VALU_DEP_1)
	v_fma_f64 v[164:165], -v[158:159], v[162:163], 1.0
	v_fma_f64 v[162:163], v[162:163], v[164:165], v[162:163]
	v_div_scale_f64 v[164:165], vcc_lo, 1.0, v[156:157], 1.0
	s_delay_alu instid0(VALU_DEP_1) | instskip(NEXT) | instid1(VALU_DEP_1)
	v_mul_f64 v[166:167], v[164:165], v[162:163]
	v_fma_f64 v[158:159], -v[158:159], v[166:167], v[164:165]
	s_delay_alu instid0(VALU_DEP_1) | instskip(NEXT) | instid1(VALU_DEP_1)
	v_div_fmas_f64 v[158:159], v[158:159], v[162:163], v[166:167]
	v_div_fixup_f64 v[164:165], v[158:159], v[156:157], 1.0
	s_delay_alu instid0(VALU_DEP_1)
	v_mul_f64 v[162:163], v[160:161], -v[164:165]
.LBB77_205:
	s_or_b32 exec_lo, exec_lo, s3
	ds_store_2addr_b64 v215, v[164:165], v[162:163] offset1:1
.LBB77_206:
	s_or_b32 exec_lo, exec_lo, s4
	s_waitcnt lgkmcnt(0)
	s_barrier
	buffer_gl0_inv
	ds_load_2addr_b64 v[156:159], v215 offset1:1
	s_mov_b32 s3, exec_lo
	s_waitcnt lgkmcnt(0)
	scratch_store_b128 off, v[156:159], off offset:520 ; 16-byte Folded Spill
	v_cmpx_lt_u32_e32 22, v214
	s_cbranch_execz .LBB77_208
; %bb.207:
	scratch_load_b128 v[158:161], off, off offset:520 ; 16-byte Folded Reload
	s_waitcnt vmcnt(0)
	v_mul_f64 v[156:157], v[158:159], v[66:67]
	v_mul_f64 v[66:67], v[160:161], v[66:67]
	s_delay_alu instid0(VALU_DEP_2) | instskip(NEXT) | instid1(VALU_DEP_2)
	v_fma_f64 v[156:157], v[160:161], v[64:65], v[156:157]
	v_fma_f64 v[64:65], v[158:159], v[64:65], -v[66:67]
	ds_load_2addr_b64 v[158:161], v216 offset0:46 offset1:47
	s_waitcnt lgkmcnt(0)
	v_mul_f64 v[66:67], v[160:161], v[156:157]
	s_delay_alu instid0(VALU_DEP_1) | instskip(SKIP_1) | instid1(VALU_DEP_2)
	v_fma_f64 v[66:67], v[158:159], v[64:65], -v[66:67]
	v_mul_f64 v[158:159], v[158:159], v[156:157]
	v_add_f64 v[60:61], v[60:61], -v[66:67]
	s_delay_alu instid0(VALU_DEP_2) | instskip(NEXT) | instid1(VALU_DEP_1)
	v_fma_f64 v[158:159], v[160:161], v[64:65], v[158:159]
	v_add_f64 v[62:63], v[62:63], -v[158:159]
	ds_load_2addr_b64 v[158:161], v216 offset0:48 offset1:49
	s_waitcnt lgkmcnt(0)
	v_mul_f64 v[66:67], v[160:161], v[156:157]
	s_delay_alu instid0(VALU_DEP_1) | instskip(SKIP_1) | instid1(VALU_DEP_2)
	v_fma_f64 v[66:67], v[158:159], v[64:65], -v[66:67]
	v_mul_f64 v[158:159], v[158:159], v[156:157]
	v_add_f64 v[56:57], v[56:57], -v[66:67]
	s_delay_alu instid0(VALU_DEP_2) | instskip(NEXT) | instid1(VALU_DEP_1)
	v_fma_f64 v[158:159], v[160:161], v[64:65], v[158:159]
	v_add_f64 v[58:59], v[58:59], -v[158:159]
	;; [unrolled: 10-line block ×15, first 2 shown]
	ds_load_2addr_b64 v[158:161], v216 offset0:76 offset1:77
	s_waitcnt lgkmcnt(0)
	v_mul_f64 v[66:67], v[160:161], v[156:157]
	s_delay_alu instid0(VALU_DEP_1) | instskip(SKIP_1) | instid1(VALU_DEP_2)
	v_fma_f64 v[66:67], v[158:159], v[64:65], -v[66:67]
	v_mul_f64 v[158:159], v[158:159], v[156:157]
	v_add_f64 v[0:1], v[0:1], -v[66:67]
	s_delay_alu instid0(VALU_DEP_2) | instskip(SKIP_1) | instid1(VALU_DEP_2)
	v_fma_f64 v[158:159], v[160:161], v[64:65], v[158:159]
	v_dual_mov_b32 v66, v156 :: v_dual_mov_b32 v67, v157
	v_add_f64 v[2:3], v[2:3], -v[158:159]
.LBB77_208:
	s_or_b32 exec_lo, exec_lo, s3
	s_delay_alu instid0(SALU_CYCLE_1)
	s_mov_b32 s4, exec_lo
	s_waitcnt_vscnt null, 0x0
	s_barrier
	buffer_gl0_inv
	v_cmpx_eq_u32_e32 23, v214
	s_cbranch_execz .LBB77_215
; %bb.209:
	ds_store_2addr_b64 v215, v[60:61], v[62:63] offset1:1
	ds_store_2addr_b64 v216, v[56:57], v[58:59] offset0:48 offset1:49
	ds_store_2addr_b64 v216, v[52:53], v[54:55] offset0:50 offset1:51
	;; [unrolled: 1-line block ×15, first 2 shown]
	ds_load_2addr_b64 v[156:159], v215 offset1:1
	s_waitcnt lgkmcnt(0)
	v_cmp_neq_f64_e32 vcc_lo, 0, v[156:157]
	v_cmp_neq_f64_e64 s3, 0, v[158:159]
	s_delay_alu instid0(VALU_DEP_1) | instskip(NEXT) | instid1(SALU_CYCLE_1)
	s_or_b32 s3, vcc_lo, s3
	s_and_b32 exec_lo, exec_lo, s3
	s_cbranch_execz .LBB77_215
; %bb.210:
	v_cmp_gt_f64_e32 vcc_lo, 0, v[156:157]
	v_xor_b32_e32 v160, 0x80000000, v157
	v_xor_b32_e32 v162, 0x80000000, v159
	s_mov_b32 s3, exec_lo
                                        ; implicit-def: $vgpr164_vgpr165
	s_delay_alu instid0(VALU_DEP_2) | instskip(SKIP_4) | instid1(VALU_DEP_1)
	v_cndmask_b32_e32 v161, v157, v160, vcc_lo
	v_cndmask_b32_e32 v160, v156, v156, vcc_lo
	v_cmp_gt_f64_e32 vcc_lo, 0, v[158:159]
	v_cndmask_b32_e32 v163, v159, v162, vcc_lo
	v_cndmask_b32_e32 v162, v158, v158, vcc_lo
	v_cmpx_ngt_f64_e32 v[160:161], v[162:163]
	s_xor_b32 s3, exec_lo, s3
                                        ; implicit-def: $vgpr160_vgpr161_vgpr162_vgpr163
	s_cbranch_execz .LBB77_212
; %bb.211:
	v_div_scale_f64 v[160:161], null, v[158:159], v[158:159], v[156:157]
	v_div_scale_f64 v[166:167], vcc_lo, v[156:157], v[158:159], v[156:157]
	s_delay_alu instid0(VALU_DEP_2) | instskip(SKIP_2) | instid1(VALU_DEP_1)
	v_rcp_f64_e32 v[162:163], v[160:161]
	s_waitcnt_depctr 0xfff
	v_fma_f64 v[164:165], -v[160:161], v[162:163], 1.0
	v_fma_f64 v[162:163], v[162:163], v[164:165], v[162:163]
	s_delay_alu instid0(VALU_DEP_1) | instskip(NEXT) | instid1(VALU_DEP_1)
	v_fma_f64 v[164:165], -v[160:161], v[162:163], 1.0
	v_fma_f64 v[162:163], v[162:163], v[164:165], v[162:163]
	s_delay_alu instid0(VALU_DEP_1) | instskip(NEXT) | instid1(VALU_DEP_1)
	v_mul_f64 v[164:165], v[166:167], v[162:163]
	v_fma_f64 v[160:161], -v[160:161], v[164:165], v[166:167]
	s_delay_alu instid0(VALU_DEP_1) | instskip(NEXT) | instid1(VALU_DEP_1)
	v_div_fmas_f64 v[160:161], v[160:161], v[162:163], v[164:165]
	v_div_fixup_f64 v[160:161], v[160:161], v[158:159], v[156:157]
	s_delay_alu instid0(VALU_DEP_1) | instskip(NEXT) | instid1(VALU_DEP_1)
	v_fma_f64 v[156:157], v[156:157], v[160:161], v[158:159]
	v_div_scale_f64 v[158:159], null, v[156:157], v[156:157], 1.0
	s_delay_alu instid0(VALU_DEP_1) | instskip(SKIP_2) | instid1(VALU_DEP_1)
	v_rcp_f64_e32 v[162:163], v[158:159]
	s_waitcnt_depctr 0xfff
	v_fma_f64 v[164:165], -v[158:159], v[162:163], 1.0
	v_fma_f64 v[162:163], v[162:163], v[164:165], v[162:163]
	s_delay_alu instid0(VALU_DEP_1) | instskip(NEXT) | instid1(VALU_DEP_1)
	v_fma_f64 v[164:165], -v[158:159], v[162:163], 1.0
	v_fma_f64 v[162:163], v[162:163], v[164:165], v[162:163]
	v_div_scale_f64 v[164:165], vcc_lo, 1.0, v[156:157], 1.0
	s_delay_alu instid0(VALU_DEP_1) | instskip(NEXT) | instid1(VALU_DEP_1)
	v_mul_f64 v[166:167], v[164:165], v[162:163]
	v_fma_f64 v[158:159], -v[158:159], v[166:167], v[164:165]
	s_delay_alu instid0(VALU_DEP_1) | instskip(NEXT) | instid1(VALU_DEP_1)
	v_div_fmas_f64 v[158:159], v[158:159], v[162:163], v[166:167]
	v_div_fixup_f64 v[162:163], v[158:159], v[156:157], 1.0
                                        ; implicit-def: $vgpr156_vgpr157
	s_delay_alu instid0(VALU_DEP_1)
	v_mul_f64 v[164:165], v[160:161], v[162:163]
	v_xor_b32_e32 v163, 0x80000000, v163
.LBB77_212:
	s_and_not1_saveexec_b32 s3, s3
	s_cbranch_execz .LBB77_214
; %bb.213:
	v_div_scale_f64 v[160:161], null, v[156:157], v[156:157], v[158:159]
	v_div_scale_f64 v[166:167], vcc_lo, v[158:159], v[156:157], v[158:159]
	s_delay_alu instid0(VALU_DEP_2) | instskip(SKIP_2) | instid1(VALU_DEP_1)
	v_rcp_f64_e32 v[162:163], v[160:161]
	s_waitcnt_depctr 0xfff
	v_fma_f64 v[164:165], -v[160:161], v[162:163], 1.0
	v_fma_f64 v[162:163], v[162:163], v[164:165], v[162:163]
	s_delay_alu instid0(VALU_DEP_1) | instskip(NEXT) | instid1(VALU_DEP_1)
	v_fma_f64 v[164:165], -v[160:161], v[162:163], 1.0
	v_fma_f64 v[162:163], v[162:163], v[164:165], v[162:163]
	s_delay_alu instid0(VALU_DEP_1) | instskip(NEXT) | instid1(VALU_DEP_1)
	v_mul_f64 v[164:165], v[166:167], v[162:163]
	v_fma_f64 v[160:161], -v[160:161], v[164:165], v[166:167]
	s_delay_alu instid0(VALU_DEP_1) | instskip(NEXT) | instid1(VALU_DEP_1)
	v_div_fmas_f64 v[160:161], v[160:161], v[162:163], v[164:165]
	v_div_fixup_f64 v[160:161], v[160:161], v[156:157], v[158:159]
	s_delay_alu instid0(VALU_DEP_1) | instskip(NEXT) | instid1(VALU_DEP_1)
	v_fma_f64 v[156:157], v[158:159], v[160:161], v[156:157]
	v_div_scale_f64 v[158:159], null, v[156:157], v[156:157], 1.0
	s_delay_alu instid0(VALU_DEP_1) | instskip(SKIP_2) | instid1(VALU_DEP_1)
	v_rcp_f64_e32 v[162:163], v[158:159]
	s_waitcnt_depctr 0xfff
	v_fma_f64 v[164:165], -v[158:159], v[162:163], 1.0
	v_fma_f64 v[162:163], v[162:163], v[164:165], v[162:163]
	s_delay_alu instid0(VALU_DEP_1) | instskip(NEXT) | instid1(VALU_DEP_1)
	v_fma_f64 v[164:165], -v[158:159], v[162:163], 1.0
	v_fma_f64 v[162:163], v[162:163], v[164:165], v[162:163]
	v_div_scale_f64 v[164:165], vcc_lo, 1.0, v[156:157], 1.0
	s_delay_alu instid0(VALU_DEP_1) | instskip(NEXT) | instid1(VALU_DEP_1)
	v_mul_f64 v[166:167], v[164:165], v[162:163]
	v_fma_f64 v[158:159], -v[158:159], v[166:167], v[164:165]
	s_delay_alu instid0(VALU_DEP_1) | instskip(NEXT) | instid1(VALU_DEP_1)
	v_div_fmas_f64 v[158:159], v[158:159], v[162:163], v[166:167]
	v_div_fixup_f64 v[164:165], v[158:159], v[156:157], 1.0
	s_delay_alu instid0(VALU_DEP_1)
	v_mul_f64 v[162:163], v[160:161], -v[164:165]
.LBB77_214:
	s_or_b32 exec_lo, exec_lo, s3
	ds_store_2addr_b64 v215, v[164:165], v[162:163] offset1:1
.LBB77_215:
	s_or_b32 exec_lo, exec_lo, s4
	s_waitcnt lgkmcnt(0)
	s_barrier
	buffer_gl0_inv
	ds_load_2addr_b64 v[156:159], v215 offset1:1
	s_mov_b32 s3, exec_lo
	s_waitcnt lgkmcnt(0)
	scratch_store_b128 off, v[156:159], off offset:536 ; 16-byte Folded Spill
	v_cmpx_lt_u32_e32 23, v214
	s_cbranch_execz .LBB77_217
; %bb.216:
	scratch_load_b128 v[158:161], off, off offset:536 ; 16-byte Folded Reload
	s_waitcnt vmcnt(0)
	v_mul_f64 v[156:157], v[158:159], v[62:63]
	v_mul_f64 v[62:63], v[160:161], v[62:63]
	s_delay_alu instid0(VALU_DEP_2) | instskip(NEXT) | instid1(VALU_DEP_2)
	v_fma_f64 v[156:157], v[160:161], v[60:61], v[156:157]
	v_fma_f64 v[60:61], v[158:159], v[60:61], -v[62:63]
	ds_load_2addr_b64 v[158:161], v216 offset0:48 offset1:49
	s_waitcnt lgkmcnt(0)
	v_mul_f64 v[62:63], v[160:161], v[156:157]
	s_delay_alu instid0(VALU_DEP_1) | instskip(SKIP_1) | instid1(VALU_DEP_2)
	v_fma_f64 v[62:63], v[158:159], v[60:61], -v[62:63]
	v_mul_f64 v[158:159], v[158:159], v[156:157]
	v_add_f64 v[56:57], v[56:57], -v[62:63]
	s_delay_alu instid0(VALU_DEP_2) | instskip(NEXT) | instid1(VALU_DEP_1)
	v_fma_f64 v[158:159], v[160:161], v[60:61], v[158:159]
	v_add_f64 v[58:59], v[58:59], -v[158:159]
	ds_load_2addr_b64 v[158:161], v216 offset0:50 offset1:51
	s_waitcnt lgkmcnt(0)
	v_mul_f64 v[62:63], v[160:161], v[156:157]
	s_delay_alu instid0(VALU_DEP_1) | instskip(SKIP_1) | instid1(VALU_DEP_2)
	v_fma_f64 v[62:63], v[158:159], v[60:61], -v[62:63]
	v_mul_f64 v[158:159], v[158:159], v[156:157]
	v_add_f64 v[52:53], v[52:53], -v[62:63]
	s_delay_alu instid0(VALU_DEP_2) | instskip(NEXT) | instid1(VALU_DEP_1)
	v_fma_f64 v[158:159], v[160:161], v[60:61], v[158:159]
	v_add_f64 v[54:55], v[54:55], -v[158:159]
	;; [unrolled: 10-line block ×14, first 2 shown]
	ds_load_2addr_b64 v[158:161], v216 offset0:76 offset1:77
	s_waitcnt lgkmcnt(0)
	v_mul_f64 v[62:63], v[160:161], v[156:157]
	s_delay_alu instid0(VALU_DEP_1) | instskip(SKIP_1) | instid1(VALU_DEP_2)
	v_fma_f64 v[62:63], v[158:159], v[60:61], -v[62:63]
	v_mul_f64 v[158:159], v[158:159], v[156:157]
	v_add_f64 v[0:1], v[0:1], -v[62:63]
	s_delay_alu instid0(VALU_DEP_2) | instskip(SKIP_1) | instid1(VALU_DEP_2)
	v_fma_f64 v[158:159], v[160:161], v[60:61], v[158:159]
	v_dual_mov_b32 v62, v156 :: v_dual_mov_b32 v63, v157
	v_add_f64 v[2:3], v[2:3], -v[158:159]
.LBB77_217:
	s_or_b32 exec_lo, exec_lo, s3
	s_delay_alu instid0(SALU_CYCLE_1)
	s_mov_b32 s4, exec_lo
	s_waitcnt_vscnt null, 0x0
	s_barrier
	buffer_gl0_inv
	v_cmpx_eq_u32_e32 24, v214
	s_cbranch_execz .LBB77_224
; %bb.218:
	ds_store_2addr_b64 v215, v[56:57], v[58:59] offset1:1
	ds_store_2addr_b64 v216, v[52:53], v[54:55] offset0:50 offset1:51
	ds_store_2addr_b64 v216, v[48:49], v[50:51] offset0:52 offset1:53
	;; [unrolled: 1-line block ×14, first 2 shown]
	ds_load_2addr_b64 v[156:159], v215 offset1:1
	s_waitcnt lgkmcnt(0)
	v_cmp_neq_f64_e32 vcc_lo, 0, v[156:157]
	v_cmp_neq_f64_e64 s3, 0, v[158:159]
	s_delay_alu instid0(VALU_DEP_1) | instskip(NEXT) | instid1(SALU_CYCLE_1)
	s_or_b32 s3, vcc_lo, s3
	s_and_b32 exec_lo, exec_lo, s3
	s_cbranch_execz .LBB77_224
; %bb.219:
	v_cmp_gt_f64_e32 vcc_lo, 0, v[156:157]
	v_xor_b32_e32 v160, 0x80000000, v157
	v_xor_b32_e32 v162, 0x80000000, v159
	s_mov_b32 s3, exec_lo
                                        ; implicit-def: $vgpr164_vgpr165
	s_delay_alu instid0(VALU_DEP_2) | instskip(SKIP_4) | instid1(VALU_DEP_1)
	v_cndmask_b32_e32 v161, v157, v160, vcc_lo
	v_cndmask_b32_e32 v160, v156, v156, vcc_lo
	v_cmp_gt_f64_e32 vcc_lo, 0, v[158:159]
	v_cndmask_b32_e32 v163, v159, v162, vcc_lo
	v_cndmask_b32_e32 v162, v158, v158, vcc_lo
	v_cmpx_ngt_f64_e32 v[160:161], v[162:163]
	s_xor_b32 s3, exec_lo, s3
                                        ; implicit-def: $vgpr160_vgpr161_vgpr162_vgpr163
	s_cbranch_execz .LBB77_221
; %bb.220:
	v_div_scale_f64 v[160:161], null, v[158:159], v[158:159], v[156:157]
	v_div_scale_f64 v[166:167], vcc_lo, v[156:157], v[158:159], v[156:157]
	s_delay_alu instid0(VALU_DEP_2) | instskip(SKIP_2) | instid1(VALU_DEP_1)
	v_rcp_f64_e32 v[162:163], v[160:161]
	s_waitcnt_depctr 0xfff
	v_fma_f64 v[164:165], -v[160:161], v[162:163], 1.0
	v_fma_f64 v[162:163], v[162:163], v[164:165], v[162:163]
	s_delay_alu instid0(VALU_DEP_1) | instskip(NEXT) | instid1(VALU_DEP_1)
	v_fma_f64 v[164:165], -v[160:161], v[162:163], 1.0
	v_fma_f64 v[162:163], v[162:163], v[164:165], v[162:163]
	s_delay_alu instid0(VALU_DEP_1) | instskip(NEXT) | instid1(VALU_DEP_1)
	v_mul_f64 v[164:165], v[166:167], v[162:163]
	v_fma_f64 v[160:161], -v[160:161], v[164:165], v[166:167]
	s_delay_alu instid0(VALU_DEP_1) | instskip(NEXT) | instid1(VALU_DEP_1)
	v_div_fmas_f64 v[160:161], v[160:161], v[162:163], v[164:165]
	v_div_fixup_f64 v[160:161], v[160:161], v[158:159], v[156:157]
	s_delay_alu instid0(VALU_DEP_1) | instskip(NEXT) | instid1(VALU_DEP_1)
	v_fma_f64 v[156:157], v[156:157], v[160:161], v[158:159]
	v_div_scale_f64 v[158:159], null, v[156:157], v[156:157], 1.0
	s_delay_alu instid0(VALU_DEP_1) | instskip(SKIP_2) | instid1(VALU_DEP_1)
	v_rcp_f64_e32 v[162:163], v[158:159]
	s_waitcnt_depctr 0xfff
	v_fma_f64 v[164:165], -v[158:159], v[162:163], 1.0
	v_fma_f64 v[162:163], v[162:163], v[164:165], v[162:163]
	s_delay_alu instid0(VALU_DEP_1) | instskip(NEXT) | instid1(VALU_DEP_1)
	v_fma_f64 v[164:165], -v[158:159], v[162:163], 1.0
	v_fma_f64 v[162:163], v[162:163], v[164:165], v[162:163]
	v_div_scale_f64 v[164:165], vcc_lo, 1.0, v[156:157], 1.0
	s_delay_alu instid0(VALU_DEP_1) | instskip(NEXT) | instid1(VALU_DEP_1)
	v_mul_f64 v[166:167], v[164:165], v[162:163]
	v_fma_f64 v[158:159], -v[158:159], v[166:167], v[164:165]
	s_delay_alu instid0(VALU_DEP_1) | instskip(NEXT) | instid1(VALU_DEP_1)
	v_div_fmas_f64 v[158:159], v[158:159], v[162:163], v[166:167]
	v_div_fixup_f64 v[162:163], v[158:159], v[156:157], 1.0
                                        ; implicit-def: $vgpr156_vgpr157
	s_delay_alu instid0(VALU_DEP_1)
	v_mul_f64 v[164:165], v[160:161], v[162:163]
	v_xor_b32_e32 v163, 0x80000000, v163
.LBB77_221:
	s_and_not1_saveexec_b32 s3, s3
	s_cbranch_execz .LBB77_223
; %bb.222:
	v_div_scale_f64 v[160:161], null, v[156:157], v[156:157], v[158:159]
	v_div_scale_f64 v[166:167], vcc_lo, v[158:159], v[156:157], v[158:159]
	s_delay_alu instid0(VALU_DEP_2) | instskip(SKIP_2) | instid1(VALU_DEP_1)
	v_rcp_f64_e32 v[162:163], v[160:161]
	s_waitcnt_depctr 0xfff
	v_fma_f64 v[164:165], -v[160:161], v[162:163], 1.0
	v_fma_f64 v[162:163], v[162:163], v[164:165], v[162:163]
	s_delay_alu instid0(VALU_DEP_1) | instskip(NEXT) | instid1(VALU_DEP_1)
	v_fma_f64 v[164:165], -v[160:161], v[162:163], 1.0
	v_fma_f64 v[162:163], v[162:163], v[164:165], v[162:163]
	s_delay_alu instid0(VALU_DEP_1) | instskip(NEXT) | instid1(VALU_DEP_1)
	v_mul_f64 v[164:165], v[166:167], v[162:163]
	v_fma_f64 v[160:161], -v[160:161], v[164:165], v[166:167]
	s_delay_alu instid0(VALU_DEP_1) | instskip(NEXT) | instid1(VALU_DEP_1)
	v_div_fmas_f64 v[160:161], v[160:161], v[162:163], v[164:165]
	v_div_fixup_f64 v[160:161], v[160:161], v[156:157], v[158:159]
	s_delay_alu instid0(VALU_DEP_1) | instskip(NEXT) | instid1(VALU_DEP_1)
	v_fma_f64 v[156:157], v[158:159], v[160:161], v[156:157]
	v_div_scale_f64 v[158:159], null, v[156:157], v[156:157], 1.0
	s_delay_alu instid0(VALU_DEP_1) | instskip(SKIP_2) | instid1(VALU_DEP_1)
	v_rcp_f64_e32 v[162:163], v[158:159]
	s_waitcnt_depctr 0xfff
	v_fma_f64 v[164:165], -v[158:159], v[162:163], 1.0
	v_fma_f64 v[162:163], v[162:163], v[164:165], v[162:163]
	s_delay_alu instid0(VALU_DEP_1) | instskip(NEXT) | instid1(VALU_DEP_1)
	v_fma_f64 v[164:165], -v[158:159], v[162:163], 1.0
	v_fma_f64 v[162:163], v[162:163], v[164:165], v[162:163]
	v_div_scale_f64 v[164:165], vcc_lo, 1.0, v[156:157], 1.0
	s_delay_alu instid0(VALU_DEP_1) | instskip(NEXT) | instid1(VALU_DEP_1)
	v_mul_f64 v[166:167], v[164:165], v[162:163]
	v_fma_f64 v[158:159], -v[158:159], v[166:167], v[164:165]
	s_delay_alu instid0(VALU_DEP_1) | instskip(NEXT) | instid1(VALU_DEP_1)
	v_div_fmas_f64 v[158:159], v[158:159], v[162:163], v[166:167]
	v_div_fixup_f64 v[164:165], v[158:159], v[156:157], 1.0
	s_delay_alu instid0(VALU_DEP_1)
	v_mul_f64 v[162:163], v[160:161], -v[164:165]
.LBB77_223:
	s_or_b32 exec_lo, exec_lo, s3
	ds_store_2addr_b64 v215, v[164:165], v[162:163] offset1:1
.LBB77_224:
	s_or_b32 exec_lo, exec_lo, s4
	s_waitcnt lgkmcnt(0)
	s_barrier
	buffer_gl0_inv
	ds_load_2addr_b64 v[156:159], v215 offset1:1
	s_mov_b32 s3, exec_lo
	s_waitcnt lgkmcnt(0)
	scratch_store_b128 off, v[156:159], off offset:552 ; 16-byte Folded Spill
	v_cmpx_lt_u32_e32 24, v214
	s_cbranch_execz .LBB77_226
; %bb.225:
	scratch_load_b128 v[158:161], off, off offset:552 ; 16-byte Folded Reload
	s_waitcnt vmcnt(0)
	v_mul_f64 v[156:157], v[158:159], v[58:59]
	v_mul_f64 v[58:59], v[160:161], v[58:59]
	s_delay_alu instid0(VALU_DEP_2) | instskip(NEXT) | instid1(VALU_DEP_2)
	v_fma_f64 v[156:157], v[160:161], v[56:57], v[156:157]
	v_fma_f64 v[56:57], v[158:159], v[56:57], -v[58:59]
	ds_load_2addr_b64 v[158:161], v216 offset0:50 offset1:51
	s_waitcnt lgkmcnt(0)
	v_mul_f64 v[58:59], v[160:161], v[156:157]
	s_delay_alu instid0(VALU_DEP_1) | instskip(SKIP_1) | instid1(VALU_DEP_2)
	v_fma_f64 v[58:59], v[158:159], v[56:57], -v[58:59]
	v_mul_f64 v[158:159], v[158:159], v[156:157]
	v_add_f64 v[52:53], v[52:53], -v[58:59]
	s_delay_alu instid0(VALU_DEP_2) | instskip(NEXT) | instid1(VALU_DEP_1)
	v_fma_f64 v[158:159], v[160:161], v[56:57], v[158:159]
	v_add_f64 v[54:55], v[54:55], -v[158:159]
	ds_load_2addr_b64 v[158:161], v216 offset0:52 offset1:53
	s_waitcnt lgkmcnt(0)
	v_mul_f64 v[58:59], v[160:161], v[156:157]
	s_delay_alu instid0(VALU_DEP_1) | instskip(SKIP_1) | instid1(VALU_DEP_2)
	v_fma_f64 v[58:59], v[158:159], v[56:57], -v[58:59]
	v_mul_f64 v[158:159], v[158:159], v[156:157]
	v_add_f64 v[48:49], v[48:49], -v[58:59]
	s_delay_alu instid0(VALU_DEP_2) | instskip(NEXT) | instid1(VALU_DEP_1)
	v_fma_f64 v[158:159], v[160:161], v[56:57], v[158:159]
	v_add_f64 v[50:51], v[50:51], -v[158:159]
	;; [unrolled: 10-line block ×13, first 2 shown]
	ds_load_2addr_b64 v[158:161], v216 offset0:76 offset1:77
	s_waitcnt lgkmcnt(0)
	v_mul_f64 v[58:59], v[160:161], v[156:157]
	s_delay_alu instid0(VALU_DEP_1) | instskip(SKIP_1) | instid1(VALU_DEP_2)
	v_fma_f64 v[58:59], v[158:159], v[56:57], -v[58:59]
	v_mul_f64 v[158:159], v[158:159], v[156:157]
	v_add_f64 v[0:1], v[0:1], -v[58:59]
	s_delay_alu instid0(VALU_DEP_2) | instskip(SKIP_1) | instid1(VALU_DEP_2)
	v_fma_f64 v[158:159], v[160:161], v[56:57], v[158:159]
	v_dual_mov_b32 v58, v156 :: v_dual_mov_b32 v59, v157
	v_add_f64 v[2:3], v[2:3], -v[158:159]
.LBB77_226:
	s_or_b32 exec_lo, exec_lo, s3
	s_delay_alu instid0(SALU_CYCLE_1)
	s_mov_b32 s4, exec_lo
	s_waitcnt_vscnt null, 0x0
	s_barrier
	buffer_gl0_inv
	v_cmpx_eq_u32_e32 25, v214
	s_cbranch_execz .LBB77_233
; %bb.227:
	ds_store_2addr_b64 v215, v[52:53], v[54:55] offset1:1
	ds_store_2addr_b64 v216, v[48:49], v[50:51] offset0:52 offset1:53
	ds_store_2addr_b64 v216, v[44:45], v[46:47] offset0:54 offset1:55
	;; [unrolled: 1-line block ×13, first 2 shown]
	ds_load_2addr_b64 v[156:159], v215 offset1:1
	s_waitcnt lgkmcnt(0)
	v_cmp_neq_f64_e32 vcc_lo, 0, v[156:157]
	v_cmp_neq_f64_e64 s3, 0, v[158:159]
	s_delay_alu instid0(VALU_DEP_1) | instskip(NEXT) | instid1(SALU_CYCLE_1)
	s_or_b32 s3, vcc_lo, s3
	s_and_b32 exec_lo, exec_lo, s3
	s_cbranch_execz .LBB77_233
; %bb.228:
	v_cmp_gt_f64_e32 vcc_lo, 0, v[156:157]
	v_xor_b32_e32 v160, 0x80000000, v157
	v_xor_b32_e32 v162, 0x80000000, v159
	s_mov_b32 s3, exec_lo
                                        ; implicit-def: $vgpr164_vgpr165
	s_delay_alu instid0(VALU_DEP_2) | instskip(SKIP_4) | instid1(VALU_DEP_1)
	v_cndmask_b32_e32 v161, v157, v160, vcc_lo
	v_cndmask_b32_e32 v160, v156, v156, vcc_lo
	v_cmp_gt_f64_e32 vcc_lo, 0, v[158:159]
	v_cndmask_b32_e32 v163, v159, v162, vcc_lo
	v_cndmask_b32_e32 v162, v158, v158, vcc_lo
	v_cmpx_ngt_f64_e32 v[160:161], v[162:163]
	s_xor_b32 s3, exec_lo, s3
                                        ; implicit-def: $vgpr160_vgpr161_vgpr162_vgpr163
	s_cbranch_execz .LBB77_230
; %bb.229:
	v_div_scale_f64 v[160:161], null, v[158:159], v[158:159], v[156:157]
	v_div_scale_f64 v[166:167], vcc_lo, v[156:157], v[158:159], v[156:157]
	s_delay_alu instid0(VALU_DEP_2) | instskip(SKIP_2) | instid1(VALU_DEP_1)
	v_rcp_f64_e32 v[162:163], v[160:161]
	s_waitcnt_depctr 0xfff
	v_fma_f64 v[164:165], -v[160:161], v[162:163], 1.0
	v_fma_f64 v[162:163], v[162:163], v[164:165], v[162:163]
	s_delay_alu instid0(VALU_DEP_1) | instskip(NEXT) | instid1(VALU_DEP_1)
	v_fma_f64 v[164:165], -v[160:161], v[162:163], 1.0
	v_fma_f64 v[162:163], v[162:163], v[164:165], v[162:163]
	s_delay_alu instid0(VALU_DEP_1) | instskip(NEXT) | instid1(VALU_DEP_1)
	v_mul_f64 v[164:165], v[166:167], v[162:163]
	v_fma_f64 v[160:161], -v[160:161], v[164:165], v[166:167]
	s_delay_alu instid0(VALU_DEP_1) | instskip(NEXT) | instid1(VALU_DEP_1)
	v_div_fmas_f64 v[160:161], v[160:161], v[162:163], v[164:165]
	v_div_fixup_f64 v[160:161], v[160:161], v[158:159], v[156:157]
	s_delay_alu instid0(VALU_DEP_1) | instskip(NEXT) | instid1(VALU_DEP_1)
	v_fma_f64 v[156:157], v[156:157], v[160:161], v[158:159]
	v_div_scale_f64 v[158:159], null, v[156:157], v[156:157], 1.0
	s_delay_alu instid0(VALU_DEP_1) | instskip(SKIP_2) | instid1(VALU_DEP_1)
	v_rcp_f64_e32 v[162:163], v[158:159]
	s_waitcnt_depctr 0xfff
	v_fma_f64 v[164:165], -v[158:159], v[162:163], 1.0
	v_fma_f64 v[162:163], v[162:163], v[164:165], v[162:163]
	s_delay_alu instid0(VALU_DEP_1) | instskip(NEXT) | instid1(VALU_DEP_1)
	v_fma_f64 v[164:165], -v[158:159], v[162:163], 1.0
	v_fma_f64 v[162:163], v[162:163], v[164:165], v[162:163]
	v_div_scale_f64 v[164:165], vcc_lo, 1.0, v[156:157], 1.0
	s_delay_alu instid0(VALU_DEP_1) | instskip(NEXT) | instid1(VALU_DEP_1)
	v_mul_f64 v[166:167], v[164:165], v[162:163]
	v_fma_f64 v[158:159], -v[158:159], v[166:167], v[164:165]
	s_delay_alu instid0(VALU_DEP_1) | instskip(NEXT) | instid1(VALU_DEP_1)
	v_div_fmas_f64 v[158:159], v[158:159], v[162:163], v[166:167]
	v_div_fixup_f64 v[162:163], v[158:159], v[156:157], 1.0
                                        ; implicit-def: $vgpr156_vgpr157
	s_delay_alu instid0(VALU_DEP_1)
	v_mul_f64 v[164:165], v[160:161], v[162:163]
	v_xor_b32_e32 v163, 0x80000000, v163
.LBB77_230:
	s_and_not1_saveexec_b32 s3, s3
	s_cbranch_execz .LBB77_232
; %bb.231:
	v_div_scale_f64 v[160:161], null, v[156:157], v[156:157], v[158:159]
	v_div_scale_f64 v[166:167], vcc_lo, v[158:159], v[156:157], v[158:159]
	s_delay_alu instid0(VALU_DEP_2) | instskip(SKIP_2) | instid1(VALU_DEP_1)
	v_rcp_f64_e32 v[162:163], v[160:161]
	s_waitcnt_depctr 0xfff
	v_fma_f64 v[164:165], -v[160:161], v[162:163], 1.0
	v_fma_f64 v[162:163], v[162:163], v[164:165], v[162:163]
	s_delay_alu instid0(VALU_DEP_1) | instskip(NEXT) | instid1(VALU_DEP_1)
	v_fma_f64 v[164:165], -v[160:161], v[162:163], 1.0
	v_fma_f64 v[162:163], v[162:163], v[164:165], v[162:163]
	s_delay_alu instid0(VALU_DEP_1) | instskip(NEXT) | instid1(VALU_DEP_1)
	v_mul_f64 v[164:165], v[166:167], v[162:163]
	v_fma_f64 v[160:161], -v[160:161], v[164:165], v[166:167]
	s_delay_alu instid0(VALU_DEP_1) | instskip(NEXT) | instid1(VALU_DEP_1)
	v_div_fmas_f64 v[160:161], v[160:161], v[162:163], v[164:165]
	v_div_fixup_f64 v[160:161], v[160:161], v[156:157], v[158:159]
	s_delay_alu instid0(VALU_DEP_1) | instskip(NEXT) | instid1(VALU_DEP_1)
	v_fma_f64 v[156:157], v[158:159], v[160:161], v[156:157]
	v_div_scale_f64 v[158:159], null, v[156:157], v[156:157], 1.0
	s_delay_alu instid0(VALU_DEP_1) | instskip(SKIP_2) | instid1(VALU_DEP_1)
	v_rcp_f64_e32 v[162:163], v[158:159]
	s_waitcnt_depctr 0xfff
	v_fma_f64 v[164:165], -v[158:159], v[162:163], 1.0
	v_fma_f64 v[162:163], v[162:163], v[164:165], v[162:163]
	s_delay_alu instid0(VALU_DEP_1) | instskip(NEXT) | instid1(VALU_DEP_1)
	v_fma_f64 v[164:165], -v[158:159], v[162:163], 1.0
	v_fma_f64 v[162:163], v[162:163], v[164:165], v[162:163]
	v_div_scale_f64 v[164:165], vcc_lo, 1.0, v[156:157], 1.0
	s_delay_alu instid0(VALU_DEP_1) | instskip(NEXT) | instid1(VALU_DEP_1)
	v_mul_f64 v[166:167], v[164:165], v[162:163]
	v_fma_f64 v[158:159], -v[158:159], v[166:167], v[164:165]
	s_delay_alu instid0(VALU_DEP_1) | instskip(NEXT) | instid1(VALU_DEP_1)
	v_div_fmas_f64 v[158:159], v[158:159], v[162:163], v[166:167]
	v_div_fixup_f64 v[164:165], v[158:159], v[156:157], 1.0
	s_delay_alu instid0(VALU_DEP_1)
	v_mul_f64 v[162:163], v[160:161], -v[164:165]
.LBB77_232:
	s_or_b32 exec_lo, exec_lo, s3
	ds_store_2addr_b64 v215, v[164:165], v[162:163] offset1:1
.LBB77_233:
	s_or_b32 exec_lo, exec_lo, s4
	s_waitcnt lgkmcnt(0)
	s_barrier
	buffer_gl0_inv
	ds_load_2addr_b64 v[156:159], v215 offset1:1
	s_mov_b32 s3, exec_lo
	s_waitcnt lgkmcnt(0)
	scratch_store_b128 off, v[156:159], off offset:568 ; 16-byte Folded Spill
	v_cmpx_lt_u32_e32 25, v214
	s_cbranch_execz .LBB77_235
; %bb.234:
	scratch_load_b128 v[156:159], off, off offset:568 ; 16-byte Folded Reload
	ds_load_2addr_b64 v[162:165], v216 offset0:52 offset1:53
	s_waitcnt vmcnt(0)
	v_mul_f64 v[160:161], v[156:157], v[54:55]
	v_mul_f64 v[54:55], v[158:159], v[54:55]
	s_delay_alu instid0(VALU_DEP_2) | instskip(NEXT) | instid1(VALU_DEP_2)
	v_fma_f64 v[160:161], v[158:159], v[52:53], v[160:161]
	v_fma_f64 v[52:53], v[156:157], v[52:53], -v[54:55]
	s_waitcnt lgkmcnt(0)
	s_delay_alu instid0(VALU_DEP_2) | instskip(NEXT) | instid1(VALU_DEP_1)
	v_mul_f64 v[54:55], v[164:165], v[160:161]
	v_fma_f64 v[54:55], v[162:163], v[52:53], -v[54:55]
	v_mul_f64 v[162:163], v[162:163], v[160:161]
	s_delay_alu instid0(VALU_DEP_2) | instskip(NEXT) | instid1(VALU_DEP_2)
	v_add_f64 v[48:49], v[48:49], -v[54:55]
	v_fma_f64 v[162:163], v[164:165], v[52:53], v[162:163]
	s_delay_alu instid0(VALU_DEP_1) | instskip(SKIP_3) | instid1(VALU_DEP_1)
	v_add_f64 v[50:51], v[50:51], -v[162:163]
	ds_load_2addr_b64 v[162:165], v216 offset0:54 offset1:55
	s_waitcnt lgkmcnt(0)
	v_mul_f64 v[54:55], v[164:165], v[160:161]
	v_fma_f64 v[54:55], v[162:163], v[52:53], -v[54:55]
	v_mul_f64 v[162:163], v[162:163], v[160:161]
	s_delay_alu instid0(VALU_DEP_2) | instskip(NEXT) | instid1(VALU_DEP_2)
	v_add_f64 v[44:45], v[44:45], -v[54:55]
	v_fma_f64 v[162:163], v[164:165], v[52:53], v[162:163]
	s_delay_alu instid0(VALU_DEP_1) | instskip(SKIP_3) | instid1(VALU_DEP_1)
	v_add_f64 v[46:47], v[46:47], -v[162:163]
	ds_load_2addr_b64 v[162:165], v216 offset0:56 offset1:57
	s_waitcnt lgkmcnt(0)
	;; [unrolled: 10-line block ×12, first 2 shown]
	v_mul_f64 v[54:55], v[164:165], v[160:161]
	v_fma_f64 v[54:55], v[162:163], v[52:53], -v[54:55]
	v_mul_f64 v[162:163], v[162:163], v[160:161]
	s_delay_alu instid0(VALU_DEP_2) | instskip(NEXT) | instid1(VALU_DEP_2)
	v_add_f64 v[0:1], v[0:1], -v[54:55]
	v_fma_f64 v[162:163], v[164:165], v[52:53], v[162:163]
	v_dual_mov_b32 v54, v160 :: v_dual_mov_b32 v55, v161
	s_delay_alu instid0(VALU_DEP_2)
	v_add_f64 v[2:3], v[2:3], -v[162:163]
.LBB77_235:
	s_or_b32 exec_lo, exec_lo, s3
	s_delay_alu instid0(SALU_CYCLE_1)
	s_mov_b32 s4, exec_lo
	s_waitcnt_vscnt null, 0x0
	s_barrier
	buffer_gl0_inv
	v_cmpx_eq_u32_e32 26, v214
	s_cbranch_execz .LBB77_242
; %bb.236:
	ds_store_2addr_b64 v215, v[48:49], v[50:51] offset1:1
	ds_store_2addr_b64 v216, v[44:45], v[46:47] offset0:54 offset1:55
	ds_store_2addr_b64 v216, v[40:41], v[42:43] offset0:56 offset1:57
	;; [unrolled: 1-line block ×12, first 2 shown]
	ds_load_2addr_b64 v[160:163], v215 offset1:1
	s_waitcnt lgkmcnt(0)
	v_cmp_neq_f64_e32 vcc_lo, 0, v[160:161]
	v_cmp_neq_f64_e64 s3, 0, v[162:163]
	s_delay_alu instid0(VALU_DEP_1) | instskip(NEXT) | instid1(SALU_CYCLE_1)
	s_or_b32 s3, vcc_lo, s3
	s_and_b32 exec_lo, exec_lo, s3
	s_cbranch_execz .LBB77_242
; %bb.237:
	v_cmp_gt_f64_e32 vcc_lo, 0, v[160:161]
	v_xor_b32_e32 v164, 0x80000000, v161
	v_xor_b32_e32 v166, 0x80000000, v163
	s_mov_b32 s3, exec_lo
                                        ; implicit-def: $vgpr168_vgpr169
	s_delay_alu instid0(VALU_DEP_2) | instskip(SKIP_4) | instid1(VALU_DEP_1)
	v_cndmask_b32_e32 v165, v161, v164, vcc_lo
	v_cndmask_b32_e32 v164, v160, v160, vcc_lo
	v_cmp_gt_f64_e32 vcc_lo, 0, v[162:163]
	v_cndmask_b32_e32 v167, v163, v166, vcc_lo
	v_cndmask_b32_e32 v166, v162, v162, vcc_lo
	v_cmpx_ngt_f64_e32 v[164:165], v[166:167]
	s_xor_b32 s3, exec_lo, s3
                                        ; implicit-def: $vgpr164_vgpr165_vgpr166_vgpr167
	s_cbranch_execz .LBB77_239
; %bb.238:
	v_div_scale_f64 v[164:165], null, v[162:163], v[162:163], v[160:161]
	v_div_scale_f64 v[170:171], vcc_lo, v[160:161], v[162:163], v[160:161]
	s_delay_alu instid0(VALU_DEP_2) | instskip(SKIP_2) | instid1(VALU_DEP_1)
	v_rcp_f64_e32 v[166:167], v[164:165]
	s_waitcnt_depctr 0xfff
	v_fma_f64 v[168:169], -v[164:165], v[166:167], 1.0
	v_fma_f64 v[166:167], v[166:167], v[168:169], v[166:167]
	s_delay_alu instid0(VALU_DEP_1) | instskip(NEXT) | instid1(VALU_DEP_1)
	v_fma_f64 v[168:169], -v[164:165], v[166:167], 1.0
	v_fma_f64 v[166:167], v[166:167], v[168:169], v[166:167]
	s_delay_alu instid0(VALU_DEP_1) | instskip(NEXT) | instid1(VALU_DEP_1)
	v_mul_f64 v[168:169], v[170:171], v[166:167]
	v_fma_f64 v[164:165], -v[164:165], v[168:169], v[170:171]
	s_delay_alu instid0(VALU_DEP_1) | instskip(NEXT) | instid1(VALU_DEP_1)
	v_div_fmas_f64 v[164:165], v[164:165], v[166:167], v[168:169]
	v_div_fixup_f64 v[164:165], v[164:165], v[162:163], v[160:161]
	s_delay_alu instid0(VALU_DEP_1) | instskip(NEXT) | instid1(VALU_DEP_1)
	v_fma_f64 v[160:161], v[160:161], v[164:165], v[162:163]
	v_div_scale_f64 v[162:163], null, v[160:161], v[160:161], 1.0
	s_delay_alu instid0(VALU_DEP_1) | instskip(SKIP_2) | instid1(VALU_DEP_1)
	v_rcp_f64_e32 v[166:167], v[162:163]
	s_waitcnt_depctr 0xfff
	v_fma_f64 v[168:169], -v[162:163], v[166:167], 1.0
	v_fma_f64 v[166:167], v[166:167], v[168:169], v[166:167]
	s_delay_alu instid0(VALU_DEP_1) | instskip(NEXT) | instid1(VALU_DEP_1)
	v_fma_f64 v[168:169], -v[162:163], v[166:167], 1.0
	v_fma_f64 v[166:167], v[166:167], v[168:169], v[166:167]
	v_div_scale_f64 v[168:169], vcc_lo, 1.0, v[160:161], 1.0
	s_delay_alu instid0(VALU_DEP_1) | instskip(NEXT) | instid1(VALU_DEP_1)
	v_mul_f64 v[170:171], v[168:169], v[166:167]
	v_fma_f64 v[162:163], -v[162:163], v[170:171], v[168:169]
	s_delay_alu instid0(VALU_DEP_1) | instskip(NEXT) | instid1(VALU_DEP_1)
	v_div_fmas_f64 v[162:163], v[162:163], v[166:167], v[170:171]
	v_div_fixup_f64 v[166:167], v[162:163], v[160:161], 1.0
                                        ; implicit-def: $vgpr160_vgpr161
	s_delay_alu instid0(VALU_DEP_1)
	v_mul_f64 v[168:169], v[164:165], v[166:167]
	v_xor_b32_e32 v167, 0x80000000, v167
.LBB77_239:
	s_and_not1_saveexec_b32 s3, s3
	s_cbranch_execz .LBB77_241
; %bb.240:
	v_div_scale_f64 v[164:165], null, v[160:161], v[160:161], v[162:163]
	v_div_scale_f64 v[170:171], vcc_lo, v[162:163], v[160:161], v[162:163]
	s_delay_alu instid0(VALU_DEP_2) | instskip(SKIP_2) | instid1(VALU_DEP_1)
	v_rcp_f64_e32 v[166:167], v[164:165]
	s_waitcnt_depctr 0xfff
	v_fma_f64 v[168:169], -v[164:165], v[166:167], 1.0
	v_fma_f64 v[166:167], v[166:167], v[168:169], v[166:167]
	s_delay_alu instid0(VALU_DEP_1) | instskip(NEXT) | instid1(VALU_DEP_1)
	v_fma_f64 v[168:169], -v[164:165], v[166:167], 1.0
	v_fma_f64 v[166:167], v[166:167], v[168:169], v[166:167]
	s_delay_alu instid0(VALU_DEP_1) | instskip(NEXT) | instid1(VALU_DEP_1)
	v_mul_f64 v[168:169], v[170:171], v[166:167]
	v_fma_f64 v[164:165], -v[164:165], v[168:169], v[170:171]
	s_delay_alu instid0(VALU_DEP_1) | instskip(NEXT) | instid1(VALU_DEP_1)
	v_div_fmas_f64 v[164:165], v[164:165], v[166:167], v[168:169]
	v_div_fixup_f64 v[164:165], v[164:165], v[160:161], v[162:163]
	s_delay_alu instid0(VALU_DEP_1) | instskip(NEXT) | instid1(VALU_DEP_1)
	v_fma_f64 v[160:161], v[162:163], v[164:165], v[160:161]
	v_div_scale_f64 v[162:163], null, v[160:161], v[160:161], 1.0
	s_delay_alu instid0(VALU_DEP_1) | instskip(SKIP_2) | instid1(VALU_DEP_1)
	v_rcp_f64_e32 v[166:167], v[162:163]
	s_waitcnt_depctr 0xfff
	v_fma_f64 v[168:169], -v[162:163], v[166:167], 1.0
	v_fma_f64 v[166:167], v[166:167], v[168:169], v[166:167]
	s_delay_alu instid0(VALU_DEP_1) | instskip(NEXT) | instid1(VALU_DEP_1)
	v_fma_f64 v[168:169], -v[162:163], v[166:167], 1.0
	v_fma_f64 v[166:167], v[166:167], v[168:169], v[166:167]
	v_div_scale_f64 v[168:169], vcc_lo, 1.0, v[160:161], 1.0
	s_delay_alu instid0(VALU_DEP_1) | instskip(NEXT) | instid1(VALU_DEP_1)
	v_mul_f64 v[170:171], v[168:169], v[166:167]
	v_fma_f64 v[162:163], -v[162:163], v[170:171], v[168:169]
	s_delay_alu instid0(VALU_DEP_1) | instskip(NEXT) | instid1(VALU_DEP_1)
	v_div_fmas_f64 v[162:163], v[162:163], v[166:167], v[170:171]
	v_div_fixup_f64 v[168:169], v[162:163], v[160:161], 1.0
	s_delay_alu instid0(VALU_DEP_1)
	v_mul_f64 v[166:167], v[164:165], -v[168:169]
.LBB77_241:
	s_or_b32 exec_lo, exec_lo, s3
	ds_store_2addr_b64 v215, v[168:169], v[166:167] offset1:1
.LBB77_242:
	s_or_b32 exec_lo, exec_lo, s4
	s_waitcnt lgkmcnt(0)
	s_barrier
	buffer_gl0_inv
	ds_load_2addr_b64 v[160:163], v215 offset1:1
	s_mov_b32 s3, exec_lo
	v_cmpx_lt_u32_e32 26, v214
	s_cbranch_execz .LBB77_244
; %bb.243:
	s_waitcnt lgkmcnt(0)
	v_mul_f64 v[164:165], v[160:161], v[50:51]
	v_mul_f64 v[50:51], v[162:163], v[50:51]
	s_delay_alu instid0(VALU_DEP_2) | instskip(SKIP_4) | instid1(VALU_DEP_1)
	v_fma_f64 v[168:169], v[162:163], v[48:49], v[164:165]
	ds_load_2addr_b64 v[164:167], v216 offset0:54 offset1:55
	v_fma_f64 v[48:49], v[160:161], v[48:49], -v[50:51]
	s_waitcnt lgkmcnt(0)
	v_mul_f64 v[50:51], v[166:167], v[168:169]
	v_fma_f64 v[50:51], v[164:165], v[48:49], -v[50:51]
	v_mul_f64 v[164:165], v[164:165], v[168:169]
	s_delay_alu instid0(VALU_DEP_2) | instskip(NEXT) | instid1(VALU_DEP_2)
	v_add_f64 v[44:45], v[44:45], -v[50:51]
	v_fma_f64 v[164:165], v[166:167], v[48:49], v[164:165]
	s_delay_alu instid0(VALU_DEP_1) | instskip(SKIP_3) | instid1(VALU_DEP_1)
	v_add_f64 v[46:47], v[46:47], -v[164:165]
	ds_load_2addr_b64 v[164:167], v216 offset0:56 offset1:57
	s_waitcnt lgkmcnt(0)
	v_mul_f64 v[50:51], v[166:167], v[168:169]
	v_fma_f64 v[50:51], v[164:165], v[48:49], -v[50:51]
	v_mul_f64 v[164:165], v[164:165], v[168:169]
	s_delay_alu instid0(VALU_DEP_2) | instskip(NEXT) | instid1(VALU_DEP_2)
	v_add_f64 v[40:41], v[40:41], -v[50:51]
	v_fma_f64 v[164:165], v[166:167], v[48:49], v[164:165]
	s_delay_alu instid0(VALU_DEP_1) | instskip(SKIP_3) | instid1(VALU_DEP_1)
	v_add_f64 v[42:43], v[42:43], -v[164:165]
	ds_load_2addr_b64 v[164:167], v216 offset0:58 offset1:59
	s_waitcnt lgkmcnt(0)
	v_mul_f64 v[50:51], v[166:167], v[168:169]
	v_fma_f64 v[50:51], v[164:165], v[48:49], -v[50:51]
	v_mul_f64 v[164:165], v[164:165], v[168:169]
	s_delay_alu instid0(VALU_DEP_2) | instskip(NEXT) | instid1(VALU_DEP_2)
	v_add_f64 v[36:37], v[36:37], -v[50:51]
	v_fma_f64 v[164:165], v[166:167], v[48:49], v[164:165]
	s_delay_alu instid0(VALU_DEP_1) | instskip(SKIP_3) | instid1(VALU_DEP_1)
	v_add_f64 v[38:39], v[38:39], -v[164:165]
	ds_load_2addr_b64 v[164:167], v216 offset0:60 offset1:61
	s_waitcnt lgkmcnt(0)
	v_mul_f64 v[50:51], v[166:167], v[168:169]
	v_fma_f64 v[50:51], v[164:165], v[48:49], -v[50:51]
	v_mul_f64 v[164:165], v[164:165], v[168:169]
	s_delay_alu instid0(VALU_DEP_2) | instskip(NEXT) | instid1(VALU_DEP_2)
	v_add_f64 v[32:33], v[32:33], -v[50:51]
	v_fma_f64 v[164:165], v[166:167], v[48:49], v[164:165]
	s_delay_alu instid0(VALU_DEP_1) | instskip(SKIP_3) | instid1(VALU_DEP_1)
	v_add_f64 v[34:35], v[34:35], -v[164:165]
	ds_load_2addr_b64 v[164:167], v216 offset0:62 offset1:63
	s_waitcnt lgkmcnt(0)
	v_mul_f64 v[50:51], v[166:167], v[168:169]
	v_fma_f64 v[50:51], v[164:165], v[48:49], -v[50:51]
	v_mul_f64 v[164:165], v[164:165], v[168:169]
	s_delay_alu instid0(VALU_DEP_2) | instskip(NEXT) | instid1(VALU_DEP_2)
	v_add_f64 v[28:29], v[28:29], -v[50:51]
	v_fma_f64 v[164:165], v[166:167], v[48:49], v[164:165]
	s_delay_alu instid0(VALU_DEP_1) | instskip(SKIP_3) | instid1(VALU_DEP_1)
	v_add_f64 v[30:31], v[30:31], -v[164:165]
	ds_load_2addr_b64 v[164:167], v216 offset0:64 offset1:65
	s_waitcnt lgkmcnt(0)
	v_mul_f64 v[50:51], v[166:167], v[168:169]
	v_fma_f64 v[50:51], v[164:165], v[48:49], -v[50:51]
	v_mul_f64 v[164:165], v[164:165], v[168:169]
	s_delay_alu instid0(VALU_DEP_2) | instskip(NEXT) | instid1(VALU_DEP_2)
	v_add_f64 v[24:25], v[24:25], -v[50:51]
	v_fma_f64 v[164:165], v[166:167], v[48:49], v[164:165]
	s_delay_alu instid0(VALU_DEP_1) | instskip(SKIP_3) | instid1(VALU_DEP_1)
	v_add_f64 v[26:27], v[26:27], -v[164:165]
	ds_load_2addr_b64 v[164:167], v216 offset0:66 offset1:67
	s_waitcnt lgkmcnt(0)
	v_mul_f64 v[50:51], v[166:167], v[168:169]
	v_fma_f64 v[50:51], v[164:165], v[48:49], -v[50:51]
	v_mul_f64 v[164:165], v[164:165], v[168:169]
	s_delay_alu instid0(VALU_DEP_2) | instskip(NEXT) | instid1(VALU_DEP_2)
	v_add_f64 v[20:21], v[20:21], -v[50:51]
	v_fma_f64 v[164:165], v[166:167], v[48:49], v[164:165]
	s_delay_alu instid0(VALU_DEP_1) | instskip(SKIP_3) | instid1(VALU_DEP_1)
	v_add_f64 v[22:23], v[22:23], -v[164:165]
	ds_load_2addr_b64 v[164:167], v216 offset0:68 offset1:69
	s_waitcnt lgkmcnt(0)
	v_mul_f64 v[50:51], v[166:167], v[168:169]
	v_fma_f64 v[50:51], v[164:165], v[48:49], -v[50:51]
	v_mul_f64 v[164:165], v[164:165], v[168:169]
	s_delay_alu instid0(VALU_DEP_2) | instskip(NEXT) | instid1(VALU_DEP_2)
	v_add_f64 v[16:17], v[16:17], -v[50:51]
	v_fma_f64 v[164:165], v[166:167], v[48:49], v[164:165]
	s_delay_alu instid0(VALU_DEP_1) | instskip(SKIP_3) | instid1(VALU_DEP_1)
	v_add_f64 v[18:19], v[18:19], -v[164:165]
	ds_load_2addr_b64 v[164:167], v216 offset0:70 offset1:71
	s_waitcnt lgkmcnt(0)
	v_mul_f64 v[50:51], v[166:167], v[168:169]
	v_fma_f64 v[50:51], v[164:165], v[48:49], -v[50:51]
	v_mul_f64 v[164:165], v[164:165], v[168:169]
	s_delay_alu instid0(VALU_DEP_2) | instskip(NEXT) | instid1(VALU_DEP_2)
	v_add_f64 v[12:13], v[12:13], -v[50:51]
	v_fma_f64 v[164:165], v[166:167], v[48:49], v[164:165]
	s_delay_alu instid0(VALU_DEP_1) | instskip(SKIP_3) | instid1(VALU_DEP_1)
	v_add_f64 v[14:15], v[14:15], -v[164:165]
	ds_load_2addr_b64 v[164:167], v216 offset0:72 offset1:73
	s_waitcnt lgkmcnt(0)
	v_mul_f64 v[50:51], v[166:167], v[168:169]
	v_fma_f64 v[50:51], v[164:165], v[48:49], -v[50:51]
	v_mul_f64 v[164:165], v[164:165], v[168:169]
	s_delay_alu instid0(VALU_DEP_2) | instskip(NEXT) | instid1(VALU_DEP_2)
	v_add_f64 v[8:9], v[8:9], -v[50:51]
	v_fma_f64 v[164:165], v[166:167], v[48:49], v[164:165]
	s_delay_alu instid0(VALU_DEP_1) | instskip(SKIP_3) | instid1(VALU_DEP_1)
	v_add_f64 v[10:11], v[10:11], -v[164:165]
	ds_load_2addr_b64 v[164:167], v216 offset0:74 offset1:75
	s_waitcnt lgkmcnt(0)
	v_mul_f64 v[50:51], v[166:167], v[168:169]
	v_fma_f64 v[50:51], v[164:165], v[48:49], -v[50:51]
	v_mul_f64 v[164:165], v[164:165], v[168:169]
	s_delay_alu instid0(VALU_DEP_2) | instskip(NEXT) | instid1(VALU_DEP_2)
	v_add_f64 v[4:5], v[4:5], -v[50:51]
	v_fma_f64 v[164:165], v[166:167], v[48:49], v[164:165]
	s_delay_alu instid0(VALU_DEP_1) | instskip(SKIP_3) | instid1(VALU_DEP_1)
	v_add_f64 v[6:7], v[6:7], -v[164:165]
	ds_load_2addr_b64 v[164:167], v216 offset0:76 offset1:77
	s_waitcnt lgkmcnt(0)
	v_mul_f64 v[50:51], v[166:167], v[168:169]
	v_fma_f64 v[50:51], v[164:165], v[48:49], -v[50:51]
	v_mul_f64 v[164:165], v[164:165], v[168:169]
	s_delay_alu instid0(VALU_DEP_2) | instskip(NEXT) | instid1(VALU_DEP_2)
	v_add_f64 v[0:1], v[0:1], -v[50:51]
	v_fma_f64 v[164:165], v[166:167], v[48:49], v[164:165]
	v_dual_mov_b32 v50, v168 :: v_dual_mov_b32 v51, v169
	s_delay_alu instid0(VALU_DEP_2)
	v_add_f64 v[2:3], v[2:3], -v[164:165]
.LBB77_244:
	s_or_b32 exec_lo, exec_lo, s3
	s_delay_alu instid0(SALU_CYCLE_1)
	s_mov_b32 s4, exec_lo
	s_waitcnt lgkmcnt(0)
	s_barrier
	buffer_gl0_inv
	v_cmpx_eq_u32_e32 27, v214
	s_cbranch_execz .LBB77_251
; %bb.245:
	ds_store_2addr_b64 v215, v[44:45], v[46:47] offset1:1
	ds_store_2addr_b64 v216, v[40:41], v[42:43] offset0:56 offset1:57
	ds_store_2addr_b64 v216, v[36:37], v[38:39] offset0:58 offset1:59
	;; [unrolled: 1-line block ×11, first 2 shown]
	ds_load_2addr_b64 v[164:167], v215 offset1:1
	s_waitcnt lgkmcnt(0)
	v_cmp_neq_f64_e32 vcc_lo, 0, v[164:165]
	v_cmp_neq_f64_e64 s3, 0, v[166:167]
	s_delay_alu instid0(VALU_DEP_1) | instskip(NEXT) | instid1(SALU_CYCLE_1)
	s_or_b32 s3, vcc_lo, s3
	s_and_b32 exec_lo, exec_lo, s3
	s_cbranch_execz .LBB77_251
; %bb.246:
	v_cmp_gt_f64_e32 vcc_lo, 0, v[164:165]
	v_xor_b32_e32 v168, 0x80000000, v165
	v_xor_b32_e32 v170, 0x80000000, v167
	s_mov_b32 s3, exec_lo
                                        ; implicit-def: $vgpr172_vgpr173
	s_delay_alu instid0(VALU_DEP_2) | instskip(SKIP_4) | instid1(VALU_DEP_1)
	v_cndmask_b32_e32 v169, v165, v168, vcc_lo
	v_cndmask_b32_e32 v168, v164, v164, vcc_lo
	v_cmp_gt_f64_e32 vcc_lo, 0, v[166:167]
	v_cndmask_b32_e32 v171, v167, v170, vcc_lo
	v_cndmask_b32_e32 v170, v166, v166, vcc_lo
	v_cmpx_ngt_f64_e32 v[168:169], v[170:171]
	s_xor_b32 s3, exec_lo, s3
                                        ; implicit-def: $vgpr168_vgpr169_vgpr170_vgpr171
	s_cbranch_execz .LBB77_248
; %bb.247:
	v_div_scale_f64 v[168:169], null, v[166:167], v[166:167], v[164:165]
	v_div_scale_f64 v[174:175], vcc_lo, v[164:165], v[166:167], v[164:165]
	s_delay_alu instid0(VALU_DEP_2) | instskip(SKIP_2) | instid1(VALU_DEP_1)
	v_rcp_f64_e32 v[170:171], v[168:169]
	s_waitcnt_depctr 0xfff
	v_fma_f64 v[172:173], -v[168:169], v[170:171], 1.0
	v_fma_f64 v[170:171], v[170:171], v[172:173], v[170:171]
	s_delay_alu instid0(VALU_DEP_1) | instskip(NEXT) | instid1(VALU_DEP_1)
	v_fma_f64 v[172:173], -v[168:169], v[170:171], 1.0
	v_fma_f64 v[170:171], v[170:171], v[172:173], v[170:171]
	s_delay_alu instid0(VALU_DEP_1) | instskip(NEXT) | instid1(VALU_DEP_1)
	v_mul_f64 v[172:173], v[174:175], v[170:171]
	v_fma_f64 v[168:169], -v[168:169], v[172:173], v[174:175]
	s_delay_alu instid0(VALU_DEP_1) | instskip(NEXT) | instid1(VALU_DEP_1)
	v_div_fmas_f64 v[168:169], v[168:169], v[170:171], v[172:173]
	v_div_fixup_f64 v[168:169], v[168:169], v[166:167], v[164:165]
	s_delay_alu instid0(VALU_DEP_1) | instskip(NEXT) | instid1(VALU_DEP_1)
	v_fma_f64 v[164:165], v[164:165], v[168:169], v[166:167]
	v_div_scale_f64 v[166:167], null, v[164:165], v[164:165], 1.0
	s_delay_alu instid0(VALU_DEP_1) | instskip(SKIP_2) | instid1(VALU_DEP_1)
	v_rcp_f64_e32 v[170:171], v[166:167]
	s_waitcnt_depctr 0xfff
	v_fma_f64 v[172:173], -v[166:167], v[170:171], 1.0
	v_fma_f64 v[170:171], v[170:171], v[172:173], v[170:171]
	s_delay_alu instid0(VALU_DEP_1) | instskip(NEXT) | instid1(VALU_DEP_1)
	v_fma_f64 v[172:173], -v[166:167], v[170:171], 1.0
	v_fma_f64 v[170:171], v[170:171], v[172:173], v[170:171]
	v_div_scale_f64 v[172:173], vcc_lo, 1.0, v[164:165], 1.0
	s_delay_alu instid0(VALU_DEP_1) | instskip(NEXT) | instid1(VALU_DEP_1)
	v_mul_f64 v[174:175], v[172:173], v[170:171]
	v_fma_f64 v[166:167], -v[166:167], v[174:175], v[172:173]
	s_delay_alu instid0(VALU_DEP_1) | instskip(NEXT) | instid1(VALU_DEP_1)
	v_div_fmas_f64 v[166:167], v[166:167], v[170:171], v[174:175]
	v_div_fixup_f64 v[170:171], v[166:167], v[164:165], 1.0
                                        ; implicit-def: $vgpr164_vgpr165
	s_delay_alu instid0(VALU_DEP_1)
	v_mul_f64 v[172:173], v[168:169], v[170:171]
	v_xor_b32_e32 v171, 0x80000000, v171
.LBB77_248:
	s_and_not1_saveexec_b32 s3, s3
	s_cbranch_execz .LBB77_250
; %bb.249:
	v_div_scale_f64 v[168:169], null, v[164:165], v[164:165], v[166:167]
	v_div_scale_f64 v[174:175], vcc_lo, v[166:167], v[164:165], v[166:167]
	s_delay_alu instid0(VALU_DEP_2) | instskip(SKIP_2) | instid1(VALU_DEP_1)
	v_rcp_f64_e32 v[170:171], v[168:169]
	s_waitcnt_depctr 0xfff
	v_fma_f64 v[172:173], -v[168:169], v[170:171], 1.0
	v_fma_f64 v[170:171], v[170:171], v[172:173], v[170:171]
	s_delay_alu instid0(VALU_DEP_1) | instskip(NEXT) | instid1(VALU_DEP_1)
	v_fma_f64 v[172:173], -v[168:169], v[170:171], 1.0
	v_fma_f64 v[170:171], v[170:171], v[172:173], v[170:171]
	s_delay_alu instid0(VALU_DEP_1) | instskip(NEXT) | instid1(VALU_DEP_1)
	v_mul_f64 v[172:173], v[174:175], v[170:171]
	v_fma_f64 v[168:169], -v[168:169], v[172:173], v[174:175]
	s_delay_alu instid0(VALU_DEP_1) | instskip(NEXT) | instid1(VALU_DEP_1)
	v_div_fmas_f64 v[168:169], v[168:169], v[170:171], v[172:173]
	v_div_fixup_f64 v[168:169], v[168:169], v[164:165], v[166:167]
	s_delay_alu instid0(VALU_DEP_1) | instskip(NEXT) | instid1(VALU_DEP_1)
	v_fma_f64 v[164:165], v[166:167], v[168:169], v[164:165]
	v_div_scale_f64 v[166:167], null, v[164:165], v[164:165], 1.0
	s_delay_alu instid0(VALU_DEP_1) | instskip(SKIP_2) | instid1(VALU_DEP_1)
	v_rcp_f64_e32 v[170:171], v[166:167]
	s_waitcnt_depctr 0xfff
	v_fma_f64 v[172:173], -v[166:167], v[170:171], 1.0
	v_fma_f64 v[170:171], v[170:171], v[172:173], v[170:171]
	s_delay_alu instid0(VALU_DEP_1) | instskip(NEXT) | instid1(VALU_DEP_1)
	v_fma_f64 v[172:173], -v[166:167], v[170:171], 1.0
	v_fma_f64 v[170:171], v[170:171], v[172:173], v[170:171]
	v_div_scale_f64 v[172:173], vcc_lo, 1.0, v[164:165], 1.0
	s_delay_alu instid0(VALU_DEP_1) | instskip(NEXT) | instid1(VALU_DEP_1)
	v_mul_f64 v[174:175], v[172:173], v[170:171]
	v_fma_f64 v[166:167], -v[166:167], v[174:175], v[172:173]
	s_delay_alu instid0(VALU_DEP_1) | instskip(NEXT) | instid1(VALU_DEP_1)
	v_div_fmas_f64 v[166:167], v[166:167], v[170:171], v[174:175]
	v_div_fixup_f64 v[172:173], v[166:167], v[164:165], 1.0
	s_delay_alu instid0(VALU_DEP_1)
	v_mul_f64 v[170:171], v[168:169], -v[172:173]
.LBB77_250:
	s_or_b32 exec_lo, exec_lo, s3
	ds_store_2addr_b64 v215, v[172:173], v[170:171] offset1:1
.LBB77_251:
	s_or_b32 exec_lo, exec_lo, s4
	s_waitcnt lgkmcnt(0)
	s_barrier
	buffer_gl0_inv
	ds_load_2addr_b64 v[164:167], v215 offset1:1
	s_mov_b32 s3, exec_lo
	v_cmpx_lt_u32_e32 27, v214
	s_cbranch_execz .LBB77_253
; %bb.252:
	s_waitcnt lgkmcnt(0)
	v_mul_f64 v[168:169], v[164:165], v[46:47]
	v_mul_f64 v[46:47], v[166:167], v[46:47]
	s_delay_alu instid0(VALU_DEP_2) | instskip(SKIP_4) | instid1(VALU_DEP_1)
	v_fma_f64 v[172:173], v[166:167], v[44:45], v[168:169]
	ds_load_2addr_b64 v[168:171], v216 offset0:56 offset1:57
	v_fma_f64 v[44:45], v[164:165], v[44:45], -v[46:47]
	s_waitcnt lgkmcnt(0)
	v_mul_f64 v[46:47], v[170:171], v[172:173]
	v_fma_f64 v[46:47], v[168:169], v[44:45], -v[46:47]
	v_mul_f64 v[168:169], v[168:169], v[172:173]
	s_delay_alu instid0(VALU_DEP_2) | instskip(NEXT) | instid1(VALU_DEP_2)
	v_add_f64 v[40:41], v[40:41], -v[46:47]
	v_fma_f64 v[168:169], v[170:171], v[44:45], v[168:169]
	s_delay_alu instid0(VALU_DEP_1) | instskip(SKIP_3) | instid1(VALU_DEP_1)
	v_add_f64 v[42:43], v[42:43], -v[168:169]
	ds_load_2addr_b64 v[168:171], v216 offset0:58 offset1:59
	s_waitcnt lgkmcnt(0)
	v_mul_f64 v[46:47], v[170:171], v[172:173]
	v_fma_f64 v[46:47], v[168:169], v[44:45], -v[46:47]
	v_mul_f64 v[168:169], v[168:169], v[172:173]
	s_delay_alu instid0(VALU_DEP_2) | instskip(NEXT) | instid1(VALU_DEP_2)
	v_add_f64 v[36:37], v[36:37], -v[46:47]
	v_fma_f64 v[168:169], v[170:171], v[44:45], v[168:169]
	s_delay_alu instid0(VALU_DEP_1) | instskip(SKIP_3) | instid1(VALU_DEP_1)
	v_add_f64 v[38:39], v[38:39], -v[168:169]
	ds_load_2addr_b64 v[168:171], v216 offset0:60 offset1:61
	;; [unrolled: 10-line block ×10, first 2 shown]
	s_waitcnt lgkmcnt(0)
	v_mul_f64 v[46:47], v[170:171], v[172:173]
	v_fma_f64 v[46:47], v[168:169], v[44:45], -v[46:47]
	v_mul_f64 v[168:169], v[168:169], v[172:173]
	s_delay_alu instid0(VALU_DEP_2) | instskip(NEXT) | instid1(VALU_DEP_2)
	v_add_f64 v[0:1], v[0:1], -v[46:47]
	v_fma_f64 v[168:169], v[170:171], v[44:45], v[168:169]
	v_dual_mov_b32 v46, v172 :: v_dual_mov_b32 v47, v173
	s_delay_alu instid0(VALU_DEP_2)
	v_add_f64 v[2:3], v[2:3], -v[168:169]
.LBB77_253:
	s_or_b32 exec_lo, exec_lo, s3
	s_delay_alu instid0(SALU_CYCLE_1)
	s_mov_b32 s4, exec_lo
	s_waitcnt lgkmcnt(0)
	s_barrier
	buffer_gl0_inv
	v_cmpx_eq_u32_e32 28, v214
	s_cbranch_execz .LBB77_260
; %bb.254:
	ds_store_2addr_b64 v215, v[40:41], v[42:43] offset1:1
	ds_store_2addr_b64 v216, v[36:37], v[38:39] offset0:58 offset1:59
	ds_store_2addr_b64 v216, v[32:33], v[34:35] offset0:60 offset1:61
	ds_store_2addr_b64 v216, v[28:29], v[30:31] offset0:62 offset1:63
	ds_store_2addr_b64 v216, v[24:25], v[26:27] offset0:64 offset1:65
	ds_store_2addr_b64 v216, v[20:21], v[22:23] offset0:66 offset1:67
	ds_store_2addr_b64 v216, v[16:17], v[18:19] offset0:68 offset1:69
	ds_store_2addr_b64 v216, v[12:13], v[14:15] offset0:70 offset1:71
	ds_store_2addr_b64 v216, v[8:9], v[10:11] offset0:72 offset1:73
	ds_store_2addr_b64 v216, v[4:5], v[6:7] offset0:74 offset1:75
	ds_store_2addr_b64 v216, v[0:1], v[2:3] offset0:76 offset1:77
	ds_load_2addr_b64 v[168:171], v215 offset1:1
	s_waitcnt lgkmcnt(0)
	v_cmp_neq_f64_e32 vcc_lo, 0, v[168:169]
	v_cmp_neq_f64_e64 s3, 0, v[170:171]
	s_delay_alu instid0(VALU_DEP_1) | instskip(NEXT) | instid1(SALU_CYCLE_1)
	s_or_b32 s3, vcc_lo, s3
	s_and_b32 exec_lo, exec_lo, s3
	s_cbranch_execz .LBB77_260
; %bb.255:
	v_cmp_gt_f64_e32 vcc_lo, 0, v[168:169]
	v_xor_b32_e32 v172, 0x80000000, v169
	v_xor_b32_e32 v174, 0x80000000, v171
	s_mov_b32 s3, exec_lo
                                        ; implicit-def: $vgpr176_vgpr177
	s_delay_alu instid0(VALU_DEP_2) | instskip(SKIP_4) | instid1(VALU_DEP_1)
	v_cndmask_b32_e32 v173, v169, v172, vcc_lo
	v_cndmask_b32_e32 v172, v168, v168, vcc_lo
	v_cmp_gt_f64_e32 vcc_lo, 0, v[170:171]
	v_cndmask_b32_e32 v175, v171, v174, vcc_lo
	v_cndmask_b32_e32 v174, v170, v170, vcc_lo
	v_cmpx_ngt_f64_e32 v[172:173], v[174:175]
	s_xor_b32 s3, exec_lo, s3
                                        ; implicit-def: $vgpr172_vgpr173_vgpr174_vgpr175
	s_cbranch_execz .LBB77_257
; %bb.256:
	v_div_scale_f64 v[172:173], null, v[170:171], v[170:171], v[168:169]
	v_div_scale_f64 v[178:179], vcc_lo, v[168:169], v[170:171], v[168:169]
	s_delay_alu instid0(VALU_DEP_2) | instskip(SKIP_2) | instid1(VALU_DEP_1)
	v_rcp_f64_e32 v[174:175], v[172:173]
	s_waitcnt_depctr 0xfff
	v_fma_f64 v[176:177], -v[172:173], v[174:175], 1.0
	v_fma_f64 v[174:175], v[174:175], v[176:177], v[174:175]
	s_delay_alu instid0(VALU_DEP_1) | instskip(NEXT) | instid1(VALU_DEP_1)
	v_fma_f64 v[176:177], -v[172:173], v[174:175], 1.0
	v_fma_f64 v[174:175], v[174:175], v[176:177], v[174:175]
	s_delay_alu instid0(VALU_DEP_1) | instskip(NEXT) | instid1(VALU_DEP_1)
	v_mul_f64 v[176:177], v[178:179], v[174:175]
	v_fma_f64 v[172:173], -v[172:173], v[176:177], v[178:179]
	s_delay_alu instid0(VALU_DEP_1) | instskip(NEXT) | instid1(VALU_DEP_1)
	v_div_fmas_f64 v[172:173], v[172:173], v[174:175], v[176:177]
	v_div_fixup_f64 v[172:173], v[172:173], v[170:171], v[168:169]
	s_delay_alu instid0(VALU_DEP_1) | instskip(NEXT) | instid1(VALU_DEP_1)
	v_fma_f64 v[168:169], v[168:169], v[172:173], v[170:171]
	v_div_scale_f64 v[170:171], null, v[168:169], v[168:169], 1.0
	s_delay_alu instid0(VALU_DEP_1) | instskip(SKIP_2) | instid1(VALU_DEP_1)
	v_rcp_f64_e32 v[174:175], v[170:171]
	s_waitcnt_depctr 0xfff
	v_fma_f64 v[176:177], -v[170:171], v[174:175], 1.0
	v_fma_f64 v[174:175], v[174:175], v[176:177], v[174:175]
	s_delay_alu instid0(VALU_DEP_1) | instskip(NEXT) | instid1(VALU_DEP_1)
	v_fma_f64 v[176:177], -v[170:171], v[174:175], 1.0
	v_fma_f64 v[174:175], v[174:175], v[176:177], v[174:175]
	v_div_scale_f64 v[176:177], vcc_lo, 1.0, v[168:169], 1.0
	s_delay_alu instid0(VALU_DEP_1) | instskip(NEXT) | instid1(VALU_DEP_1)
	v_mul_f64 v[178:179], v[176:177], v[174:175]
	v_fma_f64 v[170:171], -v[170:171], v[178:179], v[176:177]
	s_delay_alu instid0(VALU_DEP_1) | instskip(NEXT) | instid1(VALU_DEP_1)
	v_div_fmas_f64 v[170:171], v[170:171], v[174:175], v[178:179]
	v_div_fixup_f64 v[174:175], v[170:171], v[168:169], 1.0
                                        ; implicit-def: $vgpr168_vgpr169
	s_delay_alu instid0(VALU_DEP_1)
	v_mul_f64 v[176:177], v[172:173], v[174:175]
	v_xor_b32_e32 v175, 0x80000000, v175
.LBB77_257:
	s_and_not1_saveexec_b32 s3, s3
	s_cbranch_execz .LBB77_259
; %bb.258:
	v_div_scale_f64 v[172:173], null, v[168:169], v[168:169], v[170:171]
	v_div_scale_f64 v[178:179], vcc_lo, v[170:171], v[168:169], v[170:171]
	s_delay_alu instid0(VALU_DEP_2) | instskip(SKIP_2) | instid1(VALU_DEP_1)
	v_rcp_f64_e32 v[174:175], v[172:173]
	s_waitcnt_depctr 0xfff
	v_fma_f64 v[176:177], -v[172:173], v[174:175], 1.0
	v_fma_f64 v[174:175], v[174:175], v[176:177], v[174:175]
	s_delay_alu instid0(VALU_DEP_1) | instskip(NEXT) | instid1(VALU_DEP_1)
	v_fma_f64 v[176:177], -v[172:173], v[174:175], 1.0
	v_fma_f64 v[174:175], v[174:175], v[176:177], v[174:175]
	s_delay_alu instid0(VALU_DEP_1) | instskip(NEXT) | instid1(VALU_DEP_1)
	v_mul_f64 v[176:177], v[178:179], v[174:175]
	v_fma_f64 v[172:173], -v[172:173], v[176:177], v[178:179]
	s_delay_alu instid0(VALU_DEP_1) | instskip(NEXT) | instid1(VALU_DEP_1)
	v_div_fmas_f64 v[172:173], v[172:173], v[174:175], v[176:177]
	v_div_fixup_f64 v[172:173], v[172:173], v[168:169], v[170:171]
	s_delay_alu instid0(VALU_DEP_1) | instskip(NEXT) | instid1(VALU_DEP_1)
	v_fma_f64 v[168:169], v[170:171], v[172:173], v[168:169]
	v_div_scale_f64 v[170:171], null, v[168:169], v[168:169], 1.0
	s_delay_alu instid0(VALU_DEP_1) | instskip(SKIP_2) | instid1(VALU_DEP_1)
	v_rcp_f64_e32 v[174:175], v[170:171]
	s_waitcnt_depctr 0xfff
	v_fma_f64 v[176:177], -v[170:171], v[174:175], 1.0
	v_fma_f64 v[174:175], v[174:175], v[176:177], v[174:175]
	s_delay_alu instid0(VALU_DEP_1) | instskip(NEXT) | instid1(VALU_DEP_1)
	v_fma_f64 v[176:177], -v[170:171], v[174:175], 1.0
	v_fma_f64 v[174:175], v[174:175], v[176:177], v[174:175]
	v_div_scale_f64 v[176:177], vcc_lo, 1.0, v[168:169], 1.0
	s_delay_alu instid0(VALU_DEP_1) | instskip(NEXT) | instid1(VALU_DEP_1)
	v_mul_f64 v[178:179], v[176:177], v[174:175]
	v_fma_f64 v[170:171], -v[170:171], v[178:179], v[176:177]
	s_delay_alu instid0(VALU_DEP_1) | instskip(NEXT) | instid1(VALU_DEP_1)
	v_div_fmas_f64 v[170:171], v[170:171], v[174:175], v[178:179]
	v_div_fixup_f64 v[176:177], v[170:171], v[168:169], 1.0
	s_delay_alu instid0(VALU_DEP_1)
	v_mul_f64 v[174:175], v[172:173], -v[176:177]
.LBB77_259:
	s_or_b32 exec_lo, exec_lo, s3
	ds_store_2addr_b64 v215, v[176:177], v[174:175] offset1:1
.LBB77_260:
	s_or_b32 exec_lo, exec_lo, s4
	s_waitcnt lgkmcnt(0)
	s_barrier
	buffer_gl0_inv
	ds_load_2addr_b64 v[168:171], v215 offset1:1
	s_mov_b32 s3, exec_lo
	v_cmpx_lt_u32_e32 28, v214
	s_cbranch_execz .LBB77_262
; %bb.261:
	s_waitcnt lgkmcnt(0)
	v_mul_f64 v[172:173], v[168:169], v[42:43]
	v_mul_f64 v[42:43], v[170:171], v[42:43]
	s_delay_alu instid0(VALU_DEP_2) | instskip(SKIP_4) | instid1(VALU_DEP_1)
	v_fma_f64 v[176:177], v[170:171], v[40:41], v[172:173]
	ds_load_2addr_b64 v[172:175], v216 offset0:58 offset1:59
	v_fma_f64 v[40:41], v[168:169], v[40:41], -v[42:43]
	s_waitcnt lgkmcnt(0)
	v_mul_f64 v[42:43], v[174:175], v[176:177]
	v_fma_f64 v[42:43], v[172:173], v[40:41], -v[42:43]
	v_mul_f64 v[172:173], v[172:173], v[176:177]
	s_delay_alu instid0(VALU_DEP_2) | instskip(NEXT) | instid1(VALU_DEP_2)
	v_add_f64 v[36:37], v[36:37], -v[42:43]
	v_fma_f64 v[172:173], v[174:175], v[40:41], v[172:173]
	s_delay_alu instid0(VALU_DEP_1) | instskip(SKIP_3) | instid1(VALU_DEP_1)
	v_add_f64 v[38:39], v[38:39], -v[172:173]
	ds_load_2addr_b64 v[172:175], v216 offset0:60 offset1:61
	s_waitcnt lgkmcnt(0)
	v_mul_f64 v[42:43], v[174:175], v[176:177]
	v_fma_f64 v[42:43], v[172:173], v[40:41], -v[42:43]
	v_mul_f64 v[172:173], v[172:173], v[176:177]
	s_delay_alu instid0(VALU_DEP_2) | instskip(NEXT) | instid1(VALU_DEP_2)
	v_add_f64 v[32:33], v[32:33], -v[42:43]
	v_fma_f64 v[172:173], v[174:175], v[40:41], v[172:173]
	s_delay_alu instid0(VALU_DEP_1) | instskip(SKIP_3) | instid1(VALU_DEP_1)
	v_add_f64 v[34:35], v[34:35], -v[172:173]
	ds_load_2addr_b64 v[172:175], v216 offset0:62 offset1:63
	;; [unrolled: 10-line block ×9, first 2 shown]
	s_waitcnt lgkmcnt(0)
	v_mul_f64 v[42:43], v[174:175], v[176:177]
	v_fma_f64 v[42:43], v[172:173], v[40:41], -v[42:43]
	v_mul_f64 v[172:173], v[172:173], v[176:177]
	s_delay_alu instid0(VALU_DEP_2) | instskip(NEXT) | instid1(VALU_DEP_2)
	v_add_f64 v[0:1], v[0:1], -v[42:43]
	v_fma_f64 v[172:173], v[174:175], v[40:41], v[172:173]
	v_dual_mov_b32 v42, v176 :: v_dual_mov_b32 v43, v177
	s_delay_alu instid0(VALU_DEP_2)
	v_add_f64 v[2:3], v[2:3], -v[172:173]
.LBB77_262:
	s_or_b32 exec_lo, exec_lo, s3
	s_delay_alu instid0(SALU_CYCLE_1)
	s_mov_b32 s4, exec_lo
	s_waitcnt lgkmcnt(0)
	s_barrier
	buffer_gl0_inv
	v_cmpx_eq_u32_e32 29, v214
	s_cbranch_execz .LBB77_269
; %bb.263:
	ds_store_2addr_b64 v215, v[36:37], v[38:39] offset1:1
	ds_store_2addr_b64 v216, v[32:33], v[34:35] offset0:60 offset1:61
	ds_store_2addr_b64 v216, v[28:29], v[30:31] offset0:62 offset1:63
	;; [unrolled: 1-line block ×9, first 2 shown]
	ds_load_2addr_b64 v[172:175], v215 offset1:1
	s_waitcnt lgkmcnt(0)
	v_cmp_neq_f64_e32 vcc_lo, 0, v[172:173]
	v_cmp_neq_f64_e64 s3, 0, v[174:175]
	s_delay_alu instid0(VALU_DEP_1) | instskip(NEXT) | instid1(SALU_CYCLE_1)
	s_or_b32 s3, vcc_lo, s3
	s_and_b32 exec_lo, exec_lo, s3
	s_cbranch_execz .LBB77_269
; %bb.264:
	v_cmp_gt_f64_e32 vcc_lo, 0, v[172:173]
	v_xor_b32_e32 v176, 0x80000000, v173
	v_xor_b32_e32 v178, 0x80000000, v175
	s_mov_b32 s3, exec_lo
                                        ; implicit-def: $vgpr180_vgpr181
	s_delay_alu instid0(VALU_DEP_2) | instskip(SKIP_4) | instid1(VALU_DEP_1)
	v_cndmask_b32_e32 v177, v173, v176, vcc_lo
	v_cndmask_b32_e32 v176, v172, v172, vcc_lo
	v_cmp_gt_f64_e32 vcc_lo, 0, v[174:175]
	v_cndmask_b32_e32 v179, v175, v178, vcc_lo
	v_cndmask_b32_e32 v178, v174, v174, vcc_lo
	v_cmpx_ngt_f64_e32 v[176:177], v[178:179]
	s_xor_b32 s3, exec_lo, s3
                                        ; implicit-def: $vgpr176_vgpr177_vgpr178_vgpr179
	s_cbranch_execz .LBB77_266
; %bb.265:
	v_div_scale_f64 v[176:177], null, v[174:175], v[174:175], v[172:173]
	v_div_scale_f64 v[182:183], vcc_lo, v[172:173], v[174:175], v[172:173]
	s_delay_alu instid0(VALU_DEP_2) | instskip(SKIP_2) | instid1(VALU_DEP_1)
	v_rcp_f64_e32 v[178:179], v[176:177]
	s_waitcnt_depctr 0xfff
	v_fma_f64 v[180:181], -v[176:177], v[178:179], 1.0
	v_fma_f64 v[178:179], v[178:179], v[180:181], v[178:179]
	s_delay_alu instid0(VALU_DEP_1) | instskip(NEXT) | instid1(VALU_DEP_1)
	v_fma_f64 v[180:181], -v[176:177], v[178:179], 1.0
	v_fma_f64 v[178:179], v[178:179], v[180:181], v[178:179]
	s_delay_alu instid0(VALU_DEP_1) | instskip(NEXT) | instid1(VALU_DEP_1)
	v_mul_f64 v[180:181], v[182:183], v[178:179]
	v_fma_f64 v[176:177], -v[176:177], v[180:181], v[182:183]
	s_delay_alu instid0(VALU_DEP_1) | instskip(NEXT) | instid1(VALU_DEP_1)
	v_div_fmas_f64 v[176:177], v[176:177], v[178:179], v[180:181]
	v_div_fixup_f64 v[176:177], v[176:177], v[174:175], v[172:173]
	s_delay_alu instid0(VALU_DEP_1) | instskip(NEXT) | instid1(VALU_DEP_1)
	v_fma_f64 v[172:173], v[172:173], v[176:177], v[174:175]
	v_div_scale_f64 v[174:175], null, v[172:173], v[172:173], 1.0
	s_delay_alu instid0(VALU_DEP_1) | instskip(SKIP_2) | instid1(VALU_DEP_1)
	v_rcp_f64_e32 v[178:179], v[174:175]
	s_waitcnt_depctr 0xfff
	v_fma_f64 v[180:181], -v[174:175], v[178:179], 1.0
	v_fma_f64 v[178:179], v[178:179], v[180:181], v[178:179]
	s_delay_alu instid0(VALU_DEP_1) | instskip(NEXT) | instid1(VALU_DEP_1)
	v_fma_f64 v[180:181], -v[174:175], v[178:179], 1.0
	v_fma_f64 v[178:179], v[178:179], v[180:181], v[178:179]
	v_div_scale_f64 v[180:181], vcc_lo, 1.0, v[172:173], 1.0
	s_delay_alu instid0(VALU_DEP_1) | instskip(NEXT) | instid1(VALU_DEP_1)
	v_mul_f64 v[182:183], v[180:181], v[178:179]
	v_fma_f64 v[174:175], -v[174:175], v[182:183], v[180:181]
	s_delay_alu instid0(VALU_DEP_1) | instskip(NEXT) | instid1(VALU_DEP_1)
	v_div_fmas_f64 v[174:175], v[174:175], v[178:179], v[182:183]
	v_div_fixup_f64 v[178:179], v[174:175], v[172:173], 1.0
                                        ; implicit-def: $vgpr172_vgpr173
	s_delay_alu instid0(VALU_DEP_1)
	v_mul_f64 v[180:181], v[176:177], v[178:179]
	v_xor_b32_e32 v179, 0x80000000, v179
.LBB77_266:
	s_and_not1_saveexec_b32 s3, s3
	s_cbranch_execz .LBB77_268
; %bb.267:
	v_div_scale_f64 v[176:177], null, v[172:173], v[172:173], v[174:175]
	v_div_scale_f64 v[182:183], vcc_lo, v[174:175], v[172:173], v[174:175]
	s_delay_alu instid0(VALU_DEP_2) | instskip(SKIP_2) | instid1(VALU_DEP_1)
	v_rcp_f64_e32 v[178:179], v[176:177]
	s_waitcnt_depctr 0xfff
	v_fma_f64 v[180:181], -v[176:177], v[178:179], 1.0
	v_fma_f64 v[178:179], v[178:179], v[180:181], v[178:179]
	s_delay_alu instid0(VALU_DEP_1) | instskip(NEXT) | instid1(VALU_DEP_1)
	v_fma_f64 v[180:181], -v[176:177], v[178:179], 1.0
	v_fma_f64 v[178:179], v[178:179], v[180:181], v[178:179]
	s_delay_alu instid0(VALU_DEP_1) | instskip(NEXT) | instid1(VALU_DEP_1)
	v_mul_f64 v[180:181], v[182:183], v[178:179]
	v_fma_f64 v[176:177], -v[176:177], v[180:181], v[182:183]
	s_delay_alu instid0(VALU_DEP_1) | instskip(NEXT) | instid1(VALU_DEP_1)
	v_div_fmas_f64 v[176:177], v[176:177], v[178:179], v[180:181]
	v_div_fixup_f64 v[176:177], v[176:177], v[172:173], v[174:175]
	s_delay_alu instid0(VALU_DEP_1) | instskip(NEXT) | instid1(VALU_DEP_1)
	v_fma_f64 v[172:173], v[174:175], v[176:177], v[172:173]
	v_div_scale_f64 v[174:175], null, v[172:173], v[172:173], 1.0
	s_delay_alu instid0(VALU_DEP_1) | instskip(SKIP_2) | instid1(VALU_DEP_1)
	v_rcp_f64_e32 v[178:179], v[174:175]
	s_waitcnt_depctr 0xfff
	v_fma_f64 v[180:181], -v[174:175], v[178:179], 1.0
	v_fma_f64 v[178:179], v[178:179], v[180:181], v[178:179]
	s_delay_alu instid0(VALU_DEP_1) | instskip(NEXT) | instid1(VALU_DEP_1)
	v_fma_f64 v[180:181], -v[174:175], v[178:179], 1.0
	v_fma_f64 v[178:179], v[178:179], v[180:181], v[178:179]
	v_div_scale_f64 v[180:181], vcc_lo, 1.0, v[172:173], 1.0
	s_delay_alu instid0(VALU_DEP_1) | instskip(NEXT) | instid1(VALU_DEP_1)
	v_mul_f64 v[182:183], v[180:181], v[178:179]
	v_fma_f64 v[174:175], -v[174:175], v[182:183], v[180:181]
	s_delay_alu instid0(VALU_DEP_1) | instskip(NEXT) | instid1(VALU_DEP_1)
	v_div_fmas_f64 v[174:175], v[174:175], v[178:179], v[182:183]
	v_div_fixup_f64 v[180:181], v[174:175], v[172:173], 1.0
	s_delay_alu instid0(VALU_DEP_1)
	v_mul_f64 v[178:179], v[176:177], -v[180:181]
.LBB77_268:
	s_or_b32 exec_lo, exec_lo, s3
	ds_store_2addr_b64 v215, v[180:181], v[178:179] offset1:1
.LBB77_269:
	s_or_b32 exec_lo, exec_lo, s4
	s_waitcnt lgkmcnt(0)
	s_barrier
	buffer_gl0_inv
	ds_load_2addr_b64 v[172:175], v215 offset1:1
	s_mov_b32 s3, exec_lo
	v_cmpx_lt_u32_e32 29, v214
	s_cbranch_execz .LBB77_271
; %bb.270:
	s_waitcnt lgkmcnt(0)
	v_mul_f64 v[176:177], v[172:173], v[38:39]
	v_mul_f64 v[38:39], v[174:175], v[38:39]
	s_delay_alu instid0(VALU_DEP_2) | instskip(SKIP_4) | instid1(VALU_DEP_1)
	v_fma_f64 v[180:181], v[174:175], v[36:37], v[176:177]
	ds_load_2addr_b64 v[176:179], v216 offset0:60 offset1:61
	v_fma_f64 v[36:37], v[172:173], v[36:37], -v[38:39]
	s_waitcnt lgkmcnt(0)
	v_mul_f64 v[38:39], v[178:179], v[180:181]
	v_fma_f64 v[38:39], v[176:177], v[36:37], -v[38:39]
	v_mul_f64 v[176:177], v[176:177], v[180:181]
	s_delay_alu instid0(VALU_DEP_2) | instskip(NEXT) | instid1(VALU_DEP_2)
	v_add_f64 v[32:33], v[32:33], -v[38:39]
	v_fma_f64 v[176:177], v[178:179], v[36:37], v[176:177]
	s_delay_alu instid0(VALU_DEP_1) | instskip(SKIP_3) | instid1(VALU_DEP_1)
	v_add_f64 v[34:35], v[34:35], -v[176:177]
	ds_load_2addr_b64 v[176:179], v216 offset0:62 offset1:63
	s_waitcnt lgkmcnt(0)
	v_mul_f64 v[38:39], v[178:179], v[180:181]
	v_fma_f64 v[38:39], v[176:177], v[36:37], -v[38:39]
	v_mul_f64 v[176:177], v[176:177], v[180:181]
	s_delay_alu instid0(VALU_DEP_2) | instskip(NEXT) | instid1(VALU_DEP_2)
	v_add_f64 v[28:29], v[28:29], -v[38:39]
	v_fma_f64 v[176:177], v[178:179], v[36:37], v[176:177]
	s_delay_alu instid0(VALU_DEP_1) | instskip(SKIP_3) | instid1(VALU_DEP_1)
	v_add_f64 v[30:31], v[30:31], -v[176:177]
	ds_load_2addr_b64 v[176:179], v216 offset0:64 offset1:65
	;; [unrolled: 10-line block ×8, first 2 shown]
	s_waitcnt lgkmcnt(0)
	v_mul_f64 v[38:39], v[178:179], v[180:181]
	v_fma_f64 v[38:39], v[176:177], v[36:37], -v[38:39]
	v_mul_f64 v[176:177], v[176:177], v[180:181]
	s_delay_alu instid0(VALU_DEP_2) | instskip(NEXT) | instid1(VALU_DEP_2)
	v_add_f64 v[0:1], v[0:1], -v[38:39]
	v_fma_f64 v[176:177], v[178:179], v[36:37], v[176:177]
	v_dual_mov_b32 v38, v180 :: v_dual_mov_b32 v39, v181
	s_delay_alu instid0(VALU_DEP_2)
	v_add_f64 v[2:3], v[2:3], -v[176:177]
.LBB77_271:
	s_or_b32 exec_lo, exec_lo, s3
	s_delay_alu instid0(SALU_CYCLE_1)
	s_mov_b32 s4, exec_lo
	s_waitcnt lgkmcnt(0)
	s_barrier
	buffer_gl0_inv
	v_cmpx_eq_u32_e32 30, v214
	s_cbranch_execz .LBB77_278
; %bb.272:
	ds_store_2addr_b64 v215, v[32:33], v[34:35] offset1:1
	ds_store_2addr_b64 v216, v[28:29], v[30:31] offset0:62 offset1:63
	ds_store_2addr_b64 v216, v[24:25], v[26:27] offset0:64 offset1:65
	;; [unrolled: 1-line block ×8, first 2 shown]
	ds_load_2addr_b64 v[176:179], v215 offset1:1
	s_waitcnt lgkmcnt(0)
	v_cmp_neq_f64_e32 vcc_lo, 0, v[176:177]
	v_cmp_neq_f64_e64 s3, 0, v[178:179]
	s_delay_alu instid0(VALU_DEP_1) | instskip(NEXT) | instid1(SALU_CYCLE_1)
	s_or_b32 s3, vcc_lo, s3
	s_and_b32 exec_lo, exec_lo, s3
	s_cbranch_execz .LBB77_278
; %bb.273:
	v_cmp_gt_f64_e32 vcc_lo, 0, v[176:177]
	v_xor_b32_e32 v180, 0x80000000, v177
	v_xor_b32_e32 v182, 0x80000000, v179
	s_mov_b32 s3, exec_lo
                                        ; implicit-def: $vgpr184_vgpr185
	s_delay_alu instid0(VALU_DEP_2) | instskip(SKIP_4) | instid1(VALU_DEP_1)
	v_cndmask_b32_e32 v181, v177, v180, vcc_lo
	v_cndmask_b32_e32 v180, v176, v176, vcc_lo
	v_cmp_gt_f64_e32 vcc_lo, 0, v[178:179]
	v_cndmask_b32_e32 v183, v179, v182, vcc_lo
	v_cndmask_b32_e32 v182, v178, v178, vcc_lo
	v_cmpx_ngt_f64_e32 v[180:181], v[182:183]
	s_xor_b32 s3, exec_lo, s3
                                        ; implicit-def: $vgpr180_vgpr181_vgpr182_vgpr183
	s_cbranch_execz .LBB77_275
; %bb.274:
	v_div_scale_f64 v[180:181], null, v[178:179], v[178:179], v[176:177]
	v_div_scale_f64 v[186:187], vcc_lo, v[176:177], v[178:179], v[176:177]
	s_delay_alu instid0(VALU_DEP_2) | instskip(SKIP_2) | instid1(VALU_DEP_1)
	v_rcp_f64_e32 v[182:183], v[180:181]
	s_waitcnt_depctr 0xfff
	v_fma_f64 v[184:185], -v[180:181], v[182:183], 1.0
	v_fma_f64 v[182:183], v[182:183], v[184:185], v[182:183]
	s_delay_alu instid0(VALU_DEP_1) | instskip(NEXT) | instid1(VALU_DEP_1)
	v_fma_f64 v[184:185], -v[180:181], v[182:183], 1.0
	v_fma_f64 v[182:183], v[182:183], v[184:185], v[182:183]
	s_delay_alu instid0(VALU_DEP_1) | instskip(NEXT) | instid1(VALU_DEP_1)
	v_mul_f64 v[184:185], v[186:187], v[182:183]
	v_fma_f64 v[180:181], -v[180:181], v[184:185], v[186:187]
	s_delay_alu instid0(VALU_DEP_1) | instskip(NEXT) | instid1(VALU_DEP_1)
	v_div_fmas_f64 v[180:181], v[180:181], v[182:183], v[184:185]
	v_div_fixup_f64 v[180:181], v[180:181], v[178:179], v[176:177]
	s_delay_alu instid0(VALU_DEP_1) | instskip(NEXT) | instid1(VALU_DEP_1)
	v_fma_f64 v[176:177], v[176:177], v[180:181], v[178:179]
	v_div_scale_f64 v[178:179], null, v[176:177], v[176:177], 1.0
	s_delay_alu instid0(VALU_DEP_1) | instskip(SKIP_2) | instid1(VALU_DEP_1)
	v_rcp_f64_e32 v[182:183], v[178:179]
	s_waitcnt_depctr 0xfff
	v_fma_f64 v[184:185], -v[178:179], v[182:183], 1.0
	v_fma_f64 v[182:183], v[182:183], v[184:185], v[182:183]
	s_delay_alu instid0(VALU_DEP_1) | instskip(NEXT) | instid1(VALU_DEP_1)
	v_fma_f64 v[184:185], -v[178:179], v[182:183], 1.0
	v_fma_f64 v[182:183], v[182:183], v[184:185], v[182:183]
	v_div_scale_f64 v[184:185], vcc_lo, 1.0, v[176:177], 1.0
	s_delay_alu instid0(VALU_DEP_1) | instskip(NEXT) | instid1(VALU_DEP_1)
	v_mul_f64 v[186:187], v[184:185], v[182:183]
	v_fma_f64 v[178:179], -v[178:179], v[186:187], v[184:185]
	s_delay_alu instid0(VALU_DEP_1) | instskip(NEXT) | instid1(VALU_DEP_1)
	v_div_fmas_f64 v[178:179], v[178:179], v[182:183], v[186:187]
	v_div_fixup_f64 v[182:183], v[178:179], v[176:177], 1.0
                                        ; implicit-def: $vgpr176_vgpr177
	s_delay_alu instid0(VALU_DEP_1)
	v_mul_f64 v[184:185], v[180:181], v[182:183]
	v_xor_b32_e32 v183, 0x80000000, v183
.LBB77_275:
	s_and_not1_saveexec_b32 s3, s3
	s_cbranch_execz .LBB77_277
; %bb.276:
	v_div_scale_f64 v[180:181], null, v[176:177], v[176:177], v[178:179]
	v_div_scale_f64 v[186:187], vcc_lo, v[178:179], v[176:177], v[178:179]
	s_delay_alu instid0(VALU_DEP_2) | instskip(SKIP_2) | instid1(VALU_DEP_1)
	v_rcp_f64_e32 v[182:183], v[180:181]
	s_waitcnt_depctr 0xfff
	v_fma_f64 v[184:185], -v[180:181], v[182:183], 1.0
	v_fma_f64 v[182:183], v[182:183], v[184:185], v[182:183]
	s_delay_alu instid0(VALU_DEP_1) | instskip(NEXT) | instid1(VALU_DEP_1)
	v_fma_f64 v[184:185], -v[180:181], v[182:183], 1.0
	v_fma_f64 v[182:183], v[182:183], v[184:185], v[182:183]
	s_delay_alu instid0(VALU_DEP_1) | instskip(NEXT) | instid1(VALU_DEP_1)
	v_mul_f64 v[184:185], v[186:187], v[182:183]
	v_fma_f64 v[180:181], -v[180:181], v[184:185], v[186:187]
	s_delay_alu instid0(VALU_DEP_1) | instskip(NEXT) | instid1(VALU_DEP_1)
	v_div_fmas_f64 v[180:181], v[180:181], v[182:183], v[184:185]
	v_div_fixup_f64 v[180:181], v[180:181], v[176:177], v[178:179]
	s_delay_alu instid0(VALU_DEP_1) | instskip(NEXT) | instid1(VALU_DEP_1)
	v_fma_f64 v[176:177], v[178:179], v[180:181], v[176:177]
	v_div_scale_f64 v[178:179], null, v[176:177], v[176:177], 1.0
	s_delay_alu instid0(VALU_DEP_1) | instskip(SKIP_2) | instid1(VALU_DEP_1)
	v_rcp_f64_e32 v[182:183], v[178:179]
	s_waitcnt_depctr 0xfff
	v_fma_f64 v[184:185], -v[178:179], v[182:183], 1.0
	v_fma_f64 v[182:183], v[182:183], v[184:185], v[182:183]
	s_delay_alu instid0(VALU_DEP_1) | instskip(NEXT) | instid1(VALU_DEP_1)
	v_fma_f64 v[184:185], -v[178:179], v[182:183], 1.0
	v_fma_f64 v[182:183], v[182:183], v[184:185], v[182:183]
	v_div_scale_f64 v[184:185], vcc_lo, 1.0, v[176:177], 1.0
	s_delay_alu instid0(VALU_DEP_1) | instskip(NEXT) | instid1(VALU_DEP_1)
	v_mul_f64 v[186:187], v[184:185], v[182:183]
	v_fma_f64 v[178:179], -v[178:179], v[186:187], v[184:185]
	s_delay_alu instid0(VALU_DEP_1) | instskip(NEXT) | instid1(VALU_DEP_1)
	v_div_fmas_f64 v[178:179], v[178:179], v[182:183], v[186:187]
	v_div_fixup_f64 v[184:185], v[178:179], v[176:177], 1.0
	s_delay_alu instid0(VALU_DEP_1)
	v_mul_f64 v[182:183], v[180:181], -v[184:185]
.LBB77_277:
	s_or_b32 exec_lo, exec_lo, s3
	ds_store_2addr_b64 v215, v[184:185], v[182:183] offset1:1
.LBB77_278:
	s_or_b32 exec_lo, exec_lo, s4
	s_waitcnt lgkmcnt(0)
	s_barrier
	buffer_gl0_inv
	ds_load_2addr_b64 v[176:179], v215 offset1:1
	s_mov_b32 s3, exec_lo
	v_cmpx_lt_u32_e32 30, v214
	s_cbranch_execz .LBB77_280
; %bb.279:
	s_waitcnt lgkmcnt(0)
	v_mul_f64 v[180:181], v[176:177], v[34:35]
	v_mul_f64 v[34:35], v[178:179], v[34:35]
	s_delay_alu instid0(VALU_DEP_2) | instskip(SKIP_4) | instid1(VALU_DEP_1)
	v_fma_f64 v[184:185], v[178:179], v[32:33], v[180:181]
	ds_load_2addr_b64 v[180:183], v216 offset0:62 offset1:63
	v_fma_f64 v[32:33], v[176:177], v[32:33], -v[34:35]
	s_waitcnt lgkmcnt(0)
	v_mul_f64 v[34:35], v[182:183], v[184:185]
	v_fma_f64 v[34:35], v[180:181], v[32:33], -v[34:35]
	v_mul_f64 v[180:181], v[180:181], v[184:185]
	s_delay_alu instid0(VALU_DEP_2) | instskip(NEXT) | instid1(VALU_DEP_2)
	v_add_f64 v[28:29], v[28:29], -v[34:35]
	v_fma_f64 v[180:181], v[182:183], v[32:33], v[180:181]
	s_delay_alu instid0(VALU_DEP_1) | instskip(SKIP_3) | instid1(VALU_DEP_1)
	v_add_f64 v[30:31], v[30:31], -v[180:181]
	ds_load_2addr_b64 v[180:183], v216 offset0:64 offset1:65
	s_waitcnt lgkmcnt(0)
	v_mul_f64 v[34:35], v[182:183], v[184:185]
	v_fma_f64 v[34:35], v[180:181], v[32:33], -v[34:35]
	v_mul_f64 v[180:181], v[180:181], v[184:185]
	s_delay_alu instid0(VALU_DEP_2) | instskip(NEXT) | instid1(VALU_DEP_2)
	v_add_f64 v[24:25], v[24:25], -v[34:35]
	v_fma_f64 v[180:181], v[182:183], v[32:33], v[180:181]
	s_delay_alu instid0(VALU_DEP_1) | instskip(SKIP_3) | instid1(VALU_DEP_1)
	v_add_f64 v[26:27], v[26:27], -v[180:181]
	ds_load_2addr_b64 v[180:183], v216 offset0:66 offset1:67
	s_waitcnt lgkmcnt(0)
	v_mul_f64 v[34:35], v[182:183], v[184:185]
	v_fma_f64 v[34:35], v[180:181], v[32:33], -v[34:35]
	v_mul_f64 v[180:181], v[180:181], v[184:185]
	s_delay_alu instid0(VALU_DEP_2) | instskip(NEXT) | instid1(VALU_DEP_2)
	v_add_f64 v[20:21], v[20:21], -v[34:35]
	v_fma_f64 v[180:181], v[182:183], v[32:33], v[180:181]
	s_delay_alu instid0(VALU_DEP_1) | instskip(SKIP_3) | instid1(VALU_DEP_1)
	v_add_f64 v[22:23], v[22:23], -v[180:181]
	ds_load_2addr_b64 v[180:183], v216 offset0:68 offset1:69
	s_waitcnt lgkmcnt(0)
	v_mul_f64 v[34:35], v[182:183], v[184:185]
	v_fma_f64 v[34:35], v[180:181], v[32:33], -v[34:35]
	v_mul_f64 v[180:181], v[180:181], v[184:185]
	s_delay_alu instid0(VALU_DEP_2) | instskip(NEXT) | instid1(VALU_DEP_2)
	v_add_f64 v[16:17], v[16:17], -v[34:35]
	v_fma_f64 v[180:181], v[182:183], v[32:33], v[180:181]
	s_delay_alu instid0(VALU_DEP_1) | instskip(SKIP_3) | instid1(VALU_DEP_1)
	v_add_f64 v[18:19], v[18:19], -v[180:181]
	ds_load_2addr_b64 v[180:183], v216 offset0:70 offset1:71
	s_waitcnt lgkmcnt(0)
	v_mul_f64 v[34:35], v[182:183], v[184:185]
	v_fma_f64 v[34:35], v[180:181], v[32:33], -v[34:35]
	v_mul_f64 v[180:181], v[180:181], v[184:185]
	s_delay_alu instid0(VALU_DEP_2) | instskip(NEXT) | instid1(VALU_DEP_2)
	v_add_f64 v[12:13], v[12:13], -v[34:35]
	v_fma_f64 v[180:181], v[182:183], v[32:33], v[180:181]
	s_delay_alu instid0(VALU_DEP_1) | instskip(SKIP_3) | instid1(VALU_DEP_1)
	v_add_f64 v[14:15], v[14:15], -v[180:181]
	ds_load_2addr_b64 v[180:183], v216 offset0:72 offset1:73
	s_waitcnt lgkmcnt(0)
	v_mul_f64 v[34:35], v[182:183], v[184:185]
	v_fma_f64 v[34:35], v[180:181], v[32:33], -v[34:35]
	v_mul_f64 v[180:181], v[180:181], v[184:185]
	s_delay_alu instid0(VALU_DEP_2) | instskip(NEXT) | instid1(VALU_DEP_2)
	v_add_f64 v[8:9], v[8:9], -v[34:35]
	v_fma_f64 v[180:181], v[182:183], v[32:33], v[180:181]
	s_delay_alu instid0(VALU_DEP_1) | instskip(SKIP_3) | instid1(VALU_DEP_1)
	v_add_f64 v[10:11], v[10:11], -v[180:181]
	ds_load_2addr_b64 v[180:183], v216 offset0:74 offset1:75
	s_waitcnt lgkmcnt(0)
	v_mul_f64 v[34:35], v[182:183], v[184:185]
	v_fma_f64 v[34:35], v[180:181], v[32:33], -v[34:35]
	v_mul_f64 v[180:181], v[180:181], v[184:185]
	s_delay_alu instid0(VALU_DEP_2) | instskip(NEXT) | instid1(VALU_DEP_2)
	v_add_f64 v[4:5], v[4:5], -v[34:35]
	v_fma_f64 v[180:181], v[182:183], v[32:33], v[180:181]
	s_delay_alu instid0(VALU_DEP_1) | instskip(SKIP_3) | instid1(VALU_DEP_1)
	v_add_f64 v[6:7], v[6:7], -v[180:181]
	ds_load_2addr_b64 v[180:183], v216 offset0:76 offset1:77
	s_waitcnt lgkmcnt(0)
	v_mul_f64 v[34:35], v[182:183], v[184:185]
	v_fma_f64 v[34:35], v[180:181], v[32:33], -v[34:35]
	v_mul_f64 v[180:181], v[180:181], v[184:185]
	s_delay_alu instid0(VALU_DEP_2) | instskip(NEXT) | instid1(VALU_DEP_2)
	v_add_f64 v[0:1], v[0:1], -v[34:35]
	v_fma_f64 v[180:181], v[182:183], v[32:33], v[180:181]
	v_dual_mov_b32 v34, v184 :: v_dual_mov_b32 v35, v185
	s_delay_alu instid0(VALU_DEP_2)
	v_add_f64 v[2:3], v[2:3], -v[180:181]
.LBB77_280:
	s_or_b32 exec_lo, exec_lo, s3
	s_delay_alu instid0(SALU_CYCLE_1)
	s_mov_b32 s4, exec_lo
	s_waitcnt lgkmcnt(0)
	s_barrier
	buffer_gl0_inv
	v_cmpx_eq_u32_e32 31, v214
	s_cbranch_execz .LBB77_287
; %bb.281:
	ds_store_2addr_b64 v215, v[28:29], v[30:31] offset1:1
	ds_store_2addr_b64 v216, v[24:25], v[26:27] offset0:64 offset1:65
	ds_store_2addr_b64 v216, v[20:21], v[22:23] offset0:66 offset1:67
	ds_store_2addr_b64 v216, v[16:17], v[18:19] offset0:68 offset1:69
	ds_store_2addr_b64 v216, v[12:13], v[14:15] offset0:70 offset1:71
	ds_store_2addr_b64 v216, v[8:9], v[10:11] offset0:72 offset1:73
	ds_store_2addr_b64 v216, v[4:5], v[6:7] offset0:74 offset1:75
	ds_store_2addr_b64 v216, v[0:1], v[2:3] offset0:76 offset1:77
	ds_load_2addr_b64 v[180:183], v215 offset1:1
	s_waitcnt lgkmcnt(0)
	v_cmp_neq_f64_e32 vcc_lo, 0, v[180:181]
	v_cmp_neq_f64_e64 s3, 0, v[182:183]
	s_delay_alu instid0(VALU_DEP_1) | instskip(NEXT) | instid1(SALU_CYCLE_1)
	s_or_b32 s3, vcc_lo, s3
	s_and_b32 exec_lo, exec_lo, s3
	s_cbranch_execz .LBB77_287
; %bb.282:
	v_cmp_gt_f64_e32 vcc_lo, 0, v[180:181]
	v_xor_b32_e32 v184, 0x80000000, v181
	v_xor_b32_e32 v186, 0x80000000, v183
	s_mov_b32 s3, exec_lo
                                        ; implicit-def: $vgpr188_vgpr189
	s_delay_alu instid0(VALU_DEP_2) | instskip(SKIP_4) | instid1(VALU_DEP_1)
	v_cndmask_b32_e32 v185, v181, v184, vcc_lo
	v_cndmask_b32_e32 v184, v180, v180, vcc_lo
	v_cmp_gt_f64_e32 vcc_lo, 0, v[182:183]
	v_cndmask_b32_e32 v187, v183, v186, vcc_lo
	v_cndmask_b32_e32 v186, v182, v182, vcc_lo
	v_cmpx_ngt_f64_e32 v[184:185], v[186:187]
	s_xor_b32 s3, exec_lo, s3
                                        ; implicit-def: $vgpr184_vgpr185_vgpr186_vgpr187
	s_cbranch_execz .LBB77_284
; %bb.283:
	v_div_scale_f64 v[184:185], null, v[182:183], v[182:183], v[180:181]
	v_div_scale_f64 v[190:191], vcc_lo, v[180:181], v[182:183], v[180:181]
	s_delay_alu instid0(VALU_DEP_2) | instskip(SKIP_2) | instid1(VALU_DEP_1)
	v_rcp_f64_e32 v[186:187], v[184:185]
	s_waitcnt_depctr 0xfff
	v_fma_f64 v[188:189], -v[184:185], v[186:187], 1.0
	v_fma_f64 v[186:187], v[186:187], v[188:189], v[186:187]
	s_delay_alu instid0(VALU_DEP_1) | instskip(NEXT) | instid1(VALU_DEP_1)
	v_fma_f64 v[188:189], -v[184:185], v[186:187], 1.0
	v_fma_f64 v[186:187], v[186:187], v[188:189], v[186:187]
	s_delay_alu instid0(VALU_DEP_1) | instskip(NEXT) | instid1(VALU_DEP_1)
	v_mul_f64 v[188:189], v[190:191], v[186:187]
	v_fma_f64 v[184:185], -v[184:185], v[188:189], v[190:191]
	s_delay_alu instid0(VALU_DEP_1) | instskip(NEXT) | instid1(VALU_DEP_1)
	v_div_fmas_f64 v[184:185], v[184:185], v[186:187], v[188:189]
	v_div_fixup_f64 v[184:185], v[184:185], v[182:183], v[180:181]
	s_delay_alu instid0(VALU_DEP_1) | instskip(NEXT) | instid1(VALU_DEP_1)
	v_fma_f64 v[180:181], v[180:181], v[184:185], v[182:183]
	v_div_scale_f64 v[182:183], null, v[180:181], v[180:181], 1.0
	s_delay_alu instid0(VALU_DEP_1) | instskip(SKIP_2) | instid1(VALU_DEP_1)
	v_rcp_f64_e32 v[186:187], v[182:183]
	s_waitcnt_depctr 0xfff
	v_fma_f64 v[188:189], -v[182:183], v[186:187], 1.0
	v_fma_f64 v[186:187], v[186:187], v[188:189], v[186:187]
	s_delay_alu instid0(VALU_DEP_1) | instskip(NEXT) | instid1(VALU_DEP_1)
	v_fma_f64 v[188:189], -v[182:183], v[186:187], 1.0
	v_fma_f64 v[186:187], v[186:187], v[188:189], v[186:187]
	v_div_scale_f64 v[188:189], vcc_lo, 1.0, v[180:181], 1.0
	s_delay_alu instid0(VALU_DEP_1) | instskip(NEXT) | instid1(VALU_DEP_1)
	v_mul_f64 v[190:191], v[188:189], v[186:187]
	v_fma_f64 v[182:183], -v[182:183], v[190:191], v[188:189]
	s_delay_alu instid0(VALU_DEP_1) | instskip(NEXT) | instid1(VALU_DEP_1)
	v_div_fmas_f64 v[182:183], v[182:183], v[186:187], v[190:191]
	v_div_fixup_f64 v[186:187], v[182:183], v[180:181], 1.0
                                        ; implicit-def: $vgpr180_vgpr181
	s_delay_alu instid0(VALU_DEP_1)
	v_mul_f64 v[188:189], v[184:185], v[186:187]
	v_xor_b32_e32 v187, 0x80000000, v187
.LBB77_284:
	s_and_not1_saveexec_b32 s3, s3
	s_cbranch_execz .LBB77_286
; %bb.285:
	v_div_scale_f64 v[184:185], null, v[180:181], v[180:181], v[182:183]
	v_div_scale_f64 v[190:191], vcc_lo, v[182:183], v[180:181], v[182:183]
	s_delay_alu instid0(VALU_DEP_2) | instskip(SKIP_2) | instid1(VALU_DEP_1)
	v_rcp_f64_e32 v[186:187], v[184:185]
	s_waitcnt_depctr 0xfff
	v_fma_f64 v[188:189], -v[184:185], v[186:187], 1.0
	v_fma_f64 v[186:187], v[186:187], v[188:189], v[186:187]
	s_delay_alu instid0(VALU_DEP_1) | instskip(NEXT) | instid1(VALU_DEP_1)
	v_fma_f64 v[188:189], -v[184:185], v[186:187], 1.0
	v_fma_f64 v[186:187], v[186:187], v[188:189], v[186:187]
	s_delay_alu instid0(VALU_DEP_1) | instskip(NEXT) | instid1(VALU_DEP_1)
	v_mul_f64 v[188:189], v[190:191], v[186:187]
	v_fma_f64 v[184:185], -v[184:185], v[188:189], v[190:191]
	s_delay_alu instid0(VALU_DEP_1) | instskip(NEXT) | instid1(VALU_DEP_1)
	v_div_fmas_f64 v[184:185], v[184:185], v[186:187], v[188:189]
	v_div_fixup_f64 v[184:185], v[184:185], v[180:181], v[182:183]
	s_delay_alu instid0(VALU_DEP_1) | instskip(NEXT) | instid1(VALU_DEP_1)
	v_fma_f64 v[180:181], v[182:183], v[184:185], v[180:181]
	v_div_scale_f64 v[182:183], null, v[180:181], v[180:181], 1.0
	s_delay_alu instid0(VALU_DEP_1) | instskip(SKIP_2) | instid1(VALU_DEP_1)
	v_rcp_f64_e32 v[186:187], v[182:183]
	s_waitcnt_depctr 0xfff
	v_fma_f64 v[188:189], -v[182:183], v[186:187], 1.0
	v_fma_f64 v[186:187], v[186:187], v[188:189], v[186:187]
	s_delay_alu instid0(VALU_DEP_1) | instskip(NEXT) | instid1(VALU_DEP_1)
	v_fma_f64 v[188:189], -v[182:183], v[186:187], 1.0
	v_fma_f64 v[186:187], v[186:187], v[188:189], v[186:187]
	v_div_scale_f64 v[188:189], vcc_lo, 1.0, v[180:181], 1.0
	s_delay_alu instid0(VALU_DEP_1) | instskip(NEXT) | instid1(VALU_DEP_1)
	v_mul_f64 v[190:191], v[188:189], v[186:187]
	v_fma_f64 v[182:183], -v[182:183], v[190:191], v[188:189]
	s_delay_alu instid0(VALU_DEP_1) | instskip(NEXT) | instid1(VALU_DEP_1)
	v_div_fmas_f64 v[182:183], v[182:183], v[186:187], v[190:191]
	v_div_fixup_f64 v[188:189], v[182:183], v[180:181], 1.0
	s_delay_alu instid0(VALU_DEP_1)
	v_mul_f64 v[186:187], v[184:185], -v[188:189]
.LBB77_286:
	s_or_b32 exec_lo, exec_lo, s3
	ds_store_2addr_b64 v215, v[188:189], v[186:187] offset1:1
.LBB77_287:
	s_or_b32 exec_lo, exec_lo, s4
	s_waitcnt lgkmcnt(0)
	s_barrier
	buffer_gl0_inv
	ds_load_2addr_b64 v[180:183], v215 offset1:1
	s_mov_b32 s3, exec_lo
	v_cmpx_lt_u32_e32 31, v214
	s_cbranch_execz .LBB77_289
; %bb.288:
	s_waitcnt lgkmcnt(0)
	v_mul_f64 v[184:185], v[180:181], v[30:31]
	v_mul_f64 v[30:31], v[182:183], v[30:31]
	s_delay_alu instid0(VALU_DEP_2) | instskip(SKIP_4) | instid1(VALU_DEP_1)
	v_fma_f64 v[188:189], v[182:183], v[28:29], v[184:185]
	ds_load_2addr_b64 v[184:187], v216 offset0:64 offset1:65
	v_fma_f64 v[28:29], v[180:181], v[28:29], -v[30:31]
	s_waitcnt lgkmcnt(0)
	v_mul_f64 v[30:31], v[186:187], v[188:189]
	v_fma_f64 v[30:31], v[184:185], v[28:29], -v[30:31]
	v_mul_f64 v[184:185], v[184:185], v[188:189]
	s_delay_alu instid0(VALU_DEP_2) | instskip(NEXT) | instid1(VALU_DEP_2)
	v_add_f64 v[24:25], v[24:25], -v[30:31]
	v_fma_f64 v[184:185], v[186:187], v[28:29], v[184:185]
	s_delay_alu instid0(VALU_DEP_1) | instskip(SKIP_3) | instid1(VALU_DEP_1)
	v_add_f64 v[26:27], v[26:27], -v[184:185]
	ds_load_2addr_b64 v[184:187], v216 offset0:66 offset1:67
	s_waitcnt lgkmcnt(0)
	v_mul_f64 v[30:31], v[186:187], v[188:189]
	v_fma_f64 v[30:31], v[184:185], v[28:29], -v[30:31]
	v_mul_f64 v[184:185], v[184:185], v[188:189]
	s_delay_alu instid0(VALU_DEP_2) | instskip(NEXT) | instid1(VALU_DEP_2)
	v_add_f64 v[20:21], v[20:21], -v[30:31]
	v_fma_f64 v[184:185], v[186:187], v[28:29], v[184:185]
	s_delay_alu instid0(VALU_DEP_1) | instskip(SKIP_3) | instid1(VALU_DEP_1)
	v_add_f64 v[22:23], v[22:23], -v[184:185]
	ds_load_2addr_b64 v[184:187], v216 offset0:68 offset1:69
	;; [unrolled: 10-line block ×6, first 2 shown]
	s_waitcnt lgkmcnt(0)
	v_mul_f64 v[30:31], v[186:187], v[188:189]
	v_fma_f64 v[30:31], v[184:185], v[28:29], -v[30:31]
	v_mul_f64 v[184:185], v[184:185], v[188:189]
	s_delay_alu instid0(VALU_DEP_2) | instskip(NEXT) | instid1(VALU_DEP_2)
	v_add_f64 v[0:1], v[0:1], -v[30:31]
	v_fma_f64 v[184:185], v[186:187], v[28:29], v[184:185]
	v_dual_mov_b32 v30, v188 :: v_dual_mov_b32 v31, v189
	s_delay_alu instid0(VALU_DEP_2)
	v_add_f64 v[2:3], v[2:3], -v[184:185]
.LBB77_289:
	s_or_b32 exec_lo, exec_lo, s3
	s_delay_alu instid0(SALU_CYCLE_1)
	s_mov_b32 s4, exec_lo
	s_waitcnt lgkmcnt(0)
	s_barrier
	buffer_gl0_inv
	v_cmpx_eq_u32_e32 32, v214
	s_cbranch_execz .LBB77_296
; %bb.290:
	ds_store_2addr_b64 v215, v[24:25], v[26:27] offset1:1
	ds_store_2addr_b64 v216, v[20:21], v[22:23] offset0:66 offset1:67
	ds_store_2addr_b64 v216, v[16:17], v[18:19] offset0:68 offset1:69
	;; [unrolled: 1-line block ×6, first 2 shown]
	ds_load_2addr_b64 v[184:187], v215 offset1:1
	s_waitcnt lgkmcnt(0)
	v_cmp_neq_f64_e32 vcc_lo, 0, v[184:185]
	v_cmp_neq_f64_e64 s3, 0, v[186:187]
	s_delay_alu instid0(VALU_DEP_1) | instskip(NEXT) | instid1(SALU_CYCLE_1)
	s_or_b32 s3, vcc_lo, s3
	s_and_b32 exec_lo, exec_lo, s3
	s_cbranch_execz .LBB77_296
; %bb.291:
	v_cmp_gt_f64_e32 vcc_lo, 0, v[184:185]
	v_xor_b32_e32 v188, 0x80000000, v185
	v_xor_b32_e32 v190, 0x80000000, v187
	s_mov_b32 s3, exec_lo
                                        ; implicit-def: $vgpr192_vgpr193
	s_delay_alu instid0(VALU_DEP_2) | instskip(SKIP_4) | instid1(VALU_DEP_1)
	v_cndmask_b32_e32 v189, v185, v188, vcc_lo
	v_cndmask_b32_e32 v188, v184, v184, vcc_lo
	v_cmp_gt_f64_e32 vcc_lo, 0, v[186:187]
	v_cndmask_b32_e32 v191, v187, v190, vcc_lo
	v_cndmask_b32_e32 v190, v186, v186, vcc_lo
	v_cmpx_ngt_f64_e32 v[188:189], v[190:191]
	s_xor_b32 s3, exec_lo, s3
                                        ; implicit-def: $vgpr188_vgpr189_vgpr190_vgpr191
	s_cbranch_execz .LBB77_293
; %bb.292:
	v_div_scale_f64 v[188:189], null, v[186:187], v[186:187], v[184:185]
	v_div_scale_f64 v[194:195], vcc_lo, v[184:185], v[186:187], v[184:185]
	s_delay_alu instid0(VALU_DEP_2) | instskip(SKIP_2) | instid1(VALU_DEP_1)
	v_rcp_f64_e32 v[190:191], v[188:189]
	s_waitcnt_depctr 0xfff
	v_fma_f64 v[192:193], -v[188:189], v[190:191], 1.0
	v_fma_f64 v[190:191], v[190:191], v[192:193], v[190:191]
	s_delay_alu instid0(VALU_DEP_1) | instskip(NEXT) | instid1(VALU_DEP_1)
	v_fma_f64 v[192:193], -v[188:189], v[190:191], 1.0
	v_fma_f64 v[190:191], v[190:191], v[192:193], v[190:191]
	s_delay_alu instid0(VALU_DEP_1) | instskip(NEXT) | instid1(VALU_DEP_1)
	v_mul_f64 v[192:193], v[194:195], v[190:191]
	v_fma_f64 v[188:189], -v[188:189], v[192:193], v[194:195]
	s_delay_alu instid0(VALU_DEP_1) | instskip(NEXT) | instid1(VALU_DEP_1)
	v_div_fmas_f64 v[188:189], v[188:189], v[190:191], v[192:193]
	v_div_fixup_f64 v[188:189], v[188:189], v[186:187], v[184:185]
	s_delay_alu instid0(VALU_DEP_1) | instskip(NEXT) | instid1(VALU_DEP_1)
	v_fma_f64 v[184:185], v[184:185], v[188:189], v[186:187]
	v_div_scale_f64 v[186:187], null, v[184:185], v[184:185], 1.0
	s_delay_alu instid0(VALU_DEP_1) | instskip(SKIP_2) | instid1(VALU_DEP_1)
	v_rcp_f64_e32 v[190:191], v[186:187]
	s_waitcnt_depctr 0xfff
	v_fma_f64 v[192:193], -v[186:187], v[190:191], 1.0
	v_fma_f64 v[190:191], v[190:191], v[192:193], v[190:191]
	s_delay_alu instid0(VALU_DEP_1) | instskip(NEXT) | instid1(VALU_DEP_1)
	v_fma_f64 v[192:193], -v[186:187], v[190:191], 1.0
	v_fma_f64 v[190:191], v[190:191], v[192:193], v[190:191]
	v_div_scale_f64 v[192:193], vcc_lo, 1.0, v[184:185], 1.0
	s_delay_alu instid0(VALU_DEP_1) | instskip(NEXT) | instid1(VALU_DEP_1)
	v_mul_f64 v[194:195], v[192:193], v[190:191]
	v_fma_f64 v[186:187], -v[186:187], v[194:195], v[192:193]
	s_delay_alu instid0(VALU_DEP_1) | instskip(NEXT) | instid1(VALU_DEP_1)
	v_div_fmas_f64 v[186:187], v[186:187], v[190:191], v[194:195]
	v_div_fixup_f64 v[190:191], v[186:187], v[184:185], 1.0
                                        ; implicit-def: $vgpr184_vgpr185
	s_delay_alu instid0(VALU_DEP_1)
	v_mul_f64 v[192:193], v[188:189], v[190:191]
	v_xor_b32_e32 v191, 0x80000000, v191
.LBB77_293:
	s_and_not1_saveexec_b32 s3, s3
	s_cbranch_execz .LBB77_295
; %bb.294:
	v_div_scale_f64 v[188:189], null, v[184:185], v[184:185], v[186:187]
	v_div_scale_f64 v[194:195], vcc_lo, v[186:187], v[184:185], v[186:187]
	s_delay_alu instid0(VALU_DEP_2) | instskip(SKIP_2) | instid1(VALU_DEP_1)
	v_rcp_f64_e32 v[190:191], v[188:189]
	s_waitcnt_depctr 0xfff
	v_fma_f64 v[192:193], -v[188:189], v[190:191], 1.0
	v_fma_f64 v[190:191], v[190:191], v[192:193], v[190:191]
	s_delay_alu instid0(VALU_DEP_1) | instskip(NEXT) | instid1(VALU_DEP_1)
	v_fma_f64 v[192:193], -v[188:189], v[190:191], 1.0
	v_fma_f64 v[190:191], v[190:191], v[192:193], v[190:191]
	s_delay_alu instid0(VALU_DEP_1) | instskip(NEXT) | instid1(VALU_DEP_1)
	v_mul_f64 v[192:193], v[194:195], v[190:191]
	v_fma_f64 v[188:189], -v[188:189], v[192:193], v[194:195]
	s_delay_alu instid0(VALU_DEP_1) | instskip(NEXT) | instid1(VALU_DEP_1)
	v_div_fmas_f64 v[188:189], v[188:189], v[190:191], v[192:193]
	v_div_fixup_f64 v[188:189], v[188:189], v[184:185], v[186:187]
	s_delay_alu instid0(VALU_DEP_1) | instskip(NEXT) | instid1(VALU_DEP_1)
	v_fma_f64 v[184:185], v[186:187], v[188:189], v[184:185]
	v_div_scale_f64 v[186:187], null, v[184:185], v[184:185], 1.0
	s_delay_alu instid0(VALU_DEP_1) | instskip(SKIP_2) | instid1(VALU_DEP_1)
	v_rcp_f64_e32 v[190:191], v[186:187]
	s_waitcnt_depctr 0xfff
	v_fma_f64 v[192:193], -v[186:187], v[190:191], 1.0
	v_fma_f64 v[190:191], v[190:191], v[192:193], v[190:191]
	s_delay_alu instid0(VALU_DEP_1) | instskip(NEXT) | instid1(VALU_DEP_1)
	v_fma_f64 v[192:193], -v[186:187], v[190:191], 1.0
	v_fma_f64 v[190:191], v[190:191], v[192:193], v[190:191]
	v_div_scale_f64 v[192:193], vcc_lo, 1.0, v[184:185], 1.0
	s_delay_alu instid0(VALU_DEP_1) | instskip(NEXT) | instid1(VALU_DEP_1)
	v_mul_f64 v[194:195], v[192:193], v[190:191]
	v_fma_f64 v[186:187], -v[186:187], v[194:195], v[192:193]
	s_delay_alu instid0(VALU_DEP_1) | instskip(NEXT) | instid1(VALU_DEP_1)
	v_div_fmas_f64 v[186:187], v[186:187], v[190:191], v[194:195]
	v_div_fixup_f64 v[192:193], v[186:187], v[184:185], 1.0
	s_delay_alu instid0(VALU_DEP_1)
	v_mul_f64 v[190:191], v[188:189], -v[192:193]
.LBB77_295:
	s_or_b32 exec_lo, exec_lo, s3
	ds_store_2addr_b64 v215, v[192:193], v[190:191] offset1:1
.LBB77_296:
	s_or_b32 exec_lo, exec_lo, s4
	s_waitcnt lgkmcnt(0)
	s_barrier
	buffer_gl0_inv
	ds_load_2addr_b64 v[184:187], v215 offset1:1
	s_mov_b32 s3, exec_lo
	v_cmpx_lt_u32_e32 32, v214
	s_cbranch_execz .LBB77_298
; %bb.297:
	s_waitcnt lgkmcnt(0)
	v_mul_f64 v[188:189], v[184:185], v[26:27]
	v_mul_f64 v[26:27], v[186:187], v[26:27]
	s_delay_alu instid0(VALU_DEP_2) | instskip(SKIP_4) | instid1(VALU_DEP_1)
	v_fma_f64 v[192:193], v[186:187], v[24:25], v[188:189]
	ds_load_2addr_b64 v[188:191], v216 offset0:66 offset1:67
	v_fma_f64 v[24:25], v[184:185], v[24:25], -v[26:27]
	s_waitcnt lgkmcnt(0)
	v_mul_f64 v[26:27], v[190:191], v[192:193]
	v_fma_f64 v[26:27], v[188:189], v[24:25], -v[26:27]
	v_mul_f64 v[188:189], v[188:189], v[192:193]
	s_delay_alu instid0(VALU_DEP_2) | instskip(NEXT) | instid1(VALU_DEP_2)
	v_add_f64 v[20:21], v[20:21], -v[26:27]
	v_fma_f64 v[188:189], v[190:191], v[24:25], v[188:189]
	s_delay_alu instid0(VALU_DEP_1) | instskip(SKIP_3) | instid1(VALU_DEP_1)
	v_add_f64 v[22:23], v[22:23], -v[188:189]
	ds_load_2addr_b64 v[188:191], v216 offset0:68 offset1:69
	s_waitcnt lgkmcnt(0)
	v_mul_f64 v[26:27], v[190:191], v[192:193]
	v_fma_f64 v[26:27], v[188:189], v[24:25], -v[26:27]
	v_mul_f64 v[188:189], v[188:189], v[192:193]
	s_delay_alu instid0(VALU_DEP_2) | instskip(NEXT) | instid1(VALU_DEP_2)
	v_add_f64 v[16:17], v[16:17], -v[26:27]
	v_fma_f64 v[188:189], v[190:191], v[24:25], v[188:189]
	s_delay_alu instid0(VALU_DEP_1) | instskip(SKIP_3) | instid1(VALU_DEP_1)
	v_add_f64 v[18:19], v[18:19], -v[188:189]
	ds_load_2addr_b64 v[188:191], v216 offset0:70 offset1:71
	;; [unrolled: 10-line block ×5, first 2 shown]
	s_waitcnt lgkmcnt(0)
	v_mul_f64 v[26:27], v[190:191], v[192:193]
	v_fma_f64 v[26:27], v[188:189], v[24:25], -v[26:27]
	v_mul_f64 v[188:189], v[188:189], v[192:193]
	s_delay_alu instid0(VALU_DEP_2) | instskip(NEXT) | instid1(VALU_DEP_2)
	v_add_f64 v[0:1], v[0:1], -v[26:27]
	v_fma_f64 v[188:189], v[190:191], v[24:25], v[188:189]
	v_dual_mov_b32 v26, v192 :: v_dual_mov_b32 v27, v193
	s_delay_alu instid0(VALU_DEP_2)
	v_add_f64 v[2:3], v[2:3], -v[188:189]
.LBB77_298:
	s_or_b32 exec_lo, exec_lo, s3
	s_delay_alu instid0(SALU_CYCLE_1)
	s_mov_b32 s4, exec_lo
	s_waitcnt lgkmcnt(0)
	s_barrier
	buffer_gl0_inv
	v_cmpx_eq_u32_e32 33, v214
	s_cbranch_execz .LBB77_305
; %bb.299:
	ds_store_2addr_b64 v215, v[20:21], v[22:23] offset1:1
	ds_store_2addr_b64 v216, v[16:17], v[18:19] offset0:68 offset1:69
	ds_store_2addr_b64 v216, v[12:13], v[14:15] offset0:70 offset1:71
	;; [unrolled: 1-line block ×5, first 2 shown]
	ds_load_2addr_b64 v[188:191], v215 offset1:1
	s_waitcnt lgkmcnt(0)
	v_cmp_neq_f64_e32 vcc_lo, 0, v[188:189]
	v_cmp_neq_f64_e64 s3, 0, v[190:191]
	s_delay_alu instid0(VALU_DEP_1) | instskip(NEXT) | instid1(SALU_CYCLE_1)
	s_or_b32 s3, vcc_lo, s3
	s_and_b32 exec_lo, exec_lo, s3
	s_cbranch_execz .LBB77_305
; %bb.300:
	v_cmp_gt_f64_e32 vcc_lo, 0, v[188:189]
	v_xor_b32_e32 v192, 0x80000000, v189
	v_xor_b32_e32 v194, 0x80000000, v191
	s_mov_b32 s3, exec_lo
                                        ; implicit-def: $vgpr196_vgpr197
	s_delay_alu instid0(VALU_DEP_2) | instskip(SKIP_4) | instid1(VALU_DEP_1)
	v_cndmask_b32_e32 v193, v189, v192, vcc_lo
	v_cndmask_b32_e32 v192, v188, v188, vcc_lo
	v_cmp_gt_f64_e32 vcc_lo, 0, v[190:191]
	v_cndmask_b32_e32 v195, v191, v194, vcc_lo
	v_cndmask_b32_e32 v194, v190, v190, vcc_lo
	v_cmpx_ngt_f64_e32 v[192:193], v[194:195]
	s_xor_b32 s3, exec_lo, s3
                                        ; implicit-def: $vgpr192_vgpr193_vgpr194_vgpr195
	s_cbranch_execz .LBB77_302
; %bb.301:
	v_div_scale_f64 v[192:193], null, v[190:191], v[190:191], v[188:189]
	v_div_scale_f64 v[198:199], vcc_lo, v[188:189], v[190:191], v[188:189]
	s_delay_alu instid0(VALU_DEP_2) | instskip(SKIP_2) | instid1(VALU_DEP_1)
	v_rcp_f64_e32 v[194:195], v[192:193]
	s_waitcnt_depctr 0xfff
	v_fma_f64 v[196:197], -v[192:193], v[194:195], 1.0
	v_fma_f64 v[194:195], v[194:195], v[196:197], v[194:195]
	s_delay_alu instid0(VALU_DEP_1) | instskip(NEXT) | instid1(VALU_DEP_1)
	v_fma_f64 v[196:197], -v[192:193], v[194:195], 1.0
	v_fma_f64 v[194:195], v[194:195], v[196:197], v[194:195]
	s_delay_alu instid0(VALU_DEP_1) | instskip(NEXT) | instid1(VALU_DEP_1)
	v_mul_f64 v[196:197], v[198:199], v[194:195]
	v_fma_f64 v[192:193], -v[192:193], v[196:197], v[198:199]
	s_delay_alu instid0(VALU_DEP_1) | instskip(NEXT) | instid1(VALU_DEP_1)
	v_div_fmas_f64 v[192:193], v[192:193], v[194:195], v[196:197]
	v_div_fixup_f64 v[192:193], v[192:193], v[190:191], v[188:189]
	s_delay_alu instid0(VALU_DEP_1) | instskip(NEXT) | instid1(VALU_DEP_1)
	v_fma_f64 v[188:189], v[188:189], v[192:193], v[190:191]
	v_div_scale_f64 v[190:191], null, v[188:189], v[188:189], 1.0
	s_delay_alu instid0(VALU_DEP_1) | instskip(SKIP_2) | instid1(VALU_DEP_1)
	v_rcp_f64_e32 v[194:195], v[190:191]
	s_waitcnt_depctr 0xfff
	v_fma_f64 v[196:197], -v[190:191], v[194:195], 1.0
	v_fma_f64 v[194:195], v[194:195], v[196:197], v[194:195]
	s_delay_alu instid0(VALU_DEP_1) | instskip(NEXT) | instid1(VALU_DEP_1)
	v_fma_f64 v[196:197], -v[190:191], v[194:195], 1.0
	v_fma_f64 v[194:195], v[194:195], v[196:197], v[194:195]
	v_div_scale_f64 v[196:197], vcc_lo, 1.0, v[188:189], 1.0
	s_delay_alu instid0(VALU_DEP_1) | instskip(NEXT) | instid1(VALU_DEP_1)
	v_mul_f64 v[198:199], v[196:197], v[194:195]
	v_fma_f64 v[190:191], -v[190:191], v[198:199], v[196:197]
	s_delay_alu instid0(VALU_DEP_1) | instskip(NEXT) | instid1(VALU_DEP_1)
	v_div_fmas_f64 v[190:191], v[190:191], v[194:195], v[198:199]
	v_div_fixup_f64 v[194:195], v[190:191], v[188:189], 1.0
                                        ; implicit-def: $vgpr188_vgpr189
	s_delay_alu instid0(VALU_DEP_1)
	v_mul_f64 v[196:197], v[192:193], v[194:195]
	v_xor_b32_e32 v195, 0x80000000, v195
.LBB77_302:
	s_and_not1_saveexec_b32 s3, s3
	s_cbranch_execz .LBB77_304
; %bb.303:
	v_div_scale_f64 v[192:193], null, v[188:189], v[188:189], v[190:191]
	v_div_scale_f64 v[198:199], vcc_lo, v[190:191], v[188:189], v[190:191]
	s_delay_alu instid0(VALU_DEP_2) | instskip(SKIP_2) | instid1(VALU_DEP_1)
	v_rcp_f64_e32 v[194:195], v[192:193]
	s_waitcnt_depctr 0xfff
	v_fma_f64 v[196:197], -v[192:193], v[194:195], 1.0
	v_fma_f64 v[194:195], v[194:195], v[196:197], v[194:195]
	s_delay_alu instid0(VALU_DEP_1) | instskip(NEXT) | instid1(VALU_DEP_1)
	v_fma_f64 v[196:197], -v[192:193], v[194:195], 1.0
	v_fma_f64 v[194:195], v[194:195], v[196:197], v[194:195]
	s_delay_alu instid0(VALU_DEP_1) | instskip(NEXT) | instid1(VALU_DEP_1)
	v_mul_f64 v[196:197], v[198:199], v[194:195]
	v_fma_f64 v[192:193], -v[192:193], v[196:197], v[198:199]
	s_delay_alu instid0(VALU_DEP_1) | instskip(NEXT) | instid1(VALU_DEP_1)
	v_div_fmas_f64 v[192:193], v[192:193], v[194:195], v[196:197]
	v_div_fixup_f64 v[192:193], v[192:193], v[188:189], v[190:191]
	s_delay_alu instid0(VALU_DEP_1) | instskip(NEXT) | instid1(VALU_DEP_1)
	v_fma_f64 v[188:189], v[190:191], v[192:193], v[188:189]
	v_div_scale_f64 v[190:191], null, v[188:189], v[188:189], 1.0
	s_delay_alu instid0(VALU_DEP_1) | instskip(SKIP_2) | instid1(VALU_DEP_1)
	v_rcp_f64_e32 v[194:195], v[190:191]
	s_waitcnt_depctr 0xfff
	v_fma_f64 v[196:197], -v[190:191], v[194:195], 1.0
	v_fma_f64 v[194:195], v[194:195], v[196:197], v[194:195]
	s_delay_alu instid0(VALU_DEP_1) | instskip(NEXT) | instid1(VALU_DEP_1)
	v_fma_f64 v[196:197], -v[190:191], v[194:195], 1.0
	v_fma_f64 v[194:195], v[194:195], v[196:197], v[194:195]
	v_div_scale_f64 v[196:197], vcc_lo, 1.0, v[188:189], 1.0
	s_delay_alu instid0(VALU_DEP_1) | instskip(NEXT) | instid1(VALU_DEP_1)
	v_mul_f64 v[198:199], v[196:197], v[194:195]
	v_fma_f64 v[190:191], -v[190:191], v[198:199], v[196:197]
	s_delay_alu instid0(VALU_DEP_1) | instskip(NEXT) | instid1(VALU_DEP_1)
	v_div_fmas_f64 v[190:191], v[190:191], v[194:195], v[198:199]
	v_div_fixup_f64 v[196:197], v[190:191], v[188:189], 1.0
	s_delay_alu instid0(VALU_DEP_1)
	v_mul_f64 v[194:195], v[192:193], -v[196:197]
.LBB77_304:
	s_or_b32 exec_lo, exec_lo, s3
	ds_store_2addr_b64 v215, v[196:197], v[194:195] offset1:1
.LBB77_305:
	s_or_b32 exec_lo, exec_lo, s4
	s_waitcnt lgkmcnt(0)
	s_barrier
	buffer_gl0_inv
	ds_load_2addr_b64 v[188:191], v215 offset1:1
	s_mov_b32 s3, exec_lo
	v_cmpx_lt_u32_e32 33, v214
	s_cbranch_execz .LBB77_307
; %bb.306:
	s_waitcnt lgkmcnt(0)
	v_mul_f64 v[192:193], v[188:189], v[22:23]
	v_mul_f64 v[22:23], v[190:191], v[22:23]
	s_delay_alu instid0(VALU_DEP_2) | instskip(SKIP_4) | instid1(VALU_DEP_1)
	v_fma_f64 v[196:197], v[190:191], v[20:21], v[192:193]
	ds_load_2addr_b64 v[192:195], v216 offset0:68 offset1:69
	v_fma_f64 v[20:21], v[188:189], v[20:21], -v[22:23]
	s_waitcnt lgkmcnt(0)
	v_mul_f64 v[22:23], v[194:195], v[196:197]
	v_fma_f64 v[22:23], v[192:193], v[20:21], -v[22:23]
	v_mul_f64 v[192:193], v[192:193], v[196:197]
	s_delay_alu instid0(VALU_DEP_2) | instskip(NEXT) | instid1(VALU_DEP_2)
	v_add_f64 v[16:17], v[16:17], -v[22:23]
	v_fma_f64 v[192:193], v[194:195], v[20:21], v[192:193]
	s_delay_alu instid0(VALU_DEP_1) | instskip(SKIP_3) | instid1(VALU_DEP_1)
	v_add_f64 v[18:19], v[18:19], -v[192:193]
	ds_load_2addr_b64 v[192:195], v216 offset0:70 offset1:71
	s_waitcnt lgkmcnt(0)
	v_mul_f64 v[22:23], v[194:195], v[196:197]
	v_fma_f64 v[22:23], v[192:193], v[20:21], -v[22:23]
	v_mul_f64 v[192:193], v[192:193], v[196:197]
	s_delay_alu instid0(VALU_DEP_2) | instskip(NEXT) | instid1(VALU_DEP_2)
	v_add_f64 v[12:13], v[12:13], -v[22:23]
	v_fma_f64 v[192:193], v[194:195], v[20:21], v[192:193]
	s_delay_alu instid0(VALU_DEP_1) | instskip(SKIP_3) | instid1(VALU_DEP_1)
	v_add_f64 v[14:15], v[14:15], -v[192:193]
	ds_load_2addr_b64 v[192:195], v216 offset0:72 offset1:73
	;; [unrolled: 10-line block ×4, first 2 shown]
	s_waitcnt lgkmcnt(0)
	v_mul_f64 v[22:23], v[194:195], v[196:197]
	v_fma_f64 v[22:23], v[192:193], v[20:21], -v[22:23]
	v_mul_f64 v[192:193], v[192:193], v[196:197]
	s_delay_alu instid0(VALU_DEP_2) | instskip(NEXT) | instid1(VALU_DEP_2)
	v_add_f64 v[0:1], v[0:1], -v[22:23]
	v_fma_f64 v[192:193], v[194:195], v[20:21], v[192:193]
	v_dual_mov_b32 v22, v196 :: v_dual_mov_b32 v23, v197
	s_delay_alu instid0(VALU_DEP_2)
	v_add_f64 v[2:3], v[2:3], -v[192:193]
.LBB77_307:
	s_or_b32 exec_lo, exec_lo, s3
	s_delay_alu instid0(SALU_CYCLE_1)
	s_mov_b32 s4, exec_lo
	s_waitcnt lgkmcnt(0)
	s_barrier
	buffer_gl0_inv
	v_cmpx_eq_u32_e32 34, v214
	s_cbranch_execz .LBB77_314
; %bb.308:
	ds_store_2addr_b64 v215, v[16:17], v[18:19] offset1:1
	ds_store_2addr_b64 v216, v[12:13], v[14:15] offset0:70 offset1:71
	ds_store_2addr_b64 v216, v[8:9], v[10:11] offset0:72 offset1:73
	;; [unrolled: 1-line block ×4, first 2 shown]
	ds_load_2addr_b64 v[192:195], v215 offset1:1
	s_waitcnt lgkmcnt(0)
	v_cmp_neq_f64_e32 vcc_lo, 0, v[192:193]
	v_cmp_neq_f64_e64 s3, 0, v[194:195]
	s_delay_alu instid0(VALU_DEP_1) | instskip(NEXT) | instid1(SALU_CYCLE_1)
	s_or_b32 s3, vcc_lo, s3
	s_and_b32 exec_lo, exec_lo, s3
	s_cbranch_execz .LBB77_314
; %bb.309:
	v_cmp_gt_f64_e32 vcc_lo, 0, v[192:193]
	v_xor_b32_e32 v196, 0x80000000, v193
	v_xor_b32_e32 v198, 0x80000000, v195
	s_mov_b32 s3, exec_lo
                                        ; implicit-def: $vgpr200_vgpr201
	s_delay_alu instid0(VALU_DEP_2) | instskip(SKIP_4) | instid1(VALU_DEP_1)
	v_cndmask_b32_e32 v197, v193, v196, vcc_lo
	v_cndmask_b32_e32 v196, v192, v192, vcc_lo
	v_cmp_gt_f64_e32 vcc_lo, 0, v[194:195]
	v_cndmask_b32_e32 v199, v195, v198, vcc_lo
	v_cndmask_b32_e32 v198, v194, v194, vcc_lo
	v_cmpx_ngt_f64_e32 v[196:197], v[198:199]
	s_xor_b32 s3, exec_lo, s3
                                        ; implicit-def: $vgpr196_vgpr197_vgpr198_vgpr199
	s_cbranch_execz .LBB77_311
; %bb.310:
	v_div_scale_f64 v[196:197], null, v[194:195], v[194:195], v[192:193]
	v_div_scale_f64 v[202:203], vcc_lo, v[192:193], v[194:195], v[192:193]
	s_delay_alu instid0(VALU_DEP_2) | instskip(SKIP_2) | instid1(VALU_DEP_1)
	v_rcp_f64_e32 v[198:199], v[196:197]
	s_waitcnt_depctr 0xfff
	v_fma_f64 v[200:201], -v[196:197], v[198:199], 1.0
	v_fma_f64 v[198:199], v[198:199], v[200:201], v[198:199]
	s_delay_alu instid0(VALU_DEP_1) | instskip(NEXT) | instid1(VALU_DEP_1)
	v_fma_f64 v[200:201], -v[196:197], v[198:199], 1.0
	v_fma_f64 v[198:199], v[198:199], v[200:201], v[198:199]
	s_delay_alu instid0(VALU_DEP_1) | instskip(NEXT) | instid1(VALU_DEP_1)
	v_mul_f64 v[200:201], v[202:203], v[198:199]
	v_fma_f64 v[196:197], -v[196:197], v[200:201], v[202:203]
	s_delay_alu instid0(VALU_DEP_1) | instskip(NEXT) | instid1(VALU_DEP_1)
	v_div_fmas_f64 v[196:197], v[196:197], v[198:199], v[200:201]
	v_div_fixup_f64 v[196:197], v[196:197], v[194:195], v[192:193]
	s_delay_alu instid0(VALU_DEP_1) | instskip(NEXT) | instid1(VALU_DEP_1)
	v_fma_f64 v[192:193], v[192:193], v[196:197], v[194:195]
	v_div_scale_f64 v[194:195], null, v[192:193], v[192:193], 1.0
	s_delay_alu instid0(VALU_DEP_1) | instskip(SKIP_2) | instid1(VALU_DEP_1)
	v_rcp_f64_e32 v[198:199], v[194:195]
	s_waitcnt_depctr 0xfff
	v_fma_f64 v[200:201], -v[194:195], v[198:199], 1.0
	v_fma_f64 v[198:199], v[198:199], v[200:201], v[198:199]
	s_delay_alu instid0(VALU_DEP_1) | instskip(NEXT) | instid1(VALU_DEP_1)
	v_fma_f64 v[200:201], -v[194:195], v[198:199], 1.0
	v_fma_f64 v[198:199], v[198:199], v[200:201], v[198:199]
	v_div_scale_f64 v[200:201], vcc_lo, 1.0, v[192:193], 1.0
	s_delay_alu instid0(VALU_DEP_1) | instskip(NEXT) | instid1(VALU_DEP_1)
	v_mul_f64 v[202:203], v[200:201], v[198:199]
	v_fma_f64 v[194:195], -v[194:195], v[202:203], v[200:201]
	s_delay_alu instid0(VALU_DEP_1) | instskip(NEXT) | instid1(VALU_DEP_1)
	v_div_fmas_f64 v[194:195], v[194:195], v[198:199], v[202:203]
	v_div_fixup_f64 v[198:199], v[194:195], v[192:193], 1.0
                                        ; implicit-def: $vgpr192_vgpr193
	s_delay_alu instid0(VALU_DEP_1)
	v_mul_f64 v[200:201], v[196:197], v[198:199]
	v_xor_b32_e32 v199, 0x80000000, v199
.LBB77_311:
	s_and_not1_saveexec_b32 s3, s3
	s_cbranch_execz .LBB77_313
; %bb.312:
	v_div_scale_f64 v[196:197], null, v[192:193], v[192:193], v[194:195]
	v_div_scale_f64 v[202:203], vcc_lo, v[194:195], v[192:193], v[194:195]
	s_delay_alu instid0(VALU_DEP_2) | instskip(SKIP_2) | instid1(VALU_DEP_1)
	v_rcp_f64_e32 v[198:199], v[196:197]
	s_waitcnt_depctr 0xfff
	v_fma_f64 v[200:201], -v[196:197], v[198:199], 1.0
	v_fma_f64 v[198:199], v[198:199], v[200:201], v[198:199]
	s_delay_alu instid0(VALU_DEP_1) | instskip(NEXT) | instid1(VALU_DEP_1)
	v_fma_f64 v[200:201], -v[196:197], v[198:199], 1.0
	v_fma_f64 v[198:199], v[198:199], v[200:201], v[198:199]
	s_delay_alu instid0(VALU_DEP_1) | instskip(NEXT) | instid1(VALU_DEP_1)
	v_mul_f64 v[200:201], v[202:203], v[198:199]
	v_fma_f64 v[196:197], -v[196:197], v[200:201], v[202:203]
	s_delay_alu instid0(VALU_DEP_1) | instskip(NEXT) | instid1(VALU_DEP_1)
	v_div_fmas_f64 v[196:197], v[196:197], v[198:199], v[200:201]
	v_div_fixup_f64 v[196:197], v[196:197], v[192:193], v[194:195]
	s_delay_alu instid0(VALU_DEP_1) | instskip(NEXT) | instid1(VALU_DEP_1)
	v_fma_f64 v[192:193], v[194:195], v[196:197], v[192:193]
	v_div_scale_f64 v[194:195], null, v[192:193], v[192:193], 1.0
	s_delay_alu instid0(VALU_DEP_1) | instskip(SKIP_2) | instid1(VALU_DEP_1)
	v_rcp_f64_e32 v[198:199], v[194:195]
	s_waitcnt_depctr 0xfff
	v_fma_f64 v[200:201], -v[194:195], v[198:199], 1.0
	v_fma_f64 v[198:199], v[198:199], v[200:201], v[198:199]
	s_delay_alu instid0(VALU_DEP_1) | instskip(NEXT) | instid1(VALU_DEP_1)
	v_fma_f64 v[200:201], -v[194:195], v[198:199], 1.0
	v_fma_f64 v[198:199], v[198:199], v[200:201], v[198:199]
	v_div_scale_f64 v[200:201], vcc_lo, 1.0, v[192:193], 1.0
	s_delay_alu instid0(VALU_DEP_1) | instskip(NEXT) | instid1(VALU_DEP_1)
	v_mul_f64 v[202:203], v[200:201], v[198:199]
	v_fma_f64 v[194:195], -v[194:195], v[202:203], v[200:201]
	s_delay_alu instid0(VALU_DEP_1) | instskip(NEXT) | instid1(VALU_DEP_1)
	v_div_fmas_f64 v[194:195], v[194:195], v[198:199], v[202:203]
	v_div_fixup_f64 v[200:201], v[194:195], v[192:193], 1.0
	s_delay_alu instid0(VALU_DEP_1)
	v_mul_f64 v[198:199], v[196:197], -v[200:201]
.LBB77_313:
	s_or_b32 exec_lo, exec_lo, s3
	ds_store_2addr_b64 v215, v[200:201], v[198:199] offset1:1
.LBB77_314:
	s_or_b32 exec_lo, exec_lo, s4
	s_waitcnt lgkmcnt(0)
	s_barrier
	buffer_gl0_inv
	ds_load_2addr_b64 v[192:195], v215 offset1:1
	s_mov_b32 s3, exec_lo
	v_cmpx_lt_u32_e32 34, v214
	s_cbranch_execz .LBB77_316
; %bb.315:
	s_waitcnt lgkmcnt(0)
	v_mul_f64 v[196:197], v[192:193], v[18:19]
	v_mul_f64 v[18:19], v[194:195], v[18:19]
	s_delay_alu instid0(VALU_DEP_2) | instskip(SKIP_4) | instid1(VALU_DEP_1)
	v_fma_f64 v[200:201], v[194:195], v[16:17], v[196:197]
	ds_load_2addr_b64 v[196:199], v216 offset0:70 offset1:71
	v_fma_f64 v[16:17], v[192:193], v[16:17], -v[18:19]
	s_waitcnt lgkmcnt(0)
	v_mul_f64 v[18:19], v[198:199], v[200:201]
	v_fma_f64 v[18:19], v[196:197], v[16:17], -v[18:19]
	v_mul_f64 v[196:197], v[196:197], v[200:201]
	s_delay_alu instid0(VALU_DEP_2) | instskip(NEXT) | instid1(VALU_DEP_2)
	v_add_f64 v[12:13], v[12:13], -v[18:19]
	v_fma_f64 v[196:197], v[198:199], v[16:17], v[196:197]
	s_delay_alu instid0(VALU_DEP_1) | instskip(SKIP_3) | instid1(VALU_DEP_1)
	v_add_f64 v[14:15], v[14:15], -v[196:197]
	ds_load_2addr_b64 v[196:199], v216 offset0:72 offset1:73
	s_waitcnt lgkmcnt(0)
	v_mul_f64 v[18:19], v[198:199], v[200:201]
	v_fma_f64 v[18:19], v[196:197], v[16:17], -v[18:19]
	v_mul_f64 v[196:197], v[196:197], v[200:201]
	s_delay_alu instid0(VALU_DEP_2) | instskip(NEXT) | instid1(VALU_DEP_2)
	v_add_f64 v[8:9], v[8:9], -v[18:19]
	v_fma_f64 v[196:197], v[198:199], v[16:17], v[196:197]
	s_delay_alu instid0(VALU_DEP_1) | instskip(SKIP_3) | instid1(VALU_DEP_1)
	v_add_f64 v[10:11], v[10:11], -v[196:197]
	ds_load_2addr_b64 v[196:199], v216 offset0:74 offset1:75
	;; [unrolled: 10-line block ×3, first 2 shown]
	s_waitcnt lgkmcnt(0)
	v_mul_f64 v[18:19], v[198:199], v[200:201]
	v_fma_f64 v[18:19], v[196:197], v[16:17], -v[18:19]
	v_mul_f64 v[196:197], v[196:197], v[200:201]
	s_delay_alu instid0(VALU_DEP_2) | instskip(NEXT) | instid1(VALU_DEP_2)
	v_add_f64 v[0:1], v[0:1], -v[18:19]
	v_fma_f64 v[196:197], v[198:199], v[16:17], v[196:197]
	v_dual_mov_b32 v18, v200 :: v_dual_mov_b32 v19, v201
	s_delay_alu instid0(VALU_DEP_2)
	v_add_f64 v[2:3], v[2:3], -v[196:197]
.LBB77_316:
	s_or_b32 exec_lo, exec_lo, s3
	s_delay_alu instid0(SALU_CYCLE_1)
	s_mov_b32 s4, exec_lo
	s_waitcnt lgkmcnt(0)
	s_barrier
	buffer_gl0_inv
	v_cmpx_eq_u32_e32 35, v214
	s_cbranch_execz .LBB77_323
; %bb.317:
	ds_store_2addr_b64 v215, v[12:13], v[14:15] offset1:1
	ds_store_2addr_b64 v216, v[8:9], v[10:11] offset0:72 offset1:73
	ds_store_2addr_b64 v216, v[4:5], v[6:7] offset0:74 offset1:75
	;; [unrolled: 1-line block ×3, first 2 shown]
	ds_load_2addr_b64 v[196:199], v215 offset1:1
	s_waitcnt lgkmcnt(0)
	v_cmp_neq_f64_e32 vcc_lo, 0, v[196:197]
	v_cmp_neq_f64_e64 s3, 0, v[198:199]
	s_delay_alu instid0(VALU_DEP_1) | instskip(NEXT) | instid1(SALU_CYCLE_1)
	s_or_b32 s3, vcc_lo, s3
	s_and_b32 exec_lo, exec_lo, s3
	s_cbranch_execz .LBB77_323
; %bb.318:
	v_cmp_gt_f64_e32 vcc_lo, 0, v[196:197]
	v_xor_b32_e32 v200, 0x80000000, v197
	v_xor_b32_e32 v202, 0x80000000, v199
	s_mov_b32 s3, exec_lo
                                        ; implicit-def: $vgpr204_vgpr205
	s_delay_alu instid0(VALU_DEP_2) | instskip(SKIP_4) | instid1(VALU_DEP_1)
	v_cndmask_b32_e32 v201, v197, v200, vcc_lo
	v_cndmask_b32_e32 v200, v196, v196, vcc_lo
	v_cmp_gt_f64_e32 vcc_lo, 0, v[198:199]
	v_cndmask_b32_e32 v203, v199, v202, vcc_lo
	v_cndmask_b32_e32 v202, v198, v198, vcc_lo
	v_cmpx_ngt_f64_e32 v[200:201], v[202:203]
	s_xor_b32 s3, exec_lo, s3
                                        ; implicit-def: $vgpr200_vgpr201_vgpr202_vgpr203
	s_cbranch_execz .LBB77_320
; %bb.319:
	v_div_scale_f64 v[200:201], null, v[198:199], v[198:199], v[196:197]
	v_div_scale_f64 v[206:207], vcc_lo, v[196:197], v[198:199], v[196:197]
	s_delay_alu instid0(VALU_DEP_2) | instskip(SKIP_2) | instid1(VALU_DEP_1)
	v_rcp_f64_e32 v[202:203], v[200:201]
	s_waitcnt_depctr 0xfff
	v_fma_f64 v[204:205], -v[200:201], v[202:203], 1.0
	v_fma_f64 v[202:203], v[202:203], v[204:205], v[202:203]
	s_delay_alu instid0(VALU_DEP_1) | instskip(NEXT) | instid1(VALU_DEP_1)
	v_fma_f64 v[204:205], -v[200:201], v[202:203], 1.0
	v_fma_f64 v[202:203], v[202:203], v[204:205], v[202:203]
	s_delay_alu instid0(VALU_DEP_1) | instskip(NEXT) | instid1(VALU_DEP_1)
	v_mul_f64 v[204:205], v[206:207], v[202:203]
	v_fma_f64 v[200:201], -v[200:201], v[204:205], v[206:207]
	s_delay_alu instid0(VALU_DEP_1) | instskip(NEXT) | instid1(VALU_DEP_1)
	v_div_fmas_f64 v[200:201], v[200:201], v[202:203], v[204:205]
	v_div_fixup_f64 v[200:201], v[200:201], v[198:199], v[196:197]
	s_delay_alu instid0(VALU_DEP_1) | instskip(NEXT) | instid1(VALU_DEP_1)
	v_fma_f64 v[196:197], v[196:197], v[200:201], v[198:199]
	v_div_scale_f64 v[198:199], null, v[196:197], v[196:197], 1.0
	s_delay_alu instid0(VALU_DEP_1) | instskip(SKIP_2) | instid1(VALU_DEP_1)
	v_rcp_f64_e32 v[202:203], v[198:199]
	s_waitcnt_depctr 0xfff
	v_fma_f64 v[204:205], -v[198:199], v[202:203], 1.0
	v_fma_f64 v[202:203], v[202:203], v[204:205], v[202:203]
	s_delay_alu instid0(VALU_DEP_1) | instskip(NEXT) | instid1(VALU_DEP_1)
	v_fma_f64 v[204:205], -v[198:199], v[202:203], 1.0
	v_fma_f64 v[202:203], v[202:203], v[204:205], v[202:203]
	v_div_scale_f64 v[204:205], vcc_lo, 1.0, v[196:197], 1.0
	s_delay_alu instid0(VALU_DEP_1) | instskip(NEXT) | instid1(VALU_DEP_1)
	v_mul_f64 v[206:207], v[204:205], v[202:203]
	v_fma_f64 v[198:199], -v[198:199], v[206:207], v[204:205]
	s_delay_alu instid0(VALU_DEP_1) | instskip(NEXT) | instid1(VALU_DEP_1)
	v_div_fmas_f64 v[198:199], v[198:199], v[202:203], v[206:207]
	v_div_fixup_f64 v[202:203], v[198:199], v[196:197], 1.0
                                        ; implicit-def: $vgpr196_vgpr197
	s_delay_alu instid0(VALU_DEP_1)
	v_mul_f64 v[204:205], v[200:201], v[202:203]
	v_xor_b32_e32 v203, 0x80000000, v203
.LBB77_320:
	s_and_not1_saveexec_b32 s3, s3
	s_cbranch_execz .LBB77_322
; %bb.321:
	v_div_scale_f64 v[200:201], null, v[196:197], v[196:197], v[198:199]
	v_div_scale_f64 v[206:207], vcc_lo, v[198:199], v[196:197], v[198:199]
	s_delay_alu instid0(VALU_DEP_2) | instskip(SKIP_2) | instid1(VALU_DEP_1)
	v_rcp_f64_e32 v[202:203], v[200:201]
	s_waitcnt_depctr 0xfff
	v_fma_f64 v[204:205], -v[200:201], v[202:203], 1.0
	v_fma_f64 v[202:203], v[202:203], v[204:205], v[202:203]
	s_delay_alu instid0(VALU_DEP_1) | instskip(NEXT) | instid1(VALU_DEP_1)
	v_fma_f64 v[204:205], -v[200:201], v[202:203], 1.0
	v_fma_f64 v[202:203], v[202:203], v[204:205], v[202:203]
	s_delay_alu instid0(VALU_DEP_1) | instskip(NEXT) | instid1(VALU_DEP_1)
	v_mul_f64 v[204:205], v[206:207], v[202:203]
	v_fma_f64 v[200:201], -v[200:201], v[204:205], v[206:207]
	s_delay_alu instid0(VALU_DEP_1) | instskip(NEXT) | instid1(VALU_DEP_1)
	v_div_fmas_f64 v[200:201], v[200:201], v[202:203], v[204:205]
	v_div_fixup_f64 v[200:201], v[200:201], v[196:197], v[198:199]
	s_delay_alu instid0(VALU_DEP_1) | instskip(NEXT) | instid1(VALU_DEP_1)
	v_fma_f64 v[196:197], v[198:199], v[200:201], v[196:197]
	v_div_scale_f64 v[198:199], null, v[196:197], v[196:197], 1.0
	s_delay_alu instid0(VALU_DEP_1) | instskip(SKIP_2) | instid1(VALU_DEP_1)
	v_rcp_f64_e32 v[202:203], v[198:199]
	s_waitcnt_depctr 0xfff
	v_fma_f64 v[204:205], -v[198:199], v[202:203], 1.0
	v_fma_f64 v[202:203], v[202:203], v[204:205], v[202:203]
	s_delay_alu instid0(VALU_DEP_1) | instskip(NEXT) | instid1(VALU_DEP_1)
	v_fma_f64 v[204:205], -v[198:199], v[202:203], 1.0
	v_fma_f64 v[202:203], v[202:203], v[204:205], v[202:203]
	v_div_scale_f64 v[204:205], vcc_lo, 1.0, v[196:197], 1.0
	s_delay_alu instid0(VALU_DEP_1) | instskip(NEXT) | instid1(VALU_DEP_1)
	v_mul_f64 v[206:207], v[204:205], v[202:203]
	v_fma_f64 v[198:199], -v[198:199], v[206:207], v[204:205]
	s_delay_alu instid0(VALU_DEP_1) | instskip(NEXT) | instid1(VALU_DEP_1)
	v_div_fmas_f64 v[198:199], v[198:199], v[202:203], v[206:207]
	v_div_fixup_f64 v[204:205], v[198:199], v[196:197], 1.0
	s_delay_alu instid0(VALU_DEP_1)
	v_mul_f64 v[202:203], v[200:201], -v[204:205]
.LBB77_322:
	s_or_b32 exec_lo, exec_lo, s3
	ds_store_2addr_b64 v215, v[204:205], v[202:203] offset1:1
.LBB77_323:
	s_or_b32 exec_lo, exec_lo, s4
	s_waitcnt lgkmcnt(0)
	s_barrier
	buffer_gl0_inv
	ds_load_2addr_b64 v[196:199], v215 offset1:1
	s_mov_b32 s3, exec_lo
	v_cmpx_lt_u32_e32 35, v214
	s_cbranch_execz .LBB77_325
; %bb.324:
	s_waitcnt lgkmcnt(0)
	v_mul_f64 v[200:201], v[196:197], v[14:15]
	v_mul_f64 v[14:15], v[198:199], v[14:15]
	s_delay_alu instid0(VALU_DEP_2) | instskip(SKIP_4) | instid1(VALU_DEP_1)
	v_fma_f64 v[204:205], v[198:199], v[12:13], v[200:201]
	ds_load_2addr_b64 v[200:203], v216 offset0:72 offset1:73
	v_fma_f64 v[12:13], v[196:197], v[12:13], -v[14:15]
	s_waitcnt lgkmcnt(0)
	v_mul_f64 v[14:15], v[202:203], v[204:205]
	v_fma_f64 v[14:15], v[200:201], v[12:13], -v[14:15]
	v_mul_f64 v[200:201], v[200:201], v[204:205]
	s_delay_alu instid0(VALU_DEP_2) | instskip(NEXT) | instid1(VALU_DEP_2)
	v_add_f64 v[8:9], v[8:9], -v[14:15]
	v_fma_f64 v[200:201], v[202:203], v[12:13], v[200:201]
	s_delay_alu instid0(VALU_DEP_1) | instskip(SKIP_3) | instid1(VALU_DEP_1)
	v_add_f64 v[10:11], v[10:11], -v[200:201]
	ds_load_2addr_b64 v[200:203], v216 offset0:74 offset1:75
	s_waitcnt lgkmcnt(0)
	v_mul_f64 v[14:15], v[202:203], v[204:205]
	v_fma_f64 v[14:15], v[200:201], v[12:13], -v[14:15]
	v_mul_f64 v[200:201], v[200:201], v[204:205]
	s_delay_alu instid0(VALU_DEP_2) | instskip(NEXT) | instid1(VALU_DEP_2)
	v_add_f64 v[4:5], v[4:5], -v[14:15]
	v_fma_f64 v[200:201], v[202:203], v[12:13], v[200:201]
	s_delay_alu instid0(VALU_DEP_1) | instskip(SKIP_3) | instid1(VALU_DEP_1)
	v_add_f64 v[6:7], v[6:7], -v[200:201]
	ds_load_2addr_b64 v[200:203], v216 offset0:76 offset1:77
	s_waitcnt lgkmcnt(0)
	v_mul_f64 v[14:15], v[202:203], v[204:205]
	v_fma_f64 v[14:15], v[200:201], v[12:13], -v[14:15]
	v_mul_f64 v[200:201], v[200:201], v[204:205]
	s_delay_alu instid0(VALU_DEP_2) | instskip(NEXT) | instid1(VALU_DEP_2)
	v_add_f64 v[0:1], v[0:1], -v[14:15]
	v_fma_f64 v[200:201], v[202:203], v[12:13], v[200:201]
	v_dual_mov_b32 v14, v204 :: v_dual_mov_b32 v15, v205
	s_delay_alu instid0(VALU_DEP_2)
	v_add_f64 v[2:3], v[2:3], -v[200:201]
.LBB77_325:
	s_or_b32 exec_lo, exec_lo, s3
	s_delay_alu instid0(SALU_CYCLE_1)
	s_mov_b32 s4, exec_lo
	s_waitcnt lgkmcnt(0)
	s_barrier
	buffer_gl0_inv
	v_cmpx_eq_u32_e32 36, v214
	s_cbranch_execz .LBB77_332
; %bb.326:
	ds_store_2addr_b64 v215, v[8:9], v[10:11] offset1:1
	ds_store_2addr_b64 v216, v[4:5], v[6:7] offset0:74 offset1:75
	ds_store_2addr_b64 v216, v[0:1], v[2:3] offset0:76 offset1:77
	ds_load_2addr_b64 v[200:203], v215 offset1:1
	s_waitcnt lgkmcnt(0)
	v_cmp_neq_f64_e32 vcc_lo, 0, v[200:201]
	v_cmp_neq_f64_e64 s3, 0, v[202:203]
	s_delay_alu instid0(VALU_DEP_1) | instskip(NEXT) | instid1(SALU_CYCLE_1)
	s_or_b32 s3, vcc_lo, s3
	s_and_b32 exec_lo, exec_lo, s3
	s_cbranch_execz .LBB77_332
; %bb.327:
	v_cmp_gt_f64_e32 vcc_lo, 0, v[200:201]
	v_xor_b32_e32 v204, 0x80000000, v201
	v_xor_b32_e32 v206, 0x80000000, v203
	s_mov_b32 s3, exec_lo
                                        ; implicit-def: $vgpr208_vgpr209
	s_delay_alu instid0(VALU_DEP_2) | instskip(SKIP_4) | instid1(VALU_DEP_1)
	v_cndmask_b32_e32 v205, v201, v204, vcc_lo
	v_cndmask_b32_e32 v204, v200, v200, vcc_lo
	v_cmp_gt_f64_e32 vcc_lo, 0, v[202:203]
	v_cndmask_b32_e32 v207, v203, v206, vcc_lo
	v_cndmask_b32_e32 v206, v202, v202, vcc_lo
	v_cmpx_ngt_f64_e32 v[204:205], v[206:207]
	s_xor_b32 s3, exec_lo, s3
                                        ; implicit-def: $vgpr204_vgpr205_vgpr206_vgpr207
	s_cbranch_execz .LBB77_329
; %bb.328:
	v_div_scale_f64 v[204:205], null, v[202:203], v[202:203], v[200:201]
	v_div_scale_f64 v[210:211], vcc_lo, v[200:201], v[202:203], v[200:201]
	s_delay_alu instid0(VALU_DEP_2) | instskip(SKIP_2) | instid1(VALU_DEP_1)
	v_rcp_f64_e32 v[206:207], v[204:205]
	s_waitcnt_depctr 0xfff
	v_fma_f64 v[208:209], -v[204:205], v[206:207], 1.0
	v_fma_f64 v[206:207], v[206:207], v[208:209], v[206:207]
	s_delay_alu instid0(VALU_DEP_1) | instskip(NEXT) | instid1(VALU_DEP_1)
	v_fma_f64 v[208:209], -v[204:205], v[206:207], 1.0
	v_fma_f64 v[206:207], v[206:207], v[208:209], v[206:207]
	s_delay_alu instid0(VALU_DEP_1) | instskip(NEXT) | instid1(VALU_DEP_1)
	v_mul_f64 v[208:209], v[210:211], v[206:207]
	v_fma_f64 v[204:205], -v[204:205], v[208:209], v[210:211]
	s_delay_alu instid0(VALU_DEP_1) | instskip(NEXT) | instid1(VALU_DEP_1)
	v_div_fmas_f64 v[204:205], v[204:205], v[206:207], v[208:209]
	v_div_fixup_f64 v[204:205], v[204:205], v[202:203], v[200:201]
	s_delay_alu instid0(VALU_DEP_1) | instskip(NEXT) | instid1(VALU_DEP_1)
	v_fma_f64 v[200:201], v[200:201], v[204:205], v[202:203]
	v_div_scale_f64 v[202:203], null, v[200:201], v[200:201], 1.0
	s_delay_alu instid0(VALU_DEP_1) | instskip(SKIP_2) | instid1(VALU_DEP_1)
	v_rcp_f64_e32 v[206:207], v[202:203]
	s_waitcnt_depctr 0xfff
	v_fma_f64 v[208:209], -v[202:203], v[206:207], 1.0
	v_fma_f64 v[206:207], v[206:207], v[208:209], v[206:207]
	s_delay_alu instid0(VALU_DEP_1) | instskip(NEXT) | instid1(VALU_DEP_1)
	v_fma_f64 v[208:209], -v[202:203], v[206:207], 1.0
	v_fma_f64 v[206:207], v[206:207], v[208:209], v[206:207]
	v_div_scale_f64 v[208:209], vcc_lo, 1.0, v[200:201], 1.0
	s_delay_alu instid0(VALU_DEP_1) | instskip(NEXT) | instid1(VALU_DEP_1)
	v_mul_f64 v[210:211], v[208:209], v[206:207]
	v_fma_f64 v[202:203], -v[202:203], v[210:211], v[208:209]
	s_delay_alu instid0(VALU_DEP_1) | instskip(NEXT) | instid1(VALU_DEP_1)
	v_div_fmas_f64 v[202:203], v[202:203], v[206:207], v[210:211]
	v_div_fixup_f64 v[206:207], v[202:203], v[200:201], 1.0
                                        ; implicit-def: $vgpr200_vgpr201
	s_delay_alu instid0(VALU_DEP_1)
	v_mul_f64 v[208:209], v[204:205], v[206:207]
	v_xor_b32_e32 v207, 0x80000000, v207
.LBB77_329:
	s_and_not1_saveexec_b32 s3, s3
	s_cbranch_execz .LBB77_331
; %bb.330:
	v_div_scale_f64 v[204:205], null, v[200:201], v[200:201], v[202:203]
	v_div_scale_f64 v[210:211], vcc_lo, v[202:203], v[200:201], v[202:203]
	s_delay_alu instid0(VALU_DEP_2) | instskip(SKIP_2) | instid1(VALU_DEP_1)
	v_rcp_f64_e32 v[206:207], v[204:205]
	s_waitcnt_depctr 0xfff
	v_fma_f64 v[208:209], -v[204:205], v[206:207], 1.0
	v_fma_f64 v[206:207], v[206:207], v[208:209], v[206:207]
	s_delay_alu instid0(VALU_DEP_1) | instskip(NEXT) | instid1(VALU_DEP_1)
	v_fma_f64 v[208:209], -v[204:205], v[206:207], 1.0
	v_fma_f64 v[206:207], v[206:207], v[208:209], v[206:207]
	s_delay_alu instid0(VALU_DEP_1) | instskip(NEXT) | instid1(VALU_DEP_1)
	v_mul_f64 v[208:209], v[210:211], v[206:207]
	v_fma_f64 v[204:205], -v[204:205], v[208:209], v[210:211]
	s_delay_alu instid0(VALU_DEP_1) | instskip(NEXT) | instid1(VALU_DEP_1)
	v_div_fmas_f64 v[204:205], v[204:205], v[206:207], v[208:209]
	v_div_fixup_f64 v[204:205], v[204:205], v[200:201], v[202:203]
	s_delay_alu instid0(VALU_DEP_1) | instskip(NEXT) | instid1(VALU_DEP_1)
	v_fma_f64 v[200:201], v[202:203], v[204:205], v[200:201]
	v_div_scale_f64 v[202:203], null, v[200:201], v[200:201], 1.0
	s_delay_alu instid0(VALU_DEP_1) | instskip(SKIP_2) | instid1(VALU_DEP_1)
	v_rcp_f64_e32 v[206:207], v[202:203]
	s_waitcnt_depctr 0xfff
	v_fma_f64 v[208:209], -v[202:203], v[206:207], 1.0
	v_fma_f64 v[206:207], v[206:207], v[208:209], v[206:207]
	s_delay_alu instid0(VALU_DEP_1) | instskip(NEXT) | instid1(VALU_DEP_1)
	v_fma_f64 v[208:209], -v[202:203], v[206:207], 1.0
	v_fma_f64 v[206:207], v[206:207], v[208:209], v[206:207]
	v_div_scale_f64 v[208:209], vcc_lo, 1.0, v[200:201], 1.0
	s_delay_alu instid0(VALU_DEP_1) | instskip(NEXT) | instid1(VALU_DEP_1)
	v_mul_f64 v[210:211], v[208:209], v[206:207]
	v_fma_f64 v[202:203], -v[202:203], v[210:211], v[208:209]
	s_delay_alu instid0(VALU_DEP_1) | instskip(NEXT) | instid1(VALU_DEP_1)
	v_div_fmas_f64 v[202:203], v[202:203], v[206:207], v[210:211]
	v_div_fixup_f64 v[208:209], v[202:203], v[200:201], 1.0
	s_delay_alu instid0(VALU_DEP_1)
	v_mul_f64 v[206:207], v[204:205], -v[208:209]
.LBB77_331:
	s_or_b32 exec_lo, exec_lo, s3
	ds_store_2addr_b64 v215, v[208:209], v[206:207] offset1:1
.LBB77_332:
	s_or_b32 exec_lo, exec_lo, s4
	s_waitcnt lgkmcnt(0)
	s_barrier
	buffer_gl0_inv
	ds_load_2addr_b64 v[200:203], v215 offset1:1
	s_mov_b32 s3, exec_lo
	v_cmpx_lt_u32_e32 36, v214
	s_cbranch_execz .LBB77_334
; %bb.333:
	s_waitcnt lgkmcnt(0)
	v_mul_f64 v[204:205], v[200:201], v[10:11]
	v_mul_f64 v[10:11], v[202:203], v[10:11]
	s_delay_alu instid0(VALU_DEP_2) | instskip(SKIP_4) | instid1(VALU_DEP_1)
	v_fma_f64 v[208:209], v[202:203], v[8:9], v[204:205]
	ds_load_2addr_b64 v[204:207], v216 offset0:74 offset1:75
	v_fma_f64 v[8:9], v[200:201], v[8:9], -v[10:11]
	s_waitcnt lgkmcnt(0)
	v_mul_f64 v[10:11], v[206:207], v[208:209]
	v_fma_f64 v[10:11], v[204:205], v[8:9], -v[10:11]
	v_mul_f64 v[204:205], v[204:205], v[208:209]
	s_delay_alu instid0(VALU_DEP_2) | instskip(NEXT) | instid1(VALU_DEP_2)
	v_add_f64 v[4:5], v[4:5], -v[10:11]
	v_fma_f64 v[204:205], v[206:207], v[8:9], v[204:205]
	s_delay_alu instid0(VALU_DEP_1) | instskip(SKIP_3) | instid1(VALU_DEP_1)
	v_add_f64 v[6:7], v[6:7], -v[204:205]
	ds_load_2addr_b64 v[204:207], v216 offset0:76 offset1:77
	s_waitcnt lgkmcnt(0)
	v_mul_f64 v[10:11], v[206:207], v[208:209]
	v_fma_f64 v[10:11], v[204:205], v[8:9], -v[10:11]
	v_mul_f64 v[204:205], v[204:205], v[208:209]
	s_delay_alu instid0(VALU_DEP_2) | instskip(NEXT) | instid1(VALU_DEP_2)
	v_add_f64 v[0:1], v[0:1], -v[10:11]
	v_fma_f64 v[204:205], v[206:207], v[8:9], v[204:205]
	v_dual_mov_b32 v10, v208 :: v_dual_mov_b32 v11, v209
	s_delay_alu instid0(VALU_DEP_2)
	v_add_f64 v[2:3], v[2:3], -v[204:205]
.LBB77_334:
	s_or_b32 exec_lo, exec_lo, s3
	s_delay_alu instid0(SALU_CYCLE_1)
	s_mov_b32 s4, exec_lo
	s_waitcnt lgkmcnt(0)
	s_barrier
	buffer_gl0_inv
	v_cmpx_eq_u32_e32 37, v214
	s_cbranch_execz .LBB77_341
; %bb.335:
	ds_store_2addr_b64 v215, v[4:5], v[6:7] offset1:1
	ds_store_2addr_b64 v216, v[0:1], v[2:3] offset0:76 offset1:77
	ds_load_2addr_b64 v[204:207], v215 offset1:1
	s_waitcnt lgkmcnt(0)
	v_cmp_neq_f64_e32 vcc_lo, 0, v[204:205]
	v_cmp_neq_f64_e64 s3, 0, v[206:207]
	s_delay_alu instid0(VALU_DEP_1) | instskip(NEXT) | instid1(SALU_CYCLE_1)
	s_or_b32 s3, vcc_lo, s3
	s_and_b32 exec_lo, exec_lo, s3
	s_cbranch_execz .LBB77_341
; %bb.336:
	v_cmp_gt_f64_e32 vcc_lo, 0, v[204:205]
	v_xor_b32_e32 v208, 0x80000000, v205
	v_xor_b32_e32 v210, 0x80000000, v207
	s_mov_b32 s3, exec_lo
                                        ; implicit-def: $vgpr212_vgpr213
	s_delay_alu instid0(VALU_DEP_2) | instskip(SKIP_4) | instid1(VALU_DEP_1)
	v_cndmask_b32_e32 v209, v205, v208, vcc_lo
	v_cndmask_b32_e32 v208, v204, v204, vcc_lo
	v_cmp_gt_f64_e32 vcc_lo, 0, v[206:207]
	v_cndmask_b32_e32 v211, v207, v210, vcc_lo
	v_cndmask_b32_e32 v210, v206, v206, vcc_lo
	v_cmpx_ngt_f64_e32 v[208:209], v[210:211]
	s_xor_b32 s3, exec_lo, s3
                                        ; implicit-def: $vgpr208_vgpr209_vgpr210_vgpr211
	s_cbranch_execz .LBB77_338
; %bb.337:
	v_div_scale_f64 v[208:209], null, v[206:207], v[206:207], v[204:205]
	v_dual_mov_b32 v156, v217 :: v_dual_mov_b32 v157, v218
	v_div_scale_f64 v[217:218], vcc_lo, v[204:205], v[206:207], v[204:205]
	s_delay_alu instid0(VALU_DEP_3) | instskip(SKIP_2) | instid1(VALU_DEP_1)
	v_rcp_f64_e32 v[210:211], v[208:209]
	s_waitcnt_depctr 0xfff
	v_fma_f64 v[212:213], -v[208:209], v[210:211], 1.0
	v_fma_f64 v[210:211], v[210:211], v[212:213], v[210:211]
	s_delay_alu instid0(VALU_DEP_1) | instskip(NEXT) | instid1(VALU_DEP_1)
	v_fma_f64 v[212:213], -v[208:209], v[210:211], 1.0
	v_fma_f64 v[210:211], v[210:211], v[212:213], v[210:211]
	s_delay_alu instid0(VALU_DEP_1) | instskip(NEXT) | instid1(VALU_DEP_1)
	v_mul_f64 v[212:213], v[217:218], v[210:211]
	v_fma_f64 v[208:209], -v[208:209], v[212:213], v[217:218]
	s_delay_alu instid0(VALU_DEP_1) | instskip(NEXT) | instid1(VALU_DEP_1)
	v_div_fmas_f64 v[208:209], v[208:209], v[210:211], v[212:213]
	v_div_fixup_f64 v[208:209], v[208:209], v[206:207], v[204:205]
	s_delay_alu instid0(VALU_DEP_1) | instskip(NEXT) | instid1(VALU_DEP_1)
	v_fma_f64 v[204:205], v[204:205], v[208:209], v[206:207]
	v_div_scale_f64 v[206:207], null, v[204:205], v[204:205], 1.0
	s_delay_alu instid0(VALU_DEP_1) | instskip(SKIP_2) | instid1(VALU_DEP_1)
	v_rcp_f64_e32 v[210:211], v[206:207]
	s_waitcnt_depctr 0xfff
	v_fma_f64 v[212:213], -v[206:207], v[210:211], 1.0
	v_fma_f64 v[210:211], v[210:211], v[212:213], v[210:211]
	s_delay_alu instid0(VALU_DEP_1) | instskip(NEXT) | instid1(VALU_DEP_1)
	v_fma_f64 v[212:213], -v[206:207], v[210:211], 1.0
	v_fma_f64 v[210:211], v[210:211], v[212:213], v[210:211]
	v_div_scale_f64 v[212:213], vcc_lo, 1.0, v[204:205], 1.0
	s_delay_alu instid0(VALU_DEP_1) | instskip(NEXT) | instid1(VALU_DEP_1)
	v_mul_f64 v[217:218], v[212:213], v[210:211]
	v_fma_f64 v[206:207], -v[206:207], v[217:218], v[212:213]
	s_delay_alu instid0(VALU_DEP_1) | instskip(SKIP_1) | instid1(VALU_DEP_2)
	v_div_fmas_f64 v[206:207], v[206:207], v[210:211], v[217:218]
	v_dual_mov_b32 v218, v157 :: v_dual_mov_b32 v217, v156
	v_div_fixup_f64 v[210:211], v[206:207], v[204:205], 1.0
                                        ; implicit-def: $vgpr204_vgpr205
	s_delay_alu instid0(VALU_DEP_1)
	v_mul_f64 v[212:213], v[208:209], v[210:211]
	v_xor_b32_e32 v211, 0x80000000, v211
.LBB77_338:
	s_and_not1_saveexec_b32 s3, s3
	s_cbranch_execz .LBB77_340
; %bb.339:
	v_div_scale_f64 v[208:209], null, v[204:205], v[204:205], v[206:207]
	v_dual_mov_b32 v156, v217 :: v_dual_mov_b32 v157, v218
	v_div_scale_f64 v[217:218], vcc_lo, v[206:207], v[204:205], v[206:207]
	s_delay_alu instid0(VALU_DEP_3) | instskip(SKIP_2) | instid1(VALU_DEP_1)
	v_rcp_f64_e32 v[210:211], v[208:209]
	s_waitcnt_depctr 0xfff
	v_fma_f64 v[212:213], -v[208:209], v[210:211], 1.0
	v_fma_f64 v[210:211], v[210:211], v[212:213], v[210:211]
	s_delay_alu instid0(VALU_DEP_1) | instskip(NEXT) | instid1(VALU_DEP_1)
	v_fma_f64 v[212:213], -v[208:209], v[210:211], 1.0
	v_fma_f64 v[210:211], v[210:211], v[212:213], v[210:211]
	s_delay_alu instid0(VALU_DEP_1) | instskip(NEXT) | instid1(VALU_DEP_1)
	v_mul_f64 v[212:213], v[217:218], v[210:211]
	v_fma_f64 v[208:209], -v[208:209], v[212:213], v[217:218]
	s_delay_alu instid0(VALU_DEP_1) | instskip(NEXT) | instid1(VALU_DEP_1)
	v_div_fmas_f64 v[208:209], v[208:209], v[210:211], v[212:213]
	v_div_fixup_f64 v[208:209], v[208:209], v[204:205], v[206:207]
	s_delay_alu instid0(VALU_DEP_1) | instskip(NEXT) | instid1(VALU_DEP_1)
	v_fma_f64 v[204:205], v[206:207], v[208:209], v[204:205]
	v_div_scale_f64 v[206:207], null, v[204:205], v[204:205], 1.0
	s_delay_alu instid0(VALU_DEP_1) | instskip(SKIP_2) | instid1(VALU_DEP_1)
	v_rcp_f64_e32 v[210:211], v[206:207]
	s_waitcnt_depctr 0xfff
	v_fma_f64 v[212:213], -v[206:207], v[210:211], 1.0
	v_fma_f64 v[210:211], v[210:211], v[212:213], v[210:211]
	s_delay_alu instid0(VALU_DEP_1) | instskip(NEXT) | instid1(VALU_DEP_1)
	v_fma_f64 v[212:213], -v[206:207], v[210:211], 1.0
	v_fma_f64 v[210:211], v[210:211], v[212:213], v[210:211]
	v_div_scale_f64 v[212:213], vcc_lo, 1.0, v[204:205], 1.0
	s_delay_alu instid0(VALU_DEP_1) | instskip(NEXT) | instid1(VALU_DEP_1)
	v_mul_f64 v[217:218], v[212:213], v[210:211]
	v_fma_f64 v[206:207], -v[206:207], v[217:218], v[212:213]
	s_delay_alu instid0(VALU_DEP_1) | instskip(SKIP_1) | instid1(VALU_DEP_2)
	v_div_fmas_f64 v[206:207], v[206:207], v[210:211], v[217:218]
	v_dual_mov_b32 v218, v157 :: v_dual_mov_b32 v217, v156
	v_div_fixup_f64 v[212:213], v[206:207], v[204:205], 1.0
	s_delay_alu instid0(VALU_DEP_1)
	v_mul_f64 v[210:211], v[208:209], -v[212:213]
.LBB77_340:
	s_or_b32 exec_lo, exec_lo, s3
	ds_store_2addr_b64 v215, v[212:213], v[210:211] offset1:1
.LBB77_341:
	s_or_b32 exec_lo, exec_lo, s4
	s_waitcnt lgkmcnt(0)
	s_barrier
	buffer_gl0_inv
	ds_load_2addr_b64 v[204:207], v215 offset1:1
	s_mov_b32 s3, exec_lo
	v_cmpx_lt_u32_e32 37, v214
	s_cbranch_execz .LBB77_343
; %bb.342:
	s_waitcnt lgkmcnt(0)
	v_mul_f64 v[208:209], v[204:205], v[6:7]
	v_mul_f64 v[6:7], v[206:207], v[6:7]
	s_delay_alu instid0(VALU_DEP_2) | instskip(SKIP_4) | instid1(VALU_DEP_1)
	v_fma_f64 v[212:213], v[206:207], v[4:5], v[208:209]
	ds_load_2addr_b64 v[208:211], v216 offset0:76 offset1:77
	v_fma_f64 v[4:5], v[204:205], v[4:5], -v[6:7]
	s_waitcnt lgkmcnt(0)
	v_mul_f64 v[6:7], v[210:211], v[212:213]
	v_fma_f64 v[6:7], v[208:209], v[4:5], -v[6:7]
	v_mul_f64 v[208:209], v[208:209], v[212:213]
	s_delay_alu instid0(VALU_DEP_2) | instskip(NEXT) | instid1(VALU_DEP_2)
	v_add_f64 v[0:1], v[0:1], -v[6:7]
	v_fma_f64 v[208:209], v[210:211], v[4:5], v[208:209]
	v_dual_mov_b32 v6, v212 :: v_dual_mov_b32 v7, v213
	s_delay_alu instid0(VALU_DEP_2)
	v_add_f64 v[2:3], v[2:3], -v[208:209]
.LBB77_343:
	s_or_b32 exec_lo, exec_lo, s3
	s_delay_alu instid0(SALU_CYCLE_1)
	s_mov_b32 s4, exec_lo
	s_waitcnt lgkmcnt(0)
	s_barrier
	buffer_gl0_inv
	v_cmpx_eq_u32_e32 38, v214
	s_cbranch_execz .LBB77_350
; %bb.344:
	v_cmp_neq_f64_e32 vcc_lo, 0, v[0:1]
	v_cmp_neq_f64_e64 s3, 0, v[2:3]
	ds_store_2addr_b64 v215, v[0:1], v[2:3] offset1:1
	s_or_b32 s3, vcc_lo, s3
	s_delay_alu instid0(SALU_CYCLE_1)
	s_and_b32 exec_lo, exec_lo, s3
	s_cbranch_execz .LBB77_350
; %bb.345:
	v_cmp_gt_f64_e32 vcc_lo, 0, v[0:1]
	v_xor_b32_e32 v208, 0x80000000, v1
	v_xor_b32_e32 v210, 0x80000000, v3
	s_mov_b32 s3, exec_lo
                                        ; implicit-def: $vgpr212_vgpr213
	s_delay_alu instid0(VALU_DEP_2) | instskip(SKIP_4) | instid1(VALU_DEP_1)
	v_cndmask_b32_e32 v209, v1, v208, vcc_lo
	v_cndmask_b32_e32 v208, v0, v0, vcc_lo
	v_cmp_gt_f64_e32 vcc_lo, 0, v[2:3]
	v_cndmask_b32_e32 v211, v3, v210, vcc_lo
	v_cndmask_b32_e32 v210, v2, v2, vcc_lo
	v_cmpx_ngt_f64_e32 v[208:209], v[210:211]
	s_xor_b32 s3, exec_lo, s3
                                        ; implicit-def: $vgpr208_vgpr209_vgpr210_vgpr211
	s_cbranch_execz .LBB77_347
; %bb.346:
	v_div_scale_f64 v[208:209], null, v[2:3], v[2:3], v[0:1]
	v_dual_mov_b32 v158, v217 :: v_dual_mov_b32 v159, v218
	v_div_scale_f64 v[216:217], vcc_lo, v[0:1], v[2:3], v[0:1]
	v_dual_mov_b32 v156, v253 :: v_dual_mov_b32 v157, v254
	v_dual_mov_b32 v255, v252 :: v_dual_mov_b32 v254, v251
	;; [unrolled: 1-line block ×16, first 2 shown]
	v_rcp_f64_e32 v[210:211], v[208:209]
	v_dual_mov_b32 v225, v222 :: v_dual_mov_b32 v224, v221
	v_dual_mov_b32 v223, v220 :: v_dual_mov_b32 v222, v219
	s_waitcnt_depctr 0xfff
	v_fma_f64 v[212:213], -v[208:209], v[210:211], 1.0
	s_delay_alu instid0(VALU_DEP_1) | instskip(NEXT) | instid1(VALU_DEP_1)
	v_fma_f64 v[210:211], v[210:211], v[212:213], v[210:211]
	v_fma_f64 v[212:213], -v[208:209], v[210:211], 1.0
	s_delay_alu instid0(VALU_DEP_1) | instskip(NEXT) | instid1(VALU_DEP_1)
	v_fma_f64 v[210:211], v[210:211], v[212:213], v[210:211]
	v_mul_f64 v[212:213], v[216:217], v[210:211]
	s_delay_alu instid0(VALU_DEP_1) | instskip(NEXT) | instid1(VALU_DEP_1)
	v_fma_f64 v[208:209], -v[208:209], v[212:213], v[216:217]
	v_div_fmas_f64 v[208:209], v[208:209], v[210:211], v[212:213]
	s_delay_alu instid0(VALU_DEP_1) | instskip(NEXT) | instid1(VALU_DEP_1)
	v_div_fixup_f64 v[208:209], v[208:209], v[2:3], v[0:1]
	v_fma_f64 v[210:211], v[0:1], v[208:209], v[2:3]
	s_delay_alu instid0(VALU_DEP_1) | instskip(NEXT) | instid1(VALU_DEP_1)
	v_div_scale_f64 v[212:213], null, v[210:211], v[210:211], 1.0
	v_rcp_f64_e32 v[216:217], v[212:213]
	s_waitcnt_depctr 0xfff
	v_fma_f64 v[218:219], -v[212:213], v[216:217], 1.0
	s_delay_alu instid0(VALU_DEP_1) | instskip(NEXT) | instid1(VALU_DEP_1)
	v_fma_f64 v[216:217], v[216:217], v[218:219], v[216:217]
	v_fma_f64 v[218:219], -v[212:213], v[216:217], 1.0
	s_delay_alu instid0(VALU_DEP_1) | instskip(SKIP_1) | instid1(VALU_DEP_1)
	v_fma_f64 v[216:217], v[216:217], v[218:219], v[216:217]
	v_div_scale_f64 v[218:219], vcc_lo, 1.0, v[210:211], 1.0
	v_mul_f64 v[220:221], v[218:219], v[216:217]
	s_delay_alu instid0(VALU_DEP_1) | instskip(NEXT) | instid1(VALU_DEP_1)
	v_fma_f64 v[212:213], -v[212:213], v[220:221], v[218:219]
	v_div_fmas_f64 v[212:213], v[212:213], v[216:217], v[220:221]
	v_dual_mov_b32 v218, v159 :: v_dual_mov_b32 v217, v158
	v_dual_mov_b32 v219, v222 :: v_dual_mov_b32 v220, v223
	;; [unrolled: 1-line block ×19, first 2 shown]
	v_div_fixup_f64 v[210:211], v[212:213], v[210:211], 1.0
	s_delay_alu instid0(VALU_DEP_1)
	v_mul_f64 v[212:213], v[208:209], v[210:211]
	v_xor_b32_e32 v211, 0x80000000, v211
.LBB77_347:
	s_and_not1_saveexec_b32 s3, s3
	s_cbranch_execz .LBB77_349
; %bb.348:
	v_div_scale_f64 v[208:209], null, v[0:1], v[0:1], v[2:3]
	v_dual_mov_b32 v158, v217 :: v_dual_mov_b32 v159, v218
	v_div_scale_f64 v[216:217], vcc_lo, v[2:3], v[0:1], v[2:3]
	v_dual_mov_b32 v156, v253 :: v_dual_mov_b32 v157, v254
	v_dual_mov_b32 v255, v252 :: v_dual_mov_b32 v254, v251
	;; [unrolled: 1-line block ×16, first 2 shown]
	v_rcp_f64_e32 v[210:211], v[208:209]
	v_dual_mov_b32 v225, v222 :: v_dual_mov_b32 v224, v221
	v_dual_mov_b32 v223, v220 :: v_dual_mov_b32 v222, v219
	s_waitcnt_depctr 0xfff
	v_fma_f64 v[212:213], -v[208:209], v[210:211], 1.0
	s_delay_alu instid0(VALU_DEP_1) | instskip(NEXT) | instid1(VALU_DEP_1)
	v_fma_f64 v[210:211], v[210:211], v[212:213], v[210:211]
	v_fma_f64 v[212:213], -v[208:209], v[210:211], 1.0
	s_delay_alu instid0(VALU_DEP_1) | instskip(NEXT) | instid1(VALU_DEP_1)
	v_fma_f64 v[210:211], v[210:211], v[212:213], v[210:211]
	v_mul_f64 v[212:213], v[216:217], v[210:211]
	s_delay_alu instid0(VALU_DEP_1) | instskip(NEXT) | instid1(VALU_DEP_1)
	v_fma_f64 v[208:209], -v[208:209], v[212:213], v[216:217]
	v_div_fmas_f64 v[208:209], v[208:209], v[210:211], v[212:213]
	s_delay_alu instid0(VALU_DEP_1) | instskip(NEXT) | instid1(VALU_DEP_1)
	v_div_fixup_f64 v[208:209], v[208:209], v[0:1], v[2:3]
	v_fma_f64 v[210:211], v[2:3], v[208:209], v[0:1]
	s_delay_alu instid0(VALU_DEP_1) | instskip(NEXT) | instid1(VALU_DEP_1)
	v_div_scale_f64 v[212:213], null, v[210:211], v[210:211], 1.0
	v_rcp_f64_e32 v[216:217], v[212:213]
	s_waitcnt_depctr 0xfff
	v_fma_f64 v[218:219], -v[212:213], v[216:217], 1.0
	s_delay_alu instid0(VALU_DEP_1) | instskip(NEXT) | instid1(VALU_DEP_1)
	v_fma_f64 v[216:217], v[216:217], v[218:219], v[216:217]
	v_fma_f64 v[218:219], -v[212:213], v[216:217], 1.0
	s_delay_alu instid0(VALU_DEP_1) | instskip(SKIP_1) | instid1(VALU_DEP_1)
	v_fma_f64 v[216:217], v[216:217], v[218:219], v[216:217]
	v_div_scale_f64 v[218:219], vcc_lo, 1.0, v[210:211], 1.0
	v_mul_f64 v[220:221], v[218:219], v[216:217]
	s_delay_alu instid0(VALU_DEP_1) | instskip(NEXT) | instid1(VALU_DEP_1)
	v_fma_f64 v[212:213], -v[212:213], v[220:221], v[218:219]
	v_div_fmas_f64 v[212:213], v[212:213], v[216:217], v[220:221]
	v_dual_mov_b32 v218, v159 :: v_dual_mov_b32 v217, v158
	v_dual_mov_b32 v219, v222 :: v_dual_mov_b32 v220, v223
	v_dual_mov_b32 v221, v224 :: v_dual_mov_b32 v222, v225
	v_dual_mov_b32 v223, v226 :: v_dual_mov_b32 v224, v227
	v_dual_mov_b32 v225, v228 :: v_dual_mov_b32 v226, v229
	v_dual_mov_b32 v227, v230 :: v_dual_mov_b32 v228, v231
	v_dual_mov_b32 v229, v232 :: v_dual_mov_b32 v230, v233
	v_dual_mov_b32 v231, v234 :: v_dual_mov_b32 v232, v235
	v_dual_mov_b32 v233, v236 :: v_dual_mov_b32 v234, v237
	v_dual_mov_b32 v235, v238 :: v_dual_mov_b32 v236, v239
	v_dual_mov_b32 v237, v240 :: v_dual_mov_b32 v238, v241
	v_dual_mov_b32 v239, v242 :: v_dual_mov_b32 v240, v243
	v_dual_mov_b32 v241, v244 :: v_dual_mov_b32 v242, v245
	v_dual_mov_b32 v243, v246 :: v_dual_mov_b32 v244, v247
	v_dual_mov_b32 v245, v248 :: v_dual_mov_b32 v246, v249
	v_dual_mov_b32 v247, v250 :: v_dual_mov_b32 v248, v251
	v_dual_mov_b32 v249, v252 :: v_dual_mov_b32 v250, v253
	v_dual_mov_b32 v251, v254 :: v_dual_mov_b32 v252, v255
	v_dual_mov_b32 v254, v157 :: v_dual_mov_b32 v253, v156
	v_div_fixup_f64 v[212:213], v[212:213], v[210:211], 1.0
	s_delay_alu instid0(VALU_DEP_1)
	v_mul_f64 v[210:211], v[208:209], -v[212:213]
.LBB77_349:
	s_or_b32 exec_lo, exec_lo, s3
	ds_store_2addr_b64 v215, v[212:213], v[210:211] offset1:1
.LBB77_350:
	s_or_b32 exec_lo, exec_lo, s4
	s_waitcnt lgkmcnt(0)
	s_barrier
	buffer_gl0_inv
	ds_load_2addr_b64 v[208:211], v215 offset1:1
	s_mov_b32 s3, exec_lo
	v_cmpx_lt_u32_e32 38, v214
	s_cbranch_execz .LBB77_352
; %bb.351:
	s_waitcnt lgkmcnt(0)
	v_mul_f64 v[212:213], v[210:211], v[2:3]
	v_mul_f64 v[2:3], v[208:209], v[2:3]
	s_delay_alu instid0(VALU_DEP_2) | instskip(NEXT) | instid1(VALU_DEP_2)
	v_fma_f64 v[212:213], v[208:209], v[0:1], -v[212:213]
	v_fma_f64 v[2:3], v[210:211], v[0:1], v[2:3]
	s_delay_alu instid0(VALU_DEP_2)
	v_dual_mov_b32 v0, v212 :: v_dual_mov_b32 v1, v213
.LBB77_352:
	s_or_b32 exec_lo, exec_lo, s3
	s_waitcnt lgkmcnt(0)
	s_barrier
	buffer_gl0_inv
	s_and_saveexec_b32 s12, s2
	s_cbranch_execz .LBB77_355
; %bb.353:
	scratch_load_b128 v[156:159], off, off offset:168 ; 16-byte Folded Reload
	s_load_b64 s[14:15], s[0:1], 0x28
	s_waitcnt vmcnt(0)
	v_cmp_eq_f64_e32 vcc_lo, 0, v[156:157]
	v_cmp_eq_f64_e64 s2, 0, v[158:159]
	scratch_load_b128 v[156:159], off, off offset:184 ; 16-byte Folded Reload
	s_and_b32 s2, vcc_lo, s2
	s_delay_alu instid0(SALU_CYCLE_1)
	v_cndmask_b32_e64 v212, 0, 1, s2
	s_waitcnt vmcnt(0)
	v_cmp_neq_f64_e64 s3, 0, v[156:157]
	v_cmp_neq_f64_e64 s4, 0, v[158:159]
	scratch_load_b128 v[156:159], off, off offset:200 ; 16-byte Folded Reload
	s_or_b32 s3, s3, s4
	s_delay_alu instid0(SALU_CYCLE_1) | instskip(SKIP_1) | instid1(VALU_DEP_1)
	s_or_b32 vcc_lo, s3, s2
	v_cndmask_b32_e32 v212, 2, v212, vcc_lo
	v_cmp_eq_u32_e64 s3, 0, v212
	s_waitcnt vmcnt(0)
	v_cmp_eq_f64_e64 s5, 0, v[156:157]
	v_cmp_eq_f64_e64 s6, 0, v[158:159]
	scratch_load_b128 v[156:159], off, off offset:216 ; 16-byte Folded Reload
	s_and_b32 s4, s5, s6
	s_delay_alu instid0(SALU_CYCLE_1) | instskip(NEXT) | instid1(SALU_CYCLE_1)
	s_and_b32 s3, s4, s3
	v_cndmask_b32_e64 v212, v212, 3, s3
	s_delay_alu instid0(VALU_DEP_1)
	v_cmp_eq_u32_e64 s5, 0, v212
	s_waitcnt vmcnt(0)
	v_cmp_eq_f64_e64 s7, 0, v[156:157]
	v_cmp_eq_f64_e64 s8, 0, v[158:159]
	scratch_load_b128 v[156:159], off, off offset:232 ; 16-byte Folded Reload
	s_and_b32 s6, s7, s8
	s_delay_alu instid0(SALU_CYCLE_1) | instskip(NEXT) | instid1(SALU_CYCLE_1)
	s_and_b32 s5, s6, s5
	v_cndmask_b32_e64 v212, v212, 4, s5
	s_delay_alu instid0(VALU_DEP_1)
	;; [unrolled: 10-line block ×3, first 2 shown]
	v_cmp_eq_u32_e64 s9, 0, v212
	s_waitcnt vmcnt(0)
	v_cmp_eq_f64_e32 vcc_lo, 0, v[156:157]
	v_cmp_eq_f64_e64 s2, 0, v[158:159]
	scratch_load_b128 v[156:159], off, off offset:264 ; 16-byte Folded Reload
	s_and_b32 s13, vcc_lo, s2
	s_delay_alu instid0(SALU_CYCLE_1) | instskip(NEXT) | instid1(SALU_CYCLE_1)
	s_and_b32 s9, s13, s9
	v_cndmask_b32_e64 v212, v212, 6, s9
	s_delay_alu instid0(VALU_DEP_1)
	v_cmp_eq_u32_e32 vcc_lo, 0, v212
	s_waitcnt vmcnt(0)
	v_cmp_eq_f64_e64 s3, 0, v[156:157]
	v_cmp_eq_f64_e64 s4, 0, v[158:159]
	scratch_load_b128 v[156:159], off, off offset:280 ; 16-byte Folded Reload
	s_and_b32 s3, s3, s4
	s_delay_alu instid0(SALU_CYCLE_1) | instskip(NEXT) | instid1(SALU_CYCLE_1)
	s_and_b32 s3, s3, vcc_lo
	v_cndmask_b32_e64 v212, v212, 7, s3
	s_delay_alu instid0(VALU_DEP_1)
	v_cmp_eq_u32_e32 vcc_lo, 0, v212
	s_waitcnt vmcnt(0)
	v_cmp_eq_f64_e64 s5, 0, v[156:157]
	v_cmp_eq_f64_e64 s6, 0, v[158:159]
	scratch_load_b128 v[156:159], off, off offset:296 ; 16-byte Folded Reload
	s_and_b32 s5, s5, s6
	s_delay_alu instid0(SALU_CYCLE_1) | instskip(NEXT) | instid1(SALU_CYCLE_1)
	s_and_b32 s0, s5, vcc_lo
	v_cndmask_b32_e64 v212, v212, 8, s0
	s_delay_alu instid0(VALU_DEP_1)
	v_cmp_eq_u32_e64 s1, 0, v212
	s_waitcnt vmcnt(0)
	v_cmp_eq_f64_e64 s7, 0, v[156:157]
	v_cmp_eq_f64_e64 s8, 0, v[158:159]
	scratch_load_b128 v[156:159], off, off offset:312 ; 16-byte Folded Reload
	s_and_b32 s5, s7, s8
	s_delay_alu instid0(SALU_CYCLE_1) | instskip(NEXT) | instid1(SALU_CYCLE_1)
	s_and_b32 s1, s5, s1
	v_cndmask_b32_e64 v214, v212, 9, s1
	v_lshlrev_b64 v[212:213], 2, v[225:226]
	s_waitcnt lgkmcnt(0)
	s_delay_alu instid0(VALU_DEP_1) | instskip(NEXT) | instid1(VALU_DEP_1)
	v_add_co_u32 v212, s6, s14, v212
	v_add_co_ci_u32_e64 v213, s6, s15, v213, s6
	s_waitcnt vmcnt(0)
	v_cmp_eq_f64_e64 s10, 0, v[156:157]
	v_cmp_eq_f64_e64 s2, 0, v[158:159]
	scratch_load_b128 v[156:159], off, off offset:328 ; 16-byte Folded Reload
	s_and_b32 s7, s10, s2
	v_cmp_eq_u32_e64 s2, 0, v214
	s_delay_alu instid0(VALU_DEP_1) | instskip(NEXT) | instid1(SALU_CYCLE_1)
	s_and_b32 s2, s7, s2
	v_cndmask_b32_e64 v215, v214, 10, s2
	global_load_b32 v214, v[212:213], off
	v_cmp_eq_u32_e64 s7, 0, v215
	s_waitcnt vmcnt(1)
	v_cmp_eq_f64_e64 s3, 0, v[156:157]
	v_cmp_eq_f64_e64 s4, 0, v[158:159]
	scratch_load_b128 v[156:159], off, off offset:344 ; 16-byte Folded Reload
	s_and_b32 s3, s3, s4
	s_delay_alu instid0(SALU_CYCLE_1) | instskip(NEXT) | instid1(SALU_CYCLE_1)
	s_and_b32 s3, s3, s7
	v_cndmask_b32_e64 v215, v215, 11, s3
	s_delay_alu instid0(VALU_DEP_1)
	v_cmp_eq_u32_e64 s7, 0, v215
	s_waitcnt vmcnt(0)
	v_cmp_eq_f64_e32 vcc_lo, 0, v[156:157]
	v_cmp_eq_f64_e64 s0, 0, v[158:159]
	scratch_load_b128 v[156:159], off, off offset:360 ; 16-byte Folded Reload
	s_and_b32 s0, vcc_lo, s0
	s_delay_alu instid0(SALU_CYCLE_1) | instskip(NEXT) | instid1(SALU_CYCLE_1)
	s_and_b32 s0, s0, s7
	v_cndmask_b32_e64 v215, v215, 12, s0
	s_delay_alu instid0(VALU_DEP_1)
	v_cmp_eq_u32_e64 s7, 0, v215
	s_waitcnt vmcnt(0)
	v_cmp_eq_f64_e64 s1, 0, v[156:157]
	v_cmp_eq_f64_e64 s5, 0, v[158:159]
	scratch_load_b128 v[156:159], off, off offset:376 ; 16-byte Folded Reload
	s_and_b32 s1, s1, s5
	s_delay_alu instid0(SALU_CYCLE_1) | instskip(NEXT) | instid1(SALU_CYCLE_1)
	s_and_b32 s1, s1, s7
	v_cndmask_b32_e64 v215, v215, 13, s1
	s_delay_alu instid0(VALU_DEP_1)
	v_cmp_eq_u32_e64 s7, 0, v215
	s_waitcnt vmcnt(0)
	v_cmp_eq_f64_e64 s2, 0, v[156:157]
	v_cmp_eq_f64_e64 s6, 0, v[158:159]
	scratch_load_b128 v[156:159], off, off offset:392 ; 16-byte Folded Reload
	s_and_b32 s2, s2, s6
	s_delay_alu instid0(SALU_CYCLE_1) | instskip(NEXT) | instid1(SALU_CYCLE_1)
	s_and_b32 s2, s2, s7
	v_cndmask_b32_e64 v215, v215, 14, s2
	s_delay_alu instid0(VALU_DEP_1)
	v_cmp_eq_u32_e64 s7, 0, v215
	s_waitcnt vmcnt(0)
	v_cmp_eq_f64_e64 s3, 0, v[156:157]
	v_cmp_eq_f64_e64 s4, 0, v[158:159]
	scratch_load_b128 v[156:159], off, off offset:408 ; 16-byte Folded Reload
	s_and_b32 s3, s3, s4
	s_delay_alu instid0(SALU_CYCLE_1) | instskip(NEXT) | instid1(SALU_CYCLE_1)
	s_and_b32 s3, s3, s7
	v_cndmask_b32_e64 v215, v215, 15, s3
	s_delay_alu instid0(VALU_DEP_1)
	v_cmp_eq_u32_e64 s7, 0, v215
	s_waitcnt vmcnt(0)
	v_cmp_eq_f64_e32 vcc_lo, 0, v[156:157]
	v_cmp_eq_f64_e64 s0, 0, v[158:159]
	scratch_load_b128 v[156:159], off, off offset:424 ; 16-byte Folded Reload
	s_and_b32 s0, vcc_lo, s0
	s_delay_alu instid0(SALU_CYCLE_1) | instskip(NEXT) | instid1(SALU_CYCLE_1)
	s_and_b32 s0, s0, s7
	v_cndmask_b32_e64 v215, v215, 16, s0
	s_delay_alu instid0(VALU_DEP_1)
	v_cmp_eq_u32_e64 s7, 0, v215
	s_waitcnt vmcnt(0)
	v_cmp_eq_f64_e64 s1, 0, v[156:157]
	v_cmp_eq_f64_e64 s5, 0, v[158:159]
	scratch_load_b128 v[156:159], off, off offset:440 ; 16-byte Folded Reload
	s_and_b32 s1, s1, s5
	s_delay_alu instid0(SALU_CYCLE_1) | instskip(NEXT) | instid1(SALU_CYCLE_1)
	s_and_b32 s1, s1, s7
	v_cndmask_b32_e64 v215, v215, 17, s1
	s_delay_alu instid0(VALU_DEP_1)
	v_cmp_eq_u32_e64 s7, 0, v215
	s_waitcnt vmcnt(0)
	v_cmp_eq_f64_e64 s2, 0, v[156:157]
	v_cmp_eq_f64_e64 s6, 0, v[158:159]
	scratch_load_b128 v[156:159], off, off offset:456 ; 16-byte Folded Reload
	s_and_b32 s2, s2, s6
	s_delay_alu instid0(SALU_CYCLE_1) | instskip(NEXT) | instid1(SALU_CYCLE_1)
	s_and_b32 s2, s2, s7
	v_cndmask_b32_e64 v215, v215, 18, s2
	s_delay_alu instid0(VALU_DEP_1)
	;; [unrolled: 40-line block ×3, first 2 shown]
	v_cmp_eq_u32_e64 s7, 0, v215
	s_waitcnt vmcnt(0)
	v_cmp_eq_f64_e64 s3, 0, v[156:157]
	v_cmp_eq_f64_e64 s4, 0, v[158:159]
	scratch_load_b128 v[156:159], off, off offset:536 ; 16-byte Folded Reload
	s_and_b32 s3, s3, s4
	v_cmp_eq_f64_e64 s4, 0, v[162:163]
	s_and_b32 s3, s3, s7
	s_waitcnt vmcnt(0)
	v_cmp_eq_f64_e32 vcc_lo, 0, v[156:157]
	v_cmp_eq_f64_e64 s0, 0, v[158:159]
	scratch_load_b128 v[156:159], off, off offset:552 ; 16-byte Folded Reload
	s_and_b32 s0, vcc_lo, s0
	v_cmp_eq_f64_e32 vcc_lo, 0, v[164:165]
	s_waitcnt vmcnt(0)
	v_cmp_eq_f64_e64 s1, 0, v[156:157]
	v_cmp_eq_f64_e64 s5, 0, v[158:159]
	scratch_load_b128 v[156:159], off, off offset:568 ; 16-byte Folded Reload
	s_and_b32 s1, s1, s5
	v_cmp_eq_f64_e64 s5, 0, v[170:171]
	s_waitcnt vmcnt(0)
	v_cmp_eq_f64_e64 s2, 0, v[156:157]
	v_cmp_eq_f64_e64 s6, 0, v[158:159]
	v_cndmask_b32_e64 v156, v215, 23, s3
	v_cmp_eq_f64_e64 s3, 0, v[160:161]
	s_delay_alu instid0(VALU_DEP_2) | instskip(NEXT) | instid1(VALU_DEP_1)
	v_cmp_eq_u32_e64 s7, 0, v156
	s_and_b32 s0, s0, s7
	s_delay_alu instid0(SALU_CYCLE_1) | instskip(SKIP_1) | instid1(VALU_DEP_2)
	v_cndmask_b32_e64 v156, v156, 24, s0
	v_cmp_eq_f64_e64 s0, 0, v[166:167]
	v_cmp_eq_u32_e64 s7, 0, v156
	s_delay_alu instid0(VALU_DEP_1) | instskip(NEXT) | instid1(SALU_CYCLE_1)
	s_and_b32 s1, s1, s7
	v_cndmask_b32_e64 v156, v156, 25, s1
	v_cmp_eq_f64_e64 s1, 0, v[168:169]
	s_delay_alu instid0(VALU_DEP_2) | instskip(SKIP_2) | instid1(VALU_DEP_2)
	v_cmp_eq_u32_e64 s7, 0, v156
	s_and_b32 s2, s2, s6
	v_cmp_eq_f64_e64 s6, 0, v[174:175]
	s_and_b32 s2, s2, s7
	s_and_b32 s3, s3, s4
	v_cndmask_b32_e64 v156, v156, 26, s2
	v_cmp_eq_f64_e64 s2, 0, v[172:173]
	v_cmp_eq_f64_e64 s4, 0, v[178:179]
	s_delay_alu instid0(VALU_DEP_3) | instskip(NEXT) | instid1(VALU_DEP_1)
	v_cmp_eq_u32_e64 s7, 0, v156
	s_and_b32 s3, s3, s7
	s_and_b32 s0, vcc_lo, s0
	v_cndmask_b32_e64 v156, v156, 27, s3
	v_cmp_eq_f64_e64 s3, 0, v[176:177]
	v_cmp_eq_f64_e32 vcc_lo, 0, v[180:181]
	s_delay_alu instid0(VALU_DEP_3) | instskip(NEXT) | instid1(VALU_DEP_1)
	v_cmp_eq_u32_e64 s7, 0, v156
	s_and_b32 s0, s0, s7
	s_and_b32 s1, s1, s5
	v_cndmask_b32_e64 v156, v156, 28, s0
	v_cmp_eq_f64_e64 s0, 0, v[182:183]
	v_cmp_eq_f64_e64 s5, 0, v[186:187]
	s_delay_alu instid0(VALU_DEP_3) | instskip(NEXT) | instid1(VALU_DEP_1)
	v_cmp_eq_u32_e64 s7, 0, v156
	s_and_b32 s1, s1, s7
	s_delay_alu instid0(SALU_CYCLE_1) | instskip(SKIP_3) | instid1(VALU_DEP_3)
	v_cndmask_b32_e64 v156, v156, 29, s1
	v_cmp_eq_f64_e64 s1, 0, v[184:185]
	s_and_b32 s2, s2, s6
	v_cmp_eq_f64_e64 s6, 0, v[190:191]
	v_cmp_eq_u32_e64 s7, 0, v156
	s_delay_alu instid0(VALU_DEP_1) | instskip(NEXT) | instid1(SALU_CYCLE_1)
	s_and_b32 s2, s2, s7
	v_cndmask_b32_e64 v156, v156, 30, s2
	v_cmp_eq_f64_e64 s2, 0, v[188:189]
	s_and_b32 s3, s3, s4
	v_cmp_eq_f64_e64 s4, 0, v[194:195]
	s_delay_alu instid0(VALU_DEP_3) | instskip(NEXT) | instid1(VALU_DEP_1)
	v_cmp_eq_u32_e64 s7, 0, v156
	s_and_b32 s3, s3, s7
	s_delay_alu instid0(SALU_CYCLE_1) | instskip(SKIP_3) | instid1(VALU_DEP_3)
	v_cndmask_b32_e64 v156, v156, 31, s3
	v_cmp_eq_f64_e64 s3, 0, v[192:193]
	s_and_b32 s0, vcc_lo, s0
	v_cmp_eq_f64_e32 vcc_lo, 0, v[196:197]
	v_cmp_eq_u32_e64 s7, 0, v156
	s_delay_alu instid0(VALU_DEP_1) | instskip(NEXT) | instid1(SALU_CYCLE_1)
	s_and_b32 s0, s0, s7
	v_cndmask_b32_e64 v156, v156, 32, s0
	v_cmp_eq_f64_e64 s0, 0, v[198:199]
	s_and_b32 s1, s1, s5
	v_cmp_eq_f64_e64 s5, 0, v[202:203]
	s_delay_alu instid0(VALU_DEP_3) | instskip(NEXT) | instid1(VALU_DEP_1)
	v_cmp_eq_u32_e64 s7, 0, v156
	s_and_b32 s1, s1, s7
	s_delay_alu instid0(SALU_CYCLE_1) | instskip(SKIP_3) | instid1(VALU_DEP_3)
	v_cndmask_b32_e64 v156, v156, 33, s1
	v_cmp_eq_f64_e64 s1, 0, v[200:201]
	s_and_b32 s2, s2, s6
	v_cmp_eq_f64_e64 s6, 0, v[206:207]
	v_cmp_eq_u32_e64 s7, 0, v156
	s_delay_alu instid0(VALU_DEP_1) | instskip(NEXT) | instid1(SALU_CYCLE_1)
	s_and_b32 s2, s2, s7
	v_cndmask_b32_e64 v156, v156, 34, s2
	v_cmp_eq_f64_e64 s2, 0, v[204:205]
	s_and_b32 s3, s3, s4
	v_cmp_eq_f64_e64 s4, 0, v[210:211]
	s_delay_alu instid0(VALU_DEP_3) | instskip(NEXT) | instid1(VALU_DEP_1)
	v_cmp_eq_u32_e64 s7, 0, v156
	s_and_b32 s3, s3, s7
	s_delay_alu instid0(SALU_CYCLE_1) | instskip(SKIP_2) | instid1(VALU_DEP_2)
	v_cndmask_b32_e64 v156, v156, 35, s3
	v_cmp_eq_f64_e64 s3, 0, v[208:209]
	s_and_b32 s0, vcc_lo, s0
	v_cmp_eq_u32_e64 s7, 0, v156
	s_delay_alu instid0(VALU_DEP_1) | instskip(NEXT) | instid1(SALU_CYCLE_1)
	s_and_b32 s0, s0, s7
	v_cndmask_b32_e64 v156, v156, 36, s0
	s_and_b32 s0, s1, s5
	s_delay_alu instid0(VALU_DEP_1) | instskip(SKIP_1) | instid1(SALU_CYCLE_1)
	v_cmp_eq_u32_e32 vcc_lo, 0, v156
	s_and_b32 s0, s0, vcc_lo
	v_cndmask_b32_e64 v156, v156, 37, s0
	s_and_b32 s0, s2, s6
	s_delay_alu instid0(VALU_DEP_1) | instskip(SKIP_1) | instid1(SALU_CYCLE_1)
	v_cmp_eq_u32_e32 vcc_lo, 0, v156
	s_and_b32 s0, s0, vcc_lo
	v_cndmask_b32_e64 v156, v156, 38, s0
	s_and_b32 s0, s3, s4
	s_delay_alu instid0(VALU_DEP_1) | instskip(SKIP_3) | instid1(VALU_DEP_1)
	v_cmp_eq_u32_e32 vcc_lo, 0, v156
	s_and_b32 s0, s0, vcc_lo
	v_cmp_eq_u32_e32 vcc_lo, 0, v214
	v_cndmask_b32_e64 v156, v156, 39, s0
	v_cmp_ne_u32_e64 s0, 0, v156
	s_delay_alu instid0(VALU_DEP_1) | instskip(NEXT) | instid1(SALU_CYCLE_1)
	s_and_b32 s0, vcc_lo, s0
	s_and_b32 exec_lo, exec_lo, s0
	s_cbranch_execz .LBB77_355
; %bb.354:
	v_add_nc_u32_e32 v156, s11, v156
	global_store_b32 v[212:213], v156, off
.LBB77_355:
	s_or_b32 exec_lo, exec_lo, s12
	scratch_load_b64 v[156:157], off, off offset:152 ; 8-byte Folded Reload
	s_waitcnt vmcnt(0)
	global_store_b128 v[156:157], v[152:155], off
	scratch_load_b64 v[152:153], off, off offset:160 ; 8-byte Folded Reload
	s_waitcnt vmcnt(0)
	global_store_b128 v[152:153], v[148:151], off
	;; [unrolled: 3-line block ×20, first 2 shown]
	scratch_load_b64 v[76:77], off, off     ; 8-byte Folded Reload
	s_waitcnt vmcnt(0)
	s_clause 0x12
	global_store_b128 v[76:77], v[72:75], off
	global_store_b128 v[217:218], v[68:71], off
	;; [unrolled: 1-line block ×19, first 2 shown]
.LBB77_356:
	s_nop 0
	s_sendmsg sendmsg(MSG_DEALLOC_VGPRS)
	s_endpgm
	.section	.rodata,"a",@progbits
	.p2align	6, 0x0
	.amdhsa_kernel _ZN9rocsolver6v33100L23getf2_npvt_small_kernelILi39E19rocblas_complex_numIdEiiPKPS3_EEvT1_T3_lS7_lPT2_S7_S7_
		.amdhsa_group_segment_fixed_size 0
		.amdhsa_private_segment_fixed_size 588
		.amdhsa_kernarg_size 312
		.amdhsa_user_sgpr_count 14
		.amdhsa_user_sgpr_dispatch_ptr 0
		.amdhsa_user_sgpr_queue_ptr 0
		.amdhsa_user_sgpr_kernarg_segment_ptr 1
		.amdhsa_user_sgpr_dispatch_id 0
		.amdhsa_user_sgpr_private_segment_size 0
		.amdhsa_wavefront_size32 1
		.amdhsa_uses_dynamic_stack 0
		.amdhsa_enable_private_segment 1
		.amdhsa_system_sgpr_workgroup_id_x 1
		.amdhsa_system_sgpr_workgroup_id_y 1
		.amdhsa_system_sgpr_workgroup_id_z 0
		.amdhsa_system_sgpr_workgroup_info 0
		.amdhsa_system_vgpr_workitem_id 1
		.amdhsa_next_free_vgpr 256
		.amdhsa_next_free_sgpr 16
		.amdhsa_reserve_vcc 1
		.amdhsa_float_round_mode_32 0
		.amdhsa_float_round_mode_16_64 0
		.amdhsa_float_denorm_mode_32 3
		.amdhsa_float_denorm_mode_16_64 3
		.amdhsa_dx10_clamp 1
		.amdhsa_ieee_mode 1
		.amdhsa_fp16_overflow 0
		.amdhsa_workgroup_processor_mode 1
		.amdhsa_memory_ordered 1
		.amdhsa_forward_progress 0
		.amdhsa_shared_vgpr_count 0
		.amdhsa_exception_fp_ieee_invalid_op 0
		.amdhsa_exception_fp_denorm_src 0
		.amdhsa_exception_fp_ieee_div_zero 0
		.amdhsa_exception_fp_ieee_overflow 0
		.amdhsa_exception_fp_ieee_underflow 0
		.amdhsa_exception_fp_ieee_inexact 0
		.amdhsa_exception_int_div_zero 0
	.end_amdhsa_kernel
	.section	.text._ZN9rocsolver6v33100L23getf2_npvt_small_kernelILi39E19rocblas_complex_numIdEiiPKPS3_EEvT1_T3_lS7_lPT2_S7_S7_,"axG",@progbits,_ZN9rocsolver6v33100L23getf2_npvt_small_kernelILi39E19rocblas_complex_numIdEiiPKPS3_EEvT1_T3_lS7_lPT2_S7_S7_,comdat
.Lfunc_end77:
	.size	_ZN9rocsolver6v33100L23getf2_npvt_small_kernelILi39E19rocblas_complex_numIdEiiPKPS3_EEvT1_T3_lS7_lPT2_S7_S7_, .Lfunc_end77-_ZN9rocsolver6v33100L23getf2_npvt_small_kernelILi39E19rocblas_complex_numIdEiiPKPS3_EEvT1_T3_lS7_lPT2_S7_S7_
                                        ; -- End function
	.section	.AMDGPU.csdata,"",@progbits
; Kernel info:
; codeLenInByte = 90384
; NumSgprs: 18
; NumVgprs: 256
; ScratchSize: 588
; MemoryBound: 1
; FloatMode: 240
; IeeeMode: 1
; LDSByteSize: 0 bytes/workgroup (compile time only)
; SGPRBlocks: 2
; VGPRBlocks: 31
; NumSGPRsForWavesPerEU: 18
; NumVGPRsForWavesPerEU: 256
; Occupancy: 5
; WaveLimiterHint : 1
; COMPUTE_PGM_RSRC2:SCRATCH_EN: 1
; COMPUTE_PGM_RSRC2:USER_SGPR: 14
; COMPUTE_PGM_RSRC2:TRAP_HANDLER: 0
; COMPUTE_PGM_RSRC2:TGID_X_EN: 1
; COMPUTE_PGM_RSRC2:TGID_Y_EN: 1
; COMPUTE_PGM_RSRC2:TGID_Z_EN: 0
; COMPUTE_PGM_RSRC2:TIDIG_COMP_CNT: 1
	.section	.text._ZN9rocsolver6v33100L18getf2_small_kernelILi40E19rocblas_complex_numIdEiiPKPS3_EEvT1_T3_lS7_lPS7_llPT2_S7_S7_S9_l,"axG",@progbits,_ZN9rocsolver6v33100L18getf2_small_kernelILi40E19rocblas_complex_numIdEiiPKPS3_EEvT1_T3_lS7_lPS7_llPT2_S7_S7_S9_l,comdat
	.globl	_ZN9rocsolver6v33100L18getf2_small_kernelILi40E19rocblas_complex_numIdEiiPKPS3_EEvT1_T3_lS7_lPS7_llPT2_S7_S7_S9_l ; -- Begin function _ZN9rocsolver6v33100L18getf2_small_kernelILi40E19rocblas_complex_numIdEiiPKPS3_EEvT1_T3_lS7_lPS7_llPT2_S7_S7_S9_l
	.p2align	8
	.type	_ZN9rocsolver6v33100L18getf2_small_kernelILi40E19rocblas_complex_numIdEiiPKPS3_EEvT1_T3_lS7_lPS7_llPT2_S7_S7_S9_l,@function
_ZN9rocsolver6v33100L18getf2_small_kernelILi40E19rocblas_complex_numIdEiiPKPS3_EEvT1_T3_lS7_lPS7_llPT2_S7_S7_S9_l: ; @_ZN9rocsolver6v33100L18getf2_small_kernelILi40E19rocblas_complex_numIdEiiPKPS3_EEvT1_T3_lS7_lPS7_llPT2_S7_S7_S9_l
; %bb.0:
	s_clause 0x1
	s_load_b32 s2, s[0:1], 0x6c
	s_load_b64 s[12:13], s[0:1], 0x48
	v_bfe_u32 v160, v0, 10, 10
	s_waitcnt lgkmcnt(0)
	s_lshr_b32 s2, s2, 16
	s_delay_alu instid0(VALU_DEP_1) | instid1(SALU_CYCLE_1)
	v_mad_u64_u32 v[164:165], null, s15, s2, v[160:161]
	s_mov_b32 s2, exec_lo
	s_delay_alu instid0(VALU_DEP_1)
	v_cmpx_gt_i32_e64 s12, v164
	s_cbranch_execz .LBB78_843
; %bb.1:
	s_clause 0x1
	s_load_b128 s[4:7], s[0:1], 0x8
	s_load_b128 s[8:11], s[0:1], 0x50
	v_ashrrev_i32_e32 v165, 31, v164
	v_mov_b32_e32 v166, 0
	v_mov_b32_e32 v167, 0
	s_delay_alu instid0(VALU_DEP_3) | instskip(SKIP_1) | instid1(VALU_DEP_1)
	v_lshlrev_b64 v[1:2], 3, v[164:165]
	s_waitcnt lgkmcnt(0)
	v_add_co_u32 v1, vcc_lo, s4, v1
	s_delay_alu instid0(VALU_DEP_2)
	v_add_co_ci_u32_e32 v2, vcc_lo, s5, v2, vcc_lo
	s_cmp_eq_u64 s[8:9], 0
	s_cselect_b32 s4, -1, 0
	global_load_b64 v[1:2], v[1:2], off
	s_and_b32 vcc_lo, exec_lo, s4
	s_cbranch_vccnz .LBB78_3
; %bb.2:
	v_mul_lo_u32 v5, v165, s10
	v_mul_lo_u32 v6, v164, s11
	v_mad_u64_u32 v[3:4], null, v164, s10, 0
	s_delay_alu instid0(VALU_DEP_1) | instskip(NEXT) | instid1(VALU_DEP_1)
	v_add3_u32 v4, v4, v6, v5
	v_lshlrev_b64 v[3:4], 2, v[3:4]
	s_delay_alu instid0(VALU_DEP_1) | instskip(NEXT) | instid1(VALU_DEP_2)
	v_add_co_u32 v166, vcc_lo, s8, v3
	v_add_co_ci_u32_e32 v167, vcc_lo, s9, v4, vcc_lo
.LBB78_3:
	s_clause 0x1
	s_load_b32 s8, s[0:1], 0x18
	s_load_b32 s5, s[0:1], 0x0
	v_and_b32_e32 v175, 0x3ff, v0
	s_lshl_b64 s[2:3], s[6:7], 4
	s_waitcnt vmcnt(0)
	v_add_co_u32 v171, vcc_lo, v1, s2
	s_delay_alu instid0(VALU_DEP_2) | instskip(SKIP_1) | instid1(VALU_DEP_2)
	v_lshlrev_b32_e32 v161, 4, v175
	v_add_co_ci_u32_e32 v172, vcc_lo, s3, v2, vcc_lo
	v_add_co_u32 v2, vcc_lo, v171, v161
	s_delay_alu instid0(VALU_DEP_2)
	v_add_co_ci_u32_e32 v3, vcc_lo, 0, v172, vcc_lo
	s_waitcnt lgkmcnt(0)
	v_add3_u32 v0, s8, s8, v175
	s_ashr_i32 s9, s8, 31
	s_max_i32 s2, s5, 40
	s_lshl_b64 s[10:11], s[8:9], 4
	s_cmp_lt_i32 s5, 2
	v_add_nc_u32_e32 v4, s8, v0
	v_add_co_u32 v6, vcc_lo, v2, s10
	v_add_co_ci_u32_e32 v7, vcc_lo, s11, v3, vcc_lo
	s_delay_alu instid0(VALU_DEP_3)
	v_ashrrev_i32_e32 v5, 31, v4
	v_add_nc_u32_e32 v8, s8, v4
	s_clause 0x1
	global_load_b128 v[52:55], v[2:3], off
	global_load_b128 v[48:51], v[6:7], off
	v_ashrrev_i32_e32 v1, 31, v0
	v_lshlrev_b64 v[2:3], 4, v[4:5]
	v_ashrrev_i32_e32 v9, 31, v8
	v_add_nc_u32_e32 v4, s8, v8
	s_delay_alu instid0(VALU_DEP_4) | instskip(NEXT) | instid1(VALU_DEP_3)
	v_lshlrev_b64 v[0:1], 4, v[0:1]
	v_lshlrev_b64 v[6:7], 4, v[8:9]
	s_delay_alu instid0(VALU_DEP_3) | instskip(SKIP_1) | instid1(VALU_DEP_4)
	v_add_nc_u32_e32 v8, s8, v4
	v_ashrrev_i32_e32 v5, 31, v4
	v_add_co_u32 v0, vcc_lo, v171, v0
	v_add_co_ci_u32_e32 v1, vcc_lo, v172, v1, vcc_lo
	s_delay_alu instid0(VALU_DEP_4) | instskip(SKIP_3) | instid1(VALU_DEP_4)
	v_add_nc_u32_e32 v10, s8, v8
	v_ashrrev_i32_e32 v9, 31, v8
	v_add_co_u32 v2, vcc_lo, v171, v2
	v_lshlrev_b64 v[4:5], 4, v[4:5]
	v_add_nc_u32_e32 v12, s8, v10
	v_ashrrev_i32_e32 v11, 31, v10
	v_add_co_ci_u32_e32 v3, vcc_lo, v172, v3, vcc_lo
	v_add_co_u32 v6, vcc_lo, v171, v6
	s_delay_alu instid0(VALU_DEP_4) | instskip(SKIP_3) | instid1(VALU_DEP_4)
	v_add_nc_u32_e32 v14, s8, v12
	v_lshlrev_b64 v[8:9], 4, v[8:9]
	v_ashrrev_i32_e32 v13, 31, v12
	v_add_co_ci_u32_e32 v7, vcc_lo, v172, v7, vcc_lo
	v_add_nc_u32_e32 v16, s8, v14
	v_add_co_u32 v4, vcc_lo, v171, v4
	v_lshlrev_b64 v[10:11], 4, v[10:11]
	v_ashrrev_i32_e32 v15, 31, v14
	s_delay_alu instid0(VALU_DEP_4) | instskip(SKIP_2) | instid1(VALU_DEP_3)
	v_add_nc_u32_e32 v18, s8, v16
	v_add_co_ci_u32_e32 v5, vcc_lo, v172, v5, vcc_lo
	v_add_co_u32 v8, vcc_lo, v171, v8
	v_add_nc_u32_e32 v20, s8, v18
	v_lshlrev_b64 v[12:13], 4, v[12:13]
	v_ashrrev_i32_e32 v17, 31, v16
	v_add_co_ci_u32_e32 v9, vcc_lo, v172, v9, vcc_lo
	s_delay_alu instid0(VALU_DEP_4) | instskip(SKIP_3) | instid1(VALU_DEP_4)
	v_add_nc_u32_e32 v22, s8, v20
	v_add_co_u32 v10, vcc_lo, v171, v10
	v_lshlrev_b64 v[14:15], 4, v[14:15]
	v_ashrrev_i32_e32 v19, 31, v18
	v_add_nc_u32_e32 v24, s8, v22
	v_add_co_ci_u32_e32 v11, vcc_lo, v172, v11, vcc_lo
	v_add_co_u32 v12, vcc_lo, v171, v12
	s_delay_alu instid0(VALU_DEP_3) | instskip(SKIP_3) | instid1(VALU_DEP_4)
	v_add_nc_u32_e32 v26, s8, v24
	v_lshlrev_b64 v[16:17], 4, v[16:17]
	v_ashrrev_i32_e32 v21, 31, v20
	v_add_co_ci_u32_e32 v13, vcc_lo, v172, v13, vcc_lo
	v_add_nc_u32_e32 v28, s8, v26
	v_add_co_u32 v14, vcc_lo, v171, v14
	v_lshlrev_b64 v[18:19], 4, v[18:19]
	v_ashrrev_i32_e32 v23, 31, v22
	s_delay_alu instid0(VALU_DEP_4) | instskip(SKIP_2) | instid1(VALU_DEP_3)
	v_add_nc_u32_e32 v30, s8, v28
	v_add_co_ci_u32_e32 v15, vcc_lo, v172, v15, vcc_lo
	v_add_co_u32 v16, vcc_lo, v171, v16
	v_add_nc_u32_e32 v32, s8, v30
	v_lshlrev_b64 v[20:21], 4, v[20:21]
	v_ashrrev_i32_e32 v25, 31, v24
	v_add_co_ci_u32_e32 v17, vcc_lo, v172, v17, vcc_lo
	s_delay_alu instid0(VALU_DEP_4) | instskip(SKIP_3) | instid1(VALU_DEP_4)
	v_add_nc_u32_e32 v34, s8, v32
	v_add_co_u32 v18, vcc_lo, v171, v18
	v_lshlrev_b64 v[22:23], 4, v[22:23]
	v_ashrrev_i32_e32 v27, 31, v26
	v_add_nc_u32_e32 v36, s8, v34
	v_add_co_ci_u32_e32 v19, vcc_lo, v172, v19, vcc_lo
	v_add_co_u32 v20, vcc_lo, v171, v20
	s_delay_alu instid0(VALU_DEP_3) | instskip(SKIP_3) | instid1(VALU_DEP_4)
	v_add_nc_u32_e32 v38, s8, v36
	v_lshlrev_b64 v[24:25], 4, v[24:25]
	v_ashrrev_i32_e32 v29, 31, v28
	v_add_co_ci_u32_e32 v21, vcc_lo, v172, v21, vcc_lo
	v_add_nc_u32_e32 v40, s8, v38
	v_add_co_u32 v22, vcc_lo, v171, v22
	v_lshlrev_b64 v[26:27], 4, v[26:27]
	v_ashrrev_i32_e32 v31, 31, v30
	v_add_co_ci_u32_e32 v23, vcc_lo, v172, v23, vcc_lo
	v_add_nc_u32_e32 v42, s8, v40
	v_add_co_u32 v24, vcc_lo, v171, v24
	v_lshlrev_b64 v[28:29], 4, v[28:29]
	v_ashrrev_i32_e32 v33, 31, v32
	v_add_co_ci_u32_e32 v25, vcc_lo, v172, v25, vcc_lo
	v_add_co_u32 v26, vcc_lo, v171, v26
	v_lshlrev_b64 v[30:31], 4, v[30:31]
	v_ashrrev_i32_e32 v35, 31, v34
	v_add_nc_u32_e32 v44, s8, v42
	v_add_co_ci_u32_e32 v27, vcc_lo, v172, v27, vcc_lo
	v_add_co_u32 v28, vcc_lo, v171, v28
	v_lshlrev_b64 v[32:33], 4, v[32:33]
	v_ashrrev_i32_e32 v37, 31, v36
	v_add_co_ci_u32_e32 v29, vcc_lo, v172, v29, vcc_lo
	v_add_co_u32 v30, vcc_lo, v171, v30
	v_lshlrev_b64 v[34:35], 4, v[34:35]
	v_add_nc_u32_e32 v46, s8, v44
	v_ashrrev_i32_e32 v39, 31, v38
	v_add_co_ci_u32_e32 v31, vcc_lo, v172, v31, vcc_lo
	v_add_co_u32 v32, vcc_lo, v171, v32
	v_lshlrev_b64 v[36:37], 4, v[36:37]
	v_ashrrev_i32_e32 v41, 31, v40
	v_add_co_ci_u32_e32 v33, vcc_lo, v172, v33, vcc_lo
	v_add_nc_u32_e32 v56, s8, v46
	v_add_co_u32 v34, vcc_lo, v171, v34
	v_lshlrev_b64 v[38:39], 4, v[38:39]
	v_ashrrev_i32_e32 v43, 31, v42
	v_add_co_ci_u32_e32 v35, vcc_lo, v172, v35, vcc_lo
	v_add_co_u32 v36, vcc_lo, v171, v36
	v_lshlrev_b64 v[40:41], 4, v[40:41]
	v_ashrrev_i32_e32 v45, 31, v44
	v_add_nc_u32_e32 v58, s8, v56
	v_add_co_ci_u32_e32 v37, vcc_lo, v172, v37, vcc_lo
	v_add_co_u32 v38, vcc_lo, v171, v38
	v_lshlrev_b64 v[42:43], 4, v[42:43]
	v_ashrrev_i32_e32 v47, 31, v46
	v_add_co_ci_u32_e32 v39, vcc_lo, v172, v39, vcc_lo
	v_add_co_u32 v40, vcc_lo, v171, v40
	v_lshlrev_b64 v[44:45], 4, v[44:45]
	v_add_nc_u32_e32 v60, s8, v58
	v_ashrrev_i32_e32 v57, 31, v56
	v_add_co_ci_u32_e32 v41, vcc_lo, v172, v41, vcc_lo
	v_add_co_u32 v42, vcc_lo, v171, v42
	v_lshlrev_b64 v[46:47], 4, v[46:47]
	v_ashrrev_i32_e32 v59, 31, v58
	v_add_co_ci_u32_e32 v43, vcc_lo, v172, v43, vcc_lo
	v_add_nc_u32_e32 v62, s8, v60
	v_add_co_u32 v44, vcc_lo, v171, v44
	v_lshlrev_b64 v[56:57], 4, v[56:57]
	v_ashrrev_i32_e32 v61, 31, v60
	v_add_co_ci_u32_e32 v45, vcc_lo, v172, v45, vcc_lo
	v_add_co_u32 v46, vcc_lo, v171, v46
	v_lshlrev_b64 v[58:59], 4, v[58:59]
	v_add_nc_u32_e32 v64, s8, v62
	v_add_co_ci_u32_e32 v47, vcc_lo, v172, v47, vcc_lo
	v_add_co_u32 v56, vcc_lo, v171, v56
	v_lshlrev_b64 v[60:61], 4, v[60:61]
	v_ashrrev_i32_e32 v63, 31, v62
	v_add_co_ci_u32_e32 v57, vcc_lo, v172, v57, vcc_lo
	v_add_co_u32 v58, vcc_lo, v171, v58
	v_ashrrev_i32_e32 v65, 31, v64
	v_add_nc_u32_e32 v66, s8, v64
	v_add_co_ci_u32_e32 v59, vcc_lo, v172, v59, vcc_lo
	v_lshlrev_b64 v[62:63], 4, v[62:63]
	v_add_co_u32 v162, vcc_lo, v171, v60
	v_add_co_ci_u32_e32 v163, vcc_lo, v172, v61, vcc_lo
	v_lshlrev_b64 v[60:61], 4, v[64:65]
	v_ashrrev_i32_e32 v67, 31, v66
	v_add_nc_u32_e32 v64, s8, v66
	v_add_co_u32 v168, vcc_lo, v171, v62
	v_add_co_ci_u32_e32 v169, vcc_lo, v172, v63, vcc_lo
	s_delay_alu instid0(VALU_DEP_4) | instskip(NEXT) | instid1(VALU_DEP_4)
	v_lshlrev_b64 v[62:63], 4, v[66:67]
	v_ashrrev_i32_e32 v65, 31, v64
	v_add_nc_u32_e32 v66, s8, v64
	v_add_co_u32 v173, vcc_lo, v171, v60
	v_add_co_ci_u32_e32 v174, vcc_lo, v172, v61, vcc_lo
	s_delay_alu instid0(VALU_DEP_4) | instskip(NEXT) | instid1(VALU_DEP_4)
	;; [unrolled: 6-line block ×7, first 2 shown]
	v_lshlrev_b64 v[62:63], 4, v[66:67]
	v_add_nc_u32_e32 v66, s8, v64
	v_ashrrev_i32_e32 v65, 31, v64
	v_add_co_u32 v186, vcc_lo, v171, v60
	v_add_co_ci_u32_e32 v187, vcc_lo, v172, v61, vcc_lo
	s_delay_alu instid0(VALU_DEP_4) | instskip(NEXT) | instid1(VALU_DEP_4)
	v_ashrrev_i32_e32 v67, 31, v66
	v_lshlrev_b64 v[60:61], 4, v[64:65]
	v_add_co_u32 v188, vcc_lo, v171, v62
	v_add_co_ci_u32_e32 v189, vcc_lo, v172, v63, vcc_lo
	s_delay_alu instid0(VALU_DEP_4) | instskip(NEXT) | instid1(VALU_DEP_4)
	v_lshlrev_b64 v[62:63], 4, v[66:67]
	v_add_co_u32 v190, vcc_lo, v171, v60
	v_add_co_ci_u32_e32 v191, vcc_lo, v172, v61, vcc_lo
	s_delay_alu instid0(VALU_DEP_3) | instskip(NEXT) | instid1(VALU_DEP_4)
	v_add_co_u32 v192, vcc_lo, v171, v62
	v_add_co_ci_u32_e32 v193, vcc_lo, v172, v63, vcc_lo
	s_clause 0x1f
	global_load_b128 v[156:159], v[0:1], off
	global_load_b128 v[152:155], v[2:3], off
	;; [unrolled: 1-line block ×32, first 2 shown]
	s_clause 0x5
	global_load_b128 v[20:23], v[182:183], off
	global_load_b128 v[16:19], v[184:185], off
	;; [unrolled: 1-line block ×6, first 2 shown]
	v_mul_lo_u32 v168, s2, v160
	s_delay_alu instid0(VALU_DEP_1) | instskip(SKIP_2) | instid1(VALU_DEP_3)
	v_lshl_add_u32 v170, v168, 4, 0
	v_lshlrev_b32_e32 v174, 4, v168
	v_mov_b32_e32 v168, 0
	v_add_nc_u32_e32 v160, v170, v161
	s_waitcnt vmcnt(39)
	ds_store_2addr_b64 v160, v[52:53], v[54:55] offset1:1
	s_waitcnt vmcnt(0) lgkmcnt(0)
	s_barrier
	buffer_gl0_inv
	ds_load_2addr_b64 v[160:163], v170 offset1:1
	s_cbranch_scc1 .LBB78_6
; %bb.4:
	v_add3_u32 v169, v174, 0, 16
	v_mov_b32_e32 v168, 0
	s_mov_b32 s6, 1
	s_set_inst_prefetch_distance 0x1
	.p2align	6
.LBB78_5:                               ; =>This Inner Loop Header: Depth=1
	ds_load_2addr_b64 v[176:179], v169 offset1:1
	s_waitcnt lgkmcnt(1)
	v_cmp_gt_f64_e32 vcc_lo, 0, v[160:161]
	v_xor_b32_e32 v173, 0x80000000, v161
	v_cmp_gt_f64_e64 s2, 0, v[162:163]
	v_xor_b32_e32 v180, 0x80000000, v163
	v_add_nc_u32_e32 v169, 16, v169
	s_waitcnt lgkmcnt(0)
	v_cmp_gt_f64_e64 s3, 0, v[176:177]
	v_mov_b32_e32 v184, v176
	v_dual_mov_b32 v186, v178 :: v_dual_cndmask_b32 v181, v161, v173
	v_xor_b32_e32 v173, 0x80000000, v177
	v_cndmask_b32_e64 v183, v163, v180, s2
	v_xor_b32_e32 v180, 0x80000000, v179
	v_cndmask_b32_e64 v182, v162, v162, s2
	s_delay_alu instid0(VALU_DEP_4) | instskip(SKIP_1) | instid1(VALU_DEP_1)
	v_cndmask_b32_e64 v185, v177, v173, s3
	v_cmp_gt_f64_e64 s3, 0, v[178:179]
	v_cndmask_b32_e64 v187, v179, v180, s3
	v_cndmask_b32_e32 v180, v160, v160, vcc_lo
	s_delay_alu instid0(VALU_DEP_2) | instskip(NEXT) | instid1(VALU_DEP_2)
	v_add_f64 v[184:185], v[184:185], v[186:187]
	v_add_f64 v[180:181], v[180:181], v[182:183]
	s_delay_alu instid0(VALU_DEP_1)
	v_cmp_lt_f64_e32 vcc_lo, v[180:181], v[184:185]
	v_cndmask_b32_e32 v163, v163, v179, vcc_lo
	v_dual_cndmask_b32 v161, v161, v177 :: v_dual_cndmask_b32 v160, v160, v176
	v_cndmask_b32_e32 v162, v162, v178, vcc_lo
	v_cndmask_b32_e64 v168, v168, s6, vcc_lo
	s_add_i32 s6, s6, 1
	s_delay_alu instid0(SALU_CYCLE_1)
	s_cmp_eq_u32 s5, s6
	s_cbranch_scc0 .LBB78_5
.LBB78_6:
	s_set_inst_prefetch_distance 0x2
	s_waitcnt lgkmcnt(0)
	v_cmp_neq_f64_e32 vcc_lo, 0, v[160:161]
	v_cmp_neq_f64_e64 s2, 0, v[162:163]
	v_mov_b32_e32 v173, 1
	v_mov_b32_e32 v177, 1
	s_delay_alu instid0(VALU_DEP_3) | instskip(NEXT) | instid1(SALU_CYCLE_1)
	s_or_b32 s2, vcc_lo, s2
	s_and_saveexec_b32 s3, s2
	s_cbranch_execz .LBB78_12
; %bb.7:
	v_cmp_gt_f64_e32 vcc_lo, 0, v[160:161]
	v_cmp_gt_f64_e64 s2, 0, v[162:163]
	v_xor_b32_e32 v169, 0x80000000, v161
	v_xor_b32_e32 v173, 0x80000000, v163
                                        ; implicit-def: $sgpr6
                                        ; implicit-def: $sgpr7
	s_delay_alu instid0(VALU_DEP_2) | instskip(NEXT) | instid1(VALU_DEP_2)
	v_dual_cndmask_b32 v177, v161, v169 :: v_dual_cndmask_b32 v176, v160, v160
	v_cndmask_b32_e64 v179, v163, v173, s2
	v_cndmask_b32_e64 v178, v162, v162, s2
	s_mov_b32 s2, exec_lo
	s_delay_alu instid0(VALU_DEP_1)
	v_cmpx_ngt_f64_e32 v[176:177], v[178:179]
	s_xor_b32 s2, exec_lo, s2
	s_cbranch_execz .LBB78_9
; %bb.8:
	v_div_scale_f64 v[176:177], null, v[162:163], v[162:163], v[160:161]
	v_div_scale_f64 v[182:183], vcc_lo, v[160:161], v[162:163], v[160:161]
	s_mov_b32 s7, 2
	s_mov_b32 s6, 0
	s_delay_alu instid0(VALU_DEP_2) | instskip(SKIP_2) | instid1(VALU_DEP_1)
	v_rcp_f64_e32 v[178:179], v[176:177]
	s_waitcnt_depctr 0xfff
	v_fma_f64 v[180:181], -v[176:177], v[178:179], 1.0
	v_fma_f64 v[178:179], v[178:179], v[180:181], v[178:179]
	s_delay_alu instid0(VALU_DEP_1) | instskip(NEXT) | instid1(VALU_DEP_1)
	v_fma_f64 v[180:181], -v[176:177], v[178:179], 1.0
	v_fma_f64 v[178:179], v[178:179], v[180:181], v[178:179]
	s_delay_alu instid0(VALU_DEP_1) | instskip(NEXT) | instid1(VALU_DEP_1)
	v_mul_f64 v[180:181], v[182:183], v[178:179]
	v_fma_f64 v[176:177], -v[176:177], v[180:181], v[182:183]
	s_delay_alu instid0(VALU_DEP_1) | instskip(NEXT) | instid1(VALU_DEP_1)
	v_div_fmas_f64 v[176:177], v[176:177], v[178:179], v[180:181]
	v_div_fixup_f64 v[176:177], v[176:177], v[162:163], v[160:161]
	s_delay_alu instid0(VALU_DEP_1) | instskip(NEXT) | instid1(VALU_DEP_1)
	v_fma_f64 v[160:161], v[160:161], v[176:177], v[162:163]
	v_div_scale_f64 v[162:163], null, v[160:161], v[160:161], 1.0
	s_delay_alu instid0(VALU_DEP_1) | instskip(SKIP_2) | instid1(VALU_DEP_1)
	v_rcp_f64_e32 v[178:179], v[162:163]
	s_waitcnt_depctr 0xfff
	v_fma_f64 v[180:181], -v[162:163], v[178:179], 1.0
	v_fma_f64 v[178:179], v[178:179], v[180:181], v[178:179]
	s_delay_alu instid0(VALU_DEP_1) | instskip(NEXT) | instid1(VALU_DEP_1)
	v_fma_f64 v[180:181], -v[162:163], v[178:179], 1.0
	v_fma_f64 v[178:179], v[178:179], v[180:181], v[178:179]
	v_div_scale_f64 v[180:181], vcc_lo, 1.0, v[160:161], 1.0
	s_delay_alu instid0(VALU_DEP_1) | instskip(NEXT) | instid1(VALU_DEP_1)
	v_mul_f64 v[182:183], v[180:181], v[178:179]
	v_fma_f64 v[162:163], -v[162:163], v[182:183], v[180:181]
	s_delay_alu instid0(VALU_DEP_1) | instskip(NEXT) | instid1(VALU_DEP_1)
	v_div_fmas_f64 v[162:163], v[162:163], v[178:179], v[182:183]
	v_div_fixup_f64 v[162:163], v[162:163], v[160:161], 1.0
	s_delay_alu instid0(VALU_DEP_1)
	v_mul_f64 v[160:161], v[176:177], v[162:163]
	v_xor_b32_e32 v163, 0x80000000, v163
.LBB78_9:
	s_or_saveexec_b32 s2, s2
	v_mov_b32_e32 v177, s6
	v_mov_b32_e32 v173, s7
	s_xor_b32 exec_lo, exec_lo, s2
	s_cbranch_execz .LBB78_11
; %bb.10:
	s_delay_alu instid0(VALU_DEP_4) | instskip(SKIP_2) | instid1(VALU_DEP_3)
	v_div_scale_f64 v[176:177], null, v[160:161], v[160:161], v[162:163]
	v_div_scale_f64 v[182:183], vcc_lo, v[162:163], v[160:161], v[162:163]
	v_mov_b32_e32 v173, 2
	v_rcp_f64_e32 v[178:179], v[176:177]
	s_waitcnt_depctr 0xfff
	v_fma_f64 v[180:181], -v[176:177], v[178:179], 1.0
	s_delay_alu instid0(VALU_DEP_1) | instskip(NEXT) | instid1(VALU_DEP_1)
	v_fma_f64 v[178:179], v[178:179], v[180:181], v[178:179]
	v_fma_f64 v[180:181], -v[176:177], v[178:179], 1.0
	s_delay_alu instid0(VALU_DEP_1) | instskip(NEXT) | instid1(VALU_DEP_1)
	v_fma_f64 v[178:179], v[178:179], v[180:181], v[178:179]
	v_mul_f64 v[180:181], v[182:183], v[178:179]
	s_delay_alu instid0(VALU_DEP_1) | instskip(NEXT) | instid1(VALU_DEP_1)
	v_fma_f64 v[176:177], -v[176:177], v[180:181], v[182:183]
	v_div_fmas_f64 v[176:177], v[176:177], v[178:179], v[180:181]
	s_delay_alu instid0(VALU_DEP_1) | instskip(NEXT) | instid1(VALU_DEP_1)
	v_div_fixup_f64 v[176:177], v[176:177], v[160:161], v[162:163]
	v_fma_f64 v[160:161], v[162:163], v[176:177], v[160:161]
	s_delay_alu instid0(VALU_DEP_1) | instskip(NEXT) | instid1(VALU_DEP_1)
	v_div_scale_f64 v[162:163], null, v[160:161], v[160:161], 1.0
	v_rcp_f64_e32 v[178:179], v[162:163]
	s_waitcnt_depctr 0xfff
	v_fma_f64 v[180:181], -v[162:163], v[178:179], 1.0
	s_delay_alu instid0(VALU_DEP_1) | instskip(NEXT) | instid1(VALU_DEP_1)
	v_fma_f64 v[178:179], v[178:179], v[180:181], v[178:179]
	v_fma_f64 v[180:181], -v[162:163], v[178:179], 1.0
	s_delay_alu instid0(VALU_DEP_1) | instskip(SKIP_1) | instid1(VALU_DEP_1)
	v_fma_f64 v[178:179], v[178:179], v[180:181], v[178:179]
	v_div_scale_f64 v[180:181], vcc_lo, 1.0, v[160:161], 1.0
	v_mul_f64 v[182:183], v[180:181], v[178:179]
	s_delay_alu instid0(VALU_DEP_1) | instskip(NEXT) | instid1(VALU_DEP_1)
	v_fma_f64 v[162:163], -v[162:163], v[182:183], v[180:181]
	v_div_fmas_f64 v[162:163], v[162:163], v[178:179], v[182:183]
	s_delay_alu instid0(VALU_DEP_1) | instskip(NEXT) | instid1(VALU_DEP_1)
	v_div_fixup_f64 v[160:161], v[162:163], v[160:161], 1.0
	v_mul_f64 v[162:163], v[176:177], -v[160:161]
	v_mov_b32_e32 v177, 0
.LBB78_11:
	s_or_b32 exec_lo, exec_lo, s2
.LBB78_12:
	s_delay_alu instid0(SALU_CYCLE_1) | instskip(NEXT) | instid1(SALU_CYCLE_1)
	s_or_b32 exec_lo, exec_lo, s3
	s_mov_b32 s2, exec_lo
	v_cmpx_ne_u32_e64 v175, v168
	s_xor_b32 s2, exec_lo, s2
	s_cbranch_execz .LBB78_18
; %bb.13:
	s_mov_b32 s3, exec_lo
	v_cmpx_eq_u32_e32 0, v175
	s_cbranch_execz .LBB78_17
; %bb.14:
	v_cmp_ne_u32_e32 vcc_lo, 0, v168
	s_xor_b32 s6, s4, -1
	s_delay_alu instid0(SALU_CYCLE_1) | instskip(NEXT) | instid1(SALU_CYCLE_1)
	s_and_b32 s7, s6, vcc_lo
	s_and_saveexec_b32 s6, s7
	s_cbranch_execz .LBB78_16
; %bb.15:
	v_ashrrev_i32_e32 v169, 31, v168
	s_delay_alu instid0(VALU_DEP_1) | instskip(NEXT) | instid1(VALU_DEP_1)
	v_lshlrev_b64 v[175:176], 2, v[168:169]
	v_add_co_u32 v175, vcc_lo, v166, v175
	s_delay_alu instid0(VALU_DEP_2)
	v_add_co_ci_u32_e32 v176, vcc_lo, v167, v176, vcc_lo
	s_clause 0x1
	flat_load_b32 v169, v[175:176]
	flat_load_b32 v178, v[166:167]
	s_waitcnt vmcnt(1) lgkmcnt(1)
	flat_store_b32 v[166:167], v169
	s_waitcnt vmcnt(0) lgkmcnt(1)
	flat_store_b32 v[175:176], v178
.LBB78_16:
	s_or_b32 exec_lo, exec_lo, s6
	v_mov_b32_e32 v175, v168
.LBB78_17:
	s_or_b32 exec_lo, exec_lo, s3
.LBB78_18:
	s_or_saveexec_b32 s2, s2
	s_delay_alu instid0(VALU_DEP_1)
	v_mov_b32_e32 v176, v175
	s_xor_b32 exec_lo, exec_lo, s2
	s_cbranch_execz .LBB78_20
; %bb.19:
	v_mov_b32_e32 v176, 0
	ds_store_2addr_b64 v170, v[48:49], v[50:51] offset0:2 offset1:3
	ds_store_2addr_b64 v170, v[156:157], v[158:159] offset0:4 offset1:5
	;; [unrolled: 1-line block ×39, first 2 shown]
.LBB78_20:
	s_or_b32 exec_lo, exec_lo, s2
	s_delay_alu instid0(SALU_CYCLE_1)
	s_mov_b32 s2, exec_lo
	s_waitcnt lgkmcnt(0)
	s_waitcnt_vscnt null, 0x0
	s_barrier
	buffer_gl0_inv
	v_cmpx_lt_i32_e32 0, v176
	s_cbranch_execz .LBB78_22
; %bb.21:
	v_mul_f64 v[168:169], v[162:163], v[54:55]
	v_mul_f64 v[54:55], v[160:161], v[54:55]
	s_delay_alu instid0(VALU_DEP_2) | instskip(NEXT) | instid1(VALU_DEP_2)
	v_fma_f64 v[168:169], v[160:161], v[52:53], -v[168:169]
	v_fma_f64 v[54:55], v[162:163], v[52:53], v[54:55]
	ds_load_2addr_b64 v[160:163], v170 offset0:2 offset1:3
	s_waitcnt lgkmcnt(0)
	v_mul_f64 v[52:53], v[162:163], v[54:55]
	s_delay_alu instid0(VALU_DEP_1) | instskip(SKIP_1) | instid1(VALU_DEP_2)
	v_fma_f64 v[52:53], v[160:161], v[168:169], -v[52:53]
	v_mul_f64 v[160:161], v[160:161], v[54:55]
	v_add_f64 v[48:49], v[48:49], -v[52:53]
	s_delay_alu instid0(VALU_DEP_2) | instskip(NEXT) | instid1(VALU_DEP_1)
	v_fma_f64 v[160:161], v[162:163], v[168:169], v[160:161]
	v_add_f64 v[50:51], v[50:51], -v[160:161]
	ds_load_2addr_b64 v[160:163], v170 offset0:4 offset1:5
	s_waitcnt lgkmcnt(0)
	v_mul_f64 v[52:53], v[162:163], v[54:55]
	s_delay_alu instid0(VALU_DEP_1) | instskip(SKIP_1) | instid1(VALU_DEP_2)
	v_fma_f64 v[52:53], v[160:161], v[168:169], -v[52:53]
	v_mul_f64 v[160:161], v[160:161], v[54:55]
	v_add_f64 v[156:157], v[156:157], -v[52:53]
	s_delay_alu instid0(VALU_DEP_2) | instskip(NEXT) | instid1(VALU_DEP_1)
	v_fma_f64 v[160:161], v[162:163], v[168:169], v[160:161]
	v_add_f64 v[158:159], v[158:159], -v[160:161]
	;; [unrolled: 10-line block ×38, first 2 shown]
	ds_load_2addr_b64 v[160:163], v170 offset0:78 offset1:79
	s_waitcnt lgkmcnt(0)
	v_mul_f64 v[52:53], v[162:163], v[54:55]
	s_delay_alu instid0(VALU_DEP_1) | instskip(SKIP_1) | instid1(VALU_DEP_2)
	v_fma_f64 v[52:53], v[160:161], v[168:169], -v[52:53]
	v_mul_f64 v[160:161], v[160:161], v[54:55]
	v_add_f64 v[0:1], v[0:1], -v[52:53]
	s_delay_alu instid0(VALU_DEP_2) | instskip(SKIP_1) | instid1(VALU_DEP_2)
	v_fma_f64 v[160:161], v[162:163], v[168:169], v[160:161]
	v_dual_mov_b32 v52, v168 :: v_dual_mov_b32 v53, v169
	v_add_f64 v[2:3], v[2:3], -v[160:161]
.LBB78_22:
	s_or_b32 exec_lo, exec_lo, s2
	v_lshl_add_u32 v160, v176, 4, v170
	s_barrier
	buffer_gl0_inv
	v_mov_b32_e32 v168, 1
	ds_store_2addr_b64 v160, v[48:49], v[50:51] offset1:1
	s_waitcnt lgkmcnt(0)
	s_barrier
	buffer_gl0_inv
	ds_load_2addr_b64 v[160:163], v170 offset0:2 offset1:3
	s_cmp_lt_i32 s5, 3
	s_cbranch_scc1 .LBB78_25
; %bb.23:
	v_add3_u32 v169, v174, 0, 32
	v_mov_b32_e32 v168, 1
	s_mov_b32 s6, 2
	s_set_inst_prefetch_distance 0x1
	.p2align	6
.LBB78_24:                              ; =>This Inner Loop Header: Depth=1
	ds_load_2addr_b64 v[178:181], v169 offset1:1
	s_waitcnt lgkmcnt(1)
	v_cmp_gt_f64_e32 vcc_lo, 0, v[160:161]
	v_xor_b32_e32 v182, 0x80000000, v161
	v_cmp_gt_f64_e64 s2, 0, v[162:163]
	v_xor_b32_e32 v184, 0x80000000, v163
	v_add_nc_u32_e32 v169, 16, v169
	s_waitcnt lgkmcnt(0)
	v_cmp_gt_f64_e64 s3, 0, v[178:179]
	v_mov_b32_e32 v186, v178
	v_dual_mov_b32 v188, v180 :: v_dual_cndmask_b32 v183, v161, v182
	v_xor_b32_e32 v182, 0x80000000, v179
	v_cndmask_b32_e64 v185, v163, v184, s2
	v_xor_b32_e32 v184, 0x80000000, v181
	s_delay_alu instid0(VALU_DEP_3) | instskip(SKIP_2) | instid1(VALU_DEP_2)
	v_cndmask_b32_e64 v187, v179, v182, s3
	v_cmp_gt_f64_e64 s3, 0, v[180:181]
	v_cndmask_b32_e32 v182, v160, v160, vcc_lo
	v_cndmask_b32_e64 v189, v181, v184, s3
	v_cndmask_b32_e64 v184, v162, v162, s2
	s_delay_alu instid0(VALU_DEP_2) | instskip(NEXT) | instid1(VALU_DEP_2)
	v_add_f64 v[186:187], v[186:187], v[188:189]
	v_add_f64 v[182:183], v[182:183], v[184:185]
	s_delay_alu instid0(VALU_DEP_1)
	v_cmp_lt_f64_e32 vcc_lo, v[182:183], v[186:187]
	v_cndmask_b32_e32 v163, v163, v181, vcc_lo
	v_dual_cndmask_b32 v161, v161, v179 :: v_dual_cndmask_b32 v160, v160, v178
	v_cndmask_b32_e32 v162, v162, v180, vcc_lo
	v_cndmask_b32_e64 v168, v168, s6, vcc_lo
	s_add_i32 s6, s6, 1
	s_delay_alu instid0(SALU_CYCLE_1)
	s_cmp_lg_u32 s5, s6
	s_cbranch_scc1 .LBB78_24
.LBB78_25:
	s_set_inst_prefetch_distance 0x2
	s_waitcnt lgkmcnt(0)
	v_cmp_neq_f64_e32 vcc_lo, 0, v[160:161]
	v_cmp_neq_f64_e64 s2, 0, v[162:163]
	s_delay_alu instid0(VALU_DEP_1) | instskip(NEXT) | instid1(SALU_CYCLE_1)
	s_or_b32 s2, vcc_lo, s2
	s_and_saveexec_b32 s3, s2
	s_cbranch_execz .LBB78_31
; %bb.26:
	v_cmp_gt_f64_e32 vcc_lo, 0, v[160:161]
	v_cmp_gt_f64_e64 s2, 0, v[162:163]
	v_xor_b32_e32 v169, 0x80000000, v161
	v_xor_b32_e32 v173, 0x80000000, v163
	s_delay_alu instid0(VALU_DEP_2) | instskip(NEXT) | instid1(VALU_DEP_2)
	v_dual_cndmask_b32 v179, v161, v169 :: v_dual_cndmask_b32 v178, v160, v160
	v_cndmask_b32_e64 v181, v163, v173, s2
	v_cndmask_b32_e64 v180, v162, v162, s2
	s_mov_b32 s2, exec_lo
	s_delay_alu instid0(VALU_DEP_1)
	v_cmpx_ngt_f64_e32 v[178:179], v[180:181]
	s_xor_b32 s2, exec_lo, s2
	s_cbranch_execz .LBB78_28
; %bb.27:
	v_div_scale_f64 v[178:179], null, v[162:163], v[162:163], v[160:161]
	v_div_scale_f64 v[184:185], vcc_lo, v[160:161], v[162:163], v[160:161]
	s_delay_alu instid0(VALU_DEP_2) | instskip(SKIP_2) | instid1(VALU_DEP_1)
	v_rcp_f64_e32 v[180:181], v[178:179]
	s_waitcnt_depctr 0xfff
	v_fma_f64 v[182:183], -v[178:179], v[180:181], 1.0
	v_fma_f64 v[180:181], v[180:181], v[182:183], v[180:181]
	s_delay_alu instid0(VALU_DEP_1) | instskip(NEXT) | instid1(VALU_DEP_1)
	v_fma_f64 v[182:183], -v[178:179], v[180:181], 1.0
	v_fma_f64 v[180:181], v[180:181], v[182:183], v[180:181]
	s_delay_alu instid0(VALU_DEP_1) | instskip(NEXT) | instid1(VALU_DEP_1)
	v_mul_f64 v[182:183], v[184:185], v[180:181]
	v_fma_f64 v[178:179], -v[178:179], v[182:183], v[184:185]
	s_delay_alu instid0(VALU_DEP_1) | instskip(NEXT) | instid1(VALU_DEP_1)
	v_div_fmas_f64 v[178:179], v[178:179], v[180:181], v[182:183]
	v_div_fixup_f64 v[178:179], v[178:179], v[162:163], v[160:161]
	s_delay_alu instid0(VALU_DEP_1) | instskip(NEXT) | instid1(VALU_DEP_1)
	v_fma_f64 v[160:161], v[160:161], v[178:179], v[162:163]
	v_div_scale_f64 v[162:163], null, v[160:161], v[160:161], 1.0
	s_delay_alu instid0(VALU_DEP_1) | instskip(SKIP_2) | instid1(VALU_DEP_1)
	v_rcp_f64_e32 v[180:181], v[162:163]
	s_waitcnt_depctr 0xfff
	v_fma_f64 v[182:183], -v[162:163], v[180:181], 1.0
	v_fma_f64 v[180:181], v[180:181], v[182:183], v[180:181]
	s_delay_alu instid0(VALU_DEP_1) | instskip(NEXT) | instid1(VALU_DEP_1)
	v_fma_f64 v[182:183], -v[162:163], v[180:181], 1.0
	v_fma_f64 v[180:181], v[180:181], v[182:183], v[180:181]
	v_div_scale_f64 v[182:183], vcc_lo, 1.0, v[160:161], 1.0
	s_delay_alu instid0(VALU_DEP_1) | instskip(NEXT) | instid1(VALU_DEP_1)
	v_mul_f64 v[184:185], v[182:183], v[180:181]
	v_fma_f64 v[162:163], -v[162:163], v[184:185], v[182:183]
	s_delay_alu instid0(VALU_DEP_1) | instskip(NEXT) | instid1(VALU_DEP_1)
	v_div_fmas_f64 v[162:163], v[162:163], v[180:181], v[184:185]
	v_div_fixup_f64 v[162:163], v[162:163], v[160:161], 1.0
	s_delay_alu instid0(VALU_DEP_1)
	v_mul_f64 v[160:161], v[178:179], v[162:163]
	v_xor_b32_e32 v163, 0x80000000, v163
.LBB78_28:
	s_and_not1_saveexec_b32 s2, s2
	s_cbranch_execz .LBB78_30
; %bb.29:
	s_delay_alu instid0(VALU_DEP_1) | instskip(SKIP_1) | instid1(VALU_DEP_2)
	v_div_scale_f64 v[178:179], null, v[160:161], v[160:161], v[162:163]
	v_div_scale_f64 v[184:185], vcc_lo, v[162:163], v[160:161], v[162:163]
	v_rcp_f64_e32 v[180:181], v[178:179]
	s_waitcnt_depctr 0xfff
	v_fma_f64 v[182:183], -v[178:179], v[180:181], 1.0
	s_delay_alu instid0(VALU_DEP_1) | instskip(NEXT) | instid1(VALU_DEP_1)
	v_fma_f64 v[180:181], v[180:181], v[182:183], v[180:181]
	v_fma_f64 v[182:183], -v[178:179], v[180:181], 1.0
	s_delay_alu instid0(VALU_DEP_1) | instskip(NEXT) | instid1(VALU_DEP_1)
	v_fma_f64 v[180:181], v[180:181], v[182:183], v[180:181]
	v_mul_f64 v[182:183], v[184:185], v[180:181]
	s_delay_alu instid0(VALU_DEP_1) | instskip(NEXT) | instid1(VALU_DEP_1)
	v_fma_f64 v[178:179], -v[178:179], v[182:183], v[184:185]
	v_div_fmas_f64 v[178:179], v[178:179], v[180:181], v[182:183]
	s_delay_alu instid0(VALU_DEP_1) | instskip(NEXT) | instid1(VALU_DEP_1)
	v_div_fixup_f64 v[178:179], v[178:179], v[160:161], v[162:163]
	v_fma_f64 v[160:161], v[162:163], v[178:179], v[160:161]
	s_delay_alu instid0(VALU_DEP_1) | instskip(NEXT) | instid1(VALU_DEP_1)
	v_div_scale_f64 v[162:163], null, v[160:161], v[160:161], 1.0
	v_rcp_f64_e32 v[180:181], v[162:163]
	s_waitcnt_depctr 0xfff
	v_fma_f64 v[182:183], -v[162:163], v[180:181], 1.0
	s_delay_alu instid0(VALU_DEP_1) | instskip(NEXT) | instid1(VALU_DEP_1)
	v_fma_f64 v[180:181], v[180:181], v[182:183], v[180:181]
	v_fma_f64 v[182:183], -v[162:163], v[180:181], 1.0
	s_delay_alu instid0(VALU_DEP_1) | instskip(SKIP_1) | instid1(VALU_DEP_1)
	v_fma_f64 v[180:181], v[180:181], v[182:183], v[180:181]
	v_div_scale_f64 v[182:183], vcc_lo, 1.0, v[160:161], 1.0
	v_mul_f64 v[184:185], v[182:183], v[180:181]
	s_delay_alu instid0(VALU_DEP_1) | instskip(NEXT) | instid1(VALU_DEP_1)
	v_fma_f64 v[162:163], -v[162:163], v[184:185], v[182:183]
	v_div_fmas_f64 v[162:163], v[162:163], v[180:181], v[184:185]
	s_delay_alu instid0(VALU_DEP_1) | instskip(NEXT) | instid1(VALU_DEP_1)
	v_div_fixup_f64 v[160:161], v[162:163], v[160:161], 1.0
	v_mul_f64 v[162:163], v[178:179], -v[160:161]
.LBB78_30:
	s_or_b32 exec_lo, exec_lo, s2
	v_mov_b32_e32 v173, v177
.LBB78_31:
	s_or_b32 exec_lo, exec_lo, s3
	s_delay_alu instid0(SALU_CYCLE_1)
	s_mov_b32 s2, exec_lo
	v_cmpx_ne_u32_e64 v176, v168
	s_xor_b32 s2, exec_lo, s2
	s_cbranch_execz .LBB78_37
; %bb.32:
	s_mov_b32 s3, exec_lo
	v_cmpx_eq_u32_e32 1, v176
	s_cbranch_execz .LBB78_36
; %bb.33:
	v_cmp_ne_u32_e32 vcc_lo, 1, v168
	s_xor_b32 s6, s4, -1
	s_delay_alu instid0(SALU_CYCLE_1) | instskip(NEXT) | instid1(SALU_CYCLE_1)
	s_and_b32 s7, s6, vcc_lo
	s_and_saveexec_b32 s6, s7
	s_cbranch_execz .LBB78_35
; %bb.34:
	v_ashrrev_i32_e32 v169, 31, v168
	s_delay_alu instid0(VALU_DEP_1) | instskip(NEXT) | instid1(VALU_DEP_1)
	v_lshlrev_b64 v[175:176], 2, v[168:169]
	v_add_co_u32 v175, vcc_lo, v166, v175
	s_delay_alu instid0(VALU_DEP_2)
	v_add_co_ci_u32_e32 v176, vcc_lo, v167, v176, vcc_lo
	s_clause 0x1
	flat_load_b32 v169, v[175:176]
	flat_load_b32 v177, v[166:167] offset:4
	s_waitcnt vmcnt(1) lgkmcnt(1)
	flat_store_b32 v[166:167], v169 offset:4
	s_waitcnt vmcnt(0) lgkmcnt(1)
	flat_store_b32 v[175:176], v177
.LBB78_35:
	s_or_b32 exec_lo, exec_lo, s6
	v_mov_b32_e32 v176, v168
	v_mov_b32_e32 v175, v168
.LBB78_36:
	s_or_b32 exec_lo, exec_lo, s3
.LBB78_37:
	s_and_not1_saveexec_b32 s2, s2
	s_cbranch_execz .LBB78_39
; %bb.38:
	v_mov_b32_e32 v176, 1
	ds_store_2addr_b64 v170, v[156:157], v[158:159] offset0:4 offset1:5
	ds_store_2addr_b64 v170, v[152:153], v[154:155] offset0:6 offset1:7
	;; [unrolled: 1-line block ×38, first 2 shown]
.LBB78_39:
	s_or_b32 exec_lo, exec_lo, s2
	s_delay_alu instid0(SALU_CYCLE_1)
	s_mov_b32 s2, exec_lo
	s_waitcnt lgkmcnt(0)
	s_waitcnt_vscnt null, 0x0
	s_barrier
	buffer_gl0_inv
	v_cmpx_lt_i32_e32 1, v176
	s_cbranch_execz .LBB78_41
; %bb.40:
	v_mul_f64 v[168:169], v[162:163], v[50:51]
	v_mul_f64 v[50:51], v[160:161], v[50:51]
	s_delay_alu instid0(VALU_DEP_2) | instskip(NEXT) | instid1(VALU_DEP_2)
	v_fma_f64 v[168:169], v[160:161], v[48:49], -v[168:169]
	v_fma_f64 v[50:51], v[162:163], v[48:49], v[50:51]
	ds_load_2addr_b64 v[160:163], v170 offset0:4 offset1:5
	s_waitcnt lgkmcnt(0)
	v_mul_f64 v[48:49], v[162:163], v[50:51]
	s_delay_alu instid0(VALU_DEP_1) | instskip(SKIP_1) | instid1(VALU_DEP_2)
	v_fma_f64 v[48:49], v[160:161], v[168:169], -v[48:49]
	v_mul_f64 v[160:161], v[160:161], v[50:51]
	v_add_f64 v[156:157], v[156:157], -v[48:49]
	s_delay_alu instid0(VALU_DEP_2) | instskip(NEXT) | instid1(VALU_DEP_1)
	v_fma_f64 v[160:161], v[162:163], v[168:169], v[160:161]
	v_add_f64 v[158:159], v[158:159], -v[160:161]
	ds_load_2addr_b64 v[160:163], v170 offset0:6 offset1:7
	s_waitcnt lgkmcnt(0)
	v_mul_f64 v[48:49], v[162:163], v[50:51]
	s_delay_alu instid0(VALU_DEP_1) | instskip(SKIP_1) | instid1(VALU_DEP_2)
	v_fma_f64 v[48:49], v[160:161], v[168:169], -v[48:49]
	v_mul_f64 v[160:161], v[160:161], v[50:51]
	v_add_f64 v[152:153], v[152:153], -v[48:49]
	s_delay_alu instid0(VALU_DEP_2) | instskip(NEXT) | instid1(VALU_DEP_1)
	v_fma_f64 v[160:161], v[162:163], v[168:169], v[160:161]
	v_add_f64 v[154:155], v[154:155], -v[160:161]
	;; [unrolled: 10-line block ×37, first 2 shown]
	ds_load_2addr_b64 v[160:163], v170 offset0:78 offset1:79
	s_waitcnt lgkmcnt(0)
	v_mul_f64 v[48:49], v[162:163], v[50:51]
	s_delay_alu instid0(VALU_DEP_1) | instskip(SKIP_1) | instid1(VALU_DEP_2)
	v_fma_f64 v[48:49], v[160:161], v[168:169], -v[48:49]
	v_mul_f64 v[160:161], v[160:161], v[50:51]
	v_add_f64 v[0:1], v[0:1], -v[48:49]
	s_delay_alu instid0(VALU_DEP_2) | instskip(SKIP_1) | instid1(VALU_DEP_2)
	v_fma_f64 v[160:161], v[162:163], v[168:169], v[160:161]
	v_dual_mov_b32 v48, v168 :: v_dual_mov_b32 v49, v169
	v_add_f64 v[2:3], v[2:3], -v[160:161]
.LBB78_41:
	s_or_b32 exec_lo, exec_lo, s2
	v_lshl_add_u32 v160, v176, 4, v170
	s_barrier
	buffer_gl0_inv
	v_mov_b32_e32 v168, 2
	ds_store_2addr_b64 v160, v[156:157], v[158:159] offset1:1
	s_waitcnt lgkmcnt(0)
	s_barrier
	buffer_gl0_inv
	ds_load_2addr_b64 v[160:163], v170 offset0:4 offset1:5
	s_cmp_lt_i32 s5, 4
	s_cbranch_scc1 .LBB78_44
; %bb.42:
	v_add3_u32 v169, v174, 0, 48
	v_mov_b32_e32 v168, 2
	s_mov_b32 s6, 3
	s_set_inst_prefetch_distance 0x1
	.p2align	6
.LBB78_43:                              ; =>This Inner Loop Header: Depth=1
	ds_load_2addr_b64 v[177:180], v169 offset1:1
	s_waitcnt lgkmcnt(1)
	v_cmp_gt_f64_e32 vcc_lo, 0, v[160:161]
	v_xor_b32_e32 v181, 0x80000000, v161
	v_cmp_gt_f64_e64 s2, 0, v[162:163]
	v_xor_b32_e32 v183, 0x80000000, v163
	v_add_nc_u32_e32 v169, 16, v169
	s_waitcnt lgkmcnt(0)
	v_cmp_gt_f64_e64 s3, 0, v[177:178]
	v_mov_b32_e32 v185, v177
	v_dual_mov_b32 v187, v179 :: v_dual_cndmask_b32 v182, v161, v181
	v_xor_b32_e32 v181, 0x80000000, v178
	v_cndmask_b32_e64 v184, v163, v183, s2
	v_xor_b32_e32 v183, 0x80000000, v180
	s_delay_alu instid0(VALU_DEP_3) | instskip(SKIP_2) | instid1(VALU_DEP_2)
	v_cndmask_b32_e64 v186, v178, v181, s3
	v_cmp_gt_f64_e64 s3, 0, v[179:180]
	v_cndmask_b32_e32 v181, v160, v160, vcc_lo
	v_cndmask_b32_e64 v188, v180, v183, s3
	v_cndmask_b32_e64 v183, v162, v162, s2
	s_delay_alu instid0(VALU_DEP_2) | instskip(NEXT) | instid1(VALU_DEP_2)
	v_add_f64 v[185:186], v[185:186], v[187:188]
	v_add_f64 v[181:182], v[181:182], v[183:184]
	s_delay_alu instid0(VALU_DEP_1) | instskip(SKIP_4) | instid1(SALU_CYCLE_1)
	v_cmp_lt_f64_e32 vcc_lo, v[181:182], v[185:186]
	v_dual_cndmask_b32 v162, v162, v179 :: v_dual_cndmask_b32 v161, v161, v178
	v_dual_cndmask_b32 v160, v160, v177 :: v_dual_cndmask_b32 v163, v163, v180
	v_cndmask_b32_e64 v168, v168, s6, vcc_lo
	s_add_i32 s6, s6, 1
	s_cmp_lg_u32 s5, s6
	s_cbranch_scc1 .LBB78_43
.LBB78_44:
	s_set_inst_prefetch_distance 0x2
	s_waitcnt lgkmcnt(0)
	v_cmp_eq_f64_e32 vcc_lo, 0, v[160:161]
	v_cmp_eq_f64_e64 s2, 0, v[162:163]
	s_delay_alu instid0(VALU_DEP_1) | instskip(NEXT) | instid1(SALU_CYCLE_1)
	s_and_b32 s2, vcc_lo, s2
	s_and_saveexec_b32 s3, s2
	s_delay_alu instid0(SALU_CYCLE_1)
	s_xor_b32 s2, exec_lo, s3
; %bb.45:
	v_cmp_ne_u32_e32 vcc_lo, 0, v173
	v_cndmask_b32_e32 v173, 3, v173, vcc_lo
; %bb.46:
	s_and_not1_saveexec_b32 s3, s2
	s_cbranch_execz .LBB78_52
; %bb.47:
	v_cmp_gt_f64_e32 vcc_lo, 0, v[160:161]
	v_cmp_gt_f64_e64 s2, 0, v[162:163]
	v_xor_b32_e32 v169, 0x80000000, v161
	v_xor_b32_e32 v177, 0x80000000, v163
	s_delay_alu instid0(VALU_DEP_2) | instskip(NEXT) | instid1(VALU_DEP_2)
	v_cndmask_b32_e32 v178, v161, v169, vcc_lo
	v_cndmask_b32_e64 v180, v163, v177, s2
	v_cndmask_b32_e32 v177, v160, v160, vcc_lo
	v_cndmask_b32_e64 v179, v162, v162, s2
	s_mov_b32 s2, exec_lo
	s_delay_alu instid0(VALU_DEP_1)
	v_cmpx_ngt_f64_e32 v[177:178], v[179:180]
	s_xor_b32 s2, exec_lo, s2
	s_cbranch_execz .LBB78_49
; %bb.48:
	v_div_scale_f64 v[177:178], null, v[162:163], v[162:163], v[160:161]
	v_div_scale_f64 v[183:184], vcc_lo, v[160:161], v[162:163], v[160:161]
	s_delay_alu instid0(VALU_DEP_2) | instskip(SKIP_2) | instid1(VALU_DEP_1)
	v_rcp_f64_e32 v[179:180], v[177:178]
	s_waitcnt_depctr 0xfff
	v_fma_f64 v[181:182], -v[177:178], v[179:180], 1.0
	v_fma_f64 v[179:180], v[179:180], v[181:182], v[179:180]
	s_delay_alu instid0(VALU_DEP_1) | instskip(NEXT) | instid1(VALU_DEP_1)
	v_fma_f64 v[181:182], -v[177:178], v[179:180], 1.0
	v_fma_f64 v[179:180], v[179:180], v[181:182], v[179:180]
	s_delay_alu instid0(VALU_DEP_1) | instskip(NEXT) | instid1(VALU_DEP_1)
	v_mul_f64 v[181:182], v[183:184], v[179:180]
	v_fma_f64 v[177:178], -v[177:178], v[181:182], v[183:184]
	s_delay_alu instid0(VALU_DEP_1) | instskip(NEXT) | instid1(VALU_DEP_1)
	v_div_fmas_f64 v[177:178], v[177:178], v[179:180], v[181:182]
	v_div_fixup_f64 v[177:178], v[177:178], v[162:163], v[160:161]
	s_delay_alu instid0(VALU_DEP_1) | instskip(NEXT) | instid1(VALU_DEP_1)
	v_fma_f64 v[160:161], v[160:161], v[177:178], v[162:163]
	v_div_scale_f64 v[162:163], null, v[160:161], v[160:161], 1.0
	s_delay_alu instid0(VALU_DEP_1) | instskip(SKIP_2) | instid1(VALU_DEP_1)
	v_rcp_f64_e32 v[179:180], v[162:163]
	s_waitcnt_depctr 0xfff
	v_fma_f64 v[181:182], -v[162:163], v[179:180], 1.0
	v_fma_f64 v[179:180], v[179:180], v[181:182], v[179:180]
	s_delay_alu instid0(VALU_DEP_1) | instskip(NEXT) | instid1(VALU_DEP_1)
	v_fma_f64 v[181:182], -v[162:163], v[179:180], 1.0
	v_fma_f64 v[179:180], v[179:180], v[181:182], v[179:180]
	v_div_scale_f64 v[181:182], vcc_lo, 1.0, v[160:161], 1.0
	s_delay_alu instid0(VALU_DEP_1) | instskip(NEXT) | instid1(VALU_DEP_1)
	v_mul_f64 v[183:184], v[181:182], v[179:180]
	v_fma_f64 v[162:163], -v[162:163], v[183:184], v[181:182]
	s_delay_alu instid0(VALU_DEP_1) | instskip(NEXT) | instid1(VALU_DEP_1)
	v_div_fmas_f64 v[162:163], v[162:163], v[179:180], v[183:184]
	v_div_fixup_f64 v[162:163], v[162:163], v[160:161], 1.0
	s_delay_alu instid0(VALU_DEP_1)
	v_mul_f64 v[160:161], v[177:178], v[162:163]
	v_xor_b32_e32 v163, 0x80000000, v163
.LBB78_49:
	s_and_not1_saveexec_b32 s2, s2
	s_cbranch_execz .LBB78_51
; %bb.50:
	s_delay_alu instid0(VALU_DEP_1) | instskip(SKIP_1) | instid1(VALU_DEP_2)
	v_div_scale_f64 v[177:178], null, v[160:161], v[160:161], v[162:163]
	v_div_scale_f64 v[183:184], vcc_lo, v[162:163], v[160:161], v[162:163]
	v_rcp_f64_e32 v[179:180], v[177:178]
	s_waitcnt_depctr 0xfff
	v_fma_f64 v[181:182], -v[177:178], v[179:180], 1.0
	s_delay_alu instid0(VALU_DEP_1) | instskip(NEXT) | instid1(VALU_DEP_1)
	v_fma_f64 v[179:180], v[179:180], v[181:182], v[179:180]
	v_fma_f64 v[181:182], -v[177:178], v[179:180], 1.0
	s_delay_alu instid0(VALU_DEP_1) | instskip(NEXT) | instid1(VALU_DEP_1)
	v_fma_f64 v[179:180], v[179:180], v[181:182], v[179:180]
	v_mul_f64 v[181:182], v[183:184], v[179:180]
	s_delay_alu instid0(VALU_DEP_1) | instskip(NEXT) | instid1(VALU_DEP_1)
	v_fma_f64 v[177:178], -v[177:178], v[181:182], v[183:184]
	v_div_fmas_f64 v[177:178], v[177:178], v[179:180], v[181:182]
	s_delay_alu instid0(VALU_DEP_1) | instskip(NEXT) | instid1(VALU_DEP_1)
	v_div_fixup_f64 v[177:178], v[177:178], v[160:161], v[162:163]
	v_fma_f64 v[160:161], v[162:163], v[177:178], v[160:161]
	s_delay_alu instid0(VALU_DEP_1) | instskip(NEXT) | instid1(VALU_DEP_1)
	v_div_scale_f64 v[162:163], null, v[160:161], v[160:161], 1.0
	v_rcp_f64_e32 v[179:180], v[162:163]
	s_waitcnt_depctr 0xfff
	v_fma_f64 v[181:182], -v[162:163], v[179:180], 1.0
	s_delay_alu instid0(VALU_DEP_1) | instskip(NEXT) | instid1(VALU_DEP_1)
	v_fma_f64 v[179:180], v[179:180], v[181:182], v[179:180]
	v_fma_f64 v[181:182], -v[162:163], v[179:180], 1.0
	s_delay_alu instid0(VALU_DEP_1) | instskip(SKIP_1) | instid1(VALU_DEP_1)
	v_fma_f64 v[179:180], v[179:180], v[181:182], v[179:180]
	v_div_scale_f64 v[181:182], vcc_lo, 1.0, v[160:161], 1.0
	v_mul_f64 v[183:184], v[181:182], v[179:180]
	s_delay_alu instid0(VALU_DEP_1) | instskip(NEXT) | instid1(VALU_DEP_1)
	v_fma_f64 v[162:163], -v[162:163], v[183:184], v[181:182]
	v_div_fmas_f64 v[162:163], v[162:163], v[179:180], v[183:184]
	s_delay_alu instid0(VALU_DEP_1) | instskip(NEXT) | instid1(VALU_DEP_1)
	v_div_fixup_f64 v[160:161], v[162:163], v[160:161], 1.0
	v_mul_f64 v[162:163], v[177:178], -v[160:161]
.LBB78_51:
	s_or_b32 exec_lo, exec_lo, s2
.LBB78_52:
	s_delay_alu instid0(SALU_CYCLE_1) | instskip(NEXT) | instid1(SALU_CYCLE_1)
	s_or_b32 exec_lo, exec_lo, s3
	s_mov_b32 s2, exec_lo
	v_cmpx_ne_u32_e64 v176, v168
	s_xor_b32 s2, exec_lo, s2
	s_cbranch_execz .LBB78_58
; %bb.53:
	s_mov_b32 s3, exec_lo
	v_cmpx_eq_u32_e32 2, v176
	s_cbranch_execz .LBB78_57
; %bb.54:
	v_cmp_ne_u32_e32 vcc_lo, 2, v168
	s_xor_b32 s6, s4, -1
	s_delay_alu instid0(SALU_CYCLE_1) | instskip(NEXT) | instid1(SALU_CYCLE_1)
	s_and_b32 s7, s6, vcc_lo
	s_and_saveexec_b32 s6, s7
	s_cbranch_execz .LBB78_56
; %bb.55:
	v_ashrrev_i32_e32 v169, 31, v168
	s_delay_alu instid0(VALU_DEP_1) | instskip(NEXT) | instid1(VALU_DEP_1)
	v_lshlrev_b64 v[175:176], 2, v[168:169]
	v_add_co_u32 v175, vcc_lo, v166, v175
	s_delay_alu instid0(VALU_DEP_2)
	v_add_co_ci_u32_e32 v176, vcc_lo, v167, v176, vcc_lo
	s_clause 0x1
	flat_load_b32 v169, v[175:176]
	flat_load_b32 v177, v[166:167] offset:8
	s_waitcnt vmcnt(1) lgkmcnt(1)
	flat_store_b32 v[166:167], v169 offset:8
	s_waitcnt vmcnt(0) lgkmcnt(1)
	flat_store_b32 v[175:176], v177
.LBB78_56:
	s_or_b32 exec_lo, exec_lo, s6
	v_mov_b32_e32 v176, v168
	v_mov_b32_e32 v175, v168
.LBB78_57:
	s_or_b32 exec_lo, exec_lo, s3
.LBB78_58:
	s_and_not1_saveexec_b32 s2, s2
	s_cbranch_execz .LBB78_60
; %bb.59:
	v_mov_b32_e32 v176, 2
	ds_store_2addr_b64 v170, v[152:153], v[154:155] offset0:6 offset1:7
	ds_store_2addr_b64 v170, v[148:149], v[150:151] offset0:8 offset1:9
	ds_store_2addr_b64 v170, v[144:145], v[146:147] offset0:10 offset1:11
	ds_store_2addr_b64 v170, v[140:141], v[142:143] offset0:12 offset1:13
	ds_store_2addr_b64 v170, v[136:137], v[138:139] offset0:14 offset1:15
	ds_store_2addr_b64 v170, v[132:133], v[134:135] offset0:16 offset1:17
	ds_store_2addr_b64 v170, v[128:129], v[130:131] offset0:18 offset1:19
	ds_store_2addr_b64 v170, v[124:125], v[126:127] offset0:20 offset1:21
	ds_store_2addr_b64 v170, v[120:121], v[122:123] offset0:22 offset1:23
	ds_store_2addr_b64 v170, v[116:117], v[118:119] offset0:24 offset1:25
	ds_store_2addr_b64 v170, v[112:113], v[114:115] offset0:26 offset1:27
	ds_store_2addr_b64 v170, v[108:109], v[110:111] offset0:28 offset1:29
	ds_store_2addr_b64 v170, v[104:105], v[106:107] offset0:30 offset1:31
	ds_store_2addr_b64 v170, v[100:101], v[102:103] offset0:32 offset1:33
	ds_store_2addr_b64 v170, v[96:97], v[98:99] offset0:34 offset1:35
	ds_store_2addr_b64 v170, v[92:93], v[94:95] offset0:36 offset1:37
	ds_store_2addr_b64 v170, v[88:89], v[90:91] offset0:38 offset1:39
	ds_store_2addr_b64 v170, v[84:85], v[86:87] offset0:40 offset1:41
	ds_store_2addr_b64 v170, v[80:81], v[82:83] offset0:42 offset1:43
	ds_store_2addr_b64 v170, v[76:77], v[78:79] offset0:44 offset1:45
	ds_store_2addr_b64 v170, v[72:73], v[74:75] offset0:46 offset1:47
	ds_store_2addr_b64 v170, v[68:69], v[70:71] offset0:48 offset1:49
	ds_store_2addr_b64 v170, v[64:65], v[66:67] offset0:50 offset1:51
	ds_store_2addr_b64 v170, v[60:61], v[62:63] offset0:52 offset1:53
	ds_store_2addr_b64 v170, v[56:57], v[58:59] offset0:54 offset1:55
	ds_store_2addr_b64 v170, v[44:45], v[46:47] offset0:56 offset1:57
	ds_store_2addr_b64 v170, v[40:41], v[42:43] offset0:58 offset1:59
	ds_store_2addr_b64 v170, v[36:37], v[38:39] offset0:60 offset1:61
	ds_store_2addr_b64 v170, v[32:33], v[34:35] offset0:62 offset1:63
	ds_store_2addr_b64 v170, v[28:29], v[30:31] offset0:64 offset1:65
	ds_store_2addr_b64 v170, v[24:25], v[26:27] offset0:66 offset1:67
	ds_store_2addr_b64 v170, v[20:21], v[22:23] offset0:68 offset1:69
	ds_store_2addr_b64 v170, v[16:17], v[18:19] offset0:70 offset1:71
	ds_store_2addr_b64 v170, v[12:13], v[14:15] offset0:72 offset1:73
	ds_store_2addr_b64 v170, v[8:9], v[10:11] offset0:74 offset1:75
	ds_store_2addr_b64 v170, v[4:5], v[6:7] offset0:76 offset1:77
	ds_store_2addr_b64 v170, v[0:1], v[2:3] offset0:78 offset1:79
.LBB78_60:
	s_or_b32 exec_lo, exec_lo, s2
	s_delay_alu instid0(SALU_CYCLE_1)
	s_mov_b32 s2, exec_lo
	s_waitcnt lgkmcnt(0)
	s_waitcnt_vscnt null, 0x0
	s_barrier
	buffer_gl0_inv
	v_cmpx_lt_i32_e32 2, v176
	s_cbranch_execz .LBB78_62
; %bb.61:
	v_mul_f64 v[168:169], v[162:163], v[158:159]
	v_mul_f64 v[158:159], v[160:161], v[158:159]
	s_delay_alu instid0(VALU_DEP_2) | instskip(NEXT) | instid1(VALU_DEP_2)
	v_fma_f64 v[168:169], v[160:161], v[156:157], -v[168:169]
	v_fma_f64 v[158:159], v[162:163], v[156:157], v[158:159]
	ds_load_2addr_b64 v[160:163], v170 offset0:6 offset1:7
	s_waitcnt lgkmcnt(0)
	v_mul_f64 v[156:157], v[162:163], v[158:159]
	s_delay_alu instid0(VALU_DEP_1) | instskip(SKIP_1) | instid1(VALU_DEP_2)
	v_fma_f64 v[156:157], v[160:161], v[168:169], -v[156:157]
	v_mul_f64 v[160:161], v[160:161], v[158:159]
	v_add_f64 v[152:153], v[152:153], -v[156:157]
	s_delay_alu instid0(VALU_DEP_2) | instskip(NEXT) | instid1(VALU_DEP_1)
	v_fma_f64 v[160:161], v[162:163], v[168:169], v[160:161]
	v_add_f64 v[154:155], v[154:155], -v[160:161]
	ds_load_2addr_b64 v[160:163], v170 offset0:8 offset1:9
	s_waitcnt lgkmcnt(0)
	v_mul_f64 v[156:157], v[162:163], v[158:159]
	s_delay_alu instid0(VALU_DEP_1) | instskip(SKIP_1) | instid1(VALU_DEP_2)
	v_fma_f64 v[156:157], v[160:161], v[168:169], -v[156:157]
	v_mul_f64 v[160:161], v[160:161], v[158:159]
	v_add_f64 v[148:149], v[148:149], -v[156:157]
	s_delay_alu instid0(VALU_DEP_2) | instskip(NEXT) | instid1(VALU_DEP_1)
	v_fma_f64 v[160:161], v[162:163], v[168:169], v[160:161]
	v_add_f64 v[150:151], v[150:151], -v[160:161]
	;; [unrolled: 10-line block ×36, first 2 shown]
	ds_load_2addr_b64 v[160:163], v170 offset0:78 offset1:79
	s_waitcnt lgkmcnt(0)
	v_mul_f64 v[156:157], v[162:163], v[158:159]
	s_delay_alu instid0(VALU_DEP_1) | instskip(SKIP_1) | instid1(VALU_DEP_2)
	v_fma_f64 v[156:157], v[160:161], v[168:169], -v[156:157]
	v_mul_f64 v[160:161], v[160:161], v[158:159]
	v_add_f64 v[0:1], v[0:1], -v[156:157]
	s_delay_alu instid0(VALU_DEP_2) | instskip(SKIP_1) | instid1(VALU_DEP_2)
	v_fma_f64 v[160:161], v[162:163], v[168:169], v[160:161]
	v_dual_mov_b32 v156, v168 :: v_dual_mov_b32 v157, v169
	v_add_f64 v[2:3], v[2:3], -v[160:161]
.LBB78_62:
	s_or_b32 exec_lo, exec_lo, s2
	v_lshl_add_u32 v160, v176, 4, v170
	s_barrier
	buffer_gl0_inv
	v_mov_b32_e32 v168, 3
	ds_store_2addr_b64 v160, v[152:153], v[154:155] offset1:1
	s_waitcnt lgkmcnt(0)
	s_barrier
	buffer_gl0_inv
	ds_load_2addr_b64 v[160:163], v170 offset0:6 offset1:7
	s_cmp_lt_i32 s5, 5
	s_mov_b32 s6, 4
	s_cbranch_scc1 .LBB78_65
; %bb.63:
	v_add3_u32 v169, v174, 0, 64
	v_mov_b32_e32 v168, 3
	s_set_inst_prefetch_distance 0x1
	.p2align	6
.LBB78_64:                              ; =>This Inner Loop Header: Depth=1
	ds_load_2addr_b64 v[177:180], v169 offset1:1
	s_waitcnt lgkmcnt(1)
	v_cmp_gt_f64_e32 vcc_lo, 0, v[160:161]
	v_xor_b32_e32 v181, 0x80000000, v161
	v_cmp_gt_f64_e64 s2, 0, v[162:163]
	v_xor_b32_e32 v183, 0x80000000, v163
	v_add_nc_u32_e32 v169, 16, v169
	s_waitcnt lgkmcnt(0)
	v_cmp_gt_f64_e64 s3, 0, v[177:178]
	v_mov_b32_e32 v185, v177
	v_dual_mov_b32 v187, v179 :: v_dual_cndmask_b32 v182, v161, v181
	v_xor_b32_e32 v181, 0x80000000, v178
	v_cndmask_b32_e64 v184, v163, v183, s2
	v_xor_b32_e32 v183, 0x80000000, v180
	s_delay_alu instid0(VALU_DEP_3) | instskip(SKIP_2) | instid1(VALU_DEP_2)
	v_cndmask_b32_e64 v186, v178, v181, s3
	v_cmp_gt_f64_e64 s3, 0, v[179:180]
	v_cndmask_b32_e32 v181, v160, v160, vcc_lo
	v_cndmask_b32_e64 v188, v180, v183, s3
	v_cndmask_b32_e64 v183, v162, v162, s2
	s_delay_alu instid0(VALU_DEP_2) | instskip(NEXT) | instid1(VALU_DEP_2)
	v_add_f64 v[185:186], v[185:186], v[187:188]
	v_add_f64 v[181:182], v[181:182], v[183:184]
	s_delay_alu instid0(VALU_DEP_1) | instskip(SKIP_4) | instid1(SALU_CYCLE_1)
	v_cmp_lt_f64_e32 vcc_lo, v[181:182], v[185:186]
	v_dual_cndmask_b32 v162, v162, v179 :: v_dual_cndmask_b32 v161, v161, v178
	v_dual_cndmask_b32 v160, v160, v177 :: v_dual_cndmask_b32 v163, v163, v180
	v_cndmask_b32_e64 v168, v168, s6, vcc_lo
	s_add_i32 s6, s6, 1
	s_cmp_lg_u32 s5, s6
	s_cbranch_scc1 .LBB78_64
.LBB78_65:
	s_set_inst_prefetch_distance 0x2
	s_waitcnt lgkmcnt(0)
	v_cmp_eq_f64_e32 vcc_lo, 0, v[160:161]
	v_cmp_eq_f64_e64 s2, 0, v[162:163]
	s_delay_alu instid0(VALU_DEP_1) | instskip(NEXT) | instid1(SALU_CYCLE_1)
	s_and_b32 s2, vcc_lo, s2
	s_and_saveexec_b32 s3, s2
	s_delay_alu instid0(SALU_CYCLE_1)
	s_xor_b32 s2, exec_lo, s3
; %bb.66:
	v_cmp_ne_u32_e32 vcc_lo, 0, v173
	v_cndmask_b32_e32 v173, 4, v173, vcc_lo
; %bb.67:
	s_and_not1_saveexec_b32 s3, s2
	s_cbranch_execz .LBB78_73
; %bb.68:
	v_cmp_gt_f64_e32 vcc_lo, 0, v[160:161]
	v_cmp_gt_f64_e64 s2, 0, v[162:163]
	v_xor_b32_e32 v169, 0x80000000, v161
	v_xor_b32_e32 v177, 0x80000000, v163
	s_delay_alu instid0(VALU_DEP_2) | instskip(NEXT) | instid1(VALU_DEP_2)
	v_cndmask_b32_e32 v178, v161, v169, vcc_lo
	v_cndmask_b32_e64 v180, v163, v177, s2
	v_cndmask_b32_e32 v177, v160, v160, vcc_lo
	v_cndmask_b32_e64 v179, v162, v162, s2
	s_mov_b32 s2, exec_lo
	s_delay_alu instid0(VALU_DEP_1)
	v_cmpx_ngt_f64_e32 v[177:178], v[179:180]
	s_xor_b32 s2, exec_lo, s2
	s_cbranch_execz .LBB78_70
; %bb.69:
	v_div_scale_f64 v[177:178], null, v[162:163], v[162:163], v[160:161]
	v_div_scale_f64 v[183:184], vcc_lo, v[160:161], v[162:163], v[160:161]
	s_delay_alu instid0(VALU_DEP_2) | instskip(SKIP_2) | instid1(VALU_DEP_1)
	v_rcp_f64_e32 v[179:180], v[177:178]
	s_waitcnt_depctr 0xfff
	v_fma_f64 v[181:182], -v[177:178], v[179:180], 1.0
	v_fma_f64 v[179:180], v[179:180], v[181:182], v[179:180]
	s_delay_alu instid0(VALU_DEP_1) | instskip(NEXT) | instid1(VALU_DEP_1)
	v_fma_f64 v[181:182], -v[177:178], v[179:180], 1.0
	v_fma_f64 v[179:180], v[179:180], v[181:182], v[179:180]
	s_delay_alu instid0(VALU_DEP_1) | instskip(NEXT) | instid1(VALU_DEP_1)
	v_mul_f64 v[181:182], v[183:184], v[179:180]
	v_fma_f64 v[177:178], -v[177:178], v[181:182], v[183:184]
	s_delay_alu instid0(VALU_DEP_1) | instskip(NEXT) | instid1(VALU_DEP_1)
	v_div_fmas_f64 v[177:178], v[177:178], v[179:180], v[181:182]
	v_div_fixup_f64 v[177:178], v[177:178], v[162:163], v[160:161]
	s_delay_alu instid0(VALU_DEP_1) | instskip(NEXT) | instid1(VALU_DEP_1)
	v_fma_f64 v[160:161], v[160:161], v[177:178], v[162:163]
	v_div_scale_f64 v[162:163], null, v[160:161], v[160:161], 1.0
	s_delay_alu instid0(VALU_DEP_1) | instskip(SKIP_2) | instid1(VALU_DEP_1)
	v_rcp_f64_e32 v[179:180], v[162:163]
	s_waitcnt_depctr 0xfff
	v_fma_f64 v[181:182], -v[162:163], v[179:180], 1.0
	v_fma_f64 v[179:180], v[179:180], v[181:182], v[179:180]
	s_delay_alu instid0(VALU_DEP_1) | instskip(NEXT) | instid1(VALU_DEP_1)
	v_fma_f64 v[181:182], -v[162:163], v[179:180], 1.0
	v_fma_f64 v[179:180], v[179:180], v[181:182], v[179:180]
	v_div_scale_f64 v[181:182], vcc_lo, 1.0, v[160:161], 1.0
	s_delay_alu instid0(VALU_DEP_1) | instskip(NEXT) | instid1(VALU_DEP_1)
	v_mul_f64 v[183:184], v[181:182], v[179:180]
	v_fma_f64 v[162:163], -v[162:163], v[183:184], v[181:182]
	s_delay_alu instid0(VALU_DEP_1) | instskip(NEXT) | instid1(VALU_DEP_1)
	v_div_fmas_f64 v[162:163], v[162:163], v[179:180], v[183:184]
	v_div_fixup_f64 v[162:163], v[162:163], v[160:161], 1.0
	s_delay_alu instid0(VALU_DEP_1)
	v_mul_f64 v[160:161], v[177:178], v[162:163]
	v_xor_b32_e32 v163, 0x80000000, v163
.LBB78_70:
	s_and_not1_saveexec_b32 s2, s2
	s_cbranch_execz .LBB78_72
; %bb.71:
	s_delay_alu instid0(VALU_DEP_1) | instskip(SKIP_1) | instid1(VALU_DEP_2)
	v_div_scale_f64 v[177:178], null, v[160:161], v[160:161], v[162:163]
	v_div_scale_f64 v[183:184], vcc_lo, v[162:163], v[160:161], v[162:163]
	v_rcp_f64_e32 v[179:180], v[177:178]
	s_waitcnt_depctr 0xfff
	v_fma_f64 v[181:182], -v[177:178], v[179:180], 1.0
	s_delay_alu instid0(VALU_DEP_1) | instskip(NEXT) | instid1(VALU_DEP_1)
	v_fma_f64 v[179:180], v[179:180], v[181:182], v[179:180]
	v_fma_f64 v[181:182], -v[177:178], v[179:180], 1.0
	s_delay_alu instid0(VALU_DEP_1) | instskip(NEXT) | instid1(VALU_DEP_1)
	v_fma_f64 v[179:180], v[179:180], v[181:182], v[179:180]
	v_mul_f64 v[181:182], v[183:184], v[179:180]
	s_delay_alu instid0(VALU_DEP_1) | instskip(NEXT) | instid1(VALU_DEP_1)
	v_fma_f64 v[177:178], -v[177:178], v[181:182], v[183:184]
	v_div_fmas_f64 v[177:178], v[177:178], v[179:180], v[181:182]
	s_delay_alu instid0(VALU_DEP_1) | instskip(NEXT) | instid1(VALU_DEP_1)
	v_div_fixup_f64 v[177:178], v[177:178], v[160:161], v[162:163]
	v_fma_f64 v[160:161], v[162:163], v[177:178], v[160:161]
	s_delay_alu instid0(VALU_DEP_1) | instskip(NEXT) | instid1(VALU_DEP_1)
	v_div_scale_f64 v[162:163], null, v[160:161], v[160:161], 1.0
	v_rcp_f64_e32 v[179:180], v[162:163]
	s_waitcnt_depctr 0xfff
	v_fma_f64 v[181:182], -v[162:163], v[179:180], 1.0
	s_delay_alu instid0(VALU_DEP_1) | instskip(NEXT) | instid1(VALU_DEP_1)
	v_fma_f64 v[179:180], v[179:180], v[181:182], v[179:180]
	v_fma_f64 v[181:182], -v[162:163], v[179:180], 1.0
	s_delay_alu instid0(VALU_DEP_1) | instskip(SKIP_1) | instid1(VALU_DEP_1)
	v_fma_f64 v[179:180], v[179:180], v[181:182], v[179:180]
	v_div_scale_f64 v[181:182], vcc_lo, 1.0, v[160:161], 1.0
	v_mul_f64 v[183:184], v[181:182], v[179:180]
	s_delay_alu instid0(VALU_DEP_1) | instskip(NEXT) | instid1(VALU_DEP_1)
	v_fma_f64 v[162:163], -v[162:163], v[183:184], v[181:182]
	v_div_fmas_f64 v[162:163], v[162:163], v[179:180], v[183:184]
	s_delay_alu instid0(VALU_DEP_1) | instskip(NEXT) | instid1(VALU_DEP_1)
	v_div_fixup_f64 v[160:161], v[162:163], v[160:161], 1.0
	v_mul_f64 v[162:163], v[177:178], -v[160:161]
.LBB78_72:
	s_or_b32 exec_lo, exec_lo, s2
.LBB78_73:
	s_delay_alu instid0(SALU_CYCLE_1) | instskip(NEXT) | instid1(SALU_CYCLE_1)
	s_or_b32 exec_lo, exec_lo, s3
	s_mov_b32 s2, exec_lo
	v_cmpx_ne_u32_e64 v176, v168
	s_xor_b32 s2, exec_lo, s2
	s_cbranch_execz .LBB78_79
; %bb.74:
	s_mov_b32 s3, exec_lo
	v_cmpx_eq_u32_e32 3, v176
	s_cbranch_execz .LBB78_78
; %bb.75:
	v_cmp_ne_u32_e32 vcc_lo, 3, v168
	s_xor_b32 s6, s4, -1
	s_delay_alu instid0(SALU_CYCLE_1) | instskip(NEXT) | instid1(SALU_CYCLE_1)
	s_and_b32 s7, s6, vcc_lo
	s_and_saveexec_b32 s6, s7
	s_cbranch_execz .LBB78_77
; %bb.76:
	v_ashrrev_i32_e32 v169, 31, v168
	s_delay_alu instid0(VALU_DEP_1) | instskip(NEXT) | instid1(VALU_DEP_1)
	v_lshlrev_b64 v[175:176], 2, v[168:169]
	v_add_co_u32 v175, vcc_lo, v166, v175
	s_delay_alu instid0(VALU_DEP_2)
	v_add_co_ci_u32_e32 v176, vcc_lo, v167, v176, vcc_lo
	s_clause 0x1
	flat_load_b32 v169, v[175:176]
	flat_load_b32 v177, v[166:167] offset:12
	s_waitcnt vmcnt(1) lgkmcnt(1)
	flat_store_b32 v[166:167], v169 offset:12
	s_waitcnt vmcnt(0) lgkmcnt(1)
	flat_store_b32 v[175:176], v177
.LBB78_77:
	s_or_b32 exec_lo, exec_lo, s6
	v_mov_b32_e32 v176, v168
	v_mov_b32_e32 v175, v168
.LBB78_78:
	s_or_b32 exec_lo, exec_lo, s3
.LBB78_79:
	s_and_not1_saveexec_b32 s2, s2
	s_cbranch_execz .LBB78_81
; %bb.80:
	v_mov_b32_e32 v176, 3
	ds_store_2addr_b64 v170, v[148:149], v[150:151] offset0:8 offset1:9
	ds_store_2addr_b64 v170, v[144:145], v[146:147] offset0:10 offset1:11
	;; [unrolled: 1-line block ×36, first 2 shown]
.LBB78_81:
	s_or_b32 exec_lo, exec_lo, s2
	s_delay_alu instid0(SALU_CYCLE_1)
	s_mov_b32 s2, exec_lo
	s_waitcnt lgkmcnt(0)
	s_waitcnt_vscnt null, 0x0
	s_barrier
	buffer_gl0_inv
	v_cmpx_lt_i32_e32 3, v176
	s_cbranch_execz .LBB78_83
; %bb.82:
	v_mul_f64 v[168:169], v[162:163], v[154:155]
	v_mul_f64 v[154:155], v[160:161], v[154:155]
	s_delay_alu instid0(VALU_DEP_2) | instskip(NEXT) | instid1(VALU_DEP_2)
	v_fma_f64 v[168:169], v[160:161], v[152:153], -v[168:169]
	v_fma_f64 v[154:155], v[162:163], v[152:153], v[154:155]
	ds_load_2addr_b64 v[160:163], v170 offset0:8 offset1:9
	s_waitcnt lgkmcnt(0)
	v_mul_f64 v[152:153], v[162:163], v[154:155]
	s_delay_alu instid0(VALU_DEP_1) | instskip(SKIP_1) | instid1(VALU_DEP_2)
	v_fma_f64 v[152:153], v[160:161], v[168:169], -v[152:153]
	v_mul_f64 v[160:161], v[160:161], v[154:155]
	v_add_f64 v[148:149], v[148:149], -v[152:153]
	s_delay_alu instid0(VALU_DEP_2) | instskip(NEXT) | instid1(VALU_DEP_1)
	v_fma_f64 v[160:161], v[162:163], v[168:169], v[160:161]
	v_add_f64 v[150:151], v[150:151], -v[160:161]
	ds_load_2addr_b64 v[160:163], v170 offset0:10 offset1:11
	s_waitcnt lgkmcnt(0)
	v_mul_f64 v[152:153], v[162:163], v[154:155]
	s_delay_alu instid0(VALU_DEP_1) | instskip(SKIP_1) | instid1(VALU_DEP_2)
	v_fma_f64 v[152:153], v[160:161], v[168:169], -v[152:153]
	v_mul_f64 v[160:161], v[160:161], v[154:155]
	v_add_f64 v[144:145], v[144:145], -v[152:153]
	s_delay_alu instid0(VALU_DEP_2) | instskip(NEXT) | instid1(VALU_DEP_1)
	v_fma_f64 v[160:161], v[162:163], v[168:169], v[160:161]
	v_add_f64 v[146:147], v[146:147], -v[160:161]
	ds_load_2addr_b64 v[160:163], v170 offset0:12 offset1:13
	s_waitcnt lgkmcnt(0)
	v_mul_f64 v[152:153], v[162:163], v[154:155]
	s_delay_alu instid0(VALU_DEP_1) | instskip(SKIP_1) | instid1(VALU_DEP_2)
	v_fma_f64 v[152:153], v[160:161], v[168:169], -v[152:153]
	v_mul_f64 v[160:161], v[160:161], v[154:155]
	v_add_f64 v[140:141], v[140:141], -v[152:153]
	s_delay_alu instid0(VALU_DEP_2) | instskip(NEXT) | instid1(VALU_DEP_1)
	v_fma_f64 v[160:161], v[162:163], v[168:169], v[160:161]
	v_add_f64 v[142:143], v[142:143], -v[160:161]
	ds_load_2addr_b64 v[160:163], v170 offset0:14 offset1:15
	s_waitcnt lgkmcnt(0)
	v_mul_f64 v[152:153], v[162:163], v[154:155]
	s_delay_alu instid0(VALU_DEP_1) | instskip(SKIP_1) | instid1(VALU_DEP_2)
	v_fma_f64 v[152:153], v[160:161], v[168:169], -v[152:153]
	v_mul_f64 v[160:161], v[160:161], v[154:155]
	v_add_f64 v[136:137], v[136:137], -v[152:153]
	s_delay_alu instid0(VALU_DEP_2) | instskip(NEXT) | instid1(VALU_DEP_1)
	v_fma_f64 v[160:161], v[162:163], v[168:169], v[160:161]
	v_add_f64 v[138:139], v[138:139], -v[160:161]
	ds_load_2addr_b64 v[160:163], v170 offset0:16 offset1:17
	s_waitcnt lgkmcnt(0)
	v_mul_f64 v[152:153], v[162:163], v[154:155]
	s_delay_alu instid0(VALU_DEP_1) | instskip(SKIP_1) | instid1(VALU_DEP_2)
	v_fma_f64 v[152:153], v[160:161], v[168:169], -v[152:153]
	v_mul_f64 v[160:161], v[160:161], v[154:155]
	v_add_f64 v[132:133], v[132:133], -v[152:153]
	s_delay_alu instid0(VALU_DEP_2) | instskip(NEXT) | instid1(VALU_DEP_1)
	v_fma_f64 v[160:161], v[162:163], v[168:169], v[160:161]
	v_add_f64 v[134:135], v[134:135], -v[160:161]
	ds_load_2addr_b64 v[160:163], v170 offset0:18 offset1:19
	s_waitcnt lgkmcnt(0)
	v_mul_f64 v[152:153], v[162:163], v[154:155]
	s_delay_alu instid0(VALU_DEP_1) | instskip(SKIP_1) | instid1(VALU_DEP_2)
	v_fma_f64 v[152:153], v[160:161], v[168:169], -v[152:153]
	v_mul_f64 v[160:161], v[160:161], v[154:155]
	v_add_f64 v[128:129], v[128:129], -v[152:153]
	s_delay_alu instid0(VALU_DEP_2) | instskip(NEXT) | instid1(VALU_DEP_1)
	v_fma_f64 v[160:161], v[162:163], v[168:169], v[160:161]
	v_add_f64 v[130:131], v[130:131], -v[160:161]
	ds_load_2addr_b64 v[160:163], v170 offset0:20 offset1:21
	s_waitcnt lgkmcnt(0)
	v_mul_f64 v[152:153], v[162:163], v[154:155]
	s_delay_alu instid0(VALU_DEP_1) | instskip(SKIP_1) | instid1(VALU_DEP_2)
	v_fma_f64 v[152:153], v[160:161], v[168:169], -v[152:153]
	v_mul_f64 v[160:161], v[160:161], v[154:155]
	v_add_f64 v[124:125], v[124:125], -v[152:153]
	s_delay_alu instid0(VALU_DEP_2) | instskip(NEXT) | instid1(VALU_DEP_1)
	v_fma_f64 v[160:161], v[162:163], v[168:169], v[160:161]
	v_add_f64 v[126:127], v[126:127], -v[160:161]
	ds_load_2addr_b64 v[160:163], v170 offset0:22 offset1:23
	s_waitcnt lgkmcnt(0)
	v_mul_f64 v[152:153], v[162:163], v[154:155]
	s_delay_alu instid0(VALU_DEP_1) | instskip(SKIP_1) | instid1(VALU_DEP_2)
	v_fma_f64 v[152:153], v[160:161], v[168:169], -v[152:153]
	v_mul_f64 v[160:161], v[160:161], v[154:155]
	v_add_f64 v[120:121], v[120:121], -v[152:153]
	s_delay_alu instid0(VALU_DEP_2) | instskip(NEXT) | instid1(VALU_DEP_1)
	v_fma_f64 v[160:161], v[162:163], v[168:169], v[160:161]
	v_add_f64 v[122:123], v[122:123], -v[160:161]
	ds_load_2addr_b64 v[160:163], v170 offset0:24 offset1:25
	s_waitcnt lgkmcnt(0)
	v_mul_f64 v[152:153], v[162:163], v[154:155]
	s_delay_alu instid0(VALU_DEP_1) | instskip(SKIP_1) | instid1(VALU_DEP_2)
	v_fma_f64 v[152:153], v[160:161], v[168:169], -v[152:153]
	v_mul_f64 v[160:161], v[160:161], v[154:155]
	v_add_f64 v[116:117], v[116:117], -v[152:153]
	s_delay_alu instid0(VALU_DEP_2) | instskip(NEXT) | instid1(VALU_DEP_1)
	v_fma_f64 v[160:161], v[162:163], v[168:169], v[160:161]
	v_add_f64 v[118:119], v[118:119], -v[160:161]
	ds_load_2addr_b64 v[160:163], v170 offset0:26 offset1:27
	s_waitcnt lgkmcnt(0)
	v_mul_f64 v[152:153], v[162:163], v[154:155]
	s_delay_alu instid0(VALU_DEP_1) | instskip(SKIP_1) | instid1(VALU_DEP_2)
	v_fma_f64 v[152:153], v[160:161], v[168:169], -v[152:153]
	v_mul_f64 v[160:161], v[160:161], v[154:155]
	v_add_f64 v[112:113], v[112:113], -v[152:153]
	s_delay_alu instid0(VALU_DEP_2) | instskip(NEXT) | instid1(VALU_DEP_1)
	v_fma_f64 v[160:161], v[162:163], v[168:169], v[160:161]
	v_add_f64 v[114:115], v[114:115], -v[160:161]
	ds_load_2addr_b64 v[160:163], v170 offset0:28 offset1:29
	s_waitcnt lgkmcnt(0)
	v_mul_f64 v[152:153], v[162:163], v[154:155]
	s_delay_alu instid0(VALU_DEP_1) | instskip(SKIP_1) | instid1(VALU_DEP_2)
	v_fma_f64 v[152:153], v[160:161], v[168:169], -v[152:153]
	v_mul_f64 v[160:161], v[160:161], v[154:155]
	v_add_f64 v[108:109], v[108:109], -v[152:153]
	s_delay_alu instid0(VALU_DEP_2) | instskip(NEXT) | instid1(VALU_DEP_1)
	v_fma_f64 v[160:161], v[162:163], v[168:169], v[160:161]
	v_add_f64 v[110:111], v[110:111], -v[160:161]
	ds_load_2addr_b64 v[160:163], v170 offset0:30 offset1:31
	s_waitcnt lgkmcnt(0)
	v_mul_f64 v[152:153], v[162:163], v[154:155]
	s_delay_alu instid0(VALU_DEP_1) | instskip(SKIP_1) | instid1(VALU_DEP_2)
	v_fma_f64 v[152:153], v[160:161], v[168:169], -v[152:153]
	v_mul_f64 v[160:161], v[160:161], v[154:155]
	v_add_f64 v[104:105], v[104:105], -v[152:153]
	s_delay_alu instid0(VALU_DEP_2) | instskip(NEXT) | instid1(VALU_DEP_1)
	v_fma_f64 v[160:161], v[162:163], v[168:169], v[160:161]
	v_add_f64 v[106:107], v[106:107], -v[160:161]
	ds_load_2addr_b64 v[160:163], v170 offset0:32 offset1:33
	s_waitcnt lgkmcnt(0)
	v_mul_f64 v[152:153], v[162:163], v[154:155]
	s_delay_alu instid0(VALU_DEP_1) | instskip(SKIP_1) | instid1(VALU_DEP_2)
	v_fma_f64 v[152:153], v[160:161], v[168:169], -v[152:153]
	v_mul_f64 v[160:161], v[160:161], v[154:155]
	v_add_f64 v[100:101], v[100:101], -v[152:153]
	s_delay_alu instid0(VALU_DEP_2) | instskip(NEXT) | instid1(VALU_DEP_1)
	v_fma_f64 v[160:161], v[162:163], v[168:169], v[160:161]
	v_add_f64 v[102:103], v[102:103], -v[160:161]
	ds_load_2addr_b64 v[160:163], v170 offset0:34 offset1:35
	s_waitcnt lgkmcnt(0)
	v_mul_f64 v[152:153], v[162:163], v[154:155]
	s_delay_alu instid0(VALU_DEP_1) | instskip(SKIP_1) | instid1(VALU_DEP_2)
	v_fma_f64 v[152:153], v[160:161], v[168:169], -v[152:153]
	v_mul_f64 v[160:161], v[160:161], v[154:155]
	v_add_f64 v[96:97], v[96:97], -v[152:153]
	s_delay_alu instid0(VALU_DEP_2) | instskip(NEXT) | instid1(VALU_DEP_1)
	v_fma_f64 v[160:161], v[162:163], v[168:169], v[160:161]
	v_add_f64 v[98:99], v[98:99], -v[160:161]
	ds_load_2addr_b64 v[160:163], v170 offset0:36 offset1:37
	s_waitcnt lgkmcnt(0)
	v_mul_f64 v[152:153], v[162:163], v[154:155]
	s_delay_alu instid0(VALU_DEP_1) | instskip(SKIP_1) | instid1(VALU_DEP_2)
	v_fma_f64 v[152:153], v[160:161], v[168:169], -v[152:153]
	v_mul_f64 v[160:161], v[160:161], v[154:155]
	v_add_f64 v[92:93], v[92:93], -v[152:153]
	s_delay_alu instid0(VALU_DEP_2) | instskip(NEXT) | instid1(VALU_DEP_1)
	v_fma_f64 v[160:161], v[162:163], v[168:169], v[160:161]
	v_add_f64 v[94:95], v[94:95], -v[160:161]
	ds_load_2addr_b64 v[160:163], v170 offset0:38 offset1:39
	s_waitcnt lgkmcnt(0)
	v_mul_f64 v[152:153], v[162:163], v[154:155]
	s_delay_alu instid0(VALU_DEP_1) | instskip(SKIP_1) | instid1(VALU_DEP_2)
	v_fma_f64 v[152:153], v[160:161], v[168:169], -v[152:153]
	v_mul_f64 v[160:161], v[160:161], v[154:155]
	v_add_f64 v[88:89], v[88:89], -v[152:153]
	s_delay_alu instid0(VALU_DEP_2) | instskip(NEXT) | instid1(VALU_DEP_1)
	v_fma_f64 v[160:161], v[162:163], v[168:169], v[160:161]
	v_add_f64 v[90:91], v[90:91], -v[160:161]
	ds_load_2addr_b64 v[160:163], v170 offset0:40 offset1:41
	s_waitcnt lgkmcnt(0)
	v_mul_f64 v[152:153], v[162:163], v[154:155]
	s_delay_alu instid0(VALU_DEP_1) | instskip(SKIP_1) | instid1(VALU_DEP_2)
	v_fma_f64 v[152:153], v[160:161], v[168:169], -v[152:153]
	v_mul_f64 v[160:161], v[160:161], v[154:155]
	v_add_f64 v[84:85], v[84:85], -v[152:153]
	s_delay_alu instid0(VALU_DEP_2) | instskip(NEXT) | instid1(VALU_DEP_1)
	v_fma_f64 v[160:161], v[162:163], v[168:169], v[160:161]
	v_add_f64 v[86:87], v[86:87], -v[160:161]
	ds_load_2addr_b64 v[160:163], v170 offset0:42 offset1:43
	s_waitcnt lgkmcnt(0)
	v_mul_f64 v[152:153], v[162:163], v[154:155]
	s_delay_alu instid0(VALU_DEP_1) | instskip(SKIP_1) | instid1(VALU_DEP_2)
	v_fma_f64 v[152:153], v[160:161], v[168:169], -v[152:153]
	v_mul_f64 v[160:161], v[160:161], v[154:155]
	v_add_f64 v[80:81], v[80:81], -v[152:153]
	s_delay_alu instid0(VALU_DEP_2) | instskip(NEXT) | instid1(VALU_DEP_1)
	v_fma_f64 v[160:161], v[162:163], v[168:169], v[160:161]
	v_add_f64 v[82:83], v[82:83], -v[160:161]
	ds_load_2addr_b64 v[160:163], v170 offset0:44 offset1:45
	s_waitcnt lgkmcnt(0)
	v_mul_f64 v[152:153], v[162:163], v[154:155]
	s_delay_alu instid0(VALU_DEP_1) | instskip(SKIP_1) | instid1(VALU_DEP_2)
	v_fma_f64 v[152:153], v[160:161], v[168:169], -v[152:153]
	v_mul_f64 v[160:161], v[160:161], v[154:155]
	v_add_f64 v[76:77], v[76:77], -v[152:153]
	s_delay_alu instid0(VALU_DEP_2) | instskip(NEXT) | instid1(VALU_DEP_1)
	v_fma_f64 v[160:161], v[162:163], v[168:169], v[160:161]
	v_add_f64 v[78:79], v[78:79], -v[160:161]
	ds_load_2addr_b64 v[160:163], v170 offset0:46 offset1:47
	s_waitcnt lgkmcnt(0)
	v_mul_f64 v[152:153], v[162:163], v[154:155]
	s_delay_alu instid0(VALU_DEP_1) | instskip(SKIP_1) | instid1(VALU_DEP_2)
	v_fma_f64 v[152:153], v[160:161], v[168:169], -v[152:153]
	v_mul_f64 v[160:161], v[160:161], v[154:155]
	v_add_f64 v[72:73], v[72:73], -v[152:153]
	s_delay_alu instid0(VALU_DEP_2) | instskip(NEXT) | instid1(VALU_DEP_1)
	v_fma_f64 v[160:161], v[162:163], v[168:169], v[160:161]
	v_add_f64 v[74:75], v[74:75], -v[160:161]
	ds_load_2addr_b64 v[160:163], v170 offset0:48 offset1:49
	s_waitcnt lgkmcnt(0)
	v_mul_f64 v[152:153], v[162:163], v[154:155]
	s_delay_alu instid0(VALU_DEP_1) | instskip(SKIP_1) | instid1(VALU_DEP_2)
	v_fma_f64 v[152:153], v[160:161], v[168:169], -v[152:153]
	v_mul_f64 v[160:161], v[160:161], v[154:155]
	v_add_f64 v[68:69], v[68:69], -v[152:153]
	s_delay_alu instid0(VALU_DEP_2) | instskip(NEXT) | instid1(VALU_DEP_1)
	v_fma_f64 v[160:161], v[162:163], v[168:169], v[160:161]
	v_add_f64 v[70:71], v[70:71], -v[160:161]
	ds_load_2addr_b64 v[160:163], v170 offset0:50 offset1:51
	s_waitcnt lgkmcnt(0)
	v_mul_f64 v[152:153], v[162:163], v[154:155]
	s_delay_alu instid0(VALU_DEP_1) | instskip(SKIP_1) | instid1(VALU_DEP_2)
	v_fma_f64 v[152:153], v[160:161], v[168:169], -v[152:153]
	v_mul_f64 v[160:161], v[160:161], v[154:155]
	v_add_f64 v[64:65], v[64:65], -v[152:153]
	s_delay_alu instid0(VALU_DEP_2) | instskip(NEXT) | instid1(VALU_DEP_1)
	v_fma_f64 v[160:161], v[162:163], v[168:169], v[160:161]
	v_add_f64 v[66:67], v[66:67], -v[160:161]
	ds_load_2addr_b64 v[160:163], v170 offset0:52 offset1:53
	s_waitcnt lgkmcnt(0)
	v_mul_f64 v[152:153], v[162:163], v[154:155]
	s_delay_alu instid0(VALU_DEP_1) | instskip(SKIP_1) | instid1(VALU_DEP_2)
	v_fma_f64 v[152:153], v[160:161], v[168:169], -v[152:153]
	v_mul_f64 v[160:161], v[160:161], v[154:155]
	v_add_f64 v[60:61], v[60:61], -v[152:153]
	s_delay_alu instid0(VALU_DEP_2) | instskip(NEXT) | instid1(VALU_DEP_1)
	v_fma_f64 v[160:161], v[162:163], v[168:169], v[160:161]
	v_add_f64 v[62:63], v[62:63], -v[160:161]
	ds_load_2addr_b64 v[160:163], v170 offset0:54 offset1:55
	s_waitcnt lgkmcnt(0)
	v_mul_f64 v[152:153], v[162:163], v[154:155]
	s_delay_alu instid0(VALU_DEP_1) | instskip(SKIP_1) | instid1(VALU_DEP_2)
	v_fma_f64 v[152:153], v[160:161], v[168:169], -v[152:153]
	v_mul_f64 v[160:161], v[160:161], v[154:155]
	v_add_f64 v[56:57], v[56:57], -v[152:153]
	s_delay_alu instid0(VALU_DEP_2) | instskip(NEXT) | instid1(VALU_DEP_1)
	v_fma_f64 v[160:161], v[162:163], v[168:169], v[160:161]
	v_add_f64 v[58:59], v[58:59], -v[160:161]
	ds_load_2addr_b64 v[160:163], v170 offset0:56 offset1:57
	s_waitcnt lgkmcnt(0)
	v_mul_f64 v[152:153], v[162:163], v[154:155]
	s_delay_alu instid0(VALU_DEP_1) | instskip(SKIP_1) | instid1(VALU_DEP_2)
	v_fma_f64 v[152:153], v[160:161], v[168:169], -v[152:153]
	v_mul_f64 v[160:161], v[160:161], v[154:155]
	v_add_f64 v[44:45], v[44:45], -v[152:153]
	s_delay_alu instid0(VALU_DEP_2) | instskip(NEXT) | instid1(VALU_DEP_1)
	v_fma_f64 v[160:161], v[162:163], v[168:169], v[160:161]
	v_add_f64 v[46:47], v[46:47], -v[160:161]
	ds_load_2addr_b64 v[160:163], v170 offset0:58 offset1:59
	s_waitcnt lgkmcnt(0)
	v_mul_f64 v[152:153], v[162:163], v[154:155]
	s_delay_alu instid0(VALU_DEP_1) | instskip(SKIP_1) | instid1(VALU_DEP_2)
	v_fma_f64 v[152:153], v[160:161], v[168:169], -v[152:153]
	v_mul_f64 v[160:161], v[160:161], v[154:155]
	v_add_f64 v[40:41], v[40:41], -v[152:153]
	s_delay_alu instid0(VALU_DEP_2) | instskip(NEXT) | instid1(VALU_DEP_1)
	v_fma_f64 v[160:161], v[162:163], v[168:169], v[160:161]
	v_add_f64 v[42:43], v[42:43], -v[160:161]
	ds_load_2addr_b64 v[160:163], v170 offset0:60 offset1:61
	s_waitcnt lgkmcnt(0)
	v_mul_f64 v[152:153], v[162:163], v[154:155]
	s_delay_alu instid0(VALU_DEP_1) | instskip(SKIP_1) | instid1(VALU_DEP_2)
	v_fma_f64 v[152:153], v[160:161], v[168:169], -v[152:153]
	v_mul_f64 v[160:161], v[160:161], v[154:155]
	v_add_f64 v[36:37], v[36:37], -v[152:153]
	s_delay_alu instid0(VALU_DEP_2) | instskip(NEXT) | instid1(VALU_DEP_1)
	v_fma_f64 v[160:161], v[162:163], v[168:169], v[160:161]
	v_add_f64 v[38:39], v[38:39], -v[160:161]
	ds_load_2addr_b64 v[160:163], v170 offset0:62 offset1:63
	s_waitcnt lgkmcnt(0)
	v_mul_f64 v[152:153], v[162:163], v[154:155]
	s_delay_alu instid0(VALU_DEP_1) | instskip(SKIP_1) | instid1(VALU_DEP_2)
	v_fma_f64 v[152:153], v[160:161], v[168:169], -v[152:153]
	v_mul_f64 v[160:161], v[160:161], v[154:155]
	v_add_f64 v[32:33], v[32:33], -v[152:153]
	s_delay_alu instid0(VALU_DEP_2) | instskip(NEXT) | instid1(VALU_DEP_1)
	v_fma_f64 v[160:161], v[162:163], v[168:169], v[160:161]
	v_add_f64 v[34:35], v[34:35], -v[160:161]
	ds_load_2addr_b64 v[160:163], v170 offset0:64 offset1:65
	s_waitcnt lgkmcnt(0)
	v_mul_f64 v[152:153], v[162:163], v[154:155]
	s_delay_alu instid0(VALU_DEP_1) | instskip(SKIP_1) | instid1(VALU_DEP_2)
	v_fma_f64 v[152:153], v[160:161], v[168:169], -v[152:153]
	v_mul_f64 v[160:161], v[160:161], v[154:155]
	v_add_f64 v[28:29], v[28:29], -v[152:153]
	s_delay_alu instid0(VALU_DEP_2) | instskip(NEXT) | instid1(VALU_DEP_1)
	v_fma_f64 v[160:161], v[162:163], v[168:169], v[160:161]
	v_add_f64 v[30:31], v[30:31], -v[160:161]
	ds_load_2addr_b64 v[160:163], v170 offset0:66 offset1:67
	s_waitcnt lgkmcnt(0)
	v_mul_f64 v[152:153], v[162:163], v[154:155]
	s_delay_alu instid0(VALU_DEP_1) | instskip(SKIP_1) | instid1(VALU_DEP_2)
	v_fma_f64 v[152:153], v[160:161], v[168:169], -v[152:153]
	v_mul_f64 v[160:161], v[160:161], v[154:155]
	v_add_f64 v[24:25], v[24:25], -v[152:153]
	s_delay_alu instid0(VALU_DEP_2) | instskip(NEXT) | instid1(VALU_DEP_1)
	v_fma_f64 v[160:161], v[162:163], v[168:169], v[160:161]
	v_add_f64 v[26:27], v[26:27], -v[160:161]
	ds_load_2addr_b64 v[160:163], v170 offset0:68 offset1:69
	s_waitcnt lgkmcnt(0)
	v_mul_f64 v[152:153], v[162:163], v[154:155]
	s_delay_alu instid0(VALU_DEP_1) | instskip(SKIP_1) | instid1(VALU_DEP_2)
	v_fma_f64 v[152:153], v[160:161], v[168:169], -v[152:153]
	v_mul_f64 v[160:161], v[160:161], v[154:155]
	v_add_f64 v[20:21], v[20:21], -v[152:153]
	s_delay_alu instid0(VALU_DEP_2) | instskip(NEXT) | instid1(VALU_DEP_1)
	v_fma_f64 v[160:161], v[162:163], v[168:169], v[160:161]
	v_add_f64 v[22:23], v[22:23], -v[160:161]
	ds_load_2addr_b64 v[160:163], v170 offset0:70 offset1:71
	s_waitcnt lgkmcnt(0)
	v_mul_f64 v[152:153], v[162:163], v[154:155]
	s_delay_alu instid0(VALU_DEP_1) | instskip(SKIP_1) | instid1(VALU_DEP_2)
	v_fma_f64 v[152:153], v[160:161], v[168:169], -v[152:153]
	v_mul_f64 v[160:161], v[160:161], v[154:155]
	v_add_f64 v[16:17], v[16:17], -v[152:153]
	s_delay_alu instid0(VALU_DEP_2) | instskip(NEXT) | instid1(VALU_DEP_1)
	v_fma_f64 v[160:161], v[162:163], v[168:169], v[160:161]
	v_add_f64 v[18:19], v[18:19], -v[160:161]
	ds_load_2addr_b64 v[160:163], v170 offset0:72 offset1:73
	s_waitcnt lgkmcnt(0)
	v_mul_f64 v[152:153], v[162:163], v[154:155]
	s_delay_alu instid0(VALU_DEP_1) | instskip(SKIP_1) | instid1(VALU_DEP_2)
	v_fma_f64 v[152:153], v[160:161], v[168:169], -v[152:153]
	v_mul_f64 v[160:161], v[160:161], v[154:155]
	v_add_f64 v[12:13], v[12:13], -v[152:153]
	s_delay_alu instid0(VALU_DEP_2) | instskip(NEXT) | instid1(VALU_DEP_1)
	v_fma_f64 v[160:161], v[162:163], v[168:169], v[160:161]
	v_add_f64 v[14:15], v[14:15], -v[160:161]
	ds_load_2addr_b64 v[160:163], v170 offset0:74 offset1:75
	s_waitcnt lgkmcnt(0)
	v_mul_f64 v[152:153], v[162:163], v[154:155]
	s_delay_alu instid0(VALU_DEP_1) | instskip(SKIP_1) | instid1(VALU_DEP_2)
	v_fma_f64 v[152:153], v[160:161], v[168:169], -v[152:153]
	v_mul_f64 v[160:161], v[160:161], v[154:155]
	v_add_f64 v[8:9], v[8:9], -v[152:153]
	s_delay_alu instid0(VALU_DEP_2) | instskip(NEXT) | instid1(VALU_DEP_1)
	v_fma_f64 v[160:161], v[162:163], v[168:169], v[160:161]
	v_add_f64 v[10:11], v[10:11], -v[160:161]
	ds_load_2addr_b64 v[160:163], v170 offset0:76 offset1:77
	s_waitcnt lgkmcnt(0)
	v_mul_f64 v[152:153], v[162:163], v[154:155]
	s_delay_alu instid0(VALU_DEP_1) | instskip(SKIP_1) | instid1(VALU_DEP_2)
	v_fma_f64 v[152:153], v[160:161], v[168:169], -v[152:153]
	v_mul_f64 v[160:161], v[160:161], v[154:155]
	v_add_f64 v[4:5], v[4:5], -v[152:153]
	s_delay_alu instid0(VALU_DEP_2) | instskip(NEXT) | instid1(VALU_DEP_1)
	v_fma_f64 v[160:161], v[162:163], v[168:169], v[160:161]
	v_add_f64 v[6:7], v[6:7], -v[160:161]
	ds_load_2addr_b64 v[160:163], v170 offset0:78 offset1:79
	s_waitcnt lgkmcnt(0)
	v_mul_f64 v[152:153], v[162:163], v[154:155]
	s_delay_alu instid0(VALU_DEP_1) | instskip(SKIP_1) | instid1(VALU_DEP_2)
	v_fma_f64 v[152:153], v[160:161], v[168:169], -v[152:153]
	v_mul_f64 v[160:161], v[160:161], v[154:155]
	v_add_f64 v[0:1], v[0:1], -v[152:153]
	s_delay_alu instid0(VALU_DEP_2) | instskip(SKIP_1) | instid1(VALU_DEP_2)
	v_fma_f64 v[160:161], v[162:163], v[168:169], v[160:161]
	v_dual_mov_b32 v152, v168 :: v_dual_mov_b32 v153, v169
	v_add_f64 v[2:3], v[2:3], -v[160:161]
.LBB78_83:
	s_or_b32 exec_lo, exec_lo, s2
	v_lshl_add_u32 v160, v176, 4, v170
	s_barrier
	buffer_gl0_inv
	v_mov_b32_e32 v168, 4
	ds_store_2addr_b64 v160, v[148:149], v[150:151] offset1:1
	s_waitcnt lgkmcnt(0)
	s_barrier
	buffer_gl0_inv
	ds_load_2addr_b64 v[160:163], v170 offset0:8 offset1:9
	s_cmp_lt_i32 s5, 6
	s_cbranch_scc1 .LBB78_86
; %bb.84:
	v_add3_u32 v169, v174, 0, 0x50
	v_mov_b32_e32 v168, 4
	s_mov_b32 s6, 5
	s_set_inst_prefetch_distance 0x1
	.p2align	6
.LBB78_85:                              ; =>This Inner Loop Header: Depth=1
	ds_load_2addr_b64 v[177:180], v169 offset1:1
	s_waitcnt lgkmcnt(1)
	v_cmp_gt_f64_e32 vcc_lo, 0, v[160:161]
	v_xor_b32_e32 v181, 0x80000000, v161
	v_cmp_gt_f64_e64 s2, 0, v[162:163]
	v_xor_b32_e32 v183, 0x80000000, v163
	v_add_nc_u32_e32 v169, 16, v169
	s_waitcnt lgkmcnt(0)
	v_cmp_gt_f64_e64 s3, 0, v[177:178]
	v_mov_b32_e32 v185, v177
	v_dual_mov_b32 v187, v179 :: v_dual_cndmask_b32 v182, v161, v181
	v_xor_b32_e32 v181, 0x80000000, v178
	v_cndmask_b32_e64 v184, v163, v183, s2
	v_xor_b32_e32 v183, 0x80000000, v180
	s_delay_alu instid0(VALU_DEP_3) | instskip(SKIP_2) | instid1(VALU_DEP_2)
	v_cndmask_b32_e64 v186, v178, v181, s3
	v_cmp_gt_f64_e64 s3, 0, v[179:180]
	v_cndmask_b32_e32 v181, v160, v160, vcc_lo
	v_cndmask_b32_e64 v188, v180, v183, s3
	v_cndmask_b32_e64 v183, v162, v162, s2
	s_delay_alu instid0(VALU_DEP_2) | instskip(NEXT) | instid1(VALU_DEP_2)
	v_add_f64 v[185:186], v[185:186], v[187:188]
	v_add_f64 v[181:182], v[181:182], v[183:184]
	s_delay_alu instid0(VALU_DEP_1) | instskip(SKIP_4) | instid1(SALU_CYCLE_1)
	v_cmp_lt_f64_e32 vcc_lo, v[181:182], v[185:186]
	v_dual_cndmask_b32 v162, v162, v179 :: v_dual_cndmask_b32 v161, v161, v178
	v_dual_cndmask_b32 v160, v160, v177 :: v_dual_cndmask_b32 v163, v163, v180
	v_cndmask_b32_e64 v168, v168, s6, vcc_lo
	s_add_i32 s6, s6, 1
	s_cmp_lg_u32 s5, s6
	s_cbranch_scc1 .LBB78_85
.LBB78_86:
	s_set_inst_prefetch_distance 0x2
	s_waitcnt lgkmcnt(0)
	v_cmp_eq_f64_e32 vcc_lo, 0, v[160:161]
	v_cmp_eq_f64_e64 s2, 0, v[162:163]
	s_delay_alu instid0(VALU_DEP_1) | instskip(NEXT) | instid1(SALU_CYCLE_1)
	s_and_b32 s2, vcc_lo, s2
	s_and_saveexec_b32 s3, s2
	s_delay_alu instid0(SALU_CYCLE_1)
	s_xor_b32 s2, exec_lo, s3
; %bb.87:
	v_cmp_ne_u32_e32 vcc_lo, 0, v173
	v_cndmask_b32_e32 v173, 5, v173, vcc_lo
; %bb.88:
	s_and_not1_saveexec_b32 s3, s2
	s_cbranch_execz .LBB78_94
; %bb.89:
	v_cmp_gt_f64_e32 vcc_lo, 0, v[160:161]
	v_cmp_gt_f64_e64 s2, 0, v[162:163]
	v_xor_b32_e32 v169, 0x80000000, v161
	v_xor_b32_e32 v177, 0x80000000, v163
	s_delay_alu instid0(VALU_DEP_2) | instskip(NEXT) | instid1(VALU_DEP_2)
	v_cndmask_b32_e32 v178, v161, v169, vcc_lo
	v_cndmask_b32_e64 v180, v163, v177, s2
	v_cndmask_b32_e32 v177, v160, v160, vcc_lo
	v_cndmask_b32_e64 v179, v162, v162, s2
	s_mov_b32 s2, exec_lo
	s_delay_alu instid0(VALU_DEP_1)
	v_cmpx_ngt_f64_e32 v[177:178], v[179:180]
	s_xor_b32 s2, exec_lo, s2
	s_cbranch_execz .LBB78_91
; %bb.90:
	v_div_scale_f64 v[177:178], null, v[162:163], v[162:163], v[160:161]
	v_div_scale_f64 v[183:184], vcc_lo, v[160:161], v[162:163], v[160:161]
	s_delay_alu instid0(VALU_DEP_2) | instskip(SKIP_2) | instid1(VALU_DEP_1)
	v_rcp_f64_e32 v[179:180], v[177:178]
	s_waitcnt_depctr 0xfff
	v_fma_f64 v[181:182], -v[177:178], v[179:180], 1.0
	v_fma_f64 v[179:180], v[179:180], v[181:182], v[179:180]
	s_delay_alu instid0(VALU_DEP_1) | instskip(NEXT) | instid1(VALU_DEP_1)
	v_fma_f64 v[181:182], -v[177:178], v[179:180], 1.0
	v_fma_f64 v[179:180], v[179:180], v[181:182], v[179:180]
	s_delay_alu instid0(VALU_DEP_1) | instskip(NEXT) | instid1(VALU_DEP_1)
	v_mul_f64 v[181:182], v[183:184], v[179:180]
	v_fma_f64 v[177:178], -v[177:178], v[181:182], v[183:184]
	s_delay_alu instid0(VALU_DEP_1) | instskip(NEXT) | instid1(VALU_DEP_1)
	v_div_fmas_f64 v[177:178], v[177:178], v[179:180], v[181:182]
	v_div_fixup_f64 v[177:178], v[177:178], v[162:163], v[160:161]
	s_delay_alu instid0(VALU_DEP_1) | instskip(NEXT) | instid1(VALU_DEP_1)
	v_fma_f64 v[160:161], v[160:161], v[177:178], v[162:163]
	v_div_scale_f64 v[162:163], null, v[160:161], v[160:161], 1.0
	s_delay_alu instid0(VALU_DEP_1) | instskip(SKIP_2) | instid1(VALU_DEP_1)
	v_rcp_f64_e32 v[179:180], v[162:163]
	s_waitcnt_depctr 0xfff
	v_fma_f64 v[181:182], -v[162:163], v[179:180], 1.0
	v_fma_f64 v[179:180], v[179:180], v[181:182], v[179:180]
	s_delay_alu instid0(VALU_DEP_1) | instskip(NEXT) | instid1(VALU_DEP_1)
	v_fma_f64 v[181:182], -v[162:163], v[179:180], 1.0
	v_fma_f64 v[179:180], v[179:180], v[181:182], v[179:180]
	v_div_scale_f64 v[181:182], vcc_lo, 1.0, v[160:161], 1.0
	s_delay_alu instid0(VALU_DEP_1) | instskip(NEXT) | instid1(VALU_DEP_1)
	v_mul_f64 v[183:184], v[181:182], v[179:180]
	v_fma_f64 v[162:163], -v[162:163], v[183:184], v[181:182]
	s_delay_alu instid0(VALU_DEP_1) | instskip(NEXT) | instid1(VALU_DEP_1)
	v_div_fmas_f64 v[162:163], v[162:163], v[179:180], v[183:184]
	v_div_fixup_f64 v[162:163], v[162:163], v[160:161], 1.0
	s_delay_alu instid0(VALU_DEP_1)
	v_mul_f64 v[160:161], v[177:178], v[162:163]
	v_xor_b32_e32 v163, 0x80000000, v163
.LBB78_91:
	s_and_not1_saveexec_b32 s2, s2
	s_cbranch_execz .LBB78_93
; %bb.92:
	s_delay_alu instid0(VALU_DEP_1) | instskip(SKIP_1) | instid1(VALU_DEP_2)
	v_div_scale_f64 v[177:178], null, v[160:161], v[160:161], v[162:163]
	v_div_scale_f64 v[183:184], vcc_lo, v[162:163], v[160:161], v[162:163]
	v_rcp_f64_e32 v[179:180], v[177:178]
	s_waitcnt_depctr 0xfff
	v_fma_f64 v[181:182], -v[177:178], v[179:180], 1.0
	s_delay_alu instid0(VALU_DEP_1) | instskip(NEXT) | instid1(VALU_DEP_1)
	v_fma_f64 v[179:180], v[179:180], v[181:182], v[179:180]
	v_fma_f64 v[181:182], -v[177:178], v[179:180], 1.0
	s_delay_alu instid0(VALU_DEP_1) | instskip(NEXT) | instid1(VALU_DEP_1)
	v_fma_f64 v[179:180], v[179:180], v[181:182], v[179:180]
	v_mul_f64 v[181:182], v[183:184], v[179:180]
	s_delay_alu instid0(VALU_DEP_1) | instskip(NEXT) | instid1(VALU_DEP_1)
	v_fma_f64 v[177:178], -v[177:178], v[181:182], v[183:184]
	v_div_fmas_f64 v[177:178], v[177:178], v[179:180], v[181:182]
	s_delay_alu instid0(VALU_DEP_1) | instskip(NEXT) | instid1(VALU_DEP_1)
	v_div_fixup_f64 v[177:178], v[177:178], v[160:161], v[162:163]
	v_fma_f64 v[160:161], v[162:163], v[177:178], v[160:161]
	s_delay_alu instid0(VALU_DEP_1) | instskip(NEXT) | instid1(VALU_DEP_1)
	v_div_scale_f64 v[162:163], null, v[160:161], v[160:161], 1.0
	v_rcp_f64_e32 v[179:180], v[162:163]
	s_waitcnt_depctr 0xfff
	v_fma_f64 v[181:182], -v[162:163], v[179:180], 1.0
	s_delay_alu instid0(VALU_DEP_1) | instskip(NEXT) | instid1(VALU_DEP_1)
	v_fma_f64 v[179:180], v[179:180], v[181:182], v[179:180]
	v_fma_f64 v[181:182], -v[162:163], v[179:180], 1.0
	s_delay_alu instid0(VALU_DEP_1) | instskip(SKIP_1) | instid1(VALU_DEP_1)
	v_fma_f64 v[179:180], v[179:180], v[181:182], v[179:180]
	v_div_scale_f64 v[181:182], vcc_lo, 1.0, v[160:161], 1.0
	v_mul_f64 v[183:184], v[181:182], v[179:180]
	s_delay_alu instid0(VALU_DEP_1) | instskip(NEXT) | instid1(VALU_DEP_1)
	v_fma_f64 v[162:163], -v[162:163], v[183:184], v[181:182]
	v_div_fmas_f64 v[162:163], v[162:163], v[179:180], v[183:184]
	s_delay_alu instid0(VALU_DEP_1) | instskip(NEXT) | instid1(VALU_DEP_1)
	v_div_fixup_f64 v[160:161], v[162:163], v[160:161], 1.0
	v_mul_f64 v[162:163], v[177:178], -v[160:161]
.LBB78_93:
	s_or_b32 exec_lo, exec_lo, s2
.LBB78_94:
	s_delay_alu instid0(SALU_CYCLE_1) | instskip(NEXT) | instid1(SALU_CYCLE_1)
	s_or_b32 exec_lo, exec_lo, s3
	s_mov_b32 s2, exec_lo
	v_cmpx_ne_u32_e64 v176, v168
	s_xor_b32 s2, exec_lo, s2
	s_cbranch_execz .LBB78_100
; %bb.95:
	s_mov_b32 s3, exec_lo
	v_cmpx_eq_u32_e32 4, v176
	s_cbranch_execz .LBB78_99
; %bb.96:
	v_cmp_ne_u32_e32 vcc_lo, 4, v168
	s_xor_b32 s6, s4, -1
	s_delay_alu instid0(SALU_CYCLE_1) | instskip(NEXT) | instid1(SALU_CYCLE_1)
	s_and_b32 s7, s6, vcc_lo
	s_and_saveexec_b32 s6, s7
	s_cbranch_execz .LBB78_98
; %bb.97:
	v_ashrrev_i32_e32 v169, 31, v168
	s_delay_alu instid0(VALU_DEP_1) | instskip(NEXT) | instid1(VALU_DEP_1)
	v_lshlrev_b64 v[175:176], 2, v[168:169]
	v_add_co_u32 v175, vcc_lo, v166, v175
	s_delay_alu instid0(VALU_DEP_2)
	v_add_co_ci_u32_e32 v176, vcc_lo, v167, v176, vcc_lo
	s_clause 0x1
	flat_load_b32 v169, v[175:176]
	flat_load_b32 v177, v[166:167] offset:16
	s_waitcnt vmcnt(1) lgkmcnt(1)
	flat_store_b32 v[166:167], v169 offset:16
	s_waitcnt vmcnt(0) lgkmcnt(1)
	flat_store_b32 v[175:176], v177
.LBB78_98:
	s_or_b32 exec_lo, exec_lo, s6
	v_mov_b32_e32 v176, v168
	v_mov_b32_e32 v175, v168
.LBB78_99:
	s_or_b32 exec_lo, exec_lo, s3
.LBB78_100:
	s_and_not1_saveexec_b32 s2, s2
	s_cbranch_execz .LBB78_102
; %bb.101:
	v_mov_b32_e32 v176, 4
	ds_store_2addr_b64 v170, v[144:145], v[146:147] offset0:10 offset1:11
	ds_store_2addr_b64 v170, v[140:141], v[142:143] offset0:12 offset1:13
	;; [unrolled: 1-line block ×35, first 2 shown]
.LBB78_102:
	s_or_b32 exec_lo, exec_lo, s2
	s_delay_alu instid0(SALU_CYCLE_1)
	s_mov_b32 s2, exec_lo
	s_waitcnt lgkmcnt(0)
	s_waitcnt_vscnt null, 0x0
	s_barrier
	buffer_gl0_inv
	v_cmpx_lt_i32_e32 4, v176
	s_cbranch_execz .LBB78_104
; %bb.103:
	v_mul_f64 v[168:169], v[162:163], v[150:151]
	v_mul_f64 v[150:151], v[160:161], v[150:151]
	s_delay_alu instid0(VALU_DEP_2) | instskip(NEXT) | instid1(VALU_DEP_2)
	v_fma_f64 v[168:169], v[160:161], v[148:149], -v[168:169]
	v_fma_f64 v[150:151], v[162:163], v[148:149], v[150:151]
	ds_load_2addr_b64 v[160:163], v170 offset0:10 offset1:11
	s_waitcnt lgkmcnt(0)
	v_mul_f64 v[148:149], v[162:163], v[150:151]
	s_delay_alu instid0(VALU_DEP_1) | instskip(SKIP_1) | instid1(VALU_DEP_2)
	v_fma_f64 v[148:149], v[160:161], v[168:169], -v[148:149]
	v_mul_f64 v[160:161], v[160:161], v[150:151]
	v_add_f64 v[144:145], v[144:145], -v[148:149]
	s_delay_alu instid0(VALU_DEP_2) | instskip(NEXT) | instid1(VALU_DEP_1)
	v_fma_f64 v[160:161], v[162:163], v[168:169], v[160:161]
	v_add_f64 v[146:147], v[146:147], -v[160:161]
	ds_load_2addr_b64 v[160:163], v170 offset0:12 offset1:13
	s_waitcnt lgkmcnt(0)
	v_mul_f64 v[148:149], v[162:163], v[150:151]
	s_delay_alu instid0(VALU_DEP_1) | instskip(SKIP_1) | instid1(VALU_DEP_2)
	v_fma_f64 v[148:149], v[160:161], v[168:169], -v[148:149]
	v_mul_f64 v[160:161], v[160:161], v[150:151]
	v_add_f64 v[140:141], v[140:141], -v[148:149]
	s_delay_alu instid0(VALU_DEP_2) | instskip(NEXT) | instid1(VALU_DEP_1)
	v_fma_f64 v[160:161], v[162:163], v[168:169], v[160:161]
	v_add_f64 v[142:143], v[142:143], -v[160:161]
	;; [unrolled: 10-line block ×34, first 2 shown]
	ds_load_2addr_b64 v[160:163], v170 offset0:78 offset1:79
	s_waitcnt lgkmcnt(0)
	v_mul_f64 v[148:149], v[162:163], v[150:151]
	s_delay_alu instid0(VALU_DEP_1) | instskip(SKIP_1) | instid1(VALU_DEP_2)
	v_fma_f64 v[148:149], v[160:161], v[168:169], -v[148:149]
	v_mul_f64 v[160:161], v[160:161], v[150:151]
	v_add_f64 v[0:1], v[0:1], -v[148:149]
	s_delay_alu instid0(VALU_DEP_2) | instskip(SKIP_1) | instid1(VALU_DEP_2)
	v_fma_f64 v[160:161], v[162:163], v[168:169], v[160:161]
	v_dual_mov_b32 v148, v168 :: v_dual_mov_b32 v149, v169
	v_add_f64 v[2:3], v[2:3], -v[160:161]
.LBB78_104:
	s_or_b32 exec_lo, exec_lo, s2
	v_lshl_add_u32 v160, v176, 4, v170
	s_barrier
	buffer_gl0_inv
	v_mov_b32_e32 v168, 5
	ds_store_2addr_b64 v160, v[144:145], v[146:147] offset1:1
	s_waitcnt lgkmcnt(0)
	s_barrier
	buffer_gl0_inv
	ds_load_2addr_b64 v[160:163], v170 offset0:10 offset1:11
	s_cmp_lt_i32 s5, 7
	s_cbranch_scc1 .LBB78_107
; %bb.105:
	v_add3_u32 v169, v174, 0, 0x60
	v_mov_b32_e32 v168, 5
	s_mov_b32 s6, 6
	s_set_inst_prefetch_distance 0x1
	.p2align	6
.LBB78_106:                             ; =>This Inner Loop Header: Depth=1
	ds_load_2addr_b64 v[177:180], v169 offset1:1
	s_waitcnt lgkmcnt(1)
	v_cmp_gt_f64_e32 vcc_lo, 0, v[160:161]
	v_xor_b32_e32 v181, 0x80000000, v161
	v_cmp_gt_f64_e64 s2, 0, v[162:163]
	v_xor_b32_e32 v183, 0x80000000, v163
	v_add_nc_u32_e32 v169, 16, v169
	s_waitcnt lgkmcnt(0)
	v_cmp_gt_f64_e64 s3, 0, v[177:178]
	v_mov_b32_e32 v185, v177
	v_dual_mov_b32 v187, v179 :: v_dual_cndmask_b32 v182, v161, v181
	v_xor_b32_e32 v181, 0x80000000, v178
	v_cndmask_b32_e64 v184, v163, v183, s2
	v_xor_b32_e32 v183, 0x80000000, v180
	s_delay_alu instid0(VALU_DEP_3) | instskip(SKIP_2) | instid1(VALU_DEP_2)
	v_cndmask_b32_e64 v186, v178, v181, s3
	v_cmp_gt_f64_e64 s3, 0, v[179:180]
	v_cndmask_b32_e32 v181, v160, v160, vcc_lo
	v_cndmask_b32_e64 v188, v180, v183, s3
	v_cndmask_b32_e64 v183, v162, v162, s2
	s_delay_alu instid0(VALU_DEP_2) | instskip(NEXT) | instid1(VALU_DEP_2)
	v_add_f64 v[185:186], v[185:186], v[187:188]
	v_add_f64 v[181:182], v[181:182], v[183:184]
	s_delay_alu instid0(VALU_DEP_1) | instskip(SKIP_4) | instid1(SALU_CYCLE_1)
	v_cmp_lt_f64_e32 vcc_lo, v[181:182], v[185:186]
	v_dual_cndmask_b32 v162, v162, v179 :: v_dual_cndmask_b32 v161, v161, v178
	v_dual_cndmask_b32 v160, v160, v177 :: v_dual_cndmask_b32 v163, v163, v180
	v_cndmask_b32_e64 v168, v168, s6, vcc_lo
	s_add_i32 s6, s6, 1
	s_cmp_lg_u32 s5, s6
	s_cbranch_scc1 .LBB78_106
.LBB78_107:
	s_set_inst_prefetch_distance 0x2
	s_waitcnt lgkmcnt(0)
	v_cmp_eq_f64_e32 vcc_lo, 0, v[160:161]
	v_cmp_eq_f64_e64 s2, 0, v[162:163]
	s_delay_alu instid0(VALU_DEP_1) | instskip(NEXT) | instid1(SALU_CYCLE_1)
	s_and_b32 s2, vcc_lo, s2
	s_and_saveexec_b32 s3, s2
	s_delay_alu instid0(SALU_CYCLE_1)
	s_xor_b32 s2, exec_lo, s3
; %bb.108:
	v_cmp_ne_u32_e32 vcc_lo, 0, v173
	v_cndmask_b32_e32 v173, 6, v173, vcc_lo
; %bb.109:
	s_and_not1_saveexec_b32 s3, s2
	s_cbranch_execz .LBB78_115
; %bb.110:
	v_cmp_gt_f64_e32 vcc_lo, 0, v[160:161]
	v_cmp_gt_f64_e64 s2, 0, v[162:163]
	v_xor_b32_e32 v169, 0x80000000, v161
	v_xor_b32_e32 v177, 0x80000000, v163
	s_delay_alu instid0(VALU_DEP_2) | instskip(NEXT) | instid1(VALU_DEP_2)
	v_cndmask_b32_e32 v178, v161, v169, vcc_lo
	v_cndmask_b32_e64 v180, v163, v177, s2
	v_cndmask_b32_e32 v177, v160, v160, vcc_lo
	v_cndmask_b32_e64 v179, v162, v162, s2
	s_mov_b32 s2, exec_lo
	s_delay_alu instid0(VALU_DEP_1)
	v_cmpx_ngt_f64_e32 v[177:178], v[179:180]
	s_xor_b32 s2, exec_lo, s2
	s_cbranch_execz .LBB78_112
; %bb.111:
	v_div_scale_f64 v[177:178], null, v[162:163], v[162:163], v[160:161]
	v_div_scale_f64 v[183:184], vcc_lo, v[160:161], v[162:163], v[160:161]
	s_delay_alu instid0(VALU_DEP_2) | instskip(SKIP_2) | instid1(VALU_DEP_1)
	v_rcp_f64_e32 v[179:180], v[177:178]
	s_waitcnt_depctr 0xfff
	v_fma_f64 v[181:182], -v[177:178], v[179:180], 1.0
	v_fma_f64 v[179:180], v[179:180], v[181:182], v[179:180]
	s_delay_alu instid0(VALU_DEP_1) | instskip(NEXT) | instid1(VALU_DEP_1)
	v_fma_f64 v[181:182], -v[177:178], v[179:180], 1.0
	v_fma_f64 v[179:180], v[179:180], v[181:182], v[179:180]
	s_delay_alu instid0(VALU_DEP_1) | instskip(NEXT) | instid1(VALU_DEP_1)
	v_mul_f64 v[181:182], v[183:184], v[179:180]
	v_fma_f64 v[177:178], -v[177:178], v[181:182], v[183:184]
	s_delay_alu instid0(VALU_DEP_1) | instskip(NEXT) | instid1(VALU_DEP_1)
	v_div_fmas_f64 v[177:178], v[177:178], v[179:180], v[181:182]
	v_div_fixup_f64 v[177:178], v[177:178], v[162:163], v[160:161]
	s_delay_alu instid0(VALU_DEP_1) | instskip(NEXT) | instid1(VALU_DEP_1)
	v_fma_f64 v[160:161], v[160:161], v[177:178], v[162:163]
	v_div_scale_f64 v[162:163], null, v[160:161], v[160:161], 1.0
	s_delay_alu instid0(VALU_DEP_1) | instskip(SKIP_2) | instid1(VALU_DEP_1)
	v_rcp_f64_e32 v[179:180], v[162:163]
	s_waitcnt_depctr 0xfff
	v_fma_f64 v[181:182], -v[162:163], v[179:180], 1.0
	v_fma_f64 v[179:180], v[179:180], v[181:182], v[179:180]
	s_delay_alu instid0(VALU_DEP_1) | instskip(NEXT) | instid1(VALU_DEP_1)
	v_fma_f64 v[181:182], -v[162:163], v[179:180], 1.0
	v_fma_f64 v[179:180], v[179:180], v[181:182], v[179:180]
	v_div_scale_f64 v[181:182], vcc_lo, 1.0, v[160:161], 1.0
	s_delay_alu instid0(VALU_DEP_1) | instskip(NEXT) | instid1(VALU_DEP_1)
	v_mul_f64 v[183:184], v[181:182], v[179:180]
	v_fma_f64 v[162:163], -v[162:163], v[183:184], v[181:182]
	s_delay_alu instid0(VALU_DEP_1) | instskip(NEXT) | instid1(VALU_DEP_1)
	v_div_fmas_f64 v[162:163], v[162:163], v[179:180], v[183:184]
	v_div_fixup_f64 v[162:163], v[162:163], v[160:161], 1.0
	s_delay_alu instid0(VALU_DEP_1)
	v_mul_f64 v[160:161], v[177:178], v[162:163]
	v_xor_b32_e32 v163, 0x80000000, v163
.LBB78_112:
	s_and_not1_saveexec_b32 s2, s2
	s_cbranch_execz .LBB78_114
; %bb.113:
	s_delay_alu instid0(VALU_DEP_1) | instskip(SKIP_1) | instid1(VALU_DEP_2)
	v_div_scale_f64 v[177:178], null, v[160:161], v[160:161], v[162:163]
	v_div_scale_f64 v[183:184], vcc_lo, v[162:163], v[160:161], v[162:163]
	v_rcp_f64_e32 v[179:180], v[177:178]
	s_waitcnt_depctr 0xfff
	v_fma_f64 v[181:182], -v[177:178], v[179:180], 1.0
	s_delay_alu instid0(VALU_DEP_1) | instskip(NEXT) | instid1(VALU_DEP_1)
	v_fma_f64 v[179:180], v[179:180], v[181:182], v[179:180]
	v_fma_f64 v[181:182], -v[177:178], v[179:180], 1.0
	s_delay_alu instid0(VALU_DEP_1) | instskip(NEXT) | instid1(VALU_DEP_1)
	v_fma_f64 v[179:180], v[179:180], v[181:182], v[179:180]
	v_mul_f64 v[181:182], v[183:184], v[179:180]
	s_delay_alu instid0(VALU_DEP_1) | instskip(NEXT) | instid1(VALU_DEP_1)
	v_fma_f64 v[177:178], -v[177:178], v[181:182], v[183:184]
	v_div_fmas_f64 v[177:178], v[177:178], v[179:180], v[181:182]
	s_delay_alu instid0(VALU_DEP_1) | instskip(NEXT) | instid1(VALU_DEP_1)
	v_div_fixup_f64 v[177:178], v[177:178], v[160:161], v[162:163]
	v_fma_f64 v[160:161], v[162:163], v[177:178], v[160:161]
	s_delay_alu instid0(VALU_DEP_1) | instskip(NEXT) | instid1(VALU_DEP_1)
	v_div_scale_f64 v[162:163], null, v[160:161], v[160:161], 1.0
	v_rcp_f64_e32 v[179:180], v[162:163]
	s_waitcnt_depctr 0xfff
	v_fma_f64 v[181:182], -v[162:163], v[179:180], 1.0
	s_delay_alu instid0(VALU_DEP_1) | instskip(NEXT) | instid1(VALU_DEP_1)
	v_fma_f64 v[179:180], v[179:180], v[181:182], v[179:180]
	v_fma_f64 v[181:182], -v[162:163], v[179:180], 1.0
	s_delay_alu instid0(VALU_DEP_1) | instskip(SKIP_1) | instid1(VALU_DEP_1)
	v_fma_f64 v[179:180], v[179:180], v[181:182], v[179:180]
	v_div_scale_f64 v[181:182], vcc_lo, 1.0, v[160:161], 1.0
	v_mul_f64 v[183:184], v[181:182], v[179:180]
	s_delay_alu instid0(VALU_DEP_1) | instskip(NEXT) | instid1(VALU_DEP_1)
	v_fma_f64 v[162:163], -v[162:163], v[183:184], v[181:182]
	v_div_fmas_f64 v[162:163], v[162:163], v[179:180], v[183:184]
	s_delay_alu instid0(VALU_DEP_1) | instskip(NEXT) | instid1(VALU_DEP_1)
	v_div_fixup_f64 v[160:161], v[162:163], v[160:161], 1.0
	v_mul_f64 v[162:163], v[177:178], -v[160:161]
.LBB78_114:
	s_or_b32 exec_lo, exec_lo, s2
.LBB78_115:
	s_delay_alu instid0(SALU_CYCLE_1) | instskip(NEXT) | instid1(SALU_CYCLE_1)
	s_or_b32 exec_lo, exec_lo, s3
	s_mov_b32 s2, exec_lo
	v_cmpx_ne_u32_e64 v176, v168
	s_xor_b32 s2, exec_lo, s2
	s_cbranch_execz .LBB78_121
; %bb.116:
	s_mov_b32 s3, exec_lo
	v_cmpx_eq_u32_e32 5, v176
	s_cbranch_execz .LBB78_120
; %bb.117:
	v_cmp_ne_u32_e32 vcc_lo, 5, v168
	s_xor_b32 s6, s4, -1
	s_delay_alu instid0(SALU_CYCLE_1) | instskip(NEXT) | instid1(SALU_CYCLE_1)
	s_and_b32 s7, s6, vcc_lo
	s_and_saveexec_b32 s6, s7
	s_cbranch_execz .LBB78_119
; %bb.118:
	v_ashrrev_i32_e32 v169, 31, v168
	s_delay_alu instid0(VALU_DEP_1) | instskip(NEXT) | instid1(VALU_DEP_1)
	v_lshlrev_b64 v[175:176], 2, v[168:169]
	v_add_co_u32 v175, vcc_lo, v166, v175
	s_delay_alu instid0(VALU_DEP_2)
	v_add_co_ci_u32_e32 v176, vcc_lo, v167, v176, vcc_lo
	s_clause 0x1
	flat_load_b32 v169, v[175:176]
	flat_load_b32 v177, v[166:167] offset:20
	s_waitcnt vmcnt(1) lgkmcnt(1)
	flat_store_b32 v[166:167], v169 offset:20
	s_waitcnt vmcnt(0) lgkmcnt(1)
	flat_store_b32 v[175:176], v177
.LBB78_119:
	s_or_b32 exec_lo, exec_lo, s6
	v_mov_b32_e32 v176, v168
	v_mov_b32_e32 v175, v168
.LBB78_120:
	s_or_b32 exec_lo, exec_lo, s3
.LBB78_121:
	s_and_not1_saveexec_b32 s2, s2
	s_cbranch_execz .LBB78_123
; %bb.122:
	v_mov_b32_e32 v176, 5
	ds_store_2addr_b64 v170, v[140:141], v[142:143] offset0:12 offset1:13
	ds_store_2addr_b64 v170, v[136:137], v[138:139] offset0:14 offset1:15
	;; [unrolled: 1-line block ×34, first 2 shown]
.LBB78_123:
	s_or_b32 exec_lo, exec_lo, s2
	s_delay_alu instid0(SALU_CYCLE_1)
	s_mov_b32 s2, exec_lo
	s_waitcnt lgkmcnt(0)
	s_waitcnt_vscnt null, 0x0
	s_barrier
	buffer_gl0_inv
	v_cmpx_lt_i32_e32 5, v176
	s_cbranch_execz .LBB78_125
; %bb.124:
	v_mul_f64 v[168:169], v[162:163], v[146:147]
	v_mul_f64 v[146:147], v[160:161], v[146:147]
	s_delay_alu instid0(VALU_DEP_2) | instskip(NEXT) | instid1(VALU_DEP_2)
	v_fma_f64 v[168:169], v[160:161], v[144:145], -v[168:169]
	v_fma_f64 v[146:147], v[162:163], v[144:145], v[146:147]
	ds_load_2addr_b64 v[160:163], v170 offset0:12 offset1:13
	s_waitcnt lgkmcnt(0)
	v_mul_f64 v[144:145], v[162:163], v[146:147]
	s_delay_alu instid0(VALU_DEP_1) | instskip(SKIP_1) | instid1(VALU_DEP_2)
	v_fma_f64 v[144:145], v[160:161], v[168:169], -v[144:145]
	v_mul_f64 v[160:161], v[160:161], v[146:147]
	v_add_f64 v[140:141], v[140:141], -v[144:145]
	s_delay_alu instid0(VALU_DEP_2) | instskip(NEXT) | instid1(VALU_DEP_1)
	v_fma_f64 v[160:161], v[162:163], v[168:169], v[160:161]
	v_add_f64 v[142:143], v[142:143], -v[160:161]
	ds_load_2addr_b64 v[160:163], v170 offset0:14 offset1:15
	s_waitcnt lgkmcnt(0)
	v_mul_f64 v[144:145], v[162:163], v[146:147]
	s_delay_alu instid0(VALU_DEP_1) | instskip(SKIP_1) | instid1(VALU_DEP_2)
	v_fma_f64 v[144:145], v[160:161], v[168:169], -v[144:145]
	v_mul_f64 v[160:161], v[160:161], v[146:147]
	v_add_f64 v[136:137], v[136:137], -v[144:145]
	s_delay_alu instid0(VALU_DEP_2) | instskip(NEXT) | instid1(VALU_DEP_1)
	v_fma_f64 v[160:161], v[162:163], v[168:169], v[160:161]
	v_add_f64 v[138:139], v[138:139], -v[160:161]
	;; [unrolled: 10-line block ×33, first 2 shown]
	ds_load_2addr_b64 v[160:163], v170 offset0:78 offset1:79
	s_waitcnt lgkmcnt(0)
	v_mul_f64 v[144:145], v[162:163], v[146:147]
	s_delay_alu instid0(VALU_DEP_1) | instskip(SKIP_1) | instid1(VALU_DEP_2)
	v_fma_f64 v[144:145], v[160:161], v[168:169], -v[144:145]
	v_mul_f64 v[160:161], v[160:161], v[146:147]
	v_add_f64 v[0:1], v[0:1], -v[144:145]
	s_delay_alu instid0(VALU_DEP_2) | instskip(SKIP_1) | instid1(VALU_DEP_2)
	v_fma_f64 v[160:161], v[162:163], v[168:169], v[160:161]
	v_dual_mov_b32 v144, v168 :: v_dual_mov_b32 v145, v169
	v_add_f64 v[2:3], v[2:3], -v[160:161]
.LBB78_125:
	s_or_b32 exec_lo, exec_lo, s2
	v_lshl_add_u32 v160, v176, 4, v170
	s_barrier
	buffer_gl0_inv
	v_mov_b32_e32 v168, 6
	ds_store_2addr_b64 v160, v[140:141], v[142:143] offset1:1
	s_waitcnt lgkmcnt(0)
	s_barrier
	buffer_gl0_inv
	ds_load_2addr_b64 v[160:163], v170 offset0:12 offset1:13
	s_cmp_lt_i32 s5, 8
	s_cbranch_scc1 .LBB78_128
; %bb.126:
	v_add3_u32 v169, v174, 0, 0x70
	v_mov_b32_e32 v168, 6
	s_mov_b32 s6, 7
	s_set_inst_prefetch_distance 0x1
	.p2align	6
.LBB78_127:                             ; =>This Inner Loop Header: Depth=1
	ds_load_2addr_b64 v[177:180], v169 offset1:1
	s_waitcnt lgkmcnt(1)
	v_cmp_gt_f64_e32 vcc_lo, 0, v[160:161]
	v_xor_b32_e32 v181, 0x80000000, v161
	v_cmp_gt_f64_e64 s2, 0, v[162:163]
	v_xor_b32_e32 v183, 0x80000000, v163
	v_add_nc_u32_e32 v169, 16, v169
	s_waitcnt lgkmcnt(0)
	v_cmp_gt_f64_e64 s3, 0, v[177:178]
	v_mov_b32_e32 v185, v177
	v_dual_mov_b32 v187, v179 :: v_dual_cndmask_b32 v182, v161, v181
	v_xor_b32_e32 v181, 0x80000000, v178
	v_cndmask_b32_e64 v184, v163, v183, s2
	v_xor_b32_e32 v183, 0x80000000, v180
	s_delay_alu instid0(VALU_DEP_3) | instskip(SKIP_2) | instid1(VALU_DEP_2)
	v_cndmask_b32_e64 v186, v178, v181, s3
	v_cmp_gt_f64_e64 s3, 0, v[179:180]
	v_cndmask_b32_e32 v181, v160, v160, vcc_lo
	v_cndmask_b32_e64 v188, v180, v183, s3
	v_cndmask_b32_e64 v183, v162, v162, s2
	s_delay_alu instid0(VALU_DEP_2) | instskip(NEXT) | instid1(VALU_DEP_2)
	v_add_f64 v[185:186], v[185:186], v[187:188]
	v_add_f64 v[181:182], v[181:182], v[183:184]
	s_delay_alu instid0(VALU_DEP_1) | instskip(SKIP_4) | instid1(SALU_CYCLE_1)
	v_cmp_lt_f64_e32 vcc_lo, v[181:182], v[185:186]
	v_dual_cndmask_b32 v162, v162, v179 :: v_dual_cndmask_b32 v161, v161, v178
	v_dual_cndmask_b32 v160, v160, v177 :: v_dual_cndmask_b32 v163, v163, v180
	v_cndmask_b32_e64 v168, v168, s6, vcc_lo
	s_add_i32 s6, s6, 1
	s_cmp_lg_u32 s5, s6
	s_cbranch_scc1 .LBB78_127
.LBB78_128:
	s_set_inst_prefetch_distance 0x2
	s_waitcnt lgkmcnt(0)
	v_cmp_eq_f64_e32 vcc_lo, 0, v[160:161]
	v_cmp_eq_f64_e64 s2, 0, v[162:163]
	s_delay_alu instid0(VALU_DEP_1) | instskip(NEXT) | instid1(SALU_CYCLE_1)
	s_and_b32 s2, vcc_lo, s2
	s_and_saveexec_b32 s3, s2
	s_delay_alu instid0(SALU_CYCLE_1)
	s_xor_b32 s2, exec_lo, s3
; %bb.129:
	v_cmp_ne_u32_e32 vcc_lo, 0, v173
	v_cndmask_b32_e32 v173, 7, v173, vcc_lo
; %bb.130:
	s_and_not1_saveexec_b32 s3, s2
	s_cbranch_execz .LBB78_136
; %bb.131:
	v_cmp_gt_f64_e32 vcc_lo, 0, v[160:161]
	v_cmp_gt_f64_e64 s2, 0, v[162:163]
	v_xor_b32_e32 v169, 0x80000000, v161
	v_xor_b32_e32 v177, 0x80000000, v163
	s_delay_alu instid0(VALU_DEP_2) | instskip(NEXT) | instid1(VALU_DEP_2)
	v_cndmask_b32_e32 v178, v161, v169, vcc_lo
	v_cndmask_b32_e64 v180, v163, v177, s2
	v_cndmask_b32_e32 v177, v160, v160, vcc_lo
	v_cndmask_b32_e64 v179, v162, v162, s2
	s_mov_b32 s2, exec_lo
	s_delay_alu instid0(VALU_DEP_1)
	v_cmpx_ngt_f64_e32 v[177:178], v[179:180]
	s_xor_b32 s2, exec_lo, s2
	s_cbranch_execz .LBB78_133
; %bb.132:
	v_div_scale_f64 v[177:178], null, v[162:163], v[162:163], v[160:161]
	v_div_scale_f64 v[183:184], vcc_lo, v[160:161], v[162:163], v[160:161]
	s_delay_alu instid0(VALU_DEP_2) | instskip(SKIP_2) | instid1(VALU_DEP_1)
	v_rcp_f64_e32 v[179:180], v[177:178]
	s_waitcnt_depctr 0xfff
	v_fma_f64 v[181:182], -v[177:178], v[179:180], 1.0
	v_fma_f64 v[179:180], v[179:180], v[181:182], v[179:180]
	s_delay_alu instid0(VALU_DEP_1) | instskip(NEXT) | instid1(VALU_DEP_1)
	v_fma_f64 v[181:182], -v[177:178], v[179:180], 1.0
	v_fma_f64 v[179:180], v[179:180], v[181:182], v[179:180]
	s_delay_alu instid0(VALU_DEP_1) | instskip(NEXT) | instid1(VALU_DEP_1)
	v_mul_f64 v[181:182], v[183:184], v[179:180]
	v_fma_f64 v[177:178], -v[177:178], v[181:182], v[183:184]
	s_delay_alu instid0(VALU_DEP_1) | instskip(NEXT) | instid1(VALU_DEP_1)
	v_div_fmas_f64 v[177:178], v[177:178], v[179:180], v[181:182]
	v_div_fixup_f64 v[177:178], v[177:178], v[162:163], v[160:161]
	s_delay_alu instid0(VALU_DEP_1) | instskip(NEXT) | instid1(VALU_DEP_1)
	v_fma_f64 v[160:161], v[160:161], v[177:178], v[162:163]
	v_div_scale_f64 v[162:163], null, v[160:161], v[160:161], 1.0
	s_delay_alu instid0(VALU_DEP_1) | instskip(SKIP_2) | instid1(VALU_DEP_1)
	v_rcp_f64_e32 v[179:180], v[162:163]
	s_waitcnt_depctr 0xfff
	v_fma_f64 v[181:182], -v[162:163], v[179:180], 1.0
	v_fma_f64 v[179:180], v[179:180], v[181:182], v[179:180]
	s_delay_alu instid0(VALU_DEP_1) | instskip(NEXT) | instid1(VALU_DEP_1)
	v_fma_f64 v[181:182], -v[162:163], v[179:180], 1.0
	v_fma_f64 v[179:180], v[179:180], v[181:182], v[179:180]
	v_div_scale_f64 v[181:182], vcc_lo, 1.0, v[160:161], 1.0
	s_delay_alu instid0(VALU_DEP_1) | instskip(NEXT) | instid1(VALU_DEP_1)
	v_mul_f64 v[183:184], v[181:182], v[179:180]
	v_fma_f64 v[162:163], -v[162:163], v[183:184], v[181:182]
	s_delay_alu instid0(VALU_DEP_1) | instskip(NEXT) | instid1(VALU_DEP_1)
	v_div_fmas_f64 v[162:163], v[162:163], v[179:180], v[183:184]
	v_div_fixup_f64 v[162:163], v[162:163], v[160:161], 1.0
	s_delay_alu instid0(VALU_DEP_1)
	v_mul_f64 v[160:161], v[177:178], v[162:163]
	v_xor_b32_e32 v163, 0x80000000, v163
.LBB78_133:
	s_and_not1_saveexec_b32 s2, s2
	s_cbranch_execz .LBB78_135
; %bb.134:
	s_delay_alu instid0(VALU_DEP_1) | instskip(SKIP_1) | instid1(VALU_DEP_2)
	v_div_scale_f64 v[177:178], null, v[160:161], v[160:161], v[162:163]
	v_div_scale_f64 v[183:184], vcc_lo, v[162:163], v[160:161], v[162:163]
	v_rcp_f64_e32 v[179:180], v[177:178]
	s_waitcnt_depctr 0xfff
	v_fma_f64 v[181:182], -v[177:178], v[179:180], 1.0
	s_delay_alu instid0(VALU_DEP_1) | instskip(NEXT) | instid1(VALU_DEP_1)
	v_fma_f64 v[179:180], v[179:180], v[181:182], v[179:180]
	v_fma_f64 v[181:182], -v[177:178], v[179:180], 1.0
	s_delay_alu instid0(VALU_DEP_1) | instskip(NEXT) | instid1(VALU_DEP_1)
	v_fma_f64 v[179:180], v[179:180], v[181:182], v[179:180]
	v_mul_f64 v[181:182], v[183:184], v[179:180]
	s_delay_alu instid0(VALU_DEP_1) | instskip(NEXT) | instid1(VALU_DEP_1)
	v_fma_f64 v[177:178], -v[177:178], v[181:182], v[183:184]
	v_div_fmas_f64 v[177:178], v[177:178], v[179:180], v[181:182]
	s_delay_alu instid0(VALU_DEP_1) | instskip(NEXT) | instid1(VALU_DEP_1)
	v_div_fixup_f64 v[177:178], v[177:178], v[160:161], v[162:163]
	v_fma_f64 v[160:161], v[162:163], v[177:178], v[160:161]
	s_delay_alu instid0(VALU_DEP_1) | instskip(NEXT) | instid1(VALU_DEP_1)
	v_div_scale_f64 v[162:163], null, v[160:161], v[160:161], 1.0
	v_rcp_f64_e32 v[179:180], v[162:163]
	s_waitcnt_depctr 0xfff
	v_fma_f64 v[181:182], -v[162:163], v[179:180], 1.0
	s_delay_alu instid0(VALU_DEP_1) | instskip(NEXT) | instid1(VALU_DEP_1)
	v_fma_f64 v[179:180], v[179:180], v[181:182], v[179:180]
	v_fma_f64 v[181:182], -v[162:163], v[179:180], 1.0
	s_delay_alu instid0(VALU_DEP_1) | instskip(SKIP_1) | instid1(VALU_DEP_1)
	v_fma_f64 v[179:180], v[179:180], v[181:182], v[179:180]
	v_div_scale_f64 v[181:182], vcc_lo, 1.0, v[160:161], 1.0
	v_mul_f64 v[183:184], v[181:182], v[179:180]
	s_delay_alu instid0(VALU_DEP_1) | instskip(NEXT) | instid1(VALU_DEP_1)
	v_fma_f64 v[162:163], -v[162:163], v[183:184], v[181:182]
	v_div_fmas_f64 v[162:163], v[162:163], v[179:180], v[183:184]
	s_delay_alu instid0(VALU_DEP_1) | instskip(NEXT) | instid1(VALU_DEP_1)
	v_div_fixup_f64 v[160:161], v[162:163], v[160:161], 1.0
	v_mul_f64 v[162:163], v[177:178], -v[160:161]
.LBB78_135:
	s_or_b32 exec_lo, exec_lo, s2
.LBB78_136:
	s_delay_alu instid0(SALU_CYCLE_1) | instskip(NEXT) | instid1(SALU_CYCLE_1)
	s_or_b32 exec_lo, exec_lo, s3
	s_mov_b32 s2, exec_lo
	v_cmpx_ne_u32_e64 v176, v168
	s_xor_b32 s2, exec_lo, s2
	s_cbranch_execz .LBB78_142
; %bb.137:
	s_mov_b32 s3, exec_lo
	v_cmpx_eq_u32_e32 6, v176
	s_cbranch_execz .LBB78_141
; %bb.138:
	v_cmp_ne_u32_e32 vcc_lo, 6, v168
	s_xor_b32 s6, s4, -1
	s_delay_alu instid0(SALU_CYCLE_1) | instskip(NEXT) | instid1(SALU_CYCLE_1)
	s_and_b32 s7, s6, vcc_lo
	s_and_saveexec_b32 s6, s7
	s_cbranch_execz .LBB78_140
; %bb.139:
	v_ashrrev_i32_e32 v169, 31, v168
	s_delay_alu instid0(VALU_DEP_1) | instskip(NEXT) | instid1(VALU_DEP_1)
	v_lshlrev_b64 v[175:176], 2, v[168:169]
	v_add_co_u32 v175, vcc_lo, v166, v175
	s_delay_alu instid0(VALU_DEP_2)
	v_add_co_ci_u32_e32 v176, vcc_lo, v167, v176, vcc_lo
	s_clause 0x1
	flat_load_b32 v169, v[175:176]
	flat_load_b32 v177, v[166:167] offset:24
	s_waitcnt vmcnt(1) lgkmcnt(1)
	flat_store_b32 v[166:167], v169 offset:24
	s_waitcnt vmcnt(0) lgkmcnt(1)
	flat_store_b32 v[175:176], v177
.LBB78_140:
	s_or_b32 exec_lo, exec_lo, s6
	v_mov_b32_e32 v176, v168
	v_mov_b32_e32 v175, v168
.LBB78_141:
	s_or_b32 exec_lo, exec_lo, s3
.LBB78_142:
	s_and_not1_saveexec_b32 s2, s2
	s_cbranch_execz .LBB78_144
; %bb.143:
	v_mov_b32_e32 v176, 6
	ds_store_2addr_b64 v170, v[136:137], v[138:139] offset0:14 offset1:15
	ds_store_2addr_b64 v170, v[132:133], v[134:135] offset0:16 offset1:17
	ds_store_2addr_b64 v170, v[128:129], v[130:131] offset0:18 offset1:19
	ds_store_2addr_b64 v170, v[124:125], v[126:127] offset0:20 offset1:21
	ds_store_2addr_b64 v170, v[120:121], v[122:123] offset0:22 offset1:23
	ds_store_2addr_b64 v170, v[116:117], v[118:119] offset0:24 offset1:25
	ds_store_2addr_b64 v170, v[112:113], v[114:115] offset0:26 offset1:27
	ds_store_2addr_b64 v170, v[108:109], v[110:111] offset0:28 offset1:29
	ds_store_2addr_b64 v170, v[104:105], v[106:107] offset0:30 offset1:31
	ds_store_2addr_b64 v170, v[100:101], v[102:103] offset0:32 offset1:33
	ds_store_2addr_b64 v170, v[96:97], v[98:99] offset0:34 offset1:35
	ds_store_2addr_b64 v170, v[92:93], v[94:95] offset0:36 offset1:37
	ds_store_2addr_b64 v170, v[88:89], v[90:91] offset0:38 offset1:39
	ds_store_2addr_b64 v170, v[84:85], v[86:87] offset0:40 offset1:41
	ds_store_2addr_b64 v170, v[80:81], v[82:83] offset0:42 offset1:43
	ds_store_2addr_b64 v170, v[76:77], v[78:79] offset0:44 offset1:45
	ds_store_2addr_b64 v170, v[72:73], v[74:75] offset0:46 offset1:47
	ds_store_2addr_b64 v170, v[68:69], v[70:71] offset0:48 offset1:49
	ds_store_2addr_b64 v170, v[64:65], v[66:67] offset0:50 offset1:51
	ds_store_2addr_b64 v170, v[60:61], v[62:63] offset0:52 offset1:53
	ds_store_2addr_b64 v170, v[56:57], v[58:59] offset0:54 offset1:55
	ds_store_2addr_b64 v170, v[44:45], v[46:47] offset0:56 offset1:57
	ds_store_2addr_b64 v170, v[40:41], v[42:43] offset0:58 offset1:59
	ds_store_2addr_b64 v170, v[36:37], v[38:39] offset0:60 offset1:61
	ds_store_2addr_b64 v170, v[32:33], v[34:35] offset0:62 offset1:63
	ds_store_2addr_b64 v170, v[28:29], v[30:31] offset0:64 offset1:65
	ds_store_2addr_b64 v170, v[24:25], v[26:27] offset0:66 offset1:67
	ds_store_2addr_b64 v170, v[20:21], v[22:23] offset0:68 offset1:69
	ds_store_2addr_b64 v170, v[16:17], v[18:19] offset0:70 offset1:71
	ds_store_2addr_b64 v170, v[12:13], v[14:15] offset0:72 offset1:73
	ds_store_2addr_b64 v170, v[8:9], v[10:11] offset0:74 offset1:75
	ds_store_2addr_b64 v170, v[4:5], v[6:7] offset0:76 offset1:77
	ds_store_2addr_b64 v170, v[0:1], v[2:3] offset0:78 offset1:79
.LBB78_144:
	s_or_b32 exec_lo, exec_lo, s2
	s_delay_alu instid0(SALU_CYCLE_1)
	s_mov_b32 s2, exec_lo
	s_waitcnt lgkmcnt(0)
	s_waitcnt_vscnt null, 0x0
	s_barrier
	buffer_gl0_inv
	v_cmpx_lt_i32_e32 6, v176
	s_cbranch_execz .LBB78_146
; %bb.145:
	v_mul_f64 v[168:169], v[162:163], v[142:143]
	v_mul_f64 v[142:143], v[160:161], v[142:143]
	s_delay_alu instid0(VALU_DEP_2) | instskip(NEXT) | instid1(VALU_DEP_2)
	v_fma_f64 v[168:169], v[160:161], v[140:141], -v[168:169]
	v_fma_f64 v[142:143], v[162:163], v[140:141], v[142:143]
	ds_load_2addr_b64 v[160:163], v170 offset0:14 offset1:15
	s_waitcnt lgkmcnt(0)
	v_mul_f64 v[140:141], v[162:163], v[142:143]
	s_delay_alu instid0(VALU_DEP_1) | instskip(SKIP_1) | instid1(VALU_DEP_2)
	v_fma_f64 v[140:141], v[160:161], v[168:169], -v[140:141]
	v_mul_f64 v[160:161], v[160:161], v[142:143]
	v_add_f64 v[136:137], v[136:137], -v[140:141]
	s_delay_alu instid0(VALU_DEP_2) | instskip(NEXT) | instid1(VALU_DEP_1)
	v_fma_f64 v[160:161], v[162:163], v[168:169], v[160:161]
	v_add_f64 v[138:139], v[138:139], -v[160:161]
	ds_load_2addr_b64 v[160:163], v170 offset0:16 offset1:17
	s_waitcnt lgkmcnt(0)
	v_mul_f64 v[140:141], v[162:163], v[142:143]
	s_delay_alu instid0(VALU_DEP_1) | instskip(SKIP_1) | instid1(VALU_DEP_2)
	v_fma_f64 v[140:141], v[160:161], v[168:169], -v[140:141]
	v_mul_f64 v[160:161], v[160:161], v[142:143]
	v_add_f64 v[132:133], v[132:133], -v[140:141]
	s_delay_alu instid0(VALU_DEP_2) | instskip(NEXT) | instid1(VALU_DEP_1)
	v_fma_f64 v[160:161], v[162:163], v[168:169], v[160:161]
	v_add_f64 v[134:135], v[134:135], -v[160:161]
	;; [unrolled: 10-line block ×32, first 2 shown]
	ds_load_2addr_b64 v[160:163], v170 offset0:78 offset1:79
	s_waitcnt lgkmcnt(0)
	v_mul_f64 v[140:141], v[162:163], v[142:143]
	s_delay_alu instid0(VALU_DEP_1) | instskip(SKIP_1) | instid1(VALU_DEP_2)
	v_fma_f64 v[140:141], v[160:161], v[168:169], -v[140:141]
	v_mul_f64 v[160:161], v[160:161], v[142:143]
	v_add_f64 v[0:1], v[0:1], -v[140:141]
	s_delay_alu instid0(VALU_DEP_2) | instskip(SKIP_1) | instid1(VALU_DEP_2)
	v_fma_f64 v[160:161], v[162:163], v[168:169], v[160:161]
	v_dual_mov_b32 v140, v168 :: v_dual_mov_b32 v141, v169
	v_add_f64 v[2:3], v[2:3], -v[160:161]
.LBB78_146:
	s_or_b32 exec_lo, exec_lo, s2
	v_lshl_add_u32 v160, v176, 4, v170
	s_barrier
	buffer_gl0_inv
	v_mov_b32_e32 v168, 7
	ds_store_2addr_b64 v160, v[136:137], v[138:139] offset1:1
	s_waitcnt lgkmcnt(0)
	s_barrier
	buffer_gl0_inv
	ds_load_2addr_b64 v[160:163], v170 offset0:14 offset1:15
	s_cmp_lt_i32 s5, 9
	s_cbranch_scc1 .LBB78_149
; %bb.147:
	v_add3_u32 v169, v174, 0, 0x80
	v_mov_b32_e32 v168, 7
	s_mov_b32 s6, 8
	s_set_inst_prefetch_distance 0x1
	.p2align	6
.LBB78_148:                             ; =>This Inner Loop Header: Depth=1
	ds_load_2addr_b64 v[177:180], v169 offset1:1
	s_waitcnt lgkmcnt(1)
	v_cmp_gt_f64_e32 vcc_lo, 0, v[160:161]
	v_xor_b32_e32 v181, 0x80000000, v161
	v_cmp_gt_f64_e64 s2, 0, v[162:163]
	v_xor_b32_e32 v183, 0x80000000, v163
	v_add_nc_u32_e32 v169, 16, v169
	s_waitcnt lgkmcnt(0)
	v_cmp_gt_f64_e64 s3, 0, v[177:178]
	v_mov_b32_e32 v185, v177
	v_dual_mov_b32 v187, v179 :: v_dual_cndmask_b32 v182, v161, v181
	v_xor_b32_e32 v181, 0x80000000, v178
	v_cndmask_b32_e64 v184, v163, v183, s2
	v_xor_b32_e32 v183, 0x80000000, v180
	s_delay_alu instid0(VALU_DEP_3) | instskip(SKIP_2) | instid1(VALU_DEP_2)
	v_cndmask_b32_e64 v186, v178, v181, s3
	v_cmp_gt_f64_e64 s3, 0, v[179:180]
	v_cndmask_b32_e32 v181, v160, v160, vcc_lo
	v_cndmask_b32_e64 v188, v180, v183, s3
	v_cndmask_b32_e64 v183, v162, v162, s2
	s_delay_alu instid0(VALU_DEP_2) | instskip(NEXT) | instid1(VALU_DEP_2)
	v_add_f64 v[185:186], v[185:186], v[187:188]
	v_add_f64 v[181:182], v[181:182], v[183:184]
	s_delay_alu instid0(VALU_DEP_1) | instskip(SKIP_4) | instid1(SALU_CYCLE_1)
	v_cmp_lt_f64_e32 vcc_lo, v[181:182], v[185:186]
	v_dual_cndmask_b32 v162, v162, v179 :: v_dual_cndmask_b32 v161, v161, v178
	v_dual_cndmask_b32 v160, v160, v177 :: v_dual_cndmask_b32 v163, v163, v180
	v_cndmask_b32_e64 v168, v168, s6, vcc_lo
	s_add_i32 s6, s6, 1
	s_cmp_lg_u32 s5, s6
	s_cbranch_scc1 .LBB78_148
.LBB78_149:
	s_set_inst_prefetch_distance 0x2
	s_waitcnt lgkmcnt(0)
	v_cmp_eq_f64_e32 vcc_lo, 0, v[160:161]
	v_cmp_eq_f64_e64 s2, 0, v[162:163]
	s_delay_alu instid0(VALU_DEP_1) | instskip(NEXT) | instid1(SALU_CYCLE_1)
	s_and_b32 s2, vcc_lo, s2
	s_and_saveexec_b32 s3, s2
	s_delay_alu instid0(SALU_CYCLE_1)
	s_xor_b32 s2, exec_lo, s3
; %bb.150:
	v_cmp_ne_u32_e32 vcc_lo, 0, v173
	v_cndmask_b32_e32 v173, 8, v173, vcc_lo
; %bb.151:
	s_and_not1_saveexec_b32 s3, s2
	s_cbranch_execz .LBB78_157
; %bb.152:
	v_cmp_gt_f64_e32 vcc_lo, 0, v[160:161]
	v_cmp_gt_f64_e64 s2, 0, v[162:163]
	v_xor_b32_e32 v169, 0x80000000, v161
	v_xor_b32_e32 v177, 0x80000000, v163
	s_delay_alu instid0(VALU_DEP_2) | instskip(NEXT) | instid1(VALU_DEP_2)
	v_cndmask_b32_e32 v178, v161, v169, vcc_lo
	v_cndmask_b32_e64 v180, v163, v177, s2
	v_cndmask_b32_e32 v177, v160, v160, vcc_lo
	v_cndmask_b32_e64 v179, v162, v162, s2
	s_mov_b32 s2, exec_lo
	s_delay_alu instid0(VALU_DEP_1)
	v_cmpx_ngt_f64_e32 v[177:178], v[179:180]
	s_xor_b32 s2, exec_lo, s2
	s_cbranch_execz .LBB78_154
; %bb.153:
	v_div_scale_f64 v[177:178], null, v[162:163], v[162:163], v[160:161]
	v_div_scale_f64 v[183:184], vcc_lo, v[160:161], v[162:163], v[160:161]
	s_delay_alu instid0(VALU_DEP_2) | instskip(SKIP_2) | instid1(VALU_DEP_1)
	v_rcp_f64_e32 v[179:180], v[177:178]
	s_waitcnt_depctr 0xfff
	v_fma_f64 v[181:182], -v[177:178], v[179:180], 1.0
	v_fma_f64 v[179:180], v[179:180], v[181:182], v[179:180]
	s_delay_alu instid0(VALU_DEP_1) | instskip(NEXT) | instid1(VALU_DEP_1)
	v_fma_f64 v[181:182], -v[177:178], v[179:180], 1.0
	v_fma_f64 v[179:180], v[179:180], v[181:182], v[179:180]
	s_delay_alu instid0(VALU_DEP_1) | instskip(NEXT) | instid1(VALU_DEP_1)
	v_mul_f64 v[181:182], v[183:184], v[179:180]
	v_fma_f64 v[177:178], -v[177:178], v[181:182], v[183:184]
	s_delay_alu instid0(VALU_DEP_1) | instskip(NEXT) | instid1(VALU_DEP_1)
	v_div_fmas_f64 v[177:178], v[177:178], v[179:180], v[181:182]
	v_div_fixup_f64 v[177:178], v[177:178], v[162:163], v[160:161]
	s_delay_alu instid0(VALU_DEP_1) | instskip(NEXT) | instid1(VALU_DEP_1)
	v_fma_f64 v[160:161], v[160:161], v[177:178], v[162:163]
	v_div_scale_f64 v[162:163], null, v[160:161], v[160:161], 1.0
	s_delay_alu instid0(VALU_DEP_1) | instskip(SKIP_2) | instid1(VALU_DEP_1)
	v_rcp_f64_e32 v[179:180], v[162:163]
	s_waitcnt_depctr 0xfff
	v_fma_f64 v[181:182], -v[162:163], v[179:180], 1.0
	v_fma_f64 v[179:180], v[179:180], v[181:182], v[179:180]
	s_delay_alu instid0(VALU_DEP_1) | instskip(NEXT) | instid1(VALU_DEP_1)
	v_fma_f64 v[181:182], -v[162:163], v[179:180], 1.0
	v_fma_f64 v[179:180], v[179:180], v[181:182], v[179:180]
	v_div_scale_f64 v[181:182], vcc_lo, 1.0, v[160:161], 1.0
	s_delay_alu instid0(VALU_DEP_1) | instskip(NEXT) | instid1(VALU_DEP_1)
	v_mul_f64 v[183:184], v[181:182], v[179:180]
	v_fma_f64 v[162:163], -v[162:163], v[183:184], v[181:182]
	s_delay_alu instid0(VALU_DEP_1) | instskip(NEXT) | instid1(VALU_DEP_1)
	v_div_fmas_f64 v[162:163], v[162:163], v[179:180], v[183:184]
	v_div_fixup_f64 v[162:163], v[162:163], v[160:161], 1.0
	s_delay_alu instid0(VALU_DEP_1)
	v_mul_f64 v[160:161], v[177:178], v[162:163]
	v_xor_b32_e32 v163, 0x80000000, v163
.LBB78_154:
	s_and_not1_saveexec_b32 s2, s2
	s_cbranch_execz .LBB78_156
; %bb.155:
	s_delay_alu instid0(VALU_DEP_1) | instskip(SKIP_1) | instid1(VALU_DEP_2)
	v_div_scale_f64 v[177:178], null, v[160:161], v[160:161], v[162:163]
	v_div_scale_f64 v[183:184], vcc_lo, v[162:163], v[160:161], v[162:163]
	v_rcp_f64_e32 v[179:180], v[177:178]
	s_waitcnt_depctr 0xfff
	v_fma_f64 v[181:182], -v[177:178], v[179:180], 1.0
	s_delay_alu instid0(VALU_DEP_1) | instskip(NEXT) | instid1(VALU_DEP_1)
	v_fma_f64 v[179:180], v[179:180], v[181:182], v[179:180]
	v_fma_f64 v[181:182], -v[177:178], v[179:180], 1.0
	s_delay_alu instid0(VALU_DEP_1) | instskip(NEXT) | instid1(VALU_DEP_1)
	v_fma_f64 v[179:180], v[179:180], v[181:182], v[179:180]
	v_mul_f64 v[181:182], v[183:184], v[179:180]
	s_delay_alu instid0(VALU_DEP_1) | instskip(NEXT) | instid1(VALU_DEP_1)
	v_fma_f64 v[177:178], -v[177:178], v[181:182], v[183:184]
	v_div_fmas_f64 v[177:178], v[177:178], v[179:180], v[181:182]
	s_delay_alu instid0(VALU_DEP_1) | instskip(NEXT) | instid1(VALU_DEP_1)
	v_div_fixup_f64 v[177:178], v[177:178], v[160:161], v[162:163]
	v_fma_f64 v[160:161], v[162:163], v[177:178], v[160:161]
	s_delay_alu instid0(VALU_DEP_1) | instskip(NEXT) | instid1(VALU_DEP_1)
	v_div_scale_f64 v[162:163], null, v[160:161], v[160:161], 1.0
	v_rcp_f64_e32 v[179:180], v[162:163]
	s_waitcnt_depctr 0xfff
	v_fma_f64 v[181:182], -v[162:163], v[179:180], 1.0
	s_delay_alu instid0(VALU_DEP_1) | instskip(NEXT) | instid1(VALU_DEP_1)
	v_fma_f64 v[179:180], v[179:180], v[181:182], v[179:180]
	v_fma_f64 v[181:182], -v[162:163], v[179:180], 1.0
	s_delay_alu instid0(VALU_DEP_1) | instskip(SKIP_1) | instid1(VALU_DEP_1)
	v_fma_f64 v[179:180], v[179:180], v[181:182], v[179:180]
	v_div_scale_f64 v[181:182], vcc_lo, 1.0, v[160:161], 1.0
	v_mul_f64 v[183:184], v[181:182], v[179:180]
	s_delay_alu instid0(VALU_DEP_1) | instskip(NEXT) | instid1(VALU_DEP_1)
	v_fma_f64 v[162:163], -v[162:163], v[183:184], v[181:182]
	v_div_fmas_f64 v[162:163], v[162:163], v[179:180], v[183:184]
	s_delay_alu instid0(VALU_DEP_1) | instskip(NEXT) | instid1(VALU_DEP_1)
	v_div_fixup_f64 v[160:161], v[162:163], v[160:161], 1.0
	v_mul_f64 v[162:163], v[177:178], -v[160:161]
.LBB78_156:
	s_or_b32 exec_lo, exec_lo, s2
.LBB78_157:
	s_delay_alu instid0(SALU_CYCLE_1) | instskip(NEXT) | instid1(SALU_CYCLE_1)
	s_or_b32 exec_lo, exec_lo, s3
	s_mov_b32 s2, exec_lo
	v_cmpx_ne_u32_e64 v176, v168
	s_xor_b32 s2, exec_lo, s2
	s_cbranch_execz .LBB78_163
; %bb.158:
	s_mov_b32 s3, exec_lo
	v_cmpx_eq_u32_e32 7, v176
	s_cbranch_execz .LBB78_162
; %bb.159:
	v_cmp_ne_u32_e32 vcc_lo, 7, v168
	s_xor_b32 s6, s4, -1
	s_delay_alu instid0(SALU_CYCLE_1) | instskip(NEXT) | instid1(SALU_CYCLE_1)
	s_and_b32 s7, s6, vcc_lo
	s_and_saveexec_b32 s6, s7
	s_cbranch_execz .LBB78_161
; %bb.160:
	v_ashrrev_i32_e32 v169, 31, v168
	s_delay_alu instid0(VALU_DEP_1) | instskip(NEXT) | instid1(VALU_DEP_1)
	v_lshlrev_b64 v[175:176], 2, v[168:169]
	v_add_co_u32 v175, vcc_lo, v166, v175
	s_delay_alu instid0(VALU_DEP_2)
	v_add_co_ci_u32_e32 v176, vcc_lo, v167, v176, vcc_lo
	s_clause 0x1
	flat_load_b32 v169, v[175:176]
	flat_load_b32 v177, v[166:167] offset:28
	s_waitcnt vmcnt(1) lgkmcnt(1)
	flat_store_b32 v[166:167], v169 offset:28
	s_waitcnt vmcnt(0) lgkmcnt(1)
	flat_store_b32 v[175:176], v177
.LBB78_161:
	s_or_b32 exec_lo, exec_lo, s6
	v_mov_b32_e32 v176, v168
	v_mov_b32_e32 v175, v168
.LBB78_162:
	s_or_b32 exec_lo, exec_lo, s3
.LBB78_163:
	s_and_not1_saveexec_b32 s2, s2
	s_cbranch_execz .LBB78_165
; %bb.164:
	v_mov_b32_e32 v176, 7
	ds_store_2addr_b64 v170, v[132:133], v[134:135] offset0:16 offset1:17
	ds_store_2addr_b64 v170, v[128:129], v[130:131] offset0:18 offset1:19
	;; [unrolled: 1-line block ×32, first 2 shown]
.LBB78_165:
	s_or_b32 exec_lo, exec_lo, s2
	s_delay_alu instid0(SALU_CYCLE_1)
	s_mov_b32 s2, exec_lo
	s_waitcnt lgkmcnt(0)
	s_waitcnt_vscnt null, 0x0
	s_barrier
	buffer_gl0_inv
	v_cmpx_lt_i32_e32 7, v176
	s_cbranch_execz .LBB78_167
; %bb.166:
	v_mul_f64 v[168:169], v[162:163], v[138:139]
	v_mul_f64 v[138:139], v[160:161], v[138:139]
	s_delay_alu instid0(VALU_DEP_2) | instskip(NEXT) | instid1(VALU_DEP_2)
	v_fma_f64 v[168:169], v[160:161], v[136:137], -v[168:169]
	v_fma_f64 v[138:139], v[162:163], v[136:137], v[138:139]
	ds_load_2addr_b64 v[160:163], v170 offset0:16 offset1:17
	s_waitcnt lgkmcnt(0)
	v_mul_f64 v[136:137], v[162:163], v[138:139]
	s_delay_alu instid0(VALU_DEP_1) | instskip(SKIP_1) | instid1(VALU_DEP_2)
	v_fma_f64 v[136:137], v[160:161], v[168:169], -v[136:137]
	v_mul_f64 v[160:161], v[160:161], v[138:139]
	v_add_f64 v[132:133], v[132:133], -v[136:137]
	s_delay_alu instid0(VALU_DEP_2) | instskip(NEXT) | instid1(VALU_DEP_1)
	v_fma_f64 v[160:161], v[162:163], v[168:169], v[160:161]
	v_add_f64 v[134:135], v[134:135], -v[160:161]
	ds_load_2addr_b64 v[160:163], v170 offset0:18 offset1:19
	s_waitcnt lgkmcnt(0)
	v_mul_f64 v[136:137], v[162:163], v[138:139]
	s_delay_alu instid0(VALU_DEP_1) | instskip(SKIP_1) | instid1(VALU_DEP_2)
	v_fma_f64 v[136:137], v[160:161], v[168:169], -v[136:137]
	v_mul_f64 v[160:161], v[160:161], v[138:139]
	v_add_f64 v[128:129], v[128:129], -v[136:137]
	s_delay_alu instid0(VALU_DEP_2) | instskip(NEXT) | instid1(VALU_DEP_1)
	v_fma_f64 v[160:161], v[162:163], v[168:169], v[160:161]
	v_add_f64 v[130:131], v[130:131], -v[160:161]
	;; [unrolled: 10-line block ×31, first 2 shown]
	ds_load_2addr_b64 v[160:163], v170 offset0:78 offset1:79
	s_waitcnt lgkmcnt(0)
	v_mul_f64 v[136:137], v[162:163], v[138:139]
	s_delay_alu instid0(VALU_DEP_1) | instskip(SKIP_1) | instid1(VALU_DEP_2)
	v_fma_f64 v[136:137], v[160:161], v[168:169], -v[136:137]
	v_mul_f64 v[160:161], v[160:161], v[138:139]
	v_add_f64 v[0:1], v[0:1], -v[136:137]
	s_delay_alu instid0(VALU_DEP_2) | instskip(SKIP_1) | instid1(VALU_DEP_2)
	v_fma_f64 v[160:161], v[162:163], v[168:169], v[160:161]
	v_dual_mov_b32 v136, v168 :: v_dual_mov_b32 v137, v169
	v_add_f64 v[2:3], v[2:3], -v[160:161]
.LBB78_167:
	s_or_b32 exec_lo, exec_lo, s2
	v_lshl_add_u32 v160, v176, 4, v170
	s_barrier
	buffer_gl0_inv
	v_mov_b32_e32 v168, 8
	ds_store_2addr_b64 v160, v[132:133], v[134:135] offset1:1
	s_waitcnt lgkmcnt(0)
	s_barrier
	buffer_gl0_inv
	ds_load_2addr_b64 v[160:163], v170 offset0:16 offset1:17
	s_cmp_lt_i32 s5, 10
	s_cbranch_scc1 .LBB78_170
; %bb.168:
	v_add3_u32 v169, v174, 0, 0x90
	v_mov_b32_e32 v168, 8
	s_mov_b32 s6, 9
	s_set_inst_prefetch_distance 0x1
	.p2align	6
.LBB78_169:                             ; =>This Inner Loop Header: Depth=1
	ds_load_2addr_b64 v[177:180], v169 offset1:1
	s_waitcnt lgkmcnt(1)
	v_cmp_gt_f64_e32 vcc_lo, 0, v[160:161]
	v_xor_b32_e32 v181, 0x80000000, v161
	v_cmp_gt_f64_e64 s2, 0, v[162:163]
	v_xor_b32_e32 v183, 0x80000000, v163
	v_add_nc_u32_e32 v169, 16, v169
	s_waitcnt lgkmcnt(0)
	v_cmp_gt_f64_e64 s3, 0, v[177:178]
	v_mov_b32_e32 v185, v177
	v_dual_mov_b32 v187, v179 :: v_dual_cndmask_b32 v182, v161, v181
	v_xor_b32_e32 v181, 0x80000000, v178
	v_cndmask_b32_e64 v184, v163, v183, s2
	v_xor_b32_e32 v183, 0x80000000, v180
	s_delay_alu instid0(VALU_DEP_3) | instskip(SKIP_2) | instid1(VALU_DEP_2)
	v_cndmask_b32_e64 v186, v178, v181, s3
	v_cmp_gt_f64_e64 s3, 0, v[179:180]
	v_cndmask_b32_e32 v181, v160, v160, vcc_lo
	v_cndmask_b32_e64 v188, v180, v183, s3
	v_cndmask_b32_e64 v183, v162, v162, s2
	s_delay_alu instid0(VALU_DEP_2) | instskip(NEXT) | instid1(VALU_DEP_2)
	v_add_f64 v[185:186], v[185:186], v[187:188]
	v_add_f64 v[181:182], v[181:182], v[183:184]
	s_delay_alu instid0(VALU_DEP_1) | instskip(SKIP_4) | instid1(SALU_CYCLE_1)
	v_cmp_lt_f64_e32 vcc_lo, v[181:182], v[185:186]
	v_dual_cndmask_b32 v162, v162, v179 :: v_dual_cndmask_b32 v161, v161, v178
	v_dual_cndmask_b32 v160, v160, v177 :: v_dual_cndmask_b32 v163, v163, v180
	v_cndmask_b32_e64 v168, v168, s6, vcc_lo
	s_add_i32 s6, s6, 1
	s_cmp_lg_u32 s5, s6
	s_cbranch_scc1 .LBB78_169
.LBB78_170:
	s_set_inst_prefetch_distance 0x2
	s_waitcnt lgkmcnt(0)
	v_cmp_eq_f64_e32 vcc_lo, 0, v[160:161]
	v_cmp_eq_f64_e64 s2, 0, v[162:163]
	s_delay_alu instid0(VALU_DEP_1) | instskip(NEXT) | instid1(SALU_CYCLE_1)
	s_and_b32 s2, vcc_lo, s2
	s_and_saveexec_b32 s3, s2
	s_delay_alu instid0(SALU_CYCLE_1)
	s_xor_b32 s2, exec_lo, s3
; %bb.171:
	v_cmp_ne_u32_e32 vcc_lo, 0, v173
	v_cndmask_b32_e32 v173, 9, v173, vcc_lo
; %bb.172:
	s_and_not1_saveexec_b32 s3, s2
	s_cbranch_execz .LBB78_178
; %bb.173:
	v_cmp_gt_f64_e32 vcc_lo, 0, v[160:161]
	v_cmp_gt_f64_e64 s2, 0, v[162:163]
	v_xor_b32_e32 v169, 0x80000000, v161
	v_xor_b32_e32 v177, 0x80000000, v163
	s_delay_alu instid0(VALU_DEP_2) | instskip(NEXT) | instid1(VALU_DEP_2)
	v_cndmask_b32_e32 v178, v161, v169, vcc_lo
	v_cndmask_b32_e64 v180, v163, v177, s2
	v_cndmask_b32_e32 v177, v160, v160, vcc_lo
	v_cndmask_b32_e64 v179, v162, v162, s2
	s_mov_b32 s2, exec_lo
	s_delay_alu instid0(VALU_DEP_1)
	v_cmpx_ngt_f64_e32 v[177:178], v[179:180]
	s_xor_b32 s2, exec_lo, s2
	s_cbranch_execz .LBB78_175
; %bb.174:
	v_div_scale_f64 v[177:178], null, v[162:163], v[162:163], v[160:161]
	v_div_scale_f64 v[183:184], vcc_lo, v[160:161], v[162:163], v[160:161]
	s_delay_alu instid0(VALU_DEP_2) | instskip(SKIP_2) | instid1(VALU_DEP_1)
	v_rcp_f64_e32 v[179:180], v[177:178]
	s_waitcnt_depctr 0xfff
	v_fma_f64 v[181:182], -v[177:178], v[179:180], 1.0
	v_fma_f64 v[179:180], v[179:180], v[181:182], v[179:180]
	s_delay_alu instid0(VALU_DEP_1) | instskip(NEXT) | instid1(VALU_DEP_1)
	v_fma_f64 v[181:182], -v[177:178], v[179:180], 1.0
	v_fma_f64 v[179:180], v[179:180], v[181:182], v[179:180]
	s_delay_alu instid0(VALU_DEP_1) | instskip(NEXT) | instid1(VALU_DEP_1)
	v_mul_f64 v[181:182], v[183:184], v[179:180]
	v_fma_f64 v[177:178], -v[177:178], v[181:182], v[183:184]
	s_delay_alu instid0(VALU_DEP_1) | instskip(NEXT) | instid1(VALU_DEP_1)
	v_div_fmas_f64 v[177:178], v[177:178], v[179:180], v[181:182]
	v_div_fixup_f64 v[177:178], v[177:178], v[162:163], v[160:161]
	s_delay_alu instid0(VALU_DEP_1) | instskip(NEXT) | instid1(VALU_DEP_1)
	v_fma_f64 v[160:161], v[160:161], v[177:178], v[162:163]
	v_div_scale_f64 v[162:163], null, v[160:161], v[160:161], 1.0
	s_delay_alu instid0(VALU_DEP_1) | instskip(SKIP_2) | instid1(VALU_DEP_1)
	v_rcp_f64_e32 v[179:180], v[162:163]
	s_waitcnt_depctr 0xfff
	v_fma_f64 v[181:182], -v[162:163], v[179:180], 1.0
	v_fma_f64 v[179:180], v[179:180], v[181:182], v[179:180]
	s_delay_alu instid0(VALU_DEP_1) | instskip(NEXT) | instid1(VALU_DEP_1)
	v_fma_f64 v[181:182], -v[162:163], v[179:180], 1.0
	v_fma_f64 v[179:180], v[179:180], v[181:182], v[179:180]
	v_div_scale_f64 v[181:182], vcc_lo, 1.0, v[160:161], 1.0
	s_delay_alu instid0(VALU_DEP_1) | instskip(NEXT) | instid1(VALU_DEP_1)
	v_mul_f64 v[183:184], v[181:182], v[179:180]
	v_fma_f64 v[162:163], -v[162:163], v[183:184], v[181:182]
	s_delay_alu instid0(VALU_DEP_1) | instskip(NEXT) | instid1(VALU_DEP_1)
	v_div_fmas_f64 v[162:163], v[162:163], v[179:180], v[183:184]
	v_div_fixup_f64 v[162:163], v[162:163], v[160:161], 1.0
	s_delay_alu instid0(VALU_DEP_1)
	v_mul_f64 v[160:161], v[177:178], v[162:163]
	v_xor_b32_e32 v163, 0x80000000, v163
.LBB78_175:
	s_and_not1_saveexec_b32 s2, s2
	s_cbranch_execz .LBB78_177
; %bb.176:
	s_delay_alu instid0(VALU_DEP_1) | instskip(SKIP_1) | instid1(VALU_DEP_2)
	v_div_scale_f64 v[177:178], null, v[160:161], v[160:161], v[162:163]
	v_div_scale_f64 v[183:184], vcc_lo, v[162:163], v[160:161], v[162:163]
	v_rcp_f64_e32 v[179:180], v[177:178]
	s_waitcnt_depctr 0xfff
	v_fma_f64 v[181:182], -v[177:178], v[179:180], 1.0
	s_delay_alu instid0(VALU_DEP_1) | instskip(NEXT) | instid1(VALU_DEP_1)
	v_fma_f64 v[179:180], v[179:180], v[181:182], v[179:180]
	v_fma_f64 v[181:182], -v[177:178], v[179:180], 1.0
	s_delay_alu instid0(VALU_DEP_1) | instskip(NEXT) | instid1(VALU_DEP_1)
	v_fma_f64 v[179:180], v[179:180], v[181:182], v[179:180]
	v_mul_f64 v[181:182], v[183:184], v[179:180]
	s_delay_alu instid0(VALU_DEP_1) | instskip(NEXT) | instid1(VALU_DEP_1)
	v_fma_f64 v[177:178], -v[177:178], v[181:182], v[183:184]
	v_div_fmas_f64 v[177:178], v[177:178], v[179:180], v[181:182]
	s_delay_alu instid0(VALU_DEP_1) | instskip(NEXT) | instid1(VALU_DEP_1)
	v_div_fixup_f64 v[177:178], v[177:178], v[160:161], v[162:163]
	v_fma_f64 v[160:161], v[162:163], v[177:178], v[160:161]
	s_delay_alu instid0(VALU_DEP_1) | instskip(NEXT) | instid1(VALU_DEP_1)
	v_div_scale_f64 v[162:163], null, v[160:161], v[160:161], 1.0
	v_rcp_f64_e32 v[179:180], v[162:163]
	s_waitcnt_depctr 0xfff
	v_fma_f64 v[181:182], -v[162:163], v[179:180], 1.0
	s_delay_alu instid0(VALU_DEP_1) | instskip(NEXT) | instid1(VALU_DEP_1)
	v_fma_f64 v[179:180], v[179:180], v[181:182], v[179:180]
	v_fma_f64 v[181:182], -v[162:163], v[179:180], 1.0
	s_delay_alu instid0(VALU_DEP_1) | instskip(SKIP_1) | instid1(VALU_DEP_1)
	v_fma_f64 v[179:180], v[179:180], v[181:182], v[179:180]
	v_div_scale_f64 v[181:182], vcc_lo, 1.0, v[160:161], 1.0
	v_mul_f64 v[183:184], v[181:182], v[179:180]
	s_delay_alu instid0(VALU_DEP_1) | instskip(NEXT) | instid1(VALU_DEP_1)
	v_fma_f64 v[162:163], -v[162:163], v[183:184], v[181:182]
	v_div_fmas_f64 v[162:163], v[162:163], v[179:180], v[183:184]
	s_delay_alu instid0(VALU_DEP_1) | instskip(NEXT) | instid1(VALU_DEP_1)
	v_div_fixup_f64 v[160:161], v[162:163], v[160:161], 1.0
	v_mul_f64 v[162:163], v[177:178], -v[160:161]
.LBB78_177:
	s_or_b32 exec_lo, exec_lo, s2
.LBB78_178:
	s_delay_alu instid0(SALU_CYCLE_1) | instskip(NEXT) | instid1(SALU_CYCLE_1)
	s_or_b32 exec_lo, exec_lo, s3
	s_mov_b32 s2, exec_lo
	v_cmpx_ne_u32_e64 v176, v168
	s_xor_b32 s2, exec_lo, s2
	s_cbranch_execz .LBB78_184
; %bb.179:
	s_mov_b32 s3, exec_lo
	v_cmpx_eq_u32_e32 8, v176
	s_cbranch_execz .LBB78_183
; %bb.180:
	v_cmp_ne_u32_e32 vcc_lo, 8, v168
	s_xor_b32 s6, s4, -1
	s_delay_alu instid0(SALU_CYCLE_1) | instskip(NEXT) | instid1(SALU_CYCLE_1)
	s_and_b32 s7, s6, vcc_lo
	s_and_saveexec_b32 s6, s7
	s_cbranch_execz .LBB78_182
; %bb.181:
	v_ashrrev_i32_e32 v169, 31, v168
	s_delay_alu instid0(VALU_DEP_1) | instskip(NEXT) | instid1(VALU_DEP_1)
	v_lshlrev_b64 v[175:176], 2, v[168:169]
	v_add_co_u32 v175, vcc_lo, v166, v175
	s_delay_alu instid0(VALU_DEP_2)
	v_add_co_ci_u32_e32 v176, vcc_lo, v167, v176, vcc_lo
	s_clause 0x1
	flat_load_b32 v169, v[175:176]
	flat_load_b32 v177, v[166:167] offset:32
	s_waitcnt vmcnt(1) lgkmcnt(1)
	flat_store_b32 v[166:167], v169 offset:32
	s_waitcnt vmcnt(0) lgkmcnt(1)
	flat_store_b32 v[175:176], v177
.LBB78_182:
	s_or_b32 exec_lo, exec_lo, s6
	v_mov_b32_e32 v176, v168
	v_mov_b32_e32 v175, v168
.LBB78_183:
	s_or_b32 exec_lo, exec_lo, s3
.LBB78_184:
	s_and_not1_saveexec_b32 s2, s2
	s_cbranch_execz .LBB78_186
; %bb.185:
	v_mov_b32_e32 v176, 8
	ds_store_2addr_b64 v170, v[128:129], v[130:131] offset0:18 offset1:19
	ds_store_2addr_b64 v170, v[124:125], v[126:127] offset0:20 offset1:21
	ds_store_2addr_b64 v170, v[120:121], v[122:123] offset0:22 offset1:23
	ds_store_2addr_b64 v170, v[116:117], v[118:119] offset0:24 offset1:25
	ds_store_2addr_b64 v170, v[112:113], v[114:115] offset0:26 offset1:27
	ds_store_2addr_b64 v170, v[108:109], v[110:111] offset0:28 offset1:29
	ds_store_2addr_b64 v170, v[104:105], v[106:107] offset0:30 offset1:31
	ds_store_2addr_b64 v170, v[100:101], v[102:103] offset0:32 offset1:33
	ds_store_2addr_b64 v170, v[96:97], v[98:99] offset0:34 offset1:35
	ds_store_2addr_b64 v170, v[92:93], v[94:95] offset0:36 offset1:37
	ds_store_2addr_b64 v170, v[88:89], v[90:91] offset0:38 offset1:39
	ds_store_2addr_b64 v170, v[84:85], v[86:87] offset0:40 offset1:41
	ds_store_2addr_b64 v170, v[80:81], v[82:83] offset0:42 offset1:43
	ds_store_2addr_b64 v170, v[76:77], v[78:79] offset0:44 offset1:45
	ds_store_2addr_b64 v170, v[72:73], v[74:75] offset0:46 offset1:47
	ds_store_2addr_b64 v170, v[68:69], v[70:71] offset0:48 offset1:49
	ds_store_2addr_b64 v170, v[64:65], v[66:67] offset0:50 offset1:51
	ds_store_2addr_b64 v170, v[60:61], v[62:63] offset0:52 offset1:53
	ds_store_2addr_b64 v170, v[56:57], v[58:59] offset0:54 offset1:55
	ds_store_2addr_b64 v170, v[44:45], v[46:47] offset0:56 offset1:57
	ds_store_2addr_b64 v170, v[40:41], v[42:43] offset0:58 offset1:59
	ds_store_2addr_b64 v170, v[36:37], v[38:39] offset0:60 offset1:61
	ds_store_2addr_b64 v170, v[32:33], v[34:35] offset0:62 offset1:63
	ds_store_2addr_b64 v170, v[28:29], v[30:31] offset0:64 offset1:65
	ds_store_2addr_b64 v170, v[24:25], v[26:27] offset0:66 offset1:67
	ds_store_2addr_b64 v170, v[20:21], v[22:23] offset0:68 offset1:69
	ds_store_2addr_b64 v170, v[16:17], v[18:19] offset0:70 offset1:71
	ds_store_2addr_b64 v170, v[12:13], v[14:15] offset0:72 offset1:73
	ds_store_2addr_b64 v170, v[8:9], v[10:11] offset0:74 offset1:75
	ds_store_2addr_b64 v170, v[4:5], v[6:7] offset0:76 offset1:77
	ds_store_2addr_b64 v170, v[0:1], v[2:3] offset0:78 offset1:79
.LBB78_186:
	s_or_b32 exec_lo, exec_lo, s2
	s_delay_alu instid0(SALU_CYCLE_1)
	s_mov_b32 s2, exec_lo
	s_waitcnt lgkmcnt(0)
	s_waitcnt_vscnt null, 0x0
	s_barrier
	buffer_gl0_inv
	v_cmpx_lt_i32_e32 8, v176
	s_cbranch_execz .LBB78_188
; %bb.187:
	v_mul_f64 v[168:169], v[162:163], v[134:135]
	v_mul_f64 v[134:135], v[160:161], v[134:135]
	s_delay_alu instid0(VALU_DEP_2) | instskip(NEXT) | instid1(VALU_DEP_2)
	v_fma_f64 v[168:169], v[160:161], v[132:133], -v[168:169]
	v_fma_f64 v[134:135], v[162:163], v[132:133], v[134:135]
	ds_load_2addr_b64 v[160:163], v170 offset0:18 offset1:19
	s_waitcnt lgkmcnt(0)
	v_mul_f64 v[132:133], v[162:163], v[134:135]
	s_delay_alu instid0(VALU_DEP_1) | instskip(SKIP_1) | instid1(VALU_DEP_2)
	v_fma_f64 v[132:133], v[160:161], v[168:169], -v[132:133]
	v_mul_f64 v[160:161], v[160:161], v[134:135]
	v_add_f64 v[128:129], v[128:129], -v[132:133]
	s_delay_alu instid0(VALU_DEP_2) | instskip(NEXT) | instid1(VALU_DEP_1)
	v_fma_f64 v[160:161], v[162:163], v[168:169], v[160:161]
	v_add_f64 v[130:131], v[130:131], -v[160:161]
	ds_load_2addr_b64 v[160:163], v170 offset0:20 offset1:21
	s_waitcnt lgkmcnt(0)
	v_mul_f64 v[132:133], v[162:163], v[134:135]
	s_delay_alu instid0(VALU_DEP_1) | instskip(SKIP_1) | instid1(VALU_DEP_2)
	v_fma_f64 v[132:133], v[160:161], v[168:169], -v[132:133]
	v_mul_f64 v[160:161], v[160:161], v[134:135]
	v_add_f64 v[124:125], v[124:125], -v[132:133]
	s_delay_alu instid0(VALU_DEP_2) | instskip(NEXT) | instid1(VALU_DEP_1)
	v_fma_f64 v[160:161], v[162:163], v[168:169], v[160:161]
	v_add_f64 v[126:127], v[126:127], -v[160:161]
	;; [unrolled: 10-line block ×30, first 2 shown]
	ds_load_2addr_b64 v[160:163], v170 offset0:78 offset1:79
	s_waitcnt lgkmcnt(0)
	v_mul_f64 v[132:133], v[162:163], v[134:135]
	s_delay_alu instid0(VALU_DEP_1) | instskip(SKIP_1) | instid1(VALU_DEP_2)
	v_fma_f64 v[132:133], v[160:161], v[168:169], -v[132:133]
	v_mul_f64 v[160:161], v[160:161], v[134:135]
	v_add_f64 v[0:1], v[0:1], -v[132:133]
	s_delay_alu instid0(VALU_DEP_2) | instskip(SKIP_1) | instid1(VALU_DEP_2)
	v_fma_f64 v[160:161], v[162:163], v[168:169], v[160:161]
	v_dual_mov_b32 v132, v168 :: v_dual_mov_b32 v133, v169
	v_add_f64 v[2:3], v[2:3], -v[160:161]
.LBB78_188:
	s_or_b32 exec_lo, exec_lo, s2
	v_lshl_add_u32 v160, v176, 4, v170
	s_barrier
	buffer_gl0_inv
	v_mov_b32_e32 v168, 9
	ds_store_2addr_b64 v160, v[128:129], v[130:131] offset1:1
	s_waitcnt lgkmcnt(0)
	s_barrier
	buffer_gl0_inv
	ds_load_2addr_b64 v[160:163], v170 offset0:18 offset1:19
	s_cmp_lt_i32 s5, 11
	s_cbranch_scc1 .LBB78_191
; %bb.189:
	v_add3_u32 v169, v174, 0, 0xa0
	v_mov_b32_e32 v168, 9
	s_mov_b32 s6, 10
	s_set_inst_prefetch_distance 0x1
	.p2align	6
.LBB78_190:                             ; =>This Inner Loop Header: Depth=1
	ds_load_2addr_b64 v[177:180], v169 offset1:1
	s_waitcnt lgkmcnt(1)
	v_cmp_gt_f64_e32 vcc_lo, 0, v[160:161]
	v_xor_b32_e32 v181, 0x80000000, v161
	v_cmp_gt_f64_e64 s2, 0, v[162:163]
	v_xor_b32_e32 v183, 0x80000000, v163
	v_add_nc_u32_e32 v169, 16, v169
	s_waitcnt lgkmcnt(0)
	v_cmp_gt_f64_e64 s3, 0, v[177:178]
	v_mov_b32_e32 v185, v177
	v_dual_mov_b32 v187, v179 :: v_dual_cndmask_b32 v182, v161, v181
	v_xor_b32_e32 v181, 0x80000000, v178
	v_cndmask_b32_e64 v184, v163, v183, s2
	v_xor_b32_e32 v183, 0x80000000, v180
	s_delay_alu instid0(VALU_DEP_3) | instskip(SKIP_2) | instid1(VALU_DEP_2)
	v_cndmask_b32_e64 v186, v178, v181, s3
	v_cmp_gt_f64_e64 s3, 0, v[179:180]
	v_cndmask_b32_e32 v181, v160, v160, vcc_lo
	v_cndmask_b32_e64 v188, v180, v183, s3
	v_cndmask_b32_e64 v183, v162, v162, s2
	s_delay_alu instid0(VALU_DEP_2) | instskip(NEXT) | instid1(VALU_DEP_2)
	v_add_f64 v[185:186], v[185:186], v[187:188]
	v_add_f64 v[181:182], v[181:182], v[183:184]
	s_delay_alu instid0(VALU_DEP_1) | instskip(SKIP_4) | instid1(SALU_CYCLE_1)
	v_cmp_lt_f64_e32 vcc_lo, v[181:182], v[185:186]
	v_dual_cndmask_b32 v162, v162, v179 :: v_dual_cndmask_b32 v161, v161, v178
	v_dual_cndmask_b32 v160, v160, v177 :: v_dual_cndmask_b32 v163, v163, v180
	v_cndmask_b32_e64 v168, v168, s6, vcc_lo
	s_add_i32 s6, s6, 1
	s_cmp_lg_u32 s5, s6
	s_cbranch_scc1 .LBB78_190
.LBB78_191:
	s_set_inst_prefetch_distance 0x2
	s_waitcnt lgkmcnt(0)
	v_cmp_eq_f64_e32 vcc_lo, 0, v[160:161]
	v_cmp_eq_f64_e64 s2, 0, v[162:163]
	s_delay_alu instid0(VALU_DEP_1) | instskip(NEXT) | instid1(SALU_CYCLE_1)
	s_and_b32 s2, vcc_lo, s2
	s_and_saveexec_b32 s3, s2
	s_delay_alu instid0(SALU_CYCLE_1)
	s_xor_b32 s2, exec_lo, s3
; %bb.192:
	v_cmp_ne_u32_e32 vcc_lo, 0, v173
	v_cndmask_b32_e32 v173, 10, v173, vcc_lo
; %bb.193:
	s_and_not1_saveexec_b32 s3, s2
	s_cbranch_execz .LBB78_199
; %bb.194:
	v_cmp_gt_f64_e32 vcc_lo, 0, v[160:161]
	v_cmp_gt_f64_e64 s2, 0, v[162:163]
	v_xor_b32_e32 v169, 0x80000000, v161
	v_xor_b32_e32 v177, 0x80000000, v163
	s_delay_alu instid0(VALU_DEP_2) | instskip(NEXT) | instid1(VALU_DEP_2)
	v_cndmask_b32_e32 v178, v161, v169, vcc_lo
	v_cndmask_b32_e64 v180, v163, v177, s2
	v_cndmask_b32_e32 v177, v160, v160, vcc_lo
	v_cndmask_b32_e64 v179, v162, v162, s2
	s_mov_b32 s2, exec_lo
	s_delay_alu instid0(VALU_DEP_1)
	v_cmpx_ngt_f64_e32 v[177:178], v[179:180]
	s_xor_b32 s2, exec_lo, s2
	s_cbranch_execz .LBB78_196
; %bb.195:
	v_div_scale_f64 v[177:178], null, v[162:163], v[162:163], v[160:161]
	v_div_scale_f64 v[183:184], vcc_lo, v[160:161], v[162:163], v[160:161]
	s_delay_alu instid0(VALU_DEP_2) | instskip(SKIP_2) | instid1(VALU_DEP_1)
	v_rcp_f64_e32 v[179:180], v[177:178]
	s_waitcnt_depctr 0xfff
	v_fma_f64 v[181:182], -v[177:178], v[179:180], 1.0
	v_fma_f64 v[179:180], v[179:180], v[181:182], v[179:180]
	s_delay_alu instid0(VALU_DEP_1) | instskip(NEXT) | instid1(VALU_DEP_1)
	v_fma_f64 v[181:182], -v[177:178], v[179:180], 1.0
	v_fma_f64 v[179:180], v[179:180], v[181:182], v[179:180]
	s_delay_alu instid0(VALU_DEP_1) | instskip(NEXT) | instid1(VALU_DEP_1)
	v_mul_f64 v[181:182], v[183:184], v[179:180]
	v_fma_f64 v[177:178], -v[177:178], v[181:182], v[183:184]
	s_delay_alu instid0(VALU_DEP_1) | instskip(NEXT) | instid1(VALU_DEP_1)
	v_div_fmas_f64 v[177:178], v[177:178], v[179:180], v[181:182]
	v_div_fixup_f64 v[177:178], v[177:178], v[162:163], v[160:161]
	s_delay_alu instid0(VALU_DEP_1) | instskip(NEXT) | instid1(VALU_DEP_1)
	v_fma_f64 v[160:161], v[160:161], v[177:178], v[162:163]
	v_div_scale_f64 v[162:163], null, v[160:161], v[160:161], 1.0
	s_delay_alu instid0(VALU_DEP_1) | instskip(SKIP_2) | instid1(VALU_DEP_1)
	v_rcp_f64_e32 v[179:180], v[162:163]
	s_waitcnt_depctr 0xfff
	v_fma_f64 v[181:182], -v[162:163], v[179:180], 1.0
	v_fma_f64 v[179:180], v[179:180], v[181:182], v[179:180]
	s_delay_alu instid0(VALU_DEP_1) | instskip(NEXT) | instid1(VALU_DEP_1)
	v_fma_f64 v[181:182], -v[162:163], v[179:180], 1.0
	v_fma_f64 v[179:180], v[179:180], v[181:182], v[179:180]
	v_div_scale_f64 v[181:182], vcc_lo, 1.0, v[160:161], 1.0
	s_delay_alu instid0(VALU_DEP_1) | instskip(NEXT) | instid1(VALU_DEP_1)
	v_mul_f64 v[183:184], v[181:182], v[179:180]
	v_fma_f64 v[162:163], -v[162:163], v[183:184], v[181:182]
	s_delay_alu instid0(VALU_DEP_1) | instskip(NEXT) | instid1(VALU_DEP_1)
	v_div_fmas_f64 v[162:163], v[162:163], v[179:180], v[183:184]
	v_div_fixup_f64 v[162:163], v[162:163], v[160:161], 1.0
	s_delay_alu instid0(VALU_DEP_1)
	v_mul_f64 v[160:161], v[177:178], v[162:163]
	v_xor_b32_e32 v163, 0x80000000, v163
.LBB78_196:
	s_and_not1_saveexec_b32 s2, s2
	s_cbranch_execz .LBB78_198
; %bb.197:
	s_delay_alu instid0(VALU_DEP_1) | instskip(SKIP_1) | instid1(VALU_DEP_2)
	v_div_scale_f64 v[177:178], null, v[160:161], v[160:161], v[162:163]
	v_div_scale_f64 v[183:184], vcc_lo, v[162:163], v[160:161], v[162:163]
	v_rcp_f64_e32 v[179:180], v[177:178]
	s_waitcnt_depctr 0xfff
	v_fma_f64 v[181:182], -v[177:178], v[179:180], 1.0
	s_delay_alu instid0(VALU_DEP_1) | instskip(NEXT) | instid1(VALU_DEP_1)
	v_fma_f64 v[179:180], v[179:180], v[181:182], v[179:180]
	v_fma_f64 v[181:182], -v[177:178], v[179:180], 1.0
	s_delay_alu instid0(VALU_DEP_1) | instskip(NEXT) | instid1(VALU_DEP_1)
	v_fma_f64 v[179:180], v[179:180], v[181:182], v[179:180]
	v_mul_f64 v[181:182], v[183:184], v[179:180]
	s_delay_alu instid0(VALU_DEP_1) | instskip(NEXT) | instid1(VALU_DEP_1)
	v_fma_f64 v[177:178], -v[177:178], v[181:182], v[183:184]
	v_div_fmas_f64 v[177:178], v[177:178], v[179:180], v[181:182]
	s_delay_alu instid0(VALU_DEP_1) | instskip(NEXT) | instid1(VALU_DEP_1)
	v_div_fixup_f64 v[177:178], v[177:178], v[160:161], v[162:163]
	v_fma_f64 v[160:161], v[162:163], v[177:178], v[160:161]
	s_delay_alu instid0(VALU_DEP_1) | instskip(NEXT) | instid1(VALU_DEP_1)
	v_div_scale_f64 v[162:163], null, v[160:161], v[160:161], 1.0
	v_rcp_f64_e32 v[179:180], v[162:163]
	s_waitcnt_depctr 0xfff
	v_fma_f64 v[181:182], -v[162:163], v[179:180], 1.0
	s_delay_alu instid0(VALU_DEP_1) | instskip(NEXT) | instid1(VALU_DEP_1)
	v_fma_f64 v[179:180], v[179:180], v[181:182], v[179:180]
	v_fma_f64 v[181:182], -v[162:163], v[179:180], 1.0
	s_delay_alu instid0(VALU_DEP_1) | instskip(SKIP_1) | instid1(VALU_DEP_1)
	v_fma_f64 v[179:180], v[179:180], v[181:182], v[179:180]
	v_div_scale_f64 v[181:182], vcc_lo, 1.0, v[160:161], 1.0
	v_mul_f64 v[183:184], v[181:182], v[179:180]
	s_delay_alu instid0(VALU_DEP_1) | instskip(NEXT) | instid1(VALU_DEP_1)
	v_fma_f64 v[162:163], -v[162:163], v[183:184], v[181:182]
	v_div_fmas_f64 v[162:163], v[162:163], v[179:180], v[183:184]
	s_delay_alu instid0(VALU_DEP_1) | instskip(NEXT) | instid1(VALU_DEP_1)
	v_div_fixup_f64 v[160:161], v[162:163], v[160:161], 1.0
	v_mul_f64 v[162:163], v[177:178], -v[160:161]
.LBB78_198:
	s_or_b32 exec_lo, exec_lo, s2
.LBB78_199:
	s_delay_alu instid0(SALU_CYCLE_1) | instskip(NEXT) | instid1(SALU_CYCLE_1)
	s_or_b32 exec_lo, exec_lo, s3
	s_mov_b32 s2, exec_lo
	v_cmpx_ne_u32_e64 v176, v168
	s_xor_b32 s2, exec_lo, s2
	s_cbranch_execz .LBB78_205
; %bb.200:
	s_mov_b32 s3, exec_lo
	v_cmpx_eq_u32_e32 9, v176
	s_cbranch_execz .LBB78_204
; %bb.201:
	v_cmp_ne_u32_e32 vcc_lo, 9, v168
	s_xor_b32 s6, s4, -1
	s_delay_alu instid0(SALU_CYCLE_1) | instskip(NEXT) | instid1(SALU_CYCLE_1)
	s_and_b32 s7, s6, vcc_lo
	s_and_saveexec_b32 s6, s7
	s_cbranch_execz .LBB78_203
; %bb.202:
	v_ashrrev_i32_e32 v169, 31, v168
	s_delay_alu instid0(VALU_DEP_1) | instskip(NEXT) | instid1(VALU_DEP_1)
	v_lshlrev_b64 v[175:176], 2, v[168:169]
	v_add_co_u32 v175, vcc_lo, v166, v175
	s_delay_alu instid0(VALU_DEP_2)
	v_add_co_ci_u32_e32 v176, vcc_lo, v167, v176, vcc_lo
	s_clause 0x1
	flat_load_b32 v169, v[175:176]
	flat_load_b32 v177, v[166:167] offset:36
	s_waitcnt vmcnt(1) lgkmcnt(1)
	flat_store_b32 v[166:167], v169 offset:36
	s_waitcnt vmcnt(0) lgkmcnt(1)
	flat_store_b32 v[175:176], v177
.LBB78_203:
	s_or_b32 exec_lo, exec_lo, s6
	v_mov_b32_e32 v176, v168
	v_mov_b32_e32 v175, v168
.LBB78_204:
	s_or_b32 exec_lo, exec_lo, s3
.LBB78_205:
	s_and_not1_saveexec_b32 s2, s2
	s_cbranch_execz .LBB78_207
; %bb.206:
	v_mov_b32_e32 v176, 9
	ds_store_2addr_b64 v170, v[124:125], v[126:127] offset0:20 offset1:21
	ds_store_2addr_b64 v170, v[120:121], v[122:123] offset0:22 offset1:23
	;; [unrolled: 1-line block ×30, first 2 shown]
.LBB78_207:
	s_or_b32 exec_lo, exec_lo, s2
	s_delay_alu instid0(SALU_CYCLE_1)
	s_mov_b32 s2, exec_lo
	s_waitcnt lgkmcnt(0)
	s_waitcnt_vscnt null, 0x0
	s_barrier
	buffer_gl0_inv
	v_cmpx_lt_i32_e32 9, v176
	s_cbranch_execz .LBB78_209
; %bb.208:
	v_mul_f64 v[168:169], v[162:163], v[130:131]
	v_mul_f64 v[130:131], v[160:161], v[130:131]
	s_delay_alu instid0(VALU_DEP_2) | instskip(NEXT) | instid1(VALU_DEP_2)
	v_fma_f64 v[168:169], v[160:161], v[128:129], -v[168:169]
	v_fma_f64 v[130:131], v[162:163], v[128:129], v[130:131]
	ds_load_2addr_b64 v[160:163], v170 offset0:20 offset1:21
	s_waitcnt lgkmcnt(0)
	v_mul_f64 v[128:129], v[162:163], v[130:131]
	s_delay_alu instid0(VALU_DEP_1) | instskip(SKIP_1) | instid1(VALU_DEP_2)
	v_fma_f64 v[128:129], v[160:161], v[168:169], -v[128:129]
	v_mul_f64 v[160:161], v[160:161], v[130:131]
	v_add_f64 v[124:125], v[124:125], -v[128:129]
	s_delay_alu instid0(VALU_DEP_2) | instskip(NEXT) | instid1(VALU_DEP_1)
	v_fma_f64 v[160:161], v[162:163], v[168:169], v[160:161]
	v_add_f64 v[126:127], v[126:127], -v[160:161]
	ds_load_2addr_b64 v[160:163], v170 offset0:22 offset1:23
	s_waitcnt lgkmcnt(0)
	v_mul_f64 v[128:129], v[162:163], v[130:131]
	s_delay_alu instid0(VALU_DEP_1) | instskip(SKIP_1) | instid1(VALU_DEP_2)
	v_fma_f64 v[128:129], v[160:161], v[168:169], -v[128:129]
	v_mul_f64 v[160:161], v[160:161], v[130:131]
	v_add_f64 v[120:121], v[120:121], -v[128:129]
	s_delay_alu instid0(VALU_DEP_2) | instskip(NEXT) | instid1(VALU_DEP_1)
	v_fma_f64 v[160:161], v[162:163], v[168:169], v[160:161]
	v_add_f64 v[122:123], v[122:123], -v[160:161]
	;; [unrolled: 10-line block ×29, first 2 shown]
	ds_load_2addr_b64 v[160:163], v170 offset0:78 offset1:79
	s_waitcnt lgkmcnt(0)
	v_mul_f64 v[128:129], v[162:163], v[130:131]
	s_delay_alu instid0(VALU_DEP_1) | instskip(SKIP_1) | instid1(VALU_DEP_2)
	v_fma_f64 v[128:129], v[160:161], v[168:169], -v[128:129]
	v_mul_f64 v[160:161], v[160:161], v[130:131]
	v_add_f64 v[0:1], v[0:1], -v[128:129]
	s_delay_alu instid0(VALU_DEP_2) | instskip(SKIP_1) | instid1(VALU_DEP_2)
	v_fma_f64 v[160:161], v[162:163], v[168:169], v[160:161]
	v_dual_mov_b32 v128, v168 :: v_dual_mov_b32 v129, v169
	v_add_f64 v[2:3], v[2:3], -v[160:161]
.LBB78_209:
	s_or_b32 exec_lo, exec_lo, s2
	v_lshl_add_u32 v160, v176, 4, v170
	s_barrier
	buffer_gl0_inv
	v_mov_b32_e32 v168, 10
	ds_store_2addr_b64 v160, v[124:125], v[126:127] offset1:1
	s_waitcnt lgkmcnt(0)
	s_barrier
	buffer_gl0_inv
	ds_load_2addr_b64 v[160:163], v170 offset0:20 offset1:21
	s_cmp_lt_i32 s5, 12
	s_cbranch_scc1 .LBB78_212
; %bb.210:
	v_add3_u32 v169, v174, 0, 0xb0
	v_mov_b32_e32 v168, 10
	s_mov_b32 s6, 11
	s_set_inst_prefetch_distance 0x1
	.p2align	6
.LBB78_211:                             ; =>This Inner Loop Header: Depth=1
	ds_load_2addr_b64 v[177:180], v169 offset1:1
	s_waitcnt lgkmcnt(1)
	v_cmp_gt_f64_e32 vcc_lo, 0, v[160:161]
	v_xor_b32_e32 v181, 0x80000000, v161
	v_cmp_gt_f64_e64 s2, 0, v[162:163]
	v_xor_b32_e32 v183, 0x80000000, v163
	v_add_nc_u32_e32 v169, 16, v169
	s_waitcnt lgkmcnt(0)
	v_cmp_gt_f64_e64 s3, 0, v[177:178]
	v_mov_b32_e32 v185, v177
	v_dual_mov_b32 v187, v179 :: v_dual_cndmask_b32 v182, v161, v181
	v_xor_b32_e32 v181, 0x80000000, v178
	v_cndmask_b32_e64 v184, v163, v183, s2
	v_xor_b32_e32 v183, 0x80000000, v180
	s_delay_alu instid0(VALU_DEP_3) | instskip(SKIP_2) | instid1(VALU_DEP_2)
	v_cndmask_b32_e64 v186, v178, v181, s3
	v_cmp_gt_f64_e64 s3, 0, v[179:180]
	v_cndmask_b32_e32 v181, v160, v160, vcc_lo
	v_cndmask_b32_e64 v188, v180, v183, s3
	v_cndmask_b32_e64 v183, v162, v162, s2
	s_delay_alu instid0(VALU_DEP_2) | instskip(NEXT) | instid1(VALU_DEP_2)
	v_add_f64 v[185:186], v[185:186], v[187:188]
	v_add_f64 v[181:182], v[181:182], v[183:184]
	s_delay_alu instid0(VALU_DEP_1) | instskip(SKIP_4) | instid1(SALU_CYCLE_1)
	v_cmp_lt_f64_e32 vcc_lo, v[181:182], v[185:186]
	v_dual_cndmask_b32 v162, v162, v179 :: v_dual_cndmask_b32 v161, v161, v178
	v_dual_cndmask_b32 v160, v160, v177 :: v_dual_cndmask_b32 v163, v163, v180
	v_cndmask_b32_e64 v168, v168, s6, vcc_lo
	s_add_i32 s6, s6, 1
	s_cmp_lg_u32 s5, s6
	s_cbranch_scc1 .LBB78_211
.LBB78_212:
	s_set_inst_prefetch_distance 0x2
	s_waitcnt lgkmcnt(0)
	v_cmp_eq_f64_e32 vcc_lo, 0, v[160:161]
	v_cmp_eq_f64_e64 s2, 0, v[162:163]
	s_delay_alu instid0(VALU_DEP_1) | instskip(NEXT) | instid1(SALU_CYCLE_1)
	s_and_b32 s2, vcc_lo, s2
	s_and_saveexec_b32 s3, s2
	s_delay_alu instid0(SALU_CYCLE_1)
	s_xor_b32 s2, exec_lo, s3
; %bb.213:
	v_cmp_ne_u32_e32 vcc_lo, 0, v173
	v_cndmask_b32_e32 v173, 11, v173, vcc_lo
; %bb.214:
	s_and_not1_saveexec_b32 s3, s2
	s_cbranch_execz .LBB78_220
; %bb.215:
	v_cmp_gt_f64_e32 vcc_lo, 0, v[160:161]
	v_cmp_gt_f64_e64 s2, 0, v[162:163]
	v_xor_b32_e32 v169, 0x80000000, v161
	v_xor_b32_e32 v177, 0x80000000, v163
	s_delay_alu instid0(VALU_DEP_2) | instskip(NEXT) | instid1(VALU_DEP_2)
	v_cndmask_b32_e32 v178, v161, v169, vcc_lo
	v_cndmask_b32_e64 v180, v163, v177, s2
	v_cndmask_b32_e32 v177, v160, v160, vcc_lo
	v_cndmask_b32_e64 v179, v162, v162, s2
	s_mov_b32 s2, exec_lo
	s_delay_alu instid0(VALU_DEP_1)
	v_cmpx_ngt_f64_e32 v[177:178], v[179:180]
	s_xor_b32 s2, exec_lo, s2
	s_cbranch_execz .LBB78_217
; %bb.216:
	v_div_scale_f64 v[177:178], null, v[162:163], v[162:163], v[160:161]
	v_div_scale_f64 v[183:184], vcc_lo, v[160:161], v[162:163], v[160:161]
	s_delay_alu instid0(VALU_DEP_2) | instskip(SKIP_2) | instid1(VALU_DEP_1)
	v_rcp_f64_e32 v[179:180], v[177:178]
	s_waitcnt_depctr 0xfff
	v_fma_f64 v[181:182], -v[177:178], v[179:180], 1.0
	v_fma_f64 v[179:180], v[179:180], v[181:182], v[179:180]
	s_delay_alu instid0(VALU_DEP_1) | instskip(NEXT) | instid1(VALU_DEP_1)
	v_fma_f64 v[181:182], -v[177:178], v[179:180], 1.0
	v_fma_f64 v[179:180], v[179:180], v[181:182], v[179:180]
	s_delay_alu instid0(VALU_DEP_1) | instskip(NEXT) | instid1(VALU_DEP_1)
	v_mul_f64 v[181:182], v[183:184], v[179:180]
	v_fma_f64 v[177:178], -v[177:178], v[181:182], v[183:184]
	s_delay_alu instid0(VALU_DEP_1) | instskip(NEXT) | instid1(VALU_DEP_1)
	v_div_fmas_f64 v[177:178], v[177:178], v[179:180], v[181:182]
	v_div_fixup_f64 v[177:178], v[177:178], v[162:163], v[160:161]
	s_delay_alu instid0(VALU_DEP_1) | instskip(NEXT) | instid1(VALU_DEP_1)
	v_fma_f64 v[160:161], v[160:161], v[177:178], v[162:163]
	v_div_scale_f64 v[162:163], null, v[160:161], v[160:161], 1.0
	s_delay_alu instid0(VALU_DEP_1) | instskip(SKIP_2) | instid1(VALU_DEP_1)
	v_rcp_f64_e32 v[179:180], v[162:163]
	s_waitcnt_depctr 0xfff
	v_fma_f64 v[181:182], -v[162:163], v[179:180], 1.0
	v_fma_f64 v[179:180], v[179:180], v[181:182], v[179:180]
	s_delay_alu instid0(VALU_DEP_1) | instskip(NEXT) | instid1(VALU_DEP_1)
	v_fma_f64 v[181:182], -v[162:163], v[179:180], 1.0
	v_fma_f64 v[179:180], v[179:180], v[181:182], v[179:180]
	v_div_scale_f64 v[181:182], vcc_lo, 1.0, v[160:161], 1.0
	s_delay_alu instid0(VALU_DEP_1) | instskip(NEXT) | instid1(VALU_DEP_1)
	v_mul_f64 v[183:184], v[181:182], v[179:180]
	v_fma_f64 v[162:163], -v[162:163], v[183:184], v[181:182]
	s_delay_alu instid0(VALU_DEP_1) | instskip(NEXT) | instid1(VALU_DEP_1)
	v_div_fmas_f64 v[162:163], v[162:163], v[179:180], v[183:184]
	v_div_fixup_f64 v[162:163], v[162:163], v[160:161], 1.0
	s_delay_alu instid0(VALU_DEP_1)
	v_mul_f64 v[160:161], v[177:178], v[162:163]
	v_xor_b32_e32 v163, 0x80000000, v163
.LBB78_217:
	s_and_not1_saveexec_b32 s2, s2
	s_cbranch_execz .LBB78_219
; %bb.218:
	s_delay_alu instid0(VALU_DEP_1) | instskip(SKIP_1) | instid1(VALU_DEP_2)
	v_div_scale_f64 v[177:178], null, v[160:161], v[160:161], v[162:163]
	v_div_scale_f64 v[183:184], vcc_lo, v[162:163], v[160:161], v[162:163]
	v_rcp_f64_e32 v[179:180], v[177:178]
	s_waitcnt_depctr 0xfff
	v_fma_f64 v[181:182], -v[177:178], v[179:180], 1.0
	s_delay_alu instid0(VALU_DEP_1) | instskip(NEXT) | instid1(VALU_DEP_1)
	v_fma_f64 v[179:180], v[179:180], v[181:182], v[179:180]
	v_fma_f64 v[181:182], -v[177:178], v[179:180], 1.0
	s_delay_alu instid0(VALU_DEP_1) | instskip(NEXT) | instid1(VALU_DEP_1)
	v_fma_f64 v[179:180], v[179:180], v[181:182], v[179:180]
	v_mul_f64 v[181:182], v[183:184], v[179:180]
	s_delay_alu instid0(VALU_DEP_1) | instskip(NEXT) | instid1(VALU_DEP_1)
	v_fma_f64 v[177:178], -v[177:178], v[181:182], v[183:184]
	v_div_fmas_f64 v[177:178], v[177:178], v[179:180], v[181:182]
	s_delay_alu instid0(VALU_DEP_1) | instskip(NEXT) | instid1(VALU_DEP_1)
	v_div_fixup_f64 v[177:178], v[177:178], v[160:161], v[162:163]
	v_fma_f64 v[160:161], v[162:163], v[177:178], v[160:161]
	s_delay_alu instid0(VALU_DEP_1) | instskip(NEXT) | instid1(VALU_DEP_1)
	v_div_scale_f64 v[162:163], null, v[160:161], v[160:161], 1.0
	v_rcp_f64_e32 v[179:180], v[162:163]
	s_waitcnt_depctr 0xfff
	v_fma_f64 v[181:182], -v[162:163], v[179:180], 1.0
	s_delay_alu instid0(VALU_DEP_1) | instskip(NEXT) | instid1(VALU_DEP_1)
	v_fma_f64 v[179:180], v[179:180], v[181:182], v[179:180]
	v_fma_f64 v[181:182], -v[162:163], v[179:180], 1.0
	s_delay_alu instid0(VALU_DEP_1) | instskip(SKIP_1) | instid1(VALU_DEP_1)
	v_fma_f64 v[179:180], v[179:180], v[181:182], v[179:180]
	v_div_scale_f64 v[181:182], vcc_lo, 1.0, v[160:161], 1.0
	v_mul_f64 v[183:184], v[181:182], v[179:180]
	s_delay_alu instid0(VALU_DEP_1) | instskip(NEXT) | instid1(VALU_DEP_1)
	v_fma_f64 v[162:163], -v[162:163], v[183:184], v[181:182]
	v_div_fmas_f64 v[162:163], v[162:163], v[179:180], v[183:184]
	s_delay_alu instid0(VALU_DEP_1) | instskip(NEXT) | instid1(VALU_DEP_1)
	v_div_fixup_f64 v[160:161], v[162:163], v[160:161], 1.0
	v_mul_f64 v[162:163], v[177:178], -v[160:161]
.LBB78_219:
	s_or_b32 exec_lo, exec_lo, s2
.LBB78_220:
	s_delay_alu instid0(SALU_CYCLE_1) | instskip(NEXT) | instid1(SALU_CYCLE_1)
	s_or_b32 exec_lo, exec_lo, s3
	s_mov_b32 s2, exec_lo
	v_cmpx_ne_u32_e64 v176, v168
	s_xor_b32 s2, exec_lo, s2
	s_cbranch_execz .LBB78_226
; %bb.221:
	s_mov_b32 s3, exec_lo
	v_cmpx_eq_u32_e32 10, v176
	s_cbranch_execz .LBB78_225
; %bb.222:
	v_cmp_ne_u32_e32 vcc_lo, 10, v168
	s_xor_b32 s6, s4, -1
	s_delay_alu instid0(SALU_CYCLE_1) | instskip(NEXT) | instid1(SALU_CYCLE_1)
	s_and_b32 s7, s6, vcc_lo
	s_and_saveexec_b32 s6, s7
	s_cbranch_execz .LBB78_224
; %bb.223:
	v_ashrrev_i32_e32 v169, 31, v168
	s_delay_alu instid0(VALU_DEP_1) | instskip(NEXT) | instid1(VALU_DEP_1)
	v_lshlrev_b64 v[175:176], 2, v[168:169]
	v_add_co_u32 v175, vcc_lo, v166, v175
	s_delay_alu instid0(VALU_DEP_2)
	v_add_co_ci_u32_e32 v176, vcc_lo, v167, v176, vcc_lo
	s_clause 0x1
	flat_load_b32 v169, v[175:176]
	flat_load_b32 v177, v[166:167] offset:40
	s_waitcnt vmcnt(1) lgkmcnt(1)
	flat_store_b32 v[166:167], v169 offset:40
	s_waitcnt vmcnt(0) lgkmcnt(1)
	flat_store_b32 v[175:176], v177
.LBB78_224:
	s_or_b32 exec_lo, exec_lo, s6
	v_mov_b32_e32 v176, v168
	v_mov_b32_e32 v175, v168
.LBB78_225:
	s_or_b32 exec_lo, exec_lo, s3
.LBB78_226:
	s_and_not1_saveexec_b32 s2, s2
	s_cbranch_execz .LBB78_228
; %bb.227:
	v_mov_b32_e32 v176, 10
	ds_store_2addr_b64 v170, v[120:121], v[122:123] offset0:22 offset1:23
	ds_store_2addr_b64 v170, v[116:117], v[118:119] offset0:24 offset1:25
	;; [unrolled: 1-line block ×29, first 2 shown]
.LBB78_228:
	s_or_b32 exec_lo, exec_lo, s2
	s_delay_alu instid0(SALU_CYCLE_1)
	s_mov_b32 s2, exec_lo
	s_waitcnt lgkmcnt(0)
	s_waitcnt_vscnt null, 0x0
	s_barrier
	buffer_gl0_inv
	v_cmpx_lt_i32_e32 10, v176
	s_cbranch_execz .LBB78_230
; %bb.229:
	v_mul_f64 v[168:169], v[162:163], v[126:127]
	v_mul_f64 v[126:127], v[160:161], v[126:127]
	s_delay_alu instid0(VALU_DEP_2) | instskip(NEXT) | instid1(VALU_DEP_2)
	v_fma_f64 v[168:169], v[160:161], v[124:125], -v[168:169]
	v_fma_f64 v[126:127], v[162:163], v[124:125], v[126:127]
	ds_load_2addr_b64 v[160:163], v170 offset0:22 offset1:23
	s_waitcnt lgkmcnt(0)
	v_mul_f64 v[124:125], v[162:163], v[126:127]
	s_delay_alu instid0(VALU_DEP_1) | instskip(SKIP_1) | instid1(VALU_DEP_2)
	v_fma_f64 v[124:125], v[160:161], v[168:169], -v[124:125]
	v_mul_f64 v[160:161], v[160:161], v[126:127]
	v_add_f64 v[120:121], v[120:121], -v[124:125]
	s_delay_alu instid0(VALU_DEP_2) | instskip(NEXT) | instid1(VALU_DEP_1)
	v_fma_f64 v[160:161], v[162:163], v[168:169], v[160:161]
	v_add_f64 v[122:123], v[122:123], -v[160:161]
	ds_load_2addr_b64 v[160:163], v170 offset0:24 offset1:25
	s_waitcnt lgkmcnt(0)
	v_mul_f64 v[124:125], v[162:163], v[126:127]
	s_delay_alu instid0(VALU_DEP_1) | instskip(SKIP_1) | instid1(VALU_DEP_2)
	v_fma_f64 v[124:125], v[160:161], v[168:169], -v[124:125]
	v_mul_f64 v[160:161], v[160:161], v[126:127]
	v_add_f64 v[116:117], v[116:117], -v[124:125]
	s_delay_alu instid0(VALU_DEP_2) | instskip(NEXT) | instid1(VALU_DEP_1)
	v_fma_f64 v[160:161], v[162:163], v[168:169], v[160:161]
	v_add_f64 v[118:119], v[118:119], -v[160:161]
	;; [unrolled: 10-line block ×28, first 2 shown]
	ds_load_2addr_b64 v[160:163], v170 offset0:78 offset1:79
	s_waitcnt lgkmcnt(0)
	v_mul_f64 v[124:125], v[162:163], v[126:127]
	s_delay_alu instid0(VALU_DEP_1) | instskip(SKIP_1) | instid1(VALU_DEP_2)
	v_fma_f64 v[124:125], v[160:161], v[168:169], -v[124:125]
	v_mul_f64 v[160:161], v[160:161], v[126:127]
	v_add_f64 v[0:1], v[0:1], -v[124:125]
	s_delay_alu instid0(VALU_DEP_2) | instskip(SKIP_1) | instid1(VALU_DEP_2)
	v_fma_f64 v[160:161], v[162:163], v[168:169], v[160:161]
	v_dual_mov_b32 v124, v168 :: v_dual_mov_b32 v125, v169
	v_add_f64 v[2:3], v[2:3], -v[160:161]
.LBB78_230:
	s_or_b32 exec_lo, exec_lo, s2
	v_lshl_add_u32 v160, v176, 4, v170
	s_barrier
	buffer_gl0_inv
	v_mov_b32_e32 v168, 11
	ds_store_2addr_b64 v160, v[120:121], v[122:123] offset1:1
	s_waitcnt lgkmcnt(0)
	s_barrier
	buffer_gl0_inv
	ds_load_2addr_b64 v[160:163], v170 offset0:22 offset1:23
	s_cmp_lt_i32 s5, 13
	s_cbranch_scc1 .LBB78_233
; %bb.231:
	v_add3_u32 v169, v174, 0, 0xc0
	v_mov_b32_e32 v168, 11
	s_mov_b32 s6, 12
	s_set_inst_prefetch_distance 0x1
	.p2align	6
.LBB78_232:                             ; =>This Inner Loop Header: Depth=1
	ds_load_2addr_b64 v[177:180], v169 offset1:1
	s_waitcnt lgkmcnt(1)
	v_cmp_gt_f64_e32 vcc_lo, 0, v[160:161]
	v_xor_b32_e32 v181, 0x80000000, v161
	v_cmp_gt_f64_e64 s2, 0, v[162:163]
	v_xor_b32_e32 v183, 0x80000000, v163
	v_add_nc_u32_e32 v169, 16, v169
	s_waitcnt lgkmcnt(0)
	v_cmp_gt_f64_e64 s3, 0, v[177:178]
	v_mov_b32_e32 v185, v177
	v_dual_mov_b32 v187, v179 :: v_dual_cndmask_b32 v182, v161, v181
	v_xor_b32_e32 v181, 0x80000000, v178
	v_cndmask_b32_e64 v184, v163, v183, s2
	v_xor_b32_e32 v183, 0x80000000, v180
	s_delay_alu instid0(VALU_DEP_3) | instskip(SKIP_2) | instid1(VALU_DEP_2)
	v_cndmask_b32_e64 v186, v178, v181, s3
	v_cmp_gt_f64_e64 s3, 0, v[179:180]
	v_cndmask_b32_e32 v181, v160, v160, vcc_lo
	v_cndmask_b32_e64 v188, v180, v183, s3
	v_cndmask_b32_e64 v183, v162, v162, s2
	s_delay_alu instid0(VALU_DEP_2) | instskip(NEXT) | instid1(VALU_DEP_2)
	v_add_f64 v[185:186], v[185:186], v[187:188]
	v_add_f64 v[181:182], v[181:182], v[183:184]
	s_delay_alu instid0(VALU_DEP_1) | instskip(SKIP_4) | instid1(SALU_CYCLE_1)
	v_cmp_lt_f64_e32 vcc_lo, v[181:182], v[185:186]
	v_dual_cndmask_b32 v162, v162, v179 :: v_dual_cndmask_b32 v161, v161, v178
	v_dual_cndmask_b32 v160, v160, v177 :: v_dual_cndmask_b32 v163, v163, v180
	v_cndmask_b32_e64 v168, v168, s6, vcc_lo
	s_add_i32 s6, s6, 1
	s_cmp_lg_u32 s5, s6
	s_cbranch_scc1 .LBB78_232
.LBB78_233:
	s_set_inst_prefetch_distance 0x2
	s_waitcnt lgkmcnt(0)
	v_cmp_eq_f64_e32 vcc_lo, 0, v[160:161]
	v_cmp_eq_f64_e64 s2, 0, v[162:163]
	s_delay_alu instid0(VALU_DEP_1) | instskip(NEXT) | instid1(SALU_CYCLE_1)
	s_and_b32 s2, vcc_lo, s2
	s_and_saveexec_b32 s3, s2
	s_delay_alu instid0(SALU_CYCLE_1)
	s_xor_b32 s2, exec_lo, s3
; %bb.234:
	v_cmp_ne_u32_e32 vcc_lo, 0, v173
	v_cndmask_b32_e32 v173, 12, v173, vcc_lo
; %bb.235:
	s_and_not1_saveexec_b32 s3, s2
	s_cbranch_execz .LBB78_241
; %bb.236:
	v_cmp_gt_f64_e32 vcc_lo, 0, v[160:161]
	v_cmp_gt_f64_e64 s2, 0, v[162:163]
	v_xor_b32_e32 v169, 0x80000000, v161
	v_xor_b32_e32 v177, 0x80000000, v163
	s_delay_alu instid0(VALU_DEP_2) | instskip(NEXT) | instid1(VALU_DEP_2)
	v_cndmask_b32_e32 v178, v161, v169, vcc_lo
	v_cndmask_b32_e64 v180, v163, v177, s2
	v_cndmask_b32_e32 v177, v160, v160, vcc_lo
	v_cndmask_b32_e64 v179, v162, v162, s2
	s_mov_b32 s2, exec_lo
	s_delay_alu instid0(VALU_DEP_1)
	v_cmpx_ngt_f64_e32 v[177:178], v[179:180]
	s_xor_b32 s2, exec_lo, s2
	s_cbranch_execz .LBB78_238
; %bb.237:
	v_div_scale_f64 v[177:178], null, v[162:163], v[162:163], v[160:161]
	v_div_scale_f64 v[183:184], vcc_lo, v[160:161], v[162:163], v[160:161]
	s_delay_alu instid0(VALU_DEP_2) | instskip(SKIP_2) | instid1(VALU_DEP_1)
	v_rcp_f64_e32 v[179:180], v[177:178]
	s_waitcnt_depctr 0xfff
	v_fma_f64 v[181:182], -v[177:178], v[179:180], 1.0
	v_fma_f64 v[179:180], v[179:180], v[181:182], v[179:180]
	s_delay_alu instid0(VALU_DEP_1) | instskip(NEXT) | instid1(VALU_DEP_1)
	v_fma_f64 v[181:182], -v[177:178], v[179:180], 1.0
	v_fma_f64 v[179:180], v[179:180], v[181:182], v[179:180]
	s_delay_alu instid0(VALU_DEP_1) | instskip(NEXT) | instid1(VALU_DEP_1)
	v_mul_f64 v[181:182], v[183:184], v[179:180]
	v_fma_f64 v[177:178], -v[177:178], v[181:182], v[183:184]
	s_delay_alu instid0(VALU_DEP_1) | instskip(NEXT) | instid1(VALU_DEP_1)
	v_div_fmas_f64 v[177:178], v[177:178], v[179:180], v[181:182]
	v_div_fixup_f64 v[177:178], v[177:178], v[162:163], v[160:161]
	s_delay_alu instid0(VALU_DEP_1) | instskip(NEXT) | instid1(VALU_DEP_1)
	v_fma_f64 v[160:161], v[160:161], v[177:178], v[162:163]
	v_div_scale_f64 v[162:163], null, v[160:161], v[160:161], 1.0
	s_delay_alu instid0(VALU_DEP_1) | instskip(SKIP_2) | instid1(VALU_DEP_1)
	v_rcp_f64_e32 v[179:180], v[162:163]
	s_waitcnt_depctr 0xfff
	v_fma_f64 v[181:182], -v[162:163], v[179:180], 1.0
	v_fma_f64 v[179:180], v[179:180], v[181:182], v[179:180]
	s_delay_alu instid0(VALU_DEP_1) | instskip(NEXT) | instid1(VALU_DEP_1)
	v_fma_f64 v[181:182], -v[162:163], v[179:180], 1.0
	v_fma_f64 v[179:180], v[179:180], v[181:182], v[179:180]
	v_div_scale_f64 v[181:182], vcc_lo, 1.0, v[160:161], 1.0
	s_delay_alu instid0(VALU_DEP_1) | instskip(NEXT) | instid1(VALU_DEP_1)
	v_mul_f64 v[183:184], v[181:182], v[179:180]
	v_fma_f64 v[162:163], -v[162:163], v[183:184], v[181:182]
	s_delay_alu instid0(VALU_DEP_1) | instskip(NEXT) | instid1(VALU_DEP_1)
	v_div_fmas_f64 v[162:163], v[162:163], v[179:180], v[183:184]
	v_div_fixup_f64 v[162:163], v[162:163], v[160:161], 1.0
	s_delay_alu instid0(VALU_DEP_1)
	v_mul_f64 v[160:161], v[177:178], v[162:163]
	v_xor_b32_e32 v163, 0x80000000, v163
.LBB78_238:
	s_and_not1_saveexec_b32 s2, s2
	s_cbranch_execz .LBB78_240
; %bb.239:
	s_delay_alu instid0(VALU_DEP_1) | instskip(SKIP_1) | instid1(VALU_DEP_2)
	v_div_scale_f64 v[177:178], null, v[160:161], v[160:161], v[162:163]
	v_div_scale_f64 v[183:184], vcc_lo, v[162:163], v[160:161], v[162:163]
	v_rcp_f64_e32 v[179:180], v[177:178]
	s_waitcnt_depctr 0xfff
	v_fma_f64 v[181:182], -v[177:178], v[179:180], 1.0
	s_delay_alu instid0(VALU_DEP_1) | instskip(NEXT) | instid1(VALU_DEP_1)
	v_fma_f64 v[179:180], v[179:180], v[181:182], v[179:180]
	v_fma_f64 v[181:182], -v[177:178], v[179:180], 1.0
	s_delay_alu instid0(VALU_DEP_1) | instskip(NEXT) | instid1(VALU_DEP_1)
	v_fma_f64 v[179:180], v[179:180], v[181:182], v[179:180]
	v_mul_f64 v[181:182], v[183:184], v[179:180]
	s_delay_alu instid0(VALU_DEP_1) | instskip(NEXT) | instid1(VALU_DEP_1)
	v_fma_f64 v[177:178], -v[177:178], v[181:182], v[183:184]
	v_div_fmas_f64 v[177:178], v[177:178], v[179:180], v[181:182]
	s_delay_alu instid0(VALU_DEP_1) | instskip(NEXT) | instid1(VALU_DEP_1)
	v_div_fixup_f64 v[177:178], v[177:178], v[160:161], v[162:163]
	v_fma_f64 v[160:161], v[162:163], v[177:178], v[160:161]
	s_delay_alu instid0(VALU_DEP_1) | instskip(NEXT) | instid1(VALU_DEP_1)
	v_div_scale_f64 v[162:163], null, v[160:161], v[160:161], 1.0
	v_rcp_f64_e32 v[179:180], v[162:163]
	s_waitcnt_depctr 0xfff
	v_fma_f64 v[181:182], -v[162:163], v[179:180], 1.0
	s_delay_alu instid0(VALU_DEP_1) | instskip(NEXT) | instid1(VALU_DEP_1)
	v_fma_f64 v[179:180], v[179:180], v[181:182], v[179:180]
	v_fma_f64 v[181:182], -v[162:163], v[179:180], 1.0
	s_delay_alu instid0(VALU_DEP_1) | instskip(SKIP_1) | instid1(VALU_DEP_1)
	v_fma_f64 v[179:180], v[179:180], v[181:182], v[179:180]
	v_div_scale_f64 v[181:182], vcc_lo, 1.0, v[160:161], 1.0
	v_mul_f64 v[183:184], v[181:182], v[179:180]
	s_delay_alu instid0(VALU_DEP_1) | instskip(NEXT) | instid1(VALU_DEP_1)
	v_fma_f64 v[162:163], -v[162:163], v[183:184], v[181:182]
	v_div_fmas_f64 v[162:163], v[162:163], v[179:180], v[183:184]
	s_delay_alu instid0(VALU_DEP_1) | instskip(NEXT) | instid1(VALU_DEP_1)
	v_div_fixup_f64 v[160:161], v[162:163], v[160:161], 1.0
	v_mul_f64 v[162:163], v[177:178], -v[160:161]
.LBB78_240:
	s_or_b32 exec_lo, exec_lo, s2
.LBB78_241:
	s_delay_alu instid0(SALU_CYCLE_1) | instskip(NEXT) | instid1(SALU_CYCLE_1)
	s_or_b32 exec_lo, exec_lo, s3
	s_mov_b32 s2, exec_lo
	v_cmpx_ne_u32_e64 v176, v168
	s_xor_b32 s2, exec_lo, s2
	s_cbranch_execz .LBB78_247
; %bb.242:
	s_mov_b32 s3, exec_lo
	v_cmpx_eq_u32_e32 11, v176
	s_cbranch_execz .LBB78_246
; %bb.243:
	v_cmp_ne_u32_e32 vcc_lo, 11, v168
	s_xor_b32 s6, s4, -1
	s_delay_alu instid0(SALU_CYCLE_1) | instskip(NEXT) | instid1(SALU_CYCLE_1)
	s_and_b32 s7, s6, vcc_lo
	s_and_saveexec_b32 s6, s7
	s_cbranch_execz .LBB78_245
; %bb.244:
	v_ashrrev_i32_e32 v169, 31, v168
	s_delay_alu instid0(VALU_DEP_1) | instskip(NEXT) | instid1(VALU_DEP_1)
	v_lshlrev_b64 v[175:176], 2, v[168:169]
	v_add_co_u32 v175, vcc_lo, v166, v175
	s_delay_alu instid0(VALU_DEP_2)
	v_add_co_ci_u32_e32 v176, vcc_lo, v167, v176, vcc_lo
	s_clause 0x1
	flat_load_b32 v169, v[175:176]
	flat_load_b32 v177, v[166:167] offset:44
	s_waitcnt vmcnt(1) lgkmcnt(1)
	flat_store_b32 v[166:167], v169 offset:44
	s_waitcnt vmcnt(0) lgkmcnt(1)
	flat_store_b32 v[175:176], v177
.LBB78_245:
	s_or_b32 exec_lo, exec_lo, s6
	v_mov_b32_e32 v176, v168
	v_mov_b32_e32 v175, v168
.LBB78_246:
	s_or_b32 exec_lo, exec_lo, s3
.LBB78_247:
	s_and_not1_saveexec_b32 s2, s2
	s_cbranch_execz .LBB78_249
; %bb.248:
	v_mov_b32_e32 v176, 11
	ds_store_2addr_b64 v170, v[116:117], v[118:119] offset0:24 offset1:25
	ds_store_2addr_b64 v170, v[112:113], v[114:115] offset0:26 offset1:27
	ds_store_2addr_b64 v170, v[108:109], v[110:111] offset0:28 offset1:29
	ds_store_2addr_b64 v170, v[104:105], v[106:107] offset0:30 offset1:31
	ds_store_2addr_b64 v170, v[100:101], v[102:103] offset0:32 offset1:33
	ds_store_2addr_b64 v170, v[96:97], v[98:99] offset0:34 offset1:35
	ds_store_2addr_b64 v170, v[92:93], v[94:95] offset0:36 offset1:37
	ds_store_2addr_b64 v170, v[88:89], v[90:91] offset0:38 offset1:39
	ds_store_2addr_b64 v170, v[84:85], v[86:87] offset0:40 offset1:41
	ds_store_2addr_b64 v170, v[80:81], v[82:83] offset0:42 offset1:43
	ds_store_2addr_b64 v170, v[76:77], v[78:79] offset0:44 offset1:45
	ds_store_2addr_b64 v170, v[72:73], v[74:75] offset0:46 offset1:47
	ds_store_2addr_b64 v170, v[68:69], v[70:71] offset0:48 offset1:49
	ds_store_2addr_b64 v170, v[64:65], v[66:67] offset0:50 offset1:51
	ds_store_2addr_b64 v170, v[60:61], v[62:63] offset0:52 offset1:53
	ds_store_2addr_b64 v170, v[56:57], v[58:59] offset0:54 offset1:55
	ds_store_2addr_b64 v170, v[44:45], v[46:47] offset0:56 offset1:57
	ds_store_2addr_b64 v170, v[40:41], v[42:43] offset0:58 offset1:59
	ds_store_2addr_b64 v170, v[36:37], v[38:39] offset0:60 offset1:61
	ds_store_2addr_b64 v170, v[32:33], v[34:35] offset0:62 offset1:63
	ds_store_2addr_b64 v170, v[28:29], v[30:31] offset0:64 offset1:65
	ds_store_2addr_b64 v170, v[24:25], v[26:27] offset0:66 offset1:67
	ds_store_2addr_b64 v170, v[20:21], v[22:23] offset0:68 offset1:69
	ds_store_2addr_b64 v170, v[16:17], v[18:19] offset0:70 offset1:71
	ds_store_2addr_b64 v170, v[12:13], v[14:15] offset0:72 offset1:73
	ds_store_2addr_b64 v170, v[8:9], v[10:11] offset0:74 offset1:75
	ds_store_2addr_b64 v170, v[4:5], v[6:7] offset0:76 offset1:77
	ds_store_2addr_b64 v170, v[0:1], v[2:3] offset0:78 offset1:79
.LBB78_249:
	s_or_b32 exec_lo, exec_lo, s2
	s_delay_alu instid0(SALU_CYCLE_1)
	s_mov_b32 s2, exec_lo
	s_waitcnt lgkmcnt(0)
	s_waitcnt_vscnt null, 0x0
	s_barrier
	buffer_gl0_inv
	v_cmpx_lt_i32_e32 11, v176
	s_cbranch_execz .LBB78_251
; %bb.250:
	v_mul_f64 v[168:169], v[162:163], v[122:123]
	v_mul_f64 v[122:123], v[160:161], v[122:123]
	s_delay_alu instid0(VALU_DEP_2) | instskip(NEXT) | instid1(VALU_DEP_2)
	v_fma_f64 v[168:169], v[160:161], v[120:121], -v[168:169]
	v_fma_f64 v[122:123], v[162:163], v[120:121], v[122:123]
	ds_load_2addr_b64 v[160:163], v170 offset0:24 offset1:25
	s_waitcnt lgkmcnt(0)
	v_mul_f64 v[120:121], v[162:163], v[122:123]
	s_delay_alu instid0(VALU_DEP_1) | instskip(SKIP_1) | instid1(VALU_DEP_2)
	v_fma_f64 v[120:121], v[160:161], v[168:169], -v[120:121]
	v_mul_f64 v[160:161], v[160:161], v[122:123]
	v_add_f64 v[116:117], v[116:117], -v[120:121]
	s_delay_alu instid0(VALU_DEP_2) | instskip(NEXT) | instid1(VALU_DEP_1)
	v_fma_f64 v[160:161], v[162:163], v[168:169], v[160:161]
	v_add_f64 v[118:119], v[118:119], -v[160:161]
	ds_load_2addr_b64 v[160:163], v170 offset0:26 offset1:27
	s_waitcnt lgkmcnt(0)
	v_mul_f64 v[120:121], v[162:163], v[122:123]
	s_delay_alu instid0(VALU_DEP_1) | instskip(SKIP_1) | instid1(VALU_DEP_2)
	v_fma_f64 v[120:121], v[160:161], v[168:169], -v[120:121]
	v_mul_f64 v[160:161], v[160:161], v[122:123]
	v_add_f64 v[112:113], v[112:113], -v[120:121]
	s_delay_alu instid0(VALU_DEP_2) | instskip(NEXT) | instid1(VALU_DEP_1)
	v_fma_f64 v[160:161], v[162:163], v[168:169], v[160:161]
	v_add_f64 v[114:115], v[114:115], -v[160:161]
	ds_load_2addr_b64 v[160:163], v170 offset0:28 offset1:29
	s_waitcnt lgkmcnt(0)
	v_mul_f64 v[120:121], v[162:163], v[122:123]
	s_delay_alu instid0(VALU_DEP_1) | instskip(SKIP_1) | instid1(VALU_DEP_2)
	v_fma_f64 v[120:121], v[160:161], v[168:169], -v[120:121]
	v_mul_f64 v[160:161], v[160:161], v[122:123]
	v_add_f64 v[108:109], v[108:109], -v[120:121]
	s_delay_alu instid0(VALU_DEP_2) | instskip(NEXT) | instid1(VALU_DEP_1)
	v_fma_f64 v[160:161], v[162:163], v[168:169], v[160:161]
	v_add_f64 v[110:111], v[110:111], -v[160:161]
	ds_load_2addr_b64 v[160:163], v170 offset0:30 offset1:31
	s_waitcnt lgkmcnt(0)
	v_mul_f64 v[120:121], v[162:163], v[122:123]
	s_delay_alu instid0(VALU_DEP_1) | instskip(SKIP_1) | instid1(VALU_DEP_2)
	v_fma_f64 v[120:121], v[160:161], v[168:169], -v[120:121]
	v_mul_f64 v[160:161], v[160:161], v[122:123]
	v_add_f64 v[104:105], v[104:105], -v[120:121]
	s_delay_alu instid0(VALU_DEP_2) | instskip(NEXT) | instid1(VALU_DEP_1)
	v_fma_f64 v[160:161], v[162:163], v[168:169], v[160:161]
	v_add_f64 v[106:107], v[106:107], -v[160:161]
	ds_load_2addr_b64 v[160:163], v170 offset0:32 offset1:33
	s_waitcnt lgkmcnt(0)
	v_mul_f64 v[120:121], v[162:163], v[122:123]
	s_delay_alu instid0(VALU_DEP_1) | instskip(SKIP_1) | instid1(VALU_DEP_2)
	v_fma_f64 v[120:121], v[160:161], v[168:169], -v[120:121]
	v_mul_f64 v[160:161], v[160:161], v[122:123]
	v_add_f64 v[100:101], v[100:101], -v[120:121]
	s_delay_alu instid0(VALU_DEP_2) | instskip(NEXT) | instid1(VALU_DEP_1)
	v_fma_f64 v[160:161], v[162:163], v[168:169], v[160:161]
	v_add_f64 v[102:103], v[102:103], -v[160:161]
	ds_load_2addr_b64 v[160:163], v170 offset0:34 offset1:35
	s_waitcnt lgkmcnt(0)
	v_mul_f64 v[120:121], v[162:163], v[122:123]
	s_delay_alu instid0(VALU_DEP_1) | instskip(SKIP_1) | instid1(VALU_DEP_2)
	v_fma_f64 v[120:121], v[160:161], v[168:169], -v[120:121]
	v_mul_f64 v[160:161], v[160:161], v[122:123]
	v_add_f64 v[96:97], v[96:97], -v[120:121]
	s_delay_alu instid0(VALU_DEP_2) | instskip(NEXT) | instid1(VALU_DEP_1)
	v_fma_f64 v[160:161], v[162:163], v[168:169], v[160:161]
	v_add_f64 v[98:99], v[98:99], -v[160:161]
	ds_load_2addr_b64 v[160:163], v170 offset0:36 offset1:37
	s_waitcnt lgkmcnt(0)
	v_mul_f64 v[120:121], v[162:163], v[122:123]
	s_delay_alu instid0(VALU_DEP_1) | instskip(SKIP_1) | instid1(VALU_DEP_2)
	v_fma_f64 v[120:121], v[160:161], v[168:169], -v[120:121]
	v_mul_f64 v[160:161], v[160:161], v[122:123]
	v_add_f64 v[92:93], v[92:93], -v[120:121]
	s_delay_alu instid0(VALU_DEP_2) | instskip(NEXT) | instid1(VALU_DEP_1)
	v_fma_f64 v[160:161], v[162:163], v[168:169], v[160:161]
	v_add_f64 v[94:95], v[94:95], -v[160:161]
	ds_load_2addr_b64 v[160:163], v170 offset0:38 offset1:39
	s_waitcnt lgkmcnt(0)
	v_mul_f64 v[120:121], v[162:163], v[122:123]
	s_delay_alu instid0(VALU_DEP_1) | instskip(SKIP_1) | instid1(VALU_DEP_2)
	v_fma_f64 v[120:121], v[160:161], v[168:169], -v[120:121]
	v_mul_f64 v[160:161], v[160:161], v[122:123]
	v_add_f64 v[88:89], v[88:89], -v[120:121]
	s_delay_alu instid0(VALU_DEP_2) | instskip(NEXT) | instid1(VALU_DEP_1)
	v_fma_f64 v[160:161], v[162:163], v[168:169], v[160:161]
	v_add_f64 v[90:91], v[90:91], -v[160:161]
	ds_load_2addr_b64 v[160:163], v170 offset0:40 offset1:41
	s_waitcnt lgkmcnt(0)
	v_mul_f64 v[120:121], v[162:163], v[122:123]
	s_delay_alu instid0(VALU_DEP_1) | instskip(SKIP_1) | instid1(VALU_DEP_2)
	v_fma_f64 v[120:121], v[160:161], v[168:169], -v[120:121]
	v_mul_f64 v[160:161], v[160:161], v[122:123]
	v_add_f64 v[84:85], v[84:85], -v[120:121]
	s_delay_alu instid0(VALU_DEP_2) | instskip(NEXT) | instid1(VALU_DEP_1)
	v_fma_f64 v[160:161], v[162:163], v[168:169], v[160:161]
	v_add_f64 v[86:87], v[86:87], -v[160:161]
	ds_load_2addr_b64 v[160:163], v170 offset0:42 offset1:43
	s_waitcnt lgkmcnt(0)
	v_mul_f64 v[120:121], v[162:163], v[122:123]
	s_delay_alu instid0(VALU_DEP_1) | instskip(SKIP_1) | instid1(VALU_DEP_2)
	v_fma_f64 v[120:121], v[160:161], v[168:169], -v[120:121]
	v_mul_f64 v[160:161], v[160:161], v[122:123]
	v_add_f64 v[80:81], v[80:81], -v[120:121]
	s_delay_alu instid0(VALU_DEP_2) | instskip(NEXT) | instid1(VALU_DEP_1)
	v_fma_f64 v[160:161], v[162:163], v[168:169], v[160:161]
	v_add_f64 v[82:83], v[82:83], -v[160:161]
	ds_load_2addr_b64 v[160:163], v170 offset0:44 offset1:45
	s_waitcnt lgkmcnt(0)
	v_mul_f64 v[120:121], v[162:163], v[122:123]
	s_delay_alu instid0(VALU_DEP_1) | instskip(SKIP_1) | instid1(VALU_DEP_2)
	v_fma_f64 v[120:121], v[160:161], v[168:169], -v[120:121]
	v_mul_f64 v[160:161], v[160:161], v[122:123]
	v_add_f64 v[76:77], v[76:77], -v[120:121]
	s_delay_alu instid0(VALU_DEP_2) | instskip(NEXT) | instid1(VALU_DEP_1)
	v_fma_f64 v[160:161], v[162:163], v[168:169], v[160:161]
	v_add_f64 v[78:79], v[78:79], -v[160:161]
	ds_load_2addr_b64 v[160:163], v170 offset0:46 offset1:47
	s_waitcnt lgkmcnt(0)
	v_mul_f64 v[120:121], v[162:163], v[122:123]
	s_delay_alu instid0(VALU_DEP_1) | instskip(SKIP_1) | instid1(VALU_DEP_2)
	v_fma_f64 v[120:121], v[160:161], v[168:169], -v[120:121]
	v_mul_f64 v[160:161], v[160:161], v[122:123]
	v_add_f64 v[72:73], v[72:73], -v[120:121]
	s_delay_alu instid0(VALU_DEP_2) | instskip(NEXT) | instid1(VALU_DEP_1)
	v_fma_f64 v[160:161], v[162:163], v[168:169], v[160:161]
	v_add_f64 v[74:75], v[74:75], -v[160:161]
	ds_load_2addr_b64 v[160:163], v170 offset0:48 offset1:49
	s_waitcnt lgkmcnt(0)
	v_mul_f64 v[120:121], v[162:163], v[122:123]
	s_delay_alu instid0(VALU_DEP_1) | instskip(SKIP_1) | instid1(VALU_DEP_2)
	v_fma_f64 v[120:121], v[160:161], v[168:169], -v[120:121]
	v_mul_f64 v[160:161], v[160:161], v[122:123]
	v_add_f64 v[68:69], v[68:69], -v[120:121]
	s_delay_alu instid0(VALU_DEP_2) | instskip(NEXT) | instid1(VALU_DEP_1)
	v_fma_f64 v[160:161], v[162:163], v[168:169], v[160:161]
	v_add_f64 v[70:71], v[70:71], -v[160:161]
	ds_load_2addr_b64 v[160:163], v170 offset0:50 offset1:51
	s_waitcnt lgkmcnt(0)
	v_mul_f64 v[120:121], v[162:163], v[122:123]
	s_delay_alu instid0(VALU_DEP_1) | instskip(SKIP_1) | instid1(VALU_DEP_2)
	v_fma_f64 v[120:121], v[160:161], v[168:169], -v[120:121]
	v_mul_f64 v[160:161], v[160:161], v[122:123]
	v_add_f64 v[64:65], v[64:65], -v[120:121]
	s_delay_alu instid0(VALU_DEP_2) | instskip(NEXT) | instid1(VALU_DEP_1)
	v_fma_f64 v[160:161], v[162:163], v[168:169], v[160:161]
	v_add_f64 v[66:67], v[66:67], -v[160:161]
	ds_load_2addr_b64 v[160:163], v170 offset0:52 offset1:53
	s_waitcnt lgkmcnt(0)
	v_mul_f64 v[120:121], v[162:163], v[122:123]
	s_delay_alu instid0(VALU_DEP_1) | instskip(SKIP_1) | instid1(VALU_DEP_2)
	v_fma_f64 v[120:121], v[160:161], v[168:169], -v[120:121]
	v_mul_f64 v[160:161], v[160:161], v[122:123]
	v_add_f64 v[60:61], v[60:61], -v[120:121]
	s_delay_alu instid0(VALU_DEP_2) | instskip(NEXT) | instid1(VALU_DEP_1)
	v_fma_f64 v[160:161], v[162:163], v[168:169], v[160:161]
	v_add_f64 v[62:63], v[62:63], -v[160:161]
	ds_load_2addr_b64 v[160:163], v170 offset0:54 offset1:55
	s_waitcnt lgkmcnt(0)
	v_mul_f64 v[120:121], v[162:163], v[122:123]
	s_delay_alu instid0(VALU_DEP_1) | instskip(SKIP_1) | instid1(VALU_DEP_2)
	v_fma_f64 v[120:121], v[160:161], v[168:169], -v[120:121]
	v_mul_f64 v[160:161], v[160:161], v[122:123]
	v_add_f64 v[56:57], v[56:57], -v[120:121]
	s_delay_alu instid0(VALU_DEP_2) | instskip(NEXT) | instid1(VALU_DEP_1)
	v_fma_f64 v[160:161], v[162:163], v[168:169], v[160:161]
	v_add_f64 v[58:59], v[58:59], -v[160:161]
	ds_load_2addr_b64 v[160:163], v170 offset0:56 offset1:57
	s_waitcnt lgkmcnt(0)
	v_mul_f64 v[120:121], v[162:163], v[122:123]
	s_delay_alu instid0(VALU_DEP_1) | instskip(SKIP_1) | instid1(VALU_DEP_2)
	v_fma_f64 v[120:121], v[160:161], v[168:169], -v[120:121]
	v_mul_f64 v[160:161], v[160:161], v[122:123]
	v_add_f64 v[44:45], v[44:45], -v[120:121]
	s_delay_alu instid0(VALU_DEP_2) | instskip(NEXT) | instid1(VALU_DEP_1)
	v_fma_f64 v[160:161], v[162:163], v[168:169], v[160:161]
	v_add_f64 v[46:47], v[46:47], -v[160:161]
	ds_load_2addr_b64 v[160:163], v170 offset0:58 offset1:59
	s_waitcnt lgkmcnt(0)
	v_mul_f64 v[120:121], v[162:163], v[122:123]
	s_delay_alu instid0(VALU_DEP_1) | instskip(SKIP_1) | instid1(VALU_DEP_2)
	v_fma_f64 v[120:121], v[160:161], v[168:169], -v[120:121]
	v_mul_f64 v[160:161], v[160:161], v[122:123]
	v_add_f64 v[40:41], v[40:41], -v[120:121]
	s_delay_alu instid0(VALU_DEP_2) | instskip(NEXT) | instid1(VALU_DEP_1)
	v_fma_f64 v[160:161], v[162:163], v[168:169], v[160:161]
	v_add_f64 v[42:43], v[42:43], -v[160:161]
	ds_load_2addr_b64 v[160:163], v170 offset0:60 offset1:61
	s_waitcnt lgkmcnt(0)
	v_mul_f64 v[120:121], v[162:163], v[122:123]
	s_delay_alu instid0(VALU_DEP_1) | instskip(SKIP_1) | instid1(VALU_DEP_2)
	v_fma_f64 v[120:121], v[160:161], v[168:169], -v[120:121]
	v_mul_f64 v[160:161], v[160:161], v[122:123]
	v_add_f64 v[36:37], v[36:37], -v[120:121]
	s_delay_alu instid0(VALU_DEP_2) | instskip(NEXT) | instid1(VALU_DEP_1)
	v_fma_f64 v[160:161], v[162:163], v[168:169], v[160:161]
	v_add_f64 v[38:39], v[38:39], -v[160:161]
	ds_load_2addr_b64 v[160:163], v170 offset0:62 offset1:63
	s_waitcnt lgkmcnt(0)
	v_mul_f64 v[120:121], v[162:163], v[122:123]
	s_delay_alu instid0(VALU_DEP_1) | instskip(SKIP_1) | instid1(VALU_DEP_2)
	v_fma_f64 v[120:121], v[160:161], v[168:169], -v[120:121]
	v_mul_f64 v[160:161], v[160:161], v[122:123]
	v_add_f64 v[32:33], v[32:33], -v[120:121]
	s_delay_alu instid0(VALU_DEP_2) | instskip(NEXT) | instid1(VALU_DEP_1)
	v_fma_f64 v[160:161], v[162:163], v[168:169], v[160:161]
	v_add_f64 v[34:35], v[34:35], -v[160:161]
	ds_load_2addr_b64 v[160:163], v170 offset0:64 offset1:65
	s_waitcnt lgkmcnt(0)
	v_mul_f64 v[120:121], v[162:163], v[122:123]
	s_delay_alu instid0(VALU_DEP_1) | instskip(SKIP_1) | instid1(VALU_DEP_2)
	v_fma_f64 v[120:121], v[160:161], v[168:169], -v[120:121]
	v_mul_f64 v[160:161], v[160:161], v[122:123]
	v_add_f64 v[28:29], v[28:29], -v[120:121]
	s_delay_alu instid0(VALU_DEP_2) | instskip(NEXT) | instid1(VALU_DEP_1)
	v_fma_f64 v[160:161], v[162:163], v[168:169], v[160:161]
	v_add_f64 v[30:31], v[30:31], -v[160:161]
	ds_load_2addr_b64 v[160:163], v170 offset0:66 offset1:67
	s_waitcnt lgkmcnt(0)
	v_mul_f64 v[120:121], v[162:163], v[122:123]
	s_delay_alu instid0(VALU_DEP_1) | instskip(SKIP_1) | instid1(VALU_DEP_2)
	v_fma_f64 v[120:121], v[160:161], v[168:169], -v[120:121]
	v_mul_f64 v[160:161], v[160:161], v[122:123]
	v_add_f64 v[24:25], v[24:25], -v[120:121]
	s_delay_alu instid0(VALU_DEP_2) | instskip(NEXT) | instid1(VALU_DEP_1)
	v_fma_f64 v[160:161], v[162:163], v[168:169], v[160:161]
	v_add_f64 v[26:27], v[26:27], -v[160:161]
	ds_load_2addr_b64 v[160:163], v170 offset0:68 offset1:69
	s_waitcnt lgkmcnt(0)
	v_mul_f64 v[120:121], v[162:163], v[122:123]
	s_delay_alu instid0(VALU_DEP_1) | instskip(SKIP_1) | instid1(VALU_DEP_2)
	v_fma_f64 v[120:121], v[160:161], v[168:169], -v[120:121]
	v_mul_f64 v[160:161], v[160:161], v[122:123]
	v_add_f64 v[20:21], v[20:21], -v[120:121]
	s_delay_alu instid0(VALU_DEP_2) | instskip(NEXT) | instid1(VALU_DEP_1)
	v_fma_f64 v[160:161], v[162:163], v[168:169], v[160:161]
	v_add_f64 v[22:23], v[22:23], -v[160:161]
	ds_load_2addr_b64 v[160:163], v170 offset0:70 offset1:71
	s_waitcnt lgkmcnt(0)
	v_mul_f64 v[120:121], v[162:163], v[122:123]
	s_delay_alu instid0(VALU_DEP_1) | instskip(SKIP_1) | instid1(VALU_DEP_2)
	v_fma_f64 v[120:121], v[160:161], v[168:169], -v[120:121]
	v_mul_f64 v[160:161], v[160:161], v[122:123]
	v_add_f64 v[16:17], v[16:17], -v[120:121]
	s_delay_alu instid0(VALU_DEP_2) | instskip(NEXT) | instid1(VALU_DEP_1)
	v_fma_f64 v[160:161], v[162:163], v[168:169], v[160:161]
	v_add_f64 v[18:19], v[18:19], -v[160:161]
	ds_load_2addr_b64 v[160:163], v170 offset0:72 offset1:73
	s_waitcnt lgkmcnt(0)
	v_mul_f64 v[120:121], v[162:163], v[122:123]
	s_delay_alu instid0(VALU_DEP_1) | instskip(SKIP_1) | instid1(VALU_DEP_2)
	v_fma_f64 v[120:121], v[160:161], v[168:169], -v[120:121]
	v_mul_f64 v[160:161], v[160:161], v[122:123]
	v_add_f64 v[12:13], v[12:13], -v[120:121]
	s_delay_alu instid0(VALU_DEP_2) | instskip(NEXT) | instid1(VALU_DEP_1)
	v_fma_f64 v[160:161], v[162:163], v[168:169], v[160:161]
	v_add_f64 v[14:15], v[14:15], -v[160:161]
	ds_load_2addr_b64 v[160:163], v170 offset0:74 offset1:75
	s_waitcnt lgkmcnt(0)
	v_mul_f64 v[120:121], v[162:163], v[122:123]
	s_delay_alu instid0(VALU_DEP_1) | instskip(SKIP_1) | instid1(VALU_DEP_2)
	v_fma_f64 v[120:121], v[160:161], v[168:169], -v[120:121]
	v_mul_f64 v[160:161], v[160:161], v[122:123]
	v_add_f64 v[8:9], v[8:9], -v[120:121]
	s_delay_alu instid0(VALU_DEP_2) | instskip(NEXT) | instid1(VALU_DEP_1)
	v_fma_f64 v[160:161], v[162:163], v[168:169], v[160:161]
	v_add_f64 v[10:11], v[10:11], -v[160:161]
	ds_load_2addr_b64 v[160:163], v170 offset0:76 offset1:77
	s_waitcnt lgkmcnt(0)
	v_mul_f64 v[120:121], v[162:163], v[122:123]
	s_delay_alu instid0(VALU_DEP_1) | instskip(SKIP_1) | instid1(VALU_DEP_2)
	v_fma_f64 v[120:121], v[160:161], v[168:169], -v[120:121]
	v_mul_f64 v[160:161], v[160:161], v[122:123]
	v_add_f64 v[4:5], v[4:5], -v[120:121]
	s_delay_alu instid0(VALU_DEP_2) | instskip(NEXT) | instid1(VALU_DEP_1)
	v_fma_f64 v[160:161], v[162:163], v[168:169], v[160:161]
	v_add_f64 v[6:7], v[6:7], -v[160:161]
	ds_load_2addr_b64 v[160:163], v170 offset0:78 offset1:79
	s_waitcnt lgkmcnt(0)
	v_mul_f64 v[120:121], v[162:163], v[122:123]
	s_delay_alu instid0(VALU_DEP_1) | instskip(SKIP_1) | instid1(VALU_DEP_2)
	v_fma_f64 v[120:121], v[160:161], v[168:169], -v[120:121]
	v_mul_f64 v[160:161], v[160:161], v[122:123]
	v_add_f64 v[0:1], v[0:1], -v[120:121]
	s_delay_alu instid0(VALU_DEP_2) | instskip(SKIP_1) | instid1(VALU_DEP_2)
	v_fma_f64 v[160:161], v[162:163], v[168:169], v[160:161]
	v_dual_mov_b32 v120, v168 :: v_dual_mov_b32 v121, v169
	v_add_f64 v[2:3], v[2:3], -v[160:161]
.LBB78_251:
	s_or_b32 exec_lo, exec_lo, s2
	v_lshl_add_u32 v160, v176, 4, v170
	s_barrier
	buffer_gl0_inv
	v_mov_b32_e32 v168, 12
	ds_store_2addr_b64 v160, v[116:117], v[118:119] offset1:1
	s_waitcnt lgkmcnt(0)
	s_barrier
	buffer_gl0_inv
	ds_load_2addr_b64 v[160:163], v170 offset0:24 offset1:25
	s_cmp_lt_i32 s5, 14
	s_cbranch_scc1 .LBB78_254
; %bb.252:
	v_add3_u32 v169, v174, 0, 0xd0
	v_mov_b32_e32 v168, 12
	s_mov_b32 s6, 13
	s_set_inst_prefetch_distance 0x1
	.p2align	6
.LBB78_253:                             ; =>This Inner Loop Header: Depth=1
	ds_load_2addr_b64 v[177:180], v169 offset1:1
	s_waitcnt lgkmcnt(1)
	v_cmp_gt_f64_e32 vcc_lo, 0, v[160:161]
	v_xor_b32_e32 v181, 0x80000000, v161
	v_cmp_gt_f64_e64 s2, 0, v[162:163]
	v_xor_b32_e32 v183, 0x80000000, v163
	v_add_nc_u32_e32 v169, 16, v169
	s_waitcnt lgkmcnt(0)
	v_cmp_gt_f64_e64 s3, 0, v[177:178]
	v_mov_b32_e32 v185, v177
	v_dual_mov_b32 v187, v179 :: v_dual_cndmask_b32 v182, v161, v181
	v_xor_b32_e32 v181, 0x80000000, v178
	v_cndmask_b32_e64 v184, v163, v183, s2
	v_xor_b32_e32 v183, 0x80000000, v180
	s_delay_alu instid0(VALU_DEP_3) | instskip(SKIP_2) | instid1(VALU_DEP_2)
	v_cndmask_b32_e64 v186, v178, v181, s3
	v_cmp_gt_f64_e64 s3, 0, v[179:180]
	v_cndmask_b32_e32 v181, v160, v160, vcc_lo
	v_cndmask_b32_e64 v188, v180, v183, s3
	v_cndmask_b32_e64 v183, v162, v162, s2
	s_delay_alu instid0(VALU_DEP_2) | instskip(NEXT) | instid1(VALU_DEP_2)
	v_add_f64 v[185:186], v[185:186], v[187:188]
	v_add_f64 v[181:182], v[181:182], v[183:184]
	s_delay_alu instid0(VALU_DEP_1) | instskip(SKIP_4) | instid1(SALU_CYCLE_1)
	v_cmp_lt_f64_e32 vcc_lo, v[181:182], v[185:186]
	v_dual_cndmask_b32 v162, v162, v179 :: v_dual_cndmask_b32 v161, v161, v178
	v_dual_cndmask_b32 v160, v160, v177 :: v_dual_cndmask_b32 v163, v163, v180
	v_cndmask_b32_e64 v168, v168, s6, vcc_lo
	s_add_i32 s6, s6, 1
	s_cmp_lg_u32 s5, s6
	s_cbranch_scc1 .LBB78_253
.LBB78_254:
	s_set_inst_prefetch_distance 0x2
	s_waitcnt lgkmcnt(0)
	v_cmp_eq_f64_e32 vcc_lo, 0, v[160:161]
	v_cmp_eq_f64_e64 s2, 0, v[162:163]
	s_delay_alu instid0(VALU_DEP_1) | instskip(NEXT) | instid1(SALU_CYCLE_1)
	s_and_b32 s2, vcc_lo, s2
	s_and_saveexec_b32 s3, s2
	s_delay_alu instid0(SALU_CYCLE_1)
	s_xor_b32 s2, exec_lo, s3
; %bb.255:
	v_cmp_ne_u32_e32 vcc_lo, 0, v173
	v_cndmask_b32_e32 v173, 13, v173, vcc_lo
; %bb.256:
	s_and_not1_saveexec_b32 s3, s2
	s_cbranch_execz .LBB78_262
; %bb.257:
	v_cmp_gt_f64_e32 vcc_lo, 0, v[160:161]
	v_cmp_gt_f64_e64 s2, 0, v[162:163]
	v_xor_b32_e32 v169, 0x80000000, v161
	v_xor_b32_e32 v177, 0x80000000, v163
	s_delay_alu instid0(VALU_DEP_2) | instskip(NEXT) | instid1(VALU_DEP_2)
	v_cndmask_b32_e32 v178, v161, v169, vcc_lo
	v_cndmask_b32_e64 v180, v163, v177, s2
	v_cndmask_b32_e32 v177, v160, v160, vcc_lo
	v_cndmask_b32_e64 v179, v162, v162, s2
	s_mov_b32 s2, exec_lo
	s_delay_alu instid0(VALU_DEP_1)
	v_cmpx_ngt_f64_e32 v[177:178], v[179:180]
	s_xor_b32 s2, exec_lo, s2
	s_cbranch_execz .LBB78_259
; %bb.258:
	v_div_scale_f64 v[177:178], null, v[162:163], v[162:163], v[160:161]
	v_div_scale_f64 v[183:184], vcc_lo, v[160:161], v[162:163], v[160:161]
	s_delay_alu instid0(VALU_DEP_2) | instskip(SKIP_2) | instid1(VALU_DEP_1)
	v_rcp_f64_e32 v[179:180], v[177:178]
	s_waitcnt_depctr 0xfff
	v_fma_f64 v[181:182], -v[177:178], v[179:180], 1.0
	v_fma_f64 v[179:180], v[179:180], v[181:182], v[179:180]
	s_delay_alu instid0(VALU_DEP_1) | instskip(NEXT) | instid1(VALU_DEP_1)
	v_fma_f64 v[181:182], -v[177:178], v[179:180], 1.0
	v_fma_f64 v[179:180], v[179:180], v[181:182], v[179:180]
	s_delay_alu instid0(VALU_DEP_1) | instskip(NEXT) | instid1(VALU_DEP_1)
	v_mul_f64 v[181:182], v[183:184], v[179:180]
	v_fma_f64 v[177:178], -v[177:178], v[181:182], v[183:184]
	s_delay_alu instid0(VALU_DEP_1) | instskip(NEXT) | instid1(VALU_DEP_1)
	v_div_fmas_f64 v[177:178], v[177:178], v[179:180], v[181:182]
	v_div_fixup_f64 v[177:178], v[177:178], v[162:163], v[160:161]
	s_delay_alu instid0(VALU_DEP_1) | instskip(NEXT) | instid1(VALU_DEP_1)
	v_fma_f64 v[160:161], v[160:161], v[177:178], v[162:163]
	v_div_scale_f64 v[162:163], null, v[160:161], v[160:161], 1.0
	s_delay_alu instid0(VALU_DEP_1) | instskip(SKIP_2) | instid1(VALU_DEP_1)
	v_rcp_f64_e32 v[179:180], v[162:163]
	s_waitcnt_depctr 0xfff
	v_fma_f64 v[181:182], -v[162:163], v[179:180], 1.0
	v_fma_f64 v[179:180], v[179:180], v[181:182], v[179:180]
	s_delay_alu instid0(VALU_DEP_1) | instskip(NEXT) | instid1(VALU_DEP_1)
	v_fma_f64 v[181:182], -v[162:163], v[179:180], 1.0
	v_fma_f64 v[179:180], v[179:180], v[181:182], v[179:180]
	v_div_scale_f64 v[181:182], vcc_lo, 1.0, v[160:161], 1.0
	s_delay_alu instid0(VALU_DEP_1) | instskip(NEXT) | instid1(VALU_DEP_1)
	v_mul_f64 v[183:184], v[181:182], v[179:180]
	v_fma_f64 v[162:163], -v[162:163], v[183:184], v[181:182]
	s_delay_alu instid0(VALU_DEP_1) | instskip(NEXT) | instid1(VALU_DEP_1)
	v_div_fmas_f64 v[162:163], v[162:163], v[179:180], v[183:184]
	v_div_fixup_f64 v[162:163], v[162:163], v[160:161], 1.0
	s_delay_alu instid0(VALU_DEP_1)
	v_mul_f64 v[160:161], v[177:178], v[162:163]
	v_xor_b32_e32 v163, 0x80000000, v163
.LBB78_259:
	s_and_not1_saveexec_b32 s2, s2
	s_cbranch_execz .LBB78_261
; %bb.260:
	s_delay_alu instid0(VALU_DEP_1) | instskip(SKIP_1) | instid1(VALU_DEP_2)
	v_div_scale_f64 v[177:178], null, v[160:161], v[160:161], v[162:163]
	v_div_scale_f64 v[183:184], vcc_lo, v[162:163], v[160:161], v[162:163]
	v_rcp_f64_e32 v[179:180], v[177:178]
	s_waitcnt_depctr 0xfff
	v_fma_f64 v[181:182], -v[177:178], v[179:180], 1.0
	s_delay_alu instid0(VALU_DEP_1) | instskip(NEXT) | instid1(VALU_DEP_1)
	v_fma_f64 v[179:180], v[179:180], v[181:182], v[179:180]
	v_fma_f64 v[181:182], -v[177:178], v[179:180], 1.0
	s_delay_alu instid0(VALU_DEP_1) | instskip(NEXT) | instid1(VALU_DEP_1)
	v_fma_f64 v[179:180], v[179:180], v[181:182], v[179:180]
	v_mul_f64 v[181:182], v[183:184], v[179:180]
	s_delay_alu instid0(VALU_DEP_1) | instskip(NEXT) | instid1(VALU_DEP_1)
	v_fma_f64 v[177:178], -v[177:178], v[181:182], v[183:184]
	v_div_fmas_f64 v[177:178], v[177:178], v[179:180], v[181:182]
	s_delay_alu instid0(VALU_DEP_1) | instskip(NEXT) | instid1(VALU_DEP_1)
	v_div_fixup_f64 v[177:178], v[177:178], v[160:161], v[162:163]
	v_fma_f64 v[160:161], v[162:163], v[177:178], v[160:161]
	s_delay_alu instid0(VALU_DEP_1) | instskip(NEXT) | instid1(VALU_DEP_1)
	v_div_scale_f64 v[162:163], null, v[160:161], v[160:161], 1.0
	v_rcp_f64_e32 v[179:180], v[162:163]
	s_waitcnt_depctr 0xfff
	v_fma_f64 v[181:182], -v[162:163], v[179:180], 1.0
	s_delay_alu instid0(VALU_DEP_1) | instskip(NEXT) | instid1(VALU_DEP_1)
	v_fma_f64 v[179:180], v[179:180], v[181:182], v[179:180]
	v_fma_f64 v[181:182], -v[162:163], v[179:180], 1.0
	s_delay_alu instid0(VALU_DEP_1) | instskip(SKIP_1) | instid1(VALU_DEP_1)
	v_fma_f64 v[179:180], v[179:180], v[181:182], v[179:180]
	v_div_scale_f64 v[181:182], vcc_lo, 1.0, v[160:161], 1.0
	v_mul_f64 v[183:184], v[181:182], v[179:180]
	s_delay_alu instid0(VALU_DEP_1) | instskip(NEXT) | instid1(VALU_DEP_1)
	v_fma_f64 v[162:163], -v[162:163], v[183:184], v[181:182]
	v_div_fmas_f64 v[162:163], v[162:163], v[179:180], v[183:184]
	s_delay_alu instid0(VALU_DEP_1) | instskip(NEXT) | instid1(VALU_DEP_1)
	v_div_fixup_f64 v[160:161], v[162:163], v[160:161], 1.0
	v_mul_f64 v[162:163], v[177:178], -v[160:161]
.LBB78_261:
	s_or_b32 exec_lo, exec_lo, s2
.LBB78_262:
	s_delay_alu instid0(SALU_CYCLE_1) | instskip(NEXT) | instid1(SALU_CYCLE_1)
	s_or_b32 exec_lo, exec_lo, s3
	s_mov_b32 s2, exec_lo
	v_cmpx_ne_u32_e64 v176, v168
	s_xor_b32 s2, exec_lo, s2
	s_cbranch_execz .LBB78_268
; %bb.263:
	s_mov_b32 s3, exec_lo
	v_cmpx_eq_u32_e32 12, v176
	s_cbranch_execz .LBB78_267
; %bb.264:
	v_cmp_ne_u32_e32 vcc_lo, 12, v168
	s_xor_b32 s6, s4, -1
	s_delay_alu instid0(SALU_CYCLE_1) | instskip(NEXT) | instid1(SALU_CYCLE_1)
	s_and_b32 s7, s6, vcc_lo
	s_and_saveexec_b32 s6, s7
	s_cbranch_execz .LBB78_266
; %bb.265:
	v_ashrrev_i32_e32 v169, 31, v168
	s_delay_alu instid0(VALU_DEP_1) | instskip(NEXT) | instid1(VALU_DEP_1)
	v_lshlrev_b64 v[175:176], 2, v[168:169]
	v_add_co_u32 v175, vcc_lo, v166, v175
	s_delay_alu instid0(VALU_DEP_2)
	v_add_co_ci_u32_e32 v176, vcc_lo, v167, v176, vcc_lo
	s_clause 0x1
	flat_load_b32 v169, v[175:176]
	flat_load_b32 v177, v[166:167] offset:48
	s_waitcnt vmcnt(1) lgkmcnt(1)
	flat_store_b32 v[166:167], v169 offset:48
	s_waitcnt vmcnt(0) lgkmcnt(1)
	flat_store_b32 v[175:176], v177
.LBB78_266:
	s_or_b32 exec_lo, exec_lo, s6
	v_mov_b32_e32 v176, v168
	v_mov_b32_e32 v175, v168
.LBB78_267:
	s_or_b32 exec_lo, exec_lo, s3
.LBB78_268:
	s_and_not1_saveexec_b32 s2, s2
	s_cbranch_execz .LBB78_270
; %bb.269:
	v_mov_b32_e32 v176, 12
	ds_store_2addr_b64 v170, v[112:113], v[114:115] offset0:26 offset1:27
	ds_store_2addr_b64 v170, v[108:109], v[110:111] offset0:28 offset1:29
	;; [unrolled: 1-line block ×27, first 2 shown]
.LBB78_270:
	s_or_b32 exec_lo, exec_lo, s2
	s_delay_alu instid0(SALU_CYCLE_1)
	s_mov_b32 s2, exec_lo
	s_waitcnt lgkmcnt(0)
	s_waitcnt_vscnt null, 0x0
	s_barrier
	buffer_gl0_inv
	v_cmpx_lt_i32_e32 12, v176
	s_cbranch_execz .LBB78_272
; %bb.271:
	v_mul_f64 v[168:169], v[162:163], v[118:119]
	v_mul_f64 v[118:119], v[160:161], v[118:119]
	s_delay_alu instid0(VALU_DEP_2) | instskip(NEXT) | instid1(VALU_DEP_2)
	v_fma_f64 v[168:169], v[160:161], v[116:117], -v[168:169]
	v_fma_f64 v[118:119], v[162:163], v[116:117], v[118:119]
	ds_load_2addr_b64 v[160:163], v170 offset0:26 offset1:27
	s_waitcnt lgkmcnt(0)
	v_mul_f64 v[116:117], v[162:163], v[118:119]
	s_delay_alu instid0(VALU_DEP_1) | instskip(SKIP_1) | instid1(VALU_DEP_2)
	v_fma_f64 v[116:117], v[160:161], v[168:169], -v[116:117]
	v_mul_f64 v[160:161], v[160:161], v[118:119]
	v_add_f64 v[112:113], v[112:113], -v[116:117]
	s_delay_alu instid0(VALU_DEP_2) | instskip(NEXT) | instid1(VALU_DEP_1)
	v_fma_f64 v[160:161], v[162:163], v[168:169], v[160:161]
	v_add_f64 v[114:115], v[114:115], -v[160:161]
	ds_load_2addr_b64 v[160:163], v170 offset0:28 offset1:29
	s_waitcnt lgkmcnt(0)
	v_mul_f64 v[116:117], v[162:163], v[118:119]
	s_delay_alu instid0(VALU_DEP_1) | instskip(SKIP_1) | instid1(VALU_DEP_2)
	v_fma_f64 v[116:117], v[160:161], v[168:169], -v[116:117]
	v_mul_f64 v[160:161], v[160:161], v[118:119]
	v_add_f64 v[108:109], v[108:109], -v[116:117]
	s_delay_alu instid0(VALU_DEP_2) | instskip(NEXT) | instid1(VALU_DEP_1)
	v_fma_f64 v[160:161], v[162:163], v[168:169], v[160:161]
	v_add_f64 v[110:111], v[110:111], -v[160:161]
	ds_load_2addr_b64 v[160:163], v170 offset0:30 offset1:31
	s_waitcnt lgkmcnt(0)
	v_mul_f64 v[116:117], v[162:163], v[118:119]
	s_delay_alu instid0(VALU_DEP_1) | instskip(SKIP_1) | instid1(VALU_DEP_2)
	v_fma_f64 v[116:117], v[160:161], v[168:169], -v[116:117]
	v_mul_f64 v[160:161], v[160:161], v[118:119]
	v_add_f64 v[104:105], v[104:105], -v[116:117]
	s_delay_alu instid0(VALU_DEP_2) | instskip(NEXT) | instid1(VALU_DEP_1)
	v_fma_f64 v[160:161], v[162:163], v[168:169], v[160:161]
	v_add_f64 v[106:107], v[106:107], -v[160:161]
	ds_load_2addr_b64 v[160:163], v170 offset0:32 offset1:33
	s_waitcnt lgkmcnt(0)
	v_mul_f64 v[116:117], v[162:163], v[118:119]
	s_delay_alu instid0(VALU_DEP_1) | instskip(SKIP_1) | instid1(VALU_DEP_2)
	v_fma_f64 v[116:117], v[160:161], v[168:169], -v[116:117]
	v_mul_f64 v[160:161], v[160:161], v[118:119]
	v_add_f64 v[100:101], v[100:101], -v[116:117]
	s_delay_alu instid0(VALU_DEP_2) | instskip(NEXT) | instid1(VALU_DEP_1)
	v_fma_f64 v[160:161], v[162:163], v[168:169], v[160:161]
	v_add_f64 v[102:103], v[102:103], -v[160:161]
	ds_load_2addr_b64 v[160:163], v170 offset0:34 offset1:35
	s_waitcnt lgkmcnt(0)
	v_mul_f64 v[116:117], v[162:163], v[118:119]
	s_delay_alu instid0(VALU_DEP_1) | instskip(SKIP_1) | instid1(VALU_DEP_2)
	v_fma_f64 v[116:117], v[160:161], v[168:169], -v[116:117]
	v_mul_f64 v[160:161], v[160:161], v[118:119]
	v_add_f64 v[96:97], v[96:97], -v[116:117]
	s_delay_alu instid0(VALU_DEP_2) | instskip(NEXT) | instid1(VALU_DEP_1)
	v_fma_f64 v[160:161], v[162:163], v[168:169], v[160:161]
	v_add_f64 v[98:99], v[98:99], -v[160:161]
	ds_load_2addr_b64 v[160:163], v170 offset0:36 offset1:37
	s_waitcnt lgkmcnt(0)
	v_mul_f64 v[116:117], v[162:163], v[118:119]
	s_delay_alu instid0(VALU_DEP_1) | instskip(SKIP_1) | instid1(VALU_DEP_2)
	v_fma_f64 v[116:117], v[160:161], v[168:169], -v[116:117]
	v_mul_f64 v[160:161], v[160:161], v[118:119]
	v_add_f64 v[92:93], v[92:93], -v[116:117]
	s_delay_alu instid0(VALU_DEP_2) | instskip(NEXT) | instid1(VALU_DEP_1)
	v_fma_f64 v[160:161], v[162:163], v[168:169], v[160:161]
	v_add_f64 v[94:95], v[94:95], -v[160:161]
	ds_load_2addr_b64 v[160:163], v170 offset0:38 offset1:39
	s_waitcnt lgkmcnt(0)
	v_mul_f64 v[116:117], v[162:163], v[118:119]
	s_delay_alu instid0(VALU_DEP_1) | instskip(SKIP_1) | instid1(VALU_DEP_2)
	v_fma_f64 v[116:117], v[160:161], v[168:169], -v[116:117]
	v_mul_f64 v[160:161], v[160:161], v[118:119]
	v_add_f64 v[88:89], v[88:89], -v[116:117]
	s_delay_alu instid0(VALU_DEP_2) | instskip(NEXT) | instid1(VALU_DEP_1)
	v_fma_f64 v[160:161], v[162:163], v[168:169], v[160:161]
	v_add_f64 v[90:91], v[90:91], -v[160:161]
	ds_load_2addr_b64 v[160:163], v170 offset0:40 offset1:41
	s_waitcnt lgkmcnt(0)
	v_mul_f64 v[116:117], v[162:163], v[118:119]
	s_delay_alu instid0(VALU_DEP_1) | instskip(SKIP_1) | instid1(VALU_DEP_2)
	v_fma_f64 v[116:117], v[160:161], v[168:169], -v[116:117]
	v_mul_f64 v[160:161], v[160:161], v[118:119]
	v_add_f64 v[84:85], v[84:85], -v[116:117]
	s_delay_alu instid0(VALU_DEP_2) | instskip(NEXT) | instid1(VALU_DEP_1)
	v_fma_f64 v[160:161], v[162:163], v[168:169], v[160:161]
	v_add_f64 v[86:87], v[86:87], -v[160:161]
	ds_load_2addr_b64 v[160:163], v170 offset0:42 offset1:43
	s_waitcnt lgkmcnt(0)
	v_mul_f64 v[116:117], v[162:163], v[118:119]
	s_delay_alu instid0(VALU_DEP_1) | instskip(SKIP_1) | instid1(VALU_DEP_2)
	v_fma_f64 v[116:117], v[160:161], v[168:169], -v[116:117]
	v_mul_f64 v[160:161], v[160:161], v[118:119]
	v_add_f64 v[80:81], v[80:81], -v[116:117]
	s_delay_alu instid0(VALU_DEP_2) | instskip(NEXT) | instid1(VALU_DEP_1)
	v_fma_f64 v[160:161], v[162:163], v[168:169], v[160:161]
	v_add_f64 v[82:83], v[82:83], -v[160:161]
	ds_load_2addr_b64 v[160:163], v170 offset0:44 offset1:45
	s_waitcnt lgkmcnt(0)
	v_mul_f64 v[116:117], v[162:163], v[118:119]
	s_delay_alu instid0(VALU_DEP_1) | instskip(SKIP_1) | instid1(VALU_DEP_2)
	v_fma_f64 v[116:117], v[160:161], v[168:169], -v[116:117]
	v_mul_f64 v[160:161], v[160:161], v[118:119]
	v_add_f64 v[76:77], v[76:77], -v[116:117]
	s_delay_alu instid0(VALU_DEP_2) | instskip(NEXT) | instid1(VALU_DEP_1)
	v_fma_f64 v[160:161], v[162:163], v[168:169], v[160:161]
	v_add_f64 v[78:79], v[78:79], -v[160:161]
	ds_load_2addr_b64 v[160:163], v170 offset0:46 offset1:47
	s_waitcnt lgkmcnt(0)
	v_mul_f64 v[116:117], v[162:163], v[118:119]
	s_delay_alu instid0(VALU_DEP_1) | instskip(SKIP_1) | instid1(VALU_DEP_2)
	v_fma_f64 v[116:117], v[160:161], v[168:169], -v[116:117]
	v_mul_f64 v[160:161], v[160:161], v[118:119]
	v_add_f64 v[72:73], v[72:73], -v[116:117]
	s_delay_alu instid0(VALU_DEP_2) | instskip(NEXT) | instid1(VALU_DEP_1)
	v_fma_f64 v[160:161], v[162:163], v[168:169], v[160:161]
	v_add_f64 v[74:75], v[74:75], -v[160:161]
	ds_load_2addr_b64 v[160:163], v170 offset0:48 offset1:49
	s_waitcnt lgkmcnt(0)
	v_mul_f64 v[116:117], v[162:163], v[118:119]
	s_delay_alu instid0(VALU_DEP_1) | instskip(SKIP_1) | instid1(VALU_DEP_2)
	v_fma_f64 v[116:117], v[160:161], v[168:169], -v[116:117]
	v_mul_f64 v[160:161], v[160:161], v[118:119]
	v_add_f64 v[68:69], v[68:69], -v[116:117]
	s_delay_alu instid0(VALU_DEP_2) | instskip(NEXT) | instid1(VALU_DEP_1)
	v_fma_f64 v[160:161], v[162:163], v[168:169], v[160:161]
	v_add_f64 v[70:71], v[70:71], -v[160:161]
	ds_load_2addr_b64 v[160:163], v170 offset0:50 offset1:51
	s_waitcnt lgkmcnt(0)
	v_mul_f64 v[116:117], v[162:163], v[118:119]
	s_delay_alu instid0(VALU_DEP_1) | instskip(SKIP_1) | instid1(VALU_DEP_2)
	v_fma_f64 v[116:117], v[160:161], v[168:169], -v[116:117]
	v_mul_f64 v[160:161], v[160:161], v[118:119]
	v_add_f64 v[64:65], v[64:65], -v[116:117]
	s_delay_alu instid0(VALU_DEP_2) | instskip(NEXT) | instid1(VALU_DEP_1)
	v_fma_f64 v[160:161], v[162:163], v[168:169], v[160:161]
	v_add_f64 v[66:67], v[66:67], -v[160:161]
	ds_load_2addr_b64 v[160:163], v170 offset0:52 offset1:53
	s_waitcnt lgkmcnt(0)
	v_mul_f64 v[116:117], v[162:163], v[118:119]
	s_delay_alu instid0(VALU_DEP_1) | instskip(SKIP_1) | instid1(VALU_DEP_2)
	v_fma_f64 v[116:117], v[160:161], v[168:169], -v[116:117]
	v_mul_f64 v[160:161], v[160:161], v[118:119]
	v_add_f64 v[60:61], v[60:61], -v[116:117]
	s_delay_alu instid0(VALU_DEP_2) | instskip(NEXT) | instid1(VALU_DEP_1)
	v_fma_f64 v[160:161], v[162:163], v[168:169], v[160:161]
	v_add_f64 v[62:63], v[62:63], -v[160:161]
	ds_load_2addr_b64 v[160:163], v170 offset0:54 offset1:55
	s_waitcnt lgkmcnt(0)
	v_mul_f64 v[116:117], v[162:163], v[118:119]
	s_delay_alu instid0(VALU_DEP_1) | instskip(SKIP_1) | instid1(VALU_DEP_2)
	v_fma_f64 v[116:117], v[160:161], v[168:169], -v[116:117]
	v_mul_f64 v[160:161], v[160:161], v[118:119]
	v_add_f64 v[56:57], v[56:57], -v[116:117]
	s_delay_alu instid0(VALU_DEP_2) | instskip(NEXT) | instid1(VALU_DEP_1)
	v_fma_f64 v[160:161], v[162:163], v[168:169], v[160:161]
	v_add_f64 v[58:59], v[58:59], -v[160:161]
	ds_load_2addr_b64 v[160:163], v170 offset0:56 offset1:57
	s_waitcnt lgkmcnt(0)
	v_mul_f64 v[116:117], v[162:163], v[118:119]
	s_delay_alu instid0(VALU_DEP_1) | instskip(SKIP_1) | instid1(VALU_DEP_2)
	v_fma_f64 v[116:117], v[160:161], v[168:169], -v[116:117]
	v_mul_f64 v[160:161], v[160:161], v[118:119]
	v_add_f64 v[44:45], v[44:45], -v[116:117]
	s_delay_alu instid0(VALU_DEP_2) | instskip(NEXT) | instid1(VALU_DEP_1)
	v_fma_f64 v[160:161], v[162:163], v[168:169], v[160:161]
	v_add_f64 v[46:47], v[46:47], -v[160:161]
	ds_load_2addr_b64 v[160:163], v170 offset0:58 offset1:59
	s_waitcnt lgkmcnt(0)
	v_mul_f64 v[116:117], v[162:163], v[118:119]
	s_delay_alu instid0(VALU_DEP_1) | instskip(SKIP_1) | instid1(VALU_DEP_2)
	v_fma_f64 v[116:117], v[160:161], v[168:169], -v[116:117]
	v_mul_f64 v[160:161], v[160:161], v[118:119]
	v_add_f64 v[40:41], v[40:41], -v[116:117]
	s_delay_alu instid0(VALU_DEP_2) | instskip(NEXT) | instid1(VALU_DEP_1)
	v_fma_f64 v[160:161], v[162:163], v[168:169], v[160:161]
	v_add_f64 v[42:43], v[42:43], -v[160:161]
	ds_load_2addr_b64 v[160:163], v170 offset0:60 offset1:61
	s_waitcnt lgkmcnt(0)
	v_mul_f64 v[116:117], v[162:163], v[118:119]
	s_delay_alu instid0(VALU_DEP_1) | instskip(SKIP_1) | instid1(VALU_DEP_2)
	v_fma_f64 v[116:117], v[160:161], v[168:169], -v[116:117]
	v_mul_f64 v[160:161], v[160:161], v[118:119]
	v_add_f64 v[36:37], v[36:37], -v[116:117]
	s_delay_alu instid0(VALU_DEP_2) | instskip(NEXT) | instid1(VALU_DEP_1)
	v_fma_f64 v[160:161], v[162:163], v[168:169], v[160:161]
	v_add_f64 v[38:39], v[38:39], -v[160:161]
	ds_load_2addr_b64 v[160:163], v170 offset0:62 offset1:63
	s_waitcnt lgkmcnt(0)
	v_mul_f64 v[116:117], v[162:163], v[118:119]
	s_delay_alu instid0(VALU_DEP_1) | instskip(SKIP_1) | instid1(VALU_DEP_2)
	v_fma_f64 v[116:117], v[160:161], v[168:169], -v[116:117]
	v_mul_f64 v[160:161], v[160:161], v[118:119]
	v_add_f64 v[32:33], v[32:33], -v[116:117]
	s_delay_alu instid0(VALU_DEP_2) | instskip(NEXT) | instid1(VALU_DEP_1)
	v_fma_f64 v[160:161], v[162:163], v[168:169], v[160:161]
	v_add_f64 v[34:35], v[34:35], -v[160:161]
	ds_load_2addr_b64 v[160:163], v170 offset0:64 offset1:65
	s_waitcnt lgkmcnt(0)
	v_mul_f64 v[116:117], v[162:163], v[118:119]
	s_delay_alu instid0(VALU_DEP_1) | instskip(SKIP_1) | instid1(VALU_DEP_2)
	v_fma_f64 v[116:117], v[160:161], v[168:169], -v[116:117]
	v_mul_f64 v[160:161], v[160:161], v[118:119]
	v_add_f64 v[28:29], v[28:29], -v[116:117]
	s_delay_alu instid0(VALU_DEP_2) | instskip(NEXT) | instid1(VALU_DEP_1)
	v_fma_f64 v[160:161], v[162:163], v[168:169], v[160:161]
	v_add_f64 v[30:31], v[30:31], -v[160:161]
	ds_load_2addr_b64 v[160:163], v170 offset0:66 offset1:67
	s_waitcnt lgkmcnt(0)
	v_mul_f64 v[116:117], v[162:163], v[118:119]
	s_delay_alu instid0(VALU_DEP_1) | instskip(SKIP_1) | instid1(VALU_DEP_2)
	v_fma_f64 v[116:117], v[160:161], v[168:169], -v[116:117]
	v_mul_f64 v[160:161], v[160:161], v[118:119]
	v_add_f64 v[24:25], v[24:25], -v[116:117]
	s_delay_alu instid0(VALU_DEP_2) | instskip(NEXT) | instid1(VALU_DEP_1)
	v_fma_f64 v[160:161], v[162:163], v[168:169], v[160:161]
	v_add_f64 v[26:27], v[26:27], -v[160:161]
	ds_load_2addr_b64 v[160:163], v170 offset0:68 offset1:69
	s_waitcnt lgkmcnt(0)
	v_mul_f64 v[116:117], v[162:163], v[118:119]
	s_delay_alu instid0(VALU_DEP_1) | instskip(SKIP_1) | instid1(VALU_DEP_2)
	v_fma_f64 v[116:117], v[160:161], v[168:169], -v[116:117]
	v_mul_f64 v[160:161], v[160:161], v[118:119]
	v_add_f64 v[20:21], v[20:21], -v[116:117]
	s_delay_alu instid0(VALU_DEP_2) | instskip(NEXT) | instid1(VALU_DEP_1)
	v_fma_f64 v[160:161], v[162:163], v[168:169], v[160:161]
	v_add_f64 v[22:23], v[22:23], -v[160:161]
	ds_load_2addr_b64 v[160:163], v170 offset0:70 offset1:71
	s_waitcnt lgkmcnt(0)
	v_mul_f64 v[116:117], v[162:163], v[118:119]
	s_delay_alu instid0(VALU_DEP_1) | instskip(SKIP_1) | instid1(VALU_DEP_2)
	v_fma_f64 v[116:117], v[160:161], v[168:169], -v[116:117]
	v_mul_f64 v[160:161], v[160:161], v[118:119]
	v_add_f64 v[16:17], v[16:17], -v[116:117]
	s_delay_alu instid0(VALU_DEP_2) | instskip(NEXT) | instid1(VALU_DEP_1)
	v_fma_f64 v[160:161], v[162:163], v[168:169], v[160:161]
	v_add_f64 v[18:19], v[18:19], -v[160:161]
	ds_load_2addr_b64 v[160:163], v170 offset0:72 offset1:73
	s_waitcnt lgkmcnt(0)
	v_mul_f64 v[116:117], v[162:163], v[118:119]
	s_delay_alu instid0(VALU_DEP_1) | instskip(SKIP_1) | instid1(VALU_DEP_2)
	v_fma_f64 v[116:117], v[160:161], v[168:169], -v[116:117]
	v_mul_f64 v[160:161], v[160:161], v[118:119]
	v_add_f64 v[12:13], v[12:13], -v[116:117]
	s_delay_alu instid0(VALU_DEP_2) | instskip(NEXT) | instid1(VALU_DEP_1)
	v_fma_f64 v[160:161], v[162:163], v[168:169], v[160:161]
	v_add_f64 v[14:15], v[14:15], -v[160:161]
	ds_load_2addr_b64 v[160:163], v170 offset0:74 offset1:75
	s_waitcnt lgkmcnt(0)
	v_mul_f64 v[116:117], v[162:163], v[118:119]
	s_delay_alu instid0(VALU_DEP_1) | instskip(SKIP_1) | instid1(VALU_DEP_2)
	v_fma_f64 v[116:117], v[160:161], v[168:169], -v[116:117]
	v_mul_f64 v[160:161], v[160:161], v[118:119]
	v_add_f64 v[8:9], v[8:9], -v[116:117]
	s_delay_alu instid0(VALU_DEP_2) | instskip(NEXT) | instid1(VALU_DEP_1)
	v_fma_f64 v[160:161], v[162:163], v[168:169], v[160:161]
	v_add_f64 v[10:11], v[10:11], -v[160:161]
	ds_load_2addr_b64 v[160:163], v170 offset0:76 offset1:77
	s_waitcnt lgkmcnt(0)
	v_mul_f64 v[116:117], v[162:163], v[118:119]
	s_delay_alu instid0(VALU_DEP_1) | instskip(SKIP_1) | instid1(VALU_DEP_2)
	v_fma_f64 v[116:117], v[160:161], v[168:169], -v[116:117]
	v_mul_f64 v[160:161], v[160:161], v[118:119]
	v_add_f64 v[4:5], v[4:5], -v[116:117]
	s_delay_alu instid0(VALU_DEP_2) | instskip(NEXT) | instid1(VALU_DEP_1)
	v_fma_f64 v[160:161], v[162:163], v[168:169], v[160:161]
	v_add_f64 v[6:7], v[6:7], -v[160:161]
	ds_load_2addr_b64 v[160:163], v170 offset0:78 offset1:79
	s_waitcnt lgkmcnt(0)
	v_mul_f64 v[116:117], v[162:163], v[118:119]
	s_delay_alu instid0(VALU_DEP_1) | instskip(SKIP_1) | instid1(VALU_DEP_2)
	v_fma_f64 v[116:117], v[160:161], v[168:169], -v[116:117]
	v_mul_f64 v[160:161], v[160:161], v[118:119]
	v_add_f64 v[0:1], v[0:1], -v[116:117]
	s_delay_alu instid0(VALU_DEP_2) | instskip(SKIP_1) | instid1(VALU_DEP_2)
	v_fma_f64 v[160:161], v[162:163], v[168:169], v[160:161]
	v_dual_mov_b32 v116, v168 :: v_dual_mov_b32 v117, v169
	v_add_f64 v[2:3], v[2:3], -v[160:161]
.LBB78_272:
	s_or_b32 exec_lo, exec_lo, s2
	v_lshl_add_u32 v160, v176, 4, v170
	s_barrier
	buffer_gl0_inv
	v_mov_b32_e32 v168, 13
	ds_store_2addr_b64 v160, v[112:113], v[114:115] offset1:1
	s_waitcnt lgkmcnt(0)
	s_barrier
	buffer_gl0_inv
	ds_load_2addr_b64 v[160:163], v170 offset0:26 offset1:27
	s_cmp_lt_i32 s5, 15
	s_cbranch_scc1 .LBB78_275
; %bb.273:
	v_add3_u32 v169, v174, 0, 0xe0
	v_mov_b32_e32 v168, 13
	s_mov_b32 s6, 14
	s_set_inst_prefetch_distance 0x1
	.p2align	6
.LBB78_274:                             ; =>This Inner Loop Header: Depth=1
	ds_load_2addr_b64 v[177:180], v169 offset1:1
	s_waitcnt lgkmcnt(1)
	v_cmp_gt_f64_e32 vcc_lo, 0, v[160:161]
	v_xor_b32_e32 v181, 0x80000000, v161
	v_cmp_gt_f64_e64 s2, 0, v[162:163]
	v_xor_b32_e32 v183, 0x80000000, v163
	v_add_nc_u32_e32 v169, 16, v169
	s_waitcnt lgkmcnt(0)
	v_cmp_gt_f64_e64 s3, 0, v[177:178]
	v_mov_b32_e32 v185, v177
	v_dual_mov_b32 v187, v179 :: v_dual_cndmask_b32 v182, v161, v181
	v_xor_b32_e32 v181, 0x80000000, v178
	v_cndmask_b32_e64 v184, v163, v183, s2
	v_xor_b32_e32 v183, 0x80000000, v180
	s_delay_alu instid0(VALU_DEP_3) | instskip(SKIP_2) | instid1(VALU_DEP_2)
	v_cndmask_b32_e64 v186, v178, v181, s3
	v_cmp_gt_f64_e64 s3, 0, v[179:180]
	v_cndmask_b32_e32 v181, v160, v160, vcc_lo
	v_cndmask_b32_e64 v188, v180, v183, s3
	v_cndmask_b32_e64 v183, v162, v162, s2
	s_delay_alu instid0(VALU_DEP_2) | instskip(NEXT) | instid1(VALU_DEP_2)
	v_add_f64 v[185:186], v[185:186], v[187:188]
	v_add_f64 v[181:182], v[181:182], v[183:184]
	s_delay_alu instid0(VALU_DEP_1) | instskip(SKIP_4) | instid1(SALU_CYCLE_1)
	v_cmp_lt_f64_e32 vcc_lo, v[181:182], v[185:186]
	v_dual_cndmask_b32 v162, v162, v179 :: v_dual_cndmask_b32 v161, v161, v178
	v_dual_cndmask_b32 v160, v160, v177 :: v_dual_cndmask_b32 v163, v163, v180
	v_cndmask_b32_e64 v168, v168, s6, vcc_lo
	s_add_i32 s6, s6, 1
	s_cmp_lg_u32 s5, s6
	s_cbranch_scc1 .LBB78_274
.LBB78_275:
	s_set_inst_prefetch_distance 0x2
	s_waitcnt lgkmcnt(0)
	v_cmp_eq_f64_e32 vcc_lo, 0, v[160:161]
	v_cmp_eq_f64_e64 s2, 0, v[162:163]
	s_delay_alu instid0(VALU_DEP_1) | instskip(NEXT) | instid1(SALU_CYCLE_1)
	s_and_b32 s2, vcc_lo, s2
	s_and_saveexec_b32 s3, s2
	s_delay_alu instid0(SALU_CYCLE_1)
	s_xor_b32 s2, exec_lo, s3
; %bb.276:
	v_cmp_ne_u32_e32 vcc_lo, 0, v173
	v_cndmask_b32_e32 v173, 14, v173, vcc_lo
; %bb.277:
	s_and_not1_saveexec_b32 s3, s2
	s_cbranch_execz .LBB78_283
; %bb.278:
	v_cmp_gt_f64_e32 vcc_lo, 0, v[160:161]
	v_cmp_gt_f64_e64 s2, 0, v[162:163]
	v_xor_b32_e32 v169, 0x80000000, v161
	v_xor_b32_e32 v177, 0x80000000, v163
	s_delay_alu instid0(VALU_DEP_2) | instskip(NEXT) | instid1(VALU_DEP_2)
	v_cndmask_b32_e32 v178, v161, v169, vcc_lo
	v_cndmask_b32_e64 v180, v163, v177, s2
	v_cndmask_b32_e32 v177, v160, v160, vcc_lo
	v_cndmask_b32_e64 v179, v162, v162, s2
	s_mov_b32 s2, exec_lo
	s_delay_alu instid0(VALU_DEP_1)
	v_cmpx_ngt_f64_e32 v[177:178], v[179:180]
	s_xor_b32 s2, exec_lo, s2
	s_cbranch_execz .LBB78_280
; %bb.279:
	v_div_scale_f64 v[177:178], null, v[162:163], v[162:163], v[160:161]
	v_div_scale_f64 v[183:184], vcc_lo, v[160:161], v[162:163], v[160:161]
	s_delay_alu instid0(VALU_DEP_2) | instskip(SKIP_2) | instid1(VALU_DEP_1)
	v_rcp_f64_e32 v[179:180], v[177:178]
	s_waitcnt_depctr 0xfff
	v_fma_f64 v[181:182], -v[177:178], v[179:180], 1.0
	v_fma_f64 v[179:180], v[179:180], v[181:182], v[179:180]
	s_delay_alu instid0(VALU_DEP_1) | instskip(NEXT) | instid1(VALU_DEP_1)
	v_fma_f64 v[181:182], -v[177:178], v[179:180], 1.0
	v_fma_f64 v[179:180], v[179:180], v[181:182], v[179:180]
	s_delay_alu instid0(VALU_DEP_1) | instskip(NEXT) | instid1(VALU_DEP_1)
	v_mul_f64 v[181:182], v[183:184], v[179:180]
	v_fma_f64 v[177:178], -v[177:178], v[181:182], v[183:184]
	s_delay_alu instid0(VALU_DEP_1) | instskip(NEXT) | instid1(VALU_DEP_1)
	v_div_fmas_f64 v[177:178], v[177:178], v[179:180], v[181:182]
	v_div_fixup_f64 v[177:178], v[177:178], v[162:163], v[160:161]
	s_delay_alu instid0(VALU_DEP_1) | instskip(NEXT) | instid1(VALU_DEP_1)
	v_fma_f64 v[160:161], v[160:161], v[177:178], v[162:163]
	v_div_scale_f64 v[162:163], null, v[160:161], v[160:161], 1.0
	s_delay_alu instid0(VALU_DEP_1) | instskip(SKIP_2) | instid1(VALU_DEP_1)
	v_rcp_f64_e32 v[179:180], v[162:163]
	s_waitcnt_depctr 0xfff
	v_fma_f64 v[181:182], -v[162:163], v[179:180], 1.0
	v_fma_f64 v[179:180], v[179:180], v[181:182], v[179:180]
	s_delay_alu instid0(VALU_DEP_1) | instskip(NEXT) | instid1(VALU_DEP_1)
	v_fma_f64 v[181:182], -v[162:163], v[179:180], 1.0
	v_fma_f64 v[179:180], v[179:180], v[181:182], v[179:180]
	v_div_scale_f64 v[181:182], vcc_lo, 1.0, v[160:161], 1.0
	s_delay_alu instid0(VALU_DEP_1) | instskip(NEXT) | instid1(VALU_DEP_1)
	v_mul_f64 v[183:184], v[181:182], v[179:180]
	v_fma_f64 v[162:163], -v[162:163], v[183:184], v[181:182]
	s_delay_alu instid0(VALU_DEP_1) | instskip(NEXT) | instid1(VALU_DEP_1)
	v_div_fmas_f64 v[162:163], v[162:163], v[179:180], v[183:184]
	v_div_fixup_f64 v[162:163], v[162:163], v[160:161], 1.0
	s_delay_alu instid0(VALU_DEP_1)
	v_mul_f64 v[160:161], v[177:178], v[162:163]
	v_xor_b32_e32 v163, 0x80000000, v163
.LBB78_280:
	s_and_not1_saveexec_b32 s2, s2
	s_cbranch_execz .LBB78_282
; %bb.281:
	s_delay_alu instid0(VALU_DEP_1) | instskip(SKIP_1) | instid1(VALU_DEP_2)
	v_div_scale_f64 v[177:178], null, v[160:161], v[160:161], v[162:163]
	v_div_scale_f64 v[183:184], vcc_lo, v[162:163], v[160:161], v[162:163]
	v_rcp_f64_e32 v[179:180], v[177:178]
	s_waitcnt_depctr 0xfff
	v_fma_f64 v[181:182], -v[177:178], v[179:180], 1.0
	s_delay_alu instid0(VALU_DEP_1) | instskip(NEXT) | instid1(VALU_DEP_1)
	v_fma_f64 v[179:180], v[179:180], v[181:182], v[179:180]
	v_fma_f64 v[181:182], -v[177:178], v[179:180], 1.0
	s_delay_alu instid0(VALU_DEP_1) | instskip(NEXT) | instid1(VALU_DEP_1)
	v_fma_f64 v[179:180], v[179:180], v[181:182], v[179:180]
	v_mul_f64 v[181:182], v[183:184], v[179:180]
	s_delay_alu instid0(VALU_DEP_1) | instskip(NEXT) | instid1(VALU_DEP_1)
	v_fma_f64 v[177:178], -v[177:178], v[181:182], v[183:184]
	v_div_fmas_f64 v[177:178], v[177:178], v[179:180], v[181:182]
	s_delay_alu instid0(VALU_DEP_1) | instskip(NEXT) | instid1(VALU_DEP_1)
	v_div_fixup_f64 v[177:178], v[177:178], v[160:161], v[162:163]
	v_fma_f64 v[160:161], v[162:163], v[177:178], v[160:161]
	s_delay_alu instid0(VALU_DEP_1) | instskip(NEXT) | instid1(VALU_DEP_1)
	v_div_scale_f64 v[162:163], null, v[160:161], v[160:161], 1.0
	v_rcp_f64_e32 v[179:180], v[162:163]
	s_waitcnt_depctr 0xfff
	v_fma_f64 v[181:182], -v[162:163], v[179:180], 1.0
	s_delay_alu instid0(VALU_DEP_1) | instskip(NEXT) | instid1(VALU_DEP_1)
	v_fma_f64 v[179:180], v[179:180], v[181:182], v[179:180]
	v_fma_f64 v[181:182], -v[162:163], v[179:180], 1.0
	s_delay_alu instid0(VALU_DEP_1) | instskip(SKIP_1) | instid1(VALU_DEP_1)
	v_fma_f64 v[179:180], v[179:180], v[181:182], v[179:180]
	v_div_scale_f64 v[181:182], vcc_lo, 1.0, v[160:161], 1.0
	v_mul_f64 v[183:184], v[181:182], v[179:180]
	s_delay_alu instid0(VALU_DEP_1) | instskip(NEXT) | instid1(VALU_DEP_1)
	v_fma_f64 v[162:163], -v[162:163], v[183:184], v[181:182]
	v_div_fmas_f64 v[162:163], v[162:163], v[179:180], v[183:184]
	s_delay_alu instid0(VALU_DEP_1) | instskip(NEXT) | instid1(VALU_DEP_1)
	v_div_fixup_f64 v[160:161], v[162:163], v[160:161], 1.0
	v_mul_f64 v[162:163], v[177:178], -v[160:161]
.LBB78_282:
	s_or_b32 exec_lo, exec_lo, s2
.LBB78_283:
	s_delay_alu instid0(SALU_CYCLE_1) | instskip(NEXT) | instid1(SALU_CYCLE_1)
	s_or_b32 exec_lo, exec_lo, s3
	s_mov_b32 s2, exec_lo
	v_cmpx_ne_u32_e64 v176, v168
	s_xor_b32 s2, exec_lo, s2
	s_cbranch_execz .LBB78_289
; %bb.284:
	s_mov_b32 s3, exec_lo
	v_cmpx_eq_u32_e32 13, v176
	s_cbranch_execz .LBB78_288
; %bb.285:
	v_cmp_ne_u32_e32 vcc_lo, 13, v168
	s_xor_b32 s6, s4, -1
	s_delay_alu instid0(SALU_CYCLE_1) | instskip(NEXT) | instid1(SALU_CYCLE_1)
	s_and_b32 s7, s6, vcc_lo
	s_and_saveexec_b32 s6, s7
	s_cbranch_execz .LBB78_287
; %bb.286:
	v_ashrrev_i32_e32 v169, 31, v168
	s_delay_alu instid0(VALU_DEP_1) | instskip(NEXT) | instid1(VALU_DEP_1)
	v_lshlrev_b64 v[175:176], 2, v[168:169]
	v_add_co_u32 v175, vcc_lo, v166, v175
	s_delay_alu instid0(VALU_DEP_2)
	v_add_co_ci_u32_e32 v176, vcc_lo, v167, v176, vcc_lo
	s_clause 0x1
	flat_load_b32 v169, v[175:176]
	flat_load_b32 v177, v[166:167] offset:52
	s_waitcnt vmcnt(1) lgkmcnt(1)
	flat_store_b32 v[166:167], v169 offset:52
	s_waitcnt vmcnt(0) lgkmcnt(1)
	flat_store_b32 v[175:176], v177
.LBB78_287:
	s_or_b32 exec_lo, exec_lo, s6
	v_mov_b32_e32 v176, v168
	v_mov_b32_e32 v175, v168
.LBB78_288:
	s_or_b32 exec_lo, exec_lo, s3
.LBB78_289:
	s_and_not1_saveexec_b32 s2, s2
	s_cbranch_execz .LBB78_291
; %bb.290:
	v_mov_b32_e32 v176, 13
	ds_store_2addr_b64 v170, v[108:109], v[110:111] offset0:28 offset1:29
	ds_store_2addr_b64 v170, v[104:105], v[106:107] offset0:30 offset1:31
	;; [unrolled: 1-line block ×26, first 2 shown]
.LBB78_291:
	s_or_b32 exec_lo, exec_lo, s2
	s_delay_alu instid0(SALU_CYCLE_1)
	s_mov_b32 s2, exec_lo
	s_waitcnt lgkmcnt(0)
	s_waitcnt_vscnt null, 0x0
	s_barrier
	buffer_gl0_inv
	v_cmpx_lt_i32_e32 13, v176
	s_cbranch_execz .LBB78_293
; %bb.292:
	v_mul_f64 v[168:169], v[162:163], v[114:115]
	v_mul_f64 v[114:115], v[160:161], v[114:115]
	s_delay_alu instid0(VALU_DEP_2) | instskip(NEXT) | instid1(VALU_DEP_2)
	v_fma_f64 v[168:169], v[160:161], v[112:113], -v[168:169]
	v_fma_f64 v[114:115], v[162:163], v[112:113], v[114:115]
	ds_load_2addr_b64 v[160:163], v170 offset0:28 offset1:29
	s_waitcnt lgkmcnt(0)
	v_mul_f64 v[112:113], v[162:163], v[114:115]
	s_delay_alu instid0(VALU_DEP_1) | instskip(SKIP_1) | instid1(VALU_DEP_2)
	v_fma_f64 v[112:113], v[160:161], v[168:169], -v[112:113]
	v_mul_f64 v[160:161], v[160:161], v[114:115]
	v_add_f64 v[108:109], v[108:109], -v[112:113]
	s_delay_alu instid0(VALU_DEP_2) | instskip(NEXT) | instid1(VALU_DEP_1)
	v_fma_f64 v[160:161], v[162:163], v[168:169], v[160:161]
	v_add_f64 v[110:111], v[110:111], -v[160:161]
	ds_load_2addr_b64 v[160:163], v170 offset0:30 offset1:31
	s_waitcnt lgkmcnt(0)
	v_mul_f64 v[112:113], v[162:163], v[114:115]
	s_delay_alu instid0(VALU_DEP_1) | instskip(SKIP_1) | instid1(VALU_DEP_2)
	v_fma_f64 v[112:113], v[160:161], v[168:169], -v[112:113]
	v_mul_f64 v[160:161], v[160:161], v[114:115]
	v_add_f64 v[104:105], v[104:105], -v[112:113]
	s_delay_alu instid0(VALU_DEP_2) | instskip(NEXT) | instid1(VALU_DEP_1)
	v_fma_f64 v[160:161], v[162:163], v[168:169], v[160:161]
	v_add_f64 v[106:107], v[106:107], -v[160:161]
	;; [unrolled: 10-line block ×25, first 2 shown]
	ds_load_2addr_b64 v[160:163], v170 offset0:78 offset1:79
	s_waitcnt lgkmcnt(0)
	v_mul_f64 v[112:113], v[162:163], v[114:115]
	s_delay_alu instid0(VALU_DEP_1) | instskip(SKIP_1) | instid1(VALU_DEP_2)
	v_fma_f64 v[112:113], v[160:161], v[168:169], -v[112:113]
	v_mul_f64 v[160:161], v[160:161], v[114:115]
	v_add_f64 v[0:1], v[0:1], -v[112:113]
	s_delay_alu instid0(VALU_DEP_2) | instskip(SKIP_1) | instid1(VALU_DEP_2)
	v_fma_f64 v[160:161], v[162:163], v[168:169], v[160:161]
	v_dual_mov_b32 v112, v168 :: v_dual_mov_b32 v113, v169
	v_add_f64 v[2:3], v[2:3], -v[160:161]
.LBB78_293:
	s_or_b32 exec_lo, exec_lo, s2
	v_lshl_add_u32 v160, v176, 4, v170
	s_barrier
	buffer_gl0_inv
	v_mov_b32_e32 v168, 14
	ds_store_2addr_b64 v160, v[108:109], v[110:111] offset1:1
	s_waitcnt lgkmcnt(0)
	s_barrier
	buffer_gl0_inv
	ds_load_2addr_b64 v[160:163], v170 offset0:28 offset1:29
	s_cmp_lt_i32 s5, 16
	s_cbranch_scc1 .LBB78_296
; %bb.294:
	v_add3_u32 v169, v174, 0, 0xf0
	v_mov_b32_e32 v168, 14
	s_mov_b32 s6, 15
	s_set_inst_prefetch_distance 0x1
	.p2align	6
.LBB78_295:                             ; =>This Inner Loop Header: Depth=1
	ds_load_2addr_b64 v[177:180], v169 offset1:1
	s_waitcnt lgkmcnt(1)
	v_cmp_gt_f64_e32 vcc_lo, 0, v[160:161]
	v_xor_b32_e32 v181, 0x80000000, v161
	v_cmp_gt_f64_e64 s2, 0, v[162:163]
	v_xor_b32_e32 v183, 0x80000000, v163
	v_add_nc_u32_e32 v169, 16, v169
	s_waitcnt lgkmcnt(0)
	v_cmp_gt_f64_e64 s3, 0, v[177:178]
	v_mov_b32_e32 v185, v177
	v_dual_mov_b32 v187, v179 :: v_dual_cndmask_b32 v182, v161, v181
	v_xor_b32_e32 v181, 0x80000000, v178
	v_cndmask_b32_e64 v184, v163, v183, s2
	v_xor_b32_e32 v183, 0x80000000, v180
	s_delay_alu instid0(VALU_DEP_3) | instskip(SKIP_2) | instid1(VALU_DEP_2)
	v_cndmask_b32_e64 v186, v178, v181, s3
	v_cmp_gt_f64_e64 s3, 0, v[179:180]
	v_cndmask_b32_e32 v181, v160, v160, vcc_lo
	v_cndmask_b32_e64 v188, v180, v183, s3
	v_cndmask_b32_e64 v183, v162, v162, s2
	s_delay_alu instid0(VALU_DEP_2) | instskip(NEXT) | instid1(VALU_DEP_2)
	v_add_f64 v[185:186], v[185:186], v[187:188]
	v_add_f64 v[181:182], v[181:182], v[183:184]
	s_delay_alu instid0(VALU_DEP_1) | instskip(SKIP_4) | instid1(SALU_CYCLE_1)
	v_cmp_lt_f64_e32 vcc_lo, v[181:182], v[185:186]
	v_dual_cndmask_b32 v162, v162, v179 :: v_dual_cndmask_b32 v161, v161, v178
	v_dual_cndmask_b32 v160, v160, v177 :: v_dual_cndmask_b32 v163, v163, v180
	v_cndmask_b32_e64 v168, v168, s6, vcc_lo
	s_add_i32 s6, s6, 1
	s_cmp_lg_u32 s5, s6
	s_cbranch_scc1 .LBB78_295
.LBB78_296:
	s_set_inst_prefetch_distance 0x2
	s_waitcnt lgkmcnt(0)
	v_cmp_eq_f64_e32 vcc_lo, 0, v[160:161]
	v_cmp_eq_f64_e64 s2, 0, v[162:163]
	s_delay_alu instid0(VALU_DEP_1) | instskip(NEXT) | instid1(SALU_CYCLE_1)
	s_and_b32 s2, vcc_lo, s2
	s_and_saveexec_b32 s3, s2
	s_delay_alu instid0(SALU_CYCLE_1)
	s_xor_b32 s2, exec_lo, s3
; %bb.297:
	v_cmp_ne_u32_e32 vcc_lo, 0, v173
	v_cndmask_b32_e32 v173, 15, v173, vcc_lo
; %bb.298:
	s_and_not1_saveexec_b32 s3, s2
	s_cbranch_execz .LBB78_304
; %bb.299:
	v_cmp_gt_f64_e32 vcc_lo, 0, v[160:161]
	v_cmp_gt_f64_e64 s2, 0, v[162:163]
	v_xor_b32_e32 v169, 0x80000000, v161
	v_xor_b32_e32 v177, 0x80000000, v163
	s_delay_alu instid0(VALU_DEP_2) | instskip(NEXT) | instid1(VALU_DEP_2)
	v_cndmask_b32_e32 v178, v161, v169, vcc_lo
	v_cndmask_b32_e64 v180, v163, v177, s2
	v_cndmask_b32_e32 v177, v160, v160, vcc_lo
	v_cndmask_b32_e64 v179, v162, v162, s2
	s_mov_b32 s2, exec_lo
	s_delay_alu instid0(VALU_DEP_1)
	v_cmpx_ngt_f64_e32 v[177:178], v[179:180]
	s_xor_b32 s2, exec_lo, s2
	s_cbranch_execz .LBB78_301
; %bb.300:
	v_div_scale_f64 v[177:178], null, v[162:163], v[162:163], v[160:161]
	v_div_scale_f64 v[183:184], vcc_lo, v[160:161], v[162:163], v[160:161]
	s_delay_alu instid0(VALU_DEP_2) | instskip(SKIP_2) | instid1(VALU_DEP_1)
	v_rcp_f64_e32 v[179:180], v[177:178]
	s_waitcnt_depctr 0xfff
	v_fma_f64 v[181:182], -v[177:178], v[179:180], 1.0
	v_fma_f64 v[179:180], v[179:180], v[181:182], v[179:180]
	s_delay_alu instid0(VALU_DEP_1) | instskip(NEXT) | instid1(VALU_DEP_1)
	v_fma_f64 v[181:182], -v[177:178], v[179:180], 1.0
	v_fma_f64 v[179:180], v[179:180], v[181:182], v[179:180]
	s_delay_alu instid0(VALU_DEP_1) | instskip(NEXT) | instid1(VALU_DEP_1)
	v_mul_f64 v[181:182], v[183:184], v[179:180]
	v_fma_f64 v[177:178], -v[177:178], v[181:182], v[183:184]
	s_delay_alu instid0(VALU_DEP_1) | instskip(NEXT) | instid1(VALU_DEP_1)
	v_div_fmas_f64 v[177:178], v[177:178], v[179:180], v[181:182]
	v_div_fixup_f64 v[177:178], v[177:178], v[162:163], v[160:161]
	s_delay_alu instid0(VALU_DEP_1) | instskip(NEXT) | instid1(VALU_DEP_1)
	v_fma_f64 v[160:161], v[160:161], v[177:178], v[162:163]
	v_div_scale_f64 v[162:163], null, v[160:161], v[160:161], 1.0
	s_delay_alu instid0(VALU_DEP_1) | instskip(SKIP_2) | instid1(VALU_DEP_1)
	v_rcp_f64_e32 v[179:180], v[162:163]
	s_waitcnt_depctr 0xfff
	v_fma_f64 v[181:182], -v[162:163], v[179:180], 1.0
	v_fma_f64 v[179:180], v[179:180], v[181:182], v[179:180]
	s_delay_alu instid0(VALU_DEP_1) | instskip(NEXT) | instid1(VALU_DEP_1)
	v_fma_f64 v[181:182], -v[162:163], v[179:180], 1.0
	v_fma_f64 v[179:180], v[179:180], v[181:182], v[179:180]
	v_div_scale_f64 v[181:182], vcc_lo, 1.0, v[160:161], 1.0
	s_delay_alu instid0(VALU_DEP_1) | instskip(NEXT) | instid1(VALU_DEP_1)
	v_mul_f64 v[183:184], v[181:182], v[179:180]
	v_fma_f64 v[162:163], -v[162:163], v[183:184], v[181:182]
	s_delay_alu instid0(VALU_DEP_1) | instskip(NEXT) | instid1(VALU_DEP_1)
	v_div_fmas_f64 v[162:163], v[162:163], v[179:180], v[183:184]
	v_div_fixup_f64 v[162:163], v[162:163], v[160:161], 1.0
	s_delay_alu instid0(VALU_DEP_1)
	v_mul_f64 v[160:161], v[177:178], v[162:163]
	v_xor_b32_e32 v163, 0x80000000, v163
.LBB78_301:
	s_and_not1_saveexec_b32 s2, s2
	s_cbranch_execz .LBB78_303
; %bb.302:
	s_delay_alu instid0(VALU_DEP_1) | instskip(SKIP_1) | instid1(VALU_DEP_2)
	v_div_scale_f64 v[177:178], null, v[160:161], v[160:161], v[162:163]
	v_div_scale_f64 v[183:184], vcc_lo, v[162:163], v[160:161], v[162:163]
	v_rcp_f64_e32 v[179:180], v[177:178]
	s_waitcnt_depctr 0xfff
	v_fma_f64 v[181:182], -v[177:178], v[179:180], 1.0
	s_delay_alu instid0(VALU_DEP_1) | instskip(NEXT) | instid1(VALU_DEP_1)
	v_fma_f64 v[179:180], v[179:180], v[181:182], v[179:180]
	v_fma_f64 v[181:182], -v[177:178], v[179:180], 1.0
	s_delay_alu instid0(VALU_DEP_1) | instskip(NEXT) | instid1(VALU_DEP_1)
	v_fma_f64 v[179:180], v[179:180], v[181:182], v[179:180]
	v_mul_f64 v[181:182], v[183:184], v[179:180]
	s_delay_alu instid0(VALU_DEP_1) | instskip(NEXT) | instid1(VALU_DEP_1)
	v_fma_f64 v[177:178], -v[177:178], v[181:182], v[183:184]
	v_div_fmas_f64 v[177:178], v[177:178], v[179:180], v[181:182]
	s_delay_alu instid0(VALU_DEP_1) | instskip(NEXT) | instid1(VALU_DEP_1)
	v_div_fixup_f64 v[177:178], v[177:178], v[160:161], v[162:163]
	v_fma_f64 v[160:161], v[162:163], v[177:178], v[160:161]
	s_delay_alu instid0(VALU_DEP_1) | instskip(NEXT) | instid1(VALU_DEP_1)
	v_div_scale_f64 v[162:163], null, v[160:161], v[160:161], 1.0
	v_rcp_f64_e32 v[179:180], v[162:163]
	s_waitcnt_depctr 0xfff
	v_fma_f64 v[181:182], -v[162:163], v[179:180], 1.0
	s_delay_alu instid0(VALU_DEP_1) | instskip(NEXT) | instid1(VALU_DEP_1)
	v_fma_f64 v[179:180], v[179:180], v[181:182], v[179:180]
	v_fma_f64 v[181:182], -v[162:163], v[179:180], 1.0
	s_delay_alu instid0(VALU_DEP_1) | instskip(SKIP_1) | instid1(VALU_DEP_1)
	v_fma_f64 v[179:180], v[179:180], v[181:182], v[179:180]
	v_div_scale_f64 v[181:182], vcc_lo, 1.0, v[160:161], 1.0
	v_mul_f64 v[183:184], v[181:182], v[179:180]
	s_delay_alu instid0(VALU_DEP_1) | instskip(NEXT) | instid1(VALU_DEP_1)
	v_fma_f64 v[162:163], -v[162:163], v[183:184], v[181:182]
	v_div_fmas_f64 v[162:163], v[162:163], v[179:180], v[183:184]
	s_delay_alu instid0(VALU_DEP_1) | instskip(NEXT) | instid1(VALU_DEP_1)
	v_div_fixup_f64 v[160:161], v[162:163], v[160:161], 1.0
	v_mul_f64 v[162:163], v[177:178], -v[160:161]
.LBB78_303:
	s_or_b32 exec_lo, exec_lo, s2
.LBB78_304:
	s_delay_alu instid0(SALU_CYCLE_1) | instskip(NEXT) | instid1(SALU_CYCLE_1)
	s_or_b32 exec_lo, exec_lo, s3
	s_mov_b32 s2, exec_lo
	v_cmpx_ne_u32_e64 v176, v168
	s_xor_b32 s2, exec_lo, s2
	s_cbranch_execz .LBB78_310
; %bb.305:
	s_mov_b32 s3, exec_lo
	v_cmpx_eq_u32_e32 14, v176
	s_cbranch_execz .LBB78_309
; %bb.306:
	v_cmp_ne_u32_e32 vcc_lo, 14, v168
	s_xor_b32 s6, s4, -1
	s_delay_alu instid0(SALU_CYCLE_1) | instskip(NEXT) | instid1(SALU_CYCLE_1)
	s_and_b32 s7, s6, vcc_lo
	s_and_saveexec_b32 s6, s7
	s_cbranch_execz .LBB78_308
; %bb.307:
	v_ashrrev_i32_e32 v169, 31, v168
	s_delay_alu instid0(VALU_DEP_1) | instskip(NEXT) | instid1(VALU_DEP_1)
	v_lshlrev_b64 v[175:176], 2, v[168:169]
	v_add_co_u32 v175, vcc_lo, v166, v175
	s_delay_alu instid0(VALU_DEP_2)
	v_add_co_ci_u32_e32 v176, vcc_lo, v167, v176, vcc_lo
	s_clause 0x1
	flat_load_b32 v169, v[175:176]
	flat_load_b32 v177, v[166:167] offset:56
	s_waitcnt vmcnt(1) lgkmcnt(1)
	flat_store_b32 v[166:167], v169 offset:56
	s_waitcnt vmcnt(0) lgkmcnt(1)
	flat_store_b32 v[175:176], v177
.LBB78_308:
	s_or_b32 exec_lo, exec_lo, s6
	v_mov_b32_e32 v176, v168
	v_mov_b32_e32 v175, v168
.LBB78_309:
	s_or_b32 exec_lo, exec_lo, s3
.LBB78_310:
	s_and_not1_saveexec_b32 s2, s2
	s_cbranch_execz .LBB78_312
; %bb.311:
	v_mov_b32_e32 v176, 14
	ds_store_2addr_b64 v170, v[104:105], v[106:107] offset0:30 offset1:31
	ds_store_2addr_b64 v170, v[100:101], v[102:103] offset0:32 offset1:33
	;; [unrolled: 1-line block ×25, first 2 shown]
.LBB78_312:
	s_or_b32 exec_lo, exec_lo, s2
	s_delay_alu instid0(SALU_CYCLE_1)
	s_mov_b32 s2, exec_lo
	s_waitcnt lgkmcnt(0)
	s_waitcnt_vscnt null, 0x0
	s_barrier
	buffer_gl0_inv
	v_cmpx_lt_i32_e32 14, v176
	s_cbranch_execz .LBB78_314
; %bb.313:
	v_mul_f64 v[168:169], v[162:163], v[110:111]
	v_mul_f64 v[110:111], v[160:161], v[110:111]
	s_delay_alu instid0(VALU_DEP_2) | instskip(NEXT) | instid1(VALU_DEP_2)
	v_fma_f64 v[168:169], v[160:161], v[108:109], -v[168:169]
	v_fma_f64 v[110:111], v[162:163], v[108:109], v[110:111]
	ds_load_2addr_b64 v[160:163], v170 offset0:30 offset1:31
	s_waitcnt lgkmcnt(0)
	v_mul_f64 v[108:109], v[162:163], v[110:111]
	s_delay_alu instid0(VALU_DEP_1) | instskip(SKIP_1) | instid1(VALU_DEP_2)
	v_fma_f64 v[108:109], v[160:161], v[168:169], -v[108:109]
	v_mul_f64 v[160:161], v[160:161], v[110:111]
	v_add_f64 v[104:105], v[104:105], -v[108:109]
	s_delay_alu instid0(VALU_DEP_2) | instskip(NEXT) | instid1(VALU_DEP_1)
	v_fma_f64 v[160:161], v[162:163], v[168:169], v[160:161]
	v_add_f64 v[106:107], v[106:107], -v[160:161]
	ds_load_2addr_b64 v[160:163], v170 offset0:32 offset1:33
	s_waitcnt lgkmcnt(0)
	v_mul_f64 v[108:109], v[162:163], v[110:111]
	s_delay_alu instid0(VALU_DEP_1) | instskip(SKIP_1) | instid1(VALU_DEP_2)
	v_fma_f64 v[108:109], v[160:161], v[168:169], -v[108:109]
	v_mul_f64 v[160:161], v[160:161], v[110:111]
	v_add_f64 v[100:101], v[100:101], -v[108:109]
	s_delay_alu instid0(VALU_DEP_2) | instskip(NEXT) | instid1(VALU_DEP_1)
	v_fma_f64 v[160:161], v[162:163], v[168:169], v[160:161]
	v_add_f64 v[102:103], v[102:103], -v[160:161]
	;; [unrolled: 10-line block ×24, first 2 shown]
	ds_load_2addr_b64 v[160:163], v170 offset0:78 offset1:79
	s_waitcnt lgkmcnt(0)
	v_mul_f64 v[108:109], v[162:163], v[110:111]
	s_delay_alu instid0(VALU_DEP_1) | instskip(SKIP_1) | instid1(VALU_DEP_2)
	v_fma_f64 v[108:109], v[160:161], v[168:169], -v[108:109]
	v_mul_f64 v[160:161], v[160:161], v[110:111]
	v_add_f64 v[0:1], v[0:1], -v[108:109]
	s_delay_alu instid0(VALU_DEP_2) | instskip(SKIP_1) | instid1(VALU_DEP_2)
	v_fma_f64 v[160:161], v[162:163], v[168:169], v[160:161]
	v_dual_mov_b32 v108, v168 :: v_dual_mov_b32 v109, v169
	v_add_f64 v[2:3], v[2:3], -v[160:161]
.LBB78_314:
	s_or_b32 exec_lo, exec_lo, s2
	v_lshl_add_u32 v160, v176, 4, v170
	s_barrier
	buffer_gl0_inv
	v_mov_b32_e32 v168, 15
	ds_store_2addr_b64 v160, v[104:105], v[106:107] offset1:1
	s_waitcnt lgkmcnt(0)
	s_barrier
	buffer_gl0_inv
	ds_load_2addr_b64 v[160:163], v170 offset0:30 offset1:31
	s_cmp_lt_i32 s5, 17
	s_cbranch_scc1 .LBB78_317
; %bb.315:
	v_add3_u32 v169, v174, 0, 0x100
	v_mov_b32_e32 v168, 15
	s_mov_b32 s6, 16
	s_set_inst_prefetch_distance 0x1
	.p2align	6
.LBB78_316:                             ; =>This Inner Loop Header: Depth=1
	ds_load_2addr_b64 v[177:180], v169 offset1:1
	s_waitcnt lgkmcnt(1)
	v_cmp_gt_f64_e32 vcc_lo, 0, v[160:161]
	v_xor_b32_e32 v181, 0x80000000, v161
	v_cmp_gt_f64_e64 s2, 0, v[162:163]
	v_xor_b32_e32 v183, 0x80000000, v163
	v_add_nc_u32_e32 v169, 16, v169
	s_waitcnt lgkmcnt(0)
	v_cmp_gt_f64_e64 s3, 0, v[177:178]
	v_mov_b32_e32 v185, v177
	v_dual_mov_b32 v187, v179 :: v_dual_cndmask_b32 v182, v161, v181
	v_xor_b32_e32 v181, 0x80000000, v178
	v_cndmask_b32_e64 v184, v163, v183, s2
	v_xor_b32_e32 v183, 0x80000000, v180
	s_delay_alu instid0(VALU_DEP_3) | instskip(SKIP_2) | instid1(VALU_DEP_2)
	v_cndmask_b32_e64 v186, v178, v181, s3
	v_cmp_gt_f64_e64 s3, 0, v[179:180]
	v_cndmask_b32_e32 v181, v160, v160, vcc_lo
	v_cndmask_b32_e64 v188, v180, v183, s3
	v_cndmask_b32_e64 v183, v162, v162, s2
	s_delay_alu instid0(VALU_DEP_2) | instskip(NEXT) | instid1(VALU_DEP_2)
	v_add_f64 v[185:186], v[185:186], v[187:188]
	v_add_f64 v[181:182], v[181:182], v[183:184]
	s_delay_alu instid0(VALU_DEP_1) | instskip(SKIP_4) | instid1(SALU_CYCLE_1)
	v_cmp_lt_f64_e32 vcc_lo, v[181:182], v[185:186]
	v_dual_cndmask_b32 v162, v162, v179 :: v_dual_cndmask_b32 v161, v161, v178
	v_dual_cndmask_b32 v160, v160, v177 :: v_dual_cndmask_b32 v163, v163, v180
	v_cndmask_b32_e64 v168, v168, s6, vcc_lo
	s_add_i32 s6, s6, 1
	s_cmp_lg_u32 s5, s6
	s_cbranch_scc1 .LBB78_316
.LBB78_317:
	s_set_inst_prefetch_distance 0x2
	s_waitcnt lgkmcnt(0)
	v_cmp_eq_f64_e32 vcc_lo, 0, v[160:161]
	v_cmp_eq_f64_e64 s2, 0, v[162:163]
	s_delay_alu instid0(VALU_DEP_1) | instskip(NEXT) | instid1(SALU_CYCLE_1)
	s_and_b32 s2, vcc_lo, s2
	s_and_saveexec_b32 s3, s2
	s_delay_alu instid0(SALU_CYCLE_1)
	s_xor_b32 s2, exec_lo, s3
; %bb.318:
	v_cmp_ne_u32_e32 vcc_lo, 0, v173
	v_cndmask_b32_e32 v173, 16, v173, vcc_lo
; %bb.319:
	s_and_not1_saveexec_b32 s3, s2
	s_cbranch_execz .LBB78_325
; %bb.320:
	v_cmp_gt_f64_e32 vcc_lo, 0, v[160:161]
	v_cmp_gt_f64_e64 s2, 0, v[162:163]
	v_xor_b32_e32 v169, 0x80000000, v161
	v_xor_b32_e32 v177, 0x80000000, v163
	s_delay_alu instid0(VALU_DEP_2) | instskip(NEXT) | instid1(VALU_DEP_2)
	v_cndmask_b32_e32 v178, v161, v169, vcc_lo
	v_cndmask_b32_e64 v180, v163, v177, s2
	v_cndmask_b32_e32 v177, v160, v160, vcc_lo
	v_cndmask_b32_e64 v179, v162, v162, s2
	s_mov_b32 s2, exec_lo
	s_delay_alu instid0(VALU_DEP_1)
	v_cmpx_ngt_f64_e32 v[177:178], v[179:180]
	s_xor_b32 s2, exec_lo, s2
	s_cbranch_execz .LBB78_322
; %bb.321:
	v_div_scale_f64 v[177:178], null, v[162:163], v[162:163], v[160:161]
	v_div_scale_f64 v[183:184], vcc_lo, v[160:161], v[162:163], v[160:161]
	s_delay_alu instid0(VALU_DEP_2) | instskip(SKIP_2) | instid1(VALU_DEP_1)
	v_rcp_f64_e32 v[179:180], v[177:178]
	s_waitcnt_depctr 0xfff
	v_fma_f64 v[181:182], -v[177:178], v[179:180], 1.0
	v_fma_f64 v[179:180], v[179:180], v[181:182], v[179:180]
	s_delay_alu instid0(VALU_DEP_1) | instskip(NEXT) | instid1(VALU_DEP_1)
	v_fma_f64 v[181:182], -v[177:178], v[179:180], 1.0
	v_fma_f64 v[179:180], v[179:180], v[181:182], v[179:180]
	s_delay_alu instid0(VALU_DEP_1) | instskip(NEXT) | instid1(VALU_DEP_1)
	v_mul_f64 v[181:182], v[183:184], v[179:180]
	v_fma_f64 v[177:178], -v[177:178], v[181:182], v[183:184]
	s_delay_alu instid0(VALU_DEP_1) | instskip(NEXT) | instid1(VALU_DEP_1)
	v_div_fmas_f64 v[177:178], v[177:178], v[179:180], v[181:182]
	v_div_fixup_f64 v[177:178], v[177:178], v[162:163], v[160:161]
	s_delay_alu instid0(VALU_DEP_1) | instskip(NEXT) | instid1(VALU_DEP_1)
	v_fma_f64 v[160:161], v[160:161], v[177:178], v[162:163]
	v_div_scale_f64 v[162:163], null, v[160:161], v[160:161], 1.0
	s_delay_alu instid0(VALU_DEP_1) | instskip(SKIP_2) | instid1(VALU_DEP_1)
	v_rcp_f64_e32 v[179:180], v[162:163]
	s_waitcnt_depctr 0xfff
	v_fma_f64 v[181:182], -v[162:163], v[179:180], 1.0
	v_fma_f64 v[179:180], v[179:180], v[181:182], v[179:180]
	s_delay_alu instid0(VALU_DEP_1) | instskip(NEXT) | instid1(VALU_DEP_1)
	v_fma_f64 v[181:182], -v[162:163], v[179:180], 1.0
	v_fma_f64 v[179:180], v[179:180], v[181:182], v[179:180]
	v_div_scale_f64 v[181:182], vcc_lo, 1.0, v[160:161], 1.0
	s_delay_alu instid0(VALU_DEP_1) | instskip(NEXT) | instid1(VALU_DEP_1)
	v_mul_f64 v[183:184], v[181:182], v[179:180]
	v_fma_f64 v[162:163], -v[162:163], v[183:184], v[181:182]
	s_delay_alu instid0(VALU_DEP_1) | instskip(NEXT) | instid1(VALU_DEP_1)
	v_div_fmas_f64 v[162:163], v[162:163], v[179:180], v[183:184]
	v_div_fixup_f64 v[162:163], v[162:163], v[160:161], 1.0
	s_delay_alu instid0(VALU_DEP_1)
	v_mul_f64 v[160:161], v[177:178], v[162:163]
	v_xor_b32_e32 v163, 0x80000000, v163
.LBB78_322:
	s_and_not1_saveexec_b32 s2, s2
	s_cbranch_execz .LBB78_324
; %bb.323:
	s_delay_alu instid0(VALU_DEP_1) | instskip(SKIP_1) | instid1(VALU_DEP_2)
	v_div_scale_f64 v[177:178], null, v[160:161], v[160:161], v[162:163]
	v_div_scale_f64 v[183:184], vcc_lo, v[162:163], v[160:161], v[162:163]
	v_rcp_f64_e32 v[179:180], v[177:178]
	s_waitcnt_depctr 0xfff
	v_fma_f64 v[181:182], -v[177:178], v[179:180], 1.0
	s_delay_alu instid0(VALU_DEP_1) | instskip(NEXT) | instid1(VALU_DEP_1)
	v_fma_f64 v[179:180], v[179:180], v[181:182], v[179:180]
	v_fma_f64 v[181:182], -v[177:178], v[179:180], 1.0
	s_delay_alu instid0(VALU_DEP_1) | instskip(NEXT) | instid1(VALU_DEP_1)
	v_fma_f64 v[179:180], v[179:180], v[181:182], v[179:180]
	v_mul_f64 v[181:182], v[183:184], v[179:180]
	s_delay_alu instid0(VALU_DEP_1) | instskip(NEXT) | instid1(VALU_DEP_1)
	v_fma_f64 v[177:178], -v[177:178], v[181:182], v[183:184]
	v_div_fmas_f64 v[177:178], v[177:178], v[179:180], v[181:182]
	s_delay_alu instid0(VALU_DEP_1) | instskip(NEXT) | instid1(VALU_DEP_1)
	v_div_fixup_f64 v[177:178], v[177:178], v[160:161], v[162:163]
	v_fma_f64 v[160:161], v[162:163], v[177:178], v[160:161]
	s_delay_alu instid0(VALU_DEP_1) | instskip(NEXT) | instid1(VALU_DEP_1)
	v_div_scale_f64 v[162:163], null, v[160:161], v[160:161], 1.0
	v_rcp_f64_e32 v[179:180], v[162:163]
	s_waitcnt_depctr 0xfff
	v_fma_f64 v[181:182], -v[162:163], v[179:180], 1.0
	s_delay_alu instid0(VALU_DEP_1) | instskip(NEXT) | instid1(VALU_DEP_1)
	v_fma_f64 v[179:180], v[179:180], v[181:182], v[179:180]
	v_fma_f64 v[181:182], -v[162:163], v[179:180], 1.0
	s_delay_alu instid0(VALU_DEP_1) | instskip(SKIP_1) | instid1(VALU_DEP_1)
	v_fma_f64 v[179:180], v[179:180], v[181:182], v[179:180]
	v_div_scale_f64 v[181:182], vcc_lo, 1.0, v[160:161], 1.0
	v_mul_f64 v[183:184], v[181:182], v[179:180]
	s_delay_alu instid0(VALU_DEP_1) | instskip(NEXT) | instid1(VALU_DEP_1)
	v_fma_f64 v[162:163], -v[162:163], v[183:184], v[181:182]
	v_div_fmas_f64 v[162:163], v[162:163], v[179:180], v[183:184]
	s_delay_alu instid0(VALU_DEP_1) | instskip(NEXT) | instid1(VALU_DEP_1)
	v_div_fixup_f64 v[160:161], v[162:163], v[160:161], 1.0
	v_mul_f64 v[162:163], v[177:178], -v[160:161]
.LBB78_324:
	s_or_b32 exec_lo, exec_lo, s2
.LBB78_325:
	s_delay_alu instid0(SALU_CYCLE_1) | instskip(NEXT) | instid1(SALU_CYCLE_1)
	s_or_b32 exec_lo, exec_lo, s3
	s_mov_b32 s2, exec_lo
	v_cmpx_ne_u32_e64 v176, v168
	s_xor_b32 s2, exec_lo, s2
	s_cbranch_execz .LBB78_331
; %bb.326:
	s_mov_b32 s3, exec_lo
	v_cmpx_eq_u32_e32 15, v176
	s_cbranch_execz .LBB78_330
; %bb.327:
	v_cmp_ne_u32_e32 vcc_lo, 15, v168
	s_xor_b32 s6, s4, -1
	s_delay_alu instid0(SALU_CYCLE_1) | instskip(NEXT) | instid1(SALU_CYCLE_1)
	s_and_b32 s7, s6, vcc_lo
	s_and_saveexec_b32 s6, s7
	s_cbranch_execz .LBB78_329
; %bb.328:
	v_ashrrev_i32_e32 v169, 31, v168
	s_delay_alu instid0(VALU_DEP_1) | instskip(NEXT) | instid1(VALU_DEP_1)
	v_lshlrev_b64 v[175:176], 2, v[168:169]
	v_add_co_u32 v175, vcc_lo, v166, v175
	s_delay_alu instid0(VALU_DEP_2)
	v_add_co_ci_u32_e32 v176, vcc_lo, v167, v176, vcc_lo
	s_clause 0x1
	flat_load_b32 v169, v[175:176]
	flat_load_b32 v177, v[166:167] offset:60
	s_waitcnt vmcnt(1) lgkmcnt(1)
	flat_store_b32 v[166:167], v169 offset:60
	s_waitcnt vmcnt(0) lgkmcnt(1)
	flat_store_b32 v[175:176], v177
.LBB78_329:
	s_or_b32 exec_lo, exec_lo, s6
	v_mov_b32_e32 v176, v168
	v_mov_b32_e32 v175, v168
.LBB78_330:
	s_or_b32 exec_lo, exec_lo, s3
.LBB78_331:
	s_and_not1_saveexec_b32 s2, s2
	s_cbranch_execz .LBB78_333
; %bb.332:
	v_mov_b32_e32 v176, 15
	ds_store_2addr_b64 v170, v[100:101], v[102:103] offset0:32 offset1:33
	ds_store_2addr_b64 v170, v[96:97], v[98:99] offset0:34 offset1:35
	;; [unrolled: 1-line block ×24, first 2 shown]
.LBB78_333:
	s_or_b32 exec_lo, exec_lo, s2
	s_delay_alu instid0(SALU_CYCLE_1)
	s_mov_b32 s2, exec_lo
	s_waitcnt lgkmcnt(0)
	s_waitcnt_vscnt null, 0x0
	s_barrier
	buffer_gl0_inv
	v_cmpx_lt_i32_e32 15, v176
	s_cbranch_execz .LBB78_335
; %bb.334:
	v_mul_f64 v[168:169], v[162:163], v[106:107]
	v_mul_f64 v[106:107], v[160:161], v[106:107]
	s_delay_alu instid0(VALU_DEP_2) | instskip(NEXT) | instid1(VALU_DEP_2)
	v_fma_f64 v[168:169], v[160:161], v[104:105], -v[168:169]
	v_fma_f64 v[106:107], v[162:163], v[104:105], v[106:107]
	ds_load_2addr_b64 v[160:163], v170 offset0:32 offset1:33
	s_waitcnt lgkmcnt(0)
	v_mul_f64 v[104:105], v[162:163], v[106:107]
	s_delay_alu instid0(VALU_DEP_1) | instskip(SKIP_1) | instid1(VALU_DEP_2)
	v_fma_f64 v[104:105], v[160:161], v[168:169], -v[104:105]
	v_mul_f64 v[160:161], v[160:161], v[106:107]
	v_add_f64 v[100:101], v[100:101], -v[104:105]
	s_delay_alu instid0(VALU_DEP_2) | instskip(NEXT) | instid1(VALU_DEP_1)
	v_fma_f64 v[160:161], v[162:163], v[168:169], v[160:161]
	v_add_f64 v[102:103], v[102:103], -v[160:161]
	ds_load_2addr_b64 v[160:163], v170 offset0:34 offset1:35
	s_waitcnt lgkmcnt(0)
	v_mul_f64 v[104:105], v[162:163], v[106:107]
	s_delay_alu instid0(VALU_DEP_1) | instskip(SKIP_1) | instid1(VALU_DEP_2)
	v_fma_f64 v[104:105], v[160:161], v[168:169], -v[104:105]
	v_mul_f64 v[160:161], v[160:161], v[106:107]
	v_add_f64 v[96:97], v[96:97], -v[104:105]
	s_delay_alu instid0(VALU_DEP_2) | instskip(NEXT) | instid1(VALU_DEP_1)
	v_fma_f64 v[160:161], v[162:163], v[168:169], v[160:161]
	v_add_f64 v[98:99], v[98:99], -v[160:161]
	;; [unrolled: 10-line block ×23, first 2 shown]
	ds_load_2addr_b64 v[160:163], v170 offset0:78 offset1:79
	s_waitcnt lgkmcnt(0)
	v_mul_f64 v[104:105], v[162:163], v[106:107]
	s_delay_alu instid0(VALU_DEP_1) | instskip(SKIP_1) | instid1(VALU_DEP_2)
	v_fma_f64 v[104:105], v[160:161], v[168:169], -v[104:105]
	v_mul_f64 v[160:161], v[160:161], v[106:107]
	v_add_f64 v[0:1], v[0:1], -v[104:105]
	s_delay_alu instid0(VALU_DEP_2) | instskip(SKIP_1) | instid1(VALU_DEP_2)
	v_fma_f64 v[160:161], v[162:163], v[168:169], v[160:161]
	v_dual_mov_b32 v104, v168 :: v_dual_mov_b32 v105, v169
	v_add_f64 v[2:3], v[2:3], -v[160:161]
.LBB78_335:
	s_or_b32 exec_lo, exec_lo, s2
	v_lshl_add_u32 v160, v176, 4, v170
	s_barrier
	buffer_gl0_inv
	v_mov_b32_e32 v168, 16
	ds_store_2addr_b64 v160, v[100:101], v[102:103] offset1:1
	s_waitcnt lgkmcnt(0)
	s_barrier
	buffer_gl0_inv
	ds_load_2addr_b64 v[160:163], v170 offset0:32 offset1:33
	s_cmp_lt_i32 s5, 18
	s_cbranch_scc1 .LBB78_338
; %bb.336:
	v_add3_u32 v169, v174, 0, 0x110
	v_mov_b32_e32 v168, 16
	s_mov_b32 s6, 17
	s_set_inst_prefetch_distance 0x1
	.p2align	6
.LBB78_337:                             ; =>This Inner Loop Header: Depth=1
	ds_load_2addr_b64 v[177:180], v169 offset1:1
	s_waitcnt lgkmcnt(1)
	v_cmp_gt_f64_e32 vcc_lo, 0, v[160:161]
	v_xor_b32_e32 v181, 0x80000000, v161
	v_cmp_gt_f64_e64 s2, 0, v[162:163]
	v_xor_b32_e32 v183, 0x80000000, v163
	v_add_nc_u32_e32 v169, 16, v169
	s_waitcnt lgkmcnt(0)
	v_cmp_gt_f64_e64 s3, 0, v[177:178]
	v_mov_b32_e32 v185, v177
	v_dual_mov_b32 v187, v179 :: v_dual_cndmask_b32 v182, v161, v181
	v_xor_b32_e32 v181, 0x80000000, v178
	v_cndmask_b32_e64 v184, v163, v183, s2
	v_xor_b32_e32 v183, 0x80000000, v180
	s_delay_alu instid0(VALU_DEP_3) | instskip(SKIP_2) | instid1(VALU_DEP_2)
	v_cndmask_b32_e64 v186, v178, v181, s3
	v_cmp_gt_f64_e64 s3, 0, v[179:180]
	v_cndmask_b32_e32 v181, v160, v160, vcc_lo
	v_cndmask_b32_e64 v188, v180, v183, s3
	v_cndmask_b32_e64 v183, v162, v162, s2
	s_delay_alu instid0(VALU_DEP_2) | instskip(NEXT) | instid1(VALU_DEP_2)
	v_add_f64 v[185:186], v[185:186], v[187:188]
	v_add_f64 v[181:182], v[181:182], v[183:184]
	s_delay_alu instid0(VALU_DEP_1) | instskip(SKIP_4) | instid1(SALU_CYCLE_1)
	v_cmp_lt_f64_e32 vcc_lo, v[181:182], v[185:186]
	v_dual_cndmask_b32 v162, v162, v179 :: v_dual_cndmask_b32 v161, v161, v178
	v_dual_cndmask_b32 v160, v160, v177 :: v_dual_cndmask_b32 v163, v163, v180
	v_cndmask_b32_e64 v168, v168, s6, vcc_lo
	s_add_i32 s6, s6, 1
	s_cmp_lg_u32 s5, s6
	s_cbranch_scc1 .LBB78_337
.LBB78_338:
	s_set_inst_prefetch_distance 0x2
	s_waitcnt lgkmcnt(0)
	v_cmp_eq_f64_e32 vcc_lo, 0, v[160:161]
	v_cmp_eq_f64_e64 s2, 0, v[162:163]
	s_delay_alu instid0(VALU_DEP_1) | instskip(NEXT) | instid1(SALU_CYCLE_1)
	s_and_b32 s2, vcc_lo, s2
	s_and_saveexec_b32 s3, s2
	s_delay_alu instid0(SALU_CYCLE_1)
	s_xor_b32 s2, exec_lo, s3
; %bb.339:
	v_cmp_ne_u32_e32 vcc_lo, 0, v173
	v_cndmask_b32_e32 v173, 17, v173, vcc_lo
; %bb.340:
	s_and_not1_saveexec_b32 s3, s2
	s_cbranch_execz .LBB78_346
; %bb.341:
	v_cmp_gt_f64_e32 vcc_lo, 0, v[160:161]
	v_cmp_gt_f64_e64 s2, 0, v[162:163]
	v_xor_b32_e32 v169, 0x80000000, v161
	v_xor_b32_e32 v177, 0x80000000, v163
	s_delay_alu instid0(VALU_DEP_2) | instskip(NEXT) | instid1(VALU_DEP_2)
	v_cndmask_b32_e32 v178, v161, v169, vcc_lo
	v_cndmask_b32_e64 v180, v163, v177, s2
	v_cndmask_b32_e32 v177, v160, v160, vcc_lo
	v_cndmask_b32_e64 v179, v162, v162, s2
	s_mov_b32 s2, exec_lo
	s_delay_alu instid0(VALU_DEP_1)
	v_cmpx_ngt_f64_e32 v[177:178], v[179:180]
	s_xor_b32 s2, exec_lo, s2
	s_cbranch_execz .LBB78_343
; %bb.342:
	v_div_scale_f64 v[177:178], null, v[162:163], v[162:163], v[160:161]
	v_div_scale_f64 v[183:184], vcc_lo, v[160:161], v[162:163], v[160:161]
	s_delay_alu instid0(VALU_DEP_2) | instskip(SKIP_2) | instid1(VALU_DEP_1)
	v_rcp_f64_e32 v[179:180], v[177:178]
	s_waitcnt_depctr 0xfff
	v_fma_f64 v[181:182], -v[177:178], v[179:180], 1.0
	v_fma_f64 v[179:180], v[179:180], v[181:182], v[179:180]
	s_delay_alu instid0(VALU_DEP_1) | instskip(NEXT) | instid1(VALU_DEP_1)
	v_fma_f64 v[181:182], -v[177:178], v[179:180], 1.0
	v_fma_f64 v[179:180], v[179:180], v[181:182], v[179:180]
	s_delay_alu instid0(VALU_DEP_1) | instskip(NEXT) | instid1(VALU_DEP_1)
	v_mul_f64 v[181:182], v[183:184], v[179:180]
	v_fma_f64 v[177:178], -v[177:178], v[181:182], v[183:184]
	s_delay_alu instid0(VALU_DEP_1) | instskip(NEXT) | instid1(VALU_DEP_1)
	v_div_fmas_f64 v[177:178], v[177:178], v[179:180], v[181:182]
	v_div_fixup_f64 v[177:178], v[177:178], v[162:163], v[160:161]
	s_delay_alu instid0(VALU_DEP_1) | instskip(NEXT) | instid1(VALU_DEP_1)
	v_fma_f64 v[160:161], v[160:161], v[177:178], v[162:163]
	v_div_scale_f64 v[162:163], null, v[160:161], v[160:161], 1.0
	s_delay_alu instid0(VALU_DEP_1) | instskip(SKIP_2) | instid1(VALU_DEP_1)
	v_rcp_f64_e32 v[179:180], v[162:163]
	s_waitcnt_depctr 0xfff
	v_fma_f64 v[181:182], -v[162:163], v[179:180], 1.0
	v_fma_f64 v[179:180], v[179:180], v[181:182], v[179:180]
	s_delay_alu instid0(VALU_DEP_1) | instskip(NEXT) | instid1(VALU_DEP_1)
	v_fma_f64 v[181:182], -v[162:163], v[179:180], 1.0
	v_fma_f64 v[179:180], v[179:180], v[181:182], v[179:180]
	v_div_scale_f64 v[181:182], vcc_lo, 1.0, v[160:161], 1.0
	s_delay_alu instid0(VALU_DEP_1) | instskip(NEXT) | instid1(VALU_DEP_1)
	v_mul_f64 v[183:184], v[181:182], v[179:180]
	v_fma_f64 v[162:163], -v[162:163], v[183:184], v[181:182]
	s_delay_alu instid0(VALU_DEP_1) | instskip(NEXT) | instid1(VALU_DEP_1)
	v_div_fmas_f64 v[162:163], v[162:163], v[179:180], v[183:184]
	v_div_fixup_f64 v[162:163], v[162:163], v[160:161], 1.0
	s_delay_alu instid0(VALU_DEP_1)
	v_mul_f64 v[160:161], v[177:178], v[162:163]
	v_xor_b32_e32 v163, 0x80000000, v163
.LBB78_343:
	s_and_not1_saveexec_b32 s2, s2
	s_cbranch_execz .LBB78_345
; %bb.344:
	s_delay_alu instid0(VALU_DEP_1) | instskip(SKIP_1) | instid1(VALU_DEP_2)
	v_div_scale_f64 v[177:178], null, v[160:161], v[160:161], v[162:163]
	v_div_scale_f64 v[183:184], vcc_lo, v[162:163], v[160:161], v[162:163]
	v_rcp_f64_e32 v[179:180], v[177:178]
	s_waitcnt_depctr 0xfff
	v_fma_f64 v[181:182], -v[177:178], v[179:180], 1.0
	s_delay_alu instid0(VALU_DEP_1) | instskip(NEXT) | instid1(VALU_DEP_1)
	v_fma_f64 v[179:180], v[179:180], v[181:182], v[179:180]
	v_fma_f64 v[181:182], -v[177:178], v[179:180], 1.0
	s_delay_alu instid0(VALU_DEP_1) | instskip(NEXT) | instid1(VALU_DEP_1)
	v_fma_f64 v[179:180], v[179:180], v[181:182], v[179:180]
	v_mul_f64 v[181:182], v[183:184], v[179:180]
	s_delay_alu instid0(VALU_DEP_1) | instskip(NEXT) | instid1(VALU_DEP_1)
	v_fma_f64 v[177:178], -v[177:178], v[181:182], v[183:184]
	v_div_fmas_f64 v[177:178], v[177:178], v[179:180], v[181:182]
	s_delay_alu instid0(VALU_DEP_1) | instskip(NEXT) | instid1(VALU_DEP_1)
	v_div_fixup_f64 v[177:178], v[177:178], v[160:161], v[162:163]
	v_fma_f64 v[160:161], v[162:163], v[177:178], v[160:161]
	s_delay_alu instid0(VALU_DEP_1) | instskip(NEXT) | instid1(VALU_DEP_1)
	v_div_scale_f64 v[162:163], null, v[160:161], v[160:161], 1.0
	v_rcp_f64_e32 v[179:180], v[162:163]
	s_waitcnt_depctr 0xfff
	v_fma_f64 v[181:182], -v[162:163], v[179:180], 1.0
	s_delay_alu instid0(VALU_DEP_1) | instskip(NEXT) | instid1(VALU_DEP_1)
	v_fma_f64 v[179:180], v[179:180], v[181:182], v[179:180]
	v_fma_f64 v[181:182], -v[162:163], v[179:180], 1.0
	s_delay_alu instid0(VALU_DEP_1) | instskip(SKIP_1) | instid1(VALU_DEP_1)
	v_fma_f64 v[179:180], v[179:180], v[181:182], v[179:180]
	v_div_scale_f64 v[181:182], vcc_lo, 1.0, v[160:161], 1.0
	v_mul_f64 v[183:184], v[181:182], v[179:180]
	s_delay_alu instid0(VALU_DEP_1) | instskip(NEXT) | instid1(VALU_DEP_1)
	v_fma_f64 v[162:163], -v[162:163], v[183:184], v[181:182]
	v_div_fmas_f64 v[162:163], v[162:163], v[179:180], v[183:184]
	s_delay_alu instid0(VALU_DEP_1) | instskip(NEXT) | instid1(VALU_DEP_1)
	v_div_fixup_f64 v[160:161], v[162:163], v[160:161], 1.0
	v_mul_f64 v[162:163], v[177:178], -v[160:161]
.LBB78_345:
	s_or_b32 exec_lo, exec_lo, s2
.LBB78_346:
	s_delay_alu instid0(SALU_CYCLE_1) | instskip(NEXT) | instid1(SALU_CYCLE_1)
	s_or_b32 exec_lo, exec_lo, s3
	s_mov_b32 s2, exec_lo
	v_cmpx_ne_u32_e64 v176, v168
	s_xor_b32 s2, exec_lo, s2
	s_cbranch_execz .LBB78_352
; %bb.347:
	s_mov_b32 s3, exec_lo
	v_cmpx_eq_u32_e32 16, v176
	s_cbranch_execz .LBB78_351
; %bb.348:
	v_cmp_ne_u32_e32 vcc_lo, 16, v168
	s_xor_b32 s6, s4, -1
	s_delay_alu instid0(SALU_CYCLE_1) | instskip(NEXT) | instid1(SALU_CYCLE_1)
	s_and_b32 s7, s6, vcc_lo
	s_and_saveexec_b32 s6, s7
	s_cbranch_execz .LBB78_350
; %bb.349:
	v_ashrrev_i32_e32 v169, 31, v168
	s_delay_alu instid0(VALU_DEP_1) | instskip(NEXT) | instid1(VALU_DEP_1)
	v_lshlrev_b64 v[175:176], 2, v[168:169]
	v_add_co_u32 v175, vcc_lo, v166, v175
	s_delay_alu instid0(VALU_DEP_2)
	v_add_co_ci_u32_e32 v176, vcc_lo, v167, v176, vcc_lo
	s_clause 0x1
	flat_load_b32 v169, v[175:176]
	flat_load_b32 v177, v[166:167] offset:64
	s_waitcnt vmcnt(1) lgkmcnt(1)
	flat_store_b32 v[166:167], v169 offset:64
	s_waitcnt vmcnt(0) lgkmcnt(1)
	flat_store_b32 v[175:176], v177
.LBB78_350:
	s_or_b32 exec_lo, exec_lo, s6
	v_mov_b32_e32 v176, v168
	v_mov_b32_e32 v175, v168
.LBB78_351:
	s_or_b32 exec_lo, exec_lo, s3
.LBB78_352:
	s_and_not1_saveexec_b32 s2, s2
	s_cbranch_execz .LBB78_354
; %bb.353:
	v_mov_b32_e32 v176, 16
	ds_store_2addr_b64 v170, v[96:97], v[98:99] offset0:34 offset1:35
	ds_store_2addr_b64 v170, v[92:93], v[94:95] offset0:36 offset1:37
	;; [unrolled: 1-line block ×23, first 2 shown]
.LBB78_354:
	s_or_b32 exec_lo, exec_lo, s2
	s_delay_alu instid0(SALU_CYCLE_1)
	s_mov_b32 s2, exec_lo
	s_waitcnt lgkmcnt(0)
	s_waitcnt_vscnt null, 0x0
	s_barrier
	buffer_gl0_inv
	v_cmpx_lt_i32_e32 16, v176
	s_cbranch_execz .LBB78_356
; %bb.355:
	v_mul_f64 v[168:169], v[162:163], v[102:103]
	v_mul_f64 v[102:103], v[160:161], v[102:103]
	s_delay_alu instid0(VALU_DEP_2) | instskip(NEXT) | instid1(VALU_DEP_2)
	v_fma_f64 v[168:169], v[160:161], v[100:101], -v[168:169]
	v_fma_f64 v[102:103], v[162:163], v[100:101], v[102:103]
	ds_load_2addr_b64 v[160:163], v170 offset0:34 offset1:35
	s_waitcnt lgkmcnt(0)
	v_mul_f64 v[100:101], v[162:163], v[102:103]
	s_delay_alu instid0(VALU_DEP_1) | instskip(SKIP_1) | instid1(VALU_DEP_2)
	v_fma_f64 v[100:101], v[160:161], v[168:169], -v[100:101]
	v_mul_f64 v[160:161], v[160:161], v[102:103]
	v_add_f64 v[96:97], v[96:97], -v[100:101]
	s_delay_alu instid0(VALU_DEP_2) | instskip(NEXT) | instid1(VALU_DEP_1)
	v_fma_f64 v[160:161], v[162:163], v[168:169], v[160:161]
	v_add_f64 v[98:99], v[98:99], -v[160:161]
	ds_load_2addr_b64 v[160:163], v170 offset0:36 offset1:37
	s_waitcnt lgkmcnt(0)
	v_mul_f64 v[100:101], v[162:163], v[102:103]
	s_delay_alu instid0(VALU_DEP_1) | instskip(SKIP_1) | instid1(VALU_DEP_2)
	v_fma_f64 v[100:101], v[160:161], v[168:169], -v[100:101]
	v_mul_f64 v[160:161], v[160:161], v[102:103]
	v_add_f64 v[92:93], v[92:93], -v[100:101]
	s_delay_alu instid0(VALU_DEP_2) | instskip(NEXT) | instid1(VALU_DEP_1)
	v_fma_f64 v[160:161], v[162:163], v[168:169], v[160:161]
	v_add_f64 v[94:95], v[94:95], -v[160:161]
	;; [unrolled: 10-line block ×22, first 2 shown]
	ds_load_2addr_b64 v[160:163], v170 offset0:78 offset1:79
	s_waitcnt lgkmcnt(0)
	v_mul_f64 v[100:101], v[162:163], v[102:103]
	s_delay_alu instid0(VALU_DEP_1) | instskip(SKIP_1) | instid1(VALU_DEP_2)
	v_fma_f64 v[100:101], v[160:161], v[168:169], -v[100:101]
	v_mul_f64 v[160:161], v[160:161], v[102:103]
	v_add_f64 v[0:1], v[0:1], -v[100:101]
	s_delay_alu instid0(VALU_DEP_2) | instskip(SKIP_1) | instid1(VALU_DEP_2)
	v_fma_f64 v[160:161], v[162:163], v[168:169], v[160:161]
	v_dual_mov_b32 v100, v168 :: v_dual_mov_b32 v101, v169
	v_add_f64 v[2:3], v[2:3], -v[160:161]
.LBB78_356:
	s_or_b32 exec_lo, exec_lo, s2
	v_lshl_add_u32 v160, v176, 4, v170
	s_barrier
	buffer_gl0_inv
	v_mov_b32_e32 v168, 17
	ds_store_2addr_b64 v160, v[96:97], v[98:99] offset1:1
	s_waitcnt lgkmcnt(0)
	s_barrier
	buffer_gl0_inv
	ds_load_2addr_b64 v[160:163], v170 offset0:34 offset1:35
	s_cmp_lt_i32 s5, 19
	s_cbranch_scc1 .LBB78_359
; %bb.357:
	v_add3_u32 v169, v174, 0, 0x120
	v_mov_b32_e32 v168, 17
	s_mov_b32 s6, 18
	s_set_inst_prefetch_distance 0x1
	.p2align	6
.LBB78_358:                             ; =>This Inner Loop Header: Depth=1
	ds_load_2addr_b64 v[177:180], v169 offset1:1
	s_waitcnt lgkmcnt(1)
	v_cmp_gt_f64_e32 vcc_lo, 0, v[160:161]
	v_xor_b32_e32 v181, 0x80000000, v161
	v_cmp_gt_f64_e64 s2, 0, v[162:163]
	v_xor_b32_e32 v183, 0x80000000, v163
	v_add_nc_u32_e32 v169, 16, v169
	s_waitcnt lgkmcnt(0)
	v_cmp_gt_f64_e64 s3, 0, v[177:178]
	v_mov_b32_e32 v185, v177
	v_dual_mov_b32 v187, v179 :: v_dual_cndmask_b32 v182, v161, v181
	v_xor_b32_e32 v181, 0x80000000, v178
	v_cndmask_b32_e64 v184, v163, v183, s2
	v_xor_b32_e32 v183, 0x80000000, v180
	s_delay_alu instid0(VALU_DEP_3) | instskip(SKIP_2) | instid1(VALU_DEP_2)
	v_cndmask_b32_e64 v186, v178, v181, s3
	v_cmp_gt_f64_e64 s3, 0, v[179:180]
	v_cndmask_b32_e32 v181, v160, v160, vcc_lo
	v_cndmask_b32_e64 v188, v180, v183, s3
	v_cndmask_b32_e64 v183, v162, v162, s2
	s_delay_alu instid0(VALU_DEP_2) | instskip(NEXT) | instid1(VALU_DEP_2)
	v_add_f64 v[185:186], v[185:186], v[187:188]
	v_add_f64 v[181:182], v[181:182], v[183:184]
	s_delay_alu instid0(VALU_DEP_1) | instskip(SKIP_4) | instid1(SALU_CYCLE_1)
	v_cmp_lt_f64_e32 vcc_lo, v[181:182], v[185:186]
	v_dual_cndmask_b32 v162, v162, v179 :: v_dual_cndmask_b32 v161, v161, v178
	v_dual_cndmask_b32 v160, v160, v177 :: v_dual_cndmask_b32 v163, v163, v180
	v_cndmask_b32_e64 v168, v168, s6, vcc_lo
	s_add_i32 s6, s6, 1
	s_cmp_lg_u32 s5, s6
	s_cbranch_scc1 .LBB78_358
.LBB78_359:
	s_set_inst_prefetch_distance 0x2
	s_waitcnt lgkmcnt(0)
	v_cmp_eq_f64_e32 vcc_lo, 0, v[160:161]
	v_cmp_eq_f64_e64 s2, 0, v[162:163]
	s_delay_alu instid0(VALU_DEP_1) | instskip(NEXT) | instid1(SALU_CYCLE_1)
	s_and_b32 s2, vcc_lo, s2
	s_and_saveexec_b32 s3, s2
	s_delay_alu instid0(SALU_CYCLE_1)
	s_xor_b32 s2, exec_lo, s3
; %bb.360:
	v_cmp_ne_u32_e32 vcc_lo, 0, v173
	v_cndmask_b32_e32 v173, 18, v173, vcc_lo
; %bb.361:
	s_and_not1_saveexec_b32 s3, s2
	s_cbranch_execz .LBB78_367
; %bb.362:
	v_cmp_gt_f64_e32 vcc_lo, 0, v[160:161]
	v_cmp_gt_f64_e64 s2, 0, v[162:163]
	v_xor_b32_e32 v169, 0x80000000, v161
	v_xor_b32_e32 v177, 0x80000000, v163
	s_delay_alu instid0(VALU_DEP_2) | instskip(NEXT) | instid1(VALU_DEP_2)
	v_cndmask_b32_e32 v178, v161, v169, vcc_lo
	v_cndmask_b32_e64 v180, v163, v177, s2
	v_cndmask_b32_e32 v177, v160, v160, vcc_lo
	v_cndmask_b32_e64 v179, v162, v162, s2
	s_mov_b32 s2, exec_lo
	s_delay_alu instid0(VALU_DEP_1)
	v_cmpx_ngt_f64_e32 v[177:178], v[179:180]
	s_xor_b32 s2, exec_lo, s2
	s_cbranch_execz .LBB78_364
; %bb.363:
	v_div_scale_f64 v[177:178], null, v[162:163], v[162:163], v[160:161]
	v_div_scale_f64 v[183:184], vcc_lo, v[160:161], v[162:163], v[160:161]
	s_delay_alu instid0(VALU_DEP_2) | instskip(SKIP_2) | instid1(VALU_DEP_1)
	v_rcp_f64_e32 v[179:180], v[177:178]
	s_waitcnt_depctr 0xfff
	v_fma_f64 v[181:182], -v[177:178], v[179:180], 1.0
	v_fma_f64 v[179:180], v[179:180], v[181:182], v[179:180]
	s_delay_alu instid0(VALU_DEP_1) | instskip(NEXT) | instid1(VALU_DEP_1)
	v_fma_f64 v[181:182], -v[177:178], v[179:180], 1.0
	v_fma_f64 v[179:180], v[179:180], v[181:182], v[179:180]
	s_delay_alu instid0(VALU_DEP_1) | instskip(NEXT) | instid1(VALU_DEP_1)
	v_mul_f64 v[181:182], v[183:184], v[179:180]
	v_fma_f64 v[177:178], -v[177:178], v[181:182], v[183:184]
	s_delay_alu instid0(VALU_DEP_1) | instskip(NEXT) | instid1(VALU_DEP_1)
	v_div_fmas_f64 v[177:178], v[177:178], v[179:180], v[181:182]
	v_div_fixup_f64 v[177:178], v[177:178], v[162:163], v[160:161]
	s_delay_alu instid0(VALU_DEP_1) | instskip(NEXT) | instid1(VALU_DEP_1)
	v_fma_f64 v[160:161], v[160:161], v[177:178], v[162:163]
	v_div_scale_f64 v[162:163], null, v[160:161], v[160:161], 1.0
	s_delay_alu instid0(VALU_DEP_1) | instskip(SKIP_2) | instid1(VALU_DEP_1)
	v_rcp_f64_e32 v[179:180], v[162:163]
	s_waitcnt_depctr 0xfff
	v_fma_f64 v[181:182], -v[162:163], v[179:180], 1.0
	v_fma_f64 v[179:180], v[179:180], v[181:182], v[179:180]
	s_delay_alu instid0(VALU_DEP_1) | instskip(NEXT) | instid1(VALU_DEP_1)
	v_fma_f64 v[181:182], -v[162:163], v[179:180], 1.0
	v_fma_f64 v[179:180], v[179:180], v[181:182], v[179:180]
	v_div_scale_f64 v[181:182], vcc_lo, 1.0, v[160:161], 1.0
	s_delay_alu instid0(VALU_DEP_1) | instskip(NEXT) | instid1(VALU_DEP_1)
	v_mul_f64 v[183:184], v[181:182], v[179:180]
	v_fma_f64 v[162:163], -v[162:163], v[183:184], v[181:182]
	s_delay_alu instid0(VALU_DEP_1) | instskip(NEXT) | instid1(VALU_DEP_1)
	v_div_fmas_f64 v[162:163], v[162:163], v[179:180], v[183:184]
	v_div_fixup_f64 v[162:163], v[162:163], v[160:161], 1.0
	s_delay_alu instid0(VALU_DEP_1)
	v_mul_f64 v[160:161], v[177:178], v[162:163]
	v_xor_b32_e32 v163, 0x80000000, v163
.LBB78_364:
	s_and_not1_saveexec_b32 s2, s2
	s_cbranch_execz .LBB78_366
; %bb.365:
	s_delay_alu instid0(VALU_DEP_1) | instskip(SKIP_1) | instid1(VALU_DEP_2)
	v_div_scale_f64 v[177:178], null, v[160:161], v[160:161], v[162:163]
	v_div_scale_f64 v[183:184], vcc_lo, v[162:163], v[160:161], v[162:163]
	v_rcp_f64_e32 v[179:180], v[177:178]
	s_waitcnt_depctr 0xfff
	v_fma_f64 v[181:182], -v[177:178], v[179:180], 1.0
	s_delay_alu instid0(VALU_DEP_1) | instskip(NEXT) | instid1(VALU_DEP_1)
	v_fma_f64 v[179:180], v[179:180], v[181:182], v[179:180]
	v_fma_f64 v[181:182], -v[177:178], v[179:180], 1.0
	s_delay_alu instid0(VALU_DEP_1) | instskip(NEXT) | instid1(VALU_DEP_1)
	v_fma_f64 v[179:180], v[179:180], v[181:182], v[179:180]
	v_mul_f64 v[181:182], v[183:184], v[179:180]
	s_delay_alu instid0(VALU_DEP_1) | instskip(NEXT) | instid1(VALU_DEP_1)
	v_fma_f64 v[177:178], -v[177:178], v[181:182], v[183:184]
	v_div_fmas_f64 v[177:178], v[177:178], v[179:180], v[181:182]
	s_delay_alu instid0(VALU_DEP_1) | instskip(NEXT) | instid1(VALU_DEP_1)
	v_div_fixup_f64 v[177:178], v[177:178], v[160:161], v[162:163]
	v_fma_f64 v[160:161], v[162:163], v[177:178], v[160:161]
	s_delay_alu instid0(VALU_DEP_1) | instskip(NEXT) | instid1(VALU_DEP_1)
	v_div_scale_f64 v[162:163], null, v[160:161], v[160:161], 1.0
	v_rcp_f64_e32 v[179:180], v[162:163]
	s_waitcnt_depctr 0xfff
	v_fma_f64 v[181:182], -v[162:163], v[179:180], 1.0
	s_delay_alu instid0(VALU_DEP_1) | instskip(NEXT) | instid1(VALU_DEP_1)
	v_fma_f64 v[179:180], v[179:180], v[181:182], v[179:180]
	v_fma_f64 v[181:182], -v[162:163], v[179:180], 1.0
	s_delay_alu instid0(VALU_DEP_1) | instskip(SKIP_1) | instid1(VALU_DEP_1)
	v_fma_f64 v[179:180], v[179:180], v[181:182], v[179:180]
	v_div_scale_f64 v[181:182], vcc_lo, 1.0, v[160:161], 1.0
	v_mul_f64 v[183:184], v[181:182], v[179:180]
	s_delay_alu instid0(VALU_DEP_1) | instskip(NEXT) | instid1(VALU_DEP_1)
	v_fma_f64 v[162:163], -v[162:163], v[183:184], v[181:182]
	v_div_fmas_f64 v[162:163], v[162:163], v[179:180], v[183:184]
	s_delay_alu instid0(VALU_DEP_1) | instskip(NEXT) | instid1(VALU_DEP_1)
	v_div_fixup_f64 v[160:161], v[162:163], v[160:161], 1.0
	v_mul_f64 v[162:163], v[177:178], -v[160:161]
.LBB78_366:
	s_or_b32 exec_lo, exec_lo, s2
.LBB78_367:
	s_delay_alu instid0(SALU_CYCLE_1) | instskip(NEXT) | instid1(SALU_CYCLE_1)
	s_or_b32 exec_lo, exec_lo, s3
	s_mov_b32 s2, exec_lo
	v_cmpx_ne_u32_e64 v176, v168
	s_xor_b32 s2, exec_lo, s2
	s_cbranch_execz .LBB78_373
; %bb.368:
	s_mov_b32 s3, exec_lo
	v_cmpx_eq_u32_e32 17, v176
	s_cbranch_execz .LBB78_372
; %bb.369:
	v_cmp_ne_u32_e32 vcc_lo, 17, v168
	s_xor_b32 s6, s4, -1
	s_delay_alu instid0(SALU_CYCLE_1) | instskip(NEXT) | instid1(SALU_CYCLE_1)
	s_and_b32 s7, s6, vcc_lo
	s_and_saveexec_b32 s6, s7
	s_cbranch_execz .LBB78_371
; %bb.370:
	v_ashrrev_i32_e32 v169, 31, v168
	s_delay_alu instid0(VALU_DEP_1) | instskip(NEXT) | instid1(VALU_DEP_1)
	v_lshlrev_b64 v[175:176], 2, v[168:169]
	v_add_co_u32 v175, vcc_lo, v166, v175
	s_delay_alu instid0(VALU_DEP_2)
	v_add_co_ci_u32_e32 v176, vcc_lo, v167, v176, vcc_lo
	s_clause 0x1
	flat_load_b32 v169, v[175:176]
	flat_load_b32 v177, v[166:167] offset:68
	s_waitcnt vmcnt(1) lgkmcnt(1)
	flat_store_b32 v[166:167], v169 offset:68
	s_waitcnt vmcnt(0) lgkmcnt(1)
	flat_store_b32 v[175:176], v177
.LBB78_371:
	s_or_b32 exec_lo, exec_lo, s6
	v_mov_b32_e32 v176, v168
	v_mov_b32_e32 v175, v168
.LBB78_372:
	s_or_b32 exec_lo, exec_lo, s3
.LBB78_373:
	s_and_not1_saveexec_b32 s2, s2
	s_cbranch_execz .LBB78_375
; %bb.374:
	v_mov_b32_e32 v176, 17
	ds_store_2addr_b64 v170, v[92:93], v[94:95] offset0:36 offset1:37
	ds_store_2addr_b64 v170, v[88:89], v[90:91] offset0:38 offset1:39
	;; [unrolled: 1-line block ×22, first 2 shown]
.LBB78_375:
	s_or_b32 exec_lo, exec_lo, s2
	s_delay_alu instid0(SALU_CYCLE_1)
	s_mov_b32 s2, exec_lo
	s_waitcnt lgkmcnt(0)
	s_waitcnt_vscnt null, 0x0
	s_barrier
	buffer_gl0_inv
	v_cmpx_lt_i32_e32 17, v176
	s_cbranch_execz .LBB78_377
; %bb.376:
	v_mul_f64 v[168:169], v[162:163], v[98:99]
	v_mul_f64 v[98:99], v[160:161], v[98:99]
	s_delay_alu instid0(VALU_DEP_2) | instskip(NEXT) | instid1(VALU_DEP_2)
	v_fma_f64 v[168:169], v[160:161], v[96:97], -v[168:169]
	v_fma_f64 v[98:99], v[162:163], v[96:97], v[98:99]
	ds_load_2addr_b64 v[160:163], v170 offset0:36 offset1:37
	s_waitcnt lgkmcnt(0)
	v_mul_f64 v[96:97], v[162:163], v[98:99]
	s_delay_alu instid0(VALU_DEP_1) | instskip(SKIP_1) | instid1(VALU_DEP_2)
	v_fma_f64 v[96:97], v[160:161], v[168:169], -v[96:97]
	v_mul_f64 v[160:161], v[160:161], v[98:99]
	v_add_f64 v[92:93], v[92:93], -v[96:97]
	s_delay_alu instid0(VALU_DEP_2) | instskip(NEXT) | instid1(VALU_DEP_1)
	v_fma_f64 v[160:161], v[162:163], v[168:169], v[160:161]
	v_add_f64 v[94:95], v[94:95], -v[160:161]
	ds_load_2addr_b64 v[160:163], v170 offset0:38 offset1:39
	s_waitcnt lgkmcnt(0)
	v_mul_f64 v[96:97], v[162:163], v[98:99]
	s_delay_alu instid0(VALU_DEP_1) | instskip(SKIP_1) | instid1(VALU_DEP_2)
	v_fma_f64 v[96:97], v[160:161], v[168:169], -v[96:97]
	v_mul_f64 v[160:161], v[160:161], v[98:99]
	v_add_f64 v[88:89], v[88:89], -v[96:97]
	s_delay_alu instid0(VALU_DEP_2) | instskip(NEXT) | instid1(VALU_DEP_1)
	v_fma_f64 v[160:161], v[162:163], v[168:169], v[160:161]
	v_add_f64 v[90:91], v[90:91], -v[160:161]
	;; [unrolled: 10-line block ×21, first 2 shown]
	ds_load_2addr_b64 v[160:163], v170 offset0:78 offset1:79
	s_waitcnt lgkmcnt(0)
	v_mul_f64 v[96:97], v[162:163], v[98:99]
	s_delay_alu instid0(VALU_DEP_1) | instskip(SKIP_1) | instid1(VALU_DEP_2)
	v_fma_f64 v[96:97], v[160:161], v[168:169], -v[96:97]
	v_mul_f64 v[160:161], v[160:161], v[98:99]
	v_add_f64 v[0:1], v[0:1], -v[96:97]
	s_delay_alu instid0(VALU_DEP_2) | instskip(SKIP_1) | instid1(VALU_DEP_2)
	v_fma_f64 v[160:161], v[162:163], v[168:169], v[160:161]
	v_dual_mov_b32 v96, v168 :: v_dual_mov_b32 v97, v169
	v_add_f64 v[2:3], v[2:3], -v[160:161]
.LBB78_377:
	s_or_b32 exec_lo, exec_lo, s2
	v_lshl_add_u32 v160, v176, 4, v170
	s_barrier
	buffer_gl0_inv
	v_mov_b32_e32 v168, 18
	ds_store_2addr_b64 v160, v[92:93], v[94:95] offset1:1
	s_waitcnt lgkmcnt(0)
	s_barrier
	buffer_gl0_inv
	ds_load_2addr_b64 v[160:163], v170 offset0:36 offset1:37
	s_cmp_lt_i32 s5, 20
	s_cbranch_scc1 .LBB78_380
; %bb.378:
	v_add3_u32 v169, v174, 0, 0x130
	v_mov_b32_e32 v168, 18
	s_mov_b32 s6, 19
	s_set_inst_prefetch_distance 0x1
	.p2align	6
.LBB78_379:                             ; =>This Inner Loop Header: Depth=1
	ds_load_2addr_b64 v[177:180], v169 offset1:1
	s_waitcnt lgkmcnt(1)
	v_cmp_gt_f64_e32 vcc_lo, 0, v[160:161]
	v_xor_b32_e32 v181, 0x80000000, v161
	v_cmp_gt_f64_e64 s2, 0, v[162:163]
	v_xor_b32_e32 v183, 0x80000000, v163
	v_add_nc_u32_e32 v169, 16, v169
	s_waitcnt lgkmcnt(0)
	v_cmp_gt_f64_e64 s3, 0, v[177:178]
	v_mov_b32_e32 v185, v177
	v_dual_mov_b32 v187, v179 :: v_dual_cndmask_b32 v182, v161, v181
	v_xor_b32_e32 v181, 0x80000000, v178
	v_cndmask_b32_e64 v184, v163, v183, s2
	v_xor_b32_e32 v183, 0x80000000, v180
	s_delay_alu instid0(VALU_DEP_3) | instskip(SKIP_2) | instid1(VALU_DEP_2)
	v_cndmask_b32_e64 v186, v178, v181, s3
	v_cmp_gt_f64_e64 s3, 0, v[179:180]
	v_cndmask_b32_e32 v181, v160, v160, vcc_lo
	v_cndmask_b32_e64 v188, v180, v183, s3
	v_cndmask_b32_e64 v183, v162, v162, s2
	s_delay_alu instid0(VALU_DEP_2) | instskip(NEXT) | instid1(VALU_DEP_2)
	v_add_f64 v[185:186], v[185:186], v[187:188]
	v_add_f64 v[181:182], v[181:182], v[183:184]
	s_delay_alu instid0(VALU_DEP_1) | instskip(SKIP_4) | instid1(SALU_CYCLE_1)
	v_cmp_lt_f64_e32 vcc_lo, v[181:182], v[185:186]
	v_dual_cndmask_b32 v162, v162, v179 :: v_dual_cndmask_b32 v161, v161, v178
	v_dual_cndmask_b32 v160, v160, v177 :: v_dual_cndmask_b32 v163, v163, v180
	v_cndmask_b32_e64 v168, v168, s6, vcc_lo
	s_add_i32 s6, s6, 1
	s_cmp_lg_u32 s5, s6
	s_cbranch_scc1 .LBB78_379
.LBB78_380:
	s_set_inst_prefetch_distance 0x2
	s_waitcnt lgkmcnt(0)
	v_cmp_eq_f64_e32 vcc_lo, 0, v[160:161]
	v_cmp_eq_f64_e64 s2, 0, v[162:163]
	s_delay_alu instid0(VALU_DEP_1) | instskip(NEXT) | instid1(SALU_CYCLE_1)
	s_and_b32 s2, vcc_lo, s2
	s_and_saveexec_b32 s3, s2
	s_delay_alu instid0(SALU_CYCLE_1)
	s_xor_b32 s2, exec_lo, s3
; %bb.381:
	v_cmp_ne_u32_e32 vcc_lo, 0, v173
	v_cndmask_b32_e32 v173, 19, v173, vcc_lo
; %bb.382:
	s_and_not1_saveexec_b32 s3, s2
	s_cbranch_execz .LBB78_388
; %bb.383:
	v_cmp_gt_f64_e32 vcc_lo, 0, v[160:161]
	v_cmp_gt_f64_e64 s2, 0, v[162:163]
	v_xor_b32_e32 v169, 0x80000000, v161
	v_xor_b32_e32 v177, 0x80000000, v163
	s_delay_alu instid0(VALU_DEP_2) | instskip(NEXT) | instid1(VALU_DEP_2)
	v_cndmask_b32_e32 v178, v161, v169, vcc_lo
	v_cndmask_b32_e64 v180, v163, v177, s2
	v_cndmask_b32_e32 v177, v160, v160, vcc_lo
	v_cndmask_b32_e64 v179, v162, v162, s2
	s_mov_b32 s2, exec_lo
	s_delay_alu instid0(VALU_DEP_1)
	v_cmpx_ngt_f64_e32 v[177:178], v[179:180]
	s_xor_b32 s2, exec_lo, s2
	s_cbranch_execz .LBB78_385
; %bb.384:
	v_div_scale_f64 v[177:178], null, v[162:163], v[162:163], v[160:161]
	v_div_scale_f64 v[183:184], vcc_lo, v[160:161], v[162:163], v[160:161]
	s_delay_alu instid0(VALU_DEP_2) | instskip(SKIP_2) | instid1(VALU_DEP_1)
	v_rcp_f64_e32 v[179:180], v[177:178]
	s_waitcnt_depctr 0xfff
	v_fma_f64 v[181:182], -v[177:178], v[179:180], 1.0
	v_fma_f64 v[179:180], v[179:180], v[181:182], v[179:180]
	s_delay_alu instid0(VALU_DEP_1) | instskip(NEXT) | instid1(VALU_DEP_1)
	v_fma_f64 v[181:182], -v[177:178], v[179:180], 1.0
	v_fma_f64 v[179:180], v[179:180], v[181:182], v[179:180]
	s_delay_alu instid0(VALU_DEP_1) | instskip(NEXT) | instid1(VALU_DEP_1)
	v_mul_f64 v[181:182], v[183:184], v[179:180]
	v_fma_f64 v[177:178], -v[177:178], v[181:182], v[183:184]
	s_delay_alu instid0(VALU_DEP_1) | instskip(NEXT) | instid1(VALU_DEP_1)
	v_div_fmas_f64 v[177:178], v[177:178], v[179:180], v[181:182]
	v_div_fixup_f64 v[177:178], v[177:178], v[162:163], v[160:161]
	s_delay_alu instid0(VALU_DEP_1) | instskip(NEXT) | instid1(VALU_DEP_1)
	v_fma_f64 v[160:161], v[160:161], v[177:178], v[162:163]
	v_div_scale_f64 v[162:163], null, v[160:161], v[160:161], 1.0
	s_delay_alu instid0(VALU_DEP_1) | instskip(SKIP_2) | instid1(VALU_DEP_1)
	v_rcp_f64_e32 v[179:180], v[162:163]
	s_waitcnt_depctr 0xfff
	v_fma_f64 v[181:182], -v[162:163], v[179:180], 1.0
	v_fma_f64 v[179:180], v[179:180], v[181:182], v[179:180]
	s_delay_alu instid0(VALU_DEP_1) | instskip(NEXT) | instid1(VALU_DEP_1)
	v_fma_f64 v[181:182], -v[162:163], v[179:180], 1.0
	v_fma_f64 v[179:180], v[179:180], v[181:182], v[179:180]
	v_div_scale_f64 v[181:182], vcc_lo, 1.0, v[160:161], 1.0
	s_delay_alu instid0(VALU_DEP_1) | instskip(NEXT) | instid1(VALU_DEP_1)
	v_mul_f64 v[183:184], v[181:182], v[179:180]
	v_fma_f64 v[162:163], -v[162:163], v[183:184], v[181:182]
	s_delay_alu instid0(VALU_DEP_1) | instskip(NEXT) | instid1(VALU_DEP_1)
	v_div_fmas_f64 v[162:163], v[162:163], v[179:180], v[183:184]
	v_div_fixup_f64 v[162:163], v[162:163], v[160:161], 1.0
	s_delay_alu instid0(VALU_DEP_1)
	v_mul_f64 v[160:161], v[177:178], v[162:163]
	v_xor_b32_e32 v163, 0x80000000, v163
.LBB78_385:
	s_and_not1_saveexec_b32 s2, s2
	s_cbranch_execz .LBB78_387
; %bb.386:
	s_delay_alu instid0(VALU_DEP_1) | instskip(SKIP_1) | instid1(VALU_DEP_2)
	v_div_scale_f64 v[177:178], null, v[160:161], v[160:161], v[162:163]
	v_div_scale_f64 v[183:184], vcc_lo, v[162:163], v[160:161], v[162:163]
	v_rcp_f64_e32 v[179:180], v[177:178]
	s_waitcnt_depctr 0xfff
	v_fma_f64 v[181:182], -v[177:178], v[179:180], 1.0
	s_delay_alu instid0(VALU_DEP_1) | instskip(NEXT) | instid1(VALU_DEP_1)
	v_fma_f64 v[179:180], v[179:180], v[181:182], v[179:180]
	v_fma_f64 v[181:182], -v[177:178], v[179:180], 1.0
	s_delay_alu instid0(VALU_DEP_1) | instskip(NEXT) | instid1(VALU_DEP_1)
	v_fma_f64 v[179:180], v[179:180], v[181:182], v[179:180]
	v_mul_f64 v[181:182], v[183:184], v[179:180]
	s_delay_alu instid0(VALU_DEP_1) | instskip(NEXT) | instid1(VALU_DEP_1)
	v_fma_f64 v[177:178], -v[177:178], v[181:182], v[183:184]
	v_div_fmas_f64 v[177:178], v[177:178], v[179:180], v[181:182]
	s_delay_alu instid0(VALU_DEP_1) | instskip(NEXT) | instid1(VALU_DEP_1)
	v_div_fixup_f64 v[177:178], v[177:178], v[160:161], v[162:163]
	v_fma_f64 v[160:161], v[162:163], v[177:178], v[160:161]
	s_delay_alu instid0(VALU_DEP_1) | instskip(NEXT) | instid1(VALU_DEP_1)
	v_div_scale_f64 v[162:163], null, v[160:161], v[160:161], 1.0
	v_rcp_f64_e32 v[179:180], v[162:163]
	s_waitcnt_depctr 0xfff
	v_fma_f64 v[181:182], -v[162:163], v[179:180], 1.0
	s_delay_alu instid0(VALU_DEP_1) | instskip(NEXT) | instid1(VALU_DEP_1)
	v_fma_f64 v[179:180], v[179:180], v[181:182], v[179:180]
	v_fma_f64 v[181:182], -v[162:163], v[179:180], 1.0
	s_delay_alu instid0(VALU_DEP_1) | instskip(SKIP_1) | instid1(VALU_DEP_1)
	v_fma_f64 v[179:180], v[179:180], v[181:182], v[179:180]
	v_div_scale_f64 v[181:182], vcc_lo, 1.0, v[160:161], 1.0
	v_mul_f64 v[183:184], v[181:182], v[179:180]
	s_delay_alu instid0(VALU_DEP_1) | instskip(NEXT) | instid1(VALU_DEP_1)
	v_fma_f64 v[162:163], -v[162:163], v[183:184], v[181:182]
	v_div_fmas_f64 v[162:163], v[162:163], v[179:180], v[183:184]
	s_delay_alu instid0(VALU_DEP_1) | instskip(NEXT) | instid1(VALU_DEP_1)
	v_div_fixup_f64 v[160:161], v[162:163], v[160:161], 1.0
	v_mul_f64 v[162:163], v[177:178], -v[160:161]
.LBB78_387:
	s_or_b32 exec_lo, exec_lo, s2
.LBB78_388:
	s_delay_alu instid0(SALU_CYCLE_1) | instskip(NEXT) | instid1(SALU_CYCLE_1)
	s_or_b32 exec_lo, exec_lo, s3
	s_mov_b32 s2, exec_lo
	v_cmpx_ne_u32_e64 v176, v168
	s_xor_b32 s2, exec_lo, s2
	s_cbranch_execz .LBB78_394
; %bb.389:
	s_mov_b32 s3, exec_lo
	v_cmpx_eq_u32_e32 18, v176
	s_cbranch_execz .LBB78_393
; %bb.390:
	v_cmp_ne_u32_e32 vcc_lo, 18, v168
	s_xor_b32 s6, s4, -1
	s_delay_alu instid0(SALU_CYCLE_1) | instskip(NEXT) | instid1(SALU_CYCLE_1)
	s_and_b32 s7, s6, vcc_lo
	s_and_saveexec_b32 s6, s7
	s_cbranch_execz .LBB78_392
; %bb.391:
	v_ashrrev_i32_e32 v169, 31, v168
	s_delay_alu instid0(VALU_DEP_1) | instskip(NEXT) | instid1(VALU_DEP_1)
	v_lshlrev_b64 v[175:176], 2, v[168:169]
	v_add_co_u32 v175, vcc_lo, v166, v175
	s_delay_alu instid0(VALU_DEP_2)
	v_add_co_ci_u32_e32 v176, vcc_lo, v167, v176, vcc_lo
	s_clause 0x1
	flat_load_b32 v169, v[175:176]
	flat_load_b32 v177, v[166:167] offset:72
	s_waitcnt vmcnt(1) lgkmcnt(1)
	flat_store_b32 v[166:167], v169 offset:72
	s_waitcnt vmcnt(0) lgkmcnt(1)
	flat_store_b32 v[175:176], v177
.LBB78_392:
	s_or_b32 exec_lo, exec_lo, s6
	v_mov_b32_e32 v176, v168
	v_mov_b32_e32 v175, v168
.LBB78_393:
	s_or_b32 exec_lo, exec_lo, s3
.LBB78_394:
	s_and_not1_saveexec_b32 s2, s2
	s_cbranch_execz .LBB78_396
; %bb.395:
	v_mov_b32_e32 v176, 18
	ds_store_2addr_b64 v170, v[88:89], v[90:91] offset0:38 offset1:39
	ds_store_2addr_b64 v170, v[84:85], v[86:87] offset0:40 offset1:41
	;; [unrolled: 1-line block ×21, first 2 shown]
.LBB78_396:
	s_or_b32 exec_lo, exec_lo, s2
	s_delay_alu instid0(SALU_CYCLE_1)
	s_mov_b32 s2, exec_lo
	s_waitcnt lgkmcnt(0)
	s_waitcnt_vscnt null, 0x0
	s_barrier
	buffer_gl0_inv
	v_cmpx_lt_i32_e32 18, v176
	s_cbranch_execz .LBB78_398
; %bb.397:
	v_mul_f64 v[168:169], v[162:163], v[94:95]
	v_mul_f64 v[94:95], v[160:161], v[94:95]
	s_delay_alu instid0(VALU_DEP_2) | instskip(NEXT) | instid1(VALU_DEP_2)
	v_fma_f64 v[168:169], v[160:161], v[92:93], -v[168:169]
	v_fma_f64 v[94:95], v[162:163], v[92:93], v[94:95]
	ds_load_2addr_b64 v[160:163], v170 offset0:38 offset1:39
	s_waitcnt lgkmcnt(0)
	v_mul_f64 v[92:93], v[162:163], v[94:95]
	s_delay_alu instid0(VALU_DEP_1) | instskip(SKIP_1) | instid1(VALU_DEP_2)
	v_fma_f64 v[92:93], v[160:161], v[168:169], -v[92:93]
	v_mul_f64 v[160:161], v[160:161], v[94:95]
	v_add_f64 v[88:89], v[88:89], -v[92:93]
	s_delay_alu instid0(VALU_DEP_2) | instskip(NEXT) | instid1(VALU_DEP_1)
	v_fma_f64 v[160:161], v[162:163], v[168:169], v[160:161]
	v_add_f64 v[90:91], v[90:91], -v[160:161]
	ds_load_2addr_b64 v[160:163], v170 offset0:40 offset1:41
	s_waitcnt lgkmcnt(0)
	v_mul_f64 v[92:93], v[162:163], v[94:95]
	s_delay_alu instid0(VALU_DEP_1) | instskip(SKIP_1) | instid1(VALU_DEP_2)
	v_fma_f64 v[92:93], v[160:161], v[168:169], -v[92:93]
	v_mul_f64 v[160:161], v[160:161], v[94:95]
	v_add_f64 v[84:85], v[84:85], -v[92:93]
	s_delay_alu instid0(VALU_DEP_2) | instskip(NEXT) | instid1(VALU_DEP_1)
	v_fma_f64 v[160:161], v[162:163], v[168:169], v[160:161]
	v_add_f64 v[86:87], v[86:87], -v[160:161]
	;; [unrolled: 10-line block ×20, first 2 shown]
	ds_load_2addr_b64 v[160:163], v170 offset0:78 offset1:79
	s_waitcnt lgkmcnt(0)
	v_mul_f64 v[92:93], v[162:163], v[94:95]
	s_delay_alu instid0(VALU_DEP_1) | instskip(SKIP_1) | instid1(VALU_DEP_2)
	v_fma_f64 v[92:93], v[160:161], v[168:169], -v[92:93]
	v_mul_f64 v[160:161], v[160:161], v[94:95]
	v_add_f64 v[0:1], v[0:1], -v[92:93]
	s_delay_alu instid0(VALU_DEP_2) | instskip(SKIP_1) | instid1(VALU_DEP_2)
	v_fma_f64 v[160:161], v[162:163], v[168:169], v[160:161]
	v_dual_mov_b32 v92, v168 :: v_dual_mov_b32 v93, v169
	v_add_f64 v[2:3], v[2:3], -v[160:161]
.LBB78_398:
	s_or_b32 exec_lo, exec_lo, s2
	v_lshl_add_u32 v160, v176, 4, v170
	s_barrier
	buffer_gl0_inv
	v_mov_b32_e32 v168, 19
	ds_store_2addr_b64 v160, v[88:89], v[90:91] offset1:1
	s_waitcnt lgkmcnt(0)
	s_barrier
	buffer_gl0_inv
	ds_load_2addr_b64 v[160:163], v170 offset0:38 offset1:39
	s_cmp_lt_i32 s5, 21
	s_cbranch_scc1 .LBB78_401
; %bb.399:
	v_add3_u32 v169, v174, 0, 0x140
	v_mov_b32_e32 v168, 19
	s_mov_b32 s6, 20
	s_set_inst_prefetch_distance 0x1
	.p2align	6
.LBB78_400:                             ; =>This Inner Loop Header: Depth=1
	ds_load_2addr_b64 v[177:180], v169 offset1:1
	s_waitcnt lgkmcnt(1)
	v_cmp_gt_f64_e32 vcc_lo, 0, v[160:161]
	v_xor_b32_e32 v181, 0x80000000, v161
	v_cmp_gt_f64_e64 s2, 0, v[162:163]
	v_xor_b32_e32 v183, 0x80000000, v163
	v_add_nc_u32_e32 v169, 16, v169
	s_waitcnt lgkmcnt(0)
	v_cmp_gt_f64_e64 s3, 0, v[177:178]
	v_mov_b32_e32 v185, v177
	v_dual_mov_b32 v187, v179 :: v_dual_cndmask_b32 v182, v161, v181
	v_xor_b32_e32 v181, 0x80000000, v178
	v_cndmask_b32_e64 v184, v163, v183, s2
	v_xor_b32_e32 v183, 0x80000000, v180
	s_delay_alu instid0(VALU_DEP_3) | instskip(SKIP_2) | instid1(VALU_DEP_2)
	v_cndmask_b32_e64 v186, v178, v181, s3
	v_cmp_gt_f64_e64 s3, 0, v[179:180]
	v_cndmask_b32_e32 v181, v160, v160, vcc_lo
	v_cndmask_b32_e64 v188, v180, v183, s3
	v_cndmask_b32_e64 v183, v162, v162, s2
	s_delay_alu instid0(VALU_DEP_2) | instskip(NEXT) | instid1(VALU_DEP_2)
	v_add_f64 v[185:186], v[185:186], v[187:188]
	v_add_f64 v[181:182], v[181:182], v[183:184]
	s_delay_alu instid0(VALU_DEP_1) | instskip(SKIP_4) | instid1(SALU_CYCLE_1)
	v_cmp_lt_f64_e32 vcc_lo, v[181:182], v[185:186]
	v_dual_cndmask_b32 v162, v162, v179 :: v_dual_cndmask_b32 v161, v161, v178
	v_dual_cndmask_b32 v160, v160, v177 :: v_dual_cndmask_b32 v163, v163, v180
	v_cndmask_b32_e64 v168, v168, s6, vcc_lo
	s_add_i32 s6, s6, 1
	s_cmp_lg_u32 s5, s6
	s_cbranch_scc1 .LBB78_400
.LBB78_401:
	s_set_inst_prefetch_distance 0x2
	s_waitcnt lgkmcnt(0)
	v_cmp_eq_f64_e32 vcc_lo, 0, v[160:161]
	v_cmp_eq_f64_e64 s2, 0, v[162:163]
	s_delay_alu instid0(VALU_DEP_1) | instskip(NEXT) | instid1(SALU_CYCLE_1)
	s_and_b32 s2, vcc_lo, s2
	s_and_saveexec_b32 s3, s2
	s_delay_alu instid0(SALU_CYCLE_1)
	s_xor_b32 s2, exec_lo, s3
; %bb.402:
	v_cmp_ne_u32_e32 vcc_lo, 0, v173
	v_cndmask_b32_e32 v173, 20, v173, vcc_lo
; %bb.403:
	s_and_not1_saveexec_b32 s3, s2
	s_cbranch_execz .LBB78_409
; %bb.404:
	v_cmp_gt_f64_e32 vcc_lo, 0, v[160:161]
	v_cmp_gt_f64_e64 s2, 0, v[162:163]
	v_xor_b32_e32 v169, 0x80000000, v161
	v_xor_b32_e32 v177, 0x80000000, v163
	s_delay_alu instid0(VALU_DEP_2) | instskip(NEXT) | instid1(VALU_DEP_2)
	v_cndmask_b32_e32 v178, v161, v169, vcc_lo
	v_cndmask_b32_e64 v180, v163, v177, s2
	v_cndmask_b32_e32 v177, v160, v160, vcc_lo
	v_cndmask_b32_e64 v179, v162, v162, s2
	s_mov_b32 s2, exec_lo
	s_delay_alu instid0(VALU_DEP_1)
	v_cmpx_ngt_f64_e32 v[177:178], v[179:180]
	s_xor_b32 s2, exec_lo, s2
	s_cbranch_execz .LBB78_406
; %bb.405:
	v_div_scale_f64 v[177:178], null, v[162:163], v[162:163], v[160:161]
	v_div_scale_f64 v[183:184], vcc_lo, v[160:161], v[162:163], v[160:161]
	s_delay_alu instid0(VALU_DEP_2) | instskip(SKIP_2) | instid1(VALU_DEP_1)
	v_rcp_f64_e32 v[179:180], v[177:178]
	s_waitcnt_depctr 0xfff
	v_fma_f64 v[181:182], -v[177:178], v[179:180], 1.0
	v_fma_f64 v[179:180], v[179:180], v[181:182], v[179:180]
	s_delay_alu instid0(VALU_DEP_1) | instskip(NEXT) | instid1(VALU_DEP_1)
	v_fma_f64 v[181:182], -v[177:178], v[179:180], 1.0
	v_fma_f64 v[179:180], v[179:180], v[181:182], v[179:180]
	s_delay_alu instid0(VALU_DEP_1) | instskip(NEXT) | instid1(VALU_DEP_1)
	v_mul_f64 v[181:182], v[183:184], v[179:180]
	v_fma_f64 v[177:178], -v[177:178], v[181:182], v[183:184]
	s_delay_alu instid0(VALU_DEP_1) | instskip(NEXT) | instid1(VALU_DEP_1)
	v_div_fmas_f64 v[177:178], v[177:178], v[179:180], v[181:182]
	v_div_fixup_f64 v[177:178], v[177:178], v[162:163], v[160:161]
	s_delay_alu instid0(VALU_DEP_1) | instskip(NEXT) | instid1(VALU_DEP_1)
	v_fma_f64 v[160:161], v[160:161], v[177:178], v[162:163]
	v_div_scale_f64 v[162:163], null, v[160:161], v[160:161], 1.0
	s_delay_alu instid0(VALU_DEP_1) | instskip(SKIP_2) | instid1(VALU_DEP_1)
	v_rcp_f64_e32 v[179:180], v[162:163]
	s_waitcnt_depctr 0xfff
	v_fma_f64 v[181:182], -v[162:163], v[179:180], 1.0
	v_fma_f64 v[179:180], v[179:180], v[181:182], v[179:180]
	s_delay_alu instid0(VALU_DEP_1) | instskip(NEXT) | instid1(VALU_DEP_1)
	v_fma_f64 v[181:182], -v[162:163], v[179:180], 1.0
	v_fma_f64 v[179:180], v[179:180], v[181:182], v[179:180]
	v_div_scale_f64 v[181:182], vcc_lo, 1.0, v[160:161], 1.0
	s_delay_alu instid0(VALU_DEP_1) | instskip(NEXT) | instid1(VALU_DEP_1)
	v_mul_f64 v[183:184], v[181:182], v[179:180]
	v_fma_f64 v[162:163], -v[162:163], v[183:184], v[181:182]
	s_delay_alu instid0(VALU_DEP_1) | instskip(NEXT) | instid1(VALU_DEP_1)
	v_div_fmas_f64 v[162:163], v[162:163], v[179:180], v[183:184]
	v_div_fixup_f64 v[162:163], v[162:163], v[160:161], 1.0
	s_delay_alu instid0(VALU_DEP_1)
	v_mul_f64 v[160:161], v[177:178], v[162:163]
	v_xor_b32_e32 v163, 0x80000000, v163
.LBB78_406:
	s_and_not1_saveexec_b32 s2, s2
	s_cbranch_execz .LBB78_408
; %bb.407:
	s_delay_alu instid0(VALU_DEP_1) | instskip(SKIP_1) | instid1(VALU_DEP_2)
	v_div_scale_f64 v[177:178], null, v[160:161], v[160:161], v[162:163]
	v_div_scale_f64 v[183:184], vcc_lo, v[162:163], v[160:161], v[162:163]
	v_rcp_f64_e32 v[179:180], v[177:178]
	s_waitcnt_depctr 0xfff
	v_fma_f64 v[181:182], -v[177:178], v[179:180], 1.0
	s_delay_alu instid0(VALU_DEP_1) | instskip(NEXT) | instid1(VALU_DEP_1)
	v_fma_f64 v[179:180], v[179:180], v[181:182], v[179:180]
	v_fma_f64 v[181:182], -v[177:178], v[179:180], 1.0
	s_delay_alu instid0(VALU_DEP_1) | instskip(NEXT) | instid1(VALU_DEP_1)
	v_fma_f64 v[179:180], v[179:180], v[181:182], v[179:180]
	v_mul_f64 v[181:182], v[183:184], v[179:180]
	s_delay_alu instid0(VALU_DEP_1) | instskip(NEXT) | instid1(VALU_DEP_1)
	v_fma_f64 v[177:178], -v[177:178], v[181:182], v[183:184]
	v_div_fmas_f64 v[177:178], v[177:178], v[179:180], v[181:182]
	s_delay_alu instid0(VALU_DEP_1) | instskip(NEXT) | instid1(VALU_DEP_1)
	v_div_fixup_f64 v[177:178], v[177:178], v[160:161], v[162:163]
	v_fma_f64 v[160:161], v[162:163], v[177:178], v[160:161]
	s_delay_alu instid0(VALU_DEP_1) | instskip(NEXT) | instid1(VALU_DEP_1)
	v_div_scale_f64 v[162:163], null, v[160:161], v[160:161], 1.0
	v_rcp_f64_e32 v[179:180], v[162:163]
	s_waitcnt_depctr 0xfff
	v_fma_f64 v[181:182], -v[162:163], v[179:180], 1.0
	s_delay_alu instid0(VALU_DEP_1) | instskip(NEXT) | instid1(VALU_DEP_1)
	v_fma_f64 v[179:180], v[179:180], v[181:182], v[179:180]
	v_fma_f64 v[181:182], -v[162:163], v[179:180], 1.0
	s_delay_alu instid0(VALU_DEP_1) | instskip(SKIP_1) | instid1(VALU_DEP_1)
	v_fma_f64 v[179:180], v[179:180], v[181:182], v[179:180]
	v_div_scale_f64 v[181:182], vcc_lo, 1.0, v[160:161], 1.0
	v_mul_f64 v[183:184], v[181:182], v[179:180]
	s_delay_alu instid0(VALU_DEP_1) | instskip(NEXT) | instid1(VALU_DEP_1)
	v_fma_f64 v[162:163], -v[162:163], v[183:184], v[181:182]
	v_div_fmas_f64 v[162:163], v[162:163], v[179:180], v[183:184]
	s_delay_alu instid0(VALU_DEP_1) | instskip(NEXT) | instid1(VALU_DEP_1)
	v_div_fixup_f64 v[160:161], v[162:163], v[160:161], 1.0
	v_mul_f64 v[162:163], v[177:178], -v[160:161]
.LBB78_408:
	s_or_b32 exec_lo, exec_lo, s2
.LBB78_409:
	s_delay_alu instid0(SALU_CYCLE_1) | instskip(NEXT) | instid1(SALU_CYCLE_1)
	s_or_b32 exec_lo, exec_lo, s3
	s_mov_b32 s2, exec_lo
	v_cmpx_ne_u32_e64 v176, v168
	s_xor_b32 s2, exec_lo, s2
	s_cbranch_execz .LBB78_415
; %bb.410:
	s_mov_b32 s3, exec_lo
	v_cmpx_eq_u32_e32 19, v176
	s_cbranch_execz .LBB78_414
; %bb.411:
	v_cmp_ne_u32_e32 vcc_lo, 19, v168
	s_xor_b32 s6, s4, -1
	s_delay_alu instid0(SALU_CYCLE_1) | instskip(NEXT) | instid1(SALU_CYCLE_1)
	s_and_b32 s7, s6, vcc_lo
	s_and_saveexec_b32 s6, s7
	s_cbranch_execz .LBB78_413
; %bb.412:
	v_ashrrev_i32_e32 v169, 31, v168
	s_delay_alu instid0(VALU_DEP_1) | instskip(NEXT) | instid1(VALU_DEP_1)
	v_lshlrev_b64 v[175:176], 2, v[168:169]
	v_add_co_u32 v175, vcc_lo, v166, v175
	s_delay_alu instid0(VALU_DEP_2)
	v_add_co_ci_u32_e32 v176, vcc_lo, v167, v176, vcc_lo
	s_clause 0x1
	flat_load_b32 v169, v[175:176]
	flat_load_b32 v177, v[166:167] offset:76
	s_waitcnt vmcnt(1) lgkmcnt(1)
	flat_store_b32 v[166:167], v169 offset:76
	s_waitcnt vmcnt(0) lgkmcnt(1)
	flat_store_b32 v[175:176], v177
.LBB78_413:
	s_or_b32 exec_lo, exec_lo, s6
	v_mov_b32_e32 v176, v168
	v_mov_b32_e32 v175, v168
.LBB78_414:
	s_or_b32 exec_lo, exec_lo, s3
.LBB78_415:
	s_and_not1_saveexec_b32 s2, s2
	s_cbranch_execz .LBB78_417
; %bb.416:
	v_mov_b32_e32 v176, 19
	ds_store_2addr_b64 v170, v[84:85], v[86:87] offset0:40 offset1:41
	ds_store_2addr_b64 v170, v[80:81], v[82:83] offset0:42 offset1:43
	;; [unrolled: 1-line block ×20, first 2 shown]
.LBB78_417:
	s_or_b32 exec_lo, exec_lo, s2
	s_delay_alu instid0(SALU_CYCLE_1)
	s_mov_b32 s2, exec_lo
	s_waitcnt lgkmcnt(0)
	s_waitcnt_vscnt null, 0x0
	s_barrier
	buffer_gl0_inv
	v_cmpx_lt_i32_e32 19, v176
	s_cbranch_execz .LBB78_419
; %bb.418:
	v_mul_f64 v[168:169], v[162:163], v[90:91]
	v_mul_f64 v[90:91], v[160:161], v[90:91]
	s_delay_alu instid0(VALU_DEP_2) | instskip(NEXT) | instid1(VALU_DEP_2)
	v_fma_f64 v[168:169], v[160:161], v[88:89], -v[168:169]
	v_fma_f64 v[90:91], v[162:163], v[88:89], v[90:91]
	ds_load_2addr_b64 v[160:163], v170 offset0:40 offset1:41
	s_waitcnt lgkmcnt(0)
	v_mul_f64 v[88:89], v[162:163], v[90:91]
	s_delay_alu instid0(VALU_DEP_1) | instskip(SKIP_1) | instid1(VALU_DEP_2)
	v_fma_f64 v[88:89], v[160:161], v[168:169], -v[88:89]
	v_mul_f64 v[160:161], v[160:161], v[90:91]
	v_add_f64 v[84:85], v[84:85], -v[88:89]
	s_delay_alu instid0(VALU_DEP_2) | instskip(NEXT) | instid1(VALU_DEP_1)
	v_fma_f64 v[160:161], v[162:163], v[168:169], v[160:161]
	v_add_f64 v[86:87], v[86:87], -v[160:161]
	ds_load_2addr_b64 v[160:163], v170 offset0:42 offset1:43
	s_waitcnt lgkmcnt(0)
	v_mul_f64 v[88:89], v[162:163], v[90:91]
	s_delay_alu instid0(VALU_DEP_1) | instskip(SKIP_1) | instid1(VALU_DEP_2)
	v_fma_f64 v[88:89], v[160:161], v[168:169], -v[88:89]
	v_mul_f64 v[160:161], v[160:161], v[90:91]
	v_add_f64 v[80:81], v[80:81], -v[88:89]
	s_delay_alu instid0(VALU_DEP_2) | instskip(NEXT) | instid1(VALU_DEP_1)
	v_fma_f64 v[160:161], v[162:163], v[168:169], v[160:161]
	v_add_f64 v[82:83], v[82:83], -v[160:161]
	;; [unrolled: 10-line block ×19, first 2 shown]
	ds_load_2addr_b64 v[160:163], v170 offset0:78 offset1:79
	s_waitcnt lgkmcnt(0)
	v_mul_f64 v[88:89], v[162:163], v[90:91]
	s_delay_alu instid0(VALU_DEP_1) | instskip(SKIP_1) | instid1(VALU_DEP_2)
	v_fma_f64 v[88:89], v[160:161], v[168:169], -v[88:89]
	v_mul_f64 v[160:161], v[160:161], v[90:91]
	v_add_f64 v[0:1], v[0:1], -v[88:89]
	s_delay_alu instid0(VALU_DEP_2) | instskip(SKIP_1) | instid1(VALU_DEP_2)
	v_fma_f64 v[160:161], v[162:163], v[168:169], v[160:161]
	v_dual_mov_b32 v88, v168 :: v_dual_mov_b32 v89, v169
	v_add_f64 v[2:3], v[2:3], -v[160:161]
.LBB78_419:
	s_or_b32 exec_lo, exec_lo, s2
	v_lshl_add_u32 v160, v176, 4, v170
	s_barrier
	buffer_gl0_inv
	v_mov_b32_e32 v168, 20
	ds_store_2addr_b64 v160, v[84:85], v[86:87] offset1:1
	s_waitcnt lgkmcnt(0)
	s_barrier
	buffer_gl0_inv
	ds_load_2addr_b64 v[160:163], v170 offset0:40 offset1:41
	s_cmp_lt_i32 s5, 22
	s_cbranch_scc1 .LBB78_422
; %bb.420:
	v_add3_u32 v169, v174, 0, 0x150
	v_mov_b32_e32 v168, 20
	s_mov_b32 s6, 21
	s_set_inst_prefetch_distance 0x1
	.p2align	6
.LBB78_421:                             ; =>This Inner Loop Header: Depth=1
	ds_load_2addr_b64 v[177:180], v169 offset1:1
	s_waitcnt lgkmcnt(1)
	v_cmp_gt_f64_e32 vcc_lo, 0, v[160:161]
	v_xor_b32_e32 v181, 0x80000000, v161
	v_cmp_gt_f64_e64 s2, 0, v[162:163]
	v_xor_b32_e32 v183, 0x80000000, v163
	v_add_nc_u32_e32 v169, 16, v169
	s_waitcnt lgkmcnt(0)
	v_cmp_gt_f64_e64 s3, 0, v[177:178]
	v_mov_b32_e32 v185, v177
	v_dual_mov_b32 v187, v179 :: v_dual_cndmask_b32 v182, v161, v181
	v_xor_b32_e32 v181, 0x80000000, v178
	v_cndmask_b32_e64 v184, v163, v183, s2
	v_xor_b32_e32 v183, 0x80000000, v180
	s_delay_alu instid0(VALU_DEP_3) | instskip(SKIP_2) | instid1(VALU_DEP_2)
	v_cndmask_b32_e64 v186, v178, v181, s3
	v_cmp_gt_f64_e64 s3, 0, v[179:180]
	v_cndmask_b32_e32 v181, v160, v160, vcc_lo
	v_cndmask_b32_e64 v188, v180, v183, s3
	v_cndmask_b32_e64 v183, v162, v162, s2
	s_delay_alu instid0(VALU_DEP_2) | instskip(NEXT) | instid1(VALU_DEP_2)
	v_add_f64 v[185:186], v[185:186], v[187:188]
	v_add_f64 v[181:182], v[181:182], v[183:184]
	s_delay_alu instid0(VALU_DEP_1) | instskip(SKIP_4) | instid1(SALU_CYCLE_1)
	v_cmp_lt_f64_e32 vcc_lo, v[181:182], v[185:186]
	v_dual_cndmask_b32 v162, v162, v179 :: v_dual_cndmask_b32 v161, v161, v178
	v_dual_cndmask_b32 v160, v160, v177 :: v_dual_cndmask_b32 v163, v163, v180
	v_cndmask_b32_e64 v168, v168, s6, vcc_lo
	s_add_i32 s6, s6, 1
	s_cmp_lg_u32 s5, s6
	s_cbranch_scc1 .LBB78_421
.LBB78_422:
	s_set_inst_prefetch_distance 0x2
	s_waitcnt lgkmcnt(0)
	v_cmp_eq_f64_e32 vcc_lo, 0, v[160:161]
	v_cmp_eq_f64_e64 s2, 0, v[162:163]
	s_delay_alu instid0(VALU_DEP_1) | instskip(NEXT) | instid1(SALU_CYCLE_1)
	s_and_b32 s2, vcc_lo, s2
	s_and_saveexec_b32 s3, s2
	s_delay_alu instid0(SALU_CYCLE_1)
	s_xor_b32 s2, exec_lo, s3
; %bb.423:
	v_cmp_ne_u32_e32 vcc_lo, 0, v173
	v_cndmask_b32_e32 v173, 21, v173, vcc_lo
; %bb.424:
	s_and_not1_saveexec_b32 s3, s2
	s_cbranch_execz .LBB78_430
; %bb.425:
	v_cmp_gt_f64_e32 vcc_lo, 0, v[160:161]
	v_cmp_gt_f64_e64 s2, 0, v[162:163]
	v_xor_b32_e32 v169, 0x80000000, v161
	v_xor_b32_e32 v177, 0x80000000, v163
	s_delay_alu instid0(VALU_DEP_2) | instskip(NEXT) | instid1(VALU_DEP_2)
	v_cndmask_b32_e32 v178, v161, v169, vcc_lo
	v_cndmask_b32_e64 v180, v163, v177, s2
	v_cndmask_b32_e32 v177, v160, v160, vcc_lo
	v_cndmask_b32_e64 v179, v162, v162, s2
	s_mov_b32 s2, exec_lo
	s_delay_alu instid0(VALU_DEP_1)
	v_cmpx_ngt_f64_e32 v[177:178], v[179:180]
	s_xor_b32 s2, exec_lo, s2
	s_cbranch_execz .LBB78_427
; %bb.426:
	v_div_scale_f64 v[177:178], null, v[162:163], v[162:163], v[160:161]
	v_div_scale_f64 v[183:184], vcc_lo, v[160:161], v[162:163], v[160:161]
	s_delay_alu instid0(VALU_DEP_2) | instskip(SKIP_2) | instid1(VALU_DEP_1)
	v_rcp_f64_e32 v[179:180], v[177:178]
	s_waitcnt_depctr 0xfff
	v_fma_f64 v[181:182], -v[177:178], v[179:180], 1.0
	v_fma_f64 v[179:180], v[179:180], v[181:182], v[179:180]
	s_delay_alu instid0(VALU_DEP_1) | instskip(NEXT) | instid1(VALU_DEP_1)
	v_fma_f64 v[181:182], -v[177:178], v[179:180], 1.0
	v_fma_f64 v[179:180], v[179:180], v[181:182], v[179:180]
	s_delay_alu instid0(VALU_DEP_1) | instskip(NEXT) | instid1(VALU_DEP_1)
	v_mul_f64 v[181:182], v[183:184], v[179:180]
	v_fma_f64 v[177:178], -v[177:178], v[181:182], v[183:184]
	s_delay_alu instid0(VALU_DEP_1) | instskip(NEXT) | instid1(VALU_DEP_1)
	v_div_fmas_f64 v[177:178], v[177:178], v[179:180], v[181:182]
	v_div_fixup_f64 v[177:178], v[177:178], v[162:163], v[160:161]
	s_delay_alu instid0(VALU_DEP_1) | instskip(NEXT) | instid1(VALU_DEP_1)
	v_fma_f64 v[160:161], v[160:161], v[177:178], v[162:163]
	v_div_scale_f64 v[162:163], null, v[160:161], v[160:161], 1.0
	s_delay_alu instid0(VALU_DEP_1) | instskip(SKIP_2) | instid1(VALU_DEP_1)
	v_rcp_f64_e32 v[179:180], v[162:163]
	s_waitcnt_depctr 0xfff
	v_fma_f64 v[181:182], -v[162:163], v[179:180], 1.0
	v_fma_f64 v[179:180], v[179:180], v[181:182], v[179:180]
	s_delay_alu instid0(VALU_DEP_1) | instskip(NEXT) | instid1(VALU_DEP_1)
	v_fma_f64 v[181:182], -v[162:163], v[179:180], 1.0
	v_fma_f64 v[179:180], v[179:180], v[181:182], v[179:180]
	v_div_scale_f64 v[181:182], vcc_lo, 1.0, v[160:161], 1.0
	s_delay_alu instid0(VALU_DEP_1) | instskip(NEXT) | instid1(VALU_DEP_1)
	v_mul_f64 v[183:184], v[181:182], v[179:180]
	v_fma_f64 v[162:163], -v[162:163], v[183:184], v[181:182]
	s_delay_alu instid0(VALU_DEP_1) | instskip(NEXT) | instid1(VALU_DEP_1)
	v_div_fmas_f64 v[162:163], v[162:163], v[179:180], v[183:184]
	v_div_fixup_f64 v[162:163], v[162:163], v[160:161], 1.0
	s_delay_alu instid0(VALU_DEP_1)
	v_mul_f64 v[160:161], v[177:178], v[162:163]
	v_xor_b32_e32 v163, 0x80000000, v163
.LBB78_427:
	s_and_not1_saveexec_b32 s2, s2
	s_cbranch_execz .LBB78_429
; %bb.428:
	s_delay_alu instid0(VALU_DEP_1) | instskip(SKIP_1) | instid1(VALU_DEP_2)
	v_div_scale_f64 v[177:178], null, v[160:161], v[160:161], v[162:163]
	v_div_scale_f64 v[183:184], vcc_lo, v[162:163], v[160:161], v[162:163]
	v_rcp_f64_e32 v[179:180], v[177:178]
	s_waitcnt_depctr 0xfff
	v_fma_f64 v[181:182], -v[177:178], v[179:180], 1.0
	s_delay_alu instid0(VALU_DEP_1) | instskip(NEXT) | instid1(VALU_DEP_1)
	v_fma_f64 v[179:180], v[179:180], v[181:182], v[179:180]
	v_fma_f64 v[181:182], -v[177:178], v[179:180], 1.0
	s_delay_alu instid0(VALU_DEP_1) | instskip(NEXT) | instid1(VALU_DEP_1)
	v_fma_f64 v[179:180], v[179:180], v[181:182], v[179:180]
	v_mul_f64 v[181:182], v[183:184], v[179:180]
	s_delay_alu instid0(VALU_DEP_1) | instskip(NEXT) | instid1(VALU_DEP_1)
	v_fma_f64 v[177:178], -v[177:178], v[181:182], v[183:184]
	v_div_fmas_f64 v[177:178], v[177:178], v[179:180], v[181:182]
	s_delay_alu instid0(VALU_DEP_1) | instskip(NEXT) | instid1(VALU_DEP_1)
	v_div_fixup_f64 v[177:178], v[177:178], v[160:161], v[162:163]
	v_fma_f64 v[160:161], v[162:163], v[177:178], v[160:161]
	s_delay_alu instid0(VALU_DEP_1) | instskip(NEXT) | instid1(VALU_DEP_1)
	v_div_scale_f64 v[162:163], null, v[160:161], v[160:161], 1.0
	v_rcp_f64_e32 v[179:180], v[162:163]
	s_waitcnt_depctr 0xfff
	v_fma_f64 v[181:182], -v[162:163], v[179:180], 1.0
	s_delay_alu instid0(VALU_DEP_1) | instskip(NEXT) | instid1(VALU_DEP_1)
	v_fma_f64 v[179:180], v[179:180], v[181:182], v[179:180]
	v_fma_f64 v[181:182], -v[162:163], v[179:180], 1.0
	s_delay_alu instid0(VALU_DEP_1) | instskip(SKIP_1) | instid1(VALU_DEP_1)
	v_fma_f64 v[179:180], v[179:180], v[181:182], v[179:180]
	v_div_scale_f64 v[181:182], vcc_lo, 1.0, v[160:161], 1.0
	v_mul_f64 v[183:184], v[181:182], v[179:180]
	s_delay_alu instid0(VALU_DEP_1) | instskip(NEXT) | instid1(VALU_DEP_1)
	v_fma_f64 v[162:163], -v[162:163], v[183:184], v[181:182]
	v_div_fmas_f64 v[162:163], v[162:163], v[179:180], v[183:184]
	s_delay_alu instid0(VALU_DEP_1) | instskip(NEXT) | instid1(VALU_DEP_1)
	v_div_fixup_f64 v[160:161], v[162:163], v[160:161], 1.0
	v_mul_f64 v[162:163], v[177:178], -v[160:161]
.LBB78_429:
	s_or_b32 exec_lo, exec_lo, s2
.LBB78_430:
	s_delay_alu instid0(SALU_CYCLE_1) | instskip(NEXT) | instid1(SALU_CYCLE_1)
	s_or_b32 exec_lo, exec_lo, s3
	s_mov_b32 s2, exec_lo
	v_cmpx_ne_u32_e64 v176, v168
	s_xor_b32 s2, exec_lo, s2
	s_cbranch_execz .LBB78_436
; %bb.431:
	s_mov_b32 s3, exec_lo
	v_cmpx_eq_u32_e32 20, v176
	s_cbranch_execz .LBB78_435
; %bb.432:
	v_cmp_ne_u32_e32 vcc_lo, 20, v168
	s_xor_b32 s6, s4, -1
	s_delay_alu instid0(SALU_CYCLE_1) | instskip(NEXT) | instid1(SALU_CYCLE_1)
	s_and_b32 s7, s6, vcc_lo
	s_and_saveexec_b32 s6, s7
	s_cbranch_execz .LBB78_434
; %bb.433:
	v_ashrrev_i32_e32 v169, 31, v168
	s_delay_alu instid0(VALU_DEP_1) | instskip(NEXT) | instid1(VALU_DEP_1)
	v_lshlrev_b64 v[175:176], 2, v[168:169]
	v_add_co_u32 v175, vcc_lo, v166, v175
	s_delay_alu instid0(VALU_DEP_2)
	v_add_co_ci_u32_e32 v176, vcc_lo, v167, v176, vcc_lo
	s_clause 0x1
	flat_load_b32 v169, v[175:176]
	flat_load_b32 v177, v[166:167] offset:80
	s_waitcnt vmcnt(1) lgkmcnt(1)
	flat_store_b32 v[166:167], v169 offset:80
	s_waitcnt vmcnt(0) lgkmcnt(1)
	flat_store_b32 v[175:176], v177
.LBB78_434:
	s_or_b32 exec_lo, exec_lo, s6
	v_mov_b32_e32 v176, v168
	v_mov_b32_e32 v175, v168
.LBB78_435:
	s_or_b32 exec_lo, exec_lo, s3
.LBB78_436:
	s_and_not1_saveexec_b32 s2, s2
	s_cbranch_execz .LBB78_438
; %bb.437:
	v_mov_b32_e32 v176, 20
	ds_store_2addr_b64 v170, v[80:81], v[82:83] offset0:42 offset1:43
	ds_store_2addr_b64 v170, v[76:77], v[78:79] offset0:44 offset1:45
	;; [unrolled: 1-line block ×19, first 2 shown]
.LBB78_438:
	s_or_b32 exec_lo, exec_lo, s2
	s_delay_alu instid0(SALU_CYCLE_1)
	s_mov_b32 s2, exec_lo
	s_waitcnt lgkmcnt(0)
	s_waitcnt_vscnt null, 0x0
	s_barrier
	buffer_gl0_inv
	v_cmpx_lt_i32_e32 20, v176
	s_cbranch_execz .LBB78_440
; %bb.439:
	v_mul_f64 v[168:169], v[162:163], v[86:87]
	v_mul_f64 v[86:87], v[160:161], v[86:87]
	s_delay_alu instid0(VALU_DEP_2) | instskip(NEXT) | instid1(VALU_DEP_2)
	v_fma_f64 v[168:169], v[160:161], v[84:85], -v[168:169]
	v_fma_f64 v[86:87], v[162:163], v[84:85], v[86:87]
	ds_load_2addr_b64 v[160:163], v170 offset0:42 offset1:43
	s_waitcnt lgkmcnt(0)
	v_mul_f64 v[84:85], v[162:163], v[86:87]
	s_delay_alu instid0(VALU_DEP_1) | instskip(SKIP_1) | instid1(VALU_DEP_2)
	v_fma_f64 v[84:85], v[160:161], v[168:169], -v[84:85]
	v_mul_f64 v[160:161], v[160:161], v[86:87]
	v_add_f64 v[80:81], v[80:81], -v[84:85]
	s_delay_alu instid0(VALU_DEP_2) | instskip(NEXT) | instid1(VALU_DEP_1)
	v_fma_f64 v[160:161], v[162:163], v[168:169], v[160:161]
	v_add_f64 v[82:83], v[82:83], -v[160:161]
	ds_load_2addr_b64 v[160:163], v170 offset0:44 offset1:45
	s_waitcnt lgkmcnt(0)
	v_mul_f64 v[84:85], v[162:163], v[86:87]
	s_delay_alu instid0(VALU_DEP_1) | instskip(SKIP_1) | instid1(VALU_DEP_2)
	v_fma_f64 v[84:85], v[160:161], v[168:169], -v[84:85]
	v_mul_f64 v[160:161], v[160:161], v[86:87]
	v_add_f64 v[76:77], v[76:77], -v[84:85]
	s_delay_alu instid0(VALU_DEP_2) | instskip(NEXT) | instid1(VALU_DEP_1)
	v_fma_f64 v[160:161], v[162:163], v[168:169], v[160:161]
	v_add_f64 v[78:79], v[78:79], -v[160:161]
	;; [unrolled: 10-line block ×18, first 2 shown]
	ds_load_2addr_b64 v[160:163], v170 offset0:78 offset1:79
	s_waitcnt lgkmcnt(0)
	v_mul_f64 v[84:85], v[162:163], v[86:87]
	s_delay_alu instid0(VALU_DEP_1) | instskip(SKIP_1) | instid1(VALU_DEP_2)
	v_fma_f64 v[84:85], v[160:161], v[168:169], -v[84:85]
	v_mul_f64 v[160:161], v[160:161], v[86:87]
	v_add_f64 v[0:1], v[0:1], -v[84:85]
	s_delay_alu instid0(VALU_DEP_2) | instskip(SKIP_1) | instid1(VALU_DEP_2)
	v_fma_f64 v[160:161], v[162:163], v[168:169], v[160:161]
	v_dual_mov_b32 v84, v168 :: v_dual_mov_b32 v85, v169
	v_add_f64 v[2:3], v[2:3], -v[160:161]
.LBB78_440:
	s_or_b32 exec_lo, exec_lo, s2
	v_lshl_add_u32 v160, v176, 4, v170
	s_barrier
	buffer_gl0_inv
	v_mov_b32_e32 v168, 21
	ds_store_2addr_b64 v160, v[80:81], v[82:83] offset1:1
	s_waitcnt lgkmcnt(0)
	s_barrier
	buffer_gl0_inv
	ds_load_2addr_b64 v[160:163], v170 offset0:42 offset1:43
	s_cmp_lt_i32 s5, 23
	s_cbranch_scc1 .LBB78_443
; %bb.441:
	v_add3_u32 v169, v174, 0, 0x160
	v_mov_b32_e32 v168, 21
	s_mov_b32 s6, 22
	s_set_inst_prefetch_distance 0x1
	.p2align	6
.LBB78_442:                             ; =>This Inner Loop Header: Depth=1
	ds_load_2addr_b64 v[177:180], v169 offset1:1
	s_waitcnt lgkmcnt(1)
	v_cmp_gt_f64_e32 vcc_lo, 0, v[160:161]
	v_xor_b32_e32 v181, 0x80000000, v161
	v_cmp_gt_f64_e64 s2, 0, v[162:163]
	v_xor_b32_e32 v183, 0x80000000, v163
	v_add_nc_u32_e32 v169, 16, v169
	s_waitcnt lgkmcnt(0)
	v_cmp_gt_f64_e64 s3, 0, v[177:178]
	v_mov_b32_e32 v185, v177
	v_dual_mov_b32 v187, v179 :: v_dual_cndmask_b32 v182, v161, v181
	v_xor_b32_e32 v181, 0x80000000, v178
	v_cndmask_b32_e64 v184, v163, v183, s2
	v_xor_b32_e32 v183, 0x80000000, v180
	s_delay_alu instid0(VALU_DEP_3) | instskip(SKIP_2) | instid1(VALU_DEP_2)
	v_cndmask_b32_e64 v186, v178, v181, s3
	v_cmp_gt_f64_e64 s3, 0, v[179:180]
	v_cndmask_b32_e32 v181, v160, v160, vcc_lo
	v_cndmask_b32_e64 v188, v180, v183, s3
	v_cndmask_b32_e64 v183, v162, v162, s2
	s_delay_alu instid0(VALU_DEP_2) | instskip(NEXT) | instid1(VALU_DEP_2)
	v_add_f64 v[185:186], v[185:186], v[187:188]
	v_add_f64 v[181:182], v[181:182], v[183:184]
	s_delay_alu instid0(VALU_DEP_1) | instskip(SKIP_4) | instid1(SALU_CYCLE_1)
	v_cmp_lt_f64_e32 vcc_lo, v[181:182], v[185:186]
	v_dual_cndmask_b32 v162, v162, v179 :: v_dual_cndmask_b32 v161, v161, v178
	v_dual_cndmask_b32 v160, v160, v177 :: v_dual_cndmask_b32 v163, v163, v180
	v_cndmask_b32_e64 v168, v168, s6, vcc_lo
	s_add_i32 s6, s6, 1
	s_cmp_lg_u32 s5, s6
	s_cbranch_scc1 .LBB78_442
.LBB78_443:
	s_set_inst_prefetch_distance 0x2
	s_waitcnt lgkmcnt(0)
	v_cmp_eq_f64_e32 vcc_lo, 0, v[160:161]
	v_cmp_eq_f64_e64 s2, 0, v[162:163]
	s_delay_alu instid0(VALU_DEP_1) | instskip(NEXT) | instid1(SALU_CYCLE_1)
	s_and_b32 s2, vcc_lo, s2
	s_and_saveexec_b32 s3, s2
	s_delay_alu instid0(SALU_CYCLE_1)
	s_xor_b32 s2, exec_lo, s3
; %bb.444:
	v_cmp_ne_u32_e32 vcc_lo, 0, v173
	v_cndmask_b32_e32 v173, 22, v173, vcc_lo
; %bb.445:
	s_and_not1_saveexec_b32 s3, s2
	s_cbranch_execz .LBB78_451
; %bb.446:
	v_cmp_gt_f64_e32 vcc_lo, 0, v[160:161]
	v_cmp_gt_f64_e64 s2, 0, v[162:163]
	v_xor_b32_e32 v169, 0x80000000, v161
	v_xor_b32_e32 v177, 0x80000000, v163
	s_delay_alu instid0(VALU_DEP_2) | instskip(NEXT) | instid1(VALU_DEP_2)
	v_cndmask_b32_e32 v178, v161, v169, vcc_lo
	v_cndmask_b32_e64 v180, v163, v177, s2
	v_cndmask_b32_e32 v177, v160, v160, vcc_lo
	v_cndmask_b32_e64 v179, v162, v162, s2
	s_mov_b32 s2, exec_lo
	s_delay_alu instid0(VALU_DEP_1)
	v_cmpx_ngt_f64_e32 v[177:178], v[179:180]
	s_xor_b32 s2, exec_lo, s2
	s_cbranch_execz .LBB78_448
; %bb.447:
	v_div_scale_f64 v[177:178], null, v[162:163], v[162:163], v[160:161]
	v_div_scale_f64 v[183:184], vcc_lo, v[160:161], v[162:163], v[160:161]
	s_delay_alu instid0(VALU_DEP_2) | instskip(SKIP_2) | instid1(VALU_DEP_1)
	v_rcp_f64_e32 v[179:180], v[177:178]
	s_waitcnt_depctr 0xfff
	v_fma_f64 v[181:182], -v[177:178], v[179:180], 1.0
	v_fma_f64 v[179:180], v[179:180], v[181:182], v[179:180]
	s_delay_alu instid0(VALU_DEP_1) | instskip(NEXT) | instid1(VALU_DEP_1)
	v_fma_f64 v[181:182], -v[177:178], v[179:180], 1.0
	v_fma_f64 v[179:180], v[179:180], v[181:182], v[179:180]
	s_delay_alu instid0(VALU_DEP_1) | instskip(NEXT) | instid1(VALU_DEP_1)
	v_mul_f64 v[181:182], v[183:184], v[179:180]
	v_fma_f64 v[177:178], -v[177:178], v[181:182], v[183:184]
	s_delay_alu instid0(VALU_DEP_1) | instskip(NEXT) | instid1(VALU_DEP_1)
	v_div_fmas_f64 v[177:178], v[177:178], v[179:180], v[181:182]
	v_div_fixup_f64 v[177:178], v[177:178], v[162:163], v[160:161]
	s_delay_alu instid0(VALU_DEP_1) | instskip(NEXT) | instid1(VALU_DEP_1)
	v_fma_f64 v[160:161], v[160:161], v[177:178], v[162:163]
	v_div_scale_f64 v[162:163], null, v[160:161], v[160:161], 1.0
	s_delay_alu instid0(VALU_DEP_1) | instskip(SKIP_2) | instid1(VALU_DEP_1)
	v_rcp_f64_e32 v[179:180], v[162:163]
	s_waitcnt_depctr 0xfff
	v_fma_f64 v[181:182], -v[162:163], v[179:180], 1.0
	v_fma_f64 v[179:180], v[179:180], v[181:182], v[179:180]
	s_delay_alu instid0(VALU_DEP_1) | instskip(NEXT) | instid1(VALU_DEP_1)
	v_fma_f64 v[181:182], -v[162:163], v[179:180], 1.0
	v_fma_f64 v[179:180], v[179:180], v[181:182], v[179:180]
	v_div_scale_f64 v[181:182], vcc_lo, 1.0, v[160:161], 1.0
	s_delay_alu instid0(VALU_DEP_1) | instskip(NEXT) | instid1(VALU_DEP_1)
	v_mul_f64 v[183:184], v[181:182], v[179:180]
	v_fma_f64 v[162:163], -v[162:163], v[183:184], v[181:182]
	s_delay_alu instid0(VALU_DEP_1) | instskip(NEXT) | instid1(VALU_DEP_1)
	v_div_fmas_f64 v[162:163], v[162:163], v[179:180], v[183:184]
	v_div_fixup_f64 v[162:163], v[162:163], v[160:161], 1.0
	s_delay_alu instid0(VALU_DEP_1)
	v_mul_f64 v[160:161], v[177:178], v[162:163]
	v_xor_b32_e32 v163, 0x80000000, v163
.LBB78_448:
	s_and_not1_saveexec_b32 s2, s2
	s_cbranch_execz .LBB78_450
; %bb.449:
	s_delay_alu instid0(VALU_DEP_1) | instskip(SKIP_1) | instid1(VALU_DEP_2)
	v_div_scale_f64 v[177:178], null, v[160:161], v[160:161], v[162:163]
	v_div_scale_f64 v[183:184], vcc_lo, v[162:163], v[160:161], v[162:163]
	v_rcp_f64_e32 v[179:180], v[177:178]
	s_waitcnt_depctr 0xfff
	v_fma_f64 v[181:182], -v[177:178], v[179:180], 1.0
	s_delay_alu instid0(VALU_DEP_1) | instskip(NEXT) | instid1(VALU_DEP_1)
	v_fma_f64 v[179:180], v[179:180], v[181:182], v[179:180]
	v_fma_f64 v[181:182], -v[177:178], v[179:180], 1.0
	s_delay_alu instid0(VALU_DEP_1) | instskip(NEXT) | instid1(VALU_DEP_1)
	v_fma_f64 v[179:180], v[179:180], v[181:182], v[179:180]
	v_mul_f64 v[181:182], v[183:184], v[179:180]
	s_delay_alu instid0(VALU_DEP_1) | instskip(NEXT) | instid1(VALU_DEP_1)
	v_fma_f64 v[177:178], -v[177:178], v[181:182], v[183:184]
	v_div_fmas_f64 v[177:178], v[177:178], v[179:180], v[181:182]
	s_delay_alu instid0(VALU_DEP_1) | instskip(NEXT) | instid1(VALU_DEP_1)
	v_div_fixup_f64 v[177:178], v[177:178], v[160:161], v[162:163]
	v_fma_f64 v[160:161], v[162:163], v[177:178], v[160:161]
	s_delay_alu instid0(VALU_DEP_1) | instskip(NEXT) | instid1(VALU_DEP_1)
	v_div_scale_f64 v[162:163], null, v[160:161], v[160:161], 1.0
	v_rcp_f64_e32 v[179:180], v[162:163]
	s_waitcnt_depctr 0xfff
	v_fma_f64 v[181:182], -v[162:163], v[179:180], 1.0
	s_delay_alu instid0(VALU_DEP_1) | instskip(NEXT) | instid1(VALU_DEP_1)
	v_fma_f64 v[179:180], v[179:180], v[181:182], v[179:180]
	v_fma_f64 v[181:182], -v[162:163], v[179:180], 1.0
	s_delay_alu instid0(VALU_DEP_1) | instskip(SKIP_1) | instid1(VALU_DEP_1)
	v_fma_f64 v[179:180], v[179:180], v[181:182], v[179:180]
	v_div_scale_f64 v[181:182], vcc_lo, 1.0, v[160:161], 1.0
	v_mul_f64 v[183:184], v[181:182], v[179:180]
	s_delay_alu instid0(VALU_DEP_1) | instskip(NEXT) | instid1(VALU_DEP_1)
	v_fma_f64 v[162:163], -v[162:163], v[183:184], v[181:182]
	v_div_fmas_f64 v[162:163], v[162:163], v[179:180], v[183:184]
	s_delay_alu instid0(VALU_DEP_1) | instskip(NEXT) | instid1(VALU_DEP_1)
	v_div_fixup_f64 v[160:161], v[162:163], v[160:161], 1.0
	v_mul_f64 v[162:163], v[177:178], -v[160:161]
.LBB78_450:
	s_or_b32 exec_lo, exec_lo, s2
.LBB78_451:
	s_delay_alu instid0(SALU_CYCLE_1) | instskip(NEXT) | instid1(SALU_CYCLE_1)
	s_or_b32 exec_lo, exec_lo, s3
	s_mov_b32 s2, exec_lo
	v_cmpx_ne_u32_e64 v176, v168
	s_xor_b32 s2, exec_lo, s2
	s_cbranch_execz .LBB78_457
; %bb.452:
	s_mov_b32 s3, exec_lo
	v_cmpx_eq_u32_e32 21, v176
	s_cbranch_execz .LBB78_456
; %bb.453:
	v_cmp_ne_u32_e32 vcc_lo, 21, v168
	s_xor_b32 s6, s4, -1
	s_delay_alu instid0(SALU_CYCLE_1) | instskip(NEXT) | instid1(SALU_CYCLE_1)
	s_and_b32 s7, s6, vcc_lo
	s_and_saveexec_b32 s6, s7
	s_cbranch_execz .LBB78_455
; %bb.454:
	v_ashrrev_i32_e32 v169, 31, v168
	s_delay_alu instid0(VALU_DEP_1) | instskip(NEXT) | instid1(VALU_DEP_1)
	v_lshlrev_b64 v[175:176], 2, v[168:169]
	v_add_co_u32 v175, vcc_lo, v166, v175
	s_delay_alu instid0(VALU_DEP_2)
	v_add_co_ci_u32_e32 v176, vcc_lo, v167, v176, vcc_lo
	s_clause 0x1
	flat_load_b32 v169, v[175:176]
	flat_load_b32 v177, v[166:167] offset:84
	s_waitcnt vmcnt(1) lgkmcnt(1)
	flat_store_b32 v[166:167], v169 offset:84
	s_waitcnt vmcnt(0) lgkmcnt(1)
	flat_store_b32 v[175:176], v177
.LBB78_455:
	s_or_b32 exec_lo, exec_lo, s6
	v_mov_b32_e32 v176, v168
	v_mov_b32_e32 v175, v168
.LBB78_456:
	s_or_b32 exec_lo, exec_lo, s3
.LBB78_457:
	s_and_not1_saveexec_b32 s2, s2
	s_cbranch_execz .LBB78_459
; %bb.458:
	v_mov_b32_e32 v176, 21
	ds_store_2addr_b64 v170, v[76:77], v[78:79] offset0:44 offset1:45
	ds_store_2addr_b64 v170, v[72:73], v[74:75] offset0:46 offset1:47
	;; [unrolled: 1-line block ×18, first 2 shown]
.LBB78_459:
	s_or_b32 exec_lo, exec_lo, s2
	s_delay_alu instid0(SALU_CYCLE_1)
	s_mov_b32 s2, exec_lo
	s_waitcnt lgkmcnt(0)
	s_waitcnt_vscnt null, 0x0
	s_barrier
	buffer_gl0_inv
	v_cmpx_lt_i32_e32 21, v176
	s_cbranch_execz .LBB78_461
; %bb.460:
	v_mul_f64 v[168:169], v[162:163], v[82:83]
	v_mul_f64 v[82:83], v[160:161], v[82:83]
	s_delay_alu instid0(VALU_DEP_2) | instskip(NEXT) | instid1(VALU_DEP_2)
	v_fma_f64 v[168:169], v[160:161], v[80:81], -v[168:169]
	v_fma_f64 v[82:83], v[162:163], v[80:81], v[82:83]
	ds_load_2addr_b64 v[160:163], v170 offset0:44 offset1:45
	s_waitcnt lgkmcnt(0)
	v_mul_f64 v[80:81], v[162:163], v[82:83]
	s_delay_alu instid0(VALU_DEP_1) | instskip(SKIP_1) | instid1(VALU_DEP_2)
	v_fma_f64 v[80:81], v[160:161], v[168:169], -v[80:81]
	v_mul_f64 v[160:161], v[160:161], v[82:83]
	v_add_f64 v[76:77], v[76:77], -v[80:81]
	s_delay_alu instid0(VALU_DEP_2) | instskip(NEXT) | instid1(VALU_DEP_1)
	v_fma_f64 v[160:161], v[162:163], v[168:169], v[160:161]
	v_add_f64 v[78:79], v[78:79], -v[160:161]
	ds_load_2addr_b64 v[160:163], v170 offset0:46 offset1:47
	s_waitcnt lgkmcnt(0)
	v_mul_f64 v[80:81], v[162:163], v[82:83]
	s_delay_alu instid0(VALU_DEP_1) | instskip(SKIP_1) | instid1(VALU_DEP_2)
	v_fma_f64 v[80:81], v[160:161], v[168:169], -v[80:81]
	v_mul_f64 v[160:161], v[160:161], v[82:83]
	v_add_f64 v[72:73], v[72:73], -v[80:81]
	s_delay_alu instid0(VALU_DEP_2) | instskip(NEXT) | instid1(VALU_DEP_1)
	v_fma_f64 v[160:161], v[162:163], v[168:169], v[160:161]
	v_add_f64 v[74:75], v[74:75], -v[160:161]
	;; [unrolled: 10-line block ×17, first 2 shown]
	ds_load_2addr_b64 v[160:163], v170 offset0:78 offset1:79
	s_waitcnt lgkmcnt(0)
	v_mul_f64 v[80:81], v[162:163], v[82:83]
	s_delay_alu instid0(VALU_DEP_1) | instskip(SKIP_1) | instid1(VALU_DEP_2)
	v_fma_f64 v[80:81], v[160:161], v[168:169], -v[80:81]
	v_mul_f64 v[160:161], v[160:161], v[82:83]
	v_add_f64 v[0:1], v[0:1], -v[80:81]
	s_delay_alu instid0(VALU_DEP_2) | instskip(SKIP_1) | instid1(VALU_DEP_2)
	v_fma_f64 v[160:161], v[162:163], v[168:169], v[160:161]
	v_dual_mov_b32 v80, v168 :: v_dual_mov_b32 v81, v169
	v_add_f64 v[2:3], v[2:3], -v[160:161]
.LBB78_461:
	s_or_b32 exec_lo, exec_lo, s2
	v_lshl_add_u32 v160, v176, 4, v170
	s_barrier
	buffer_gl0_inv
	v_mov_b32_e32 v168, 22
	ds_store_2addr_b64 v160, v[76:77], v[78:79] offset1:1
	s_waitcnt lgkmcnt(0)
	s_barrier
	buffer_gl0_inv
	ds_load_2addr_b64 v[160:163], v170 offset0:44 offset1:45
	s_cmp_lt_i32 s5, 24
	s_cbranch_scc1 .LBB78_464
; %bb.462:
	v_add3_u32 v169, v174, 0, 0x170
	v_mov_b32_e32 v168, 22
	s_mov_b32 s6, 23
	s_set_inst_prefetch_distance 0x1
	.p2align	6
.LBB78_463:                             ; =>This Inner Loop Header: Depth=1
	ds_load_2addr_b64 v[177:180], v169 offset1:1
	s_waitcnt lgkmcnt(1)
	v_cmp_gt_f64_e32 vcc_lo, 0, v[160:161]
	v_xor_b32_e32 v181, 0x80000000, v161
	v_cmp_gt_f64_e64 s2, 0, v[162:163]
	v_xor_b32_e32 v183, 0x80000000, v163
	v_add_nc_u32_e32 v169, 16, v169
	s_waitcnt lgkmcnt(0)
	v_cmp_gt_f64_e64 s3, 0, v[177:178]
	v_mov_b32_e32 v185, v177
	v_dual_mov_b32 v187, v179 :: v_dual_cndmask_b32 v182, v161, v181
	v_xor_b32_e32 v181, 0x80000000, v178
	v_cndmask_b32_e64 v184, v163, v183, s2
	v_xor_b32_e32 v183, 0x80000000, v180
	s_delay_alu instid0(VALU_DEP_3) | instskip(SKIP_2) | instid1(VALU_DEP_2)
	v_cndmask_b32_e64 v186, v178, v181, s3
	v_cmp_gt_f64_e64 s3, 0, v[179:180]
	v_cndmask_b32_e32 v181, v160, v160, vcc_lo
	v_cndmask_b32_e64 v188, v180, v183, s3
	v_cndmask_b32_e64 v183, v162, v162, s2
	s_delay_alu instid0(VALU_DEP_2) | instskip(NEXT) | instid1(VALU_DEP_2)
	v_add_f64 v[185:186], v[185:186], v[187:188]
	v_add_f64 v[181:182], v[181:182], v[183:184]
	s_delay_alu instid0(VALU_DEP_1) | instskip(SKIP_4) | instid1(SALU_CYCLE_1)
	v_cmp_lt_f64_e32 vcc_lo, v[181:182], v[185:186]
	v_dual_cndmask_b32 v162, v162, v179 :: v_dual_cndmask_b32 v161, v161, v178
	v_dual_cndmask_b32 v160, v160, v177 :: v_dual_cndmask_b32 v163, v163, v180
	v_cndmask_b32_e64 v168, v168, s6, vcc_lo
	s_add_i32 s6, s6, 1
	s_cmp_lg_u32 s5, s6
	s_cbranch_scc1 .LBB78_463
.LBB78_464:
	s_set_inst_prefetch_distance 0x2
	s_waitcnt lgkmcnt(0)
	v_cmp_eq_f64_e32 vcc_lo, 0, v[160:161]
	v_cmp_eq_f64_e64 s2, 0, v[162:163]
	s_delay_alu instid0(VALU_DEP_1) | instskip(NEXT) | instid1(SALU_CYCLE_1)
	s_and_b32 s2, vcc_lo, s2
	s_and_saveexec_b32 s3, s2
	s_delay_alu instid0(SALU_CYCLE_1)
	s_xor_b32 s2, exec_lo, s3
; %bb.465:
	v_cmp_ne_u32_e32 vcc_lo, 0, v173
	v_cndmask_b32_e32 v173, 23, v173, vcc_lo
; %bb.466:
	s_and_not1_saveexec_b32 s3, s2
	s_cbranch_execz .LBB78_472
; %bb.467:
	v_cmp_gt_f64_e32 vcc_lo, 0, v[160:161]
	v_cmp_gt_f64_e64 s2, 0, v[162:163]
	v_xor_b32_e32 v169, 0x80000000, v161
	v_xor_b32_e32 v177, 0x80000000, v163
	s_delay_alu instid0(VALU_DEP_2) | instskip(NEXT) | instid1(VALU_DEP_2)
	v_cndmask_b32_e32 v178, v161, v169, vcc_lo
	v_cndmask_b32_e64 v180, v163, v177, s2
	v_cndmask_b32_e32 v177, v160, v160, vcc_lo
	v_cndmask_b32_e64 v179, v162, v162, s2
	s_mov_b32 s2, exec_lo
	s_delay_alu instid0(VALU_DEP_1)
	v_cmpx_ngt_f64_e32 v[177:178], v[179:180]
	s_xor_b32 s2, exec_lo, s2
	s_cbranch_execz .LBB78_469
; %bb.468:
	v_div_scale_f64 v[177:178], null, v[162:163], v[162:163], v[160:161]
	v_div_scale_f64 v[183:184], vcc_lo, v[160:161], v[162:163], v[160:161]
	s_delay_alu instid0(VALU_DEP_2) | instskip(SKIP_2) | instid1(VALU_DEP_1)
	v_rcp_f64_e32 v[179:180], v[177:178]
	s_waitcnt_depctr 0xfff
	v_fma_f64 v[181:182], -v[177:178], v[179:180], 1.0
	v_fma_f64 v[179:180], v[179:180], v[181:182], v[179:180]
	s_delay_alu instid0(VALU_DEP_1) | instskip(NEXT) | instid1(VALU_DEP_1)
	v_fma_f64 v[181:182], -v[177:178], v[179:180], 1.0
	v_fma_f64 v[179:180], v[179:180], v[181:182], v[179:180]
	s_delay_alu instid0(VALU_DEP_1) | instskip(NEXT) | instid1(VALU_DEP_1)
	v_mul_f64 v[181:182], v[183:184], v[179:180]
	v_fma_f64 v[177:178], -v[177:178], v[181:182], v[183:184]
	s_delay_alu instid0(VALU_DEP_1) | instskip(NEXT) | instid1(VALU_DEP_1)
	v_div_fmas_f64 v[177:178], v[177:178], v[179:180], v[181:182]
	v_div_fixup_f64 v[177:178], v[177:178], v[162:163], v[160:161]
	s_delay_alu instid0(VALU_DEP_1) | instskip(NEXT) | instid1(VALU_DEP_1)
	v_fma_f64 v[160:161], v[160:161], v[177:178], v[162:163]
	v_div_scale_f64 v[162:163], null, v[160:161], v[160:161], 1.0
	s_delay_alu instid0(VALU_DEP_1) | instskip(SKIP_2) | instid1(VALU_DEP_1)
	v_rcp_f64_e32 v[179:180], v[162:163]
	s_waitcnt_depctr 0xfff
	v_fma_f64 v[181:182], -v[162:163], v[179:180], 1.0
	v_fma_f64 v[179:180], v[179:180], v[181:182], v[179:180]
	s_delay_alu instid0(VALU_DEP_1) | instskip(NEXT) | instid1(VALU_DEP_1)
	v_fma_f64 v[181:182], -v[162:163], v[179:180], 1.0
	v_fma_f64 v[179:180], v[179:180], v[181:182], v[179:180]
	v_div_scale_f64 v[181:182], vcc_lo, 1.0, v[160:161], 1.0
	s_delay_alu instid0(VALU_DEP_1) | instskip(NEXT) | instid1(VALU_DEP_1)
	v_mul_f64 v[183:184], v[181:182], v[179:180]
	v_fma_f64 v[162:163], -v[162:163], v[183:184], v[181:182]
	s_delay_alu instid0(VALU_DEP_1) | instskip(NEXT) | instid1(VALU_DEP_1)
	v_div_fmas_f64 v[162:163], v[162:163], v[179:180], v[183:184]
	v_div_fixup_f64 v[162:163], v[162:163], v[160:161], 1.0
	s_delay_alu instid0(VALU_DEP_1)
	v_mul_f64 v[160:161], v[177:178], v[162:163]
	v_xor_b32_e32 v163, 0x80000000, v163
.LBB78_469:
	s_and_not1_saveexec_b32 s2, s2
	s_cbranch_execz .LBB78_471
; %bb.470:
	s_delay_alu instid0(VALU_DEP_1) | instskip(SKIP_1) | instid1(VALU_DEP_2)
	v_div_scale_f64 v[177:178], null, v[160:161], v[160:161], v[162:163]
	v_div_scale_f64 v[183:184], vcc_lo, v[162:163], v[160:161], v[162:163]
	v_rcp_f64_e32 v[179:180], v[177:178]
	s_waitcnt_depctr 0xfff
	v_fma_f64 v[181:182], -v[177:178], v[179:180], 1.0
	s_delay_alu instid0(VALU_DEP_1) | instskip(NEXT) | instid1(VALU_DEP_1)
	v_fma_f64 v[179:180], v[179:180], v[181:182], v[179:180]
	v_fma_f64 v[181:182], -v[177:178], v[179:180], 1.0
	s_delay_alu instid0(VALU_DEP_1) | instskip(NEXT) | instid1(VALU_DEP_1)
	v_fma_f64 v[179:180], v[179:180], v[181:182], v[179:180]
	v_mul_f64 v[181:182], v[183:184], v[179:180]
	s_delay_alu instid0(VALU_DEP_1) | instskip(NEXT) | instid1(VALU_DEP_1)
	v_fma_f64 v[177:178], -v[177:178], v[181:182], v[183:184]
	v_div_fmas_f64 v[177:178], v[177:178], v[179:180], v[181:182]
	s_delay_alu instid0(VALU_DEP_1) | instskip(NEXT) | instid1(VALU_DEP_1)
	v_div_fixup_f64 v[177:178], v[177:178], v[160:161], v[162:163]
	v_fma_f64 v[160:161], v[162:163], v[177:178], v[160:161]
	s_delay_alu instid0(VALU_DEP_1) | instskip(NEXT) | instid1(VALU_DEP_1)
	v_div_scale_f64 v[162:163], null, v[160:161], v[160:161], 1.0
	v_rcp_f64_e32 v[179:180], v[162:163]
	s_waitcnt_depctr 0xfff
	v_fma_f64 v[181:182], -v[162:163], v[179:180], 1.0
	s_delay_alu instid0(VALU_DEP_1) | instskip(NEXT) | instid1(VALU_DEP_1)
	v_fma_f64 v[179:180], v[179:180], v[181:182], v[179:180]
	v_fma_f64 v[181:182], -v[162:163], v[179:180], 1.0
	s_delay_alu instid0(VALU_DEP_1) | instskip(SKIP_1) | instid1(VALU_DEP_1)
	v_fma_f64 v[179:180], v[179:180], v[181:182], v[179:180]
	v_div_scale_f64 v[181:182], vcc_lo, 1.0, v[160:161], 1.0
	v_mul_f64 v[183:184], v[181:182], v[179:180]
	s_delay_alu instid0(VALU_DEP_1) | instskip(NEXT) | instid1(VALU_DEP_1)
	v_fma_f64 v[162:163], -v[162:163], v[183:184], v[181:182]
	v_div_fmas_f64 v[162:163], v[162:163], v[179:180], v[183:184]
	s_delay_alu instid0(VALU_DEP_1) | instskip(NEXT) | instid1(VALU_DEP_1)
	v_div_fixup_f64 v[160:161], v[162:163], v[160:161], 1.0
	v_mul_f64 v[162:163], v[177:178], -v[160:161]
.LBB78_471:
	s_or_b32 exec_lo, exec_lo, s2
.LBB78_472:
	s_delay_alu instid0(SALU_CYCLE_1) | instskip(NEXT) | instid1(SALU_CYCLE_1)
	s_or_b32 exec_lo, exec_lo, s3
	s_mov_b32 s2, exec_lo
	v_cmpx_ne_u32_e64 v176, v168
	s_xor_b32 s2, exec_lo, s2
	s_cbranch_execz .LBB78_478
; %bb.473:
	s_mov_b32 s3, exec_lo
	v_cmpx_eq_u32_e32 22, v176
	s_cbranch_execz .LBB78_477
; %bb.474:
	v_cmp_ne_u32_e32 vcc_lo, 22, v168
	s_xor_b32 s6, s4, -1
	s_delay_alu instid0(SALU_CYCLE_1) | instskip(NEXT) | instid1(SALU_CYCLE_1)
	s_and_b32 s7, s6, vcc_lo
	s_and_saveexec_b32 s6, s7
	s_cbranch_execz .LBB78_476
; %bb.475:
	v_ashrrev_i32_e32 v169, 31, v168
	s_delay_alu instid0(VALU_DEP_1) | instskip(NEXT) | instid1(VALU_DEP_1)
	v_lshlrev_b64 v[175:176], 2, v[168:169]
	v_add_co_u32 v175, vcc_lo, v166, v175
	s_delay_alu instid0(VALU_DEP_2)
	v_add_co_ci_u32_e32 v176, vcc_lo, v167, v176, vcc_lo
	s_clause 0x1
	flat_load_b32 v169, v[175:176]
	flat_load_b32 v177, v[166:167] offset:88
	s_waitcnt vmcnt(1) lgkmcnt(1)
	flat_store_b32 v[166:167], v169 offset:88
	s_waitcnt vmcnt(0) lgkmcnt(1)
	flat_store_b32 v[175:176], v177
.LBB78_476:
	s_or_b32 exec_lo, exec_lo, s6
	v_mov_b32_e32 v176, v168
	v_mov_b32_e32 v175, v168
.LBB78_477:
	s_or_b32 exec_lo, exec_lo, s3
.LBB78_478:
	s_and_not1_saveexec_b32 s2, s2
	s_cbranch_execz .LBB78_480
; %bb.479:
	v_mov_b32_e32 v176, 22
	ds_store_2addr_b64 v170, v[72:73], v[74:75] offset0:46 offset1:47
	ds_store_2addr_b64 v170, v[68:69], v[70:71] offset0:48 offset1:49
	ds_store_2addr_b64 v170, v[64:65], v[66:67] offset0:50 offset1:51
	ds_store_2addr_b64 v170, v[60:61], v[62:63] offset0:52 offset1:53
	ds_store_2addr_b64 v170, v[56:57], v[58:59] offset0:54 offset1:55
	ds_store_2addr_b64 v170, v[44:45], v[46:47] offset0:56 offset1:57
	ds_store_2addr_b64 v170, v[40:41], v[42:43] offset0:58 offset1:59
	ds_store_2addr_b64 v170, v[36:37], v[38:39] offset0:60 offset1:61
	ds_store_2addr_b64 v170, v[32:33], v[34:35] offset0:62 offset1:63
	ds_store_2addr_b64 v170, v[28:29], v[30:31] offset0:64 offset1:65
	ds_store_2addr_b64 v170, v[24:25], v[26:27] offset0:66 offset1:67
	ds_store_2addr_b64 v170, v[20:21], v[22:23] offset0:68 offset1:69
	ds_store_2addr_b64 v170, v[16:17], v[18:19] offset0:70 offset1:71
	ds_store_2addr_b64 v170, v[12:13], v[14:15] offset0:72 offset1:73
	ds_store_2addr_b64 v170, v[8:9], v[10:11] offset0:74 offset1:75
	ds_store_2addr_b64 v170, v[4:5], v[6:7] offset0:76 offset1:77
	ds_store_2addr_b64 v170, v[0:1], v[2:3] offset0:78 offset1:79
.LBB78_480:
	s_or_b32 exec_lo, exec_lo, s2
	s_delay_alu instid0(SALU_CYCLE_1)
	s_mov_b32 s2, exec_lo
	s_waitcnt lgkmcnt(0)
	s_waitcnt_vscnt null, 0x0
	s_barrier
	buffer_gl0_inv
	v_cmpx_lt_i32_e32 22, v176
	s_cbranch_execz .LBB78_482
; %bb.481:
	v_mul_f64 v[168:169], v[162:163], v[78:79]
	v_mul_f64 v[78:79], v[160:161], v[78:79]
	s_delay_alu instid0(VALU_DEP_2) | instskip(NEXT) | instid1(VALU_DEP_2)
	v_fma_f64 v[168:169], v[160:161], v[76:77], -v[168:169]
	v_fma_f64 v[78:79], v[162:163], v[76:77], v[78:79]
	ds_load_2addr_b64 v[160:163], v170 offset0:46 offset1:47
	s_waitcnt lgkmcnt(0)
	v_mul_f64 v[76:77], v[162:163], v[78:79]
	s_delay_alu instid0(VALU_DEP_1) | instskip(SKIP_1) | instid1(VALU_DEP_2)
	v_fma_f64 v[76:77], v[160:161], v[168:169], -v[76:77]
	v_mul_f64 v[160:161], v[160:161], v[78:79]
	v_add_f64 v[72:73], v[72:73], -v[76:77]
	s_delay_alu instid0(VALU_DEP_2) | instskip(NEXT) | instid1(VALU_DEP_1)
	v_fma_f64 v[160:161], v[162:163], v[168:169], v[160:161]
	v_add_f64 v[74:75], v[74:75], -v[160:161]
	ds_load_2addr_b64 v[160:163], v170 offset0:48 offset1:49
	s_waitcnt lgkmcnt(0)
	v_mul_f64 v[76:77], v[162:163], v[78:79]
	s_delay_alu instid0(VALU_DEP_1) | instskip(SKIP_1) | instid1(VALU_DEP_2)
	v_fma_f64 v[76:77], v[160:161], v[168:169], -v[76:77]
	v_mul_f64 v[160:161], v[160:161], v[78:79]
	v_add_f64 v[68:69], v[68:69], -v[76:77]
	s_delay_alu instid0(VALU_DEP_2) | instskip(NEXT) | instid1(VALU_DEP_1)
	v_fma_f64 v[160:161], v[162:163], v[168:169], v[160:161]
	v_add_f64 v[70:71], v[70:71], -v[160:161]
	;; [unrolled: 10-line block ×16, first 2 shown]
	ds_load_2addr_b64 v[160:163], v170 offset0:78 offset1:79
	s_waitcnt lgkmcnt(0)
	v_mul_f64 v[76:77], v[162:163], v[78:79]
	s_delay_alu instid0(VALU_DEP_1) | instskip(SKIP_1) | instid1(VALU_DEP_2)
	v_fma_f64 v[76:77], v[160:161], v[168:169], -v[76:77]
	v_mul_f64 v[160:161], v[160:161], v[78:79]
	v_add_f64 v[0:1], v[0:1], -v[76:77]
	s_delay_alu instid0(VALU_DEP_2) | instskip(SKIP_1) | instid1(VALU_DEP_2)
	v_fma_f64 v[160:161], v[162:163], v[168:169], v[160:161]
	v_dual_mov_b32 v76, v168 :: v_dual_mov_b32 v77, v169
	v_add_f64 v[2:3], v[2:3], -v[160:161]
.LBB78_482:
	s_or_b32 exec_lo, exec_lo, s2
	v_lshl_add_u32 v160, v176, 4, v170
	s_barrier
	buffer_gl0_inv
	v_mov_b32_e32 v168, 23
	ds_store_2addr_b64 v160, v[72:73], v[74:75] offset1:1
	s_waitcnt lgkmcnt(0)
	s_barrier
	buffer_gl0_inv
	ds_load_2addr_b64 v[160:163], v170 offset0:46 offset1:47
	s_cmp_lt_i32 s5, 25
	s_cbranch_scc1 .LBB78_485
; %bb.483:
	v_add3_u32 v169, v174, 0, 0x180
	v_mov_b32_e32 v168, 23
	s_mov_b32 s6, 24
	s_set_inst_prefetch_distance 0x1
	.p2align	6
.LBB78_484:                             ; =>This Inner Loop Header: Depth=1
	ds_load_2addr_b64 v[177:180], v169 offset1:1
	s_waitcnt lgkmcnt(1)
	v_cmp_gt_f64_e32 vcc_lo, 0, v[160:161]
	v_xor_b32_e32 v181, 0x80000000, v161
	v_cmp_gt_f64_e64 s2, 0, v[162:163]
	v_xor_b32_e32 v183, 0x80000000, v163
	v_add_nc_u32_e32 v169, 16, v169
	s_waitcnt lgkmcnt(0)
	v_cmp_gt_f64_e64 s3, 0, v[177:178]
	v_mov_b32_e32 v185, v177
	v_dual_mov_b32 v187, v179 :: v_dual_cndmask_b32 v182, v161, v181
	v_xor_b32_e32 v181, 0x80000000, v178
	v_cndmask_b32_e64 v184, v163, v183, s2
	v_xor_b32_e32 v183, 0x80000000, v180
	s_delay_alu instid0(VALU_DEP_3) | instskip(SKIP_2) | instid1(VALU_DEP_2)
	v_cndmask_b32_e64 v186, v178, v181, s3
	v_cmp_gt_f64_e64 s3, 0, v[179:180]
	v_cndmask_b32_e32 v181, v160, v160, vcc_lo
	v_cndmask_b32_e64 v188, v180, v183, s3
	v_cndmask_b32_e64 v183, v162, v162, s2
	s_delay_alu instid0(VALU_DEP_2) | instskip(NEXT) | instid1(VALU_DEP_2)
	v_add_f64 v[185:186], v[185:186], v[187:188]
	v_add_f64 v[181:182], v[181:182], v[183:184]
	s_delay_alu instid0(VALU_DEP_1) | instskip(SKIP_4) | instid1(SALU_CYCLE_1)
	v_cmp_lt_f64_e32 vcc_lo, v[181:182], v[185:186]
	v_dual_cndmask_b32 v162, v162, v179 :: v_dual_cndmask_b32 v161, v161, v178
	v_dual_cndmask_b32 v160, v160, v177 :: v_dual_cndmask_b32 v163, v163, v180
	v_cndmask_b32_e64 v168, v168, s6, vcc_lo
	s_add_i32 s6, s6, 1
	s_cmp_lg_u32 s5, s6
	s_cbranch_scc1 .LBB78_484
.LBB78_485:
	s_set_inst_prefetch_distance 0x2
	s_waitcnt lgkmcnt(0)
	v_cmp_eq_f64_e32 vcc_lo, 0, v[160:161]
	v_cmp_eq_f64_e64 s2, 0, v[162:163]
	s_delay_alu instid0(VALU_DEP_1) | instskip(NEXT) | instid1(SALU_CYCLE_1)
	s_and_b32 s2, vcc_lo, s2
	s_and_saveexec_b32 s3, s2
	s_delay_alu instid0(SALU_CYCLE_1)
	s_xor_b32 s2, exec_lo, s3
; %bb.486:
	v_cmp_ne_u32_e32 vcc_lo, 0, v173
	v_cndmask_b32_e32 v173, 24, v173, vcc_lo
; %bb.487:
	s_and_not1_saveexec_b32 s3, s2
	s_cbranch_execz .LBB78_493
; %bb.488:
	v_cmp_gt_f64_e32 vcc_lo, 0, v[160:161]
	v_cmp_gt_f64_e64 s2, 0, v[162:163]
	v_xor_b32_e32 v169, 0x80000000, v161
	v_xor_b32_e32 v177, 0x80000000, v163
	s_delay_alu instid0(VALU_DEP_2) | instskip(NEXT) | instid1(VALU_DEP_2)
	v_cndmask_b32_e32 v178, v161, v169, vcc_lo
	v_cndmask_b32_e64 v180, v163, v177, s2
	v_cndmask_b32_e32 v177, v160, v160, vcc_lo
	v_cndmask_b32_e64 v179, v162, v162, s2
	s_mov_b32 s2, exec_lo
	s_delay_alu instid0(VALU_DEP_1)
	v_cmpx_ngt_f64_e32 v[177:178], v[179:180]
	s_xor_b32 s2, exec_lo, s2
	s_cbranch_execz .LBB78_490
; %bb.489:
	v_div_scale_f64 v[177:178], null, v[162:163], v[162:163], v[160:161]
	v_div_scale_f64 v[183:184], vcc_lo, v[160:161], v[162:163], v[160:161]
	s_delay_alu instid0(VALU_DEP_2) | instskip(SKIP_2) | instid1(VALU_DEP_1)
	v_rcp_f64_e32 v[179:180], v[177:178]
	s_waitcnt_depctr 0xfff
	v_fma_f64 v[181:182], -v[177:178], v[179:180], 1.0
	v_fma_f64 v[179:180], v[179:180], v[181:182], v[179:180]
	s_delay_alu instid0(VALU_DEP_1) | instskip(NEXT) | instid1(VALU_DEP_1)
	v_fma_f64 v[181:182], -v[177:178], v[179:180], 1.0
	v_fma_f64 v[179:180], v[179:180], v[181:182], v[179:180]
	s_delay_alu instid0(VALU_DEP_1) | instskip(NEXT) | instid1(VALU_DEP_1)
	v_mul_f64 v[181:182], v[183:184], v[179:180]
	v_fma_f64 v[177:178], -v[177:178], v[181:182], v[183:184]
	s_delay_alu instid0(VALU_DEP_1) | instskip(NEXT) | instid1(VALU_DEP_1)
	v_div_fmas_f64 v[177:178], v[177:178], v[179:180], v[181:182]
	v_div_fixup_f64 v[177:178], v[177:178], v[162:163], v[160:161]
	s_delay_alu instid0(VALU_DEP_1) | instskip(NEXT) | instid1(VALU_DEP_1)
	v_fma_f64 v[160:161], v[160:161], v[177:178], v[162:163]
	v_div_scale_f64 v[162:163], null, v[160:161], v[160:161], 1.0
	s_delay_alu instid0(VALU_DEP_1) | instskip(SKIP_2) | instid1(VALU_DEP_1)
	v_rcp_f64_e32 v[179:180], v[162:163]
	s_waitcnt_depctr 0xfff
	v_fma_f64 v[181:182], -v[162:163], v[179:180], 1.0
	v_fma_f64 v[179:180], v[179:180], v[181:182], v[179:180]
	s_delay_alu instid0(VALU_DEP_1) | instskip(NEXT) | instid1(VALU_DEP_1)
	v_fma_f64 v[181:182], -v[162:163], v[179:180], 1.0
	v_fma_f64 v[179:180], v[179:180], v[181:182], v[179:180]
	v_div_scale_f64 v[181:182], vcc_lo, 1.0, v[160:161], 1.0
	s_delay_alu instid0(VALU_DEP_1) | instskip(NEXT) | instid1(VALU_DEP_1)
	v_mul_f64 v[183:184], v[181:182], v[179:180]
	v_fma_f64 v[162:163], -v[162:163], v[183:184], v[181:182]
	s_delay_alu instid0(VALU_DEP_1) | instskip(NEXT) | instid1(VALU_DEP_1)
	v_div_fmas_f64 v[162:163], v[162:163], v[179:180], v[183:184]
	v_div_fixup_f64 v[162:163], v[162:163], v[160:161], 1.0
	s_delay_alu instid0(VALU_DEP_1)
	v_mul_f64 v[160:161], v[177:178], v[162:163]
	v_xor_b32_e32 v163, 0x80000000, v163
.LBB78_490:
	s_and_not1_saveexec_b32 s2, s2
	s_cbranch_execz .LBB78_492
; %bb.491:
	s_delay_alu instid0(VALU_DEP_1) | instskip(SKIP_1) | instid1(VALU_DEP_2)
	v_div_scale_f64 v[177:178], null, v[160:161], v[160:161], v[162:163]
	v_div_scale_f64 v[183:184], vcc_lo, v[162:163], v[160:161], v[162:163]
	v_rcp_f64_e32 v[179:180], v[177:178]
	s_waitcnt_depctr 0xfff
	v_fma_f64 v[181:182], -v[177:178], v[179:180], 1.0
	s_delay_alu instid0(VALU_DEP_1) | instskip(NEXT) | instid1(VALU_DEP_1)
	v_fma_f64 v[179:180], v[179:180], v[181:182], v[179:180]
	v_fma_f64 v[181:182], -v[177:178], v[179:180], 1.0
	s_delay_alu instid0(VALU_DEP_1) | instskip(NEXT) | instid1(VALU_DEP_1)
	v_fma_f64 v[179:180], v[179:180], v[181:182], v[179:180]
	v_mul_f64 v[181:182], v[183:184], v[179:180]
	s_delay_alu instid0(VALU_DEP_1) | instskip(NEXT) | instid1(VALU_DEP_1)
	v_fma_f64 v[177:178], -v[177:178], v[181:182], v[183:184]
	v_div_fmas_f64 v[177:178], v[177:178], v[179:180], v[181:182]
	s_delay_alu instid0(VALU_DEP_1) | instskip(NEXT) | instid1(VALU_DEP_1)
	v_div_fixup_f64 v[177:178], v[177:178], v[160:161], v[162:163]
	v_fma_f64 v[160:161], v[162:163], v[177:178], v[160:161]
	s_delay_alu instid0(VALU_DEP_1) | instskip(NEXT) | instid1(VALU_DEP_1)
	v_div_scale_f64 v[162:163], null, v[160:161], v[160:161], 1.0
	v_rcp_f64_e32 v[179:180], v[162:163]
	s_waitcnt_depctr 0xfff
	v_fma_f64 v[181:182], -v[162:163], v[179:180], 1.0
	s_delay_alu instid0(VALU_DEP_1) | instskip(NEXT) | instid1(VALU_DEP_1)
	v_fma_f64 v[179:180], v[179:180], v[181:182], v[179:180]
	v_fma_f64 v[181:182], -v[162:163], v[179:180], 1.0
	s_delay_alu instid0(VALU_DEP_1) | instskip(SKIP_1) | instid1(VALU_DEP_1)
	v_fma_f64 v[179:180], v[179:180], v[181:182], v[179:180]
	v_div_scale_f64 v[181:182], vcc_lo, 1.0, v[160:161], 1.0
	v_mul_f64 v[183:184], v[181:182], v[179:180]
	s_delay_alu instid0(VALU_DEP_1) | instskip(NEXT) | instid1(VALU_DEP_1)
	v_fma_f64 v[162:163], -v[162:163], v[183:184], v[181:182]
	v_div_fmas_f64 v[162:163], v[162:163], v[179:180], v[183:184]
	s_delay_alu instid0(VALU_DEP_1) | instskip(NEXT) | instid1(VALU_DEP_1)
	v_div_fixup_f64 v[160:161], v[162:163], v[160:161], 1.0
	v_mul_f64 v[162:163], v[177:178], -v[160:161]
.LBB78_492:
	s_or_b32 exec_lo, exec_lo, s2
.LBB78_493:
	s_delay_alu instid0(SALU_CYCLE_1) | instskip(NEXT) | instid1(SALU_CYCLE_1)
	s_or_b32 exec_lo, exec_lo, s3
	s_mov_b32 s2, exec_lo
	v_cmpx_ne_u32_e64 v176, v168
	s_xor_b32 s2, exec_lo, s2
	s_cbranch_execz .LBB78_499
; %bb.494:
	s_mov_b32 s3, exec_lo
	v_cmpx_eq_u32_e32 23, v176
	s_cbranch_execz .LBB78_498
; %bb.495:
	v_cmp_ne_u32_e32 vcc_lo, 23, v168
	s_xor_b32 s6, s4, -1
	s_delay_alu instid0(SALU_CYCLE_1) | instskip(NEXT) | instid1(SALU_CYCLE_1)
	s_and_b32 s7, s6, vcc_lo
	s_and_saveexec_b32 s6, s7
	s_cbranch_execz .LBB78_497
; %bb.496:
	v_ashrrev_i32_e32 v169, 31, v168
	s_delay_alu instid0(VALU_DEP_1) | instskip(NEXT) | instid1(VALU_DEP_1)
	v_lshlrev_b64 v[175:176], 2, v[168:169]
	v_add_co_u32 v175, vcc_lo, v166, v175
	s_delay_alu instid0(VALU_DEP_2)
	v_add_co_ci_u32_e32 v176, vcc_lo, v167, v176, vcc_lo
	s_clause 0x1
	flat_load_b32 v169, v[175:176]
	flat_load_b32 v177, v[166:167] offset:92
	s_waitcnt vmcnt(1) lgkmcnt(1)
	flat_store_b32 v[166:167], v169 offset:92
	s_waitcnt vmcnt(0) lgkmcnt(1)
	flat_store_b32 v[175:176], v177
.LBB78_497:
	s_or_b32 exec_lo, exec_lo, s6
	v_mov_b32_e32 v176, v168
	v_mov_b32_e32 v175, v168
.LBB78_498:
	s_or_b32 exec_lo, exec_lo, s3
.LBB78_499:
	s_and_not1_saveexec_b32 s2, s2
	s_cbranch_execz .LBB78_501
; %bb.500:
	v_mov_b32_e32 v176, 23
	ds_store_2addr_b64 v170, v[68:69], v[70:71] offset0:48 offset1:49
	ds_store_2addr_b64 v170, v[64:65], v[66:67] offset0:50 offset1:51
	;; [unrolled: 1-line block ×16, first 2 shown]
.LBB78_501:
	s_or_b32 exec_lo, exec_lo, s2
	s_delay_alu instid0(SALU_CYCLE_1)
	s_mov_b32 s2, exec_lo
	s_waitcnt lgkmcnt(0)
	s_waitcnt_vscnt null, 0x0
	s_barrier
	buffer_gl0_inv
	v_cmpx_lt_i32_e32 23, v176
	s_cbranch_execz .LBB78_503
; %bb.502:
	v_mul_f64 v[168:169], v[160:161], v[74:75]
	v_mul_f64 v[74:75], v[162:163], v[74:75]
	s_delay_alu instid0(VALU_DEP_2) | instskip(NEXT) | instid1(VALU_DEP_2)
	v_fma_f64 v[168:169], v[162:163], v[72:73], v[168:169]
	v_fma_f64 v[72:73], v[160:161], v[72:73], -v[74:75]
	ds_load_2addr_b64 v[160:163], v170 offset0:48 offset1:49
	s_waitcnt lgkmcnt(0)
	v_mul_f64 v[74:75], v[162:163], v[168:169]
	s_delay_alu instid0(VALU_DEP_1) | instskip(SKIP_1) | instid1(VALU_DEP_2)
	v_fma_f64 v[74:75], v[160:161], v[72:73], -v[74:75]
	v_mul_f64 v[160:161], v[160:161], v[168:169]
	v_add_f64 v[68:69], v[68:69], -v[74:75]
	s_delay_alu instid0(VALU_DEP_2) | instskip(NEXT) | instid1(VALU_DEP_1)
	v_fma_f64 v[160:161], v[162:163], v[72:73], v[160:161]
	v_add_f64 v[70:71], v[70:71], -v[160:161]
	ds_load_2addr_b64 v[160:163], v170 offset0:50 offset1:51
	s_waitcnt lgkmcnt(0)
	v_mul_f64 v[74:75], v[162:163], v[168:169]
	s_delay_alu instid0(VALU_DEP_1) | instskip(SKIP_1) | instid1(VALU_DEP_2)
	v_fma_f64 v[74:75], v[160:161], v[72:73], -v[74:75]
	v_mul_f64 v[160:161], v[160:161], v[168:169]
	v_add_f64 v[64:65], v[64:65], -v[74:75]
	s_delay_alu instid0(VALU_DEP_2) | instskip(NEXT) | instid1(VALU_DEP_1)
	v_fma_f64 v[160:161], v[162:163], v[72:73], v[160:161]
	v_add_f64 v[66:67], v[66:67], -v[160:161]
	;; [unrolled: 10-line block ×15, first 2 shown]
	ds_load_2addr_b64 v[160:163], v170 offset0:78 offset1:79
	s_waitcnt lgkmcnt(0)
	v_mul_f64 v[74:75], v[162:163], v[168:169]
	s_delay_alu instid0(VALU_DEP_1) | instskip(SKIP_1) | instid1(VALU_DEP_2)
	v_fma_f64 v[74:75], v[160:161], v[72:73], -v[74:75]
	v_mul_f64 v[160:161], v[160:161], v[168:169]
	v_add_f64 v[0:1], v[0:1], -v[74:75]
	s_delay_alu instid0(VALU_DEP_2) | instskip(SKIP_1) | instid1(VALU_DEP_2)
	v_fma_f64 v[160:161], v[162:163], v[72:73], v[160:161]
	v_dual_mov_b32 v74, v168 :: v_dual_mov_b32 v75, v169
	v_add_f64 v[2:3], v[2:3], -v[160:161]
.LBB78_503:
	s_or_b32 exec_lo, exec_lo, s2
	v_lshl_add_u32 v160, v176, 4, v170
	s_barrier
	buffer_gl0_inv
	v_mov_b32_e32 v168, 24
	ds_store_2addr_b64 v160, v[68:69], v[70:71] offset1:1
	s_waitcnt lgkmcnt(0)
	s_barrier
	buffer_gl0_inv
	ds_load_2addr_b64 v[160:163], v170 offset0:48 offset1:49
	s_cmp_lt_i32 s5, 26
	s_cbranch_scc1 .LBB78_506
; %bb.504:
	v_add3_u32 v169, v174, 0, 0x190
	v_mov_b32_e32 v168, 24
	s_mov_b32 s6, 25
	s_set_inst_prefetch_distance 0x1
	.p2align	6
.LBB78_505:                             ; =>This Inner Loop Header: Depth=1
	ds_load_2addr_b64 v[177:180], v169 offset1:1
	s_waitcnt lgkmcnt(1)
	v_cmp_gt_f64_e32 vcc_lo, 0, v[160:161]
	v_xor_b32_e32 v181, 0x80000000, v161
	v_cmp_gt_f64_e64 s2, 0, v[162:163]
	v_xor_b32_e32 v183, 0x80000000, v163
	v_add_nc_u32_e32 v169, 16, v169
	s_waitcnt lgkmcnt(0)
	v_cmp_gt_f64_e64 s3, 0, v[177:178]
	v_mov_b32_e32 v185, v177
	v_dual_mov_b32 v187, v179 :: v_dual_cndmask_b32 v182, v161, v181
	v_xor_b32_e32 v181, 0x80000000, v178
	v_cndmask_b32_e64 v184, v163, v183, s2
	v_xor_b32_e32 v183, 0x80000000, v180
	s_delay_alu instid0(VALU_DEP_3) | instskip(SKIP_2) | instid1(VALU_DEP_2)
	v_cndmask_b32_e64 v186, v178, v181, s3
	v_cmp_gt_f64_e64 s3, 0, v[179:180]
	v_cndmask_b32_e32 v181, v160, v160, vcc_lo
	v_cndmask_b32_e64 v188, v180, v183, s3
	v_cndmask_b32_e64 v183, v162, v162, s2
	s_delay_alu instid0(VALU_DEP_2) | instskip(NEXT) | instid1(VALU_DEP_2)
	v_add_f64 v[185:186], v[185:186], v[187:188]
	v_add_f64 v[181:182], v[181:182], v[183:184]
	s_delay_alu instid0(VALU_DEP_1) | instskip(SKIP_4) | instid1(SALU_CYCLE_1)
	v_cmp_lt_f64_e32 vcc_lo, v[181:182], v[185:186]
	v_dual_cndmask_b32 v162, v162, v179 :: v_dual_cndmask_b32 v161, v161, v178
	v_dual_cndmask_b32 v160, v160, v177 :: v_dual_cndmask_b32 v163, v163, v180
	v_cndmask_b32_e64 v168, v168, s6, vcc_lo
	s_add_i32 s6, s6, 1
	s_cmp_lg_u32 s5, s6
	s_cbranch_scc1 .LBB78_505
.LBB78_506:
	s_set_inst_prefetch_distance 0x2
	s_waitcnt lgkmcnt(0)
	v_cmp_eq_f64_e32 vcc_lo, 0, v[160:161]
	v_cmp_eq_f64_e64 s2, 0, v[162:163]
	s_delay_alu instid0(VALU_DEP_1) | instskip(NEXT) | instid1(SALU_CYCLE_1)
	s_and_b32 s2, vcc_lo, s2
	s_and_saveexec_b32 s3, s2
	s_delay_alu instid0(SALU_CYCLE_1)
	s_xor_b32 s2, exec_lo, s3
; %bb.507:
	v_cmp_ne_u32_e32 vcc_lo, 0, v173
	v_cndmask_b32_e32 v173, 25, v173, vcc_lo
; %bb.508:
	s_and_not1_saveexec_b32 s3, s2
	s_cbranch_execz .LBB78_514
; %bb.509:
	v_cmp_gt_f64_e32 vcc_lo, 0, v[160:161]
	v_cmp_gt_f64_e64 s2, 0, v[162:163]
	v_xor_b32_e32 v169, 0x80000000, v161
	v_xor_b32_e32 v177, 0x80000000, v163
	s_delay_alu instid0(VALU_DEP_2) | instskip(NEXT) | instid1(VALU_DEP_2)
	v_cndmask_b32_e32 v178, v161, v169, vcc_lo
	v_cndmask_b32_e64 v180, v163, v177, s2
	v_cndmask_b32_e32 v177, v160, v160, vcc_lo
	v_cndmask_b32_e64 v179, v162, v162, s2
	s_mov_b32 s2, exec_lo
	s_delay_alu instid0(VALU_DEP_1)
	v_cmpx_ngt_f64_e32 v[177:178], v[179:180]
	s_xor_b32 s2, exec_lo, s2
	s_cbranch_execz .LBB78_511
; %bb.510:
	v_div_scale_f64 v[177:178], null, v[162:163], v[162:163], v[160:161]
	v_div_scale_f64 v[183:184], vcc_lo, v[160:161], v[162:163], v[160:161]
	s_delay_alu instid0(VALU_DEP_2) | instskip(SKIP_2) | instid1(VALU_DEP_1)
	v_rcp_f64_e32 v[179:180], v[177:178]
	s_waitcnt_depctr 0xfff
	v_fma_f64 v[181:182], -v[177:178], v[179:180], 1.0
	v_fma_f64 v[179:180], v[179:180], v[181:182], v[179:180]
	s_delay_alu instid0(VALU_DEP_1) | instskip(NEXT) | instid1(VALU_DEP_1)
	v_fma_f64 v[181:182], -v[177:178], v[179:180], 1.0
	v_fma_f64 v[179:180], v[179:180], v[181:182], v[179:180]
	s_delay_alu instid0(VALU_DEP_1) | instskip(NEXT) | instid1(VALU_DEP_1)
	v_mul_f64 v[181:182], v[183:184], v[179:180]
	v_fma_f64 v[177:178], -v[177:178], v[181:182], v[183:184]
	s_delay_alu instid0(VALU_DEP_1) | instskip(NEXT) | instid1(VALU_DEP_1)
	v_div_fmas_f64 v[177:178], v[177:178], v[179:180], v[181:182]
	v_div_fixup_f64 v[177:178], v[177:178], v[162:163], v[160:161]
	s_delay_alu instid0(VALU_DEP_1) | instskip(NEXT) | instid1(VALU_DEP_1)
	v_fma_f64 v[160:161], v[160:161], v[177:178], v[162:163]
	v_div_scale_f64 v[162:163], null, v[160:161], v[160:161], 1.0
	s_delay_alu instid0(VALU_DEP_1) | instskip(SKIP_2) | instid1(VALU_DEP_1)
	v_rcp_f64_e32 v[179:180], v[162:163]
	s_waitcnt_depctr 0xfff
	v_fma_f64 v[181:182], -v[162:163], v[179:180], 1.0
	v_fma_f64 v[179:180], v[179:180], v[181:182], v[179:180]
	s_delay_alu instid0(VALU_DEP_1) | instskip(NEXT) | instid1(VALU_DEP_1)
	v_fma_f64 v[181:182], -v[162:163], v[179:180], 1.0
	v_fma_f64 v[179:180], v[179:180], v[181:182], v[179:180]
	v_div_scale_f64 v[181:182], vcc_lo, 1.0, v[160:161], 1.0
	s_delay_alu instid0(VALU_DEP_1) | instskip(NEXT) | instid1(VALU_DEP_1)
	v_mul_f64 v[183:184], v[181:182], v[179:180]
	v_fma_f64 v[162:163], -v[162:163], v[183:184], v[181:182]
	s_delay_alu instid0(VALU_DEP_1) | instskip(NEXT) | instid1(VALU_DEP_1)
	v_div_fmas_f64 v[162:163], v[162:163], v[179:180], v[183:184]
	v_div_fixup_f64 v[162:163], v[162:163], v[160:161], 1.0
	s_delay_alu instid0(VALU_DEP_1)
	v_mul_f64 v[160:161], v[177:178], v[162:163]
	v_xor_b32_e32 v163, 0x80000000, v163
.LBB78_511:
	s_and_not1_saveexec_b32 s2, s2
	s_cbranch_execz .LBB78_513
; %bb.512:
	s_delay_alu instid0(VALU_DEP_1) | instskip(SKIP_1) | instid1(VALU_DEP_2)
	v_div_scale_f64 v[177:178], null, v[160:161], v[160:161], v[162:163]
	v_div_scale_f64 v[183:184], vcc_lo, v[162:163], v[160:161], v[162:163]
	v_rcp_f64_e32 v[179:180], v[177:178]
	s_waitcnt_depctr 0xfff
	v_fma_f64 v[181:182], -v[177:178], v[179:180], 1.0
	s_delay_alu instid0(VALU_DEP_1) | instskip(NEXT) | instid1(VALU_DEP_1)
	v_fma_f64 v[179:180], v[179:180], v[181:182], v[179:180]
	v_fma_f64 v[181:182], -v[177:178], v[179:180], 1.0
	s_delay_alu instid0(VALU_DEP_1) | instskip(NEXT) | instid1(VALU_DEP_1)
	v_fma_f64 v[179:180], v[179:180], v[181:182], v[179:180]
	v_mul_f64 v[181:182], v[183:184], v[179:180]
	s_delay_alu instid0(VALU_DEP_1) | instskip(NEXT) | instid1(VALU_DEP_1)
	v_fma_f64 v[177:178], -v[177:178], v[181:182], v[183:184]
	v_div_fmas_f64 v[177:178], v[177:178], v[179:180], v[181:182]
	s_delay_alu instid0(VALU_DEP_1) | instskip(NEXT) | instid1(VALU_DEP_1)
	v_div_fixup_f64 v[177:178], v[177:178], v[160:161], v[162:163]
	v_fma_f64 v[160:161], v[162:163], v[177:178], v[160:161]
	s_delay_alu instid0(VALU_DEP_1) | instskip(NEXT) | instid1(VALU_DEP_1)
	v_div_scale_f64 v[162:163], null, v[160:161], v[160:161], 1.0
	v_rcp_f64_e32 v[179:180], v[162:163]
	s_waitcnt_depctr 0xfff
	v_fma_f64 v[181:182], -v[162:163], v[179:180], 1.0
	s_delay_alu instid0(VALU_DEP_1) | instskip(NEXT) | instid1(VALU_DEP_1)
	v_fma_f64 v[179:180], v[179:180], v[181:182], v[179:180]
	v_fma_f64 v[181:182], -v[162:163], v[179:180], 1.0
	s_delay_alu instid0(VALU_DEP_1) | instskip(SKIP_1) | instid1(VALU_DEP_1)
	v_fma_f64 v[179:180], v[179:180], v[181:182], v[179:180]
	v_div_scale_f64 v[181:182], vcc_lo, 1.0, v[160:161], 1.0
	v_mul_f64 v[183:184], v[181:182], v[179:180]
	s_delay_alu instid0(VALU_DEP_1) | instskip(NEXT) | instid1(VALU_DEP_1)
	v_fma_f64 v[162:163], -v[162:163], v[183:184], v[181:182]
	v_div_fmas_f64 v[162:163], v[162:163], v[179:180], v[183:184]
	s_delay_alu instid0(VALU_DEP_1) | instskip(NEXT) | instid1(VALU_DEP_1)
	v_div_fixup_f64 v[160:161], v[162:163], v[160:161], 1.0
	v_mul_f64 v[162:163], v[177:178], -v[160:161]
.LBB78_513:
	s_or_b32 exec_lo, exec_lo, s2
.LBB78_514:
	s_delay_alu instid0(SALU_CYCLE_1) | instskip(NEXT) | instid1(SALU_CYCLE_1)
	s_or_b32 exec_lo, exec_lo, s3
	s_mov_b32 s2, exec_lo
	v_cmpx_ne_u32_e64 v176, v168
	s_xor_b32 s2, exec_lo, s2
	s_cbranch_execz .LBB78_520
; %bb.515:
	s_mov_b32 s3, exec_lo
	v_cmpx_eq_u32_e32 24, v176
	s_cbranch_execz .LBB78_519
; %bb.516:
	v_cmp_ne_u32_e32 vcc_lo, 24, v168
	s_xor_b32 s6, s4, -1
	s_delay_alu instid0(SALU_CYCLE_1) | instskip(NEXT) | instid1(SALU_CYCLE_1)
	s_and_b32 s7, s6, vcc_lo
	s_and_saveexec_b32 s6, s7
	s_cbranch_execz .LBB78_518
; %bb.517:
	v_ashrrev_i32_e32 v169, 31, v168
	s_delay_alu instid0(VALU_DEP_1) | instskip(NEXT) | instid1(VALU_DEP_1)
	v_lshlrev_b64 v[175:176], 2, v[168:169]
	v_add_co_u32 v175, vcc_lo, v166, v175
	s_delay_alu instid0(VALU_DEP_2)
	v_add_co_ci_u32_e32 v176, vcc_lo, v167, v176, vcc_lo
	s_clause 0x1
	flat_load_b32 v169, v[175:176]
	flat_load_b32 v177, v[166:167] offset:96
	s_waitcnt vmcnt(1) lgkmcnt(1)
	flat_store_b32 v[166:167], v169 offset:96
	s_waitcnt vmcnt(0) lgkmcnt(1)
	flat_store_b32 v[175:176], v177
.LBB78_518:
	s_or_b32 exec_lo, exec_lo, s6
	v_mov_b32_e32 v176, v168
	v_mov_b32_e32 v175, v168
.LBB78_519:
	s_or_b32 exec_lo, exec_lo, s3
.LBB78_520:
	s_and_not1_saveexec_b32 s2, s2
	s_cbranch_execz .LBB78_522
; %bb.521:
	v_mov_b32_e32 v176, 24
	ds_store_2addr_b64 v170, v[64:65], v[66:67] offset0:50 offset1:51
	ds_store_2addr_b64 v170, v[60:61], v[62:63] offset0:52 offset1:53
	;; [unrolled: 1-line block ×15, first 2 shown]
.LBB78_522:
	s_or_b32 exec_lo, exec_lo, s2
	s_delay_alu instid0(SALU_CYCLE_1)
	s_mov_b32 s2, exec_lo
	s_waitcnt lgkmcnt(0)
	s_waitcnt_vscnt null, 0x0
	s_barrier
	buffer_gl0_inv
	v_cmpx_lt_i32_e32 24, v176
	s_cbranch_execz .LBB78_524
; %bb.523:
	v_mul_f64 v[168:169], v[160:161], v[70:71]
	v_mul_f64 v[70:71], v[162:163], v[70:71]
	s_delay_alu instid0(VALU_DEP_2) | instskip(NEXT) | instid1(VALU_DEP_2)
	v_fma_f64 v[168:169], v[162:163], v[68:69], v[168:169]
	v_fma_f64 v[68:69], v[160:161], v[68:69], -v[70:71]
	ds_load_2addr_b64 v[160:163], v170 offset0:50 offset1:51
	s_waitcnt lgkmcnt(0)
	v_mul_f64 v[70:71], v[162:163], v[168:169]
	s_delay_alu instid0(VALU_DEP_1) | instskip(SKIP_1) | instid1(VALU_DEP_2)
	v_fma_f64 v[70:71], v[160:161], v[68:69], -v[70:71]
	v_mul_f64 v[160:161], v[160:161], v[168:169]
	v_add_f64 v[64:65], v[64:65], -v[70:71]
	s_delay_alu instid0(VALU_DEP_2) | instskip(NEXT) | instid1(VALU_DEP_1)
	v_fma_f64 v[160:161], v[162:163], v[68:69], v[160:161]
	v_add_f64 v[66:67], v[66:67], -v[160:161]
	ds_load_2addr_b64 v[160:163], v170 offset0:52 offset1:53
	s_waitcnt lgkmcnt(0)
	v_mul_f64 v[70:71], v[162:163], v[168:169]
	s_delay_alu instid0(VALU_DEP_1) | instskip(SKIP_1) | instid1(VALU_DEP_2)
	v_fma_f64 v[70:71], v[160:161], v[68:69], -v[70:71]
	v_mul_f64 v[160:161], v[160:161], v[168:169]
	v_add_f64 v[60:61], v[60:61], -v[70:71]
	s_delay_alu instid0(VALU_DEP_2) | instskip(NEXT) | instid1(VALU_DEP_1)
	v_fma_f64 v[160:161], v[162:163], v[68:69], v[160:161]
	v_add_f64 v[62:63], v[62:63], -v[160:161]
	ds_load_2addr_b64 v[160:163], v170 offset0:54 offset1:55
	s_waitcnt lgkmcnt(0)
	v_mul_f64 v[70:71], v[162:163], v[168:169]
	s_delay_alu instid0(VALU_DEP_1) | instskip(SKIP_1) | instid1(VALU_DEP_2)
	v_fma_f64 v[70:71], v[160:161], v[68:69], -v[70:71]
	v_mul_f64 v[160:161], v[160:161], v[168:169]
	v_add_f64 v[56:57], v[56:57], -v[70:71]
	s_delay_alu instid0(VALU_DEP_2) | instskip(NEXT) | instid1(VALU_DEP_1)
	v_fma_f64 v[160:161], v[162:163], v[68:69], v[160:161]
	v_add_f64 v[58:59], v[58:59], -v[160:161]
	ds_load_2addr_b64 v[160:163], v170 offset0:56 offset1:57
	s_waitcnt lgkmcnt(0)
	v_mul_f64 v[70:71], v[162:163], v[168:169]
	s_delay_alu instid0(VALU_DEP_1) | instskip(SKIP_1) | instid1(VALU_DEP_2)
	v_fma_f64 v[70:71], v[160:161], v[68:69], -v[70:71]
	v_mul_f64 v[160:161], v[160:161], v[168:169]
	v_add_f64 v[44:45], v[44:45], -v[70:71]
	s_delay_alu instid0(VALU_DEP_2) | instskip(NEXT) | instid1(VALU_DEP_1)
	v_fma_f64 v[160:161], v[162:163], v[68:69], v[160:161]
	v_add_f64 v[46:47], v[46:47], -v[160:161]
	ds_load_2addr_b64 v[160:163], v170 offset0:58 offset1:59
	s_waitcnt lgkmcnt(0)
	v_mul_f64 v[70:71], v[162:163], v[168:169]
	s_delay_alu instid0(VALU_DEP_1) | instskip(SKIP_1) | instid1(VALU_DEP_2)
	v_fma_f64 v[70:71], v[160:161], v[68:69], -v[70:71]
	v_mul_f64 v[160:161], v[160:161], v[168:169]
	v_add_f64 v[40:41], v[40:41], -v[70:71]
	s_delay_alu instid0(VALU_DEP_2) | instskip(NEXT) | instid1(VALU_DEP_1)
	v_fma_f64 v[160:161], v[162:163], v[68:69], v[160:161]
	v_add_f64 v[42:43], v[42:43], -v[160:161]
	ds_load_2addr_b64 v[160:163], v170 offset0:60 offset1:61
	s_waitcnt lgkmcnt(0)
	v_mul_f64 v[70:71], v[162:163], v[168:169]
	s_delay_alu instid0(VALU_DEP_1) | instskip(SKIP_1) | instid1(VALU_DEP_2)
	v_fma_f64 v[70:71], v[160:161], v[68:69], -v[70:71]
	v_mul_f64 v[160:161], v[160:161], v[168:169]
	v_add_f64 v[36:37], v[36:37], -v[70:71]
	s_delay_alu instid0(VALU_DEP_2) | instskip(NEXT) | instid1(VALU_DEP_1)
	v_fma_f64 v[160:161], v[162:163], v[68:69], v[160:161]
	v_add_f64 v[38:39], v[38:39], -v[160:161]
	ds_load_2addr_b64 v[160:163], v170 offset0:62 offset1:63
	s_waitcnt lgkmcnt(0)
	v_mul_f64 v[70:71], v[162:163], v[168:169]
	s_delay_alu instid0(VALU_DEP_1) | instskip(SKIP_1) | instid1(VALU_DEP_2)
	v_fma_f64 v[70:71], v[160:161], v[68:69], -v[70:71]
	v_mul_f64 v[160:161], v[160:161], v[168:169]
	v_add_f64 v[32:33], v[32:33], -v[70:71]
	s_delay_alu instid0(VALU_DEP_2) | instskip(NEXT) | instid1(VALU_DEP_1)
	v_fma_f64 v[160:161], v[162:163], v[68:69], v[160:161]
	v_add_f64 v[34:35], v[34:35], -v[160:161]
	ds_load_2addr_b64 v[160:163], v170 offset0:64 offset1:65
	s_waitcnt lgkmcnt(0)
	v_mul_f64 v[70:71], v[162:163], v[168:169]
	s_delay_alu instid0(VALU_DEP_1) | instskip(SKIP_1) | instid1(VALU_DEP_2)
	v_fma_f64 v[70:71], v[160:161], v[68:69], -v[70:71]
	v_mul_f64 v[160:161], v[160:161], v[168:169]
	v_add_f64 v[28:29], v[28:29], -v[70:71]
	s_delay_alu instid0(VALU_DEP_2) | instskip(NEXT) | instid1(VALU_DEP_1)
	v_fma_f64 v[160:161], v[162:163], v[68:69], v[160:161]
	v_add_f64 v[30:31], v[30:31], -v[160:161]
	ds_load_2addr_b64 v[160:163], v170 offset0:66 offset1:67
	s_waitcnt lgkmcnt(0)
	v_mul_f64 v[70:71], v[162:163], v[168:169]
	s_delay_alu instid0(VALU_DEP_1) | instskip(SKIP_1) | instid1(VALU_DEP_2)
	v_fma_f64 v[70:71], v[160:161], v[68:69], -v[70:71]
	v_mul_f64 v[160:161], v[160:161], v[168:169]
	v_add_f64 v[24:25], v[24:25], -v[70:71]
	s_delay_alu instid0(VALU_DEP_2) | instskip(NEXT) | instid1(VALU_DEP_1)
	v_fma_f64 v[160:161], v[162:163], v[68:69], v[160:161]
	v_add_f64 v[26:27], v[26:27], -v[160:161]
	ds_load_2addr_b64 v[160:163], v170 offset0:68 offset1:69
	s_waitcnt lgkmcnt(0)
	v_mul_f64 v[70:71], v[162:163], v[168:169]
	s_delay_alu instid0(VALU_DEP_1) | instskip(SKIP_1) | instid1(VALU_DEP_2)
	v_fma_f64 v[70:71], v[160:161], v[68:69], -v[70:71]
	v_mul_f64 v[160:161], v[160:161], v[168:169]
	v_add_f64 v[20:21], v[20:21], -v[70:71]
	s_delay_alu instid0(VALU_DEP_2) | instskip(NEXT) | instid1(VALU_DEP_1)
	v_fma_f64 v[160:161], v[162:163], v[68:69], v[160:161]
	v_add_f64 v[22:23], v[22:23], -v[160:161]
	ds_load_2addr_b64 v[160:163], v170 offset0:70 offset1:71
	s_waitcnt lgkmcnt(0)
	v_mul_f64 v[70:71], v[162:163], v[168:169]
	s_delay_alu instid0(VALU_DEP_1) | instskip(SKIP_1) | instid1(VALU_DEP_2)
	v_fma_f64 v[70:71], v[160:161], v[68:69], -v[70:71]
	v_mul_f64 v[160:161], v[160:161], v[168:169]
	v_add_f64 v[16:17], v[16:17], -v[70:71]
	s_delay_alu instid0(VALU_DEP_2) | instskip(NEXT) | instid1(VALU_DEP_1)
	v_fma_f64 v[160:161], v[162:163], v[68:69], v[160:161]
	v_add_f64 v[18:19], v[18:19], -v[160:161]
	ds_load_2addr_b64 v[160:163], v170 offset0:72 offset1:73
	s_waitcnt lgkmcnt(0)
	v_mul_f64 v[70:71], v[162:163], v[168:169]
	s_delay_alu instid0(VALU_DEP_1) | instskip(SKIP_1) | instid1(VALU_DEP_2)
	v_fma_f64 v[70:71], v[160:161], v[68:69], -v[70:71]
	v_mul_f64 v[160:161], v[160:161], v[168:169]
	v_add_f64 v[12:13], v[12:13], -v[70:71]
	s_delay_alu instid0(VALU_DEP_2) | instskip(NEXT) | instid1(VALU_DEP_1)
	v_fma_f64 v[160:161], v[162:163], v[68:69], v[160:161]
	v_add_f64 v[14:15], v[14:15], -v[160:161]
	ds_load_2addr_b64 v[160:163], v170 offset0:74 offset1:75
	s_waitcnt lgkmcnt(0)
	v_mul_f64 v[70:71], v[162:163], v[168:169]
	s_delay_alu instid0(VALU_DEP_1) | instskip(SKIP_1) | instid1(VALU_DEP_2)
	v_fma_f64 v[70:71], v[160:161], v[68:69], -v[70:71]
	v_mul_f64 v[160:161], v[160:161], v[168:169]
	v_add_f64 v[8:9], v[8:9], -v[70:71]
	s_delay_alu instid0(VALU_DEP_2) | instskip(NEXT) | instid1(VALU_DEP_1)
	v_fma_f64 v[160:161], v[162:163], v[68:69], v[160:161]
	v_add_f64 v[10:11], v[10:11], -v[160:161]
	ds_load_2addr_b64 v[160:163], v170 offset0:76 offset1:77
	s_waitcnt lgkmcnt(0)
	v_mul_f64 v[70:71], v[162:163], v[168:169]
	s_delay_alu instid0(VALU_DEP_1) | instskip(SKIP_1) | instid1(VALU_DEP_2)
	v_fma_f64 v[70:71], v[160:161], v[68:69], -v[70:71]
	v_mul_f64 v[160:161], v[160:161], v[168:169]
	v_add_f64 v[4:5], v[4:5], -v[70:71]
	s_delay_alu instid0(VALU_DEP_2) | instskip(NEXT) | instid1(VALU_DEP_1)
	v_fma_f64 v[160:161], v[162:163], v[68:69], v[160:161]
	v_add_f64 v[6:7], v[6:7], -v[160:161]
	ds_load_2addr_b64 v[160:163], v170 offset0:78 offset1:79
	s_waitcnt lgkmcnt(0)
	v_mul_f64 v[70:71], v[162:163], v[168:169]
	s_delay_alu instid0(VALU_DEP_1) | instskip(SKIP_1) | instid1(VALU_DEP_2)
	v_fma_f64 v[70:71], v[160:161], v[68:69], -v[70:71]
	v_mul_f64 v[160:161], v[160:161], v[168:169]
	v_add_f64 v[0:1], v[0:1], -v[70:71]
	s_delay_alu instid0(VALU_DEP_2) | instskip(SKIP_1) | instid1(VALU_DEP_2)
	v_fma_f64 v[160:161], v[162:163], v[68:69], v[160:161]
	v_dual_mov_b32 v70, v168 :: v_dual_mov_b32 v71, v169
	v_add_f64 v[2:3], v[2:3], -v[160:161]
.LBB78_524:
	s_or_b32 exec_lo, exec_lo, s2
	v_lshl_add_u32 v160, v176, 4, v170
	s_barrier
	buffer_gl0_inv
	v_mov_b32_e32 v168, 25
	ds_store_2addr_b64 v160, v[64:65], v[66:67] offset1:1
	s_waitcnt lgkmcnt(0)
	s_barrier
	buffer_gl0_inv
	ds_load_2addr_b64 v[160:163], v170 offset0:50 offset1:51
	s_cmp_lt_i32 s5, 27
	s_cbranch_scc1 .LBB78_527
; %bb.525:
	v_add3_u32 v169, v174, 0, 0x1a0
	v_mov_b32_e32 v168, 25
	s_mov_b32 s6, 26
	s_set_inst_prefetch_distance 0x1
	.p2align	6
.LBB78_526:                             ; =>This Inner Loop Header: Depth=1
	ds_load_2addr_b64 v[177:180], v169 offset1:1
	s_waitcnt lgkmcnt(1)
	v_cmp_gt_f64_e32 vcc_lo, 0, v[160:161]
	v_xor_b32_e32 v181, 0x80000000, v161
	v_cmp_gt_f64_e64 s2, 0, v[162:163]
	v_xor_b32_e32 v183, 0x80000000, v163
	v_add_nc_u32_e32 v169, 16, v169
	s_waitcnt lgkmcnt(0)
	v_cmp_gt_f64_e64 s3, 0, v[177:178]
	v_mov_b32_e32 v185, v177
	v_dual_mov_b32 v187, v179 :: v_dual_cndmask_b32 v182, v161, v181
	v_xor_b32_e32 v181, 0x80000000, v178
	v_cndmask_b32_e64 v184, v163, v183, s2
	v_xor_b32_e32 v183, 0x80000000, v180
	s_delay_alu instid0(VALU_DEP_3) | instskip(SKIP_2) | instid1(VALU_DEP_2)
	v_cndmask_b32_e64 v186, v178, v181, s3
	v_cmp_gt_f64_e64 s3, 0, v[179:180]
	v_cndmask_b32_e32 v181, v160, v160, vcc_lo
	v_cndmask_b32_e64 v188, v180, v183, s3
	v_cndmask_b32_e64 v183, v162, v162, s2
	s_delay_alu instid0(VALU_DEP_2) | instskip(NEXT) | instid1(VALU_DEP_2)
	v_add_f64 v[185:186], v[185:186], v[187:188]
	v_add_f64 v[181:182], v[181:182], v[183:184]
	s_delay_alu instid0(VALU_DEP_1) | instskip(SKIP_4) | instid1(SALU_CYCLE_1)
	v_cmp_lt_f64_e32 vcc_lo, v[181:182], v[185:186]
	v_dual_cndmask_b32 v162, v162, v179 :: v_dual_cndmask_b32 v161, v161, v178
	v_dual_cndmask_b32 v160, v160, v177 :: v_dual_cndmask_b32 v163, v163, v180
	v_cndmask_b32_e64 v168, v168, s6, vcc_lo
	s_add_i32 s6, s6, 1
	s_cmp_lg_u32 s5, s6
	s_cbranch_scc1 .LBB78_526
.LBB78_527:
	s_set_inst_prefetch_distance 0x2
	s_waitcnt lgkmcnt(0)
	v_cmp_eq_f64_e32 vcc_lo, 0, v[160:161]
	v_cmp_eq_f64_e64 s2, 0, v[162:163]
	s_delay_alu instid0(VALU_DEP_1) | instskip(NEXT) | instid1(SALU_CYCLE_1)
	s_and_b32 s2, vcc_lo, s2
	s_and_saveexec_b32 s3, s2
	s_delay_alu instid0(SALU_CYCLE_1)
	s_xor_b32 s2, exec_lo, s3
; %bb.528:
	v_cmp_ne_u32_e32 vcc_lo, 0, v173
	v_cndmask_b32_e32 v173, 26, v173, vcc_lo
; %bb.529:
	s_and_not1_saveexec_b32 s3, s2
	s_cbranch_execz .LBB78_535
; %bb.530:
	v_cmp_gt_f64_e32 vcc_lo, 0, v[160:161]
	v_cmp_gt_f64_e64 s2, 0, v[162:163]
	v_xor_b32_e32 v169, 0x80000000, v161
	v_xor_b32_e32 v177, 0x80000000, v163
	s_delay_alu instid0(VALU_DEP_2) | instskip(NEXT) | instid1(VALU_DEP_2)
	v_cndmask_b32_e32 v178, v161, v169, vcc_lo
	v_cndmask_b32_e64 v180, v163, v177, s2
	v_cndmask_b32_e32 v177, v160, v160, vcc_lo
	v_cndmask_b32_e64 v179, v162, v162, s2
	s_mov_b32 s2, exec_lo
	s_delay_alu instid0(VALU_DEP_1)
	v_cmpx_ngt_f64_e32 v[177:178], v[179:180]
	s_xor_b32 s2, exec_lo, s2
	s_cbranch_execz .LBB78_532
; %bb.531:
	v_div_scale_f64 v[177:178], null, v[162:163], v[162:163], v[160:161]
	v_div_scale_f64 v[183:184], vcc_lo, v[160:161], v[162:163], v[160:161]
	s_delay_alu instid0(VALU_DEP_2) | instskip(SKIP_2) | instid1(VALU_DEP_1)
	v_rcp_f64_e32 v[179:180], v[177:178]
	s_waitcnt_depctr 0xfff
	v_fma_f64 v[181:182], -v[177:178], v[179:180], 1.0
	v_fma_f64 v[179:180], v[179:180], v[181:182], v[179:180]
	s_delay_alu instid0(VALU_DEP_1) | instskip(NEXT) | instid1(VALU_DEP_1)
	v_fma_f64 v[181:182], -v[177:178], v[179:180], 1.0
	v_fma_f64 v[179:180], v[179:180], v[181:182], v[179:180]
	s_delay_alu instid0(VALU_DEP_1) | instskip(NEXT) | instid1(VALU_DEP_1)
	v_mul_f64 v[181:182], v[183:184], v[179:180]
	v_fma_f64 v[177:178], -v[177:178], v[181:182], v[183:184]
	s_delay_alu instid0(VALU_DEP_1) | instskip(NEXT) | instid1(VALU_DEP_1)
	v_div_fmas_f64 v[177:178], v[177:178], v[179:180], v[181:182]
	v_div_fixup_f64 v[177:178], v[177:178], v[162:163], v[160:161]
	s_delay_alu instid0(VALU_DEP_1) | instskip(NEXT) | instid1(VALU_DEP_1)
	v_fma_f64 v[160:161], v[160:161], v[177:178], v[162:163]
	v_div_scale_f64 v[162:163], null, v[160:161], v[160:161], 1.0
	s_delay_alu instid0(VALU_DEP_1) | instskip(SKIP_2) | instid1(VALU_DEP_1)
	v_rcp_f64_e32 v[179:180], v[162:163]
	s_waitcnt_depctr 0xfff
	v_fma_f64 v[181:182], -v[162:163], v[179:180], 1.0
	v_fma_f64 v[179:180], v[179:180], v[181:182], v[179:180]
	s_delay_alu instid0(VALU_DEP_1) | instskip(NEXT) | instid1(VALU_DEP_1)
	v_fma_f64 v[181:182], -v[162:163], v[179:180], 1.0
	v_fma_f64 v[179:180], v[179:180], v[181:182], v[179:180]
	v_div_scale_f64 v[181:182], vcc_lo, 1.0, v[160:161], 1.0
	s_delay_alu instid0(VALU_DEP_1) | instskip(NEXT) | instid1(VALU_DEP_1)
	v_mul_f64 v[183:184], v[181:182], v[179:180]
	v_fma_f64 v[162:163], -v[162:163], v[183:184], v[181:182]
	s_delay_alu instid0(VALU_DEP_1) | instskip(NEXT) | instid1(VALU_DEP_1)
	v_div_fmas_f64 v[162:163], v[162:163], v[179:180], v[183:184]
	v_div_fixup_f64 v[162:163], v[162:163], v[160:161], 1.0
	s_delay_alu instid0(VALU_DEP_1)
	v_mul_f64 v[160:161], v[177:178], v[162:163]
	v_xor_b32_e32 v163, 0x80000000, v163
.LBB78_532:
	s_and_not1_saveexec_b32 s2, s2
	s_cbranch_execz .LBB78_534
; %bb.533:
	s_delay_alu instid0(VALU_DEP_1) | instskip(SKIP_1) | instid1(VALU_DEP_2)
	v_div_scale_f64 v[177:178], null, v[160:161], v[160:161], v[162:163]
	v_div_scale_f64 v[183:184], vcc_lo, v[162:163], v[160:161], v[162:163]
	v_rcp_f64_e32 v[179:180], v[177:178]
	s_waitcnt_depctr 0xfff
	v_fma_f64 v[181:182], -v[177:178], v[179:180], 1.0
	s_delay_alu instid0(VALU_DEP_1) | instskip(NEXT) | instid1(VALU_DEP_1)
	v_fma_f64 v[179:180], v[179:180], v[181:182], v[179:180]
	v_fma_f64 v[181:182], -v[177:178], v[179:180], 1.0
	s_delay_alu instid0(VALU_DEP_1) | instskip(NEXT) | instid1(VALU_DEP_1)
	v_fma_f64 v[179:180], v[179:180], v[181:182], v[179:180]
	v_mul_f64 v[181:182], v[183:184], v[179:180]
	s_delay_alu instid0(VALU_DEP_1) | instskip(NEXT) | instid1(VALU_DEP_1)
	v_fma_f64 v[177:178], -v[177:178], v[181:182], v[183:184]
	v_div_fmas_f64 v[177:178], v[177:178], v[179:180], v[181:182]
	s_delay_alu instid0(VALU_DEP_1) | instskip(NEXT) | instid1(VALU_DEP_1)
	v_div_fixup_f64 v[177:178], v[177:178], v[160:161], v[162:163]
	v_fma_f64 v[160:161], v[162:163], v[177:178], v[160:161]
	s_delay_alu instid0(VALU_DEP_1) | instskip(NEXT) | instid1(VALU_DEP_1)
	v_div_scale_f64 v[162:163], null, v[160:161], v[160:161], 1.0
	v_rcp_f64_e32 v[179:180], v[162:163]
	s_waitcnt_depctr 0xfff
	v_fma_f64 v[181:182], -v[162:163], v[179:180], 1.0
	s_delay_alu instid0(VALU_DEP_1) | instskip(NEXT) | instid1(VALU_DEP_1)
	v_fma_f64 v[179:180], v[179:180], v[181:182], v[179:180]
	v_fma_f64 v[181:182], -v[162:163], v[179:180], 1.0
	s_delay_alu instid0(VALU_DEP_1) | instskip(SKIP_1) | instid1(VALU_DEP_1)
	v_fma_f64 v[179:180], v[179:180], v[181:182], v[179:180]
	v_div_scale_f64 v[181:182], vcc_lo, 1.0, v[160:161], 1.0
	v_mul_f64 v[183:184], v[181:182], v[179:180]
	s_delay_alu instid0(VALU_DEP_1) | instskip(NEXT) | instid1(VALU_DEP_1)
	v_fma_f64 v[162:163], -v[162:163], v[183:184], v[181:182]
	v_div_fmas_f64 v[162:163], v[162:163], v[179:180], v[183:184]
	s_delay_alu instid0(VALU_DEP_1) | instskip(NEXT) | instid1(VALU_DEP_1)
	v_div_fixup_f64 v[160:161], v[162:163], v[160:161], 1.0
	v_mul_f64 v[162:163], v[177:178], -v[160:161]
.LBB78_534:
	s_or_b32 exec_lo, exec_lo, s2
.LBB78_535:
	s_delay_alu instid0(SALU_CYCLE_1) | instskip(NEXT) | instid1(SALU_CYCLE_1)
	s_or_b32 exec_lo, exec_lo, s3
	s_mov_b32 s2, exec_lo
	v_cmpx_ne_u32_e64 v176, v168
	s_xor_b32 s2, exec_lo, s2
	s_cbranch_execz .LBB78_541
; %bb.536:
	s_mov_b32 s3, exec_lo
	v_cmpx_eq_u32_e32 25, v176
	s_cbranch_execz .LBB78_540
; %bb.537:
	v_cmp_ne_u32_e32 vcc_lo, 25, v168
	s_xor_b32 s6, s4, -1
	s_delay_alu instid0(SALU_CYCLE_1) | instskip(NEXT) | instid1(SALU_CYCLE_1)
	s_and_b32 s7, s6, vcc_lo
	s_and_saveexec_b32 s6, s7
	s_cbranch_execz .LBB78_539
; %bb.538:
	v_ashrrev_i32_e32 v169, 31, v168
	s_delay_alu instid0(VALU_DEP_1) | instskip(NEXT) | instid1(VALU_DEP_1)
	v_lshlrev_b64 v[175:176], 2, v[168:169]
	v_add_co_u32 v175, vcc_lo, v166, v175
	s_delay_alu instid0(VALU_DEP_2)
	v_add_co_ci_u32_e32 v176, vcc_lo, v167, v176, vcc_lo
	s_clause 0x1
	flat_load_b32 v169, v[175:176]
	flat_load_b32 v177, v[166:167] offset:100
	s_waitcnt vmcnt(1) lgkmcnt(1)
	flat_store_b32 v[166:167], v169 offset:100
	s_waitcnt vmcnt(0) lgkmcnt(1)
	flat_store_b32 v[175:176], v177
.LBB78_539:
	s_or_b32 exec_lo, exec_lo, s6
	v_mov_b32_e32 v176, v168
	v_mov_b32_e32 v175, v168
.LBB78_540:
	s_or_b32 exec_lo, exec_lo, s3
.LBB78_541:
	s_and_not1_saveexec_b32 s2, s2
	s_cbranch_execz .LBB78_543
; %bb.542:
	v_mov_b32_e32 v176, 25
	ds_store_2addr_b64 v170, v[60:61], v[62:63] offset0:52 offset1:53
	ds_store_2addr_b64 v170, v[56:57], v[58:59] offset0:54 offset1:55
	ds_store_2addr_b64 v170, v[44:45], v[46:47] offset0:56 offset1:57
	ds_store_2addr_b64 v170, v[40:41], v[42:43] offset0:58 offset1:59
	ds_store_2addr_b64 v170, v[36:37], v[38:39] offset0:60 offset1:61
	ds_store_2addr_b64 v170, v[32:33], v[34:35] offset0:62 offset1:63
	ds_store_2addr_b64 v170, v[28:29], v[30:31] offset0:64 offset1:65
	ds_store_2addr_b64 v170, v[24:25], v[26:27] offset0:66 offset1:67
	ds_store_2addr_b64 v170, v[20:21], v[22:23] offset0:68 offset1:69
	ds_store_2addr_b64 v170, v[16:17], v[18:19] offset0:70 offset1:71
	ds_store_2addr_b64 v170, v[12:13], v[14:15] offset0:72 offset1:73
	ds_store_2addr_b64 v170, v[8:9], v[10:11] offset0:74 offset1:75
	ds_store_2addr_b64 v170, v[4:5], v[6:7] offset0:76 offset1:77
	ds_store_2addr_b64 v170, v[0:1], v[2:3] offset0:78 offset1:79
.LBB78_543:
	s_or_b32 exec_lo, exec_lo, s2
	s_delay_alu instid0(SALU_CYCLE_1)
	s_mov_b32 s2, exec_lo
	s_waitcnt lgkmcnt(0)
	s_waitcnt_vscnt null, 0x0
	s_barrier
	buffer_gl0_inv
	v_cmpx_lt_i32_e32 25, v176
	s_cbranch_execz .LBB78_545
; %bb.544:
	v_mul_f64 v[168:169], v[160:161], v[66:67]
	v_mul_f64 v[66:67], v[162:163], v[66:67]
	s_delay_alu instid0(VALU_DEP_2) | instskip(NEXT) | instid1(VALU_DEP_2)
	v_fma_f64 v[168:169], v[162:163], v[64:65], v[168:169]
	v_fma_f64 v[64:65], v[160:161], v[64:65], -v[66:67]
	ds_load_2addr_b64 v[160:163], v170 offset0:52 offset1:53
	s_waitcnt lgkmcnt(0)
	v_mul_f64 v[66:67], v[162:163], v[168:169]
	s_delay_alu instid0(VALU_DEP_1) | instskip(SKIP_1) | instid1(VALU_DEP_2)
	v_fma_f64 v[66:67], v[160:161], v[64:65], -v[66:67]
	v_mul_f64 v[160:161], v[160:161], v[168:169]
	v_add_f64 v[60:61], v[60:61], -v[66:67]
	s_delay_alu instid0(VALU_DEP_2) | instskip(NEXT) | instid1(VALU_DEP_1)
	v_fma_f64 v[160:161], v[162:163], v[64:65], v[160:161]
	v_add_f64 v[62:63], v[62:63], -v[160:161]
	ds_load_2addr_b64 v[160:163], v170 offset0:54 offset1:55
	s_waitcnt lgkmcnt(0)
	v_mul_f64 v[66:67], v[162:163], v[168:169]
	s_delay_alu instid0(VALU_DEP_1) | instskip(SKIP_1) | instid1(VALU_DEP_2)
	v_fma_f64 v[66:67], v[160:161], v[64:65], -v[66:67]
	v_mul_f64 v[160:161], v[160:161], v[168:169]
	v_add_f64 v[56:57], v[56:57], -v[66:67]
	s_delay_alu instid0(VALU_DEP_2) | instskip(NEXT) | instid1(VALU_DEP_1)
	v_fma_f64 v[160:161], v[162:163], v[64:65], v[160:161]
	v_add_f64 v[58:59], v[58:59], -v[160:161]
	;; [unrolled: 10-line block ×13, first 2 shown]
	ds_load_2addr_b64 v[160:163], v170 offset0:78 offset1:79
	s_waitcnt lgkmcnt(0)
	v_mul_f64 v[66:67], v[162:163], v[168:169]
	s_delay_alu instid0(VALU_DEP_1) | instskip(SKIP_1) | instid1(VALU_DEP_2)
	v_fma_f64 v[66:67], v[160:161], v[64:65], -v[66:67]
	v_mul_f64 v[160:161], v[160:161], v[168:169]
	v_add_f64 v[0:1], v[0:1], -v[66:67]
	s_delay_alu instid0(VALU_DEP_2) | instskip(SKIP_1) | instid1(VALU_DEP_2)
	v_fma_f64 v[160:161], v[162:163], v[64:65], v[160:161]
	v_dual_mov_b32 v66, v168 :: v_dual_mov_b32 v67, v169
	v_add_f64 v[2:3], v[2:3], -v[160:161]
.LBB78_545:
	s_or_b32 exec_lo, exec_lo, s2
	v_lshl_add_u32 v160, v176, 4, v170
	s_barrier
	buffer_gl0_inv
	v_mov_b32_e32 v168, 26
	ds_store_2addr_b64 v160, v[60:61], v[62:63] offset1:1
	s_waitcnt lgkmcnt(0)
	s_barrier
	buffer_gl0_inv
	ds_load_2addr_b64 v[160:163], v170 offset0:52 offset1:53
	s_cmp_lt_i32 s5, 28
	s_cbranch_scc1 .LBB78_548
; %bb.546:
	v_add3_u32 v169, v174, 0, 0x1b0
	v_mov_b32_e32 v168, 26
	s_mov_b32 s6, 27
	s_set_inst_prefetch_distance 0x1
	.p2align	6
.LBB78_547:                             ; =>This Inner Loop Header: Depth=1
	ds_load_2addr_b64 v[177:180], v169 offset1:1
	s_waitcnt lgkmcnt(1)
	v_cmp_gt_f64_e32 vcc_lo, 0, v[160:161]
	v_xor_b32_e32 v181, 0x80000000, v161
	v_cmp_gt_f64_e64 s2, 0, v[162:163]
	v_xor_b32_e32 v183, 0x80000000, v163
	v_add_nc_u32_e32 v169, 16, v169
	s_waitcnt lgkmcnt(0)
	v_cmp_gt_f64_e64 s3, 0, v[177:178]
	v_mov_b32_e32 v185, v177
	v_dual_mov_b32 v187, v179 :: v_dual_cndmask_b32 v182, v161, v181
	v_xor_b32_e32 v181, 0x80000000, v178
	v_cndmask_b32_e64 v184, v163, v183, s2
	v_xor_b32_e32 v183, 0x80000000, v180
	s_delay_alu instid0(VALU_DEP_3) | instskip(SKIP_2) | instid1(VALU_DEP_2)
	v_cndmask_b32_e64 v186, v178, v181, s3
	v_cmp_gt_f64_e64 s3, 0, v[179:180]
	v_cndmask_b32_e32 v181, v160, v160, vcc_lo
	v_cndmask_b32_e64 v188, v180, v183, s3
	v_cndmask_b32_e64 v183, v162, v162, s2
	s_delay_alu instid0(VALU_DEP_2) | instskip(NEXT) | instid1(VALU_DEP_2)
	v_add_f64 v[185:186], v[185:186], v[187:188]
	v_add_f64 v[181:182], v[181:182], v[183:184]
	s_delay_alu instid0(VALU_DEP_1) | instskip(SKIP_4) | instid1(SALU_CYCLE_1)
	v_cmp_lt_f64_e32 vcc_lo, v[181:182], v[185:186]
	v_dual_cndmask_b32 v162, v162, v179 :: v_dual_cndmask_b32 v161, v161, v178
	v_dual_cndmask_b32 v160, v160, v177 :: v_dual_cndmask_b32 v163, v163, v180
	v_cndmask_b32_e64 v168, v168, s6, vcc_lo
	s_add_i32 s6, s6, 1
	s_cmp_lg_u32 s5, s6
	s_cbranch_scc1 .LBB78_547
.LBB78_548:
	s_set_inst_prefetch_distance 0x2
	s_waitcnt lgkmcnt(0)
	v_cmp_eq_f64_e32 vcc_lo, 0, v[160:161]
	v_cmp_eq_f64_e64 s2, 0, v[162:163]
	s_delay_alu instid0(VALU_DEP_1) | instskip(NEXT) | instid1(SALU_CYCLE_1)
	s_and_b32 s2, vcc_lo, s2
	s_and_saveexec_b32 s3, s2
	s_delay_alu instid0(SALU_CYCLE_1)
	s_xor_b32 s2, exec_lo, s3
; %bb.549:
	v_cmp_ne_u32_e32 vcc_lo, 0, v173
	v_cndmask_b32_e32 v173, 27, v173, vcc_lo
; %bb.550:
	s_and_not1_saveexec_b32 s3, s2
	s_cbranch_execz .LBB78_556
; %bb.551:
	v_cmp_gt_f64_e32 vcc_lo, 0, v[160:161]
	v_cmp_gt_f64_e64 s2, 0, v[162:163]
	v_xor_b32_e32 v169, 0x80000000, v161
	v_xor_b32_e32 v177, 0x80000000, v163
	s_delay_alu instid0(VALU_DEP_2) | instskip(NEXT) | instid1(VALU_DEP_2)
	v_cndmask_b32_e32 v178, v161, v169, vcc_lo
	v_cndmask_b32_e64 v180, v163, v177, s2
	v_cndmask_b32_e32 v177, v160, v160, vcc_lo
	v_cndmask_b32_e64 v179, v162, v162, s2
	s_mov_b32 s2, exec_lo
	s_delay_alu instid0(VALU_DEP_1)
	v_cmpx_ngt_f64_e32 v[177:178], v[179:180]
	s_xor_b32 s2, exec_lo, s2
	s_cbranch_execz .LBB78_553
; %bb.552:
	v_div_scale_f64 v[177:178], null, v[162:163], v[162:163], v[160:161]
	v_div_scale_f64 v[183:184], vcc_lo, v[160:161], v[162:163], v[160:161]
	s_delay_alu instid0(VALU_DEP_2) | instskip(SKIP_2) | instid1(VALU_DEP_1)
	v_rcp_f64_e32 v[179:180], v[177:178]
	s_waitcnt_depctr 0xfff
	v_fma_f64 v[181:182], -v[177:178], v[179:180], 1.0
	v_fma_f64 v[179:180], v[179:180], v[181:182], v[179:180]
	s_delay_alu instid0(VALU_DEP_1) | instskip(NEXT) | instid1(VALU_DEP_1)
	v_fma_f64 v[181:182], -v[177:178], v[179:180], 1.0
	v_fma_f64 v[179:180], v[179:180], v[181:182], v[179:180]
	s_delay_alu instid0(VALU_DEP_1) | instskip(NEXT) | instid1(VALU_DEP_1)
	v_mul_f64 v[181:182], v[183:184], v[179:180]
	v_fma_f64 v[177:178], -v[177:178], v[181:182], v[183:184]
	s_delay_alu instid0(VALU_DEP_1) | instskip(NEXT) | instid1(VALU_DEP_1)
	v_div_fmas_f64 v[177:178], v[177:178], v[179:180], v[181:182]
	v_div_fixup_f64 v[177:178], v[177:178], v[162:163], v[160:161]
	s_delay_alu instid0(VALU_DEP_1) | instskip(NEXT) | instid1(VALU_DEP_1)
	v_fma_f64 v[160:161], v[160:161], v[177:178], v[162:163]
	v_div_scale_f64 v[162:163], null, v[160:161], v[160:161], 1.0
	s_delay_alu instid0(VALU_DEP_1) | instskip(SKIP_2) | instid1(VALU_DEP_1)
	v_rcp_f64_e32 v[179:180], v[162:163]
	s_waitcnt_depctr 0xfff
	v_fma_f64 v[181:182], -v[162:163], v[179:180], 1.0
	v_fma_f64 v[179:180], v[179:180], v[181:182], v[179:180]
	s_delay_alu instid0(VALU_DEP_1) | instskip(NEXT) | instid1(VALU_DEP_1)
	v_fma_f64 v[181:182], -v[162:163], v[179:180], 1.0
	v_fma_f64 v[179:180], v[179:180], v[181:182], v[179:180]
	v_div_scale_f64 v[181:182], vcc_lo, 1.0, v[160:161], 1.0
	s_delay_alu instid0(VALU_DEP_1) | instskip(NEXT) | instid1(VALU_DEP_1)
	v_mul_f64 v[183:184], v[181:182], v[179:180]
	v_fma_f64 v[162:163], -v[162:163], v[183:184], v[181:182]
	s_delay_alu instid0(VALU_DEP_1) | instskip(NEXT) | instid1(VALU_DEP_1)
	v_div_fmas_f64 v[162:163], v[162:163], v[179:180], v[183:184]
	v_div_fixup_f64 v[162:163], v[162:163], v[160:161], 1.0
	s_delay_alu instid0(VALU_DEP_1)
	v_mul_f64 v[160:161], v[177:178], v[162:163]
	v_xor_b32_e32 v163, 0x80000000, v163
.LBB78_553:
	s_and_not1_saveexec_b32 s2, s2
	s_cbranch_execz .LBB78_555
; %bb.554:
	s_delay_alu instid0(VALU_DEP_1) | instskip(SKIP_1) | instid1(VALU_DEP_2)
	v_div_scale_f64 v[177:178], null, v[160:161], v[160:161], v[162:163]
	v_div_scale_f64 v[183:184], vcc_lo, v[162:163], v[160:161], v[162:163]
	v_rcp_f64_e32 v[179:180], v[177:178]
	s_waitcnt_depctr 0xfff
	v_fma_f64 v[181:182], -v[177:178], v[179:180], 1.0
	s_delay_alu instid0(VALU_DEP_1) | instskip(NEXT) | instid1(VALU_DEP_1)
	v_fma_f64 v[179:180], v[179:180], v[181:182], v[179:180]
	v_fma_f64 v[181:182], -v[177:178], v[179:180], 1.0
	s_delay_alu instid0(VALU_DEP_1) | instskip(NEXT) | instid1(VALU_DEP_1)
	v_fma_f64 v[179:180], v[179:180], v[181:182], v[179:180]
	v_mul_f64 v[181:182], v[183:184], v[179:180]
	s_delay_alu instid0(VALU_DEP_1) | instskip(NEXT) | instid1(VALU_DEP_1)
	v_fma_f64 v[177:178], -v[177:178], v[181:182], v[183:184]
	v_div_fmas_f64 v[177:178], v[177:178], v[179:180], v[181:182]
	s_delay_alu instid0(VALU_DEP_1) | instskip(NEXT) | instid1(VALU_DEP_1)
	v_div_fixup_f64 v[177:178], v[177:178], v[160:161], v[162:163]
	v_fma_f64 v[160:161], v[162:163], v[177:178], v[160:161]
	s_delay_alu instid0(VALU_DEP_1) | instskip(NEXT) | instid1(VALU_DEP_1)
	v_div_scale_f64 v[162:163], null, v[160:161], v[160:161], 1.0
	v_rcp_f64_e32 v[179:180], v[162:163]
	s_waitcnt_depctr 0xfff
	v_fma_f64 v[181:182], -v[162:163], v[179:180], 1.0
	s_delay_alu instid0(VALU_DEP_1) | instskip(NEXT) | instid1(VALU_DEP_1)
	v_fma_f64 v[179:180], v[179:180], v[181:182], v[179:180]
	v_fma_f64 v[181:182], -v[162:163], v[179:180], 1.0
	s_delay_alu instid0(VALU_DEP_1) | instskip(SKIP_1) | instid1(VALU_DEP_1)
	v_fma_f64 v[179:180], v[179:180], v[181:182], v[179:180]
	v_div_scale_f64 v[181:182], vcc_lo, 1.0, v[160:161], 1.0
	v_mul_f64 v[183:184], v[181:182], v[179:180]
	s_delay_alu instid0(VALU_DEP_1) | instskip(NEXT) | instid1(VALU_DEP_1)
	v_fma_f64 v[162:163], -v[162:163], v[183:184], v[181:182]
	v_div_fmas_f64 v[162:163], v[162:163], v[179:180], v[183:184]
	s_delay_alu instid0(VALU_DEP_1) | instskip(NEXT) | instid1(VALU_DEP_1)
	v_div_fixup_f64 v[160:161], v[162:163], v[160:161], 1.0
	v_mul_f64 v[162:163], v[177:178], -v[160:161]
.LBB78_555:
	s_or_b32 exec_lo, exec_lo, s2
.LBB78_556:
	s_delay_alu instid0(SALU_CYCLE_1) | instskip(NEXT) | instid1(SALU_CYCLE_1)
	s_or_b32 exec_lo, exec_lo, s3
	s_mov_b32 s2, exec_lo
	v_cmpx_ne_u32_e64 v176, v168
	s_xor_b32 s2, exec_lo, s2
	s_cbranch_execz .LBB78_562
; %bb.557:
	s_mov_b32 s3, exec_lo
	v_cmpx_eq_u32_e32 26, v176
	s_cbranch_execz .LBB78_561
; %bb.558:
	v_cmp_ne_u32_e32 vcc_lo, 26, v168
	s_xor_b32 s6, s4, -1
	s_delay_alu instid0(SALU_CYCLE_1) | instskip(NEXT) | instid1(SALU_CYCLE_1)
	s_and_b32 s7, s6, vcc_lo
	s_and_saveexec_b32 s6, s7
	s_cbranch_execz .LBB78_560
; %bb.559:
	v_ashrrev_i32_e32 v169, 31, v168
	s_delay_alu instid0(VALU_DEP_1) | instskip(NEXT) | instid1(VALU_DEP_1)
	v_lshlrev_b64 v[175:176], 2, v[168:169]
	v_add_co_u32 v175, vcc_lo, v166, v175
	s_delay_alu instid0(VALU_DEP_2)
	v_add_co_ci_u32_e32 v176, vcc_lo, v167, v176, vcc_lo
	s_clause 0x1
	flat_load_b32 v169, v[175:176]
	flat_load_b32 v177, v[166:167] offset:104
	s_waitcnt vmcnt(1) lgkmcnt(1)
	flat_store_b32 v[166:167], v169 offset:104
	s_waitcnt vmcnt(0) lgkmcnt(1)
	flat_store_b32 v[175:176], v177
.LBB78_560:
	s_or_b32 exec_lo, exec_lo, s6
	v_mov_b32_e32 v176, v168
	v_mov_b32_e32 v175, v168
.LBB78_561:
	s_or_b32 exec_lo, exec_lo, s3
.LBB78_562:
	s_and_not1_saveexec_b32 s2, s2
	s_cbranch_execz .LBB78_564
; %bb.563:
	v_mov_b32_e32 v176, 26
	ds_store_2addr_b64 v170, v[56:57], v[58:59] offset0:54 offset1:55
	ds_store_2addr_b64 v170, v[44:45], v[46:47] offset0:56 offset1:57
	;; [unrolled: 1-line block ×13, first 2 shown]
.LBB78_564:
	s_or_b32 exec_lo, exec_lo, s2
	s_delay_alu instid0(SALU_CYCLE_1)
	s_mov_b32 s2, exec_lo
	s_waitcnt lgkmcnt(0)
	s_waitcnt_vscnt null, 0x0
	s_barrier
	buffer_gl0_inv
	v_cmpx_lt_i32_e32 26, v176
	s_cbranch_execz .LBB78_566
; %bb.565:
	v_mul_f64 v[168:169], v[160:161], v[62:63]
	v_mul_f64 v[62:63], v[162:163], v[62:63]
	s_delay_alu instid0(VALU_DEP_2) | instskip(NEXT) | instid1(VALU_DEP_2)
	v_fma_f64 v[168:169], v[162:163], v[60:61], v[168:169]
	v_fma_f64 v[60:61], v[160:161], v[60:61], -v[62:63]
	ds_load_2addr_b64 v[160:163], v170 offset0:54 offset1:55
	s_waitcnt lgkmcnt(0)
	v_mul_f64 v[62:63], v[162:163], v[168:169]
	s_delay_alu instid0(VALU_DEP_1) | instskip(SKIP_1) | instid1(VALU_DEP_2)
	v_fma_f64 v[62:63], v[160:161], v[60:61], -v[62:63]
	v_mul_f64 v[160:161], v[160:161], v[168:169]
	v_add_f64 v[56:57], v[56:57], -v[62:63]
	s_delay_alu instid0(VALU_DEP_2) | instskip(NEXT) | instid1(VALU_DEP_1)
	v_fma_f64 v[160:161], v[162:163], v[60:61], v[160:161]
	v_add_f64 v[58:59], v[58:59], -v[160:161]
	ds_load_2addr_b64 v[160:163], v170 offset0:56 offset1:57
	s_waitcnt lgkmcnt(0)
	v_mul_f64 v[62:63], v[162:163], v[168:169]
	s_delay_alu instid0(VALU_DEP_1) | instskip(SKIP_1) | instid1(VALU_DEP_2)
	v_fma_f64 v[62:63], v[160:161], v[60:61], -v[62:63]
	v_mul_f64 v[160:161], v[160:161], v[168:169]
	v_add_f64 v[44:45], v[44:45], -v[62:63]
	s_delay_alu instid0(VALU_DEP_2) | instskip(NEXT) | instid1(VALU_DEP_1)
	v_fma_f64 v[160:161], v[162:163], v[60:61], v[160:161]
	v_add_f64 v[46:47], v[46:47], -v[160:161]
	;; [unrolled: 10-line block ×12, first 2 shown]
	ds_load_2addr_b64 v[160:163], v170 offset0:78 offset1:79
	s_waitcnt lgkmcnt(0)
	v_mul_f64 v[62:63], v[162:163], v[168:169]
	s_delay_alu instid0(VALU_DEP_1) | instskip(SKIP_1) | instid1(VALU_DEP_2)
	v_fma_f64 v[62:63], v[160:161], v[60:61], -v[62:63]
	v_mul_f64 v[160:161], v[160:161], v[168:169]
	v_add_f64 v[0:1], v[0:1], -v[62:63]
	s_delay_alu instid0(VALU_DEP_2) | instskip(SKIP_1) | instid1(VALU_DEP_2)
	v_fma_f64 v[160:161], v[162:163], v[60:61], v[160:161]
	v_dual_mov_b32 v62, v168 :: v_dual_mov_b32 v63, v169
	v_add_f64 v[2:3], v[2:3], -v[160:161]
.LBB78_566:
	s_or_b32 exec_lo, exec_lo, s2
	v_lshl_add_u32 v160, v176, 4, v170
	s_barrier
	buffer_gl0_inv
	v_mov_b32_e32 v168, 27
	ds_store_2addr_b64 v160, v[56:57], v[58:59] offset1:1
	s_waitcnt lgkmcnt(0)
	s_barrier
	buffer_gl0_inv
	ds_load_2addr_b64 v[160:163], v170 offset0:54 offset1:55
	s_cmp_lt_i32 s5, 29
	s_cbranch_scc1 .LBB78_569
; %bb.567:
	v_add3_u32 v169, v174, 0, 0x1c0
	v_mov_b32_e32 v168, 27
	s_mov_b32 s6, 28
	s_set_inst_prefetch_distance 0x1
	.p2align	6
.LBB78_568:                             ; =>This Inner Loop Header: Depth=1
	ds_load_2addr_b64 v[177:180], v169 offset1:1
	s_waitcnt lgkmcnt(1)
	v_cmp_gt_f64_e32 vcc_lo, 0, v[160:161]
	v_xor_b32_e32 v181, 0x80000000, v161
	v_cmp_gt_f64_e64 s2, 0, v[162:163]
	v_xor_b32_e32 v183, 0x80000000, v163
	v_add_nc_u32_e32 v169, 16, v169
	s_waitcnt lgkmcnt(0)
	v_cmp_gt_f64_e64 s3, 0, v[177:178]
	v_mov_b32_e32 v185, v177
	v_dual_mov_b32 v187, v179 :: v_dual_cndmask_b32 v182, v161, v181
	v_xor_b32_e32 v181, 0x80000000, v178
	v_cndmask_b32_e64 v184, v163, v183, s2
	v_xor_b32_e32 v183, 0x80000000, v180
	s_delay_alu instid0(VALU_DEP_3) | instskip(SKIP_2) | instid1(VALU_DEP_2)
	v_cndmask_b32_e64 v186, v178, v181, s3
	v_cmp_gt_f64_e64 s3, 0, v[179:180]
	v_cndmask_b32_e32 v181, v160, v160, vcc_lo
	v_cndmask_b32_e64 v188, v180, v183, s3
	v_cndmask_b32_e64 v183, v162, v162, s2
	s_delay_alu instid0(VALU_DEP_2) | instskip(NEXT) | instid1(VALU_DEP_2)
	v_add_f64 v[185:186], v[185:186], v[187:188]
	v_add_f64 v[181:182], v[181:182], v[183:184]
	s_delay_alu instid0(VALU_DEP_1) | instskip(SKIP_4) | instid1(SALU_CYCLE_1)
	v_cmp_lt_f64_e32 vcc_lo, v[181:182], v[185:186]
	v_dual_cndmask_b32 v162, v162, v179 :: v_dual_cndmask_b32 v161, v161, v178
	v_dual_cndmask_b32 v160, v160, v177 :: v_dual_cndmask_b32 v163, v163, v180
	v_cndmask_b32_e64 v168, v168, s6, vcc_lo
	s_add_i32 s6, s6, 1
	s_cmp_lg_u32 s5, s6
	s_cbranch_scc1 .LBB78_568
.LBB78_569:
	s_set_inst_prefetch_distance 0x2
	s_waitcnt lgkmcnt(0)
	v_cmp_eq_f64_e32 vcc_lo, 0, v[160:161]
	v_cmp_eq_f64_e64 s2, 0, v[162:163]
	s_delay_alu instid0(VALU_DEP_1) | instskip(NEXT) | instid1(SALU_CYCLE_1)
	s_and_b32 s2, vcc_lo, s2
	s_and_saveexec_b32 s3, s2
	s_delay_alu instid0(SALU_CYCLE_1)
	s_xor_b32 s2, exec_lo, s3
; %bb.570:
	v_cmp_ne_u32_e32 vcc_lo, 0, v173
	v_cndmask_b32_e32 v173, 28, v173, vcc_lo
; %bb.571:
	s_and_not1_saveexec_b32 s3, s2
	s_cbranch_execz .LBB78_577
; %bb.572:
	v_cmp_gt_f64_e32 vcc_lo, 0, v[160:161]
	v_cmp_gt_f64_e64 s2, 0, v[162:163]
	v_xor_b32_e32 v169, 0x80000000, v161
	v_xor_b32_e32 v177, 0x80000000, v163
	s_delay_alu instid0(VALU_DEP_2) | instskip(NEXT) | instid1(VALU_DEP_2)
	v_cndmask_b32_e32 v178, v161, v169, vcc_lo
	v_cndmask_b32_e64 v180, v163, v177, s2
	v_cndmask_b32_e32 v177, v160, v160, vcc_lo
	v_cndmask_b32_e64 v179, v162, v162, s2
	s_mov_b32 s2, exec_lo
	s_delay_alu instid0(VALU_DEP_1)
	v_cmpx_ngt_f64_e32 v[177:178], v[179:180]
	s_xor_b32 s2, exec_lo, s2
	s_cbranch_execz .LBB78_574
; %bb.573:
	v_div_scale_f64 v[177:178], null, v[162:163], v[162:163], v[160:161]
	v_div_scale_f64 v[183:184], vcc_lo, v[160:161], v[162:163], v[160:161]
	s_delay_alu instid0(VALU_DEP_2) | instskip(SKIP_2) | instid1(VALU_DEP_1)
	v_rcp_f64_e32 v[179:180], v[177:178]
	s_waitcnt_depctr 0xfff
	v_fma_f64 v[181:182], -v[177:178], v[179:180], 1.0
	v_fma_f64 v[179:180], v[179:180], v[181:182], v[179:180]
	s_delay_alu instid0(VALU_DEP_1) | instskip(NEXT) | instid1(VALU_DEP_1)
	v_fma_f64 v[181:182], -v[177:178], v[179:180], 1.0
	v_fma_f64 v[179:180], v[179:180], v[181:182], v[179:180]
	s_delay_alu instid0(VALU_DEP_1) | instskip(NEXT) | instid1(VALU_DEP_1)
	v_mul_f64 v[181:182], v[183:184], v[179:180]
	v_fma_f64 v[177:178], -v[177:178], v[181:182], v[183:184]
	s_delay_alu instid0(VALU_DEP_1) | instskip(NEXT) | instid1(VALU_DEP_1)
	v_div_fmas_f64 v[177:178], v[177:178], v[179:180], v[181:182]
	v_div_fixup_f64 v[177:178], v[177:178], v[162:163], v[160:161]
	s_delay_alu instid0(VALU_DEP_1) | instskip(NEXT) | instid1(VALU_DEP_1)
	v_fma_f64 v[160:161], v[160:161], v[177:178], v[162:163]
	v_div_scale_f64 v[162:163], null, v[160:161], v[160:161], 1.0
	s_delay_alu instid0(VALU_DEP_1) | instskip(SKIP_2) | instid1(VALU_DEP_1)
	v_rcp_f64_e32 v[179:180], v[162:163]
	s_waitcnt_depctr 0xfff
	v_fma_f64 v[181:182], -v[162:163], v[179:180], 1.0
	v_fma_f64 v[179:180], v[179:180], v[181:182], v[179:180]
	s_delay_alu instid0(VALU_DEP_1) | instskip(NEXT) | instid1(VALU_DEP_1)
	v_fma_f64 v[181:182], -v[162:163], v[179:180], 1.0
	v_fma_f64 v[179:180], v[179:180], v[181:182], v[179:180]
	v_div_scale_f64 v[181:182], vcc_lo, 1.0, v[160:161], 1.0
	s_delay_alu instid0(VALU_DEP_1) | instskip(NEXT) | instid1(VALU_DEP_1)
	v_mul_f64 v[183:184], v[181:182], v[179:180]
	v_fma_f64 v[162:163], -v[162:163], v[183:184], v[181:182]
	s_delay_alu instid0(VALU_DEP_1) | instskip(NEXT) | instid1(VALU_DEP_1)
	v_div_fmas_f64 v[162:163], v[162:163], v[179:180], v[183:184]
	v_div_fixup_f64 v[162:163], v[162:163], v[160:161], 1.0
	s_delay_alu instid0(VALU_DEP_1)
	v_mul_f64 v[160:161], v[177:178], v[162:163]
	v_xor_b32_e32 v163, 0x80000000, v163
.LBB78_574:
	s_and_not1_saveexec_b32 s2, s2
	s_cbranch_execz .LBB78_576
; %bb.575:
	s_delay_alu instid0(VALU_DEP_1) | instskip(SKIP_1) | instid1(VALU_DEP_2)
	v_div_scale_f64 v[177:178], null, v[160:161], v[160:161], v[162:163]
	v_div_scale_f64 v[183:184], vcc_lo, v[162:163], v[160:161], v[162:163]
	v_rcp_f64_e32 v[179:180], v[177:178]
	s_waitcnt_depctr 0xfff
	v_fma_f64 v[181:182], -v[177:178], v[179:180], 1.0
	s_delay_alu instid0(VALU_DEP_1) | instskip(NEXT) | instid1(VALU_DEP_1)
	v_fma_f64 v[179:180], v[179:180], v[181:182], v[179:180]
	v_fma_f64 v[181:182], -v[177:178], v[179:180], 1.0
	s_delay_alu instid0(VALU_DEP_1) | instskip(NEXT) | instid1(VALU_DEP_1)
	v_fma_f64 v[179:180], v[179:180], v[181:182], v[179:180]
	v_mul_f64 v[181:182], v[183:184], v[179:180]
	s_delay_alu instid0(VALU_DEP_1) | instskip(NEXT) | instid1(VALU_DEP_1)
	v_fma_f64 v[177:178], -v[177:178], v[181:182], v[183:184]
	v_div_fmas_f64 v[177:178], v[177:178], v[179:180], v[181:182]
	s_delay_alu instid0(VALU_DEP_1) | instskip(NEXT) | instid1(VALU_DEP_1)
	v_div_fixup_f64 v[177:178], v[177:178], v[160:161], v[162:163]
	v_fma_f64 v[160:161], v[162:163], v[177:178], v[160:161]
	s_delay_alu instid0(VALU_DEP_1) | instskip(NEXT) | instid1(VALU_DEP_1)
	v_div_scale_f64 v[162:163], null, v[160:161], v[160:161], 1.0
	v_rcp_f64_e32 v[179:180], v[162:163]
	s_waitcnt_depctr 0xfff
	v_fma_f64 v[181:182], -v[162:163], v[179:180], 1.0
	s_delay_alu instid0(VALU_DEP_1) | instskip(NEXT) | instid1(VALU_DEP_1)
	v_fma_f64 v[179:180], v[179:180], v[181:182], v[179:180]
	v_fma_f64 v[181:182], -v[162:163], v[179:180], 1.0
	s_delay_alu instid0(VALU_DEP_1) | instskip(SKIP_1) | instid1(VALU_DEP_1)
	v_fma_f64 v[179:180], v[179:180], v[181:182], v[179:180]
	v_div_scale_f64 v[181:182], vcc_lo, 1.0, v[160:161], 1.0
	v_mul_f64 v[183:184], v[181:182], v[179:180]
	s_delay_alu instid0(VALU_DEP_1) | instskip(NEXT) | instid1(VALU_DEP_1)
	v_fma_f64 v[162:163], -v[162:163], v[183:184], v[181:182]
	v_div_fmas_f64 v[162:163], v[162:163], v[179:180], v[183:184]
	s_delay_alu instid0(VALU_DEP_1) | instskip(NEXT) | instid1(VALU_DEP_1)
	v_div_fixup_f64 v[160:161], v[162:163], v[160:161], 1.0
	v_mul_f64 v[162:163], v[177:178], -v[160:161]
.LBB78_576:
	s_or_b32 exec_lo, exec_lo, s2
.LBB78_577:
	s_delay_alu instid0(SALU_CYCLE_1) | instskip(NEXT) | instid1(SALU_CYCLE_1)
	s_or_b32 exec_lo, exec_lo, s3
	s_mov_b32 s2, exec_lo
	v_cmpx_ne_u32_e64 v176, v168
	s_xor_b32 s2, exec_lo, s2
	s_cbranch_execz .LBB78_583
; %bb.578:
	s_mov_b32 s3, exec_lo
	v_cmpx_eq_u32_e32 27, v176
	s_cbranch_execz .LBB78_582
; %bb.579:
	v_cmp_ne_u32_e32 vcc_lo, 27, v168
	s_xor_b32 s6, s4, -1
	s_delay_alu instid0(SALU_CYCLE_1) | instskip(NEXT) | instid1(SALU_CYCLE_1)
	s_and_b32 s7, s6, vcc_lo
	s_and_saveexec_b32 s6, s7
	s_cbranch_execz .LBB78_581
; %bb.580:
	v_ashrrev_i32_e32 v169, 31, v168
	s_delay_alu instid0(VALU_DEP_1) | instskip(NEXT) | instid1(VALU_DEP_1)
	v_lshlrev_b64 v[175:176], 2, v[168:169]
	v_add_co_u32 v175, vcc_lo, v166, v175
	s_delay_alu instid0(VALU_DEP_2)
	v_add_co_ci_u32_e32 v176, vcc_lo, v167, v176, vcc_lo
	s_clause 0x1
	flat_load_b32 v169, v[175:176]
	flat_load_b32 v177, v[166:167] offset:108
	s_waitcnt vmcnt(1) lgkmcnt(1)
	flat_store_b32 v[166:167], v169 offset:108
	s_waitcnt vmcnt(0) lgkmcnt(1)
	flat_store_b32 v[175:176], v177
.LBB78_581:
	s_or_b32 exec_lo, exec_lo, s6
	v_mov_b32_e32 v176, v168
	v_mov_b32_e32 v175, v168
.LBB78_582:
	s_or_b32 exec_lo, exec_lo, s3
.LBB78_583:
	s_and_not1_saveexec_b32 s2, s2
	s_cbranch_execz .LBB78_585
; %bb.584:
	v_mov_b32_e32 v176, 27
	ds_store_2addr_b64 v170, v[44:45], v[46:47] offset0:56 offset1:57
	ds_store_2addr_b64 v170, v[40:41], v[42:43] offset0:58 offset1:59
	;; [unrolled: 1-line block ×12, first 2 shown]
.LBB78_585:
	s_or_b32 exec_lo, exec_lo, s2
	s_delay_alu instid0(SALU_CYCLE_1)
	s_mov_b32 s2, exec_lo
	s_waitcnt lgkmcnt(0)
	s_waitcnt_vscnt null, 0x0
	s_barrier
	buffer_gl0_inv
	v_cmpx_lt_i32_e32 27, v176
	s_cbranch_execz .LBB78_587
; %bb.586:
	v_mul_f64 v[168:169], v[160:161], v[58:59]
	v_mul_f64 v[58:59], v[162:163], v[58:59]
	s_delay_alu instid0(VALU_DEP_2) | instskip(NEXT) | instid1(VALU_DEP_2)
	v_fma_f64 v[168:169], v[162:163], v[56:57], v[168:169]
	v_fma_f64 v[56:57], v[160:161], v[56:57], -v[58:59]
	ds_load_2addr_b64 v[160:163], v170 offset0:56 offset1:57
	s_waitcnt lgkmcnt(0)
	v_mul_f64 v[58:59], v[162:163], v[168:169]
	s_delay_alu instid0(VALU_DEP_1) | instskip(SKIP_1) | instid1(VALU_DEP_2)
	v_fma_f64 v[58:59], v[160:161], v[56:57], -v[58:59]
	v_mul_f64 v[160:161], v[160:161], v[168:169]
	v_add_f64 v[44:45], v[44:45], -v[58:59]
	s_delay_alu instid0(VALU_DEP_2) | instskip(NEXT) | instid1(VALU_DEP_1)
	v_fma_f64 v[160:161], v[162:163], v[56:57], v[160:161]
	v_add_f64 v[46:47], v[46:47], -v[160:161]
	ds_load_2addr_b64 v[160:163], v170 offset0:58 offset1:59
	s_waitcnt lgkmcnt(0)
	v_mul_f64 v[58:59], v[162:163], v[168:169]
	s_delay_alu instid0(VALU_DEP_1) | instskip(SKIP_1) | instid1(VALU_DEP_2)
	v_fma_f64 v[58:59], v[160:161], v[56:57], -v[58:59]
	v_mul_f64 v[160:161], v[160:161], v[168:169]
	v_add_f64 v[40:41], v[40:41], -v[58:59]
	s_delay_alu instid0(VALU_DEP_2) | instskip(NEXT) | instid1(VALU_DEP_1)
	v_fma_f64 v[160:161], v[162:163], v[56:57], v[160:161]
	v_add_f64 v[42:43], v[42:43], -v[160:161]
	;; [unrolled: 10-line block ×11, first 2 shown]
	ds_load_2addr_b64 v[160:163], v170 offset0:78 offset1:79
	s_waitcnt lgkmcnt(0)
	v_mul_f64 v[58:59], v[162:163], v[168:169]
	s_delay_alu instid0(VALU_DEP_1) | instskip(SKIP_1) | instid1(VALU_DEP_2)
	v_fma_f64 v[58:59], v[160:161], v[56:57], -v[58:59]
	v_mul_f64 v[160:161], v[160:161], v[168:169]
	v_add_f64 v[0:1], v[0:1], -v[58:59]
	s_delay_alu instid0(VALU_DEP_2) | instskip(SKIP_1) | instid1(VALU_DEP_2)
	v_fma_f64 v[160:161], v[162:163], v[56:57], v[160:161]
	v_dual_mov_b32 v58, v168 :: v_dual_mov_b32 v59, v169
	v_add_f64 v[2:3], v[2:3], -v[160:161]
.LBB78_587:
	s_or_b32 exec_lo, exec_lo, s2
	v_lshl_add_u32 v160, v176, 4, v170
	s_barrier
	buffer_gl0_inv
	v_mov_b32_e32 v168, 28
	ds_store_2addr_b64 v160, v[44:45], v[46:47] offset1:1
	s_waitcnt lgkmcnt(0)
	s_barrier
	buffer_gl0_inv
	ds_load_2addr_b64 v[160:163], v170 offset0:56 offset1:57
	s_cmp_lt_i32 s5, 30
	s_cbranch_scc1 .LBB78_590
; %bb.588:
	v_add3_u32 v169, v174, 0, 0x1d0
	v_mov_b32_e32 v168, 28
	s_mov_b32 s6, 29
	s_set_inst_prefetch_distance 0x1
	.p2align	6
.LBB78_589:                             ; =>This Inner Loop Header: Depth=1
	ds_load_2addr_b64 v[177:180], v169 offset1:1
	s_waitcnt lgkmcnt(1)
	v_cmp_gt_f64_e32 vcc_lo, 0, v[160:161]
	v_xor_b32_e32 v181, 0x80000000, v161
	v_cmp_gt_f64_e64 s2, 0, v[162:163]
	v_xor_b32_e32 v183, 0x80000000, v163
	v_add_nc_u32_e32 v169, 16, v169
	s_waitcnt lgkmcnt(0)
	v_cmp_gt_f64_e64 s3, 0, v[177:178]
	v_mov_b32_e32 v185, v177
	v_dual_mov_b32 v187, v179 :: v_dual_cndmask_b32 v182, v161, v181
	v_xor_b32_e32 v181, 0x80000000, v178
	v_cndmask_b32_e64 v184, v163, v183, s2
	v_xor_b32_e32 v183, 0x80000000, v180
	s_delay_alu instid0(VALU_DEP_3) | instskip(SKIP_2) | instid1(VALU_DEP_2)
	v_cndmask_b32_e64 v186, v178, v181, s3
	v_cmp_gt_f64_e64 s3, 0, v[179:180]
	v_cndmask_b32_e32 v181, v160, v160, vcc_lo
	v_cndmask_b32_e64 v188, v180, v183, s3
	v_cndmask_b32_e64 v183, v162, v162, s2
	s_delay_alu instid0(VALU_DEP_2) | instskip(NEXT) | instid1(VALU_DEP_2)
	v_add_f64 v[185:186], v[185:186], v[187:188]
	v_add_f64 v[181:182], v[181:182], v[183:184]
	s_delay_alu instid0(VALU_DEP_1) | instskip(SKIP_4) | instid1(SALU_CYCLE_1)
	v_cmp_lt_f64_e32 vcc_lo, v[181:182], v[185:186]
	v_dual_cndmask_b32 v162, v162, v179 :: v_dual_cndmask_b32 v161, v161, v178
	v_dual_cndmask_b32 v160, v160, v177 :: v_dual_cndmask_b32 v163, v163, v180
	v_cndmask_b32_e64 v168, v168, s6, vcc_lo
	s_add_i32 s6, s6, 1
	s_cmp_lg_u32 s5, s6
	s_cbranch_scc1 .LBB78_589
.LBB78_590:
	s_set_inst_prefetch_distance 0x2
	s_waitcnt lgkmcnt(0)
	v_cmp_eq_f64_e32 vcc_lo, 0, v[160:161]
	v_cmp_eq_f64_e64 s2, 0, v[162:163]
	s_delay_alu instid0(VALU_DEP_1) | instskip(NEXT) | instid1(SALU_CYCLE_1)
	s_and_b32 s2, vcc_lo, s2
	s_and_saveexec_b32 s3, s2
	s_delay_alu instid0(SALU_CYCLE_1)
	s_xor_b32 s2, exec_lo, s3
; %bb.591:
	v_cmp_ne_u32_e32 vcc_lo, 0, v173
	v_cndmask_b32_e32 v173, 29, v173, vcc_lo
; %bb.592:
	s_and_not1_saveexec_b32 s3, s2
	s_cbranch_execz .LBB78_598
; %bb.593:
	v_cmp_gt_f64_e32 vcc_lo, 0, v[160:161]
	v_cmp_gt_f64_e64 s2, 0, v[162:163]
	v_xor_b32_e32 v169, 0x80000000, v161
	v_xor_b32_e32 v177, 0x80000000, v163
	s_delay_alu instid0(VALU_DEP_2) | instskip(NEXT) | instid1(VALU_DEP_2)
	v_cndmask_b32_e32 v178, v161, v169, vcc_lo
	v_cndmask_b32_e64 v180, v163, v177, s2
	v_cndmask_b32_e32 v177, v160, v160, vcc_lo
	v_cndmask_b32_e64 v179, v162, v162, s2
	s_mov_b32 s2, exec_lo
	s_delay_alu instid0(VALU_DEP_1)
	v_cmpx_ngt_f64_e32 v[177:178], v[179:180]
	s_xor_b32 s2, exec_lo, s2
	s_cbranch_execz .LBB78_595
; %bb.594:
	v_div_scale_f64 v[177:178], null, v[162:163], v[162:163], v[160:161]
	v_div_scale_f64 v[183:184], vcc_lo, v[160:161], v[162:163], v[160:161]
	s_delay_alu instid0(VALU_DEP_2) | instskip(SKIP_2) | instid1(VALU_DEP_1)
	v_rcp_f64_e32 v[179:180], v[177:178]
	s_waitcnt_depctr 0xfff
	v_fma_f64 v[181:182], -v[177:178], v[179:180], 1.0
	v_fma_f64 v[179:180], v[179:180], v[181:182], v[179:180]
	s_delay_alu instid0(VALU_DEP_1) | instskip(NEXT) | instid1(VALU_DEP_1)
	v_fma_f64 v[181:182], -v[177:178], v[179:180], 1.0
	v_fma_f64 v[179:180], v[179:180], v[181:182], v[179:180]
	s_delay_alu instid0(VALU_DEP_1) | instskip(NEXT) | instid1(VALU_DEP_1)
	v_mul_f64 v[181:182], v[183:184], v[179:180]
	v_fma_f64 v[177:178], -v[177:178], v[181:182], v[183:184]
	s_delay_alu instid0(VALU_DEP_1) | instskip(NEXT) | instid1(VALU_DEP_1)
	v_div_fmas_f64 v[177:178], v[177:178], v[179:180], v[181:182]
	v_div_fixup_f64 v[177:178], v[177:178], v[162:163], v[160:161]
	s_delay_alu instid0(VALU_DEP_1) | instskip(NEXT) | instid1(VALU_DEP_1)
	v_fma_f64 v[160:161], v[160:161], v[177:178], v[162:163]
	v_div_scale_f64 v[162:163], null, v[160:161], v[160:161], 1.0
	s_delay_alu instid0(VALU_DEP_1) | instskip(SKIP_2) | instid1(VALU_DEP_1)
	v_rcp_f64_e32 v[179:180], v[162:163]
	s_waitcnt_depctr 0xfff
	v_fma_f64 v[181:182], -v[162:163], v[179:180], 1.0
	v_fma_f64 v[179:180], v[179:180], v[181:182], v[179:180]
	s_delay_alu instid0(VALU_DEP_1) | instskip(NEXT) | instid1(VALU_DEP_1)
	v_fma_f64 v[181:182], -v[162:163], v[179:180], 1.0
	v_fma_f64 v[179:180], v[179:180], v[181:182], v[179:180]
	v_div_scale_f64 v[181:182], vcc_lo, 1.0, v[160:161], 1.0
	s_delay_alu instid0(VALU_DEP_1) | instskip(NEXT) | instid1(VALU_DEP_1)
	v_mul_f64 v[183:184], v[181:182], v[179:180]
	v_fma_f64 v[162:163], -v[162:163], v[183:184], v[181:182]
	s_delay_alu instid0(VALU_DEP_1) | instskip(NEXT) | instid1(VALU_DEP_1)
	v_div_fmas_f64 v[162:163], v[162:163], v[179:180], v[183:184]
	v_div_fixup_f64 v[162:163], v[162:163], v[160:161], 1.0
	s_delay_alu instid0(VALU_DEP_1)
	v_mul_f64 v[160:161], v[177:178], v[162:163]
	v_xor_b32_e32 v163, 0x80000000, v163
.LBB78_595:
	s_and_not1_saveexec_b32 s2, s2
	s_cbranch_execz .LBB78_597
; %bb.596:
	s_delay_alu instid0(VALU_DEP_1) | instskip(SKIP_1) | instid1(VALU_DEP_2)
	v_div_scale_f64 v[177:178], null, v[160:161], v[160:161], v[162:163]
	v_div_scale_f64 v[183:184], vcc_lo, v[162:163], v[160:161], v[162:163]
	v_rcp_f64_e32 v[179:180], v[177:178]
	s_waitcnt_depctr 0xfff
	v_fma_f64 v[181:182], -v[177:178], v[179:180], 1.0
	s_delay_alu instid0(VALU_DEP_1) | instskip(NEXT) | instid1(VALU_DEP_1)
	v_fma_f64 v[179:180], v[179:180], v[181:182], v[179:180]
	v_fma_f64 v[181:182], -v[177:178], v[179:180], 1.0
	s_delay_alu instid0(VALU_DEP_1) | instskip(NEXT) | instid1(VALU_DEP_1)
	v_fma_f64 v[179:180], v[179:180], v[181:182], v[179:180]
	v_mul_f64 v[181:182], v[183:184], v[179:180]
	s_delay_alu instid0(VALU_DEP_1) | instskip(NEXT) | instid1(VALU_DEP_1)
	v_fma_f64 v[177:178], -v[177:178], v[181:182], v[183:184]
	v_div_fmas_f64 v[177:178], v[177:178], v[179:180], v[181:182]
	s_delay_alu instid0(VALU_DEP_1) | instskip(NEXT) | instid1(VALU_DEP_1)
	v_div_fixup_f64 v[177:178], v[177:178], v[160:161], v[162:163]
	v_fma_f64 v[160:161], v[162:163], v[177:178], v[160:161]
	s_delay_alu instid0(VALU_DEP_1) | instskip(NEXT) | instid1(VALU_DEP_1)
	v_div_scale_f64 v[162:163], null, v[160:161], v[160:161], 1.0
	v_rcp_f64_e32 v[179:180], v[162:163]
	s_waitcnt_depctr 0xfff
	v_fma_f64 v[181:182], -v[162:163], v[179:180], 1.0
	s_delay_alu instid0(VALU_DEP_1) | instskip(NEXT) | instid1(VALU_DEP_1)
	v_fma_f64 v[179:180], v[179:180], v[181:182], v[179:180]
	v_fma_f64 v[181:182], -v[162:163], v[179:180], 1.0
	s_delay_alu instid0(VALU_DEP_1) | instskip(SKIP_1) | instid1(VALU_DEP_1)
	v_fma_f64 v[179:180], v[179:180], v[181:182], v[179:180]
	v_div_scale_f64 v[181:182], vcc_lo, 1.0, v[160:161], 1.0
	v_mul_f64 v[183:184], v[181:182], v[179:180]
	s_delay_alu instid0(VALU_DEP_1) | instskip(NEXT) | instid1(VALU_DEP_1)
	v_fma_f64 v[162:163], -v[162:163], v[183:184], v[181:182]
	v_div_fmas_f64 v[162:163], v[162:163], v[179:180], v[183:184]
	s_delay_alu instid0(VALU_DEP_1) | instskip(NEXT) | instid1(VALU_DEP_1)
	v_div_fixup_f64 v[160:161], v[162:163], v[160:161], 1.0
	v_mul_f64 v[162:163], v[177:178], -v[160:161]
.LBB78_597:
	s_or_b32 exec_lo, exec_lo, s2
.LBB78_598:
	s_delay_alu instid0(SALU_CYCLE_1) | instskip(NEXT) | instid1(SALU_CYCLE_1)
	s_or_b32 exec_lo, exec_lo, s3
	s_mov_b32 s2, exec_lo
	v_cmpx_ne_u32_e64 v176, v168
	s_xor_b32 s2, exec_lo, s2
	s_cbranch_execz .LBB78_604
; %bb.599:
	s_mov_b32 s3, exec_lo
	v_cmpx_eq_u32_e32 28, v176
	s_cbranch_execz .LBB78_603
; %bb.600:
	v_cmp_ne_u32_e32 vcc_lo, 28, v168
	s_xor_b32 s6, s4, -1
	s_delay_alu instid0(SALU_CYCLE_1) | instskip(NEXT) | instid1(SALU_CYCLE_1)
	s_and_b32 s7, s6, vcc_lo
	s_and_saveexec_b32 s6, s7
	s_cbranch_execz .LBB78_602
; %bb.601:
	v_ashrrev_i32_e32 v169, 31, v168
	s_delay_alu instid0(VALU_DEP_1) | instskip(NEXT) | instid1(VALU_DEP_1)
	v_lshlrev_b64 v[175:176], 2, v[168:169]
	v_add_co_u32 v175, vcc_lo, v166, v175
	s_delay_alu instid0(VALU_DEP_2)
	v_add_co_ci_u32_e32 v176, vcc_lo, v167, v176, vcc_lo
	s_clause 0x1
	flat_load_b32 v169, v[175:176]
	flat_load_b32 v177, v[166:167] offset:112
	s_waitcnt vmcnt(1) lgkmcnt(1)
	flat_store_b32 v[166:167], v169 offset:112
	s_waitcnt vmcnt(0) lgkmcnt(1)
	flat_store_b32 v[175:176], v177
.LBB78_602:
	s_or_b32 exec_lo, exec_lo, s6
	v_mov_b32_e32 v176, v168
	v_mov_b32_e32 v175, v168
.LBB78_603:
	s_or_b32 exec_lo, exec_lo, s3
.LBB78_604:
	s_and_not1_saveexec_b32 s2, s2
	s_cbranch_execz .LBB78_606
; %bb.605:
	v_mov_b32_e32 v176, 28
	ds_store_2addr_b64 v170, v[40:41], v[42:43] offset0:58 offset1:59
	ds_store_2addr_b64 v170, v[36:37], v[38:39] offset0:60 offset1:61
	;; [unrolled: 1-line block ×11, first 2 shown]
.LBB78_606:
	s_or_b32 exec_lo, exec_lo, s2
	s_delay_alu instid0(SALU_CYCLE_1)
	s_mov_b32 s2, exec_lo
	s_waitcnt lgkmcnt(0)
	s_waitcnt_vscnt null, 0x0
	s_barrier
	buffer_gl0_inv
	v_cmpx_lt_i32_e32 28, v176
	s_cbranch_execz .LBB78_608
; %bb.607:
	v_mul_f64 v[168:169], v[160:161], v[46:47]
	v_mul_f64 v[46:47], v[162:163], v[46:47]
	s_delay_alu instid0(VALU_DEP_2) | instskip(NEXT) | instid1(VALU_DEP_2)
	v_fma_f64 v[168:169], v[162:163], v[44:45], v[168:169]
	v_fma_f64 v[44:45], v[160:161], v[44:45], -v[46:47]
	ds_load_2addr_b64 v[160:163], v170 offset0:58 offset1:59
	s_waitcnt lgkmcnt(0)
	v_mul_f64 v[46:47], v[162:163], v[168:169]
	s_delay_alu instid0(VALU_DEP_1) | instskip(SKIP_1) | instid1(VALU_DEP_2)
	v_fma_f64 v[46:47], v[160:161], v[44:45], -v[46:47]
	v_mul_f64 v[160:161], v[160:161], v[168:169]
	v_add_f64 v[40:41], v[40:41], -v[46:47]
	s_delay_alu instid0(VALU_DEP_2) | instskip(NEXT) | instid1(VALU_DEP_1)
	v_fma_f64 v[160:161], v[162:163], v[44:45], v[160:161]
	v_add_f64 v[42:43], v[42:43], -v[160:161]
	ds_load_2addr_b64 v[160:163], v170 offset0:60 offset1:61
	s_waitcnt lgkmcnt(0)
	v_mul_f64 v[46:47], v[162:163], v[168:169]
	s_delay_alu instid0(VALU_DEP_1) | instskip(SKIP_1) | instid1(VALU_DEP_2)
	v_fma_f64 v[46:47], v[160:161], v[44:45], -v[46:47]
	v_mul_f64 v[160:161], v[160:161], v[168:169]
	v_add_f64 v[36:37], v[36:37], -v[46:47]
	s_delay_alu instid0(VALU_DEP_2) | instskip(NEXT) | instid1(VALU_DEP_1)
	v_fma_f64 v[160:161], v[162:163], v[44:45], v[160:161]
	v_add_f64 v[38:39], v[38:39], -v[160:161]
	ds_load_2addr_b64 v[160:163], v170 offset0:62 offset1:63
	s_waitcnt lgkmcnt(0)
	v_mul_f64 v[46:47], v[162:163], v[168:169]
	s_delay_alu instid0(VALU_DEP_1) | instskip(SKIP_1) | instid1(VALU_DEP_2)
	v_fma_f64 v[46:47], v[160:161], v[44:45], -v[46:47]
	v_mul_f64 v[160:161], v[160:161], v[168:169]
	v_add_f64 v[32:33], v[32:33], -v[46:47]
	s_delay_alu instid0(VALU_DEP_2) | instskip(NEXT) | instid1(VALU_DEP_1)
	v_fma_f64 v[160:161], v[162:163], v[44:45], v[160:161]
	v_add_f64 v[34:35], v[34:35], -v[160:161]
	ds_load_2addr_b64 v[160:163], v170 offset0:64 offset1:65
	s_waitcnt lgkmcnt(0)
	v_mul_f64 v[46:47], v[162:163], v[168:169]
	s_delay_alu instid0(VALU_DEP_1) | instskip(SKIP_1) | instid1(VALU_DEP_2)
	v_fma_f64 v[46:47], v[160:161], v[44:45], -v[46:47]
	v_mul_f64 v[160:161], v[160:161], v[168:169]
	v_add_f64 v[28:29], v[28:29], -v[46:47]
	s_delay_alu instid0(VALU_DEP_2) | instskip(NEXT) | instid1(VALU_DEP_1)
	v_fma_f64 v[160:161], v[162:163], v[44:45], v[160:161]
	v_add_f64 v[30:31], v[30:31], -v[160:161]
	ds_load_2addr_b64 v[160:163], v170 offset0:66 offset1:67
	s_waitcnt lgkmcnt(0)
	v_mul_f64 v[46:47], v[162:163], v[168:169]
	s_delay_alu instid0(VALU_DEP_1) | instskip(SKIP_1) | instid1(VALU_DEP_2)
	v_fma_f64 v[46:47], v[160:161], v[44:45], -v[46:47]
	v_mul_f64 v[160:161], v[160:161], v[168:169]
	v_add_f64 v[24:25], v[24:25], -v[46:47]
	s_delay_alu instid0(VALU_DEP_2) | instskip(NEXT) | instid1(VALU_DEP_1)
	v_fma_f64 v[160:161], v[162:163], v[44:45], v[160:161]
	v_add_f64 v[26:27], v[26:27], -v[160:161]
	ds_load_2addr_b64 v[160:163], v170 offset0:68 offset1:69
	s_waitcnt lgkmcnt(0)
	v_mul_f64 v[46:47], v[162:163], v[168:169]
	s_delay_alu instid0(VALU_DEP_1) | instskip(SKIP_1) | instid1(VALU_DEP_2)
	v_fma_f64 v[46:47], v[160:161], v[44:45], -v[46:47]
	v_mul_f64 v[160:161], v[160:161], v[168:169]
	v_add_f64 v[20:21], v[20:21], -v[46:47]
	s_delay_alu instid0(VALU_DEP_2) | instskip(NEXT) | instid1(VALU_DEP_1)
	v_fma_f64 v[160:161], v[162:163], v[44:45], v[160:161]
	v_add_f64 v[22:23], v[22:23], -v[160:161]
	ds_load_2addr_b64 v[160:163], v170 offset0:70 offset1:71
	s_waitcnt lgkmcnt(0)
	v_mul_f64 v[46:47], v[162:163], v[168:169]
	s_delay_alu instid0(VALU_DEP_1) | instskip(SKIP_1) | instid1(VALU_DEP_2)
	v_fma_f64 v[46:47], v[160:161], v[44:45], -v[46:47]
	v_mul_f64 v[160:161], v[160:161], v[168:169]
	v_add_f64 v[16:17], v[16:17], -v[46:47]
	s_delay_alu instid0(VALU_DEP_2) | instskip(NEXT) | instid1(VALU_DEP_1)
	v_fma_f64 v[160:161], v[162:163], v[44:45], v[160:161]
	v_add_f64 v[18:19], v[18:19], -v[160:161]
	ds_load_2addr_b64 v[160:163], v170 offset0:72 offset1:73
	s_waitcnt lgkmcnt(0)
	v_mul_f64 v[46:47], v[162:163], v[168:169]
	s_delay_alu instid0(VALU_DEP_1) | instskip(SKIP_1) | instid1(VALU_DEP_2)
	v_fma_f64 v[46:47], v[160:161], v[44:45], -v[46:47]
	v_mul_f64 v[160:161], v[160:161], v[168:169]
	v_add_f64 v[12:13], v[12:13], -v[46:47]
	s_delay_alu instid0(VALU_DEP_2) | instskip(NEXT) | instid1(VALU_DEP_1)
	v_fma_f64 v[160:161], v[162:163], v[44:45], v[160:161]
	v_add_f64 v[14:15], v[14:15], -v[160:161]
	ds_load_2addr_b64 v[160:163], v170 offset0:74 offset1:75
	s_waitcnt lgkmcnt(0)
	v_mul_f64 v[46:47], v[162:163], v[168:169]
	s_delay_alu instid0(VALU_DEP_1) | instskip(SKIP_1) | instid1(VALU_DEP_2)
	v_fma_f64 v[46:47], v[160:161], v[44:45], -v[46:47]
	v_mul_f64 v[160:161], v[160:161], v[168:169]
	v_add_f64 v[8:9], v[8:9], -v[46:47]
	s_delay_alu instid0(VALU_DEP_2) | instskip(NEXT) | instid1(VALU_DEP_1)
	v_fma_f64 v[160:161], v[162:163], v[44:45], v[160:161]
	v_add_f64 v[10:11], v[10:11], -v[160:161]
	ds_load_2addr_b64 v[160:163], v170 offset0:76 offset1:77
	s_waitcnt lgkmcnt(0)
	v_mul_f64 v[46:47], v[162:163], v[168:169]
	s_delay_alu instid0(VALU_DEP_1) | instskip(SKIP_1) | instid1(VALU_DEP_2)
	v_fma_f64 v[46:47], v[160:161], v[44:45], -v[46:47]
	v_mul_f64 v[160:161], v[160:161], v[168:169]
	v_add_f64 v[4:5], v[4:5], -v[46:47]
	s_delay_alu instid0(VALU_DEP_2) | instskip(NEXT) | instid1(VALU_DEP_1)
	v_fma_f64 v[160:161], v[162:163], v[44:45], v[160:161]
	v_add_f64 v[6:7], v[6:7], -v[160:161]
	ds_load_2addr_b64 v[160:163], v170 offset0:78 offset1:79
	s_waitcnt lgkmcnt(0)
	v_mul_f64 v[46:47], v[162:163], v[168:169]
	s_delay_alu instid0(VALU_DEP_1) | instskip(SKIP_1) | instid1(VALU_DEP_2)
	v_fma_f64 v[46:47], v[160:161], v[44:45], -v[46:47]
	v_mul_f64 v[160:161], v[160:161], v[168:169]
	v_add_f64 v[0:1], v[0:1], -v[46:47]
	s_delay_alu instid0(VALU_DEP_2) | instskip(SKIP_1) | instid1(VALU_DEP_2)
	v_fma_f64 v[160:161], v[162:163], v[44:45], v[160:161]
	v_dual_mov_b32 v46, v168 :: v_dual_mov_b32 v47, v169
	v_add_f64 v[2:3], v[2:3], -v[160:161]
.LBB78_608:
	s_or_b32 exec_lo, exec_lo, s2
	v_lshl_add_u32 v160, v176, 4, v170
	s_barrier
	buffer_gl0_inv
	v_mov_b32_e32 v168, 29
	ds_store_2addr_b64 v160, v[40:41], v[42:43] offset1:1
	s_waitcnt lgkmcnt(0)
	s_barrier
	buffer_gl0_inv
	ds_load_2addr_b64 v[160:163], v170 offset0:58 offset1:59
	s_cmp_lt_i32 s5, 31
	s_cbranch_scc1 .LBB78_611
; %bb.609:
	v_add3_u32 v169, v174, 0, 0x1e0
	v_mov_b32_e32 v168, 29
	s_mov_b32 s6, 30
	s_set_inst_prefetch_distance 0x1
	.p2align	6
.LBB78_610:                             ; =>This Inner Loop Header: Depth=1
	ds_load_2addr_b64 v[177:180], v169 offset1:1
	s_waitcnt lgkmcnt(1)
	v_cmp_gt_f64_e32 vcc_lo, 0, v[160:161]
	v_xor_b32_e32 v181, 0x80000000, v161
	v_cmp_gt_f64_e64 s2, 0, v[162:163]
	v_xor_b32_e32 v183, 0x80000000, v163
	v_add_nc_u32_e32 v169, 16, v169
	s_waitcnt lgkmcnt(0)
	v_cmp_gt_f64_e64 s3, 0, v[177:178]
	v_mov_b32_e32 v185, v177
	v_dual_mov_b32 v187, v179 :: v_dual_cndmask_b32 v182, v161, v181
	v_xor_b32_e32 v181, 0x80000000, v178
	v_cndmask_b32_e64 v184, v163, v183, s2
	v_xor_b32_e32 v183, 0x80000000, v180
	s_delay_alu instid0(VALU_DEP_3) | instskip(SKIP_2) | instid1(VALU_DEP_2)
	v_cndmask_b32_e64 v186, v178, v181, s3
	v_cmp_gt_f64_e64 s3, 0, v[179:180]
	v_cndmask_b32_e32 v181, v160, v160, vcc_lo
	v_cndmask_b32_e64 v188, v180, v183, s3
	v_cndmask_b32_e64 v183, v162, v162, s2
	s_delay_alu instid0(VALU_DEP_2) | instskip(NEXT) | instid1(VALU_DEP_2)
	v_add_f64 v[185:186], v[185:186], v[187:188]
	v_add_f64 v[181:182], v[181:182], v[183:184]
	s_delay_alu instid0(VALU_DEP_1) | instskip(SKIP_4) | instid1(SALU_CYCLE_1)
	v_cmp_lt_f64_e32 vcc_lo, v[181:182], v[185:186]
	v_dual_cndmask_b32 v162, v162, v179 :: v_dual_cndmask_b32 v161, v161, v178
	v_dual_cndmask_b32 v160, v160, v177 :: v_dual_cndmask_b32 v163, v163, v180
	v_cndmask_b32_e64 v168, v168, s6, vcc_lo
	s_add_i32 s6, s6, 1
	s_cmp_lg_u32 s5, s6
	s_cbranch_scc1 .LBB78_610
.LBB78_611:
	s_set_inst_prefetch_distance 0x2
	s_waitcnt lgkmcnt(0)
	v_cmp_eq_f64_e32 vcc_lo, 0, v[160:161]
	v_cmp_eq_f64_e64 s2, 0, v[162:163]
	s_delay_alu instid0(VALU_DEP_1) | instskip(NEXT) | instid1(SALU_CYCLE_1)
	s_and_b32 s2, vcc_lo, s2
	s_and_saveexec_b32 s3, s2
	s_delay_alu instid0(SALU_CYCLE_1)
	s_xor_b32 s2, exec_lo, s3
; %bb.612:
	v_cmp_ne_u32_e32 vcc_lo, 0, v173
	v_cndmask_b32_e32 v173, 30, v173, vcc_lo
; %bb.613:
	s_and_not1_saveexec_b32 s3, s2
	s_cbranch_execz .LBB78_619
; %bb.614:
	v_cmp_gt_f64_e32 vcc_lo, 0, v[160:161]
	v_cmp_gt_f64_e64 s2, 0, v[162:163]
	v_xor_b32_e32 v169, 0x80000000, v161
	v_xor_b32_e32 v177, 0x80000000, v163
	s_delay_alu instid0(VALU_DEP_2) | instskip(NEXT) | instid1(VALU_DEP_2)
	v_cndmask_b32_e32 v178, v161, v169, vcc_lo
	v_cndmask_b32_e64 v180, v163, v177, s2
	v_cndmask_b32_e32 v177, v160, v160, vcc_lo
	v_cndmask_b32_e64 v179, v162, v162, s2
	s_mov_b32 s2, exec_lo
	s_delay_alu instid0(VALU_DEP_1)
	v_cmpx_ngt_f64_e32 v[177:178], v[179:180]
	s_xor_b32 s2, exec_lo, s2
	s_cbranch_execz .LBB78_616
; %bb.615:
	v_div_scale_f64 v[177:178], null, v[162:163], v[162:163], v[160:161]
	v_div_scale_f64 v[183:184], vcc_lo, v[160:161], v[162:163], v[160:161]
	s_delay_alu instid0(VALU_DEP_2) | instskip(SKIP_2) | instid1(VALU_DEP_1)
	v_rcp_f64_e32 v[179:180], v[177:178]
	s_waitcnt_depctr 0xfff
	v_fma_f64 v[181:182], -v[177:178], v[179:180], 1.0
	v_fma_f64 v[179:180], v[179:180], v[181:182], v[179:180]
	s_delay_alu instid0(VALU_DEP_1) | instskip(NEXT) | instid1(VALU_DEP_1)
	v_fma_f64 v[181:182], -v[177:178], v[179:180], 1.0
	v_fma_f64 v[179:180], v[179:180], v[181:182], v[179:180]
	s_delay_alu instid0(VALU_DEP_1) | instskip(NEXT) | instid1(VALU_DEP_1)
	v_mul_f64 v[181:182], v[183:184], v[179:180]
	v_fma_f64 v[177:178], -v[177:178], v[181:182], v[183:184]
	s_delay_alu instid0(VALU_DEP_1) | instskip(NEXT) | instid1(VALU_DEP_1)
	v_div_fmas_f64 v[177:178], v[177:178], v[179:180], v[181:182]
	v_div_fixup_f64 v[177:178], v[177:178], v[162:163], v[160:161]
	s_delay_alu instid0(VALU_DEP_1) | instskip(NEXT) | instid1(VALU_DEP_1)
	v_fma_f64 v[160:161], v[160:161], v[177:178], v[162:163]
	v_div_scale_f64 v[162:163], null, v[160:161], v[160:161], 1.0
	s_delay_alu instid0(VALU_DEP_1) | instskip(SKIP_2) | instid1(VALU_DEP_1)
	v_rcp_f64_e32 v[179:180], v[162:163]
	s_waitcnt_depctr 0xfff
	v_fma_f64 v[181:182], -v[162:163], v[179:180], 1.0
	v_fma_f64 v[179:180], v[179:180], v[181:182], v[179:180]
	s_delay_alu instid0(VALU_DEP_1) | instskip(NEXT) | instid1(VALU_DEP_1)
	v_fma_f64 v[181:182], -v[162:163], v[179:180], 1.0
	v_fma_f64 v[179:180], v[179:180], v[181:182], v[179:180]
	v_div_scale_f64 v[181:182], vcc_lo, 1.0, v[160:161], 1.0
	s_delay_alu instid0(VALU_DEP_1) | instskip(NEXT) | instid1(VALU_DEP_1)
	v_mul_f64 v[183:184], v[181:182], v[179:180]
	v_fma_f64 v[162:163], -v[162:163], v[183:184], v[181:182]
	s_delay_alu instid0(VALU_DEP_1) | instskip(NEXT) | instid1(VALU_DEP_1)
	v_div_fmas_f64 v[162:163], v[162:163], v[179:180], v[183:184]
	v_div_fixup_f64 v[162:163], v[162:163], v[160:161], 1.0
	s_delay_alu instid0(VALU_DEP_1)
	v_mul_f64 v[160:161], v[177:178], v[162:163]
	v_xor_b32_e32 v163, 0x80000000, v163
.LBB78_616:
	s_and_not1_saveexec_b32 s2, s2
	s_cbranch_execz .LBB78_618
; %bb.617:
	s_delay_alu instid0(VALU_DEP_1) | instskip(SKIP_1) | instid1(VALU_DEP_2)
	v_div_scale_f64 v[177:178], null, v[160:161], v[160:161], v[162:163]
	v_div_scale_f64 v[183:184], vcc_lo, v[162:163], v[160:161], v[162:163]
	v_rcp_f64_e32 v[179:180], v[177:178]
	s_waitcnt_depctr 0xfff
	v_fma_f64 v[181:182], -v[177:178], v[179:180], 1.0
	s_delay_alu instid0(VALU_DEP_1) | instskip(NEXT) | instid1(VALU_DEP_1)
	v_fma_f64 v[179:180], v[179:180], v[181:182], v[179:180]
	v_fma_f64 v[181:182], -v[177:178], v[179:180], 1.0
	s_delay_alu instid0(VALU_DEP_1) | instskip(NEXT) | instid1(VALU_DEP_1)
	v_fma_f64 v[179:180], v[179:180], v[181:182], v[179:180]
	v_mul_f64 v[181:182], v[183:184], v[179:180]
	s_delay_alu instid0(VALU_DEP_1) | instskip(NEXT) | instid1(VALU_DEP_1)
	v_fma_f64 v[177:178], -v[177:178], v[181:182], v[183:184]
	v_div_fmas_f64 v[177:178], v[177:178], v[179:180], v[181:182]
	s_delay_alu instid0(VALU_DEP_1) | instskip(NEXT) | instid1(VALU_DEP_1)
	v_div_fixup_f64 v[177:178], v[177:178], v[160:161], v[162:163]
	v_fma_f64 v[160:161], v[162:163], v[177:178], v[160:161]
	s_delay_alu instid0(VALU_DEP_1) | instskip(NEXT) | instid1(VALU_DEP_1)
	v_div_scale_f64 v[162:163], null, v[160:161], v[160:161], 1.0
	v_rcp_f64_e32 v[179:180], v[162:163]
	s_waitcnt_depctr 0xfff
	v_fma_f64 v[181:182], -v[162:163], v[179:180], 1.0
	s_delay_alu instid0(VALU_DEP_1) | instskip(NEXT) | instid1(VALU_DEP_1)
	v_fma_f64 v[179:180], v[179:180], v[181:182], v[179:180]
	v_fma_f64 v[181:182], -v[162:163], v[179:180], 1.0
	s_delay_alu instid0(VALU_DEP_1) | instskip(SKIP_1) | instid1(VALU_DEP_1)
	v_fma_f64 v[179:180], v[179:180], v[181:182], v[179:180]
	v_div_scale_f64 v[181:182], vcc_lo, 1.0, v[160:161], 1.0
	v_mul_f64 v[183:184], v[181:182], v[179:180]
	s_delay_alu instid0(VALU_DEP_1) | instskip(NEXT) | instid1(VALU_DEP_1)
	v_fma_f64 v[162:163], -v[162:163], v[183:184], v[181:182]
	v_div_fmas_f64 v[162:163], v[162:163], v[179:180], v[183:184]
	s_delay_alu instid0(VALU_DEP_1) | instskip(NEXT) | instid1(VALU_DEP_1)
	v_div_fixup_f64 v[160:161], v[162:163], v[160:161], 1.0
	v_mul_f64 v[162:163], v[177:178], -v[160:161]
.LBB78_618:
	s_or_b32 exec_lo, exec_lo, s2
.LBB78_619:
	s_delay_alu instid0(SALU_CYCLE_1) | instskip(NEXT) | instid1(SALU_CYCLE_1)
	s_or_b32 exec_lo, exec_lo, s3
	s_mov_b32 s2, exec_lo
	v_cmpx_ne_u32_e64 v176, v168
	s_xor_b32 s2, exec_lo, s2
	s_cbranch_execz .LBB78_625
; %bb.620:
	s_mov_b32 s3, exec_lo
	v_cmpx_eq_u32_e32 29, v176
	s_cbranch_execz .LBB78_624
; %bb.621:
	v_cmp_ne_u32_e32 vcc_lo, 29, v168
	s_xor_b32 s6, s4, -1
	s_delay_alu instid0(SALU_CYCLE_1) | instskip(NEXT) | instid1(SALU_CYCLE_1)
	s_and_b32 s7, s6, vcc_lo
	s_and_saveexec_b32 s6, s7
	s_cbranch_execz .LBB78_623
; %bb.622:
	v_ashrrev_i32_e32 v169, 31, v168
	s_delay_alu instid0(VALU_DEP_1) | instskip(NEXT) | instid1(VALU_DEP_1)
	v_lshlrev_b64 v[175:176], 2, v[168:169]
	v_add_co_u32 v175, vcc_lo, v166, v175
	s_delay_alu instid0(VALU_DEP_2)
	v_add_co_ci_u32_e32 v176, vcc_lo, v167, v176, vcc_lo
	s_clause 0x1
	flat_load_b32 v169, v[175:176]
	flat_load_b32 v177, v[166:167] offset:116
	s_waitcnt vmcnt(1) lgkmcnt(1)
	flat_store_b32 v[166:167], v169 offset:116
	s_waitcnt vmcnt(0) lgkmcnt(1)
	flat_store_b32 v[175:176], v177
.LBB78_623:
	s_or_b32 exec_lo, exec_lo, s6
	v_mov_b32_e32 v176, v168
	v_mov_b32_e32 v175, v168
.LBB78_624:
	s_or_b32 exec_lo, exec_lo, s3
.LBB78_625:
	s_and_not1_saveexec_b32 s2, s2
	s_cbranch_execz .LBB78_627
; %bb.626:
	v_mov_b32_e32 v176, 29
	ds_store_2addr_b64 v170, v[36:37], v[38:39] offset0:60 offset1:61
	ds_store_2addr_b64 v170, v[32:33], v[34:35] offset0:62 offset1:63
	;; [unrolled: 1-line block ×10, first 2 shown]
.LBB78_627:
	s_or_b32 exec_lo, exec_lo, s2
	s_delay_alu instid0(SALU_CYCLE_1)
	s_mov_b32 s2, exec_lo
	s_waitcnt lgkmcnt(0)
	s_waitcnt_vscnt null, 0x0
	s_barrier
	buffer_gl0_inv
	v_cmpx_lt_i32_e32 29, v176
	s_cbranch_execz .LBB78_629
; %bb.628:
	v_mul_f64 v[168:169], v[160:161], v[42:43]
	v_mul_f64 v[42:43], v[162:163], v[42:43]
	ds_load_2addr_b64 v[177:180], v170 offset0:60 offset1:61
	ds_load_2addr_b64 v[181:184], v170 offset0:62 offset1:63
	;; [unrolled: 1-line block ×10, first 2 shown]
	v_fma_f64 v[162:163], v[162:163], v[40:41], v[168:169]
	v_fma_f64 v[40:41], v[160:161], v[40:41], -v[42:43]
	s_waitcnt lgkmcnt(9)
	s_delay_alu instid0(VALU_DEP_2)
	v_mul_f64 v[42:43], v[179:180], v[162:163]
	v_mul_f64 v[160:161], v[177:178], v[162:163]
	s_waitcnt lgkmcnt(8)
	v_mul_f64 v[168:169], v[183:184], v[162:163]
	v_mul_f64 v[217:218], v[181:182], v[162:163]
	s_waitcnt lgkmcnt(7)
	;; [unrolled: 3-line block ×9, first 2 shown]
	v_mul_f64 v[247:248], v[215:216], v[162:163]
	v_mul_f64 v[249:250], v[213:214], v[162:163]
	v_fma_f64 v[42:43], v[177:178], v[40:41], -v[42:43]
	v_fma_f64 v[160:161], v[179:180], v[40:41], v[160:161]
	v_fma_f64 v[168:169], v[181:182], v[40:41], -v[168:169]
	v_fma_f64 v[177:178], v[183:184], v[40:41], v[217:218]
	;; [unrolled: 2-line block ×10, first 2 shown]
	v_add_f64 v[36:37], v[36:37], -v[42:43]
	v_add_f64 v[38:39], v[38:39], -v[160:161]
	;; [unrolled: 1-line block ×20, first 2 shown]
	v_dual_mov_b32 v42, v162 :: v_dual_mov_b32 v43, v163
.LBB78_629:
	s_or_b32 exec_lo, exec_lo, s2
	v_lshl_add_u32 v160, v176, 4, v170
	s_barrier
	buffer_gl0_inv
	v_mov_b32_e32 v168, 30
	ds_store_2addr_b64 v160, v[36:37], v[38:39] offset1:1
	s_waitcnt lgkmcnt(0)
	s_barrier
	buffer_gl0_inv
	ds_load_2addr_b64 v[160:163], v170 offset0:60 offset1:61
	s_cmp_lt_i32 s5, 32
	s_cbranch_scc1 .LBB78_632
; %bb.630:
	v_add3_u32 v169, v174, 0, 0x1f0
	v_mov_b32_e32 v168, 30
	s_mov_b32 s6, 31
	s_set_inst_prefetch_distance 0x1
	.p2align	6
.LBB78_631:                             ; =>This Inner Loop Header: Depth=1
	ds_load_2addr_b64 v[177:180], v169 offset1:1
	s_waitcnt lgkmcnt(1)
	v_cmp_gt_f64_e32 vcc_lo, 0, v[160:161]
	v_xor_b32_e32 v181, 0x80000000, v161
	v_cmp_gt_f64_e64 s2, 0, v[162:163]
	v_xor_b32_e32 v183, 0x80000000, v163
	v_add_nc_u32_e32 v169, 16, v169
	s_waitcnt lgkmcnt(0)
	v_cmp_gt_f64_e64 s3, 0, v[177:178]
	v_mov_b32_e32 v185, v177
	v_dual_mov_b32 v187, v179 :: v_dual_cndmask_b32 v182, v161, v181
	v_xor_b32_e32 v181, 0x80000000, v178
	v_cndmask_b32_e64 v184, v163, v183, s2
	v_xor_b32_e32 v183, 0x80000000, v180
	s_delay_alu instid0(VALU_DEP_3) | instskip(SKIP_2) | instid1(VALU_DEP_2)
	v_cndmask_b32_e64 v186, v178, v181, s3
	v_cmp_gt_f64_e64 s3, 0, v[179:180]
	v_cndmask_b32_e32 v181, v160, v160, vcc_lo
	v_cndmask_b32_e64 v188, v180, v183, s3
	v_cndmask_b32_e64 v183, v162, v162, s2
	s_delay_alu instid0(VALU_DEP_2) | instskip(NEXT) | instid1(VALU_DEP_2)
	v_add_f64 v[185:186], v[185:186], v[187:188]
	v_add_f64 v[181:182], v[181:182], v[183:184]
	s_delay_alu instid0(VALU_DEP_1) | instskip(SKIP_4) | instid1(SALU_CYCLE_1)
	v_cmp_lt_f64_e32 vcc_lo, v[181:182], v[185:186]
	v_dual_cndmask_b32 v162, v162, v179 :: v_dual_cndmask_b32 v161, v161, v178
	v_dual_cndmask_b32 v160, v160, v177 :: v_dual_cndmask_b32 v163, v163, v180
	v_cndmask_b32_e64 v168, v168, s6, vcc_lo
	s_add_i32 s6, s6, 1
	s_cmp_lg_u32 s5, s6
	s_cbranch_scc1 .LBB78_631
.LBB78_632:
	s_set_inst_prefetch_distance 0x2
	s_waitcnt lgkmcnt(0)
	v_cmp_eq_f64_e32 vcc_lo, 0, v[160:161]
	v_cmp_eq_f64_e64 s2, 0, v[162:163]
	s_delay_alu instid0(VALU_DEP_1) | instskip(NEXT) | instid1(SALU_CYCLE_1)
	s_and_b32 s2, vcc_lo, s2
	s_and_saveexec_b32 s3, s2
	s_delay_alu instid0(SALU_CYCLE_1)
	s_xor_b32 s2, exec_lo, s3
; %bb.633:
	v_cmp_ne_u32_e32 vcc_lo, 0, v173
	v_cndmask_b32_e32 v173, 31, v173, vcc_lo
; %bb.634:
	s_and_not1_saveexec_b32 s3, s2
	s_cbranch_execz .LBB78_640
; %bb.635:
	v_cmp_gt_f64_e32 vcc_lo, 0, v[160:161]
	v_cmp_gt_f64_e64 s2, 0, v[162:163]
	v_xor_b32_e32 v169, 0x80000000, v161
	v_xor_b32_e32 v177, 0x80000000, v163
	s_delay_alu instid0(VALU_DEP_2) | instskip(NEXT) | instid1(VALU_DEP_2)
	v_cndmask_b32_e32 v178, v161, v169, vcc_lo
	v_cndmask_b32_e64 v180, v163, v177, s2
	v_cndmask_b32_e32 v177, v160, v160, vcc_lo
	v_cndmask_b32_e64 v179, v162, v162, s2
	s_mov_b32 s2, exec_lo
	s_delay_alu instid0(VALU_DEP_1)
	v_cmpx_ngt_f64_e32 v[177:178], v[179:180]
	s_xor_b32 s2, exec_lo, s2
	s_cbranch_execz .LBB78_637
; %bb.636:
	v_div_scale_f64 v[177:178], null, v[162:163], v[162:163], v[160:161]
	v_div_scale_f64 v[183:184], vcc_lo, v[160:161], v[162:163], v[160:161]
	s_delay_alu instid0(VALU_DEP_2) | instskip(SKIP_2) | instid1(VALU_DEP_1)
	v_rcp_f64_e32 v[179:180], v[177:178]
	s_waitcnt_depctr 0xfff
	v_fma_f64 v[181:182], -v[177:178], v[179:180], 1.0
	v_fma_f64 v[179:180], v[179:180], v[181:182], v[179:180]
	s_delay_alu instid0(VALU_DEP_1) | instskip(NEXT) | instid1(VALU_DEP_1)
	v_fma_f64 v[181:182], -v[177:178], v[179:180], 1.0
	v_fma_f64 v[179:180], v[179:180], v[181:182], v[179:180]
	s_delay_alu instid0(VALU_DEP_1) | instskip(NEXT) | instid1(VALU_DEP_1)
	v_mul_f64 v[181:182], v[183:184], v[179:180]
	v_fma_f64 v[177:178], -v[177:178], v[181:182], v[183:184]
	s_delay_alu instid0(VALU_DEP_1) | instskip(NEXT) | instid1(VALU_DEP_1)
	v_div_fmas_f64 v[177:178], v[177:178], v[179:180], v[181:182]
	v_div_fixup_f64 v[177:178], v[177:178], v[162:163], v[160:161]
	s_delay_alu instid0(VALU_DEP_1) | instskip(NEXT) | instid1(VALU_DEP_1)
	v_fma_f64 v[160:161], v[160:161], v[177:178], v[162:163]
	v_div_scale_f64 v[162:163], null, v[160:161], v[160:161], 1.0
	s_delay_alu instid0(VALU_DEP_1) | instskip(SKIP_2) | instid1(VALU_DEP_1)
	v_rcp_f64_e32 v[179:180], v[162:163]
	s_waitcnt_depctr 0xfff
	v_fma_f64 v[181:182], -v[162:163], v[179:180], 1.0
	v_fma_f64 v[179:180], v[179:180], v[181:182], v[179:180]
	s_delay_alu instid0(VALU_DEP_1) | instskip(NEXT) | instid1(VALU_DEP_1)
	v_fma_f64 v[181:182], -v[162:163], v[179:180], 1.0
	v_fma_f64 v[179:180], v[179:180], v[181:182], v[179:180]
	v_div_scale_f64 v[181:182], vcc_lo, 1.0, v[160:161], 1.0
	s_delay_alu instid0(VALU_DEP_1) | instskip(NEXT) | instid1(VALU_DEP_1)
	v_mul_f64 v[183:184], v[181:182], v[179:180]
	v_fma_f64 v[162:163], -v[162:163], v[183:184], v[181:182]
	s_delay_alu instid0(VALU_DEP_1) | instskip(NEXT) | instid1(VALU_DEP_1)
	v_div_fmas_f64 v[162:163], v[162:163], v[179:180], v[183:184]
	v_div_fixup_f64 v[162:163], v[162:163], v[160:161], 1.0
	s_delay_alu instid0(VALU_DEP_1)
	v_mul_f64 v[160:161], v[177:178], v[162:163]
	v_xor_b32_e32 v163, 0x80000000, v163
.LBB78_637:
	s_and_not1_saveexec_b32 s2, s2
	s_cbranch_execz .LBB78_639
; %bb.638:
	s_delay_alu instid0(VALU_DEP_1) | instskip(SKIP_1) | instid1(VALU_DEP_2)
	v_div_scale_f64 v[177:178], null, v[160:161], v[160:161], v[162:163]
	v_div_scale_f64 v[183:184], vcc_lo, v[162:163], v[160:161], v[162:163]
	v_rcp_f64_e32 v[179:180], v[177:178]
	s_waitcnt_depctr 0xfff
	v_fma_f64 v[181:182], -v[177:178], v[179:180], 1.0
	s_delay_alu instid0(VALU_DEP_1) | instskip(NEXT) | instid1(VALU_DEP_1)
	v_fma_f64 v[179:180], v[179:180], v[181:182], v[179:180]
	v_fma_f64 v[181:182], -v[177:178], v[179:180], 1.0
	s_delay_alu instid0(VALU_DEP_1) | instskip(NEXT) | instid1(VALU_DEP_1)
	v_fma_f64 v[179:180], v[179:180], v[181:182], v[179:180]
	v_mul_f64 v[181:182], v[183:184], v[179:180]
	s_delay_alu instid0(VALU_DEP_1) | instskip(NEXT) | instid1(VALU_DEP_1)
	v_fma_f64 v[177:178], -v[177:178], v[181:182], v[183:184]
	v_div_fmas_f64 v[177:178], v[177:178], v[179:180], v[181:182]
	s_delay_alu instid0(VALU_DEP_1) | instskip(NEXT) | instid1(VALU_DEP_1)
	v_div_fixup_f64 v[177:178], v[177:178], v[160:161], v[162:163]
	v_fma_f64 v[160:161], v[162:163], v[177:178], v[160:161]
	s_delay_alu instid0(VALU_DEP_1) | instskip(NEXT) | instid1(VALU_DEP_1)
	v_div_scale_f64 v[162:163], null, v[160:161], v[160:161], 1.0
	v_rcp_f64_e32 v[179:180], v[162:163]
	s_waitcnt_depctr 0xfff
	v_fma_f64 v[181:182], -v[162:163], v[179:180], 1.0
	s_delay_alu instid0(VALU_DEP_1) | instskip(NEXT) | instid1(VALU_DEP_1)
	v_fma_f64 v[179:180], v[179:180], v[181:182], v[179:180]
	v_fma_f64 v[181:182], -v[162:163], v[179:180], 1.0
	s_delay_alu instid0(VALU_DEP_1) | instskip(SKIP_1) | instid1(VALU_DEP_1)
	v_fma_f64 v[179:180], v[179:180], v[181:182], v[179:180]
	v_div_scale_f64 v[181:182], vcc_lo, 1.0, v[160:161], 1.0
	v_mul_f64 v[183:184], v[181:182], v[179:180]
	s_delay_alu instid0(VALU_DEP_1) | instskip(NEXT) | instid1(VALU_DEP_1)
	v_fma_f64 v[162:163], -v[162:163], v[183:184], v[181:182]
	v_div_fmas_f64 v[162:163], v[162:163], v[179:180], v[183:184]
	s_delay_alu instid0(VALU_DEP_1) | instskip(NEXT) | instid1(VALU_DEP_1)
	v_div_fixup_f64 v[160:161], v[162:163], v[160:161], 1.0
	v_mul_f64 v[162:163], v[177:178], -v[160:161]
.LBB78_639:
	s_or_b32 exec_lo, exec_lo, s2
.LBB78_640:
	s_delay_alu instid0(SALU_CYCLE_1) | instskip(NEXT) | instid1(SALU_CYCLE_1)
	s_or_b32 exec_lo, exec_lo, s3
	s_mov_b32 s2, exec_lo
	v_cmpx_ne_u32_e64 v176, v168
	s_xor_b32 s2, exec_lo, s2
	s_cbranch_execz .LBB78_646
; %bb.641:
	s_mov_b32 s3, exec_lo
	v_cmpx_eq_u32_e32 30, v176
	s_cbranch_execz .LBB78_645
; %bb.642:
	v_cmp_ne_u32_e32 vcc_lo, 30, v168
	s_xor_b32 s6, s4, -1
	s_delay_alu instid0(SALU_CYCLE_1) | instskip(NEXT) | instid1(SALU_CYCLE_1)
	s_and_b32 s7, s6, vcc_lo
	s_and_saveexec_b32 s6, s7
	s_cbranch_execz .LBB78_644
; %bb.643:
	v_ashrrev_i32_e32 v169, 31, v168
	s_delay_alu instid0(VALU_DEP_1) | instskip(NEXT) | instid1(VALU_DEP_1)
	v_lshlrev_b64 v[175:176], 2, v[168:169]
	v_add_co_u32 v175, vcc_lo, v166, v175
	s_delay_alu instid0(VALU_DEP_2)
	v_add_co_ci_u32_e32 v176, vcc_lo, v167, v176, vcc_lo
	s_clause 0x1
	flat_load_b32 v169, v[175:176]
	flat_load_b32 v177, v[166:167] offset:120
	s_waitcnt vmcnt(1) lgkmcnt(1)
	flat_store_b32 v[166:167], v169 offset:120
	s_waitcnt vmcnt(0) lgkmcnt(1)
	flat_store_b32 v[175:176], v177
.LBB78_644:
	s_or_b32 exec_lo, exec_lo, s6
	v_mov_b32_e32 v176, v168
	v_mov_b32_e32 v175, v168
.LBB78_645:
	s_or_b32 exec_lo, exec_lo, s3
.LBB78_646:
	s_and_not1_saveexec_b32 s2, s2
	s_cbranch_execz .LBB78_648
; %bb.647:
	v_mov_b32_e32 v176, 30
	ds_store_2addr_b64 v170, v[32:33], v[34:35] offset0:62 offset1:63
	ds_store_2addr_b64 v170, v[28:29], v[30:31] offset0:64 offset1:65
	;; [unrolled: 1-line block ×9, first 2 shown]
.LBB78_648:
	s_or_b32 exec_lo, exec_lo, s2
	s_delay_alu instid0(SALU_CYCLE_1)
	s_mov_b32 s2, exec_lo
	s_waitcnt lgkmcnt(0)
	s_waitcnt_vscnt null, 0x0
	s_barrier
	buffer_gl0_inv
	v_cmpx_lt_i32_e32 30, v176
	s_cbranch_execz .LBB78_650
; %bb.649:
	v_mul_f64 v[168:169], v[160:161], v[38:39]
	v_mul_f64 v[38:39], v[162:163], v[38:39]
	ds_load_2addr_b64 v[177:180], v170 offset0:62 offset1:63
	ds_load_2addr_b64 v[181:184], v170 offset0:64 offset1:65
	;; [unrolled: 1-line block ×9, first 2 shown]
	v_fma_f64 v[162:163], v[162:163], v[36:37], v[168:169]
	v_fma_f64 v[36:37], v[160:161], v[36:37], -v[38:39]
	s_waitcnt lgkmcnt(8)
	s_delay_alu instid0(VALU_DEP_2)
	v_mul_f64 v[38:39], v[179:180], v[162:163]
	v_mul_f64 v[160:161], v[177:178], v[162:163]
	s_waitcnt lgkmcnt(7)
	v_mul_f64 v[168:169], v[183:184], v[162:163]
	v_mul_f64 v[213:214], v[181:182], v[162:163]
	s_waitcnt lgkmcnt(6)
	;; [unrolled: 3-line block ×8, first 2 shown]
	v_mul_f64 v[239:240], v[211:212], v[162:163]
	v_mul_f64 v[241:242], v[209:210], v[162:163]
	v_fma_f64 v[38:39], v[177:178], v[36:37], -v[38:39]
	v_fma_f64 v[160:161], v[179:180], v[36:37], v[160:161]
	v_fma_f64 v[168:169], v[181:182], v[36:37], -v[168:169]
	v_fma_f64 v[177:178], v[183:184], v[36:37], v[213:214]
	;; [unrolled: 2-line block ×9, first 2 shown]
	v_add_f64 v[32:33], v[32:33], -v[38:39]
	v_add_f64 v[34:35], v[34:35], -v[160:161]
	;; [unrolled: 1-line block ×18, first 2 shown]
	v_dual_mov_b32 v38, v162 :: v_dual_mov_b32 v39, v163
.LBB78_650:
	s_or_b32 exec_lo, exec_lo, s2
	v_lshl_add_u32 v160, v176, 4, v170
	s_barrier
	buffer_gl0_inv
	v_mov_b32_e32 v168, 31
	ds_store_2addr_b64 v160, v[32:33], v[34:35] offset1:1
	s_waitcnt lgkmcnt(0)
	s_barrier
	buffer_gl0_inv
	ds_load_2addr_b64 v[160:163], v170 offset0:62 offset1:63
	s_cmp_lt_i32 s5, 33
	s_cbranch_scc1 .LBB78_653
; %bb.651:
	v_add3_u32 v169, v174, 0, 0x200
	v_mov_b32_e32 v168, 31
	s_mov_b32 s6, 32
	s_set_inst_prefetch_distance 0x1
	.p2align	6
.LBB78_652:                             ; =>This Inner Loop Header: Depth=1
	ds_load_2addr_b64 v[177:180], v169 offset1:1
	s_waitcnt lgkmcnt(1)
	v_cmp_gt_f64_e32 vcc_lo, 0, v[160:161]
	v_xor_b32_e32 v181, 0x80000000, v161
	v_cmp_gt_f64_e64 s2, 0, v[162:163]
	v_xor_b32_e32 v183, 0x80000000, v163
	v_add_nc_u32_e32 v169, 16, v169
	s_waitcnt lgkmcnt(0)
	v_cmp_gt_f64_e64 s3, 0, v[177:178]
	v_mov_b32_e32 v185, v177
	v_dual_mov_b32 v187, v179 :: v_dual_cndmask_b32 v182, v161, v181
	v_xor_b32_e32 v181, 0x80000000, v178
	v_cndmask_b32_e64 v184, v163, v183, s2
	v_xor_b32_e32 v183, 0x80000000, v180
	s_delay_alu instid0(VALU_DEP_3) | instskip(SKIP_2) | instid1(VALU_DEP_2)
	v_cndmask_b32_e64 v186, v178, v181, s3
	v_cmp_gt_f64_e64 s3, 0, v[179:180]
	v_cndmask_b32_e32 v181, v160, v160, vcc_lo
	v_cndmask_b32_e64 v188, v180, v183, s3
	v_cndmask_b32_e64 v183, v162, v162, s2
	s_delay_alu instid0(VALU_DEP_2) | instskip(NEXT) | instid1(VALU_DEP_2)
	v_add_f64 v[185:186], v[185:186], v[187:188]
	v_add_f64 v[181:182], v[181:182], v[183:184]
	s_delay_alu instid0(VALU_DEP_1) | instskip(SKIP_4) | instid1(SALU_CYCLE_1)
	v_cmp_lt_f64_e32 vcc_lo, v[181:182], v[185:186]
	v_dual_cndmask_b32 v162, v162, v179 :: v_dual_cndmask_b32 v161, v161, v178
	v_dual_cndmask_b32 v160, v160, v177 :: v_dual_cndmask_b32 v163, v163, v180
	v_cndmask_b32_e64 v168, v168, s6, vcc_lo
	s_add_i32 s6, s6, 1
	s_cmp_lg_u32 s5, s6
	s_cbranch_scc1 .LBB78_652
.LBB78_653:
	s_set_inst_prefetch_distance 0x2
	s_waitcnt lgkmcnt(0)
	v_cmp_eq_f64_e32 vcc_lo, 0, v[160:161]
	v_cmp_eq_f64_e64 s2, 0, v[162:163]
	s_delay_alu instid0(VALU_DEP_1) | instskip(NEXT) | instid1(SALU_CYCLE_1)
	s_and_b32 s2, vcc_lo, s2
	s_and_saveexec_b32 s3, s2
	s_delay_alu instid0(SALU_CYCLE_1)
	s_xor_b32 s2, exec_lo, s3
; %bb.654:
	v_cmp_ne_u32_e32 vcc_lo, 0, v173
	v_cndmask_b32_e32 v173, 32, v173, vcc_lo
; %bb.655:
	s_and_not1_saveexec_b32 s3, s2
	s_cbranch_execz .LBB78_661
; %bb.656:
	v_cmp_gt_f64_e32 vcc_lo, 0, v[160:161]
	v_cmp_gt_f64_e64 s2, 0, v[162:163]
	v_xor_b32_e32 v169, 0x80000000, v161
	v_xor_b32_e32 v177, 0x80000000, v163
	s_delay_alu instid0(VALU_DEP_2) | instskip(NEXT) | instid1(VALU_DEP_2)
	v_cndmask_b32_e32 v178, v161, v169, vcc_lo
	v_cndmask_b32_e64 v180, v163, v177, s2
	v_cndmask_b32_e32 v177, v160, v160, vcc_lo
	v_cndmask_b32_e64 v179, v162, v162, s2
	s_mov_b32 s2, exec_lo
	s_delay_alu instid0(VALU_DEP_1)
	v_cmpx_ngt_f64_e32 v[177:178], v[179:180]
	s_xor_b32 s2, exec_lo, s2
	s_cbranch_execz .LBB78_658
; %bb.657:
	v_div_scale_f64 v[177:178], null, v[162:163], v[162:163], v[160:161]
	v_div_scale_f64 v[183:184], vcc_lo, v[160:161], v[162:163], v[160:161]
	s_delay_alu instid0(VALU_DEP_2) | instskip(SKIP_2) | instid1(VALU_DEP_1)
	v_rcp_f64_e32 v[179:180], v[177:178]
	s_waitcnt_depctr 0xfff
	v_fma_f64 v[181:182], -v[177:178], v[179:180], 1.0
	v_fma_f64 v[179:180], v[179:180], v[181:182], v[179:180]
	s_delay_alu instid0(VALU_DEP_1) | instskip(NEXT) | instid1(VALU_DEP_1)
	v_fma_f64 v[181:182], -v[177:178], v[179:180], 1.0
	v_fma_f64 v[179:180], v[179:180], v[181:182], v[179:180]
	s_delay_alu instid0(VALU_DEP_1) | instskip(NEXT) | instid1(VALU_DEP_1)
	v_mul_f64 v[181:182], v[183:184], v[179:180]
	v_fma_f64 v[177:178], -v[177:178], v[181:182], v[183:184]
	s_delay_alu instid0(VALU_DEP_1) | instskip(NEXT) | instid1(VALU_DEP_1)
	v_div_fmas_f64 v[177:178], v[177:178], v[179:180], v[181:182]
	v_div_fixup_f64 v[177:178], v[177:178], v[162:163], v[160:161]
	s_delay_alu instid0(VALU_DEP_1) | instskip(NEXT) | instid1(VALU_DEP_1)
	v_fma_f64 v[160:161], v[160:161], v[177:178], v[162:163]
	v_div_scale_f64 v[162:163], null, v[160:161], v[160:161], 1.0
	s_delay_alu instid0(VALU_DEP_1) | instskip(SKIP_2) | instid1(VALU_DEP_1)
	v_rcp_f64_e32 v[179:180], v[162:163]
	s_waitcnt_depctr 0xfff
	v_fma_f64 v[181:182], -v[162:163], v[179:180], 1.0
	v_fma_f64 v[179:180], v[179:180], v[181:182], v[179:180]
	s_delay_alu instid0(VALU_DEP_1) | instskip(NEXT) | instid1(VALU_DEP_1)
	v_fma_f64 v[181:182], -v[162:163], v[179:180], 1.0
	v_fma_f64 v[179:180], v[179:180], v[181:182], v[179:180]
	v_div_scale_f64 v[181:182], vcc_lo, 1.0, v[160:161], 1.0
	s_delay_alu instid0(VALU_DEP_1) | instskip(NEXT) | instid1(VALU_DEP_1)
	v_mul_f64 v[183:184], v[181:182], v[179:180]
	v_fma_f64 v[162:163], -v[162:163], v[183:184], v[181:182]
	s_delay_alu instid0(VALU_DEP_1) | instskip(NEXT) | instid1(VALU_DEP_1)
	v_div_fmas_f64 v[162:163], v[162:163], v[179:180], v[183:184]
	v_div_fixup_f64 v[162:163], v[162:163], v[160:161], 1.0
	s_delay_alu instid0(VALU_DEP_1)
	v_mul_f64 v[160:161], v[177:178], v[162:163]
	v_xor_b32_e32 v163, 0x80000000, v163
.LBB78_658:
	s_and_not1_saveexec_b32 s2, s2
	s_cbranch_execz .LBB78_660
; %bb.659:
	s_delay_alu instid0(VALU_DEP_1) | instskip(SKIP_1) | instid1(VALU_DEP_2)
	v_div_scale_f64 v[177:178], null, v[160:161], v[160:161], v[162:163]
	v_div_scale_f64 v[183:184], vcc_lo, v[162:163], v[160:161], v[162:163]
	v_rcp_f64_e32 v[179:180], v[177:178]
	s_waitcnt_depctr 0xfff
	v_fma_f64 v[181:182], -v[177:178], v[179:180], 1.0
	s_delay_alu instid0(VALU_DEP_1) | instskip(NEXT) | instid1(VALU_DEP_1)
	v_fma_f64 v[179:180], v[179:180], v[181:182], v[179:180]
	v_fma_f64 v[181:182], -v[177:178], v[179:180], 1.0
	s_delay_alu instid0(VALU_DEP_1) | instskip(NEXT) | instid1(VALU_DEP_1)
	v_fma_f64 v[179:180], v[179:180], v[181:182], v[179:180]
	v_mul_f64 v[181:182], v[183:184], v[179:180]
	s_delay_alu instid0(VALU_DEP_1) | instskip(NEXT) | instid1(VALU_DEP_1)
	v_fma_f64 v[177:178], -v[177:178], v[181:182], v[183:184]
	v_div_fmas_f64 v[177:178], v[177:178], v[179:180], v[181:182]
	s_delay_alu instid0(VALU_DEP_1) | instskip(NEXT) | instid1(VALU_DEP_1)
	v_div_fixup_f64 v[177:178], v[177:178], v[160:161], v[162:163]
	v_fma_f64 v[160:161], v[162:163], v[177:178], v[160:161]
	s_delay_alu instid0(VALU_DEP_1) | instskip(NEXT) | instid1(VALU_DEP_1)
	v_div_scale_f64 v[162:163], null, v[160:161], v[160:161], 1.0
	v_rcp_f64_e32 v[179:180], v[162:163]
	s_waitcnt_depctr 0xfff
	v_fma_f64 v[181:182], -v[162:163], v[179:180], 1.0
	s_delay_alu instid0(VALU_DEP_1) | instskip(NEXT) | instid1(VALU_DEP_1)
	v_fma_f64 v[179:180], v[179:180], v[181:182], v[179:180]
	v_fma_f64 v[181:182], -v[162:163], v[179:180], 1.0
	s_delay_alu instid0(VALU_DEP_1) | instskip(SKIP_1) | instid1(VALU_DEP_1)
	v_fma_f64 v[179:180], v[179:180], v[181:182], v[179:180]
	v_div_scale_f64 v[181:182], vcc_lo, 1.0, v[160:161], 1.0
	v_mul_f64 v[183:184], v[181:182], v[179:180]
	s_delay_alu instid0(VALU_DEP_1) | instskip(NEXT) | instid1(VALU_DEP_1)
	v_fma_f64 v[162:163], -v[162:163], v[183:184], v[181:182]
	v_div_fmas_f64 v[162:163], v[162:163], v[179:180], v[183:184]
	s_delay_alu instid0(VALU_DEP_1) | instskip(NEXT) | instid1(VALU_DEP_1)
	v_div_fixup_f64 v[160:161], v[162:163], v[160:161], 1.0
	v_mul_f64 v[162:163], v[177:178], -v[160:161]
.LBB78_660:
	s_or_b32 exec_lo, exec_lo, s2
.LBB78_661:
	s_delay_alu instid0(SALU_CYCLE_1) | instskip(NEXT) | instid1(SALU_CYCLE_1)
	s_or_b32 exec_lo, exec_lo, s3
	s_mov_b32 s2, exec_lo
	v_cmpx_ne_u32_e64 v176, v168
	s_xor_b32 s2, exec_lo, s2
	s_cbranch_execz .LBB78_667
; %bb.662:
	s_mov_b32 s3, exec_lo
	v_cmpx_eq_u32_e32 31, v176
	s_cbranch_execz .LBB78_666
; %bb.663:
	v_cmp_ne_u32_e32 vcc_lo, 31, v168
	s_xor_b32 s6, s4, -1
	s_delay_alu instid0(SALU_CYCLE_1) | instskip(NEXT) | instid1(SALU_CYCLE_1)
	s_and_b32 s7, s6, vcc_lo
	s_and_saveexec_b32 s6, s7
	s_cbranch_execz .LBB78_665
; %bb.664:
	v_ashrrev_i32_e32 v169, 31, v168
	s_delay_alu instid0(VALU_DEP_1) | instskip(NEXT) | instid1(VALU_DEP_1)
	v_lshlrev_b64 v[175:176], 2, v[168:169]
	v_add_co_u32 v175, vcc_lo, v166, v175
	s_delay_alu instid0(VALU_DEP_2)
	v_add_co_ci_u32_e32 v176, vcc_lo, v167, v176, vcc_lo
	s_clause 0x1
	flat_load_b32 v169, v[175:176]
	flat_load_b32 v177, v[166:167] offset:124
	s_waitcnt vmcnt(1) lgkmcnt(1)
	flat_store_b32 v[166:167], v169 offset:124
	s_waitcnt vmcnt(0) lgkmcnt(1)
	flat_store_b32 v[175:176], v177
.LBB78_665:
	s_or_b32 exec_lo, exec_lo, s6
	v_mov_b32_e32 v176, v168
	v_mov_b32_e32 v175, v168
.LBB78_666:
	s_or_b32 exec_lo, exec_lo, s3
.LBB78_667:
	s_and_not1_saveexec_b32 s2, s2
	s_cbranch_execz .LBB78_669
; %bb.668:
	v_mov_b32_e32 v176, 31
	ds_store_2addr_b64 v170, v[28:29], v[30:31] offset0:64 offset1:65
	ds_store_2addr_b64 v170, v[24:25], v[26:27] offset0:66 offset1:67
	;; [unrolled: 1-line block ×8, first 2 shown]
.LBB78_669:
	s_or_b32 exec_lo, exec_lo, s2
	s_delay_alu instid0(SALU_CYCLE_1)
	s_mov_b32 s2, exec_lo
	s_waitcnt lgkmcnt(0)
	s_waitcnt_vscnt null, 0x0
	s_barrier
	buffer_gl0_inv
	v_cmpx_lt_i32_e32 31, v176
	s_cbranch_execz .LBB78_671
; %bb.670:
	v_mul_f64 v[168:169], v[160:161], v[34:35]
	v_mul_f64 v[34:35], v[162:163], v[34:35]
	ds_load_2addr_b64 v[177:180], v170 offset0:64 offset1:65
	ds_load_2addr_b64 v[181:184], v170 offset0:66 offset1:67
	;; [unrolled: 1-line block ×8, first 2 shown]
	v_fma_f64 v[162:163], v[162:163], v[32:33], v[168:169]
	v_fma_f64 v[32:33], v[160:161], v[32:33], -v[34:35]
	s_waitcnt lgkmcnt(7)
	s_delay_alu instid0(VALU_DEP_2)
	v_mul_f64 v[34:35], v[179:180], v[162:163]
	v_mul_f64 v[160:161], v[177:178], v[162:163]
	s_waitcnt lgkmcnt(6)
	v_mul_f64 v[168:169], v[183:184], v[162:163]
	v_mul_f64 v[209:210], v[181:182], v[162:163]
	s_waitcnt lgkmcnt(5)
	;; [unrolled: 3-line block ×7, first 2 shown]
	v_mul_f64 v[231:232], v[207:208], v[162:163]
	v_mul_f64 v[233:234], v[205:206], v[162:163]
	v_fma_f64 v[34:35], v[177:178], v[32:33], -v[34:35]
	v_fma_f64 v[160:161], v[179:180], v[32:33], v[160:161]
	v_fma_f64 v[168:169], v[181:182], v[32:33], -v[168:169]
	v_fma_f64 v[177:178], v[183:184], v[32:33], v[209:210]
	;; [unrolled: 2-line block ×8, first 2 shown]
	v_add_f64 v[28:29], v[28:29], -v[34:35]
	v_add_f64 v[30:31], v[30:31], -v[160:161]
	;; [unrolled: 1-line block ×16, first 2 shown]
	v_dual_mov_b32 v34, v162 :: v_dual_mov_b32 v35, v163
.LBB78_671:
	s_or_b32 exec_lo, exec_lo, s2
	v_lshl_add_u32 v160, v176, 4, v170
	s_barrier
	buffer_gl0_inv
	v_mov_b32_e32 v168, 32
	ds_store_2addr_b64 v160, v[28:29], v[30:31] offset1:1
	s_waitcnt lgkmcnt(0)
	s_barrier
	buffer_gl0_inv
	ds_load_2addr_b64 v[160:163], v170 offset0:64 offset1:65
	s_cmp_lt_i32 s5, 34
	s_cbranch_scc1 .LBB78_674
; %bb.672:
	v_add3_u32 v169, v174, 0, 0x210
	v_mov_b32_e32 v168, 32
	s_mov_b32 s6, 33
	s_set_inst_prefetch_distance 0x1
	.p2align	6
.LBB78_673:                             ; =>This Inner Loop Header: Depth=1
	ds_load_2addr_b64 v[177:180], v169 offset1:1
	s_waitcnt lgkmcnt(1)
	v_cmp_gt_f64_e32 vcc_lo, 0, v[160:161]
	v_xor_b32_e32 v181, 0x80000000, v161
	v_cmp_gt_f64_e64 s2, 0, v[162:163]
	v_xor_b32_e32 v183, 0x80000000, v163
	v_add_nc_u32_e32 v169, 16, v169
	s_waitcnt lgkmcnt(0)
	v_cmp_gt_f64_e64 s3, 0, v[177:178]
	v_mov_b32_e32 v185, v177
	v_dual_mov_b32 v187, v179 :: v_dual_cndmask_b32 v182, v161, v181
	v_xor_b32_e32 v181, 0x80000000, v178
	v_cndmask_b32_e64 v184, v163, v183, s2
	v_xor_b32_e32 v183, 0x80000000, v180
	s_delay_alu instid0(VALU_DEP_3) | instskip(SKIP_2) | instid1(VALU_DEP_2)
	v_cndmask_b32_e64 v186, v178, v181, s3
	v_cmp_gt_f64_e64 s3, 0, v[179:180]
	v_cndmask_b32_e32 v181, v160, v160, vcc_lo
	v_cndmask_b32_e64 v188, v180, v183, s3
	v_cndmask_b32_e64 v183, v162, v162, s2
	s_delay_alu instid0(VALU_DEP_2) | instskip(NEXT) | instid1(VALU_DEP_2)
	v_add_f64 v[185:186], v[185:186], v[187:188]
	v_add_f64 v[181:182], v[181:182], v[183:184]
	s_delay_alu instid0(VALU_DEP_1) | instskip(SKIP_4) | instid1(SALU_CYCLE_1)
	v_cmp_lt_f64_e32 vcc_lo, v[181:182], v[185:186]
	v_dual_cndmask_b32 v162, v162, v179 :: v_dual_cndmask_b32 v161, v161, v178
	v_dual_cndmask_b32 v160, v160, v177 :: v_dual_cndmask_b32 v163, v163, v180
	v_cndmask_b32_e64 v168, v168, s6, vcc_lo
	s_add_i32 s6, s6, 1
	s_cmp_lg_u32 s5, s6
	s_cbranch_scc1 .LBB78_673
.LBB78_674:
	s_set_inst_prefetch_distance 0x2
	s_waitcnt lgkmcnt(0)
	v_cmp_eq_f64_e32 vcc_lo, 0, v[160:161]
	v_cmp_eq_f64_e64 s2, 0, v[162:163]
	s_delay_alu instid0(VALU_DEP_1) | instskip(NEXT) | instid1(SALU_CYCLE_1)
	s_and_b32 s2, vcc_lo, s2
	s_and_saveexec_b32 s3, s2
	s_delay_alu instid0(SALU_CYCLE_1)
	s_xor_b32 s2, exec_lo, s3
; %bb.675:
	v_cmp_ne_u32_e32 vcc_lo, 0, v173
	v_cndmask_b32_e32 v173, 33, v173, vcc_lo
; %bb.676:
	s_and_not1_saveexec_b32 s3, s2
	s_cbranch_execz .LBB78_682
; %bb.677:
	v_cmp_gt_f64_e32 vcc_lo, 0, v[160:161]
	v_cmp_gt_f64_e64 s2, 0, v[162:163]
	v_xor_b32_e32 v169, 0x80000000, v161
	v_xor_b32_e32 v177, 0x80000000, v163
	s_delay_alu instid0(VALU_DEP_2) | instskip(NEXT) | instid1(VALU_DEP_2)
	v_cndmask_b32_e32 v178, v161, v169, vcc_lo
	v_cndmask_b32_e64 v180, v163, v177, s2
	v_cndmask_b32_e32 v177, v160, v160, vcc_lo
	v_cndmask_b32_e64 v179, v162, v162, s2
	s_mov_b32 s2, exec_lo
	s_delay_alu instid0(VALU_DEP_1)
	v_cmpx_ngt_f64_e32 v[177:178], v[179:180]
	s_xor_b32 s2, exec_lo, s2
	s_cbranch_execz .LBB78_679
; %bb.678:
	v_div_scale_f64 v[177:178], null, v[162:163], v[162:163], v[160:161]
	v_div_scale_f64 v[183:184], vcc_lo, v[160:161], v[162:163], v[160:161]
	s_delay_alu instid0(VALU_DEP_2) | instskip(SKIP_2) | instid1(VALU_DEP_1)
	v_rcp_f64_e32 v[179:180], v[177:178]
	s_waitcnt_depctr 0xfff
	v_fma_f64 v[181:182], -v[177:178], v[179:180], 1.0
	v_fma_f64 v[179:180], v[179:180], v[181:182], v[179:180]
	s_delay_alu instid0(VALU_DEP_1) | instskip(NEXT) | instid1(VALU_DEP_1)
	v_fma_f64 v[181:182], -v[177:178], v[179:180], 1.0
	v_fma_f64 v[179:180], v[179:180], v[181:182], v[179:180]
	s_delay_alu instid0(VALU_DEP_1) | instskip(NEXT) | instid1(VALU_DEP_1)
	v_mul_f64 v[181:182], v[183:184], v[179:180]
	v_fma_f64 v[177:178], -v[177:178], v[181:182], v[183:184]
	s_delay_alu instid0(VALU_DEP_1) | instskip(NEXT) | instid1(VALU_DEP_1)
	v_div_fmas_f64 v[177:178], v[177:178], v[179:180], v[181:182]
	v_div_fixup_f64 v[177:178], v[177:178], v[162:163], v[160:161]
	s_delay_alu instid0(VALU_DEP_1) | instskip(NEXT) | instid1(VALU_DEP_1)
	v_fma_f64 v[160:161], v[160:161], v[177:178], v[162:163]
	v_div_scale_f64 v[162:163], null, v[160:161], v[160:161], 1.0
	s_delay_alu instid0(VALU_DEP_1) | instskip(SKIP_2) | instid1(VALU_DEP_1)
	v_rcp_f64_e32 v[179:180], v[162:163]
	s_waitcnt_depctr 0xfff
	v_fma_f64 v[181:182], -v[162:163], v[179:180], 1.0
	v_fma_f64 v[179:180], v[179:180], v[181:182], v[179:180]
	s_delay_alu instid0(VALU_DEP_1) | instskip(NEXT) | instid1(VALU_DEP_1)
	v_fma_f64 v[181:182], -v[162:163], v[179:180], 1.0
	v_fma_f64 v[179:180], v[179:180], v[181:182], v[179:180]
	v_div_scale_f64 v[181:182], vcc_lo, 1.0, v[160:161], 1.0
	s_delay_alu instid0(VALU_DEP_1) | instskip(NEXT) | instid1(VALU_DEP_1)
	v_mul_f64 v[183:184], v[181:182], v[179:180]
	v_fma_f64 v[162:163], -v[162:163], v[183:184], v[181:182]
	s_delay_alu instid0(VALU_DEP_1) | instskip(NEXT) | instid1(VALU_DEP_1)
	v_div_fmas_f64 v[162:163], v[162:163], v[179:180], v[183:184]
	v_div_fixup_f64 v[162:163], v[162:163], v[160:161], 1.0
	s_delay_alu instid0(VALU_DEP_1)
	v_mul_f64 v[160:161], v[177:178], v[162:163]
	v_xor_b32_e32 v163, 0x80000000, v163
.LBB78_679:
	s_and_not1_saveexec_b32 s2, s2
	s_cbranch_execz .LBB78_681
; %bb.680:
	s_delay_alu instid0(VALU_DEP_1) | instskip(SKIP_1) | instid1(VALU_DEP_2)
	v_div_scale_f64 v[177:178], null, v[160:161], v[160:161], v[162:163]
	v_div_scale_f64 v[183:184], vcc_lo, v[162:163], v[160:161], v[162:163]
	v_rcp_f64_e32 v[179:180], v[177:178]
	s_waitcnt_depctr 0xfff
	v_fma_f64 v[181:182], -v[177:178], v[179:180], 1.0
	s_delay_alu instid0(VALU_DEP_1) | instskip(NEXT) | instid1(VALU_DEP_1)
	v_fma_f64 v[179:180], v[179:180], v[181:182], v[179:180]
	v_fma_f64 v[181:182], -v[177:178], v[179:180], 1.0
	s_delay_alu instid0(VALU_DEP_1) | instskip(NEXT) | instid1(VALU_DEP_1)
	v_fma_f64 v[179:180], v[179:180], v[181:182], v[179:180]
	v_mul_f64 v[181:182], v[183:184], v[179:180]
	s_delay_alu instid0(VALU_DEP_1) | instskip(NEXT) | instid1(VALU_DEP_1)
	v_fma_f64 v[177:178], -v[177:178], v[181:182], v[183:184]
	v_div_fmas_f64 v[177:178], v[177:178], v[179:180], v[181:182]
	s_delay_alu instid0(VALU_DEP_1) | instskip(NEXT) | instid1(VALU_DEP_1)
	v_div_fixup_f64 v[177:178], v[177:178], v[160:161], v[162:163]
	v_fma_f64 v[160:161], v[162:163], v[177:178], v[160:161]
	s_delay_alu instid0(VALU_DEP_1) | instskip(NEXT) | instid1(VALU_DEP_1)
	v_div_scale_f64 v[162:163], null, v[160:161], v[160:161], 1.0
	v_rcp_f64_e32 v[179:180], v[162:163]
	s_waitcnt_depctr 0xfff
	v_fma_f64 v[181:182], -v[162:163], v[179:180], 1.0
	s_delay_alu instid0(VALU_DEP_1) | instskip(NEXT) | instid1(VALU_DEP_1)
	v_fma_f64 v[179:180], v[179:180], v[181:182], v[179:180]
	v_fma_f64 v[181:182], -v[162:163], v[179:180], 1.0
	s_delay_alu instid0(VALU_DEP_1) | instskip(SKIP_1) | instid1(VALU_DEP_1)
	v_fma_f64 v[179:180], v[179:180], v[181:182], v[179:180]
	v_div_scale_f64 v[181:182], vcc_lo, 1.0, v[160:161], 1.0
	v_mul_f64 v[183:184], v[181:182], v[179:180]
	s_delay_alu instid0(VALU_DEP_1) | instskip(NEXT) | instid1(VALU_DEP_1)
	v_fma_f64 v[162:163], -v[162:163], v[183:184], v[181:182]
	v_div_fmas_f64 v[162:163], v[162:163], v[179:180], v[183:184]
	s_delay_alu instid0(VALU_DEP_1) | instskip(NEXT) | instid1(VALU_DEP_1)
	v_div_fixup_f64 v[160:161], v[162:163], v[160:161], 1.0
	v_mul_f64 v[162:163], v[177:178], -v[160:161]
.LBB78_681:
	s_or_b32 exec_lo, exec_lo, s2
.LBB78_682:
	s_delay_alu instid0(SALU_CYCLE_1) | instskip(NEXT) | instid1(SALU_CYCLE_1)
	s_or_b32 exec_lo, exec_lo, s3
	s_mov_b32 s2, exec_lo
	v_cmpx_ne_u32_e64 v176, v168
	s_xor_b32 s2, exec_lo, s2
	s_cbranch_execz .LBB78_688
; %bb.683:
	s_mov_b32 s3, exec_lo
	v_cmpx_eq_u32_e32 32, v176
	s_cbranch_execz .LBB78_687
; %bb.684:
	v_cmp_ne_u32_e32 vcc_lo, 32, v168
	s_xor_b32 s6, s4, -1
	s_delay_alu instid0(SALU_CYCLE_1) | instskip(NEXT) | instid1(SALU_CYCLE_1)
	s_and_b32 s7, s6, vcc_lo
	s_and_saveexec_b32 s6, s7
	s_cbranch_execz .LBB78_686
; %bb.685:
	v_ashrrev_i32_e32 v169, 31, v168
	s_delay_alu instid0(VALU_DEP_1) | instskip(NEXT) | instid1(VALU_DEP_1)
	v_lshlrev_b64 v[175:176], 2, v[168:169]
	v_add_co_u32 v175, vcc_lo, v166, v175
	s_delay_alu instid0(VALU_DEP_2)
	v_add_co_ci_u32_e32 v176, vcc_lo, v167, v176, vcc_lo
	s_clause 0x1
	flat_load_b32 v169, v[175:176]
	flat_load_b32 v177, v[166:167] offset:128
	s_waitcnt vmcnt(1) lgkmcnt(1)
	flat_store_b32 v[166:167], v169 offset:128
	s_waitcnt vmcnt(0) lgkmcnt(1)
	flat_store_b32 v[175:176], v177
.LBB78_686:
	s_or_b32 exec_lo, exec_lo, s6
	v_mov_b32_e32 v176, v168
	v_mov_b32_e32 v175, v168
.LBB78_687:
	s_or_b32 exec_lo, exec_lo, s3
.LBB78_688:
	s_and_not1_saveexec_b32 s2, s2
	s_cbranch_execz .LBB78_690
; %bb.689:
	v_mov_b32_e32 v176, 32
	ds_store_2addr_b64 v170, v[24:25], v[26:27] offset0:66 offset1:67
	ds_store_2addr_b64 v170, v[20:21], v[22:23] offset0:68 offset1:69
	;; [unrolled: 1-line block ×7, first 2 shown]
.LBB78_690:
	s_or_b32 exec_lo, exec_lo, s2
	s_delay_alu instid0(SALU_CYCLE_1)
	s_mov_b32 s2, exec_lo
	s_waitcnt lgkmcnt(0)
	s_waitcnt_vscnt null, 0x0
	s_barrier
	buffer_gl0_inv
	v_cmpx_lt_i32_e32 32, v176
	s_cbranch_execz .LBB78_692
; %bb.691:
	v_mul_f64 v[168:169], v[160:161], v[30:31]
	v_mul_f64 v[30:31], v[162:163], v[30:31]
	ds_load_2addr_b64 v[177:180], v170 offset0:66 offset1:67
	ds_load_2addr_b64 v[181:184], v170 offset0:68 offset1:69
	;; [unrolled: 1-line block ×7, first 2 shown]
	v_fma_f64 v[162:163], v[162:163], v[28:29], v[168:169]
	v_fma_f64 v[28:29], v[160:161], v[28:29], -v[30:31]
	s_waitcnt lgkmcnt(6)
	s_delay_alu instid0(VALU_DEP_2)
	v_mul_f64 v[30:31], v[179:180], v[162:163]
	v_mul_f64 v[160:161], v[177:178], v[162:163]
	s_waitcnt lgkmcnt(5)
	v_mul_f64 v[168:169], v[183:184], v[162:163]
	v_mul_f64 v[205:206], v[181:182], v[162:163]
	s_waitcnt lgkmcnt(4)
	;; [unrolled: 3-line block ×6, first 2 shown]
	v_mul_f64 v[223:224], v[203:204], v[162:163]
	v_mul_f64 v[225:226], v[201:202], v[162:163]
	v_fma_f64 v[30:31], v[177:178], v[28:29], -v[30:31]
	v_fma_f64 v[160:161], v[179:180], v[28:29], v[160:161]
	v_fma_f64 v[168:169], v[181:182], v[28:29], -v[168:169]
	v_fma_f64 v[177:178], v[183:184], v[28:29], v[205:206]
	;; [unrolled: 2-line block ×7, first 2 shown]
	v_add_f64 v[24:25], v[24:25], -v[30:31]
	v_add_f64 v[26:27], v[26:27], -v[160:161]
	;; [unrolled: 1-line block ×14, first 2 shown]
	v_dual_mov_b32 v30, v162 :: v_dual_mov_b32 v31, v163
.LBB78_692:
	s_or_b32 exec_lo, exec_lo, s2
	v_lshl_add_u32 v160, v176, 4, v170
	s_barrier
	buffer_gl0_inv
	v_mov_b32_e32 v168, 33
	ds_store_2addr_b64 v160, v[24:25], v[26:27] offset1:1
	s_waitcnt lgkmcnt(0)
	s_barrier
	buffer_gl0_inv
	ds_load_2addr_b64 v[160:163], v170 offset0:66 offset1:67
	s_cmp_lt_i32 s5, 35
	s_cbranch_scc1 .LBB78_695
; %bb.693:
	v_add3_u32 v169, v174, 0, 0x220
	v_mov_b32_e32 v168, 33
	s_mov_b32 s6, 34
	s_set_inst_prefetch_distance 0x1
	.p2align	6
.LBB78_694:                             ; =>This Inner Loop Header: Depth=1
	ds_load_2addr_b64 v[177:180], v169 offset1:1
	s_waitcnt lgkmcnt(1)
	v_cmp_gt_f64_e32 vcc_lo, 0, v[160:161]
	v_xor_b32_e32 v181, 0x80000000, v161
	v_cmp_gt_f64_e64 s2, 0, v[162:163]
	v_xor_b32_e32 v183, 0x80000000, v163
	v_add_nc_u32_e32 v169, 16, v169
	s_waitcnt lgkmcnt(0)
	v_cmp_gt_f64_e64 s3, 0, v[177:178]
	v_mov_b32_e32 v185, v177
	v_dual_mov_b32 v187, v179 :: v_dual_cndmask_b32 v182, v161, v181
	v_xor_b32_e32 v181, 0x80000000, v178
	v_cndmask_b32_e64 v184, v163, v183, s2
	v_xor_b32_e32 v183, 0x80000000, v180
	s_delay_alu instid0(VALU_DEP_3) | instskip(SKIP_2) | instid1(VALU_DEP_2)
	v_cndmask_b32_e64 v186, v178, v181, s3
	v_cmp_gt_f64_e64 s3, 0, v[179:180]
	v_cndmask_b32_e32 v181, v160, v160, vcc_lo
	v_cndmask_b32_e64 v188, v180, v183, s3
	v_cndmask_b32_e64 v183, v162, v162, s2
	s_delay_alu instid0(VALU_DEP_2) | instskip(NEXT) | instid1(VALU_DEP_2)
	v_add_f64 v[185:186], v[185:186], v[187:188]
	v_add_f64 v[181:182], v[181:182], v[183:184]
	s_delay_alu instid0(VALU_DEP_1) | instskip(SKIP_4) | instid1(SALU_CYCLE_1)
	v_cmp_lt_f64_e32 vcc_lo, v[181:182], v[185:186]
	v_dual_cndmask_b32 v162, v162, v179 :: v_dual_cndmask_b32 v161, v161, v178
	v_dual_cndmask_b32 v160, v160, v177 :: v_dual_cndmask_b32 v163, v163, v180
	v_cndmask_b32_e64 v168, v168, s6, vcc_lo
	s_add_i32 s6, s6, 1
	s_cmp_lg_u32 s5, s6
	s_cbranch_scc1 .LBB78_694
.LBB78_695:
	s_set_inst_prefetch_distance 0x2
	s_waitcnt lgkmcnt(0)
	v_cmp_eq_f64_e32 vcc_lo, 0, v[160:161]
	v_cmp_eq_f64_e64 s2, 0, v[162:163]
	s_delay_alu instid0(VALU_DEP_1) | instskip(NEXT) | instid1(SALU_CYCLE_1)
	s_and_b32 s2, vcc_lo, s2
	s_and_saveexec_b32 s3, s2
	s_delay_alu instid0(SALU_CYCLE_1)
	s_xor_b32 s2, exec_lo, s3
; %bb.696:
	v_cmp_ne_u32_e32 vcc_lo, 0, v173
	v_cndmask_b32_e32 v173, 34, v173, vcc_lo
; %bb.697:
	s_and_not1_saveexec_b32 s3, s2
	s_cbranch_execz .LBB78_703
; %bb.698:
	v_cmp_gt_f64_e32 vcc_lo, 0, v[160:161]
	v_cmp_gt_f64_e64 s2, 0, v[162:163]
	v_xor_b32_e32 v169, 0x80000000, v161
	v_xor_b32_e32 v177, 0x80000000, v163
	s_delay_alu instid0(VALU_DEP_2) | instskip(NEXT) | instid1(VALU_DEP_2)
	v_cndmask_b32_e32 v178, v161, v169, vcc_lo
	v_cndmask_b32_e64 v180, v163, v177, s2
	v_cndmask_b32_e32 v177, v160, v160, vcc_lo
	v_cndmask_b32_e64 v179, v162, v162, s2
	s_mov_b32 s2, exec_lo
	s_delay_alu instid0(VALU_DEP_1)
	v_cmpx_ngt_f64_e32 v[177:178], v[179:180]
	s_xor_b32 s2, exec_lo, s2
	s_cbranch_execz .LBB78_700
; %bb.699:
	v_div_scale_f64 v[177:178], null, v[162:163], v[162:163], v[160:161]
	v_div_scale_f64 v[183:184], vcc_lo, v[160:161], v[162:163], v[160:161]
	s_delay_alu instid0(VALU_DEP_2) | instskip(SKIP_2) | instid1(VALU_DEP_1)
	v_rcp_f64_e32 v[179:180], v[177:178]
	s_waitcnt_depctr 0xfff
	v_fma_f64 v[181:182], -v[177:178], v[179:180], 1.0
	v_fma_f64 v[179:180], v[179:180], v[181:182], v[179:180]
	s_delay_alu instid0(VALU_DEP_1) | instskip(NEXT) | instid1(VALU_DEP_1)
	v_fma_f64 v[181:182], -v[177:178], v[179:180], 1.0
	v_fma_f64 v[179:180], v[179:180], v[181:182], v[179:180]
	s_delay_alu instid0(VALU_DEP_1) | instskip(NEXT) | instid1(VALU_DEP_1)
	v_mul_f64 v[181:182], v[183:184], v[179:180]
	v_fma_f64 v[177:178], -v[177:178], v[181:182], v[183:184]
	s_delay_alu instid0(VALU_DEP_1) | instskip(NEXT) | instid1(VALU_DEP_1)
	v_div_fmas_f64 v[177:178], v[177:178], v[179:180], v[181:182]
	v_div_fixup_f64 v[177:178], v[177:178], v[162:163], v[160:161]
	s_delay_alu instid0(VALU_DEP_1) | instskip(NEXT) | instid1(VALU_DEP_1)
	v_fma_f64 v[160:161], v[160:161], v[177:178], v[162:163]
	v_div_scale_f64 v[162:163], null, v[160:161], v[160:161], 1.0
	s_delay_alu instid0(VALU_DEP_1) | instskip(SKIP_2) | instid1(VALU_DEP_1)
	v_rcp_f64_e32 v[179:180], v[162:163]
	s_waitcnt_depctr 0xfff
	v_fma_f64 v[181:182], -v[162:163], v[179:180], 1.0
	v_fma_f64 v[179:180], v[179:180], v[181:182], v[179:180]
	s_delay_alu instid0(VALU_DEP_1) | instskip(NEXT) | instid1(VALU_DEP_1)
	v_fma_f64 v[181:182], -v[162:163], v[179:180], 1.0
	v_fma_f64 v[179:180], v[179:180], v[181:182], v[179:180]
	v_div_scale_f64 v[181:182], vcc_lo, 1.0, v[160:161], 1.0
	s_delay_alu instid0(VALU_DEP_1) | instskip(NEXT) | instid1(VALU_DEP_1)
	v_mul_f64 v[183:184], v[181:182], v[179:180]
	v_fma_f64 v[162:163], -v[162:163], v[183:184], v[181:182]
	s_delay_alu instid0(VALU_DEP_1) | instskip(NEXT) | instid1(VALU_DEP_1)
	v_div_fmas_f64 v[162:163], v[162:163], v[179:180], v[183:184]
	v_div_fixup_f64 v[162:163], v[162:163], v[160:161], 1.0
	s_delay_alu instid0(VALU_DEP_1)
	v_mul_f64 v[160:161], v[177:178], v[162:163]
	v_xor_b32_e32 v163, 0x80000000, v163
.LBB78_700:
	s_and_not1_saveexec_b32 s2, s2
	s_cbranch_execz .LBB78_702
; %bb.701:
	s_delay_alu instid0(VALU_DEP_1) | instskip(SKIP_1) | instid1(VALU_DEP_2)
	v_div_scale_f64 v[177:178], null, v[160:161], v[160:161], v[162:163]
	v_div_scale_f64 v[183:184], vcc_lo, v[162:163], v[160:161], v[162:163]
	v_rcp_f64_e32 v[179:180], v[177:178]
	s_waitcnt_depctr 0xfff
	v_fma_f64 v[181:182], -v[177:178], v[179:180], 1.0
	s_delay_alu instid0(VALU_DEP_1) | instskip(NEXT) | instid1(VALU_DEP_1)
	v_fma_f64 v[179:180], v[179:180], v[181:182], v[179:180]
	v_fma_f64 v[181:182], -v[177:178], v[179:180], 1.0
	s_delay_alu instid0(VALU_DEP_1) | instskip(NEXT) | instid1(VALU_DEP_1)
	v_fma_f64 v[179:180], v[179:180], v[181:182], v[179:180]
	v_mul_f64 v[181:182], v[183:184], v[179:180]
	s_delay_alu instid0(VALU_DEP_1) | instskip(NEXT) | instid1(VALU_DEP_1)
	v_fma_f64 v[177:178], -v[177:178], v[181:182], v[183:184]
	v_div_fmas_f64 v[177:178], v[177:178], v[179:180], v[181:182]
	s_delay_alu instid0(VALU_DEP_1) | instskip(NEXT) | instid1(VALU_DEP_1)
	v_div_fixup_f64 v[177:178], v[177:178], v[160:161], v[162:163]
	v_fma_f64 v[160:161], v[162:163], v[177:178], v[160:161]
	s_delay_alu instid0(VALU_DEP_1) | instskip(NEXT) | instid1(VALU_DEP_1)
	v_div_scale_f64 v[162:163], null, v[160:161], v[160:161], 1.0
	v_rcp_f64_e32 v[179:180], v[162:163]
	s_waitcnt_depctr 0xfff
	v_fma_f64 v[181:182], -v[162:163], v[179:180], 1.0
	s_delay_alu instid0(VALU_DEP_1) | instskip(NEXT) | instid1(VALU_DEP_1)
	v_fma_f64 v[179:180], v[179:180], v[181:182], v[179:180]
	v_fma_f64 v[181:182], -v[162:163], v[179:180], 1.0
	s_delay_alu instid0(VALU_DEP_1) | instskip(SKIP_1) | instid1(VALU_DEP_1)
	v_fma_f64 v[179:180], v[179:180], v[181:182], v[179:180]
	v_div_scale_f64 v[181:182], vcc_lo, 1.0, v[160:161], 1.0
	v_mul_f64 v[183:184], v[181:182], v[179:180]
	s_delay_alu instid0(VALU_DEP_1) | instskip(NEXT) | instid1(VALU_DEP_1)
	v_fma_f64 v[162:163], -v[162:163], v[183:184], v[181:182]
	v_div_fmas_f64 v[162:163], v[162:163], v[179:180], v[183:184]
	s_delay_alu instid0(VALU_DEP_1) | instskip(NEXT) | instid1(VALU_DEP_1)
	v_div_fixup_f64 v[160:161], v[162:163], v[160:161], 1.0
	v_mul_f64 v[162:163], v[177:178], -v[160:161]
.LBB78_702:
	s_or_b32 exec_lo, exec_lo, s2
.LBB78_703:
	s_delay_alu instid0(SALU_CYCLE_1) | instskip(NEXT) | instid1(SALU_CYCLE_1)
	s_or_b32 exec_lo, exec_lo, s3
	s_mov_b32 s2, exec_lo
	v_cmpx_ne_u32_e64 v176, v168
	s_xor_b32 s2, exec_lo, s2
	s_cbranch_execz .LBB78_709
; %bb.704:
	s_mov_b32 s3, exec_lo
	v_cmpx_eq_u32_e32 33, v176
	s_cbranch_execz .LBB78_708
; %bb.705:
	v_cmp_ne_u32_e32 vcc_lo, 33, v168
	s_xor_b32 s6, s4, -1
	s_delay_alu instid0(SALU_CYCLE_1) | instskip(NEXT) | instid1(SALU_CYCLE_1)
	s_and_b32 s7, s6, vcc_lo
	s_and_saveexec_b32 s6, s7
	s_cbranch_execz .LBB78_707
; %bb.706:
	v_ashrrev_i32_e32 v169, 31, v168
	s_delay_alu instid0(VALU_DEP_1) | instskip(NEXT) | instid1(VALU_DEP_1)
	v_lshlrev_b64 v[175:176], 2, v[168:169]
	v_add_co_u32 v175, vcc_lo, v166, v175
	s_delay_alu instid0(VALU_DEP_2)
	v_add_co_ci_u32_e32 v176, vcc_lo, v167, v176, vcc_lo
	s_clause 0x1
	flat_load_b32 v169, v[175:176]
	flat_load_b32 v177, v[166:167] offset:132
	s_waitcnt vmcnt(1) lgkmcnt(1)
	flat_store_b32 v[166:167], v169 offset:132
	s_waitcnt vmcnt(0) lgkmcnt(1)
	flat_store_b32 v[175:176], v177
.LBB78_707:
	s_or_b32 exec_lo, exec_lo, s6
	v_mov_b32_e32 v176, v168
	v_mov_b32_e32 v175, v168
.LBB78_708:
	s_or_b32 exec_lo, exec_lo, s3
.LBB78_709:
	s_and_not1_saveexec_b32 s2, s2
	s_cbranch_execz .LBB78_711
; %bb.710:
	v_mov_b32_e32 v176, 33
	ds_store_2addr_b64 v170, v[20:21], v[22:23] offset0:68 offset1:69
	ds_store_2addr_b64 v170, v[16:17], v[18:19] offset0:70 offset1:71
	;; [unrolled: 1-line block ×6, first 2 shown]
.LBB78_711:
	s_or_b32 exec_lo, exec_lo, s2
	s_delay_alu instid0(SALU_CYCLE_1)
	s_mov_b32 s2, exec_lo
	s_waitcnt lgkmcnt(0)
	s_waitcnt_vscnt null, 0x0
	s_barrier
	buffer_gl0_inv
	v_cmpx_lt_i32_e32 33, v176
	s_cbranch_execz .LBB78_713
; %bb.712:
	v_mul_f64 v[168:169], v[160:161], v[26:27]
	v_mul_f64 v[26:27], v[162:163], v[26:27]
	ds_load_2addr_b64 v[177:180], v170 offset0:68 offset1:69
	ds_load_2addr_b64 v[181:184], v170 offset0:70 offset1:71
	ds_load_2addr_b64 v[185:188], v170 offset0:72 offset1:73
	ds_load_2addr_b64 v[189:192], v170 offset0:74 offset1:75
	ds_load_2addr_b64 v[193:196], v170 offset0:76 offset1:77
	ds_load_2addr_b64 v[197:200], v170 offset0:78 offset1:79
	v_fma_f64 v[162:163], v[162:163], v[24:25], v[168:169]
	v_fma_f64 v[24:25], v[160:161], v[24:25], -v[26:27]
	s_waitcnt lgkmcnt(5)
	s_delay_alu instid0(VALU_DEP_2)
	v_mul_f64 v[26:27], v[179:180], v[162:163]
	v_mul_f64 v[160:161], v[177:178], v[162:163]
	s_waitcnt lgkmcnt(4)
	v_mul_f64 v[168:169], v[183:184], v[162:163]
	v_mul_f64 v[201:202], v[181:182], v[162:163]
	s_waitcnt lgkmcnt(3)
	v_mul_f64 v[203:204], v[187:188], v[162:163]
	v_mul_f64 v[205:206], v[185:186], v[162:163]
	s_waitcnt lgkmcnt(2)
	v_mul_f64 v[207:208], v[191:192], v[162:163]
	v_mul_f64 v[209:210], v[189:190], v[162:163]
	s_waitcnt lgkmcnt(1)
	v_mul_f64 v[211:212], v[195:196], v[162:163]
	v_mul_f64 v[213:214], v[193:194], v[162:163]
	s_waitcnt lgkmcnt(0)
	v_mul_f64 v[215:216], v[199:200], v[162:163]
	v_mul_f64 v[217:218], v[197:198], v[162:163]
	v_fma_f64 v[26:27], v[177:178], v[24:25], -v[26:27]
	v_fma_f64 v[160:161], v[179:180], v[24:25], v[160:161]
	v_fma_f64 v[168:169], v[181:182], v[24:25], -v[168:169]
	v_fma_f64 v[177:178], v[183:184], v[24:25], v[201:202]
	v_fma_f64 v[179:180], v[185:186], v[24:25], -v[203:204]
	v_fma_f64 v[181:182], v[187:188], v[24:25], v[205:206]
	v_fma_f64 v[183:184], v[189:190], v[24:25], -v[207:208]
	v_fma_f64 v[185:186], v[191:192], v[24:25], v[209:210]
	v_fma_f64 v[187:188], v[193:194], v[24:25], -v[211:212]
	v_fma_f64 v[189:190], v[195:196], v[24:25], v[213:214]
	v_fma_f64 v[191:192], v[197:198], v[24:25], -v[215:216]
	v_fma_f64 v[193:194], v[199:200], v[24:25], v[217:218]
	v_add_f64 v[20:21], v[20:21], -v[26:27]
	v_add_f64 v[22:23], v[22:23], -v[160:161]
	v_add_f64 v[16:17], v[16:17], -v[168:169]
	v_add_f64 v[18:19], v[18:19], -v[177:178]
	v_add_f64 v[12:13], v[12:13], -v[179:180]
	v_add_f64 v[14:15], v[14:15], -v[181:182]
	v_add_f64 v[8:9], v[8:9], -v[183:184]
	v_add_f64 v[10:11], v[10:11], -v[185:186]
	v_add_f64 v[4:5], v[4:5], -v[187:188]
	v_add_f64 v[6:7], v[6:7], -v[189:190]
	v_add_f64 v[0:1], v[0:1], -v[191:192]
	v_add_f64 v[2:3], v[2:3], -v[193:194]
	v_dual_mov_b32 v26, v162 :: v_dual_mov_b32 v27, v163
.LBB78_713:
	s_or_b32 exec_lo, exec_lo, s2
	v_lshl_add_u32 v160, v176, 4, v170
	s_barrier
	buffer_gl0_inv
	v_mov_b32_e32 v168, 34
	ds_store_2addr_b64 v160, v[20:21], v[22:23] offset1:1
	s_waitcnt lgkmcnt(0)
	s_barrier
	buffer_gl0_inv
	ds_load_2addr_b64 v[160:163], v170 offset0:68 offset1:69
	s_cmp_lt_i32 s5, 36
	s_cbranch_scc1 .LBB78_716
; %bb.714:
	v_add3_u32 v169, v174, 0, 0x230
	v_mov_b32_e32 v168, 34
	s_mov_b32 s6, 35
	s_set_inst_prefetch_distance 0x1
	.p2align	6
.LBB78_715:                             ; =>This Inner Loop Header: Depth=1
	ds_load_2addr_b64 v[177:180], v169 offset1:1
	s_waitcnt lgkmcnt(1)
	v_cmp_gt_f64_e32 vcc_lo, 0, v[160:161]
	v_xor_b32_e32 v181, 0x80000000, v161
	v_cmp_gt_f64_e64 s2, 0, v[162:163]
	v_xor_b32_e32 v183, 0x80000000, v163
	v_add_nc_u32_e32 v169, 16, v169
	s_waitcnt lgkmcnt(0)
	v_cmp_gt_f64_e64 s3, 0, v[177:178]
	v_mov_b32_e32 v185, v177
	v_dual_mov_b32 v187, v179 :: v_dual_cndmask_b32 v182, v161, v181
	v_xor_b32_e32 v181, 0x80000000, v178
	v_cndmask_b32_e64 v184, v163, v183, s2
	v_xor_b32_e32 v183, 0x80000000, v180
	s_delay_alu instid0(VALU_DEP_3) | instskip(SKIP_2) | instid1(VALU_DEP_2)
	v_cndmask_b32_e64 v186, v178, v181, s3
	v_cmp_gt_f64_e64 s3, 0, v[179:180]
	v_cndmask_b32_e32 v181, v160, v160, vcc_lo
	v_cndmask_b32_e64 v188, v180, v183, s3
	v_cndmask_b32_e64 v183, v162, v162, s2
	s_delay_alu instid0(VALU_DEP_2) | instskip(NEXT) | instid1(VALU_DEP_2)
	v_add_f64 v[185:186], v[185:186], v[187:188]
	v_add_f64 v[181:182], v[181:182], v[183:184]
	s_delay_alu instid0(VALU_DEP_1) | instskip(SKIP_4) | instid1(SALU_CYCLE_1)
	v_cmp_lt_f64_e32 vcc_lo, v[181:182], v[185:186]
	v_dual_cndmask_b32 v162, v162, v179 :: v_dual_cndmask_b32 v161, v161, v178
	v_dual_cndmask_b32 v160, v160, v177 :: v_dual_cndmask_b32 v163, v163, v180
	v_cndmask_b32_e64 v168, v168, s6, vcc_lo
	s_add_i32 s6, s6, 1
	s_cmp_lg_u32 s5, s6
	s_cbranch_scc1 .LBB78_715
.LBB78_716:
	s_set_inst_prefetch_distance 0x2
	s_waitcnt lgkmcnt(0)
	v_cmp_eq_f64_e32 vcc_lo, 0, v[160:161]
	v_cmp_eq_f64_e64 s2, 0, v[162:163]
	s_delay_alu instid0(VALU_DEP_1) | instskip(NEXT) | instid1(SALU_CYCLE_1)
	s_and_b32 s2, vcc_lo, s2
	s_and_saveexec_b32 s3, s2
	s_delay_alu instid0(SALU_CYCLE_1)
	s_xor_b32 s2, exec_lo, s3
; %bb.717:
	v_cmp_ne_u32_e32 vcc_lo, 0, v173
	v_cndmask_b32_e32 v173, 35, v173, vcc_lo
; %bb.718:
	s_and_not1_saveexec_b32 s3, s2
	s_cbranch_execz .LBB78_724
; %bb.719:
	v_cmp_gt_f64_e32 vcc_lo, 0, v[160:161]
	v_cmp_gt_f64_e64 s2, 0, v[162:163]
	v_xor_b32_e32 v169, 0x80000000, v161
	v_xor_b32_e32 v177, 0x80000000, v163
	s_delay_alu instid0(VALU_DEP_2) | instskip(NEXT) | instid1(VALU_DEP_2)
	v_cndmask_b32_e32 v178, v161, v169, vcc_lo
	v_cndmask_b32_e64 v180, v163, v177, s2
	v_cndmask_b32_e32 v177, v160, v160, vcc_lo
	v_cndmask_b32_e64 v179, v162, v162, s2
	s_mov_b32 s2, exec_lo
	s_delay_alu instid0(VALU_DEP_1)
	v_cmpx_ngt_f64_e32 v[177:178], v[179:180]
	s_xor_b32 s2, exec_lo, s2
	s_cbranch_execz .LBB78_721
; %bb.720:
	v_div_scale_f64 v[177:178], null, v[162:163], v[162:163], v[160:161]
	v_div_scale_f64 v[183:184], vcc_lo, v[160:161], v[162:163], v[160:161]
	s_delay_alu instid0(VALU_DEP_2) | instskip(SKIP_2) | instid1(VALU_DEP_1)
	v_rcp_f64_e32 v[179:180], v[177:178]
	s_waitcnt_depctr 0xfff
	v_fma_f64 v[181:182], -v[177:178], v[179:180], 1.0
	v_fma_f64 v[179:180], v[179:180], v[181:182], v[179:180]
	s_delay_alu instid0(VALU_DEP_1) | instskip(NEXT) | instid1(VALU_DEP_1)
	v_fma_f64 v[181:182], -v[177:178], v[179:180], 1.0
	v_fma_f64 v[179:180], v[179:180], v[181:182], v[179:180]
	s_delay_alu instid0(VALU_DEP_1) | instskip(NEXT) | instid1(VALU_DEP_1)
	v_mul_f64 v[181:182], v[183:184], v[179:180]
	v_fma_f64 v[177:178], -v[177:178], v[181:182], v[183:184]
	s_delay_alu instid0(VALU_DEP_1) | instskip(NEXT) | instid1(VALU_DEP_1)
	v_div_fmas_f64 v[177:178], v[177:178], v[179:180], v[181:182]
	v_div_fixup_f64 v[177:178], v[177:178], v[162:163], v[160:161]
	s_delay_alu instid0(VALU_DEP_1) | instskip(NEXT) | instid1(VALU_DEP_1)
	v_fma_f64 v[160:161], v[160:161], v[177:178], v[162:163]
	v_div_scale_f64 v[162:163], null, v[160:161], v[160:161], 1.0
	s_delay_alu instid0(VALU_DEP_1) | instskip(SKIP_2) | instid1(VALU_DEP_1)
	v_rcp_f64_e32 v[179:180], v[162:163]
	s_waitcnt_depctr 0xfff
	v_fma_f64 v[181:182], -v[162:163], v[179:180], 1.0
	v_fma_f64 v[179:180], v[179:180], v[181:182], v[179:180]
	s_delay_alu instid0(VALU_DEP_1) | instskip(NEXT) | instid1(VALU_DEP_1)
	v_fma_f64 v[181:182], -v[162:163], v[179:180], 1.0
	v_fma_f64 v[179:180], v[179:180], v[181:182], v[179:180]
	v_div_scale_f64 v[181:182], vcc_lo, 1.0, v[160:161], 1.0
	s_delay_alu instid0(VALU_DEP_1) | instskip(NEXT) | instid1(VALU_DEP_1)
	v_mul_f64 v[183:184], v[181:182], v[179:180]
	v_fma_f64 v[162:163], -v[162:163], v[183:184], v[181:182]
	s_delay_alu instid0(VALU_DEP_1) | instskip(NEXT) | instid1(VALU_DEP_1)
	v_div_fmas_f64 v[162:163], v[162:163], v[179:180], v[183:184]
	v_div_fixup_f64 v[162:163], v[162:163], v[160:161], 1.0
	s_delay_alu instid0(VALU_DEP_1)
	v_mul_f64 v[160:161], v[177:178], v[162:163]
	v_xor_b32_e32 v163, 0x80000000, v163
.LBB78_721:
	s_and_not1_saveexec_b32 s2, s2
	s_cbranch_execz .LBB78_723
; %bb.722:
	s_delay_alu instid0(VALU_DEP_1) | instskip(SKIP_1) | instid1(VALU_DEP_2)
	v_div_scale_f64 v[177:178], null, v[160:161], v[160:161], v[162:163]
	v_div_scale_f64 v[183:184], vcc_lo, v[162:163], v[160:161], v[162:163]
	v_rcp_f64_e32 v[179:180], v[177:178]
	s_waitcnt_depctr 0xfff
	v_fma_f64 v[181:182], -v[177:178], v[179:180], 1.0
	s_delay_alu instid0(VALU_DEP_1) | instskip(NEXT) | instid1(VALU_DEP_1)
	v_fma_f64 v[179:180], v[179:180], v[181:182], v[179:180]
	v_fma_f64 v[181:182], -v[177:178], v[179:180], 1.0
	s_delay_alu instid0(VALU_DEP_1) | instskip(NEXT) | instid1(VALU_DEP_1)
	v_fma_f64 v[179:180], v[179:180], v[181:182], v[179:180]
	v_mul_f64 v[181:182], v[183:184], v[179:180]
	s_delay_alu instid0(VALU_DEP_1) | instskip(NEXT) | instid1(VALU_DEP_1)
	v_fma_f64 v[177:178], -v[177:178], v[181:182], v[183:184]
	v_div_fmas_f64 v[177:178], v[177:178], v[179:180], v[181:182]
	s_delay_alu instid0(VALU_DEP_1) | instskip(NEXT) | instid1(VALU_DEP_1)
	v_div_fixup_f64 v[177:178], v[177:178], v[160:161], v[162:163]
	v_fma_f64 v[160:161], v[162:163], v[177:178], v[160:161]
	s_delay_alu instid0(VALU_DEP_1) | instskip(NEXT) | instid1(VALU_DEP_1)
	v_div_scale_f64 v[162:163], null, v[160:161], v[160:161], 1.0
	v_rcp_f64_e32 v[179:180], v[162:163]
	s_waitcnt_depctr 0xfff
	v_fma_f64 v[181:182], -v[162:163], v[179:180], 1.0
	s_delay_alu instid0(VALU_DEP_1) | instskip(NEXT) | instid1(VALU_DEP_1)
	v_fma_f64 v[179:180], v[179:180], v[181:182], v[179:180]
	v_fma_f64 v[181:182], -v[162:163], v[179:180], 1.0
	s_delay_alu instid0(VALU_DEP_1) | instskip(SKIP_1) | instid1(VALU_DEP_1)
	v_fma_f64 v[179:180], v[179:180], v[181:182], v[179:180]
	v_div_scale_f64 v[181:182], vcc_lo, 1.0, v[160:161], 1.0
	v_mul_f64 v[183:184], v[181:182], v[179:180]
	s_delay_alu instid0(VALU_DEP_1) | instskip(NEXT) | instid1(VALU_DEP_1)
	v_fma_f64 v[162:163], -v[162:163], v[183:184], v[181:182]
	v_div_fmas_f64 v[162:163], v[162:163], v[179:180], v[183:184]
	s_delay_alu instid0(VALU_DEP_1) | instskip(NEXT) | instid1(VALU_DEP_1)
	v_div_fixup_f64 v[160:161], v[162:163], v[160:161], 1.0
	v_mul_f64 v[162:163], v[177:178], -v[160:161]
.LBB78_723:
	s_or_b32 exec_lo, exec_lo, s2
.LBB78_724:
	s_delay_alu instid0(SALU_CYCLE_1) | instskip(NEXT) | instid1(SALU_CYCLE_1)
	s_or_b32 exec_lo, exec_lo, s3
	s_mov_b32 s2, exec_lo
	v_cmpx_ne_u32_e64 v176, v168
	s_xor_b32 s2, exec_lo, s2
	s_cbranch_execz .LBB78_730
; %bb.725:
	s_mov_b32 s3, exec_lo
	v_cmpx_eq_u32_e32 34, v176
	s_cbranch_execz .LBB78_729
; %bb.726:
	v_cmp_ne_u32_e32 vcc_lo, 34, v168
	s_xor_b32 s6, s4, -1
	s_delay_alu instid0(SALU_CYCLE_1) | instskip(NEXT) | instid1(SALU_CYCLE_1)
	s_and_b32 s7, s6, vcc_lo
	s_and_saveexec_b32 s6, s7
	s_cbranch_execz .LBB78_728
; %bb.727:
	v_ashrrev_i32_e32 v169, 31, v168
	s_delay_alu instid0(VALU_DEP_1) | instskip(NEXT) | instid1(VALU_DEP_1)
	v_lshlrev_b64 v[175:176], 2, v[168:169]
	v_add_co_u32 v175, vcc_lo, v166, v175
	s_delay_alu instid0(VALU_DEP_2)
	v_add_co_ci_u32_e32 v176, vcc_lo, v167, v176, vcc_lo
	s_clause 0x1
	flat_load_b32 v169, v[175:176]
	flat_load_b32 v177, v[166:167] offset:136
	s_waitcnt vmcnt(1) lgkmcnt(1)
	flat_store_b32 v[166:167], v169 offset:136
	s_waitcnt vmcnt(0) lgkmcnt(1)
	flat_store_b32 v[175:176], v177
.LBB78_728:
	s_or_b32 exec_lo, exec_lo, s6
	v_mov_b32_e32 v176, v168
	v_mov_b32_e32 v175, v168
.LBB78_729:
	s_or_b32 exec_lo, exec_lo, s3
.LBB78_730:
	s_and_not1_saveexec_b32 s2, s2
	s_cbranch_execz .LBB78_732
; %bb.731:
	v_mov_b32_e32 v176, 34
	ds_store_2addr_b64 v170, v[16:17], v[18:19] offset0:70 offset1:71
	ds_store_2addr_b64 v170, v[12:13], v[14:15] offset0:72 offset1:73
	;; [unrolled: 1-line block ×5, first 2 shown]
.LBB78_732:
	s_or_b32 exec_lo, exec_lo, s2
	s_delay_alu instid0(SALU_CYCLE_1)
	s_mov_b32 s2, exec_lo
	s_waitcnt lgkmcnt(0)
	s_waitcnt_vscnt null, 0x0
	s_barrier
	buffer_gl0_inv
	v_cmpx_lt_i32_e32 34, v176
	s_cbranch_execz .LBB78_734
; %bb.733:
	v_mul_f64 v[168:169], v[160:161], v[22:23]
	v_mul_f64 v[22:23], v[162:163], v[22:23]
	ds_load_2addr_b64 v[177:180], v170 offset0:70 offset1:71
	ds_load_2addr_b64 v[181:184], v170 offset0:72 offset1:73
	;; [unrolled: 1-line block ×5, first 2 shown]
	v_fma_f64 v[162:163], v[162:163], v[20:21], v[168:169]
	v_fma_f64 v[20:21], v[160:161], v[20:21], -v[22:23]
	s_waitcnt lgkmcnt(4)
	s_delay_alu instid0(VALU_DEP_2)
	v_mul_f64 v[22:23], v[179:180], v[162:163]
	v_mul_f64 v[160:161], v[177:178], v[162:163]
	s_waitcnt lgkmcnt(3)
	v_mul_f64 v[168:169], v[183:184], v[162:163]
	v_mul_f64 v[197:198], v[181:182], v[162:163]
	s_waitcnt lgkmcnt(2)
	;; [unrolled: 3-line block ×4, first 2 shown]
	v_mul_f64 v[207:208], v[195:196], v[162:163]
	v_mul_f64 v[209:210], v[193:194], v[162:163]
	v_fma_f64 v[22:23], v[177:178], v[20:21], -v[22:23]
	v_fma_f64 v[160:161], v[179:180], v[20:21], v[160:161]
	v_fma_f64 v[168:169], v[181:182], v[20:21], -v[168:169]
	v_fma_f64 v[177:178], v[183:184], v[20:21], v[197:198]
	;; [unrolled: 2-line block ×5, first 2 shown]
	v_add_f64 v[16:17], v[16:17], -v[22:23]
	v_add_f64 v[18:19], v[18:19], -v[160:161]
	;; [unrolled: 1-line block ×10, first 2 shown]
	v_dual_mov_b32 v22, v162 :: v_dual_mov_b32 v23, v163
.LBB78_734:
	s_or_b32 exec_lo, exec_lo, s2
	v_lshl_add_u32 v160, v176, 4, v170
	s_barrier
	buffer_gl0_inv
	v_mov_b32_e32 v168, 35
	ds_store_2addr_b64 v160, v[16:17], v[18:19] offset1:1
	s_waitcnt lgkmcnt(0)
	s_barrier
	buffer_gl0_inv
	ds_load_2addr_b64 v[160:163], v170 offset0:70 offset1:71
	s_cmp_lt_i32 s5, 37
	s_cbranch_scc1 .LBB78_737
; %bb.735:
	v_add3_u32 v169, v174, 0, 0x240
	v_mov_b32_e32 v168, 35
	s_mov_b32 s6, 36
	s_set_inst_prefetch_distance 0x1
	.p2align	6
.LBB78_736:                             ; =>This Inner Loop Header: Depth=1
	ds_load_2addr_b64 v[177:180], v169 offset1:1
	s_waitcnt lgkmcnt(1)
	v_cmp_gt_f64_e32 vcc_lo, 0, v[160:161]
	v_xor_b32_e32 v181, 0x80000000, v161
	v_cmp_gt_f64_e64 s2, 0, v[162:163]
	v_xor_b32_e32 v183, 0x80000000, v163
	v_add_nc_u32_e32 v169, 16, v169
	s_waitcnt lgkmcnt(0)
	v_cmp_gt_f64_e64 s3, 0, v[177:178]
	v_mov_b32_e32 v185, v177
	v_dual_mov_b32 v187, v179 :: v_dual_cndmask_b32 v182, v161, v181
	v_xor_b32_e32 v181, 0x80000000, v178
	v_cndmask_b32_e64 v184, v163, v183, s2
	v_xor_b32_e32 v183, 0x80000000, v180
	s_delay_alu instid0(VALU_DEP_3) | instskip(SKIP_2) | instid1(VALU_DEP_2)
	v_cndmask_b32_e64 v186, v178, v181, s3
	v_cmp_gt_f64_e64 s3, 0, v[179:180]
	v_cndmask_b32_e32 v181, v160, v160, vcc_lo
	v_cndmask_b32_e64 v188, v180, v183, s3
	v_cndmask_b32_e64 v183, v162, v162, s2
	s_delay_alu instid0(VALU_DEP_2) | instskip(NEXT) | instid1(VALU_DEP_2)
	v_add_f64 v[185:186], v[185:186], v[187:188]
	v_add_f64 v[181:182], v[181:182], v[183:184]
	s_delay_alu instid0(VALU_DEP_1) | instskip(SKIP_4) | instid1(SALU_CYCLE_1)
	v_cmp_lt_f64_e32 vcc_lo, v[181:182], v[185:186]
	v_dual_cndmask_b32 v162, v162, v179 :: v_dual_cndmask_b32 v161, v161, v178
	v_dual_cndmask_b32 v160, v160, v177 :: v_dual_cndmask_b32 v163, v163, v180
	v_cndmask_b32_e64 v168, v168, s6, vcc_lo
	s_add_i32 s6, s6, 1
	s_cmp_lg_u32 s5, s6
	s_cbranch_scc1 .LBB78_736
.LBB78_737:
	s_set_inst_prefetch_distance 0x2
	s_waitcnt lgkmcnt(0)
	v_cmp_eq_f64_e32 vcc_lo, 0, v[160:161]
	v_cmp_eq_f64_e64 s2, 0, v[162:163]
	s_delay_alu instid0(VALU_DEP_1) | instskip(NEXT) | instid1(SALU_CYCLE_1)
	s_and_b32 s2, vcc_lo, s2
	s_and_saveexec_b32 s3, s2
	s_delay_alu instid0(SALU_CYCLE_1)
	s_xor_b32 s2, exec_lo, s3
; %bb.738:
	v_cmp_ne_u32_e32 vcc_lo, 0, v173
	v_cndmask_b32_e32 v173, 36, v173, vcc_lo
; %bb.739:
	s_and_not1_saveexec_b32 s3, s2
	s_cbranch_execz .LBB78_745
; %bb.740:
	v_cmp_gt_f64_e32 vcc_lo, 0, v[160:161]
	v_cmp_gt_f64_e64 s2, 0, v[162:163]
	v_xor_b32_e32 v169, 0x80000000, v161
	v_xor_b32_e32 v177, 0x80000000, v163
	s_delay_alu instid0(VALU_DEP_2) | instskip(NEXT) | instid1(VALU_DEP_2)
	v_cndmask_b32_e32 v178, v161, v169, vcc_lo
	v_cndmask_b32_e64 v180, v163, v177, s2
	v_cndmask_b32_e32 v177, v160, v160, vcc_lo
	v_cndmask_b32_e64 v179, v162, v162, s2
	s_mov_b32 s2, exec_lo
	s_delay_alu instid0(VALU_DEP_1)
	v_cmpx_ngt_f64_e32 v[177:178], v[179:180]
	s_xor_b32 s2, exec_lo, s2
	s_cbranch_execz .LBB78_742
; %bb.741:
	v_div_scale_f64 v[177:178], null, v[162:163], v[162:163], v[160:161]
	v_div_scale_f64 v[183:184], vcc_lo, v[160:161], v[162:163], v[160:161]
	s_delay_alu instid0(VALU_DEP_2) | instskip(SKIP_2) | instid1(VALU_DEP_1)
	v_rcp_f64_e32 v[179:180], v[177:178]
	s_waitcnt_depctr 0xfff
	v_fma_f64 v[181:182], -v[177:178], v[179:180], 1.0
	v_fma_f64 v[179:180], v[179:180], v[181:182], v[179:180]
	s_delay_alu instid0(VALU_DEP_1) | instskip(NEXT) | instid1(VALU_DEP_1)
	v_fma_f64 v[181:182], -v[177:178], v[179:180], 1.0
	v_fma_f64 v[179:180], v[179:180], v[181:182], v[179:180]
	s_delay_alu instid0(VALU_DEP_1) | instskip(NEXT) | instid1(VALU_DEP_1)
	v_mul_f64 v[181:182], v[183:184], v[179:180]
	v_fma_f64 v[177:178], -v[177:178], v[181:182], v[183:184]
	s_delay_alu instid0(VALU_DEP_1) | instskip(NEXT) | instid1(VALU_DEP_1)
	v_div_fmas_f64 v[177:178], v[177:178], v[179:180], v[181:182]
	v_div_fixup_f64 v[177:178], v[177:178], v[162:163], v[160:161]
	s_delay_alu instid0(VALU_DEP_1) | instskip(NEXT) | instid1(VALU_DEP_1)
	v_fma_f64 v[160:161], v[160:161], v[177:178], v[162:163]
	v_div_scale_f64 v[162:163], null, v[160:161], v[160:161], 1.0
	s_delay_alu instid0(VALU_DEP_1) | instskip(SKIP_2) | instid1(VALU_DEP_1)
	v_rcp_f64_e32 v[179:180], v[162:163]
	s_waitcnt_depctr 0xfff
	v_fma_f64 v[181:182], -v[162:163], v[179:180], 1.0
	v_fma_f64 v[179:180], v[179:180], v[181:182], v[179:180]
	s_delay_alu instid0(VALU_DEP_1) | instskip(NEXT) | instid1(VALU_DEP_1)
	v_fma_f64 v[181:182], -v[162:163], v[179:180], 1.0
	v_fma_f64 v[179:180], v[179:180], v[181:182], v[179:180]
	v_div_scale_f64 v[181:182], vcc_lo, 1.0, v[160:161], 1.0
	s_delay_alu instid0(VALU_DEP_1) | instskip(NEXT) | instid1(VALU_DEP_1)
	v_mul_f64 v[183:184], v[181:182], v[179:180]
	v_fma_f64 v[162:163], -v[162:163], v[183:184], v[181:182]
	s_delay_alu instid0(VALU_DEP_1) | instskip(NEXT) | instid1(VALU_DEP_1)
	v_div_fmas_f64 v[162:163], v[162:163], v[179:180], v[183:184]
	v_div_fixup_f64 v[162:163], v[162:163], v[160:161], 1.0
	s_delay_alu instid0(VALU_DEP_1)
	v_mul_f64 v[160:161], v[177:178], v[162:163]
	v_xor_b32_e32 v163, 0x80000000, v163
.LBB78_742:
	s_and_not1_saveexec_b32 s2, s2
	s_cbranch_execz .LBB78_744
; %bb.743:
	s_delay_alu instid0(VALU_DEP_1) | instskip(SKIP_1) | instid1(VALU_DEP_2)
	v_div_scale_f64 v[177:178], null, v[160:161], v[160:161], v[162:163]
	v_div_scale_f64 v[183:184], vcc_lo, v[162:163], v[160:161], v[162:163]
	v_rcp_f64_e32 v[179:180], v[177:178]
	s_waitcnt_depctr 0xfff
	v_fma_f64 v[181:182], -v[177:178], v[179:180], 1.0
	s_delay_alu instid0(VALU_DEP_1) | instskip(NEXT) | instid1(VALU_DEP_1)
	v_fma_f64 v[179:180], v[179:180], v[181:182], v[179:180]
	v_fma_f64 v[181:182], -v[177:178], v[179:180], 1.0
	s_delay_alu instid0(VALU_DEP_1) | instskip(NEXT) | instid1(VALU_DEP_1)
	v_fma_f64 v[179:180], v[179:180], v[181:182], v[179:180]
	v_mul_f64 v[181:182], v[183:184], v[179:180]
	s_delay_alu instid0(VALU_DEP_1) | instskip(NEXT) | instid1(VALU_DEP_1)
	v_fma_f64 v[177:178], -v[177:178], v[181:182], v[183:184]
	v_div_fmas_f64 v[177:178], v[177:178], v[179:180], v[181:182]
	s_delay_alu instid0(VALU_DEP_1) | instskip(NEXT) | instid1(VALU_DEP_1)
	v_div_fixup_f64 v[177:178], v[177:178], v[160:161], v[162:163]
	v_fma_f64 v[160:161], v[162:163], v[177:178], v[160:161]
	s_delay_alu instid0(VALU_DEP_1) | instskip(NEXT) | instid1(VALU_DEP_1)
	v_div_scale_f64 v[162:163], null, v[160:161], v[160:161], 1.0
	v_rcp_f64_e32 v[179:180], v[162:163]
	s_waitcnt_depctr 0xfff
	v_fma_f64 v[181:182], -v[162:163], v[179:180], 1.0
	s_delay_alu instid0(VALU_DEP_1) | instskip(NEXT) | instid1(VALU_DEP_1)
	v_fma_f64 v[179:180], v[179:180], v[181:182], v[179:180]
	v_fma_f64 v[181:182], -v[162:163], v[179:180], 1.0
	s_delay_alu instid0(VALU_DEP_1) | instskip(SKIP_1) | instid1(VALU_DEP_1)
	v_fma_f64 v[179:180], v[179:180], v[181:182], v[179:180]
	v_div_scale_f64 v[181:182], vcc_lo, 1.0, v[160:161], 1.0
	v_mul_f64 v[183:184], v[181:182], v[179:180]
	s_delay_alu instid0(VALU_DEP_1) | instskip(NEXT) | instid1(VALU_DEP_1)
	v_fma_f64 v[162:163], -v[162:163], v[183:184], v[181:182]
	v_div_fmas_f64 v[162:163], v[162:163], v[179:180], v[183:184]
	s_delay_alu instid0(VALU_DEP_1) | instskip(NEXT) | instid1(VALU_DEP_1)
	v_div_fixup_f64 v[160:161], v[162:163], v[160:161], 1.0
	v_mul_f64 v[162:163], v[177:178], -v[160:161]
.LBB78_744:
	s_or_b32 exec_lo, exec_lo, s2
.LBB78_745:
	s_delay_alu instid0(SALU_CYCLE_1) | instskip(NEXT) | instid1(SALU_CYCLE_1)
	s_or_b32 exec_lo, exec_lo, s3
	s_mov_b32 s2, exec_lo
	v_cmpx_ne_u32_e64 v176, v168
	s_xor_b32 s2, exec_lo, s2
	s_cbranch_execz .LBB78_751
; %bb.746:
	s_mov_b32 s3, exec_lo
	v_cmpx_eq_u32_e32 35, v176
	s_cbranch_execz .LBB78_750
; %bb.747:
	v_cmp_ne_u32_e32 vcc_lo, 35, v168
	s_xor_b32 s6, s4, -1
	s_delay_alu instid0(SALU_CYCLE_1) | instskip(NEXT) | instid1(SALU_CYCLE_1)
	s_and_b32 s7, s6, vcc_lo
	s_and_saveexec_b32 s6, s7
	s_cbranch_execz .LBB78_749
; %bb.748:
	v_ashrrev_i32_e32 v169, 31, v168
	s_delay_alu instid0(VALU_DEP_1) | instskip(NEXT) | instid1(VALU_DEP_1)
	v_lshlrev_b64 v[175:176], 2, v[168:169]
	v_add_co_u32 v175, vcc_lo, v166, v175
	s_delay_alu instid0(VALU_DEP_2)
	v_add_co_ci_u32_e32 v176, vcc_lo, v167, v176, vcc_lo
	s_clause 0x1
	flat_load_b32 v169, v[175:176]
	flat_load_b32 v177, v[166:167] offset:140
	s_waitcnt vmcnt(1) lgkmcnt(1)
	flat_store_b32 v[166:167], v169 offset:140
	s_waitcnt vmcnt(0) lgkmcnt(1)
	flat_store_b32 v[175:176], v177
.LBB78_749:
	s_or_b32 exec_lo, exec_lo, s6
	v_mov_b32_e32 v176, v168
	v_mov_b32_e32 v175, v168
.LBB78_750:
	s_or_b32 exec_lo, exec_lo, s3
.LBB78_751:
	s_and_not1_saveexec_b32 s2, s2
	s_cbranch_execz .LBB78_753
; %bb.752:
	v_mov_b32_e32 v176, 35
	ds_store_2addr_b64 v170, v[12:13], v[14:15] offset0:72 offset1:73
	ds_store_2addr_b64 v170, v[8:9], v[10:11] offset0:74 offset1:75
	;; [unrolled: 1-line block ×4, first 2 shown]
.LBB78_753:
	s_or_b32 exec_lo, exec_lo, s2
	s_delay_alu instid0(SALU_CYCLE_1)
	s_mov_b32 s2, exec_lo
	s_waitcnt lgkmcnt(0)
	s_waitcnt_vscnt null, 0x0
	s_barrier
	buffer_gl0_inv
	v_cmpx_lt_i32_e32 35, v176
	s_cbranch_execz .LBB78_755
; %bb.754:
	v_mul_f64 v[168:169], v[160:161], v[18:19]
	v_mul_f64 v[18:19], v[162:163], v[18:19]
	ds_load_2addr_b64 v[177:180], v170 offset0:72 offset1:73
	ds_load_2addr_b64 v[181:184], v170 offset0:74 offset1:75
	;; [unrolled: 1-line block ×4, first 2 shown]
	v_fma_f64 v[162:163], v[162:163], v[16:17], v[168:169]
	v_fma_f64 v[16:17], v[160:161], v[16:17], -v[18:19]
	s_waitcnt lgkmcnt(3)
	s_delay_alu instid0(VALU_DEP_2)
	v_mul_f64 v[18:19], v[179:180], v[162:163]
	v_mul_f64 v[160:161], v[177:178], v[162:163]
	s_waitcnt lgkmcnt(2)
	v_mul_f64 v[168:169], v[183:184], v[162:163]
	v_mul_f64 v[193:194], v[181:182], v[162:163]
	s_waitcnt lgkmcnt(1)
	;; [unrolled: 3-line block ×3, first 2 shown]
	v_mul_f64 v[199:200], v[191:192], v[162:163]
	v_mul_f64 v[201:202], v[189:190], v[162:163]
	v_fma_f64 v[18:19], v[177:178], v[16:17], -v[18:19]
	v_fma_f64 v[160:161], v[179:180], v[16:17], v[160:161]
	v_fma_f64 v[168:169], v[181:182], v[16:17], -v[168:169]
	v_fma_f64 v[177:178], v[183:184], v[16:17], v[193:194]
	;; [unrolled: 2-line block ×4, first 2 shown]
	v_add_f64 v[12:13], v[12:13], -v[18:19]
	v_add_f64 v[14:15], v[14:15], -v[160:161]
	;; [unrolled: 1-line block ×8, first 2 shown]
	v_dual_mov_b32 v18, v162 :: v_dual_mov_b32 v19, v163
.LBB78_755:
	s_or_b32 exec_lo, exec_lo, s2
	v_lshl_add_u32 v160, v176, 4, v170
	s_barrier
	buffer_gl0_inv
	v_mov_b32_e32 v168, 36
	ds_store_2addr_b64 v160, v[12:13], v[14:15] offset1:1
	s_waitcnt lgkmcnt(0)
	s_barrier
	buffer_gl0_inv
	ds_load_2addr_b64 v[160:163], v170 offset0:72 offset1:73
	s_cmp_lt_i32 s5, 38
	s_cbranch_scc1 .LBB78_758
; %bb.756:
	v_add3_u32 v169, v174, 0, 0x250
	v_mov_b32_e32 v168, 36
	s_mov_b32 s6, 37
	s_set_inst_prefetch_distance 0x1
	.p2align	6
.LBB78_757:                             ; =>This Inner Loop Header: Depth=1
	ds_load_2addr_b64 v[177:180], v169 offset1:1
	s_waitcnt lgkmcnt(1)
	v_cmp_gt_f64_e32 vcc_lo, 0, v[160:161]
	v_xor_b32_e32 v181, 0x80000000, v161
	v_cmp_gt_f64_e64 s2, 0, v[162:163]
	v_xor_b32_e32 v183, 0x80000000, v163
	v_add_nc_u32_e32 v169, 16, v169
	s_waitcnt lgkmcnt(0)
	v_cmp_gt_f64_e64 s3, 0, v[177:178]
	v_mov_b32_e32 v185, v177
	v_dual_mov_b32 v187, v179 :: v_dual_cndmask_b32 v182, v161, v181
	v_xor_b32_e32 v181, 0x80000000, v178
	v_cndmask_b32_e64 v184, v163, v183, s2
	v_xor_b32_e32 v183, 0x80000000, v180
	s_delay_alu instid0(VALU_DEP_3) | instskip(SKIP_2) | instid1(VALU_DEP_2)
	v_cndmask_b32_e64 v186, v178, v181, s3
	v_cmp_gt_f64_e64 s3, 0, v[179:180]
	v_cndmask_b32_e32 v181, v160, v160, vcc_lo
	v_cndmask_b32_e64 v188, v180, v183, s3
	v_cndmask_b32_e64 v183, v162, v162, s2
	s_delay_alu instid0(VALU_DEP_2) | instskip(NEXT) | instid1(VALU_DEP_2)
	v_add_f64 v[185:186], v[185:186], v[187:188]
	v_add_f64 v[181:182], v[181:182], v[183:184]
	s_delay_alu instid0(VALU_DEP_1) | instskip(SKIP_4) | instid1(SALU_CYCLE_1)
	v_cmp_lt_f64_e32 vcc_lo, v[181:182], v[185:186]
	v_dual_cndmask_b32 v162, v162, v179 :: v_dual_cndmask_b32 v161, v161, v178
	v_dual_cndmask_b32 v160, v160, v177 :: v_dual_cndmask_b32 v163, v163, v180
	v_cndmask_b32_e64 v168, v168, s6, vcc_lo
	s_add_i32 s6, s6, 1
	s_cmp_lg_u32 s5, s6
	s_cbranch_scc1 .LBB78_757
.LBB78_758:
	s_set_inst_prefetch_distance 0x2
	s_waitcnt lgkmcnt(0)
	v_cmp_eq_f64_e32 vcc_lo, 0, v[160:161]
	v_cmp_eq_f64_e64 s2, 0, v[162:163]
	s_delay_alu instid0(VALU_DEP_1) | instskip(NEXT) | instid1(SALU_CYCLE_1)
	s_and_b32 s2, vcc_lo, s2
	s_and_saveexec_b32 s3, s2
	s_delay_alu instid0(SALU_CYCLE_1)
	s_xor_b32 s2, exec_lo, s3
; %bb.759:
	v_cmp_ne_u32_e32 vcc_lo, 0, v173
	v_cndmask_b32_e32 v173, 37, v173, vcc_lo
; %bb.760:
	s_and_not1_saveexec_b32 s3, s2
	s_cbranch_execz .LBB78_766
; %bb.761:
	v_cmp_gt_f64_e32 vcc_lo, 0, v[160:161]
	v_cmp_gt_f64_e64 s2, 0, v[162:163]
	v_xor_b32_e32 v169, 0x80000000, v161
	v_xor_b32_e32 v177, 0x80000000, v163
	s_delay_alu instid0(VALU_DEP_2) | instskip(NEXT) | instid1(VALU_DEP_2)
	v_cndmask_b32_e32 v178, v161, v169, vcc_lo
	v_cndmask_b32_e64 v180, v163, v177, s2
	v_cndmask_b32_e32 v177, v160, v160, vcc_lo
	v_cndmask_b32_e64 v179, v162, v162, s2
	s_mov_b32 s2, exec_lo
	s_delay_alu instid0(VALU_DEP_1)
	v_cmpx_ngt_f64_e32 v[177:178], v[179:180]
	s_xor_b32 s2, exec_lo, s2
	s_cbranch_execz .LBB78_763
; %bb.762:
	v_div_scale_f64 v[177:178], null, v[162:163], v[162:163], v[160:161]
	v_div_scale_f64 v[183:184], vcc_lo, v[160:161], v[162:163], v[160:161]
	s_delay_alu instid0(VALU_DEP_2) | instskip(SKIP_2) | instid1(VALU_DEP_1)
	v_rcp_f64_e32 v[179:180], v[177:178]
	s_waitcnt_depctr 0xfff
	v_fma_f64 v[181:182], -v[177:178], v[179:180], 1.0
	v_fma_f64 v[179:180], v[179:180], v[181:182], v[179:180]
	s_delay_alu instid0(VALU_DEP_1) | instskip(NEXT) | instid1(VALU_DEP_1)
	v_fma_f64 v[181:182], -v[177:178], v[179:180], 1.0
	v_fma_f64 v[179:180], v[179:180], v[181:182], v[179:180]
	s_delay_alu instid0(VALU_DEP_1) | instskip(NEXT) | instid1(VALU_DEP_1)
	v_mul_f64 v[181:182], v[183:184], v[179:180]
	v_fma_f64 v[177:178], -v[177:178], v[181:182], v[183:184]
	s_delay_alu instid0(VALU_DEP_1) | instskip(NEXT) | instid1(VALU_DEP_1)
	v_div_fmas_f64 v[177:178], v[177:178], v[179:180], v[181:182]
	v_div_fixup_f64 v[177:178], v[177:178], v[162:163], v[160:161]
	s_delay_alu instid0(VALU_DEP_1) | instskip(NEXT) | instid1(VALU_DEP_1)
	v_fma_f64 v[160:161], v[160:161], v[177:178], v[162:163]
	v_div_scale_f64 v[162:163], null, v[160:161], v[160:161], 1.0
	s_delay_alu instid0(VALU_DEP_1) | instskip(SKIP_2) | instid1(VALU_DEP_1)
	v_rcp_f64_e32 v[179:180], v[162:163]
	s_waitcnt_depctr 0xfff
	v_fma_f64 v[181:182], -v[162:163], v[179:180], 1.0
	v_fma_f64 v[179:180], v[179:180], v[181:182], v[179:180]
	s_delay_alu instid0(VALU_DEP_1) | instskip(NEXT) | instid1(VALU_DEP_1)
	v_fma_f64 v[181:182], -v[162:163], v[179:180], 1.0
	v_fma_f64 v[179:180], v[179:180], v[181:182], v[179:180]
	v_div_scale_f64 v[181:182], vcc_lo, 1.0, v[160:161], 1.0
	s_delay_alu instid0(VALU_DEP_1) | instskip(NEXT) | instid1(VALU_DEP_1)
	v_mul_f64 v[183:184], v[181:182], v[179:180]
	v_fma_f64 v[162:163], -v[162:163], v[183:184], v[181:182]
	s_delay_alu instid0(VALU_DEP_1) | instskip(NEXT) | instid1(VALU_DEP_1)
	v_div_fmas_f64 v[162:163], v[162:163], v[179:180], v[183:184]
	v_div_fixup_f64 v[162:163], v[162:163], v[160:161], 1.0
	s_delay_alu instid0(VALU_DEP_1)
	v_mul_f64 v[160:161], v[177:178], v[162:163]
	v_xor_b32_e32 v163, 0x80000000, v163
.LBB78_763:
	s_and_not1_saveexec_b32 s2, s2
	s_cbranch_execz .LBB78_765
; %bb.764:
	s_delay_alu instid0(VALU_DEP_1) | instskip(SKIP_1) | instid1(VALU_DEP_2)
	v_div_scale_f64 v[177:178], null, v[160:161], v[160:161], v[162:163]
	v_div_scale_f64 v[183:184], vcc_lo, v[162:163], v[160:161], v[162:163]
	v_rcp_f64_e32 v[179:180], v[177:178]
	s_waitcnt_depctr 0xfff
	v_fma_f64 v[181:182], -v[177:178], v[179:180], 1.0
	s_delay_alu instid0(VALU_DEP_1) | instskip(NEXT) | instid1(VALU_DEP_1)
	v_fma_f64 v[179:180], v[179:180], v[181:182], v[179:180]
	v_fma_f64 v[181:182], -v[177:178], v[179:180], 1.0
	s_delay_alu instid0(VALU_DEP_1) | instskip(NEXT) | instid1(VALU_DEP_1)
	v_fma_f64 v[179:180], v[179:180], v[181:182], v[179:180]
	v_mul_f64 v[181:182], v[183:184], v[179:180]
	s_delay_alu instid0(VALU_DEP_1) | instskip(NEXT) | instid1(VALU_DEP_1)
	v_fma_f64 v[177:178], -v[177:178], v[181:182], v[183:184]
	v_div_fmas_f64 v[177:178], v[177:178], v[179:180], v[181:182]
	s_delay_alu instid0(VALU_DEP_1) | instskip(NEXT) | instid1(VALU_DEP_1)
	v_div_fixup_f64 v[177:178], v[177:178], v[160:161], v[162:163]
	v_fma_f64 v[160:161], v[162:163], v[177:178], v[160:161]
	s_delay_alu instid0(VALU_DEP_1) | instskip(NEXT) | instid1(VALU_DEP_1)
	v_div_scale_f64 v[162:163], null, v[160:161], v[160:161], 1.0
	v_rcp_f64_e32 v[179:180], v[162:163]
	s_waitcnt_depctr 0xfff
	v_fma_f64 v[181:182], -v[162:163], v[179:180], 1.0
	s_delay_alu instid0(VALU_DEP_1) | instskip(NEXT) | instid1(VALU_DEP_1)
	v_fma_f64 v[179:180], v[179:180], v[181:182], v[179:180]
	v_fma_f64 v[181:182], -v[162:163], v[179:180], 1.0
	s_delay_alu instid0(VALU_DEP_1) | instskip(SKIP_1) | instid1(VALU_DEP_1)
	v_fma_f64 v[179:180], v[179:180], v[181:182], v[179:180]
	v_div_scale_f64 v[181:182], vcc_lo, 1.0, v[160:161], 1.0
	v_mul_f64 v[183:184], v[181:182], v[179:180]
	s_delay_alu instid0(VALU_DEP_1) | instskip(NEXT) | instid1(VALU_DEP_1)
	v_fma_f64 v[162:163], -v[162:163], v[183:184], v[181:182]
	v_div_fmas_f64 v[162:163], v[162:163], v[179:180], v[183:184]
	s_delay_alu instid0(VALU_DEP_1) | instskip(NEXT) | instid1(VALU_DEP_1)
	v_div_fixup_f64 v[160:161], v[162:163], v[160:161], 1.0
	v_mul_f64 v[162:163], v[177:178], -v[160:161]
.LBB78_765:
	s_or_b32 exec_lo, exec_lo, s2
.LBB78_766:
	s_delay_alu instid0(SALU_CYCLE_1) | instskip(NEXT) | instid1(SALU_CYCLE_1)
	s_or_b32 exec_lo, exec_lo, s3
	s_mov_b32 s2, exec_lo
	v_cmpx_ne_u32_e64 v176, v168
	s_xor_b32 s2, exec_lo, s2
	s_cbranch_execz .LBB78_772
; %bb.767:
	s_mov_b32 s3, exec_lo
	v_cmpx_eq_u32_e32 36, v176
	s_cbranch_execz .LBB78_771
; %bb.768:
	v_cmp_ne_u32_e32 vcc_lo, 36, v168
	s_xor_b32 s6, s4, -1
	s_delay_alu instid0(SALU_CYCLE_1) | instskip(NEXT) | instid1(SALU_CYCLE_1)
	s_and_b32 s7, s6, vcc_lo
	s_and_saveexec_b32 s6, s7
	s_cbranch_execz .LBB78_770
; %bb.769:
	v_ashrrev_i32_e32 v169, 31, v168
	s_delay_alu instid0(VALU_DEP_1) | instskip(NEXT) | instid1(VALU_DEP_1)
	v_lshlrev_b64 v[175:176], 2, v[168:169]
	v_add_co_u32 v175, vcc_lo, v166, v175
	s_delay_alu instid0(VALU_DEP_2)
	v_add_co_ci_u32_e32 v176, vcc_lo, v167, v176, vcc_lo
	s_clause 0x1
	flat_load_b32 v169, v[175:176]
	flat_load_b32 v177, v[166:167] offset:144
	s_waitcnt vmcnt(1) lgkmcnt(1)
	flat_store_b32 v[166:167], v169 offset:144
	s_waitcnt vmcnt(0) lgkmcnt(1)
	flat_store_b32 v[175:176], v177
.LBB78_770:
	s_or_b32 exec_lo, exec_lo, s6
	v_mov_b32_e32 v176, v168
	v_mov_b32_e32 v175, v168
.LBB78_771:
	s_or_b32 exec_lo, exec_lo, s3
.LBB78_772:
	s_and_not1_saveexec_b32 s2, s2
	s_cbranch_execz .LBB78_774
; %bb.773:
	v_mov_b32_e32 v176, 36
	ds_store_2addr_b64 v170, v[8:9], v[10:11] offset0:74 offset1:75
	ds_store_2addr_b64 v170, v[4:5], v[6:7] offset0:76 offset1:77
	ds_store_2addr_b64 v170, v[0:1], v[2:3] offset0:78 offset1:79
.LBB78_774:
	s_or_b32 exec_lo, exec_lo, s2
	s_delay_alu instid0(SALU_CYCLE_1)
	s_mov_b32 s2, exec_lo
	s_waitcnt lgkmcnt(0)
	s_waitcnt_vscnt null, 0x0
	s_barrier
	buffer_gl0_inv
	v_cmpx_lt_i32_e32 36, v176
	s_cbranch_execz .LBB78_776
; %bb.775:
	v_mul_f64 v[168:169], v[160:161], v[14:15]
	v_mul_f64 v[14:15], v[162:163], v[14:15]
	ds_load_2addr_b64 v[177:180], v170 offset0:74 offset1:75
	ds_load_2addr_b64 v[181:184], v170 offset0:76 offset1:77
	;; [unrolled: 1-line block ×3, first 2 shown]
	v_fma_f64 v[162:163], v[162:163], v[12:13], v[168:169]
	v_fma_f64 v[12:13], v[160:161], v[12:13], -v[14:15]
	s_waitcnt lgkmcnt(2)
	s_delay_alu instid0(VALU_DEP_2)
	v_mul_f64 v[14:15], v[179:180], v[162:163]
	v_mul_f64 v[160:161], v[177:178], v[162:163]
	s_waitcnt lgkmcnt(1)
	v_mul_f64 v[168:169], v[183:184], v[162:163]
	v_mul_f64 v[189:190], v[181:182], v[162:163]
	s_waitcnt lgkmcnt(0)
	v_mul_f64 v[191:192], v[187:188], v[162:163]
	v_mul_f64 v[193:194], v[185:186], v[162:163]
	v_fma_f64 v[14:15], v[177:178], v[12:13], -v[14:15]
	v_fma_f64 v[160:161], v[179:180], v[12:13], v[160:161]
	v_fma_f64 v[168:169], v[181:182], v[12:13], -v[168:169]
	v_fma_f64 v[177:178], v[183:184], v[12:13], v[189:190]
	;; [unrolled: 2-line block ×3, first 2 shown]
	v_add_f64 v[8:9], v[8:9], -v[14:15]
	v_add_f64 v[10:11], v[10:11], -v[160:161]
	;; [unrolled: 1-line block ×6, first 2 shown]
	v_dual_mov_b32 v14, v162 :: v_dual_mov_b32 v15, v163
.LBB78_776:
	s_or_b32 exec_lo, exec_lo, s2
	v_lshl_add_u32 v160, v176, 4, v170
	s_barrier
	buffer_gl0_inv
	v_mov_b32_e32 v168, 37
	ds_store_2addr_b64 v160, v[8:9], v[10:11] offset1:1
	s_waitcnt lgkmcnt(0)
	s_barrier
	buffer_gl0_inv
	ds_load_2addr_b64 v[160:163], v170 offset0:74 offset1:75
	s_cmp_lt_i32 s5, 39
	s_cbranch_scc1 .LBB78_779
; %bb.777:
	v_add3_u32 v169, v174, 0, 0x260
	v_mov_b32_e32 v168, 37
	s_mov_b32 s6, 38
	s_set_inst_prefetch_distance 0x1
	.p2align	6
.LBB78_778:                             ; =>This Inner Loop Header: Depth=1
	ds_load_2addr_b64 v[177:180], v169 offset1:1
	s_waitcnt lgkmcnt(1)
	v_cmp_gt_f64_e32 vcc_lo, 0, v[160:161]
	v_xor_b32_e32 v181, 0x80000000, v161
	v_cmp_gt_f64_e64 s2, 0, v[162:163]
	v_xor_b32_e32 v183, 0x80000000, v163
	v_add_nc_u32_e32 v169, 16, v169
	s_waitcnt lgkmcnt(0)
	v_cmp_gt_f64_e64 s3, 0, v[177:178]
	v_mov_b32_e32 v185, v177
	v_dual_mov_b32 v187, v179 :: v_dual_cndmask_b32 v182, v161, v181
	v_xor_b32_e32 v181, 0x80000000, v178
	v_cndmask_b32_e64 v184, v163, v183, s2
	v_xor_b32_e32 v183, 0x80000000, v180
	s_delay_alu instid0(VALU_DEP_3) | instskip(SKIP_2) | instid1(VALU_DEP_2)
	v_cndmask_b32_e64 v186, v178, v181, s3
	v_cmp_gt_f64_e64 s3, 0, v[179:180]
	v_cndmask_b32_e32 v181, v160, v160, vcc_lo
	v_cndmask_b32_e64 v188, v180, v183, s3
	v_cndmask_b32_e64 v183, v162, v162, s2
	s_delay_alu instid0(VALU_DEP_2) | instskip(NEXT) | instid1(VALU_DEP_2)
	v_add_f64 v[185:186], v[185:186], v[187:188]
	v_add_f64 v[181:182], v[181:182], v[183:184]
	s_delay_alu instid0(VALU_DEP_1) | instskip(SKIP_4) | instid1(SALU_CYCLE_1)
	v_cmp_lt_f64_e32 vcc_lo, v[181:182], v[185:186]
	v_dual_cndmask_b32 v162, v162, v179 :: v_dual_cndmask_b32 v161, v161, v178
	v_dual_cndmask_b32 v160, v160, v177 :: v_dual_cndmask_b32 v163, v163, v180
	v_cndmask_b32_e64 v168, v168, s6, vcc_lo
	s_add_i32 s6, s6, 1
	s_cmp_lg_u32 s5, s6
	s_cbranch_scc1 .LBB78_778
.LBB78_779:
	s_set_inst_prefetch_distance 0x2
	s_waitcnt lgkmcnt(0)
	v_cmp_eq_f64_e32 vcc_lo, 0, v[160:161]
	v_cmp_eq_f64_e64 s2, 0, v[162:163]
	s_delay_alu instid0(VALU_DEP_1) | instskip(NEXT) | instid1(SALU_CYCLE_1)
	s_and_b32 s2, vcc_lo, s2
	s_and_saveexec_b32 s3, s2
	s_delay_alu instid0(SALU_CYCLE_1)
	s_xor_b32 s2, exec_lo, s3
; %bb.780:
	v_cmp_ne_u32_e32 vcc_lo, 0, v173
	v_cndmask_b32_e32 v173, 38, v173, vcc_lo
; %bb.781:
	s_and_not1_saveexec_b32 s3, s2
	s_cbranch_execz .LBB78_787
; %bb.782:
	v_cmp_gt_f64_e32 vcc_lo, 0, v[160:161]
	v_cmp_gt_f64_e64 s2, 0, v[162:163]
	v_xor_b32_e32 v169, 0x80000000, v161
	v_xor_b32_e32 v177, 0x80000000, v163
	s_delay_alu instid0(VALU_DEP_2) | instskip(NEXT) | instid1(VALU_DEP_2)
	v_cndmask_b32_e32 v178, v161, v169, vcc_lo
	v_cndmask_b32_e64 v180, v163, v177, s2
	v_cndmask_b32_e32 v177, v160, v160, vcc_lo
	v_cndmask_b32_e64 v179, v162, v162, s2
	s_mov_b32 s2, exec_lo
	s_delay_alu instid0(VALU_DEP_1)
	v_cmpx_ngt_f64_e32 v[177:178], v[179:180]
	s_xor_b32 s2, exec_lo, s2
	s_cbranch_execz .LBB78_784
; %bb.783:
	v_div_scale_f64 v[177:178], null, v[162:163], v[162:163], v[160:161]
	v_div_scale_f64 v[183:184], vcc_lo, v[160:161], v[162:163], v[160:161]
	s_delay_alu instid0(VALU_DEP_2) | instskip(SKIP_2) | instid1(VALU_DEP_1)
	v_rcp_f64_e32 v[179:180], v[177:178]
	s_waitcnt_depctr 0xfff
	v_fma_f64 v[181:182], -v[177:178], v[179:180], 1.0
	v_fma_f64 v[179:180], v[179:180], v[181:182], v[179:180]
	s_delay_alu instid0(VALU_DEP_1) | instskip(NEXT) | instid1(VALU_DEP_1)
	v_fma_f64 v[181:182], -v[177:178], v[179:180], 1.0
	v_fma_f64 v[179:180], v[179:180], v[181:182], v[179:180]
	s_delay_alu instid0(VALU_DEP_1) | instskip(NEXT) | instid1(VALU_DEP_1)
	v_mul_f64 v[181:182], v[183:184], v[179:180]
	v_fma_f64 v[177:178], -v[177:178], v[181:182], v[183:184]
	s_delay_alu instid0(VALU_DEP_1) | instskip(NEXT) | instid1(VALU_DEP_1)
	v_div_fmas_f64 v[177:178], v[177:178], v[179:180], v[181:182]
	v_div_fixup_f64 v[177:178], v[177:178], v[162:163], v[160:161]
	s_delay_alu instid0(VALU_DEP_1) | instskip(NEXT) | instid1(VALU_DEP_1)
	v_fma_f64 v[160:161], v[160:161], v[177:178], v[162:163]
	v_div_scale_f64 v[162:163], null, v[160:161], v[160:161], 1.0
	s_delay_alu instid0(VALU_DEP_1) | instskip(SKIP_2) | instid1(VALU_DEP_1)
	v_rcp_f64_e32 v[179:180], v[162:163]
	s_waitcnt_depctr 0xfff
	v_fma_f64 v[181:182], -v[162:163], v[179:180], 1.0
	v_fma_f64 v[179:180], v[179:180], v[181:182], v[179:180]
	s_delay_alu instid0(VALU_DEP_1) | instskip(NEXT) | instid1(VALU_DEP_1)
	v_fma_f64 v[181:182], -v[162:163], v[179:180], 1.0
	v_fma_f64 v[179:180], v[179:180], v[181:182], v[179:180]
	v_div_scale_f64 v[181:182], vcc_lo, 1.0, v[160:161], 1.0
	s_delay_alu instid0(VALU_DEP_1) | instskip(NEXT) | instid1(VALU_DEP_1)
	v_mul_f64 v[183:184], v[181:182], v[179:180]
	v_fma_f64 v[162:163], -v[162:163], v[183:184], v[181:182]
	s_delay_alu instid0(VALU_DEP_1) | instskip(NEXT) | instid1(VALU_DEP_1)
	v_div_fmas_f64 v[162:163], v[162:163], v[179:180], v[183:184]
	v_div_fixup_f64 v[162:163], v[162:163], v[160:161], 1.0
	s_delay_alu instid0(VALU_DEP_1)
	v_mul_f64 v[160:161], v[177:178], v[162:163]
	v_xor_b32_e32 v163, 0x80000000, v163
.LBB78_784:
	s_and_not1_saveexec_b32 s2, s2
	s_cbranch_execz .LBB78_786
; %bb.785:
	s_delay_alu instid0(VALU_DEP_1) | instskip(SKIP_1) | instid1(VALU_DEP_2)
	v_div_scale_f64 v[177:178], null, v[160:161], v[160:161], v[162:163]
	v_div_scale_f64 v[183:184], vcc_lo, v[162:163], v[160:161], v[162:163]
	v_rcp_f64_e32 v[179:180], v[177:178]
	s_waitcnt_depctr 0xfff
	v_fma_f64 v[181:182], -v[177:178], v[179:180], 1.0
	s_delay_alu instid0(VALU_DEP_1) | instskip(NEXT) | instid1(VALU_DEP_1)
	v_fma_f64 v[179:180], v[179:180], v[181:182], v[179:180]
	v_fma_f64 v[181:182], -v[177:178], v[179:180], 1.0
	s_delay_alu instid0(VALU_DEP_1) | instskip(NEXT) | instid1(VALU_DEP_1)
	v_fma_f64 v[179:180], v[179:180], v[181:182], v[179:180]
	v_mul_f64 v[181:182], v[183:184], v[179:180]
	s_delay_alu instid0(VALU_DEP_1) | instskip(NEXT) | instid1(VALU_DEP_1)
	v_fma_f64 v[177:178], -v[177:178], v[181:182], v[183:184]
	v_div_fmas_f64 v[177:178], v[177:178], v[179:180], v[181:182]
	s_delay_alu instid0(VALU_DEP_1) | instskip(NEXT) | instid1(VALU_DEP_1)
	v_div_fixup_f64 v[177:178], v[177:178], v[160:161], v[162:163]
	v_fma_f64 v[160:161], v[162:163], v[177:178], v[160:161]
	s_delay_alu instid0(VALU_DEP_1) | instskip(NEXT) | instid1(VALU_DEP_1)
	v_div_scale_f64 v[162:163], null, v[160:161], v[160:161], 1.0
	v_rcp_f64_e32 v[179:180], v[162:163]
	s_waitcnt_depctr 0xfff
	v_fma_f64 v[181:182], -v[162:163], v[179:180], 1.0
	s_delay_alu instid0(VALU_DEP_1) | instskip(NEXT) | instid1(VALU_DEP_1)
	v_fma_f64 v[179:180], v[179:180], v[181:182], v[179:180]
	v_fma_f64 v[181:182], -v[162:163], v[179:180], 1.0
	s_delay_alu instid0(VALU_DEP_1) | instskip(SKIP_1) | instid1(VALU_DEP_1)
	v_fma_f64 v[179:180], v[179:180], v[181:182], v[179:180]
	v_div_scale_f64 v[181:182], vcc_lo, 1.0, v[160:161], 1.0
	v_mul_f64 v[183:184], v[181:182], v[179:180]
	s_delay_alu instid0(VALU_DEP_1) | instskip(NEXT) | instid1(VALU_DEP_1)
	v_fma_f64 v[162:163], -v[162:163], v[183:184], v[181:182]
	v_div_fmas_f64 v[162:163], v[162:163], v[179:180], v[183:184]
	s_delay_alu instid0(VALU_DEP_1) | instskip(NEXT) | instid1(VALU_DEP_1)
	v_div_fixup_f64 v[160:161], v[162:163], v[160:161], 1.0
	v_mul_f64 v[162:163], v[177:178], -v[160:161]
.LBB78_786:
	s_or_b32 exec_lo, exec_lo, s2
.LBB78_787:
	s_delay_alu instid0(SALU_CYCLE_1) | instskip(NEXT) | instid1(SALU_CYCLE_1)
	s_or_b32 exec_lo, exec_lo, s3
	s_mov_b32 s2, exec_lo
	v_cmpx_ne_u32_e64 v176, v168
	s_xor_b32 s2, exec_lo, s2
	s_cbranch_execz .LBB78_793
; %bb.788:
	s_mov_b32 s3, exec_lo
	v_cmpx_eq_u32_e32 37, v176
	s_cbranch_execz .LBB78_792
; %bb.789:
	v_cmp_ne_u32_e32 vcc_lo, 37, v168
	s_xor_b32 s6, s4, -1
	s_delay_alu instid0(SALU_CYCLE_1) | instskip(NEXT) | instid1(SALU_CYCLE_1)
	s_and_b32 s7, s6, vcc_lo
	s_and_saveexec_b32 s6, s7
	s_cbranch_execz .LBB78_791
; %bb.790:
	v_ashrrev_i32_e32 v169, 31, v168
	s_delay_alu instid0(VALU_DEP_1) | instskip(NEXT) | instid1(VALU_DEP_1)
	v_lshlrev_b64 v[175:176], 2, v[168:169]
	v_add_co_u32 v175, vcc_lo, v166, v175
	s_delay_alu instid0(VALU_DEP_2)
	v_add_co_ci_u32_e32 v176, vcc_lo, v167, v176, vcc_lo
	s_clause 0x1
	flat_load_b32 v169, v[175:176]
	flat_load_b32 v177, v[166:167] offset:148
	s_waitcnt vmcnt(1) lgkmcnt(1)
	flat_store_b32 v[166:167], v169 offset:148
	s_waitcnt vmcnt(0) lgkmcnt(1)
	flat_store_b32 v[175:176], v177
.LBB78_791:
	s_or_b32 exec_lo, exec_lo, s6
	v_mov_b32_e32 v176, v168
	v_mov_b32_e32 v175, v168
.LBB78_792:
	s_or_b32 exec_lo, exec_lo, s3
.LBB78_793:
	s_and_not1_saveexec_b32 s2, s2
	s_cbranch_execz .LBB78_795
; %bb.794:
	v_mov_b32_e32 v176, 37
	ds_store_2addr_b64 v170, v[4:5], v[6:7] offset0:76 offset1:77
	ds_store_2addr_b64 v170, v[0:1], v[2:3] offset0:78 offset1:79
.LBB78_795:
	s_or_b32 exec_lo, exec_lo, s2
	s_delay_alu instid0(SALU_CYCLE_1)
	s_mov_b32 s2, exec_lo
	s_waitcnt lgkmcnt(0)
	s_waitcnt_vscnt null, 0x0
	s_barrier
	buffer_gl0_inv
	v_cmpx_lt_i32_e32 37, v176
	s_cbranch_execz .LBB78_797
; %bb.796:
	v_mul_f64 v[168:169], v[160:161], v[10:11]
	v_mul_f64 v[10:11], v[162:163], v[10:11]
	ds_load_2addr_b64 v[177:180], v170 offset0:76 offset1:77
	ds_load_2addr_b64 v[181:184], v170 offset0:78 offset1:79
	v_fma_f64 v[162:163], v[162:163], v[8:9], v[168:169]
	v_fma_f64 v[8:9], v[160:161], v[8:9], -v[10:11]
	s_waitcnt lgkmcnt(1)
	s_delay_alu instid0(VALU_DEP_2) | instskip(SKIP_4) | instid1(VALU_DEP_4)
	v_mul_f64 v[10:11], v[179:180], v[162:163]
	v_mul_f64 v[160:161], v[177:178], v[162:163]
	s_waitcnt lgkmcnt(0)
	v_mul_f64 v[168:169], v[183:184], v[162:163]
	v_mul_f64 v[185:186], v[181:182], v[162:163]
	v_fma_f64 v[10:11], v[177:178], v[8:9], -v[10:11]
	s_delay_alu instid0(VALU_DEP_4) | instskip(NEXT) | instid1(VALU_DEP_4)
	v_fma_f64 v[160:161], v[179:180], v[8:9], v[160:161]
	v_fma_f64 v[168:169], v[181:182], v[8:9], -v[168:169]
	s_delay_alu instid0(VALU_DEP_4) | instskip(NEXT) | instid1(VALU_DEP_4)
	v_fma_f64 v[177:178], v[183:184], v[8:9], v[185:186]
	v_add_f64 v[4:5], v[4:5], -v[10:11]
	s_delay_alu instid0(VALU_DEP_4) | instskip(NEXT) | instid1(VALU_DEP_4)
	v_add_f64 v[6:7], v[6:7], -v[160:161]
	v_add_f64 v[0:1], v[0:1], -v[168:169]
	s_delay_alu instid0(VALU_DEP_4)
	v_add_f64 v[2:3], v[2:3], -v[177:178]
	v_dual_mov_b32 v10, v162 :: v_dual_mov_b32 v11, v163
.LBB78_797:
	s_or_b32 exec_lo, exec_lo, s2
	v_lshl_add_u32 v160, v176, 4, v170
	s_barrier
	buffer_gl0_inv
	v_mov_b32_e32 v168, 38
	ds_store_2addr_b64 v160, v[4:5], v[6:7] offset1:1
	s_waitcnt lgkmcnt(0)
	s_barrier
	buffer_gl0_inv
	ds_load_2addr_b64 v[160:163], v170 offset0:76 offset1:77
	s_cmp_lt_i32 s5, 40
	s_cbranch_scc1 .LBB78_800
; %bb.798:
	v_add3_u32 v169, v174, 0, 0x270
	v_mov_b32_e32 v168, 38
	s_mov_b32 s6, 39
	s_set_inst_prefetch_distance 0x1
	.p2align	6
.LBB78_799:                             ; =>This Inner Loop Header: Depth=1
	ds_load_2addr_b64 v[177:180], v169 offset1:1
	s_waitcnt lgkmcnt(1)
	v_cmp_gt_f64_e32 vcc_lo, 0, v[160:161]
	v_xor_b32_e32 v181, 0x80000000, v161
	v_cmp_gt_f64_e64 s2, 0, v[162:163]
	v_xor_b32_e32 v183, 0x80000000, v163
	v_add_nc_u32_e32 v169, 16, v169
	s_waitcnt lgkmcnt(0)
	v_cmp_gt_f64_e64 s3, 0, v[177:178]
	v_mov_b32_e32 v185, v177
	v_dual_mov_b32 v187, v179 :: v_dual_cndmask_b32 v182, v161, v181
	v_xor_b32_e32 v181, 0x80000000, v178
	v_cndmask_b32_e64 v184, v163, v183, s2
	v_xor_b32_e32 v183, 0x80000000, v180
	s_delay_alu instid0(VALU_DEP_3) | instskip(SKIP_2) | instid1(VALU_DEP_2)
	v_cndmask_b32_e64 v186, v178, v181, s3
	v_cmp_gt_f64_e64 s3, 0, v[179:180]
	v_cndmask_b32_e32 v181, v160, v160, vcc_lo
	v_cndmask_b32_e64 v188, v180, v183, s3
	v_cndmask_b32_e64 v183, v162, v162, s2
	s_delay_alu instid0(VALU_DEP_2) | instskip(NEXT) | instid1(VALU_DEP_2)
	v_add_f64 v[185:186], v[185:186], v[187:188]
	v_add_f64 v[181:182], v[181:182], v[183:184]
	s_delay_alu instid0(VALU_DEP_1) | instskip(SKIP_4) | instid1(SALU_CYCLE_1)
	v_cmp_lt_f64_e32 vcc_lo, v[181:182], v[185:186]
	v_dual_cndmask_b32 v162, v162, v179 :: v_dual_cndmask_b32 v161, v161, v178
	v_dual_cndmask_b32 v160, v160, v177 :: v_dual_cndmask_b32 v163, v163, v180
	v_cndmask_b32_e64 v168, v168, s6, vcc_lo
	s_add_i32 s6, s6, 1
	s_cmp_lg_u32 s5, s6
	s_cbranch_scc1 .LBB78_799
.LBB78_800:
	s_set_inst_prefetch_distance 0x2
	s_waitcnt lgkmcnt(0)
	v_cmp_eq_f64_e32 vcc_lo, 0, v[160:161]
	v_cmp_eq_f64_e64 s2, 0, v[162:163]
	s_delay_alu instid0(VALU_DEP_1) | instskip(NEXT) | instid1(SALU_CYCLE_1)
	s_and_b32 s2, vcc_lo, s2
	s_and_saveexec_b32 s3, s2
	s_delay_alu instid0(SALU_CYCLE_1)
	s_xor_b32 s2, exec_lo, s3
; %bb.801:
	v_cmp_ne_u32_e32 vcc_lo, 0, v173
	v_cndmask_b32_e32 v173, 39, v173, vcc_lo
; %bb.802:
	s_and_not1_saveexec_b32 s3, s2
	s_cbranch_execz .LBB78_808
; %bb.803:
	v_cmp_gt_f64_e32 vcc_lo, 0, v[160:161]
	v_cmp_gt_f64_e64 s2, 0, v[162:163]
	v_xor_b32_e32 v169, 0x80000000, v161
	v_xor_b32_e32 v177, 0x80000000, v163
	s_delay_alu instid0(VALU_DEP_2) | instskip(NEXT) | instid1(VALU_DEP_2)
	v_cndmask_b32_e32 v178, v161, v169, vcc_lo
	v_cndmask_b32_e64 v180, v163, v177, s2
	v_cndmask_b32_e32 v177, v160, v160, vcc_lo
	v_cndmask_b32_e64 v179, v162, v162, s2
	s_mov_b32 s2, exec_lo
	s_delay_alu instid0(VALU_DEP_1)
	v_cmpx_ngt_f64_e32 v[177:178], v[179:180]
	s_xor_b32 s2, exec_lo, s2
	s_cbranch_execz .LBB78_805
; %bb.804:
	v_div_scale_f64 v[177:178], null, v[162:163], v[162:163], v[160:161]
	v_div_scale_f64 v[183:184], vcc_lo, v[160:161], v[162:163], v[160:161]
	s_delay_alu instid0(VALU_DEP_2) | instskip(SKIP_2) | instid1(VALU_DEP_1)
	v_rcp_f64_e32 v[179:180], v[177:178]
	s_waitcnt_depctr 0xfff
	v_fma_f64 v[181:182], -v[177:178], v[179:180], 1.0
	v_fma_f64 v[179:180], v[179:180], v[181:182], v[179:180]
	s_delay_alu instid0(VALU_DEP_1) | instskip(NEXT) | instid1(VALU_DEP_1)
	v_fma_f64 v[181:182], -v[177:178], v[179:180], 1.0
	v_fma_f64 v[179:180], v[179:180], v[181:182], v[179:180]
	s_delay_alu instid0(VALU_DEP_1) | instskip(NEXT) | instid1(VALU_DEP_1)
	v_mul_f64 v[181:182], v[183:184], v[179:180]
	v_fma_f64 v[177:178], -v[177:178], v[181:182], v[183:184]
	s_delay_alu instid0(VALU_DEP_1) | instskip(NEXT) | instid1(VALU_DEP_1)
	v_div_fmas_f64 v[177:178], v[177:178], v[179:180], v[181:182]
	v_div_fixup_f64 v[177:178], v[177:178], v[162:163], v[160:161]
	s_delay_alu instid0(VALU_DEP_1) | instskip(NEXT) | instid1(VALU_DEP_1)
	v_fma_f64 v[160:161], v[160:161], v[177:178], v[162:163]
	v_div_scale_f64 v[162:163], null, v[160:161], v[160:161], 1.0
	s_delay_alu instid0(VALU_DEP_1) | instskip(SKIP_2) | instid1(VALU_DEP_1)
	v_rcp_f64_e32 v[179:180], v[162:163]
	s_waitcnt_depctr 0xfff
	v_fma_f64 v[181:182], -v[162:163], v[179:180], 1.0
	v_fma_f64 v[179:180], v[179:180], v[181:182], v[179:180]
	s_delay_alu instid0(VALU_DEP_1) | instskip(NEXT) | instid1(VALU_DEP_1)
	v_fma_f64 v[181:182], -v[162:163], v[179:180], 1.0
	v_fma_f64 v[179:180], v[179:180], v[181:182], v[179:180]
	v_div_scale_f64 v[181:182], vcc_lo, 1.0, v[160:161], 1.0
	s_delay_alu instid0(VALU_DEP_1) | instskip(NEXT) | instid1(VALU_DEP_1)
	v_mul_f64 v[183:184], v[181:182], v[179:180]
	v_fma_f64 v[162:163], -v[162:163], v[183:184], v[181:182]
	s_delay_alu instid0(VALU_DEP_1) | instskip(NEXT) | instid1(VALU_DEP_1)
	v_div_fmas_f64 v[162:163], v[162:163], v[179:180], v[183:184]
	v_div_fixup_f64 v[162:163], v[162:163], v[160:161], 1.0
	s_delay_alu instid0(VALU_DEP_1)
	v_mul_f64 v[160:161], v[177:178], v[162:163]
	v_xor_b32_e32 v163, 0x80000000, v163
.LBB78_805:
	s_and_not1_saveexec_b32 s2, s2
	s_cbranch_execz .LBB78_807
; %bb.806:
	s_delay_alu instid0(VALU_DEP_1) | instskip(SKIP_1) | instid1(VALU_DEP_2)
	v_div_scale_f64 v[177:178], null, v[160:161], v[160:161], v[162:163]
	v_div_scale_f64 v[183:184], vcc_lo, v[162:163], v[160:161], v[162:163]
	v_rcp_f64_e32 v[179:180], v[177:178]
	s_waitcnt_depctr 0xfff
	v_fma_f64 v[181:182], -v[177:178], v[179:180], 1.0
	s_delay_alu instid0(VALU_DEP_1) | instskip(NEXT) | instid1(VALU_DEP_1)
	v_fma_f64 v[179:180], v[179:180], v[181:182], v[179:180]
	v_fma_f64 v[181:182], -v[177:178], v[179:180], 1.0
	s_delay_alu instid0(VALU_DEP_1) | instskip(NEXT) | instid1(VALU_DEP_1)
	v_fma_f64 v[179:180], v[179:180], v[181:182], v[179:180]
	v_mul_f64 v[181:182], v[183:184], v[179:180]
	s_delay_alu instid0(VALU_DEP_1) | instskip(NEXT) | instid1(VALU_DEP_1)
	v_fma_f64 v[177:178], -v[177:178], v[181:182], v[183:184]
	v_div_fmas_f64 v[177:178], v[177:178], v[179:180], v[181:182]
	s_delay_alu instid0(VALU_DEP_1) | instskip(NEXT) | instid1(VALU_DEP_1)
	v_div_fixup_f64 v[177:178], v[177:178], v[160:161], v[162:163]
	v_fma_f64 v[160:161], v[162:163], v[177:178], v[160:161]
	s_delay_alu instid0(VALU_DEP_1) | instskip(NEXT) | instid1(VALU_DEP_1)
	v_div_scale_f64 v[162:163], null, v[160:161], v[160:161], 1.0
	v_rcp_f64_e32 v[179:180], v[162:163]
	s_waitcnt_depctr 0xfff
	v_fma_f64 v[181:182], -v[162:163], v[179:180], 1.0
	s_delay_alu instid0(VALU_DEP_1) | instskip(NEXT) | instid1(VALU_DEP_1)
	v_fma_f64 v[179:180], v[179:180], v[181:182], v[179:180]
	v_fma_f64 v[181:182], -v[162:163], v[179:180], 1.0
	s_delay_alu instid0(VALU_DEP_1) | instskip(SKIP_1) | instid1(VALU_DEP_1)
	v_fma_f64 v[179:180], v[179:180], v[181:182], v[179:180]
	v_div_scale_f64 v[181:182], vcc_lo, 1.0, v[160:161], 1.0
	v_mul_f64 v[183:184], v[181:182], v[179:180]
	s_delay_alu instid0(VALU_DEP_1) | instskip(NEXT) | instid1(VALU_DEP_1)
	v_fma_f64 v[162:163], -v[162:163], v[183:184], v[181:182]
	v_div_fmas_f64 v[162:163], v[162:163], v[179:180], v[183:184]
	s_delay_alu instid0(VALU_DEP_1) | instskip(NEXT) | instid1(VALU_DEP_1)
	v_div_fixup_f64 v[160:161], v[162:163], v[160:161], 1.0
	v_mul_f64 v[162:163], v[177:178], -v[160:161]
.LBB78_807:
	s_or_b32 exec_lo, exec_lo, s2
.LBB78_808:
	s_delay_alu instid0(SALU_CYCLE_1) | instskip(NEXT) | instid1(SALU_CYCLE_1)
	s_or_b32 exec_lo, exec_lo, s3
	s_mov_b32 s2, exec_lo
	v_cmpx_ne_u32_e64 v176, v168
	s_xor_b32 s2, exec_lo, s2
	s_cbranch_execz .LBB78_814
; %bb.809:
	s_mov_b32 s3, exec_lo
	v_cmpx_eq_u32_e32 38, v176
	s_cbranch_execz .LBB78_813
; %bb.810:
	v_cmp_ne_u32_e32 vcc_lo, 38, v168
	s_xor_b32 s6, s4, -1
	s_delay_alu instid0(SALU_CYCLE_1) | instskip(NEXT) | instid1(SALU_CYCLE_1)
	s_and_b32 s7, s6, vcc_lo
	s_and_saveexec_b32 s6, s7
	s_cbranch_execz .LBB78_812
; %bb.811:
	v_ashrrev_i32_e32 v169, 31, v168
	s_delay_alu instid0(VALU_DEP_1) | instskip(NEXT) | instid1(VALU_DEP_1)
	v_lshlrev_b64 v[175:176], 2, v[168:169]
	v_add_co_u32 v175, vcc_lo, v166, v175
	s_delay_alu instid0(VALU_DEP_2)
	v_add_co_ci_u32_e32 v176, vcc_lo, v167, v176, vcc_lo
	s_clause 0x1
	flat_load_b32 v169, v[175:176]
	flat_load_b32 v177, v[166:167] offset:152
	s_waitcnt vmcnt(1) lgkmcnt(1)
	flat_store_b32 v[166:167], v169 offset:152
	s_waitcnt vmcnt(0) lgkmcnt(1)
	flat_store_b32 v[175:176], v177
.LBB78_812:
	s_or_b32 exec_lo, exec_lo, s6
	v_mov_b32_e32 v176, v168
	v_mov_b32_e32 v175, v168
.LBB78_813:
	s_or_b32 exec_lo, exec_lo, s3
.LBB78_814:
	s_and_not1_saveexec_b32 s2, s2
	s_cbranch_execz .LBB78_816
; %bb.815:
	v_mov_b32_e32 v176, 38
	ds_store_2addr_b64 v170, v[0:1], v[2:3] offset0:78 offset1:79
.LBB78_816:
	s_or_b32 exec_lo, exec_lo, s2
	s_delay_alu instid0(SALU_CYCLE_1)
	s_mov_b32 s2, exec_lo
	s_waitcnt lgkmcnt(0)
	s_waitcnt_vscnt null, 0x0
	s_barrier
	buffer_gl0_inv
	v_cmpx_lt_i32_e32 38, v176
	s_cbranch_execz .LBB78_818
; %bb.817:
	v_mul_f64 v[168:169], v[160:161], v[6:7]
	v_mul_f64 v[6:7], v[162:163], v[6:7]
	ds_load_2addr_b64 v[177:180], v170 offset0:78 offset1:79
	v_fma_f64 v[162:163], v[162:163], v[4:5], v[168:169]
	v_fma_f64 v[4:5], v[160:161], v[4:5], -v[6:7]
	s_waitcnt lgkmcnt(0)
	s_delay_alu instid0(VALU_DEP_2) | instskip(SKIP_1) | instid1(VALU_DEP_2)
	v_mul_f64 v[6:7], v[179:180], v[162:163]
	v_mul_f64 v[160:161], v[177:178], v[162:163]
	v_fma_f64 v[6:7], v[177:178], v[4:5], -v[6:7]
	s_delay_alu instid0(VALU_DEP_2) | instskip(NEXT) | instid1(VALU_DEP_2)
	v_fma_f64 v[160:161], v[179:180], v[4:5], v[160:161]
	v_add_f64 v[0:1], v[0:1], -v[6:7]
	s_delay_alu instid0(VALU_DEP_2)
	v_add_f64 v[2:3], v[2:3], -v[160:161]
	v_dual_mov_b32 v6, v162 :: v_dual_mov_b32 v7, v163
.LBB78_818:
	s_or_b32 exec_lo, exec_lo, s2
	v_lshl_add_u32 v160, v176, 4, v170
	s_barrier
	buffer_gl0_inv
	v_mov_b32_e32 v168, 39
	ds_store_2addr_b64 v160, v[0:1], v[2:3] offset1:1
	s_waitcnt lgkmcnt(0)
	s_barrier
	buffer_gl0_inv
	ds_load_2addr_b64 v[160:163], v170 offset0:78 offset1:79
	s_cmp_lt_i32 s5, 41
	s_cbranch_scc1 .LBB78_821
; %bb.819:
	v_add3_u32 v169, v174, 0, 0x280
	v_mov_b32_e32 v168, 39
	s_mov_b32 s6, 40
	s_set_inst_prefetch_distance 0x1
	.p2align	6
.LBB78_820:                             ; =>This Inner Loop Header: Depth=1
	ds_load_2addr_b64 v[177:180], v169 offset1:1
	s_waitcnt lgkmcnt(1)
	v_cmp_gt_f64_e32 vcc_lo, 0, v[160:161]
	v_xor_b32_e32 v170, 0x80000000, v161
	v_cmp_gt_f64_e64 s2, 0, v[162:163]
	v_xor_b32_e32 v174, 0x80000000, v163
	v_add_nc_u32_e32 v169, 16, v169
	s_waitcnt lgkmcnt(0)
	v_cmp_gt_f64_e64 s3, 0, v[177:178]
	v_mov_b32_e32 v185, v177
	v_dual_mov_b32 v187, v179 :: v_dual_cndmask_b32 v182, v161, v170
	v_xor_b32_e32 v170, 0x80000000, v178
	v_cndmask_b32_e64 v184, v163, v174, s2
	v_xor_b32_e32 v174, 0x80000000, v180
	v_cndmask_b32_e32 v181, v160, v160, vcc_lo
	v_cndmask_b32_e64 v183, v162, v162, s2
	s_delay_alu instid0(VALU_DEP_1) | instskip(SKIP_2) | instid1(VALU_DEP_1)
	v_add_f64 v[181:182], v[181:182], v[183:184]
	v_cndmask_b32_e64 v186, v178, v170, s3
	v_cmp_gt_f64_e64 s3, 0, v[179:180]
	v_cndmask_b32_e64 v188, v180, v174, s3
	s_delay_alu instid0(VALU_DEP_1) | instskip(NEXT) | instid1(VALU_DEP_1)
	v_add_f64 v[185:186], v[185:186], v[187:188]
	v_cmp_lt_f64_e32 vcc_lo, v[181:182], v[185:186]
	v_dual_cndmask_b32 v162, v162, v179 :: v_dual_cndmask_b32 v161, v161, v178
	v_dual_cndmask_b32 v160, v160, v177 :: v_dual_cndmask_b32 v163, v163, v180
	v_cndmask_b32_e64 v168, v168, s6, vcc_lo
	s_add_i32 s6, s6, 1
	s_delay_alu instid0(SALU_CYCLE_1)
	s_cmp_lg_u32 s5, s6
	s_cbranch_scc1 .LBB78_820
.LBB78_821:
	s_set_inst_prefetch_distance 0x2
	s_waitcnt lgkmcnt(0)
	v_cmp_eq_f64_e32 vcc_lo, 0, v[160:161]
	v_cmp_eq_f64_e64 s2, 0, v[162:163]
	s_delay_alu instid0(VALU_DEP_1) | instskip(NEXT) | instid1(SALU_CYCLE_1)
	s_and_b32 s2, vcc_lo, s2
	s_and_saveexec_b32 s3, s2
	s_delay_alu instid0(SALU_CYCLE_1)
	s_xor_b32 s2, exec_lo, s3
; %bb.822:
	v_cmp_ne_u32_e32 vcc_lo, 0, v173
	v_cndmask_b32_e32 v173, 40, v173, vcc_lo
; %bb.823:
	s_and_not1_saveexec_b32 s3, s2
	s_cbranch_execz .LBB78_829
; %bb.824:
	v_cmp_gt_f64_e32 vcc_lo, 0, v[160:161]
	v_cmp_gt_f64_e64 s2, 0, v[162:163]
	v_xor_b32_e32 v169, 0x80000000, v161
	v_xor_b32_e32 v174, 0x80000000, v163
	s_delay_alu instid0(VALU_DEP_2) | instskip(NEXT) | instid1(VALU_DEP_2)
	v_dual_cndmask_b32 v170, v161, v169 :: v_dual_cndmask_b32 v169, v160, v160
	v_cndmask_b32_e64 v178, v163, v174, s2
	v_cndmask_b32_e64 v177, v162, v162, s2
	s_mov_b32 s2, exec_lo
	s_delay_alu instid0(VALU_DEP_1)
	v_cmpx_ngt_f64_e32 v[169:170], v[177:178]
	s_xor_b32 s2, exec_lo, s2
	s_cbranch_execz .LBB78_826
; %bb.825:
	v_div_scale_f64 v[169:170], null, v[162:163], v[162:163], v[160:161]
	v_div_scale_f64 v[181:182], vcc_lo, v[160:161], v[162:163], v[160:161]
	s_delay_alu instid0(VALU_DEP_2) | instskip(SKIP_2) | instid1(VALU_DEP_1)
	v_rcp_f64_e32 v[177:178], v[169:170]
	s_waitcnt_depctr 0xfff
	v_fma_f64 v[179:180], -v[169:170], v[177:178], 1.0
	v_fma_f64 v[177:178], v[177:178], v[179:180], v[177:178]
	s_delay_alu instid0(VALU_DEP_1) | instskip(NEXT) | instid1(VALU_DEP_1)
	v_fma_f64 v[179:180], -v[169:170], v[177:178], 1.0
	v_fma_f64 v[177:178], v[177:178], v[179:180], v[177:178]
	s_delay_alu instid0(VALU_DEP_1) | instskip(NEXT) | instid1(VALU_DEP_1)
	v_mul_f64 v[179:180], v[181:182], v[177:178]
	v_fma_f64 v[169:170], -v[169:170], v[179:180], v[181:182]
	s_delay_alu instid0(VALU_DEP_1) | instskip(NEXT) | instid1(VALU_DEP_1)
	v_div_fmas_f64 v[169:170], v[169:170], v[177:178], v[179:180]
	v_div_fixup_f64 v[169:170], v[169:170], v[162:163], v[160:161]
	s_delay_alu instid0(VALU_DEP_1) | instskip(NEXT) | instid1(VALU_DEP_1)
	v_fma_f64 v[160:161], v[160:161], v[169:170], v[162:163]
	v_div_scale_f64 v[162:163], null, v[160:161], v[160:161], 1.0
	s_delay_alu instid0(VALU_DEP_1) | instskip(SKIP_2) | instid1(VALU_DEP_1)
	v_rcp_f64_e32 v[177:178], v[162:163]
	s_waitcnt_depctr 0xfff
	v_fma_f64 v[179:180], -v[162:163], v[177:178], 1.0
	v_fma_f64 v[177:178], v[177:178], v[179:180], v[177:178]
	s_delay_alu instid0(VALU_DEP_1) | instskip(NEXT) | instid1(VALU_DEP_1)
	v_fma_f64 v[179:180], -v[162:163], v[177:178], 1.0
	v_fma_f64 v[177:178], v[177:178], v[179:180], v[177:178]
	v_div_scale_f64 v[179:180], vcc_lo, 1.0, v[160:161], 1.0
	s_delay_alu instid0(VALU_DEP_1) | instskip(NEXT) | instid1(VALU_DEP_1)
	v_mul_f64 v[181:182], v[179:180], v[177:178]
	v_fma_f64 v[162:163], -v[162:163], v[181:182], v[179:180]
	s_delay_alu instid0(VALU_DEP_1) | instskip(NEXT) | instid1(VALU_DEP_1)
	v_div_fmas_f64 v[162:163], v[162:163], v[177:178], v[181:182]
	v_div_fixup_f64 v[162:163], v[162:163], v[160:161], 1.0
	s_delay_alu instid0(VALU_DEP_1)
	v_mul_f64 v[160:161], v[169:170], v[162:163]
	v_xor_b32_e32 v163, 0x80000000, v163
.LBB78_826:
	s_and_not1_saveexec_b32 s2, s2
	s_cbranch_execz .LBB78_828
; %bb.827:
	s_delay_alu instid0(VALU_DEP_1) | instskip(SKIP_1) | instid1(VALU_DEP_2)
	v_div_scale_f64 v[169:170], null, v[160:161], v[160:161], v[162:163]
	v_div_scale_f64 v[181:182], vcc_lo, v[162:163], v[160:161], v[162:163]
	v_rcp_f64_e32 v[177:178], v[169:170]
	s_waitcnt_depctr 0xfff
	v_fma_f64 v[179:180], -v[169:170], v[177:178], 1.0
	s_delay_alu instid0(VALU_DEP_1) | instskip(NEXT) | instid1(VALU_DEP_1)
	v_fma_f64 v[177:178], v[177:178], v[179:180], v[177:178]
	v_fma_f64 v[179:180], -v[169:170], v[177:178], 1.0
	s_delay_alu instid0(VALU_DEP_1) | instskip(NEXT) | instid1(VALU_DEP_1)
	v_fma_f64 v[177:178], v[177:178], v[179:180], v[177:178]
	v_mul_f64 v[179:180], v[181:182], v[177:178]
	s_delay_alu instid0(VALU_DEP_1) | instskip(NEXT) | instid1(VALU_DEP_1)
	v_fma_f64 v[169:170], -v[169:170], v[179:180], v[181:182]
	v_div_fmas_f64 v[169:170], v[169:170], v[177:178], v[179:180]
	s_delay_alu instid0(VALU_DEP_1) | instskip(NEXT) | instid1(VALU_DEP_1)
	v_div_fixup_f64 v[169:170], v[169:170], v[160:161], v[162:163]
	v_fma_f64 v[160:161], v[162:163], v[169:170], v[160:161]
	s_delay_alu instid0(VALU_DEP_1) | instskip(NEXT) | instid1(VALU_DEP_1)
	v_div_scale_f64 v[162:163], null, v[160:161], v[160:161], 1.0
	v_rcp_f64_e32 v[177:178], v[162:163]
	s_waitcnt_depctr 0xfff
	v_fma_f64 v[179:180], -v[162:163], v[177:178], 1.0
	s_delay_alu instid0(VALU_DEP_1) | instskip(NEXT) | instid1(VALU_DEP_1)
	v_fma_f64 v[177:178], v[177:178], v[179:180], v[177:178]
	v_fma_f64 v[179:180], -v[162:163], v[177:178], 1.0
	s_delay_alu instid0(VALU_DEP_1) | instskip(SKIP_1) | instid1(VALU_DEP_1)
	v_fma_f64 v[177:178], v[177:178], v[179:180], v[177:178]
	v_div_scale_f64 v[179:180], vcc_lo, 1.0, v[160:161], 1.0
	v_mul_f64 v[181:182], v[179:180], v[177:178]
	s_delay_alu instid0(VALU_DEP_1) | instskip(NEXT) | instid1(VALU_DEP_1)
	v_fma_f64 v[162:163], -v[162:163], v[181:182], v[179:180]
	v_div_fmas_f64 v[162:163], v[162:163], v[177:178], v[181:182]
	s_delay_alu instid0(VALU_DEP_1) | instskip(NEXT) | instid1(VALU_DEP_1)
	v_div_fixup_f64 v[160:161], v[162:163], v[160:161], 1.0
	v_mul_f64 v[162:163], v[169:170], -v[160:161]
.LBB78_828:
	s_or_b32 exec_lo, exec_lo, s2
.LBB78_829:
	s_delay_alu instid0(SALU_CYCLE_1)
	s_or_b32 exec_lo, exec_lo, s3
	v_mov_b32_e32 v169, 39
	s_mov_b32 s2, exec_lo
	v_cmpx_ne_u32_e64 v176, v168
	s_cbranch_execz .LBB78_835
; %bb.830:
	s_mov_b32 s3, exec_lo
	v_cmpx_eq_u32_e32 39, v176
	s_cbranch_execz .LBB78_834
; %bb.831:
	v_cmp_ne_u32_e32 vcc_lo, 39, v168
	s_xor_b32 s4, s4, -1
	s_delay_alu instid0(SALU_CYCLE_1) | instskip(NEXT) | instid1(SALU_CYCLE_1)
	s_and_b32 s5, s4, vcc_lo
	s_and_saveexec_b32 s4, s5
	s_cbranch_execz .LBB78_833
; %bb.832:
	v_ashrrev_i32_e32 v169, 31, v168
	s_delay_alu instid0(VALU_DEP_1) | instskip(NEXT) | instid1(VALU_DEP_1)
	v_lshlrev_b64 v[169:170], 2, v[168:169]
	v_add_co_u32 v169, vcc_lo, v166, v169
	s_delay_alu instid0(VALU_DEP_2)
	v_add_co_ci_u32_e32 v170, vcc_lo, v167, v170, vcc_lo
	s_clause 0x1
	flat_load_b32 v174, v[169:170]
	flat_load_b32 v175, v[166:167] offset:156
	s_waitcnt vmcnt(1) lgkmcnt(1)
	flat_store_b32 v[166:167], v174 offset:156
	s_waitcnt vmcnt(0) lgkmcnt(1)
	flat_store_b32 v[169:170], v175
.LBB78_833:
	s_or_b32 exec_lo, exec_lo, s4
	v_mov_b32_e32 v176, v168
	v_mov_b32_e32 v175, v168
.LBB78_834:
	s_or_b32 exec_lo, exec_lo, s3
	s_delay_alu instid0(VALU_DEP_2)
	v_mov_b32_e32 v169, v176
.LBB78_835:
	s_or_b32 exec_lo, exec_lo, s2
	s_delay_alu instid0(SALU_CYCLE_1)
	s_mov_b32 s2, exec_lo
	s_waitcnt lgkmcnt(0)
	s_waitcnt_vscnt null, 0x0
	s_barrier
	buffer_gl0_inv
	v_cmpx_lt_i32_e32 39, v169
; %bb.836:
	v_mul_f64 v[166:167], v[162:163], v[2:3]
	v_mul_f64 v[2:3], v[160:161], v[2:3]
	s_delay_alu instid0(VALU_DEP_2) | instskip(NEXT) | instid1(VALU_DEP_2)
	v_fma_f64 v[160:161], v[160:161], v[0:1], -v[166:167]
	v_fma_f64 v[2:3], v[162:163], v[0:1], v[2:3]
	s_delay_alu instid0(VALU_DEP_2)
	v_dual_mov_b32 v0, v160 :: v_dual_mov_b32 v1, v161
; %bb.837:
	s_or_b32 exec_lo, exec_lo, s2
	s_load_b256 s[0:7], s[0:1], 0x28
	v_ashrrev_i32_e32 v170, 31, v169
	s_mov_b32 s9, exec_lo
	s_waitcnt lgkmcnt(0)
	s_barrier
	buffer_gl0_inv
	v_cmpx_gt_i32_e32 40, v169
	s_cbranch_execz .LBB78_839
; %bb.838:
	v_mul_lo_u32 v162, v165, s4
	v_mul_lo_u32 v163, v164, s5
	v_mad_u64_u32 v[160:161], null, v164, s4, 0
	s_lshl_b64 s[2:3], s[2:3], 2
	s_delay_alu instid0(SALU_CYCLE_1) | instskip(SKIP_1) | instid1(VALU_DEP_1)
	s_add_u32 s0, s2, s0
	s_addc_u32 s1, s3, s1
	v_add3_u32 v161, v161, v163, v162
	v_lshlrev_b64 v[162:163], 2, v[169:170]
	s_delay_alu instid0(VALU_DEP_2) | instskip(NEXT) | instid1(VALU_DEP_1)
	v_lshlrev_b64 v[160:161], 2, v[160:161]
	v_add_co_u32 v160, vcc_lo, s0, v160
	s_delay_alu instid0(VALU_DEP_2) | instskip(NEXT) | instid1(VALU_DEP_2)
	v_add_co_ci_u32_e32 v161, vcc_lo, s1, v161, vcc_lo
	v_add_co_u32 v160, vcc_lo, v160, v162
	s_delay_alu instid0(VALU_DEP_2)
	v_add_co_ci_u32_e32 v161, vcc_lo, v161, v163, vcc_lo
	v_add3_u32 v162, v175, s13, 1
	global_store_b32 v[160:161], v162, off
.LBB78_839:
	s_or_b32 exec_lo, exec_lo, s9
	s_delay_alu instid0(SALU_CYCLE_1)
	s_mov_b32 s1, exec_lo
	v_cmpx_eq_u32_e32 0, v169
	s_cbranch_execz .LBB78_842
; %bb.840:
	v_lshlrev_b64 v[160:161], 2, v[164:165]
	v_cmp_lt_i32_e64 s0, 0, v173
	s_delay_alu instid0(VALU_DEP_2) | instskip(NEXT) | instid1(VALU_DEP_3)
	v_add_co_u32 v160, vcc_lo, s6, v160
	v_add_co_ci_u32_e32 v161, vcc_lo, s7, v161, vcc_lo
	global_load_b32 v162, v[160:161], off
	s_waitcnt vmcnt(0)
	v_cmp_eq_u32_e32 vcc_lo, 0, v162
	s_and_b32 s0, vcc_lo, s0
	s_delay_alu instid0(SALU_CYCLE_1)
	s_and_b32 exec_lo, exec_lo, s0
	s_cbranch_execz .LBB78_842
; %bb.841:
	v_add_nc_u32_e32 v162, s13, v173
	global_store_b32 v[160:161], v162, off
.LBB78_842:
	s_or_b32 exec_lo, exec_lo, s1
	v_add3_u32 v160, s8, s8, v169
	v_lshlrev_b64 v[162:163], 4, v[169:170]
	s_delay_alu instid0(VALU_DEP_2) | instskip(SKIP_1) | instid1(VALU_DEP_3)
	v_ashrrev_i32_e32 v161, 31, v160
	v_add_nc_u32_e32 v164, s8, v160
	v_add_co_u32 v162, vcc_lo, v171, v162
	s_delay_alu instid0(VALU_DEP_4) | instskip(NEXT) | instid1(VALU_DEP_4)
	v_add_co_ci_u32_e32 v163, vcc_lo, v172, v163, vcc_lo
	v_lshlrev_b64 v[160:161], 4, v[160:161]
	s_delay_alu instid0(VALU_DEP_3) | instskip(NEXT) | instid1(VALU_DEP_3)
	v_add_co_u32 v168, vcc_lo, v162, s10
	v_add_co_ci_u32_e32 v169, vcc_lo, s11, v163, vcc_lo
	v_add_nc_u32_e32 v166, s8, v164
	s_delay_alu instid0(VALU_DEP_4) | instskip(SKIP_2) | instid1(VALU_DEP_4)
	v_add_co_u32 v160, vcc_lo, v171, v160
	v_add_co_ci_u32_e32 v161, vcc_lo, v172, v161, vcc_lo
	v_ashrrev_i32_e32 v165, 31, v164
	v_ashrrev_i32_e32 v167, 31, v166
	s_clause 0x2
	global_store_b128 v[162:163], v[52:55], off
	global_store_b128 v[168:169], v[48:51], off
	;; [unrolled: 1-line block ×3, first 2 shown]
	v_add_nc_u32_e32 v50, s8, v166
	v_lshlrev_b64 v[52:53], 4, v[164:165]
	v_lshlrev_b64 v[48:49], 4, v[166:167]
	s_delay_alu instid0(VALU_DEP_3) | instskip(SKIP_1) | instid1(VALU_DEP_4)
	v_add_nc_u32_e32 v54, s8, v50
	v_ashrrev_i32_e32 v51, 31, v50
	v_add_co_u32 v52, vcc_lo, v171, v52
	v_add_co_ci_u32_e32 v53, vcc_lo, v172, v53, vcc_lo
	s_delay_alu instid0(VALU_DEP_4)
	v_add_nc_u32_e32 v156, s8, v54
	v_add_co_u32 v48, vcc_lo, v171, v48
	v_ashrrev_i32_e32 v55, 31, v54
	v_add_co_ci_u32_e32 v49, vcc_lo, v172, v49, vcc_lo
	v_lshlrev_b64 v[50:51], 4, v[50:51]
	v_ashrrev_i32_e32 v157, 31, v156
	s_clause 0x1
	global_store_b128 v[52:53], v[152:155], off
	global_store_b128 v[48:49], v[148:151], off
	v_lshlrev_b64 v[48:49], 4, v[54:55]
	v_add_nc_u32_e32 v54, s8, v156
	v_add_co_u32 v50, vcc_lo, v171, v50
	v_lshlrev_b64 v[52:53], 4, v[156:157]
	v_add_co_ci_u32_e32 v51, vcc_lo, v172, v51, vcc_lo
	v_add_co_u32 v48, vcc_lo, v171, v48
	v_add_co_ci_u32_e32 v49, vcc_lo, v172, v49, vcc_lo
	s_delay_alu instid0(VALU_DEP_4)
	v_add_co_u32 v52, vcc_lo, v171, v52
	v_add_nc_u32_e32 v148, s8, v54
	v_add_co_ci_u32_e32 v53, vcc_lo, v172, v53, vcc_lo
	v_ashrrev_i32_e32 v55, 31, v54
	global_store_b128 v[50:51], v[144:147], off
	v_ashrrev_i32_e32 v149, 31, v148
	s_clause 0x1
	global_store_b128 v[48:49], v[140:143], off
	global_store_b128 v[52:53], v[136:139], off
	v_add_nc_u32_e32 v52, s8, v148
	v_lshlrev_b64 v[50:51], 4, v[54:55]
	v_lshlrev_b64 v[48:49], 4, v[148:149]
	s_delay_alu instid0(VALU_DEP_3) | instskip(SKIP_1) | instid1(VALU_DEP_4)
	v_add_nc_u32_e32 v54, s8, v52
	v_ashrrev_i32_e32 v53, 31, v52
	v_add_co_u32 v50, vcc_lo, v171, v50
	v_add_co_ci_u32_e32 v51, vcc_lo, v172, v51, vcc_lo
	s_delay_alu instid0(VALU_DEP_4)
	v_add_nc_u32_e32 v136, s8, v54
	v_add_co_u32 v48, vcc_lo, v171, v48
	v_ashrrev_i32_e32 v55, 31, v54
	v_lshlrev_b64 v[52:53], 4, v[52:53]
	v_add_co_ci_u32_e32 v49, vcc_lo, v172, v49, vcc_lo
	v_ashrrev_i32_e32 v137, 31, v136
	s_clause 0x1
	global_store_b128 v[50:51], v[132:135], off
	global_store_b128 v[48:49], v[128:131], off
	v_lshlrev_b64 v[48:49], 4, v[54:55]
	v_add_co_u32 v50, vcc_lo, v171, v52
	v_add_co_ci_u32_e32 v51, vcc_lo, v172, v53, vcc_lo
	v_lshlrev_b64 v[52:53], 4, v[136:137]
	v_add_nc_u32_e32 v54, s8, v136
	v_add_co_u32 v48, vcc_lo, v171, v48
	v_add_co_ci_u32_e32 v49, vcc_lo, v172, v49, vcc_lo
	s_delay_alu instid0(VALU_DEP_4) | instskip(NEXT) | instid1(VALU_DEP_4)
	v_add_co_u32 v52, vcc_lo, v171, v52
	v_add_nc_u32_e32 v128, s8, v54
	v_add_co_ci_u32_e32 v53, vcc_lo, v172, v53, vcc_lo
	v_ashrrev_i32_e32 v55, 31, v54
	global_store_b128 v[50:51], v[124:127], off
	v_ashrrev_i32_e32 v129, 31, v128
	s_clause 0x1
	global_store_b128 v[48:49], v[120:123], off
	global_store_b128 v[52:53], v[116:119], off
	v_add_nc_u32_e32 v52, s8, v128
	v_lshlrev_b64 v[50:51], 4, v[54:55]
	v_lshlrev_b64 v[48:49], 4, v[128:129]
	s_delay_alu instid0(VALU_DEP_3) | instskip(SKIP_1) | instid1(VALU_DEP_4)
	v_add_nc_u32_e32 v54, s8, v52
	v_ashrrev_i32_e32 v53, 31, v52
	v_add_co_u32 v50, vcc_lo, v171, v50
	v_add_co_ci_u32_e32 v51, vcc_lo, v172, v51, vcc_lo
	s_delay_alu instid0(VALU_DEP_4)
	v_add_nc_u32_e32 v116, s8, v54
	v_add_co_u32 v48, vcc_lo, v171, v48
	v_ashrrev_i32_e32 v55, 31, v54
	v_lshlrev_b64 v[52:53], 4, v[52:53]
	v_add_co_ci_u32_e32 v49, vcc_lo, v172, v49, vcc_lo
	v_ashrrev_i32_e32 v117, 31, v116
	s_clause 0x1
	global_store_b128 v[50:51], v[112:115], off
	global_store_b128 v[48:49], v[108:111], off
	v_lshlrev_b64 v[48:49], 4, v[54:55]
	v_add_co_u32 v50, vcc_lo, v171, v52
	v_add_co_ci_u32_e32 v51, vcc_lo, v172, v53, vcc_lo
	v_lshlrev_b64 v[52:53], 4, v[116:117]
	v_add_nc_u32_e32 v54, s8, v116
	v_add_co_u32 v48, vcc_lo, v171, v48
	v_add_co_ci_u32_e32 v49, vcc_lo, v172, v49, vcc_lo
	s_delay_alu instid0(VALU_DEP_4) | instskip(NEXT) | instid1(VALU_DEP_4)
	;; [unrolled: 35-line block ×4, first 2 shown]
	v_add_co_u32 v52, vcc_lo, v171, v52
	v_add_nc_u32_e32 v68, s8, v54
	v_add_co_ci_u32_e32 v53, vcc_lo, v172, v53, vcc_lo
	v_ashrrev_i32_e32 v55, 31, v54
	global_store_b128 v[50:51], v[64:67], off
	v_ashrrev_i32_e32 v69, 31, v68
	s_clause 0x1
	global_store_b128 v[48:49], v[60:63], off
	global_store_b128 v[52:53], v[56:59], off
	v_add_nc_u32_e32 v52, s8, v68
	v_lshlrev_b64 v[50:51], 4, v[54:55]
	v_lshlrev_b64 v[48:49], 4, v[68:69]
	s_delay_alu instid0(VALU_DEP_3) | instskip(SKIP_1) | instid1(VALU_DEP_4)
	v_add_nc_u32_e32 v54, s8, v52
	v_ashrrev_i32_e32 v53, 31, v52
	v_add_co_u32 v50, vcc_lo, v171, v50
	v_add_co_ci_u32_e32 v51, vcc_lo, v172, v51, vcc_lo
	s_delay_alu instid0(VALU_DEP_4)
	v_add_nc_u32_e32 v56, s8, v54
	v_add_co_u32 v48, vcc_lo, v171, v48
	v_ashrrev_i32_e32 v55, 31, v54
	v_add_co_ci_u32_e32 v49, vcc_lo, v172, v49, vcc_lo
	v_lshlrev_b64 v[52:53], 4, v[52:53]
	v_ashrrev_i32_e32 v57, 31, v56
	s_clause 0x1
	global_store_b128 v[50:51], v[44:47], off
	global_store_b128 v[48:49], v[40:43], off
	v_lshlrev_b64 v[40:41], 4, v[54:55]
	v_add_nc_u32_e32 v46, s8, v56
	v_add_co_u32 v42, vcc_lo, v171, v52
	v_lshlrev_b64 v[44:45], 4, v[56:57]
	v_add_co_ci_u32_e32 v43, vcc_lo, v172, v53, vcc_lo
	v_add_co_u32 v40, vcc_lo, v171, v40
	v_add_nc_u32_e32 v48, s8, v46
	v_add_co_ci_u32_e32 v41, vcc_lo, v172, v41, vcc_lo
	v_ashrrev_i32_e32 v47, 31, v46
	v_add_co_u32 v44, vcc_lo, v171, v44
	v_add_co_ci_u32_e32 v45, vcc_lo, v172, v45, vcc_lo
	v_ashrrev_i32_e32 v49, 31, v48
	global_store_b128 v[42:43], v[36:39], off
	v_lshlrev_b64 v[36:37], 4, v[46:47]
	s_clause 0x1
	global_store_b128 v[40:41], v[32:35], off
	global_store_b128 v[44:45], v[28:31], off
	v_add_nc_u32_e32 v30, s8, v48
	v_lshlrev_b64 v[28:29], 4, v[48:49]
	v_add_co_u32 v32, vcc_lo, v171, v36
	s_delay_alu instid0(VALU_DEP_3) | instskip(SKIP_1) | instid1(VALU_DEP_4)
	v_add_nc_u32_e32 v34, s8, v30
	v_add_co_ci_u32_e32 v33, vcc_lo, v172, v37, vcc_lo
	v_add_co_u32 v28, vcc_lo, v171, v28
	v_add_co_ci_u32_e32 v29, vcc_lo, v172, v29, vcc_lo
	s_delay_alu instid0(VALU_DEP_4)
	v_add_nc_u32_e32 v36, s8, v34
	v_ashrrev_i32_e32 v31, 31, v30
	s_clause 0x1
	global_store_b128 v[32:33], v[24:27], off
	global_store_b128 v[28:29], v[20:23], off
	v_ashrrev_i32_e32 v35, 31, v34
	v_add_nc_u32_e32 v22, s8, v36
	v_lshlrev_b64 v[24:25], 4, v[30:31]
	v_ashrrev_i32_e32 v37, 31, v36
	s_delay_alu instid0(VALU_DEP_4) | instskip(NEXT) | instid1(VALU_DEP_4)
	v_lshlrev_b64 v[20:21], 4, v[34:35]
	v_add_nc_u32_e32 v28, s8, v22
	v_ashrrev_i32_e32 v23, 31, v22
	v_add_co_u32 v24, vcc_lo, v171, v24
	v_lshlrev_b64 v[26:27], 4, v[36:37]
	s_delay_alu instid0(VALU_DEP_4)
	v_ashrrev_i32_e32 v29, 31, v28
	v_add_co_ci_u32_e32 v25, vcc_lo, v172, v25, vcc_lo
	v_add_co_u32 v20, vcc_lo, v171, v20
	v_lshlrev_b64 v[22:23], 4, v[22:23]
	v_add_co_ci_u32_e32 v21, vcc_lo, v172, v21, vcc_lo
	v_add_co_u32 v26, vcc_lo, v171, v26
	v_lshlrev_b64 v[28:29], 4, v[28:29]
	v_add_co_ci_u32_e32 v27, vcc_lo, v172, v27, vcc_lo
	v_add_co_u32 v22, vcc_lo, v171, v22
	v_add_co_ci_u32_e32 v23, vcc_lo, v172, v23, vcc_lo
	s_delay_alu instid0(VALU_DEP_4)
	v_add_co_u32 v28, vcc_lo, v171, v28
	v_add_co_ci_u32_e32 v29, vcc_lo, v172, v29, vcc_lo
	s_clause 0x4
	global_store_b128 v[24:25], v[16:19], off
	global_store_b128 v[20:21], v[12:15], off
	global_store_b128 v[26:27], v[8:11], off
	global_store_b128 v[22:23], v[4:7], off
	global_store_b128 v[28:29], v[0:3], off
.LBB78_843:
	s_nop 0
	s_sendmsg sendmsg(MSG_DEALLOC_VGPRS)
	s_endpgm
	.section	.rodata,"a",@progbits
	.p2align	6, 0x0
	.amdhsa_kernel _ZN9rocsolver6v33100L18getf2_small_kernelILi40E19rocblas_complex_numIdEiiPKPS3_EEvT1_T3_lS7_lPS7_llPT2_S7_S7_S9_l
		.amdhsa_group_segment_fixed_size 0
		.amdhsa_private_segment_fixed_size 0
		.amdhsa_kernarg_size 352
		.amdhsa_user_sgpr_count 14
		.amdhsa_user_sgpr_dispatch_ptr 0
		.amdhsa_user_sgpr_queue_ptr 0
		.amdhsa_user_sgpr_kernarg_segment_ptr 1
		.amdhsa_user_sgpr_dispatch_id 0
		.amdhsa_user_sgpr_private_segment_size 0
		.amdhsa_wavefront_size32 1
		.amdhsa_uses_dynamic_stack 0
		.amdhsa_enable_private_segment 0
		.amdhsa_system_sgpr_workgroup_id_x 1
		.amdhsa_system_sgpr_workgroup_id_y 1
		.amdhsa_system_sgpr_workgroup_id_z 0
		.amdhsa_system_sgpr_workgroup_info 0
		.amdhsa_system_vgpr_workitem_id 1
		.amdhsa_next_free_vgpr 251
		.amdhsa_next_free_sgpr 16
		.amdhsa_reserve_vcc 1
		.amdhsa_float_round_mode_32 0
		.amdhsa_float_round_mode_16_64 0
		.amdhsa_float_denorm_mode_32 3
		.amdhsa_float_denorm_mode_16_64 3
		.amdhsa_dx10_clamp 1
		.amdhsa_ieee_mode 1
		.amdhsa_fp16_overflow 0
		.amdhsa_workgroup_processor_mode 1
		.amdhsa_memory_ordered 1
		.amdhsa_forward_progress 0
		.amdhsa_shared_vgpr_count 0
		.amdhsa_exception_fp_ieee_invalid_op 0
		.amdhsa_exception_fp_denorm_src 0
		.amdhsa_exception_fp_ieee_div_zero 0
		.amdhsa_exception_fp_ieee_overflow 0
		.amdhsa_exception_fp_ieee_underflow 0
		.amdhsa_exception_fp_ieee_inexact 0
		.amdhsa_exception_int_div_zero 0
	.end_amdhsa_kernel
	.section	.text._ZN9rocsolver6v33100L18getf2_small_kernelILi40E19rocblas_complex_numIdEiiPKPS3_EEvT1_T3_lS7_lPS7_llPT2_S7_S7_S9_l,"axG",@progbits,_ZN9rocsolver6v33100L18getf2_small_kernelILi40E19rocblas_complex_numIdEiiPKPS3_EEvT1_T3_lS7_lPS7_llPT2_S7_S7_S9_l,comdat
.Lfunc_end78:
	.size	_ZN9rocsolver6v33100L18getf2_small_kernelILi40E19rocblas_complex_numIdEiiPKPS3_EEvT1_T3_lS7_lPS7_llPT2_S7_S7_S9_l, .Lfunc_end78-_ZN9rocsolver6v33100L18getf2_small_kernelILi40E19rocblas_complex_numIdEiiPKPS3_EEvT1_T3_lS7_lPS7_llPT2_S7_S7_S9_l
                                        ; -- End function
	.section	.AMDGPU.csdata,"",@progbits
; Kernel info:
; codeLenInByte = 108764
; NumSgprs: 18
; NumVgprs: 251
; ScratchSize: 0
; MemoryBound: 0
; FloatMode: 240
; IeeeMode: 1
; LDSByteSize: 0 bytes/workgroup (compile time only)
; SGPRBlocks: 2
; VGPRBlocks: 31
; NumSGPRsForWavesPerEU: 18
; NumVGPRsForWavesPerEU: 251
; Occupancy: 5
; WaveLimiterHint : 1
; COMPUTE_PGM_RSRC2:SCRATCH_EN: 0
; COMPUTE_PGM_RSRC2:USER_SGPR: 14
; COMPUTE_PGM_RSRC2:TRAP_HANDLER: 0
; COMPUTE_PGM_RSRC2:TGID_X_EN: 1
; COMPUTE_PGM_RSRC2:TGID_Y_EN: 1
; COMPUTE_PGM_RSRC2:TGID_Z_EN: 0
; COMPUTE_PGM_RSRC2:TIDIG_COMP_CNT: 1
	.section	.text._ZN9rocsolver6v33100L23getf2_npvt_small_kernelILi40E19rocblas_complex_numIdEiiPKPS3_EEvT1_T3_lS7_lPT2_S7_S7_,"axG",@progbits,_ZN9rocsolver6v33100L23getf2_npvt_small_kernelILi40E19rocblas_complex_numIdEiiPKPS3_EEvT1_T3_lS7_lPT2_S7_S7_,comdat
	.globl	_ZN9rocsolver6v33100L23getf2_npvt_small_kernelILi40E19rocblas_complex_numIdEiiPKPS3_EEvT1_T3_lS7_lPT2_S7_S7_ ; -- Begin function _ZN9rocsolver6v33100L23getf2_npvt_small_kernelILi40E19rocblas_complex_numIdEiiPKPS3_EEvT1_T3_lS7_lPT2_S7_S7_
	.p2align	8
	.type	_ZN9rocsolver6v33100L23getf2_npvt_small_kernelILi40E19rocblas_complex_numIdEiiPKPS3_EEvT1_T3_lS7_lPT2_S7_S7_,@function
_ZN9rocsolver6v33100L23getf2_npvt_small_kernelILi40E19rocblas_complex_numIdEiiPKPS3_EEvT1_T3_lS7_lPT2_S7_S7_: ; @_ZN9rocsolver6v33100L23getf2_npvt_small_kernelILi40E19rocblas_complex_numIdEiiPKPS3_EEvT1_T3_lS7_lPT2_S7_S7_
; %bb.0:
	s_clause 0x1
	s_load_b32 s2, s[0:1], 0x44
	s_load_b64 s[10:11], s[0:1], 0x30
	v_bfe_u32 v160, v0, 10, 10
	s_waitcnt lgkmcnt(0)
	s_lshr_b32 s8, s2, 16
	s_mov_b32 s2, exec_lo
	s_delay_alu instid0(VALU_DEP_1) | instskip(NEXT) | instid1(VALU_DEP_1)
	v_mad_u64_u32 v[231:232], null, s15, s8, v[160:161]
	v_cmpx_gt_i32_e64 s10, v231
	s_cbranch_execz .LBB79_365
; %bb.1:
	s_clause 0x1
	s_load_b128 s[4:7], s[0:1], 0x8
	s_load_b32 s2, s[0:1], 0x18
	v_ashrrev_i32_e32 v232, 31, v231
	v_and_b32_e32 v226, 0x3ff, v0
	v_lshlrev_b32_e32 v161, 4, v160
	s_mulk_i32 s8, 0x280
	v_mad_u32_u24 v228, 0x280, v160, 0
	v_lshlrev_b64 v[1:2], 3, v[231:232]
	v_lshlrev_b32_e32 v79, 4, v226
	v_add3_u32 v227, 0, s8, v161
	s_waitcnt lgkmcnt(0)
	s_delay_alu instid0(VALU_DEP_3) | instskip(NEXT) | instid1(VALU_DEP_4)
	v_add_co_u32 v1, vcc_lo, s4, v1
	v_add_co_ci_u32_e32 v2, vcc_lo, s5, v2, vcc_lo
	v_add3_u32 v3, s2, s2, v226
	s_lshl_b64 s[6:7], s[6:7], 4
	s_ashr_i32 s3, s2, 31
	global_load_b64 v[1:2], v[1:2], off
	s_lshl_b64 s[4:5], s[2:3], 4
	v_add_nc_u32_e32 v5, s2, v3
	v_ashrrev_i32_e32 v4, 31, v3
	v_cmp_ne_u32_e64 s3, 0, v226
	s_delay_alu instid0(VALU_DEP_3) | instskip(SKIP_1) | instid1(VALU_DEP_4)
	v_add_nc_u32_e32 v7, s2, v5
	v_ashrrev_i32_e32 v6, 31, v5
	v_lshlrev_b64 v[3:4], 4, v[3:4]
	s_delay_alu instid0(VALU_DEP_3) | instskip(SKIP_1) | instid1(VALU_DEP_4)
	v_add_nc_u32_e32 v9, s2, v7
	v_ashrrev_i32_e32 v8, 31, v7
	v_lshlrev_b64 v[5:6], 4, v[5:6]
	;; [unrolled: 4-line block ×36, first 2 shown]
	v_cmp_eq_u32_e64 s2, 0, v226
	s_delay_alu instid0(VALU_DEP_4) | instskip(NEXT) | instid1(VALU_DEP_4)
	v_ashrrev_i32_e32 v78, 31, v77
	v_lshlrev_b64 v[75:76], 4, v[75:76]
	s_waitcnt vmcnt(0)
	v_add_co_u32 v80, vcc_lo, v1, s6
	v_add_co_ci_u32_e32 v2, vcc_lo, s7, v2, vcc_lo
	v_lshlrev_b64 v[0:1], 4, v[77:78]
	s_delay_alu instid0(VALU_DEP_3) | instskip(NEXT) | instid1(VALU_DEP_3)
	v_add_co_u32 v152, vcc_lo, v80, v79
	v_add_co_ci_u32_e32 v153, vcc_lo, 0, v2, vcc_lo
	v_add_co_u32 v103, vcc_lo, v80, v3
	v_add_co_ci_u32_e32 v104, vcc_lo, v2, v4, vcc_lo
	v_add_co_u32 v101, vcc_lo, v80, v5
	v_add_co_ci_u32_e32 v102, vcc_lo, v2, v6, vcc_lo
	v_add_co_u32 v99, vcc_lo, v80, v7
	v_add_co_ci_u32_e32 v100, vcc_lo, v2, v8, vcc_lo
	v_add_co_u32 v97, vcc_lo, v80, v9
	v_add_co_ci_u32_e32 v98, vcc_lo, v2, v10, vcc_lo
	v_add_co_u32 v95, vcc_lo, v80, v11
	v_add_co_ci_u32_e32 v96, vcc_lo, v2, v12, vcc_lo
	v_add_co_u32 v93, vcc_lo, v80, v13
	v_add_co_ci_u32_e32 v94, vcc_lo, v2, v14, vcc_lo
	v_add_co_u32 v91, vcc_lo, v80, v15
	v_add_co_ci_u32_e32 v92, vcc_lo, v2, v16, vcc_lo
	v_add_co_u32 v89, vcc_lo, v80, v17
	v_add_co_ci_u32_e32 v90, vcc_lo, v2, v18, vcc_lo
	v_add_co_u32 v87, vcc_lo, v80, v19
	v_add_co_ci_u32_e32 v88, vcc_lo, v2, v20, vcc_lo
	v_add_co_u32 v85, vcc_lo, v80, v21
	v_add_co_ci_u32_e32 v86, vcc_lo, v2, v22, vcc_lo
	v_add_co_u32 v83, vcc_lo, v80, v23
	v_add_co_ci_u32_e32 v84, vcc_lo, v2, v24, vcc_lo
	v_add_co_u32 v81, vcc_lo, v80, v25
	v_add_co_ci_u32_e32 v82, vcc_lo, v2, v26, vcc_lo
	v_add_co_u32 v77, vcc_lo, v80, v27
	v_add_co_ci_u32_e32 v78, vcc_lo, v2, v28, vcc_lo
	v_add_co_u32 v27, vcc_lo, v80, v29
	v_add_co_ci_u32_e32 v28, vcc_lo, v2, v30, vcc_lo
	v_add_co_u32 v25, vcc_lo, v80, v31
	v_add_co_ci_u32_e32 v26, vcc_lo, v2, v32, vcc_lo
	v_add_co_u32 v23, vcc_lo, v80, v33
	v_add_co_ci_u32_e32 v24, vcc_lo, v2, v34, vcc_lo
	v_add_co_u32 v21, vcc_lo, v80, v35
	v_add_co_ci_u32_e32 v22, vcc_lo, v2, v36, vcc_lo
	v_add_co_u32 v19, vcc_lo, v80, v37
	v_add_co_ci_u32_e32 v20, vcc_lo, v2, v38, vcc_lo
	v_add_co_u32 v17, vcc_lo, v80, v39
	v_add_co_ci_u32_e32 v18, vcc_lo, v2, v40, vcc_lo
	v_add_co_u32 v15, vcc_lo, v80, v41
	v_add_co_ci_u32_e32 v16, vcc_lo, v2, v42, vcc_lo
	v_add_co_u32 v13, vcc_lo, v80, v43
	v_add_co_ci_u32_e32 v14, vcc_lo, v2, v44, vcc_lo
	v_add_co_u32 v11, vcc_lo, v80, v45
	v_add_co_ci_u32_e32 v12, vcc_lo, v2, v46, vcc_lo
	v_add_co_u32 v9, vcc_lo, v80, v47
	v_add_co_ci_u32_e32 v10, vcc_lo, v2, v48, vcc_lo
	v_add_co_u32 v7, vcc_lo, v80, v49
	v_add_co_ci_u32_e32 v8, vcc_lo, v2, v50, vcc_lo
	v_add_co_u32 v5, vcc_lo, v80, v51
	v_add_co_ci_u32_e32 v6, vcc_lo, v2, v52, vcc_lo
	v_add_co_u32 v3, vcc_lo, v80, v53
	v_add_co_ci_u32_e32 v4, vcc_lo, v2, v54, vcc_lo
	v_add_co_u32 v229, vcc_lo, v80, v55
	v_add_co_ci_u32_e32 v230, vcc_lo, v2, v56, vcc_lo
	v_add_co_u32 v235, vcc_lo, v80, v57
	v_add_co_ci_u32_e32 v236, vcc_lo, v2, v58, vcc_lo
	v_add_co_u32 v252, vcc_lo, v80, v59
	v_add_co_ci_u32_e32 v253, vcc_lo, v2, v60, vcc_lo
	v_add_co_u32 v254, vcc_lo, v80, v61
	v_add_co_ci_u32_e32 v255, vcc_lo, v2, v62, vcc_lo
	v_add_co_u32 v248, vcc_lo, v80, v63
	v_add_co_ci_u32_e32 v249, vcc_lo, v2, v64, vcc_lo
	v_add_co_u32 v250, vcc_lo, v80, v65
	v_add_co_ci_u32_e32 v251, vcc_lo, v2, v66, vcc_lo
	v_add_co_u32 v244, vcc_lo, v80, v67
	v_add_co_ci_u32_e32 v245, vcc_lo, v2, v68, vcc_lo
	v_add_co_u32 v246, vcc_lo, v80, v69
	v_add_co_ci_u32_e32 v247, vcc_lo, v2, v70, vcc_lo
	v_add_co_u32 v240, vcc_lo, v80, v71
	v_add_co_ci_u32_e32 v241, vcc_lo, v2, v72, vcc_lo
	v_add_co_u32 v242, vcc_lo, v80, v73
	v_add_co_ci_u32_e32 v243, vcc_lo, v2, v74, vcc_lo
	v_add_co_u32 v238, vcc_lo, v80, v75
	v_add_co_ci_u32_e32 v239, vcc_lo, v2, v76, vcc_lo
	v_add_co_u32 v233, vcc_lo, v80, v0
	s_clause 0x19
	scratch_store_b64 off, v[103:104], off offset:216
	scratch_store_b64 off, v[101:102], off offset:208
	;; [unrolled: 1-line block ×26, first 2 shown]
	v_add_co_ci_u32_e32 v234, vcc_lo, v2, v1, vcc_lo
	s_clause 0x1f
	global_load_b128 v[148:151], v[103:104], off
	global_load_b128 v[144:147], v[101:102], off
	;; [unrolled: 1-line block ×32, first 2 shown]
	s_clause 0x4
	global_load_b128 v[20:23], v[244:245], off
	global_load_b128 v[16:19], v[246:247], off
	;; [unrolled: 1-line block ×5, first 2 shown]
	v_add_co_u32 v0, vcc_lo, v152, s4
	v_add_co_ci_u32_e32 v1, vcc_lo, s5, v153, vcc_lo
	scratch_store_b64 off, v[152:153], off offset:224 ; 8-byte Folded Spill
	s_waitcnt vmcnt(0)
	s_clause 0x1
	scratch_store_b128 off, v[2:5], off
	scratch_store_b64 off, v[0:1], off offset:232
	s_clause 0x2
	global_load_b128 v[152:155], v[0:1], off
	global_load_b128 v[4:7], v[238:239], off
	;; [unrolled: 1-line block ×3, first 2 shown]
	s_and_saveexec_b32 s5, s2
	s_cbranch_execz .LBB79_8
; %bb.2:
	scratch_load_b128 v[156:159], off, off  ; 16-byte Folded Reload
	s_waitcnt vmcnt(0)
	ds_store_2addr_b64 v227, v[156:157], v[158:159] offset1:1
	ds_store_2addr_b64 v228, v[152:153], v[154:155] offset0:2 offset1:3
	ds_store_2addr_b64 v228, v[148:149], v[150:151] offset0:4 offset1:5
	;; [unrolled: 1-line block ×39, first 2 shown]
	ds_load_2addr_b64 v[160:163], v227 offset1:1
	s_waitcnt lgkmcnt(0)
	v_cmp_neq_f64_e32 vcc_lo, 0, v[160:161]
	v_cmp_neq_f64_e64 s4, 0, v[162:163]
	s_delay_alu instid0(VALU_DEP_1) | instskip(NEXT) | instid1(SALU_CYCLE_1)
	s_or_b32 s4, vcc_lo, s4
	s_and_b32 exec_lo, exec_lo, s4
	s_cbranch_execz .LBB79_8
; %bb.3:
	v_cmp_gt_f64_e32 vcc_lo, 0, v[160:161]
	v_cmp_gt_f64_e64 s4, 0, v[162:163]
	v_xor_b32_e32 v164, 0x80000000, v161
	v_xor_b32_e32 v166, 0x80000000, v163
                                        ; implicit-def: $vgpr168_vgpr169
	s_delay_alu instid0(VALU_DEP_2) | instskip(NEXT) | instid1(VALU_DEP_2)
	v_cndmask_b32_e32 v165, v161, v164, vcc_lo
	v_cndmask_b32_e64 v167, v163, v166, s4
	v_cndmask_b32_e32 v164, v160, v160, vcc_lo
	v_cndmask_b32_e64 v166, v162, v162, s4
	s_mov_b32 s4, exec_lo
	s_delay_alu instid0(VALU_DEP_1)
	v_cmpx_ngt_f64_e32 v[164:165], v[166:167]
	s_xor_b32 s4, exec_lo, s4
                                        ; implicit-def: $vgpr164_vgpr165_vgpr166_vgpr167
	s_cbranch_execz .LBB79_5
; %bb.4:
	v_div_scale_f64 v[164:165], null, v[162:163], v[162:163], v[160:161]
	v_div_scale_f64 v[170:171], vcc_lo, v[160:161], v[162:163], v[160:161]
	s_delay_alu instid0(VALU_DEP_2) | instskip(SKIP_2) | instid1(VALU_DEP_1)
	v_rcp_f64_e32 v[166:167], v[164:165]
	s_waitcnt_depctr 0xfff
	v_fma_f64 v[168:169], -v[164:165], v[166:167], 1.0
	v_fma_f64 v[166:167], v[166:167], v[168:169], v[166:167]
	s_delay_alu instid0(VALU_DEP_1) | instskip(NEXT) | instid1(VALU_DEP_1)
	v_fma_f64 v[168:169], -v[164:165], v[166:167], 1.0
	v_fma_f64 v[166:167], v[166:167], v[168:169], v[166:167]
	s_delay_alu instid0(VALU_DEP_1) | instskip(NEXT) | instid1(VALU_DEP_1)
	v_mul_f64 v[168:169], v[170:171], v[166:167]
	v_fma_f64 v[164:165], -v[164:165], v[168:169], v[170:171]
	s_delay_alu instid0(VALU_DEP_1) | instskip(NEXT) | instid1(VALU_DEP_1)
	v_div_fmas_f64 v[164:165], v[164:165], v[166:167], v[168:169]
	v_div_fixup_f64 v[164:165], v[164:165], v[162:163], v[160:161]
	s_delay_alu instid0(VALU_DEP_1) | instskip(NEXT) | instid1(VALU_DEP_1)
	v_fma_f64 v[160:161], v[160:161], v[164:165], v[162:163]
	v_div_scale_f64 v[162:163], null, v[160:161], v[160:161], 1.0
	s_delay_alu instid0(VALU_DEP_1) | instskip(SKIP_2) | instid1(VALU_DEP_1)
	v_rcp_f64_e32 v[166:167], v[162:163]
	s_waitcnt_depctr 0xfff
	v_fma_f64 v[168:169], -v[162:163], v[166:167], 1.0
	v_fma_f64 v[166:167], v[166:167], v[168:169], v[166:167]
	s_delay_alu instid0(VALU_DEP_1) | instskip(NEXT) | instid1(VALU_DEP_1)
	v_fma_f64 v[168:169], -v[162:163], v[166:167], 1.0
	v_fma_f64 v[166:167], v[166:167], v[168:169], v[166:167]
	v_div_scale_f64 v[168:169], vcc_lo, 1.0, v[160:161], 1.0
	s_delay_alu instid0(VALU_DEP_1) | instskip(NEXT) | instid1(VALU_DEP_1)
	v_mul_f64 v[170:171], v[168:169], v[166:167]
	v_fma_f64 v[162:163], -v[162:163], v[170:171], v[168:169]
	s_delay_alu instid0(VALU_DEP_1) | instskip(NEXT) | instid1(VALU_DEP_1)
	v_div_fmas_f64 v[162:163], v[162:163], v[166:167], v[170:171]
	v_div_fixup_f64 v[166:167], v[162:163], v[160:161], 1.0
                                        ; implicit-def: $vgpr160_vgpr161
	s_delay_alu instid0(VALU_DEP_1)
	v_mul_f64 v[168:169], v[164:165], v[166:167]
	v_xor_b32_e32 v167, 0x80000000, v167
.LBB79_5:
	s_and_not1_saveexec_b32 s4, s4
	s_cbranch_execz .LBB79_7
; %bb.6:
	v_div_scale_f64 v[164:165], null, v[160:161], v[160:161], v[162:163]
	v_div_scale_f64 v[170:171], vcc_lo, v[162:163], v[160:161], v[162:163]
	s_delay_alu instid0(VALU_DEP_2) | instskip(SKIP_2) | instid1(VALU_DEP_1)
	v_rcp_f64_e32 v[166:167], v[164:165]
	s_waitcnt_depctr 0xfff
	v_fma_f64 v[168:169], -v[164:165], v[166:167], 1.0
	v_fma_f64 v[166:167], v[166:167], v[168:169], v[166:167]
	s_delay_alu instid0(VALU_DEP_1) | instskip(NEXT) | instid1(VALU_DEP_1)
	v_fma_f64 v[168:169], -v[164:165], v[166:167], 1.0
	v_fma_f64 v[166:167], v[166:167], v[168:169], v[166:167]
	s_delay_alu instid0(VALU_DEP_1) | instskip(NEXT) | instid1(VALU_DEP_1)
	v_mul_f64 v[168:169], v[170:171], v[166:167]
	v_fma_f64 v[164:165], -v[164:165], v[168:169], v[170:171]
	s_delay_alu instid0(VALU_DEP_1) | instskip(NEXT) | instid1(VALU_DEP_1)
	v_div_fmas_f64 v[164:165], v[164:165], v[166:167], v[168:169]
	v_div_fixup_f64 v[164:165], v[164:165], v[160:161], v[162:163]
	s_delay_alu instid0(VALU_DEP_1) | instskip(NEXT) | instid1(VALU_DEP_1)
	v_fma_f64 v[160:161], v[162:163], v[164:165], v[160:161]
	v_div_scale_f64 v[162:163], null, v[160:161], v[160:161], 1.0
	s_delay_alu instid0(VALU_DEP_1) | instskip(SKIP_2) | instid1(VALU_DEP_1)
	v_rcp_f64_e32 v[166:167], v[162:163]
	s_waitcnt_depctr 0xfff
	v_fma_f64 v[168:169], -v[162:163], v[166:167], 1.0
	v_fma_f64 v[166:167], v[166:167], v[168:169], v[166:167]
	s_delay_alu instid0(VALU_DEP_1) | instskip(NEXT) | instid1(VALU_DEP_1)
	v_fma_f64 v[168:169], -v[162:163], v[166:167], 1.0
	v_fma_f64 v[166:167], v[166:167], v[168:169], v[166:167]
	v_div_scale_f64 v[168:169], vcc_lo, 1.0, v[160:161], 1.0
	s_delay_alu instid0(VALU_DEP_1) | instskip(NEXT) | instid1(VALU_DEP_1)
	v_mul_f64 v[170:171], v[168:169], v[166:167]
	v_fma_f64 v[162:163], -v[162:163], v[170:171], v[168:169]
	s_delay_alu instid0(VALU_DEP_1) | instskip(NEXT) | instid1(VALU_DEP_1)
	v_div_fmas_f64 v[162:163], v[162:163], v[166:167], v[170:171]
	v_div_fixup_f64 v[168:169], v[162:163], v[160:161], 1.0
	s_delay_alu instid0(VALU_DEP_1)
	v_mul_f64 v[166:167], v[164:165], -v[168:169]
.LBB79_7:
	s_or_b32 exec_lo, exec_lo, s4
	ds_store_2addr_b64 v227, v[168:169], v[166:167] offset1:1
.LBB79_8:
	s_or_b32 exec_lo, exec_lo, s5
	s_waitcnt vmcnt(0) lgkmcnt(0)
	s_waitcnt_vscnt null, 0x0
	s_barrier
	buffer_gl0_inv
	ds_load_2addr_b64 v[160:163], v227 offset1:1
	s_waitcnt lgkmcnt(0)
	scratch_store_b128 off, v[160:163], off offset:240 ; 16-byte Folded Spill
	s_and_saveexec_b32 s4, s3
	s_cbranch_execz .LBB79_10
; %bb.9:
	s_clause 0x1
	scratch_load_b128 v[162:165], off, off offset:240
	scratch_load_b128 v[156:159], off, off
	s_waitcnt vmcnt(0)
	v_mul_f64 v[160:161], v[164:165], v[158:159]
	v_mul_f64 v[158:159], v[162:163], v[158:159]
	s_delay_alu instid0(VALU_DEP_2) | instskip(NEXT) | instid1(VALU_DEP_2)
	v_fma_f64 v[160:161], v[162:163], v[156:157], -v[160:161]
	v_fma_f64 v[158:159], v[164:165], v[156:157], v[158:159]
	ds_load_2addr_b64 v[162:165], v228 offset0:2 offset1:3
	s_waitcnt lgkmcnt(0)
	v_mul_f64 v[156:157], v[164:165], v[158:159]
	s_delay_alu instid0(VALU_DEP_1) | instskip(SKIP_1) | instid1(VALU_DEP_2)
	v_fma_f64 v[156:157], v[162:163], v[160:161], -v[156:157]
	v_mul_f64 v[162:163], v[162:163], v[158:159]
	v_add_f64 v[152:153], v[152:153], -v[156:157]
	s_delay_alu instid0(VALU_DEP_2) | instskip(NEXT) | instid1(VALU_DEP_1)
	v_fma_f64 v[162:163], v[164:165], v[160:161], v[162:163]
	v_add_f64 v[154:155], v[154:155], -v[162:163]
	ds_load_2addr_b64 v[162:165], v228 offset0:4 offset1:5
	s_waitcnt lgkmcnt(0)
	v_mul_f64 v[156:157], v[164:165], v[158:159]
	s_delay_alu instid0(VALU_DEP_1) | instskip(SKIP_1) | instid1(VALU_DEP_2)
	v_fma_f64 v[156:157], v[162:163], v[160:161], -v[156:157]
	v_mul_f64 v[162:163], v[162:163], v[158:159]
	v_add_f64 v[148:149], v[148:149], -v[156:157]
	s_delay_alu instid0(VALU_DEP_2) | instskip(NEXT) | instid1(VALU_DEP_1)
	v_fma_f64 v[162:163], v[164:165], v[160:161], v[162:163]
	v_add_f64 v[150:151], v[150:151], -v[162:163]
	;; [unrolled: 10-line block ×38, first 2 shown]
	ds_load_2addr_b64 v[162:165], v228 offset0:78 offset1:79
	s_waitcnt lgkmcnt(0)
	v_mul_f64 v[156:157], v[164:165], v[158:159]
	s_delay_alu instid0(VALU_DEP_1) | instskip(SKIP_1) | instid1(VALU_DEP_2)
	v_fma_f64 v[156:157], v[162:163], v[160:161], -v[156:157]
	v_mul_f64 v[162:163], v[162:163], v[158:159]
	v_add_f64 v[0:1], v[0:1], -v[156:157]
	s_delay_alu instid0(VALU_DEP_2)
	v_fma_f64 v[162:163], v[164:165], v[160:161], v[162:163]
	v_dual_mov_b32 v156, v160 :: v_dual_mov_b32 v157, v161
	scratch_store_b128 off, v[156:159], off ; 16-byte Folded Spill
	v_add_f64 v[2:3], v[2:3], -v[162:163]
.LBB79_10:
	s_or_b32 exec_lo, exec_lo, s4
	s_delay_alu instid0(SALU_CYCLE_1)
	s_mov_b32 s4, exec_lo
	s_waitcnt_vscnt null, 0x0
	s_barrier
	buffer_gl0_inv
	v_cmpx_eq_u32_e32 1, v226
	s_cbranch_execz .LBB79_17
; %bb.11:
	ds_store_2addr_b64 v227, v[152:153], v[154:155] offset1:1
	ds_store_2addr_b64 v228, v[148:149], v[150:151] offset0:4 offset1:5
	ds_store_2addr_b64 v228, v[144:145], v[146:147] offset0:6 offset1:7
	;; [unrolled: 1-line block ×38, first 2 shown]
	ds_load_2addr_b64 v[160:163], v227 offset1:1
	s_waitcnt lgkmcnt(0)
	v_cmp_neq_f64_e32 vcc_lo, 0, v[160:161]
	v_cmp_neq_f64_e64 s3, 0, v[162:163]
	s_delay_alu instid0(VALU_DEP_1) | instskip(NEXT) | instid1(SALU_CYCLE_1)
	s_or_b32 s3, vcc_lo, s3
	s_and_b32 exec_lo, exec_lo, s3
	s_cbranch_execz .LBB79_17
; %bb.12:
	v_cmp_gt_f64_e32 vcc_lo, 0, v[160:161]
	v_xor_b32_e32 v164, 0x80000000, v161
	v_xor_b32_e32 v166, 0x80000000, v163
	s_mov_b32 s3, exec_lo
                                        ; implicit-def: $vgpr168_vgpr169
	s_delay_alu instid0(VALU_DEP_2) | instskip(SKIP_4) | instid1(VALU_DEP_1)
	v_cndmask_b32_e32 v165, v161, v164, vcc_lo
	v_cndmask_b32_e32 v164, v160, v160, vcc_lo
	v_cmp_gt_f64_e32 vcc_lo, 0, v[162:163]
	v_cndmask_b32_e32 v167, v163, v166, vcc_lo
	v_cndmask_b32_e32 v166, v162, v162, vcc_lo
	v_cmpx_ngt_f64_e32 v[164:165], v[166:167]
	s_xor_b32 s3, exec_lo, s3
                                        ; implicit-def: $vgpr164_vgpr165_vgpr166_vgpr167
	s_cbranch_execz .LBB79_14
; %bb.13:
	v_div_scale_f64 v[164:165], null, v[162:163], v[162:163], v[160:161]
	v_div_scale_f64 v[170:171], vcc_lo, v[160:161], v[162:163], v[160:161]
	s_delay_alu instid0(VALU_DEP_2) | instskip(SKIP_2) | instid1(VALU_DEP_1)
	v_rcp_f64_e32 v[166:167], v[164:165]
	s_waitcnt_depctr 0xfff
	v_fma_f64 v[168:169], -v[164:165], v[166:167], 1.0
	v_fma_f64 v[166:167], v[166:167], v[168:169], v[166:167]
	s_delay_alu instid0(VALU_DEP_1) | instskip(NEXT) | instid1(VALU_DEP_1)
	v_fma_f64 v[168:169], -v[164:165], v[166:167], 1.0
	v_fma_f64 v[166:167], v[166:167], v[168:169], v[166:167]
	s_delay_alu instid0(VALU_DEP_1) | instskip(NEXT) | instid1(VALU_DEP_1)
	v_mul_f64 v[168:169], v[170:171], v[166:167]
	v_fma_f64 v[164:165], -v[164:165], v[168:169], v[170:171]
	s_delay_alu instid0(VALU_DEP_1) | instskip(NEXT) | instid1(VALU_DEP_1)
	v_div_fmas_f64 v[164:165], v[164:165], v[166:167], v[168:169]
	v_div_fixup_f64 v[164:165], v[164:165], v[162:163], v[160:161]
	s_delay_alu instid0(VALU_DEP_1) | instskip(NEXT) | instid1(VALU_DEP_1)
	v_fma_f64 v[160:161], v[160:161], v[164:165], v[162:163]
	v_div_scale_f64 v[162:163], null, v[160:161], v[160:161], 1.0
	s_delay_alu instid0(VALU_DEP_1) | instskip(SKIP_2) | instid1(VALU_DEP_1)
	v_rcp_f64_e32 v[166:167], v[162:163]
	s_waitcnt_depctr 0xfff
	v_fma_f64 v[168:169], -v[162:163], v[166:167], 1.0
	v_fma_f64 v[166:167], v[166:167], v[168:169], v[166:167]
	s_delay_alu instid0(VALU_DEP_1) | instskip(NEXT) | instid1(VALU_DEP_1)
	v_fma_f64 v[168:169], -v[162:163], v[166:167], 1.0
	v_fma_f64 v[166:167], v[166:167], v[168:169], v[166:167]
	v_div_scale_f64 v[168:169], vcc_lo, 1.0, v[160:161], 1.0
	s_delay_alu instid0(VALU_DEP_1) | instskip(NEXT) | instid1(VALU_DEP_1)
	v_mul_f64 v[170:171], v[168:169], v[166:167]
	v_fma_f64 v[162:163], -v[162:163], v[170:171], v[168:169]
	s_delay_alu instid0(VALU_DEP_1) | instskip(NEXT) | instid1(VALU_DEP_1)
	v_div_fmas_f64 v[162:163], v[162:163], v[166:167], v[170:171]
	v_div_fixup_f64 v[166:167], v[162:163], v[160:161], 1.0
                                        ; implicit-def: $vgpr160_vgpr161
	s_delay_alu instid0(VALU_DEP_1)
	v_mul_f64 v[168:169], v[164:165], v[166:167]
	v_xor_b32_e32 v167, 0x80000000, v167
.LBB79_14:
	s_and_not1_saveexec_b32 s3, s3
	s_cbranch_execz .LBB79_16
; %bb.15:
	v_div_scale_f64 v[164:165], null, v[160:161], v[160:161], v[162:163]
	v_div_scale_f64 v[170:171], vcc_lo, v[162:163], v[160:161], v[162:163]
	s_delay_alu instid0(VALU_DEP_2) | instskip(SKIP_2) | instid1(VALU_DEP_1)
	v_rcp_f64_e32 v[166:167], v[164:165]
	s_waitcnt_depctr 0xfff
	v_fma_f64 v[168:169], -v[164:165], v[166:167], 1.0
	v_fma_f64 v[166:167], v[166:167], v[168:169], v[166:167]
	s_delay_alu instid0(VALU_DEP_1) | instskip(NEXT) | instid1(VALU_DEP_1)
	v_fma_f64 v[168:169], -v[164:165], v[166:167], 1.0
	v_fma_f64 v[166:167], v[166:167], v[168:169], v[166:167]
	s_delay_alu instid0(VALU_DEP_1) | instskip(NEXT) | instid1(VALU_DEP_1)
	v_mul_f64 v[168:169], v[170:171], v[166:167]
	v_fma_f64 v[164:165], -v[164:165], v[168:169], v[170:171]
	s_delay_alu instid0(VALU_DEP_1) | instskip(NEXT) | instid1(VALU_DEP_1)
	v_div_fmas_f64 v[164:165], v[164:165], v[166:167], v[168:169]
	v_div_fixup_f64 v[164:165], v[164:165], v[160:161], v[162:163]
	s_delay_alu instid0(VALU_DEP_1) | instskip(NEXT) | instid1(VALU_DEP_1)
	v_fma_f64 v[160:161], v[162:163], v[164:165], v[160:161]
	v_div_scale_f64 v[162:163], null, v[160:161], v[160:161], 1.0
	s_delay_alu instid0(VALU_DEP_1) | instskip(SKIP_2) | instid1(VALU_DEP_1)
	v_rcp_f64_e32 v[166:167], v[162:163]
	s_waitcnt_depctr 0xfff
	v_fma_f64 v[168:169], -v[162:163], v[166:167], 1.0
	v_fma_f64 v[166:167], v[166:167], v[168:169], v[166:167]
	s_delay_alu instid0(VALU_DEP_1) | instskip(NEXT) | instid1(VALU_DEP_1)
	v_fma_f64 v[168:169], -v[162:163], v[166:167], 1.0
	v_fma_f64 v[166:167], v[166:167], v[168:169], v[166:167]
	v_div_scale_f64 v[168:169], vcc_lo, 1.0, v[160:161], 1.0
	s_delay_alu instid0(VALU_DEP_1) | instskip(NEXT) | instid1(VALU_DEP_1)
	v_mul_f64 v[170:171], v[168:169], v[166:167]
	v_fma_f64 v[162:163], -v[162:163], v[170:171], v[168:169]
	s_delay_alu instid0(VALU_DEP_1) | instskip(NEXT) | instid1(VALU_DEP_1)
	v_div_fmas_f64 v[162:163], v[162:163], v[166:167], v[170:171]
	v_div_fixup_f64 v[168:169], v[162:163], v[160:161], 1.0
	s_delay_alu instid0(VALU_DEP_1)
	v_mul_f64 v[166:167], v[164:165], -v[168:169]
.LBB79_16:
	s_or_b32 exec_lo, exec_lo, s3
	ds_store_2addr_b64 v227, v[168:169], v[166:167] offset1:1
.LBB79_17:
	s_or_b32 exec_lo, exec_lo, s4
	s_waitcnt lgkmcnt(0)
	s_barrier
	buffer_gl0_inv
	ds_load_2addr_b64 v[160:163], v227 offset1:1
	s_mov_b32 s3, exec_lo
	s_waitcnt lgkmcnt(0)
	scratch_store_b128 off, v[160:163], off offset:256 ; 16-byte Folded Spill
	v_cmpx_lt_u32_e32 1, v226
	s_cbranch_execz .LBB79_19
; %bb.18:
	scratch_load_b128 v[162:165], off, off offset:256 ; 16-byte Folded Reload
	s_waitcnt vmcnt(0)
	v_mul_f64 v[160:161], v[164:165], v[154:155]
	v_mul_f64 v[154:155], v[162:163], v[154:155]
	s_delay_alu instid0(VALU_DEP_2) | instskip(NEXT) | instid1(VALU_DEP_2)
	v_fma_f64 v[160:161], v[162:163], v[152:153], -v[160:161]
	v_fma_f64 v[154:155], v[164:165], v[152:153], v[154:155]
	ds_load_2addr_b64 v[162:165], v228 offset0:4 offset1:5
	s_waitcnt lgkmcnt(0)
	v_mul_f64 v[152:153], v[164:165], v[154:155]
	s_delay_alu instid0(VALU_DEP_1) | instskip(SKIP_1) | instid1(VALU_DEP_2)
	v_fma_f64 v[152:153], v[162:163], v[160:161], -v[152:153]
	v_mul_f64 v[162:163], v[162:163], v[154:155]
	v_add_f64 v[148:149], v[148:149], -v[152:153]
	s_delay_alu instid0(VALU_DEP_2) | instskip(NEXT) | instid1(VALU_DEP_1)
	v_fma_f64 v[162:163], v[164:165], v[160:161], v[162:163]
	v_add_f64 v[150:151], v[150:151], -v[162:163]
	ds_load_2addr_b64 v[162:165], v228 offset0:6 offset1:7
	s_waitcnt lgkmcnt(0)
	v_mul_f64 v[152:153], v[164:165], v[154:155]
	s_delay_alu instid0(VALU_DEP_1) | instskip(SKIP_1) | instid1(VALU_DEP_2)
	v_fma_f64 v[152:153], v[162:163], v[160:161], -v[152:153]
	v_mul_f64 v[162:163], v[162:163], v[154:155]
	v_add_f64 v[144:145], v[144:145], -v[152:153]
	s_delay_alu instid0(VALU_DEP_2) | instskip(NEXT) | instid1(VALU_DEP_1)
	v_fma_f64 v[162:163], v[164:165], v[160:161], v[162:163]
	v_add_f64 v[146:147], v[146:147], -v[162:163]
	;; [unrolled: 10-line block ×37, first 2 shown]
	ds_load_2addr_b64 v[162:165], v228 offset0:78 offset1:79
	s_waitcnt lgkmcnt(0)
	v_mul_f64 v[152:153], v[164:165], v[154:155]
	s_delay_alu instid0(VALU_DEP_1) | instskip(SKIP_1) | instid1(VALU_DEP_2)
	v_fma_f64 v[152:153], v[162:163], v[160:161], -v[152:153]
	v_mul_f64 v[162:163], v[162:163], v[154:155]
	v_add_f64 v[0:1], v[0:1], -v[152:153]
	s_delay_alu instid0(VALU_DEP_2) | instskip(SKIP_1) | instid1(VALU_DEP_2)
	v_fma_f64 v[162:163], v[164:165], v[160:161], v[162:163]
	v_dual_mov_b32 v152, v160 :: v_dual_mov_b32 v153, v161
	v_add_f64 v[2:3], v[2:3], -v[162:163]
.LBB79_19:
	s_or_b32 exec_lo, exec_lo, s3
	s_delay_alu instid0(SALU_CYCLE_1)
	s_mov_b32 s4, exec_lo
	s_waitcnt_vscnt null, 0x0
	s_barrier
	buffer_gl0_inv
	v_cmpx_eq_u32_e32 2, v226
	s_cbranch_execz .LBB79_26
; %bb.20:
	ds_store_2addr_b64 v227, v[148:149], v[150:151] offset1:1
	ds_store_2addr_b64 v228, v[144:145], v[146:147] offset0:6 offset1:7
	ds_store_2addr_b64 v228, v[140:141], v[142:143] offset0:8 offset1:9
	;; [unrolled: 1-line block ×37, first 2 shown]
	ds_load_2addr_b64 v[160:163], v227 offset1:1
	s_waitcnt lgkmcnt(0)
	v_cmp_neq_f64_e32 vcc_lo, 0, v[160:161]
	v_cmp_neq_f64_e64 s3, 0, v[162:163]
	s_delay_alu instid0(VALU_DEP_1) | instskip(NEXT) | instid1(SALU_CYCLE_1)
	s_or_b32 s3, vcc_lo, s3
	s_and_b32 exec_lo, exec_lo, s3
	s_cbranch_execz .LBB79_26
; %bb.21:
	v_cmp_gt_f64_e32 vcc_lo, 0, v[160:161]
	v_xor_b32_e32 v164, 0x80000000, v161
	v_xor_b32_e32 v166, 0x80000000, v163
	s_mov_b32 s3, exec_lo
                                        ; implicit-def: $vgpr168_vgpr169
	s_delay_alu instid0(VALU_DEP_2) | instskip(SKIP_4) | instid1(VALU_DEP_1)
	v_cndmask_b32_e32 v165, v161, v164, vcc_lo
	v_cndmask_b32_e32 v164, v160, v160, vcc_lo
	v_cmp_gt_f64_e32 vcc_lo, 0, v[162:163]
	v_cndmask_b32_e32 v167, v163, v166, vcc_lo
	v_cndmask_b32_e32 v166, v162, v162, vcc_lo
	v_cmpx_ngt_f64_e32 v[164:165], v[166:167]
	s_xor_b32 s3, exec_lo, s3
                                        ; implicit-def: $vgpr164_vgpr165_vgpr166_vgpr167
	s_cbranch_execz .LBB79_23
; %bb.22:
	v_div_scale_f64 v[164:165], null, v[162:163], v[162:163], v[160:161]
	v_div_scale_f64 v[170:171], vcc_lo, v[160:161], v[162:163], v[160:161]
	s_delay_alu instid0(VALU_DEP_2) | instskip(SKIP_2) | instid1(VALU_DEP_1)
	v_rcp_f64_e32 v[166:167], v[164:165]
	s_waitcnt_depctr 0xfff
	v_fma_f64 v[168:169], -v[164:165], v[166:167], 1.0
	v_fma_f64 v[166:167], v[166:167], v[168:169], v[166:167]
	s_delay_alu instid0(VALU_DEP_1) | instskip(NEXT) | instid1(VALU_DEP_1)
	v_fma_f64 v[168:169], -v[164:165], v[166:167], 1.0
	v_fma_f64 v[166:167], v[166:167], v[168:169], v[166:167]
	s_delay_alu instid0(VALU_DEP_1) | instskip(NEXT) | instid1(VALU_DEP_1)
	v_mul_f64 v[168:169], v[170:171], v[166:167]
	v_fma_f64 v[164:165], -v[164:165], v[168:169], v[170:171]
	s_delay_alu instid0(VALU_DEP_1) | instskip(NEXT) | instid1(VALU_DEP_1)
	v_div_fmas_f64 v[164:165], v[164:165], v[166:167], v[168:169]
	v_div_fixup_f64 v[164:165], v[164:165], v[162:163], v[160:161]
	s_delay_alu instid0(VALU_DEP_1) | instskip(NEXT) | instid1(VALU_DEP_1)
	v_fma_f64 v[160:161], v[160:161], v[164:165], v[162:163]
	v_div_scale_f64 v[162:163], null, v[160:161], v[160:161], 1.0
	s_delay_alu instid0(VALU_DEP_1) | instskip(SKIP_2) | instid1(VALU_DEP_1)
	v_rcp_f64_e32 v[166:167], v[162:163]
	s_waitcnt_depctr 0xfff
	v_fma_f64 v[168:169], -v[162:163], v[166:167], 1.0
	v_fma_f64 v[166:167], v[166:167], v[168:169], v[166:167]
	s_delay_alu instid0(VALU_DEP_1) | instskip(NEXT) | instid1(VALU_DEP_1)
	v_fma_f64 v[168:169], -v[162:163], v[166:167], 1.0
	v_fma_f64 v[166:167], v[166:167], v[168:169], v[166:167]
	v_div_scale_f64 v[168:169], vcc_lo, 1.0, v[160:161], 1.0
	s_delay_alu instid0(VALU_DEP_1) | instskip(NEXT) | instid1(VALU_DEP_1)
	v_mul_f64 v[170:171], v[168:169], v[166:167]
	v_fma_f64 v[162:163], -v[162:163], v[170:171], v[168:169]
	s_delay_alu instid0(VALU_DEP_1) | instskip(NEXT) | instid1(VALU_DEP_1)
	v_div_fmas_f64 v[162:163], v[162:163], v[166:167], v[170:171]
	v_div_fixup_f64 v[166:167], v[162:163], v[160:161], 1.0
                                        ; implicit-def: $vgpr160_vgpr161
	s_delay_alu instid0(VALU_DEP_1)
	v_mul_f64 v[168:169], v[164:165], v[166:167]
	v_xor_b32_e32 v167, 0x80000000, v167
.LBB79_23:
	s_and_not1_saveexec_b32 s3, s3
	s_cbranch_execz .LBB79_25
; %bb.24:
	v_div_scale_f64 v[164:165], null, v[160:161], v[160:161], v[162:163]
	v_div_scale_f64 v[170:171], vcc_lo, v[162:163], v[160:161], v[162:163]
	s_delay_alu instid0(VALU_DEP_2) | instskip(SKIP_2) | instid1(VALU_DEP_1)
	v_rcp_f64_e32 v[166:167], v[164:165]
	s_waitcnt_depctr 0xfff
	v_fma_f64 v[168:169], -v[164:165], v[166:167], 1.0
	v_fma_f64 v[166:167], v[166:167], v[168:169], v[166:167]
	s_delay_alu instid0(VALU_DEP_1) | instskip(NEXT) | instid1(VALU_DEP_1)
	v_fma_f64 v[168:169], -v[164:165], v[166:167], 1.0
	v_fma_f64 v[166:167], v[166:167], v[168:169], v[166:167]
	s_delay_alu instid0(VALU_DEP_1) | instskip(NEXT) | instid1(VALU_DEP_1)
	v_mul_f64 v[168:169], v[170:171], v[166:167]
	v_fma_f64 v[164:165], -v[164:165], v[168:169], v[170:171]
	s_delay_alu instid0(VALU_DEP_1) | instskip(NEXT) | instid1(VALU_DEP_1)
	v_div_fmas_f64 v[164:165], v[164:165], v[166:167], v[168:169]
	v_div_fixup_f64 v[164:165], v[164:165], v[160:161], v[162:163]
	s_delay_alu instid0(VALU_DEP_1) | instskip(NEXT) | instid1(VALU_DEP_1)
	v_fma_f64 v[160:161], v[162:163], v[164:165], v[160:161]
	v_div_scale_f64 v[162:163], null, v[160:161], v[160:161], 1.0
	s_delay_alu instid0(VALU_DEP_1) | instskip(SKIP_2) | instid1(VALU_DEP_1)
	v_rcp_f64_e32 v[166:167], v[162:163]
	s_waitcnt_depctr 0xfff
	v_fma_f64 v[168:169], -v[162:163], v[166:167], 1.0
	v_fma_f64 v[166:167], v[166:167], v[168:169], v[166:167]
	s_delay_alu instid0(VALU_DEP_1) | instskip(NEXT) | instid1(VALU_DEP_1)
	v_fma_f64 v[168:169], -v[162:163], v[166:167], 1.0
	v_fma_f64 v[166:167], v[166:167], v[168:169], v[166:167]
	v_div_scale_f64 v[168:169], vcc_lo, 1.0, v[160:161], 1.0
	s_delay_alu instid0(VALU_DEP_1) | instskip(NEXT) | instid1(VALU_DEP_1)
	v_mul_f64 v[170:171], v[168:169], v[166:167]
	v_fma_f64 v[162:163], -v[162:163], v[170:171], v[168:169]
	s_delay_alu instid0(VALU_DEP_1) | instskip(NEXT) | instid1(VALU_DEP_1)
	v_div_fmas_f64 v[162:163], v[162:163], v[166:167], v[170:171]
	v_div_fixup_f64 v[168:169], v[162:163], v[160:161], 1.0
	s_delay_alu instid0(VALU_DEP_1)
	v_mul_f64 v[166:167], v[164:165], -v[168:169]
.LBB79_25:
	s_or_b32 exec_lo, exec_lo, s3
	ds_store_2addr_b64 v227, v[168:169], v[166:167] offset1:1
.LBB79_26:
	s_or_b32 exec_lo, exec_lo, s4
	s_waitcnt lgkmcnt(0)
	s_barrier
	buffer_gl0_inv
	ds_load_2addr_b64 v[160:163], v227 offset1:1
	s_mov_b32 s3, exec_lo
	s_waitcnt lgkmcnt(0)
	scratch_store_b128 off, v[160:163], off offset:272 ; 16-byte Folded Spill
	v_cmpx_lt_u32_e32 2, v226
	s_cbranch_execz .LBB79_28
; %bb.27:
	scratch_load_b128 v[162:165], off, off offset:272 ; 16-byte Folded Reload
	s_waitcnt vmcnt(0)
	v_mul_f64 v[160:161], v[164:165], v[150:151]
	v_mul_f64 v[150:151], v[162:163], v[150:151]
	s_delay_alu instid0(VALU_DEP_2) | instskip(NEXT) | instid1(VALU_DEP_2)
	v_fma_f64 v[160:161], v[162:163], v[148:149], -v[160:161]
	v_fma_f64 v[150:151], v[164:165], v[148:149], v[150:151]
	ds_load_2addr_b64 v[162:165], v228 offset0:6 offset1:7
	s_waitcnt lgkmcnt(0)
	v_mul_f64 v[148:149], v[164:165], v[150:151]
	s_delay_alu instid0(VALU_DEP_1) | instskip(SKIP_1) | instid1(VALU_DEP_2)
	v_fma_f64 v[148:149], v[162:163], v[160:161], -v[148:149]
	v_mul_f64 v[162:163], v[162:163], v[150:151]
	v_add_f64 v[144:145], v[144:145], -v[148:149]
	s_delay_alu instid0(VALU_DEP_2) | instskip(NEXT) | instid1(VALU_DEP_1)
	v_fma_f64 v[162:163], v[164:165], v[160:161], v[162:163]
	v_add_f64 v[146:147], v[146:147], -v[162:163]
	ds_load_2addr_b64 v[162:165], v228 offset0:8 offset1:9
	s_waitcnt lgkmcnt(0)
	v_mul_f64 v[148:149], v[164:165], v[150:151]
	s_delay_alu instid0(VALU_DEP_1) | instskip(SKIP_1) | instid1(VALU_DEP_2)
	v_fma_f64 v[148:149], v[162:163], v[160:161], -v[148:149]
	v_mul_f64 v[162:163], v[162:163], v[150:151]
	v_add_f64 v[140:141], v[140:141], -v[148:149]
	s_delay_alu instid0(VALU_DEP_2) | instskip(NEXT) | instid1(VALU_DEP_1)
	v_fma_f64 v[162:163], v[164:165], v[160:161], v[162:163]
	v_add_f64 v[142:143], v[142:143], -v[162:163]
	;; [unrolled: 10-line block ×36, first 2 shown]
	ds_load_2addr_b64 v[162:165], v228 offset0:78 offset1:79
	s_waitcnt lgkmcnt(0)
	v_mul_f64 v[148:149], v[164:165], v[150:151]
	s_delay_alu instid0(VALU_DEP_1) | instskip(SKIP_1) | instid1(VALU_DEP_2)
	v_fma_f64 v[148:149], v[162:163], v[160:161], -v[148:149]
	v_mul_f64 v[162:163], v[162:163], v[150:151]
	v_add_f64 v[0:1], v[0:1], -v[148:149]
	s_delay_alu instid0(VALU_DEP_2) | instskip(SKIP_1) | instid1(VALU_DEP_2)
	v_fma_f64 v[162:163], v[164:165], v[160:161], v[162:163]
	v_dual_mov_b32 v148, v160 :: v_dual_mov_b32 v149, v161
	v_add_f64 v[2:3], v[2:3], -v[162:163]
.LBB79_28:
	s_or_b32 exec_lo, exec_lo, s3
	s_delay_alu instid0(SALU_CYCLE_1)
	s_mov_b32 s4, exec_lo
	s_waitcnt_vscnt null, 0x0
	s_barrier
	buffer_gl0_inv
	v_cmpx_eq_u32_e32 3, v226
	s_cbranch_execz .LBB79_35
; %bb.29:
	ds_store_2addr_b64 v227, v[144:145], v[146:147] offset1:1
	ds_store_2addr_b64 v228, v[140:141], v[142:143] offset0:8 offset1:9
	ds_store_2addr_b64 v228, v[136:137], v[138:139] offset0:10 offset1:11
	;; [unrolled: 1-line block ×36, first 2 shown]
	ds_load_2addr_b64 v[160:163], v227 offset1:1
	s_waitcnt lgkmcnt(0)
	v_cmp_neq_f64_e32 vcc_lo, 0, v[160:161]
	v_cmp_neq_f64_e64 s3, 0, v[162:163]
	s_delay_alu instid0(VALU_DEP_1) | instskip(NEXT) | instid1(SALU_CYCLE_1)
	s_or_b32 s3, vcc_lo, s3
	s_and_b32 exec_lo, exec_lo, s3
	s_cbranch_execz .LBB79_35
; %bb.30:
	v_cmp_gt_f64_e32 vcc_lo, 0, v[160:161]
	v_xor_b32_e32 v164, 0x80000000, v161
	v_xor_b32_e32 v166, 0x80000000, v163
	s_mov_b32 s3, exec_lo
                                        ; implicit-def: $vgpr168_vgpr169
	s_delay_alu instid0(VALU_DEP_2) | instskip(SKIP_4) | instid1(VALU_DEP_1)
	v_cndmask_b32_e32 v165, v161, v164, vcc_lo
	v_cndmask_b32_e32 v164, v160, v160, vcc_lo
	v_cmp_gt_f64_e32 vcc_lo, 0, v[162:163]
	v_cndmask_b32_e32 v167, v163, v166, vcc_lo
	v_cndmask_b32_e32 v166, v162, v162, vcc_lo
	v_cmpx_ngt_f64_e32 v[164:165], v[166:167]
	s_xor_b32 s3, exec_lo, s3
                                        ; implicit-def: $vgpr164_vgpr165_vgpr166_vgpr167
	s_cbranch_execz .LBB79_32
; %bb.31:
	v_div_scale_f64 v[164:165], null, v[162:163], v[162:163], v[160:161]
	v_div_scale_f64 v[170:171], vcc_lo, v[160:161], v[162:163], v[160:161]
	s_delay_alu instid0(VALU_DEP_2) | instskip(SKIP_2) | instid1(VALU_DEP_1)
	v_rcp_f64_e32 v[166:167], v[164:165]
	s_waitcnt_depctr 0xfff
	v_fma_f64 v[168:169], -v[164:165], v[166:167], 1.0
	v_fma_f64 v[166:167], v[166:167], v[168:169], v[166:167]
	s_delay_alu instid0(VALU_DEP_1) | instskip(NEXT) | instid1(VALU_DEP_1)
	v_fma_f64 v[168:169], -v[164:165], v[166:167], 1.0
	v_fma_f64 v[166:167], v[166:167], v[168:169], v[166:167]
	s_delay_alu instid0(VALU_DEP_1) | instskip(NEXT) | instid1(VALU_DEP_1)
	v_mul_f64 v[168:169], v[170:171], v[166:167]
	v_fma_f64 v[164:165], -v[164:165], v[168:169], v[170:171]
	s_delay_alu instid0(VALU_DEP_1) | instskip(NEXT) | instid1(VALU_DEP_1)
	v_div_fmas_f64 v[164:165], v[164:165], v[166:167], v[168:169]
	v_div_fixup_f64 v[164:165], v[164:165], v[162:163], v[160:161]
	s_delay_alu instid0(VALU_DEP_1) | instskip(NEXT) | instid1(VALU_DEP_1)
	v_fma_f64 v[160:161], v[160:161], v[164:165], v[162:163]
	v_div_scale_f64 v[162:163], null, v[160:161], v[160:161], 1.0
	s_delay_alu instid0(VALU_DEP_1) | instskip(SKIP_2) | instid1(VALU_DEP_1)
	v_rcp_f64_e32 v[166:167], v[162:163]
	s_waitcnt_depctr 0xfff
	v_fma_f64 v[168:169], -v[162:163], v[166:167], 1.0
	v_fma_f64 v[166:167], v[166:167], v[168:169], v[166:167]
	s_delay_alu instid0(VALU_DEP_1) | instskip(NEXT) | instid1(VALU_DEP_1)
	v_fma_f64 v[168:169], -v[162:163], v[166:167], 1.0
	v_fma_f64 v[166:167], v[166:167], v[168:169], v[166:167]
	v_div_scale_f64 v[168:169], vcc_lo, 1.0, v[160:161], 1.0
	s_delay_alu instid0(VALU_DEP_1) | instskip(NEXT) | instid1(VALU_DEP_1)
	v_mul_f64 v[170:171], v[168:169], v[166:167]
	v_fma_f64 v[162:163], -v[162:163], v[170:171], v[168:169]
	s_delay_alu instid0(VALU_DEP_1) | instskip(NEXT) | instid1(VALU_DEP_1)
	v_div_fmas_f64 v[162:163], v[162:163], v[166:167], v[170:171]
	v_div_fixup_f64 v[166:167], v[162:163], v[160:161], 1.0
                                        ; implicit-def: $vgpr160_vgpr161
	s_delay_alu instid0(VALU_DEP_1)
	v_mul_f64 v[168:169], v[164:165], v[166:167]
	v_xor_b32_e32 v167, 0x80000000, v167
.LBB79_32:
	s_and_not1_saveexec_b32 s3, s3
	s_cbranch_execz .LBB79_34
; %bb.33:
	v_div_scale_f64 v[164:165], null, v[160:161], v[160:161], v[162:163]
	v_div_scale_f64 v[170:171], vcc_lo, v[162:163], v[160:161], v[162:163]
	s_delay_alu instid0(VALU_DEP_2) | instskip(SKIP_2) | instid1(VALU_DEP_1)
	v_rcp_f64_e32 v[166:167], v[164:165]
	s_waitcnt_depctr 0xfff
	v_fma_f64 v[168:169], -v[164:165], v[166:167], 1.0
	v_fma_f64 v[166:167], v[166:167], v[168:169], v[166:167]
	s_delay_alu instid0(VALU_DEP_1) | instskip(NEXT) | instid1(VALU_DEP_1)
	v_fma_f64 v[168:169], -v[164:165], v[166:167], 1.0
	v_fma_f64 v[166:167], v[166:167], v[168:169], v[166:167]
	s_delay_alu instid0(VALU_DEP_1) | instskip(NEXT) | instid1(VALU_DEP_1)
	v_mul_f64 v[168:169], v[170:171], v[166:167]
	v_fma_f64 v[164:165], -v[164:165], v[168:169], v[170:171]
	s_delay_alu instid0(VALU_DEP_1) | instskip(NEXT) | instid1(VALU_DEP_1)
	v_div_fmas_f64 v[164:165], v[164:165], v[166:167], v[168:169]
	v_div_fixup_f64 v[164:165], v[164:165], v[160:161], v[162:163]
	s_delay_alu instid0(VALU_DEP_1) | instskip(NEXT) | instid1(VALU_DEP_1)
	v_fma_f64 v[160:161], v[162:163], v[164:165], v[160:161]
	v_div_scale_f64 v[162:163], null, v[160:161], v[160:161], 1.0
	s_delay_alu instid0(VALU_DEP_1) | instskip(SKIP_2) | instid1(VALU_DEP_1)
	v_rcp_f64_e32 v[166:167], v[162:163]
	s_waitcnt_depctr 0xfff
	v_fma_f64 v[168:169], -v[162:163], v[166:167], 1.0
	v_fma_f64 v[166:167], v[166:167], v[168:169], v[166:167]
	s_delay_alu instid0(VALU_DEP_1) | instskip(NEXT) | instid1(VALU_DEP_1)
	v_fma_f64 v[168:169], -v[162:163], v[166:167], 1.0
	v_fma_f64 v[166:167], v[166:167], v[168:169], v[166:167]
	v_div_scale_f64 v[168:169], vcc_lo, 1.0, v[160:161], 1.0
	s_delay_alu instid0(VALU_DEP_1) | instskip(NEXT) | instid1(VALU_DEP_1)
	v_mul_f64 v[170:171], v[168:169], v[166:167]
	v_fma_f64 v[162:163], -v[162:163], v[170:171], v[168:169]
	s_delay_alu instid0(VALU_DEP_1) | instskip(NEXT) | instid1(VALU_DEP_1)
	v_div_fmas_f64 v[162:163], v[162:163], v[166:167], v[170:171]
	v_div_fixup_f64 v[168:169], v[162:163], v[160:161], 1.0
	s_delay_alu instid0(VALU_DEP_1)
	v_mul_f64 v[166:167], v[164:165], -v[168:169]
.LBB79_34:
	s_or_b32 exec_lo, exec_lo, s3
	ds_store_2addr_b64 v227, v[168:169], v[166:167] offset1:1
.LBB79_35:
	s_or_b32 exec_lo, exec_lo, s4
	s_waitcnt lgkmcnt(0)
	s_barrier
	buffer_gl0_inv
	ds_load_2addr_b64 v[160:163], v227 offset1:1
	s_mov_b32 s3, exec_lo
	s_waitcnt lgkmcnt(0)
	scratch_store_b128 off, v[160:163], off offset:288 ; 16-byte Folded Spill
	v_cmpx_lt_u32_e32 3, v226
	s_cbranch_execz .LBB79_37
; %bb.36:
	scratch_load_b128 v[162:165], off, off offset:288 ; 16-byte Folded Reload
	s_waitcnt vmcnt(0)
	v_mul_f64 v[160:161], v[164:165], v[146:147]
	v_mul_f64 v[146:147], v[162:163], v[146:147]
	s_delay_alu instid0(VALU_DEP_2) | instskip(NEXT) | instid1(VALU_DEP_2)
	v_fma_f64 v[160:161], v[162:163], v[144:145], -v[160:161]
	v_fma_f64 v[146:147], v[164:165], v[144:145], v[146:147]
	ds_load_2addr_b64 v[162:165], v228 offset0:8 offset1:9
	s_waitcnt lgkmcnt(0)
	v_mul_f64 v[144:145], v[164:165], v[146:147]
	s_delay_alu instid0(VALU_DEP_1) | instskip(SKIP_1) | instid1(VALU_DEP_2)
	v_fma_f64 v[144:145], v[162:163], v[160:161], -v[144:145]
	v_mul_f64 v[162:163], v[162:163], v[146:147]
	v_add_f64 v[140:141], v[140:141], -v[144:145]
	s_delay_alu instid0(VALU_DEP_2) | instskip(NEXT) | instid1(VALU_DEP_1)
	v_fma_f64 v[162:163], v[164:165], v[160:161], v[162:163]
	v_add_f64 v[142:143], v[142:143], -v[162:163]
	ds_load_2addr_b64 v[162:165], v228 offset0:10 offset1:11
	s_waitcnt lgkmcnt(0)
	v_mul_f64 v[144:145], v[164:165], v[146:147]
	s_delay_alu instid0(VALU_DEP_1) | instskip(SKIP_1) | instid1(VALU_DEP_2)
	v_fma_f64 v[144:145], v[162:163], v[160:161], -v[144:145]
	v_mul_f64 v[162:163], v[162:163], v[146:147]
	v_add_f64 v[136:137], v[136:137], -v[144:145]
	s_delay_alu instid0(VALU_DEP_2) | instskip(NEXT) | instid1(VALU_DEP_1)
	v_fma_f64 v[162:163], v[164:165], v[160:161], v[162:163]
	v_add_f64 v[138:139], v[138:139], -v[162:163]
	;; [unrolled: 10-line block ×35, first 2 shown]
	ds_load_2addr_b64 v[162:165], v228 offset0:78 offset1:79
	s_waitcnt lgkmcnt(0)
	v_mul_f64 v[144:145], v[164:165], v[146:147]
	s_delay_alu instid0(VALU_DEP_1) | instskip(SKIP_1) | instid1(VALU_DEP_2)
	v_fma_f64 v[144:145], v[162:163], v[160:161], -v[144:145]
	v_mul_f64 v[162:163], v[162:163], v[146:147]
	v_add_f64 v[0:1], v[0:1], -v[144:145]
	s_delay_alu instid0(VALU_DEP_2) | instskip(SKIP_1) | instid1(VALU_DEP_2)
	v_fma_f64 v[162:163], v[164:165], v[160:161], v[162:163]
	v_dual_mov_b32 v144, v160 :: v_dual_mov_b32 v145, v161
	v_add_f64 v[2:3], v[2:3], -v[162:163]
.LBB79_37:
	s_or_b32 exec_lo, exec_lo, s3
	s_delay_alu instid0(SALU_CYCLE_1)
	s_mov_b32 s4, exec_lo
	s_waitcnt_vscnt null, 0x0
	s_barrier
	buffer_gl0_inv
	v_cmpx_eq_u32_e32 4, v226
	s_cbranch_execz .LBB79_44
; %bb.38:
	ds_store_2addr_b64 v227, v[140:141], v[142:143] offset1:1
	ds_store_2addr_b64 v228, v[136:137], v[138:139] offset0:10 offset1:11
	ds_store_2addr_b64 v228, v[132:133], v[134:135] offset0:12 offset1:13
	ds_store_2addr_b64 v228, v[128:129], v[130:131] offset0:14 offset1:15
	ds_store_2addr_b64 v228, v[124:125], v[126:127] offset0:16 offset1:17
	ds_store_2addr_b64 v228, v[120:121], v[122:123] offset0:18 offset1:19
	ds_store_2addr_b64 v228, v[116:117], v[118:119] offset0:20 offset1:21
	ds_store_2addr_b64 v228, v[112:113], v[114:115] offset0:22 offset1:23
	ds_store_2addr_b64 v228, v[108:109], v[110:111] offset0:24 offset1:25
	ds_store_2addr_b64 v228, v[104:105], v[106:107] offset0:26 offset1:27
	ds_store_2addr_b64 v228, v[100:101], v[102:103] offset0:28 offset1:29
	ds_store_2addr_b64 v228, v[96:97], v[98:99] offset0:30 offset1:31
	ds_store_2addr_b64 v228, v[92:93], v[94:95] offset0:32 offset1:33
	ds_store_2addr_b64 v228, v[88:89], v[90:91] offset0:34 offset1:35
	ds_store_2addr_b64 v228, v[84:85], v[86:87] offset0:36 offset1:37
	ds_store_2addr_b64 v228, v[80:81], v[82:83] offset0:38 offset1:39
	ds_store_2addr_b64 v228, v[76:77], v[78:79] offset0:40 offset1:41
	ds_store_2addr_b64 v228, v[72:73], v[74:75] offset0:42 offset1:43
	ds_store_2addr_b64 v228, v[68:69], v[70:71] offset0:44 offset1:45
	ds_store_2addr_b64 v228, v[64:65], v[66:67] offset0:46 offset1:47
	ds_store_2addr_b64 v228, v[60:61], v[62:63] offset0:48 offset1:49
	ds_store_2addr_b64 v228, v[56:57], v[58:59] offset0:50 offset1:51
	ds_store_2addr_b64 v228, v[52:53], v[54:55] offset0:52 offset1:53
	ds_store_2addr_b64 v228, v[48:49], v[50:51] offset0:54 offset1:55
	ds_store_2addr_b64 v228, v[44:45], v[46:47] offset0:56 offset1:57
	ds_store_2addr_b64 v228, v[40:41], v[42:43] offset0:58 offset1:59
	ds_store_2addr_b64 v228, v[36:37], v[38:39] offset0:60 offset1:61
	ds_store_2addr_b64 v228, v[32:33], v[34:35] offset0:62 offset1:63
	ds_store_2addr_b64 v228, v[28:29], v[30:31] offset0:64 offset1:65
	ds_store_2addr_b64 v228, v[24:25], v[26:27] offset0:66 offset1:67
	ds_store_2addr_b64 v228, v[20:21], v[22:23] offset0:68 offset1:69
	ds_store_2addr_b64 v228, v[16:17], v[18:19] offset0:70 offset1:71
	ds_store_2addr_b64 v228, v[12:13], v[14:15] offset0:72 offset1:73
	ds_store_2addr_b64 v228, v[8:9], v[10:11] offset0:74 offset1:75
	ds_store_2addr_b64 v228, v[4:5], v[6:7] offset0:76 offset1:77
	ds_store_2addr_b64 v228, v[0:1], v[2:3] offset0:78 offset1:79
	ds_load_2addr_b64 v[160:163], v227 offset1:1
	s_waitcnt lgkmcnt(0)
	v_cmp_neq_f64_e32 vcc_lo, 0, v[160:161]
	v_cmp_neq_f64_e64 s3, 0, v[162:163]
	s_delay_alu instid0(VALU_DEP_1) | instskip(NEXT) | instid1(SALU_CYCLE_1)
	s_or_b32 s3, vcc_lo, s3
	s_and_b32 exec_lo, exec_lo, s3
	s_cbranch_execz .LBB79_44
; %bb.39:
	v_cmp_gt_f64_e32 vcc_lo, 0, v[160:161]
	v_xor_b32_e32 v164, 0x80000000, v161
	v_xor_b32_e32 v166, 0x80000000, v163
	s_mov_b32 s3, exec_lo
                                        ; implicit-def: $vgpr168_vgpr169
	s_delay_alu instid0(VALU_DEP_2) | instskip(SKIP_4) | instid1(VALU_DEP_1)
	v_cndmask_b32_e32 v165, v161, v164, vcc_lo
	v_cndmask_b32_e32 v164, v160, v160, vcc_lo
	v_cmp_gt_f64_e32 vcc_lo, 0, v[162:163]
	v_cndmask_b32_e32 v167, v163, v166, vcc_lo
	v_cndmask_b32_e32 v166, v162, v162, vcc_lo
	v_cmpx_ngt_f64_e32 v[164:165], v[166:167]
	s_xor_b32 s3, exec_lo, s3
                                        ; implicit-def: $vgpr164_vgpr165_vgpr166_vgpr167
	s_cbranch_execz .LBB79_41
; %bb.40:
	v_div_scale_f64 v[164:165], null, v[162:163], v[162:163], v[160:161]
	v_div_scale_f64 v[170:171], vcc_lo, v[160:161], v[162:163], v[160:161]
	s_delay_alu instid0(VALU_DEP_2) | instskip(SKIP_2) | instid1(VALU_DEP_1)
	v_rcp_f64_e32 v[166:167], v[164:165]
	s_waitcnt_depctr 0xfff
	v_fma_f64 v[168:169], -v[164:165], v[166:167], 1.0
	v_fma_f64 v[166:167], v[166:167], v[168:169], v[166:167]
	s_delay_alu instid0(VALU_DEP_1) | instskip(NEXT) | instid1(VALU_DEP_1)
	v_fma_f64 v[168:169], -v[164:165], v[166:167], 1.0
	v_fma_f64 v[166:167], v[166:167], v[168:169], v[166:167]
	s_delay_alu instid0(VALU_DEP_1) | instskip(NEXT) | instid1(VALU_DEP_1)
	v_mul_f64 v[168:169], v[170:171], v[166:167]
	v_fma_f64 v[164:165], -v[164:165], v[168:169], v[170:171]
	s_delay_alu instid0(VALU_DEP_1) | instskip(NEXT) | instid1(VALU_DEP_1)
	v_div_fmas_f64 v[164:165], v[164:165], v[166:167], v[168:169]
	v_div_fixup_f64 v[164:165], v[164:165], v[162:163], v[160:161]
	s_delay_alu instid0(VALU_DEP_1) | instskip(NEXT) | instid1(VALU_DEP_1)
	v_fma_f64 v[160:161], v[160:161], v[164:165], v[162:163]
	v_div_scale_f64 v[162:163], null, v[160:161], v[160:161], 1.0
	s_delay_alu instid0(VALU_DEP_1) | instskip(SKIP_2) | instid1(VALU_DEP_1)
	v_rcp_f64_e32 v[166:167], v[162:163]
	s_waitcnt_depctr 0xfff
	v_fma_f64 v[168:169], -v[162:163], v[166:167], 1.0
	v_fma_f64 v[166:167], v[166:167], v[168:169], v[166:167]
	s_delay_alu instid0(VALU_DEP_1) | instskip(NEXT) | instid1(VALU_DEP_1)
	v_fma_f64 v[168:169], -v[162:163], v[166:167], 1.0
	v_fma_f64 v[166:167], v[166:167], v[168:169], v[166:167]
	v_div_scale_f64 v[168:169], vcc_lo, 1.0, v[160:161], 1.0
	s_delay_alu instid0(VALU_DEP_1) | instskip(NEXT) | instid1(VALU_DEP_1)
	v_mul_f64 v[170:171], v[168:169], v[166:167]
	v_fma_f64 v[162:163], -v[162:163], v[170:171], v[168:169]
	s_delay_alu instid0(VALU_DEP_1) | instskip(NEXT) | instid1(VALU_DEP_1)
	v_div_fmas_f64 v[162:163], v[162:163], v[166:167], v[170:171]
	v_div_fixup_f64 v[166:167], v[162:163], v[160:161], 1.0
                                        ; implicit-def: $vgpr160_vgpr161
	s_delay_alu instid0(VALU_DEP_1)
	v_mul_f64 v[168:169], v[164:165], v[166:167]
	v_xor_b32_e32 v167, 0x80000000, v167
.LBB79_41:
	s_and_not1_saveexec_b32 s3, s3
	s_cbranch_execz .LBB79_43
; %bb.42:
	v_div_scale_f64 v[164:165], null, v[160:161], v[160:161], v[162:163]
	v_div_scale_f64 v[170:171], vcc_lo, v[162:163], v[160:161], v[162:163]
	s_delay_alu instid0(VALU_DEP_2) | instskip(SKIP_2) | instid1(VALU_DEP_1)
	v_rcp_f64_e32 v[166:167], v[164:165]
	s_waitcnt_depctr 0xfff
	v_fma_f64 v[168:169], -v[164:165], v[166:167], 1.0
	v_fma_f64 v[166:167], v[166:167], v[168:169], v[166:167]
	s_delay_alu instid0(VALU_DEP_1) | instskip(NEXT) | instid1(VALU_DEP_1)
	v_fma_f64 v[168:169], -v[164:165], v[166:167], 1.0
	v_fma_f64 v[166:167], v[166:167], v[168:169], v[166:167]
	s_delay_alu instid0(VALU_DEP_1) | instskip(NEXT) | instid1(VALU_DEP_1)
	v_mul_f64 v[168:169], v[170:171], v[166:167]
	v_fma_f64 v[164:165], -v[164:165], v[168:169], v[170:171]
	s_delay_alu instid0(VALU_DEP_1) | instskip(NEXT) | instid1(VALU_DEP_1)
	v_div_fmas_f64 v[164:165], v[164:165], v[166:167], v[168:169]
	v_div_fixup_f64 v[164:165], v[164:165], v[160:161], v[162:163]
	s_delay_alu instid0(VALU_DEP_1) | instskip(NEXT) | instid1(VALU_DEP_1)
	v_fma_f64 v[160:161], v[162:163], v[164:165], v[160:161]
	v_div_scale_f64 v[162:163], null, v[160:161], v[160:161], 1.0
	s_delay_alu instid0(VALU_DEP_1) | instskip(SKIP_2) | instid1(VALU_DEP_1)
	v_rcp_f64_e32 v[166:167], v[162:163]
	s_waitcnt_depctr 0xfff
	v_fma_f64 v[168:169], -v[162:163], v[166:167], 1.0
	v_fma_f64 v[166:167], v[166:167], v[168:169], v[166:167]
	s_delay_alu instid0(VALU_DEP_1) | instskip(NEXT) | instid1(VALU_DEP_1)
	v_fma_f64 v[168:169], -v[162:163], v[166:167], 1.0
	v_fma_f64 v[166:167], v[166:167], v[168:169], v[166:167]
	v_div_scale_f64 v[168:169], vcc_lo, 1.0, v[160:161], 1.0
	s_delay_alu instid0(VALU_DEP_1) | instskip(NEXT) | instid1(VALU_DEP_1)
	v_mul_f64 v[170:171], v[168:169], v[166:167]
	v_fma_f64 v[162:163], -v[162:163], v[170:171], v[168:169]
	s_delay_alu instid0(VALU_DEP_1) | instskip(NEXT) | instid1(VALU_DEP_1)
	v_div_fmas_f64 v[162:163], v[162:163], v[166:167], v[170:171]
	v_div_fixup_f64 v[168:169], v[162:163], v[160:161], 1.0
	s_delay_alu instid0(VALU_DEP_1)
	v_mul_f64 v[166:167], v[164:165], -v[168:169]
.LBB79_43:
	s_or_b32 exec_lo, exec_lo, s3
	ds_store_2addr_b64 v227, v[168:169], v[166:167] offset1:1
.LBB79_44:
	s_or_b32 exec_lo, exec_lo, s4
	s_waitcnt lgkmcnt(0)
	s_barrier
	buffer_gl0_inv
	ds_load_2addr_b64 v[160:163], v227 offset1:1
	s_mov_b32 s3, exec_lo
	s_waitcnt lgkmcnt(0)
	scratch_store_b128 off, v[160:163], off offset:304 ; 16-byte Folded Spill
	v_cmpx_lt_u32_e32 4, v226
	s_cbranch_execz .LBB79_46
; %bb.45:
	scratch_load_b128 v[162:165], off, off offset:304 ; 16-byte Folded Reload
	s_waitcnt vmcnt(0)
	v_mul_f64 v[160:161], v[164:165], v[142:143]
	v_mul_f64 v[142:143], v[162:163], v[142:143]
	s_delay_alu instid0(VALU_DEP_2) | instskip(NEXT) | instid1(VALU_DEP_2)
	v_fma_f64 v[160:161], v[162:163], v[140:141], -v[160:161]
	v_fma_f64 v[142:143], v[164:165], v[140:141], v[142:143]
	ds_load_2addr_b64 v[162:165], v228 offset0:10 offset1:11
	s_waitcnt lgkmcnt(0)
	v_mul_f64 v[140:141], v[164:165], v[142:143]
	s_delay_alu instid0(VALU_DEP_1) | instskip(SKIP_1) | instid1(VALU_DEP_2)
	v_fma_f64 v[140:141], v[162:163], v[160:161], -v[140:141]
	v_mul_f64 v[162:163], v[162:163], v[142:143]
	v_add_f64 v[136:137], v[136:137], -v[140:141]
	s_delay_alu instid0(VALU_DEP_2) | instskip(NEXT) | instid1(VALU_DEP_1)
	v_fma_f64 v[162:163], v[164:165], v[160:161], v[162:163]
	v_add_f64 v[138:139], v[138:139], -v[162:163]
	ds_load_2addr_b64 v[162:165], v228 offset0:12 offset1:13
	s_waitcnt lgkmcnt(0)
	v_mul_f64 v[140:141], v[164:165], v[142:143]
	s_delay_alu instid0(VALU_DEP_1) | instskip(SKIP_1) | instid1(VALU_DEP_2)
	v_fma_f64 v[140:141], v[162:163], v[160:161], -v[140:141]
	v_mul_f64 v[162:163], v[162:163], v[142:143]
	v_add_f64 v[132:133], v[132:133], -v[140:141]
	s_delay_alu instid0(VALU_DEP_2) | instskip(NEXT) | instid1(VALU_DEP_1)
	v_fma_f64 v[162:163], v[164:165], v[160:161], v[162:163]
	v_add_f64 v[134:135], v[134:135], -v[162:163]
	ds_load_2addr_b64 v[162:165], v228 offset0:14 offset1:15
	s_waitcnt lgkmcnt(0)
	v_mul_f64 v[140:141], v[164:165], v[142:143]
	s_delay_alu instid0(VALU_DEP_1) | instskip(SKIP_1) | instid1(VALU_DEP_2)
	v_fma_f64 v[140:141], v[162:163], v[160:161], -v[140:141]
	v_mul_f64 v[162:163], v[162:163], v[142:143]
	v_add_f64 v[128:129], v[128:129], -v[140:141]
	s_delay_alu instid0(VALU_DEP_2) | instskip(NEXT) | instid1(VALU_DEP_1)
	v_fma_f64 v[162:163], v[164:165], v[160:161], v[162:163]
	v_add_f64 v[130:131], v[130:131], -v[162:163]
	ds_load_2addr_b64 v[162:165], v228 offset0:16 offset1:17
	s_waitcnt lgkmcnt(0)
	v_mul_f64 v[140:141], v[164:165], v[142:143]
	s_delay_alu instid0(VALU_DEP_1) | instskip(SKIP_1) | instid1(VALU_DEP_2)
	v_fma_f64 v[140:141], v[162:163], v[160:161], -v[140:141]
	v_mul_f64 v[162:163], v[162:163], v[142:143]
	v_add_f64 v[124:125], v[124:125], -v[140:141]
	s_delay_alu instid0(VALU_DEP_2) | instskip(NEXT) | instid1(VALU_DEP_1)
	v_fma_f64 v[162:163], v[164:165], v[160:161], v[162:163]
	v_add_f64 v[126:127], v[126:127], -v[162:163]
	ds_load_2addr_b64 v[162:165], v228 offset0:18 offset1:19
	s_waitcnt lgkmcnt(0)
	v_mul_f64 v[140:141], v[164:165], v[142:143]
	s_delay_alu instid0(VALU_DEP_1) | instskip(SKIP_1) | instid1(VALU_DEP_2)
	v_fma_f64 v[140:141], v[162:163], v[160:161], -v[140:141]
	v_mul_f64 v[162:163], v[162:163], v[142:143]
	v_add_f64 v[120:121], v[120:121], -v[140:141]
	s_delay_alu instid0(VALU_DEP_2) | instskip(NEXT) | instid1(VALU_DEP_1)
	v_fma_f64 v[162:163], v[164:165], v[160:161], v[162:163]
	v_add_f64 v[122:123], v[122:123], -v[162:163]
	ds_load_2addr_b64 v[162:165], v228 offset0:20 offset1:21
	s_waitcnt lgkmcnt(0)
	v_mul_f64 v[140:141], v[164:165], v[142:143]
	s_delay_alu instid0(VALU_DEP_1) | instskip(SKIP_1) | instid1(VALU_DEP_2)
	v_fma_f64 v[140:141], v[162:163], v[160:161], -v[140:141]
	v_mul_f64 v[162:163], v[162:163], v[142:143]
	v_add_f64 v[116:117], v[116:117], -v[140:141]
	s_delay_alu instid0(VALU_DEP_2) | instskip(NEXT) | instid1(VALU_DEP_1)
	v_fma_f64 v[162:163], v[164:165], v[160:161], v[162:163]
	v_add_f64 v[118:119], v[118:119], -v[162:163]
	ds_load_2addr_b64 v[162:165], v228 offset0:22 offset1:23
	s_waitcnt lgkmcnt(0)
	v_mul_f64 v[140:141], v[164:165], v[142:143]
	s_delay_alu instid0(VALU_DEP_1) | instskip(SKIP_1) | instid1(VALU_DEP_2)
	v_fma_f64 v[140:141], v[162:163], v[160:161], -v[140:141]
	v_mul_f64 v[162:163], v[162:163], v[142:143]
	v_add_f64 v[112:113], v[112:113], -v[140:141]
	s_delay_alu instid0(VALU_DEP_2) | instskip(NEXT) | instid1(VALU_DEP_1)
	v_fma_f64 v[162:163], v[164:165], v[160:161], v[162:163]
	v_add_f64 v[114:115], v[114:115], -v[162:163]
	ds_load_2addr_b64 v[162:165], v228 offset0:24 offset1:25
	s_waitcnt lgkmcnt(0)
	v_mul_f64 v[140:141], v[164:165], v[142:143]
	s_delay_alu instid0(VALU_DEP_1) | instskip(SKIP_1) | instid1(VALU_DEP_2)
	v_fma_f64 v[140:141], v[162:163], v[160:161], -v[140:141]
	v_mul_f64 v[162:163], v[162:163], v[142:143]
	v_add_f64 v[108:109], v[108:109], -v[140:141]
	s_delay_alu instid0(VALU_DEP_2) | instskip(NEXT) | instid1(VALU_DEP_1)
	v_fma_f64 v[162:163], v[164:165], v[160:161], v[162:163]
	v_add_f64 v[110:111], v[110:111], -v[162:163]
	ds_load_2addr_b64 v[162:165], v228 offset0:26 offset1:27
	s_waitcnt lgkmcnt(0)
	v_mul_f64 v[140:141], v[164:165], v[142:143]
	s_delay_alu instid0(VALU_DEP_1) | instskip(SKIP_1) | instid1(VALU_DEP_2)
	v_fma_f64 v[140:141], v[162:163], v[160:161], -v[140:141]
	v_mul_f64 v[162:163], v[162:163], v[142:143]
	v_add_f64 v[104:105], v[104:105], -v[140:141]
	s_delay_alu instid0(VALU_DEP_2) | instskip(NEXT) | instid1(VALU_DEP_1)
	v_fma_f64 v[162:163], v[164:165], v[160:161], v[162:163]
	v_add_f64 v[106:107], v[106:107], -v[162:163]
	ds_load_2addr_b64 v[162:165], v228 offset0:28 offset1:29
	s_waitcnt lgkmcnt(0)
	v_mul_f64 v[140:141], v[164:165], v[142:143]
	s_delay_alu instid0(VALU_DEP_1) | instskip(SKIP_1) | instid1(VALU_DEP_2)
	v_fma_f64 v[140:141], v[162:163], v[160:161], -v[140:141]
	v_mul_f64 v[162:163], v[162:163], v[142:143]
	v_add_f64 v[100:101], v[100:101], -v[140:141]
	s_delay_alu instid0(VALU_DEP_2) | instskip(NEXT) | instid1(VALU_DEP_1)
	v_fma_f64 v[162:163], v[164:165], v[160:161], v[162:163]
	v_add_f64 v[102:103], v[102:103], -v[162:163]
	ds_load_2addr_b64 v[162:165], v228 offset0:30 offset1:31
	s_waitcnt lgkmcnt(0)
	v_mul_f64 v[140:141], v[164:165], v[142:143]
	s_delay_alu instid0(VALU_DEP_1) | instskip(SKIP_1) | instid1(VALU_DEP_2)
	v_fma_f64 v[140:141], v[162:163], v[160:161], -v[140:141]
	v_mul_f64 v[162:163], v[162:163], v[142:143]
	v_add_f64 v[96:97], v[96:97], -v[140:141]
	s_delay_alu instid0(VALU_DEP_2) | instskip(NEXT) | instid1(VALU_DEP_1)
	v_fma_f64 v[162:163], v[164:165], v[160:161], v[162:163]
	v_add_f64 v[98:99], v[98:99], -v[162:163]
	ds_load_2addr_b64 v[162:165], v228 offset0:32 offset1:33
	s_waitcnt lgkmcnt(0)
	v_mul_f64 v[140:141], v[164:165], v[142:143]
	s_delay_alu instid0(VALU_DEP_1) | instskip(SKIP_1) | instid1(VALU_DEP_2)
	v_fma_f64 v[140:141], v[162:163], v[160:161], -v[140:141]
	v_mul_f64 v[162:163], v[162:163], v[142:143]
	v_add_f64 v[92:93], v[92:93], -v[140:141]
	s_delay_alu instid0(VALU_DEP_2) | instskip(NEXT) | instid1(VALU_DEP_1)
	v_fma_f64 v[162:163], v[164:165], v[160:161], v[162:163]
	v_add_f64 v[94:95], v[94:95], -v[162:163]
	ds_load_2addr_b64 v[162:165], v228 offset0:34 offset1:35
	s_waitcnt lgkmcnt(0)
	v_mul_f64 v[140:141], v[164:165], v[142:143]
	s_delay_alu instid0(VALU_DEP_1) | instskip(SKIP_1) | instid1(VALU_DEP_2)
	v_fma_f64 v[140:141], v[162:163], v[160:161], -v[140:141]
	v_mul_f64 v[162:163], v[162:163], v[142:143]
	v_add_f64 v[88:89], v[88:89], -v[140:141]
	s_delay_alu instid0(VALU_DEP_2) | instskip(NEXT) | instid1(VALU_DEP_1)
	v_fma_f64 v[162:163], v[164:165], v[160:161], v[162:163]
	v_add_f64 v[90:91], v[90:91], -v[162:163]
	ds_load_2addr_b64 v[162:165], v228 offset0:36 offset1:37
	s_waitcnt lgkmcnt(0)
	v_mul_f64 v[140:141], v[164:165], v[142:143]
	s_delay_alu instid0(VALU_DEP_1) | instskip(SKIP_1) | instid1(VALU_DEP_2)
	v_fma_f64 v[140:141], v[162:163], v[160:161], -v[140:141]
	v_mul_f64 v[162:163], v[162:163], v[142:143]
	v_add_f64 v[84:85], v[84:85], -v[140:141]
	s_delay_alu instid0(VALU_DEP_2) | instskip(NEXT) | instid1(VALU_DEP_1)
	v_fma_f64 v[162:163], v[164:165], v[160:161], v[162:163]
	v_add_f64 v[86:87], v[86:87], -v[162:163]
	ds_load_2addr_b64 v[162:165], v228 offset0:38 offset1:39
	s_waitcnt lgkmcnt(0)
	v_mul_f64 v[140:141], v[164:165], v[142:143]
	s_delay_alu instid0(VALU_DEP_1) | instskip(SKIP_1) | instid1(VALU_DEP_2)
	v_fma_f64 v[140:141], v[162:163], v[160:161], -v[140:141]
	v_mul_f64 v[162:163], v[162:163], v[142:143]
	v_add_f64 v[80:81], v[80:81], -v[140:141]
	s_delay_alu instid0(VALU_DEP_2) | instskip(NEXT) | instid1(VALU_DEP_1)
	v_fma_f64 v[162:163], v[164:165], v[160:161], v[162:163]
	v_add_f64 v[82:83], v[82:83], -v[162:163]
	ds_load_2addr_b64 v[162:165], v228 offset0:40 offset1:41
	s_waitcnt lgkmcnt(0)
	v_mul_f64 v[140:141], v[164:165], v[142:143]
	s_delay_alu instid0(VALU_DEP_1) | instskip(SKIP_1) | instid1(VALU_DEP_2)
	v_fma_f64 v[140:141], v[162:163], v[160:161], -v[140:141]
	v_mul_f64 v[162:163], v[162:163], v[142:143]
	v_add_f64 v[76:77], v[76:77], -v[140:141]
	s_delay_alu instid0(VALU_DEP_2) | instskip(NEXT) | instid1(VALU_DEP_1)
	v_fma_f64 v[162:163], v[164:165], v[160:161], v[162:163]
	v_add_f64 v[78:79], v[78:79], -v[162:163]
	ds_load_2addr_b64 v[162:165], v228 offset0:42 offset1:43
	s_waitcnt lgkmcnt(0)
	v_mul_f64 v[140:141], v[164:165], v[142:143]
	s_delay_alu instid0(VALU_DEP_1) | instskip(SKIP_1) | instid1(VALU_DEP_2)
	v_fma_f64 v[140:141], v[162:163], v[160:161], -v[140:141]
	v_mul_f64 v[162:163], v[162:163], v[142:143]
	v_add_f64 v[72:73], v[72:73], -v[140:141]
	s_delay_alu instid0(VALU_DEP_2) | instskip(NEXT) | instid1(VALU_DEP_1)
	v_fma_f64 v[162:163], v[164:165], v[160:161], v[162:163]
	v_add_f64 v[74:75], v[74:75], -v[162:163]
	ds_load_2addr_b64 v[162:165], v228 offset0:44 offset1:45
	s_waitcnt lgkmcnt(0)
	v_mul_f64 v[140:141], v[164:165], v[142:143]
	s_delay_alu instid0(VALU_DEP_1) | instskip(SKIP_1) | instid1(VALU_DEP_2)
	v_fma_f64 v[140:141], v[162:163], v[160:161], -v[140:141]
	v_mul_f64 v[162:163], v[162:163], v[142:143]
	v_add_f64 v[68:69], v[68:69], -v[140:141]
	s_delay_alu instid0(VALU_DEP_2) | instskip(NEXT) | instid1(VALU_DEP_1)
	v_fma_f64 v[162:163], v[164:165], v[160:161], v[162:163]
	v_add_f64 v[70:71], v[70:71], -v[162:163]
	ds_load_2addr_b64 v[162:165], v228 offset0:46 offset1:47
	s_waitcnt lgkmcnt(0)
	v_mul_f64 v[140:141], v[164:165], v[142:143]
	s_delay_alu instid0(VALU_DEP_1) | instskip(SKIP_1) | instid1(VALU_DEP_2)
	v_fma_f64 v[140:141], v[162:163], v[160:161], -v[140:141]
	v_mul_f64 v[162:163], v[162:163], v[142:143]
	v_add_f64 v[64:65], v[64:65], -v[140:141]
	s_delay_alu instid0(VALU_DEP_2) | instskip(NEXT) | instid1(VALU_DEP_1)
	v_fma_f64 v[162:163], v[164:165], v[160:161], v[162:163]
	v_add_f64 v[66:67], v[66:67], -v[162:163]
	ds_load_2addr_b64 v[162:165], v228 offset0:48 offset1:49
	s_waitcnt lgkmcnt(0)
	v_mul_f64 v[140:141], v[164:165], v[142:143]
	s_delay_alu instid0(VALU_DEP_1) | instskip(SKIP_1) | instid1(VALU_DEP_2)
	v_fma_f64 v[140:141], v[162:163], v[160:161], -v[140:141]
	v_mul_f64 v[162:163], v[162:163], v[142:143]
	v_add_f64 v[60:61], v[60:61], -v[140:141]
	s_delay_alu instid0(VALU_DEP_2) | instskip(NEXT) | instid1(VALU_DEP_1)
	v_fma_f64 v[162:163], v[164:165], v[160:161], v[162:163]
	v_add_f64 v[62:63], v[62:63], -v[162:163]
	ds_load_2addr_b64 v[162:165], v228 offset0:50 offset1:51
	s_waitcnt lgkmcnt(0)
	v_mul_f64 v[140:141], v[164:165], v[142:143]
	s_delay_alu instid0(VALU_DEP_1) | instskip(SKIP_1) | instid1(VALU_DEP_2)
	v_fma_f64 v[140:141], v[162:163], v[160:161], -v[140:141]
	v_mul_f64 v[162:163], v[162:163], v[142:143]
	v_add_f64 v[56:57], v[56:57], -v[140:141]
	s_delay_alu instid0(VALU_DEP_2) | instskip(NEXT) | instid1(VALU_DEP_1)
	v_fma_f64 v[162:163], v[164:165], v[160:161], v[162:163]
	v_add_f64 v[58:59], v[58:59], -v[162:163]
	ds_load_2addr_b64 v[162:165], v228 offset0:52 offset1:53
	s_waitcnt lgkmcnt(0)
	v_mul_f64 v[140:141], v[164:165], v[142:143]
	s_delay_alu instid0(VALU_DEP_1) | instskip(SKIP_1) | instid1(VALU_DEP_2)
	v_fma_f64 v[140:141], v[162:163], v[160:161], -v[140:141]
	v_mul_f64 v[162:163], v[162:163], v[142:143]
	v_add_f64 v[52:53], v[52:53], -v[140:141]
	s_delay_alu instid0(VALU_DEP_2) | instskip(NEXT) | instid1(VALU_DEP_1)
	v_fma_f64 v[162:163], v[164:165], v[160:161], v[162:163]
	v_add_f64 v[54:55], v[54:55], -v[162:163]
	ds_load_2addr_b64 v[162:165], v228 offset0:54 offset1:55
	s_waitcnt lgkmcnt(0)
	v_mul_f64 v[140:141], v[164:165], v[142:143]
	s_delay_alu instid0(VALU_DEP_1) | instskip(SKIP_1) | instid1(VALU_DEP_2)
	v_fma_f64 v[140:141], v[162:163], v[160:161], -v[140:141]
	v_mul_f64 v[162:163], v[162:163], v[142:143]
	v_add_f64 v[48:49], v[48:49], -v[140:141]
	s_delay_alu instid0(VALU_DEP_2) | instskip(NEXT) | instid1(VALU_DEP_1)
	v_fma_f64 v[162:163], v[164:165], v[160:161], v[162:163]
	v_add_f64 v[50:51], v[50:51], -v[162:163]
	ds_load_2addr_b64 v[162:165], v228 offset0:56 offset1:57
	s_waitcnt lgkmcnt(0)
	v_mul_f64 v[140:141], v[164:165], v[142:143]
	s_delay_alu instid0(VALU_DEP_1) | instskip(SKIP_1) | instid1(VALU_DEP_2)
	v_fma_f64 v[140:141], v[162:163], v[160:161], -v[140:141]
	v_mul_f64 v[162:163], v[162:163], v[142:143]
	v_add_f64 v[44:45], v[44:45], -v[140:141]
	s_delay_alu instid0(VALU_DEP_2) | instskip(NEXT) | instid1(VALU_DEP_1)
	v_fma_f64 v[162:163], v[164:165], v[160:161], v[162:163]
	v_add_f64 v[46:47], v[46:47], -v[162:163]
	ds_load_2addr_b64 v[162:165], v228 offset0:58 offset1:59
	s_waitcnt lgkmcnt(0)
	v_mul_f64 v[140:141], v[164:165], v[142:143]
	s_delay_alu instid0(VALU_DEP_1) | instskip(SKIP_1) | instid1(VALU_DEP_2)
	v_fma_f64 v[140:141], v[162:163], v[160:161], -v[140:141]
	v_mul_f64 v[162:163], v[162:163], v[142:143]
	v_add_f64 v[40:41], v[40:41], -v[140:141]
	s_delay_alu instid0(VALU_DEP_2) | instskip(NEXT) | instid1(VALU_DEP_1)
	v_fma_f64 v[162:163], v[164:165], v[160:161], v[162:163]
	v_add_f64 v[42:43], v[42:43], -v[162:163]
	ds_load_2addr_b64 v[162:165], v228 offset0:60 offset1:61
	s_waitcnt lgkmcnt(0)
	v_mul_f64 v[140:141], v[164:165], v[142:143]
	s_delay_alu instid0(VALU_DEP_1) | instskip(SKIP_1) | instid1(VALU_DEP_2)
	v_fma_f64 v[140:141], v[162:163], v[160:161], -v[140:141]
	v_mul_f64 v[162:163], v[162:163], v[142:143]
	v_add_f64 v[36:37], v[36:37], -v[140:141]
	s_delay_alu instid0(VALU_DEP_2) | instskip(NEXT) | instid1(VALU_DEP_1)
	v_fma_f64 v[162:163], v[164:165], v[160:161], v[162:163]
	v_add_f64 v[38:39], v[38:39], -v[162:163]
	ds_load_2addr_b64 v[162:165], v228 offset0:62 offset1:63
	s_waitcnt lgkmcnt(0)
	v_mul_f64 v[140:141], v[164:165], v[142:143]
	s_delay_alu instid0(VALU_DEP_1) | instskip(SKIP_1) | instid1(VALU_DEP_2)
	v_fma_f64 v[140:141], v[162:163], v[160:161], -v[140:141]
	v_mul_f64 v[162:163], v[162:163], v[142:143]
	v_add_f64 v[32:33], v[32:33], -v[140:141]
	s_delay_alu instid0(VALU_DEP_2) | instskip(NEXT) | instid1(VALU_DEP_1)
	v_fma_f64 v[162:163], v[164:165], v[160:161], v[162:163]
	v_add_f64 v[34:35], v[34:35], -v[162:163]
	ds_load_2addr_b64 v[162:165], v228 offset0:64 offset1:65
	s_waitcnt lgkmcnt(0)
	v_mul_f64 v[140:141], v[164:165], v[142:143]
	s_delay_alu instid0(VALU_DEP_1) | instskip(SKIP_1) | instid1(VALU_DEP_2)
	v_fma_f64 v[140:141], v[162:163], v[160:161], -v[140:141]
	v_mul_f64 v[162:163], v[162:163], v[142:143]
	v_add_f64 v[28:29], v[28:29], -v[140:141]
	s_delay_alu instid0(VALU_DEP_2) | instskip(NEXT) | instid1(VALU_DEP_1)
	v_fma_f64 v[162:163], v[164:165], v[160:161], v[162:163]
	v_add_f64 v[30:31], v[30:31], -v[162:163]
	ds_load_2addr_b64 v[162:165], v228 offset0:66 offset1:67
	s_waitcnt lgkmcnt(0)
	v_mul_f64 v[140:141], v[164:165], v[142:143]
	s_delay_alu instid0(VALU_DEP_1) | instskip(SKIP_1) | instid1(VALU_DEP_2)
	v_fma_f64 v[140:141], v[162:163], v[160:161], -v[140:141]
	v_mul_f64 v[162:163], v[162:163], v[142:143]
	v_add_f64 v[24:25], v[24:25], -v[140:141]
	s_delay_alu instid0(VALU_DEP_2) | instskip(NEXT) | instid1(VALU_DEP_1)
	v_fma_f64 v[162:163], v[164:165], v[160:161], v[162:163]
	v_add_f64 v[26:27], v[26:27], -v[162:163]
	ds_load_2addr_b64 v[162:165], v228 offset0:68 offset1:69
	s_waitcnt lgkmcnt(0)
	v_mul_f64 v[140:141], v[164:165], v[142:143]
	s_delay_alu instid0(VALU_DEP_1) | instskip(SKIP_1) | instid1(VALU_DEP_2)
	v_fma_f64 v[140:141], v[162:163], v[160:161], -v[140:141]
	v_mul_f64 v[162:163], v[162:163], v[142:143]
	v_add_f64 v[20:21], v[20:21], -v[140:141]
	s_delay_alu instid0(VALU_DEP_2) | instskip(NEXT) | instid1(VALU_DEP_1)
	v_fma_f64 v[162:163], v[164:165], v[160:161], v[162:163]
	v_add_f64 v[22:23], v[22:23], -v[162:163]
	ds_load_2addr_b64 v[162:165], v228 offset0:70 offset1:71
	s_waitcnt lgkmcnt(0)
	v_mul_f64 v[140:141], v[164:165], v[142:143]
	s_delay_alu instid0(VALU_DEP_1) | instskip(SKIP_1) | instid1(VALU_DEP_2)
	v_fma_f64 v[140:141], v[162:163], v[160:161], -v[140:141]
	v_mul_f64 v[162:163], v[162:163], v[142:143]
	v_add_f64 v[16:17], v[16:17], -v[140:141]
	s_delay_alu instid0(VALU_DEP_2) | instskip(NEXT) | instid1(VALU_DEP_1)
	v_fma_f64 v[162:163], v[164:165], v[160:161], v[162:163]
	v_add_f64 v[18:19], v[18:19], -v[162:163]
	ds_load_2addr_b64 v[162:165], v228 offset0:72 offset1:73
	s_waitcnt lgkmcnt(0)
	v_mul_f64 v[140:141], v[164:165], v[142:143]
	s_delay_alu instid0(VALU_DEP_1) | instskip(SKIP_1) | instid1(VALU_DEP_2)
	v_fma_f64 v[140:141], v[162:163], v[160:161], -v[140:141]
	v_mul_f64 v[162:163], v[162:163], v[142:143]
	v_add_f64 v[12:13], v[12:13], -v[140:141]
	s_delay_alu instid0(VALU_DEP_2) | instskip(NEXT) | instid1(VALU_DEP_1)
	v_fma_f64 v[162:163], v[164:165], v[160:161], v[162:163]
	v_add_f64 v[14:15], v[14:15], -v[162:163]
	ds_load_2addr_b64 v[162:165], v228 offset0:74 offset1:75
	s_waitcnt lgkmcnt(0)
	v_mul_f64 v[140:141], v[164:165], v[142:143]
	s_delay_alu instid0(VALU_DEP_1) | instskip(SKIP_1) | instid1(VALU_DEP_2)
	v_fma_f64 v[140:141], v[162:163], v[160:161], -v[140:141]
	v_mul_f64 v[162:163], v[162:163], v[142:143]
	v_add_f64 v[8:9], v[8:9], -v[140:141]
	s_delay_alu instid0(VALU_DEP_2) | instskip(NEXT) | instid1(VALU_DEP_1)
	v_fma_f64 v[162:163], v[164:165], v[160:161], v[162:163]
	v_add_f64 v[10:11], v[10:11], -v[162:163]
	ds_load_2addr_b64 v[162:165], v228 offset0:76 offset1:77
	s_waitcnt lgkmcnt(0)
	v_mul_f64 v[140:141], v[164:165], v[142:143]
	s_delay_alu instid0(VALU_DEP_1) | instskip(SKIP_1) | instid1(VALU_DEP_2)
	v_fma_f64 v[140:141], v[162:163], v[160:161], -v[140:141]
	v_mul_f64 v[162:163], v[162:163], v[142:143]
	v_add_f64 v[4:5], v[4:5], -v[140:141]
	s_delay_alu instid0(VALU_DEP_2) | instskip(NEXT) | instid1(VALU_DEP_1)
	v_fma_f64 v[162:163], v[164:165], v[160:161], v[162:163]
	v_add_f64 v[6:7], v[6:7], -v[162:163]
	ds_load_2addr_b64 v[162:165], v228 offset0:78 offset1:79
	s_waitcnt lgkmcnt(0)
	v_mul_f64 v[140:141], v[164:165], v[142:143]
	s_delay_alu instid0(VALU_DEP_1) | instskip(SKIP_1) | instid1(VALU_DEP_2)
	v_fma_f64 v[140:141], v[162:163], v[160:161], -v[140:141]
	v_mul_f64 v[162:163], v[162:163], v[142:143]
	v_add_f64 v[0:1], v[0:1], -v[140:141]
	s_delay_alu instid0(VALU_DEP_2) | instskip(SKIP_1) | instid1(VALU_DEP_2)
	v_fma_f64 v[162:163], v[164:165], v[160:161], v[162:163]
	v_dual_mov_b32 v140, v160 :: v_dual_mov_b32 v141, v161
	v_add_f64 v[2:3], v[2:3], -v[162:163]
.LBB79_46:
	s_or_b32 exec_lo, exec_lo, s3
	s_delay_alu instid0(SALU_CYCLE_1)
	s_mov_b32 s4, exec_lo
	s_waitcnt_vscnt null, 0x0
	s_barrier
	buffer_gl0_inv
	v_cmpx_eq_u32_e32 5, v226
	s_cbranch_execz .LBB79_53
; %bb.47:
	ds_store_2addr_b64 v227, v[136:137], v[138:139] offset1:1
	ds_store_2addr_b64 v228, v[132:133], v[134:135] offset0:12 offset1:13
	ds_store_2addr_b64 v228, v[128:129], v[130:131] offset0:14 offset1:15
	;; [unrolled: 1-line block ×34, first 2 shown]
	ds_load_2addr_b64 v[160:163], v227 offset1:1
	s_waitcnt lgkmcnt(0)
	v_cmp_neq_f64_e32 vcc_lo, 0, v[160:161]
	v_cmp_neq_f64_e64 s3, 0, v[162:163]
	s_delay_alu instid0(VALU_DEP_1) | instskip(NEXT) | instid1(SALU_CYCLE_1)
	s_or_b32 s3, vcc_lo, s3
	s_and_b32 exec_lo, exec_lo, s3
	s_cbranch_execz .LBB79_53
; %bb.48:
	v_cmp_gt_f64_e32 vcc_lo, 0, v[160:161]
	v_xor_b32_e32 v164, 0x80000000, v161
	v_xor_b32_e32 v166, 0x80000000, v163
	s_mov_b32 s3, exec_lo
                                        ; implicit-def: $vgpr168_vgpr169
	s_delay_alu instid0(VALU_DEP_2) | instskip(SKIP_4) | instid1(VALU_DEP_1)
	v_cndmask_b32_e32 v165, v161, v164, vcc_lo
	v_cndmask_b32_e32 v164, v160, v160, vcc_lo
	v_cmp_gt_f64_e32 vcc_lo, 0, v[162:163]
	v_cndmask_b32_e32 v167, v163, v166, vcc_lo
	v_cndmask_b32_e32 v166, v162, v162, vcc_lo
	v_cmpx_ngt_f64_e32 v[164:165], v[166:167]
	s_xor_b32 s3, exec_lo, s3
                                        ; implicit-def: $vgpr164_vgpr165_vgpr166_vgpr167
	s_cbranch_execz .LBB79_50
; %bb.49:
	v_div_scale_f64 v[164:165], null, v[162:163], v[162:163], v[160:161]
	v_div_scale_f64 v[170:171], vcc_lo, v[160:161], v[162:163], v[160:161]
	s_delay_alu instid0(VALU_DEP_2) | instskip(SKIP_2) | instid1(VALU_DEP_1)
	v_rcp_f64_e32 v[166:167], v[164:165]
	s_waitcnt_depctr 0xfff
	v_fma_f64 v[168:169], -v[164:165], v[166:167], 1.0
	v_fma_f64 v[166:167], v[166:167], v[168:169], v[166:167]
	s_delay_alu instid0(VALU_DEP_1) | instskip(NEXT) | instid1(VALU_DEP_1)
	v_fma_f64 v[168:169], -v[164:165], v[166:167], 1.0
	v_fma_f64 v[166:167], v[166:167], v[168:169], v[166:167]
	s_delay_alu instid0(VALU_DEP_1) | instskip(NEXT) | instid1(VALU_DEP_1)
	v_mul_f64 v[168:169], v[170:171], v[166:167]
	v_fma_f64 v[164:165], -v[164:165], v[168:169], v[170:171]
	s_delay_alu instid0(VALU_DEP_1) | instskip(NEXT) | instid1(VALU_DEP_1)
	v_div_fmas_f64 v[164:165], v[164:165], v[166:167], v[168:169]
	v_div_fixup_f64 v[164:165], v[164:165], v[162:163], v[160:161]
	s_delay_alu instid0(VALU_DEP_1) | instskip(NEXT) | instid1(VALU_DEP_1)
	v_fma_f64 v[160:161], v[160:161], v[164:165], v[162:163]
	v_div_scale_f64 v[162:163], null, v[160:161], v[160:161], 1.0
	s_delay_alu instid0(VALU_DEP_1) | instskip(SKIP_2) | instid1(VALU_DEP_1)
	v_rcp_f64_e32 v[166:167], v[162:163]
	s_waitcnt_depctr 0xfff
	v_fma_f64 v[168:169], -v[162:163], v[166:167], 1.0
	v_fma_f64 v[166:167], v[166:167], v[168:169], v[166:167]
	s_delay_alu instid0(VALU_DEP_1) | instskip(NEXT) | instid1(VALU_DEP_1)
	v_fma_f64 v[168:169], -v[162:163], v[166:167], 1.0
	v_fma_f64 v[166:167], v[166:167], v[168:169], v[166:167]
	v_div_scale_f64 v[168:169], vcc_lo, 1.0, v[160:161], 1.0
	s_delay_alu instid0(VALU_DEP_1) | instskip(NEXT) | instid1(VALU_DEP_1)
	v_mul_f64 v[170:171], v[168:169], v[166:167]
	v_fma_f64 v[162:163], -v[162:163], v[170:171], v[168:169]
	s_delay_alu instid0(VALU_DEP_1) | instskip(NEXT) | instid1(VALU_DEP_1)
	v_div_fmas_f64 v[162:163], v[162:163], v[166:167], v[170:171]
	v_div_fixup_f64 v[166:167], v[162:163], v[160:161], 1.0
                                        ; implicit-def: $vgpr160_vgpr161
	s_delay_alu instid0(VALU_DEP_1)
	v_mul_f64 v[168:169], v[164:165], v[166:167]
	v_xor_b32_e32 v167, 0x80000000, v167
.LBB79_50:
	s_and_not1_saveexec_b32 s3, s3
	s_cbranch_execz .LBB79_52
; %bb.51:
	v_div_scale_f64 v[164:165], null, v[160:161], v[160:161], v[162:163]
	v_div_scale_f64 v[170:171], vcc_lo, v[162:163], v[160:161], v[162:163]
	s_delay_alu instid0(VALU_DEP_2) | instskip(SKIP_2) | instid1(VALU_DEP_1)
	v_rcp_f64_e32 v[166:167], v[164:165]
	s_waitcnt_depctr 0xfff
	v_fma_f64 v[168:169], -v[164:165], v[166:167], 1.0
	v_fma_f64 v[166:167], v[166:167], v[168:169], v[166:167]
	s_delay_alu instid0(VALU_DEP_1) | instskip(NEXT) | instid1(VALU_DEP_1)
	v_fma_f64 v[168:169], -v[164:165], v[166:167], 1.0
	v_fma_f64 v[166:167], v[166:167], v[168:169], v[166:167]
	s_delay_alu instid0(VALU_DEP_1) | instskip(NEXT) | instid1(VALU_DEP_1)
	v_mul_f64 v[168:169], v[170:171], v[166:167]
	v_fma_f64 v[164:165], -v[164:165], v[168:169], v[170:171]
	s_delay_alu instid0(VALU_DEP_1) | instskip(NEXT) | instid1(VALU_DEP_1)
	v_div_fmas_f64 v[164:165], v[164:165], v[166:167], v[168:169]
	v_div_fixup_f64 v[164:165], v[164:165], v[160:161], v[162:163]
	s_delay_alu instid0(VALU_DEP_1) | instskip(NEXT) | instid1(VALU_DEP_1)
	v_fma_f64 v[160:161], v[162:163], v[164:165], v[160:161]
	v_div_scale_f64 v[162:163], null, v[160:161], v[160:161], 1.0
	s_delay_alu instid0(VALU_DEP_1) | instskip(SKIP_2) | instid1(VALU_DEP_1)
	v_rcp_f64_e32 v[166:167], v[162:163]
	s_waitcnt_depctr 0xfff
	v_fma_f64 v[168:169], -v[162:163], v[166:167], 1.0
	v_fma_f64 v[166:167], v[166:167], v[168:169], v[166:167]
	s_delay_alu instid0(VALU_DEP_1) | instskip(NEXT) | instid1(VALU_DEP_1)
	v_fma_f64 v[168:169], -v[162:163], v[166:167], 1.0
	v_fma_f64 v[166:167], v[166:167], v[168:169], v[166:167]
	v_div_scale_f64 v[168:169], vcc_lo, 1.0, v[160:161], 1.0
	s_delay_alu instid0(VALU_DEP_1) | instskip(NEXT) | instid1(VALU_DEP_1)
	v_mul_f64 v[170:171], v[168:169], v[166:167]
	v_fma_f64 v[162:163], -v[162:163], v[170:171], v[168:169]
	s_delay_alu instid0(VALU_DEP_1) | instskip(NEXT) | instid1(VALU_DEP_1)
	v_div_fmas_f64 v[162:163], v[162:163], v[166:167], v[170:171]
	v_div_fixup_f64 v[168:169], v[162:163], v[160:161], 1.0
	s_delay_alu instid0(VALU_DEP_1)
	v_mul_f64 v[166:167], v[164:165], -v[168:169]
.LBB79_52:
	s_or_b32 exec_lo, exec_lo, s3
	ds_store_2addr_b64 v227, v[168:169], v[166:167] offset1:1
.LBB79_53:
	s_or_b32 exec_lo, exec_lo, s4
	s_waitcnt lgkmcnt(0)
	s_barrier
	buffer_gl0_inv
	ds_load_2addr_b64 v[160:163], v227 offset1:1
	s_mov_b32 s3, exec_lo
	s_waitcnt lgkmcnt(0)
	scratch_store_b128 off, v[160:163], off offset:320 ; 16-byte Folded Spill
	v_cmpx_lt_u32_e32 5, v226
	s_cbranch_execz .LBB79_55
; %bb.54:
	scratch_load_b128 v[162:165], off, off offset:320 ; 16-byte Folded Reload
	s_waitcnt vmcnt(0)
	v_mul_f64 v[160:161], v[164:165], v[138:139]
	v_mul_f64 v[138:139], v[162:163], v[138:139]
	s_delay_alu instid0(VALU_DEP_2) | instskip(NEXT) | instid1(VALU_DEP_2)
	v_fma_f64 v[160:161], v[162:163], v[136:137], -v[160:161]
	v_fma_f64 v[138:139], v[164:165], v[136:137], v[138:139]
	ds_load_2addr_b64 v[162:165], v228 offset0:12 offset1:13
	s_waitcnt lgkmcnt(0)
	v_mul_f64 v[136:137], v[164:165], v[138:139]
	s_delay_alu instid0(VALU_DEP_1) | instskip(SKIP_1) | instid1(VALU_DEP_2)
	v_fma_f64 v[136:137], v[162:163], v[160:161], -v[136:137]
	v_mul_f64 v[162:163], v[162:163], v[138:139]
	v_add_f64 v[132:133], v[132:133], -v[136:137]
	s_delay_alu instid0(VALU_DEP_2) | instskip(NEXT) | instid1(VALU_DEP_1)
	v_fma_f64 v[162:163], v[164:165], v[160:161], v[162:163]
	v_add_f64 v[134:135], v[134:135], -v[162:163]
	ds_load_2addr_b64 v[162:165], v228 offset0:14 offset1:15
	s_waitcnt lgkmcnt(0)
	v_mul_f64 v[136:137], v[164:165], v[138:139]
	s_delay_alu instid0(VALU_DEP_1) | instskip(SKIP_1) | instid1(VALU_DEP_2)
	v_fma_f64 v[136:137], v[162:163], v[160:161], -v[136:137]
	v_mul_f64 v[162:163], v[162:163], v[138:139]
	v_add_f64 v[128:129], v[128:129], -v[136:137]
	s_delay_alu instid0(VALU_DEP_2) | instskip(NEXT) | instid1(VALU_DEP_1)
	v_fma_f64 v[162:163], v[164:165], v[160:161], v[162:163]
	v_add_f64 v[130:131], v[130:131], -v[162:163]
	;; [unrolled: 10-line block ×33, first 2 shown]
	ds_load_2addr_b64 v[162:165], v228 offset0:78 offset1:79
	s_waitcnt lgkmcnt(0)
	v_mul_f64 v[136:137], v[164:165], v[138:139]
	s_delay_alu instid0(VALU_DEP_1) | instskip(SKIP_1) | instid1(VALU_DEP_2)
	v_fma_f64 v[136:137], v[162:163], v[160:161], -v[136:137]
	v_mul_f64 v[162:163], v[162:163], v[138:139]
	v_add_f64 v[0:1], v[0:1], -v[136:137]
	s_delay_alu instid0(VALU_DEP_2) | instskip(SKIP_1) | instid1(VALU_DEP_2)
	v_fma_f64 v[162:163], v[164:165], v[160:161], v[162:163]
	v_dual_mov_b32 v136, v160 :: v_dual_mov_b32 v137, v161
	v_add_f64 v[2:3], v[2:3], -v[162:163]
.LBB79_55:
	s_or_b32 exec_lo, exec_lo, s3
	s_delay_alu instid0(SALU_CYCLE_1)
	s_mov_b32 s4, exec_lo
	s_waitcnt_vscnt null, 0x0
	s_barrier
	buffer_gl0_inv
	v_cmpx_eq_u32_e32 6, v226
	s_cbranch_execz .LBB79_62
; %bb.56:
	ds_store_2addr_b64 v227, v[132:133], v[134:135] offset1:1
	ds_store_2addr_b64 v228, v[128:129], v[130:131] offset0:14 offset1:15
	ds_store_2addr_b64 v228, v[124:125], v[126:127] offset0:16 offset1:17
	;; [unrolled: 1-line block ×33, first 2 shown]
	ds_load_2addr_b64 v[160:163], v227 offset1:1
	s_waitcnt lgkmcnt(0)
	v_cmp_neq_f64_e32 vcc_lo, 0, v[160:161]
	v_cmp_neq_f64_e64 s3, 0, v[162:163]
	s_delay_alu instid0(VALU_DEP_1) | instskip(NEXT) | instid1(SALU_CYCLE_1)
	s_or_b32 s3, vcc_lo, s3
	s_and_b32 exec_lo, exec_lo, s3
	s_cbranch_execz .LBB79_62
; %bb.57:
	v_cmp_gt_f64_e32 vcc_lo, 0, v[160:161]
	v_xor_b32_e32 v164, 0x80000000, v161
	v_xor_b32_e32 v166, 0x80000000, v163
	s_mov_b32 s3, exec_lo
                                        ; implicit-def: $vgpr168_vgpr169
	s_delay_alu instid0(VALU_DEP_2) | instskip(SKIP_4) | instid1(VALU_DEP_1)
	v_cndmask_b32_e32 v165, v161, v164, vcc_lo
	v_cndmask_b32_e32 v164, v160, v160, vcc_lo
	v_cmp_gt_f64_e32 vcc_lo, 0, v[162:163]
	v_cndmask_b32_e32 v167, v163, v166, vcc_lo
	v_cndmask_b32_e32 v166, v162, v162, vcc_lo
	v_cmpx_ngt_f64_e32 v[164:165], v[166:167]
	s_xor_b32 s3, exec_lo, s3
                                        ; implicit-def: $vgpr164_vgpr165_vgpr166_vgpr167
	s_cbranch_execz .LBB79_59
; %bb.58:
	v_div_scale_f64 v[164:165], null, v[162:163], v[162:163], v[160:161]
	v_div_scale_f64 v[170:171], vcc_lo, v[160:161], v[162:163], v[160:161]
	s_delay_alu instid0(VALU_DEP_2) | instskip(SKIP_2) | instid1(VALU_DEP_1)
	v_rcp_f64_e32 v[166:167], v[164:165]
	s_waitcnt_depctr 0xfff
	v_fma_f64 v[168:169], -v[164:165], v[166:167], 1.0
	v_fma_f64 v[166:167], v[166:167], v[168:169], v[166:167]
	s_delay_alu instid0(VALU_DEP_1) | instskip(NEXT) | instid1(VALU_DEP_1)
	v_fma_f64 v[168:169], -v[164:165], v[166:167], 1.0
	v_fma_f64 v[166:167], v[166:167], v[168:169], v[166:167]
	s_delay_alu instid0(VALU_DEP_1) | instskip(NEXT) | instid1(VALU_DEP_1)
	v_mul_f64 v[168:169], v[170:171], v[166:167]
	v_fma_f64 v[164:165], -v[164:165], v[168:169], v[170:171]
	s_delay_alu instid0(VALU_DEP_1) | instskip(NEXT) | instid1(VALU_DEP_1)
	v_div_fmas_f64 v[164:165], v[164:165], v[166:167], v[168:169]
	v_div_fixup_f64 v[164:165], v[164:165], v[162:163], v[160:161]
	s_delay_alu instid0(VALU_DEP_1) | instskip(NEXT) | instid1(VALU_DEP_1)
	v_fma_f64 v[160:161], v[160:161], v[164:165], v[162:163]
	v_div_scale_f64 v[162:163], null, v[160:161], v[160:161], 1.0
	s_delay_alu instid0(VALU_DEP_1) | instskip(SKIP_2) | instid1(VALU_DEP_1)
	v_rcp_f64_e32 v[166:167], v[162:163]
	s_waitcnt_depctr 0xfff
	v_fma_f64 v[168:169], -v[162:163], v[166:167], 1.0
	v_fma_f64 v[166:167], v[166:167], v[168:169], v[166:167]
	s_delay_alu instid0(VALU_DEP_1) | instskip(NEXT) | instid1(VALU_DEP_1)
	v_fma_f64 v[168:169], -v[162:163], v[166:167], 1.0
	v_fma_f64 v[166:167], v[166:167], v[168:169], v[166:167]
	v_div_scale_f64 v[168:169], vcc_lo, 1.0, v[160:161], 1.0
	s_delay_alu instid0(VALU_DEP_1) | instskip(NEXT) | instid1(VALU_DEP_1)
	v_mul_f64 v[170:171], v[168:169], v[166:167]
	v_fma_f64 v[162:163], -v[162:163], v[170:171], v[168:169]
	s_delay_alu instid0(VALU_DEP_1) | instskip(NEXT) | instid1(VALU_DEP_1)
	v_div_fmas_f64 v[162:163], v[162:163], v[166:167], v[170:171]
	v_div_fixup_f64 v[166:167], v[162:163], v[160:161], 1.0
                                        ; implicit-def: $vgpr160_vgpr161
	s_delay_alu instid0(VALU_DEP_1)
	v_mul_f64 v[168:169], v[164:165], v[166:167]
	v_xor_b32_e32 v167, 0x80000000, v167
.LBB79_59:
	s_and_not1_saveexec_b32 s3, s3
	s_cbranch_execz .LBB79_61
; %bb.60:
	v_div_scale_f64 v[164:165], null, v[160:161], v[160:161], v[162:163]
	v_div_scale_f64 v[170:171], vcc_lo, v[162:163], v[160:161], v[162:163]
	s_delay_alu instid0(VALU_DEP_2) | instskip(SKIP_2) | instid1(VALU_DEP_1)
	v_rcp_f64_e32 v[166:167], v[164:165]
	s_waitcnt_depctr 0xfff
	v_fma_f64 v[168:169], -v[164:165], v[166:167], 1.0
	v_fma_f64 v[166:167], v[166:167], v[168:169], v[166:167]
	s_delay_alu instid0(VALU_DEP_1) | instskip(NEXT) | instid1(VALU_DEP_1)
	v_fma_f64 v[168:169], -v[164:165], v[166:167], 1.0
	v_fma_f64 v[166:167], v[166:167], v[168:169], v[166:167]
	s_delay_alu instid0(VALU_DEP_1) | instskip(NEXT) | instid1(VALU_DEP_1)
	v_mul_f64 v[168:169], v[170:171], v[166:167]
	v_fma_f64 v[164:165], -v[164:165], v[168:169], v[170:171]
	s_delay_alu instid0(VALU_DEP_1) | instskip(NEXT) | instid1(VALU_DEP_1)
	v_div_fmas_f64 v[164:165], v[164:165], v[166:167], v[168:169]
	v_div_fixup_f64 v[164:165], v[164:165], v[160:161], v[162:163]
	s_delay_alu instid0(VALU_DEP_1) | instskip(NEXT) | instid1(VALU_DEP_1)
	v_fma_f64 v[160:161], v[162:163], v[164:165], v[160:161]
	v_div_scale_f64 v[162:163], null, v[160:161], v[160:161], 1.0
	s_delay_alu instid0(VALU_DEP_1) | instskip(SKIP_2) | instid1(VALU_DEP_1)
	v_rcp_f64_e32 v[166:167], v[162:163]
	s_waitcnt_depctr 0xfff
	v_fma_f64 v[168:169], -v[162:163], v[166:167], 1.0
	v_fma_f64 v[166:167], v[166:167], v[168:169], v[166:167]
	s_delay_alu instid0(VALU_DEP_1) | instskip(NEXT) | instid1(VALU_DEP_1)
	v_fma_f64 v[168:169], -v[162:163], v[166:167], 1.0
	v_fma_f64 v[166:167], v[166:167], v[168:169], v[166:167]
	v_div_scale_f64 v[168:169], vcc_lo, 1.0, v[160:161], 1.0
	s_delay_alu instid0(VALU_DEP_1) | instskip(NEXT) | instid1(VALU_DEP_1)
	v_mul_f64 v[170:171], v[168:169], v[166:167]
	v_fma_f64 v[162:163], -v[162:163], v[170:171], v[168:169]
	s_delay_alu instid0(VALU_DEP_1) | instskip(NEXT) | instid1(VALU_DEP_1)
	v_div_fmas_f64 v[162:163], v[162:163], v[166:167], v[170:171]
	v_div_fixup_f64 v[168:169], v[162:163], v[160:161], 1.0
	s_delay_alu instid0(VALU_DEP_1)
	v_mul_f64 v[166:167], v[164:165], -v[168:169]
.LBB79_61:
	s_or_b32 exec_lo, exec_lo, s3
	ds_store_2addr_b64 v227, v[168:169], v[166:167] offset1:1
.LBB79_62:
	s_or_b32 exec_lo, exec_lo, s4
	s_waitcnt lgkmcnt(0)
	s_barrier
	buffer_gl0_inv
	ds_load_2addr_b64 v[160:163], v227 offset1:1
	s_mov_b32 s3, exec_lo
	s_waitcnt lgkmcnt(0)
	scratch_store_b128 off, v[160:163], off offset:336 ; 16-byte Folded Spill
	v_cmpx_lt_u32_e32 6, v226
	s_cbranch_execz .LBB79_64
; %bb.63:
	scratch_load_b128 v[162:165], off, off offset:336 ; 16-byte Folded Reload
	s_waitcnt vmcnt(0)
	v_mul_f64 v[160:161], v[164:165], v[134:135]
	v_mul_f64 v[134:135], v[162:163], v[134:135]
	s_delay_alu instid0(VALU_DEP_2) | instskip(NEXT) | instid1(VALU_DEP_2)
	v_fma_f64 v[160:161], v[162:163], v[132:133], -v[160:161]
	v_fma_f64 v[134:135], v[164:165], v[132:133], v[134:135]
	ds_load_2addr_b64 v[162:165], v228 offset0:14 offset1:15
	s_waitcnt lgkmcnt(0)
	v_mul_f64 v[132:133], v[164:165], v[134:135]
	s_delay_alu instid0(VALU_DEP_1) | instskip(SKIP_1) | instid1(VALU_DEP_2)
	v_fma_f64 v[132:133], v[162:163], v[160:161], -v[132:133]
	v_mul_f64 v[162:163], v[162:163], v[134:135]
	v_add_f64 v[128:129], v[128:129], -v[132:133]
	s_delay_alu instid0(VALU_DEP_2) | instskip(NEXT) | instid1(VALU_DEP_1)
	v_fma_f64 v[162:163], v[164:165], v[160:161], v[162:163]
	v_add_f64 v[130:131], v[130:131], -v[162:163]
	ds_load_2addr_b64 v[162:165], v228 offset0:16 offset1:17
	s_waitcnt lgkmcnt(0)
	v_mul_f64 v[132:133], v[164:165], v[134:135]
	s_delay_alu instid0(VALU_DEP_1) | instskip(SKIP_1) | instid1(VALU_DEP_2)
	v_fma_f64 v[132:133], v[162:163], v[160:161], -v[132:133]
	v_mul_f64 v[162:163], v[162:163], v[134:135]
	v_add_f64 v[124:125], v[124:125], -v[132:133]
	s_delay_alu instid0(VALU_DEP_2) | instskip(NEXT) | instid1(VALU_DEP_1)
	v_fma_f64 v[162:163], v[164:165], v[160:161], v[162:163]
	v_add_f64 v[126:127], v[126:127], -v[162:163]
	;; [unrolled: 10-line block ×32, first 2 shown]
	ds_load_2addr_b64 v[162:165], v228 offset0:78 offset1:79
	s_waitcnt lgkmcnt(0)
	v_mul_f64 v[132:133], v[164:165], v[134:135]
	s_delay_alu instid0(VALU_DEP_1) | instskip(SKIP_1) | instid1(VALU_DEP_2)
	v_fma_f64 v[132:133], v[162:163], v[160:161], -v[132:133]
	v_mul_f64 v[162:163], v[162:163], v[134:135]
	v_add_f64 v[0:1], v[0:1], -v[132:133]
	s_delay_alu instid0(VALU_DEP_2) | instskip(SKIP_1) | instid1(VALU_DEP_2)
	v_fma_f64 v[162:163], v[164:165], v[160:161], v[162:163]
	v_dual_mov_b32 v132, v160 :: v_dual_mov_b32 v133, v161
	v_add_f64 v[2:3], v[2:3], -v[162:163]
.LBB79_64:
	s_or_b32 exec_lo, exec_lo, s3
	s_delay_alu instid0(SALU_CYCLE_1)
	s_mov_b32 s4, exec_lo
	s_waitcnt_vscnt null, 0x0
	s_barrier
	buffer_gl0_inv
	v_cmpx_eq_u32_e32 7, v226
	s_cbranch_execz .LBB79_71
; %bb.65:
	ds_store_2addr_b64 v227, v[128:129], v[130:131] offset1:1
	ds_store_2addr_b64 v228, v[124:125], v[126:127] offset0:16 offset1:17
	ds_store_2addr_b64 v228, v[120:121], v[122:123] offset0:18 offset1:19
	;; [unrolled: 1-line block ×32, first 2 shown]
	ds_load_2addr_b64 v[160:163], v227 offset1:1
	s_waitcnt lgkmcnt(0)
	v_cmp_neq_f64_e32 vcc_lo, 0, v[160:161]
	v_cmp_neq_f64_e64 s3, 0, v[162:163]
	s_delay_alu instid0(VALU_DEP_1) | instskip(NEXT) | instid1(SALU_CYCLE_1)
	s_or_b32 s3, vcc_lo, s3
	s_and_b32 exec_lo, exec_lo, s3
	s_cbranch_execz .LBB79_71
; %bb.66:
	v_cmp_gt_f64_e32 vcc_lo, 0, v[160:161]
	v_xor_b32_e32 v164, 0x80000000, v161
	v_xor_b32_e32 v166, 0x80000000, v163
	s_mov_b32 s3, exec_lo
                                        ; implicit-def: $vgpr168_vgpr169
	s_delay_alu instid0(VALU_DEP_2) | instskip(SKIP_4) | instid1(VALU_DEP_1)
	v_cndmask_b32_e32 v165, v161, v164, vcc_lo
	v_cndmask_b32_e32 v164, v160, v160, vcc_lo
	v_cmp_gt_f64_e32 vcc_lo, 0, v[162:163]
	v_cndmask_b32_e32 v167, v163, v166, vcc_lo
	v_cndmask_b32_e32 v166, v162, v162, vcc_lo
	v_cmpx_ngt_f64_e32 v[164:165], v[166:167]
	s_xor_b32 s3, exec_lo, s3
                                        ; implicit-def: $vgpr164_vgpr165_vgpr166_vgpr167
	s_cbranch_execz .LBB79_68
; %bb.67:
	v_div_scale_f64 v[164:165], null, v[162:163], v[162:163], v[160:161]
	v_div_scale_f64 v[170:171], vcc_lo, v[160:161], v[162:163], v[160:161]
	s_delay_alu instid0(VALU_DEP_2) | instskip(SKIP_2) | instid1(VALU_DEP_1)
	v_rcp_f64_e32 v[166:167], v[164:165]
	s_waitcnt_depctr 0xfff
	v_fma_f64 v[168:169], -v[164:165], v[166:167], 1.0
	v_fma_f64 v[166:167], v[166:167], v[168:169], v[166:167]
	s_delay_alu instid0(VALU_DEP_1) | instskip(NEXT) | instid1(VALU_DEP_1)
	v_fma_f64 v[168:169], -v[164:165], v[166:167], 1.0
	v_fma_f64 v[166:167], v[166:167], v[168:169], v[166:167]
	s_delay_alu instid0(VALU_DEP_1) | instskip(NEXT) | instid1(VALU_DEP_1)
	v_mul_f64 v[168:169], v[170:171], v[166:167]
	v_fma_f64 v[164:165], -v[164:165], v[168:169], v[170:171]
	s_delay_alu instid0(VALU_DEP_1) | instskip(NEXT) | instid1(VALU_DEP_1)
	v_div_fmas_f64 v[164:165], v[164:165], v[166:167], v[168:169]
	v_div_fixup_f64 v[164:165], v[164:165], v[162:163], v[160:161]
	s_delay_alu instid0(VALU_DEP_1) | instskip(NEXT) | instid1(VALU_DEP_1)
	v_fma_f64 v[160:161], v[160:161], v[164:165], v[162:163]
	v_div_scale_f64 v[162:163], null, v[160:161], v[160:161], 1.0
	s_delay_alu instid0(VALU_DEP_1) | instskip(SKIP_2) | instid1(VALU_DEP_1)
	v_rcp_f64_e32 v[166:167], v[162:163]
	s_waitcnt_depctr 0xfff
	v_fma_f64 v[168:169], -v[162:163], v[166:167], 1.0
	v_fma_f64 v[166:167], v[166:167], v[168:169], v[166:167]
	s_delay_alu instid0(VALU_DEP_1) | instskip(NEXT) | instid1(VALU_DEP_1)
	v_fma_f64 v[168:169], -v[162:163], v[166:167], 1.0
	v_fma_f64 v[166:167], v[166:167], v[168:169], v[166:167]
	v_div_scale_f64 v[168:169], vcc_lo, 1.0, v[160:161], 1.0
	s_delay_alu instid0(VALU_DEP_1) | instskip(NEXT) | instid1(VALU_DEP_1)
	v_mul_f64 v[170:171], v[168:169], v[166:167]
	v_fma_f64 v[162:163], -v[162:163], v[170:171], v[168:169]
	s_delay_alu instid0(VALU_DEP_1) | instskip(NEXT) | instid1(VALU_DEP_1)
	v_div_fmas_f64 v[162:163], v[162:163], v[166:167], v[170:171]
	v_div_fixup_f64 v[166:167], v[162:163], v[160:161], 1.0
                                        ; implicit-def: $vgpr160_vgpr161
	s_delay_alu instid0(VALU_DEP_1)
	v_mul_f64 v[168:169], v[164:165], v[166:167]
	v_xor_b32_e32 v167, 0x80000000, v167
.LBB79_68:
	s_and_not1_saveexec_b32 s3, s3
	s_cbranch_execz .LBB79_70
; %bb.69:
	v_div_scale_f64 v[164:165], null, v[160:161], v[160:161], v[162:163]
	v_div_scale_f64 v[170:171], vcc_lo, v[162:163], v[160:161], v[162:163]
	s_delay_alu instid0(VALU_DEP_2) | instskip(SKIP_2) | instid1(VALU_DEP_1)
	v_rcp_f64_e32 v[166:167], v[164:165]
	s_waitcnt_depctr 0xfff
	v_fma_f64 v[168:169], -v[164:165], v[166:167], 1.0
	v_fma_f64 v[166:167], v[166:167], v[168:169], v[166:167]
	s_delay_alu instid0(VALU_DEP_1) | instskip(NEXT) | instid1(VALU_DEP_1)
	v_fma_f64 v[168:169], -v[164:165], v[166:167], 1.0
	v_fma_f64 v[166:167], v[166:167], v[168:169], v[166:167]
	s_delay_alu instid0(VALU_DEP_1) | instskip(NEXT) | instid1(VALU_DEP_1)
	v_mul_f64 v[168:169], v[170:171], v[166:167]
	v_fma_f64 v[164:165], -v[164:165], v[168:169], v[170:171]
	s_delay_alu instid0(VALU_DEP_1) | instskip(NEXT) | instid1(VALU_DEP_1)
	v_div_fmas_f64 v[164:165], v[164:165], v[166:167], v[168:169]
	v_div_fixup_f64 v[164:165], v[164:165], v[160:161], v[162:163]
	s_delay_alu instid0(VALU_DEP_1) | instskip(NEXT) | instid1(VALU_DEP_1)
	v_fma_f64 v[160:161], v[162:163], v[164:165], v[160:161]
	v_div_scale_f64 v[162:163], null, v[160:161], v[160:161], 1.0
	s_delay_alu instid0(VALU_DEP_1) | instskip(SKIP_2) | instid1(VALU_DEP_1)
	v_rcp_f64_e32 v[166:167], v[162:163]
	s_waitcnt_depctr 0xfff
	v_fma_f64 v[168:169], -v[162:163], v[166:167], 1.0
	v_fma_f64 v[166:167], v[166:167], v[168:169], v[166:167]
	s_delay_alu instid0(VALU_DEP_1) | instskip(NEXT) | instid1(VALU_DEP_1)
	v_fma_f64 v[168:169], -v[162:163], v[166:167], 1.0
	v_fma_f64 v[166:167], v[166:167], v[168:169], v[166:167]
	v_div_scale_f64 v[168:169], vcc_lo, 1.0, v[160:161], 1.0
	s_delay_alu instid0(VALU_DEP_1) | instskip(NEXT) | instid1(VALU_DEP_1)
	v_mul_f64 v[170:171], v[168:169], v[166:167]
	v_fma_f64 v[162:163], -v[162:163], v[170:171], v[168:169]
	s_delay_alu instid0(VALU_DEP_1) | instskip(NEXT) | instid1(VALU_DEP_1)
	v_div_fmas_f64 v[162:163], v[162:163], v[166:167], v[170:171]
	v_div_fixup_f64 v[168:169], v[162:163], v[160:161], 1.0
	s_delay_alu instid0(VALU_DEP_1)
	v_mul_f64 v[166:167], v[164:165], -v[168:169]
.LBB79_70:
	s_or_b32 exec_lo, exec_lo, s3
	ds_store_2addr_b64 v227, v[168:169], v[166:167] offset1:1
.LBB79_71:
	s_or_b32 exec_lo, exec_lo, s4
	s_waitcnt lgkmcnt(0)
	s_barrier
	buffer_gl0_inv
	ds_load_2addr_b64 v[160:163], v227 offset1:1
	s_mov_b32 s3, exec_lo
	s_waitcnt lgkmcnt(0)
	scratch_store_b128 off, v[160:163], off offset:352 ; 16-byte Folded Spill
	v_cmpx_lt_u32_e32 7, v226
	s_cbranch_execz .LBB79_73
; %bb.72:
	scratch_load_b128 v[162:165], off, off offset:352 ; 16-byte Folded Reload
	s_waitcnt vmcnt(0)
	v_mul_f64 v[160:161], v[164:165], v[130:131]
	v_mul_f64 v[130:131], v[162:163], v[130:131]
	s_delay_alu instid0(VALU_DEP_2) | instskip(NEXT) | instid1(VALU_DEP_2)
	v_fma_f64 v[160:161], v[162:163], v[128:129], -v[160:161]
	v_fma_f64 v[130:131], v[164:165], v[128:129], v[130:131]
	ds_load_2addr_b64 v[162:165], v228 offset0:16 offset1:17
	s_waitcnt lgkmcnt(0)
	v_mul_f64 v[128:129], v[164:165], v[130:131]
	s_delay_alu instid0(VALU_DEP_1) | instskip(SKIP_1) | instid1(VALU_DEP_2)
	v_fma_f64 v[128:129], v[162:163], v[160:161], -v[128:129]
	v_mul_f64 v[162:163], v[162:163], v[130:131]
	v_add_f64 v[124:125], v[124:125], -v[128:129]
	s_delay_alu instid0(VALU_DEP_2) | instskip(NEXT) | instid1(VALU_DEP_1)
	v_fma_f64 v[162:163], v[164:165], v[160:161], v[162:163]
	v_add_f64 v[126:127], v[126:127], -v[162:163]
	ds_load_2addr_b64 v[162:165], v228 offset0:18 offset1:19
	s_waitcnt lgkmcnt(0)
	v_mul_f64 v[128:129], v[164:165], v[130:131]
	s_delay_alu instid0(VALU_DEP_1) | instskip(SKIP_1) | instid1(VALU_DEP_2)
	v_fma_f64 v[128:129], v[162:163], v[160:161], -v[128:129]
	v_mul_f64 v[162:163], v[162:163], v[130:131]
	v_add_f64 v[120:121], v[120:121], -v[128:129]
	s_delay_alu instid0(VALU_DEP_2) | instskip(NEXT) | instid1(VALU_DEP_1)
	v_fma_f64 v[162:163], v[164:165], v[160:161], v[162:163]
	v_add_f64 v[122:123], v[122:123], -v[162:163]
	;; [unrolled: 10-line block ×31, first 2 shown]
	ds_load_2addr_b64 v[162:165], v228 offset0:78 offset1:79
	s_waitcnt lgkmcnt(0)
	v_mul_f64 v[128:129], v[164:165], v[130:131]
	s_delay_alu instid0(VALU_DEP_1) | instskip(SKIP_1) | instid1(VALU_DEP_2)
	v_fma_f64 v[128:129], v[162:163], v[160:161], -v[128:129]
	v_mul_f64 v[162:163], v[162:163], v[130:131]
	v_add_f64 v[0:1], v[0:1], -v[128:129]
	s_delay_alu instid0(VALU_DEP_2) | instskip(SKIP_1) | instid1(VALU_DEP_2)
	v_fma_f64 v[162:163], v[164:165], v[160:161], v[162:163]
	v_dual_mov_b32 v128, v160 :: v_dual_mov_b32 v129, v161
	v_add_f64 v[2:3], v[2:3], -v[162:163]
.LBB79_73:
	s_or_b32 exec_lo, exec_lo, s3
	s_delay_alu instid0(SALU_CYCLE_1)
	s_mov_b32 s4, exec_lo
	s_waitcnt_vscnt null, 0x0
	s_barrier
	buffer_gl0_inv
	v_cmpx_eq_u32_e32 8, v226
	s_cbranch_execz .LBB79_80
; %bb.74:
	ds_store_2addr_b64 v227, v[124:125], v[126:127] offset1:1
	ds_store_2addr_b64 v228, v[120:121], v[122:123] offset0:18 offset1:19
	ds_store_2addr_b64 v228, v[116:117], v[118:119] offset0:20 offset1:21
	;; [unrolled: 1-line block ×31, first 2 shown]
	ds_load_2addr_b64 v[160:163], v227 offset1:1
	s_waitcnt lgkmcnt(0)
	v_cmp_neq_f64_e32 vcc_lo, 0, v[160:161]
	v_cmp_neq_f64_e64 s3, 0, v[162:163]
	s_delay_alu instid0(VALU_DEP_1) | instskip(NEXT) | instid1(SALU_CYCLE_1)
	s_or_b32 s3, vcc_lo, s3
	s_and_b32 exec_lo, exec_lo, s3
	s_cbranch_execz .LBB79_80
; %bb.75:
	v_cmp_gt_f64_e32 vcc_lo, 0, v[160:161]
	v_xor_b32_e32 v164, 0x80000000, v161
	v_xor_b32_e32 v166, 0x80000000, v163
	s_mov_b32 s3, exec_lo
                                        ; implicit-def: $vgpr168_vgpr169
	s_delay_alu instid0(VALU_DEP_2) | instskip(SKIP_4) | instid1(VALU_DEP_1)
	v_cndmask_b32_e32 v165, v161, v164, vcc_lo
	v_cndmask_b32_e32 v164, v160, v160, vcc_lo
	v_cmp_gt_f64_e32 vcc_lo, 0, v[162:163]
	v_cndmask_b32_e32 v167, v163, v166, vcc_lo
	v_cndmask_b32_e32 v166, v162, v162, vcc_lo
	v_cmpx_ngt_f64_e32 v[164:165], v[166:167]
	s_xor_b32 s3, exec_lo, s3
                                        ; implicit-def: $vgpr164_vgpr165_vgpr166_vgpr167
	s_cbranch_execz .LBB79_77
; %bb.76:
	v_div_scale_f64 v[164:165], null, v[162:163], v[162:163], v[160:161]
	v_div_scale_f64 v[170:171], vcc_lo, v[160:161], v[162:163], v[160:161]
	s_delay_alu instid0(VALU_DEP_2) | instskip(SKIP_2) | instid1(VALU_DEP_1)
	v_rcp_f64_e32 v[166:167], v[164:165]
	s_waitcnt_depctr 0xfff
	v_fma_f64 v[168:169], -v[164:165], v[166:167], 1.0
	v_fma_f64 v[166:167], v[166:167], v[168:169], v[166:167]
	s_delay_alu instid0(VALU_DEP_1) | instskip(NEXT) | instid1(VALU_DEP_1)
	v_fma_f64 v[168:169], -v[164:165], v[166:167], 1.0
	v_fma_f64 v[166:167], v[166:167], v[168:169], v[166:167]
	s_delay_alu instid0(VALU_DEP_1) | instskip(NEXT) | instid1(VALU_DEP_1)
	v_mul_f64 v[168:169], v[170:171], v[166:167]
	v_fma_f64 v[164:165], -v[164:165], v[168:169], v[170:171]
	s_delay_alu instid0(VALU_DEP_1) | instskip(NEXT) | instid1(VALU_DEP_1)
	v_div_fmas_f64 v[164:165], v[164:165], v[166:167], v[168:169]
	v_div_fixup_f64 v[164:165], v[164:165], v[162:163], v[160:161]
	s_delay_alu instid0(VALU_DEP_1) | instskip(NEXT) | instid1(VALU_DEP_1)
	v_fma_f64 v[160:161], v[160:161], v[164:165], v[162:163]
	v_div_scale_f64 v[162:163], null, v[160:161], v[160:161], 1.0
	s_delay_alu instid0(VALU_DEP_1) | instskip(SKIP_2) | instid1(VALU_DEP_1)
	v_rcp_f64_e32 v[166:167], v[162:163]
	s_waitcnt_depctr 0xfff
	v_fma_f64 v[168:169], -v[162:163], v[166:167], 1.0
	v_fma_f64 v[166:167], v[166:167], v[168:169], v[166:167]
	s_delay_alu instid0(VALU_DEP_1) | instskip(NEXT) | instid1(VALU_DEP_1)
	v_fma_f64 v[168:169], -v[162:163], v[166:167], 1.0
	v_fma_f64 v[166:167], v[166:167], v[168:169], v[166:167]
	v_div_scale_f64 v[168:169], vcc_lo, 1.0, v[160:161], 1.0
	s_delay_alu instid0(VALU_DEP_1) | instskip(NEXT) | instid1(VALU_DEP_1)
	v_mul_f64 v[170:171], v[168:169], v[166:167]
	v_fma_f64 v[162:163], -v[162:163], v[170:171], v[168:169]
	s_delay_alu instid0(VALU_DEP_1) | instskip(NEXT) | instid1(VALU_DEP_1)
	v_div_fmas_f64 v[162:163], v[162:163], v[166:167], v[170:171]
	v_div_fixup_f64 v[166:167], v[162:163], v[160:161], 1.0
                                        ; implicit-def: $vgpr160_vgpr161
	s_delay_alu instid0(VALU_DEP_1)
	v_mul_f64 v[168:169], v[164:165], v[166:167]
	v_xor_b32_e32 v167, 0x80000000, v167
.LBB79_77:
	s_and_not1_saveexec_b32 s3, s3
	s_cbranch_execz .LBB79_79
; %bb.78:
	v_div_scale_f64 v[164:165], null, v[160:161], v[160:161], v[162:163]
	v_div_scale_f64 v[170:171], vcc_lo, v[162:163], v[160:161], v[162:163]
	s_delay_alu instid0(VALU_DEP_2) | instskip(SKIP_2) | instid1(VALU_DEP_1)
	v_rcp_f64_e32 v[166:167], v[164:165]
	s_waitcnt_depctr 0xfff
	v_fma_f64 v[168:169], -v[164:165], v[166:167], 1.0
	v_fma_f64 v[166:167], v[166:167], v[168:169], v[166:167]
	s_delay_alu instid0(VALU_DEP_1) | instskip(NEXT) | instid1(VALU_DEP_1)
	v_fma_f64 v[168:169], -v[164:165], v[166:167], 1.0
	v_fma_f64 v[166:167], v[166:167], v[168:169], v[166:167]
	s_delay_alu instid0(VALU_DEP_1) | instskip(NEXT) | instid1(VALU_DEP_1)
	v_mul_f64 v[168:169], v[170:171], v[166:167]
	v_fma_f64 v[164:165], -v[164:165], v[168:169], v[170:171]
	s_delay_alu instid0(VALU_DEP_1) | instskip(NEXT) | instid1(VALU_DEP_1)
	v_div_fmas_f64 v[164:165], v[164:165], v[166:167], v[168:169]
	v_div_fixup_f64 v[164:165], v[164:165], v[160:161], v[162:163]
	s_delay_alu instid0(VALU_DEP_1) | instskip(NEXT) | instid1(VALU_DEP_1)
	v_fma_f64 v[160:161], v[162:163], v[164:165], v[160:161]
	v_div_scale_f64 v[162:163], null, v[160:161], v[160:161], 1.0
	s_delay_alu instid0(VALU_DEP_1) | instskip(SKIP_2) | instid1(VALU_DEP_1)
	v_rcp_f64_e32 v[166:167], v[162:163]
	s_waitcnt_depctr 0xfff
	v_fma_f64 v[168:169], -v[162:163], v[166:167], 1.0
	v_fma_f64 v[166:167], v[166:167], v[168:169], v[166:167]
	s_delay_alu instid0(VALU_DEP_1) | instskip(NEXT) | instid1(VALU_DEP_1)
	v_fma_f64 v[168:169], -v[162:163], v[166:167], 1.0
	v_fma_f64 v[166:167], v[166:167], v[168:169], v[166:167]
	v_div_scale_f64 v[168:169], vcc_lo, 1.0, v[160:161], 1.0
	s_delay_alu instid0(VALU_DEP_1) | instskip(NEXT) | instid1(VALU_DEP_1)
	v_mul_f64 v[170:171], v[168:169], v[166:167]
	v_fma_f64 v[162:163], -v[162:163], v[170:171], v[168:169]
	s_delay_alu instid0(VALU_DEP_1) | instskip(NEXT) | instid1(VALU_DEP_1)
	v_div_fmas_f64 v[162:163], v[162:163], v[166:167], v[170:171]
	v_div_fixup_f64 v[168:169], v[162:163], v[160:161], 1.0
	s_delay_alu instid0(VALU_DEP_1)
	v_mul_f64 v[166:167], v[164:165], -v[168:169]
.LBB79_79:
	s_or_b32 exec_lo, exec_lo, s3
	ds_store_2addr_b64 v227, v[168:169], v[166:167] offset1:1
.LBB79_80:
	s_or_b32 exec_lo, exec_lo, s4
	s_waitcnt lgkmcnt(0)
	s_barrier
	buffer_gl0_inv
	ds_load_2addr_b64 v[160:163], v227 offset1:1
	s_mov_b32 s3, exec_lo
	s_waitcnt lgkmcnt(0)
	scratch_store_b128 off, v[160:163], off offset:368 ; 16-byte Folded Spill
	v_cmpx_lt_u32_e32 8, v226
	s_cbranch_execz .LBB79_82
; %bb.81:
	scratch_load_b128 v[162:165], off, off offset:368 ; 16-byte Folded Reload
	s_waitcnt vmcnt(0)
	v_mul_f64 v[160:161], v[164:165], v[126:127]
	v_mul_f64 v[126:127], v[162:163], v[126:127]
	s_delay_alu instid0(VALU_DEP_2) | instskip(NEXT) | instid1(VALU_DEP_2)
	v_fma_f64 v[160:161], v[162:163], v[124:125], -v[160:161]
	v_fma_f64 v[126:127], v[164:165], v[124:125], v[126:127]
	ds_load_2addr_b64 v[162:165], v228 offset0:18 offset1:19
	s_waitcnt lgkmcnt(0)
	v_mul_f64 v[124:125], v[164:165], v[126:127]
	s_delay_alu instid0(VALU_DEP_1) | instskip(SKIP_1) | instid1(VALU_DEP_2)
	v_fma_f64 v[124:125], v[162:163], v[160:161], -v[124:125]
	v_mul_f64 v[162:163], v[162:163], v[126:127]
	v_add_f64 v[120:121], v[120:121], -v[124:125]
	s_delay_alu instid0(VALU_DEP_2) | instskip(NEXT) | instid1(VALU_DEP_1)
	v_fma_f64 v[162:163], v[164:165], v[160:161], v[162:163]
	v_add_f64 v[122:123], v[122:123], -v[162:163]
	ds_load_2addr_b64 v[162:165], v228 offset0:20 offset1:21
	s_waitcnt lgkmcnt(0)
	v_mul_f64 v[124:125], v[164:165], v[126:127]
	s_delay_alu instid0(VALU_DEP_1) | instskip(SKIP_1) | instid1(VALU_DEP_2)
	v_fma_f64 v[124:125], v[162:163], v[160:161], -v[124:125]
	v_mul_f64 v[162:163], v[162:163], v[126:127]
	v_add_f64 v[116:117], v[116:117], -v[124:125]
	s_delay_alu instid0(VALU_DEP_2) | instskip(NEXT) | instid1(VALU_DEP_1)
	v_fma_f64 v[162:163], v[164:165], v[160:161], v[162:163]
	v_add_f64 v[118:119], v[118:119], -v[162:163]
	;; [unrolled: 10-line block ×30, first 2 shown]
	ds_load_2addr_b64 v[162:165], v228 offset0:78 offset1:79
	s_waitcnt lgkmcnt(0)
	v_mul_f64 v[124:125], v[164:165], v[126:127]
	s_delay_alu instid0(VALU_DEP_1) | instskip(SKIP_1) | instid1(VALU_DEP_2)
	v_fma_f64 v[124:125], v[162:163], v[160:161], -v[124:125]
	v_mul_f64 v[162:163], v[162:163], v[126:127]
	v_add_f64 v[0:1], v[0:1], -v[124:125]
	s_delay_alu instid0(VALU_DEP_2) | instskip(SKIP_1) | instid1(VALU_DEP_2)
	v_fma_f64 v[162:163], v[164:165], v[160:161], v[162:163]
	v_dual_mov_b32 v124, v160 :: v_dual_mov_b32 v125, v161
	v_add_f64 v[2:3], v[2:3], -v[162:163]
.LBB79_82:
	s_or_b32 exec_lo, exec_lo, s3
	s_delay_alu instid0(SALU_CYCLE_1)
	s_mov_b32 s4, exec_lo
	s_waitcnt_vscnt null, 0x0
	s_barrier
	buffer_gl0_inv
	v_cmpx_eq_u32_e32 9, v226
	s_cbranch_execz .LBB79_89
; %bb.83:
	ds_store_2addr_b64 v227, v[120:121], v[122:123] offset1:1
	ds_store_2addr_b64 v228, v[116:117], v[118:119] offset0:20 offset1:21
	ds_store_2addr_b64 v228, v[112:113], v[114:115] offset0:22 offset1:23
	;; [unrolled: 1-line block ×30, first 2 shown]
	ds_load_2addr_b64 v[160:163], v227 offset1:1
	s_waitcnt lgkmcnt(0)
	v_cmp_neq_f64_e32 vcc_lo, 0, v[160:161]
	v_cmp_neq_f64_e64 s3, 0, v[162:163]
	s_delay_alu instid0(VALU_DEP_1) | instskip(NEXT) | instid1(SALU_CYCLE_1)
	s_or_b32 s3, vcc_lo, s3
	s_and_b32 exec_lo, exec_lo, s3
	s_cbranch_execz .LBB79_89
; %bb.84:
	v_cmp_gt_f64_e32 vcc_lo, 0, v[160:161]
	v_xor_b32_e32 v164, 0x80000000, v161
	v_xor_b32_e32 v166, 0x80000000, v163
	s_mov_b32 s3, exec_lo
                                        ; implicit-def: $vgpr168_vgpr169
	s_delay_alu instid0(VALU_DEP_2) | instskip(SKIP_4) | instid1(VALU_DEP_1)
	v_cndmask_b32_e32 v165, v161, v164, vcc_lo
	v_cndmask_b32_e32 v164, v160, v160, vcc_lo
	v_cmp_gt_f64_e32 vcc_lo, 0, v[162:163]
	v_cndmask_b32_e32 v167, v163, v166, vcc_lo
	v_cndmask_b32_e32 v166, v162, v162, vcc_lo
	v_cmpx_ngt_f64_e32 v[164:165], v[166:167]
	s_xor_b32 s3, exec_lo, s3
                                        ; implicit-def: $vgpr164_vgpr165_vgpr166_vgpr167
	s_cbranch_execz .LBB79_86
; %bb.85:
	v_div_scale_f64 v[164:165], null, v[162:163], v[162:163], v[160:161]
	v_div_scale_f64 v[170:171], vcc_lo, v[160:161], v[162:163], v[160:161]
	s_delay_alu instid0(VALU_DEP_2) | instskip(SKIP_2) | instid1(VALU_DEP_1)
	v_rcp_f64_e32 v[166:167], v[164:165]
	s_waitcnt_depctr 0xfff
	v_fma_f64 v[168:169], -v[164:165], v[166:167], 1.0
	v_fma_f64 v[166:167], v[166:167], v[168:169], v[166:167]
	s_delay_alu instid0(VALU_DEP_1) | instskip(NEXT) | instid1(VALU_DEP_1)
	v_fma_f64 v[168:169], -v[164:165], v[166:167], 1.0
	v_fma_f64 v[166:167], v[166:167], v[168:169], v[166:167]
	s_delay_alu instid0(VALU_DEP_1) | instskip(NEXT) | instid1(VALU_DEP_1)
	v_mul_f64 v[168:169], v[170:171], v[166:167]
	v_fma_f64 v[164:165], -v[164:165], v[168:169], v[170:171]
	s_delay_alu instid0(VALU_DEP_1) | instskip(NEXT) | instid1(VALU_DEP_1)
	v_div_fmas_f64 v[164:165], v[164:165], v[166:167], v[168:169]
	v_div_fixup_f64 v[164:165], v[164:165], v[162:163], v[160:161]
	s_delay_alu instid0(VALU_DEP_1) | instskip(NEXT) | instid1(VALU_DEP_1)
	v_fma_f64 v[160:161], v[160:161], v[164:165], v[162:163]
	v_div_scale_f64 v[162:163], null, v[160:161], v[160:161], 1.0
	s_delay_alu instid0(VALU_DEP_1) | instskip(SKIP_2) | instid1(VALU_DEP_1)
	v_rcp_f64_e32 v[166:167], v[162:163]
	s_waitcnt_depctr 0xfff
	v_fma_f64 v[168:169], -v[162:163], v[166:167], 1.0
	v_fma_f64 v[166:167], v[166:167], v[168:169], v[166:167]
	s_delay_alu instid0(VALU_DEP_1) | instskip(NEXT) | instid1(VALU_DEP_1)
	v_fma_f64 v[168:169], -v[162:163], v[166:167], 1.0
	v_fma_f64 v[166:167], v[166:167], v[168:169], v[166:167]
	v_div_scale_f64 v[168:169], vcc_lo, 1.0, v[160:161], 1.0
	s_delay_alu instid0(VALU_DEP_1) | instskip(NEXT) | instid1(VALU_DEP_1)
	v_mul_f64 v[170:171], v[168:169], v[166:167]
	v_fma_f64 v[162:163], -v[162:163], v[170:171], v[168:169]
	s_delay_alu instid0(VALU_DEP_1) | instskip(NEXT) | instid1(VALU_DEP_1)
	v_div_fmas_f64 v[162:163], v[162:163], v[166:167], v[170:171]
	v_div_fixup_f64 v[166:167], v[162:163], v[160:161], 1.0
                                        ; implicit-def: $vgpr160_vgpr161
	s_delay_alu instid0(VALU_DEP_1)
	v_mul_f64 v[168:169], v[164:165], v[166:167]
	v_xor_b32_e32 v167, 0x80000000, v167
.LBB79_86:
	s_and_not1_saveexec_b32 s3, s3
	s_cbranch_execz .LBB79_88
; %bb.87:
	v_div_scale_f64 v[164:165], null, v[160:161], v[160:161], v[162:163]
	v_div_scale_f64 v[170:171], vcc_lo, v[162:163], v[160:161], v[162:163]
	s_delay_alu instid0(VALU_DEP_2) | instskip(SKIP_2) | instid1(VALU_DEP_1)
	v_rcp_f64_e32 v[166:167], v[164:165]
	s_waitcnt_depctr 0xfff
	v_fma_f64 v[168:169], -v[164:165], v[166:167], 1.0
	v_fma_f64 v[166:167], v[166:167], v[168:169], v[166:167]
	s_delay_alu instid0(VALU_DEP_1) | instskip(NEXT) | instid1(VALU_DEP_1)
	v_fma_f64 v[168:169], -v[164:165], v[166:167], 1.0
	v_fma_f64 v[166:167], v[166:167], v[168:169], v[166:167]
	s_delay_alu instid0(VALU_DEP_1) | instskip(NEXT) | instid1(VALU_DEP_1)
	v_mul_f64 v[168:169], v[170:171], v[166:167]
	v_fma_f64 v[164:165], -v[164:165], v[168:169], v[170:171]
	s_delay_alu instid0(VALU_DEP_1) | instskip(NEXT) | instid1(VALU_DEP_1)
	v_div_fmas_f64 v[164:165], v[164:165], v[166:167], v[168:169]
	v_div_fixup_f64 v[164:165], v[164:165], v[160:161], v[162:163]
	s_delay_alu instid0(VALU_DEP_1) | instskip(NEXT) | instid1(VALU_DEP_1)
	v_fma_f64 v[160:161], v[162:163], v[164:165], v[160:161]
	v_div_scale_f64 v[162:163], null, v[160:161], v[160:161], 1.0
	s_delay_alu instid0(VALU_DEP_1) | instskip(SKIP_2) | instid1(VALU_DEP_1)
	v_rcp_f64_e32 v[166:167], v[162:163]
	s_waitcnt_depctr 0xfff
	v_fma_f64 v[168:169], -v[162:163], v[166:167], 1.0
	v_fma_f64 v[166:167], v[166:167], v[168:169], v[166:167]
	s_delay_alu instid0(VALU_DEP_1) | instskip(NEXT) | instid1(VALU_DEP_1)
	v_fma_f64 v[168:169], -v[162:163], v[166:167], 1.0
	v_fma_f64 v[166:167], v[166:167], v[168:169], v[166:167]
	v_div_scale_f64 v[168:169], vcc_lo, 1.0, v[160:161], 1.0
	s_delay_alu instid0(VALU_DEP_1) | instskip(NEXT) | instid1(VALU_DEP_1)
	v_mul_f64 v[170:171], v[168:169], v[166:167]
	v_fma_f64 v[162:163], -v[162:163], v[170:171], v[168:169]
	s_delay_alu instid0(VALU_DEP_1) | instskip(NEXT) | instid1(VALU_DEP_1)
	v_div_fmas_f64 v[162:163], v[162:163], v[166:167], v[170:171]
	v_div_fixup_f64 v[168:169], v[162:163], v[160:161], 1.0
	s_delay_alu instid0(VALU_DEP_1)
	v_mul_f64 v[166:167], v[164:165], -v[168:169]
.LBB79_88:
	s_or_b32 exec_lo, exec_lo, s3
	ds_store_2addr_b64 v227, v[168:169], v[166:167] offset1:1
.LBB79_89:
	s_or_b32 exec_lo, exec_lo, s4
	s_waitcnt lgkmcnt(0)
	s_barrier
	buffer_gl0_inv
	ds_load_2addr_b64 v[160:163], v227 offset1:1
	s_mov_b32 s3, exec_lo
	s_waitcnt lgkmcnt(0)
	scratch_store_b128 off, v[160:163], off offset:384 ; 16-byte Folded Spill
	v_cmpx_lt_u32_e32 9, v226
	s_cbranch_execz .LBB79_91
; %bb.90:
	scratch_load_b128 v[162:165], off, off offset:384 ; 16-byte Folded Reload
	s_waitcnt vmcnt(0)
	v_mul_f64 v[160:161], v[164:165], v[122:123]
	v_mul_f64 v[122:123], v[162:163], v[122:123]
	s_delay_alu instid0(VALU_DEP_2) | instskip(NEXT) | instid1(VALU_DEP_2)
	v_fma_f64 v[160:161], v[162:163], v[120:121], -v[160:161]
	v_fma_f64 v[122:123], v[164:165], v[120:121], v[122:123]
	ds_load_2addr_b64 v[162:165], v228 offset0:20 offset1:21
	s_waitcnt lgkmcnt(0)
	v_mul_f64 v[120:121], v[164:165], v[122:123]
	s_delay_alu instid0(VALU_DEP_1) | instskip(SKIP_1) | instid1(VALU_DEP_2)
	v_fma_f64 v[120:121], v[162:163], v[160:161], -v[120:121]
	v_mul_f64 v[162:163], v[162:163], v[122:123]
	v_add_f64 v[116:117], v[116:117], -v[120:121]
	s_delay_alu instid0(VALU_DEP_2) | instskip(NEXT) | instid1(VALU_DEP_1)
	v_fma_f64 v[162:163], v[164:165], v[160:161], v[162:163]
	v_add_f64 v[118:119], v[118:119], -v[162:163]
	ds_load_2addr_b64 v[162:165], v228 offset0:22 offset1:23
	s_waitcnt lgkmcnt(0)
	v_mul_f64 v[120:121], v[164:165], v[122:123]
	s_delay_alu instid0(VALU_DEP_1) | instskip(SKIP_1) | instid1(VALU_DEP_2)
	v_fma_f64 v[120:121], v[162:163], v[160:161], -v[120:121]
	v_mul_f64 v[162:163], v[162:163], v[122:123]
	v_add_f64 v[112:113], v[112:113], -v[120:121]
	s_delay_alu instid0(VALU_DEP_2) | instskip(NEXT) | instid1(VALU_DEP_1)
	v_fma_f64 v[162:163], v[164:165], v[160:161], v[162:163]
	v_add_f64 v[114:115], v[114:115], -v[162:163]
	;; [unrolled: 10-line block ×29, first 2 shown]
	ds_load_2addr_b64 v[162:165], v228 offset0:78 offset1:79
	s_waitcnt lgkmcnt(0)
	v_mul_f64 v[120:121], v[164:165], v[122:123]
	s_delay_alu instid0(VALU_DEP_1) | instskip(SKIP_1) | instid1(VALU_DEP_2)
	v_fma_f64 v[120:121], v[162:163], v[160:161], -v[120:121]
	v_mul_f64 v[162:163], v[162:163], v[122:123]
	v_add_f64 v[0:1], v[0:1], -v[120:121]
	s_delay_alu instid0(VALU_DEP_2) | instskip(SKIP_1) | instid1(VALU_DEP_2)
	v_fma_f64 v[162:163], v[164:165], v[160:161], v[162:163]
	v_dual_mov_b32 v120, v160 :: v_dual_mov_b32 v121, v161
	v_add_f64 v[2:3], v[2:3], -v[162:163]
.LBB79_91:
	s_or_b32 exec_lo, exec_lo, s3
	s_delay_alu instid0(SALU_CYCLE_1)
	s_mov_b32 s4, exec_lo
	s_waitcnt_vscnt null, 0x0
	s_barrier
	buffer_gl0_inv
	v_cmpx_eq_u32_e32 10, v226
	s_cbranch_execz .LBB79_98
; %bb.92:
	ds_store_2addr_b64 v227, v[116:117], v[118:119] offset1:1
	ds_store_2addr_b64 v228, v[112:113], v[114:115] offset0:22 offset1:23
	ds_store_2addr_b64 v228, v[108:109], v[110:111] offset0:24 offset1:25
	;; [unrolled: 1-line block ×29, first 2 shown]
	ds_load_2addr_b64 v[160:163], v227 offset1:1
	s_waitcnt lgkmcnt(0)
	v_cmp_neq_f64_e32 vcc_lo, 0, v[160:161]
	v_cmp_neq_f64_e64 s3, 0, v[162:163]
	s_delay_alu instid0(VALU_DEP_1) | instskip(NEXT) | instid1(SALU_CYCLE_1)
	s_or_b32 s3, vcc_lo, s3
	s_and_b32 exec_lo, exec_lo, s3
	s_cbranch_execz .LBB79_98
; %bb.93:
	v_cmp_gt_f64_e32 vcc_lo, 0, v[160:161]
	v_xor_b32_e32 v164, 0x80000000, v161
	v_xor_b32_e32 v166, 0x80000000, v163
	s_mov_b32 s3, exec_lo
                                        ; implicit-def: $vgpr168_vgpr169
	s_delay_alu instid0(VALU_DEP_2) | instskip(SKIP_4) | instid1(VALU_DEP_1)
	v_cndmask_b32_e32 v165, v161, v164, vcc_lo
	v_cndmask_b32_e32 v164, v160, v160, vcc_lo
	v_cmp_gt_f64_e32 vcc_lo, 0, v[162:163]
	v_cndmask_b32_e32 v167, v163, v166, vcc_lo
	v_cndmask_b32_e32 v166, v162, v162, vcc_lo
	v_cmpx_ngt_f64_e32 v[164:165], v[166:167]
	s_xor_b32 s3, exec_lo, s3
                                        ; implicit-def: $vgpr164_vgpr165_vgpr166_vgpr167
	s_cbranch_execz .LBB79_95
; %bb.94:
	v_div_scale_f64 v[164:165], null, v[162:163], v[162:163], v[160:161]
	v_div_scale_f64 v[170:171], vcc_lo, v[160:161], v[162:163], v[160:161]
	s_delay_alu instid0(VALU_DEP_2) | instskip(SKIP_2) | instid1(VALU_DEP_1)
	v_rcp_f64_e32 v[166:167], v[164:165]
	s_waitcnt_depctr 0xfff
	v_fma_f64 v[168:169], -v[164:165], v[166:167], 1.0
	v_fma_f64 v[166:167], v[166:167], v[168:169], v[166:167]
	s_delay_alu instid0(VALU_DEP_1) | instskip(NEXT) | instid1(VALU_DEP_1)
	v_fma_f64 v[168:169], -v[164:165], v[166:167], 1.0
	v_fma_f64 v[166:167], v[166:167], v[168:169], v[166:167]
	s_delay_alu instid0(VALU_DEP_1) | instskip(NEXT) | instid1(VALU_DEP_1)
	v_mul_f64 v[168:169], v[170:171], v[166:167]
	v_fma_f64 v[164:165], -v[164:165], v[168:169], v[170:171]
	s_delay_alu instid0(VALU_DEP_1) | instskip(NEXT) | instid1(VALU_DEP_1)
	v_div_fmas_f64 v[164:165], v[164:165], v[166:167], v[168:169]
	v_div_fixup_f64 v[164:165], v[164:165], v[162:163], v[160:161]
	s_delay_alu instid0(VALU_DEP_1) | instskip(NEXT) | instid1(VALU_DEP_1)
	v_fma_f64 v[160:161], v[160:161], v[164:165], v[162:163]
	v_div_scale_f64 v[162:163], null, v[160:161], v[160:161], 1.0
	s_delay_alu instid0(VALU_DEP_1) | instskip(SKIP_2) | instid1(VALU_DEP_1)
	v_rcp_f64_e32 v[166:167], v[162:163]
	s_waitcnt_depctr 0xfff
	v_fma_f64 v[168:169], -v[162:163], v[166:167], 1.0
	v_fma_f64 v[166:167], v[166:167], v[168:169], v[166:167]
	s_delay_alu instid0(VALU_DEP_1) | instskip(NEXT) | instid1(VALU_DEP_1)
	v_fma_f64 v[168:169], -v[162:163], v[166:167], 1.0
	v_fma_f64 v[166:167], v[166:167], v[168:169], v[166:167]
	v_div_scale_f64 v[168:169], vcc_lo, 1.0, v[160:161], 1.0
	s_delay_alu instid0(VALU_DEP_1) | instskip(NEXT) | instid1(VALU_DEP_1)
	v_mul_f64 v[170:171], v[168:169], v[166:167]
	v_fma_f64 v[162:163], -v[162:163], v[170:171], v[168:169]
	s_delay_alu instid0(VALU_DEP_1) | instskip(NEXT) | instid1(VALU_DEP_1)
	v_div_fmas_f64 v[162:163], v[162:163], v[166:167], v[170:171]
	v_div_fixup_f64 v[166:167], v[162:163], v[160:161], 1.0
                                        ; implicit-def: $vgpr160_vgpr161
	s_delay_alu instid0(VALU_DEP_1)
	v_mul_f64 v[168:169], v[164:165], v[166:167]
	v_xor_b32_e32 v167, 0x80000000, v167
.LBB79_95:
	s_and_not1_saveexec_b32 s3, s3
	s_cbranch_execz .LBB79_97
; %bb.96:
	v_div_scale_f64 v[164:165], null, v[160:161], v[160:161], v[162:163]
	v_div_scale_f64 v[170:171], vcc_lo, v[162:163], v[160:161], v[162:163]
	s_delay_alu instid0(VALU_DEP_2) | instskip(SKIP_2) | instid1(VALU_DEP_1)
	v_rcp_f64_e32 v[166:167], v[164:165]
	s_waitcnt_depctr 0xfff
	v_fma_f64 v[168:169], -v[164:165], v[166:167], 1.0
	v_fma_f64 v[166:167], v[166:167], v[168:169], v[166:167]
	s_delay_alu instid0(VALU_DEP_1) | instskip(NEXT) | instid1(VALU_DEP_1)
	v_fma_f64 v[168:169], -v[164:165], v[166:167], 1.0
	v_fma_f64 v[166:167], v[166:167], v[168:169], v[166:167]
	s_delay_alu instid0(VALU_DEP_1) | instskip(NEXT) | instid1(VALU_DEP_1)
	v_mul_f64 v[168:169], v[170:171], v[166:167]
	v_fma_f64 v[164:165], -v[164:165], v[168:169], v[170:171]
	s_delay_alu instid0(VALU_DEP_1) | instskip(NEXT) | instid1(VALU_DEP_1)
	v_div_fmas_f64 v[164:165], v[164:165], v[166:167], v[168:169]
	v_div_fixup_f64 v[164:165], v[164:165], v[160:161], v[162:163]
	s_delay_alu instid0(VALU_DEP_1) | instskip(NEXT) | instid1(VALU_DEP_1)
	v_fma_f64 v[160:161], v[162:163], v[164:165], v[160:161]
	v_div_scale_f64 v[162:163], null, v[160:161], v[160:161], 1.0
	s_delay_alu instid0(VALU_DEP_1) | instskip(SKIP_2) | instid1(VALU_DEP_1)
	v_rcp_f64_e32 v[166:167], v[162:163]
	s_waitcnt_depctr 0xfff
	v_fma_f64 v[168:169], -v[162:163], v[166:167], 1.0
	v_fma_f64 v[166:167], v[166:167], v[168:169], v[166:167]
	s_delay_alu instid0(VALU_DEP_1) | instskip(NEXT) | instid1(VALU_DEP_1)
	v_fma_f64 v[168:169], -v[162:163], v[166:167], 1.0
	v_fma_f64 v[166:167], v[166:167], v[168:169], v[166:167]
	v_div_scale_f64 v[168:169], vcc_lo, 1.0, v[160:161], 1.0
	s_delay_alu instid0(VALU_DEP_1) | instskip(NEXT) | instid1(VALU_DEP_1)
	v_mul_f64 v[170:171], v[168:169], v[166:167]
	v_fma_f64 v[162:163], -v[162:163], v[170:171], v[168:169]
	s_delay_alu instid0(VALU_DEP_1) | instskip(NEXT) | instid1(VALU_DEP_1)
	v_div_fmas_f64 v[162:163], v[162:163], v[166:167], v[170:171]
	v_div_fixup_f64 v[168:169], v[162:163], v[160:161], 1.0
	s_delay_alu instid0(VALU_DEP_1)
	v_mul_f64 v[166:167], v[164:165], -v[168:169]
.LBB79_97:
	s_or_b32 exec_lo, exec_lo, s3
	ds_store_2addr_b64 v227, v[168:169], v[166:167] offset1:1
.LBB79_98:
	s_or_b32 exec_lo, exec_lo, s4
	s_waitcnt lgkmcnt(0)
	s_barrier
	buffer_gl0_inv
	ds_load_2addr_b64 v[160:163], v227 offset1:1
	s_mov_b32 s3, exec_lo
	s_waitcnt lgkmcnt(0)
	scratch_store_b128 off, v[160:163], off offset:400 ; 16-byte Folded Spill
	v_cmpx_lt_u32_e32 10, v226
	s_cbranch_execz .LBB79_100
; %bb.99:
	scratch_load_b128 v[162:165], off, off offset:400 ; 16-byte Folded Reload
	s_waitcnt vmcnt(0)
	v_mul_f64 v[160:161], v[164:165], v[118:119]
	v_mul_f64 v[118:119], v[162:163], v[118:119]
	s_delay_alu instid0(VALU_DEP_2) | instskip(NEXT) | instid1(VALU_DEP_2)
	v_fma_f64 v[160:161], v[162:163], v[116:117], -v[160:161]
	v_fma_f64 v[118:119], v[164:165], v[116:117], v[118:119]
	ds_load_2addr_b64 v[162:165], v228 offset0:22 offset1:23
	s_waitcnt lgkmcnt(0)
	v_mul_f64 v[116:117], v[164:165], v[118:119]
	s_delay_alu instid0(VALU_DEP_1) | instskip(SKIP_1) | instid1(VALU_DEP_2)
	v_fma_f64 v[116:117], v[162:163], v[160:161], -v[116:117]
	v_mul_f64 v[162:163], v[162:163], v[118:119]
	v_add_f64 v[112:113], v[112:113], -v[116:117]
	s_delay_alu instid0(VALU_DEP_2) | instskip(NEXT) | instid1(VALU_DEP_1)
	v_fma_f64 v[162:163], v[164:165], v[160:161], v[162:163]
	v_add_f64 v[114:115], v[114:115], -v[162:163]
	ds_load_2addr_b64 v[162:165], v228 offset0:24 offset1:25
	s_waitcnt lgkmcnt(0)
	v_mul_f64 v[116:117], v[164:165], v[118:119]
	s_delay_alu instid0(VALU_DEP_1) | instskip(SKIP_1) | instid1(VALU_DEP_2)
	v_fma_f64 v[116:117], v[162:163], v[160:161], -v[116:117]
	v_mul_f64 v[162:163], v[162:163], v[118:119]
	v_add_f64 v[108:109], v[108:109], -v[116:117]
	s_delay_alu instid0(VALU_DEP_2) | instskip(NEXT) | instid1(VALU_DEP_1)
	v_fma_f64 v[162:163], v[164:165], v[160:161], v[162:163]
	v_add_f64 v[110:111], v[110:111], -v[162:163]
	;; [unrolled: 10-line block ×28, first 2 shown]
	ds_load_2addr_b64 v[162:165], v228 offset0:78 offset1:79
	s_waitcnt lgkmcnt(0)
	v_mul_f64 v[116:117], v[164:165], v[118:119]
	s_delay_alu instid0(VALU_DEP_1) | instskip(SKIP_1) | instid1(VALU_DEP_2)
	v_fma_f64 v[116:117], v[162:163], v[160:161], -v[116:117]
	v_mul_f64 v[162:163], v[162:163], v[118:119]
	v_add_f64 v[0:1], v[0:1], -v[116:117]
	s_delay_alu instid0(VALU_DEP_2) | instskip(SKIP_1) | instid1(VALU_DEP_2)
	v_fma_f64 v[162:163], v[164:165], v[160:161], v[162:163]
	v_dual_mov_b32 v116, v160 :: v_dual_mov_b32 v117, v161
	v_add_f64 v[2:3], v[2:3], -v[162:163]
.LBB79_100:
	s_or_b32 exec_lo, exec_lo, s3
	s_delay_alu instid0(SALU_CYCLE_1)
	s_mov_b32 s4, exec_lo
	s_waitcnt_vscnt null, 0x0
	s_barrier
	buffer_gl0_inv
	v_cmpx_eq_u32_e32 11, v226
	s_cbranch_execz .LBB79_107
; %bb.101:
	ds_store_2addr_b64 v227, v[112:113], v[114:115] offset1:1
	ds_store_2addr_b64 v228, v[108:109], v[110:111] offset0:24 offset1:25
	ds_store_2addr_b64 v228, v[104:105], v[106:107] offset0:26 offset1:27
	;; [unrolled: 1-line block ×28, first 2 shown]
	ds_load_2addr_b64 v[160:163], v227 offset1:1
	s_waitcnt lgkmcnt(0)
	v_cmp_neq_f64_e32 vcc_lo, 0, v[160:161]
	v_cmp_neq_f64_e64 s3, 0, v[162:163]
	s_delay_alu instid0(VALU_DEP_1) | instskip(NEXT) | instid1(SALU_CYCLE_1)
	s_or_b32 s3, vcc_lo, s3
	s_and_b32 exec_lo, exec_lo, s3
	s_cbranch_execz .LBB79_107
; %bb.102:
	v_cmp_gt_f64_e32 vcc_lo, 0, v[160:161]
	v_xor_b32_e32 v164, 0x80000000, v161
	v_xor_b32_e32 v166, 0x80000000, v163
	s_mov_b32 s3, exec_lo
                                        ; implicit-def: $vgpr168_vgpr169
	s_delay_alu instid0(VALU_DEP_2) | instskip(SKIP_4) | instid1(VALU_DEP_1)
	v_cndmask_b32_e32 v165, v161, v164, vcc_lo
	v_cndmask_b32_e32 v164, v160, v160, vcc_lo
	v_cmp_gt_f64_e32 vcc_lo, 0, v[162:163]
	v_cndmask_b32_e32 v167, v163, v166, vcc_lo
	v_cndmask_b32_e32 v166, v162, v162, vcc_lo
	v_cmpx_ngt_f64_e32 v[164:165], v[166:167]
	s_xor_b32 s3, exec_lo, s3
                                        ; implicit-def: $vgpr164_vgpr165_vgpr166_vgpr167
	s_cbranch_execz .LBB79_104
; %bb.103:
	v_div_scale_f64 v[164:165], null, v[162:163], v[162:163], v[160:161]
	v_div_scale_f64 v[170:171], vcc_lo, v[160:161], v[162:163], v[160:161]
	s_delay_alu instid0(VALU_DEP_2) | instskip(SKIP_2) | instid1(VALU_DEP_1)
	v_rcp_f64_e32 v[166:167], v[164:165]
	s_waitcnt_depctr 0xfff
	v_fma_f64 v[168:169], -v[164:165], v[166:167], 1.0
	v_fma_f64 v[166:167], v[166:167], v[168:169], v[166:167]
	s_delay_alu instid0(VALU_DEP_1) | instskip(NEXT) | instid1(VALU_DEP_1)
	v_fma_f64 v[168:169], -v[164:165], v[166:167], 1.0
	v_fma_f64 v[166:167], v[166:167], v[168:169], v[166:167]
	s_delay_alu instid0(VALU_DEP_1) | instskip(NEXT) | instid1(VALU_DEP_1)
	v_mul_f64 v[168:169], v[170:171], v[166:167]
	v_fma_f64 v[164:165], -v[164:165], v[168:169], v[170:171]
	s_delay_alu instid0(VALU_DEP_1) | instskip(NEXT) | instid1(VALU_DEP_1)
	v_div_fmas_f64 v[164:165], v[164:165], v[166:167], v[168:169]
	v_div_fixup_f64 v[164:165], v[164:165], v[162:163], v[160:161]
	s_delay_alu instid0(VALU_DEP_1) | instskip(NEXT) | instid1(VALU_DEP_1)
	v_fma_f64 v[160:161], v[160:161], v[164:165], v[162:163]
	v_div_scale_f64 v[162:163], null, v[160:161], v[160:161], 1.0
	s_delay_alu instid0(VALU_DEP_1) | instskip(SKIP_2) | instid1(VALU_DEP_1)
	v_rcp_f64_e32 v[166:167], v[162:163]
	s_waitcnt_depctr 0xfff
	v_fma_f64 v[168:169], -v[162:163], v[166:167], 1.0
	v_fma_f64 v[166:167], v[166:167], v[168:169], v[166:167]
	s_delay_alu instid0(VALU_DEP_1) | instskip(NEXT) | instid1(VALU_DEP_1)
	v_fma_f64 v[168:169], -v[162:163], v[166:167], 1.0
	v_fma_f64 v[166:167], v[166:167], v[168:169], v[166:167]
	v_div_scale_f64 v[168:169], vcc_lo, 1.0, v[160:161], 1.0
	s_delay_alu instid0(VALU_DEP_1) | instskip(NEXT) | instid1(VALU_DEP_1)
	v_mul_f64 v[170:171], v[168:169], v[166:167]
	v_fma_f64 v[162:163], -v[162:163], v[170:171], v[168:169]
	s_delay_alu instid0(VALU_DEP_1) | instskip(NEXT) | instid1(VALU_DEP_1)
	v_div_fmas_f64 v[162:163], v[162:163], v[166:167], v[170:171]
	v_div_fixup_f64 v[166:167], v[162:163], v[160:161], 1.0
                                        ; implicit-def: $vgpr160_vgpr161
	s_delay_alu instid0(VALU_DEP_1)
	v_mul_f64 v[168:169], v[164:165], v[166:167]
	v_xor_b32_e32 v167, 0x80000000, v167
.LBB79_104:
	s_and_not1_saveexec_b32 s3, s3
	s_cbranch_execz .LBB79_106
; %bb.105:
	v_div_scale_f64 v[164:165], null, v[160:161], v[160:161], v[162:163]
	v_div_scale_f64 v[170:171], vcc_lo, v[162:163], v[160:161], v[162:163]
	s_delay_alu instid0(VALU_DEP_2) | instskip(SKIP_2) | instid1(VALU_DEP_1)
	v_rcp_f64_e32 v[166:167], v[164:165]
	s_waitcnt_depctr 0xfff
	v_fma_f64 v[168:169], -v[164:165], v[166:167], 1.0
	v_fma_f64 v[166:167], v[166:167], v[168:169], v[166:167]
	s_delay_alu instid0(VALU_DEP_1) | instskip(NEXT) | instid1(VALU_DEP_1)
	v_fma_f64 v[168:169], -v[164:165], v[166:167], 1.0
	v_fma_f64 v[166:167], v[166:167], v[168:169], v[166:167]
	s_delay_alu instid0(VALU_DEP_1) | instskip(NEXT) | instid1(VALU_DEP_1)
	v_mul_f64 v[168:169], v[170:171], v[166:167]
	v_fma_f64 v[164:165], -v[164:165], v[168:169], v[170:171]
	s_delay_alu instid0(VALU_DEP_1) | instskip(NEXT) | instid1(VALU_DEP_1)
	v_div_fmas_f64 v[164:165], v[164:165], v[166:167], v[168:169]
	v_div_fixup_f64 v[164:165], v[164:165], v[160:161], v[162:163]
	s_delay_alu instid0(VALU_DEP_1) | instskip(NEXT) | instid1(VALU_DEP_1)
	v_fma_f64 v[160:161], v[162:163], v[164:165], v[160:161]
	v_div_scale_f64 v[162:163], null, v[160:161], v[160:161], 1.0
	s_delay_alu instid0(VALU_DEP_1) | instskip(SKIP_2) | instid1(VALU_DEP_1)
	v_rcp_f64_e32 v[166:167], v[162:163]
	s_waitcnt_depctr 0xfff
	v_fma_f64 v[168:169], -v[162:163], v[166:167], 1.0
	v_fma_f64 v[166:167], v[166:167], v[168:169], v[166:167]
	s_delay_alu instid0(VALU_DEP_1) | instskip(NEXT) | instid1(VALU_DEP_1)
	v_fma_f64 v[168:169], -v[162:163], v[166:167], 1.0
	v_fma_f64 v[166:167], v[166:167], v[168:169], v[166:167]
	v_div_scale_f64 v[168:169], vcc_lo, 1.0, v[160:161], 1.0
	s_delay_alu instid0(VALU_DEP_1) | instskip(NEXT) | instid1(VALU_DEP_1)
	v_mul_f64 v[170:171], v[168:169], v[166:167]
	v_fma_f64 v[162:163], -v[162:163], v[170:171], v[168:169]
	s_delay_alu instid0(VALU_DEP_1) | instskip(NEXT) | instid1(VALU_DEP_1)
	v_div_fmas_f64 v[162:163], v[162:163], v[166:167], v[170:171]
	v_div_fixup_f64 v[168:169], v[162:163], v[160:161], 1.0
	s_delay_alu instid0(VALU_DEP_1)
	v_mul_f64 v[166:167], v[164:165], -v[168:169]
.LBB79_106:
	s_or_b32 exec_lo, exec_lo, s3
	ds_store_2addr_b64 v227, v[168:169], v[166:167] offset1:1
.LBB79_107:
	s_or_b32 exec_lo, exec_lo, s4
	s_waitcnt lgkmcnt(0)
	s_barrier
	buffer_gl0_inv
	ds_load_2addr_b64 v[160:163], v227 offset1:1
	s_mov_b32 s3, exec_lo
	s_waitcnt lgkmcnt(0)
	scratch_store_b128 off, v[160:163], off offset:416 ; 16-byte Folded Spill
	v_cmpx_lt_u32_e32 11, v226
	s_cbranch_execz .LBB79_109
; %bb.108:
	scratch_load_b128 v[162:165], off, off offset:416 ; 16-byte Folded Reload
	s_waitcnt vmcnt(0)
	v_mul_f64 v[160:161], v[164:165], v[114:115]
	v_mul_f64 v[114:115], v[162:163], v[114:115]
	s_delay_alu instid0(VALU_DEP_2) | instskip(NEXT) | instid1(VALU_DEP_2)
	v_fma_f64 v[160:161], v[162:163], v[112:113], -v[160:161]
	v_fma_f64 v[114:115], v[164:165], v[112:113], v[114:115]
	ds_load_2addr_b64 v[162:165], v228 offset0:24 offset1:25
	s_waitcnt lgkmcnt(0)
	v_mul_f64 v[112:113], v[164:165], v[114:115]
	s_delay_alu instid0(VALU_DEP_1) | instskip(SKIP_1) | instid1(VALU_DEP_2)
	v_fma_f64 v[112:113], v[162:163], v[160:161], -v[112:113]
	v_mul_f64 v[162:163], v[162:163], v[114:115]
	v_add_f64 v[108:109], v[108:109], -v[112:113]
	s_delay_alu instid0(VALU_DEP_2) | instskip(NEXT) | instid1(VALU_DEP_1)
	v_fma_f64 v[162:163], v[164:165], v[160:161], v[162:163]
	v_add_f64 v[110:111], v[110:111], -v[162:163]
	ds_load_2addr_b64 v[162:165], v228 offset0:26 offset1:27
	s_waitcnt lgkmcnt(0)
	v_mul_f64 v[112:113], v[164:165], v[114:115]
	s_delay_alu instid0(VALU_DEP_1) | instskip(SKIP_1) | instid1(VALU_DEP_2)
	v_fma_f64 v[112:113], v[162:163], v[160:161], -v[112:113]
	v_mul_f64 v[162:163], v[162:163], v[114:115]
	v_add_f64 v[104:105], v[104:105], -v[112:113]
	s_delay_alu instid0(VALU_DEP_2) | instskip(NEXT) | instid1(VALU_DEP_1)
	v_fma_f64 v[162:163], v[164:165], v[160:161], v[162:163]
	v_add_f64 v[106:107], v[106:107], -v[162:163]
	;; [unrolled: 10-line block ×27, first 2 shown]
	ds_load_2addr_b64 v[162:165], v228 offset0:78 offset1:79
	s_waitcnt lgkmcnt(0)
	v_mul_f64 v[112:113], v[164:165], v[114:115]
	s_delay_alu instid0(VALU_DEP_1) | instskip(SKIP_1) | instid1(VALU_DEP_2)
	v_fma_f64 v[112:113], v[162:163], v[160:161], -v[112:113]
	v_mul_f64 v[162:163], v[162:163], v[114:115]
	v_add_f64 v[0:1], v[0:1], -v[112:113]
	s_delay_alu instid0(VALU_DEP_2) | instskip(SKIP_1) | instid1(VALU_DEP_2)
	v_fma_f64 v[162:163], v[164:165], v[160:161], v[162:163]
	v_dual_mov_b32 v112, v160 :: v_dual_mov_b32 v113, v161
	v_add_f64 v[2:3], v[2:3], -v[162:163]
.LBB79_109:
	s_or_b32 exec_lo, exec_lo, s3
	s_delay_alu instid0(SALU_CYCLE_1)
	s_mov_b32 s4, exec_lo
	s_waitcnt_vscnt null, 0x0
	s_barrier
	buffer_gl0_inv
	v_cmpx_eq_u32_e32 12, v226
	s_cbranch_execz .LBB79_116
; %bb.110:
	ds_store_2addr_b64 v227, v[108:109], v[110:111] offset1:1
	ds_store_2addr_b64 v228, v[104:105], v[106:107] offset0:26 offset1:27
	ds_store_2addr_b64 v228, v[100:101], v[102:103] offset0:28 offset1:29
	;; [unrolled: 1-line block ×27, first 2 shown]
	ds_load_2addr_b64 v[160:163], v227 offset1:1
	s_waitcnt lgkmcnt(0)
	v_cmp_neq_f64_e32 vcc_lo, 0, v[160:161]
	v_cmp_neq_f64_e64 s3, 0, v[162:163]
	s_delay_alu instid0(VALU_DEP_1) | instskip(NEXT) | instid1(SALU_CYCLE_1)
	s_or_b32 s3, vcc_lo, s3
	s_and_b32 exec_lo, exec_lo, s3
	s_cbranch_execz .LBB79_116
; %bb.111:
	v_cmp_gt_f64_e32 vcc_lo, 0, v[160:161]
	v_xor_b32_e32 v164, 0x80000000, v161
	v_xor_b32_e32 v166, 0x80000000, v163
	s_mov_b32 s3, exec_lo
                                        ; implicit-def: $vgpr168_vgpr169
	s_delay_alu instid0(VALU_DEP_2) | instskip(SKIP_4) | instid1(VALU_DEP_1)
	v_cndmask_b32_e32 v165, v161, v164, vcc_lo
	v_cndmask_b32_e32 v164, v160, v160, vcc_lo
	v_cmp_gt_f64_e32 vcc_lo, 0, v[162:163]
	v_cndmask_b32_e32 v167, v163, v166, vcc_lo
	v_cndmask_b32_e32 v166, v162, v162, vcc_lo
	v_cmpx_ngt_f64_e32 v[164:165], v[166:167]
	s_xor_b32 s3, exec_lo, s3
                                        ; implicit-def: $vgpr164_vgpr165_vgpr166_vgpr167
	s_cbranch_execz .LBB79_113
; %bb.112:
	v_div_scale_f64 v[164:165], null, v[162:163], v[162:163], v[160:161]
	v_div_scale_f64 v[170:171], vcc_lo, v[160:161], v[162:163], v[160:161]
	s_delay_alu instid0(VALU_DEP_2) | instskip(SKIP_2) | instid1(VALU_DEP_1)
	v_rcp_f64_e32 v[166:167], v[164:165]
	s_waitcnt_depctr 0xfff
	v_fma_f64 v[168:169], -v[164:165], v[166:167], 1.0
	v_fma_f64 v[166:167], v[166:167], v[168:169], v[166:167]
	s_delay_alu instid0(VALU_DEP_1) | instskip(NEXT) | instid1(VALU_DEP_1)
	v_fma_f64 v[168:169], -v[164:165], v[166:167], 1.0
	v_fma_f64 v[166:167], v[166:167], v[168:169], v[166:167]
	s_delay_alu instid0(VALU_DEP_1) | instskip(NEXT) | instid1(VALU_DEP_1)
	v_mul_f64 v[168:169], v[170:171], v[166:167]
	v_fma_f64 v[164:165], -v[164:165], v[168:169], v[170:171]
	s_delay_alu instid0(VALU_DEP_1) | instskip(NEXT) | instid1(VALU_DEP_1)
	v_div_fmas_f64 v[164:165], v[164:165], v[166:167], v[168:169]
	v_div_fixup_f64 v[164:165], v[164:165], v[162:163], v[160:161]
	s_delay_alu instid0(VALU_DEP_1) | instskip(NEXT) | instid1(VALU_DEP_1)
	v_fma_f64 v[160:161], v[160:161], v[164:165], v[162:163]
	v_div_scale_f64 v[162:163], null, v[160:161], v[160:161], 1.0
	s_delay_alu instid0(VALU_DEP_1) | instskip(SKIP_2) | instid1(VALU_DEP_1)
	v_rcp_f64_e32 v[166:167], v[162:163]
	s_waitcnt_depctr 0xfff
	v_fma_f64 v[168:169], -v[162:163], v[166:167], 1.0
	v_fma_f64 v[166:167], v[166:167], v[168:169], v[166:167]
	s_delay_alu instid0(VALU_DEP_1) | instskip(NEXT) | instid1(VALU_DEP_1)
	v_fma_f64 v[168:169], -v[162:163], v[166:167], 1.0
	v_fma_f64 v[166:167], v[166:167], v[168:169], v[166:167]
	v_div_scale_f64 v[168:169], vcc_lo, 1.0, v[160:161], 1.0
	s_delay_alu instid0(VALU_DEP_1) | instskip(NEXT) | instid1(VALU_DEP_1)
	v_mul_f64 v[170:171], v[168:169], v[166:167]
	v_fma_f64 v[162:163], -v[162:163], v[170:171], v[168:169]
	s_delay_alu instid0(VALU_DEP_1) | instskip(NEXT) | instid1(VALU_DEP_1)
	v_div_fmas_f64 v[162:163], v[162:163], v[166:167], v[170:171]
	v_div_fixup_f64 v[166:167], v[162:163], v[160:161], 1.0
                                        ; implicit-def: $vgpr160_vgpr161
	s_delay_alu instid0(VALU_DEP_1)
	v_mul_f64 v[168:169], v[164:165], v[166:167]
	v_xor_b32_e32 v167, 0x80000000, v167
.LBB79_113:
	s_and_not1_saveexec_b32 s3, s3
	s_cbranch_execz .LBB79_115
; %bb.114:
	v_div_scale_f64 v[164:165], null, v[160:161], v[160:161], v[162:163]
	v_div_scale_f64 v[170:171], vcc_lo, v[162:163], v[160:161], v[162:163]
	s_delay_alu instid0(VALU_DEP_2) | instskip(SKIP_2) | instid1(VALU_DEP_1)
	v_rcp_f64_e32 v[166:167], v[164:165]
	s_waitcnt_depctr 0xfff
	v_fma_f64 v[168:169], -v[164:165], v[166:167], 1.0
	v_fma_f64 v[166:167], v[166:167], v[168:169], v[166:167]
	s_delay_alu instid0(VALU_DEP_1) | instskip(NEXT) | instid1(VALU_DEP_1)
	v_fma_f64 v[168:169], -v[164:165], v[166:167], 1.0
	v_fma_f64 v[166:167], v[166:167], v[168:169], v[166:167]
	s_delay_alu instid0(VALU_DEP_1) | instskip(NEXT) | instid1(VALU_DEP_1)
	v_mul_f64 v[168:169], v[170:171], v[166:167]
	v_fma_f64 v[164:165], -v[164:165], v[168:169], v[170:171]
	s_delay_alu instid0(VALU_DEP_1) | instskip(NEXT) | instid1(VALU_DEP_1)
	v_div_fmas_f64 v[164:165], v[164:165], v[166:167], v[168:169]
	v_div_fixup_f64 v[164:165], v[164:165], v[160:161], v[162:163]
	s_delay_alu instid0(VALU_DEP_1) | instskip(NEXT) | instid1(VALU_DEP_1)
	v_fma_f64 v[160:161], v[162:163], v[164:165], v[160:161]
	v_div_scale_f64 v[162:163], null, v[160:161], v[160:161], 1.0
	s_delay_alu instid0(VALU_DEP_1) | instskip(SKIP_2) | instid1(VALU_DEP_1)
	v_rcp_f64_e32 v[166:167], v[162:163]
	s_waitcnt_depctr 0xfff
	v_fma_f64 v[168:169], -v[162:163], v[166:167], 1.0
	v_fma_f64 v[166:167], v[166:167], v[168:169], v[166:167]
	s_delay_alu instid0(VALU_DEP_1) | instskip(NEXT) | instid1(VALU_DEP_1)
	v_fma_f64 v[168:169], -v[162:163], v[166:167], 1.0
	v_fma_f64 v[166:167], v[166:167], v[168:169], v[166:167]
	v_div_scale_f64 v[168:169], vcc_lo, 1.0, v[160:161], 1.0
	s_delay_alu instid0(VALU_DEP_1) | instskip(NEXT) | instid1(VALU_DEP_1)
	v_mul_f64 v[170:171], v[168:169], v[166:167]
	v_fma_f64 v[162:163], -v[162:163], v[170:171], v[168:169]
	s_delay_alu instid0(VALU_DEP_1) | instskip(NEXT) | instid1(VALU_DEP_1)
	v_div_fmas_f64 v[162:163], v[162:163], v[166:167], v[170:171]
	v_div_fixup_f64 v[168:169], v[162:163], v[160:161], 1.0
	s_delay_alu instid0(VALU_DEP_1)
	v_mul_f64 v[166:167], v[164:165], -v[168:169]
.LBB79_115:
	s_or_b32 exec_lo, exec_lo, s3
	ds_store_2addr_b64 v227, v[168:169], v[166:167] offset1:1
.LBB79_116:
	s_or_b32 exec_lo, exec_lo, s4
	s_waitcnt lgkmcnt(0)
	s_barrier
	buffer_gl0_inv
	ds_load_2addr_b64 v[160:163], v227 offset1:1
	s_mov_b32 s3, exec_lo
	s_waitcnt lgkmcnt(0)
	scratch_store_b128 off, v[160:163], off offset:432 ; 16-byte Folded Spill
	v_cmpx_lt_u32_e32 12, v226
	s_cbranch_execz .LBB79_118
; %bb.117:
	scratch_load_b128 v[162:165], off, off offset:432 ; 16-byte Folded Reload
	s_waitcnt vmcnt(0)
	v_mul_f64 v[160:161], v[164:165], v[110:111]
	v_mul_f64 v[110:111], v[162:163], v[110:111]
	s_delay_alu instid0(VALU_DEP_2) | instskip(NEXT) | instid1(VALU_DEP_2)
	v_fma_f64 v[160:161], v[162:163], v[108:109], -v[160:161]
	v_fma_f64 v[110:111], v[164:165], v[108:109], v[110:111]
	ds_load_2addr_b64 v[162:165], v228 offset0:26 offset1:27
	s_waitcnt lgkmcnt(0)
	v_mul_f64 v[108:109], v[164:165], v[110:111]
	s_delay_alu instid0(VALU_DEP_1) | instskip(SKIP_1) | instid1(VALU_DEP_2)
	v_fma_f64 v[108:109], v[162:163], v[160:161], -v[108:109]
	v_mul_f64 v[162:163], v[162:163], v[110:111]
	v_add_f64 v[104:105], v[104:105], -v[108:109]
	s_delay_alu instid0(VALU_DEP_2) | instskip(NEXT) | instid1(VALU_DEP_1)
	v_fma_f64 v[162:163], v[164:165], v[160:161], v[162:163]
	v_add_f64 v[106:107], v[106:107], -v[162:163]
	ds_load_2addr_b64 v[162:165], v228 offset0:28 offset1:29
	s_waitcnt lgkmcnt(0)
	v_mul_f64 v[108:109], v[164:165], v[110:111]
	s_delay_alu instid0(VALU_DEP_1) | instskip(SKIP_1) | instid1(VALU_DEP_2)
	v_fma_f64 v[108:109], v[162:163], v[160:161], -v[108:109]
	v_mul_f64 v[162:163], v[162:163], v[110:111]
	v_add_f64 v[100:101], v[100:101], -v[108:109]
	s_delay_alu instid0(VALU_DEP_2) | instskip(NEXT) | instid1(VALU_DEP_1)
	v_fma_f64 v[162:163], v[164:165], v[160:161], v[162:163]
	v_add_f64 v[102:103], v[102:103], -v[162:163]
	;; [unrolled: 10-line block ×26, first 2 shown]
	ds_load_2addr_b64 v[162:165], v228 offset0:78 offset1:79
	s_waitcnt lgkmcnt(0)
	v_mul_f64 v[108:109], v[164:165], v[110:111]
	s_delay_alu instid0(VALU_DEP_1) | instskip(SKIP_1) | instid1(VALU_DEP_2)
	v_fma_f64 v[108:109], v[162:163], v[160:161], -v[108:109]
	v_mul_f64 v[162:163], v[162:163], v[110:111]
	v_add_f64 v[0:1], v[0:1], -v[108:109]
	s_delay_alu instid0(VALU_DEP_2) | instskip(SKIP_1) | instid1(VALU_DEP_2)
	v_fma_f64 v[162:163], v[164:165], v[160:161], v[162:163]
	v_dual_mov_b32 v108, v160 :: v_dual_mov_b32 v109, v161
	v_add_f64 v[2:3], v[2:3], -v[162:163]
.LBB79_118:
	s_or_b32 exec_lo, exec_lo, s3
	s_delay_alu instid0(SALU_CYCLE_1)
	s_mov_b32 s4, exec_lo
	s_waitcnt_vscnt null, 0x0
	s_barrier
	buffer_gl0_inv
	v_cmpx_eq_u32_e32 13, v226
	s_cbranch_execz .LBB79_125
; %bb.119:
	ds_store_2addr_b64 v227, v[104:105], v[106:107] offset1:1
	ds_store_2addr_b64 v228, v[100:101], v[102:103] offset0:28 offset1:29
	ds_store_2addr_b64 v228, v[96:97], v[98:99] offset0:30 offset1:31
	ds_store_2addr_b64 v228, v[92:93], v[94:95] offset0:32 offset1:33
	ds_store_2addr_b64 v228, v[88:89], v[90:91] offset0:34 offset1:35
	ds_store_2addr_b64 v228, v[84:85], v[86:87] offset0:36 offset1:37
	ds_store_2addr_b64 v228, v[80:81], v[82:83] offset0:38 offset1:39
	ds_store_2addr_b64 v228, v[76:77], v[78:79] offset0:40 offset1:41
	ds_store_2addr_b64 v228, v[72:73], v[74:75] offset0:42 offset1:43
	ds_store_2addr_b64 v228, v[68:69], v[70:71] offset0:44 offset1:45
	ds_store_2addr_b64 v228, v[64:65], v[66:67] offset0:46 offset1:47
	ds_store_2addr_b64 v228, v[60:61], v[62:63] offset0:48 offset1:49
	ds_store_2addr_b64 v228, v[56:57], v[58:59] offset0:50 offset1:51
	ds_store_2addr_b64 v228, v[52:53], v[54:55] offset0:52 offset1:53
	ds_store_2addr_b64 v228, v[48:49], v[50:51] offset0:54 offset1:55
	ds_store_2addr_b64 v228, v[44:45], v[46:47] offset0:56 offset1:57
	ds_store_2addr_b64 v228, v[40:41], v[42:43] offset0:58 offset1:59
	ds_store_2addr_b64 v228, v[36:37], v[38:39] offset0:60 offset1:61
	ds_store_2addr_b64 v228, v[32:33], v[34:35] offset0:62 offset1:63
	ds_store_2addr_b64 v228, v[28:29], v[30:31] offset0:64 offset1:65
	ds_store_2addr_b64 v228, v[24:25], v[26:27] offset0:66 offset1:67
	ds_store_2addr_b64 v228, v[20:21], v[22:23] offset0:68 offset1:69
	ds_store_2addr_b64 v228, v[16:17], v[18:19] offset0:70 offset1:71
	ds_store_2addr_b64 v228, v[12:13], v[14:15] offset0:72 offset1:73
	ds_store_2addr_b64 v228, v[8:9], v[10:11] offset0:74 offset1:75
	ds_store_2addr_b64 v228, v[4:5], v[6:7] offset0:76 offset1:77
	ds_store_2addr_b64 v228, v[0:1], v[2:3] offset0:78 offset1:79
	ds_load_2addr_b64 v[160:163], v227 offset1:1
	s_waitcnt lgkmcnt(0)
	v_cmp_neq_f64_e32 vcc_lo, 0, v[160:161]
	v_cmp_neq_f64_e64 s3, 0, v[162:163]
	s_delay_alu instid0(VALU_DEP_1) | instskip(NEXT) | instid1(SALU_CYCLE_1)
	s_or_b32 s3, vcc_lo, s3
	s_and_b32 exec_lo, exec_lo, s3
	s_cbranch_execz .LBB79_125
; %bb.120:
	v_cmp_gt_f64_e32 vcc_lo, 0, v[160:161]
	v_xor_b32_e32 v164, 0x80000000, v161
	v_xor_b32_e32 v166, 0x80000000, v163
	s_mov_b32 s3, exec_lo
                                        ; implicit-def: $vgpr168_vgpr169
	s_delay_alu instid0(VALU_DEP_2) | instskip(SKIP_4) | instid1(VALU_DEP_1)
	v_cndmask_b32_e32 v165, v161, v164, vcc_lo
	v_cndmask_b32_e32 v164, v160, v160, vcc_lo
	v_cmp_gt_f64_e32 vcc_lo, 0, v[162:163]
	v_cndmask_b32_e32 v167, v163, v166, vcc_lo
	v_cndmask_b32_e32 v166, v162, v162, vcc_lo
	v_cmpx_ngt_f64_e32 v[164:165], v[166:167]
	s_xor_b32 s3, exec_lo, s3
                                        ; implicit-def: $vgpr164_vgpr165_vgpr166_vgpr167
	s_cbranch_execz .LBB79_122
; %bb.121:
	v_div_scale_f64 v[164:165], null, v[162:163], v[162:163], v[160:161]
	v_div_scale_f64 v[170:171], vcc_lo, v[160:161], v[162:163], v[160:161]
	s_delay_alu instid0(VALU_DEP_2) | instskip(SKIP_2) | instid1(VALU_DEP_1)
	v_rcp_f64_e32 v[166:167], v[164:165]
	s_waitcnt_depctr 0xfff
	v_fma_f64 v[168:169], -v[164:165], v[166:167], 1.0
	v_fma_f64 v[166:167], v[166:167], v[168:169], v[166:167]
	s_delay_alu instid0(VALU_DEP_1) | instskip(NEXT) | instid1(VALU_DEP_1)
	v_fma_f64 v[168:169], -v[164:165], v[166:167], 1.0
	v_fma_f64 v[166:167], v[166:167], v[168:169], v[166:167]
	s_delay_alu instid0(VALU_DEP_1) | instskip(NEXT) | instid1(VALU_DEP_1)
	v_mul_f64 v[168:169], v[170:171], v[166:167]
	v_fma_f64 v[164:165], -v[164:165], v[168:169], v[170:171]
	s_delay_alu instid0(VALU_DEP_1) | instskip(NEXT) | instid1(VALU_DEP_1)
	v_div_fmas_f64 v[164:165], v[164:165], v[166:167], v[168:169]
	v_div_fixup_f64 v[164:165], v[164:165], v[162:163], v[160:161]
	s_delay_alu instid0(VALU_DEP_1) | instskip(NEXT) | instid1(VALU_DEP_1)
	v_fma_f64 v[160:161], v[160:161], v[164:165], v[162:163]
	v_div_scale_f64 v[162:163], null, v[160:161], v[160:161], 1.0
	s_delay_alu instid0(VALU_DEP_1) | instskip(SKIP_2) | instid1(VALU_DEP_1)
	v_rcp_f64_e32 v[166:167], v[162:163]
	s_waitcnt_depctr 0xfff
	v_fma_f64 v[168:169], -v[162:163], v[166:167], 1.0
	v_fma_f64 v[166:167], v[166:167], v[168:169], v[166:167]
	s_delay_alu instid0(VALU_DEP_1) | instskip(NEXT) | instid1(VALU_DEP_1)
	v_fma_f64 v[168:169], -v[162:163], v[166:167], 1.0
	v_fma_f64 v[166:167], v[166:167], v[168:169], v[166:167]
	v_div_scale_f64 v[168:169], vcc_lo, 1.0, v[160:161], 1.0
	s_delay_alu instid0(VALU_DEP_1) | instskip(NEXT) | instid1(VALU_DEP_1)
	v_mul_f64 v[170:171], v[168:169], v[166:167]
	v_fma_f64 v[162:163], -v[162:163], v[170:171], v[168:169]
	s_delay_alu instid0(VALU_DEP_1) | instskip(NEXT) | instid1(VALU_DEP_1)
	v_div_fmas_f64 v[162:163], v[162:163], v[166:167], v[170:171]
	v_div_fixup_f64 v[166:167], v[162:163], v[160:161], 1.0
                                        ; implicit-def: $vgpr160_vgpr161
	s_delay_alu instid0(VALU_DEP_1)
	v_mul_f64 v[168:169], v[164:165], v[166:167]
	v_xor_b32_e32 v167, 0x80000000, v167
.LBB79_122:
	s_and_not1_saveexec_b32 s3, s3
	s_cbranch_execz .LBB79_124
; %bb.123:
	v_div_scale_f64 v[164:165], null, v[160:161], v[160:161], v[162:163]
	v_div_scale_f64 v[170:171], vcc_lo, v[162:163], v[160:161], v[162:163]
	s_delay_alu instid0(VALU_DEP_2) | instskip(SKIP_2) | instid1(VALU_DEP_1)
	v_rcp_f64_e32 v[166:167], v[164:165]
	s_waitcnt_depctr 0xfff
	v_fma_f64 v[168:169], -v[164:165], v[166:167], 1.0
	v_fma_f64 v[166:167], v[166:167], v[168:169], v[166:167]
	s_delay_alu instid0(VALU_DEP_1) | instskip(NEXT) | instid1(VALU_DEP_1)
	v_fma_f64 v[168:169], -v[164:165], v[166:167], 1.0
	v_fma_f64 v[166:167], v[166:167], v[168:169], v[166:167]
	s_delay_alu instid0(VALU_DEP_1) | instskip(NEXT) | instid1(VALU_DEP_1)
	v_mul_f64 v[168:169], v[170:171], v[166:167]
	v_fma_f64 v[164:165], -v[164:165], v[168:169], v[170:171]
	s_delay_alu instid0(VALU_DEP_1) | instskip(NEXT) | instid1(VALU_DEP_1)
	v_div_fmas_f64 v[164:165], v[164:165], v[166:167], v[168:169]
	v_div_fixup_f64 v[164:165], v[164:165], v[160:161], v[162:163]
	s_delay_alu instid0(VALU_DEP_1) | instskip(NEXT) | instid1(VALU_DEP_1)
	v_fma_f64 v[160:161], v[162:163], v[164:165], v[160:161]
	v_div_scale_f64 v[162:163], null, v[160:161], v[160:161], 1.0
	s_delay_alu instid0(VALU_DEP_1) | instskip(SKIP_2) | instid1(VALU_DEP_1)
	v_rcp_f64_e32 v[166:167], v[162:163]
	s_waitcnt_depctr 0xfff
	v_fma_f64 v[168:169], -v[162:163], v[166:167], 1.0
	v_fma_f64 v[166:167], v[166:167], v[168:169], v[166:167]
	s_delay_alu instid0(VALU_DEP_1) | instskip(NEXT) | instid1(VALU_DEP_1)
	v_fma_f64 v[168:169], -v[162:163], v[166:167], 1.0
	v_fma_f64 v[166:167], v[166:167], v[168:169], v[166:167]
	v_div_scale_f64 v[168:169], vcc_lo, 1.0, v[160:161], 1.0
	s_delay_alu instid0(VALU_DEP_1) | instskip(NEXT) | instid1(VALU_DEP_1)
	v_mul_f64 v[170:171], v[168:169], v[166:167]
	v_fma_f64 v[162:163], -v[162:163], v[170:171], v[168:169]
	s_delay_alu instid0(VALU_DEP_1) | instskip(NEXT) | instid1(VALU_DEP_1)
	v_div_fmas_f64 v[162:163], v[162:163], v[166:167], v[170:171]
	v_div_fixup_f64 v[168:169], v[162:163], v[160:161], 1.0
	s_delay_alu instid0(VALU_DEP_1)
	v_mul_f64 v[166:167], v[164:165], -v[168:169]
.LBB79_124:
	s_or_b32 exec_lo, exec_lo, s3
	ds_store_2addr_b64 v227, v[168:169], v[166:167] offset1:1
.LBB79_125:
	s_or_b32 exec_lo, exec_lo, s4
	s_waitcnt lgkmcnt(0)
	s_barrier
	buffer_gl0_inv
	ds_load_2addr_b64 v[160:163], v227 offset1:1
	s_mov_b32 s3, exec_lo
	s_waitcnt lgkmcnt(0)
	scratch_store_b128 off, v[160:163], off offset:448 ; 16-byte Folded Spill
	v_cmpx_lt_u32_e32 13, v226
	s_cbranch_execz .LBB79_127
; %bb.126:
	scratch_load_b128 v[162:165], off, off offset:448 ; 16-byte Folded Reload
	s_waitcnt vmcnt(0)
	v_mul_f64 v[160:161], v[164:165], v[106:107]
	v_mul_f64 v[106:107], v[162:163], v[106:107]
	s_delay_alu instid0(VALU_DEP_2) | instskip(NEXT) | instid1(VALU_DEP_2)
	v_fma_f64 v[160:161], v[162:163], v[104:105], -v[160:161]
	v_fma_f64 v[106:107], v[164:165], v[104:105], v[106:107]
	ds_load_2addr_b64 v[162:165], v228 offset0:28 offset1:29
	s_waitcnt lgkmcnt(0)
	v_mul_f64 v[104:105], v[164:165], v[106:107]
	s_delay_alu instid0(VALU_DEP_1) | instskip(SKIP_1) | instid1(VALU_DEP_2)
	v_fma_f64 v[104:105], v[162:163], v[160:161], -v[104:105]
	v_mul_f64 v[162:163], v[162:163], v[106:107]
	v_add_f64 v[100:101], v[100:101], -v[104:105]
	s_delay_alu instid0(VALU_DEP_2) | instskip(NEXT) | instid1(VALU_DEP_1)
	v_fma_f64 v[162:163], v[164:165], v[160:161], v[162:163]
	v_add_f64 v[102:103], v[102:103], -v[162:163]
	ds_load_2addr_b64 v[162:165], v228 offset0:30 offset1:31
	s_waitcnt lgkmcnt(0)
	v_mul_f64 v[104:105], v[164:165], v[106:107]
	s_delay_alu instid0(VALU_DEP_1) | instskip(SKIP_1) | instid1(VALU_DEP_2)
	v_fma_f64 v[104:105], v[162:163], v[160:161], -v[104:105]
	v_mul_f64 v[162:163], v[162:163], v[106:107]
	v_add_f64 v[96:97], v[96:97], -v[104:105]
	s_delay_alu instid0(VALU_DEP_2) | instskip(NEXT) | instid1(VALU_DEP_1)
	v_fma_f64 v[162:163], v[164:165], v[160:161], v[162:163]
	v_add_f64 v[98:99], v[98:99], -v[162:163]
	;; [unrolled: 10-line block ×25, first 2 shown]
	ds_load_2addr_b64 v[162:165], v228 offset0:78 offset1:79
	s_waitcnt lgkmcnt(0)
	v_mul_f64 v[104:105], v[164:165], v[106:107]
	s_delay_alu instid0(VALU_DEP_1) | instskip(SKIP_1) | instid1(VALU_DEP_2)
	v_fma_f64 v[104:105], v[162:163], v[160:161], -v[104:105]
	v_mul_f64 v[162:163], v[162:163], v[106:107]
	v_add_f64 v[0:1], v[0:1], -v[104:105]
	s_delay_alu instid0(VALU_DEP_2) | instskip(SKIP_1) | instid1(VALU_DEP_2)
	v_fma_f64 v[162:163], v[164:165], v[160:161], v[162:163]
	v_dual_mov_b32 v104, v160 :: v_dual_mov_b32 v105, v161
	v_add_f64 v[2:3], v[2:3], -v[162:163]
.LBB79_127:
	s_or_b32 exec_lo, exec_lo, s3
	s_delay_alu instid0(SALU_CYCLE_1)
	s_mov_b32 s4, exec_lo
	s_waitcnt_vscnt null, 0x0
	s_barrier
	buffer_gl0_inv
	v_cmpx_eq_u32_e32 14, v226
	s_cbranch_execz .LBB79_134
; %bb.128:
	ds_store_2addr_b64 v227, v[100:101], v[102:103] offset1:1
	ds_store_2addr_b64 v228, v[96:97], v[98:99] offset0:30 offset1:31
	ds_store_2addr_b64 v228, v[92:93], v[94:95] offset0:32 offset1:33
	;; [unrolled: 1-line block ×25, first 2 shown]
	ds_load_2addr_b64 v[160:163], v227 offset1:1
	s_waitcnt lgkmcnt(0)
	v_cmp_neq_f64_e32 vcc_lo, 0, v[160:161]
	v_cmp_neq_f64_e64 s3, 0, v[162:163]
	s_delay_alu instid0(VALU_DEP_1) | instskip(NEXT) | instid1(SALU_CYCLE_1)
	s_or_b32 s3, vcc_lo, s3
	s_and_b32 exec_lo, exec_lo, s3
	s_cbranch_execz .LBB79_134
; %bb.129:
	v_cmp_gt_f64_e32 vcc_lo, 0, v[160:161]
	v_xor_b32_e32 v164, 0x80000000, v161
	v_xor_b32_e32 v166, 0x80000000, v163
	s_mov_b32 s3, exec_lo
                                        ; implicit-def: $vgpr168_vgpr169
	s_delay_alu instid0(VALU_DEP_2) | instskip(SKIP_4) | instid1(VALU_DEP_1)
	v_cndmask_b32_e32 v165, v161, v164, vcc_lo
	v_cndmask_b32_e32 v164, v160, v160, vcc_lo
	v_cmp_gt_f64_e32 vcc_lo, 0, v[162:163]
	v_cndmask_b32_e32 v167, v163, v166, vcc_lo
	v_cndmask_b32_e32 v166, v162, v162, vcc_lo
	v_cmpx_ngt_f64_e32 v[164:165], v[166:167]
	s_xor_b32 s3, exec_lo, s3
                                        ; implicit-def: $vgpr164_vgpr165_vgpr166_vgpr167
	s_cbranch_execz .LBB79_131
; %bb.130:
	v_div_scale_f64 v[164:165], null, v[162:163], v[162:163], v[160:161]
	v_div_scale_f64 v[170:171], vcc_lo, v[160:161], v[162:163], v[160:161]
	s_delay_alu instid0(VALU_DEP_2) | instskip(SKIP_2) | instid1(VALU_DEP_1)
	v_rcp_f64_e32 v[166:167], v[164:165]
	s_waitcnt_depctr 0xfff
	v_fma_f64 v[168:169], -v[164:165], v[166:167], 1.0
	v_fma_f64 v[166:167], v[166:167], v[168:169], v[166:167]
	s_delay_alu instid0(VALU_DEP_1) | instskip(NEXT) | instid1(VALU_DEP_1)
	v_fma_f64 v[168:169], -v[164:165], v[166:167], 1.0
	v_fma_f64 v[166:167], v[166:167], v[168:169], v[166:167]
	s_delay_alu instid0(VALU_DEP_1) | instskip(NEXT) | instid1(VALU_DEP_1)
	v_mul_f64 v[168:169], v[170:171], v[166:167]
	v_fma_f64 v[164:165], -v[164:165], v[168:169], v[170:171]
	s_delay_alu instid0(VALU_DEP_1) | instskip(NEXT) | instid1(VALU_DEP_1)
	v_div_fmas_f64 v[164:165], v[164:165], v[166:167], v[168:169]
	v_div_fixup_f64 v[164:165], v[164:165], v[162:163], v[160:161]
	s_delay_alu instid0(VALU_DEP_1) | instskip(NEXT) | instid1(VALU_DEP_1)
	v_fma_f64 v[160:161], v[160:161], v[164:165], v[162:163]
	v_div_scale_f64 v[162:163], null, v[160:161], v[160:161], 1.0
	s_delay_alu instid0(VALU_DEP_1) | instskip(SKIP_2) | instid1(VALU_DEP_1)
	v_rcp_f64_e32 v[166:167], v[162:163]
	s_waitcnt_depctr 0xfff
	v_fma_f64 v[168:169], -v[162:163], v[166:167], 1.0
	v_fma_f64 v[166:167], v[166:167], v[168:169], v[166:167]
	s_delay_alu instid0(VALU_DEP_1) | instskip(NEXT) | instid1(VALU_DEP_1)
	v_fma_f64 v[168:169], -v[162:163], v[166:167], 1.0
	v_fma_f64 v[166:167], v[166:167], v[168:169], v[166:167]
	v_div_scale_f64 v[168:169], vcc_lo, 1.0, v[160:161], 1.0
	s_delay_alu instid0(VALU_DEP_1) | instskip(NEXT) | instid1(VALU_DEP_1)
	v_mul_f64 v[170:171], v[168:169], v[166:167]
	v_fma_f64 v[162:163], -v[162:163], v[170:171], v[168:169]
	s_delay_alu instid0(VALU_DEP_1) | instskip(NEXT) | instid1(VALU_DEP_1)
	v_div_fmas_f64 v[162:163], v[162:163], v[166:167], v[170:171]
	v_div_fixup_f64 v[166:167], v[162:163], v[160:161], 1.0
                                        ; implicit-def: $vgpr160_vgpr161
	s_delay_alu instid0(VALU_DEP_1)
	v_mul_f64 v[168:169], v[164:165], v[166:167]
	v_xor_b32_e32 v167, 0x80000000, v167
.LBB79_131:
	s_and_not1_saveexec_b32 s3, s3
	s_cbranch_execz .LBB79_133
; %bb.132:
	v_div_scale_f64 v[164:165], null, v[160:161], v[160:161], v[162:163]
	v_div_scale_f64 v[170:171], vcc_lo, v[162:163], v[160:161], v[162:163]
	s_delay_alu instid0(VALU_DEP_2) | instskip(SKIP_2) | instid1(VALU_DEP_1)
	v_rcp_f64_e32 v[166:167], v[164:165]
	s_waitcnt_depctr 0xfff
	v_fma_f64 v[168:169], -v[164:165], v[166:167], 1.0
	v_fma_f64 v[166:167], v[166:167], v[168:169], v[166:167]
	s_delay_alu instid0(VALU_DEP_1) | instskip(NEXT) | instid1(VALU_DEP_1)
	v_fma_f64 v[168:169], -v[164:165], v[166:167], 1.0
	v_fma_f64 v[166:167], v[166:167], v[168:169], v[166:167]
	s_delay_alu instid0(VALU_DEP_1) | instskip(NEXT) | instid1(VALU_DEP_1)
	v_mul_f64 v[168:169], v[170:171], v[166:167]
	v_fma_f64 v[164:165], -v[164:165], v[168:169], v[170:171]
	s_delay_alu instid0(VALU_DEP_1) | instskip(NEXT) | instid1(VALU_DEP_1)
	v_div_fmas_f64 v[164:165], v[164:165], v[166:167], v[168:169]
	v_div_fixup_f64 v[164:165], v[164:165], v[160:161], v[162:163]
	s_delay_alu instid0(VALU_DEP_1) | instskip(NEXT) | instid1(VALU_DEP_1)
	v_fma_f64 v[160:161], v[162:163], v[164:165], v[160:161]
	v_div_scale_f64 v[162:163], null, v[160:161], v[160:161], 1.0
	s_delay_alu instid0(VALU_DEP_1) | instskip(SKIP_2) | instid1(VALU_DEP_1)
	v_rcp_f64_e32 v[166:167], v[162:163]
	s_waitcnt_depctr 0xfff
	v_fma_f64 v[168:169], -v[162:163], v[166:167], 1.0
	v_fma_f64 v[166:167], v[166:167], v[168:169], v[166:167]
	s_delay_alu instid0(VALU_DEP_1) | instskip(NEXT) | instid1(VALU_DEP_1)
	v_fma_f64 v[168:169], -v[162:163], v[166:167], 1.0
	v_fma_f64 v[166:167], v[166:167], v[168:169], v[166:167]
	v_div_scale_f64 v[168:169], vcc_lo, 1.0, v[160:161], 1.0
	s_delay_alu instid0(VALU_DEP_1) | instskip(NEXT) | instid1(VALU_DEP_1)
	v_mul_f64 v[170:171], v[168:169], v[166:167]
	v_fma_f64 v[162:163], -v[162:163], v[170:171], v[168:169]
	s_delay_alu instid0(VALU_DEP_1) | instskip(NEXT) | instid1(VALU_DEP_1)
	v_div_fmas_f64 v[162:163], v[162:163], v[166:167], v[170:171]
	v_div_fixup_f64 v[168:169], v[162:163], v[160:161], 1.0
	s_delay_alu instid0(VALU_DEP_1)
	v_mul_f64 v[166:167], v[164:165], -v[168:169]
.LBB79_133:
	s_or_b32 exec_lo, exec_lo, s3
	ds_store_2addr_b64 v227, v[168:169], v[166:167] offset1:1
.LBB79_134:
	s_or_b32 exec_lo, exec_lo, s4
	s_waitcnt lgkmcnt(0)
	s_barrier
	buffer_gl0_inv
	ds_load_2addr_b64 v[160:163], v227 offset1:1
	s_mov_b32 s3, exec_lo
	s_waitcnt lgkmcnt(0)
	scratch_store_b128 off, v[160:163], off offset:464 ; 16-byte Folded Spill
	v_cmpx_lt_u32_e32 14, v226
	s_cbranch_execz .LBB79_136
; %bb.135:
	scratch_load_b128 v[162:165], off, off offset:464 ; 16-byte Folded Reload
	s_waitcnt vmcnt(0)
	v_mul_f64 v[160:161], v[164:165], v[102:103]
	v_mul_f64 v[102:103], v[162:163], v[102:103]
	s_delay_alu instid0(VALU_DEP_2) | instskip(NEXT) | instid1(VALU_DEP_2)
	v_fma_f64 v[160:161], v[162:163], v[100:101], -v[160:161]
	v_fma_f64 v[102:103], v[164:165], v[100:101], v[102:103]
	ds_load_2addr_b64 v[162:165], v228 offset0:30 offset1:31
	s_waitcnt lgkmcnt(0)
	v_mul_f64 v[100:101], v[164:165], v[102:103]
	s_delay_alu instid0(VALU_DEP_1) | instskip(SKIP_1) | instid1(VALU_DEP_2)
	v_fma_f64 v[100:101], v[162:163], v[160:161], -v[100:101]
	v_mul_f64 v[162:163], v[162:163], v[102:103]
	v_add_f64 v[96:97], v[96:97], -v[100:101]
	s_delay_alu instid0(VALU_DEP_2) | instskip(NEXT) | instid1(VALU_DEP_1)
	v_fma_f64 v[162:163], v[164:165], v[160:161], v[162:163]
	v_add_f64 v[98:99], v[98:99], -v[162:163]
	ds_load_2addr_b64 v[162:165], v228 offset0:32 offset1:33
	s_waitcnt lgkmcnt(0)
	v_mul_f64 v[100:101], v[164:165], v[102:103]
	s_delay_alu instid0(VALU_DEP_1) | instskip(SKIP_1) | instid1(VALU_DEP_2)
	v_fma_f64 v[100:101], v[162:163], v[160:161], -v[100:101]
	v_mul_f64 v[162:163], v[162:163], v[102:103]
	v_add_f64 v[92:93], v[92:93], -v[100:101]
	s_delay_alu instid0(VALU_DEP_2) | instskip(NEXT) | instid1(VALU_DEP_1)
	v_fma_f64 v[162:163], v[164:165], v[160:161], v[162:163]
	v_add_f64 v[94:95], v[94:95], -v[162:163]
	;; [unrolled: 10-line block ×24, first 2 shown]
	ds_load_2addr_b64 v[162:165], v228 offset0:78 offset1:79
	s_waitcnt lgkmcnt(0)
	v_mul_f64 v[100:101], v[164:165], v[102:103]
	s_delay_alu instid0(VALU_DEP_1) | instskip(SKIP_1) | instid1(VALU_DEP_2)
	v_fma_f64 v[100:101], v[162:163], v[160:161], -v[100:101]
	v_mul_f64 v[162:163], v[162:163], v[102:103]
	v_add_f64 v[0:1], v[0:1], -v[100:101]
	s_delay_alu instid0(VALU_DEP_2) | instskip(SKIP_1) | instid1(VALU_DEP_2)
	v_fma_f64 v[162:163], v[164:165], v[160:161], v[162:163]
	v_dual_mov_b32 v100, v160 :: v_dual_mov_b32 v101, v161
	v_add_f64 v[2:3], v[2:3], -v[162:163]
.LBB79_136:
	s_or_b32 exec_lo, exec_lo, s3
	s_delay_alu instid0(SALU_CYCLE_1)
	s_mov_b32 s4, exec_lo
	s_waitcnt_vscnt null, 0x0
	s_barrier
	buffer_gl0_inv
	v_cmpx_eq_u32_e32 15, v226
	s_cbranch_execz .LBB79_143
; %bb.137:
	ds_store_2addr_b64 v227, v[96:97], v[98:99] offset1:1
	ds_store_2addr_b64 v228, v[92:93], v[94:95] offset0:32 offset1:33
	ds_store_2addr_b64 v228, v[88:89], v[90:91] offset0:34 offset1:35
	;; [unrolled: 1-line block ×24, first 2 shown]
	ds_load_2addr_b64 v[160:163], v227 offset1:1
	s_waitcnt lgkmcnt(0)
	v_cmp_neq_f64_e32 vcc_lo, 0, v[160:161]
	v_cmp_neq_f64_e64 s3, 0, v[162:163]
	s_delay_alu instid0(VALU_DEP_1) | instskip(NEXT) | instid1(SALU_CYCLE_1)
	s_or_b32 s3, vcc_lo, s3
	s_and_b32 exec_lo, exec_lo, s3
	s_cbranch_execz .LBB79_143
; %bb.138:
	v_cmp_gt_f64_e32 vcc_lo, 0, v[160:161]
	v_xor_b32_e32 v164, 0x80000000, v161
	v_xor_b32_e32 v166, 0x80000000, v163
	s_mov_b32 s3, exec_lo
                                        ; implicit-def: $vgpr168_vgpr169
	s_delay_alu instid0(VALU_DEP_2) | instskip(SKIP_4) | instid1(VALU_DEP_1)
	v_cndmask_b32_e32 v165, v161, v164, vcc_lo
	v_cndmask_b32_e32 v164, v160, v160, vcc_lo
	v_cmp_gt_f64_e32 vcc_lo, 0, v[162:163]
	v_cndmask_b32_e32 v167, v163, v166, vcc_lo
	v_cndmask_b32_e32 v166, v162, v162, vcc_lo
	v_cmpx_ngt_f64_e32 v[164:165], v[166:167]
	s_xor_b32 s3, exec_lo, s3
                                        ; implicit-def: $vgpr164_vgpr165_vgpr166_vgpr167
	s_cbranch_execz .LBB79_140
; %bb.139:
	v_div_scale_f64 v[164:165], null, v[162:163], v[162:163], v[160:161]
	v_div_scale_f64 v[170:171], vcc_lo, v[160:161], v[162:163], v[160:161]
	s_delay_alu instid0(VALU_DEP_2) | instskip(SKIP_2) | instid1(VALU_DEP_1)
	v_rcp_f64_e32 v[166:167], v[164:165]
	s_waitcnt_depctr 0xfff
	v_fma_f64 v[168:169], -v[164:165], v[166:167], 1.0
	v_fma_f64 v[166:167], v[166:167], v[168:169], v[166:167]
	s_delay_alu instid0(VALU_DEP_1) | instskip(NEXT) | instid1(VALU_DEP_1)
	v_fma_f64 v[168:169], -v[164:165], v[166:167], 1.0
	v_fma_f64 v[166:167], v[166:167], v[168:169], v[166:167]
	s_delay_alu instid0(VALU_DEP_1) | instskip(NEXT) | instid1(VALU_DEP_1)
	v_mul_f64 v[168:169], v[170:171], v[166:167]
	v_fma_f64 v[164:165], -v[164:165], v[168:169], v[170:171]
	s_delay_alu instid0(VALU_DEP_1) | instskip(NEXT) | instid1(VALU_DEP_1)
	v_div_fmas_f64 v[164:165], v[164:165], v[166:167], v[168:169]
	v_div_fixup_f64 v[164:165], v[164:165], v[162:163], v[160:161]
	s_delay_alu instid0(VALU_DEP_1) | instskip(NEXT) | instid1(VALU_DEP_1)
	v_fma_f64 v[160:161], v[160:161], v[164:165], v[162:163]
	v_div_scale_f64 v[162:163], null, v[160:161], v[160:161], 1.0
	s_delay_alu instid0(VALU_DEP_1) | instskip(SKIP_2) | instid1(VALU_DEP_1)
	v_rcp_f64_e32 v[166:167], v[162:163]
	s_waitcnt_depctr 0xfff
	v_fma_f64 v[168:169], -v[162:163], v[166:167], 1.0
	v_fma_f64 v[166:167], v[166:167], v[168:169], v[166:167]
	s_delay_alu instid0(VALU_DEP_1) | instskip(NEXT) | instid1(VALU_DEP_1)
	v_fma_f64 v[168:169], -v[162:163], v[166:167], 1.0
	v_fma_f64 v[166:167], v[166:167], v[168:169], v[166:167]
	v_div_scale_f64 v[168:169], vcc_lo, 1.0, v[160:161], 1.0
	s_delay_alu instid0(VALU_DEP_1) | instskip(NEXT) | instid1(VALU_DEP_1)
	v_mul_f64 v[170:171], v[168:169], v[166:167]
	v_fma_f64 v[162:163], -v[162:163], v[170:171], v[168:169]
	s_delay_alu instid0(VALU_DEP_1) | instskip(NEXT) | instid1(VALU_DEP_1)
	v_div_fmas_f64 v[162:163], v[162:163], v[166:167], v[170:171]
	v_div_fixup_f64 v[166:167], v[162:163], v[160:161], 1.0
                                        ; implicit-def: $vgpr160_vgpr161
	s_delay_alu instid0(VALU_DEP_1)
	v_mul_f64 v[168:169], v[164:165], v[166:167]
	v_xor_b32_e32 v167, 0x80000000, v167
.LBB79_140:
	s_and_not1_saveexec_b32 s3, s3
	s_cbranch_execz .LBB79_142
; %bb.141:
	v_div_scale_f64 v[164:165], null, v[160:161], v[160:161], v[162:163]
	v_div_scale_f64 v[170:171], vcc_lo, v[162:163], v[160:161], v[162:163]
	s_delay_alu instid0(VALU_DEP_2) | instskip(SKIP_2) | instid1(VALU_DEP_1)
	v_rcp_f64_e32 v[166:167], v[164:165]
	s_waitcnt_depctr 0xfff
	v_fma_f64 v[168:169], -v[164:165], v[166:167], 1.0
	v_fma_f64 v[166:167], v[166:167], v[168:169], v[166:167]
	s_delay_alu instid0(VALU_DEP_1) | instskip(NEXT) | instid1(VALU_DEP_1)
	v_fma_f64 v[168:169], -v[164:165], v[166:167], 1.0
	v_fma_f64 v[166:167], v[166:167], v[168:169], v[166:167]
	s_delay_alu instid0(VALU_DEP_1) | instskip(NEXT) | instid1(VALU_DEP_1)
	v_mul_f64 v[168:169], v[170:171], v[166:167]
	v_fma_f64 v[164:165], -v[164:165], v[168:169], v[170:171]
	s_delay_alu instid0(VALU_DEP_1) | instskip(NEXT) | instid1(VALU_DEP_1)
	v_div_fmas_f64 v[164:165], v[164:165], v[166:167], v[168:169]
	v_div_fixup_f64 v[164:165], v[164:165], v[160:161], v[162:163]
	s_delay_alu instid0(VALU_DEP_1) | instskip(NEXT) | instid1(VALU_DEP_1)
	v_fma_f64 v[160:161], v[162:163], v[164:165], v[160:161]
	v_div_scale_f64 v[162:163], null, v[160:161], v[160:161], 1.0
	s_delay_alu instid0(VALU_DEP_1) | instskip(SKIP_2) | instid1(VALU_DEP_1)
	v_rcp_f64_e32 v[166:167], v[162:163]
	s_waitcnt_depctr 0xfff
	v_fma_f64 v[168:169], -v[162:163], v[166:167], 1.0
	v_fma_f64 v[166:167], v[166:167], v[168:169], v[166:167]
	s_delay_alu instid0(VALU_DEP_1) | instskip(NEXT) | instid1(VALU_DEP_1)
	v_fma_f64 v[168:169], -v[162:163], v[166:167], 1.0
	v_fma_f64 v[166:167], v[166:167], v[168:169], v[166:167]
	v_div_scale_f64 v[168:169], vcc_lo, 1.0, v[160:161], 1.0
	s_delay_alu instid0(VALU_DEP_1) | instskip(NEXT) | instid1(VALU_DEP_1)
	v_mul_f64 v[170:171], v[168:169], v[166:167]
	v_fma_f64 v[162:163], -v[162:163], v[170:171], v[168:169]
	s_delay_alu instid0(VALU_DEP_1) | instskip(NEXT) | instid1(VALU_DEP_1)
	v_div_fmas_f64 v[162:163], v[162:163], v[166:167], v[170:171]
	v_div_fixup_f64 v[168:169], v[162:163], v[160:161], 1.0
	s_delay_alu instid0(VALU_DEP_1)
	v_mul_f64 v[166:167], v[164:165], -v[168:169]
.LBB79_142:
	s_or_b32 exec_lo, exec_lo, s3
	ds_store_2addr_b64 v227, v[168:169], v[166:167] offset1:1
.LBB79_143:
	s_or_b32 exec_lo, exec_lo, s4
	s_waitcnt lgkmcnt(0)
	s_barrier
	buffer_gl0_inv
	ds_load_2addr_b64 v[160:163], v227 offset1:1
	s_mov_b32 s3, exec_lo
	s_waitcnt lgkmcnt(0)
	scratch_store_b128 off, v[160:163], off offset:480 ; 16-byte Folded Spill
	v_cmpx_lt_u32_e32 15, v226
	s_cbranch_execz .LBB79_145
; %bb.144:
	scratch_load_b128 v[162:165], off, off offset:480 ; 16-byte Folded Reload
	s_waitcnt vmcnt(0)
	v_mul_f64 v[160:161], v[164:165], v[98:99]
	v_mul_f64 v[98:99], v[162:163], v[98:99]
	s_delay_alu instid0(VALU_DEP_2) | instskip(NEXT) | instid1(VALU_DEP_2)
	v_fma_f64 v[160:161], v[162:163], v[96:97], -v[160:161]
	v_fma_f64 v[98:99], v[164:165], v[96:97], v[98:99]
	ds_load_2addr_b64 v[162:165], v228 offset0:32 offset1:33
	s_waitcnt lgkmcnt(0)
	v_mul_f64 v[96:97], v[164:165], v[98:99]
	s_delay_alu instid0(VALU_DEP_1) | instskip(SKIP_1) | instid1(VALU_DEP_2)
	v_fma_f64 v[96:97], v[162:163], v[160:161], -v[96:97]
	v_mul_f64 v[162:163], v[162:163], v[98:99]
	v_add_f64 v[92:93], v[92:93], -v[96:97]
	s_delay_alu instid0(VALU_DEP_2) | instskip(NEXT) | instid1(VALU_DEP_1)
	v_fma_f64 v[162:163], v[164:165], v[160:161], v[162:163]
	v_add_f64 v[94:95], v[94:95], -v[162:163]
	ds_load_2addr_b64 v[162:165], v228 offset0:34 offset1:35
	s_waitcnt lgkmcnt(0)
	v_mul_f64 v[96:97], v[164:165], v[98:99]
	s_delay_alu instid0(VALU_DEP_1) | instskip(SKIP_1) | instid1(VALU_DEP_2)
	v_fma_f64 v[96:97], v[162:163], v[160:161], -v[96:97]
	v_mul_f64 v[162:163], v[162:163], v[98:99]
	v_add_f64 v[88:89], v[88:89], -v[96:97]
	s_delay_alu instid0(VALU_DEP_2) | instskip(NEXT) | instid1(VALU_DEP_1)
	v_fma_f64 v[162:163], v[164:165], v[160:161], v[162:163]
	v_add_f64 v[90:91], v[90:91], -v[162:163]
	ds_load_2addr_b64 v[162:165], v228 offset0:36 offset1:37
	s_waitcnt lgkmcnt(0)
	v_mul_f64 v[96:97], v[164:165], v[98:99]
	s_delay_alu instid0(VALU_DEP_1) | instskip(SKIP_1) | instid1(VALU_DEP_2)
	v_fma_f64 v[96:97], v[162:163], v[160:161], -v[96:97]
	v_mul_f64 v[162:163], v[162:163], v[98:99]
	v_add_f64 v[84:85], v[84:85], -v[96:97]
	s_delay_alu instid0(VALU_DEP_2) | instskip(NEXT) | instid1(VALU_DEP_1)
	v_fma_f64 v[162:163], v[164:165], v[160:161], v[162:163]
	v_add_f64 v[86:87], v[86:87], -v[162:163]
	ds_load_2addr_b64 v[162:165], v228 offset0:38 offset1:39
	s_waitcnt lgkmcnt(0)
	v_mul_f64 v[96:97], v[164:165], v[98:99]
	s_delay_alu instid0(VALU_DEP_1) | instskip(SKIP_1) | instid1(VALU_DEP_2)
	v_fma_f64 v[96:97], v[162:163], v[160:161], -v[96:97]
	v_mul_f64 v[162:163], v[162:163], v[98:99]
	v_add_f64 v[80:81], v[80:81], -v[96:97]
	s_delay_alu instid0(VALU_DEP_2) | instskip(NEXT) | instid1(VALU_DEP_1)
	v_fma_f64 v[162:163], v[164:165], v[160:161], v[162:163]
	v_add_f64 v[82:83], v[82:83], -v[162:163]
	ds_load_2addr_b64 v[162:165], v228 offset0:40 offset1:41
	s_waitcnt lgkmcnt(0)
	v_mul_f64 v[96:97], v[164:165], v[98:99]
	s_delay_alu instid0(VALU_DEP_1) | instskip(SKIP_1) | instid1(VALU_DEP_2)
	v_fma_f64 v[96:97], v[162:163], v[160:161], -v[96:97]
	v_mul_f64 v[162:163], v[162:163], v[98:99]
	v_add_f64 v[76:77], v[76:77], -v[96:97]
	s_delay_alu instid0(VALU_DEP_2) | instskip(NEXT) | instid1(VALU_DEP_1)
	v_fma_f64 v[162:163], v[164:165], v[160:161], v[162:163]
	v_add_f64 v[78:79], v[78:79], -v[162:163]
	ds_load_2addr_b64 v[162:165], v228 offset0:42 offset1:43
	s_waitcnt lgkmcnt(0)
	v_mul_f64 v[96:97], v[164:165], v[98:99]
	s_delay_alu instid0(VALU_DEP_1) | instskip(SKIP_1) | instid1(VALU_DEP_2)
	v_fma_f64 v[96:97], v[162:163], v[160:161], -v[96:97]
	v_mul_f64 v[162:163], v[162:163], v[98:99]
	v_add_f64 v[72:73], v[72:73], -v[96:97]
	s_delay_alu instid0(VALU_DEP_2) | instskip(NEXT) | instid1(VALU_DEP_1)
	v_fma_f64 v[162:163], v[164:165], v[160:161], v[162:163]
	v_add_f64 v[74:75], v[74:75], -v[162:163]
	ds_load_2addr_b64 v[162:165], v228 offset0:44 offset1:45
	s_waitcnt lgkmcnt(0)
	v_mul_f64 v[96:97], v[164:165], v[98:99]
	s_delay_alu instid0(VALU_DEP_1) | instskip(SKIP_1) | instid1(VALU_DEP_2)
	v_fma_f64 v[96:97], v[162:163], v[160:161], -v[96:97]
	v_mul_f64 v[162:163], v[162:163], v[98:99]
	v_add_f64 v[68:69], v[68:69], -v[96:97]
	s_delay_alu instid0(VALU_DEP_2) | instskip(NEXT) | instid1(VALU_DEP_1)
	v_fma_f64 v[162:163], v[164:165], v[160:161], v[162:163]
	v_add_f64 v[70:71], v[70:71], -v[162:163]
	ds_load_2addr_b64 v[162:165], v228 offset0:46 offset1:47
	s_waitcnt lgkmcnt(0)
	v_mul_f64 v[96:97], v[164:165], v[98:99]
	s_delay_alu instid0(VALU_DEP_1) | instskip(SKIP_1) | instid1(VALU_DEP_2)
	v_fma_f64 v[96:97], v[162:163], v[160:161], -v[96:97]
	v_mul_f64 v[162:163], v[162:163], v[98:99]
	v_add_f64 v[64:65], v[64:65], -v[96:97]
	s_delay_alu instid0(VALU_DEP_2) | instskip(NEXT) | instid1(VALU_DEP_1)
	v_fma_f64 v[162:163], v[164:165], v[160:161], v[162:163]
	v_add_f64 v[66:67], v[66:67], -v[162:163]
	ds_load_2addr_b64 v[162:165], v228 offset0:48 offset1:49
	s_waitcnt lgkmcnt(0)
	v_mul_f64 v[96:97], v[164:165], v[98:99]
	s_delay_alu instid0(VALU_DEP_1) | instskip(SKIP_1) | instid1(VALU_DEP_2)
	v_fma_f64 v[96:97], v[162:163], v[160:161], -v[96:97]
	v_mul_f64 v[162:163], v[162:163], v[98:99]
	v_add_f64 v[60:61], v[60:61], -v[96:97]
	s_delay_alu instid0(VALU_DEP_2) | instskip(NEXT) | instid1(VALU_DEP_1)
	v_fma_f64 v[162:163], v[164:165], v[160:161], v[162:163]
	v_add_f64 v[62:63], v[62:63], -v[162:163]
	ds_load_2addr_b64 v[162:165], v228 offset0:50 offset1:51
	s_waitcnt lgkmcnt(0)
	v_mul_f64 v[96:97], v[164:165], v[98:99]
	s_delay_alu instid0(VALU_DEP_1) | instskip(SKIP_1) | instid1(VALU_DEP_2)
	v_fma_f64 v[96:97], v[162:163], v[160:161], -v[96:97]
	v_mul_f64 v[162:163], v[162:163], v[98:99]
	v_add_f64 v[56:57], v[56:57], -v[96:97]
	s_delay_alu instid0(VALU_DEP_2) | instskip(NEXT) | instid1(VALU_DEP_1)
	v_fma_f64 v[162:163], v[164:165], v[160:161], v[162:163]
	v_add_f64 v[58:59], v[58:59], -v[162:163]
	ds_load_2addr_b64 v[162:165], v228 offset0:52 offset1:53
	s_waitcnt lgkmcnt(0)
	v_mul_f64 v[96:97], v[164:165], v[98:99]
	s_delay_alu instid0(VALU_DEP_1) | instskip(SKIP_1) | instid1(VALU_DEP_2)
	v_fma_f64 v[96:97], v[162:163], v[160:161], -v[96:97]
	v_mul_f64 v[162:163], v[162:163], v[98:99]
	v_add_f64 v[52:53], v[52:53], -v[96:97]
	s_delay_alu instid0(VALU_DEP_2) | instskip(NEXT) | instid1(VALU_DEP_1)
	v_fma_f64 v[162:163], v[164:165], v[160:161], v[162:163]
	v_add_f64 v[54:55], v[54:55], -v[162:163]
	ds_load_2addr_b64 v[162:165], v228 offset0:54 offset1:55
	s_waitcnt lgkmcnt(0)
	v_mul_f64 v[96:97], v[164:165], v[98:99]
	s_delay_alu instid0(VALU_DEP_1) | instskip(SKIP_1) | instid1(VALU_DEP_2)
	v_fma_f64 v[96:97], v[162:163], v[160:161], -v[96:97]
	v_mul_f64 v[162:163], v[162:163], v[98:99]
	v_add_f64 v[48:49], v[48:49], -v[96:97]
	s_delay_alu instid0(VALU_DEP_2) | instskip(NEXT) | instid1(VALU_DEP_1)
	v_fma_f64 v[162:163], v[164:165], v[160:161], v[162:163]
	v_add_f64 v[50:51], v[50:51], -v[162:163]
	ds_load_2addr_b64 v[162:165], v228 offset0:56 offset1:57
	s_waitcnt lgkmcnt(0)
	v_mul_f64 v[96:97], v[164:165], v[98:99]
	s_delay_alu instid0(VALU_DEP_1) | instskip(SKIP_1) | instid1(VALU_DEP_2)
	v_fma_f64 v[96:97], v[162:163], v[160:161], -v[96:97]
	v_mul_f64 v[162:163], v[162:163], v[98:99]
	v_add_f64 v[44:45], v[44:45], -v[96:97]
	s_delay_alu instid0(VALU_DEP_2) | instskip(NEXT) | instid1(VALU_DEP_1)
	v_fma_f64 v[162:163], v[164:165], v[160:161], v[162:163]
	v_add_f64 v[46:47], v[46:47], -v[162:163]
	ds_load_2addr_b64 v[162:165], v228 offset0:58 offset1:59
	s_waitcnt lgkmcnt(0)
	v_mul_f64 v[96:97], v[164:165], v[98:99]
	s_delay_alu instid0(VALU_DEP_1) | instskip(SKIP_1) | instid1(VALU_DEP_2)
	v_fma_f64 v[96:97], v[162:163], v[160:161], -v[96:97]
	v_mul_f64 v[162:163], v[162:163], v[98:99]
	v_add_f64 v[40:41], v[40:41], -v[96:97]
	s_delay_alu instid0(VALU_DEP_2) | instskip(NEXT) | instid1(VALU_DEP_1)
	v_fma_f64 v[162:163], v[164:165], v[160:161], v[162:163]
	v_add_f64 v[42:43], v[42:43], -v[162:163]
	ds_load_2addr_b64 v[162:165], v228 offset0:60 offset1:61
	s_waitcnt lgkmcnt(0)
	v_mul_f64 v[96:97], v[164:165], v[98:99]
	s_delay_alu instid0(VALU_DEP_1) | instskip(SKIP_1) | instid1(VALU_DEP_2)
	v_fma_f64 v[96:97], v[162:163], v[160:161], -v[96:97]
	v_mul_f64 v[162:163], v[162:163], v[98:99]
	v_add_f64 v[36:37], v[36:37], -v[96:97]
	s_delay_alu instid0(VALU_DEP_2) | instskip(NEXT) | instid1(VALU_DEP_1)
	v_fma_f64 v[162:163], v[164:165], v[160:161], v[162:163]
	v_add_f64 v[38:39], v[38:39], -v[162:163]
	ds_load_2addr_b64 v[162:165], v228 offset0:62 offset1:63
	s_waitcnt lgkmcnt(0)
	v_mul_f64 v[96:97], v[164:165], v[98:99]
	s_delay_alu instid0(VALU_DEP_1) | instskip(SKIP_1) | instid1(VALU_DEP_2)
	v_fma_f64 v[96:97], v[162:163], v[160:161], -v[96:97]
	v_mul_f64 v[162:163], v[162:163], v[98:99]
	v_add_f64 v[32:33], v[32:33], -v[96:97]
	s_delay_alu instid0(VALU_DEP_2) | instskip(NEXT) | instid1(VALU_DEP_1)
	v_fma_f64 v[162:163], v[164:165], v[160:161], v[162:163]
	v_add_f64 v[34:35], v[34:35], -v[162:163]
	ds_load_2addr_b64 v[162:165], v228 offset0:64 offset1:65
	s_waitcnt lgkmcnt(0)
	v_mul_f64 v[96:97], v[164:165], v[98:99]
	s_delay_alu instid0(VALU_DEP_1) | instskip(SKIP_1) | instid1(VALU_DEP_2)
	v_fma_f64 v[96:97], v[162:163], v[160:161], -v[96:97]
	v_mul_f64 v[162:163], v[162:163], v[98:99]
	v_add_f64 v[28:29], v[28:29], -v[96:97]
	s_delay_alu instid0(VALU_DEP_2) | instskip(NEXT) | instid1(VALU_DEP_1)
	v_fma_f64 v[162:163], v[164:165], v[160:161], v[162:163]
	v_add_f64 v[30:31], v[30:31], -v[162:163]
	ds_load_2addr_b64 v[162:165], v228 offset0:66 offset1:67
	s_waitcnt lgkmcnt(0)
	v_mul_f64 v[96:97], v[164:165], v[98:99]
	s_delay_alu instid0(VALU_DEP_1) | instskip(SKIP_1) | instid1(VALU_DEP_2)
	v_fma_f64 v[96:97], v[162:163], v[160:161], -v[96:97]
	v_mul_f64 v[162:163], v[162:163], v[98:99]
	v_add_f64 v[24:25], v[24:25], -v[96:97]
	s_delay_alu instid0(VALU_DEP_2) | instskip(NEXT) | instid1(VALU_DEP_1)
	v_fma_f64 v[162:163], v[164:165], v[160:161], v[162:163]
	v_add_f64 v[26:27], v[26:27], -v[162:163]
	ds_load_2addr_b64 v[162:165], v228 offset0:68 offset1:69
	s_waitcnt lgkmcnt(0)
	v_mul_f64 v[96:97], v[164:165], v[98:99]
	s_delay_alu instid0(VALU_DEP_1) | instskip(SKIP_1) | instid1(VALU_DEP_2)
	v_fma_f64 v[96:97], v[162:163], v[160:161], -v[96:97]
	v_mul_f64 v[162:163], v[162:163], v[98:99]
	v_add_f64 v[20:21], v[20:21], -v[96:97]
	s_delay_alu instid0(VALU_DEP_2) | instskip(NEXT) | instid1(VALU_DEP_1)
	v_fma_f64 v[162:163], v[164:165], v[160:161], v[162:163]
	v_add_f64 v[22:23], v[22:23], -v[162:163]
	ds_load_2addr_b64 v[162:165], v228 offset0:70 offset1:71
	s_waitcnt lgkmcnt(0)
	v_mul_f64 v[96:97], v[164:165], v[98:99]
	s_delay_alu instid0(VALU_DEP_1) | instskip(SKIP_1) | instid1(VALU_DEP_2)
	v_fma_f64 v[96:97], v[162:163], v[160:161], -v[96:97]
	v_mul_f64 v[162:163], v[162:163], v[98:99]
	v_add_f64 v[16:17], v[16:17], -v[96:97]
	s_delay_alu instid0(VALU_DEP_2) | instskip(NEXT) | instid1(VALU_DEP_1)
	v_fma_f64 v[162:163], v[164:165], v[160:161], v[162:163]
	v_add_f64 v[18:19], v[18:19], -v[162:163]
	ds_load_2addr_b64 v[162:165], v228 offset0:72 offset1:73
	s_waitcnt lgkmcnt(0)
	v_mul_f64 v[96:97], v[164:165], v[98:99]
	s_delay_alu instid0(VALU_DEP_1) | instskip(SKIP_1) | instid1(VALU_DEP_2)
	v_fma_f64 v[96:97], v[162:163], v[160:161], -v[96:97]
	v_mul_f64 v[162:163], v[162:163], v[98:99]
	v_add_f64 v[12:13], v[12:13], -v[96:97]
	s_delay_alu instid0(VALU_DEP_2) | instskip(NEXT) | instid1(VALU_DEP_1)
	v_fma_f64 v[162:163], v[164:165], v[160:161], v[162:163]
	v_add_f64 v[14:15], v[14:15], -v[162:163]
	ds_load_2addr_b64 v[162:165], v228 offset0:74 offset1:75
	s_waitcnt lgkmcnt(0)
	v_mul_f64 v[96:97], v[164:165], v[98:99]
	s_delay_alu instid0(VALU_DEP_1) | instskip(SKIP_1) | instid1(VALU_DEP_2)
	v_fma_f64 v[96:97], v[162:163], v[160:161], -v[96:97]
	v_mul_f64 v[162:163], v[162:163], v[98:99]
	v_add_f64 v[8:9], v[8:9], -v[96:97]
	s_delay_alu instid0(VALU_DEP_2) | instskip(NEXT) | instid1(VALU_DEP_1)
	v_fma_f64 v[162:163], v[164:165], v[160:161], v[162:163]
	v_add_f64 v[10:11], v[10:11], -v[162:163]
	ds_load_2addr_b64 v[162:165], v228 offset0:76 offset1:77
	s_waitcnt lgkmcnt(0)
	v_mul_f64 v[96:97], v[164:165], v[98:99]
	s_delay_alu instid0(VALU_DEP_1) | instskip(SKIP_1) | instid1(VALU_DEP_2)
	v_fma_f64 v[96:97], v[162:163], v[160:161], -v[96:97]
	v_mul_f64 v[162:163], v[162:163], v[98:99]
	v_add_f64 v[4:5], v[4:5], -v[96:97]
	s_delay_alu instid0(VALU_DEP_2) | instskip(NEXT) | instid1(VALU_DEP_1)
	v_fma_f64 v[162:163], v[164:165], v[160:161], v[162:163]
	v_add_f64 v[6:7], v[6:7], -v[162:163]
	ds_load_2addr_b64 v[162:165], v228 offset0:78 offset1:79
	s_waitcnt lgkmcnt(0)
	v_mul_f64 v[96:97], v[164:165], v[98:99]
	s_delay_alu instid0(VALU_DEP_1) | instskip(SKIP_1) | instid1(VALU_DEP_2)
	v_fma_f64 v[96:97], v[162:163], v[160:161], -v[96:97]
	v_mul_f64 v[162:163], v[162:163], v[98:99]
	v_add_f64 v[0:1], v[0:1], -v[96:97]
	s_delay_alu instid0(VALU_DEP_2) | instskip(SKIP_1) | instid1(VALU_DEP_2)
	v_fma_f64 v[162:163], v[164:165], v[160:161], v[162:163]
	v_dual_mov_b32 v96, v160 :: v_dual_mov_b32 v97, v161
	v_add_f64 v[2:3], v[2:3], -v[162:163]
.LBB79_145:
	s_or_b32 exec_lo, exec_lo, s3
	s_delay_alu instid0(SALU_CYCLE_1)
	s_mov_b32 s4, exec_lo
	s_waitcnt_vscnt null, 0x0
	s_barrier
	buffer_gl0_inv
	v_cmpx_eq_u32_e32 16, v226
	s_cbranch_execz .LBB79_152
; %bb.146:
	ds_store_2addr_b64 v227, v[92:93], v[94:95] offset1:1
	ds_store_2addr_b64 v228, v[88:89], v[90:91] offset0:34 offset1:35
	ds_store_2addr_b64 v228, v[84:85], v[86:87] offset0:36 offset1:37
	;; [unrolled: 1-line block ×23, first 2 shown]
	ds_load_2addr_b64 v[160:163], v227 offset1:1
	s_waitcnt lgkmcnt(0)
	v_cmp_neq_f64_e32 vcc_lo, 0, v[160:161]
	v_cmp_neq_f64_e64 s3, 0, v[162:163]
	s_delay_alu instid0(VALU_DEP_1) | instskip(NEXT) | instid1(SALU_CYCLE_1)
	s_or_b32 s3, vcc_lo, s3
	s_and_b32 exec_lo, exec_lo, s3
	s_cbranch_execz .LBB79_152
; %bb.147:
	v_cmp_gt_f64_e32 vcc_lo, 0, v[160:161]
	v_xor_b32_e32 v164, 0x80000000, v161
	v_xor_b32_e32 v166, 0x80000000, v163
	s_mov_b32 s3, exec_lo
                                        ; implicit-def: $vgpr168_vgpr169
	s_delay_alu instid0(VALU_DEP_2) | instskip(SKIP_4) | instid1(VALU_DEP_1)
	v_cndmask_b32_e32 v165, v161, v164, vcc_lo
	v_cndmask_b32_e32 v164, v160, v160, vcc_lo
	v_cmp_gt_f64_e32 vcc_lo, 0, v[162:163]
	v_cndmask_b32_e32 v167, v163, v166, vcc_lo
	v_cndmask_b32_e32 v166, v162, v162, vcc_lo
	v_cmpx_ngt_f64_e32 v[164:165], v[166:167]
	s_xor_b32 s3, exec_lo, s3
                                        ; implicit-def: $vgpr164_vgpr165_vgpr166_vgpr167
	s_cbranch_execz .LBB79_149
; %bb.148:
	v_div_scale_f64 v[164:165], null, v[162:163], v[162:163], v[160:161]
	v_div_scale_f64 v[170:171], vcc_lo, v[160:161], v[162:163], v[160:161]
	s_delay_alu instid0(VALU_DEP_2) | instskip(SKIP_2) | instid1(VALU_DEP_1)
	v_rcp_f64_e32 v[166:167], v[164:165]
	s_waitcnt_depctr 0xfff
	v_fma_f64 v[168:169], -v[164:165], v[166:167], 1.0
	v_fma_f64 v[166:167], v[166:167], v[168:169], v[166:167]
	s_delay_alu instid0(VALU_DEP_1) | instskip(NEXT) | instid1(VALU_DEP_1)
	v_fma_f64 v[168:169], -v[164:165], v[166:167], 1.0
	v_fma_f64 v[166:167], v[166:167], v[168:169], v[166:167]
	s_delay_alu instid0(VALU_DEP_1) | instskip(NEXT) | instid1(VALU_DEP_1)
	v_mul_f64 v[168:169], v[170:171], v[166:167]
	v_fma_f64 v[164:165], -v[164:165], v[168:169], v[170:171]
	s_delay_alu instid0(VALU_DEP_1) | instskip(NEXT) | instid1(VALU_DEP_1)
	v_div_fmas_f64 v[164:165], v[164:165], v[166:167], v[168:169]
	v_div_fixup_f64 v[164:165], v[164:165], v[162:163], v[160:161]
	s_delay_alu instid0(VALU_DEP_1) | instskip(NEXT) | instid1(VALU_DEP_1)
	v_fma_f64 v[160:161], v[160:161], v[164:165], v[162:163]
	v_div_scale_f64 v[162:163], null, v[160:161], v[160:161], 1.0
	s_delay_alu instid0(VALU_DEP_1) | instskip(SKIP_2) | instid1(VALU_DEP_1)
	v_rcp_f64_e32 v[166:167], v[162:163]
	s_waitcnt_depctr 0xfff
	v_fma_f64 v[168:169], -v[162:163], v[166:167], 1.0
	v_fma_f64 v[166:167], v[166:167], v[168:169], v[166:167]
	s_delay_alu instid0(VALU_DEP_1) | instskip(NEXT) | instid1(VALU_DEP_1)
	v_fma_f64 v[168:169], -v[162:163], v[166:167], 1.0
	v_fma_f64 v[166:167], v[166:167], v[168:169], v[166:167]
	v_div_scale_f64 v[168:169], vcc_lo, 1.0, v[160:161], 1.0
	s_delay_alu instid0(VALU_DEP_1) | instskip(NEXT) | instid1(VALU_DEP_1)
	v_mul_f64 v[170:171], v[168:169], v[166:167]
	v_fma_f64 v[162:163], -v[162:163], v[170:171], v[168:169]
	s_delay_alu instid0(VALU_DEP_1) | instskip(NEXT) | instid1(VALU_DEP_1)
	v_div_fmas_f64 v[162:163], v[162:163], v[166:167], v[170:171]
	v_div_fixup_f64 v[166:167], v[162:163], v[160:161], 1.0
                                        ; implicit-def: $vgpr160_vgpr161
	s_delay_alu instid0(VALU_DEP_1)
	v_mul_f64 v[168:169], v[164:165], v[166:167]
	v_xor_b32_e32 v167, 0x80000000, v167
.LBB79_149:
	s_and_not1_saveexec_b32 s3, s3
	s_cbranch_execz .LBB79_151
; %bb.150:
	v_div_scale_f64 v[164:165], null, v[160:161], v[160:161], v[162:163]
	v_div_scale_f64 v[170:171], vcc_lo, v[162:163], v[160:161], v[162:163]
	s_delay_alu instid0(VALU_DEP_2) | instskip(SKIP_2) | instid1(VALU_DEP_1)
	v_rcp_f64_e32 v[166:167], v[164:165]
	s_waitcnt_depctr 0xfff
	v_fma_f64 v[168:169], -v[164:165], v[166:167], 1.0
	v_fma_f64 v[166:167], v[166:167], v[168:169], v[166:167]
	s_delay_alu instid0(VALU_DEP_1) | instskip(NEXT) | instid1(VALU_DEP_1)
	v_fma_f64 v[168:169], -v[164:165], v[166:167], 1.0
	v_fma_f64 v[166:167], v[166:167], v[168:169], v[166:167]
	s_delay_alu instid0(VALU_DEP_1) | instskip(NEXT) | instid1(VALU_DEP_1)
	v_mul_f64 v[168:169], v[170:171], v[166:167]
	v_fma_f64 v[164:165], -v[164:165], v[168:169], v[170:171]
	s_delay_alu instid0(VALU_DEP_1) | instskip(NEXT) | instid1(VALU_DEP_1)
	v_div_fmas_f64 v[164:165], v[164:165], v[166:167], v[168:169]
	v_div_fixup_f64 v[164:165], v[164:165], v[160:161], v[162:163]
	s_delay_alu instid0(VALU_DEP_1) | instskip(NEXT) | instid1(VALU_DEP_1)
	v_fma_f64 v[160:161], v[162:163], v[164:165], v[160:161]
	v_div_scale_f64 v[162:163], null, v[160:161], v[160:161], 1.0
	s_delay_alu instid0(VALU_DEP_1) | instskip(SKIP_2) | instid1(VALU_DEP_1)
	v_rcp_f64_e32 v[166:167], v[162:163]
	s_waitcnt_depctr 0xfff
	v_fma_f64 v[168:169], -v[162:163], v[166:167], 1.0
	v_fma_f64 v[166:167], v[166:167], v[168:169], v[166:167]
	s_delay_alu instid0(VALU_DEP_1) | instskip(NEXT) | instid1(VALU_DEP_1)
	v_fma_f64 v[168:169], -v[162:163], v[166:167], 1.0
	v_fma_f64 v[166:167], v[166:167], v[168:169], v[166:167]
	v_div_scale_f64 v[168:169], vcc_lo, 1.0, v[160:161], 1.0
	s_delay_alu instid0(VALU_DEP_1) | instskip(NEXT) | instid1(VALU_DEP_1)
	v_mul_f64 v[170:171], v[168:169], v[166:167]
	v_fma_f64 v[162:163], -v[162:163], v[170:171], v[168:169]
	s_delay_alu instid0(VALU_DEP_1) | instskip(NEXT) | instid1(VALU_DEP_1)
	v_div_fmas_f64 v[162:163], v[162:163], v[166:167], v[170:171]
	v_div_fixup_f64 v[168:169], v[162:163], v[160:161], 1.0
	s_delay_alu instid0(VALU_DEP_1)
	v_mul_f64 v[166:167], v[164:165], -v[168:169]
.LBB79_151:
	s_or_b32 exec_lo, exec_lo, s3
	ds_store_2addr_b64 v227, v[168:169], v[166:167] offset1:1
.LBB79_152:
	s_or_b32 exec_lo, exec_lo, s4
	s_waitcnt lgkmcnt(0)
	s_barrier
	buffer_gl0_inv
	ds_load_2addr_b64 v[160:163], v227 offset1:1
	s_mov_b32 s3, exec_lo
	s_waitcnt lgkmcnt(0)
	scratch_store_b128 off, v[160:163], off offset:496 ; 16-byte Folded Spill
	v_cmpx_lt_u32_e32 16, v226
	s_cbranch_execz .LBB79_154
; %bb.153:
	scratch_load_b128 v[162:165], off, off offset:496 ; 16-byte Folded Reload
	s_waitcnt vmcnt(0)
	v_mul_f64 v[160:161], v[164:165], v[94:95]
	v_mul_f64 v[94:95], v[162:163], v[94:95]
	s_delay_alu instid0(VALU_DEP_2) | instskip(NEXT) | instid1(VALU_DEP_2)
	v_fma_f64 v[160:161], v[162:163], v[92:93], -v[160:161]
	v_fma_f64 v[94:95], v[164:165], v[92:93], v[94:95]
	ds_load_2addr_b64 v[162:165], v228 offset0:34 offset1:35
	s_waitcnt lgkmcnt(0)
	v_mul_f64 v[92:93], v[164:165], v[94:95]
	s_delay_alu instid0(VALU_DEP_1) | instskip(SKIP_1) | instid1(VALU_DEP_2)
	v_fma_f64 v[92:93], v[162:163], v[160:161], -v[92:93]
	v_mul_f64 v[162:163], v[162:163], v[94:95]
	v_add_f64 v[88:89], v[88:89], -v[92:93]
	s_delay_alu instid0(VALU_DEP_2) | instskip(NEXT) | instid1(VALU_DEP_1)
	v_fma_f64 v[162:163], v[164:165], v[160:161], v[162:163]
	v_add_f64 v[90:91], v[90:91], -v[162:163]
	ds_load_2addr_b64 v[162:165], v228 offset0:36 offset1:37
	s_waitcnt lgkmcnt(0)
	v_mul_f64 v[92:93], v[164:165], v[94:95]
	s_delay_alu instid0(VALU_DEP_1) | instskip(SKIP_1) | instid1(VALU_DEP_2)
	v_fma_f64 v[92:93], v[162:163], v[160:161], -v[92:93]
	v_mul_f64 v[162:163], v[162:163], v[94:95]
	v_add_f64 v[84:85], v[84:85], -v[92:93]
	s_delay_alu instid0(VALU_DEP_2) | instskip(NEXT) | instid1(VALU_DEP_1)
	v_fma_f64 v[162:163], v[164:165], v[160:161], v[162:163]
	v_add_f64 v[86:87], v[86:87], -v[162:163]
	;; [unrolled: 10-line block ×22, first 2 shown]
	ds_load_2addr_b64 v[162:165], v228 offset0:78 offset1:79
	s_waitcnt lgkmcnt(0)
	v_mul_f64 v[92:93], v[164:165], v[94:95]
	s_delay_alu instid0(VALU_DEP_1) | instskip(SKIP_1) | instid1(VALU_DEP_2)
	v_fma_f64 v[92:93], v[162:163], v[160:161], -v[92:93]
	v_mul_f64 v[162:163], v[162:163], v[94:95]
	v_add_f64 v[0:1], v[0:1], -v[92:93]
	s_delay_alu instid0(VALU_DEP_2) | instskip(SKIP_1) | instid1(VALU_DEP_2)
	v_fma_f64 v[162:163], v[164:165], v[160:161], v[162:163]
	v_dual_mov_b32 v92, v160 :: v_dual_mov_b32 v93, v161
	v_add_f64 v[2:3], v[2:3], -v[162:163]
.LBB79_154:
	s_or_b32 exec_lo, exec_lo, s3
	s_delay_alu instid0(SALU_CYCLE_1)
	s_mov_b32 s4, exec_lo
	s_waitcnt_vscnt null, 0x0
	s_barrier
	buffer_gl0_inv
	v_cmpx_eq_u32_e32 17, v226
	s_cbranch_execz .LBB79_161
; %bb.155:
	ds_store_2addr_b64 v227, v[88:89], v[90:91] offset1:1
	ds_store_2addr_b64 v228, v[84:85], v[86:87] offset0:36 offset1:37
	ds_store_2addr_b64 v228, v[80:81], v[82:83] offset0:38 offset1:39
	;; [unrolled: 1-line block ×22, first 2 shown]
	ds_load_2addr_b64 v[160:163], v227 offset1:1
	s_waitcnt lgkmcnt(0)
	v_cmp_neq_f64_e32 vcc_lo, 0, v[160:161]
	v_cmp_neq_f64_e64 s3, 0, v[162:163]
	s_delay_alu instid0(VALU_DEP_1) | instskip(NEXT) | instid1(SALU_CYCLE_1)
	s_or_b32 s3, vcc_lo, s3
	s_and_b32 exec_lo, exec_lo, s3
	s_cbranch_execz .LBB79_161
; %bb.156:
	v_cmp_gt_f64_e32 vcc_lo, 0, v[160:161]
	v_xor_b32_e32 v164, 0x80000000, v161
	v_xor_b32_e32 v166, 0x80000000, v163
	s_mov_b32 s3, exec_lo
                                        ; implicit-def: $vgpr168_vgpr169
	s_delay_alu instid0(VALU_DEP_2) | instskip(SKIP_4) | instid1(VALU_DEP_1)
	v_cndmask_b32_e32 v165, v161, v164, vcc_lo
	v_cndmask_b32_e32 v164, v160, v160, vcc_lo
	v_cmp_gt_f64_e32 vcc_lo, 0, v[162:163]
	v_cndmask_b32_e32 v167, v163, v166, vcc_lo
	v_cndmask_b32_e32 v166, v162, v162, vcc_lo
	v_cmpx_ngt_f64_e32 v[164:165], v[166:167]
	s_xor_b32 s3, exec_lo, s3
                                        ; implicit-def: $vgpr164_vgpr165_vgpr166_vgpr167
	s_cbranch_execz .LBB79_158
; %bb.157:
	v_div_scale_f64 v[164:165], null, v[162:163], v[162:163], v[160:161]
	v_div_scale_f64 v[170:171], vcc_lo, v[160:161], v[162:163], v[160:161]
	s_delay_alu instid0(VALU_DEP_2) | instskip(SKIP_2) | instid1(VALU_DEP_1)
	v_rcp_f64_e32 v[166:167], v[164:165]
	s_waitcnt_depctr 0xfff
	v_fma_f64 v[168:169], -v[164:165], v[166:167], 1.0
	v_fma_f64 v[166:167], v[166:167], v[168:169], v[166:167]
	s_delay_alu instid0(VALU_DEP_1) | instskip(NEXT) | instid1(VALU_DEP_1)
	v_fma_f64 v[168:169], -v[164:165], v[166:167], 1.0
	v_fma_f64 v[166:167], v[166:167], v[168:169], v[166:167]
	s_delay_alu instid0(VALU_DEP_1) | instskip(NEXT) | instid1(VALU_DEP_1)
	v_mul_f64 v[168:169], v[170:171], v[166:167]
	v_fma_f64 v[164:165], -v[164:165], v[168:169], v[170:171]
	s_delay_alu instid0(VALU_DEP_1) | instskip(NEXT) | instid1(VALU_DEP_1)
	v_div_fmas_f64 v[164:165], v[164:165], v[166:167], v[168:169]
	v_div_fixup_f64 v[164:165], v[164:165], v[162:163], v[160:161]
	s_delay_alu instid0(VALU_DEP_1) | instskip(NEXT) | instid1(VALU_DEP_1)
	v_fma_f64 v[160:161], v[160:161], v[164:165], v[162:163]
	v_div_scale_f64 v[162:163], null, v[160:161], v[160:161], 1.0
	s_delay_alu instid0(VALU_DEP_1) | instskip(SKIP_2) | instid1(VALU_DEP_1)
	v_rcp_f64_e32 v[166:167], v[162:163]
	s_waitcnt_depctr 0xfff
	v_fma_f64 v[168:169], -v[162:163], v[166:167], 1.0
	v_fma_f64 v[166:167], v[166:167], v[168:169], v[166:167]
	s_delay_alu instid0(VALU_DEP_1) | instskip(NEXT) | instid1(VALU_DEP_1)
	v_fma_f64 v[168:169], -v[162:163], v[166:167], 1.0
	v_fma_f64 v[166:167], v[166:167], v[168:169], v[166:167]
	v_div_scale_f64 v[168:169], vcc_lo, 1.0, v[160:161], 1.0
	s_delay_alu instid0(VALU_DEP_1) | instskip(NEXT) | instid1(VALU_DEP_1)
	v_mul_f64 v[170:171], v[168:169], v[166:167]
	v_fma_f64 v[162:163], -v[162:163], v[170:171], v[168:169]
	s_delay_alu instid0(VALU_DEP_1) | instskip(NEXT) | instid1(VALU_DEP_1)
	v_div_fmas_f64 v[162:163], v[162:163], v[166:167], v[170:171]
	v_div_fixup_f64 v[166:167], v[162:163], v[160:161], 1.0
                                        ; implicit-def: $vgpr160_vgpr161
	s_delay_alu instid0(VALU_DEP_1)
	v_mul_f64 v[168:169], v[164:165], v[166:167]
	v_xor_b32_e32 v167, 0x80000000, v167
.LBB79_158:
	s_and_not1_saveexec_b32 s3, s3
	s_cbranch_execz .LBB79_160
; %bb.159:
	v_div_scale_f64 v[164:165], null, v[160:161], v[160:161], v[162:163]
	v_div_scale_f64 v[170:171], vcc_lo, v[162:163], v[160:161], v[162:163]
	s_delay_alu instid0(VALU_DEP_2) | instskip(SKIP_2) | instid1(VALU_DEP_1)
	v_rcp_f64_e32 v[166:167], v[164:165]
	s_waitcnt_depctr 0xfff
	v_fma_f64 v[168:169], -v[164:165], v[166:167], 1.0
	v_fma_f64 v[166:167], v[166:167], v[168:169], v[166:167]
	s_delay_alu instid0(VALU_DEP_1) | instskip(NEXT) | instid1(VALU_DEP_1)
	v_fma_f64 v[168:169], -v[164:165], v[166:167], 1.0
	v_fma_f64 v[166:167], v[166:167], v[168:169], v[166:167]
	s_delay_alu instid0(VALU_DEP_1) | instskip(NEXT) | instid1(VALU_DEP_1)
	v_mul_f64 v[168:169], v[170:171], v[166:167]
	v_fma_f64 v[164:165], -v[164:165], v[168:169], v[170:171]
	s_delay_alu instid0(VALU_DEP_1) | instskip(NEXT) | instid1(VALU_DEP_1)
	v_div_fmas_f64 v[164:165], v[164:165], v[166:167], v[168:169]
	v_div_fixup_f64 v[164:165], v[164:165], v[160:161], v[162:163]
	s_delay_alu instid0(VALU_DEP_1) | instskip(NEXT) | instid1(VALU_DEP_1)
	v_fma_f64 v[160:161], v[162:163], v[164:165], v[160:161]
	v_div_scale_f64 v[162:163], null, v[160:161], v[160:161], 1.0
	s_delay_alu instid0(VALU_DEP_1) | instskip(SKIP_2) | instid1(VALU_DEP_1)
	v_rcp_f64_e32 v[166:167], v[162:163]
	s_waitcnt_depctr 0xfff
	v_fma_f64 v[168:169], -v[162:163], v[166:167], 1.0
	v_fma_f64 v[166:167], v[166:167], v[168:169], v[166:167]
	s_delay_alu instid0(VALU_DEP_1) | instskip(NEXT) | instid1(VALU_DEP_1)
	v_fma_f64 v[168:169], -v[162:163], v[166:167], 1.0
	v_fma_f64 v[166:167], v[166:167], v[168:169], v[166:167]
	v_div_scale_f64 v[168:169], vcc_lo, 1.0, v[160:161], 1.0
	s_delay_alu instid0(VALU_DEP_1) | instskip(NEXT) | instid1(VALU_DEP_1)
	v_mul_f64 v[170:171], v[168:169], v[166:167]
	v_fma_f64 v[162:163], -v[162:163], v[170:171], v[168:169]
	s_delay_alu instid0(VALU_DEP_1) | instskip(NEXT) | instid1(VALU_DEP_1)
	v_div_fmas_f64 v[162:163], v[162:163], v[166:167], v[170:171]
	v_div_fixup_f64 v[168:169], v[162:163], v[160:161], 1.0
	s_delay_alu instid0(VALU_DEP_1)
	v_mul_f64 v[166:167], v[164:165], -v[168:169]
.LBB79_160:
	s_or_b32 exec_lo, exec_lo, s3
	ds_store_2addr_b64 v227, v[168:169], v[166:167] offset1:1
.LBB79_161:
	s_or_b32 exec_lo, exec_lo, s4
	s_waitcnt lgkmcnt(0)
	s_barrier
	buffer_gl0_inv
	ds_load_2addr_b64 v[160:163], v227 offset1:1
	s_mov_b32 s3, exec_lo
	s_waitcnt lgkmcnt(0)
	scratch_store_b128 off, v[160:163], off offset:512 ; 16-byte Folded Spill
	v_cmpx_lt_u32_e32 17, v226
	s_cbranch_execz .LBB79_163
; %bb.162:
	scratch_load_b128 v[162:165], off, off offset:512 ; 16-byte Folded Reload
	s_waitcnt vmcnt(0)
	v_mul_f64 v[160:161], v[164:165], v[90:91]
	v_mul_f64 v[90:91], v[162:163], v[90:91]
	s_delay_alu instid0(VALU_DEP_2) | instskip(NEXT) | instid1(VALU_DEP_2)
	v_fma_f64 v[160:161], v[162:163], v[88:89], -v[160:161]
	v_fma_f64 v[90:91], v[164:165], v[88:89], v[90:91]
	ds_load_2addr_b64 v[162:165], v228 offset0:36 offset1:37
	s_waitcnt lgkmcnt(0)
	v_mul_f64 v[88:89], v[164:165], v[90:91]
	s_delay_alu instid0(VALU_DEP_1) | instskip(SKIP_1) | instid1(VALU_DEP_2)
	v_fma_f64 v[88:89], v[162:163], v[160:161], -v[88:89]
	v_mul_f64 v[162:163], v[162:163], v[90:91]
	v_add_f64 v[84:85], v[84:85], -v[88:89]
	s_delay_alu instid0(VALU_DEP_2) | instskip(NEXT) | instid1(VALU_DEP_1)
	v_fma_f64 v[162:163], v[164:165], v[160:161], v[162:163]
	v_add_f64 v[86:87], v[86:87], -v[162:163]
	ds_load_2addr_b64 v[162:165], v228 offset0:38 offset1:39
	s_waitcnt lgkmcnt(0)
	v_mul_f64 v[88:89], v[164:165], v[90:91]
	s_delay_alu instid0(VALU_DEP_1) | instskip(SKIP_1) | instid1(VALU_DEP_2)
	v_fma_f64 v[88:89], v[162:163], v[160:161], -v[88:89]
	v_mul_f64 v[162:163], v[162:163], v[90:91]
	v_add_f64 v[80:81], v[80:81], -v[88:89]
	s_delay_alu instid0(VALU_DEP_2) | instskip(NEXT) | instid1(VALU_DEP_1)
	v_fma_f64 v[162:163], v[164:165], v[160:161], v[162:163]
	v_add_f64 v[82:83], v[82:83], -v[162:163]
	;; [unrolled: 10-line block ×21, first 2 shown]
	ds_load_2addr_b64 v[162:165], v228 offset0:78 offset1:79
	s_waitcnt lgkmcnt(0)
	v_mul_f64 v[88:89], v[164:165], v[90:91]
	s_delay_alu instid0(VALU_DEP_1) | instskip(SKIP_1) | instid1(VALU_DEP_2)
	v_fma_f64 v[88:89], v[162:163], v[160:161], -v[88:89]
	v_mul_f64 v[162:163], v[162:163], v[90:91]
	v_add_f64 v[0:1], v[0:1], -v[88:89]
	s_delay_alu instid0(VALU_DEP_2) | instskip(SKIP_1) | instid1(VALU_DEP_2)
	v_fma_f64 v[162:163], v[164:165], v[160:161], v[162:163]
	v_dual_mov_b32 v88, v160 :: v_dual_mov_b32 v89, v161
	v_add_f64 v[2:3], v[2:3], -v[162:163]
.LBB79_163:
	s_or_b32 exec_lo, exec_lo, s3
	s_delay_alu instid0(SALU_CYCLE_1)
	s_mov_b32 s4, exec_lo
	s_waitcnt_vscnt null, 0x0
	s_barrier
	buffer_gl0_inv
	v_cmpx_eq_u32_e32 18, v226
	s_cbranch_execz .LBB79_170
; %bb.164:
	ds_store_2addr_b64 v227, v[84:85], v[86:87] offset1:1
	ds_store_2addr_b64 v228, v[80:81], v[82:83] offset0:38 offset1:39
	ds_store_2addr_b64 v228, v[76:77], v[78:79] offset0:40 offset1:41
	;; [unrolled: 1-line block ×21, first 2 shown]
	ds_load_2addr_b64 v[160:163], v227 offset1:1
	s_waitcnt lgkmcnt(0)
	v_cmp_neq_f64_e32 vcc_lo, 0, v[160:161]
	v_cmp_neq_f64_e64 s3, 0, v[162:163]
	s_delay_alu instid0(VALU_DEP_1) | instskip(NEXT) | instid1(SALU_CYCLE_1)
	s_or_b32 s3, vcc_lo, s3
	s_and_b32 exec_lo, exec_lo, s3
	s_cbranch_execz .LBB79_170
; %bb.165:
	v_cmp_gt_f64_e32 vcc_lo, 0, v[160:161]
	v_xor_b32_e32 v164, 0x80000000, v161
	v_xor_b32_e32 v166, 0x80000000, v163
	s_mov_b32 s3, exec_lo
                                        ; implicit-def: $vgpr168_vgpr169
	s_delay_alu instid0(VALU_DEP_2) | instskip(SKIP_4) | instid1(VALU_DEP_1)
	v_cndmask_b32_e32 v165, v161, v164, vcc_lo
	v_cndmask_b32_e32 v164, v160, v160, vcc_lo
	v_cmp_gt_f64_e32 vcc_lo, 0, v[162:163]
	v_cndmask_b32_e32 v167, v163, v166, vcc_lo
	v_cndmask_b32_e32 v166, v162, v162, vcc_lo
	v_cmpx_ngt_f64_e32 v[164:165], v[166:167]
	s_xor_b32 s3, exec_lo, s3
                                        ; implicit-def: $vgpr164_vgpr165_vgpr166_vgpr167
	s_cbranch_execz .LBB79_167
; %bb.166:
	v_div_scale_f64 v[164:165], null, v[162:163], v[162:163], v[160:161]
	v_div_scale_f64 v[170:171], vcc_lo, v[160:161], v[162:163], v[160:161]
	s_delay_alu instid0(VALU_DEP_2) | instskip(SKIP_2) | instid1(VALU_DEP_1)
	v_rcp_f64_e32 v[166:167], v[164:165]
	s_waitcnt_depctr 0xfff
	v_fma_f64 v[168:169], -v[164:165], v[166:167], 1.0
	v_fma_f64 v[166:167], v[166:167], v[168:169], v[166:167]
	s_delay_alu instid0(VALU_DEP_1) | instskip(NEXT) | instid1(VALU_DEP_1)
	v_fma_f64 v[168:169], -v[164:165], v[166:167], 1.0
	v_fma_f64 v[166:167], v[166:167], v[168:169], v[166:167]
	s_delay_alu instid0(VALU_DEP_1) | instskip(NEXT) | instid1(VALU_DEP_1)
	v_mul_f64 v[168:169], v[170:171], v[166:167]
	v_fma_f64 v[164:165], -v[164:165], v[168:169], v[170:171]
	s_delay_alu instid0(VALU_DEP_1) | instskip(NEXT) | instid1(VALU_DEP_1)
	v_div_fmas_f64 v[164:165], v[164:165], v[166:167], v[168:169]
	v_div_fixup_f64 v[164:165], v[164:165], v[162:163], v[160:161]
	s_delay_alu instid0(VALU_DEP_1) | instskip(NEXT) | instid1(VALU_DEP_1)
	v_fma_f64 v[160:161], v[160:161], v[164:165], v[162:163]
	v_div_scale_f64 v[162:163], null, v[160:161], v[160:161], 1.0
	s_delay_alu instid0(VALU_DEP_1) | instskip(SKIP_2) | instid1(VALU_DEP_1)
	v_rcp_f64_e32 v[166:167], v[162:163]
	s_waitcnt_depctr 0xfff
	v_fma_f64 v[168:169], -v[162:163], v[166:167], 1.0
	v_fma_f64 v[166:167], v[166:167], v[168:169], v[166:167]
	s_delay_alu instid0(VALU_DEP_1) | instskip(NEXT) | instid1(VALU_DEP_1)
	v_fma_f64 v[168:169], -v[162:163], v[166:167], 1.0
	v_fma_f64 v[166:167], v[166:167], v[168:169], v[166:167]
	v_div_scale_f64 v[168:169], vcc_lo, 1.0, v[160:161], 1.0
	s_delay_alu instid0(VALU_DEP_1) | instskip(NEXT) | instid1(VALU_DEP_1)
	v_mul_f64 v[170:171], v[168:169], v[166:167]
	v_fma_f64 v[162:163], -v[162:163], v[170:171], v[168:169]
	s_delay_alu instid0(VALU_DEP_1) | instskip(NEXT) | instid1(VALU_DEP_1)
	v_div_fmas_f64 v[162:163], v[162:163], v[166:167], v[170:171]
	v_div_fixup_f64 v[166:167], v[162:163], v[160:161], 1.0
                                        ; implicit-def: $vgpr160_vgpr161
	s_delay_alu instid0(VALU_DEP_1)
	v_mul_f64 v[168:169], v[164:165], v[166:167]
	v_xor_b32_e32 v167, 0x80000000, v167
.LBB79_167:
	s_and_not1_saveexec_b32 s3, s3
	s_cbranch_execz .LBB79_169
; %bb.168:
	v_div_scale_f64 v[164:165], null, v[160:161], v[160:161], v[162:163]
	v_div_scale_f64 v[170:171], vcc_lo, v[162:163], v[160:161], v[162:163]
	s_delay_alu instid0(VALU_DEP_2) | instskip(SKIP_2) | instid1(VALU_DEP_1)
	v_rcp_f64_e32 v[166:167], v[164:165]
	s_waitcnt_depctr 0xfff
	v_fma_f64 v[168:169], -v[164:165], v[166:167], 1.0
	v_fma_f64 v[166:167], v[166:167], v[168:169], v[166:167]
	s_delay_alu instid0(VALU_DEP_1) | instskip(NEXT) | instid1(VALU_DEP_1)
	v_fma_f64 v[168:169], -v[164:165], v[166:167], 1.0
	v_fma_f64 v[166:167], v[166:167], v[168:169], v[166:167]
	s_delay_alu instid0(VALU_DEP_1) | instskip(NEXT) | instid1(VALU_DEP_1)
	v_mul_f64 v[168:169], v[170:171], v[166:167]
	v_fma_f64 v[164:165], -v[164:165], v[168:169], v[170:171]
	s_delay_alu instid0(VALU_DEP_1) | instskip(NEXT) | instid1(VALU_DEP_1)
	v_div_fmas_f64 v[164:165], v[164:165], v[166:167], v[168:169]
	v_div_fixup_f64 v[164:165], v[164:165], v[160:161], v[162:163]
	s_delay_alu instid0(VALU_DEP_1) | instskip(NEXT) | instid1(VALU_DEP_1)
	v_fma_f64 v[160:161], v[162:163], v[164:165], v[160:161]
	v_div_scale_f64 v[162:163], null, v[160:161], v[160:161], 1.0
	s_delay_alu instid0(VALU_DEP_1) | instskip(SKIP_2) | instid1(VALU_DEP_1)
	v_rcp_f64_e32 v[166:167], v[162:163]
	s_waitcnt_depctr 0xfff
	v_fma_f64 v[168:169], -v[162:163], v[166:167], 1.0
	v_fma_f64 v[166:167], v[166:167], v[168:169], v[166:167]
	s_delay_alu instid0(VALU_DEP_1) | instskip(NEXT) | instid1(VALU_DEP_1)
	v_fma_f64 v[168:169], -v[162:163], v[166:167], 1.0
	v_fma_f64 v[166:167], v[166:167], v[168:169], v[166:167]
	v_div_scale_f64 v[168:169], vcc_lo, 1.0, v[160:161], 1.0
	s_delay_alu instid0(VALU_DEP_1) | instskip(NEXT) | instid1(VALU_DEP_1)
	v_mul_f64 v[170:171], v[168:169], v[166:167]
	v_fma_f64 v[162:163], -v[162:163], v[170:171], v[168:169]
	s_delay_alu instid0(VALU_DEP_1) | instskip(NEXT) | instid1(VALU_DEP_1)
	v_div_fmas_f64 v[162:163], v[162:163], v[166:167], v[170:171]
	v_div_fixup_f64 v[168:169], v[162:163], v[160:161], 1.0
	s_delay_alu instid0(VALU_DEP_1)
	v_mul_f64 v[166:167], v[164:165], -v[168:169]
.LBB79_169:
	s_or_b32 exec_lo, exec_lo, s3
	ds_store_2addr_b64 v227, v[168:169], v[166:167] offset1:1
.LBB79_170:
	s_or_b32 exec_lo, exec_lo, s4
	s_waitcnt lgkmcnt(0)
	s_barrier
	buffer_gl0_inv
	ds_load_2addr_b64 v[160:163], v227 offset1:1
	s_mov_b32 s3, exec_lo
	s_waitcnt lgkmcnt(0)
	scratch_store_b128 off, v[160:163], off offset:528 ; 16-byte Folded Spill
	v_cmpx_lt_u32_e32 18, v226
	s_cbranch_execz .LBB79_172
; %bb.171:
	scratch_load_b128 v[162:165], off, off offset:528 ; 16-byte Folded Reload
	s_waitcnt vmcnt(0)
	v_mul_f64 v[160:161], v[164:165], v[86:87]
	v_mul_f64 v[86:87], v[162:163], v[86:87]
	s_delay_alu instid0(VALU_DEP_2) | instskip(NEXT) | instid1(VALU_DEP_2)
	v_fma_f64 v[160:161], v[162:163], v[84:85], -v[160:161]
	v_fma_f64 v[86:87], v[164:165], v[84:85], v[86:87]
	ds_load_2addr_b64 v[162:165], v228 offset0:38 offset1:39
	s_waitcnt lgkmcnt(0)
	v_mul_f64 v[84:85], v[164:165], v[86:87]
	s_delay_alu instid0(VALU_DEP_1) | instskip(SKIP_1) | instid1(VALU_DEP_2)
	v_fma_f64 v[84:85], v[162:163], v[160:161], -v[84:85]
	v_mul_f64 v[162:163], v[162:163], v[86:87]
	v_add_f64 v[80:81], v[80:81], -v[84:85]
	s_delay_alu instid0(VALU_DEP_2) | instskip(NEXT) | instid1(VALU_DEP_1)
	v_fma_f64 v[162:163], v[164:165], v[160:161], v[162:163]
	v_add_f64 v[82:83], v[82:83], -v[162:163]
	ds_load_2addr_b64 v[162:165], v228 offset0:40 offset1:41
	s_waitcnt lgkmcnt(0)
	v_mul_f64 v[84:85], v[164:165], v[86:87]
	s_delay_alu instid0(VALU_DEP_1) | instskip(SKIP_1) | instid1(VALU_DEP_2)
	v_fma_f64 v[84:85], v[162:163], v[160:161], -v[84:85]
	v_mul_f64 v[162:163], v[162:163], v[86:87]
	v_add_f64 v[76:77], v[76:77], -v[84:85]
	s_delay_alu instid0(VALU_DEP_2) | instskip(NEXT) | instid1(VALU_DEP_1)
	v_fma_f64 v[162:163], v[164:165], v[160:161], v[162:163]
	v_add_f64 v[78:79], v[78:79], -v[162:163]
	;; [unrolled: 10-line block ×20, first 2 shown]
	ds_load_2addr_b64 v[162:165], v228 offset0:78 offset1:79
	s_waitcnt lgkmcnt(0)
	v_mul_f64 v[84:85], v[164:165], v[86:87]
	s_delay_alu instid0(VALU_DEP_1) | instskip(SKIP_1) | instid1(VALU_DEP_2)
	v_fma_f64 v[84:85], v[162:163], v[160:161], -v[84:85]
	v_mul_f64 v[162:163], v[162:163], v[86:87]
	v_add_f64 v[0:1], v[0:1], -v[84:85]
	s_delay_alu instid0(VALU_DEP_2) | instskip(SKIP_1) | instid1(VALU_DEP_2)
	v_fma_f64 v[162:163], v[164:165], v[160:161], v[162:163]
	v_dual_mov_b32 v84, v160 :: v_dual_mov_b32 v85, v161
	v_add_f64 v[2:3], v[2:3], -v[162:163]
.LBB79_172:
	s_or_b32 exec_lo, exec_lo, s3
	s_delay_alu instid0(SALU_CYCLE_1)
	s_mov_b32 s4, exec_lo
	s_waitcnt_vscnt null, 0x0
	s_barrier
	buffer_gl0_inv
	v_cmpx_eq_u32_e32 19, v226
	s_cbranch_execz .LBB79_179
; %bb.173:
	ds_store_2addr_b64 v227, v[80:81], v[82:83] offset1:1
	ds_store_2addr_b64 v228, v[76:77], v[78:79] offset0:40 offset1:41
	ds_store_2addr_b64 v228, v[72:73], v[74:75] offset0:42 offset1:43
	;; [unrolled: 1-line block ×20, first 2 shown]
	ds_load_2addr_b64 v[160:163], v227 offset1:1
	s_waitcnt lgkmcnt(0)
	v_cmp_neq_f64_e32 vcc_lo, 0, v[160:161]
	v_cmp_neq_f64_e64 s3, 0, v[162:163]
	s_delay_alu instid0(VALU_DEP_1) | instskip(NEXT) | instid1(SALU_CYCLE_1)
	s_or_b32 s3, vcc_lo, s3
	s_and_b32 exec_lo, exec_lo, s3
	s_cbranch_execz .LBB79_179
; %bb.174:
	v_cmp_gt_f64_e32 vcc_lo, 0, v[160:161]
	v_xor_b32_e32 v164, 0x80000000, v161
	v_xor_b32_e32 v166, 0x80000000, v163
	s_mov_b32 s3, exec_lo
                                        ; implicit-def: $vgpr168_vgpr169
	s_delay_alu instid0(VALU_DEP_2) | instskip(SKIP_4) | instid1(VALU_DEP_1)
	v_cndmask_b32_e32 v165, v161, v164, vcc_lo
	v_cndmask_b32_e32 v164, v160, v160, vcc_lo
	v_cmp_gt_f64_e32 vcc_lo, 0, v[162:163]
	v_cndmask_b32_e32 v167, v163, v166, vcc_lo
	v_cndmask_b32_e32 v166, v162, v162, vcc_lo
	v_cmpx_ngt_f64_e32 v[164:165], v[166:167]
	s_xor_b32 s3, exec_lo, s3
                                        ; implicit-def: $vgpr164_vgpr165_vgpr166_vgpr167
	s_cbranch_execz .LBB79_176
; %bb.175:
	v_div_scale_f64 v[164:165], null, v[162:163], v[162:163], v[160:161]
	v_div_scale_f64 v[170:171], vcc_lo, v[160:161], v[162:163], v[160:161]
	s_delay_alu instid0(VALU_DEP_2) | instskip(SKIP_2) | instid1(VALU_DEP_1)
	v_rcp_f64_e32 v[166:167], v[164:165]
	s_waitcnt_depctr 0xfff
	v_fma_f64 v[168:169], -v[164:165], v[166:167], 1.0
	v_fma_f64 v[166:167], v[166:167], v[168:169], v[166:167]
	s_delay_alu instid0(VALU_DEP_1) | instskip(NEXT) | instid1(VALU_DEP_1)
	v_fma_f64 v[168:169], -v[164:165], v[166:167], 1.0
	v_fma_f64 v[166:167], v[166:167], v[168:169], v[166:167]
	s_delay_alu instid0(VALU_DEP_1) | instskip(NEXT) | instid1(VALU_DEP_1)
	v_mul_f64 v[168:169], v[170:171], v[166:167]
	v_fma_f64 v[164:165], -v[164:165], v[168:169], v[170:171]
	s_delay_alu instid0(VALU_DEP_1) | instskip(NEXT) | instid1(VALU_DEP_1)
	v_div_fmas_f64 v[164:165], v[164:165], v[166:167], v[168:169]
	v_div_fixup_f64 v[164:165], v[164:165], v[162:163], v[160:161]
	s_delay_alu instid0(VALU_DEP_1) | instskip(NEXT) | instid1(VALU_DEP_1)
	v_fma_f64 v[160:161], v[160:161], v[164:165], v[162:163]
	v_div_scale_f64 v[162:163], null, v[160:161], v[160:161], 1.0
	s_delay_alu instid0(VALU_DEP_1) | instskip(SKIP_2) | instid1(VALU_DEP_1)
	v_rcp_f64_e32 v[166:167], v[162:163]
	s_waitcnt_depctr 0xfff
	v_fma_f64 v[168:169], -v[162:163], v[166:167], 1.0
	v_fma_f64 v[166:167], v[166:167], v[168:169], v[166:167]
	s_delay_alu instid0(VALU_DEP_1) | instskip(NEXT) | instid1(VALU_DEP_1)
	v_fma_f64 v[168:169], -v[162:163], v[166:167], 1.0
	v_fma_f64 v[166:167], v[166:167], v[168:169], v[166:167]
	v_div_scale_f64 v[168:169], vcc_lo, 1.0, v[160:161], 1.0
	s_delay_alu instid0(VALU_DEP_1) | instskip(NEXT) | instid1(VALU_DEP_1)
	v_mul_f64 v[170:171], v[168:169], v[166:167]
	v_fma_f64 v[162:163], -v[162:163], v[170:171], v[168:169]
	s_delay_alu instid0(VALU_DEP_1) | instskip(NEXT) | instid1(VALU_DEP_1)
	v_div_fmas_f64 v[162:163], v[162:163], v[166:167], v[170:171]
	v_div_fixup_f64 v[166:167], v[162:163], v[160:161], 1.0
                                        ; implicit-def: $vgpr160_vgpr161
	s_delay_alu instid0(VALU_DEP_1)
	v_mul_f64 v[168:169], v[164:165], v[166:167]
	v_xor_b32_e32 v167, 0x80000000, v167
.LBB79_176:
	s_and_not1_saveexec_b32 s3, s3
	s_cbranch_execz .LBB79_178
; %bb.177:
	v_div_scale_f64 v[164:165], null, v[160:161], v[160:161], v[162:163]
	v_div_scale_f64 v[170:171], vcc_lo, v[162:163], v[160:161], v[162:163]
	s_delay_alu instid0(VALU_DEP_2) | instskip(SKIP_2) | instid1(VALU_DEP_1)
	v_rcp_f64_e32 v[166:167], v[164:165]
	s_waitcnt_depctr 0xfff
	v_fma_f64 v[168:169], -v[164:165], v[166:167], 1.0
	v_fma_f64 v[166:167], v[166:167], v[168:169], v[166:167]
	s_delay_alu instid0(VALU_DEP_1) | instskip(NEXT) | instid1(VALU_DEP_1)
	v_fma_f64 v[168:169], -v[164:165], v[166:167], 1.0
	v_fma_f64 v[166:167], v[166:167], v[168:169], v[166:167]
	s_delay_alu instid0(VALU_DEP_1) | instskip(NEXT) | instid1(VALU_DEP_1)
	v_mul_f64 v[168:169], v[170:171], v[166:167]
	v_fma_f64 v[164:165], -v[164:165], v[168:169], v[170:171]
	s_delay_alu instid0(VALU_DEP_1) | instskip(NEXT) | instid1(VALU_DEP_1)
	v_div_fmas_f64 v[164:165], v[164:165], v[166:167], v[168:169]
	v_div_fixup_f64 v[164:165], v[164:165], v[160:161], v[162:163]
	s_delay_alu instid0(VALU_DEP_1) | instskip(NEXT) | instid1(VALU_DEP_1)
	v_fma_f64 v[160:161], v[162:163], v[164:165], v[160:161]
	v_div_scale_f64 v[162:163], null, v[160:161], v[160:161], 1.0
	s_delay_alu instid0(VALU_DEP_1) | instskip(SKIP_2) | instid1(VALU_DEP_1)
	v_rcp_f64_e32 v[166:167], v[162:163]
	s_waitcnt_depctr 0xfff
	v_fma_f64 v[168:169], -v[162:163], v[166:167], 1.0
	v_fma_f64 v[166:167], v[166:167], v[168:169], v[166:167]
	s_delay_alu instid0(VALU_DEP_1) | instskip(NEXT) | instid1(VALU_DEP_1)
	v_fma_f64 v[168:169], -v[162:163], v[166:167], 1.0
	v_fma_f64 v[166:167], v[166:167], v[168:169], v[166:167]
	v_div_scale_f64 v[168:169], vcc_lo, 1.0, v[160:161], 1.0
	s_delay_alu instid0(VALU_DEP_1) | instskip(NEXT) | instid1(VALU_DEP_1)
	v_mul_f64 v[170:171], v[168:169], v[166:167]
	v_fma_f64 v[162:163], -v[162:163], v[170:171], v[168:169]
	s_delay_alu instid0(VALU_DEP_1) | instskip(NEXT) | instid1(VALU_DEP_1)
	v_div_fmas_f64 v[162:163], v[162:163], v[166:167], v[170:171]
	v_div_fixup_f64 v[168:169], v[162:163], v[160:161], 1.0
	s_delay_alu instid0(VALU_DEP_1)
	v_mul_f64 v[166:167], v[164:165], -v[168:169]
.LBB79_178:
	s_or_b32 exec_lo, exec_lo, s3
	ds_store_2addr_b64 v227, v[168:169], v[166:167] offset1:1
.LBB79_179:
	s_or_b32 exec_lo, exec_lo, s4
	s_waitcnt lgkmcnt(0)
	s_barrier
	buffer_gl0_inv
	ds_load_2addr_b64 v[160:163], v227 offset1:1
	s_mov_b32 s3, exec_lo
	s_waitcnt lgkmcnt(0)
	scratch_store_b128 off, v[160:163], off offset:544 ; 16-byte Folded Spill
	v_cmpx_lt_u32_e32 19, v226
	s_cbranch_execz .LBB79_181
; %bb.180:
	scratch_load_b128 v[162:165], off, off offset:544 ; 16-byte Folded Reload
	s_waitcnt vmcnt(0)
	v_mul_f64 v[160:161], v[164:165], v[82:83]
	v_mul_f64 v[82:83], v[162:163], v[82:83]
	s_delay_alu instid0(VALU_DEP_2) | instskip(NEXT) | instid1(VALU_DEP_2)
	v_fma_f64 v[160:161], v[162:163], v[80:81], -v[160:161]
	v_fma_f64 v[82:83], v[164:165], v[80:81], v[82:83]
	ds_load_2addr_b64 v[162:165], v228 offset0:40 offset1:41
	s_waitcnt lgkmcnt(0)
	v_mul_f64 v[80:81], v[164:165], v[82:83]
	s_delay_alu instid0(VALU_DEP_1) | instskip(SKIP_1) | instid1(VALU_DEP_2)
	v_fma_f64 v[80:81], v[162:163], v[160:161], -v[80:81]
	v_mul_f64 v[162:163], v[162:163], v[82:83]
	v_add_f64 v[76:77], v[76:77], -v[80:81]
	s_delay_alu instid0(VALU_DEP_2) | instskip(NEXT) | instid1(VALU_DEP_1)
	v_fma_f64 v[162:163], v[164:165], v[160:161], v[162:163]
	v_add_f64 v[78:79], v[78:79], -v[162:163]
	ds_load_2addr_b64 v[162:165], v228 offset0:42 offset1:43
	s_waitcnt lgkmcnt(0)
	v_mul_f64 v[80:81], v[164:165], v[82:83]
	s_delay_alu instid0(VALU_DEP_1) | instskip(SKIP_1) | instid1(VALU_DEP_2)
	v_fma_f64 v[80:81], v[162:163], v[160:161], -v[80:81]
	v_mul_f64 v[162:163], v[162:163], v[82:83]
	v_add_f64 v[72:73], v[72:73], -v[80:81]
	s_delay_alu instid0(VALU_DEP_2) | instskip(NEXT) | instid1(VALU_DEP_1)
	v_fma_f64 v[162:163], v[164:165], v[160:161], v[162:163]
	v_add_f64 v[74:75], v[74:75], -v[162:163]
	;; [unrolled: 10-line block ×19, first 2 shown]
	ds_load_2addr_b64 v[162:165], v228 offset0:78 offset1:79
	s_waitcnt lgkmcnt(0)
	v_mul_f64 v[80:81], v[164:165], v[82:83]
	s_delay_alu instid0(VALU_DEP_1) | instskip(SKIP_1) | instid1(VALU_DEP_2)
	v_fma_f64 v[80:81], v[162:163], v[160:161], -v[80:81]
	v_mul_f64 v[162:163], v[162:163], v[82:83]
	v_add_f64 v[0:1], v[0:1], -v[80:81]
	s_delay_alu instid0(VALU_DEP_2) | instskip(SKIP_1) | instid1(VALU_DEP_2)
	v_fma_f64 v[162:163], v[164:165], v[160:161], v[162:163]
	v_dual_mov_b32 v80, v160 :: v_dual_mov_b32 v81, v161
	v_add_f64 v[2:3], v[2:3], -v[162:163]
.LBB79_181:
	s_or_b32 exec_lo, exec_lo, s3
	s_delay_alu instid0(SALU_CYCLE_1)
	s_mov_b32 s4, exec_lo
	s_waitcnt_vscnt null, 0x0
	s_barrier
	buffer_gl0_inv
	v_cmpx_eq_u32_e32 20, v226
	s_cbranch_execz .LBB79_188
; %bb.182:
	ds_store_2addr_b64 v227, v[76:77], v[78:79] offset1:1
	ds_store_2addr_b64 v228, v[72:73], v[74:75] offset0:42 offset1:43
	ds_store_2addr_b64 v228, v[68:69], v[70:71] offset0:44 offset1:45
	;; [unrolled: 1-line block ×19, first 2 shown]
	ds_load_2addr_b64 v[160:163], v227 offset1:1
	s_waitcnt lgkmcnt(0)
	v_cmp_neq_f64_e32 vcc_lo, 0, v[160:161]
	v_cmp_neq_f64_e64 s3, 0, v[162:163]
	s_delay_alu instid0(VALU_DEP_1) | instskip(NEXT) | instid1(SALU_CYCLE_1)
	s_or_b32 s3, vcc_lo, s3
	s_and_b32 exec_lo, exec_lo, s3
	s_cbranch_execz .LBB79_188
; %bb.183:
	v_cmp_gt_f64_e32 vcc_lo, 0, v[160:161]
	v_xor_b32_e32 v164, 0x80000000, v161
	v_xor_b32_e32 v166, 0x80000000, v163
	s_mov_b32 s3, exec_lo
                                        ; implicit-def: $vgpr168_vgpr169
	s_delay_alu instid0(VALU_DEP_2) | instskip(SKIP_4) | instid1(VALU_DEP_1)
	v_cndmask_b32_e32 v165, v161, v164, vcc_lo
	v_cndmask_b32_e32 v164, v160, v160, vcc_lo
	v_cmp_gt_f64_e32 vcc_lo, 0, v[162:163]
	v_cndmask_b32_e32 v167, v163, v166, vcc_lo
	v_cndmask_b32_e32 v166, v162, v162, vcc_lo
	v_cmpx_ngt_f64_e32 v[164:165], v[166:167]
	s_xor_b32 s3, exec_lo, s3
                                        ; implicit-def: $vgpr164_vgpr165_vgpr166_vgpr167
	s_cbranch_execz .LBB79_185
; %bb.184:
	v_div_scale_f64 v[164:165], null, v[162:163], v[162:163], v[160:161]
	v_div_scale_f64 v[170:171], vcc_lo, v[160:161], v[162:163], v[160:161]
	s_delay_alu instid0(VALU_DEP_2) | instskip(SKIP_2) | instid1(VALU_DEP_1)
	v_rcp_f64_e32 v[166:167], v[164:165]
	s_waitcnt_depctr 0xfff
	v_fma_f64 v[168:169], -v[164:165], v[166:167], 1.0
	v_fma_f64 v[166:167], v[166:167], v[168:169], v[166:167]
	s_delay_alu instid0(VALU_DEP_1) | instskip(NEXT) | instid1(VALU_DEP_1)
	v_fma_f64 v[168:169], -v[164:165], v[166:167], 1.0
	v_fma_f64 v[166:167], v[166:167], v[168:169], v[166:167]
	s_delay_alu instid0(VALU_DEP_1) | instskip(NEXT) | instid1(VALU_DEP_1)
	v_mul_f64 v[168:169], v[170:171], v[166:167]
	v_fma_f64 v[164:165], -v[164:165], v[168:169], v[170:171]
	s_delay_alu instid0(VALU_DEP_1) | instskip(NEXT) | instid1(VALU_DEP_1)
	v_div_fmas_f64 v[164:165], v[164:165], v[166:167], v[168:169]
	v_div_fixup_f64 v[164:165], v[164:165], v[162:163], v[160:161]
	s_delay_alu instid0(VALU_DEP_1) | instskip(NEXT) | instid1(VALU_DEP_1)
	v_fma_f64 v[160:161], v[160:161], v[164:165], v[162:163]
	v_div_scale_f64 v[162:163], null, v[160:161], v[160:161], 1.0
	s_delay_alu instid0(VALU_DEP_1) | instskip(SKIP_2) | instid1(VALU_DEP_1)
	v_rcp_f64_e32 v[166:167], v[162:163]
	s_waitcnt_depctr 0xfff
	v_fma_f64 v[168:169], -v[162:163], v[166:167], 1.0
	v_fma_f64 v[166:167], v[166:167], v[168:169], v[166:167]
	s_delay_alu instid0(VALU_DEP_1) | instskip(NEXT) | instid1(VALU_DEP_1)
	v_fma_f64 v[168:169], -v[162:163], v[166:167], 1.0
	v_fma_f64 v[166:167], v[166:167], v[168:169], v[166:167]
	v_div_scale_f64 v[168:169], vcc_lo, 1.0, v[160:161], 1.0
	s_delay_alu instid0(VALU_DEP_1) | instskip(NEXT) | instid1(VALU_DEP_1)
	v_mul_f64 v[170:171], v[168:169], v[166:167]
	v_fma_f64 v[162:163], -v[162:163], v[170:171], v[168:169]
	s_delay_alu instid0(VALU_DEP_1) | instskip(NEXT) | instid1(VALU_DEP_1)
	v_div_fmas_f64 v[162:163], v[162:163], v[166:167], v[170:171]
	v_div_fixup_f64 v[166:167], v[162:163], v[160:161], 1.0
                                        ; implicit-def: $vgpr160_vgpr161
	s_delay_alu instid0(VALU_DEP_1)
	v_mul_f64 v[168:169], v[164:165], v[166:167]
	v_xor_b32_e32 v167, 0x80000000, v167
.LBB79_185:
	s_and_not1_saveexec_b32 s3, s3
	s_cbranch_execz .LBB79_187
; %bb.186:
	v_div_scale_f64 v[164:165], null, v[160:161], v[160:161], v[162:163]
	v_div_scale_f64 v[170:171], vcc_lo, v[162:163], v[160:161], v[162:163]
	s_delay_alu instid0(VALU_DEP_2) | instskip(SKIP_2) | instid1(VALU_DEP_1)
	v_rcp_f64_e32 v[166:167], v[164:165]
	s_waitcnt_depctr 0xfff
	v_fma_f64 v[168:169], -v[164:165], v[166:167], 1.0
	v_fma_f64 v[166:167], v[166:167], v[168:169], v[166:167]
	s_delay_alu instid0(VALU_DEP_1) | instskip(NEXT) | instid1(VALU_DEP_1)
	v_fma_f64 v[168:169], -v[164:165], v[166:167], 1.0
	v_fma_f64 v[166:167], v[166:167], v[168:169], v[166:167]
	s_delay_alu instid0(VALU_DEP_1) | instskip(NEXT) | instid1(VALU_DEP_1)
	v_mul_f64 v[168:169], v[170:171], v[166:167]
	v_fma_f64 v[164:165], -v[164:165], v[168:169], v[170:171]
	s_delay_alu instid0(VALU_DEP_1) | instskip(NEXT) | instid1(VALU_DEP_1)
	v_div_fmas_f64 v[164:165], v[164:165], v[166:167], v[168:169]
	v_div_fixup_f64 v[164:165], v[164:165], v[160:161], v[162:163]
	s_delay_alu instid0(VALU_DEP_1) | instskip(NEXT) | instid1(VALU_DEP_1)
	v_fma_f64 v[160:161], v[162:163], v[164:165], v[160:161]
	v_div_scale_f64 v[162:163], null, v[160:161], v[160:161], 1.0
	s_delay_alu instid0(VALU_DEP_1) | instskip(SKIP_2) | instid1(VALU_DEP_1)
	v_rcp_f64_e32 v[166:167], v[162:163]
	s_waitcnt_depctr 0xfff
	v_fma_f64 v[168:169], -v[162:163], v[166:167], 1.0
	v_fma_f64 v[166:167], v[166:167], v[168:169], v[166:167]
	s_delay_alu instid0(VALU_DEP_1) | instskip(NEXT) | instid1(VALU_DEP_1)
	v_fma_f64 v[168:169], -v[162:163], v[166:167], 1.0
	v_fma_f64 v[166:167], v[166:167], v[168:169], v[166:167]
	v_div_scale_f64 v[168:169], vcc_lo, 1.0, v[160:161], 1.0
	s_delay_alu instid0(VALU_DEP_1) | instskip(NEXT) | instid1(VALU_DEP_1)
	v_mul_f64 v[170:171], v[168:169], v[166:167]
	v_fma_f64 v[162:163], -v[162:163], v[170:171], v[168:169]
	s_delay_alu instid0(VALU_DEP_1) | instskip(NEXT) | instid1(VALU_DEP_1)
	v_div_fmas_f64 v[162:163], v[162:163], v[166:167], v[170:171]
	v_div_fixup_f64 v[168:169], v[162:163], v[160:161], 1.0
	s_delay_alu instid0(VALU_DEP_1)
	v_mul_f64 v[166:167], v[164:165], -v[168:169]
.LBB79_187:
	s_or_b32 exec_lo, exec_lo, s3
	ds_store_2addr_b64 v227, v[168:169], v[166:167] offset1:1
.LBB79_188:
	s_or_b32 exec_lo, exec_lo, s4
	s_waitcnt lgkmcnt(0)
	s_barrier
	buffer_gl0_inv
	ds_load_2addr_b64 v[160:163], v227 offset1:1
	s_mov_b32 s3, exec_lo
	s_waitcnt lgkmcnt(0)
	scratch_store_b128 off, v[160:163], off offset:560 ; 16-byte Folded Spill
	v_cmpx_lt_u32_e32 20, v226
	s_cbranch_execz .LBB79_190
; %bb.189:
	scratch_load_b128 v[162:165], off, off offset:560 ; 16-byte Folded Reload
	s_waitcnt vmcnt(0)
	v_mul_f64 v[160:161], v[164:165], v[78:79]
	v_mul_f64 v[78:79], v[162:163], v[78:79]
	s_delay_alu instid0(VALU_DEP_2) | instskip(NEXT) | instid1(VALU_DEP_2)
	v_fma_f64 v[160:161], v[162:163], v[76:77], -v[160:161]
	v_fma_f64 v[78:79], v[164:165], v[76:77], v[78:79]
	ds_load_2addr_b64 v[162:165], v228 offset0:42 offset1:43
	s_waitcnt lgkmcnt(0)
	v_mul_f64 v[76:77], v[164:165], v[78:79]
	s_delay_alu instid0(VALU_DEP_1) | instskip(SKIP_1) | instid1(VALU_DEP_2)
	v_fma_f64 v[76:77], v[162:163], v[160:161], -v[76:77]
	v_mul_f64 v[162:163], v[162:163], v[78:79]
	v_add_f64 v[72:73], v[72:73], -v[76:77]
	s_delay_alu instid0(VALU_DEP_2) | instskip(NEXT) | instid1(VALU_DEP_1)
	v_fma_f64 v[162:163], v[164:165], v[160:161], v[162:163]
	v_add_f64 v[74:75], v[74:75], -v[162:163]
	ds_load_2addr_b64 v[162:165], v228 offset0:44 offset1:45
	s_waitcnt lgkmcnt(0)
	v_mul_f64 v[76:77], v[164:165], v[78:79]
	s_delay_alu instid0(VALU_DEP_1) | instskip(SKIP_1) | instid1(VALU_DEP_2)
	v_fma_f64 v[76:77], v[162:163], v[160:161], -v[76:77]
	v_mul_f64 v[162:163], v[162:163], v[78:79]
	v_add_f64 v[68:69], v[68:69], -v[76:77]
	s_delay_alu instid0(VALU_DEP_2) | instskip(NEXT) | instid1(VALU_DEP_1)
	v_fma_f64 v[162:163], v[164:165], v[160:161], v[162:163]
	v_add_f64 v[70:71], v[70:71], -v[162:163]
	;; [unrolled: 10-line block ×18, first 2 shown]
	ds_load_2addr_b64 v[162:165], v228 offset0:78 offset1:79
	s_waitcnt lgkmcnt(0)
	v_mul_f64 v[76:77], v[164:165], v[78:79]
	s_delay_alu instid0(VALU_DEP_1) | instskip(SKIP_1) | instid1(VALU_DEP_2)
	v_fma_f64 v[76:77], v[162:163], v[160:161], -v[76:77]
	v_mul_f64 v[162:163], v[162:163], v[78:79]
	v_add_f64 v[0:1], v[0:1], -v[76:77]
	s_delay_alu instid0(VALU_DEP_2) | instskip(SKIP_1) | instid1(VALU_DEP_2)
	v_fma_f64 v[162:163], v[164:165], v[160:161], v[162:163]
	v_dual_mov_b32 v76, v160 :: v_dual_mov_b32 v77, v161
	v_add_f64 v[2:3], v[2:3], -v[162:163]
.LBB79_190:
	s_or_b32 exec_lo, exec_lo, s3
	s_delay_alu instid0(SALU_CYCLE_1)
	s_mov_b32 s4, exec_lo
	s_waitcnt_vscnt null, 0x0
	s_barrier
	buffer_gl0_inv
	v_cmpx_eq_u32_e32 21, v226
	s_cbranch_execz .LBB79_197
; %bb.191:
	ds_store_2addr_b64 v227, v[72:73], v[74:75] offset1:1
	ds_store_2addr_b64 v228, v[68:69], v[70:71] offset0:44 offset1:45
	ds_store_2addr_b64 v228, v[64:65], v[66:67] offset0:46 offset1:47
	;; [unrolled: 1-line block ×18, first 2 shown]
	ds_load_2addr_b64 v[160:163], v227 offset1:1
	s_waitcnt lgkmcnt(0)
	v_cmp_neq_f64_e32 vcc_lo, 0, v[160:161]
	v_cmp_neq_f64_e64 s3, 0, v[162:163]
	s_delay_alu instid0(VALU_DEP_1) | instskip(NEXT) | instid1(SALU_CYCLE_1)
	s_or_b32 s3, vcc_lo, s3
	s_and_b32 exec_lo, exec_lo, s3
	s_cbranch_execz .LBB79_197
; %bb.192:
	v_cmp_gt_f64_e32 vcc_lo, 0, v[160:161]
	v_xor_b32_e32 v164, 0x80000000, v161
	v_xor_b32_e32 v166, 0x80000000, v163
	s_mov_b32 s3, exec_lo
                                        ; implicit-def: $vgpr168_vgpr169
	s_delay_alu instid0(VALU_DEP_2) | instskip(SKIP_4) | instid1(VALU_DEP_1)
	v_cndmask_b32_e32 v165, v161, v164, vcc_lo
	v_cndmask_b32_e32 v164, v160, v160, vcc_lo
	v_cmp_gt_f64_e32 vcc_lo, 0, v[162:163]
	v_cndmask_b32_e32 v167, v163, v166, vcc_lo
	v_cndmask_b32_e32 v166, v162, v162, vcc_lo
	v_cmpx_ngt_f64_e32 v[164:165], v[166:167]
	s_xor_b32 s3, exec_lo, s3
                                        ; implicit-def: $vgpr164_vgpr165_vgpr166_vgpr167
	s_cbranch_execz .LBB79_194
; %bb.193:
	v_div_scale_f64 v[164:165], null, v[162:163], v[162:163], v[160:161]
	v_div_scale_f64 v[170:171], vcc_lo, v[160:161], v[162:163], v[160:161]
	s_delay_alu instid0(VALU_DEP_2) | instskip(SKIP_2) | instid1(VALU_DEP_1)
	v_rcp_f64_e32 v[166:167], v[164:165]
	s_waitcnt_depctr 0xfff
	v_fma_f64 v[168:169], -v[164:165], v[166:167], 1.0
	v_fma_f64 v[166:167], v[166:167], v[168:169], v[166:167]
	s_delay_alu instid0(VALU_DEP_1) | instskip(NEXT) | instid1(VALU_DEP_1)
	v_fma_f64 v[168:169], -v[164:165], v[166:167], 1.0
	v_fma_f64 v[166:167], v[166:167], v[168:169], v[166:167]
	s_delay_alu instid0(VALU_DEP_1) | instskip(NEXT) | instid1(VALU_DEP_1)
	v_mul_f64 v[168:169], v[170:171], v[166:167]
	v_fma_f64 v[164:165], -v[164:165], v[168:169], v[170:171]
	s_delay_alu instid0(VALU_DEP_1) | instskip(NEXT) | instid1(VALU_DEP_1)
	v_div_fmas_f64 v[164:165], v[164:165], v[166:167], v[168:169]
	v_div_fixup_f64 v[164:165], v[164:165], v[162:163], v[160:161]
	s_delay_alu instid0(VALU_DEP_1) | instskip(NEXT) | instid1(VALU_DEP_1)
	v_fma_f64 v[160:161], v[160:161], v[164:165], v[162:163]
	v_div_scale_f64 v[162:163], null, v[160:161], v[160:161], 1.0
	s_delay_alu instid0(VALU_DEP_1) | instskip(SKIP_2) | instid1(VALU_DEP_1)
	v_rcp_f64_e32 v[166:167], v[162:163]
	s_waitcnt_depctr 0xfff
	v_fma_f64 v[168:169], -v[162:163], v[166:167], 1.0
	v_fma_f64 v[166:167], v[166:167], v[168:169], v[166:167]
	s_delay_alu instid0(VALU_DEP_1) | instskip(NEXT) | instid1(VALU_DEP_1)
	v_fma_f64 v[168:169], -v[162:163], v[166:167], 1.0
	v_fma_f64 v[166:167], v[166:167], v[168:169], v[166:167]
	v_div_scale_f64 v[168:169], vcc_lo, 1.0, v[160:161], 1.0
	s_delay_alu instid0(VALU_DEP_1) | instskip(NEXT) | instid1(VALU_DEP_1)
	v_mul_f64 v[170:171], v[168:169], v[166:167]
	v_fma_f64 v[162:163], -v[162:163], v[170:171], v[168:169]
	s_delay_alu instid0(VALU_DEP_1) | instskip(NEXT) | instid1(VALU_DEP_1)
	v_div_fmas_f64 v[162:163], v[162:163], v[166:167], v[170:171]
	v_div_fixup_f64 v[166:167], v[162:163], v[160:161], 1.0
                                        ; implicit-def: $vgpr160_vgpr161
	s_delay_alu instid0(VALU_DEP_1)
	v_mul_f64 v[168:169], v[164:165], v[166:167]
	v_xor_b32_e32 v167, 0x80000000, v167
.LBB79_194:
	s_and_not1_saveexec_b32 s3, s3
	s_cbranch_execz .LBB79_196
; %bb.195:
	v_div_scale_f64 v[164:165], null, v[160:161], v[160:161], v[162:163]
	v_div_scale_f64 v[170:171], vcc_lo, v[162:163], v[160:161], v[162:163]
	s_delay_alu instid0(VALU_DEP_2) | instskip(SKIP_2) | instid1(VALU_DEP_1)
	v_rcp_f64_e32 v[166:167], v[164:165]
	s_waitcnt_depctr 0xfff
	v_fma_f64 v[168:169], -v[164:165], v[166:167], 1.0
	v_fma_f64 v[166:167], v[166:167], v[168:169], v[166:167]
	s_delay_alu instid0(VALU_DEP_1) | instskip(NEXT) | instid1(VALU_DEP_1)
	v_fma_f64 v[168:169], -v[164:165], v[166:167], 1.0
	v_fma_f64 v[166:167], v[166:167], v[168:169], v[166:167]
	s_delay_alu instid0(VALU_DEP_1) | instskip(NEXT) | instid1(VALU_DEP_1)
	v_mul_f64 v[168:169], v[170:171], v[166:167]
	v_fma_f64 v[164:165], -v[164:165], v[168:169], v[170:171]
	s_delay_alu instid0(VALU_DEP_1) | instskip(NEXT) | instid1(VALU_DEP_1)
	v_div_fmas_f64 v[164:165], v[164:165], v[166:167], v[168:169]
	v_div_fixup_f64 v[164:165], v[164:165], v[160:161], v[162:163]
	s_delay_alu instid0(VALU_DEP_1) | instskip(NEXT) | instid1(VALU_DEP_1)
	v_fma_f64 v[160:161], v[162:163], v[164:165], v[160:161]
	v_div_scale_f64 v[162:163], null, v[160:161], v[160:161], 1.0
	s_delay_alu instid0(VALU_DEP_1) | instskip(SKIP_2) | instid1(VALU_DEP_1)
	v_rcp_f64_e32 v[166:167], v[162:163]
	s_waitcnt_depctr 0xfff
	v_fma_f64 v[168:169], -v[162:163], v[166:167], 1.0
	v_fma_f64 v[166:167], v[166:167], v[168:169], v[166:167]
	s_delay_alu instid0(VALU_DEP_1) | instskip(NEXT) | instid1(VALU_DEP_1)
	v_fma_f64 v[168:169], -v[162:163], v[166:167], 1.0
	v_fma_f64 v[166:167], v[166:167], v[168:169], v[166:167]
	v_div_scale_f64 v[168:169], vcc_lo, 1.0, v[160:161], 1.0
	s_delay_alu instid0(VALU_DEP_1) | instskip(NEXT) | instid1(VALU_DEP_1)
	v_mul_f64 v[170:171], v[168:169], v[166:167]
	v_fma_f64 v[162:163], -v[162:163], v[170:171], v[168:169]
	s_delay_alu instid0(VALU_DEP_1) | instskip(NEXT) | instid1(VALU_DEP_1)
	v_div_fmas_f64 v[162:163], v[162:163], v[166:167], v[170:171]
	v_div_fixup_f64 v[168:169], v[162:163], v[160:161], 1.0
	s_delay_alu instid0(VALU_DEP_1)
	v_mul_f64 v[166:167], v[164:165], -v[168:169]
.LBB79_196:
	s_or_b32 exec_lo, exec_lo, s3
	ds_store_2addr_b64 v227, v[168:169], v[166:167] offset1:1
.LBB79_197:
	s_or_b32 exec_lo, exec_lo, s4
	s_waitcnt lgkmcnt(0)
	s_barrier
	buffer_gl0_inv
	ds_load_2addr_b64 v[160:163], v227 offset1:1
	s_mov_b32 s3, exec_lo
	s_waitcnt lgkmcnt(0)
	scratch_store_b128 off, v[160:163], off offset:576 ; 16-byte Folded Spill
	v_cmpx_lt_u32_e32 21, v226
	s_cbranch_execz .LBB79_199
; %bb.198:
	scratch_load_b128 v[162:165], off, off offset:576 ; 16-byte Folded Reload
	s_waitcnt vmcnt(0)
	v_mul_f64 v[160:161], v[164:165], v[74:75]
	v_mul_f64 v[74:75], v[162:163], v[74:75]
	s_delay_alu instid0(VALU_DEP_2) | instskip(NEXT) | instid1(VALU_DEP_2)
	v_fma_f64 v[160:161], v[162:163], v[72:73], -v[160:161]
	v_fma_f64 v[74:75], v[164:165], v[72:73], v[74:75]
	ds_load_2addr_b64 v[162:165], v228 offset0:44 offset1:45
	s_waitcnt lgkmcnt(0)
	v_mul_f64 v[72:73], v[164:165], v[74:75]
	s_delay_alu instid0(VALU_DEP_1) | instskip(SKIP_1) | instid1(VALU_DEP_2)
	v_fma_f64 v[72:73], v[162:163], v[160:161], -v[72:73]
	v_mul_f64 v[162:163], v[162:163], v[74:75]
	v_add_f64 v[68:69], v[68:69], -v[72:73]
	s_delay_alu instid0(VALU_DEP_2) | instskip(NEXT) | instid1(VALU_DEP_1)
	v_fma_f64 v[162:163], v[164:165], v[160:161], v[162:163]
	v_add_f64 v[70:71], v[70:71], -v[162:163]
	ds_load_2addr_b64 v[162:165], v228 offset0:46 offset1:47
	s_waitcnt lgkmcnt(0)
	v_mul_f64 v[72:73], v[164:165], v[74:75]
	s_delay_alu instid0(VALU_DEP_1) | instskip(SKIP_1) | instid1(VALU_DEP_2)
	v_fma_f64 v[72:73], v[162:163], v[160:161], -v[72:73]
	v_mul_f64 v[162:163], v[162:163], v[74:75]
	v_add_f64 v[64:65], v[64:65], -v[72:73]
	s_delay_alu instid0(VALU_DEP_2) | instskip(NEXT) | instid1(VALU_DEP_1)
	v_fma_f64 v[162:163], v[164:165], v[160:161], v[162:163]
	v_add_f64 v[66:67], v[66:67], -v[162:163]
	;; [unrolled: 10-line block ×17, first 2 shown]
	ds_load_2addr_b64 v[162:165], v228 offset0:78 offset1:79
	s_waitcnt lgkmcnt(0)
	v_mul_f64 v[72:73], v[164:165], v[74:75]
	s_delay_alu instid0(VALU_DEP_1) | instskip(SKIP_1) | instid1(VALU_DEP_2)
	v_fma_f64 v[72:73], v[162:163], v[160:161], -v[72:73]
	v_mul_f64 v[162:163], v[162:163], v[74:75]
	v_add_f64 v[0:1], v[0:1], -v[72:73]
	s_delay_alu instid0(VALU_DEP_2) | instskip(SKIP_1) | instid1(VALU_DEP_2)
	v_fma_f64 v[162:163], v[164:165], v[160:161], v[162:163]
	v_dual_mov_b32 v72, v160 :: v_dual_mov_b32 v73, v161
	v_add_f64 v[2:3], v[2:3], -v[162:163]
.LBB79_199:
	s_or_b32 exec_lo, exec_lo, s3
	s_delay_alu instid0(SALU_CYCLE_1)
	s_mov_b32 s4, exec_lo
	s_waitcnt_vscnt null, 0x0
	s_barrier
	buffer_gl0_inv
	v_cmpx_eq_u32_e32 22, v226
	s_cbranch_execz .LBB79_206
; %bb.200:
	ds_store_2addr_b64 v227, v[68:69], v[70:71] offset1:1
	ds_store_2addr_b64 v228, v[64:65], v[66:67] offset0:46 offset1:47
	ds_store_2addr_b64 v228, v[60:61], v[62:63] offset0:48 offset1:49
	;; [unrolled: 1-line block ×17, first 2 shown]
	ds_load_2addr_b64 v[160:163], v227 offset1:1
	s_waitcnt lgkmcnt(0)
	v_cmp_neq_f64_e32 vcc_lo, 0, v[160:161]
	v_cmp_neq_f64_e64 s3, 0, v[162:163]
	s_delay_alu instid0(VALU_DEP_1) | instskip(NEXT) | instid1(SALU_CYCLE_1)
	s_or_b32 s3, vcc_lo, s3
	s_and_b32 exec_lo, exec_lo, s3
	s_cbranch_execz .LBB79_206
; %bb.201:
	v_cmp_gt_f64_e32 vcc_lo, 0, v[160:161]
	v_xor_b32_e32 v164, 0x80000000, v161
	v_xor_b32_e32 v166, 0x80000000, v163
	s_mov_b32 s3, exec_lo
                                        ; implicit-def: $vgpr168_vgpr169
	s_delay_alu instid0(VALU_DEP_2) | instskip(SKIP_4) | instid1(VALU_DEP_1)
	v_cndmask_b32_e32 v165, v161, v164, vcc_lo
	v_cndmask_b32_e32 v164, v160, v160, vcc_lo
	v_cmp_gt_f64_e32 vcc_lo, 0, v[162:163]
	v_cndmask_b32_e32 v167, v163, v166, vcc_lo
	v_cndmask_b32_e32 v166, v162, v162, vcc_lo
	v_cmpx_ngt_f64_e32 v[164:165], v[166:167]
	s_xor_b32 s3, exec_lo, s3
                                        ; implicit-def: $vgpr164_vgpr165_vgpr166_vgpr167
	s_cbranch_execz .LBB79_203
; %bb.202:
	v_div_scale_f64 v[164:165], null, v[162:163], v[162:163], v[160:161]
	v_div_scale_f64 v[170:171], vcc_lo, v[160:161], v[162:163], v[160:161]
	s_delay_alu instid0(VALU_DEP_2) | instskip(SKIP_2) | instid1(VALU_DEP_1)
	v_rcp_f64_e32 v[166:167], v[164:165]
	s_waitcnt_depctr 0xfff
	v_fma_f64 v[168:169], -v[164:165], v[166:167], 1.0
	v_fma_f64 v[166:167], v[166:167], v[168:169], v[166:167]
	s_delay_alu instid0(VALU_DEP_1) | instskip(NEXT) | instid1(VALU_DEP_1)
	v_fma_f64 v[168:169], -v[164:165], v[166:167], 1.0
	v_fma_f64 v[166:167], v[166:167], v[168:169], v[166:167]
	s_delay_alu instid0(VALU_DEP_1) | instskip(NEXT) | instid1(VALU_DEP_1)
	v_mul_f64 v[168:169], v[170:171], v[166:167]
	v_fma_f64 v[164:165], -v[164:165], v[168:169], v[170:171]
	s_delay_alu instid0(VALU_DEP_1) | instskip(NEXT) | instid1(VALU_DEP_1)
	v_div_fmas_f64 v[164:165], v[164:165], v[166:167], v[168:169]
	v_div_fixup_f64 v[164:165], v[164:165], v[162:163], v[160:161]
	s_delay_alu instid0(VALU_DEP_1) | instskip(NEXT) | instid1(VALU_DEP_1)
	v_fma_f64 v[160:161], v[160:161], v[164:165], v[162:163]
	v_div_scale_f64 v[162:163], null, v[160:161], v[160:161], 1.0
	s_delay_alu instid0(VALU_DEP_1) | instskip(SKIP_2) | instid1(VALU_DEP_1)
	v_rcp_f64_e32 v[166:167], v[162:163]
	s_waitcnt_depctr 0xfff
	v_fma_f64 v[168:169], -v[162:163], v[166:167], 1.0
	v_fma_f64 v[166:167], v[166:167], v[168:169], v[166:167]
	s_delay_alu instid0(VALU_DEP_1) | instskip(NEXT) | instid1(VALU_DEP_1)
	v_fma_f64 v[168:169], -v[162:163], v[166:167], 1.0
	v_fma_f64 v[166:167], v[166:167], v[168:169], v[166:167]
	v_div_scale_f64 v[168:169], vcc_lo, 1.0, v[160:161], 1.0
	s_delay_alu instid0(VALU_DEP_1) | instskip(NEXT) | instid1(VALU_DEP_1)
	v_mul_f64 v[170:171], v[168:169], v[166:167]
	v_fma_f64 v[162:163], -v[162:163], v[170:171], v[168:169]
	s_delay_alu instid0(VALU_DEP_1) | instskip(NEXT) | instid1(VALU_DEP_1)
	v_div_fmas_f64 v[162:163], v[162:163], v[166:167], v[170:171]
	v_div_fixup_f64 v[166:167], v[162:163], v[160:161], 1.0
                                        ; implicit-def: $vgpr160_vgpr161
	s_delay_alu instid0(VALU_DEP_1)
	v_mul_f64 v[168:169], v[164:165], v[166:167]
	v_xor_b32_e32 v167, 0x80000000, v167
.LBB79_203:
	s_and_not1_saveexec_b32 s3, s3
	s_cbranch_execz .LBB79_205
; %bb.204:
	v_div_scale_f64 v[164:165], null, v[160:161], v[160:161], v[162:163]
	v_div_scale_f64 v[170:171], vcc_lo, v[162:163], v[160:161], v[162:163]
	s_delay_alu instid0(VALU_DEP_2) | instskip(SKIP_2) | instid1(VALU_DEP_1)
	v_rcp_f64_e32 v[166:167], v[164:165]
	s_waitcnt_depctr 0xfff
	v_fma_f64 v[168:169], -v[164:165], v[166:167], 1.0
	v_fma_f64 v[166:167], v[166:167], v[168:169], v[166:167]
	s_delay_alu instid0(VALU_DEP_1) | instskip(NEXT) | instid1(VALU_DEP_1)
	v_fma_f64 v[168:169], -v[164:165], v[166:167], 1.0
	v_fma_f64 v[166:167], v[166:167], v[168:169], v[166:167]
	s_delay_alu instid0(VALU_DEP_1) | instskip(NEXT) | instid1(VALU_DEP_1)
	v_mul_f64 v[168:169], v[170:171], v[166:167]
	v_fma_f64 v[164:165], -v[164:165], v[168:169], v[170:171]
	s_delay_alu instid0(VALU_DEP_1) | instskip(NEXT) | instid1(VALU_DEP_1)
	v_div_fmas_f64 v[164:165], v[164:165], v[166:167], v[168:169]
	v_div_fixup_f64 v[164:165], v[164:165], v[160:161], v[162:163]
	s_delay_alu instid0(VALU_DEP_1) | instskip(NEXT) | instid1(VALU_DEP_1)
	v_fma_f64 v[160:161], v[162:163], v[164:165], v[160:161]
	v_div_scale_f64 v[162:163], null, v[160:161], v[160:161], 1.0
	s_delay_alu instid0(VALU_DEP_1) | instskip(SKIP_2) | instid1(VALU_DEP_1)
	v_rcp_f64_e32 v[166:167], v[162:163]
	s_waitcnt_depctr 0xfff
	v_fma_f64 v[168:169], -v[162:163], v[166:167], 1.0
	v_fma_f64 v[166:167], v[166:167], v[168:169], v[166:167]
	s_delay_alu instid0(VALU_DEP_1) | instskip(NEXT) | instid1(VALU_DEP_1)
	v_fma_f64 v[168:169], -v[162:163], v[166:167], 1.0
	v_fma_f64 v[166:167], v[166:167], v[168:169], v[166:167]
	v_div_scale_f64 v[168:169], vcc_lo, 1.0, v[160:161], 1.0
	s_delay_alu instid0(VALU_DEP_1) | instskip(NEXT) | instid1(VALU_DEP_1)
	v_mul_f64 v[170:171], v[168:169], v[166:167]
	v_fma_f64 v[162:163], -v[162:163], v[170:171], v[168:169]
	s_delay_alu instid0(VALU_DEP_1) | instskip(NEXT) | instid1(VALU_DEP_1)
	v_div_fmas_f64 v[162:163], v[162:163], v[166:167], v[170:171]
	v_div_fixup_f64 v[168:169], v[162:163], v[160:161], 1.0
	s_delay_alu instid0(VALU_DEP_1)
	v_mul_f64 v[166:167], v[164:165], -v[168:169]
.LBB79_205:
	s_or_b32 exec_lo, exec_lo, s3
	ds_store_2addr_b64 v227, v[168:169], v[166:167] offset1:1
.LBB79_206:
	s_or_b32 exec_lo, exec_lo, s4
	s_waitcnt lgkmcnt(0)
	s_barrier
	buffer_gl0_inv
	ds_load_2addr_b64 v[160:163], v227 offset1:1
	s_mov_b32 s3, exec_lo
	s_waitcnt lgkmcnt(0)
	scratch_store_b128 off, v[160:163], off offset:592 ; 16-byte Folded Spill
	v_cmpx_lt_u32_e32 22, v226
	s_cbranch_execz .LBB79_208
; %bb.207:
	scratch_load_b128 v[162:165], off, off offset:592 ; 16-byte Folded Reload
	s_waitcnt vmcnt(0)
	v_mul_f64 v[160:161], v[164:165], v[70:71]
	v_mul_f64 v[70:71], v[162:163], v[70:71]
	s_delay_alu instid0(VALU_DEP_2) | instskip(NEXT) | instid1(VALU_DEP_2)
	v_fma_f64 v[160:161], v[162:163], v[68:69], -v[160:161]
	v_fma_f64 v[70:71], v[164:165], v[68:69], v[70:71]
	ds_load_2addr_b64 v[162:165], v228 offset0:46 offset1:47
	s_waitcnt lgkmcnt(0)
	v_mul_f64 v[68:69], v[164:165], v[70:71]
	s_delay_alu instid0(VALU_DEP_1) | instskip(SKIP_1) | instid1(VALU_DEP_2)
	v_fma_f64 v[68:69], v[162:163], v[160:161], -v[68:69]
	v_mul_f64 v[162:163], v[162:163], v[70:71]
	v_add_f64 v[64:65], v[64:65], -v[68:69]
	s_delay_alu instid0(VALU_DEP_2) | instskip(NEXT) | instid1(VALU_DEP_1)
	v_fma_f64 v[162:163], v[164:165], v[160:161], v[162:163]
	v_add_f64 v[66:67], v[66:67], -v[162:163]
	ds_load_2addr_b64 v[162:165], v228 offset0:48 offset1:49
	s_waitcnt lgkmcnt(0)
	v_mul_f64 v[68:69], v[164:165], v[70:71]
	s_delay_alu instid0(VALU_DEP_1) | instskip(SKIP_1) | instid1(VALU_DEP_2)
	v_fma_f64 v[68:69], v[162:163], v[160:161], -v[68:69]
	v_mul_f64 v[162:163], v[162:163], v[70:71]
	v_add_f64 v[60:61], v[60:61], -v[68:69]
	s_delay_alu instid0(VALU_DEP_2) | instskip(NEXT) | instid1(VALU_DEP_1)
	v_fma_f64 v[162:163], v[164:165], v[160:161], v[162:163]
	v_add_f64 v[62:63], v[62:63], -v[162:163]
	;; [unrolled: 10-line block ×16, first 2 shown]
	ds_load_2addr_b64 v[162:165], v228 offset0:78 offset1:79
	s_waitcnt lgkmcnt(0)
	v_mul_f64 v[68:69], v[164:165], v[70:71]
	s_delay_alu instid0(VALU_DEP_1) | instskip(SKIP_1) | instid1(VALU_DEP_2)
	v_fma_f64 v[68:69], v[162:163], v[160:161], -v[68:69]
	v_mul_f64 v[162:163], v[162:163], v[70:71]
	v_add_f64 v[0:1], v[0:1], -v[68:69]
	s_delay_alu instid0(VALU_DEP_2) | instskip(SKIP_1) | instid1(VALU_DEP_2)
	v_fma_f64 v[162:163], v[164:165], v[160:161], v[162:163]
	v_dual_mov_b32 v68, v160 :: v_dual_mov_b32 v69, v161
	v_add_f64 v[2:3], v[2:3], -v[162:163]
.LBB79_208:
	s_or_b32 exec_lo, exec_lo, s3
	s_delay_alu instid0(SALU_CYCLE_1)
	s_mov_b32 s4, exec_lo
	s_waitcnt_vscnt null, 0x0
	s_barrier
	buffer_gl0_inv
	v_cmpx_eq_u32_e32 23, v226
	s_cbranch_execz .LBB79_215
; %bb.209:
	ds_store_2addr_b64 v227, v[64:65], v[66:67] offset1:1
	ds_store_2addr_b64 v228, v[60:61], v[62:63] offset0:48 offset1:49
	ds_store_2addr_b64 v228, v[56:57], v[58:59] offset0:50 offset1:51
	;; [unrolled: 1-line block ×16, first 2 shown]
	ds_load_2addr_b64 v[160:163], v227 offset1:1
	s_waitcnt lgkmcnt(0)
	v_cmp_neq_f64_e32 vcc_lo, 0, v[160:161]
	v_cmp_neq_f64_e64 s3, 0, v[162:163]
	s_delay_alu instid0(VALU_DEP_1) | instskip(NEXT) | instid1(SALU_CYCLE_1)
	s_or_b32 s3, vcc_lo, s3
	s_and_b32 exec_lo, exec_lo, s3
	s_cbranch_execz .LBB79_215
; %bb.210:
	v_cmp_gt_f64_e32 vcc_lo, 0, v[160:161]
	v_xor_b32_e32 v164, 0x80000000, v161
	v_xor_b32_e32 v166, 0x80000000, v163
	s_mov_b32 s3, exec_lo
                                        ; implicit-def: $vgpr168_vgpr169
	s_delay_alu instid0(VALU_DEP_2) | instskip(SKIP_4) | instid1(VALU_DEP_1)
	v_cndmask_b32_e32 v165, v161, v164, vcc_lo
	v_cndmask_b32_e32 v164, v160, v160, vcc_lo
	v_cmp_gt_f64_e32 vcc_lo, 0, v[162:163]
	v_cndmask_b32_e32 v167, v163, v166, vcc_lo
	v_cndmask_b32_e32 v166, v162, v162, vcc_lo
	v_cmpx_ngt_f64_e32 v[164:165], v[166:167]
	s_xor_b32 s3, exec_lo, s3
                                        ; implicit-def: $vgpr164_vgpr165_vgpr166_vgpr167
	s_cbranch_execz .LBB79_212
; %bb.211:
	v_div_scale_f64 v[164:165], null, v[162:163], v[162:163], v[160:161]
	v_div_scale_f64 v[170:171], vcc_lo, v[160:161], v[162:163], v[160:161]
	s_delay_alu instid0(VALU_DEP_2) | instskip(SKIP_2) | instid1(VALU_DEP_1)
	v_rcp_f64_e32 v[166:167], v[164:165]
	s_waitcnt_depctr 0xfff
	v_fma_f64 v[168:169], -v[164:165], v[166:167], 1.0
	v_fma_f64 v[166:167], v[166:167], v[168:169], v[166:167]
	s_delay_alu instid0(VALU_DEP_1) | instskip(NEXT) | instid1(VALU_DEP_1)
	v_fma_f64 v[168:169], -v[164:165], v[166:167], 1.0
	v_fma_f64 v[166:167], v[166:167], v[168:169], v[166:167]
	s_delay_alu instid0(VALU_DEP_1) | instskip(NEXT) | instid1(VALU_DEP_1)
	v_mul_f64 v[168:169], v[170:171], v[166:167]
	v_fma_f64 v[164:165], -v[164:165], v[168:169], v[170:171]
	s_delay_alu instid0(VALU_DEP_1) | instskip(NEXT) | instid1(VALU_DEP_1)
	v_div_fmas_f64 v[164:165], v[164:165], v[166:167], v[168:169]
	v_div_fixup_f64 v[164:165], v[164:165], v[162:163], v[160:161]
	s_delay_alu instid0(VALU_DEP_1) | instskip(NEXT) | instid1(VALU_DEP_1)
	v_fma_f64 v[160:161], v[160:161], v[164:165], v[162:163]
	v_div_scale_f64 v[162:163], null, v[160:161], v[160:161], 1.0
	s_delay_alu instid0(VALU_DEP_1) | instskip(SKIP_2) | instid1(VALU_DEP_1)
	v_rcp_f64_e32 v[166:167], v[162:163]
	s_waitcnt_depctr 0xfff
	v_fma_f64 v[168:169], -v[162:163], v[166:167], 1.0
	v_fma_f64 v[166:167], v[166:167], v[168:169], v[166:167]
	s_delay_alu instid0(VALU_DEP_1) | instskip(NEXT) | instid1(VALU_DEP_1)
	v_fma_f64 v[168:169], -v[162:163], v[166:167], 1.0
	v_fma_f64 v[166:167], v[166:167], v[168:169], v[166:167]
	v_div_scale_f64 v[168:169], vcc_lo, 1.0, v[160:161], 1.0
	s_delay_alu instid0(VALU_DEP_1) | instskip(NEXT) | instid1(VALU_DEP_1)
	v_mul_f64 v[170:171], v[168:169], v[166:167]
	v_fma_f64 v[162:163], -v[162:163], v[170:171], v[168:169]
	s_delay_alu instid0(VALU_DEP_1) | instskip(NEXT) | instid1(VALU_DEP_1)
	v_div_fmas_f64 v[162:163], v[162:163], v[166:167], v[170:171]
	v_div_fixup_f64 v[166:167], v[162:163], v[160:161], 1.0
                                        ; implicit-def: $vgpr160_vgpr161
	s_delay_alu instid0(VALU_DEP_1)
	v_mul_f64 v[168:169], v[164:165], v[166:167]
	v_xor_b32_e32 v167, 0x80000000, v167
.LBB79_212:
	s_and_not1_saveexec_b32 s3, s3
	s_cbranch_execz .LBB79_214
; %bb.213:
	v_div_scale_f64 v[164:165], null, v[160:161], v[160:161], v[162:163]
	v_div_scale_f64 v[170:171], vcc_lo, v[162:163], v[160:161], v[162:163]
	s_delay_alu instid0(VALU_DEP_2) | instskip(SKIP_2) | instid1(VALU_DEP_1)
	v_rcp_f64_e32 v[166:167], v[164:165]
	s_waitcnt_depctr 0xfff
	v_fma_f64 v[168:169], -v[164:165], v[166:167], 1.0
	v_fma_f64 v[166:167], v[166:167], v[168:169], v[166:167]
	s_delay_alu instid0(VALU_DEP_1) | instskip(NEXT) | instid1(VALU_DEP_1)
	v_fma_f64 v[168:169], -v[164:165], v[166:167], 1.0
	v_fma_f64 v[166:167], v[166:167], v[168:169], v[166:167]
	s_delay_alu instid0(VALU_DEP_1) | instskip(NEXT) | instid1(VALU_DEP_1)
	v_mul_f64 v[168:169], v[170:171], v[166:167]
	v_fma_f64 v[164:165], -v[164:165], v[168:169], v[170:171]
	s_delay_alu instid0(VALU_DEP_1) | instskip(NEXT) | instid1(VALU_DEP_1)
	v_div_fmas_f64 v[164:165], v[164:165], v[166:167], v[168:169]
	v_div_fixup_f64 v[164:165], v[164:165], v[160:161], v[162:163]
	s_delay_alu instid0(VALU_DEP_1) | instskip(NEXT) | instid1(VALU_DEP_1)
	v_fma_f64 v[160:161], v[162:163], v[164:165], v[160:161]
	v_div_scale_f64 v[162:163], null, v[160:161], v[160:161], 1.0
	s_delay_alu instid0(VALU_DEP_1) | instskip(SKIP_2) | instid1(VALU_DEP_1)
	v_rcp_f64_e32 v[166:167], v[162:163]
	s_waitcnt_depctr 0xfff
	v_fma_f64 v[168:169], -v[162:163], v[166:167], 1.0
	v_fma_f64 v[166:167], v[166:167], v[168:169], v[166:167]
	s_delay_alu instid0(VALU_DEP_1) | instskip(NEXT) | instid1(VALU_DEP_1)
	v_fma_f64 v[168:169], -v[162:163], v[166:167], 1.0
	v_fma_f64 v[166:167], v[166:167], v[168:169], v[166:167]
	v_div_scale_f64 v[168:169], vcc_lo, 1.0, v[160:161], 1.0
	s_delay_alu instid0(VALU_DEP_1) | instskip(NEXT) | instid1(VALU_DEP_1)
	v_mul_f64 v[170:171], v[168:169], v[166:167]
	v_fma_f64 v[162:163], -v[162:163], v[170:171], v[168:169]
	s_delay_alu instid0(VALU_DEP_1) | instskip(NEXT) | instid1(VALU_DEP_1)
	v_div_fmas_f64 v[162:163], v[162:163], v[166:167], v[170:171]
	v_div_fixup_f64 v[168:169], v[162:163], v[160:161], 1.0
	s_delay_alu instid0(VALU_DEP_1)
	v_mul_f64 v[166:167], v[164:165], -v[168:169]
.LBB79_214:
	s_or_b32 exec_lo, exec_lo, s3
	ds_store_2addr_b64 v227, v[168:169], v[166:167] offset1:1
.LBB79_215:
	s_or_b32 exec_lo, exec_lo, s4
	s_waitcnt lgkmcnt(0)
	s_barrier
	buffer_gl0_inv
	ds_load_2addr_b64 v[160:163], v227 offset1:1
	s_mov_b32 s3, exec_lo
	s_waitcnt lgkmcnt(0)
	scratch_store_b128 off, v[160:163], off offset:608 ; 16-byte Folded Spill
	v_cmpx_lt_u32_e32 23, v226
	s_cbranch_execz .LBB79_217
; %bb.216:
	scratch_load_b128 v[162:165], off, off offset:608 ; 16-byte Folded Reload
	s_waitcnt vmcnt(0)
	v_mul_f64 v[160:161], v[162:163], v[66:67]
	v_mul_f64 v[66:67], v[164:165], v[66:67]
	s_delay_alu instid0(VALU_DEP_2) | instskip(NEXT) | instid1(VALU_DEP_2)
	v_fma_f64 v[160:161], v[164:165], v[64:65], v[160:161]
	v_fma_f64 v[64:65], v[162:163], v[64:65], -v[66:67]
	ds_load_2addr_b64 v[162:165], v228 offset0:48 offset1:49
	s_waitcnt lgkmcnt(0)
	v_mul_f64 v[66:67], v[164:165], v[160:161]
	s_delay_alu instid0(VALU_DEP_1) | instskip(SKIP_1) | instid1(VALU_DEP_2)
	v_fma_f64 v[66:67], v[162:163], v[64:65], -v[66:67]
	v_mul_f64 v[162:163], v[162:163], v[160:161]
	v_add_f64 v[60:61], v[60:61], -v[66:67]
	s_delay_alu instid0(VALU_DEP_2) | instskip(NEXT) | instid1(VALU_DEP_1)
	v_fma_f64 v[162:163], v[164:165], v[64:65], v[162:163]
	v_add_f64 v[62:63], v[62:63], -v[162:163]
	ds_load_2addr_b64 v[162:165], v228 offset0:50 offset1:51
	s_waitcnt lgkmcnt(0)
	v_mul_f64 v[66:67], v[164:165], v[160:161]
	s_delay_alu instid0(VALU_DEP_1) | instskip(SKIP_1) | instid1(VALU_DEP_2)
	v_fma_f64 v[66:67], v[162:163], v[64:65], -v[66:67]
	v_mul_f64 v[162:163], v[162:163], v[160:161]
	v_add_f64 v[56:57], v[56:57], -v[66:67]
	s_delay_alu instid0(VALU_DEP_2) | instskip(NEXT) | instid1(VALU_DEP_1)
	v_fma_f64 v[162:163], v[164:165], v[64:65], v[162:163]
	v_add_f64 v[58:59], v[58:59], -v[162:163]
	;; [unrolled: 10-line block ×15, first 2 shown]
	ds_load_2addr_b64 v[162:165], v228 offset0:78 offset1:79
	s_waitcnt lgkmcnt(0)
	v_mul_f64 v[66:67], v[164:165], v[160:161]
	s_delay_alu instid0(VALU_DEP_1) | instskip(SKIP_1) | instid1(VALU_DEP_2)
	v_fma_f64 v[66:67], v[162:163], v[64:65], -v[66:67]
	v_mul_f64 v[162:163], v[162:163], v[160:161]
	v_add_f64 v[0:1], v[0:1], -v[66:67]
	s_delay_alu instid0(VALU_DEP_2) | instskip(SKIP_1) | instid1(VALU_DEP_2)
	v_fma_f64 v[162:163], v[164:165], v[64:65], v[162:163]
	v_dual_mov_b32 v66, v160 :: v_dual_mov_b32 v67, v161
	v_add_f64 v[2:3], v[2:3], -v[162:163]
.LBB79_217:
	s_or_b32 exec_lo, exec_lo, s3
	s_delay_alu instid0(SALU_CYCLE_1)
	s_mov_b32 s4, exec_lo
	s_waitcnt_vscnt null, 0x0
	s_barrier
	buffer_gl0_inv
	v_cmpx_eq_u32_e32 24, v226
	s_cbranch_execz .LBB79_224
; %bb.218:
	ds_store_2addr_b64 v227, v[60:61], v[62:63] offset1:1
	ds_store_2addr_b64 v228, v[56:57], v[58:59] offset0:50 offset1:51
	ds_store_2addr_b64 v228, v[52:53], v[54:55] offset0:52 offset1:53
	;; [unrolled: 1-line block ×15, first 2 shown]
	ds_load_2addr_b64 v[160:163], v227 offset1:1
	s_waitcnt lgkmcnt(0)
	v_cmp_neq_f64_e32 vcc_lo, 0, v[160:161]
	v_cmp_neq_f64_e64 s3, 0, v[162:163]
	s_delay_alu instid0(VALU_DEP_1) | instskip(NEXT) | instid1(SALU_CYCLE_1)
	s_or_b32 s3, vcc_lo, s3
	s_and_b32 exec_lo, exec_lo, s3
	s_cbranch_execz .LBB79_224
; %bb.219:
	v_cmp_gt_f64_e32 vcc_lo, 0, v[160:161]
	v_xor_b32_e32 v164, 0x80000000, v161
	v_xor_b32_e32 v166, 0x80000000, v163
	s_mov_b32 s3, exec_lo
                                        ; implicit-def: $vgpr168_vgpr169
	s_delay_alu instid0(VALU_DEP_2) | instskip(SKIP_4) | instid1(VALU_DEP_1)
	v_cndmask_b32_e32 v165, v161, v164, vcc_lo
	v_cndmask_b32_e32 v164, v160, v160, vcc_lo
	v_cmp_gt_f64_e32 vcc_lo, 0, v[162:163]
	v_cndmask_b32_e32 v167, v163, v166, vcc_lo
	v_cndmask_b32_e32 v166, v162, v162, vcc_lo
	v_cmpx_ngt_f64_e32 v[164:165], v[166:167]
	s_xor_b32 s3, exec_lo, s3
                                        ; implicit-def: $vgpr164_vgpr165_vgpr166_vgpr167
	s_cbranch_execz .LBB79_221
; %bb.220:
	v_div_scale_f64 v[164:165], null, v[162:163], v[162:163], v[160:161]
	v_div_scale_f64 v[170:171], vcc_lo, v[160:161], v[162:163], v[160:161]
	s_delay_alu instid0(VALU_DEP_2) | instskip(SKIP_2) | instid1(VALU_DEP_1)
	v_rcp_f64_e32 v[166:167], v[164:165]
	s_waitcnt_depctr 0xfff
	v_fma_f64 v[168:169], -v[164:165], v[166:167], 1.0
	v_fma_f64 v[166:167], v[166:167], v[168:169], v[166:167]
	s_delay_alu instid0(VALU_DEP_1) | instskip(NEXT) | instid1(VALU_DEP_1)
	v_fma_f64 v[168:169], -v[164:165], v[166:167], 1.0
	v_fma_f64 v[166:167], v[166:167], v[168:169], v[166:167]
	s_delay_alu instid0(VALU_DEP_1) | instskip(NEXT) | instid1(VALU_DEP_1)
	v_mul_f64 v[168:169], v[170:171], v[166:167]
	v_fma_f64 v[164:165], -v[164:165], v[168:169], v[170:171]
	s_delay_alu instid0(VALU_DEP_1) | instskip(NEXT) | instid1(VALU_DEP_1)
	v_div_fmas_f64 v[164:165], v[164:165], v[166:167], v[168:169]
	v_div_fixup_f64 v[164:165], v[164:165], v[162:163], v[160:161]
	s_delay_alu instid0(VALU_DEP_1) | instskip(NEXT) | instid1(VALU_DEP_1)
	v_fma_f64 v[160:161], v[160:161], v[164:165], v[162:163]
	v_div_scale_f64 v[162:163], null, v[160:161], v[160:161], 1.0
	s_delay_alu instid0(VALU_DEP_1) | instskip(SKIP_2) | instid1(VALU_DEP_1)
	v_rcp_f64_e32 v[166:167], v[162:163]
	s_waitcnt_depctr 0xfff
	v_fma_f64 v[168:169], -v[162:163], v[166:167], 1.0
	v_fma_f64 v[166:167], v[166:167], v[168:169], v[166:167]
	s_delay_alu instid0(VALU_DEP_1) | instskip(NEXT) | instid1(VALU_DEP_1)
	v_fma_f64 v[168:169], -v[162:163], v[166:167], 1.0
	v_fma_f64 v[166:167], v[166:167], v[168:169], v[166:167]
	v_div_scale_f64 v[168:169], vcc_lo, 1.0, v[160:161], 1.0
	s_delay_alu instid0(VALU_DEP_1) | instskip(NEXT) | instid1(VALU_DEP_1)
	v_mul_f64 v[170:171], v[168:169], v[166:167]
	v_fma_f64 v[162:163], -v[162:163], v[170:171], v[168:169]
	s_delay_alu instid0(VALU_DEP_1) | instskip(NEXT) | instid1(VALU_DEP_1)
	v_div_fmas_f64 v[162:163], v[162:163], v[166:167], v[170:171]
	v_div_fixup_f64 v[166:167], v[162:163], v[160:161], 1.0
                                        ; implicit-def: $vgpr160_vgpr161
	s_delay_alu instid0(VALU_DEP_1)
	v_mul_f64 v[168:169], v[164:165], v[166:167]
	v_xor_b32_e32 v167, 0x80000000, v167
.LBB79_221:
	s_and_not1_saveexec_b32 s3, s3
	s_cbranch_execz .LBB79_223
; %bb.222:
	v_div_scale_f64 v[164:165], null, v[160:161], v[160:161], v[162:163]
	v_div_scale_f64 v[170:171], vcc_lo, v[162:163], v[160:161], v[162:163]
	s_delay_alu instid0(VALU_DEP_2) | instskip(SKIP_2) | instid1(VALU_DEP_1)
	v_rcp_f64_e32 v[166:167], v[164:165]
	s_waitcnt_depctr 0xfff
	v_fma_f64 v[168:169], -v[164:165], v[166:167], 1.0
	v_fma_f64 v[166:167], v[166:167], v[168:169], v[166:167]
	s_delay_alu instid0(VALU_DEP_1) | instskip(NEXT) | instid1(VALU_DEP_1)
	v_fma_f64 v[168:169], -v[164:165], v[166:167], 1.0
	v_fma_f64 v[166:167], v[166:167], v[168:169], v[166:167]
	s_delay_alu instid0(VALU_DEP_1) | instskip(NEXT) | instid1(VALU_DEP_1)
	v_mul_f64 v[168:169], v[170:171], v[166:167]
	v_fma_f64 v[164:165], -v[164:165], v[168:169], v[170:171]
	s_delay_alu instid0(VALU_DEP_1) | instskip(NEXT) | instid1(VALU_DEP_1)
	v_div_fmas_f64 v[164:165], v[164:165], v[166:167], v[168:169]
	v_div_fixup_f64 v[164:165], v[164:165], v[160:161], v[162:163]
	s_delay_alu instid0(VALU_DEP_1) | instskip(NEXT) | instid1(VALU_DEP_1)
	v_fma_f64 v[160:161], v[162:163], v[164:165], v[160:161]
	v_div_scale_f64 v[162:163], null, v[160:161], v[160:161], 1.0
	s_delay_alu instid0(VALU_DEP_1) | instskip(SKIP_2) | instid1(VALU_DEP_1)
	v_rcp_f64_e32 v[166:167], v[162:163]
	s_waitcnt_depctr 0xfff
	v_fma_f64 v[168:169], -v[162:163], v[166:167], 1.0
	v_fma_f64 v[166:167], v[166:167], v[168:169], v[166:167]
	s_delay_alu instid0(VALU_DEP_1) | instskip(NEXT) | instid1(VALU_DEP_1)
	v_fma_f64 v[168:169], -v[162:163], v[166:167], 1.0
	v_fma_f64 v[166:167], v[166:167], v[168:169], v[166:167]
	v_div_scale_f64 v[168:169], vcc_lo, 1.0, v[160:161], 1.0
	s_delay_alu instid0(VALU_DEP_1) | instskip(NEXT) | instid1(VALU_DEP_1)
	v_mul_f64 v[170:171], v[168:169], v[166:167]
	v_fma_f64 v[162:163], -v[162:163], v[170:171], v[168:169]
	s_delay_alu instid0(VALU_DEP_1) | instskip(NEXT) | instid1(VALU_DEP_1)
	v_div_fmas_f64 v[162:163], v[162:163], v[166:167], v[170:171]
	v_div_fixup_f64 v[168:169], v[162:163], v[160:161], 1.0
	s_delay_alu instid0(VALU_DEP_1)
	v_mul_f64 v[166:167], v[164:165], -v[168:169]
.LBB79_223:
	s_or_b32 exec_lo, exec_lo, s3
	ds_store_2addr_b64 v227, v[168:169], v[166:167] offset1:1
.LBB79_224:
	s_or_b32 exec_lo, exec_lo, s4
	s_waitcnt lgkmcnt(0)
	s_barrier
	buffer_gl0_inv
	ds_load_2addr_b64 v[160:163], v227 offset1:1
	s_mov_b32 s3, exec_lo
	s_waitcnt lgkmcnt(0)
	scratch_store_b128 off, v[160:163], off offset:624 ; 16-byte Folded Spill
	v_cmpx_lt_u32_e32 24, v226
	s_cbranch_execz .LBB79_226
; %bb.225:
	scratch_load_b128 v[160:163], off, off offset:624 ; 16-byte Folded Reload
	ds_load_2addr_b64 v[166:169], v228 offset0:50 offset1:51
	s_waitcnt vmcnt(0)
	v_mul_f64 v[164:165], v[160:161], v[62:63]
	v_mul_f64 v[62:63], v[162:163], v[62:63]
	s_delay_alu instid0(VALU_DEP_2) | instskip(NEXT) | instid1(VALU_DEP_2)
	v_fma_f64 v[164:165], v[162:163], v[60:61], v[164:165]
	v_fma_f64 v[60:61], v[160:161], v[60:61], -v[62:63]
	s_waitcnt lgkmcnt(0)
	s_delay_alu instid0(VALU_DEP_2) | instskip(NEXT) | instid1(VALU_DEP_1)
	v_mul_f64 v[62:63], v[168:169], v[164:165]
	v_fma_f64 v[62:63], v[166:167], v[60:61], -v[62:63]
	v_mul_f64 v[166:167], v[166:167], v[164:165]
	s_delay_alu instid0(VALU_DEP_2) | instskip(NEXT) | instid1(VALU_DEP_2)
	v_add_f64 v[56:57], v[56:57], -v[62:63]
	v_fma_f64 v[166:167], v[168:169], v[60:61], v[166:167]
	s_delay_alu instid0(VALU_DEP_1) | instskip(SKIP_3) | instid1(VALU_DEP_1)
	v_add_f64 v[58:59], v[58:59], -v[166:167]
	ds_load_2addr_b64 v[166:169], v228 offset0:52 offset1:53
	s_waitcnt lgkmcnt(0)
	v_mul_f64 v[62:63], v[168:169], v[164:165]
	v_fma_f64 v[62:63], v[166:167], v[60:61], -v[62:63]
	v_mul_f64 v[166:167], v[166:167], v[164:165]
	s_delay_alu instid0(VALU_DEP_2) | instskip(NEXT) | instid1(VALU_DEP_2)
	v_add_f64 v[52:53], v[52:53], -v[62:63]
	v_fma_f64 v[166:167], v[168:169], v[60:61], v[166:167]
	s_delay_alu instid0(VALU_DEP_1) | instskip(SKIP_3) | instid1(VALU_DEP_1)
	v_add_f64 v[54:55], v[54:55], -v[166:167]
	ds_load_2addr_b64 v[166:169], v228 offset0:54 offset1:55
	s_waitcnt lgkmcnt(0)
	;; [unrolled: 10-line block ×14, first 2 shown]
	v_mul_f64 v[62:63], v[168:169], v[164:165]
	v_fma_f64 v[62:63], v[166:167], v[60:61], -v[62:63]
	v_mul_f64 v[166:167], v[166:167], v[164:165]
	s_delay_alu instid0(VALU_DEP_2) | instskip(NEXT) | instid1(VALU_DEP_2)
	v_add_f64 v[0:1], v[0:1], -v[62:63]
	v_fma_f64 v[166:167], v[168:169], v[60:61], v[166:167]
	v_dual_mov_b32 v62, v164 :: v_dual_mov_b32 v63, v165
	s_delay_alu instid0(VALU_DEP_2)
	v_add_f64 v[2:3], v[2:3], -v[166:167]
.LBB79_226:
	s_or_b32 exec_lo, exec_lo, s3
	s_delay_alu instid0(SALU_CYCLE_1)
	s_mov_b32 s4, exec_lo
	s_waitcnt_vscnt null, 0x0
	s_barrier
	buffer_gl0_inv
	v_cmpx_eq_u32_e32 25, v226
	s_cbranch_execz .LBB79_233
; %bb.227:
	ds_store_2addr_b64 v227, v[56:57], v[58:59] offset1:1
	ds_store_2addr_b64 v228, v[52:53], v[54:55] offset0:52 offset1:53
	ds_store_2addr_b64 v228, v[48:49], v[50:51] offset0:54 offset1:55
	;; [unrolled: 1-line block ×14, first 2 shown]
	ds_load_2addr_b64 v[164:167], v227 offset1:1
	s_waitcnt lgkmcnt(0)
	v_cmp_neq_f64_e32 vcc_lo, 0, v[164:165]
	v_cmp_neq_f64_e64 s3, 0, v[166:167]
	s_delay_alu instid0(VALU_DEP_1) | instskip(NEXT) | instid1(SALU_CYCLE_1)
	s_or_b32 s3, vcc_lo, s3
	s_and_b32 exec_lo, exec_lo, s3
	s_cbranch_execz .LBB79_233
; %bb.228:
	v_cmp_gt_f64_e32 vcc_lo, 0, v[164:165]
	v_xor_b32_e32 v168, 0x80000000, v165
	v_xor_b32_e32 v170, 0x80000000, v167
	s_mov_b32 s3, exec_lo
                                        ; implicit-def: $vgpr172_vgpr173
	s_delay_alu instid0(VALU_DEP_2) | instskip(SKIP_4) | instid1(VALU_DEP_1)
	v_cndmask_b32_e32 v169, v165, v168, vcc_lo
	v_cndmask_b32_e32 v168, v164, v164, vcc_lo
	v_cmp_gt_f64_e32 vcc_lo, 0, v[166:167]
	v_cndmask_b32_e32 v171, v167, v170, vcc_lo
	v_cndmask_b32_e32 v170, v166, v166, vcc_lo
	v_cmpx_ngt_f64_e32 v[168:169], v[170:171]
	s_xor_b32 s3, exec_lo, s3
                                        ; implicit-def: $vgpr168_vgpr169_vgpr170_vgpr171
	s_cbranch_execz .LBB79_230
; %bb.229:
	v_div_scale_f64 v[168:169], null, v[166:167], v[166:167], v[164:165]
	v_div_scale_f64 v[174:175], vcc_lo, v[164:165], v[166:167], v[164:165]
	s_delay_alu instid0(VALU_DEP_2) | instskip(SKIP_2) | instid1(VALU_DEP_1)
	v_rcp_f64_e32 v[170:171], v[168:169]
	s_waitcnt_depctr 0xfff
	v_fma_f64 v[172:173], -v[168:169], v[170:171], 1.0
	v_fma_f64 v[170:171], v[170:171], v[172:173], v[170:171]
	s_delay_alu instid0(VALU_DEP_1) | instskip(NEXT) | instid1(VALU_DEP_1)
	v_fma_f64 v[172:173], -v[168:169], v[170:171], 1.0
	v_fma_f64 v[170:171], v[170:171], v[172:173], v[170:171]
	s_delay_alu instid0(VALU_DEP_1) | instskip(NEXT) | instid1(VALU_DEP_1)
	v_mul_f64 v[172:173], v[174:175], v[170:171]
	v_fma_f64 v[168:169], -v[168:169], v[172:173], v[174:175]
	s_delay_alu instid0(VALU_DEP_1) | instskip(NEXT) | instid1(VALU_DEP_1)
	v_div_fmas_f64 v[168:169], v[168:169], v[170:171], v[172:173]
	v_div_fixup_f64 v[168:169], v[168:169], v[166:167], v[164:165]
	s_delay_alu instid0(VALU_DEP_1) | instskip(NEXT) | instid1(VALU_DEP_1)
	v_fma_f64 v[164:165], v[164:165], v[168:169], v[166:167]
	v_div_scale_f64 v[166:167], null, v[164:165], v[164:165], 1.0
	s_delay_alu instid0(VALU_DEP_1) | instskip(SKIP_2) | instid1(VALU_DEP_1)
	v_rcp_f64_e32 v[170:171], v[166:167]
	s_waitcnt_depctr 0xfff
	v_fma_f64 v[172:173], -v[166:167], v[170:171], 1.0
	v_fma_f64 v[170:171], v[170:171], v[172:173], v[170:171]
	s_delay_alu instid0(VALU_DEP_1) | instskip(NEXT) | instid1(VALU_DEP_1)
	v_fma_f64 v[172:173], -v[166:167], v[170:171], 1.0
	v_fma_f64 v[170:171], v[170:171], v[172:173], v[170:171]
	v_div_scale_f64 v[172:173], vcc_lo, 1.0, v[164:165], 1.0
	s_delay_alu instid0(VALU_DEP_1) | instskip(NEXT) | instid1(VALU_DEP_1)
	v_mul_f64 v[174:175], v[172:173], v[170:171]
	v_fma_f64 v[166:167], -v[166:167], v[174:175], v[172:173]
	s_delay_alu instid0(VALU_DEP_1) | instskip(NEXT) | instid1(VALU_DEP_1)
	v_div_fmas_f64 v[166:167], v[166:167], v[170:171], v[174:175]
	v_div_fixup_f64 v[170:171], v[166:167], v[164:165], 1.0
                                        ; implicit-def: $vgpr164_vgpr165
	s_delay_alu instid0(VALU_DEP_1)
	v_mul_f64 v[172:173], v[168:169], v[170:171]
	v_xor_b32_e32 v171, 0x80000000, v171
.LBB79_230:
	s_and_not1_saveexec_b32 s3, s3
	s_cbranch_execz .LBB79_232
; %bb.231:
	v_div_scale_f64 v[168:169], null, v[164:165], v[164:165], v[166:167]
	v_div_scale_f64 v[174:175], vcc_lo, v[166:167], v[164:165], v[166:167]
	s_delay_alu instid0(VALU_DEP_2) | instskip(SKIP_2) | instid1(VALU_DEP_1)
	v_rcp_f64_e32 v[170:171], v[168:169]
	s_waitcnt_depctr 0xfff
	v_fma_f64 v[172:173], -v[168:169], v[170:171], 1.0
	v_fma_f64 v[170:171], v[170:171], v[172:173], v[170:171]
	s_delay_alu instid0(VALU_DEP_1) | instskip(NEXT) | instid1(VALU_DEP_1)
	v_fma_f64 v[172:173], -v[168:169], v[170:171], 1.0
	v_fma_f64 v[170:171], v[170:171], v[172:173], v[170:171]
	s_delay_alu instid0(VALU_DEP_1) | instskip(NEXT) | instid1(VALU_DEP_1)
	v_mul_f64 v[172:173], v[174:175], v[170:171]
	v_fma_f64 v[168:169], -v[168:169], v[172:173], v[174:175]
	s_delay_alu instid0(VALU_DEP_1) | instskip(NEXT) | instid1(VALU_DEP_1)
	v_div_fmas_f64 v[168:169], v[168:169], v[170:171], v[172:173]
	v_div_fixup_f64 v[168:169], v[168:169], v[164:165], v[166:167]
	s_delay_alu instid0(VALU_DEP_1) | instskip(NEXT) | instid1(VALU_DEP_1)
	v_fma_f64 v[164:165], v[166:167], v[168:169], v[164:165]
	v_div_scale_f64 v[166:167], null, v[164:165], v[164:165], 1.0
	s_delay_alu instid0(VALU_DEP_1) | instskip(SKIP_2) | instid1(VALU_DEP_1)
	v_rcp_f64_e32 v[170:171], v[166:167]
	s_waitcnt_depctr 0xfff
	v_fma_f64 v[172:173], -v[166:167], v[170:171], 1.0
	v_fma_f64 v[170:171], v[170:171], v[172:173], v[170:171]
	s_delay_alu instid0(VALU_DEP_1) | instskip(NEXT) | instid1(VALU_DEP_1)
	v_fma_f64 v[172:173], -v[166:167], v[170:171], 1.0
	v_fma_f64 v[170:171], v[170:171], v[172:173], v[170:171]
	v_div_scale_f64 v[172:173], vcc_lo, 1.0, v[164:165], 1.0
	s_delay_alu instid0(VALU_DEP_1) | instskip(NEXT) | instid1(VALU_DEP_1)
	v_mul_f64 v[174:175], v[172:173], v[170:171]
	v_fma_f64 v[166:167], -v[166:167], v[174:175], v[172:173]
	s_delay_alu instid0(VALU_DEP_1) | instskip(NEXT) | instid1(VALU_DEP_1)
	v_div_fmas_f64 v[166:167], v[166:167], v[170:171], v[174:175]
	v_div_fixup_f64 v[172:173], v[166:167], v[164:165], 1.0
	s_delay_alu instid0(VALU_DEP_1)
	v_mul_f64 v[170:171], v[168:169], -v[172:173]
.LBB79_232:
	s_or_b32 exec_lo, exec_lo, s3
	ds_store_2addr_b64 v227, v[172:173], v[170:171] offset1:1
.LBB79_233:
	s_or_b32 exec_lo, exec_lo, s4
	s_waitcnt lgkmcnt(0)
	s_barrier
	buffer_gl0_inv
	ds_load_2addr_b64 v[164:167], v227 offset1:1
	s_mov_b32 s3, exec_lo
	v_cmpx_lt_u32_e32 25, v226
	s_cbranch_execz .LBB79_235
; %bb.234:
	s_waitcnt lgkmcnt(0)
	v_mul_f64 v[168:169], v[164:165], v[58:59]
	v_mul_f64 v[58:59], v[166:167], v[58:59]
	ds_load_2addr_b64 v[170:173], v228 offset0:52 offset1:53
	v_fma_f64 v[168:169], v[166:167], v[56:57], v[168:169]
	v_fma_f64 v[56:57], v[164:165], v[56:57], -v[58:59]
	s_waitcnt lgkmcnt(0)
	s_delay_alu instid0(VALU_DEP_2) | instskip(NEXT) | instid1(VALU_DEP_1)
	v_mul_f64 v[58:59], v[172:173], v[168:169]
	v_fma_f64 v[58:59], v[170:171], v[56:57], -v[58:59]
	v_mul_f64 v[170:171], v[170:171], v[168:169]
	s_delay_alu instid0(VALU_DEP_2) | instskip(NEXT) | instid1(VALU_DEP_2)
	v_add_f64 v[52:53], v[52:53], -v[58:59]
	v_fma_f64 v[170:171], v[172:173], v[56:57], v[170:171]
	s_delay_alu instid0(VALU_DEP_1) | instskip(SKIP_3) | instid1(VALU_DEP_1)
	v_add_f64 v[54:55], v[54:55], -v[170:171]
	ds_load_2addr_b64 v[170:173], v228 offset0:54 offset1:55
	s_waitcnt lgkmcnt(0)
	v_mul_f64 v[58:59], v[172:173], v[168:169]
	v_fma_f64 v[58:59], v[170:171], v[56:57], -v[58:59]
	v_mul_f64 v[170:171], v[170:171], v[168:169]
	s_delay_alu instid0(VALU_DEP_2) | instskip(NEXT) | instid1(VALU_DEP_2)
	v_add_f64 v[48:49], v[48:49], -v[58:59]
	v_fma_f64 v[170:171], v[172:173], v[56:57], v[170:171]
	s_delay_alu instid0(VALU_DEP_1) | instskip(SKIP_3) | instid1(VALU_DEP_1)
	v_add_f64 v[50:51], v[50:51], -v[170:171]
	ds_load_2addr_b64 v[170:173], v228 offset0:56 offset1:57
	s_waitcnt lgkmcnt(0)
	v_mul_f64 v[58:59], v[172:173], v[168:169]
	v_fma_f64 v[58:59], v[170:171], v[56:57], -v[58:59]
	v_mul_f64 v[170:171], v[170:171], v[168:169]
	s_delay_alu instid0(VALU_DEP_2) | instskip(NEXT) | instid1(VALU_DEP_2)
	v_add_f64 v[44:45], v[44:45], -v[58:59]
	v_fma_f64 v[170:171], v[172:173], v[56:57], v[170:171]
	s_delay_alu instid0(VALU_DEP_1) | instskip(SKIP_3) | instid1(VALU_DEP_1)
	v_add_f64 v[46:47], v[46:47], -v[170:171]
	ds_load_2addr_b64 v[170:173], v228 offset0:58 offset1:59
	s_waitcnt lgkmcnt(0)
	v_mul_f64 v[58:59], v[172:173], v[168:169]
	v_fma_f64 v[58:59], v[170:171], v[56:57], -v[58:59]
	v_mul_f64 v[170:171], v[170:171], v[168:169]
	s_delay_alu instid0(VALU_DEP_2) | instskip(NEXT) | instid1(VALU_DEP_2)
	v_add_f64 v[40:41], v[40:41], -v[58:59]
	v_fma_f64 v[170:171], v[172:173], v[56:57], v[170:171]
	s_delay_alu instid0(VALU_DEP_1) | instskip(SKIP_3) | instid1(VALU_DEP_1)
	v_add_f64 v[42:43], v[42:43], -v[170:171]
	ds_load_2addr_b64 v[170:173], v228 offset0:60 offset1:61
	s_waitcnt lgkmcnt(0)
	v_mul_f64 v[58:59], v[172:173], v[168:169]
	v_fma_f64 v[58:59], v[170:171], v[56:57], -v[58:59]
	v_mul_f64 v[170:171], v[170:171], v[168:169]
	s_delay_alu instid0(VALU_DEP_2) | instskip(NEXT) | instid1(VALU_DEP_2)
	v_add_f64 v[36:37], v[36:37], -v[58:59]
	v_fma_f64 v[170:171], v[172:173], v[56:57], v[170:171]
	s_delay_alu instid0(VALU_DEP_1) | instskip(SKIP_3) | instid1(VALU_DEP_1)
	v_add_f64 v[38:39], v[38:39], -v[170:171]
	ds_load_2addr_b64 v[170:173], v228 offset0:62 offset1:63
	s_waitcnt lgkmcnt(0)
	v_mul_f64 v[58:59], v[172:173], v[168:169]
	v_fma_f64 v[58:59], v[170:171], v[56:57], -v[58:59]
	v_mul_f64 v[170:171], v[170:171], v[168:169]
	s_delay_alu instid0(VALU_DEP_2) | instskip(NEXT) | instid1(VALU_DEP_2)
	v_add_f64 v[32:33], v[32:33], -v[58:59]
	v_fma_f64 v[170:171], v[172:173], v[56:57], v[170:171]
	s_delay_alu instid0(VALU_DEP_1) | instskip(SKIP_3) | instid1(VALU_DEP_1)
	v_add_f64 v[34:35], v[34:35], -v[170:171]
	ds_load_2addr_b64 v[170:173], v228 offset0:64 offset1:65
	s_waitcnt lgkmcnt(0)
	v_mul_f64 v[58:59], v[172:173], v[168:169]
	v_fma_f64 v[58:59], v[170:171], v[56:57], -v[58:59]
	v_mul_f64 v[170:171], v[170:171], v[168:169]
	s_delay_alu instid0(VALU_DEP_2) | instskip(NEXT) | instid1(VALU_DEP_2)
	v_add_f64 v[28:29], v[28:29], -v[58:59]
	v_fma_f64 v[170:171], v[172:173], v[56:57], v[170:171]
	s_delay_alu instid0(VALU_DEP_1) | instskip(SKIP_3) | instid1(VALU_DEP_1)
	v_add_f64 v[30:31], v[30:31], -v[170:171]
	ds_load_2addr_b64 v[170:173], v228 offset0:66 offset1:67
	s_waitcnt lgkmcnt(0)
	v_mul_f64 v[58:59], v[172:173], v[168:169]
	v_fma_f64 v[58:59], v[170:171], v[56:57], -v[58:59]
	v_mul_f64 v[170:171], v[170:171], v[168:169]
	s_delay_alu instid0(VALU_DEP_2) | instskip(NEXT) | instid1(VALU_DEP_2)
	v_add_f64 v[24:25], v[24:25], -v[58:59]
	v_fma_f64 v[170:171], v[172:173], v[56:57], v[170:171]
	s_delay_alu instid0(VALU_DEP_1) | instskip(SKIP_3) | instid1(VALU_DEP_1)
	v_add_f64 v[26:27], v[26:27], -v[170:171]
	ds_load_2addr_b64 v[170:173], v228 offset0:68 offset1:69
	s_waitcnt lgkmcnt(0)
	v_mul_f64 v[58:59], v[172:173], v[168:169]
	v_fma_f64 v[58:59], v[170:171], v[56:57], -v[58:59]
	v_mul_f64 v[170:171], v[170:171], v[168:169]
	s_delay_alu instid0(VALU_DEP_2) | instskip(NEXT) | instid1(VALU_DEP_2)
	v_add_f64 v[20:21], v[20:21], -v[58:59]
	v_fma_f64 v[170:171], v[172:173], v[56:57], v[170:171]
	s_delay_alu instid0(VALU_DEP_1) | instskip(SKIP_3) | instid1(VALU_DEP_1)
	v_add_f64 v[22:23], v[22:23], -v[170:171]
	ds_load_2addr_b64 v[170:173], v228 offset0:70 offset1:71
	s_waitcnt lgkmcnt(0)
	v_mul_f64 v[58:59], v[172:173], v[168:169]
	v_fma_f64 v[58:59], v[170:171], v[56:57], -v[58:59]
	v_mul_f64 v[170:171], v[170:171], v[168:169]
	s_delay_alu instid0(VALU_DEP_2) | instskip(NEXT) | instid1(VALU_DEP_2)
	v_add_f64 v[16:17], v[16:17], -v[58:59]
	v_fma_f64 v[170:171], v[172:173], v[56:57], v[170:171]
	s_delay_alu instid0(VALU_DEP_1) | instskip(SKIP_3) | instid1(VALU_DEP_1)
	v_add_f64 v[18:19], v[18:19], -v[170:171]
	ds_load_2addr_b64 v[170:173], v228 offset0:72 offset1:73
	s_waitcnt lgkmcnt(0)
	v_mul_f64 v[58:59], v[172:173], v[168:169]
	v_fma_f64 v[58:59], v[170:171], v[56:57], -v[58:59]
	v_mul_f64 v[170:171], v[170:171], v[168:169]
	s_delay_alu instid0(VALU_DEP_2) | instskip(NEXT) | instid1(VALU_DEP_2)
	v_add_f64 v[12:13], v[12:13], -v[58:59]
	v_fma_f64 v[170:171], v[172:173], v[56:57], v[170:171]
	s_delay_alu instid0(VALU_DEP_1) | instskip(SKIP_3) | instid1(VALU_DEP_1)
	v_add_f64 v[14:15], v[14:15], -v[170:171]
	ds_load_2addr_b64 v[170:173], v228 offset0:74 offset1:75
	s_waitcnt lgkmcnt(0)
	v_mul_f64 v[58:59], v[172:173], v[168:169]
	v_fma_f64 v[58:59], v[170:171], v[56:57], -v[58:59]
	v_mul_f64 v[170:171], v[170:171], v[168:169]
	s_delay_alu instid0(VALU_DEP_2) | instskip(NEXT) | instid1(VALU_DEP_2)
	v_add_f64 v[8:9], v[8:9], -v[58:59]
	v_fma_f64 v[170:171], v[172:173], v[56:57], v[170:171]
	s_delay_alu instid0(VALU_DEP_1) | instskip(SKIP_3) | instid1(VALU_DEP_1)
	v_add_f64 v[10:11], v[10:11], -v[170:171]
	ds_load_2addr_b64 v[170:173], v228 offset0:76 offset1:77
	s_waitcnt lgkmcnt(0)
	v_mul_f64 v[58:59], v[172:173], v[168:169]
	v_fma_f64 v[58:59], v[170:171], v[56:57], -v[58:59]
	v_mul_f64 v[170:171], v[170:171], v[168:169]
	s_delay_alu instid0(VALU_DEP_2) | instskip(NEXT) | instid1(VALU_DEP_2)
	v_add_f64 v[4:5], v[4:5], -v[58:59]
	v_fma_f64 v[170:171], v[172:173], v[56:57], v[170:171]
	s_delay_alu instid0(VALU_DEP_1) | instskip(SKIP_3) | instid1(VALU_DEP_1)
	v_add_f64 v[6:7], v[6:7], -v[170:171]
	ds_load_2addr_b64 v[170:173], v228 offset0:78 offset1:79
	s_waitcnt lgkmcnt(0)
	v_mul_f64 v[58:59], v[172:173], v[168:169]
	v_fma_f64 v[58:59], v[170:171], v[56:57], -v[58:59]
	v_mul_f64 v[170:171], v[170:171], v[168:169]
	s_delay_alu instid0(VALU_DEP_2) | instskip(NEXT) | instid1(VALU_DEP_2)
	v_add_f64 v[0:1], v[0:1], -v[58:59]
	v_fma_f64 v[170:171], v[172:173], v[56:57], v[170:171]
	v_dual_mov_b32 v58, v168 :: v_dual_mov_b32 v59, v169
	s_delay_alu instid0(VALU_DEP_2)
	v_add_f64 v[2:3], v[2:3], -v[170:171]
.LBB79_235:
	s_or_b32 exec_lo, exec_lo, s3
	s_delay_alu instid0(SALU_CYCLE_1)
	s_mov_b32 s4, exec_lo
	s_waitcnt lgkmcnt(0)
	s_barrier
	buffer_gl0_inv
	v_cmpx_eq_u32_e32 26, v226
	s_cbranch_execz .LBB79_242
; %bb.236:
	ds_store_2addr_b64 v227, v[52:53], v[54:55] offset1:1
	ds_store_2addr_b64 v228, v[48:49], v[50:51] offset0:54 offset1:55
	ds_store_2addr_b64 v228, v[44:45], v[46:47] offset0:56 offset1:57
	;; [unrolled: 1-line block ×13, first 2 shown]
	ds_load_2addr_b64 v[168:171], v227 offset1:1
	s_waitcnt lgkmcnt(0)
	v_cmp_neq_f64_e32 vcc_lo, 0, v[168:169]
	v_cmp_neq_f64_e64 s3, 0, v[170:171]
	s_delay_alu instid0(VALU_DEP_1) | instskip(NEXT) | instid1(SALU_CYCLE_1)
	s_or_b32 s3, vcc_lo, s3
	s_and_b32 exec_lo, exec_lo, s3
	s_cbranch_execz .LBB79_242
; %bb.237:
	v_cmp_gt_f64_e32 vcc_lo, 0, v[168:169]
	v_xor_b32_e32 v172, 0x80000000, v169
	v_xor_b32_e32 v174, 0x80000000, v171
	s_mov_b32 s3, exec_lo
                                        ; implicit-def: $vgpr176_vgpr177
	s_delay_alu instid0(VALU_DEP_2) | instskip(SKIP_4) | instid1(VALU_DEP_1)
	v_cndmask_b32_e32 v173, v169, v172, vcc_lo
	v_cndmask_b32_e32 v172, v168, v168, vcc_lo
	v_cmp_gt_f64_e32 vcc_lo, 0, v[170:171]
	v_cndmask_b32_e32 v175, v171, v174, vcc_lo
	v_cndmask_b32_e32 v174, v170, v170, vcc_lo
	v_cmpx_ngt_f64_e32 v[172:173], v[174:175]
	s_xor_b32 s3, exec_lo, s3
                                        ; implicit-def: $vgpr172_vgpr173_vgpr174_vgpr175
	s_cbranch_execz .LBB79_239
; %bb.238:
	v_div_scale_f64 v[172:173], null, v[170:171], v[170:171], v[168:169]
	v_div_scale_f64 v[178:179], vcc_lo, v[168:169], v[170:171], v[168:169]
	s_delay_alu instid0(VALU_DEP_2) | instskip(SKIP_2) | instid1(VALU_DEP_1)
	v_rcp_f64_e32 v[174:175], v[172:173]
	s_waitcnt_depctr 0xfff
	v_fma_f64 v[176:177], -v[172:173], v[174:175], 1.0
	v_fma_f64 v[174:175], v[174:175], v[176:177], v[174:175]
	s_delay_alu instid0(VALU_DEP_1) | instskip(NEXT) | instid1(VALU_DEP_1)
	v_fma_f64 v[176:177], -v[172:173], v[174:175], 1.0
	v_fma_f64 v[174:175], v[174:175], v[176:177], v[174:175]
	s_delay_alu instid0(VALU_DEP_1) | instskip(NEXT) | instid1(VALU_DEP_1)
	v_mul_f64 v[176:177], v[178:179], v[174:175]
	v_fma_f64 v[172:173], -v[172:173], v[176:177], v[178:179]
	s_delay_alu instid0(VALU_DEP_1) | instskip(NEXT) | instid1(VALU_DEP_1)
	v_div_fmas_f64 v[172:173], v[172:173], v[174:175], v[176:177]
	v_div_fixup_f64 v[172:173], v[172:173], v[170:171], v[168:169]
	s_delay_alu instid0(VALU_DEP_1) | instskip(NEXT) | instid1(VALU_DEP_1)
	v_fma_f64 v[168:169], v[168:169], v[172:173], v[170:171]
	v_div_scale_f64 v[170:171], null, v[168:169], v[168:169], 1.0
	s_delay_alu instid0(VALU_DEP_1) | instskip(SKIP_2) | instid1(VALU_DEP_1)
	v_rcp_f64_e32 v[174:175], v[170:171]
	s_waitcnt_depctr 0xfff
	v_fma_f64 v[176:177], -v[170:171], v[174:175], 1.0
	v_fma_f64 v[174:175], v[174:175], v[176:177], v[174:175]
	s_delay_alu instid0(VALU_DEP_1) | instskip(NEXT) | instid1(VALU_DEP_1)
	v_fma_f64 v[176:177], -v[170:171], v[174:175], 1.0
	v_fma_f64 v[174:175], v[174:175], v[176:177], v[174:175]
	v_div_scale_f64 v[176:177], vcc_lo, 1.0, v[168:169], 1.0
	s_delay_alu instid0(VALU_DEP_1) | instskip(NEXT) | instid1(VALU_DEP_1)
	v_mul_f64 v[178:179], v[176:177], v[174:175]
	v_fma_f64 v[170:171], -v[170:171], v[178:179], v[176:177]
	s_delay_alu instid0(VALU_DEP_1) | instskip(NEXT) | instid1(VALU_DEP_1)
	v_div_fmas_f64 v[170:171], v[170:171], v[174:175], v[178:179]
	v_div_fixup_f64 v[174:175], v[170:171], v[168:169], 1.0
                                        ; implicit-def: $vgpr168_vgpr169
	s_delay_alu instid0(VALU_DEP_1)
	v_mul_f64 v[176:177], v[172:173], v[174:175]
	v_xor_b32_e32 v175, 0x80000000, v175
.LBB79_239:
	s_and_not1_saveexec_b32 s3, s3
	s_cbranch_execz .LBB79_241
; %bb.240:
	v_div_scale_f64 v[172:173], null, v[168:169], v[168:169], v[170:171]
	v_div_scale_f64 v[178:179], vcc_lo, v[170:171], v[168:169], v[170:171]
	s_delay_alu instid0(VALU_DEP_2) | instskip(SKIP_2) | instid1(VALU_DEP_1)
	v_rcp_f64_e32 v[174:175], v[172:173]
	s_waitcnt_depctr 0xfff
	v_fma_f64 v[176:177], -v[172:173], v[174:175], 1.0
	v_fma_f64 v[174:175], v[174:175], v[176:177], v[174:175]
	s_delay_alu instid0(VALU_DEP_1) | instskip(NEXT) | instid1(VALU_DEP_1)
	v_fma_f64 v[176:177], -v[172:173], v[174:175], 1.0
	v_fma_f64 v[174:175], v[174:175], v[176:177], v[174:175]
	s_delay_alu instid0(VALU_DEP_1) | instskip(NEXT) | instid1(VALU_DEP_1)
	v_mul_f64 v[176:177], v[178:179], v[174:175]
	v_fma_f64 v[172:173], -v[172:173], v[176:177], v[178:179]
	s_delay_alu instid0(VALU_DEP_1) | instskip(NEXT) | instid1(VALU_DEP_1)
	v_div_fmas_f64 v[172:173], v[172:173], v[174:175], v[176:177]
	v_div_fixup_f64 v[172:173], v[172:173], v[168:169], v[170:171]
	s_delay_alu instid0(VALU_DEP_1) | instskip(NEXT) | instid1(VALU_DEP_1)
	v_fma_f64 v[168:169], v[170:171], v[172:173], v[168:169]
	v_div_scale_f64 v[170:171], null, v[168:169], v[168:169], 1.0
	s_delay_alu instid0(VALU_DEP_1) | instskip(SKIP_2) | instid1(VALU_DEP_1)
	v_rcp_f64_e32 v[174:175], v[170:171]
	s_waitcnt_depctr 0xfff
	v_fma_f64 v[176:177], -v[170:171], v[174:175], 1.0
	v_fma_f64 v[174:175], v[174:175], v[176:177], v[174:175]
	s_delay_alu instid0(VALU_DEP_1) | instskip(NEXT) | instid1(VALU_DEP_1)
	v_fma_f64 v[176:177], -v[170:171], v[174:175], 1.0
	v_fma_f64 v[174:175], v[174:175], v[176:177], v[174:175]
	v_div_scale_f64 v[176:177], vcc_lo, 1.0, v[168:169], 1.0
	s_delay_alu instid0(VALU_DEP_1) | instskip(NEXT) | instid1(VALU_DEP_1)
	v_mul_f64 v[178:179], v[176:177], v[174:175]
	v_fma_f64 v[170:171], -v[170:171], v[178:179], v[176:177]
	s_delay_alu instid0(VALU_DEP_1) | instskip(NEXT) | instid1(VALU_DEP_1)
	v_div_fmas_f64 v[170:171], v[170:171], v[174:175], v[178:179]
	v_div_fixup_f64 v[176:177], v[170:171], v[168:169], 1.0
	s_delay_alu instid0(VALU_DEP_1)
	v_mul_f64 v[174:175], v[172:173], -v[176:177]
.LBB79_241:
	s_or_b32 exec_lo, exec_lo, s3
	ds_store_2addr_b64 v227, v[176:177], v[174:175] offset1:1
.LBB79_242:
	s_or_b32 exec_lo, exec_lo, s4
	s_waitcnt lgkmcnt(0)
	s_barrier
	buffer_gl0_inv
	ds_load_2addr_b64 v[168:171], v227 offset1:1
	s_mov_b32 s3, exec_lo
	v_cmpx_lt_u32_e32 26, v226
	s_cbranch_execz .LBB79_244
; %bb.243:
	s_waitcnt lgkmcnt(0)
	v_mul_f64 v[172:173], v[168:169], v[54:55]
	v_mul_f64 v[54:55], v[170:171], v[54:55]
	ds_load_2addr_b64 v[174:177], v228 offset0:54 offset1:55
	v_fma_f64 v[172:173], v[170:171], v[52:53], v[172:173]
	v_fma_f64 v[52:53], v[168:169], v[52:53], -v[54:55]
	s_waitcnt lgkmcnt(0)
	s_delay_alu instid0(VALU_DEP_2) | instskip(NEXT) | instid1(VALU_DEP_1)
	v_mul_f64 v[54:55], v[176:177], v[172:173]
	v_fma_f64 v[54:55], v[174:175], v[52:53], -v[54:55]
	v_mul_f64 v[174:175], v[174:175], v[172:173]
	s_delay_alu instid0(VALU_DEP_2) | instskip(NEXT) | instid1(VALU_DEP_2)
	v_add_f64 v[48:49], v[48:49], -v[54:55]
	v_fma_f64 v[174:175], v[176:177], v[52:53], v[174:175]
	s_delay_alu instid0(VALU_DEP_1) | instskip(SKIP_3) | instid1(VALU_DEP_1)
	v_add_f64 v[50:51], v[50:51], -v[174:175]
	ds_load_2addr_b64 v[174:177], v228 offset0:56 offset1:57
	s_waitcnt lgkmcnt(0)
	v_mul_f64 v[54:55], v[176:177], v[172:173]
	v_fma_f64 v[54:55], v[174:175], v[52:53], -v[54:55]
	v_mul_f64 v[174:175], v[174:175], v[172:173]
	s_delay_alu instid0(VALU_DEP_2) | instskip(NEXT) | instid1(VALU_DEP_2)
	v_add_f64 v[44:45], v[44:45], -v[54:55]
	v_fma_f64 v[174:175], v[176:177], v[52:53], v[174:175]
	s_delay_alu instid0(VALU_DEP_1) | instskip(SKIP_3) | instid1(VALU_DEP_1)
	v_add_f64 v[46:47], v[46:47], -v[174:175]
	ds_load_2addr_b64 v[174:177], v228 offset0:58 offset1:59
	s_waitcnt lgkmcnt(0)
	;; [unrolled: 10-line block ×12, first 2 shown]
	v_mul_f64 v[54:55], v[176:177], v[172:173]
	v_fma_f64 v[54:55], v[174:175], v[52:53], -v[54:55]
	v_mul_f64 v[174:175], v[174:175], v[172:173]
	s_delay_alu instid0(VALU_DEP_2) | instskip(NEXT) | instid1(VALU_DEP_2)
	v_add_f64 v[0:1], v[0:1], -v[54:55]
	v_fma_f64 v[174:175], v[176:177], v[52:53], v[174:175]
	v_dual_mov_b32 v54, v172 :: v_dual_mov_b32 v55, v173
	s_delay_alu instid0(VALU_DEP_2)
	v_add_f64 v[2:3], v[2:3], -v[174:175]
.LBB79_244:
	s_or_b32 exec_lo, exec_lo, s3
	s_delay_alu instid0(SALU_CYCLE_1)
	s_mov_b32 s4, exec_lo
	s_waitcnt lgkmcnt(0)
	s_barrier
	buffer_gl0_inv
	v_cmpx_eq_u32_e32 27, v226
	s_cbranch_execz .LBB79_251
; %bb.245:
	ds_store_2addr_b64 v227, v[48:49], v[50:51] offset1:1
	ds_store_2addr_b64 v228, v[44:45], v[46:47] offset0:56 offset1:57
	ds_store_2addr_b64 v228, v[40:41], v[42:43] offset0:58 offset1:59
	;; [unrolled: 1-line block ×12, first 2 shown]
	ds_load_2addr_b64 v[172:175], v227 offset1:1
	s_waitcnt lgkmcnt(0)
	v_cmp_neq_f64_e32 vcc_lo, 0, v[172:173]
	v_cmp_neq_f64_e64 s3, 0, v[174:175]
	s_delay_alu instid0(VALU_DEP_1) | instskip(NEXT) | instid1(SALU_CYCLE_1)
	s_or_b32 s3, vcc_lo, s3
	s_and_b32 exec_lo, exec_lo, s3
	s_cbranch_execz .LBB79_251
; %bb.246:
	v_cmp_gt_f64_e32 vcc_lo, 0, v[172:173]
	v_xor_b32_e32 v176, 0x80000000, v173
	v_xor_b32_e32 v178, 0x80000000, v175
	s_mov_b32 s3, exec_lo
                                        ; implicit-def: $vgpr180_vgpr181
	s_delay_alu instid0(VALU_DEP_2) | instskip(SKIP_4) | instid1(VALU_DEP_1)
	v_cndmask_b32_e32 v177, v173, v176, vcc_lo
	v_cndmask_b32_e32 v176, v172, v172, vcc_lo
	v_cmp_gt_f64_e32 vcc_lo, 0, v[174:175]
	v_cndmask_b32_e32 v179, v175, v178, vcc_lo
	v_cndmask_b32_e32 v178, v174, v174, vcc_lo
	v_cmpx_ngt_f64_e32 v[176:177], v[178:179]
	s_xor_b32 s3, exec_lo, s3
                                        ; implicit-def: $vgpr176_vgpr177_vgpr178_vgpr179
	s_cbranch_execz .LBB79_248
; %bb.247:
	v_div_scale_f64 v[176:177], null, v[174:175], v[174:175], v[172:173]
	v_div_scale_f64 v[182:183], vcc_lo, v[172:173], v[174:175], v[172:173]
	s_delay_alu instid0(VALU_DEP_2) | instskip(SKIP_2) | instid1(VALU_DEP_1)
	v_rcp_f64_e32 v[178:179], v[176:177]
	s_waitcnt_depctr 0xfff
	v_fma_f64 v[180:181], -v[176:177], v[178:179], 1.0
	v_fma_f64 v[178:179], v[178:179], v[180:181], v[178:179]
	s_delay_alu instid0(VALU_DEP_1) | instskip(NEXT) | instid1(VALU_DEP_1)
	v_fma_f64 v[180:181], -v[176:177], v[178:179], 1.0
	v_fma_f64 v[178:179], v[178:179], v[180:181], v[178:179]
	s_delay_alu instid0(VALU_DEP_1) | instskip(NEXT) | instid1(VALU_DEP_1)
	v_mul_f64 v[180:181], v[182:183], v[178:179]
	v_fma_f64 v[176:177], -v[176:177], v[180:181], v[182:183]
	s_delay_alu instid0(VALU_DEP_1) | instskip(NEXT) | instid1(VALU_DEP_1)
	v_div_fmas_f64 v[176:177], v[176:177], v[178:179], v[180:181]
	v_div_fixup_f64 v[176:177], v[176:177], v[174:175], v[172:173]
	s_delay_alu instid0(VALU_DEP_1) | instskip(NEXT) | instid1(VALU_DEP_1)
	v_fma_f64 v[172:173], v[172:173], v[176:177], v[174:175]
	v_div_scale_f64 v[174:175], null, v[172:173], v[172:173], 1.0
	s_delay_alu instid0(VALU_DEP_1) | instskip(SKIP_2) | instid1(VALU_DEP_1)
	v_rcp_f64_e32 v[178:179], v[174:175]
	s_waitcnt_depctr 0xfff
	v_fma_f64 v[180:181], -v[174:175], v[178:179], 1.0
	v_fma_f64 v[178:179], v[178:179], v[180:181], v[178:179]
	s_delay_alu instid0(VALU_DEP_1) | instskip(NEXT) | instid1(VALU_DEP_1)
	v_fma_f64 v[180:181], -v[174:175], v[178:179], 1.0
	v_fma_f64 v[178:179], v[178:179], v[180:181], v[178:179]
	v_div_scale_f64 v[180:181], vcc_lo, 1.0, v[172:173], 1.0
	s_delay_alu instid0(VALU_DEP_1) | instskip(NEXT) | instid1(VALU_DEP_1)
	v_mul_f64 v[182:183], v[180:181], v[178:179]
	v_fma_f64 v[174:175], -v[174:175], v[182:183], v[180:181]
	s_delay_alu instid0(VALU_DEP_1) | instskip(NEXT) | instid1(VALU_DEP_1)
	v_div_fmas_f64 v[174:175], v[174:175], v[178:179], v[182:183]
	v_div_fixup_f64 v[178:179], v[174:175], v[172:173], 1.0
                                        ; implicit-def: $vgpr172_vgpr173
	s_delay_alu instid0(VALU_DEP_1)
	v_mul_f64 v[180:181], v[176:177], v[178:179]
	v_xor_b32_e32 v179, 0x80000000, v179
.LBB79_248:
	s_and_not1_saveexec_b32 s3, s3
	s_cbranch_execz .LBB79_250
; %bb.249:
	v_div_scale_f64 v[176:177], null, v[172:173], v[172:173], v[174:175]
	v_div_scale_f64 v[182:183], vcc_lo, v[174:175], v[172:173], v[174:175]
	s_delay_alu instid0(VALU_DEP_2) | instskip(SKIP_2) | instid1(VALU_DEP_1)
	v_rcp_f64_e32 v[178:179], v[176:177]
	s_waitcnt_depctr 0xfff
	v_fma_f64 v[180:181], -v[176:177], v[178:179], 1.0
	v_fma_f64 v[178:179], v[178:179], v[180:181], v[178:179]
	s_delay_alu instid0(VALU_DEP_1) | instskip(NEXT) | instid1(VALU_DEP_1)
	v_fma_f64 v[180:181], -v[176:177], v[178:179], 1.0
	v_fma_f64 v[178:179], v[178:179], v[180:181], v[178:179]
	s_delay_alu instid0(VALU_DEP_1) | instskip(NEXT) | instid1(VALU_DEP_1)
	v_mul_f64 v[180:181], v[182:183], v[178:179]
	v_fma_f64 v[176:177], -v[176:177], v[180:181], v[182:183]
	s_delay_alu instid0(VALU_DEP_1) | instskip(NEXT) | instid1(VALU_DEP_1)
	v_div_fmas_f64 v[176:177], v[176:177], v[178:179], v[180:181]
	v_div_fixup_f64 v[176:177], v[176:177], v[172:173], v[174:175]
	s_delay_alu instid0(VALU_DEP_1) | instskip(NEXT) | instid1(VALU_DEP_1)
	v_fma_f64 v[172:173], v[174:175], v[176:177], v[172:173]
	v_div_scale_f64 v[174:175], null, v[172:173], v[172:173], 1.0
	s_delay_alu instid0(VALU_DEP_1) | instskip(SKIP_2) | instid1(VALU_DEP_1)
	v_rcp_f64_e32 v[178:179], v[174:175]
	s_waitcnt_depctr 0xfff
	v_fma_f64 v[180:181], -v[174:175], v[178:179], 1.0
	v_fma_f64 v[178:179], v[178:179], v[180:181], v[178:179]
	s_delay_alu instid0(VALU_DEP_1) | instskip(NEXT) | instid1(VALU_DEP_1)
	v_fma_f64 v[180:181], -v[174:175], v[178:179], 1.0
	v_fma_f64 v[178:179], v[178:179], v[180:181], v[178:179]
	v_div_scale_f64 v[180:181], vcc_lo, 1.0, v[172:173], 1.0
	s_delay_alu instid0(VALU_DEP_1) | instskip(NEXT) | instid1(VALU_DEP_1)
	v_mul_f64 v[182:183], v[180:181], v[178:179]
	v_fma_f64 v[174:175], -v[174:175], v[182:183], v[180:181]
	s_delay_alu instid0(VALU_DEP_1) | instskip(NEXT) | instid1(VALU_DEP_1)
	v_div_fmas_f64 v[174:175], v[174:175], v[178:179], v[182:183]
	v_div_fixup_f64 v[180:181], v[174:175], v[172:173], 1.0
	s_delay_alu instid0(VALU_DEP_1)
	v_mul_f64 v[178:179], v[176:177], -v[180:181]
.LBB79_250:
	s_or_b32 exec_lo, exec_lo, s3
	ds_store_2addr_b64 v227, v[180:181], v[178:179] offset1:1
.LBB79_251:
	s_or_b32 exec_lo, exec_lo, s4
	s_waitcnt lgkmcnt(0)
	s_barrier
	buffer_gl0_inv
	ds_load_2addr_b64 v[172:175], v227 offset1:1
	s_mov_b32 s3, exec_lo
	v_cmpx_lt_u32_e32 27, v226
	s_cbranch_execz .LBB79_253
; %bb.252:
	s_waitcnt lgkmcnt(0)
	v_mul_f64 v[176:177], v[172:173], v[50:51]
	v_mul_f64 v[50:51], v[174:175], v[50:51]
	s_delay_alu instid0(VALU_DEP_2) | instskip(SKIP_4) | instid1(VALU_DEP_1)
	v_fma_f64 v[180:181], v[174:175], v[48:49], v[176:177]
	ds_load_2addr_b64 v[176:179], v228 offset0:56 offset1:57
	v_fma_f64 v[48:49], v[172:173], v[48:49], -v[50:51]
	s_waitcnt lgkmcnt(0)
	v_mul_f64 v[50:51], v[178:179], v[180:181]
	v_fma_f64 v[50:51], v[176:177], v[48:49], -v[50:51]
	v_mul_f64 v[176:177], v[176:177], v[180:181]
	s_delay_alu instid0(VALU_DEP_2) | instskip(NEXT) | instid1(VALU_DEP_2)
	v_add_f64 v[44:45], v[44:45], -v[50:51]
	v_fma_f64 v[176:177], v[178:179], v[48:49], v[176:177]
	s_delay_alu instid0(VALU_DEP_1) | instskip(SKIP_3) | instid1(VALU_DEP_1)
	v_add_f64 v[46:47], v[46:47], -v[176:177]
	ds_load_2addr_b64 v[176:179], v228 offset0:58 offset1:59
	s_waitcnt lgkmcnt(0)
	v_mul_f64 v[50:51], v[178:179], v[180:181]
	v_fma_f64 v[50:51], v[176:177], v[48:49], -v[50:51]
	v_mul_f64 v[176:177], v[176:177], v[180:181]
	s_delay_alu instid0(VALU_DEP_2) | instskip(NEXT) | instid1(VALU_DEP_2)
	v_add_f64 v[40:41], v[40:41], -v[50:51]
	v_fma_f64 v[176:177], v[178:179], v[48:49], v[176:177]
	s_delay_alu instid0(VALU_DEP_1) | instskip(SKIP_3) | instid1(VALU_DEP_1)
	v_add_f64 v[42:43], v[42:43], -v[176:177]
	ds_load_2addr_b64 v[176:179], v228 offset0:60 offset1:61
	;; [unrolled: 10-line block ×11, first 2 shown]
	s_waitcnt lgkmcnt(0)
	v_mul_f64 v[50:51], v[178:179], v[180:181]
	v_fma_f64 v[50:51], v[176:177], v[48:49], -v[50:51]
	v_mul_f64 v[176:177], v[176:177], v[180:181]
	s_delay_alu instid0(VALU_DEP_2) | instskip(NEXT) | instid1(VALU_DEP_2)
	v_add_f64 v[0:1], v[0:1], -v[50:51]
	v_fma_f64 v[176:177], v[178:179], v[48:49], v[176:177]
	v_dual_mov_b32 v50, v180 :: v_dual_mov_b32 v51, v181
	s_delay_alu instid0(VALU_DEP_2)
	v_add_f64 v[2:3], v[2:3], -v[176:177]
.LBB79_253:
	s_or_b32 exec_lo, exec_lo, s3
	s_delay_alu instid0(SALU_CYCLE_1)
	s_mov_b32 s4, exec_lo
	s_waitcnt lgkmcnt(0)
	s_barrier
	buffer_gl0_inv
	v_cmpx_eq_u32_e32 28, v226
	s_cbranch_execz .LBB79_260
; %bb.254:
	ds_store_2addr_b64 v227, v[44:45], v[46:47] offset1:1
	ds_store_2addr_b64 v228, v[40:41], v[42:43] offset0:58 offset1:59
	ds_store_2addr_b64 v228, v[36:37], v[38:39] offset0:60 offset1:61
	;; [unrolled: 1-line block ×11, first 2 shown]
	ds_load_2addr_b64 v[176:179], v227 offset1:1
	s_waitcnt lgkmcnt(0)
	v_cmp_neq_f64_e32 vcc_lo, 0, v[176:177]
	v_cmp_neq_f64_e64 s3, 0, v[178:179]
	s_delay_alu instid0(VALU_DEP_1) | instskip(NEXT) | instid1(SALU_CYCLE_1)
	s_or_b32 s3, vcc_lo, s3
	s_and_b32 exec_lo, exec_lo, s3
	s_cbranch_execz .LBB79_260
; %bb.255:
	v_cmp_gt_f64_e32 vcc_lo, 0, v[176:177]
	v_xor_b32_e32 v180, 0x80000000, v177
	v_xor_b32_e32 v182, 0x80000000, v179
	s_mov_b32 s3, exec_lo
                                        ; implicit-def: $vgpr184_vgpr185
	s_delay_alu instid0(VALU_DEP_2) | instskip(SKIP_4) | instid1(VALU_DEP_1)
	v_cndmask_b32_e32 v181, v177, v180, vcc_lo
	v_cndmask_b32_e32 v180, v176, v176, vcc_lo
	v_cmp_gt_f64_e32 vcc_lo, 0, v[178:179]
	v_cndmask_b32_e32 v183, v179, v182, vcc_lo
	v_cndmask_b32_e32 v182, v178, v178, vcc_lo
	v_cmpx_ngt_f64_e32 v[180:181], v[182:183]
	s_xor_b32 s3, exec_lo, s3
                                        ; implicit-def: $vgpr180_vgpr181_vgpr182_vgpr183
	s_cbranch_execz .LBB79_257
; %bb.256:
	v_div_scale_f64 v[180:181], null, v[178:179], v[178:179], v[176:177]
	v_div_scale_f64 v[186:187], vcc_lo, v[176:177], v[178:179], v[176:177]
	s_delay_alu instid0(VALU_DEP_2) | instskip(SKIP_2) | instid1(VALU_DEP_1)
	v_rcp_f64_e32 v[182:183], v[180:181]
	s_waitcnt_depctr 0xfff
	v_fma_f64 v[184:185], -v[180:181], v[182:183], 1.0
	v_fma_f64 v[182:183], v[182:183], v[184:185], v[182:183]
	s_delay_alu instid0(VALU_DEP_1) | instskip(NEXT) | instid1(VALU_DEP_1)
	v_fma_f64 v[184:185], -v[180:181], v[182:183], 1.0
	v_fma_f64 v[182:183], v[182:183], v[184:185], v[182:183]
	s_delay_alu instid0(VALU_DEP_1) | instskip(NEXT) | instid1(VALU_DEP_1)
	v_mul_f64 v[184:185], v[186:187], v[182:183]
	v_fma_f64 v[180:181], -v[180:181], v[184:185], v[186:187]
	s_delay_alu instid0(VALU_DEP_1) | instskip(NEXT) | instid1(VALU_DEP_1)
	v_div_fmas_f64 v[180:181], v[180:181], v[182:183], v[184:185]
	v_div_fixup_f64 v[180:181], v[180:181], v[178:179], v[176:177]
	s_delay_alu instid0(VALU_DEP_1) | instskip(NEXT) | instid1(VALU_DEP_1)
	v_fma_f64 v[176:177], v[176:177], v[180:181], v[178:179]
	v_div_scale_f64 v[178:179], null, v[176:177], v[176:177], 1.0
	s_delay_alu instid0(VALU_DEP_1) | instskip(SKIP_2) | instid1(VALU_DEP_1)
	v_rcp_f64_e32 v[182:183], v[178:179]
	s_waitcnt_depctr 0xfff
	v_fma_f64 v[184:185], -v[178:179], v[182:183], 1.0
	v_fma_f64 v[182:183], v[182:183], v[184:185], v[182:183]
	s_delay_alu instid0(VALU_DEP_1) | instskip(NEXT) | instid1(VALU_DEP_1)
	v_fma_f64 v[184:185], -v[178:179], v[182:183], 1.0
	v_fma_f64 v[182:183], v[182:183], v[184:185], v[182:183]
	v_div_scale_f64 v[184:185], vcc_lo, 1.0, v[176:177], 1.0
	s_delay_alu instid0(VALU_DEP_1) | instskip(NEXT) | instid1(VALU_DEP_1)
	v_mul_f64 v[186:187], v[184:185], v[182:183]
	v_fma_f64 v[178:179], -v[178:179], v[186:187], v[184:185]
	s_delay_alu instid0(VALU_DEP_1) | instskip(NEXT) | instid1(VALU_DEP_1)
	v_div_fmas_f64 v[178:179], v[178:179], v[182:183], v[186:187]
	v_div_fixup_f64 v[182:183], v[178:179], v[176:177], 1.0
                                        ; implicit-def: $vgpr176_vgpr177
	s_delay_alu instid0(VALU_DEP_1)
	v_mul_f64 v[184:185], v[180:181], v[182:183]
	v_xor_b32_e32 v183, 0x80000000, v183
.LBB79_257:
	s_and_not1_saveexec_b32 s3, s3
	s_cbranch_execz .LBB79_259
; %bb.258:
	v_div_scale_f64 v[180:181], null, v[176:177], v[176:177], v[178:179]
	v_div_scale_f64 v[186:187], vcc_lo, v[178:179], v[176:177], v[178:179]
	s_delay_alu instid0(VALU_DEP_2) | instskip(SKIP_2) | instid1(VALU_DEP_1)
	v_rcp_f64_e32 v[182:183], v[180:181]
	s_waitcnt_depctr 0xfff
	v_fma_f64 v[184:185], -v[180:181], v[182:183], 1.0
	v_fma_f64 v[182:183], v[182:183], v[184:185], v[182:183]
	s_delay_alu instid0(VALU_DEP_1) | instskip(NEXT) | instid1(VALU_DEP_1)
	v_fma_f64 v[184:185], -v[180:181], v[182:183], 1.0
	v_fma_f64 v[182:183], v[182:183], v[184:185], v[182:183]
	s_delay_alu instid0(VALU_DEP_1) | instskip(NEXT) | instid1(VALU_DEP_1)
	v_mul_f64 v[184:185], v[186:187], v[182:183]
	v_fma_f64 v[180:181], -v[180:181], v[184:185], v[186:187]
	s_delay_alu instid0(VALU_DEP_1) | instskip(NEXT) | instid1(VALU_DEP_1)
	v_div_fmas_f64 v[180:181], v[180:181], v[182:183], v[184:185]
	v_div_fixup_f64 v[180:181], v[180:181], v[176:177], v[178:179]
	s_delay_alu instid0(VALU_DEP_1) | instskip(NEXT) | instid1(VALU_DEP_1)
	v_fma_f64 v[176:177], v[178:179], v[180:181], v[176:177]
	v_div_scale_f64 v[178:179], null, v[176:177], v[176:177], 1.0
	s_delay_alu instid0(VALU_DEP_1) | instskip(SKIP_2) | instid1(VALU_DEP_1)
	v_rcp_f64_e32 v[182:183], v[178:179]
	s_waitcnt_depctr 0xfff
	v_fma_f64 v[184:185], -v[178:179], v[182:183], 1.0
	v_fma_f64 v[182:183], v[182:183], v[184:185], v[182:183]
	s_delay_alu instid0(VALU_DEP_1) | instskip(NEXT) | instid1(VALU_DEP_1)
	v_fma_f64 v[184:185], -v[178:179], v[182:183], 1.0
	v_fma_f64 v[182:183], v[182:183], v[184:185], v[182:183]
	v_div_scale_f64 v[184:185], vcc_lo, 1.0, v[176:177], 1.0
	s_delay_alu instid0(VALU_DEP_1) | instskip(NEXT) | instid1(VALU_DEP_1)
	v_mul_f64 v[186:187], v[184:185], v[182:183]
	v_fma_f64 v[178:179], -v[178:179], v[186:187], v[184:185]
	s_delay_alu instid0(VALU_DEP_1) | instskip(NEXT) | instid1(VALU_DEP_1)
	v_div_fmas_f64 v[178:179], v[178:179], v[182:183], v[186:187]
	v_div_fixup_f64 v[184:185], v[178:179], v[176:177], 1.0
	s_delay_alu instid0(VALU_DEP_1)
	v_mul_f64 v[182:183], v[180:181], -v[184:185]
.LBB79_259:
	s_or_b32 exec_lo, exec_lo, s3
	ds_store_2addr_b64 v227, v[184:185], v[182:183] offset1:1
.LBB79_260:
	s_or_b32 exec_lo, exec_lo, s4
	s_waitcnt lgkmcnt(0)
	s_barrier
	buffer_gl0_inv
	ds_load_2addr_b64 v[176:179], v227 offset1:1
	s_mov_b32 s3, exec_lo
	v_cmpx_lt_u32_e32 28, v226
	s_cbranch_execz .LBB79_262
; %bb.261:
	s_waitcnt lgkmcnt(0)
	v_mul_f64 v[180:181], v[176:177], v[46:47]
	v_mul_f64 v[46:47], v[178:179], v[46:47]
	s_delay_alu instid0(VALU_DEP_2) | instskip(SKIP_4) | instid1(VALU_DEP_1)
	v_fma_f64 v[184:185], v[178:179], v[44:45], v[180:181]
	ds_load_2addr_b64 v[180:183], v228 offset0:58 offset1:59
	v_fma_f64 v[44:45], v[176:177], v[44:45], -v[46:47]
	s_waitcnt lgkmcnt(0)
	v_mul_f64 v[46:47], v[182:183], v[184:185]
	v_fma_f64 v[46:47], v[180:181], v[44:45], -v[46:47]
	v_mul_f64 v[180:181], v[180:181], v[184:185]
	s_delay_alu instid0(VALU_DEP_2) | instskip(NEXT) | instid1(VALU_DEP_2)
	v_add_f64 v[40:41], v[40:41], -v[46:47]
	v_fma_f64 v[180:181], v[182:183], v[44:45], v[180:181]
	s_delay_alu instid0(VALU_DEP_1) | instskip(SKIP_3) | instid1(VALU_DEP_1)
	v_add_f64 v[42:43], v[42:43], -v[180:181]
	ds_load_2addr_b64 v[180:183], v228 offset0:60 offset1:61
	s_waitcnt lgkmcnt(0)
	v_mul_f64 v[46:47], v[182:183], v[184:185]
	v_fma_f64 v[46:47], v[180:181], v[44:45], -v[46:47]
	v_mul_f64 v[180:181], v[180:181], v[184:185]
	s_delay_alu instid0(VALU_DEP_2) | instskip(NEXT) | instid1(VALU_DEP_2)
	v_add_f64 v[36:37], v[36:37], -v[46:47]
	v_fma_f64 v[180:181], v[182:183], v[44:45], v[180:181]
	s_delay_alu instid0(VALU_DEP_1) | instskip(SKIP_3) | instid1(VALU_DEP_1)
	v_add_f64 v[38:39], v[38:39], -v[180:181]
	ds_load_2addr_b64 v[180:183], v228 offset0:62 offset1:63
	;; [unrolled: 10-line block ×10, first 2 shown]
	s_waitcnt lgkmcnt(0)
	v_mul_f64 v[46:47], v[182:183], v[184:185]
	v_fma_f64 v[46:47], v[180:181], v[44:45], -v[46:47]
	v_mul_f64 v[180:181], v[180:181], v[184:185]
	s_delay_alu instid0(VALU_DEP_2) | instskip(NEXT) | instid1(VALU_DEP_2)
	v_add_f64 v[0:1], v[0:1], -v[46:47]
	v_fma_f64 v[180:181], v[182:183], v[44:45], v[180:181]
	v_dual_mov_b32 v46, v184 :: v_dual_mov_b32 v47, v185
	s_delay_alu instid0(VALU_DEP_2)
	v_add_f64 v[2:3], v[2:3], -v[180:181]
.LBB79_262:
	s_or_b32 exec_lo, exec_lo, s3
	s_delay_alu instid0(SALU_CYCLE_1)
	s_mov_b32 s4, exec_lo
	s_waitcnt lgkmcnt(0)
	s_barrier
	buffer_gl0_inv
	v_cmpx_eq_u32_e32 29, v226
	s_cbranch_execz .LBB79_269
; %bb.263:
	ds_store_2addr_b64 v227, v[40:41], v[42:43] offset1:1
	ds_store_2addr_b64 v228, v[36:37], v[38:39] offset0:60 offset1:61
	ds_store_2addr_b64 v228, v[32:33], v[34:35] offset0:62 offset1:63
	;; [unrolled: 1-line block ×10, first 2 shown]
	ds_load_2addr_b64 v[180:183], v227 offset1:1
	s_waitcnt lgkmcnt(0)
	v_cmp_neq_f64_e32 vcc_lo, 0, v[180:181]
	v_cmp_neq_f64_e64 s3, 0, v[182:183]
	s_delay_alu instid0(VALU_DEP_1) | instskip(NEXT) | instid1(SALU_CYCLE_1)
	s_or_b32 s3, vcc_lo, s3
	s_and_b32 exec_lo, exec_lo, s3
	s_cbranch_execz .LBB79_269
; %bb.264:
	v_cmp_gt_f64_e32 vcc_lo, 0, v[180:181]
	v_xor_b32_e32 v184, 0x80000000, v181
	v_xor_b32_e32 v186, 0x80000000, v183
	s_mov_b32 s3, exec_lo
                                        ; implicit-def: $vgpr188_vgpr189
	s_delay_alu instid0(VALU_DEP_2) | instskip(SKIP_4) | instid1(VALU_DEP_1)
	v_cndmask_b32_e32 v185, v181, v184, vcc_lo
	v_cndmask_b32_e32 v184, v180, v180, vcc_lo
	v_cmp_gt_f64_e32 vcc_lo, 0, v[182:183]
	v_cndmask_b32_e32 v187, v183, v186, vcc_lo
	v_cndmask_b32_e32 v186, v182, v182, vcc_lo
	v_cmpx_ngt_f64_e32 v[184:185], v[186:187]
	s_xor_b32 s3, exec_lo, s3
                                        ; implicit-def: $vgpr184_vgpr185_vgpr186_vgpr187
	s_cbranch_execz .LBB79_266
; %bb.265:
	v_div_scale_f64 v[184:185], null, v[182:183], v[182:183], v[180:181]
	v_div_scale_f64 v[190:191], vcc_lo, v[180:181], v[182:183], v[180:181]
	s_delay_alu instid0(VALU_DEP_2) | instskip(SKIP_2) | instid1(VALU_DEP_1)
	v_rcp_f64_e32 v[186:187], v[184:185]
	s_waitcnt_depctr 0xfff
	v_fma_f64 v[188:189], -v[184:185], v[186:187], 1.0
	v_fma_f64 v[186:187], v[186:187], v[188:189], v[186:187]
	s_delay_alu instid0(VALU_DEP_1) | instskip(NEXT) | instid1(VALU_DEP_1)
	v_fma_f64 v[188:189], -v[184:185], v[186:187], 1.0
	v_fma_f64 v[186:187], v[186:187], v[188:189], v[186:187]
	s_delay_alu instid0(VALU_DEP_1) | instskip(NEXT) | instid1(VALU_DEP_1)
	v_mul_f64 v[188:189], v[190:191], v[186:187]
	v_fma_f64 v[184:185], -v[184:185], v[188:189], v[190:191]
	s_delay_alu instid0(VALU_DEP_1) | instskip(NEXT) | instid1(VALU_DEP_1)
	v_div_fmas_f64 v[184:185], v[184:185], v[186:187], v[188:189]
	v_div_fixup_f64 v[184:185], v[184:185], v[182:183], v[180:181]
	s_delay_alu instid0(VALU_DEP_1) | instskip(NEXT) | instid1(VALU_DEP_1)
	v_fma_f64 v[180:181], v[180:181], v[184:185], v[182:183]
	v_div_scale_f64 v[182:183], null, v[180:181], v[180:181], 1.0
	s_delay_alu instid0(VALU_DEP_1) | instskip(SKIP_2) | instid1(VALU_DEP_1)
	v_rcp_f64_e32 v[186:187], v[182:183]
	s_waitcnt_depctr 0xfff
	v_fma_f64 v[188:189], -v[182:183], v[186:187], 1.0
	v_fma_f64 v[186:187], v[186:187], v[188:189], v[186:187]
	s_delay_alu instid0(VALU_DEP_1) | instskip(NEXT) | instid1(VALU_DEP_1)
	v_fma_f64 v[188:189], -v[182:183], v[186:187], 1.0
	v_fma_f64 v[186:187], v[186:187], v[188:189], v[186:187]
	v_div_scale_f64 v[188:189], vcc_lo, 1.0, v[180:181], 1.0
	s_delay_alu instid0(VALU_DEP_1) | instskip(NEXT) | instid1(VALU_DEP_1)
	v_mul_f64 v[190:191], v[188:189], v[186:187]
	v_fma_f64 v[182:183], -v[182:183], v[190:191], v[188:189]
	s_delay_alu instid0(VALU_DEP_1) | instskip(NEXT) | instid1(VALU_DEP_1)
	v_div_fmas_f64 v[182:183], v[182:183], v[186:187], v[190:191]
	v_div_fixup_f64 v[186:187], v[182:183], v[180:181], 1.0
                                        ; implicit-def: $vgpr180_vgpr181
	s_delay_alu instid0(VALU_DEP_1)
	v_mul_f64 v[188:189], v[184:185], v[186:187]
	v_xor_b32_e32 v187, 0x80000000, v187
.LBB79_266:
	s_and_not1_saveexec_b32 s3, s3
	s_cbranch_execz .LBB79_268
; %bb.267:
	v_div_scale_f64 v[184:185], null, v[180:181], v[180:181], v[182:183]
	v_div_scale_f64 v[190:191], vcc_lo, v[182:183], v[180:181], v[182:183]
	s_delay_alu instid0(VALU_DEP_2) | instskip(SKIP_2) | instid1(VALU_DEP_1)
	v_rcp_f64_e32 v[186:187], v[184:185]
	s_waitcnt_depctr 0xfff
	v_fma_f64 v[188:189], -v[184:185], v[186:187], 1.0
	v_fma_f64 v[186:187], v[186:187], v[188:189], v[186:187]
	s_delay_alu instid0(VALU_DEP_1) | instskip(NEXT) | instid1(VALU_DEP_1)
	v_fma_f64 v[188:189], -v[184:185], v[186:187], 1.0
	v_fma_f64 v[186:187], v[186:187], v[188:189], v[186:187]
	s_delay_alu instid0(VALU_DEP_1) | instskip(NEXT) | instid1(VALU_DEP_1)
	v_mul_f64 v[188:189], v[190:191], v[186:187]
	v_fma_f64 v[184:185], -v[184:185], v[188:189], v[190:191]
	s_delay_alu instid0(VALU_DEP_1) | instskip(NEXT) | instid1(VALU_DEP_1)
	v_div_fmas_f64 v[184:185], v[184:185], v[186:187], v[188:189]
	v_div_fixup_f64 v[184:185], v[184:185], v[180:181], v[182:183]
	s_delay_alu instid0(VALU_DEP_1) | instskip(NEXT) | instid1(VALU_DEP_1)
	v_fma_f64 v[180:181], v[182:183], v[184:185], v[180:181]
	v_div_scale_f64 v[182:183], null, v[180:181], v[180:181], 1.0
	s_delay_alu instid0(VALU_DEP_1) | instskip(SKIP_2) | instid1(VALU_DEP_1)
	v_rcp_f64_e32 v[186:187], v[182:183]
	s_waitcnt_depctr 0xfff
	v_fma_f64 v[188:189], -v[182:183], v[186:187], 1.0
	v_fma_f64 v[186:187], v[186:187], v[188:189], v[186:187]
	s_delay_alu instid0(VALU_DEP_1) | instskip(NEXT) | instid1(VALU_DEP_1)
	v_fma_f64 v[188:189], -v[182:183], v[186:187], 1.0
	v_fma_f64 v[186:187], v[186:187], v[188:189], v[186:187]
	v_div_scale_f64 v[188:189], vcc_lo, 1.0, v[180:181], 1.0
	s_delay_alu instid0(VALU_DEP_1) | instskip(NEXT) | instid1(VALU_DEP_1)
	v_mul_f64 v[190:191], v[188:189], v[186:187]
	v_fma_f64 v[182:183], -v[182:183], v[190:191], v[188:189]
	s_delay_alu instid0(VALU_DEP_1) | instskip(NEXT) | instid1(VALU_DEP_1)
	v_div_fmas_f64 v[182:183], v[182:183], v[186:187], v[190:191]
	v_div_fixup_f64 v[188:189], v[182:183], v[180:181], 1.0
	s_delay_alu instid0(VALU_DEP_1)
	v_mul_f64 v[186:187], v[184:185], -v[188:189]
.LBB79_268:
	s_or_b32 exec_lo, exec_lo, s3
	ds_store_2addr_b64 v227, v[188:189], v[186:187] offset1:1
.LBB79_269:
	s_or_b32 exec_lo, exec_lo, s4
	s_waitcnt lgkmcnt(0)
	s_barrier
	buffer_gl0_inv
	ds_load_2addr_b64 v[180:183], v227 offset1:1
	s_mov_b32 s3, exec_lo
	v_cmpx_lt_u32_e32 29, v226
	s_cbranch_execz .LBB79_271
; %bb.270:
	s_waitcnt lgkmcnt(0)
	v_mul_f64 v[184:185], v[180:181], v[42:43]
	v_mul_f64 v[42:43], v[182:183], v[42:43]
	s_delay_alu instid0(VALU_DEP_2) | instskip(SKIP_4) | instid1(VALU_DEP_1)
	v_fma_f64 v[188:189], v[182:183], v[40:41], v[184:185]
	ds_load_2addr_b64 v[184:187], v228 offset0:60 offset1:61
	v_fma_f64 v[40:41], v[180:181], v[40:41], -v[42:43]
	s_waitcnt lgkmcnt(0)
	v_mul_f64 v[42:43], v[186:187], v[188:189]
	v_fma_f64 v[42:43], v[184:185], v[40:41], -v[42:43]
	v_mul_f64 v[184:185], v[184:185], v[188:189]
	s_delay_alu instid0(VALU_DEP_2) | instskip(NEXT) | instid1(VALU_DEP_2)
	v_add_f64 v[36:37], v[36:37], -v[42:43]
	v_fma_f64 v[184:185], v[186:187], v[40:41], v[184:185]
	s_delay_alu instid0(VALU_DEP_1) | instskip(SKIP_3) | instid1(VALU_DEP_1)
	v_add_f64 v[38:39], v[38:39], -v[184:185]
	ds_load_2addr_b64 v[184:187], v228 offset0:62 offset1:63
	s_waitcnt lgkmcnt(0)
	v_mul_f64 v[42:43], v[186:187], v[188:189]
	v_fma_f64 v[42:43], v[184:185], v[40:41], -v[42:43]
	v_mul_f64 v[184:185], v[184:185], v[188:189]
	s_delay_alu instid0(VALU_DEP_2) | instskip(NEXT) | instid1(VALU_DEP_2)
	v_add_f64 v[32:33], v[32:33], -v[42:43]
	v_fma_f64 v[184:185], v[186:187], v[40:41], v[184:185]
	s_delay_alu instid0(VALU_DEP_1) | instskip(SKIP_3) | instid1(VALU_DEP_1)
	v_add_f64 v[34:35], v[34:35], -v[184:185]
	ds_load_2addr_b64 v[184:187], v228 offset0:64 offset1:65
	;; [unrolled: 10-line block ×9, first 2 shown]
	s_waitcnt lgkmcnt(0)
	v_mul_f64 v[42:43], v[186:187], v[188:189]
	v_fma_f64 v[42:43], v[184:185], v[40:41], -v[42:43]
	v_mul_f64 v[184:185], v[184:185], v[188:189]
	s_delay_alu instid0(VALU_DEP_2) | instskip(NEXT) | instid1(VALU_DEP_2)
	v_add_f64 v[0:1], v[0:1], -v[42:43]
	v_fma_f64 v[184:185], v[186:187], v[40:41], v[184:185]
	v_dual_mov_b32 v42, v188 :: v_dual_mov_b32 v43, v189
	s_delay_alu instid0(VALU_DEP_2)
	v_add_f64 v[2:3], v[2:3], -v[184:185]
.LBB79_271:
	s_or_b32 exec_lo, exec_lo, s3
	s_delay_alu instid0(SALU_CYCLE_1)
	s_mov_b32 s4, exec_lo
	s_waitcnt lgkmcnt(0)
	s_barrier
	buffer_gl0_inv
	v_cmpx_eq_u32_e32 30, v226
	s_cbranch_execz .LBB79_278
; %bb.272:
	ds_store_2addr_b64 v227, v[36:37], v[38:39] offset1:1
	ds_store_2addr_b64 v228, v[32:33], v[34:35] offset0:62 offset1:63
	ds_store_2addr_b64 v228, v[28:29], v[30:31] offset0:64 offset1:65
	;; [unrolled: 1-line block ×9, first 2 shown]
	ds_load_2addr_b64 v[184:187], v227 offset1:1
	s_waitcnt lgkmcnt(0)
	v_cmp_neq_f64_e32 vcc_lo, 0, v[184:185]
	v_cmp_neq_f64_e64 s3, 0, v[186:187]
	s_delay_alu instid0(VALU_DEP_1) | instskip(NEXT) | instid1(SALU_CYCLE_1)
	s_or_b32 s3, vcc_lo, s3
	s_and_b32 exec_lo, exec_lo, s3
	s_cbranch_execz .LBB79_278
; %bb.273:
	v_cmp_gt_f64_e32 vcc_lo, 0, v[184:185]
	v_xor_b32_e32 v188, 0x80000000, v185
	v_xor_b32_e32 v190, 0x80000000, v187
	s_mov_b32 s3, exec_lo
                                        ; implicit-def: $vgpr192_vgpr193
	s_delay_alu instid0(VALU_DEP_2) | instskip(SKIP_4) | instid1(VALU_DEP_1)
	v_cndmask_b32_e32 v189, v185, v188, vcc_lo
	v_cndmask_b32_e32 v188, v184, v184, vcc_lo
	v_cmp_gt_f64_e32 vcc_lo, 0, v[186:187]
	v_cndmask_b32_e32 v191, v187, v190, vcc_lo
	v_cndmask_b32_e32 v190, v186, v186, vcc_lo
	v_cmpx_ngt_f64_e32 v[188:189], v[190:191]
	s_xor_b32 s3, exec_lo, s3
                                        ; implicit-def: $vgpr188_vgpr189_vgpr190_vgpr191
	s_cbranch_execz .LBB79_275
; %bb.274:
	v_div_scale_f64 v[188:189], null, v[186:187], v[186:187], v[184:185]
	v_div_scale_f64 v[194:195], vcc_lo, v[184:185], v[186:187], v[184:185]
	s_delay_alu instid0(VALU_DEP_2) | instskip(SKIP_2) | instid1(VALU_DEP_1)
	v_rcp_f64_e32 v[190:191], v[188:189]
	s_waitcnt_depctr 0xfff
	v_fma_f64 v[192:193], -v[188:189], v[190:191], 1.0
	v_fma_f64 v[190:191], v[190:191], v[192:193], v[190:191]
	s_delay_alu instid0(VALU_DEP_1) | instskip(NEXT) | instid1(VALU_DEP_1)
	v_fma_f64 v[192:193], -v[188:189], v[190:191], 1.0
	v_fma_f64 v[190:191], v[190:191], v[192:193], v[190:191]
	s_delay_alu instid0(VALU_DEP_1) | instskip(NEXT) | instid1(VALU_DEP_1)
	v_mul_f64 v[192:193], v[194:195], v[190:191]
	v_fma_f64 v[188:189], -v[188:189], v[192:193], v[194:195]
	s_delay_alu instid0(VALU_DEP_1) | instskip(NEXT) | instid1(VALU_DEP_1)
	v_div_fmas_f64 v[188:189], v[188:189], v[190:191], v[192:193]
	v_div_fixup_f64 v[188:189], v[188:189], v[186:187], v[184:185]
	s_delay_alu instid0(VALU_DEP_1) | instskip(NEXT) | instid1(VALU_DEP_1)
	v_fma_f64 v[184:185], v[184:185], v[188:189], v[186:187]
	v_div_scale_f64 v[186:187], null, v[184:185], v[184:185], 1.0
	s_delay_alu instid0(VALU_DEP_1) | instskip(SKIP_2) | instid1(VALU_DEP_1)
	v_rcp_f64_e32 v[190:191], v[186:187]
	s_waitcnt_depctr 0xfff
	v_fma_f64 v[192:193], -v[186:187], v[190:191], 1.0
	v_fma_f64 v[190:191], v[190:191], v[192:193], v[190:191]
	s_delay_alu instid0(VALU_DEP_1) | instskip(NEXT) | instid1(VALU_DEP_1)
	v_fma_f64 v[192:193], -v[186:187], v[190:191], 1.0
	v_fma_f64 v[190:191], v[190:191], v[192:193], v[190:191]
	v_div_scale_f64 v[192:193], vcc_lo, 1.0, v[184:185], 1.0
	s_delay_alu instid0(VALU_DEP_1) | instskip(NEXT) | instid1(VALU_DEP_1)
	v_mul_f64 v[194:195], v[192:193], v[190:191]
	v_fma_f64 v[186:187], -v[186:187], v[194:195], v[192:193]
	s_delay_alu instid0(VALU_DEP_1) | instskip(NEXT) | instid1(VALU_DEP_1)
	v_div_fmas_f64 v[186:187], v[186:187], v[190:191], v[194:195]
	v_div_fixup_f64 v[190:191], v[186:187], v[184:185], 1.0
                                        ; implicit-def: $vgpr184_vgpr185
	s_delay_alu instid0(VALU_DEP_1)
	v_mul_f64 v[192:193], v[188:189], v[190:191]
	v_xor_b32_e32 v191, 0x80000000, v191
.LBB79_275:
	s_and_not1_saveexec_b32 s3, s3
	s_cbranch_execz .LBB79_277
; %bb.276:
	v_div_scale_f64 v[188:189], null, v[184:185], v[184:185], v[186:187]
	v_div_scale_f64 v[194:195], vcc_lo, v[186:187], v[184:185], v[186:187]
	s_delay_alu instid0(VALU_DEP_2) | instskip(SKIP_2) | instid1(VALU_DEP_1)
	v_rcp_f64_e32 v[190:191], v[188:189]
	s_waitcnt_depctr 0xfff
	v_fma_f64 v[192:193], -v[188:189], v[190:191], 1.0
	v_fma_f64 v[190:191], v[190:191], v[192:193], v[190:191]
	s_delay_alu instid0(VALU_DEP_1) | instskip(NEXT) | instid1(VALU_DEP_1)
	v_fma_f64 v[192:193], -v[188:189], v[190:191], 1.0
	v_fma_f64 v[190:191], v[190:191], v[192:193], v[190:191]
	s_delay_alu instid0(VALU_DEP_1) | instskip(NEXT) | instid1(VALU_DEP_1)
	v_mul_f64 v[192:193], v[194:195], v[190:191]
	v_fma_f64 v[188:189], -v[188:189], v[192:193], v[194:195]
	s_delay_alu instid0(VALU_DEP_1) | instskip(NEXT) | instid1(VALU_DEP_1)
	v_div_fmas_f64 v[188:189], v[188:189], v[190:191], v[192:193]
	v_div_fixup_f64 v[188:189], v[188:189], v[184:185], v[186:187]
	s_delay_alu instid0(VALU_DEP_1) | instskip(NEXT) | instid1(VALU_DEP_1)
	v_fma_f64 v[184:185], v[186:187], v[188:189], v[184:185]
	v_div_scale_f64 v[186:187], null, v[184:185], v[184:185], 1.0
	s_delay_alu instid0(VALU_DEP_1) | instskip(SKIP_2) | instid1(VALU_DEP_1)
	v_rcp_f64_e32 v[190:191], v[186:187]
	s_waitcnt_depctr 0xfff
	v_fma_f64 v[192:193], -v[186:187], v[190:191], 1.0
	v_fma_f64 v[190:191], v[190:191], v[192:193], v[190:191]
	s_delay_alu instid0(VALU_DEP_1) | instskip(NEXT) | instid1(VALU_DEP_1)
	v_fma_f64 v[192:193], -v[186:187], v[190:191], 1.0
	v_fma_f64 v[190:191], v[190:191], v[192:193], v[190:191]
	v_div_scale_f64 v[192:193], vcc_lo, 1.0, v[184:185], 1.0
	s_delay_alu instid0(VALU_DEP_1) | instskip(NEXT) | instid1(VALU_DEP_1)
	v_mul_f64 v[194:195], v[192:193], v[190:191]
	v_fma_f64 v[186:187], -v[186:187], v[194:195], v[192:193]
	s_delay_alu instid0(VALU_DEP_1) | instskip(NEXT) | instid1(VALU_DEP_1)
	v_div_fmas_f64 v[186:187], v[186:187], v[190:191], v[194:195]
	v_div_fixup_f64 v[192:193], v[186:187], v[184:185], 1.0
	s_delay_alu instid0(VALU_DEP_1)
	v_mul_f64 v[190:191], v[188:189], -v[192:193]
.LBB79_277:
	s_or_b32 exec_lo, exec_lo, s3
	ds_store_2addr_b64 v227, v[192:193], v[190:191] offset1:1
.LBB79_278:
	s_or_b32 exec_lo, exec_lo, s4
	s_waitcnt lgkmcnt(0)
	s_barrier
	buffer_gl0_inv
	ds_load_2addr_b64 v[156:159], v227 offset1:1
	s_mov_b32 s3, exec_lo
	v_cmpx_lt_u32_e32 30, v226
	s_cbranch_execz .LBB79_280
; %bb.279:
	s_waitcnt lgkmcnt(0)
	v_mul_f64 v[188:189], v[156:157], v[38:39]
	v_mul_f64 v[38:39], v[158:159], v[38:39]
	s_delay_alu instid0(VALU_DEP_2) | instskip(SKIP_4) | instid1(VALU_DEP_1)
	v_fma_f64 v[192:193], v[158:159], v[36:37], v[188:189]
	ds_load_2addr_b64 v[188:191], v228 offset0:62 offset1:63
	v_fma_f64 v[36:37], v[156:157], v[36:37], -v[38:39]
	s_waitcnt lgkmcnt(0)
	v_mul_f64 v[38:39], v[190:191], v[192:193]
	v_fma_f64 v[38:39], v[188:189], v[36:37], -v[38:39]
	v_mul_f64 v[188:189], v[188:189], v[192:193]
	s_delay_alu instid0(VALU_DEP_2) | instskip(NEXT) | instid1(VALU_DEP_2)
	v_add_f64 v[32:33], v[32:33], -v[38:39]
	v_fma_f64 v[188:189], v[190:191], v[36:37], v[188:189]
	s_delay_alu instid0(VALU_DEP_1) | instskip(SKIP_3) | instid1(VALU_DEP_1)
	v_add_f64 v[34:35], v[34:35], -v[188:189]
	ds_load_2addr_b64 v[188:191], v228 offset0:64 offset1:65
	s_waitcnt lgkmcnt(0)
	v_mul_f64 v[38:39], v[190:191], v[192:193]
	v_fma_f64 v[38:39], v[188:189], v[36:37], -v[38:39]
	v_mul_f64 v[188:189], v[188:189], v[192:193]
	s_delay_alu instid0(VALU_DEP_2) | instskip(NEXT) | instid1(VALU_DEP_2)
	v_add_f64 v[28:29], v[28:29], -v[38:39]
	v_fma_f64 v[188:189], v[190:191], v[36:37], v[188:189]
	s_delay_alu instid0(VALU_DEP_1) | instskip(SKIP_3) | instid1(VALU_DEP_1)
	v_add_f64 v[30:31], v[30:31], -v[188:189]
	ds_load_2addr_b64 v[188:191], v228 offset0:66 offset1:67
	;; [unrolled: 10-line block ×8, first 2 shown]
	s_waitcnt lgkmcnt(0)
	v_mul_f64 v[38:39], v[190:191], v[192:193]
	v_fma_f64 v[38:39], v[188:189], v[36:37], -v[38:39]
	v_mul_f64 v[188:189], v[188:189], v[192:193]
	s_delay_alu instid0(VALU_DEP_2) | instskip(NEXT) | instid1(VALU_DEP_2)
	v_add_f64 v[0:1], v[0:1], -v[38:39]
	v_fma_f64 v[188:189], v[190:191], v[36:37], v[188:189]
	v_dual_mov_b32 v38, v192 :: v_dual_mov_b32 v39, v193
	s_delay_alu instid0(VALU_DEP_2)
	v_add_f64 v[2:3], v[2:3], -v[188:189]
.LBB79_280:
	s_or_b32 exec_lo, exec_lo, s3
	s_delay_alu instid0(SALU_CYCLE_1)
	s_mov_b32 s4, exec_lo
	s_waitcnt lgkmcnt(0)
	s_barrier
	buffer_gl0_inv
	v_cmpx_eq_u32_e32 31, v226
	s_cbranch_execz .LBB79_287
; %bb.281:
	ds_store_2addr_b64 v227, v[32:33], v[34:35] offset1:1
	ds_store_2addr_b64 v228, v[28:29], v[30:31] offset0:64 offset1:65
	ds_store_2addr_b64 v228, v[24:25], v[26:27] offset0:66 offset1:67
	;; [unrolled: 1-line block ×8, first 2 shown]
	ds_load_2addr_b64 v[188:191], v227 offset1:1
	s_waitcnt lgkmcnt(0)
	v_cmp_neq_f64_e32 vcc_lo, 0, v[188:189]
	v_cmp_neq_f64_e64 s3, 0, v[190:191]
	s_delay_alu instid0(VALU_DEP_1) | instskip(NEXT) | instid1(SALU_CYCLE_1)
	s_or_b32 s3, vcc_lo, s3
	s_and_b32 exec_lo, exec_lo, s3
	s_cbranch_execz .LBB79_287
; %bb.282:
	v_cmp_gt_f64_e32 vcc_lo, 0, v[188:189]
	v_xor_b32_e32 v192, 0x80000000, v189
	v_xor_b32_e32 v194, 0x80000000, v191
	s_mov_b32 s3, exec_lo
                                        ; implicit-def: $vgpr196_vgpr197
	s_delay_alu instid0(VALU_DEP_2) | instskip(SKIP_4) | instid1(VALU_DEP_1)
	v_cndmask_b32_e32 v193, v189, v192, vcc_lo
	v_cndmask_b32_e32 v192, v188, v188, vcc_lo
	v_cmp_gt_f64_e32 vcc_lo, 0, v[190:191]
	v_cndmask_b32_e32 v195, v191, v194, vcc_lo
	v_cndmask_b32_e32 v194, v190, v190, vcc_lo
	v_cmpx_ngt_f64_e32 v[192:193], v[194:195]
	s_xor_b32 s3, exec_lo, s3
                                        ; implicit-def: $vgpr192_vgpr193_vgpr194_vgpr195
	s_cbranch_execz .LBB79_284
; %bb.283:
	v_div_scale_f64 v[192:193], null, v[190:191], v[190:191], v[188:189]
	v_div_scale_f64 v[198:199], vcc_lo, v[188:189], v[190:191], v[188:189]
	s_delay_alu instid0(VALU_DEP_2) | instskip(SKIP_2) | instid1(VALU_DEP_1)
	v_rcp_f64_e32 v[194:195], v[192:193]
	s_waitcnt_depctr 0xfff
	v_fma_f64 v[196:197], -v[192:193], v[194:195], 1.0
	v_fma_f64 v[194:195], v[194:195], v[196:197], v[194:195]
	s_delay_alu instid0(VALU_DEP_1) | instskip(NEXT) | instid1(VALU_DEP_1)
	v_fma_f64 v[196:197], -v[192:193], v[194:195], 1.0
	v_fma_f64 v[194:195], v[194:195], v[196:197], v[194:195]
	s_delay_alu instid0(VALU_DEP_1) | instskip(NEXT) | instid1(VALU_DEP_1)
	v_mul_f64 v[196:197], v[198:199], v[194:195]
	v_fma_f64 v[192:193], -v[192:193], v[196:197], v[198:199]
	s_delay_alu instid0(VALU_DEP_1) | instskip(NEXT) | instid1(VALU_DEP_1)
	v_div_fmas_f64 v[192:193], v[192:193], v[194:195], v[196:197]
	v_div_fixup_f64 v[192:193], v[192:193], v[190:191], v[188:189]
	s_delay_alu instid0(VALU_DEP_1) | instskip(NEXT) | instid1(VALU_DEP_1)
	v_fma_f64 v[188:189], v[188:189], v[192:193], v[190:191]
	v_div_scale_f64 v[190:191], null, v[188:189], v[188:189], 1.0
	s_delay_alu instid0(VALU_DEP_1) | instskip(SKIP_2) | instid1(VALU_DEP_1)
	v_rcp_f64_e32 v[194:195], v[190:191]
	s_waitcnt_depctr 0xfff
	v_fma_f64 v[196:197], -v[190:191], v[194:195], 1.0
	v_fma_f64 v[194:195], v[194:195], v[196:197], v[194:195]
	s_delay_alu instid0(VALU_DEP_1) | instskip(NEXT) | instid1(VALU_DEP_1)
	v_fma_f64 v[196:197], -v[190:191], v[194:195], 1.0
	v_fma_f64 v[194:195], v[194:195], v[196:197], v[194:195]
	v_div_scale_f64 v[196:197], vcc_lo, 1.0, v[188:189], 1.0
	s_delay_alu instid0(VALU_DEP_1) | instskip(NEXT) | instid1(VALU_DEP_1)
	v_mul_f64 v[198:199], v[196:197], v[194:195]
	v_fma_f64 v[190:191], -v[190:191], v[198:199], v[196:197]
	s_delay_alu instid0(VALU_DEP_1) | instskip(NEXT) | instid1(VALU_DEP_1)
	v_div_fmas_f64 v[190:191], v[190:191], v[194:195], v[198:199]
	v_div_fixup_f64 v[194:195], v[190:191], v[188:189], 1.0
                                        ; implicit-def: $vgpr188_vgpr189
	s_delay_alu instid0(VALU_DEP_1)
	v_mul_f64 v[196:197], v[192:193], v[194:195]
	v_xor_b32_e32 v195, 0x80000000, v195
.LBB79_284:
	s_and_not1_saveexec_b32 s3, s3
	s_cbranch_execz .LBB79_286
; %bb.285:
	v_div_scale_f64 v[192:193], null, v[188:189], v[188:189], v[190:191]
	v_div_scale_f64 v[198:199], vcc_lo, v[190:191], v[188:189], v[190:191]
	s_delay_alu instid0(VALU_DEP_2) | instskip(SKIP_2) | instid1(VALU_DEP_1)
	v_rcp_f64_e32 v[194:195], v[192:193]
	s_waitcnt_depctr 0xfff
	v_fma_f64 v[196:197], -v[192:193], v[194:195], 1.0
	v_fma_f64 v[194:195], v[194:195], v[196:197], v[194:195]
	s_delay_alu instid0(VALU_DEP_1) | instskip(NEXT) | instid1(VALU_DEP_1)
	v_fma_f64 v[196:197], -v[192:193], v[194:195], 1.0
	v_fma_f64 v[194:195], v[194:195], v[196:197], v[194:195]
	s_delay_alu instid0(VALU_DEP_1) | instskip(NEXT) | instid1(VALU_DEP_1)
	v_mul_f64 v[196:197], v[198:199], v[194:195]
	v_fma_f64 v[192:193], -v[192:193], v[196:197], v[198:199]
	s_delay_alu instid0(VALU_DEP_1) | instskip(NEXT) | instid1(VALU_DEP_1)
	v_div_fmas_f64 v[192:193], v[192:193], v[194:195], v[196:197]
	v_div_fixup_f64 v[192:193], v[192:193], v[188:189], v[190:191]
	s_delay_alu instid0(VALU_DEP_1) | instskip(NEXT) | instid1(VALU_DEP_1)
	v_fma_f64 v[188:189], v[190:191], v[192:193], v[188:189]
	v_div_scale_f64 v[190:191], null, v[188:189], v[188:189], 1.0
	s_delay_alu instid0(VALU_DEP_1) | instskip(SKIP_2) | instid1(VALU_DEP_1)
	v_rcp_f64_e32 v[194:195], v[190:191]
	s_waitcnt_depctr 0xfff
	v_fma_f64 v[196:197], -v[190:191], v[194:195], 1.0
	v_fma_f64 v[194:195], v[194:195], v[196:197], v[194:195]
	s_delay_alu instid0(VALU_DEP_1) | instskip(NEXT) | instid1(VALU_DEP_1)
	v_fma_f64 v[196:197], -v[190:191], v[194:195], 1.0
	v_fma_f64 v[194:195], v[194:195], v[196:197], v[194:195]
	v_div_scale_f64 v[196:197], vcc_lo, 1.0, v[188:189], 1.0
	s_delay_alu instid0(VALU_DEP_1) | instskip(NEXT) | instid1(VALU_DEP_1)
	v_mul_f64 v[198:199], v[196:197], v[194:195]
	v_fma_f64 v[190:191], -v[190:191], v[198:199], v[196:197]
	s_delay_alu instid0(VALU_DEP_1) | instskip(NEXT) | instid1(VALU_DEP_1)
	v_div_fmas_f64 v[190:191], v[190:191], v[194:195], v[198:199]
	v_div_fixup_f64 v[196:197], v[190:191], v[188:189], 1.0
	s_delay_alu instid0(VALU_DEP_1)
	v_mul_f64 v[194:195], v[192:193], -v[196:197]
.LBB79_286:
	s_or_b32 exec_lo, exec_lo, s3
	ds_store_2addr_b64 v227, v[196:197], v[194:195] offset1:1
.LBB79_287:
	s_or_b32 exec_lo, exec_lo, s4
	s_waitcnt lgkmcnt(0)
	s_barrier
	buffer_gl0_inv
	ds_load_2addr_b64 v[186:189], v227 offset1:1
	s_mov_b32 s3, exec_lo
	v_cmpx_lt_u32_e32 31, v226
	s_cbranch_execz .LBB79_289
; %bb.288:
	s_waitcnt lgkmcnt(0)
	v_mul_f64 v[192:193], v[186:187], v[34:35]
	v_mul_f64 v[34:35], v[188:189], v[34:35]
	s_delay_alu instid0(VALU_DEP_2) | instskip(SKIP_4) | instid1(VALU_DEP_1)
	v_fma_f64 v[196:197], v[188:189], v[32:33], v[192:193]
	ds_load_2addr_b64 v[192:195], v228 offset0:64 offset1:65
	v_fma_f64 v[32:33], v[186:187], v[32:33], -v[34:35]
	s_waitcnt lgkmcnt(0)
	v_mul_f64 v[34:35], v[194:195], v[196:197]
	v_fma_f64 v[34:35], v[192:193], v[32:33], -v[34:35]
	v_mul_f64 v[192:193], v[192:193], v[196:197]
	s_delay_alu instid0(VALU_DEP_2) | instskip(NEXT) | instid1(VALU_DEP_2)
	v_add_f64 v[28:29], v[28:29], -v[34:35]
	v_fma_f64 v[192:193], v[194:195], v[32:33], v[192:193]
	s_delay_alu instid0(VALU_DEP_1) | instskip(SKIP_3) | instid1(VALU_DEP_1)
	v_add_f64 v[30:31], v[30:31], -v[192:193]
	ds_load_2addr_b64 v[192:195], v228 offset0:66 offset1:67
	s_waitcnt lgkmcnt(0)
	v_mul_f64 v[34:35], v[194:195], v[196:197]
	v_fma_f64 v[34:35], v[192:193], v[32:33], -v[34:35]
	v_mul_f64 v[192:193], v[192:193], v[196:197]
	s_delay_alu instid0(VALU_DEP_2) | instskip(NEXT) | instid1(VALU_DEP_2)
	v_add_f64 v[24:25], v[24:25], -v[34:35]
	v_fma_f64 v[192:193], v[194:195], v[32:33], v[192:193]
	s_delay_alu instid0(VALU_DEP_1) | instskip(SKIP_3) | instid1(VALU_DEP_1)
	v_add_f64 v[26:27], v[26:27], -v[192:193]
	ds_load_2addr_b64 v[192:195], v228 offset0:68 offset1:69
	;; [unrolled: 10-line block ×7, first 2 shown]
	s_waitcnt lgkmcnt(0)
	v_mul_f64 v[34:35], v[194:195], v[196:197]
	v_fma_f64 v[34:35], v[192:193], v[32:33], -v[34:35]
	v_mul_f64 v[192:193], v[192:193], v[196:197]
	s_delay_alu instid0(VALU_DEP_2) | instskip(NEXT) | instid1(VALU_DEP_2)
	v_add_f64 v[0:1], v[0:1], -v[34:35]
	v_fma_f64 v[192:193], v[194:195], v[32:33], v[192:193]
	v_dual_mov_b32 v34, v196 :: v_dual_mov_b32 v35, v197
	s_delay_alu instid0(VALU_DEP_2)
	v_add_f64 v[2:3], v[2:3], -v[192:193]
.LBB79_289:
	s_or_b32 exec_lo, exec_lo, s3
	s_delay_alu instid0(SALU_CYCLE_1)
	s_mov_b32 s4, exec_lo
	s_waitcnt lgkmcnt(0)
	s_barrier
	buffer_gl0_inv
	v_cmpx_eq_u32_e32 32, v226
	s_cbranch_execz .LBB79_296
; %bb.290:
	ds_store_2addr_b64 v227, v[28:29], v[30:31] offset1:1
	ds_store_2addr_b64 v228, v[24:25], v[26:27] offset0:66 offset1:67
	ds_store_2addr_b64 v228, v[20:21], v[22:23] offset0:68 offset1:69
	;; [unrolled: 1-line block ×7, first 2 shown]
	ds_load_2addr_b64 v[192:195], v227 offset1:1
	s_waitcnt lgkmcnt(0)
	v_cmp_neq_f64_e32 vcc_lo, 0, v[192:193]
	v_cmp_neq_f64_e64 s3, 0, v[194:195]
	s_delay_alu instid0(VALU_DEP_1) | instskip(NEXT) | instid1(SALU_CYCLE_1)
	s_or_b32 s3, vcc_lo, s3
	s_and_b32 exec_lo, exec_lo, s3
	s_cbranch_execz .LBB79_296
; %bb.291:
	v_cmp_gt_f64_e32 vcc_lo, 0, v[192:193]
	v_xor_b32_e32 v196, 0x80000000, v193
	v_xor_b32_e32 v198, 0x80000000, v195
	s_mov_b32 s3, exec_lo
                                        ; implicit-def: $vgpr200_vgpr201
	s_delay_alu instid0(VALU_DEP_2) | instskip(SKIP_4) | instid1(VALU_DEP_1)
	v_cndmask_b32_e32 v197, v193, v196, vcc_lo
	v_cndmask_b32_e32 v196, v192, v192, vcc_lo
	v_cmp_gt_f64_e32 vcc_lo, 0, v[194:195]
	v_cndmask_b32_e32 v199, v195, v198, vcc_lo
	v_cndmask_b32_e32 v198, v194, v194, vcc_lo
	v_cmpx_ngt_f64_e32 v[196:197], v[198:199]
	s_xor_b32 s3, exec_lo, s3
                                        ; implicit-def: $vgpr196_vgpr197_vgpr198_vgpr199
	s_cbranch_execz .LBB79_293
; %bb.292:
	v_div_scale_f64 v[196:197], null, v[194:195], v[194:195], v[192:193]
	v_div_scale_f64 v[202:203], vcc_lo, v[192:193], v[194:195], v[192:193]
	s_delay_alu instid0(VALU_DEP_2) | instskip(SKIP_2) | instid1(VALU_DEP_1)
	v_rcp_f64_e32 v[198:199], v[196:197]
	s_waitcnt_depctr 0xfff
	v_fma_f64 v[200:201], -v[196:197], v[198:199], 1.0
	v_fma_f64 v[198:199], v[198:199], v[200:201], v[198:199]
	s_delay_alu instid0(VALU_DEP_1) | instskip(NEXT) | instid1(VALU_DEP_1)
	v_fma_f64 v[200:201], -v[196:197], v[198:199], 1.0
	v_fma_f64 v[198:199], v[198:199], v[200:201], v[198:199]
	s_delay_alu instid0(VALU_DEP_1) | instskip(NEXT) | instid1(VALU_DEP_1)
	v_mul_f64 v[200:201], v[202:203], v[198:199]
	v_fma_f64 v[196:197], -v[196:197], v[200:201], v[202:203]
	s_delay_alu instid0(VALU_DEP_1) | instskip(NEXT) | instid1(VALU_DEP_1)
	v_div_fmas_f64 v[196:197], v[196:197], v[198:199], v[200:201]
	v_div_fixup_f64 v[196:197], v[196:197], v[194:195], v[192:193]
	s_delay_alu instid0(VALU_DEP_1) | instskip(NEXT) | instid1(VALU_DEP_1)
	v_fma_f64 v[192:193], v[192:193], v[196:197], v[194:195]
	v_div_scale_f64 v[194:195], null, v[192:193], v[192:193], 1.0
	s_delay_alu instid0(VALU_DEP_1) | instskip(SKIP_2) | instid1(VALU_DEP_1)
	v_rcp_f64_e32 v[198:199], v[194:195]
	s_waitcnt_depctr 0xfff
	v_fma_f64 v[200:201], -v[194:195], v[198:199], 1.0
	v_fma_f64 v[198:199], v[198:199], v[200:201], v[198:199]
	s_delay_alu instid0(VALU_DEP_1) | instskip(NEXT) | instid1(VALU_DEP_1)
	v_fma_f64 v[200:201], -v[194:195], v[198:199], 1.0
	v_fma_f64 v[198:199], v[198:199], v[200:201], v[198:199]
	v_div_scale_f64 v[200:201], vcc_lo, 1.0, v[192:193], 1.0
	s_delay_alu instid0(VALU_DEP_1) | instskip(NEXT) | instid1(VALU_DEP_1)
	v_mul_f64 v[202:203], v[200:201], v[198:199]
	v_fma_f64 v[194:195], -v[194:195], v[202:203], v[200:201]
	s_delay_alu instid0(VALU_DEP_1) | instskip(NEXT) | instid1(VALU_DEP_1)
	v_div_fmas_f64 v[194:195], v[194:195], v[198:199], v[202:203]
	v_div_fixup_f64 v[198:199], v[194:195], v[192:193], 1.0
                                        ; implicit-def: $vgpr192_vgpr193
	s_delay_alu instid0(VALU_DEP_1)
	v_mul_f64 v[200:201], v[196:197], v[198:199]
	v_xor_b32_e32 v199, 0x80000000, v199
.LBB79_293:
	s_and_not1_saveexec_b32 s3, s3
	s_cbranch_execz .LBB79_295
; %bb.294:
	v_div_scale_f64 v[196:197], null, v[192:193], v[192:193], v[194:195]
	v_div_scale_f64 v[202:203], vcc_lo, v[194:195], v[192:193], v[194:195]
	s_delay_alu instid0(VALU_DEP_2) | instskip(SKIP_2) | instid1(VALU_DEP_1)
	v_rcp_f64_e32 v[198:199], v[196:197]
	s_waitcnt_depctr 0xfff
	v_fma_f64 v[200:201], -v[196:197], v[198:199], 1.0
	v_fma_f64 v[198:199], v[198:199], v[200:201], v[198:199]
	s_delay_alu instid0(VALU_DEP_1) | instskip(NEXT) | instid1(VALU_DEP_1)
	v_fma_f64 v[200:201], -v[196:197], v[198:199], 1.0
	v_fma_f64 v[198:199], v[198:199], v[200:201], v[198:199]
	s_delay_alu instid0(VALU_DEP_1) | instskip(NEXT) | instid1(VALU_DEP_1)
	v_mul_f64 v[200:201], v[202:203], v[198:199]
	v_fma_f64 v[196:197], -v[196:197], v[200:201], v[202:203]
	s_delay_alu instid0(VALU_DEP_1) | instskip(NEXT) | instid1(VALU_DEP_1)
	v_div_fmas_f64 v[196:197], v[196:197], v[198:199], v[200:201]
	v_div_fixup_f64 v[196:197], v[196:197], v[192:193], v[194:195]
	s_delay_alu instid0(VALU_DEP_1) | instskip(NEXT) | instid1(VALU_DEP_1)
	v_fma_f64 v[192:193], v[194:195], v[196:197], v[192:193]
	v_div_scale_f64 v[194:195], null, v[192:193], v[192:193], 1.0
	s_delay_alu instid0(VALU_DEP_1) | instskip(SKIP_2) | instid1(VALU_DEP_1)
	v_rcp_f64_e32 v[198:199], v[194:195]
	s_waitcnt_depctr 0xfff
	v_fma_f64 v[200:201], -v[194:195], v[198:199], 1.0
	v_fma_f64 v[198:199], v[198:199], v[200:201], v[198:199]
	s_delay_alu instid0(VALU_DEP_1) | instskip(NEXT) | instid1(VALU_DEP_1)
	v_fma_f64 v[200:201], -v[194:195], v[198:199], 1.0
	v_fma_f64 v[198:199], v[198:199], v[200:201], v[198:199]
	v_div_scale_f64 v[200:201], vcc_lo, 1.0, v[192:193], 1.0
	s_delay_alu instid0(VALU_DEP_1) | instskip(NEXT) | instid1(VALU_DEP_1)
	v_mul_f64 v[202:203], v[200:201], v[198:199]
	v_fma_f64 v[194:195], -v[194:195], v[202:203], v[200:201]
	s_delay_alu instid0(VALU_DEP_1) | instskip(NEXT) | instid1(VALU_DEP_1)
	v_div_fmas_f64 v[194:195], v[194:195], v[198:199], v[202:203]
	v_div_fixup_f64 v[200:201], v[194:195], v[192:193], 1.0
	s_delay_alu instid0(VALU_DEP_1)
	v_mul_f64 v[198:199], v[196:197], -v[200:201]
.LBB79_295:
	s_or_b32 exec_lo, exec_lo, s3
	ds_store_2addr_b64 v227, v[200:201], v[198:199] offset1:1
.LBB79_296:
	s_or_b32 exec_lo, exec_lo, s4
	s_waitcnt lgkmcnt(0)
	s_barrier
	buffer_gl0_inv
	ds_load_2addr_b64 v[192:195], v227 offset1:1
	s_mov_b32 s3, exec_lo
	v_cmpx_lt_u32_e32 32, v226
	s_cbranch_execz .LBB79_298
; %bb.297:
	s_waitcnt lgkmcnt(0)
	v_mul_f64 v[196:197], v[192:193], v[30:31]
	v_mul_f64 v[30:31], v[194:195], v[30:31]
	s_delay_alu instid0(VALU_DEP_2) | instskip(SKIP_4) | instid1(VALU_DEP_1)
	v_fma_f64 v[200:201], v[194:195], v[28:29], v[196:197]
	ds_load_2addr_b64 v[196:199], v228 offset0:66 offset1:67
	v_fma_f64 v[28:29], v[192:193], v[28:29], -v[30:31]
	s_waitcnt lgkmcnt(0)
	v_mul_f64 v[30:31], v[198:199], v[200:201]
	v_fma_f64 v[30:31], v[196:197], v[28:29], -v[30:31]
	v_mul_f64 v[196:197], v[196:197], v[200:201]
	s_delay_alu instid0(VALU_DEP_2) | instskip(NEXT) | instid1(VALU_DEP_2)
	v_add_f64 v[24:25], v[24:25], -v[30:31]
	v_fma_f64 v[196:197], v[198:199], v[28:29], v[196:197]
	s_delay_alu instid0(VALU_DEP_1) | instskip(SKIP_3) | instid1(VALU_DEP_1)
	v_add_f64 v[26:27], v[26:27], -v[196:197]
	ds_load_2addr_b64 v[196:199], v228 offset0:68 offset1:69
	s_waitcnt lgkmcnt(0)
	v_mul_f64 v[30:31], v[198:199], v[200:201]
	v_fma_f64 v[30:31], v[196:197], v[28:29], -v[30:31]
	v_mul_f64 v[196:197], v[196:197], v[200:201]
	s_delay_alu instid0(VALU_DEP_2) | instskip(NEXT) | instid1(VALU_DEP_2)
	v_add_f64 v[20:21], v[20:21], -v[30:31]
	v_fma_f64 v[196:197], v[198:199], v[28:29], v[196:197]
	s_delay_alu instid0(VALU_DEP_1) | instskip(SKIP_3) | instid1(VALU_DEP_1)
	v_add_f64 v[22:23], v[22:23], -v[196:197]
	ds_load_2addr_b64 v[196:199], v228 offset0:70 offset1:71
	;; [unrolled: 10-line block ×6, first 2 shown]
	s_waitcnt lgkmcnt(0)
	v_mul_f64 v[30:31], v[198:199], v[200:201]
	v_fma_f64 v[30:31], v[196:197], v[28:29], -v[30:31]
	v_mul_f64 v[196:197], v[196:197], v[200:201]
	s_delay_alu instid0(VALU_DEP_2) | instskip(NEXT) | instid1(VALU_DEP_2)
	v_add_f64 v[0:1], v[0:1], -v[30:31]
	v_fma_f64 v[196:197], v[198:199], v[28:29], v[196:197]
	v_dual_mov_b32 v30, v200 :: v_dual_mov_b32 v31, v201
	s_delay_alu instid0(VALU_DEP_2)
	v_add_f64 v[2:3], v[2:3], -v[196:197]
.LBB79_298:
	s_or_b32 exec_lo, exec_lo, s3
	s_delay_alu instid0(SALU_CYCLE_1)
	s_mov_b32 s4, exec_lo
	s_waitcnt lgkmcnt(0)
	s_barrier
	buffer_gl0_inv
	v_cmpx_eq_u32_e32 33, v226
	s_cbranch_execz .LBB79_305
; %bb.299:
	ds_store_2addr_b64 v227, v[24:25], v[26:27] offset1:1
	ds_store_2addr_b64 v228, v[20:21], v[22:23] offset0:68 offset1:69
	ds_store_2addr_b64 v228, v[16:17], v[18:19] offset0:70 offset1:71
	;; [unrolled: 1-line block ×6, first 2 shown]
	ds_load_2addr_b64 v[196:199], v227 offset1:1
	s_waitcnt lgkmcnt(0)
	v_cmp_neq_f64_e32 vcc_lo, 0, v[196:197]
	v_cmp_neq_f64_e64 s3, 0, v[198:199]
	s_delay_alu instid0(VALU_DEP_1) | instskip(NEXT) | instid1(SALU_CYCLE_1)
	s_or_b32 s3, vcc_lo, s3
	s_and_b32 exec_lo, exec_lo, s3
	s_cbranch_execz .LBB79_305
; %bb.300:
	v_cmp_gt_f64_e32 vcc_lo, 0, v[196:197]
	v_xor_b32_e32 v200, 0x80000000, v197
	v_xor_b32_e32 v202, 0x80000000, v199
	s_mov_b32 s3, exec_lo
                                        ; implicit-def: $vgpr204_vgpr205
	s_delay_alu instid0(VALU_DEP_2) | instskip(SKIP_4) | instid1(VALU_DEP_1)
	v_cndmask_b32_e32 v201, v197, v200, vcc_lo
	v_cndmask_b32_e32 v200, v196, v196, vcc_lo
	v_cmp_gt_f64_e32 vcc_lo, 0, v[198:199]
	v_cndmask_b32_e32 v203, v199, v202, vcc_lo
	v_cndmask_b32_e32 v202, v198, v198, vcc_lo
	v_cmpx_ngt_f64_e32 v[200:201], v[202:203]
	s_xor_b32 s3, exec_lo, s3
                                        ; implicit-def: $vgpr200_vgpr201_vgpr202_vgpr203
	s_cbranch_execz .LBB79_302
; %bb.301:
	v_div_scale_f64 v[200:201], null, v[198:199], v[198:199], v[196:197]
	v_div_scale_f64 v[206:207], vcc_lo, v[196:197], v[198:199], v[196:197]
	s_delay_alu instid0(VALU_DEP_2) | instskip(SKIP_2) | instid1(VALU_DEP_1)
	v_rcp_f64_e32 v[202:203], v[200:201]
	s_waitcnt_depctr 0xfff
	v_fma_f64 v[204:205], -v[200:201], v[202:203], 1.0
	v_fma_f64 v[202:203], v[202:203], v[204:205], v[202:203]
	s_delay_alu instid0(VALU_DEP_1) | instskip(NEXT) | instid1(VALU_DEP_1)
	v_fma_f64 v[204:205], -v[200:201], v[202:203], 1.0
	v_fma_f64 v[202:203], v[202:203], v[204:205], v[202:203]
	s_delay_alu instid0(VALU_DEP_1) | instskip(NEXT) | instid1(VALU_DEP_1)
	v_mul_f64 v[204:205], v[206:207], v[202:203]
	v_fma_f64 v[200:201], -v[200:201], v[204:205], v[206:207]
	s_delay_alu instid0(VALU_DEP_1) | instskip(NEXT) | instid1(VALU_DEP_1)
	v_div_fmas_f64 v[200:201], v[200:201], v[202:203], v[204:205]
	v_div_fixup_f64 v[200:201], v[200:201], v[198:199], v[196:197]
	s_delay_alu instid0(VALU_DEP_1) | instskip(NEXT) | instid1(VALU_DEP_1)
	v_fma_f64 v[196:197], v[196:197], v[200:201], v[198:199]
	v_div_scale_f64 v[198:199], null, v[196:197], v[196:197], 1.0
	s_delay_alu instid0(VALU_DEP_1) | instskip(SKIP_2) | instid1(VALU_DEP_1)
	v_rcp_f64_e32 v[202:203], v[198:199]
	s_waitcnt_depctr 0xfff
	v_fma_f64 v[204:205], -v[198:199], v[202:203], 1.0
	v_fma_f64 v[202:203], v[202:203], v[204:205], v[202:203]
	s_delay_alu instid0(VALU_DEP_1) | instskip(NEXT) | instid1(VALU_DEP_1)
	v_fma_f64 v[204:205], -v[198:199], v[202:203], 1.0
	v_fma_f64 v[202:203], v[202:203], v[204:205], v[202:203]
	v_div_scale_f64 v[204:205], vcc_lo, 1.0, v[196:197], 1.0
	s_delay_alu instid0(VALU_DEP_1) | instskip(NEXT) | instid1(VALU_DEP_1)
	v_mul_f64 v[206:207], v[204:205], v[202:203]
	v_fma_f64 v[198:199], -v[198:199], v[206:207], v[204:205]
	s_delay_alu instid0(VALU_DEP_1) | instskip(NEXT) | instid1(VALU_DEP_1)
	v_div_fmas_f64 v[198:199], v[198:199], v[202:203], v[206:207]
	v_div_fixup_f64 v[202:203], v[198:199], v[196:197], 1.0
                                        ; implicit-def: $vgpr196_vgpr197
	s_delay_alu instid0(VALU_DEP_1)
	v_mul_f64 v[204:205], v[200:201], v[202:203]
	v_xor_b32_e32 v203, 0x80000000, v203
.LBB79_302:
	s_and_not1_saveexec_b32 s3, s3
	s_cbranch_execz .LBB79_304
; %bb.303:
	v_div_scale_f64 v[200:201], null, v[196:197], v[196:197], v[198:199]
	v_div_scale_f64 v[206:207], vcc_lo, v[198:199], v[196:197], v[198:199]
	s_delay_alu instid0(VALU_DEP_2) | instskip(SKIP_2) | instid1(VALU_DEP_1)
	v_rcp_f64_e32 v[202:203], v[200:201]
	s_waitcnt_depctr 0xfff
	v_fma_f64 v[204:205], -v[200:201], v[202:203], 1.0
	v_fma_f64 v[202:203], v[202:203], v[204:205], v[202:203]
	s_delay_alu instid0(VALU_DEP_1) | instskip(NEXT) | instid1(VALU_DEP_1)
	v_fma_f64 v[204:205], -v[200:201], v[202:203], 1.0
	v_fma_f64 v[202:203], v[202:203], v[204:205], v[202:203]
	s_delay_alu instid0(VALU_DEP_1) | instskip(NEXT) | instid1(VALU_DEP_1)
	v_mul_f64 v[204:205], v[206:207], v[202:203]
	v_fma_f64 v[200:201], -v[200:201], v[204:205], v[206:207]
	s_delay_alu instid0(VALU_DEP_1) | instskip(NEXT) | instid1(VALU_DEP_1)
	v_div_fmas_f64 v[200:201], v[200:201], v[202:203], v[204:205]
	v_div_fixup_f64 v[200:201], v[200:201], v[196:197], v[198:199]
	s_delay_alu instid0(VALU_DEP_1) | instskip(NEXT) | instid1(VALU_DEP_1)
	v_fma_f64 v[196:197], v[198:199], v[200:201], v[196:197]
	v_div_scale_f64 v[198:199], null, v[196:197], v[196:197], 1.0
	s_delay_alu instid0(VALU_DEP_1) | instskip(SKIP_2) | instid1(VALU_DEP_1)
	v_rcp_f64_e32 v[202:203], v[198:199]
	s_waitcnt_depctr 0xfff
	v_fma_f64 v[204:205], -v[198:199], v[202:203], 1.0
	v_fma_f64 v[202:203], v[202:203], v[204:205], v[202:203]
	s_delay_alu instid0(VALU_DEP_1) | instskip(NEXT) | instid1(VALU_DEP_1)
	v_fma_f64 v[204:205], -v[198:199], v[202:203], 1.0
	v_fma_f64 v[202:203], v[202:203], v[204:205], v[202:203]
	v_div_scale_f64 v[204:205], vcc_lo, 1.0, v[196:197], 1.0
	s_delay_alu instid0(VALU_DEP_1) | instskip(NEXT) | instid1(VALU_DEP_1)
	v_mul_f64 v[206:207], v[204:205], v[202:203]
	v_fma_f64 v[198:199], -v[198:199], v[206:207], v[204:205]
	s_delay_alu instid0(VALU_DEP_1) | instskip(NEXT) | instid1(VALU_DEP_1)
	v_div_fmas_f64 v[198:199], v[198:199], v[202:203], v[206:207]
	v_div_fixup_f64 v[204:205], v[198:199], v[196:197], 1.0
	s_delay_alu instid0(VALU_DEP_1)
	v_mul_f64 v[202:203], v[200:201], -v[204:205]
.LBB79_304:
	s_or_b32 exec_lo, exec_lo, s3
	ds_store_2addr_b64 v227, v[204:205], v[202:203] offset1:1
.LBB79_305:
	s_or_b32 exec_lo, exec_lo, s4
	s_waitcnt lgkmcnt(0)
	s_barrier
	buffer_gl0_inv
	ds_load_2addr_b64 v[196:199], v227 offset1:1
	s_mov_b32 s3, exec_lo
	v_cmpx_lt_u32_e32 33, v226
	s_cbranch_execz .LBB79_307
; %bb.306:
	s_waitcnt lgkmcnt(0)
	v_mul_f64 v[200:201], v[196:197], v[26:27]
	v_mul_f64 v[26:27], v[198:199], v[26:27]
	s_delay_alu instid0(VALU_DEP_2) | instskip(SKIP_4) | instid1(VALU_DEP_1)
	v_fma_f64 v[204:205], v[198:199], v[24:25], v[200:201]
	ds_load_2addr_b64 v[200:203], v228 offset0:68 offset1:69
	v_fma_f64 v[24:25], v[196:197], v[24:25], -v[26:27]
	s_waitcnt lgkmcnt(0)
	v_mul_f64 v[26:27], v[202:203], v[204:205]
	v_fma_f64 v[26:27], v[200:201], v[24:25], -v[26:27]
	v_mul_f64 v[200:201], v[200:201], v[204:205]
	s_delay_alu instid0(VALU_DEP_2) | instskip(NEXT) | instid1(VALU_DEP_2)
	v_add_f64 v[20:21], v[20:21], -v[26:27]
	v_fma_f64 v[200:201], v[202:203], v[24:25], v[200:201]
	s_delay_alu instid0(VALU_DEP_1) | instskip(SKIP_3) | instid1(VALU_DEP_1)
	v_add_f64 v[22:23], v[22:23], -v[200:201]
	ds_load_2addr_b64 v[200:203], v228 offset0:70 offset1:71
	s_waitcnt lgkmcnt(0)
	v_mul_f64 v[26:27], v[202:203], v[204:205]
	v_fma_f64 v[26:27], v[200:201], v[24:25], -v[26:27]
	v_mul_f64 v[200:201], v[200:201], v[204:205]
	s_delay_alu instid0(VALU_DEP_2) | instskip(NEXT) | instid1(VALU_DEP_2)
	v_add_f64 v[16:17], v[16:17], -v[26:27]
	v_fma_f64 v[200:201], v[202:203], v[24:25], v[200:201]
	s_delay_alu instid0(VALU_DEP_1) | instskip(SKIP_3) | instid1(VALU_DEP_1)
	v_add_f64 v[18:19], v[18:19], -v[200:201]
	ds_load_2addr_b64 v[200:203], v228 offset0:72 offset1:73
	;; [unrolled: 10-line block ×5, first 2 shown]
	s_waitcnt lgkmcnt(0)
	v_mul_f64 v[26:27], v[202:203], v[204:205]
	v_fma_f64 v[26:27], v[200:201], v[24:25], -v[26:27]
	v_mul_f64 v[200:201], v[200:201], v[204:205]
	s_delay_alu instid0(VALU_DEP_2) | instskip(NEXT) | instid1(VALU_DEP_2)
	v_add_f64 v[0:1], v[0:1], -v[26:27]
	v_fma_f64 v[200:201], v[202:203], v[24:25], v[200:201]
	v_dual_mov_b32 v26, v204 :: v_dual_mov_b32 v27, v205
	s_delay_alu instid0(VALU_DEP_2)
	v_add_f64 v[2:3], v[2:3], -v[200:201]
.LBB79_307:
	s_or_b32 exec_lo, exec_lo, s3
	s_delay_alu instid0(SALU_CYCLE_1)
	s_mov_b32 s4, exec_lo
	s_waitcnt lgkmcnt(0)
	s_barrier
	buffer_gl0_inv
	v_cmpx_eq_u32_e32 34, v226
	s_cbranch_execz .LBB79_314
; %bb.308:
	ds_store_2addr_b64 v227, v[20:21], v[22:23] offset1:1
	ds_store_2addr_b64 v228, v[16:17], v[18:19] offset0:70 offset1:71
	ds_store_2addr_b64 v228, v[12:13], v[14:15] offset0:72 offset1:73
	;; [unrolled: 1-line block ×5, first 2 shown]
	ds_load_2addr_b64 v[200:203], v227 offset1:1
	s_waitcnt lgkmcnt(0)
	v_cmp_neq_f64_e32 vcc_lo, 0, v[200:201]
	v_cmp_neq_f64_e64 s3, 0, v[202:203]
	s_delay_alu instid0(VALU_DEP_1) | instskip(NEXT) | instid1(SALU_CYCLE_1)
	s_or_b32 s3, vcc_lo, s3
	s_and_b32 exec_lo, exec_lo, s3
	s_cbranch_execz .LBB79_314
; %bb.309:
	v_cmp_gt_f64_e32 vcc_lo, 0, v[200:201]
	v_xor_b32_e32 v204, 0x80000000, v201
	v_xor_b32_e32 v206, 0x80000000, v203
	s_mov_b32 s3, exec_lo
                                        ; implicit-def: $vgpr208_vgpr209
	s_delay_alu instid0(VALU_DEP_2) | instskip(SKIP_4) | instid1(VALU_DEP_1)
	v_cndmask_b32_e32 v205, v201, v204, vcc_lo
	v_cndmask_b32_e32 v204, v200, v200, vcc_lo
	v_cmp_gt_f64_e32 vcc_lo, 0, v[202:203]
	v_cndmask_b32_e32 v207, v203, v206, vcc_lo
	v_cndmask_b32_e32 v206, v202, v202, vcc_lo
	v_cmpx_ngt_f64_e32 v[204:205], v[206:207]
	s_xor_b32 s3, exec_lo, s3
                                        ; implicit-def: $vgpr204_vgpr205_vgpr206_vgpr207
	s_cbranch_execz .LBB79_311
; %bb.310:
	v_div_scale_f64 v[204:205], null, v[202:203], v[202:203], v[200:201]
	v_div_scale_f64 v[210:211], vcc_lo, v[200:201], v[202:203], v[200:201]
	s_delay_alu instid0(VALU_DEP_2) | instskip(SKIP_2) | instid1(VALU_DEP_1)
	v_rcp_f64_e32 v[206:207], v[204:205]
	s_waitcnt_depctr 0xfff
	v_fma_f64 v[208:209], -v[204:205], v[206:207], 1.0
	v_fma_f64 v[206:207], v[206:207], v[208:209], v[206:207]
	s_delay_alu instid0(VALU_DEP_1) | instskip(NEXT) | instid1(VALU_DEP_1)
	v_fma_f64 v[208:209], -v[204:205], v[206:207], 1.0
	v_fma_f64 v[206:207], v[206:207], v[208:209], v[206:207]
	s_delay_alu instid0(VALU_DEP_1) | instskip(NEXT) | instid1(VALU_DEP_1)
	v_mul_f64 v[208:209], v[210:211], v[206:207]
	v_fma_f64 v[204:205], -v[204:205], v[208:209], v[210:211]
	s_delay_alu instid0(VALU_DEP_1) | instskip(NEXT) | instid1(VALU_DEP_1)
	v_div_fmas_f64 v[204:205], v[204:205], v[206:207], v[208:209]
	v_div_fixup_f64 v[204:205], v[204:205], v[202:203], v[200:201]
	s_delay_alu instid0(VALU_DEP_1) | instskip(NEXT) | instid1(VALU_DEP_1)
	v_fma_f64 v[200:201], v[200:201], v[204:205], v[202:203]
	v_div_scale_f64 v[202:203], null, v[200:201], v[200:201], 1.0
	s_delay_alu instid0(VALU_DEP_1) | instskip(SKIP_2) | instid1(VALU_DEP_1)
	v_rcp_f64_e32 v[206:207], v[202:203]
	s_waitcnt_depctr 0xfff
	v_fma_f64 v[208:209], -v[202:203], v[206:207], 1.0
	v_fma_f64 v[206:207], v[206:207], v[208:209], v[206:207]
	s_delay_alu instid0(VALU_DEP_1) | instskip(NEXT) | instid1(VALU_DEP_1)
	v_fma_f64 v[208:209], -v[202:203], v[206:207], 1.0
	v_fma_f64 v[206:207], v[206:207], v[208:209], v[206:207]
	v_div_scale_f64 v[208:209], vcc_lo, 1.0, v[200:201], 1.0
	s_delay_alu instid0(VALU_DEP_1) | instskip(NEXT) | instid1(VALU_DEP_1)
	v_mul_f64 v[210:211], v[208:209], v[206:207]
	v_fma_f64 v[202:203], -v[202:203], v[210:211], v[208:209]
	s_delay_alu instid0(VALU_DEP_1) | instskip(NEXT) | instid1(VALU_DEP_1)
	v_div_fmas_f64 v[202:203], v[202:203], v[206:207], v[210:211]
	v_div_fixup_f64 v[206:207], v[202:203], v[200:201], 1.0
                                        ; implicit-def: $vgpr200_vgpr201
	s_delay_alu instid0(VALU_DEP_1)
	v_mul_f64 v[208:209], v[204:205], v[206:207]
	v_xor_b32_e32 v207, 0x80000000, v207
.LBB79_311:
	s_and_not1_saveexec_b32 s3, s3
	s_cbranch_execz .LBB79_313
; %bb.312:
	v_div_scale_f64 v[204:205], null, v[200:201], v[200:201], v[202:203]
	v_div_scale_f64 v[210:211], vcc_lo, v[202:203], v[200:201], v[202:203]
	s_delay_alu instid0(VALU_DEP_2) | instskip(SKIP_2) | instid1(VALU_DEP_1)
	v_rcp_f64_e32 v[206:207], v[204:205]
	s_waitcnt_depctr 0xfff
	v_fma_f64 v[208:209], -v[204:205], v[206:207], 1.0
	v_fma_f64 v[206:207], v[206:207], v[208:209], v[206:207]
	s_delay_alu instid0(VALU_DEP_1) | instskip(NEXT) | instid1(VALU_DEP_1)
	v_fma_f64 v[208:209], -v[204:205], v[206:207], 1.0
	v_fma_f64 v[206:207], v[206:207], v[208:209], v[206:207]
	s_delay_alu instid0(VALU_DEP_1) | instskip(NEXT) | instid1(VALU_DEP_1)
	v_mul_f64 v[208:209], v[210:211], v[206:207]
	v_fma_f64 v[204:205], -v[204:205], v[208:209], v[210:211]
	s_delay_alu instid0(VALU_DEP_1) | instskip(NEXT) | instid1(VALU_DEP_1)
	v_div_fmas_f64 v[204:205], v[204:205], v[206:207], v[208:209]
	v_div_fixup_f64 v[204:205], v[204:205], v[200:201], v[202:203]
	s_delay_alu instid0(VALU_DEP_1) | instskip(NEXT) | instid1(VALU_DEP_1)
	v_fma_f64 v[200:201], v[202:203], v[204:205], v[200:201]
	v_div_scale_f64 v[202:203], null, v[200:201], v[200:201], 1.0
	s_delay_alu instid0(VALU_DEP_1) | instskip(SKIP_2) | instid1(VALU_DEP_1)
	v_rcp_f64_e32 v[206:207], v[202:203]
	s_waitcnt_depctr 0xfff
	v_fma_f64 v[208:209], -v[202:203], v[206:207], 1.0
	v_fma_f64 v[206:207], v[206:207], v[208:209], v[206:207]
	s_delay_alu instid0(VALU_DEP_1) | instskip(NEXT) | instid1(VALU_DEP_1)
	v_fma_f64 v[208:209], -v[202:203], v[206:207], 1.0
	v_fma_f64 v[206:207], v[206:207], v[208:209], v[206:207]
	v_div_scale_f64 v[208:209], vcc_lo, 1.0, v[200:201], 1.0
	s_delay_alu instid0(VALU_DEP_1) | instskip(NEXT) | instid1(VALU_DEP_1)
	v_mul_f64 v[210:211], v[208:209], v[206:207]
	v_fma_f64 v[202:203], -v[202:203], v[210:211], v[208:209]
	s_delay_alu instid0(VALU_DEP_1) | instskip(NEXT) | instid1(VALU_DEP_1)
	v_div_fmas_f64 v[202:203], v[202:203], v[206:207], v[210:211]
	v_div_fixup_f64 v[208:209], v[202:203], v[200:201], 1.0
	s_delay_alu instid0(VALU_DEP_1)
	v_mul_f64 v[206:207], v[204:205], -v[208:209]
.LBB79_313:
	s_or_b32 exec_lo, exec_lo, s3
	ds_store_2addr_b64 v227, v[208:209], v[206:207] offset1:1
.LBB79_314:
	s_or_b32 exec_lo, exec_lo, s4
	s_waitcnt lgkmcnt(0)
	s_barrier
	buffer_gl0_inv
	ds_load_2addr_b64 v[200:203], v227 offset1:1
	s_mov_b32 s3, exec_lo
	v_cmpx_lt_u32_e32 34, v226
	s_cbranch_execz .LBB79_316
; %bb.315:
	s_waitcnt lgkmcnt(0)
	v_mul_f64 v[204:205], v[200:201], v[22:23]
	v_mul_f64 v[22:23], v[202:203], v[22:23]
	s_delay_alu instid0(VALU_DEP_2) | instskip(SKIP_4) | instid1(VALU_DEP_1)
	v_fma_f64 v[208:209], v[202:203], v[20:21], v[204:205]
	ds_load_2addr_b64 v[204:207], v228 offset0:70 offset1:71
	v_fma_f64 v[20:21], v[200:201], v[20:21], -v[22:23]
	s_waitcnt lgkmcnt(0)
	v_mul_f64 v[22:23], v[206:207], v[208:209]
	v_fma_f64 v[22:23], v[204:205], v[20:21], -v[22:23]
	v_mul_f64 v[204:205], v[204:205], v[208:209]
	s_delay_alu instid0(VALU_DEP_2) | instskip(NEXT) | instid1(VALU_DEP_2)
	v_add_f64 v[16:17], v[16:17], -v[22:23]
	v_fma_f64 v[204:205], v[206:207], v[20:21], v[204:205]
	s_delay_alu instid0(VALU_DEP_1) | instskip(SKIP_3) | instid1(VALU_DEP_1)
	v_add_f64 v[18:19], v[18:19], -v[204:205]
	ds_load_2addr_b64 v[204:207], v228 offset0:72 offset1:73
	s_waitcnt lgkmcnt(0)
	v_mul_f64 v[22:23], v[206:207], v[208:209]
	v_fma_f64 v[22:23], v[204:205], v[20:21], -v[22:23]
	v_mul_f64 v[204:205], v[204:205], v[208:209]
	s_delay_alu instid0(VALU_DEP_2) | instskip(NEXT) | instid1(VALU_DEP_2)
	v_add_f64 v[12:13], v[12:13], -v[22:23]
	v_fma_f64 v[204:205], v[206:207], v[20:21], v[204:205]
	s_delay_alu instid0(VALU_DEP_1) | instskip(SKIP_3) | instid1(VALU_DEP_1)
	v_add_f64 v[14:15], v[14:15], -v[204:205]
	ds_load_2addr_b64 v[204:207], v228 offset0:74 offset1:75
	;; [unrolled: 10-line block ×4, first 2 shown]
	s_waitcnt lgkmcnt(0)
	v_mul_f64 v[22:23], v[206:207], v[208:209]
	v_fma_f64 v[22:23], v[204:205], v[20:21], -v[22:23]
	v_mul_f64 v[204:205], v[204:205], v[208:209]
	s_delay_alu instid0(VALU_DEP_2) | instskip(NEXT) | instid1(VALU_DEP_2)
	v_add_f64 v[0:1], v[0:1], -v[22:23]
	v_fma_f64 v[204:205], v[206:207], v[20:21], v[204:205]
	v_dual_mov_b32 v22, v208 :: v_dual_mov_b32 v23, v209
	s_delay_alu instid0(VALU_DEP_2)
	v_add_f64 v[2:3], v[2:3], -v[204:205]
.LBB79_316:
	s_or_b32 exec_lo, exec_lo, s3
	s_delay_alu instid0(SALU_CYCLE_1)
	s_mov_b32 s4, exec_lo
	s_waitcnt lgkmcnt(0)
	s_barrier
	buffer_gl0_inv
	v_cmpx_eq_u32_e32 35, v226
	s_cbranch_execz .LBB79_323
; %bb.317:
	ds_store_2addr_b64 v227, v[16:17], v[18:19] offset1:1
	ds_store_2addr_b64 v228, v[12:13], v[14:15] offset0:72 offset1:73
	ds_store_2addr_b64 v228, v[8:9], v[10:11] offset0:74 offset1:75
	;; [unrolled: 1-line block ×4, first 2 shown]
	ds_load_2addr_b64 v[204:207], v227 offset1:1
	s_waitcnt lgkmcnt(0)
	v_cmp_neq_f64_e32 vcc_lo, 0, v[204:205]
	v_cmp_neq_f64_e64 s3, 0, v[206:207]
	s_delay_alu instid0(VALU_DEP_1) | instskip(NEXT) | instid1(SALU_CYCLE_1)
	s_or_b32 s3, vcc_lo, s3
	s_and_b32 exec_lo, exec_lo, s3
	s_cbranch_execz .LBB79_323
; %bb.318:
	v_cmp_gt_f64_e32 vcc_lo, 0, v[204:205]
	v_xor_b32_e32 v208, 0x80000000, v205
	v_xor_b32_e32 v210, 0x80000000, v207
	s_mov_b32 s3, exec_lo
                                        ; implicit-def: $vgpr212_vgpr213
	s_delay_alu instid0(VALU_DEP_2) | instskip(SKIP_4) | instid1(VALU_DEP_1)
	v_cndmask_b32_e32 v209, v205, v208, vcc_lo
	v_cndmask_b32_e32 v208, v204, v204, vcc_lo
	v_cmp_gt_f64_e32 vcc_lo, 0, v[206:207]
	v_cndmask_b32_e32 v211, v207, v210, vcc_lo
	v_cndmask_b32_e32 v210, v206, v206, vcc_lo
	v_cmpx_ngt_f64_e32 v[208:209], v[210:211]
	s_xor_b32 s3, exec_lo, s3
                                        ; implicit-def: $vgpr208_vgpr209_vgpr210_vgpr211
	s_cbranch_execz .LBB79_320
; %bb.319:
	v_div_scale_f64 v[208:209], null, v[206:207], v[206:207], v[204:205]
	v_div_scale_f64 v[214:215], vcc_lo, v[204:205], v[206:207], v[204:205]
	s_delay_alu instid0(VALU_DEP_2) | instskip(SKIP_2) | instid1(VALU_DEP_1)
	v_rcp_f64_e32 v[210:211], v[208:209]
	s_waitcnt_depctr 0xfff
	v_fma_f64 v[212:213], -v[208:209], v[210:211], 1.0
	v_fma_f64 v[210:211], v[210:211], v[212:213], v[210:211]
	s_delay_alu instid0(VALU_DEP_1) | instskip(NEXT) | instid1(VALU_DEP_1)
	v_fma_f64 v[212:213], -v[208:209], v[210:211], 1.0
	v_fma_f64 v[210:211], v[210:211], v[212:213], v[210:211]
	s_delay_alu instid0(VALU_DEP_1) | instskip(NEXT) | instid1(VALU_DEP_1)
	v_mul_f64 v[212:213], v[214:215], v[210:211]
	v_fma_f64 v[208:209], -v[208:209], v[212:213], v[214:215]
	s_delay_alu instid0(VALU_DEP_1) | instskip(NEXT) | instid1(VALU_DEP_1)
	v_div_fmas_f64 v[208:209], v[208:209], v[210:211], v[212:213]
	v_div_fixup_f64 v[208:209], v[208:209], v[206:207], v[204:205]
	s_delay_alu instid0(VALU_DEP_1) | instskip(NEXT) | instid1(VALU_DEP_1)
	v_fma_f64 v[204:205], v[204:205], v[208:209], v[206:207]
	v_div_scale_f64 v[206:207], null, v[204:205], v[204:205], 1.0
	s_delay_alu instid0(VALU_DEP_1) | instskip(SKIP_2) | instid1(VALU_DEP_1)
	v_rcp_f64_e32 v[210:211], v[206:207]
	s_waitcnt_depctr 0xfff
	v_fma_f64 v[212:213], -v[206:207], v[210:211], 1.0
	v_fma_f64 v[210:211], v[210:211], v[212:213], v[210:211]
	s_delay_alu instid0(VALU_DEP_1) | instskip(NEXT) | instid1(VALU_DEP_1)
	v_fma_f64 v[212:213], -v[206:207], v[210:211], 1.0
	v_fma_f64 v[210:211], v[210:211], v[212:213], v[210:211]
	v_div_scale_f64 v[212:213], vcc_lo, 1.0, v[204:205], 1.0
	s_delay_alu instid0(VALU_DEP_1) | instskip(NEXT) | instid1(VALU_DEP_1)
	v_mul_f64 v[214:215], v[212:213], v[210:211]
	v_fma_f64 v[206:207], -v[206:207], v[214:215], v[212:213]
	s_delay_alu instid0(VALU_DEP_1) | instskip(NEXT) | instid1(VALU_DEP_1)
	v_div_fmas_f64 v[206:207], v[206:207], v[210:211], v[214:215]
	v_div_fixup_f64 v[210:211], v[206:207], v[204:205], 1.0
                                        ; implicit-def: $vgpr204_vgpr205
	s_delay_alu instid0(VALU_DEP_1)
	v_mul_f64 v[212:213], v[208:209], v[210:211]
	v_xor_b32_e32 v211, 0x80000000, v211
.LBB79_320:
	s_and_not1_saveexec_b32 s3, s3
	s_cbranch_execz .LBB79_322
; %bb.321:
	v_div_scale_f64 v[208:209], null, v[204:205], v[204:205], v[206:207]
	v_div_scale_f64 v[214:215], vcc_lo, v[206:207], v[204:205], v[206:207]
	s_delay_alu instid0(VALU_DEP_2) | instskip(SKIP_2) | instid1(VALU_DEP_1)
	v_rcp_f64_e32 v[210:211], v[208:209]
	s_waitcnt_depctr 0xfff
	v_fma_f64 v[212:213], -v[208:209], v[210:211], 1.0
	v_fma_f64 v[210:211], v[210:211], v[212:213], v[210:211]
	s_delay_alu instid0(VALU_DEP_1) | instskip(NEXT) | instid1(VALU_DEP_1)
	v_fma_f64 v[212:213], -v[208:209], v[210:211], 1.0
	v_fma_f64 v[210:211], v[210:211], v[212:213], v[210:211]
	s_delay_alu instid0(VALU_DEP_1) | instskip(NEXT) | instid1(VALU_DEP_1)
	v_mul_f64 v[212:213], v[214:215], v[210:211]
	v_fma_f64 v[208:209], -v[208:209], v[212:213], v[214:215]
	s_delay_alu instid0(VALU_DEP_1) | instskip(NEXT) | instid1(VALU_DEP_1)
	v_div_fmas_f64 v[208:209], v[208:209], v[210:211], v[212:213]
	v_div_fixup_f64 v[208:209], v[208:209], v[204:205], v[206:207]
	s_delay_alu instid0(VALU_DEP_1) | instskip(NEXT) | instid1(VALU_DEP_1)
	v_fma_f64 v[204:205], v[206:207], v[208:209], v[204:205]
	v_div_scale_f64 v[206:207], null, v[204:205], v[204:205], 1.0
	s_delay_alu instid0(VALU_DEP_1) | instskip(SKIP_2) | instid1(VALU_DEP_1)
	v_rcp_f64_e32 v[210:211], v[206:207]
	s_waitcnt_depctr 0xfff
	v_fma_f64 v[212:213], -v[206:207], v[210:211], 1.0
	v_fma_f64 v[210:211], v[210:211], v[212:213], v[210:211]
	s_delay_alu instid0(VALU_DEP_1) | instskip(NEXT) | instid1(VALU_DEP_1)
	v_fma_f64 v[212:213], -v[206:207], v[210:211], 1.0
	v_fma_f64 v[210:211], v[210:211], v[212:213], v[210:211]
	v_div_scale_f64 v[212:213], vcc_lo, 1.0, v[204:205], 1.0
	s_delay_alu instid0(VALU_DEP_1) | instskip(NEXT) | instid1(VALU_DEP_1)
	v_mul_f64 v[214:215], v[212:213], v[210:211]
	v_fma_f64 v[206:207], -v[206:207], v[214:215], v[212:213]
	s_delay_alu instid0(VALU_DEP_1) | instskip(NEXT) | instid1(VALU_DEP_1)
	v_div_fmas_f64 v[206:207], v[206:207], v[210:211], v[214:215]
	v_div_fixup_f64 v[212:213], v[206:207], v[204:205], 1.0
	s_delay_alu instid0(VALU_DEP_1)
	v_mul_f64 v[210:211], v[208:209], -v[212:213]
.LBB79_322:
	s_or_b32 exec_lo, exec_lo, s3
	ds_store_2addr_b64 v227, v[212:213], v[210:211] offset1:1
.LBB79_323:
	s_or_b32 exec_lo, exec_lo, s4
	s_waitcnt lgkmcnt(0)
	s_barrier
	buffer_gl0_inv
	ds_load_2addr_b64 v[204:207], v227 offset1:1
	s_mov_b32 s3, exec_lo
	v_cmpx_lt_u32_e32 35, v226
	s_cbranch_execz .LBB79_325
; %bb.324:
	s_waitcnt lgkmcnt(0)
	v_mul_f64 v[208:209], v[204:205], v[18:19]
	v_mul_f64 v[18:19], v[206:207], v[18:19]
	s_delay_alu instid0(VALU_DEP_2) | instskip(SKIP_4) | instid1(VALU_DEP_1)
	v_fma_f64 v[212:213], v[206:207], v[16:17], v[208:209]
	ds_load_2addr_b64 v[208:211], v228 offset0:72 offset1:73
	v_fma_f64 v[16:17], v[204:205], v[16:17], -v[18:19]
	s_waitcnt lgkmcnt(0)
	v_mul_f64 v[18:19], v[210:211], v[212:213]
	v_fma_f64 v[18:19], v[208:209], v[16:17], -v[18:19]
	v_mul_f64 v[208:209], v[208:209], v[212:213]
	s_delay_alu instid0(VALU_DEP_2) | instskip(NEXT) | instid1(VALU_DEP_2)
	v_add_f64 v[12:13], v[12:13], -v[18:19]
	v_fma_f64 v[208:209], v[210:211], v[16:17], v[208:209]
	s_delay_alu instid0(VALU_DEP_1) | instskip(SKIP_3) | instid1(VALU_DEP_1)
	v_add_f64 v[14:15], v[14:15], -v[208:209]
	ds_load_2addr_b64 v[208:211], v228 offset0:74 offset1:75
	s_waitcnt lgkmcnt(0)
	v_mul_f64 v[18:19], v[210:211], v[212:213]
	v_fma_f64 v[18:19], v[208:209], v[16:17], -v[18:19]
	v_mul_f64 v[208:209], v[208:209], v[212:213]
	s_delay_alu instid0(VALU_DEP_2) | instskip(NEXT) | instid1(VALU_DEP_2)
	v_add_f64 v[8:9], v[8:9], -v[18:19]
	v_fma_f64 v[208:209], v[210:211], v[16:17], v[208:209]
	s_delay_alu instid0(VALU_DEP_1) | instskip(SKIP_3) | instid1(VALU_DEP_1)
	v_add_f64 v[10:11], v[10:11], -v[208:209]
	ds_load_2addr_b64 v[208:211], v228 offset0:76 offset1:77
	;; [unrolled: 10-line block ×3, first 2 shown]
	s_waitcnt lgkmcnt(0)
	v_mul_f64 v[18:19], v[210:211], v[212:213]
	v_fma_f64 v[18:19], v[208:209], v[16:17], -v[18:19]
	v_mul_f64 v[208:209], v[208:209], v[212:213]
	s_delay_alu instid0(VALU_DEP_2) | instskip(NEXT) | instid1(VALU_DEP_2)
	v_add_f64 v[0:1], v[0:1], -v[18:19]
	v_fma_f64 v[208:209], v[210:211], v[16:17], v[208:209]
	v_dual_mov_b32 v18, v212 :: v_dual_mov_b32 v19, v213
	s_delay_alu instid0(VALU_DEP_2)
	v_add_f64 v[2:3], v[2:3], -v[208:209]
.LBB79_325:
	s_or_b32 exec_lo, exec_lo, s3
	s_delay_alu instid0(SALU_CYCLE_1)
	s_mov_b32 s4, exec_lo
	s_waitcnt lgkmcnt(0)
	s_barrier
	buffer_gl0_inv
	v_cmpx_eq_u32_e32 36, v226
	s_cbranch_execz .LBB79_332
; %bb.326:
	ds_store_2addr_b64 v227, v[12:13], v[14:15] offset1:1
	ds_store_2addr_b64 v228, v[8:9], v[10:11] offset0:74 offset1:75
	ds_store_2addr_b64 v228, v[4:5], v[6:7] offset0:76 offset1:77
	;; [unrolled: 1-line block ×3, first 2 shown]
	ds_load_2addr_b64 v[208:211], v227 offset1:1
	s_waitcnt lgkmcnt(0)
	v_cmp_neq_f64_e32 vcc_lo, 0, v[208:209]
	v_cmp_neq_f64_e64 s3, 0, v[210:211]
	s_delay_alu instid0(VALU_DEP_1) | instskip(NEXT) | instid1(SALU_CYCLE_1)
	s_or_b32 s3, vcc_lo, s3
	s_and_b32 exec_lo, exec_lo, s3
	s_cbranch_execz .LBB79_332
; %bb.327:
	v_cmp_gt_f64_e32 vcc_lo, 0, v[208:209]
	v_xor_b32_e32 v212, 0x80000000, v209
	v_xor_b32_e32 v214, 0x80000000, v211
	s_mov_b32 s3, exec_lo
                                        ; implicit-def: $vgpr216_vgpr217
	s_delay_alu instid0(VALU_DEP_2) | instskip(SKIP_4) | instid1(VALU_DEP_1)
	v_cndmask_b32_e32 v213, v209, v212, vcc_lo
	v_cndmask_b32_e32 v212, v208, v208, vcc_lo
	v_cmp_gt_f64_e32 vcc_lo, 0, v[210:211]
	v_cndmask_b32_e32 v215, v211, v214, vcc_lo
	v_cndmask_b32_e32 v214, v210, v210, vcc_lo
	v_cmpx_ngt_f64_e32 v[212:213], v[214:215]
	s_xor_b32 s3, exec_lo, s3
                                        ; implicit-def: $vgpr212_vgpr213_vgpr214_vgpr215
	s_cbranch_execz .LBB79_329
; %bb.328:
	v_div_scale_f64 v[212:213], null, v[210:211], v[210:211], v[208:209]
	v_div_scale_f64 v[218:219], vcc_lo, v[208:209], v[210:211], v[208:209]
	s_delay_alu instid0(VALU_DEP_2) | instskip(SKIP_2) | instid1(VALU_DEP_1)
	v_rcp_f64_e32 v[214:215], v[212:213]
	s_waitcnt_depctr 0xfff
	v_fma_f64 v[216:217], -v[212:213], v[214:215], 1.0
	v_fma_f64 v[214:215], v[214:215], v[216:217], v[214:215]
	s_delay_alu instid0(VALU_DEP_1) | instskip(NEXT) | instid1(VALU_DEP_1)
	v_fma_f64 v[216:217], -v[212:213], v[214:215], 1.0
	v_fma_f64 v[214:215], v[214:215], v[216:217], v[214:215]
	s_delay_alu instid0(VALU_DEP_1) | instskip(NEXT) | instid1(VALU_DEP_1)
	v_mul_f64 v[216:217], v[218:219], v[214:215]
	v_fma_f64 v[212:213], -v[212:213], v[216:217], v[218:219]
	s_delay_alu instid0(VALU_DEP_1) | instskip(NEXT) | instid1(VALU_DEP_1)
	v_div_fmas_f64 v[212:213], v[212:213], v[214:215], v[216:217]
	v_div_fixup_f64 v[212:213], v[212:213], v[210:211], v[208:209]
	s_delay_alu instid0(VALU_DEP_1) | instskip(NEXT) | instid1(VALU_DEP_1)
	v_fma_f64 v[208:209], v[208:209], v[212:213], v[210:211]
	v_div_scale_f64 v[210:211], null, v[208:209], v[208:209], 1.0
	s_delay_alu instid0(VALU_DEP_1) | instskip(SKIP_2) | instid1(VALU_DEP_1)
	v_rcp_f64_e32 v[214:215], v[210:211]
	s_waitcnt_depctr 0xfff
	v_fma_f64 v[216:217], -v[210:211], v[214:215], 1.0
	v_fma_f64 v[214:215], v[214:215], v[216:217], v[214:215]
	s_delay_alu instid0(VALU_DEP_1) | instskip(NEXT) | instid1(VALU_DEP_1)
	v_fma_f64 v[216:217], -v[210:211], v[214:215], 1.0
	v_fma_f64 v[214:215], v[214:215], v[216:217], v[214:215]
	v_div_scale_f64 v[216:217], vcc_lo, 1.0, v[208:209], 1.0
	s_delay_alu instid0(VALU_DEP_1) | instskip(NEXT) | instid1(VALU_DEP_1)
	v_mul_f64 v[218:219], v[216:217], v[214:215]
	v_fma_f64 v[210:211], -v[210:211], v[218:219], v[216:217]
	s_delay_alu instid0(VALU_DEP_1) | instskip(NEXT) | instid1(VALU_DEP_1)
	v_div_fmas_f64 v[210:211], v[210:211], v[214:215], v[218:219]
	v_div_fixup_f64 v[214:215], v[210:211], v[208:209], 1.0
                                        ; implicit-def: $vgpr208_vgpr209
	s_delay_alu instid0(VALU_DEP_1)
	v_mul_f64 v[216:217], v[212:213], v[214:215]
	v_xor_b32_e32 v215, 0x80000000, v215
.LBB79_329:
	s_and_not1_saveexec_b32 s3, s3
	s_cbranch_execz .LBB79_331
; %bb.330:
	v_div_scale_f64 v[212:213], null, v[208:209], v[208:209], v[210:211]
	v_div_scale_f64 v[218:219], vcc_lo, v[210:211], v[208:209], v[210:211]
	s_delay_alu instid0(VALU_DEP_2) | instskip(SKIP_2) | instid1(VALU_DEP_1)
	v_rcp_f64_e32 v[214:215], v[212:213]
	s_waitcnt_depctr 0xfff
	v_fma_f64 v[216:217], -v[212:213], v[214:215], 1.0
	v_fma_f64 v[214:215], v[214:215], v[216:217], v[214:215]
	s_delay_alu instid0(VALU_DEP_1) | instskip(NEXT) | instid1(VALU_DEP_1)
	v_fma_f64 v[216:217], -v[212:213], v[214:215], 1.0
	v_fma_f64 v[214:215], v[214:215], v[216:217], v[214:215]
	s_delay_alu instid0(VALU_DEP_1) | instskip(NEXT) | instid1(VALU_DEP_1)
	v_mul_f64 v[216:217], v[218:219], v[214:215]
	v_fma_f64 v[212:213], -v[212:213], v[216:217], v[218:219]
	s_delay_alu instid0(VALU_DEP_1) | instskip(NEXT) | instid1(VALU_DEP_1)
	v_div_fmas_f64 v[212:213], v[212:213], v[214:215], v[216:217]
	v_div_fixup_f64 v[212:213], v[212:213], v[208:209], v[210:211]
	s_delay_alu instid0(VALU_DEP_1) | instskip(NEXT) | instid1(VALU_DEP_1)
	v_fma_f64 v[208:209], v[210:211], v[212:213], v[208:209]
	v_div_scale_f64 v[210:211], null, v[208:209], v[208:209], 1.0
	s_delay_alu instid0(VALU_DEP_1) | instskip(SKIP_2) | instid1(VALU_DEP_1)
	v_rcp_f64_e32 v[214:215], v[210:211]
	s_waitcnt_depctr 0xfff
	v_fma_f64 v[216:217], -v[210:211], v[214:215], 1.0
	v_fma_f64 v[214:215], v[214:215], v[216:217], v[214:215]
	s_delay_alu instid0(VALU_DEP_1) | instskip(NEXT) | instid1(VALU_DEP_1)
	v_fma_f64 v[216:217], -v[210:211], v[214:215], 1.0
	v_fma_f64 v[214:215], v[214:215], v[216:217], v[214:215]
	v_div_scale_f64 v[216:217], vcc_lo, 1.0, v[208:209], 1.0
	s_delay_alu instid0(VALU_DEP_1) | instskip(NEXT) | instid1(VALU_DEP_1)
	v_mul_f64 v[218:219], v[216:217], v[214:215]
	v_fma_f64 v[210:211], -v[210:211], v[218:219], v[216:217]
	s_delay_alu instid0(VALU_DEP_1) | instskip(NEXT) | instid1(VALU_DEP_1)
	v_div_fmas_f64 v[210:211], v[210:211], v[214:215], v[218:219]
	v_div_fixup_f64 v[216:217], v[210:211], v[208:209], 1.0
	s_delay_alu instid0(VALU_DEP_1)
	v_mul_f64 v[214:215], v[212:213], -v[216:217]
.LBB79_331:
	s_or_b32 exec_lo, exec_lo, s3
	ds_store_2addr_b64 v227, v[216:217], v[214:215] offset1:1
.LBB79_332:
	s_or_b32 exec_lo, exec_lo, s4
	s_waitcnt lgkmcnt(0)
	s_barrier
	buffer_gl0_inv
	ds_load_2addr_b64 v[208:211], v227 offset1:1
	s_mov_b32 s3, exec_lo
	v_cmpx_lt_u32_e32 36, v226
	s_cbranch_execz .LBB79_334
; %bb.333:
	s_waitcnt lgkmcnt(0)
	v_mul_f64 v[212:213], v[208:209], v[14:15]
	v_mul_f64 v[14:15], v[210:211], v[14:15]
	s_delay_alu instid0(VALU_DEP_2) | instskip(SKIP_4) | instid1(VALU_DEP_1)
	v_fma_f64 v[216:217], v[210:211], v[12:13], v[212:213]
	ds_load_2addr_b64 v[212:215], v228 offset0:74 offset1:75
	v_fma_f64 v[12:13], v[208:209], v[12:13], -v[14:15]
	s_waitcnt lgkmcnt(0)
	v_mul_f64 v[14:15], v[214:215], v[216:217]
	v_fma_f64 v[14:15], v[212:213], v[12:13], -v[14:15]
	v_mul_f64 v[212:213], v[212:213], v[216:217]
	s_delay_alu instid0(VALU_DEP_2) | instskip(NEXT) | instid1(VALU_DEP_2)
	v_add_f64 v[8:9], v[8:9], -v[14:15]
	v_fma_f64 v[212:213], v[214:215], v[12:13], v[212:213]
	s_delay_alu instid0(VALU_DEP_1) | instskip(SKIP_3) | instid1(VALU_DEP_1)
	v_add_f64 v[10:11], v[10:11], -v[212:213]
	ds_load_2addr_b64 v[212:215], v228 offset0:76 offset1:77
	s_waitcnt lgkmcnt(0)
	v_mul_f64 v[14:15], v[214:215], v[216:217]
	v_fma_f64 v[14:15], v[212:213], v[12:13], -v[14:15]
	v_mul_f64 v[212:213], v[212:213], v[216:217]
	s_delay_alu instid0(VALU_DEP_2) | instskip(NEXT) | instid1(VALU_DEP_2)
	v_add_f64 v[4:5], v[4:5], -v[14:15]
	v_fma_f64 v[212:213], v[214:215], v[12:13], v[212:213]
	s_delay_alu instid0(VALU_DEP_1) | instskip(SKIP_3) | instid1(VALU_DEP_1)
	v_add_f64 v[6:7], v[6:7], -v[212:213]
	ds_load_2addr_b64 v[212:215], v228 offset0:78 offset1:79
	s_waitcnt lgkmcnt(0)
	v_mul_f64 v[14:15], v[214:215], v[216:217]
	v_fma_f64 v[14:15], v[212:213], v[12:13], -v[14:15]
	v_mul_f64 v[212:213], v[212:213], v[216:217]
	s_delay_alu instid0(VALU_DEP_2) | instskip(NEXT) | instid1(VALU_DEP_2)
	v_add_f64 v[0:1], v[0:1], -v[14:15]
	v_fma_f64 v[212:213], v[214:215], v[12:13], v[212:213]
	v_dual_mov_b32 v14, v216 :: v_dual_mov_b32 v15, v217
	s_delay_alu instid0(VALU_DEP_2)
	v_add_f64 v[2:3], v[2:3], -v[212:213]
.LBB79_334:
	s_or_b32 exec_lo, exec_lo, s3
	s_delay_alu instid0(SALU_CYCLE_1)
	s_mov_b32 s4, exec_lo
	s_waitcnt lgkmcnt(0)
	s_barrier
	buffer_gl0_inv
	v_cmpx_eq_u32_e32 37, v226
	s_cbranch_execz .LBB79_341
; %bb.335:
	ds_store_2addr_b64 v227, v[8:9], v[10:11] offset1:1
	ds_store_2addr_b64 v228, v[4:5], v[6:7] offset0:76 offset1:77
	ds_store_2addr_b64 v228, v[0:1], v[2:3] offset0:78 offset1:79
	ds_load_2addr_b64 v[212:215], v227 offset1:1
	s_waitcnt lgkmcnt(0)
	v_cmp_neq_f64_e32 vcc_lo, 0, v[212:213]
	v_cmp_neq_f64_e64 s3, 0, v[214:215]
	s_delay_alu instid0(VALU_DEP_1) | instskip(NEXT) | instid1(SALU_CYCLE_1)
	s_or_b32 s3, vcc_lo, s3
	s_and_b32 exec_lo, exec_lo, s3
	s_cbranch_execz .LBB79_341
; %bb.336:
	v_cmp_gt_f64_e32 vcc_lo, 0, v[212:213]
	v_xor_b32_e32 v216, 0x80000000, v213
	v_xor_b32_e32 v218, 0x80000000, v215
	s_mov_b32 s3, exec_lo
                                        ; implicit-def: $vgpr220_vgpr221
	s_delay_alu instid0(VALU_DEP_2) | instskip(SKIP_4) | instid1(VALU_DEP_1)
	v_cndmask_b32_e32 v217, v213, v216, vcc_lo
	v_cndmask_b32_e32 v216, v212, v212, vcc_lo
	v_cmp_gt_f64_e32 vcc_lo, 0, v[214:215]
	v_cndmask_b32_e32 v219, v215, v218, vcc_lo
	v_cndmask_b32_e32 v218, v214, v214, vcc_lo
	v_cmpx_ngt_f64_e32 v[216:217], v[218:219]
	s_xor_b32 s3, exec_lo, s3
                                        ; implicit-def: $vgpr216_vgpr217_vgpr218_vgpr219
	s_cbranch_execz .LBB79_338
; %bb.337:
	v_div_scale_f64 v[216:217], null, v[214:215], v[214:215], v[212:213]
	v_div_scale_f64 v[222:223], vcc_lo, v[212:213], v[214:215], v[212:213]
	s_delay_alu instid0(VALU_DEP_2) | instskip(SKIP_2) | instid1(VALU_DEP_1)
	v_rcp_f64_e32 v[218:219], v[216:217]
	s_waitcnt_depctr 0xfff
	v_fma_f64 v[220:221], -v[216:217], v[218:219], 1.0
	v_fma_f64 v[218:219], v[218:219], v[220:221], v[218:219]
	s_delay_alu instid0(VALU_DEP_1) | instskip(NEXT) | instid1(VALU_DEP_1)
	v_fma_f64 v[220:221], -v[216:217], v[218:219], 1.0
	v_fma_f64 v[218:219], v[218:219], v[220:221], v[218:219]
	s_delay_alu instid0(VALU_DEP_1) | instskip(NEXT) | instid1(VALU_DEP_1)
	v_mul_f64 v[220:221], v[222:223], v[218:219]
	v_fma_f64 v[216:217], -v[216:217], v[220:221], v[222:223]
	s_delay_alu instid0(VALU_DEP_1) | instskip(NEXT) | instid1(VALU_DEP_1)
	v_div_fmas_f64 v[216:217], v[216:217], v[218:219], v[220:221]
	v_div_fixup_f64 v[216:217], v[216:217], v[214:215], v[212:213]
	s_delay_alu instid0(VALU_DEP_1) | instskip(NEXT) | instid1(VALU_DEP_1)
	v_fma_f64 v[212:213], v[212:213], v[216:217], v[214:215]
	v_div_scale_f64 v[214:215], null, v[212:213], v[212:213], 1.0
	s_delay_alu instid0(VALU_DEP_1) | instskip(SKIP_2) | instid1(VALU_DEP_1)
	v_rcp_f64_e32 v[218:219], v[214:215]
	s_waitcnt_depctr 0xfff
	v_fma_f64 v[220:221], -v[214:215], v[218:219], 1.0
	v_fma_f64 v[218:219], v[218:219], v[220:221], v[218:219]
	s_delay_alu instid0(VALU_DEP_1) | instskip(NEXT) | instid1(VALU_DEP_1)
	v_fma_f64 v[220:221], -v[214:215], v[218:219], 1.0
	v_fma_f64 v[218:219], v[218:219], v[220:221], v[218:219]
	v_div_scale_f64 v[220:221], vcc_lo, 1.0, v[212:213], 1.0
	s_delay_alu instid0(VALU_DEP_1) | instskip(NEXT) | instid1(VALU_DEP_1)
	v_mul_f64 v[222:223], v[220:221], v[218:219]
	v_fma_f64 v[214:215], -v[214:215], v[222:223], v[220:221]
	s_delay_alu instid0(VALU_DEP_1) | instskip(NEXT) | instid1(VALU_DEP_1)
	v_div_fmas_f64 v[214:215], v[214:215], v[218:219], v[222:223]
	v_div_fixup_f64 v[218:219], v[214:215], v[212:213], 1.0
                                        ; implicit-def: $vgpr212_vgpr213
	s_delay_alu instid0(VALU_DEP_1)
	v_mul_f64 v[220:221], v[216:217], v[218:219]
	v_xor_b32_e32 v219, 0x80000000, v219
.LBB79_338:
	s_and_not1_saveexec_b32 s3, s3
	s_cbranch_execz .LBB79_340
; %bb.339:
	v_div_scale_f64 v[216:217], null, v[212:213], v[212:213], v[214:215]
	v_div_scale_f64 v[222:223], vcc_lo, v[214:215], v[212:213], v[214:215]
	s_delay_alu instid0(VALU_DEP_2) | instskip(SKIP_2) | instid1(VALU_DEP_1)
	v_rcp_f64_e32 v[218:219], v[216:217]
	s_waitcnt_depctr 0xfff
	v_fma_f64 v[220:221], -v[216:217], v[218:219], 1.0
	v_fma_f64 v[218:219], v[218:219], v[220:221], v[218:219]
	s_delay_alu instid0(VALU_DEP_1) | instskip(NEXT) | instid1(VALU_DEP_1)
	v_fma_f64 v[220:221], -v[216:217], v[218:219], 1.0
	v_fma_f64 v[218:219], v[218:219], v[220:221], v[218:219]
	s_delay_alu instid0(VALU_DEP_1) | instskip(NEXT) | instid1(VALU_DEP_1)
	v_mul_f64 v[220:221], v[222:223], v[218:219]
	v_fma_f64 v[216:217], -v[216:217], v[220:221], v[222:223]
	s_delay_alu instid0(VALU_DEP_1) | instskip(NEXT) | instid1(VALU_DEP_1)
	v_div_fmas_f64 v[216:217], v[216:217], v[218:219], v[220:221]
	v_div_fixup_f64 v[216:217], v[216:217], v[212:213], v[214:215]
	s_delay_alu instid0(VALU_DEP_1) | instskip(NEXT) | instid1(VALU_DEP_1)
	v_fma_f64 v[212:213], v[214:215], v[216:217], v[212:213]
	v_div_scale_f64 v[214:215], null, v[212:213], v[212:213], 1.0
	s_delay_alu instid0(VALU_DEP_1) | instskip(SKIP_2) | instid1(VALU_DEP_1)
	v_rcp_f64_e32 v[218:219], v[214:215]
	s_waitcnt_depctr 0xfff
	v_fma_f64 v[220:221], -v[214:215], v[218:219], 1.0
	v_fma_f64 v[218:219], v[218:219], v[220:221], v[218:219]
	s_delay_alu instid0(VALU_DEP_1) | instskip(NEXT) | instid1(VALU_DEP_1)
	v_fma_f64 v[220:221], -v[214:215], v[218:219], 1.0
	v_fma_f64 v[218:219], v[218:219], v[220:221], v[218:219]
	v_div_scale_f64 v[220:221], vcc_lo, 1.0, v[212:213], 1.0
	s_delay_alu instid0(VALU_DEP_1) | instskip(NEXT) | instid1(VALU_DEP_1)
	v_mul_f64 v[222:223], v[220:221], v[218:219]
	v_fma_f64 v[214:215], -v[214:215], v[222:223], v[220:221]
	s_delay_alu instid0(VALU_DEP_1) | instskip(NEXT) | instid1(VALU_DEP_1)
	v_div_fmas_f64 v[214:215], v[214:215], v[218:219], v[222:223]
	v_div_fixup_f64 v[220:221], v[214:215], v[212:213], 1.0
	s_delay_alu instid0(VALU_DEP_1)
	v_mul_f64 v[218:219], v[216:217], -v[220:221]
.LBB79_340:
	s_or_b32 exec_lo, exec_lo, s3
	ds_store_2addr_b64 v227, v[220:221], v[218:219] offset1:1
.LBB79_341:
	s_or_b32 exec_lo, exec_lo, s4
	s_waitcnt lgkmcnt(0)
	s_barrier
	buffer_gl0_inv
	ds_load_2addr_b64 v[212:215], v227 offset1:1
	s_mov_b32 s3, exec_lo
	v_cmpx_lt_u32_e32 37, v226
	s_cbranch_execz .LBB79_343
; %bb.342:
	s_waitcnt lgkmcnt(0)
	v_mul_f64 v[216:217], v[212:213], v[10:11]
	v_mul_f64 v[10:11], v[214:215], v[10:11]
	s_delay_alu instid0(VALU_DEP_2) | instskip(SKIP_4) | instid1(VALU_DEP_1)
	v_fma_f64 v[220:221], v[214:215], v[8:9], v[216:217]
	ds_load_2addr_b64 v[216:219], v228 offset0:76 offset1:77
	v_fma_f64 v[8:9], v[212:213], v[8:9], -v[10:11]
	s_waitcnt lgkmcnt(0)
	v_mul_f64 v[10:11], v[218:219], v[220:221]
	v_fma_f64 v[10:11], v[216:217], v[8:9], -v[10:11]
	v_mul_f64 v[216:217], v[216:217], v[220:221]
	s_delay_alu instid0(VALU_DEP_2) | instskip(NEXT) | instid1(VALU_DEP_2)
	v_add_f64 v[4:5], v[4:5], -v[10:11]
	v_fma_f64 v[216:217], v[218:219], v[8:9], v[216:217]
	s_delay_alu instid0(VALU_DEP_1) | instskip(SKIP_3) | instid1(VALU_DEP_1)
	v_add_f64 v[6:7], v[6:7], -v[216:217]
	ds_load_2addr_b64 v[216:219], v228 offset0:78 offset1:79
	s_waitcnt lgkmcnt(0)
	v_mul_f64 v[10:11], v[218:219], v[220:221]
	v_fma_f64 v[10:11], v[216:217], v[8:9], -v[10:11]
	v_mul_f64 v[216:217], v[216:217], v[220:221]
	s_delay_alu instid0(VALU_DEP_2) | instskip(NEXT) | instid1(VALU_DEP_2)
	v_add_f64 v[0:1], v[0:1], -v[10:11]
	v_fma_f64 v[216:217], v[218:219], v[8:9], v[216:217]
	v_dual_mov_b32 v10, v220 :: v_dual_mov_b32 v11, v221
	s_delay_alu instid0(VALU_DEP_2)
	v_add_f64 v[2:3], v[2:3], -v[216:217]
.LBB79_343:
	s_or_b32 exec_lo, exec_lo, s3
	s_delay_alu instid0(SALU_CYCLE_1)
	s_mov_b32 s4, exec_lo
	s_waitcnt lgkmcnt(0)
	s_barrier
	buffer_gl0_inv
	v_cmpx_eq_u32_e32 38, v226
	s_cbranch_execz .LBB79_350
; %bb.344:
	ds_store_2addr_b64 v227, v[4:5], v[6:7] offset1:1
	ds_store_2addr_b64 v228, v[0:1], v[2:3] offset0:78 offset1:79
	ds_load_2addr_b64 v[216:219], v227 offset1:1
	s_waitcnt lgkmcnt(0)
	v_cmp_neq_f64_e32 vcc_lo, 0, v[216:217]
	v_cmp_neq_f64_e64 s3, 0, v[218:219]
	s_delay_alu instid0(VALU_DEP_1) | instskip(NEXT) | instid1(SALU_CYCLE_1)
	s_or_b32 s3, vcc_lo, s3
	s_and_b32 exec_lo, exec_lo, s3
	s_cbranch_execz .LBB79_350
; %bb.345:
	v_cmp_gt_f64_e32 vcc_lo, 0, v[216:217]
	v_xor_b32_e32 v220, 0x80000000, v217
	v_xor_b32_e32 v222, 0x80000000, v219
	s_mov_b32 s3, exec_lo
                                        ; implicit-def: $vgpr224_vgpr225
	s_delay_alu instid0(VALU_DEP_2) | instskip(SKIP_4) | instid1(VALU_DEP_1)
	v_cndmask_b32_e32 v221, v217, v220, vcc_lo
	v_cndmask_b32_e32 v220, v216, v216, vcc_lo
	v_cmp_gt_f64_e32 vcc_lo, 0, v[218:219]
	v_cndmask_b32_e32 v223, v219, v222, vcc_lo
	v_cndmask_b32_e32 v222, v218, v218, vcc_lo
	v_cmpx_ngt_f64_e32 v[220:221], v[222:223]
	s_xor_b32 s3, exec_lo, s3
                                        ; implicit-def: $vgpr220_vgpr221_vgpr222_vgpr223
	s_cbranch_execz .LBB79_347
; %bb.346:
	v_div_scale_f64 v[220:221], null, v[218:219], v[218:219], v[216:217]
	v_dual_mov_b32 v160, v229 :: v_dual_mov_b32 v161, v230
	v_div_scale_f64 v[229:230], vcc_lo, v[216:217], v[218:219], v[216:217]
	s_delay_alu instid0(VALU_DEP_3) | instskip(SKIP_2) | instid1(VALU_DEP_1)
	v_rcp_f64_e32 v[222:223], v[220:221]
	s_waitcnt_depctr 0xfff
	v_fma_f64 v[224:225], -v[220:221], v[222:223], 1.0
	v_fma_f64 v[222:223], v[222:223], v[224:225], v[222:223]
	s_delay_alu instid0(VALU_DEP_1) | instskip(NEXT) | instid1(VALU_DEP_1)
	v_fma_f64 v[224:225], -v[220:221], v[222:223], 1.0
	v_fma_f64 v[222:223], v[222:223], v[224:225], v[222:223]
	s_delay_alu instid0(VALU_DEP_1) | instskip(NEXT) | instid1(VALU_DEP_1)
	v_mul_f64 v[224:225], v[229:230], v[222:223]
	v_fma_f64 v[220:221], -v[220:221], v[224:225], v[229:230]
	s_delay_alu instid0(VALU_DEP_1) | instskip(NEXT) | instid1(VALU_DEP_1)
	v_div_fmas_f64 v[220:221], v[220:221], v[222:223], v[224:225]
	v_div_fixup_f64 v[220:221], v[220:221], v[218:219], v[216:217]
	s_delay_alu instid0(VALU_DEP_1) | instskip(NEXT) | instid1(VALU_DEP_1)
	v_fma_f64 v[216:217], v[216:217], v[220:221], v[218:219]
	v_div_scale_f64 v[218:219], null, v[216:217], v[216:217], 1.0
	s_delay_alu instid0(VALU_DEP_1) | instskip(SKIP_2) | instid1(VALU_DEP_1)
	v_rcp_f64_e32 v[222:223], v[218:219]
	s_waitcnt_depctr 0xfff
	v_fma_f64 v[224:225], -v[218:219], v[222:223], 1.0
	v_fma_f64 v[222:223], v[222:223], v[224:225], v[222:223]
	s_delay_alu instid0(VALU_DEP_1) | instskip(NEXT) | instid1(VALU_DEP_1)
	v_fma_f64 v[224:225], -v[218:219], v[222:223], 1.0
	v_fma_f64 v[222:223], v[222:223], v[224:225], v[222:223]
	v_div_scale_f64 v[224:225], vcc_lo, 1.0, v[216:217], 1.0
	s_delay_alu instid0(VALU_DEP_1) | instskip(NEXT) | instid1(VALU_DEP_1)
	v_mul_f64 v[229:230], v[224:225], v[222:223]
	v_fma_f64 v[218:219], -v[218:219], v[229:230], v[224:225]
	s_delay_alu instid0(VALU_DEP_1) | instskip(SKIP_1) | instid1(VALU_DEP_2)
	v_div_fmas_f64 v[218:219], v[218:219], v[222:223], v[229:230]
	v_dual_mov_b32 v230, v161 :: v_dual_mov_b32 v229, v160
	v_div_fixup_f64 v[222:223], v[218:219], v[216:217], 1.0
                                        ; implicit-def: $vgpr216_vgpr217
	s_delay_alu instid0(VALU_DEP_1)
	v_mul_f64 v[224:225], v[220:221], v[222:223]
	v_xor_b32_e32 v223, 0x80000000, v223
.LBB79_347:
	s_and_not1_saveexec_b32 s3, s3
	s_cbranch_execz .LBB79_349
; %bb.348:
	v_div_scale_f64 v[220:221], null, v[216:217], v[216:217], v[218:219]
	v_dual_mov_b32 v160, v229 :: v_dual_mov_b32 v161, v230
	v_div_scale_f64 v[229:230], vcc_lo, v[218:219], v[216:217], v[218:219]
	s_delay_alu instid0(VALU_DEP_3) | instskip(SKIP_2) | instid1(VALU_DEP_1)
	v_rcp_f64_e32 v[222:223], v[220:221]
	s_waitcnt_depctr 0xfff
	v_fma_f64 v[224:225], -v[220:221], v[222:223], 1.0
	v_fma_f64 v[222:223], v[222:223], v[224:225], v[222:223]
	s_delay_alu instid0(VALU_DEP_1) | instskip(NEXT) | instid1(VALU_DEP_1)
	v_fma_f64 v[224:225], -v[220:221], v[222:223], 1.0
	v_fma_f64 v[222:223], v[222:223], v[224:225], v[222:223]
	s_delay_alu instid0(VALU_DEP_1) | instskip(NEXT) | instid1(VALU_DEP_1)
	v_mul_f64 v[224:225], v[229:230], v[222:223]
	v_fma_f64 v[220:221], -v[220:221], v[224:225], v[229:230]
	s_delay_alu instid0(VALU_DEP_1) | instskip(NEXT) | instid1(VALU_DEP_1)
	v_div_fmas_f64 v[220:221], v[220:221], v[222:223], v[224:225]
	v_div_fixup_f64 v[220:221], v[220:221], v[216:217], v[218:219]
	s_delay_alu instid0(VALU_DEP_1) | instskip(NEXT) | instid1(VALU_DEP_1)
	v_fma_f64 v[216:217], v[218:219], v[220:221], v[216:217]
	v_div_scale_f64 v[218:219], null, v[216:217], v[216:217], 1.0
	s_delay_alu instid0(VALU_DEP_1) | instskip(SKIP_2) | instid1(VALU_DEP_1)
	v_rcp_f64_e32 v[222:223], v[218:219]
	s_waitcnt_depctr 0xfff
	v_fma_f64 v[224:225], -v[218:219], v[222:223], 1.0
	v_fma_f64 v[222:223], v[222:223], v[224:225], v[222:223]
	s_delay_alu instid0(VALU_DEP_1) | instskip(NEXT) | instid1(VALU_DEP_1)
	v_fma_f64 v[224:225], -v[218:219], v[222:223], 1.0
	v_fma_f64 v[222:223], v[222:223], v[224:225], v[222:223]
	v_div_scale_f64 v[224:225], vcc_lo, 1.0, v[216:217], 1.0
	s_delay_alu instid0(VALU_DEP_1) | instskip(NEXT) | instid1(VALU_DEP_1)
	v_mul_f64 v[229:230], v[224:225], v[222:223]
	v_fma_f64 v[218:219], -v[218:219], v[229:230], v[224:225]
	s_delay_alu instid0(VALU_DEP_1) | instskip(SKIP_1) | instid1(VALU_DEP_2)
	v_div_fmas_f64 v[218:219], v[218:219], v[222:223], v[229:230]
	v_dual_mov_b32 v230, v161 :: v_dual_mov_b32 v229, v160
	v_div_fixup_f64 v[224:225], v[218:219], v[216:217], 1.0
	s_delay_alu instid0(VALU_DEP_1)
	v_mul_f64 v[222:223], v[220:221], -v[224:225]
.LBB79_349:
	s_or_b32 exec_lo, exec_lo, s3
	ds_store_2addr_b64 v227, v[224:225], v[222:223] offset1:1
.LBB79_350:
	s_or_b32 exec_lo, exec_lo, s4
	s_waitcnt lgkmcnt(0)
	s_barrier
	buffer_gl0_inv
	ds_load_2addr_b64 v[216:219], v227 offset1:1
	s_mov_b32 s3, exec_lo
	v_cmpx_lt_u32_e32 38, v226
	s_cbranch_execz .LBB79_352
; %bb.351:
	s_waitcnt lgkmcnt(0)
	v_mul_f64 v[220:221], v[216:217], v[6:7]
	v_mul_f64 v[6:7], v[218:219], v[6:7]
	s_delay_alu instid0(VALU_DEP_2) | instskip(SKIP_4) | instid1(VALU_DEP_1)
	v_fma_f64 v[224:225], v[218:219], v[4:5], v[220:221]
	ds_load_2addr_b64 v[220:223], v228 offset0:78 offset1:79
	v_fma_f64 v[4:5], v[216:217], v[4:5], -v[6:7]
	s_waitcnt lgkmcnt(0)
	v_mul_f64 v[6:7], v[222:223], v[224:225]
	v_fma_f64 v[6:7], v[220:221], v[4:5], -v[6:7]
	v_mul_f64 v[220:221], v[220:221], v[224:225]
	s_delay_alu instid0(VALU_DEP_2) | instskip(NEXT) | instid1(VALU_DEP_2)
	v_add_f64 v[0:1], v[0:1], -v[6:7]
	v_fma_f64 v[220:221], v[222:223], v[4:5], v[220:221]
	v_dual_mov_b32 v6, v224 :: v_dual_mov_b32 v7, v225
	s_delay_alu instid0(VALU_DEP_2)
	v_add_f64 v[2:3], v[2:3], -v[220:221]
.LBB79_352:
	s_or_b32 exec_lo, exec_lo, s3
	s_delay_alu instid0(SALU_CYCLE_1)
	s_mov_b32 s4, exec_lo
	s_waitcnt lgkmcnt(0)
	s_barrier
	buffer_gl0_inv
	v_cmpx_eq_u32_e32 39, v226
	s_cbranch_execz .LBB79_359
; %bb.353:
	v_cmp_neq_f64_e32 vcc_lo, 0, v[0:1]
	v_cmp_neq_f64_e64 s3, 0, v[2:3]
	ds_store_2addr_b64 v227, v[0:1], v[2:3] offset1:1
	s_or_b32 s3, vcc_lo, s3
	s_delay_alu instid0(SALU_CYCLE_1)
	s_and_b32 exec_lo, exec_lo, s3
	s_cbranch_execz .LBB79_359
; %bb.354:
	v_cmp_gt_f64_e32 vcc_lo, 0, v[0:1]
	v_xor_b32_e32 v220, 0x80000000, v1
	v_xor_b32_e32 v222, 0x80000000, v3
	s_mov_b32 s3, exec_lo
                                        ; implicit-def: $vgpr224_vgpr225
	s_delay_alu instid0(VALU_DEP_2) | instskip(SKIP_4) | instid1(VALU_DEP_1)
	v_cndmask_b32_e32 v221, v1, v220, vcc_lo
	v_cndmask_b32_e32 v220, v0, v0, vcc_lo
	v_cmp_gt_f64_e32 vcc_lo, 0, v[2:3]
	v_cndmask_b32_e32 v223, v3, v222, vcc_lo
	v_cndmask_b32_e32 v222, v2, v2, vcc_lo
	v_cmpx_ngt_f64_e32 v[220:221], v[222:223]
	s_xor_b32 s3, exec_lo, s3
                                        ; implicit-def: $vgpr220_vgpr221_vgpr222_vgpr223
	s_cbranch_execz .LBB79_356
; %bb.355:
	v_div_scale_f64 v[220:221], null, v[2:3], v[2:3], v[0:1]
	v_mov_b32_e32 v185, v183
	v_dual_mov_b32 v184, v182 :: v_dual_mov_b32 v183, v181
	v_dual_mov_b32 v182, v180 :: v_dual_mov_b32 v181, v179
	;; [unrolled: 1-line block ×9, first 2 shown]
	v_mov_b32_e32 v162, v235
	v_mov_b32_e32 v166, v164
	v_dual_mov_b32 v164, v229 :: v_dual_mov_b32 v163, v236
	v_mov_b32_e32 v165, v230
	v_div_scale_f64 v[228:229], vcc_lo, v[0:1], v[2:3], v[0:1]
	v_dual_mov_b32 v236, v232 :: v_dual_mov_b32 v235, v231
	v_rcp_f64_e32 v[222:223], v[220:221]
	s_waitcnt_depctr 0xfff
	v_fma_f64 v[224:225], -v[220:221], v[222:223], 1.0
	s_delay_alu instid0(VALU_DEP_1) | instskip(NEXT) | instid1(VALU_DEP_1)
	v_fma_f64 v[222:223], v[222:223], v[224:225], v[222:223]
	v_fma_f64 v[224:225], -v[220:221], v[222:223], 1.0
	s_delay_alu instid0(VALU_DEP_1) | instskip(NEXT) | instid1(VALU_DEP_1)
	v_fma_f64 v[222:223], v[222:223], v[224:225], v[222:223]
	v_mul_f64 v[224:225], v[228:229], v[222:223]
	s_delay_alu instid0(VALU_DEP_1) | instskip(NEXT) | instid1(VALU_DEP_1)
	v_fma_f64 v[220:221], -v[220:221], v[224:225], v[228:229]
	v_div_fmas_f64 v[220:221], v[220:221], v[222:223], v[224:225]
	s_delay_alu instid0(VALU_DEP_1) | instskip(NEXT) | instid1(VALU_DEP_1)
	v_div_fixup_f64 v[220:221], v[220:221], v[2:3], v[0:1]
	v_fma_f64 v[222:223], v[0:1], v[220:221], v[2:3]
	s_delay_alu instid0(VALU_DEP_1) | instskip(NEXT) | instid1(VALU_DEP_1)
	v_div_scale_f64 v[224:225], null, v[222:223], v[222:223], 1.0
	v_rcp_f64_e32 v[228:229], v[224:225]
	s_waitcnt_depctr 0xfff
	v_fma_f64 v[230:231], -v[224:225], v[228:229], 1.0
	s_delay_alu instid0(VALU_DEP_1) | instskip(NEXT) | instid1(VALU_DEP_1)
	v_fma_f64 v[228:229], v[228:229], v[230:231], v[228:229]
	v_fma_f64 v[230:231], -v[224:225], v[228:229], 1.0
	s_delay_alu instid0(VALU_DEP_1) | instskip(SKIP_1) | instid1(VALU_DEP_1)
	v_fma_f64 v[228:229], v[228:229], v[230:231], v[228:229]
	v_div_scale_f64 v[230:231], vcc_lo, 1.0, v[222:223], 1.0
	v_mul_f64 v[160:161], v[230:231], v[228:229]
	s_delay_alu instid0(VALU_DEP_1) | instskip(SKIP_2) | instid1(VALU_DEP_3)
	v_fma_f64 v[224:225], -v[224:225], v[160:161], v[230:231]
	v_dual_mov_b32 v231, v235 :: v_dual_mov_b32 v232, v236
	v_dual_mov_b32 v236, v163 :: v_dual_mov_b32 v235, v162
	v_div_fmas_f64 v[224:225], v[224:225], v[228:229], v[160:161]
	v_dual_mov_b32 v230, v165 :: v_dual_mov_b32 v229, v164
	v_mov_b32_e32 v164, v166
	v_dual_mov_b32 v165, v167 :: v_dual_mov_b32 v166, v168
	v_dual_mov_b32 v167, v169 :: v_dual_mov_b32 v168, v170
	;; [unrolled: 1-line block ×9, first 2 shown]
	v_mov_b32_e32 v183, v185
	v_div_fixup_f64 v[222:223], v[224:225], v[222:223], 1.0
	s_delay_alu instid0(VALU_DEP_1)
	v_mul_f64 v[224:225], v[220:221], v[222:223]
	v_xor_b32_e32 v223, 0x80000000, v223
.LBB79_356:
	s_and_not1_saveexec_b32 s3, s3
	s_cbranch_execz .LBB79_358
; %bb.357:
	v_div_scale_f64 v[220:221], null, v[0:1], v[0:1], v[2:3]
	v_dual_mov_b32 v162, v229 :: v_dual_mov_b32 v163, v230
	v_div_scale_f64 v[228:229], vcc_lo, v[2:3], v[0:1], v[2:3]
	v_dual_mov_b32 v160, v235 :: v_dual_mov_b32 v161, v236
	v_dual_mov_b32 v237, v234 :: v_dual_mov_b32 v236, v233
	;; [unrolled: 1-line block ×3, first 2 shown]
	v_rcp_f64_e32 v[222:223], v[220:221]
	s_waitcnt_depctr 0xfff
	v_fma_f64 v[224:225], -v[220:221], v[222:223], 1.0
	s_delay_alu instid0(VALU_DEP_1) | instskip(NEXT) | instid1(VALU_DEP_1)
	v_fma_f64 v[222:223], v[222:223], v[224:225], v[222:223]
	v_fma_f64 v[224:225], -v[220:221], v[222:223], 1.0
	s_delay_alu instid0(VALU_DEP_1) | instskip(NEXT) | instid1(VALU_DEP_1)
	v_fma_f64 v[222:223], v[222:223], v[224:225], v[222:223]
	v_mul_f64 v[224:225], v[228:229], v[222:223]
	s_delay_alu instid0(VALU_DEP_1) | instskip(NEXT) | instid1(VALU_DEP_1)
	v_fma_f64 v[220:221], -v[220:221], v[224:225], v[228:229]
	v_div_fmas_f64 v[220:221], v[220:221], v[222:223], v[224:225]
	s_delay_alu instid0(VALU_DEP_1) | instskip(NEXT) | instid1(VALU_DEP_1)
	v_div_fixup_f64 v[220:221], v[220:221], v[0:1], v[2:3]
	v_fma_f64 v[222:223], v[2:3], v[220:221], v[0:1]
	s_delay_alu instid0(VALU_DEP_1) | instskip(NEXT) | instid1(VALU_DEP_1)
	v_div_scale_f64 v[224:225], null, v[222:223], v[222:223], 1.0
	v_rcp_f64_e32 v[228:229], v[224:225]
	s_waitcnt_depctr 0xfff
	v_fma_f64 v[230:231], -v[224:225], v[228:229], 1.0
	s_delay_alu instid0(VALU_DEP_1) | instskip(NEXT) | instid1(VALU_DEP_1)
	v_fma_f64 v[228:229], v[228:229], v[230:231], v[228:229]
	v_fma_f64 v[230:231], -v[224:225], v[228:229], 1.0
	s_delay_alu instid0(VALU_DEP_1) | instskip(SKIP_1) | instid1(VALU_DEP_1)
	v_fma_f64 v[228:229], v[228:229], v[230:231], v[228:229]
	v_div_scale_f64 v[230:231], vcc_lo, 1.0, v[222:223], 1.0
	v_mul_f64 v[232:233], v[230:231], v[228:229]
	s_delay_alu instid0(VALU_DEP_1) | instskip(NEXT) | instid1(VALU_DEP_1)
	v_fma_f64 v[224:225], -v[224:225], v[232:233], v[230:231]
	v_div_fmas_f64 v[224:225], v[224:225], v[228:229], v[232:233]
	v_dual_mov_b32 v230, v163 :: v_dual_mov_b32 v229, v162
	v_dual_mov_b32 v231, v234 :: v_dual_mov_b32 v232, v235
	;; [unrolled: 1-line block ×4, first 2 shown]
	v_div_fixup_f64 v[224:225], v[224:225], v[222:223], 1.0
	s_delay_alu instid0(VALU_DEP_1)
	v_mul_f64 v[222:223], v[220:221], -v[224:225]
.LBB79_358:
	s_or_b32 exec_lo, exec_lo, s3
	ds_store_2addr_b64 v227, v[224:225], v[222:223] offset1:1
.LBB79_359:
	s_or_b32 exec_lo, exec_lo, s4
	s_waitcnt lgkmcnt(0)
	s_barrier
	buffer_gl0_inv
	ds_load_2addr_b64 v[220:223], v227 offset1:1
	s_mov_b32 s3, exec_lo
	v_cmpx_lt_u32_e32 39, v226
	s_cbranch_execz .LBB79_361
; %bb.360:
	s_waitcnt lgkmcnt(0)
	v_mul_f64 v[224:225], v[222:223], v[2:3]
	v_mul_f64 v[2:3], v[220:221], v[2:3]
	s_delay_alu instid0(VALU_DEP_2) | instskip(NEXT) | instid1(VALU_DEP_2)
	v_fma_f64 v[224:225], v[220:221], v[0:1], -v[224:225]
	v_fma_f64 v[2:3], v[222:223], v[0:1], v[2:3]
	s_delay_alu instid0(VALU_DEP_2)
	v_dual_mov_b32 v0, v224 :: v_dual_mov_b32 v1, v225
.LBB79_361:
	s_or_b32 exec_lo, exec_lo, s3
	s_waitcnt lgkmcnt(0)
	s_barrier
	buffer_gl0_inv
	s_and_saveexec_b32 s12, s2
	s_cbranch_execz .LBB79_364
; %bb.362:
	scratch_load_b128 v[160:163], off, off offset:240 ; 16-byte Folded Reload
	s_waitcnt vmcnt(0)
	v_cmp_eq_f64_e32 vcc_lo, 0, v[160:161]
	v_cmp_eq_f64_e64 s2, 0, v[162:163]
	scratch_load_b128 v[160:163], off, off offset:256 ; 16-byte Folded Reload
	s_and_b32 s2, vcc_lo, s2
	s_delay_alu instid0(SALU_CYCLE_1)
	v_cndmask_b32_e64 v224, 0, 1, s2
	s_waitcnt vmcnt(0)
	v_cmp_neq_f64_e64 s3, 0, v[160:161]
	v_cmp_neq_f64_e64 s4, 0, v[162:163]
	scratch_load_b128 v[160:163], off, off offset:272 ; 16-byte Folded Reload
	s_or_b32 s3, s3, s4
	s_delay_alu instid0(SALU_CYCLE_1) | instskip(SKIP_1) | instid1(VALU_DEP_1)
	s_or_b32 vcc_lo, s3, s2
	v_cndmask_b32_e32 v224, 2, v224, vcc_lo
	v_cmp_eq_u32_e64 s3, 0, v224
	s_waitcnt vmcnt(0)
	v_cmp_eq_f64_e64 s5, 0, v[160:161]
	v_cmp_eq_f64_e64 s6, 0, v[162:163]
	scratch_load_b128 v[160:163], off, off offset:288 ; 16-byte Folded Reload
	s_and_b32 s4, s5, s6
	s_delay_alu instid0(SALU_CYCLE_1) | instskip(NEXT) | instid1(SALU_CYCLE_1)
	s_and_b32 s3, s4, s3
	v_cndmask_b32_e64 v224, v224, 3, s3
	s_delay_alu instid0(VALU_DEP_1)
	v_cmp_eq_u32_e64 s5, 0, v224
	s_waitcnt vmcnt(0)
	v_cmp_eq_f64_e64 s7, 0, v[160:161]
	v_cmp_eq_f64_e64 s8, 0, v[162:163]
	scratch_load_b128 v[160:163], off, off offset:304 ; 16-byte Folded Reload
	s_and_b32 s6, s7, s8
	s_delay_alu instid0(SALU_CYCLE_1) | instskip(NEXT) | instid1(SALU_CYCLE_1)
	s_and_b32 s5, s6, s5
	v_cndmask_b32_e64 v224, v224, 4, s5
	s_delay_alu instid0(VALU_DEP_1)
	v_cmp_eq_u32_e64 s7, 0, v224
	s_waitcnt vmcnt(0)
	v_cmp_eq_f64_e64 s9, 0, v[160:161]
	v_cmp_eq_f64_e64 s10, 0, v[162:163]
	scratch_load_b128 v[160:163], off, off offset:320 ; 16-byte Folded Reload
	s_and_b32 s8, s9, s10
	s_delay_alu instid0(SALU_CYCLE_1) | instskip(NEXT) | instid1(SALU_CYCLE_1)
	s_and_b32 s7, s8, s7
	v_cndmask_b32_e64 v224, v224, 5, s7
	s_delay_alu instid0(VALU_DEP_1)
	v_cmp_eq_u32_e64 s9, 0, v224
	s_waitcnt vmcnt(0)
	v_cmp_eq_f64_e32 vcc_lo, 0, v[160:161]
	v_cmp_eq_f64_e64 s2, 0, v[162:163]
	scratch_load_b128 v[160:163], off, off offset:336 ; 16-byte Folded Reload
	s_and_b32 s2, vcc_lo, s2
	s_delay_alu instid0(SALU_CYCLE_1) | instskip(NEXT) | instid1(SALU_CYCLE_1)
	s_and_b32 s2, s2, s9
	v_cndmask_b32_e64 v224, v224, 6, s2
	s_delay_alu instid0(VALU_DEP_1)
	v_cmp_eq_u32_e32 vcc_lo, 0, v224
	s_waitcnt vmcnt(0)
	v_cmp_eq_f64_e64 s3, 0, v[160:161]
	v_cmp_eq_f64_e64 s4, 0, v[162:163]
	scratch_load_b128 v[160:163], off, off offset:352 ; 16-byte Folded Reload
	s_and_b32 s4, s3, s4
	s_delay_alu instid0(SALU_CYCLE_1) | instskip(NEXT) | instid1(SALU_CYCLE_1)
	s_and_b32 s4, s4, vcc_lo
	v_cndmask_b32_e64 v224, v224, 7, s4
	s_delay_alu instid0(VALU_DEP_1)
	v_cmp_eq_u32_e32 vcc_lo, 0, v224
	s_waitcnt vmcnt(0)
	v_cmp_eq_f64_e64 s5, 0, v[160:161]
	v_cmp_eq_f64_e64 s6, 0, v[162:163]
	scratch_load_b128 v[160:163], off, off offset:368 ; 16-byte Folded Reload
	s_and_b32 s4, s5, s6
	s_delay_alu instid0(SALU_CYCLE_1) | instskip(NEXT) | instid1(SALU_CYCLE_1)
	s_and_b32 s4, s4, vcc_lo
	v_cndmask_b32_e64 v224, v224, 8, s4
	s_delay_alu instid0(VALU_DEP_1)
	v_cmp_eq_u32_e32 vcc_lo, 0, v224
	s_waitcnt vmcnt(0)
	v_cmp_eq_f64_e64 s7, 0, v[160:161]
	v_cmp_eq_f64_e64 s8, 0, v[162:163]
	scratch_load_b128 v[160:163], off, off offset:384 ; 16-byte Folded Reload
	s_and_b32 s8, s7, s8
	s_load_b64 s[6:7], s[0:1], 0x28
	s_and_b32 s0, s8, vcc_lo
	s_delay_alu instid0(SALU_CYCLE_1) | instskip(NEXT) | instid1(VALU_DEP_1)
	v_cndmask_b32_e64 v224, v224, 9, s0
	v_cmp_eq_u32_e64 s1, 0, v224
	s_waitcnt vmcnt(0)
	v_cmp_eq_f64_e64 s2, 0, v[160:161]
	v_cmp_eq_f64_e64 s9, 0, v[162:163]
	scratch_load_b128 v[160:163], off, off offset:400 ; 16-byte Folded Reload
	s_and_b32 s2, s2, s9
	s_delay_alu instid0(SALU_CYCLE_1) | instskip(NEXT) | instid1(SALU_CYCLE_1)
	s_and_b32 s1, s2, s1
	v_cndmask_b32_e64 v226, v224, 10, s1
	v_lshlrev_b64 v[224:225], 2, v[231:232]
	s_waitcnt lgkmcnt(0)
	s_delay_alu instid0(VALU_DEP_1) | instskip(NEXT) | instid1(VALU_DEP_1)
	v_add_co_u32 v224, s6, s6, v224
	v_add_co_ci_u32_e64 v225, s6, s7, v225, s6
	s_waitcnt vmcnt(0)
	v_cmp_eq_f64_e64 s10, 0, v[160:161]
	v_cmp_eq_f64_e64 s3, 0, v[162:163]
	scratch_load_b128 v[160:163], off, off offset:416 ; 16-byte Folded Reload
	s_and_b32 s8, s10, s3
	v_cmp_eq_u32_e64 s3, 0, v226
	s_delay_alu instid0(VALU_DEP_1) | instskip(NEXT) | instid1(SALU_CYCLE_1)
	s_and_b32 s3, s8, s3
	v_cndmask_b32_e64 v227, v226, 11, s3
	global_load_b32 v226, v[224:225], off
	v_cmp_eq_u32_e64 s7, 0, v227
	s_waitcnt vmcnt(1)
	v_cmp_eq_f64_e64 s4, 0, v[160:161]
	v_cmp_eq_f64_e64 s5, 0, v[162:163]
	scratch_load_b128 v[160:163], off, off offset:432 ; 16-byte Folded Reload
	s_and_b32 s4, s4, s5
	s_delay_alu instid0(SALU_CYCLE_1) | instskip(NEXT) | instid1(SALU_CYCLE_1)
	s_and_b32 s4, s4, s7
	v_cndmask_b32_e64 v227, v227, 12, s4
	s_delay_alu instid0(VALU_DEP_1)
	v_cmp_eq_u32_e64 s7, 0, v227
	s_waitcnt vmcnt(0)
	v_cmp_eq_f64_e32 vcc_lo, 0, v[160:161]
	v_cmp_eq_f64_e64 s0, 0, v[162:163]
	scratch_load_b128 v[160:163], off, off offset:448 ; 16-byte Folded Reload
	s_and_b32 s0, vcc_lo, s0
	s_delay_alu instid0(SALU_CYCLE_1) | instskip(NEXT) | instid1(SALU_CYCLE_1)
	s_and_b32 s0, s0, s7
	v_cndmask_b32_e64 v227, v227, 13, s0
	s_delay_alu instid0(VALU_DEP_1)
	v_cmp_eq_u32_e64 s7, 0, v227
	s_waitcnt vmcnt(0)
	v_cmp_eq_f64_e64 s1, 0, v[160:161]
	v_cmp_eq_f64_e64 s2, 0, v[162:163]
	scratch_load_b128 v[160:163], off, off offset:464 ; 16-byte Folded Reload
	s_and_b32 s1, s1, s2
	s_delay_alu instid0(SALU_CYCLE_1) | instskip(NEXT) | instid1(SALU_CYCLE_1)
	s_and_b32 s1, s1, s7
	v_cndmask_b32_e64 v227, v227, 14, s1
	s_delay_alu instid0(VALU_DEP_1)
	v_cmp_eq_u32_e64 s7, 0, v227
	s_waitcnt vmcnt(0)
	v_cmp_eq_f64_e64 s3, 0, v[160:161]
	v_cmp_eq_f64_e64 s6, 0, v[162:163]
	scratch_load_b128 v[160:163], off, off offset:480 ; 16-byte Folded Reload
	s_and_b32 s3, s3, s6
	;; [unrolled: 10-line block ×3, first 2 shown]
	s_delay_alu instid0(SALU_CYCLE_1) | instskip(NEXT) | instid1(SALU_CYCLE_1)
	s_and_b32 s4, s4, s7
	v_cndmask_b32_e64 v227, v227, 16, s4
	s_delay_alu instid0(VALU_DEP_1)
	v_cmp_eq_u32_e64 s7, 0, v227
	s_waitcnt vmcnt(0)
	v_cmp_eq_f64_e32 vcc_lo, 0, v[160:161]
	v_cmp_eq_f64_e64 s0, 0, v[162:163]
	scratch_load_b128 v[160:163], off, off offset:512 ; 16-byte Folded Reload
	s_and_b32 s0, vcc_lo, s0
	s_delay_alu instid0(SALU_CYCLE_1) | instskip(NEXT) | instid1(SALU_CYCLE_1)
	s_and_b32 s0, s0, s7
	v_cndmask_b32_e64 v227, v227, 17, s0
	s_delay_alu instid0(VALU_DEP_1)
	v_cmp_eq_u32_e64 s7, 0, v227
	s_waitcnt vmcnt(0)
	v_cmp_eq_f64_e64 s1, 0, v[160:161]
	v_cmp_eq_f64_e64 s2, 0, v[162:163]
	scratch_load_b128 v[160:163], off, off offset:528 ; 16-byte Folded Reload
	s_and_b32 s1, s1, s2
	s_delay_alu instid0(SALU_CYCLE_1) | instskip(NEXT) | instid1(SALU_CYCLE_1)
	s_and_b32 s1, s1, s7
	v_cndmask_b32_e64 v227, v227, 18, s1
	s_delay_alu instid0(VALU_DEP_1)
	v_cmp_eq_u32_e64 s7, 0, v227
	s_waitcnt vmcnt(0)
	v_cmp_eq_f64_e64 s3, 0, v[160:161]
	v_cmp_eq_f64_e64 s6, 0, v[162:163]
	scratch_load_b128 v[160:163], off, off offset:544 ; 16-byte Folded Reload
	s_and_b32 s3, s3, s6
	;; [unrolled: 10-line block ×3, first 2 shown]
	s_delay_alu instid0(SALU_CYCLE_1) | instskip(NEXT) | instid1(SALU_CYCLE_1)
	s_and_b32 s4, s4, s7
	v_cndmask_b32_e64 v227, v227, 20, s4
	s_delay_alu instid0(VALU_DEP_1)
	v_cmp_eq_u32_e64 s7, 0, v227
	s_waitcnt vmcnt(0)
	v_cmp_eq_f64_e32 vcc_lo, 0, v[160:161]
	v_cmp_eq_f64_e64 s0, 0, v[162:163]
	scratch_load_b128 v[160:163], off, off offset:576 ; 16-byte Folded Reload
	s_and_b32 s0, vcc_lo, s0
	s_delay_alu instid0(SALU_CYCLE_1) | instskip(NEXT) | instid1(SALU_CYCLE_1)
	s_and_b32 s0, s0, s7
	v_cndmask_b32_e64 v227, v227, 21, s0
	s_delay_alu instid0(VALU_DEP_1)
	v_cmp_eq_u32_e64 s7, 0, v227
	s_waitcnt vmcnt(0)
	v_cmp_eq_f64_e64 s1, 0, v[160:161]
	v_cmp_eq_f64_e64 s2, 0, v[162:163]
	scratch_load_b128 v[160:163], off, off offset:592 ; 16-byte Folded Reload
	s_and_b32 s1, s1, s2
	v_cmp_eq_f64_e64 s2, 0, v[166:167]
	s_and_b32 s1, s1, s7
	s_waitcnt vmcnt(0)
	v_cmp_eq_f64_e64 s3, 0, v[160:161]
	v_cmp_eq_f64_e64 s6, 0, v[162:163]
	scratch_load_b128 v[160:163], off, off offset:608 ; 16-byte Folded Reload
	s_and_b32 s3, s3, s6
	v_cmp_eq_f64_e64 s6, 0, v[170:171]
	s_waitcnt vmcnt(0)
	v_cmp_eq_f64_e64 s4, 0, v[160:161]
	v_cmp_eq_f64_e64 s5, 0, v[162:163]
	scratch_load_b128 v[160:163], off, off offset:624 ; 16-byte Folded Reload
	s_and_b32 s4, s4, s5
	v_cmp_eq_f64_e64 s5, 0, v[174:175]
	s_waitcnt vmcnt(0)
	v_cmp_eq_f64_e32 vcc_lo, 0, v[160:161]
	v_cmp_eq_f64_e64 s0, 0, v[162:163]
	v_cndmask_b32_e64 v160, v227, 22, s1
	v_cmp_eq_f64_e64 s1, 0, v[164:165]
	s_delay_alu instid0(VALU_DEP_2) | instskip(NEXT) | instid1(VALU_DEP_1)
	v_cmp_eq_u32_e64 s7, 0, v160
	s_and_b32 s3, s3, s7
	s_delay_alu instid0(SALU_CYCLE_1) | instskip(SKIP_1) | instid1(VALU_DEP_2)
	v_cndmask_b32_e64 v160, v160, 23, s3
	v_cmp_eq_f64_e64 s3, 0, v[168:169]
	v_cmp_eq_u32_e64 s7, 0, v160
	s_delay_alu instid0(VALU_DEP_1) | instskip(NEXT) | instid1(SALU_CYCLE_1)
	s_and_b32 s4, s4, s7
	v_cndmask_b32_e64 v160, v160, 24, s4
	v_cmp_eq_f64_e64 s4, 0, v[172:173]
	s_delay_alu instid0(VALU_DEP_2) | instskip(SKIP_2) | instid1(VALU_DEP_2)
	v_cmp_eq_u32_e64 s7, 0, v160
	s_and_b32 s0, vcc_lo, s0
	v_cmp_eq_f64_e32 vcc_lo, 0, v[176:177]
	s_and_b32 s0, s0, s7
	s_and_b32 s1, s1, s2
	v_cndmask_b32_e64 v160, v160, 25, s0
	v_cmp_eq_f64_e64 s0, 0, v[178:179]
	v_cmp_eq_f64_e64 s2, 0, v[182:183]
	s_delay_alu instid0(VALU_DEP_3) | instskip(NEXT) | instid1(VALU_DEP_1)
	v_cmp_eq_u32_e64 s7, 0, v160
	s_and_b32 s1, s1, s7
	s_and_b32 s3, s3, s6
	v_cndmask_b32_e64 v160, v160, 26, s1
	v_cmp_eq_f64_e64 s1, 0, v[180:181]
	v_cmp_eq_f64_e64 s6, 0, v[158:159]
	s_delay_alu instid0(VALU_DEP_3) | instskip(NEXT) | instid1(VALU_DEP_1)
	v_cmp_eq_u32_e64 s7, 0, v160
	;; [unrolled: 7-line block ×3, first 2 shown]
	s_and_b32 s4, s4, s7
	s_delay_alu instid0(SALU_CYCLE_1) | instskip(SKIP_3) | instid1(VALU_DEP_3)
	v_cndmask_b32_e64 v160, v160, 28, s4
	v_cmp_eq_f64_e64 s4, 0, v[186:187]
	s_and_b32 s0, vcc_lo, s0
	v_cmp_eq_f64_e32 vcc_lo, 0, v[192:193]
	v_cmp_eq_u32_e64 s7, 0, v160
	s_delay_alu instid0(VALU_DEP_1) | instskip(NEXT) | instid1(SALU_CYCLE_1)
	s_and_b32 s0, s0, s7
	v_cndmask_b32_e64 v160, v160, 29, s0
	v_cmp_eq_f64_e64 s0, 0, v[194:195]
	s_and_b32 s1, s1, s2
	v_cmp_eq_f64_e64 s2, 0, v[198:199]
	s_delay_alu instid0(VALU_DEP_3) | instskip(NEXT) | instid1(VALU_DEP_1)
	v_cmp_eq_u32_e64 s7, 0, v160
	s_and_b32 s1, s1, s7
	s_delay_alu instid0(SALU_CYCLE_1) | instskip(SKIP_3) | instid1(VALU_DEP_3)
	v_cndmask_b32_e64 v160, v160, 30, s1
	v_cmp_eq_f64_e64 s1, 0, v[196:197]
	s_and_b32 s3, s3, s6
	v_cmp_eq_f64_e64 s6, 0, v[202:203]
	v_cmp_eq_u32_e64 s7, 0, v160
	s_delay_alu instid0(VALU_DEP_1) | instskip(NEXT) | instid1(SALU_CYCLE_1)
	s_and_b32 s3, s3, s7
	v_cndmask_b32_e64 v160, v160, 31, s3
	v_cmp_eq_f64_e64 s3, 0, v[200:201]
	s_and_b32 s4, s4, s5
	v_cmp_eq_f64_e64 s5, 0, v[206:207]
	s_delay_alu instid0(VALU_DEP_3) | instskip(NEXT) | instid1(VALU_DEP_1)
	v_cmp_eq_u32_e64 s7, 0, v160
	s_and_b32 s4, s4, s7
	s_delay_alu instid0(SALU_CYCLE_1) | instskip(SKIP_3) | instid1(VALU_DEP_3)
	v_cndmask_b32_e64 v160, v160, 32, s4
	v_cmp_eq_f64_e64 s4, 0, v[204:205]
	s_and_b32 s0, vcc_lo, s0
	v_cmp_eq_f64_e32 vcc_lo, 0, v[208:209]
	v_cmp_eq_u32_e64 s7, 0, v160
	s_delay_alu instid0(VALU_DEP_1) | instskip(NEXT) | instid1(SALU_CYCLE_1)
	s_and_b32 s0, s0, s7
	v_cndmask_b32_e64 v160, v160, 33, s0
	v_cmp_eq_f64_e64 s0, 0, v[210:211]
	s_and_b32 s1, s1, s2
	v_cmp_eq_f64_e64 s2, 0, v[214:215]
	s_delay_alu instid0(VALU_DEP_3) | instskip(NEXT) | instid1(VALU_DEP_1)
	v_cmp_eq_u32_e64 s7, 0, v160
	s_and_b32 s1, s1, s7
	s_delay_alu instid0(SALU_CYCLE_1) | instskip(SKIP_3) | instid1(VALU_DEP_3)
	v_cndmask_b32_e64 v160, v160, 34, s1
	v_cmp_eq_f64_e64 s1, 0, v[212:213]
	s_and_b32 s3, s3, s6
	v_cmp_eq_f64_e64 s6, 0, v[218:219]
	v_cmp_eq_u32_e64 s7, 0, v160
	s_delay_alu instid0(VALU_DEP_1) | instskip(NEXT) | instid1(SALU_CYCLE_1)
	s_and_b32 s3, s3, s7
	v_cndmask_b32_e64 v160, v160, 35, s3
	v_cmp_eq_f64_e64 s3, 0, v[216:217]
	s_and_b32 s4, s4, s5
	v_cmp_eq_f64_e64 s5, 0, v[222:223]
	s_delay_alu instid0(VALU_DEP_3) | instskip(NEXT) | instid1(VALU_DEP_1)
	v_cmp_eq_u32_e64 s7, 0, v160
	s_and_b32 s4, s4, s7
	s_delay_alu instid0(SALU_CYCLE_1) | instskip(SKIP_2) | instid1(VALU_DEP_2)
	v_cndmask_b32_e64 v160, v160, 36, s4
	v_cmp_eq_f64_e64 s4, 0, v[220:221]
	s_and_b32 s0, vcc_lo, s0
	v_cmp_eq_u32_e64 s7, 0, v160
	s_delay_alu instid0(VALU_DEP_1) | instskip(NEXT) | instid1(SALU_CYCLE_1)
	s_and_b32 s0, s0, s7
	v_cndmask_b32_e64 v160, v160, 37, s0
	s_and_b32 s0, s1, s2
	s_delay_alu instid0(VALU_DEP_1) | instskip(SKIP_1) | instid1(SALU_CYCLE_1)
	v_cmp_eq_u32_e32 vcc_lo, 0, v160
	s_and_b32 s0, s0, vcc_lo
	v_cndmask_b32_e64 v160, v160, 38, s0
	s_and_b32 s0, s3, s6
	s_delay_alu instid0(VALU_DEP_1) | instskip(SKIP_1) | instid1(SALU_CYCLE_1)
	v_cmp_eq_u32_e32 vcc_lo, 0, v160
	s_and_b32 s0, s0, vcc_lo
	v_cndmask_b32_e64 v160, v160, 39, s0
	s_and_b32 s0, s4, s5
	s_delay_alu instid0(VALU_DEP_1) | instskip(SKIP_3) | instid1(VALU_DEP_1)
	v_cmp_eq_u32_e32 vcc_lo, 0, v160
	s_and_b32 s0, s0, vcc_lo
	v_cmp_eq_u32_e32 vcc_lo, 0, v226
	v_cndmask_b32_e64 v160, v160, 40, s0
	v_cmp_ne_u32_e64 s0, 0, v160
	s_delay_alu instid0(VALU_DEP_1) | instskip(NEXT) | instid1(SALU_CYCLE_1)
	s_and_b32 s0, vcc_lo, s0
	s_and_b32 exec_lo, exec_lo, s0
	s_cbranch_execz .LBB79_364
; %bb.363:
	v_add_nc_u32_e32 v160, s11, v160
	global_store_b32 v[224:225], v160, off
.LBB79_364:
	s_or_b32 exec_lo, exec_lo, s12
	s_clause 0x1
	scratch_load_b64 v[160:161], off, off offset:224
	scratch_load_b128 v[156:159], off, off
	s_waitcnt vmcnt(0)
	global_store_b128 v[160:161], v[156:159], off
	scratch_load_b64 v[156:157], off, off offset:232 ; 8-byte Folded Reload
	s_waitcnt vmcnt(0)
	global_store_b128 v[156:157], v[152:155], off
	scratch_load_b64 v[152:153], off, off offset:216 ; 8-byte Folded Reload
	;; [unrolled: 3-line block ×27, first 2 shown]
	s_waitcnt vmcnt(0)
	s_clause 0xc
	global_store_b128 v[52:53], v[48:51], off
	global_store_b128 v[229:230], v[44:47], off
	;; [unrolled: 1-line block ×13, first 2 shown]
.LBB79_365:
	s_nop 0
	s_sendmsg sendmsg(MSG_DEALLOC_VGPRS)
	s_endpgm
	.section	.rodata,"a",@progbits
	.p2align	6, 0x0
	.amdhsa_kernel _ZN9rocsolver6v33100L23getf2_npvt_small_kernelILi40E19rocblas_complex_numIdEiiPKPS3_EEvT1_T3_lS7_lPT2_S7_S7_
		.amdhsa_group_segment_fixed_size 0
		.amdhsa_private_segment_fixed_size 644
		.amdhsa_kernarg_size 312
		.amdhsa_user_sgpr_count 14
		.amdhsa_user_sgpr_dispatch_ptr 0
		.amdhsa_user_sgpr_queue_ptr 0
		.amdhsa_user_sgpr_kernarg_segment_ptr 1
		.amdhsa_user_sgpr_dispatch_id 0
		.amdhsa_user_sgpr_private_segment_size 0
		.amdhsa_wavefront_size32 1
		.amdhsa_uses_dynamic_stack 0
		.amdhsa_enable_private_segment 1
		.amdhsa_system_sgpr_workgroup_id_x 1
		.amdhsa_system_sgpr_workgroup_id_y 1
		.amdhsa_system_sgpr_workgroup_id_z 0
		.amdhsa_system_sgpr_workgroup_info 0
		.amdhsa_system_vgpr_workitem_id 1
		.amdhsa_next_free_vgpr 256
		.amdhsa_next_free_sgpr 16
		.amdhsa_reserve_vcc 1
		.amdhsa_float_round_mode_32 0
		.amdhsa_float_round_mode_16_64 0
		.amdhsa_float_denorm_mode_32 3
		.amdhsa_float_denorm_mode_16_64 3
		.amdhsa_dx10_clamp 1
		.amdhsa_ieee_mode 1
		.amdhsa_fp16_overflow 0
		.amdhsa_workgroup_processor_mode 1
		.amdhsa_memory_ordered 1
		.amdhsa_forward_progress 0
		.amdhsa_shared_vgpr_count 0
		.amdhsa_exception_fp_ieee_invalid_op 0
		.amdhsa_exception_fp_denorm_src 0
		.amdhsa_exception_fp_ieee_div_zero 0
		.amdhsa_exception_fp_ieee_overflow 0
		.amdhsa_exception_fp_ieee_underflow 0
		.amdhsa_exception_fp_ieee_inexact 0
		.amdhsa_exception_int_div_zero 0
	.end_amdhsa_kernel
	.section	.text._ZN9rocsolver6v33100L23getf2_npvt_small_kernelILi40E19rocblas_complex_numIdEiiPKPS3_EEvT1_T3_lS7_lPT2_S7_S7_,"axG",@progbits,_ZN9rocsolver6v33100L23getf2_npvt_small_kernelILi40E19rocblas_complex_numIdEiiPKPS3_EEvT1_T3_lS7_lPT2_S7_S7_,comdat
.Lfunc_end79:
	.size	_ZN9rocsolver6v33100L23getf2_npvt_small_kernelILi40E19rocblas_complex_numIdEiiPKPS3_EEvT1_T3_lS7_lPT2_S7_S7_, .Lfunc_end79-_ZN9rocsolver6v33100L23getf2_npvt_small_kernelILi40E19rocblas_complex_numIdEiiPKPS3_EEvT1_T3_lS7_lPT2_S7_S7_
                                        ; -- End function
	.section	.AMDGPU.csdata,"",@progbits
; Kernel info:
; codeLenInByte = 93944
; NumSgprs: 18
; NumVgprs: 256
; ScratchSize: 644
; MemoryBound: 1
; FloatMode: 240
; IeeeMode: 1
; LDSByteSize: 0 bytes/workgroup (compile time only)
; SGPRBlocks: 2
; VGPRBlocks: 31
; NumSGPRsForWavesPerEU: 18
; NumVGPRsForWavesPerEU: 256
; Occupancy: 5
; WaveLimiterHint : 1
; COMPUTE_PGM_RSRC2:SCRATCH_EN: 1
; COMPUTE_PGM_RSRC2:USER_SGPR: 14
; COMPUTE_PGM_RSRC2:TRAP_HANDLER: 0
; COMPUTE_PGM_RSRC2:TGID_X_EN: 1
; COMPUTE_PGM_RSRC2:TGID_Y_EN: 1
; COMPUTE_PGM_RSRC2:TGID_Z_EN: 0
; COMPUTE_PGM_RSRC2:TIDIG_COMP_CNT: 1
	.section	.text._ZN9rocsolver6v33100L18getf2_small_kernelILi41E19rocblas_complex_numIdEiiPKPS3_EEvT1_T3_lS7_lPS7_llPT2_S7_S7_S9_l,"axG",@progbits,_ZN9rocsolver6v33100L18getf2_small_kernelILi41E19rocblas_complex_numIdEiiPKPS3_EEvT1_T3_lS7_lPS7_llPT2_S7_S7_S9_l,comdat
	.globl	_ZN9rocsolver6v33100L18getf2_small_kernelILi41E19rocblas_complex_numIdEiiPKPS3_EEvT1_T3_lS7_lPS7_llPT2_S7_S7_S9_l ; -- Begin function _ZN9rocsolver6v33100L18getf2_small_kernelILi41E19rocblas_complex_numIdEiiPKPS3_EEvT1_T3_lS7_lPS7_llPT2_S7_S7_S9_l
	.p2align	8
	.type	_ZN9rocsolver6v33100L18getf2_small_kernelILi41E19rocblas_complex_numIdEiiPKPS3_EEvT1_T3_lS7_lPS7_llPT2_S7_S7_S9_l,@function
_ZN9rocsolver6v33100L18getf2_small_kernelILi41E19rocblas_complex_numIdEiiPKPS3_EEvT1_T3_lS7_lPS7_llPT2_S7_S7_S9_l: ; @_ZN9rocsolver6v33100L18getf2_small_kernelILi41E19rocblas_complex_numIdEiiPKPS3_EEvT1_T3_lS7_lPS7_llPT2_S7_S7_S9_l
; %bb.0:
	s_clause 0x1
	s_load_b32 s2, s[0:1], 0x6c
	s_load_b64 s[12:13], s[0:1], 0x48
	v_bfe_u32 v164, v0, 10, 10
	s_waitcnt lgkmcnt(0)
	s_lshr_b32 s2, s2, 16
	s_delay_alu instid0(VALU_DEP_1) | instid1(SALU_CYCLE_1)
	v_mad_u64_u32 v[168:169], null, s15, s2, v[164:165]
	s_mov_b32 s2, exec_lo
	s_delay_alu instid0(VALU_DEP_1)
	v_cmpx_gt_i32_e64 s12, v168
	s_cbranch_execz .LBB80_864
; %bb.1:
	s_clause 0x1
	s_load_b128 s[4:7], s[0:1], 0x8
	s_load_b128 s[8:11], s[0:1], 0x50
	v_ashrrev_i32_e32 v169, 31, v168
	v_mov_b32_e32 v170, 0
	v_mov_b32_e32 v171, 0
	s_delay_alu instid0(VALU_DEP_3) | instskip(SKIP_1) | instid1(VALU_DEP_1)
	v_lshlrev_b64 v[1:2], 3, v[168:169]
	s_waitcnt lgkmcnt(0)
	v_add_co_u32 v1, vcc_lo, s4, v1
	s_delay_alu instid0(VALU_DEP_2)
	v_add_co_ci_u32_e32 v2, vcc_lo, s5, v2, vcc_lo
	s_cmp_eq_u64 s[8:9], 0
	s_cselect_b32 s4, -1, 0
	global_load_b64 v[1:2], v[1:2], off
	s_and_b32 vcc_lo, exec_lo, s4
	s_cbranch_vccnz .LBB80_3
; %bb.2:
	v_mul_lo_u32 v5, v169, s10
	v_mul_lo_u32 v6, v168, s11
	v_mad_u64_u32 v[3:4], null, v168, s10, 0
	s_delay_alu instid0(VALU_DEP_1) | instskip(NEXT) | instid1(VALU_DEP_1)
	v_add3_u32 v4, v4, v6, v5
	v_lshlrev_b64 v[3:4], 2, v[3:4]
	s_delay_alu instid0(VALU_DEP_1) | instskip(NEXT) | instid1(VALU_DEP_2)
	v_add_co_u32 v170, vcc_lo, s8, v3
	v_add_co_ci_u32_e32 v171, vcc_lo, s9, v4, vcc_lo
.LBB80_3:
	s_clause 0x1
	s_load_b32 s8, s[0:1], 0x18
	s_load_b32 s5, s[0:1], 0x0
	v_and_b32_e32 v179, 0x3ff, v0
	s_lshl_b64 s[2:3], s[6:7], 4
	s_waitcnt vmcnt(0)
	v_add_co_u32 v175, vcc_lo, v1, s2
	s_delay_alu instid0(VALU_DEP_2) | instskip(SKIP_1) | instid1(VALU_DEP_2)
	v_lshlrev_b32_e32 v165, 4, v179
	v_add_co_ci_u32_e32 v176, vcc_lo, s3, v2, vcc_lo
	v_add_co_u32 v0, vcc_lo, v175, v165
	s_delay_alu instid0(VALU_DEP_2)
	v_add_co_ci_u32_e32 v1, vcc_lo, 0, v176, vcc_lo
	s_waitcnt lgkmcnt(0)
	v_add3_u32 v3, s8, s8, v179
	s_ashr_i32 s9, s8, 31
	s_max_i32 s2, s5, 41
	s_lshl_b64 s[10:11], s[8:9], 4
	s_cmp_lt_i32 s5, 2
	v_add_nc_u32_e32 v5, s8, v3
	v_ashrrev_i32_e32 v4, 31, v3
	v_add_co_u32 v2, vcc_lo, v0, s10
	s_delay_alu instid0(VALU_DEP_3) | instskip(SKIP_1) | instid1(VALU_DEP_4)
	v_ashrrev_i32_e32 v6, 31, v5
	v_add_nc_u32_e32 v7, s8, v5
	v_lshlrev_b64 v[9:10], 4, v[3:4]
	v_add_co_ci_u32_e32 v3, vcc_lo, s11, v1, vcc_lo
	s_delay_alu instid0(VALU_DEP_4) | instskip(NEXT) | instid1(VALU_DEP_4)
	v_lshlrev_b64 v[4:5], 4, v[5:6]
	v_add_nc_u32_e32 v6, s8, v7
	v_ashrrev_i32_e32 v8, 31, v7
	v_add_co_u32 v9, vcc_lo, v175, v9
	v_add_co_ci_u32_e32 v10, vcc_lo, v176, v10, vcc_lo
	s_delay_alu instid0(VALU_DEP_4) | instskip(NEXT) | instid1(VALU_DEP_4)
	v_add_nc_u32_e32 v13, s8, v6
	v_lshlrev_b64 v[11:12], 4, v[7:8]
	v_ashrrev_i32_e32 v7, 31, v6
	v_add_co_u32 v4, vcc_lo, v175, v4
	s_delay_alu instid0(VALU_DEP_4) | instskip(SKIP_1) | instid1(VALU_DEP_4)
	v_add_nc_u32_e32 v15, s8, v13
	v_ashrrev_i32_e32 v14, 31, v13
	v_lshlrev_b64 v[6:7], 4, v[6:7]
	v_add_co_ci_u32_e32 v5, vcc_lo, v176, v5, vcc_lo
	s_delay_alu instid0(VALU_DEP_4) | instskip(SKIP_3) | instid1(VALU_DEP_4)
	v_add_nc_u32_e32 v17, s8, v15
	v_ashrrev_i32_e32 v16, 31, v15
	v_add_co_u32 v11, vcc_lo, v175, v11
	v_lshlrev_b64 v[13:14], 4, v[13:14]
	v_add_nc_u32_e32 v19, s8, v17
	v_ashrrev_i32_e32 v18, 31, v17
	v_add_co_ci_u32_e32 v12, vcc_lo, v176, v12, vcc_lo
	v_add_co_u32 v6, vcc_lo, v175, v6
	s_delay_alu instid0(VALU_DEP_4) | instskip(SKIP_3) | instid1(VALU_DEP_4)
	v_add_nc_u32_e32 v21, s8, v19
	v_lshlrev_b64 v[15:16], 4, v[15:16]
	v_ashrrev_i32_e32 v20, 31, v19
	v_add_co_ci_u32_e32 v7, vcc_lo, v176, v7, vcc_lo
	v_add_nc_u32_e32 v23, s8, v21
	v_add_co_u32 v13, vcc_lo, v175, v13
	v_lshlrev_b64 v[17:18], 4, v[17:18]
	v_ashrrev_i32_e32 v22, 31, v21
	s_delay_alu instid0(VALU_DEP_4) | instskip(SKIP_2) | instid1(VALU_DEP_3)
	v_add_nc_u32_e32 v25, s8, v23
	v_add_co_ci_u32_e32 v14, vcc_lo, v176, v14, vcc_lo
	v_add_co_u32 v15, vcc_lo, v175, v15
	v_add_nc_u32_e32 v27, s8, v25
	v_lshlrev_b64 v[19:20], 4, v[19:20]
	v_ashrrev_i32_e32 v24, 31, v23
	v_add_co_ci_u32_e32 v16, vcc_lo, v176, v16, vcc_lo
	s_delay_alu instid0(VALU_DEP_4) | instskip(SKIP_3) | instid1(VALU_DEP_4)
	v_add_nc_u32_e32 v29, s8, v27
	v_add_co_u32 v17, vcc_lo, v175, v17
	v_lshlrev_b64 v[21:22], 4, v[21:22]
	v_ashrrev_i32_e32 v26, 31, v25
	v_add_nc_u32_e32 v31, s8, v29
	v_add_co_ci_u32_e32 v18, vcc_lo, v176, v18, vcc_lo
	v_add_co_u32 v19, vcc_lo, v175, v19
	s_delay_alu instid0(VALU_DEP_3) | instskip(SKIP_3) | instid1(VALU_DEP_4)
	v_add_nc_u32_e32 v33, s8, v31
	v_lshlrev_b64 v[23:24], 4, v[23:24]
	v_ashrrev_i32_e32 v28, 31, v27
	v_add_co_ci_u32_e32 v20, vcc_lo, v176, v20, vcc_lo
	v_add_nc_u32_e32 v35, s8, v33
	v_add_co_u32 v21, vcc_lo, v175, v21
	v_lshlrev_b64 v[25:26], 4, v[25:26]
	v_ashrrev_i32_e32 v30, 31, v29
	s_delay_alu instid0(VALU_DEP_4) | instskip(SKIP_2) | instid1(VALU_DEP_3)
	v_add_nc_u32_e32 v37, s8, v35
	v_add_co_ci_u32_e32 v22, vcc_lo, v176, v22, vcc_lo
	v_add_co_u32 v23, vcc_lo, v175, v23
	v_add_nc_u32_e32 v39, s8, v37
	v_lshlrev_b64 v[27:28], 4, v[27:28]
	v_ashrrev_i32_e32 v32, 31, v31
	v_add_co_ci_u32_e32 v24, vcc_lo, v176, v24, vcc_lo
	s_delay_alu instid0(VALU_DEP_4) | instskip(SKIP_3) | instid1(VALU_DEP_4)
	v_add_nc_u32_e32 v41, s8, v39
	v_add_co_u32 v25, vcc_lo, v175, v25
	v_lshlrev_b64 v[29:30], 4, v[29:30]
	v_ashrrev_i32_e32 v34, 31, v33
	v_add_nc_u32_e32 v43, s8, v41
	v_add_co_ci_u32_e32 v26, vcc_lo, v176, v26, vcc_lo
	v_add_co_u32 v27, vcc_lo, v175, v27
	s_delay_alu instid0(VALU_DEP_3)
	v_add_nc_u32_e32 v45, s8, v43
	v_lshlrev_b64 v[31:32], 4, v[31:32]
	v_ashrrev_i32_e32 v36, 31, v35
	v_add_co_ci_u32_e32 v28, vcc_lo, v176, v28, vcc_lo
	v_add_co_u32 v29, vcc_lo, v175, v29
	v_lshlrev_b64 v[33:34], 4, v[33:34]
	v_ashrrev_i32_e32 v38, 31, v37
	v_add_nc_u32_e32 v47, s8, v45
	v_add_co_ci_u32_e32 v30, vcc_lo, v176, v30, vcc_lo
	v_add_co_u32 v31, vcc_lo, v175, v31
	v_lshlrev_b64 v[35:36], 4, v[35:36]
	v_ashrrev_i32_e32 v40, 31, v39
	v_add_co_ci_u32_e32 v32, vcc_lo, v176, v32, vcc_lo
	v_add_co_u32 v33, vcc_lo, v175, v33
	v_lshlrev_b64 v[37:38], 4, v[37:38]
	v_add_nc_u32_e32 v49, s8, v47
	v_ashrrev_i32_e32 v42, 31, v41
	v_add_co_ci_u32_e32 v34, vcc_lo, v176, v34, vcc_lo
	v_add_co_u32 v35, vcc_lo, v175, v35
	v_lshlrev_b64 v[39:40], 4, v[39:40]
	v_ashrrev_i32_e32 v44, 31, v43
	v_add_co_ci_u32_e32 v36, vcc_lo, v176, v36, vcc_lo
	v_add_nc_u32_e32 v51, s8, v49
	v_add_co_u32 v37, vcc_lo, v175, v37
	v_lshlrev_b64 v[41:42], 4, v[41:42]
	v_ashrrev_i32_e32 v46, 31, v45
	v_add_co_ci_u32_e32 v38, vcc_lo, v176, v38, vcc_lo
	v_add_co_u32 v39, vcc_lo, v175, v39
	v_lshlrev_b64 v[43:44], 4, v[43:44]
	v_ashrrev_i32_e32 v48, 31, v47
	v_add_nc_u32_e32 v53, s8, v51
	v_add_co_ci_u32_e32 v40, vcc_lo, v176, v40, vcc_lo
	v_add_co_u32 v41, vcc_lo, v175, v41
	v_lshlrev_b64 v[45:46], 4, v[45:46]
	v_ashrrev_i32_e32 v50, 31, v49
	v_add_co_ci_u32_e32 v42, vcc_lo, v176, v42, vcc_lo
	v_add_co_u32 v43, vcc_lo, v175, v43
	v_lshlrev_b64 v[47:48], 4, v[47:48]
	v_add_nc_u32_e32 v55, s8, v53
	v_ashrrev_i32_e32 v52, 31, v51
	v_add_co_ci_u32_e32 v44, vcc_lo, v176, v44, vcc_lo
	v_add_co_u32 v45, vcc_lo, v175, v45
	v_lshlrev_b64 v[49:50], 4, v[49:50]
	v_ashrrev_i32_e32 v54, 31, v53
	v_add_co_ci_u32_e32 v46, vcc_lo, v176, v46, vcc_lo
	v_add_nc_u32_e32 v57, s8, v55
	v_add_co_u32 v47, vcc_lo, v175, v47
	v_lshlrev_b64 v[51:52], 4, v[51:52]
	v_ashrrev_i32_e32 v56, 31, v55
	v_add_co_ci_u32_e32 v48, vcc_lo, v176, v48, vcc_lo
	v_add_co_u32 v49, vcc_lo, v175, v49
	v_lshlrev_b64 v[53:54], 4, v[53:54]
	v_add_nc_u32_e32 v59, s8, v57
	v_add_co_ci_u32_e32 v50, vcc_lo, v176, v50, vcc_lo
	v_add_co_u32 v51, vcc_lo, v175, v51
	v_lshlrev_b64 v[55:56], 4, v[55:56]
	v_ashrrev_i32_e32 v58, 31, v57
	v_add_co_ci_u32_e32 v52, vcc_lo, v176, v52, vcc_lo
	v_add_co_u32 v53, vcc_lo, v175, v53
	v_ashrrev_i32_e32 v60, 31, v59
	v_add_nc_u32_e32 v61, s8, v59
	v_add_co_ci_u32_e32 v54, vcc_lo, v176, v54, vcc_lo
	v_lshlrev_b64 v[57:58], 4, v[57:58]
	v_add_co_u32 v166, vcc_lo, v175, v55
	v_add_co_ci_u32_e32 v167, vcc_lo, v176, v56, vcc_lo
	v_lshlrev_b64 v[55:56], 4, v[59:60]
	v_ashrrev_i32_e32 v62, 31, v61
	v_add_nc_u32_e32 v59, s8, v61
	v_add_co_u32 v172, vcc_lo, v175, v57
	v_add_co_ci_u32_e32 v173, vcc_lo, v176, v58, vcc_lo
	s_delay_alu instid0(VALU_DEP_4) | instskip(NEXT) | instid1(VALU_DEP_4)
	v_lshlrev_b64 v[57:58], 4, v[61:62]
	v_ashrrev_i32_e32 v60, 31, v59
	v_add_nc_u32_e32 v61, s8, v59
	v_add_co_u32 v177, vcc_lo, v175, v55
	v_add_co_ci_u32_e32 v178, vcc_lo, v176, v56, vcc_lo
	s_delay_alu instid0(VALU_DEP_4) | instskip(NEXT) | instid1(VALU_DEP_4)
	;; [unrolled: 6-line block ×9, first 2 shown]
	v_lshlrev_b64 v[57:58], 4, v[61:62]
	v_add_nc_u32_e32 v61, s8, v59
	v_ashrrev_i32_e32 v60, 31, v59
	v_add_co_u32 v194, vcc_lo, v175, v55
	v_add_co_ci_u32_e32 v195, vcc_lo, v176, v56, vcc_lo
	s_delay_alu instid0(VALU_DEP_4) | instskip(NEXT) | instid1(VALU_DEP_4)
	v_ashrrev_i32_e32 v62, 31, v61
	v_lshlrev_b64 v[55:56], 4, v[59:60]
	v_add_co_u32 v196, vcc_lo, v175, v57
	v_add_co_ci_u32_e32 v197, vcc_lo, v176, v58, vcc_lo
	s_delay_alu instid0(VALU_DEP_4) | instskip(NEXT) | instid1(VALU_DEP_4)
	v_lshlrev_b64 v[57:58], 4, v[61:62]
	v_add_co_u32 v198, vcc_lo, v175, v55
	v_add_co_ci_u32_e32 v199, vcc_lo, v176, v56, vcc_lo
	s_delay_alu instid0(VALU_DEP_3) | instskip(NEXT) | instid1(VALU_DEP_4)
	v_add_co_u32 v200, vcc_lo, v175, v57
	v_add_co_ci_u32_e32 v201, vcc_lo, v176, v58, vcc_lo
	s_clause 0x1f
	global_load_b128 v[160:163], v[0:1], off
	global_load_b128 v[156:159], v[2:3], off
	;; [unrolled: 1-line block ×32, first 2 shown]
	s_clause 0x8
	global_load_b128 v[32:35], v[184:185], off
	global_load_b128 v[28:31], v[186:187], off
	;; [unrolled: 1-line block ×9, first 2 shown]
	v_mul_lo_u32 v172, s2, v164
	s_delay_alu instid0(VALU_DEP_1) | instskip(SKIP_2) | instid1(VALU_DEP_3)
	v_lshl_add_u32 v174, v172, 4, 0
	v_lshlrev_b32_e32 v178, 4, v172
	v_mov_b32_e32 v172, 0
	v_add_nc_u32_e32 v164, v174, v165
	s_waitcnt vmcnt(40)
	ds_store_2addr_b64 v164, v[160:161], v[162:163] offset1:1
	s_waitcnt vmcnt(0) lgkmcnt(0)
	s_barrier
	buffer_gl0_inv
	ds_load_2addr_b64 v[164:167], v174 offset1:1
	s_cbranch_scc1 .LBB80_6
; %bb.4:
	v_add3_u32 v173, v178, 0, 16
	v_mov_b32_e32 v172, 0
	s_mov_b32 s6, 1
	s_set_inst_prefetch_distance 0x1
	.p2align	6
.LBB80_5:                               ; =>This Inner Loop Header: Depth=1
	ds_load_2addr_b64 v[180:183], v173 offset1:1
	s_waitcnt lgkmcnt(1)
	v_cmp_gt_f64_e32 vcc_lo, 0, v[164:165]
	v_xor_b32_e32 v177, 0x80000000, v165
	v_cmp_gt_f64_e64 s2, 0, v[166:167]
	v_xor_b32_e32 v184, 0x80000000, v167
	v_add_nc_u32_e32 v173, 16, v173
	s_waitcnt lgkmcnt(0)
	v_cmp_gt_f64_e64 s3, 0, v[180:181]
	v_mov_b32_e32 v188, v180
	v_dual_mov_b32 v190, v182 :: v_dual_cndmask_b32 v185, v165, v177
	v_xor_b32_e32 v177, 0x80000000, v181
	v_cndmask_b32_e64 v187, v167, v184, s2
	v_xor_b32_e32 v184, 0x80000000, v183
	v_cndmask_b32_e64 v186, v166, v166, s2
	s_delay_alu instid0(VALU_DEP_4) | instskip(SKIP_1) | instid1(VALU_DEP_1)
	v_cndmask_b32_e64 v189, v181, v177, s3
	v_cmp_gt_f64_e64 s3, 0, v[182:183]
	v_cndmask_b32_e64 v191, v183, v184, s3
	v_cndmask_b32_e32 v184, v164, v164, vcc_lo
	s_delay_alu instid0(VALU_DEP_2) | instskip(NEXT) | instid1(VALU_DEP_2)
	v_add_f64 v[188:189], v[188:189], v[190:191]
	v_add_f64 v[184:185], v[184:185], v[186:187]
	s_delay_alu instid0(VALU_DEP_1)
	v_cmp_lt_f64_e32 vcc_lo, v[184:185], v[188:189]
	v_cndmask_b32_e32 v167, v167, v183, vcc_lo
	v_dual_cndmask_b32 v165, v165, v181 :: v_dual_cndmask_b32 v164, v164, v180
	v_cndmask_b32_e32 v166, v166, v182, vcc_lo
	v_cndmask_b32_e64 v172, v172, s6, vcc_lo
	s_add_i32 s6, s6, 1
	s_delay_alu instid0(SALU_CYCLE_1)
	s_cmp_eq_u32 s5, s6
	s_cbranch_scc0 .LBB80_5
.LBB80_6:
	s_set_inst_prefetch_distance 0x2
	s_waitcnt lgkmcnt(0)
	v_cmp_neq_f64_e32 vcc_lo, 0, v[164:165]
	v_cmp_neq_f64_e64 s2, 0, v[166:167]
	v_mov_b32_e32 v177, 1
	v_mov_b32_e32 v181, 1
	s_delay_alu instid0(VALU_DEP_3) | instskip(NEXT) | instid1(SALU_CYCLE_1)
	s_or_b32 s2, vcc_lo, s2
	s_and_saveexec_b32 s3, s2
	s_cbranch_execz .LBB80_12
; %bb.7:
	v_cmp_gt_f64_e32 vcc_lo, 0, v[164:165]
	v_cmp_gt_f64_e64 s2, 0, v[166:167]
	v_xor_b32_e32 v173, 0x80000000, v165
	v_xor_b32_e32 v177, 0x80000000, v167
                                        ; implicit-def: $sgpr6
                                        ; implicit-def: $sgpr7
	s_delay_alu instid0(VALU_DEP_2) | instskip(NEXT) | instid1(VALU_DEP_2)
	v_dual_cndmask_b32 v181, v165, v173 :: v_dual_cndmask_b32 v180, v164, v164
	v_cndmask_b32_e64 v183, v167, v177, s2
	v_cndmask_b32_e64 v182, v166, v166, s2
	s_mov_b32 s2, exec_lo
	s_delay_alu instid0(VALU_DEP_1)
	v_cmpx_ngt_f64_e32 v[180:181], v[182:183]
	s_xor_b32 s2, exec_lo, s2
	s_cbranch_execz .LBB80_9
; %bb.8:
	v_div_scale_f64 v[180:181], null, v[166:167], v[166:167], v[164:165]
	v_div_scale_f64 v[186:187], vcc_lo, v[164:165], v[166:167], v[164:165]
	s_mov_b32 s7, 2
	s_mov_b32 s6, 0
	s_delay_alu instid0(VALU_DEP_2) | instskip(SKIP_2) | instid1(VALU_DEP_1)
	v_rcp_f64_e32 v[182:183], v[180:181]
	s_waitcnt_depctr 0xfff
	v_fma_f64 v[184:185], -v[180:181], v[182:183], 1.0
	v_fma_f64 v[182:183], v[182:183], v[184:185], v[182:183]
	s_delay_alu instid0(VALU_DEP_1) | instskip(NEXT) | instid1(VALU_DEP_1)
	v_fma_f64 v[184:185], -v[180:181], v[182:183], 1.0
	v_fma_f64 v[182:183], v[182:183], v[184:185], v[182:183]
	s_delay_alu instid0(VALU_DEP_1) | instskip(NEXT) | instid1(VALU_DEP_1)
	v_mul_f64 v[184:185], v[186:187], v[182:183]
	v_fma_f64 v[180:181], -v[180:181], v[184:185], v[186:187]
	s_delay_alu instid0(VALU_DEP_1) | instskip(NEXT) | instid1(VALU_DEP_1)
	v_div_fmas_f64 v[180:181], v[180:181], v[182:183], v[184:185]
	v_div_fixup_f64 v[180:181], v[180:181], v[166:167], v[164:165]
	s_delay_alu instid0(VALU_DEP_1) | instskip(NEXT) | instid1(VALU_DEP_1)
	v_fma_f64 v[164:165], v[164:165], v[180:181], v[166:167]
	v_div_scale_f64 v[166:167], null, v[164:165], v[164:165], 1.0
	s_delay_alu instid0(VALU_DEP_1) | instskip(SKIP_2) | instid1(VALU_DEP_1)
	v_rcp_f64_e32 v[182:183], v[166:167]
	s_waitcnt_depctr 0xfff
	v_fma_f64 v[184:185], -v[166:167], v[182:183], 1.0
	v_fma_f64 v[182:183], v[182:183], v[184:185], v[182:183]
	s_delay_alu instid0(VALU_DEP_1) | instskip(NEXT) | instid1(VALU_DEP_1)
	v_fma_f64 v[184:185], -v[166:167], v[182:183], 1.0
	v_fma_f64 v[182:183], v[182:183], v[184:185], v[182:183]
	v_div_scale_f64 v[184:185], vcc_lo, 1.0, v[164:165], 1.0
	s_delay_alu instid0(VALU_DEP_1) | instskip(NEXT) | instid1(VALU_DEP_1)
	v_mul_f64 v[186:187], v[184:185], v[182:183]
	v_fma_f64 v[166:167], -v[166:167], v[186:187], v[184:185]
	s_delay_alu instid0(VALU_DEP_1) | instskip(NEXT) | instid1(VALU_DEP_1)
	v_div_fmas_f64 v[166:167], v[166:167], v[182:183], v[186:187]
	v_div_fixup_f64 v[166:167], v[166:167], v[164:165], 1.0
	s_delay_alu instid0(VALU_DEP_1)
	v_mul_f64 v[164:165], v[180:181], v[166:167]
	v_xor_b32_e32 v167, 0x80000000, v167
.LBB80_9:
	s_or_saveexec_b32 s2, s2
	v_mov_b32_e32 v181, s6
	v_mov_b32_e32 v177, s7
	s_xor_b32 exec_lo, exec_lo, s2
	s_cbranch_execz .LBB80_11
; %bb.10:
	s_delay_alu instid0(VALU_DEP_4) | instskip(SKIP_2) | instid1(VALU_DEP_3)
	v_div_scale_f64 v[180:181], null, v[164:165], v[164:165], v[166:167]
	v_div_scale_f64 v[186:187], vcc_lo, v[166:167], v[164:165], v[166:167]
	v_mov_b32_e32 v177, 2
	v_rcp_f64_e32 v[182:183], v[180:181]
	s_waitcnt_depctr 0xfff
	v_fma_f64 v[184:185], -v[180:181], v[182:183], 1.0
	s_delay_alu instid0(VALU_DEP_1) | instskip(NEXT) | instid1(VALU_DEP_1)
	v_fma_f64 v[182:183], v[182:183], v[184:185], v[182:183]
	v_fma_f64 v[184:185], -v[180:181], v[182:183], 1.0
	s_delay_alu instid0(VALU_DEP_1) | instskip(NEXT) | instid1(VALU_DEP_1)
	v_fma_f64 v[182:183], v[182:183], v[184:185], v[182:183]
	v_mul_f64 v[184:185], v[186:187], v[182:183]
	s_delay_alu instid0(VALU_DEP_1) | instskip(NEXT) | instid1(VALU_DEP_1)
	v_fma_f64 v[180:181], -v[180:181], v[184:185], v[186:187]
	v_div_fmas_f64 v[180:181], v[180:181], v[182:183], v[184:185]
	s_delay_alu instid0(VALU_DEP_1) | instskip(NEXT) | instid1(VALU_DEP_1)
	v_div_fixup_f64 v[180:181], v[180:181], v[164:165], v[166:167]
	v_fma_f64 v[164:165], v[166:167], v[180:181], v[164:165]
	s_delay_alu instid0(VALU_DEP_1) | instskip(NEXT) | instid1(VALU_DEP_1)
	v_div_scale_f64 v[166:167], null, v[164:165], v[164:165], 1.0
	v_rcp_f64_e32 v[182:183], v[166:167]
	s_waitcnt_depctr 0xfff
	v_fma_f64 v[184:185], -v[166:167], v[182:183], 1.0
	s_delay_alu instid0(VALU_DEP_1) | instskip(NEXT) | instid1(VALU_DEP_1)
	v_fma_f64 v[182:183], v[182:183], v[184:185], v[182:183]
	v_fma_f64 v[184:185], -v[166:167], v[182:183], 1.0
	s_delay_alu instid0(VALU_DEP_1) | instskip(SKIP_1) | instid1(VALU_DEP_1)
	v_fma_f64 v[182:183], v[182:183], v[184:185], v[182:183]
	v_div_scale_f64 v[184:185], vcc_lo, 1.0, v[164:165], 1.0
	v_mul_f64 v[186:187], v[184:185], v[182:183]
	s_delay_alu instid0(VALU_DEP_1) | instskip(NEXT) | instid1(VALU_DEP_1)
	v_fma_f64 v[166:167], -v[166:167], v[186:187], v[184:185]
	v_div_fmas_f64 v[166:167], v[166:167], v[182:183], v[186:187]
	s_delay_alu instid0(VALU_DEP_1) | instskip(NEXT) | instid1(VALU_DEP_1)
	v_div_fixup_f64 v[164:165], v[166:167], v[164:165], 1.0
	v_mul_f64 v[166:167], v[180:181], -v[164:165]
	v_mov_b32_e32 v181, 0
.LBB80_11:
	s_or_b32 exec_lo, exec_lo, s2
.LBB80_12:
	s_delay_alu instid0(SALU_CYCLE_1) | instskip(NEXT) | instid1(SALU_CYCLE_1)
	s_or_b32 exec_lo, exec_lo, s3
	s_mov_b32 s2, exec_lo
	v_cmpx_ne_u32_e64 v179, v172
	s_xor_b32 s2, exec_lo, s2
	s_cbranch_execz .LBB80_18
; %bb.13:
	s_mov_b32 s3, exec_lo
	v_cmpx_eq_u32_e32 0, v179
	s_cbranch_execz .LBB80_17
; %bb.14:
	v_cmp_ne_u32_e32 vcc_lo, 0, v172
	s_xor_b32 s6, s4, -1
	s_delay_alu instid0(SALU_CYCLE_1) | instskip(NEXT) | instid1(SALU_CYCLE_1)
	s_and_b32 s7, s6, vcc_lo
	s_and_saveexec_b32 s6, s7
	s_cbranch_execz .LBB80_16
; %bb.15:
	v_ashrrev_i32_e32 v173, 31, v172
	s_delay_alu instid0(VALU_DEP_1) | instskip(NEXT) | instid1(VALU_DEP_1)
	v_lshlrev_b64 v[179:180], 2, v[172:173]
	v_add_co_u32 v179, vcc_lo, v170, v179
	s_delay_alu instid0(VALU_DEP_2)
	v_add_co_ci_u32_e32 v180, vcc_lo, v171, v180, vcc_lo
	s_clause 0x1
	flat_load_b32 v173, v[179:180]
	flat_load_b32 v182, v[170:171]
	s_waitcnt vmcnt(1) lgkmcnt(1)
	flat_store_b32 v[170:171], v173
	s_waitcnt vmcnt(0) lgkmcnt(1)
	flat_store_b32 v[179:180], v182
.LBB80_16:
	s_or_b32 exec_lo, exec_lo, s6
	v_mov_b32_e32 v179, v172
.LBB80_17:
	s_or_b32 exec_lo, exec_lo, s3
.LBB80_18:
	s_or_saveexec_b32 s2, s2
	s_delay_alu instid0(VALU_DEP_1)
	v_mov_b32_e32 v180, v179
	s_xor_b32 exec_lo, exec_lo, s2
	s_cbranch_execz .LBB80_20
; %bb.19:
	v_mov_b32_e32 v180, 0
	ds_store_2addr_b64 v174, v[156:157], v[158:159] offset0:2 offset1:3
	ds_store_2addr_b64 v174, v[152:153], v[154:155] offset0:4 offset1:5
	;; [unrolled: 1-line block ×40, first 2 shown]
.LBB80_20:
	s_or_b32 exec_lo, exec_lo, s2
	s_delay_alu instid0(SALU_CYCLE_1)
	s_mov_b32 s2, exec_lo
	s_waitcnt lgkmcnt(0)
	s_waitcnt_vscnt null, 0x0
	s_barrier
	buffer_gl0_inv
	v_cmpx_lt_i32_e32 0, v180
	s_cbranch_execz .LBB80_22
; %bb.21:
	v_mul_f64 v[172:173], v[166:167], v[162:163]
	v_mul_f64 v[162:163], v[164:165], v[162:163]
	s_delay_alu instid0(VALU_DEP_2) | instskip(NEXT) | instid1(VALU_DEP_2)
	v_fma_f64 v[172:173], v[164:165], v[160:161], -v[172:173]
	v_fma_f64 v[162:163], v[166:167], v[160:161], v[162:163]
	ds_load_2addr_b64 v[164:167], v174 offset0:2 offset1:3
	s_waitcnt lgkmcnt(0)
	v_mul_f64 v[160:161], v[166:167], v[162:163]
	s_delay_alu instid0(VALU_DEP_1) | instskip(SKIP_1) | instid1(VALU_DEP_2)
	v_fma_f64 v[160:161], v[164:165], v[172:173], -v[160:161]
	v_mul_f64 v[164:165], v[164:165], v[162:163]
	v_add_f64 v[156:157], v[156:157], -v[160:161]
	s_delay_alu instid0(VALU_DEP_2) | instskip(NEXT) | instid1(VALU_DEP_1)
	v_fma_f64 v[164:165], v[166:167], v[172:173], v[164:165]
	v_add_f64 v[158:159], v[158:159], -v[164:165]
	ds_load_2addr_b64 v[164:167], v174 offset0:4 offset1:5
	s_waitcnt lgkmcnt(0)
	v_mul_f64 v[160:161], v[166:167], v[162:163]
	s_delay_alu instid0(VALU_DEP_1) | instskip(SKIP_1) | instid1(VALU_DEP_2)
	v_fma_f64 v[160:161], v[164:165], v[172:173], -v[160:161]
	v_mul_f64 v[164:165], v[164:165], v[162:163]
	v_add_f64 v[152:153], v[152:153], -v[160:161]
	s_delay_alu instid0(VALU_DEP_2) | instskip(NEXT) | instid1(VALU_DEP_1)
	v_fma_f64 v[164:165], v[166:167], v[172:173], v[164:165]
	v_add_f64 v[154:155], v[154:155], -v[164:165]
	;; [unrolled: 10-line block ×39, first 2 shown]
	ds_load_2addr_b64 v[164:167], v174 offset0:80 offset1:81
	s_waitcnt lgkmcnt(0)
	v_mul_f64 v[160:161], v[166:167], v[162:163]
	s_delay_alu instid0(VALU_DEP_1) | instskip(SKIP_1) | instid1(VALU_DEP_2)
	v_fma_f64 v[160:161], v[164:165], v[172:173], -v[160:161]
	v_mul_f64 v[164:165], v[164:165], v[162:163]
	v_add_f64 v[0:1], v[0:1], -v[160:161]
	s_delay_alu instid0(VALU_DEP_2) | instskip(SKIP_1) | instid1(VALU_DEP_2)
	v_fma_f64 v[164:165], v[166:167], v[172:173], v[164:165]
	v_dual_mov_b32 v160, v172 :: v_dual_mov_b32 v161, v173
	v_add_f64 v[2:3], v[2:3], -v[164:165]
.LBB80_22:
	s_or_b32 exec_lo, exec_lo, s2
	v_lshl_add_u32 v164, v180, 4, v174
	s_barrier
	buffer_gl0_inv
	v_mov_b32_e32 v172, 1
	ds_store_2addr_b64 v164, v[156:157], v[158:159] offset1:1
	s_waitcnt lgkmcnt(0)
	s_barrier
	buffer_gl0_inv
	ds_load_2addr_b64 v[164:167], v174 offset0:2 offset1:3
	s_cmp_lt_i32 s5, 3
	s_cbranch_scc1 .LBB80_25
; %bb.23:
	v_add3_u32 v173, v178, 0, 32
	v_mov_b32_e32 v172, 1
	s_mov_b32 s6, 2
	s_set_inst_prefetch_distance 0x1
	.p2align	6
.LBB80_24:                              ; =>This Inner Loop Header: Depth=1
	ds_load_2addr_b64 v[182:185], v173 offset1:1
	s_waitcnt lgkmcnt(1)
	v_cmp_gt_f64_e32 vcc_lo, 0, v[164:165]
	v_xor_b32_e32 v186, 0x80000000, v165
	v_cmp_gt_f64_e64 s2, 0, v[166:167]
	v_xor_b32_e32 v188, 0x80000000, v167
	v_add_nc_u32_e32 v173, 16, v173
	s_waitcnt lgkmcnt(0)
	v_cmp_gt_f64_e64 s3, 0, v[182:183]
	v_mov_b32_e32 v190, v182
	v_dual_mov_b32 v192, v184 :: v_dual_cndmask_b32 v187, v165, v186
	v_xor_b32_e32 v186, 0x80000000, v183
	v_cndmask_b32_e64 v189, v167, v188, s2
	v_xor_b32_e32 v188, 0x80000000, v185
	s_delay_alu instid0(VALU_DEP_3) | instskip(SKIP_2) | instid1(VALU_DEP_2)
	v_cndmask_b32_e64 v191, v183, v186, s3
	v_cmp_gt_f64_e64 s3, 0, v[184:185]
	v_cndmask_b32_e32 v186, v164, v164, vcc_lo
	v_cndmask_b32_e64 v193, v185, v188, s3
	v_cndmask_b32_e64 v188, v166, v166, s2
	s_delay_alu instid0(VALU_DEP_2) | instskip(NEXT) | instid1(VALU_DEP_2)
	v_add_f64 v[190:191], v[190:191], v[192:193]
	v_add_f64 v[186:187], v[186:187], v[188:189]
	s_delay_alu instid0(VALU_DEP_1)
	v_cmp_lt_f64_e32 vcc_lo, v[186:187], v[190:191]
	v_cndmask_b32_e32 v167, v167, v185, vcc_lo
	v_dual_cndmask_b32 v165, v165, v183 :: v_dual_cndmask_b32 v164, v164, v182
	v_cndmask_b32_e32 v166, v166, v184, vcc_lo
	v_cndmask_b32_e64 v172, v172, s6, vcc_lo
	s_add_i32 s6, s6, 1
	s_delay_alu instid0(SALU_CYCLE_1)
	s_cmp_lg_u32 s5, s6
	s_cbranch_scc1 .LBB80_24
.LBB80_25:
	s_set_inst_prefetch_distance 0x2
	s_waitcnt lgkmcnt(0)
	v_cmp_neq_f64_e32 vcc_lo, 0, v[164:165]
	v_cmp_neq_f64_e64 s2, 0, v[166:167]
	s_delay_alu instid0(VALU_DEP_1) | instskip(NEXT) | instid1(SALU_CYCLE_1)
	s_or_b32 s2, vcc_lo, s2
	s_and_saveexec_b32 s3, s2
	s_cbranch_execz .LBB80_31
; %bb.26:
	v_cmp_gt_f64_e32 vcc_lo, 0, v[164:165]
	v_cmp_gt_f64_e64 s2, 0, v[166:167]
	v_xor_b32_e32 v173, 0x80000000, v165
	v_xor_b32_e32 v177, 0x80000000, v167
	s_delay_alu instid0(VALU_DEP_2) | instskip(NEXT) | instid1(VALU_DEP_2)
	v_dual_cndmask_b32 v183, v165, v173 :: v_dual_cndmask_b32 v182, v164, v164
	v_cndmask_b32_e64 v185, v167, v177, s2
	v_cndmask_b32_e64 v184, v166, v166, s2
	s_mov_b32 s2, exec_lo
	s_delay_alu instid0(VALU_DEP_1)
	v_cmpx_ngt_f64_e32 v[182:183], v[184:185]
	s_xor_b32 s2, exec_lo, s2
	s_cbranch_execz .LBB80_28
; %bb.27:
	v_div_scale_f64 v[182:183], null, v[166:167], v[166:167], v[164:165]
	v_div_scale_f64 v[188:189], vcc_lo, v[164:165], v[166:167], v[164:165]
	s_delay_alu instid0(VALU_DEP_2) | instskip(SKIP_2) | instid1(VALU_DEP_1)
	v_rcp_f64_e32 v[184:185], v[182:183]
	s_waitcnt_depctr 0xfff
	v_fma_f64 v[186:187], -v[182:183], v[184:185], 1.0
	v_fma_f64 v[184:185], v[184:185], v[186:187], v[184:185]
	s_delay_alu instid0(VALU_DEP_1) | instskip(NEXT) | instid1(VALU_DEP_1)
	v_fma_f64 v[186:187], -v[182:183], v[184:185], 1.0
	v_fma_f64 v[184:185], v[184:185], v[186:187], v[184:185]
	s_delay_alu instid0(VALU_DEP_1) | instskip(NEXT) | instid1(VALU_DEP_1)
	v_mul_f64 v[186:187], v[188:189], v[184:185]
	v_fma_f64 v[182:183], -v[182:183], v[186:187], v[188:189]
	s_delay_alu instid0(VALU_DEP_1) | instskip(NEXT) | instid1(VALU_DEP_1)
	v_div_fmas_f64 v[182:183], v[182:183], v[184:185], v[186:187]
	v_div_fixup_f64 v[182:183], v[182:183], v[166:167], v[164:165]
	s_delay_alu instid0(VALU_DEP_1) | instskip(NEXT) | instid1(VALU_DEP_1)
	v_fma_f64 v[164:165], v[164:165], v[182:183], v[166:167]
	v_div_scale_f64 v[166:167], null, v[164:165], v[164:165], 1.0
	s_delay_alu instid0(VALU_DEP_1) | instskip(SKIP_2) | instid1(VALU_DEP_1)
	v_rcp_f64_e32 v[184:185], v[166:167]
	s_waitcnt_depctr 0xfff
	v_fma_f64 v[186:187], -v[166:167], v[184:185], 1.0
	v_fma_f64 v[184:185], v[184:185], v[186:187], v[184:185]
	s_delay_alu instid0(VALU_DEP_1) | instskip(NEXT) | instid1(VALU_DEP_1)
	v_fma_f64 v[186:187], -v[166:167], v[184:185], 1.0
	v_fma_f64 v[184:185], v[184:185], v[186:187], v[184:185]
	v_div_scale_f64 v[186:187], vcc_lo, 1.0, v[164:165], 1.0
	s_delay_alu instid0(VALU_DEP_1) | instskip(NEXT) | instid1(VALU_DEP_1)
	v_mul_f64 v[188:189], v[186:187], v[184:185]
	v_fma_f64 v[166:167], -v[166:167], v[188:189], v[186:187]
	s_delay_alu instid0(VALU_DEP_1) | instskip(NEXT) | instid1(VALU_DEP_1)
	v_div_fmas_f64 v[166:167], v[166:167], v[184:185], v[188:189]
	v_div_fixup_f64 v[166:167], v[166:167], v[164:165], 1.0
	s_delay_alu instid0(VALU_DEP_1)
	v_mul_f64 v[164:165], v[182:183], v[166:167]
	v_xor_b32_e32 v167, 0x80000000, v167
.LBB80_28:
	s_and_not1_saveexec_b32 s2, s2
	s_cbranch_execz .LBB80_30
; %bb.29:
	s_delay_alu instid0(VALU_DEP_1) | instskip(SKIP_1) | instid1(VALU_DEP_2)
	v_div_scale_f64 v[182:183], null, v[164:165], v[164:165], v[166:167]
	v_div_scale_f64 v[188:189], vcc_lo, v[166:167], v[164:165], v[166:167]
	v_rcp_f64_e32 v[184:185], v[182:183]
	s_waitcnt_depctr 0xfff
	v_fma_f64 v[186:187], -v[182:183], v[184:185], 1.0
	s_delay_alu instid0(VALU_DEP_1) | instskip(NEXT) | instid1(VALU_DEP_1)
	v_fma_f64 v[184:185], v[184:185], v[186:187], v[184:185]
	v_fma_f64 v[186:187], -v[182:183], v[184:185], 1.0
	s_delay_alu instid0(VALU_DEP_1) | instskip(NEXT) | instid1(VALU_DEP_1)
	v_fma_f64 v[184:185], v[184:185], v[186:187], v[184:185]
	v_mul_f64 v[186:187], v[188:189], v[184:185]
	s_delay_alu instid0(VALU_DEP_1) | instskip(NEXT) | instid1(VALU_DEP_1)
	v_fma_f64 v[182:183], -v[182:183], v[186:187], v[188:189]
	v_div_fmas_f64 v[182:183], v[182:183], v[184:185], v[186:187]
	s_delay_alu instid0(VALU_DEP_1) | instskip(NEXT) | instid1(VALU_DEP_1)
	v_div_fixup_f64 v[182:183], v[182:183], v[164:165], v[166:167]
	v_fma_f64 v[164:165], v[166:167], v[182:183], v[164:165]
	s_delay_alu instid0(VALU_DEP_1) | instskip(NEXT) | instid1(VALU_DEP_1)
	v_div_scale_f64 v[166:167], null, v[164:165], v[164:165], 1.0
	v_rcp_f64_e32 v[184:185], v[166:167]
	s_waitcnt_depctr 0xfff
	v_fma_f64 v[186:187], -v[166:167], v[184:185], 1.0
	s_delay_alu instid0(VALU_DEP_1) | instskip(NEXT) | instid1(VALU_DEP_1)
	v_fma_f64 v[184:185], v[184:185], v[186:187], v[184:185]
	v_fma_f64 v[186:187], -v[166:167], v[184:185], 1.0
	s_delay_alu instid0(VALU_DEP_1) | instskip(SKIP_1) | instid1(VALU_DEP_1)
	v_fma_f64 v[184:185], v[184:185], v[186:187], v[184:185]
	v_div_scale_f64 v[186:187], vcc_lo, 1.0, v[164:165], 1.0
	v_mul_f64 v[188:189], v[186:187], v[184:185]
	s_delay_alu instid0(VALU_DEP_1) | instskip(NEXT) | instid1(VALU_DEP_1)
	v_fma_f64 v[166:167], -v[166:167], v[188:189], v[186:187]
	v_div_fmas_f64 v[166:167], v[166:167], v[184:185], v[188:189]
	s_delay_alu instid0(VALU_DEP_1) | instskip(NEXT) | instid1(VALU_DEP_1)
	v_div_fixup_f64 v[164:165], v[166:167], v[164:165], 1.0
	v_mul_f64 v[166:167], v[182:183], -v[164:165]
.LBB80_30:
	s_or_b32 exec_lo, exec_lo, s2
	v_mov_b32_e32 v177, v181
.LBB80_31:
	s_or_b32 exec_lo, exec_lo, s3
	s_delay_alu instid0(SALU_CYCLE_1)
	s_mov_b32 s2, exec_lo
	v_cmpx_ne_u32_e64 v180, v172
	s_xor_b32 s2, exec_lo, s2
	s_cbranch_execz .LBB80_37
; %bb.32:
	s_mov_b32 s3, exec_lo
	v_cmpx_eq_u32_e32 1, v180
	s_cbranch_execz .LBB80_36
; %bb.33:
	v_cmp_ne_u32_e32 vcc_lo, 1, v172
	s_xor_b32 s6, s4, -1
	s_delay_alu instid0(SALU_CYCLE_1) | instskip(NEXT) | instid1(SALU_CYCLE_1)
	s_and_b32 s7, s6, vcc_lo
	s_and_saveexec_b32 s6, s7
	s_cbranch_execz .LBB80_35
; %bb.34:
	v_ashrrev_i32_e32 v173, 31, v172
	s_delay_alu instid0(VALU_DEP_1) | instskip(NEXT) | instid1(VALU_DEP_1)
	v_lshlrev_b64 v[179:180], 2, v[172:173]
	v_add_co_u32 v179, vcc_lo, v170, v179
	s_delay_alu instid0(VALU_DEP_2)
	v_add_co_ci_u32_e32 v180, vcc_lo, v171, v180, vcc_lo
	s_clause 0x1
	flat_load_b32 v173, v[179:180]
	flat_load_b32 v181, v[170:171] offset:4
	s_waitcnt vmcnt(1) lgkmcnt(1)
	flat_store_b32 v[170:171], v173 offset:4
	s_waitcnt vmcnt(0) lgkmcnt(1)
	flat_store_b32 v[179:180], v181
.LBB80_35:
	s_or_b32 exec_lo, exec_lo, s6
	v_mov_b32_e32 v180, v172
	v_mov_b32_e32 v179, v172
.LBB80_36:
	s_or_b32 exec_lo, exec_lo, s3
.LBB80_37:
	s_and_not1_saveexec_b32 s2, s2
	s_cbranch_execz .LBB80_39
; %bb.38:
	v_mov_b32_e32 v180, 1
	ds_store_2addr_b64 v174, v[152:153], v[154:155] offset0:4 offset1:5
	ds_store_2addr_b64 v174, v[148:149], v[150:151] offset0:6 offset1:7
	;; [unrolled: 1-line block ×39, first 2 shown]
.LBB80_39:
	s_or_b32 exec_lo, exec_lo, s2
	s_delay_alu instid0(SALU_CYCLE_1)
	s_mov_b32 s2, exec_lo
	s_waitcnt lgkmcnt(0)
	s_waitcnt_vscnt null, 0x0
	s_barrier
	buffer_gl0_inv
	v_cmpx_lt_i32_e32 1, v180
	s_cbranch_execz .LBB80_41
; %bb.40:
	v_mul_f64 v[172:173], v[166:167], v[158:159]
	v_mul_f64 v[158:159], v[164:165], v[158:159]
	s_delay_alu instid0(VALU_DEP_2) | instskip(NEXT) | instid1(VALU_DEP_2)
	v_fma_f64 v[172:173], v[164:165], v[156:157], -v[172:173]
	v_fma_f64 v[158:159], v[166:167], v[156:157], v[158:159]
	ds_load_2addr_b64 v[164:167], v174 offset0:4 offset1:5
	s_waitcnt lgkmcnt(0)
	v_mul_f64 v[156:157], v[166:167], v[158:159]
	s_delay_alu instid0(VALU_DEP_1) | instskip(SKIP_1) | instid1(VALU_DEP_2)
	v_fma_f64 v[156:157], v[164:165], v[172:173], -v[156:157]
	v_mul_f64 v[164:165], v[164:165], v[158:159]
	v_add_f64 v[152:153], v[152:153], -v[156:157]
	s_delay_alu instid0(VALU_DEP_2) | instskip(NEXT) | instid1(VALU_DEP_1)
	v_fma_f64 v[164:165], v[166:167], v[172:173], v[164:165]
	v_add_f64 v[154:155], v[154:155], -v[164:165]
	ds_load_2addr_b64 v[164:167], v174 offset0:6 offset1:7
	s_waitcnt lgkmcnt(0)
	v_mul_f64 v[156:157], v[166:167], v[158:159]
	s_delay_alu instid0(VALU_DEP_1) | instskip(SKIP_1) | instid1(VALU_DEP_2)
	v_fma_f64 v[156:157], v[164:165], v[172:173], -v[156:157]
	v_mul_f64 v[164:165], v[164:165], v[158:159]
	v_add_f64 v[148:149], v[148:149], -v[156:157]
	s_delay_alu instid0(VALU_DEP_2) | instskip(NEXT) | instid1(VALU_DEP_1)
	v_fma_f64 v[164:165], v[166:167], v[172:173], v[164:165]
	v_add_f64 v[150:151], v[150:151], -v[164:165]
	;; [unrolled: 10-line block ×38, first 2 shown]
	ds_load_2addr_b64 v[164:167], v174 offset0:80 offset1:81
	s_waitcnt lgkmcnt(0)
	v_mul_f64 v[156:157], v[166:167], v[158:159]
	s_delay_alu instid0(VALU_DEP_1) | instskip(SKIP_1) | instid1(VALU_DEP_2)
	v_fma_f64 v[156:157], v[164:165], v[172:173], -v[156:157]
	v_mul_f64 v[164:165], v[164:165], v[158:159]
	v_add_f64 v[0:1], v[0:1], -v[156:157]
	s_delay_alu instid0(VALU_DEP_2) | instskip(SKIP_1) | instid1(VALU_DEP_2)
	v_fma_f64 v[164:165], v[166:167], v[172:173], v[164:165]
	v_dual_mov_b32 v156, v172 :: v_dual_mov_b32 v157, v173
	v_add_f64 v[2:3], v[2:3], -v[164:165]
.LBB80_41:
	s_or_b32 exec_lo, exec_lo, s2
	v_lshl_add_u32 v164, v180, 4, v174
	s_barrier
	buffer_gl0_inv
	v_mov_b32_e32 v172, 2
	ds_store_2addr_b64 v164, v[152:153], v[154:155] offset1:1
	s_waitcnt lgkmcnt(0)
	s_barrier
	buffer_gl0_inv
	ds_load_2addr_b64 v[164:167], v174 offset0:4 offset1:5
	s_cmp_lt_i32 s5, 4
	s_cbranch_scc1 .LBB80_44
; %bb.42:
	v_add3_u32 v173, v178, 0, 48
	v_mov_b32_e32 v172, 2
	s_mov_b32 s6, 3
	s_set_inst_prefetch_distance 0x1
	.p2align	6
.LBB80_43:                              ; =>This Inner Loop Header: Depth=1
	ds_load_2addr_b64 v[181:184], v173 offset1:1
	s_waitcnt lgkmcnt(1)
	v_cmp_gt_f64_e32 vcc_lo, 0, v[164:165]
	v_xor_b32_e32 v185, 0x80000000, v165
	v_cmp_gt_f64_e64 s2, 0, v[166:167]
	v_xor_b32_e32 v187, 0x80000000, v167
	v_add_nc_u32_e32 v173, 16, v173
	s_waitcnt lgkmcnt(0)
	v_cmp_gt_f64_e64 s3, 0, v[181:182]
	v_mov_b32_e32 v189, v181
	v_dual_mov_b32 v191, v183 :: v_dual_cndmask_b32 v186, v165, v185
	v_xor_b32_e32 v185, 0x80000000, v182
	v_cndmask_b32_e64 v188, v167, v187, s2
	v_xor_b32_e32 v187, 0x80000000, v184
	s_delay_alu instid0(VALU_DEP_3) | instskip(SKIP_2) | instid1(VALU_DEP_2)
	v_cndmask_b32_e64 v190, v182, v185, s3
	v_cmp_gt_f64_e64 s3, 0, v[183:184]
	v_cndmask_b32_e32 v185, v164, v164, vcc_lo
	v_cndmask_b32_e64 v192, v184, v187, s3
	v_cndmask_b32_e64 v187, v166, v166, s2
	s_delay_alu instid0(VALU_DEP_2) | instskip(NEXT) | instid1(VALU_DEP_2)
	v_add_f64 v[189:190], v[189:190], v[191:192]
	v_add_f64 v[185:186], v[185:186], v[187:188]
	s_delay_alu instid0(VALU_DEP_1) | instskip(SKIP_4) | instid1(SALU_CYCLE_1)
	v_cmp_lt_f64_e32 vcc_lo, v[185:186], v[189:190]
	v_dual_cndmask_b32 v166, v166, v183 :: v_dual_cndmask_b32 v165, v165, v182
	v_dual_cndmask_b32 v164, v164, v181 :: v_dual_cndmask_b32 v167, v167, v184
	v_cndmask_b32_e64 v172, v172, s6, vcc_lo
	s_add_i32 s6, s6, 1
	s_cmp_lg_u32 s5, s6
	s_cbranch_scc1 .LBB80_43
.LBB80_44:
	s_set_inst_prefetch_distance 0x2
	s_waitcnt lgkmcnt(0)
	v_cmp_eq_f64_e32 vcc_lo, 0, v[164:165]
	v_cmp_eq_f64_e64 s2, 0, v[166:167]
	s_delay_alu instid0(VALU_DEP_1) | instskip(NEXT) | instid1(SALU_CYCLE_1)
	s_and_b32 s2, vcc_lo, s2
	s_and_saveexec_b32 s3, s2
	s_delay_alu instid0(SALU_CYCLE_1)
	s_xor_b32 s2, exec_lo, s3
; %bb.45:
	v_cmp_ne_u32_e32 vcc_lo, 0, v177
	v_cndmask_b32_e32 v177, 3, v177, vcc_lo
; %bb.46:
	s_and_not1_saveexec_b32 s3, s2
	s_cbranch_execz .LBB80_52
; %bb.47:
	v_cmp_gt_f64_e32 vcc_lo, 0, v[164:165]
	v_cmp_gt_f64_e64 s2, 0, v[166:167]
	v_xor_b32_e32 v173, 0x80000000, v165
	v_xor_b32_e32 v181, 0x80000000, v167
	s_delay_alu instid0(VALU_DEP_2) | instskip(NEXT) | instid1(VALU_DEP_2)
	v_cndmask_b32_e32 v182, v165, v173, vcc_lo
	v_cndmask_b32_e64 v184, v167, v181, s2
	v_cndmask_b32_e32 v181, v164, v164, vcc_lo
	v_cndmask_b32_e64 v183, v166, v166, s2
	s_mov_b32 s2, exec_lo
	s_delay_alu instid0(VALU_DEP_1)
	v_cmpx_ngt_f64_e32 v[181:182], v[183:184]
	s_xor_b32 s2, exec_lo, s2
	s_cbranch_execz .LBB80_49
; %bb.48:
	v_div_scale_f64 v[181:182], null, v[166:167], v[166:167], v[164:165]
	v_div_scale_f64 v[187:188], vcc_lo, v[164:165], v[166:167], v[164:165]
	s_delay_alu instid0(VALU_DEP_2) | instskip(SKIP_2) | instid1(VALU_DEP_1)
	v_rcp_f64_e32 v[183:184], v[181:182]
	s_waitcnt_depctr 0xfff
	v_fma_f64 v[185:186], -v[181:182], v[183:184], 1.0
	v_fma_f64 v[183:184], v[183:184], v[185:186], v[183:184]
	s_delay_alu instid0(VALU_DEP_1) | instskip(NEXT) | instid1(VALU_DEP_1)
	v_fma_f64 v[185:186], -v[181:182], v[183:184], 1.0
	v_fma_f64 v[183:184], v[183:184], v[185:186], v[183:184]
	s_delay_alu instid0(VALU_DEP_1) | instskip(NEXT) | instid1(VALU_DEP_1)
	v_mul_f64 v[185:186], v[187:188], v[183:184]
	v_fma_f64 v[181:182], -v[181:182], v[185:186], v[187:188]
	s_delay_alu instid0(VALU_DEP_1) | instskip(NEXT) | instid1(VALU_DEP_1)
	v_div_fmas_f64 v[181:182], v[181:182], v[183:184], v[185:186]
	v_div_fixup_f64 v[181:182], v[181:182], v[166:167], v[164:165]
	s_delay_alu instid0(VALU_DEP_1) | instskip(NEXT) | instid1(VALU_DEP_1)
	v_fma_f64 v[164:165], v[164:165], v[181:182], v[166:167]
	v_div_scale_f64 v[166:167], null, v[164:165], v[164:165], 1.0
	s_delay_alu instid0(VALU_DEP_1) | instskip(SKIP_2) | instid1(VALU_DEP_1)
	v_rcp_f64_e32 v[183:184], v[166:167]
	s_waitcnt_depctr 0xfff
	v_fma_f64 v[185:186], -v[166:167], v[183:184], 1.0
	v_fma_f64 v[183:184], v[183:184], v[185:186], v[183:184]
	s_delay_alu instid0(VALU_DEP_1) | instskip(NEXT) | instid1(VALU_DEP_1)
	v_fma_f64 v[185:186], -v[166:167], v[183:184], 1.0
	v_fma_f64 v[183:184], v[183:184], v[185:186], v[183:184]
	v_div_scale_f64 v[185:186], vcc_lo, 1.0, v[164:165], 1.0
	s_delay_alu instid0(VALU_DEP_1) | instskip(NEXT) | instid1(VALU_DEP_1)
	v_mul_f64 v[187:188], v[185:186], v[183:184]
	v_fma_f64 v[166:167], -v[166:167], v[187:188], v[185:186]
	s_delay_alu instid0(VALU_DEP_1) | instskip(NEXT) | instid1(VALU_DEP_1)
	v_div_fmas_f64 v[166:167], v[166:167], v[183:184], v[187:188]
	v_div_fixup_f64 v[166:167], v[166:167], v[164:165], 1.0
	s_delay_alu instid0(VALU_DEP_1)
	v_mul_f64 v[164:165], v[181:182], v[166:167]
	v_xor_b32_e32 v167, 0x80000000, v167
.LBB80_49:
	s_and_not1_saveexec_b32 s2, s2
	s_cbranch_execz .LBB80_51
; %bb.50:
	s_delay_alu instid0(VALU_DEP_1) | instskip(SKIP_1) | instid1(VALU_DEP_2)
	v_div_scale_f64 v[181:182], null, v[164:165], v[164:165], v[166:167]
	v_div_scale_f64 v[187:188], vcc_lo, v[166:167], v[164:165], v[166:167]
	v_rcp_f64_e32 v[183:184], v[181:182]
	s_waitcnt_depctr 0xfff
	v_fma_f64 v[185:186], -v[181:182], v[183:184], 1.0
	s_delay_alu instid0(VALU_DEP_1) | instskip(NEXT) | instid1(VALU_DEP_1)
	v_fma_f64 v[183:184], v[183:184], v[185:186], v[183:184]
	v_fma_f64 v[185:186], -v[181:182], v[183:184], 1.0
	s_delay_alu instid0(VALU_DEP_1) | instskip(NEXT) | instid1(VALU_DEP_1)
	v_fma_f64 v[183:184], v[183:184], v[185:186], v[183:184]
	v_mul_f64 v[185:186], v[187:188], v[183:184]
	s_delay_alu instid0(VALU_DEP_1) | instskip(NEXT) | instid1(VALU_DEP_1)
	v_fma_f64 v[181:182], -v[181:182], v[185:186], v[187:188]
	v_div_fmas_f64 v[181:182], v[181:182], v[183:184], v[185:186]
	s_delay_alu instid0(VALU_DEP_1) | instskip(NEXT) | instid1(VALU_DEP_1)
	v_div_fixup_f64 v[181:182], v[181:182], v[164:165], v[166:167]
	v_fma_f64 v[164:165], v[166:167], v[181:182], v[164:165]
	s_delay_alu instid0(VALU_DEP_1) | instskip(NEXT) | instid1(VALU_DEP_1)
	v_div_scale_f64 v[166:167], null, v[164:165], v[164:165], 1.0
	v_rcp_f64_e32 v[183:184], v[166:167]
	s_waitcnt_depctr 0xfff
	v_fma_f64 v[185:186], -v[166:167], v[183:184], 1.0
	s_delay_alu instid0(VALU_DEP_1) | instskip(NEXT) | instid1(VALU_DEP_1)
	v_fma_f64 v[183:184], v[183:184], v[185:186], v[183:184]
	v_fma_f64 v[185:186], -v[166:167], v[183:184], 1.0
	s_delay_alu instid0(VALU_DEP_1) | instskip(SKIP_1) | instid1(VALU_DEP_1)
	v_fma_f64 v[183:184], v[183:184], v[185:186], v[183:184]
	v_div_scale_f64 v[185:186], vcc_lo, 1.0, v[164:165], 1.0
	v_mul_f64 v[187:188], v[185:186], v[183:184]
	s_delay_alu instid0(VALU_DEP_1) | instskip(NEXT) | instid1(VALU_DEP_1)
	v_fma_f64 v[166:167], -v[166:167], v[187:188], v[185:186]
	v_div_fmas_f64 v[166:167], v[166:167], v[183:184], v[187:188]
	s_delay_alu instid0(VALU_DEP_1) | instskip(NEXT) | instid1(VALU_DEP_1)
	v_div_fixup_f64 v[164:165], v[166:167], v[164:165], 1.0
	v_mul_f64 v[166:167], v[181:182], -v[164:165]
.LBB80_51:
	s_or_b32 exec_lo, exec_lo, s2
.LBB80_52:
	s_delay_alu instid0(SALU_CYCLE_1) | instskip(NEXT) | instid1(SALU_CYCLE_1)
	s_or_b32 exec_lo, exec_lo, s3
	s_mov_b32 s2, exec_lo
	v_cmpx_ne_u32_e64 v180, v172
	s_xor_b32 s2, exec_lo, s2
	s_cbranch_execz .LBB80_58
; %bb.53:
	s_mov_b32 s3, exec_lo
	v_cmpx_eq_u32_e32 2, v180
	s_cbranch_execz .LBB80_57
; %bb.54:
	v_cmp_ne_u32_e32 vcc_lo, 2, v172
	s_xor_b32 s6, s4, -1
	s_delay_alu instid0(SALU_CYCLE_1) | instskip(NEXT) | instid1(SALU_CYCLE_1)
	s_and_b32 s7, s6, vcc_lo
	s_and_saveexec_b32 s6, s7
	s_cbranch_execz .LBB80_56
; %bb.55:
	v_ashrrev_i32_e32 v173, 31, v172
	s_delay_alu instid0(VALU_DEP_1) | instskip(NEXT) | instid1(VALU_DEP_1)
	v_lshlrev_b64 v[179:180], 2, v[172:173]
	v_add_co_u32 v179, vcc_lo, v170, v179
	s_delay_alu instid0(VALU_DEP_2)
	v_add_co_ci_u32_e32 v180, vcc_lo, v171, v180, vcc_lo
	s_clause 0x1
	flat_load_b32 v173, v[179:180]
	flat_load_b32 v181, v[170:171] offset:8
	s_waitcnt vmcnt(1) lgkmcnt(1)
	flat_store_b32 v[170:171], v173 offset:8
	s_waitcnt vmcnt(0) lgkmcnt(1)
	flat_store_b32 v[179:180], v181
.LBB80_56:
	s_or_b32 exec_lo, exec_lo, s6
	v_mov_b32_e32 v180, v172
	v_mov_b32_e32 v179, v172
.LBB80_57:
	s_or_b32 exec_lo, exec_lo, s3
.LBB80_58:
	s_and_not1_saveexec_b32 s2, s2
	s_cbranch_execz .LBB80_60
; %bb.59:
	v_mov_b32_e32 v180, 2
	ds_store_2addr_b64 v174, v[148:149], v[150:151] offset0:6 offset1:7
	ds_store_2addr_b64 v174, v[144:145], v[146:147] offset0:8 offset1:9
	;; [unrolled: 1-line block ×38, first 2 shown]
.LBB80_60:
	s_or_b32 exec_lo, exec_lo, s2
	s_delay_alu instid0(SALU_CYCLE_1)
	s_mov_b32 s2, exec_lo
	s_waitcnt lgkmcnt(0)
	s_waitcnt_vscnt null, 0x0
	s_barrier
	buffer_gl0_inv
	v_cmpx_lt_i32_e32 2, v180
	s_cbranch_execz .LBB80_62
; %bb.61:
	v_mul_f64 v[172:173], v[166:167], v[154:155]
	v_mul_f64 v[154:155], v[164:165], v[154:155]
	s_delay_alu instid0(VALU_DEP_2) | instskip(NEXT) | instid1(VALU_DEP_2)
	v_fma_f64 v[172:173], v[164:165], v[152:153], -v[172:173]
	v_fma_f64 v[154:155], v[166:167], v[152:153], v[154:155]
	ds_load_2addr_b64 v[164:167], v174 offset0:6 offset1:7
	s_waitcnt lgkmcnt(0)
	v_mul_f64 v[152:153], v[166:167], v[154:155]
	s_delay_alu instid0(VALU_DEP_1) | instskip(SKIP_1) | instid1(VALU_DEP_2)
	v_fma_f64 v[152:153], v[164:165], v[172:173], -v[152:153]
	v_mul_f64 v[164:165], v[164:165], v[154:155]
	v_add_f64 v[148:149], v[148:149], -v[152:153]
	s_delay_alu instid0(VALU_DEP_2) | instskip(NEXT) | instid1(VALU_DEP_1)
	v_fma_f64 v[164:165], v[166:167], v[172:173], v[164:165]
	v_add_f64 v[150:151], v[150:151], -v[164:165]
	ds_load_2addr_b64 v[164:167], v174 offset0:8 offset1:9
	s_waitcnt lgkmcnt(0)
	v_mul_f64 v[152:153], v[166:167], v[154:155]
	s_delay_alu instid0(VALU_DEP_1) | instskip(SKIP_1) | instid1(VALU_DEP_2)
	v_fma_f64 v[152:153], v[164:165], v[172:173], -v[152:153]
	v_mul_f64 v[164:165], v[164:165], v[154:155]
	v_add_f64 v[144:145], v[144:145], -v[152:153]
	s_delay_alu instid0(VALU_DEP_2) | instskip(NEXT) | instid1(VALU_DEP_1)
	v_fma_f64 v[164:165], v[166:167], v[172:173], v[164:165]
	v_add_f64 v[146:147], v[146:147], -v[164:165]
	ds_load_2addr_b64 v[164:167], v174 offset0:10 offset1:11
	s_waitcnt lgkmcnt(0)
	v_mul_f64 v[152:153], v[166:167], v[154:155]
	s_delay_alu instid0(VALU_DEP_1) | instskip(SKIP_1) | instid1(VALU_DEP_2)
	v_fma_f64 v[152:153], v[164:165], v[172:173], -v[152:153]
	v_mul_f64 v[164:165], v[164:165], v[154:155]
	v_add_f64 v[140:141], v[140:141], -v[152:153]
	s_delay_alu instid0(VALU_DEP_2) | instskip(NEXT) | instid1(VALU_DEP_1)
	v_fma_f64 v[164:165], v[166:167], v[172:173], v[164:165]
	v_add_f64 v[142:143], v[142:143], -v[164:165]
	ds_load_2addr_b64 v[164:167], v174 offset0:12 offset1:13
	s_waitcnt lgkmcnt(0)
	v_mul_f64 v[152:153], v[166:167], v[154:155]
	s_delay_alu instid0(VALU_DEP_1) | instskip(SKIP_1) | instid1(VALU_DEP_2)
	v_fma_f64 v[152:153], v[164:165], v[172:173], -v[152:153]
	v_mul_f64 v[164:165], v[164:165], v[154:155]
	v_add_f64 v[136:137], v[136:137], -v[152:153]
	s_delay_alu instid0(VALU_DEP_2) | instskip(NEXT) | instid1(VALU_DEP_1)
	v_fma_f64 v[164:165], v[166:167], v[172:173], v[164:165]
	v_add_f64 v[138:139], v[138:139], -v[164:165]
	ds_load_2addr_b64 v[164:167], v174 offset0:14 offset1:15
	s_waitcnt lgkmcnt(0)
	v_mul_f64 v[152:153], v[166:167], v[154:155]
	s_delay_alu instid0(VALU_DEP_1) | instskip(SKIP_1) | instid1(VALU_DEP_2)
	v_fma_f64 v[152:153], v[164:165], v[172:173], -v[152:153]
	v_mul_f64 v[164:165], v[164:165], v[154:155]
	v_add_f64 v[132:133], v[132:133], -v[152:153]
	s_delay_alu instid0(VALU_DEP_2) | instskip(NEXT) | instid1(VALU_DEP_1)
	v_fma_f64 v[164:165], v[166:167], v[172:173], v[164:165]
	v_add_f64 v[134:135], v[134:135], -v[164:165]
	ds_load_2addr_b64 v[164:167], v174 offset0:16 offset1:17
	s_waitcnt lgkmcnt(0)
	v_mul_f64 v[152:153], v[166:167], v[154:155]
	s_delay_alu instid0(VALU_DEP_1) | instskip(SKIP_1) | instid1(VALU_DEP_2)
	v_fma_f64 v[152:153], v[164:165], v[172:173], -v[152:153]
	v_mul_f64 v[164:165], v[164:165], v[154:155]
	v_add_f64 v[128:129], v[128:129], -v[152:153]
	s_delay_alu instid0(VALU_DEP_2) | instskip(NEXT) | instid1(VALU_DEP_1)
	v_fma_f64 v[164:165], v[166:167], v[172:173], v[164:165]
	v_add_f64 v[130:131], v[130:131], -v[164:165]
	ds_load_2addr_b64 v[164:167], v174 offset0:18 offset1:19
	s_waitcnt lgkmcnt(0)
	v_mul_f64 v[152:153], v[166:167], v[154:155]
	s_delay_alu instid0(VALU_DEP_1) | instskip(SKIP_1) | instid1(VALU_DEP_2)
	v_fma_f64 v[152:153], v[164:165], v[172:173], -v[152:153]
	v_mul_f64 v[164:165], v[164:165], v[154:155]
	v_add_f64 v[124:125], v[124:125], -v[152:153]
	s_delay_alu instid0(VALU_DEP_2) | instskip(NEXT) | instid1(VALU_DEP_1)
	v_fma_f64 v[164:165], v[166:167], v[172:173], v[164:165]
	v_add_f64 v[126:127], v[126:127], -v[164:165]
	ds_load_2addr_b64 v[164:167], v174 offset0:20 offset1:21
	s_waitcnt lgkmcnt(0)
	v_mul_f64 v[152:153], v[166:167], v[154:155]
	s_delay_alu instid0(VALU_DEP_1) | instskip(SKIP_1) | instid1(VALU_DEP_2)
	v_fma_f64 v[152:153], v[164:165], v[172:173], -v[152:153]
	v_mul_f64 v[164:165], v[164:165], v[154:155]
	v_add_f64 v[120:121], v[120:121], -v[152:153]
	s_delay_alu instid0(VALU_DEP_2) | instskip(NEXT) | instid1(VALU_DEP_1)
	v_fma_f64 v[164:165], v[166:167], v[172:173], v[164:165]
	v_add_f64 v[122:123], v[122:123], -v[164:165]
	ds_load_2addr_b64 v[164:167], v174 offset0:22 offset1:23
	s_waitcnt lgkmcnt(0)
	v_mul_f64 v[152:153], v[166:167], v[154:155]
	s_delay_alu instid0(VALU_DEP_1) | instskip(SKIP_1) | instid1(VALU_DEP_2)
	v_fma_f64 v[152:153], v[164:165], v[172:173], -v[152:153]
	v_mul_f64 v[164:165], v[164:165], v[154:155]
	v_add_f64 v[116:117], v[116:117], -v[152:153]
	s_delay_alu instid0(VALU_DEP_2) | instskip(NEXT) | instid1(VALU_DEP_1)
	v_fma_f64 v[164:165], v[166:167], v[172:173], v[164:165]
	v_add_f64 v[118:119], v[118:119], -v[164:165]
	ds_load_2addr_b64 v[164:167], v174 offset0:24 offset1:25
	s_waitcnt lgkmcnt(0)
	v_mul_f64 v[152:153], v[166:167], v[154:155]
	s_delay_alu instid0(VALU_DEP_1) | instskip(SKIP_1) | instid1(VALU_DEP_2)
	v_fma_f64 v[152:153], v[164:165], v[172:173], -v[152:153]
	v_mul_f64 v[164:165], v[164:165], v[154:155]
	v_add_f64 v[112:113], v[112:113], -v[152:153]
	s_delay_alu instid0(VALU_DEP_2) | instskip(NEXT) | instid1(VALU_DEP_1)
	v_fma_f64 v[164:165], v[166:167], v[172:173], v[164:165]
	v_add_f64 v[114:115], v[114:115], -v[164:165]
	ds_load_2addr_b64 v[164:167], v174 offset0:26 offset1:27
	s_waitcnt lgkmcnt(0)
	v_mul_f64 v[152:153], v[166:167], v[154:155]
	s_delay_alu instid0(VALU_DEP_1) | instskip(SKIP_1) | instid1(VALU_DEP_2)
	v_fma_f64 v[152:153], v[164:165], v[172:173], -v[152:153]
	v_mul_f64 v[164:165], v[164:165], v[154:155]
	v_add_f64 v[108:109], v[108:109], -v[152:153]
	s_delay_alu instid0(VALU_DEP_2) | instskip(NEXT) | instid1(VALU_DEP_1)
	v_fma_f64 v[164:165], v[166:167], v[172:173], v[164:165]
	v_add_f64 v[110:111], v[110:111], -v[164:165]
	ds_load_2addr_b64 v[164:167], v174 offset0:28 offset1:29
	s_waitcnt lgkmcnt(0)
	v_mul_f64 v[152:153], v[166:167], v[154:155]
	s_delay_alu instid0(VALU_DEP_1) | instskip(SKIP_1) | instid1(VALU_DEP_2)
	v_fma_f64 v[152:153], v[164:165], v[172:173], -v[152:153]
	v_mul_f64 v[164:165], v[164:165], v[154:155]
	v_add_f64 v[104:105], v[104:105], -v[152:153]
	s_delay_alu instid0(VALU_DEP_2) | instskip(NEXT) | instid1(VALU_DEP_1)
	v_fma_f64 v[164:165], v[166:167], v[172:173], v[164:165]
	v_add_f64 v[106:107], v[106:107], -v[164:165]
	ds_load_2addr_b64 v[164:167], v174 offset0:30 offset1:31
	s_waitcnt lgkmcnt(0)
	v_mul_f64 v[152:153], v[166:167], v[154:155]
	s_delay_alu instid0(VALU_DEP_1) | instskip(SKIP_1) | instid1(VALU_DEP_2)
	v_fma_f64 v[152:153], v[164:165], v[172:173], -v[152:153]
	v_mul_f64 v[164:165], v[164:165], v[154:155]
	v_add_f64 v[100:101], v[100:101], -v[152:153]
	s_delay_alu instid0(VALU_DEP_2) | instskip(NEXT) | instid1(VALU_DEP_1)
	v_fma_f64 v[164:165], v[166:167], v[172:173], v[164:165]
	v_add_f64 v[102:103], v[102:103], -v[164:165]
	ds_load_2addr_b64 v[164:167], v174 offset0:32 offset1:33
	s_waitcnt lgkmcnt(0)
	v_mul_f64 v[152:153], v[166:167], v[154:155]
	s_delay_alu instid0(VALU_DEP_1) | instskip(SKIP_1) | instid1(VALU_DEP_2)
	v_fma_f64 v[152:153], v[164:165], v[172:173], -v[152:153]
	v_mul_f64 v[164:165], v[164:165], v[154:155]
	v_add_f64 v[96:97], v[96:97], -v[152:153]
	s_delay_alu instid0(VALU_DEP_2) | instskip(NEXT) | instid1(VALU_DEP_1)
	v_fma_f64 v[164:165], v[166:167], v[172:173], v[164:165]
	v_add_f64 v[98:99], v[98:99], -v[164:165]
	ds_load_2addr_b64 v[164:167], v174 offset0:34 offset1:35
	s_waitcnt lgkmcnt(0)
	v_mul_f64 v[152:153], v[166:167], v[154:155]
	s_delay_alu instid0(VALU_DEP_1) | instskip(SKIP_1) | instid1(VALU_DEP_2)
	v_fma_f64 v[152:153], v[164:165], v[172:173], -v[152:153]
	v_mul_f64 v[164:165], v[164:165], v[154:155]
	v_add_f64 v[92:93], v[92:93], -v[152:153]
	s_delay_alu instid0(VALU_DEP_2) | instskip(NEXT) | instid1(VALU_DEP_1)
	v_fma_f64 v[164:165], v[166:167], v[172:173], v[164:165]
	v_add_f64 v[94:95], v[94:95], -v[164:165]
	ds_load_2addr_b64 v[164:167], v174 offset0:36 offset1:37
	s_waitcnt lgkmcnt(0)
	v_mul_f64 v[152:153], v[166:167], v[154:155]
	s_delay_alu instid0(VALU_DEP_1) | instskip(SKIP_1) | instid1(VALU_DEP_2)
	v_fma_f64 v[152:153], v[164:165], v[172:173], -v[152:153]
	v_mul_f64 v[164:165], v[164:165], v[154:155]
	v_add_f64 v[88:89], v[88:89], -v[152:153]
	s_delay_alu instid0(VALU_DEP_2) | instskip(NEXT) | instid1(VALU_DEP_1)
	v_fma_f64 v[164:165], v[166:167], v[172:173], v[164:165]
	v_add_f64 v[90:91], v[90:91], -v[164:165]
	ds_load_2addr_b64 v[164:167], v174 offset0:38 offset1:39
	s_waitcnt lgkmcnt(0)
	v_mul_f64 v[152:153], v[166:167], v[154:155]
	s_delay_alu instid0(VALU_DEP_1) | instskip(SKIP_1) | instid1(VALU_DEP_2)
	v_fma_f64 v[152:153], v[164:165], v[172:173], -v[152:153]
	v_mul_f64 v[164:165], v[164:165], v[154:155]
	v_add_f64 v[84:85], v[84:85], -v[152:153]
	s_delay_alu instid0(VALU_DEP_2) | instskip(NEXT) | instid1(VALU_DEP_1)
	v_fma_f64 v[164:165], v[166:167], v[172:173], v[164:165]
	v_add_f64 v[86:87], v[86:87], -v[164:165]
	ds_load_2addr_b64 v[164:167], v174 offset0:40 offset1:41
	s_waitcnt lgkmcnt(0)
	v_mul_f64 v[152:153], v[166:167], v[154:155]
	s_delay_alu instid0(VALU_DEP_1) | instskip(SKIP_1) | instid1(VALU_DEP_2)
	v_fma_f64 v[152:153], v[164:165], v[172:173], -v[152:153]
	v_mul_f64 v[164:165], v[164:165], v[154:155]
	v_add_f64 v[80:81], v[80:81], -v[152:153]
	s_delay_alu instid0(VALU_DEP_2) | instskip(NEXT) | instid1(VALU_DEP_1)
	v_fma_f64 v[164:165], v[166:167], v[172:173], v[164:165]
	v_add_f64 v[82:83], v[82:83], -v[164:165]
	ds_load_2addr_b64 v[164:167], v174 offset0:42 offset1:43
	s_waitcnt lgkmcnt(0)
	v_mul_f64 v[152:153], v[166:167], v[154:155]
	s_delay_alu instid0(VALU_DEP_1) | instskip(SKIP_1) | instid1(VALU_DEP_2)
	v_fma_f64 v[152:153], v[164:165], v[172:173], -v[152:153]
	v_mul_f64 v[164:165], v[164:165], v[154:155]
	v_add_f64 v[76:77], v[76:77], -v[152:153]
	s_delay_alu instid0(VALU_DEP_2) | instskip(NEXT) | instid1(VALU_DEP_1)
	v_fma_f64 v[164:165], v[166:167], v[172:173], v[164:165]
	v_add_f64 v[78:79], v[78:79], -v[164:165]
	ds_load_2addr_b64 v[164:167], v174 offset0:44 offset1:45
	s_waitcnt lgkmcnt(0)
	v_mul_f64 v[152:153], v[166:167], v[154:155]
	s_delay_alu instid0(VALU_DEP_1) | instskip(SKIP_1) | instid1(VALU_DEP_2)
	v_fma_f64 v[152:153], v[164:165], v[172:173], -v[152:153]
	v_mul_f64 v[164:165], v[164:165], v[154:155]
	v_add_f64 v[72:73], v[72:73], -v[152:153]
	s_delay_alu instid0(VALU_DEP_2) | instskip(NEXT) | instid1(VALU_DEP_1)
	v_fma_f64 v[164:165], v[166:167], v[172:173], v[164:165]
	v_add_f64 v[74:75], v[74:75], -v[164:165]
	ds_load_2addr_b64 v[164:167], v174 offset0:46 offset1:47
	s_waitcnt lgkmcnt(0)
	v_mul_f64 v[152:153], v[166:167], v[154:155]
	s_delay_alu instid0(VALU_DEP_1) | instskip(SKIP_1) | instid1(VALU_DEP_2)
	v_fma_f64 v[152:153], v[164:165], v[172:173], -v[152:153]
	v_mul_f64 v[164:165], v[164:165], v[154:155]
	v_add_f64 v[68:69], v[68:69], -v[152:153]
	s_delay_alu instid0(VALU_DEP_2) | instskip(NEXT) | instid1(VALU_DEP_1)
	v_fma_f64 v[164:165], v[166:167], v[172:173], v[164:165]
	v_add_f64 v[70:71], v[70:71], -v[164:165]
	ds_load_2addr_b64 v[164:167], v174 offset0:48 offset1:49
	s_waitcnt lgkmcnt(0)
	v_mul_f64 v[152:153], v[166:167], v[154:155]
	s_delay_alu instid0(VALU_DEP_1) | instskip(SKIP_1) | instid1(VALU_DEP_2)
	v_fma_f64 v[152:153], v[164:165], v[172:173], -v[152:153]
	v_mul_f64 v[164:165], v[164:165], v[154:155]
	v_add_f64 v[64:65], v[64:65], -v[152:153]
	s_delay_alu instid0(VALU_DEP_2) | instskip(NEXT) | instid1(VALU_DEP_1)
	v_fma_f64 v[164:165], v[166:167], v[172:173], v[164:165]
	v_add_f64 v[66:67], v[66:67], -v[164:165]
	ds_load_2addr_b64 v[164:167], v174 offset0:50 offset1:51
	s_waitcnt lgkmcnt(0)
	v_mul_f64 v[152:153], v[166:167], v[154:155]
	s_delay_alu instid0(VALU_DEP_1) | instskip(SKIP_1) | instid1(VALU_DEP_2)
	v_fma_f64 v[152:153], v[164:165], v[172:173], -v[152:153]
	v_mul_f64 v[164:165], v[164:165], v[154:155]
	v_add_f64 v[60:61], v[60:61], -v[152:153]
	s_delay_alu instid0(VALU_DEP_2) | instskip(NEXT) | instid1(VALU_DEP_1)
	v_fma_f64 v[164:165], v[166:167], v[172:173], v[164:165]
	v_add_f64 v[62:63], v[62:63], -v[164:165]
	ds_load_2addr_b64 v[164:167], v174 offset0:52 offset1:53
	s_waitcnt lgkmcnt(0)
	v_mul_f64 v[152:153], v[166:167], v[154:155]
	s_delay_alu instid0(VALU_DEP_1) | instskip(SKIP_1) | instid1(VALU_DEP_2)
	v_fma_f64 v[152:153], v[164:165], v[172:173], -v[152:153]
	v_mul_f64 v[164:165], v[164:165], v[154:155]
	v_add_f64 v[56:57], v[56:57], -v[152:153]
	s_delay_alu instid0(VALU_DEP_2) | instskip(NEXT) | instid1(VALU_DEP_1)
	v_fma_f64 v[164:165], v[166:167], v[172:173], v[164:165]
	v_add_f64 v[58:59], v[58:59], -v[164:165]
	ds_load_2addr_b64 v[164:167], v174 offset0:54 offset1:55
	s_waitcnt lgkmcnt(0)
	v_mul_f64 v[152:153], v[166:167], v[154:155]
	s_delay_alu instid0(VALU_DEP_1) | instskip(SKIP_1) | instid1(VALU_DEP_2)
	v_fma_f64 v[152:153], v[164:165], v[172:173], -v[152:153]
	v_mul_f64 v[164:165], v[164:165], v[154:155]
	v_add_f64 v[52:53], v[52:53], -v[152:153]
	s_delay_alu instid0(VALU_DEP_2) | instskip(NEXT) | instid1(VALU_DEP_1)
	v_fma_f64 v[164:165], v[166:167], v[172:173], v[164:165]
	v_add_f64 v[54:55], v[54:55], -v[164:165]
	ds_load_2addr_b64 v[164:167], v174 offset0:56 offset1:57
	s_waitcnt lgkmcnt(0)
	v_mul_f64 v[152:153], v[166:167], v[154:155]
	s_delay_alu instid0(VALU_DEP_1) | instskip(SKIP_1) | instid1(VALU_DEP_2)
	v_fma_f64 v[152:153], v[164:165], v[172:173], -v[152:153]
	v_mul_f64 v[164:165], v[164:165], v[154:155]
	v_add_f64 v[48:49], v[48:49], -v[152:153]
	s_delay_alu instid0(VALU_DEP_2) | instskip(NEXT) | instid1(VALU_DEP_1)
	v_fma_f64 v[164:165], v[166:167], v[172:173], v[164:165]
	v_add_f64 v[50:51], v[50:51], -v[164:165]
	ds_load_2addr_b64 v[164:167], v174 offset0:58 offset1:59
	s_waitcnt lgkmcnt(0)
	v_mul_f64 v[152:153], v[166:167], v[154:155]
	s_delay_alu instid0(VALU_DEP_1) | instskip(SKIP_1) | instid1(VALU_DEP_2)
	v_fma_f64 v[152:153], v[164:165], v[172:173], -v[152:153]
	v_mul_f64 v[164:165], v[164:165], v[154:155]
	v_add_f64 v[44:45], v[44:45], -v[152:153]
	s_delay_alu instid0(VALU_DEP_2) | instskip(NEXT) | instid1(VALU_DEP_1)
	v_fma_f64 v[164:165], v[166:167], v[172:173], v[164:165]
	v_add_f64 v[46:47], v[46:47], -v[164:165]
	ds_load_2addr_b64 v[164:167], v174 offset0:60 offset1:61
	s_waitcnt lgkmcnt(0)
	v_mul_f64 v[152:153], v[166:167], v[154:155]
	s_delay_alu instid0(VALU_DEP_1) | instskip(SKIP_1) | instid1(VALU_DEP_2)
	v_fma_f64 v[152:153], v[164:165], v[172:173], -v[152:153]
	v_mul_f64 v[164:165], v[164:165], v[154:155]
	v_add_f64 v[40:41], v[40:41], -v[152:153]
	s_delay_alu instid0(VALU_DEP_2) | instskip(NEXT) | instid1(VALU_DEP_1)
	v_fma_f64 v[164:165], v[166:167], v[172:173], v[164:165]
	v_add_f64 v[42:43], v[42:43], -v[164:165]
	ds_load_2addr_b64 v[164:167], v174 offset0:62 offset1:63
	s_waitcnt lgkmcnt(0)
	v_mul_f64 v[152:153], v[166:167], v[154:155]
	s_delay_alu instid0(VALU_DEP_1) | instskip(SKIP_1) | instid1(VALU_DEP_2)
	v_fma_f64 v[152:153], v[164:165], v[172:173], -v[152:153]
	v_mul_f64 v[164:165], v[164:165], v[154:155]
	v_add_f64 v[36:37], v[36:37], -v[152:153]
	s_delay_alu instid0(VALU_DEP_2) | instskip(NEXT) | instid1(VALU_DEP_1)
	v_fma_f64 v[164:165], v[166:167], v[172:173], v[164:165]
	v_add_f64 v[38:39], v[38:39], -v[164:165]
	ds_load_2addr_b64 v[164:167], v174 offset0:64 offset1:65
	s_waitcnt lgkmcnt(0)
	v_mul_f64 v[152:153], v[166:167], v[154:155]
	s_delay_alu instid0(VALU_DEP_1) | instskip(SKIP_1) | instid1(VALU_DEP_2)
	v_fma_f64 v[152:153], v[164:165], v[172:173], -v[152:153]
	v_mul_f64 v[164:165], v[164:165], v[154:155]
	v_add_f64 v[32:33], v[32:33], -v[152:153]
	s_delay_alu instid0(VALU_DEP_2) | instskip(NEXT) | instid1(VALU_DEP_1)
	v_fma_f64 v[164:165], v[166:167], v[172:173], v[164:165]
	v_add_f64 v[34:35], v[34:35], -v[164:165]
	ds_load_2addr_b64 v[164:167], v174 offset0:66 offset1:67
	s_waitcnt lgkmcnt(0)
	v_mul_f64 v[152:153], v[166:167], v[154:155]
	s_delay_alu instid0(VALU_DEP_1) | instskip(SKIP_1) | instid1(VALU_DEP_2)
	v_fma_f64 v[152:153], v[164:165], v[172:173], -v[152:153]
	v_mul_f64 v[164:165], v[164:165], v[154:155]
	v_add_f64 v[28:29], v[28:29], -v[152:153]
	s_delay_alu instid0(VALU_DEP_2) | instskip(NEXT) | instid1(VALU_DEP_1)
	v_fma_f64 v[164:165], v[166:167], v[172:173], v[164:165]
	v_add_f64 v[30:31], v[30:31], -v[164:165]
	ds_load_2addr_b64 v[164:167], v174 offset0:68 offset1:69
	s_waitcnt lgkmcnt(0)
	v_mul_f64 v[152:153], v[166:167], v[154:155]
	s_delay_alu instid0(VALU_DEP_1) | instskip(SKIP_1) | instid1(VALU_DEP_2)
	v_fma_f64 v[152:153], v[164:165], v[172:173], -v[152:153]
	v_mul_f64 v[164:165], v[164:165], v[154:155]
	v_add_f64 v[24:25], v[24:25], -v[152:153]
	s_delay_alu instid0(VALU_DEP_2) | instskip(NEXT) | instid1(VALU_DEP_1)
	v_fma_f64 v[164:165], v[166:167], v[172:173], v[164:165]
	v_add_f64 v[26:27], v[26:27], -v[164:165]
	ds_load_2addr_b64 v[164:167], v174 offset0:70 offset1:71
	s_waitcnt lgkmcnt(0)
	v_mul_f64 v[152:153], v[166:167], v[154:155]
	s_delay_alu instid0(VALU_DEP_1) | instskip(SKIP_1) | instid1(VALU_DEP_2)
	v_fma_f64 v[152:153], v[164:165], v[172:173], -v[152:153]
	v_mul_f64 v[164:165], v[164:165], v[154:155]
	v_add_f64 v[20:21], v[20:21], -v[152:153]
	s_delay_alu instid0(VALU_DEP_2) | instskip(NEXT) | instid1(VALU_DEP_1)
	v_fma_f64 v[164:165], v[166:167], v[172:173], v[164:165]
	v_add_f64 v[22:23], v[22:23], -v[164:165]
	ds_load_2addr_b64 v[164:167], v174 offset0:72 offset1:73
	s_waitcnt lgkmcnt(0)
	v_mul_f64 v[152:153], v[166:167], v[154:155]
	s_delay_alu instid0(VALU_DEP_1) | instskip(SKIP_1) | instid1(VALU_DEP_2)
	v_fma_f64 v[152:153], v[164:165], v[172:173], -v[152:153]
	v_mul_f64 v[164:165], v[164:165], v[154:155]
	v_add_f64 v[16:17], v[16:17], -v[152:153]
	s_delay_alu instid0(VALU_DEP_2) | instskip(NEXT) | instid1(VALU_DEP_1)
	v_fma_f64 v[164:165], v[166:167], v[172:173], v[164:165]
	v_add_f64 v[18:19], v[18:19], -v[164:165]
	ds_load_2addr_b64 v[164:167], v174 offset0:74 offset1:75
	s_waitcnt lgkmcnt(0)
	v_mul_f64 v[152:153], v[166:167], v[154:155]
	s_delay_alu instid0(VALU_DEP_1) | instskip(SKIP_1) | instid1(VALU_DEP_2)
	v_fma_f64 v[152:153], v[164:165], v[172:173], -v[152:153]
	v_mul_f64 v[164:165], v[164:165], v[154:155]
	v_add_f64 v[12:13], v[12:13], -v[152:153]
	s_delay_alu instid0(VALU_DEP_2) | instskip(NEXT) | instid1(VALU_DEP_1)
	v_fma_f64 v[164:165], v[166:167], v[172:173], v[164:165]
	v_add_f64 v[14:15], v[14:15], -v[164:165]
	ds_load_2addr_b64 v[164:167], v174 offset0:76 offset1:77
	s_waitcnt lgkmcnt(0)
	v_mul_f64 v[152:153], v[166:167], v[154:155]
	s_delay_alu instid0(VALU_DEP_1) | instskip(SKIP_1) | instid1(VALU_DEP_2)
	v_fma_f64 v[152:153], v[164:165], v[172:173], -v[152:153]
	v_mul_f64 v[164:165], v[164:165], v[154:155]
	v_add_f64 v[8:9], v[8:9], -v[152:153]
	s_delay_alu instid0(VALU_DEP_2) | instskip(NEXT) | instid1(VALU_DEP_1)
	v_fma_f64 v[164:165], v[166:167], v[172:173], v[164:165]
	v_add_f64 v[10:11], v[10:11], -v[164:165]
	ds_load_2addr_b64 v[164:167], v174 offset0:78 offset1:79
	s_waitcnt lgkmcnt(0)
	v_mul_f64 v[152:153], v[166:167], v[154:155]
	s_delay_alu instid0(VALU_DEP_1) | instskip(SKIP_1) | instid1(VALU_DEP_2)
	v_fma_f64 v[152:153], v[164:165], v[172:173], -v[152:153]
	v_mul_f64 v[164:165], v[164:165], v[154:155]
	v_add_f64 v[4:5], v[4:5], -v[152:153]
	s_delay_alu instid0(VALU_DEP_2) | instskip(NEXT) | instid1(VALU_DEP_1)
	v_fma_f64 v[164:165], v[166:167], v[172:173], v[164:165]
	v_add_f64 v[6:7], v[6:7], -v[164:165]
	ds_load_2addr_b64 v[164:167], v174 offset0:80 offset1:81
	s_waitcnt lgkmcnt(0)
	v_mul_f64 v[152:153], v[166:167], v[154:155]
	s_delay_alu instid0(VALU_DEP_1) | instskip(SKIP_1) | instid1(VALU_DEP_2)
	v_fma_f64 v[152:153], v[164:165], v[172:173], -v[152:153]
	v_mul_f64 v[164:165], v[164:165], v[154:155]
	v_add_f64 v[0:1], v[0:1], -v[152:153]
	s_delay_alu instid0(VALU_DEP_2) | instskip(SKIP_1) | instid1(VALU_DEP_2)
	v_fma_f64 v[164:165], v[166:167], v[172:173], v[164:165]
	v_dual_mov_b32 v152, v172 :: v_dual_mov_b32 v153, v173
	v_add_f64 v[2:3], v[2:3], -v[164:165]
.LBB80_62:
	s_or_b32 exec_lo, exec_lo, s2
	v_lshl_add_u32 v164, v180, 4, v174
	s_barrier
	buffer_gl0_inv
	v_mov_b32_e32 v172, 3
	ds_store_2addr_b64 v164, v[148:149], v[150:151] offset1:1
	s_waitcnt lgkmcnt(0)
	s_barrier
	buffer_gl0_inv
	ds_load_2addr_b64 v[164:167], v174 offset0:6 offset1:7
	s_cmp_lt_i32 s5, 5
	s_mov_b32 s6, 4
	s_cbranch_scc1 .LBB80_65
; %bb.63:
	v_add3_u32 v173, v178, 0, 64
	v_mov_b32_e32 v172, 3
	s_set_inst_prefetch_distance 0x1
	.p2align	6
.LBB80_64:                              ; =>This Inner Loop Header: Depth=1
	ds_load_2addr_b64 v[181:184], v173 offset1:1
	s_waitcnt lgkmcnt(1)
	v_cmp_gt_f64_e32 vcc_lo, 0, v[164:165]
	v_xor_b32_e32 v185, 0x80000000, v165
	v_cmp_gt_f64_e64 s2, 0, v[166:167]
	v_xor_b32_e32 v187, 0x80000000, v167
	v_add_nc_u32_e32 v173, 16, v173
	s_waitcnt lgkmcnt(0)
	v_cmp_gt_f64_e64 s3, 0, v[181:182]
	v_mov_b32_e32 v189, v181
	v_dual_mov_b32 v191, v183 :: v_dual_cndmask_b32 v186, v165, v185
	v_xor_b32_e32 v185, 0x80000000, v182
	v_cndmask_b32_e64 v188, v167, v187, s2
	v_xor_b32_e32 v187, 0x80000000, v184
	s_delay_alu instid0(VALU_DEP_3) | instskip(SKIP_2) | instid1(VALU_DEP_2)
	v_cndmask_b32_e64 v190, v182, v185, s3
	v_cmp_gt_f64_e64 s3, 0, v[183:184]
	v_cndmask_b32_e32 v185, v164, v164, vcc_lo
	v_cndmask_b32_e64 v192, v184, v187, s3
	v_cndmask_b32_e64 v187, v166, v166, s2
	s_delay_alu instid0(VALU_DEP_2) | instskip(NEXT) | instid1(VALU_DEP_2)
	v_add_f64 v[189:190], v[189:190], v[191:192]
	v_add_f64 v[185:186], v[185:186], v[187:188]
	s_delay_alu instid0(VALU_DEP_1) | instskip(SKIP_4) | instid1(SALU_CYCLE_1)
	v_cmp_lt_f64_e32 vcc_lo, v[185:186], v[189:190]
	v_dual_cndmask_b32 v166, v166, v183 :: v_dual_cndmask_b32 v165, v165, v182
	v_dual_cndmask_b32 v164, v164, v181 :: v_dual_cndmask_b32 v167, v167, v184
	v_cndmask_b32_e64 v172, v172, s6, vcc_lo
	s_add_i32 s6, s6, 1
	s_cmp_lg_u32 s5, s6
	s_cbranch_scc1 .LBB80_64
.LBB80_65:
	s_set_inst_prefetch_distance 0x2
	s_waitcnt lgkmcnt(0)
	v_cmp_eq_f64_e32 vcc_lo, 0, v[164:165]
	v_cmp_eq_f64_e64 s2, 0, v[166:167]
	s_delay_alu instid0(VALU_DEP_1) | instskip(NEXT) | instid1(SALU_CYCLE_1)
	s_and_b32 s2, vcc_lo, s2
	s_and_saveexec_b32 s3, s2
	s_delay_alu instid0(SALU_CYCLE_1)
	s_xor_b32 s2, exec_lo, s3
; %bb.66:
	v_cmp_ne_u32_e32 vcc_lo, 0, v177
	v_cndmask_b32_e32 v177, 4, v177, vcc_lo
; %bb.67:
	s_and_not1_saveexec_b32 s3, s2
	s_cbranch_execz .LBB80_73
; %bb.68:
	v_cmp_gt_f64_e32 vcc_lo, 0, v[164:165]
	v_cmp_gt_f64_e64 s2, 0, v[166:167]
	v_xor_b32_e32 v173, 0x80000000, v165
	v_xor_b32_e32 v181, 0x80000000, v167
	s_delay_alu instid0(VALU_DEP_2) | instskip(NEXT) | instid1(VALU_DEP_2)
	v_cndmask_b32_e32 v182, v165, v173, vcc_lo
	v_cndmask_b32_e64 v184, v167, v181, s2
	v_cndmask_b32_e32 v181, v164, v164, vcc_lo
	v_cndmask_b32_e64 v183, v166, v166, s2
	s_mov_b32 s2, exec_lo
	s_delay_alu instid0(VALU_DEP_1)
	v_cmpx_ngt_f64_e32 v[181:182], v[183:184]
	s_xor_b32 s2, exec_lo, s2
	s_cbranch_execz .LBB80_70
; %bb.69:
	v_div_scale_f64 v[181:182], null, v[166:167], v[166:167], v[164:165]
	v_div_scale_f64 v[187:188], vcc_lo, v[164:165], v[166:167], v[164:165]
	s_delay_alu instid0(VALU_DEP_2) | instskip(SKIP_2) | instid1(VALU_DEP_1)
	v_rcp_f64_e32 v[183:184], v[181:182]
	s_waitcnt_depctr 0xfff
	v_fma_f64 v[185:186], -v[181:182], v[183:184], 1.0
	v_fma_f64 v[183:184], v[183:184], v[185:186], v[183:184]
	s_delay_alu instid0(VALU_DEP_1) | instskip(NEXT) | instid1(VALU_DEP_1)
	v_fma_f64 v[185:186], -v[181:182], v[183:184], 1.0
	v_fma_f64 v[183:184], v[183:184], v[185:186], v[183:184]
	s_delay_alu instid0(VALU_DEP_1) | instskip(NEXT) | instid1(VALU_DEP_1)
	v_mul_f64 v[185:186], v[187:188], v[183:184]
	v_fma_f64 v[181:182], -v[181:182], v[185:186], v[187:188]
	s_delay_alu instid0(VALU_DEP_1) | instskip(NEXT) | instid1(VALU_DEP_1)
	v_div_fmas_f64 v[181:182], v[181:182], v[183:184], v[185:186]
	v_div_fixup_f64 v[181:182], v[181:182], v[166:167], v[164:165]
	s_delay_alu instid0(VALU_DEP_1) | instskip(NEXT) | instid1(VALU_DEP_1)
	v_fma_f64 v[164:165], v[164:165], v[181:182], v[166:167]
	v_div_scale_f64 v[166:167], null, v[164:165], v[164:165], 1.0
	s_delay_alu instid0(VALU_DEP_1) | instskip(SKIP_2) | instid1(VALU_DEP_1)
	v_rcp_f64_e32 v[183:184], v[166:167]
	s_waitcnt_depctr 0xfff
	v_fma_f64 v[185:186], -v[166:167], v[183:184], 1.0
	v_fma_f64 v[183:184], v[183:184], v[185:186], v[183:184]
	s_delay_alu instid0(VALU_DEP_1) | instskip(NEXT) | instid1(VALU_DEP_1)
	v_fma_f64 v[185:186], -v[166:167], v[183:184], 1.0
	v_fma_f64 v[183:184], v[183:184], v[185:186], v[183:184]
	v_div_scale_f64 v[185:186], vcc_lo, 1.0, v[164:165], 1.0
	s_delay_alu instid0(VALU_DEP_1) | instskip(NEXT) | instid1(VALU_DEP_1)
	v_mul_f64 v[187:188], v[185:186], v[183:184]
	v_fma_f64 v[166:167], -v[166:167], v[187:188], v[185:186]
	s_delay_alu instid0(VALU_DEP_1) | instskip(NEXT) | instid1(VALU_DEP_1)
	v_div_fmas_f64 v[166:167], v[166:167], v[183:184], v[187:188]
	v_div_fixup_f64 v[166:167], v[166:167], v[164:165], 1.0
	s_delay_alu instid0(VALU_DEP_1)
	v_mul_f64 v[164:165], v[181:182], v[166:167]
	v_xor_b32_e32 v167, 0x80000000, v167
.LBB80_70:
	s_and_not1_saveexec_b32 s2, s2
	s_cbranch_execz .LBB80_72
; %bb.71:
	s_delay_alu instid0(VALU_DEP_1) | instskip(SKIP_1) | instid1(VALU_DEP_2)
	v_div_scale_f64 v[181:182], null, v[164:165], v[164:165], v[166:167]
	v_div_scale_f64 v[187:188], vcc_lo, v[166:167], v[164:165], v[166:167]
	v_rcp_f64_e32 v[183:184], v[181:182]
	s_waitcnt_depctr 0xfff
	v_fma_f64 v[185:186], -v[181:182], v[183:184], 1.0
	s_delay_alu instid0(VALU_DEP_1) | instskip(NEXT) | instid1(VALU_DEP_1)
	v_fma_f64 v[183:184], v[183:184], v[185:186], v[183:184]
	v_fma_f64 v[185:186], -v[181:182], v[183:184], 1.0
	s_delay_alu instid0(VALU_DEP_1) | instskip(NEXT) | instid1(VALU_DEP_1)
	v_fma_f64 v[183:184], v[183:184], v[185:186], v[183:184]
	v_mul_f64 v[185:186], v[187:188], v[183:184]
	s_delay_alu instid0(VALU_DEP_1) | instskip(NEXT) | instid1(VALU_DEP_1)
	v_fma_f64 v[181:182], -v[181:182], v[185:186], v[187:188]
	v_div_fmas_f64 v[181:182], v[181:182], v[183:184], v[185:186]
	s_delay_alu instid0(VALU_DEP_1) | instskip(NEXT) | instid1(VALU_DEP_1)
	v_div_fixup_f64 v[181:182], v[181:182], v[164:165], v[166:167]
	v_fma_f64 v[164:165], v[166:167], v[181:182], v[164:165]
	s_delay_alu instid0(VALU_DEP_1) | instskip(NEXT) | instid1(VALU_DEP_1)
	v_div_scale_f64 v[166:167], null, v[164:165], v[164:165], 1.0
	v_rcp_f64_e32 v[183:184], v[166:167]
	s_waitcnt_depctr 0xfff
	v_fma_f64 v[185:186], -v[166:167], v[183:184], 1.0
	s_delay_alu instid0(VALU_DEP_1) | instskip(NEXT) | instid1(VALU_DEP_1)
	v_fma_f64 v[183:184], v[183:184], v[185:186], v[183:184]
	v_fma_f64 v[185:186], -v[166:167], v[183:184], 1.0
	s_delay_alu instid0(VALU_DEP_1) | instskip(SKIP_1) | instid1(VALU_DEP_1)
	v_fma_f64 v[183:184], v[183:184], v[185:186], v[183:184]
	v_div_scale_f64 v[185:186], vcc_lo, 1.0, v[164:165], 1.0
	v_mul_f64 v[187:188], v[185:186], v[183:184]
	s_delay_alu instid0(VALU_DEP_1) | instskip(NEXT) | instid1(VALU_DEP_1)
	v_fma_f64 v[166:167], -v[166:167], v[187:188], v[185:186]
	v_div_fmas_f64 v[166:167], v[166:167], v[183:184], v[187:188]
	s_delay_alu instid0(VALU_DEP_1) | instskip(NEXT) | instid1(VALU_DEP_1)
	v_div_fixup_f64 v[164:165], v[166:167], v[164:165], 1.0
	v_mul_f64 v[166:167], v[181:182], -v[164:165]
.LBB80_72:
	s_or_b32 exec_lo, exec_lo, s2
.LBB80_73:
	s_delay_alu instid0(SALU_CYCLE_1) | instskip(NEXT) | instid1(SALU_CYCLE_1)
	s_or_b32 exec_lo, exec_lo, s3
	s_mov_b32 s2, exec_lo
	v_cmpx_ne_u32_e64 v180, v172
	s_xor_b32 s2, exec_lo, s2
	s_cbranch_execz .LBB80_79
; %bb.74:
	s_mov_b32 s3, exec_lo
	v_cmpx_eq_u32_e32 3, v180
	s_cbranch_execz .LBB80_78
; %bb.75:
	v_cmp_ne_u32_e32 vcc_lo, 3, v172
	s_xor_b32 s6, s4, -1
	s_delay_alu instid0(SALU_CYCLE_1) | instskip(NEXT) | instid1(SALU_CYCLE_1)
	s_and_b32 s7, s6, vcc_lo
	s_and_saveexec_b32 s6, s7
	s_cbranch_execz .LBB80_77
; %bb.76:
	v_ashrrev_i32_e32 v173, 31, v172
	s_delay_alu instid0(VALU_DEP_1) | instskip(NEXT) | instid1(VALU_DEP_1)
	v_lshlrev_b64 v[179:180], 2, v[172:173]
	v_add_co_u32 v179, vcc_lo, v170, v179
	s_delay_alu instid0(VALU_DEP_2)
	v_add_co_ci_u32_e32 v180, vcc_lo, v171, v180, vcc_lo
	s_clause 0x1
	flat_load_b32 v173, v[179:180]
	flat_load_b32 v181, v[170:171] offset:12
	s_waitcnt vmcnt(1) lgkmcnt(1)
	flat_store_b32 v[170:171], v173 offset:12
	s_waitcnt vmcnt(0) lgkmcnt(1)
	flat_store_b32 v[179:180], v181
.LBB80_77:
	s_or_b32 exec_lo, exec_lo, s6
	v_mov_b32_e32 v180, v172
	v_mov_b32_e32 v179, v172
.LBB80_78:
	s_or_b32 exec_lo, exec_lo, s3
.LBB80_79:
	s_and_not1_saveexec_b32 s2, s2
	s_cbranch_execz .LBB80_81
; %bb.80:
	v_mov_b32_e32 v180, 3
	ds_store_2addr_b64 v174, v[144:145], v[146:147] offset0:8 offset1:9
	ds_store_2addr_b64 v174, v[140:141], v[142:143] offset0:10 offset1:11
	;; [unrolled: 1-line block ×37, first 2 shown]
.LBB80_81:
	s_or_b32 exec_lo, exec_lo, s2
	s_delay_alu instid0(SALU_CYCLE_1)
	s_mov_b32 s2, exec_lo
	s_waitcnt lgkmcnt(0)
	s_waitcnt_vscnt null, 0x0
	s_barrier
	buffer_gl0_inv
	v_cmpx_lt_i32_e32 3, v180
	s_cbranch_execz .LBB80_83
; %bb.82:
	v_mul_f64 v[172:173], v[166:167], v[150:151]
	v_mul_f64 v[150:151], v[164:165], v[150:151]
	s_delay_alu instid0(VALU_DEP_2) | instskip(NEXT) | instid1(VALU_DEP_2)
	v_fma_f64 v[172:173], v[164:165], v[148:149], -v[172:173]
	v_fma_f64 v[150:151], v[166:167], v[148:149], v[150:151]
	ds_load_2addr_b64 v[164:167], v174 offset0:8 offset1:9
	s_waitcnt lgkmcnt(0)
	v_mul_f64 v[148:149], v[166:167], v[150:151]
	s_delay_alu instid0(VALU_DEP_1) | instskip(SKIP_1) | instid1(VALU_DEP_2)
	v_fma_f64 v[148:149], v[164:165], v[172:173], -v[148:149]
	v_mul_f64 v[164:165], v[164:165], v[150:151]
	v_add_f64 v[144:145], v[144:145], -v[148:149]
	s_delay_alu instid0(VALU_DEP_2) | instskip(NEXT) | instid1(VALU_DEP_1)
	v_fma_f64 v[164:165], v[166:167], v[172:173], v[164:165]
	v_add_f64 v[146:147], v[146:147], -v[164:165]
	ds_load_2addr_b64 v[164:167], v174 offset0:10 offset1:11
	s_waitcnt lgkmcnt(0)
	v_mul_f64 v[148:149], v[166:167], v[150:151]
	s_delay_alu instid0(VALU_DEP_1) | instskip(SKIP_1) | instid1(VALU_DEP_2)
	v_fma_f64 v[148:149], v[164:165], v[172:173], -v[148:149]
	v_mul_f64 v[164:165], v[164:165], v[150:151]
	v_add_f64 v[140:141], v[140:141], -v[148:149]
	s_delay_alu instid0(VALU_DEP_2) | instskip(NEXT) | instid1(VALU_DEP_1)
	v_fma_f64 v[164:165], v[166:167], v[172:173], v[164:165]
	v_add_f64 v[142:143], v[142:143], -v[164:165]
	;; [unrolled: 10-line block ×36, first 2 shown]
	ds_load_2addr_b64 v[164:167], v174 offset0:80 offset1:81
	s_waitcnt lgkmcnt(0)
	v_mul_f64 v[148:149], v[166:167], v[150:151]
	s_delay_alu instid0(VALU_DEP_1) | instskip(SKIP_1) | instid1(VALU_DEP_2)
	v_fma_f64 v[148:149], v[164:165], v[172:173], -v[148:149]
	v_mul_f64 v[164:165], v[164:165], v[150:151]
	v_add_f64 v[0:1], v[0:1], -v[148:149]
	s_delay_alu instid0(VALU_DEP_2) | instskip(SKIP_1) | instid1(VALU_DEP_2)
	v_fma_f64 v[164:165], v[166:167], v[172:173], v[164:165]
	v_dual_mov_b32 v148, v172 :: v_dual_mov_b32 v149, v173
	v_add_f64 v[2:3], v[2:3], -v[164:165]
.LBB80_83:
	s_or_b32 exec_lo, exec_lo, s2
	v_lshl_add_u32 v164, v180, 4, v174
	s_barrier
	buffer_gl0_inv
	v_mov_b32_e32 v172, 4
	ds_store_2addr_b64 v164, v[144:145], v[146:147] offset1:1
	s_waitcnt lgkmcnt(0)
	s_barrier
	buffer_gl0_inv
	ds_load_2addr_b64 v[164:167], v174 offset0:8 offset1:9
	s_cmp_lt_i32 s5, 6
	s_cbranch_scc1 .LBB80_86
; %bb.84:
	v_add3_u32 v173, v178, 0, 0x50
	v_mov_b32_e32 v172, 4
	s_mov_b32 s6, 5
	s_set_inst_prefetch_distance 0x1
	.p2align	6
.LBB80_85:                              ; =>This Inner Loop Header: Depth=1
	ds_load_2addr_b64 v[181:184], v173 offset1:1
	s_waitcnt lgkmcnt(1)
	v_cmp_gt_f64_e32 vcc_lo, 0, v[164:165]
	v_xor_b32_e32 v185, 0x80000000, v165
	v_cmp_gt_f64_e64 s2, 0, v[166:167]
	v_xor_b32_e32 v187, 0x80000000, v167
	v_add_nc_u32_e32 v173, 16, v173
	s_waitcnt lgkmcnt(0)
	v_cmp_gt_f64_e64 s3, 0, v[181:182]
	v_mov_b32_e32 v189, v181
	v_dual_mov_b32 v191, v183 :: v_dual_cndmask_b32 v186, v165, v185
	v_xor_b32_e32 v185, 0x80000000, v182
	v_cndmask_b32_e64 v188, v167, v187, s2
	v_xor_b32_e32 v187, 0x80000000, v184
	s_delay_alu instid0(VALU_DEP_3) | instskip(SKIP_2) | instid1(VALU_DEP_2)
	v_cndmask_b32_e64 v190, v182, v185, s3
	v_cmp_gt_f64_e64 s3, 0, v[183:184]
	v_cndmask_b32_e32 v185, v164, v164, vcc_lo
	v_cndmask_b32_e64 v192, v184, v187, s3
	v_cndmask_b32_e64 v187, v166, v166, s2
	s_delay_alu instid0(VALU_DEP_2) | instskip(NEXT) | instid1(VALU_DEP_2)
	v_add_f64 v[189:190], v[189:190], v[191:192]
	v_add_f64 v[185:186], v[185:186], v[187:188]
	s_delay_alu instid0(VALU_DEP_1) | instskip(SKIP_4) | instid1(SALU_CYCLE_1)
	v_cmp_lt_f64_e32 vcc_lo, v[185:186], v[189:190]
	v_dual_cndmask_b32 v166, v166, v183 :: v_dual_cndmask_b32 v165, v165, v182
	v_dual_cndmask_b32 v164, v164, v181 :: v_dual_cndmask_b32 v167, v167, v184
	v_cndmask_b32_e64 v172, v172, s6, vcc_lo
	s_add_i32 s6, s6, 1
	s_cmp_lg_u32 s5, s6
	s_cbranch_scc1 .LBB80_85
.LBB80_86:
	s_set_inst_prefetch_distance 0x2
	s_waitcnt lgkmcnt(0)
	v_cmp_eq_f64_e32 vcc_lo, 0, v[164:165]
	v_cmp_eq_f64_e64 s2, 0, v[166:167]
	s_delay_alu instid0(VALU_DEP_1) | instskip(NEXT) | instid1(SALU_CYCLE_1)
	s_and_b32 s2, vcc_lo, s2
	s_and_saveexec_b32 s3, s2
	s_delay_alu instid0(SALU_CYCLE_1)
	s_xor_b32 s2, exec_lo, s3
; %bb.87:
	v_cmp_ne_u32_e32 vcc_lo, 0, v177
	v_cndmask_b32_e32 v177, 5, v177, vcc_lo
; %bb.88:
	s_and_not1_saveexec_b32 s3, s2
	s_cbranch_execz .LBB80_94
; %bb.89:
	v_cmp_gt_f64_e32 vcc_lo, 0, v[164:165]
	v_cmp_gt_f64_e64 s2, 0, v[166:167]
	v_xor_b32_e32 v173, 0x80000000, v165
	v_xor_b32_e32 v181, 0x80000000, v167
	s_delay_alu instid0(VALU_DEP_2) | instskip(NEXT) | instid1(VALU_DEP_2)
	v_cndmask_b32_e32 v182, v165, v173, vcc_lo
	v_cndmask_b32_e64 v184, v167, v181, s2
	v_cndmask_b32_e32 v181, v164, v164, vcc_lo
	v_cndmask_b32_e64 v183, v166, v166, s2
	s_mov_b32 s2, exec_lo
	s_delay_alu instid0(VALU_DEP_1)
	v_cmpx_ngt_f64_e32 v[181:182], v[183:184]
	s_xor_b32 s2, exec_lo, s2
	s_cbranch_execz .LBB80_91
; %bb.90:
	v_div_scale_f64 v[181:182], null, v[166:167], v[166:167], v[164:165]
	v_div_scale_f64 v[187:188], vcc_lo, v[164:165], v[166:167], v[164:165]
	s_delay_alu instid0(VALU_DEP_2) | instskip(SKIP_2) | instid1(VALU_DEP_1)
	v_rcp_f64_e32 v[183:184], v[181:182]
	s_waitcnt_depctr 0xfff
	v_fma_f64 v[185:186], -v[181:182], v[183:184], 1.0
	v_fma_f64 v[183:184], v[183:184], v[185:186], v[183:184]
	s_delay_alu instid0(VALU_DEP_1) | instskip(NEXT) | instid1(VALU_DEP_1)
	v_fma_f64 v[185:186], -v[181:182], v[183:184], 1.0
	v_fma_f64 v[183:184], v[183:184], v[185:186], v[183:184]
	s_delay_alu instid0(VALU_DEP_1) | instskip(NEXT) | instid1(VALU_DEP_1)
	v_mul_f64 v[185:186], v[187:188], v[183:184]
	v_fma_f64 v[181:182], -v[181:182], v[185:186], v[187:188]
	s_delay_alu instid0(VALU_DEP_1) | instskip(NEXT) | instid1(VALU_DEP_1)
	v_div_fmas_f64 v[181:182], v[181:182], v[183:184], v[185:186]
	v_div_fixup_f64 v[181:182], v[181:182], v[166:167], v[164:165]
	s_delay_alu instid0(VALU_DEP_1) | instskip(NEXT) | instid1(VALU_DEP_1)
	v_fma_f64 v[164:165], v[164:165], v[181:182], v[166:167]
	v_div_scale_f64 v[166:167], null, v[164:165], v[164:165], 1.0
	s_delay_alu instid0(VALU_DEP_1) | instskip(SKIP_2) | instid1(VALU_DEP_1)
	v_rcp_f64_e32 v[183:184], v[166:167]
	s_waitcnt_depctr 0xfff
	v_fma_f64 v[185:186], -v[166:167], v[183:184], 1.0
	v_fma_f64 v[183:184], v[183:184], v[185:186], v[183:184]
	s_delay_alu instid0(VALU_DEP_1) | instskip(NEXT) | instid1(VALU_DEP_1)
	v_fma_f64 v[185:186], -v[166:167], v[183:184], 1.0
	v_fma_f64 v[183:184], v[183:184], v[185:186], v[183:184]
	v_div_scale_f64 v[185:186], vcc_lo, 1.0, v[164:165], 1.0
	s_delay_alu instid0(VALU_DEP_1) | instskip(NEXT) | instid1(VALU_DEP_1)
	v_mul_f64 v[187:188], v[185:186], v[183:184]
	v_fma_f64 v[166:167], -v[166:167], v[187:188], v[185:186]
	s_delay_alu instid0(VALU_DEP_1) | instskip(NEXT) | instid1(VALU_DEP_1)
	v_div_fmas_f64 v[166:167], v[166:167], v[183:184], v[187:188]
	v_div_fixup_f64 v[166:167], v[166:167], v[164:165], 1.0
	s_delay_alu instid0(VALU_DEP_1)
	v_mul_f64 v[164:165], v[181:182], v[166:167]
	v_xor_b32_e32 v167, 0x80000000, v167
.LBB80_91:
	s_and_not1_saveexec_b32 s2, s2
	s_cbranch_execz .LBB80_93
; %bb.92:
	s_delay_alu instid0(VALU_DEP_1) | instskip(SKIP_1) | instid1(VALU_DEP_2)
	v_div_scale_f64 v[181:182], null, v[164:165], v[164:165], v[166:167]
	v_div_scale_f64 v[187:188], vcc_lo, v[166:167], v[164:165], v[166:167]
	v_rcp_f64_e32 v[183:184], v[181:182]
	s_waitcnt_depctr 0xfff
	v_fma_f64 v[185:186], -v[181:182], v[183:184], 1.0
	s_delay_alu instid0(VALU_DEP_1) | instskip(NEXT) | instid1(VALU_DEP_1)
	v_fma_f64 v[183:184], v[183:184], v[185:186], v[183:184]
	v_fma_f64 v[185:186], -v[181:182], v[183:184], 1.0
	s_delay_alu instid0(VALU_DEP_1) | instskip(NEXT) | instid1(VALU_DEP_1)
	v_fma_f64 v[183:184], v[183:184], v[185:186], v[183:184]
	v_mul_f64 v[185:186], v[187:188], v[183:184]
	s_delay_alu instid0(VALU_DEP_1) | instskip(NEXT) | instid1(VALU_DEP_1)
	v_fma_f64 v[181:182], -v[181:182], v[185:186], v[187:188]
	v_div_fmas_f64 v[181:182], v[181:182], v[183:184], v[185:186]
	s_delay_alu instid0(VALU_DEP_1) | instskip(NEXT) | instid1(VALU_DEP_1)
	v_div_fixup_f64 v[181:182], v[181:182], v[164:165], v[166:167]
	v_fma_f64 v[164:165], v[166:167], v[181:182], v[164:165]
	s_delay_alu instid0(VALU_DEP_1) | instskip(NEXT) | instid1(VALU_DEP_1)
	v_div_scale_f64 v[166:167], null, v[164:165], v[164:165], 1.0
	v_rcp_f64_e32 v[183:184], v[166:167]
	s_waitcnt_depctr 0xfff
	v_fma_f64 v[185:186], -v[166:167], v[183:184], 1.0
	s_delay_alu instid0(VALU_DEP_1) | instskip(NEXT) | instid1(VALU_DEP_1)
	v_fma_f64 v[183:184], v[183:184], v[185:186], v[183:184]
	v_fma_f64 v[185:186], -v[166:167], v[183:184], 1.0
	s_delay_alu instid0(VALU_DEP_1) | instskip(SKIP_1) | instid1(VALU_DEP_1)
	v_fma_f64 v[183:184], v[183:184], v[185:186], v[183:184]
	v_div_scale_f64 v[185:186], vcc_lo, 1.0, v[164:165], 1.0
	v_mul_f64 v[187:188], v[185:186], v[183:184]
	s_delay_alu instid0(VALU_DEP_1) | instskip(NEXT) | instid1(VALU_DEP_1)
	v_fma_f64 v[166:167], -v[166:167], v[187:188], v[185:186]
	v_div_fmas_f64 v[166:167], v[166:167], v[183:184], v[187:188]
	s_delay_alu instid0(VALU_DEP_1) | instskip(NEXT) | instid1(VALU_DEP_1)
	v_div_fixup_f64 v[164:165], v[166:167], v[164:165], 1.0
	v_mul_f64 v[166:167], v[181:182], -v[164:165]
.LBB80_93:
	s_or_b32 exec_lo, exec_lo, s2
.LBB80_94:
	s_delay_alu instid0(SALU_CYCLE_1) | instskip(NEXT) | instid1(SALU_CYCLE_1)
	s_or_b32 exec_lo, exec_lo, s3
	s_mov_b32 s2, exec_lo
	v_cmpx_ne_u32_e64 v180, v172
	s_xor_b32 s2, exec_lo, s2
	s_cbranch_execz .LBB80_100
; %bb.95:
	s_mov_b32 s3, exec_lo
	v_cmpx_eq_u32_e32 4, v180
	s_cbranch_execz .LBB80_99
; %bb.96:
	v_cmp_ne_u32_e32 vcc_lo, 4, v172
	s_xor_b32 s6, s4, -1
	s_delay_alu instid0(SALU_CYCLE_1) | instskip(NEXT) | instid1(SALU_CYCLE_1)
	s_and_b32 s7, s6, vcc_lo
	s_and_saveexec_b32 s6, s7
	s_cbranch_execz .LBB80_98
; %bb.97:
	v_ashrrev_i32_e32 v173, 31, v172
	s_delay_alu instid0(VALU_DEP_1) | instskip(NEXT) | instid1(VALU_DEP_1)
	v_lshlrev_b64 v[179:180], 2, v[172:173]
	v_add_co_u32 v179, vcc_lo, v170, v179
	s_delay_alu instid0(VALU_DEP_2)
	v_add_co_ci_u32_e32 v180, vcc_lo, v171, v180, vcc_lo
	s_clause 0x1
	flat_load_b32 v173, v[179:180]
	flat_load_b32 v181, v[170:171] offset:16
	s_waitcnt vmcnt(1) lgkmcnt(1)
	flat_store_b32 v[170:171], v173 offset:16
	s_waitcnt vmcnt(0) lgkmcnt(1)
	flat_store_b32 v[179:180], v181
.LBB80_98:
	s_or_b32 exec_lo, exec_lo, s6
	v_mov_b32_e32 v180, v172
	v_mov_b32_e32 v179, v172
.LBB80_99:
	s_or_b32 exec_lo, exec_lo, s3
.LBB80_100:
	s_and_not1_saveexec_b32 s2, s2
	s_cbranch_execz .LBB80_102
; %bb.101:
	v_mov_b32_e32 v180, 4
	ds_store_2addr_b64 v174, v[140:141], v[142:143] offset0:10 offset1:11
	ds_store_2addr_b64 v174, v[136:137], v[138:139] offset0:12 offset1:13
	ds_store_2addr_b64 v174, v[132:133], v[134:135] offset0:14 offset1:15
	ds_store_2addr_b64 v174, v[128:129], v[130:131] offset0:16 offset1:17
	ds_store_2addr_b64 v174, v[124:125], v[126:127] offset0:18 offset1:19
	ds_store_2addr_b64 v174, v[120:121], v[122:123] offset0:20 offset1:21
	ds_store_2addr_b64 v174, v[116:117], v[118:119] offset0:22 offset1:23
	ds_store_2addr_b64 v174, v[112:113], v[114:115] offset0:24 offset1:25
	ds_store_2addr_b64 v174, v[108:109], v[110:111] offset0:26 offset1:27
	ds_store_2addr_b64 v174, v[104:105], v[106:107] offset0:28 offset1:29
	ds_store_2addr_b64 v174, v[100:101], v[102:103] offset0:30 offset1:31
	ds_store_2addr_b64 v174, v[96:97], v[98:99] offset0:32 offset1:33
	ds_store_2addr_b64 v174, v[92:93], v[94:95] offset0:34 offset1:35
	ds_store_2addr_b64 v174, v[88:89], v[90:91] offset0:36 offset1:37
	ds_store_2addr_b64 v174, v[84:85], v[86:87] offset0:38 offset1:39
	ds_store_2addr_b64 v174, v[80:81], v[82:83] offset0:40 offset1:41
	ds_store_2addr_b64 v174, v[76:77], v[78:79] offset0:42 offset1:43
	ds_store_2addr_b64 v174, v[72:73], v[74:75] offset0:44 offset1:45
	ds_store_2addr_b64 v174, v[68:69], v[70:71] offset0:46 offset1:47
	ds_store_2addr_b64 v174, v[64:65], v[66:67] offset0:48 offset1:49
	ds_store_2addr_b64 v174, v[60:61], v[62:63] offset0:50 offset1:51
	ds_store_2addr_b64 v174, v[56:57], v[58:59] offset0:52 offset1:53
	ds_store_2addr_b64 v174, v[52:53], v[54:55] offset0:54 offset1:55
	ds_store_2addr_b64 v174, v[48:49], v[50:51] offset0:56 offset1:57
	ds_store_2addr_b64 v174, v[44:45], v[46:47] offset0:58 offset1:59
	ds_store_2addr_b64 v174, v[40:41], v[42:43] offset0:60 offset1:61
	ds_store_2addr_b64 v174, v[36:37], v[38:39] offset0:62 offset1:63
	ds_store_2addr_b64 v174, v[32:33], v[34:35] offset0:64 offset1:65
	ds_store_2addr_b64 v174, v[28:29], v[30:31] offset0:66 offset1:67
	ds_store_2addr_b64 v174, v[24:25], v[26:27] offset0:68 offset1:69
	ds_store_2addr_b64 v174, v[20:21], v[22:23] offset0:70 offset1:71
	ds_store_2addr_b64 v174, v[16:17], v[18:19] offset0:72 offset1:73
	ds_store_2addr_b64 v174, v[12:13], v[14:15] offset0:74 offset1:75
	ds_store_2addr_b64 v174, v[8:9], v[10:11] offset0:76 offset1:77
	ds_store_2addr_b64 v174, v[4:5], v[6:7] offset0:78 offset1:79
	ds_store_2addr_b64 v174, v[0:1], v[2:3] offset0:80 offset1:81
.LBB80_102:
	s_or_b32 exec_lo, exec_lo, s2
	s_delay_alu instid0(SALU_CYCLE_1)
	s_mov_b32 s2, exec_lo
	s_waitcnt lgkmcnt(0)
	s_waitcnt_vscnt null, 0x0
	s_barrier
	buffer_gl0_inv
	v_cmpx_lt_i32_e32 4, v180
	s_cbranch_execz .LBB80_104
; %bb.103:
	v_mul_f64 v[172:173], v[166:167], v[146:147]
	v_mul_f64 v[146:147], v[164:165], v[146:147]
	s_delay_alu instid0(VALU_DEP_2) | instskip(NEXT) | instid1(VALU_DEP_2)
	v_fma_f64 v[172:173], v[164:165], v[144:145], -v[172:173]
	v_fma_f64 v[146:147], v[166:167], v[144:145], v[146:147]
	ds_load_2addr_b64 v[164:167], v174 offset0:10 offset1:11
	s_waitcnt lgkmcnt(0)
	v_mul_f64 v[144:145], v[166:167], v[146:147]
	s_delay_alu instid0(VALU_DEP_1) | instskip(SKIP_1) | instid1(VALU_DEP_2)
	v_fma_f64 v[144:145], v[164:165], v[172:173], -v[144:145]
	v_mul_f64 v[164:165], v[164:165], v[146:147]
	v_add_f64 v[140:141], v[140:141], -v[144:145]
	s_delay_alu instid0(VALU_DEP_2) | instskip(NEXT) | instid1(VALU_DEP_1)
	v_fma_f64 v[164:165], v[166:167], v[172:173], v[164:165]
	v_add_f64 v[142:143], v[142:143], -v[164:165]
	ds_load_2addr_b64 v[164:167], v174 offset0:12 offset1:13
	s_waitcnt lgkmcnt(0)
	v_mul_f64 v[144:145], v[166:167], v[146:147]
	s_delay_alu instid0(VALU_DEP_1) | instskip(SKIP_1) | instid1(VALU_DEP_2)
	v_fma_f64 v[144:145], v[164:165], v[172:173], -v[144:145]
	v_mul_f64 v[164:165], v[164:165], v[146:147]
	v_add_f64 v[136:137], v[136:137], -v[144:145]
	s_delay_alu instid0(VALU_DEP_2) | instskip(NEXT) | instid1(VALU_DEP_1)
	v_fma_f64 v[164:165], v[166:167], v[172:173], v[164:165]
	v_add_f64 v[138:139], v[138:139], -v[164:165]
	;; [unrolled: 10-line block ×35, first 2 shown]
	ds_load_2addr_b64 v[164:167], v174 offset0:80 offset1:81
	s_waitcnt lgkmcnt(0)
	v_mul_f64 v[144:145], v[166:167], v[146:147]
	s_delay_alu instid0(VALU_DEP_1) | instskip(SKIP_1) | instid1(VALU_DEP_2)
	v_fma_f64 v[144:145], v[164:165], v[172:173], -v[144:145]
	v_mul_f64 v[164:165], v[164:165], v[146:147]
	v_add_f64 v[0:1], v[0:1], -v[144:145]
	s_delay_alu instid0(VALU_DEP_2) | instskip(SKIP_1) | instid1(VALU_DEP_2)
	v_fma_f64 v[164:165], v[166:167], v[172:173], v[164:165]
	v_dual_mov_b32 v144, v172 :: v_dual_mov_b32 v145, v173
	v_add_f64 v[2:3], v[2:3], -v[164:165]
.LBB80_104:
	s_or_b32 exec_lo, exec_lo, s2
	v_lshl_add_u32 v164, v180, 4, v174
	s_barrier
	buffer_gl0_inv
	v_mov_b32_e32 v172, 5
	ds_store_2addr_b64 v164, v[140:141], v[142:143] offset1:1
	s_waitcnt lgkmcnt(0)
	s_barrier
	buffer_gl0_inv
	ds_load_2addr_b64 v[164:167], v174 offset0:10 offset1:11
	s_cmp_lt_i32 s5, 7
	s_cbranch_scc1 .LBB80_107
; %bb.105:
	v_add3_u32 v173, v178, 0, 0x60
	v_mov_b32_e32 v172, 5
	s_mov_b32 s6, 6
	s_set_inst_prefetch_distance 0x1
	.p2align	6
.LBB80_106:                             ; =>This Inner Loop Header: Depth=1
	ds_load_2addr_b64 v[181:184], v173 offset1:1
	s_waitcnt lgkmcnt(1)
	v_cmp_gt_f64_e32 vcc_lo, 0, v[164:165]
	v_xor_b32_e32 v185, 0x80000000, v165
	v_cmp_gt_f64_e64 s2, 0, v[166:167]
	v_xor_b32_e32 v187, 0x80000000, v167
	v_add_nc_u32_e32 v173, 16, v173
	s_waitcnt lgkmcnt(0)
	v_cmp_gt_f64_e64 s3, 0, v[181:182]
	v_mov_b32_e32 v189, v181
	v_dual_mov_b32 v191, v183 :: v_dual_cndmask_b32 v186, v165, v185
	v_xor_b32_e32 v185, 0x80000000, v182
	v_cndmask_b32_e64 v188, v167, v187, s2
	v_xor_b32_e32 v187, 0x80000000, v184
	s_delay_alu instid0(VALU_DEP_3) | instskip(SKIP_2) | instid1(VALU_DEP_2)
	v_cndmask_b32_e64 v190, v182, v185, s3
	v_cmp_gt_f64_e64 s3, 0, v[183:184]
	v_cndmask_b32_e32 v185, v164, v164, vcc_lo
	v_cndmask_b32_e64 v192, v184, v187, s3
	v_cndmask_b32_e64 v187, v166, v166, s2
	s_delay_alu instid0(VALU_DEP_2) | instskip(NEXT) | instid1(VALU_DEP_2)
	v_add_f64 v[189:190], v[189:190], v[191:192]
	v_add_f64 v[185:186], v[185:186], v[187:188]
	s_delay_alu instid0(VALU_DEP_1) | instskip(SKIP_4) | instid1(SALU_CYCLE_1)
	v_cmp_lt_f64_e32 vcc_lo, v[185:186], v[189:190]
	v_dual_cndmask_b32 v166, v166, v183 :: v_dual_cndmask_b32 v165, v165, v182
	v_dual_cndmask_b32 v164, v164, v181 :: v_dual_cndmask_b32 v167, v167, v184
	v_cndmask_b32_e64 v172, v172, s6, vcc_lo
	s_add_i32 s6, s6, 1
	s_cmp_lg_u32 s5, s6
	s_cbranch_scc1 .LBB80_106
.LBB80_107:
	s_set_inst_prefetch_distance 0x2
	s_waitcnt lgkmcnt(0)
	v_cmp_eq_f64_e32 vcc_lo, 0, v[164:165]
	v_cmp_eq_f64_e64 s2, 0, v[166:167]
	s_delay_alu instid0(VALU_DEP_1) | instskip(NEXT) | instid1(SALU_CYCLE_1)
	s_and_b32 s2, vcc_lo, s2
	s_and_saveexec_b32 s3, s2
	s_delay_alu instid0(SALU_CYCLE_1)
	s_xor_b32 s2, exec_lo, s3
; %bb.108:
	v_cmp_ne_u32_e32 vcc_lo, 0, v177
	v_cndmask_b32_e32 v177, 6, v177, vcc_lo
; %bb.109:
	s_and_not1_saveexec_b32 s3, s2
	s_cbranch_execz .LBB80_115
; %bb.110:
	v_cmp_gt_f64_e32 vcc_lo, 0, v[164:165]
	v_cmp_gt_f64_e64 s2, 0, v[166:167]
	v_xor_b32_e32 v173, 0x80000000, v165
	v_xor_b32_e32 v181, 0x80000000, v167
	s_delay_alu instid0(VALU_DEP_2) | instskip(NEXT) | instid1(VALU_DEP_2)
	v_cndmask_b32_e32 v182, v165, v173, vcc_lo
	v_cndmask_b32_e64 v184, v167, v181, s2
	v_cndmask_b32_e32 v181, v164, v164, vcc_lo
	v_cndmask_b32_e64 v183, v166, v166, s2
	s_mov_b32 s2, exec_lo
	s_delay_alu instid0(VALU_DEP_1)
	v_cmpx_ngt_f64_e32 v[181:182], v[183:184]
	s_xor_b32 s2, exec_lo, s2
	s_cbranch_execz .LBB80_112
; %bb.111:
	v_div_scale_f64 v[181:182], null, v[166:167], v[166:167], v[164:165]
	v_div_scale_f64 v[187:188], vcc_lo, v[164:165], v[166:167], v[164:165]
	s_delay_alu instid0(VALU_DEP_2) | instskip(SKIP_2) | instid1(VALU_DEP_1)
	v_rcp_f64_e32 v[183:184], v[181:182]
	s_waitcnt_depctr 0xfff
	v_fma_f64 v[185:186], -v[181:182], v[183:184], 1.0
	v_fma_f64 v[183:184], v[183:184], v[185:186], v[183:184]
	s_delay_alu instid0(VALU_DEP_1) | instskip(NEXT) | instid1(VALU_DEP_1)
	v_fma_f64 v[185:186], -v[181:182], v[183:184], 1.0
	v_fma_f64 v[183:184], v[183:184], v[185:186], v[183:184]
	s_delay_alu instid0(VALU_DEP_1) | instskip(NEXT) | instid1(VALU_DEP_1)
	v_mul_f64 v[185:186], v[187:188], v[183:184]
	v_fma_f64 v[181:182], -v[181:182], v[185:186], v[187:188]
	s_delay_alu instid0(VALU_DEP_1) | instskip(NEXT) | instid1(VALU_DEP_1)
	v_div_fmas_f64 v[181:182], v[181:182], v[183:184], v[185:186]
	v_div_fixup_f64 v[181:182], v[181:182], v[166:167], v[164:165]
	s_delay_alu instid0(VALU_DEP_1) | instskip(NEXT) | instid1(VALU_DEP_1)
	v_fma_f64 v[164:165], v[164:165], v[181:182], v[166:167]
	v_div_scale_f64 v[166:167], null, v[164:165], v[164:165], 1.0
	s_delay_alu instid0(VALU_DEP_1) | instskip(SKIP_2) | instid1(VALU_DEP_1)
	v_rcp_f64_e32 v[183:184], v[166:167]
	s_waitcnt_depctr 0xfff
	v_fma_f64 v[185:186], -v[166:167], v[183:184], 1.0
	v_fma_f64 v[183:184], v[183:184], v[185:186], v[183:184]
	s_delay_alu instid0(VALU_DEP_1) | instskip(NEXT) | instid1(VALU_DEP_1)
	v_fma_f64 v[185:186], -v[166:167], v[183:184], 1.0
	v_fma_f64 v[183:184], v[183:184], v[185:186], v[183:184]
	v_div_scale_f64 v[185:186], vcc_lo, 1.0, v[164:165], 1.0
	s_delay_alu instid0(VALU_DEP_1) | instskip(NEXT) | instid1(VALU_DEP_1)
	v_mul_f64 v[187:188], v[185:186], v[183:184]
	v_fma_f64 v[166:167], -v[166:167], v[187:188], v[185:186]
	s_delay_alu instid0(VALU_DEP_1) | instskip(NEXT) | instid1(VALU_DEP_1)
	v_div_fmas_f64 v[166:167], v[166:167], v[183:184], v[187:188]
	v_div_fixup_f64 v[166:167], v[166:167], v[164:165], 1.0
	s_delay_alu instid0(VALU_DEP_1)
	v_mul_f64 v[164:165], v[181:182], v[166:167]
	v_xor_b32_e32 v167, 0x80000000, v167
.LBB80_112:
	s_and_not1_saveexec_b32 s2, s2
	s_cbranch_execz .LBB80_114
; %bb.113:
	s_delay_alu instid0(VALU_DEP_1) | instskip(SKIP_1) | instid1(VALU_DEP_2)
	v_div_scale_f64 v[181:182], null, v[164:165], v[164:165], v[166:167]
	v_div_scale_f64 v[187:188], vcc_lo, v[166:167], v[164:165], v[166:167]
	v_rcp_f64_e32 v[183:184], v[181:182]
	s_waitcnt_depctr 0xfff
	v_fma_f64 v[185:186], -v[181:182], v[183:184], 1.0
	s_delay_alu instid0(VALU_DEP_1) | instskip(NEXT) | instid1(VALU_DEP_1)
	v_fma_f64 v[183:184], v[183:184], v[185:186], v[183:184]
	v_fma_f64 v[185:186], -v[181:182], v[183:184], 1.0
	s_delay_alu instid0(VALU_DEP_1) | instskip(NEXT) | instid1(VALU_DEP_1)
	v_fma_f64 v[183:184], v[183:184], v[185:186], v[183:184]
	v_mul_f64 v[185:186], v[187:188], v[183:184]
	s_delay_alu instid0(VALU_DEP_1) | instskip(NEXT) | instid1(VALU_DEP_1)
	v_fma_f64 v[181:182], -v[181:182], v[185:186], v[187:188]
	v_div_fmas_f64 v[181:182], v[181:182], v[183:184], v[185:186]
	s_delay_alu instid0(VALU_DEP_1) | instskip(NEXT) | instid1(VALU_DEP_1)
	v_div_fixup_f64 v[181:182], v[181:182], v[164:165], v[166:167]
	v_fma_f64 v[164:165], v[166:167], v[181:182], v[164:165]
	s_delay_alu instid0(VALU_DEP_1) | instskip(NEXT) | instid1(VALU_DEP_1)
	v_div_scale_f64 v[166:167], null, v[164:165], v[164:165], 1.0
	v_rcp_f64_e32 v[183:184], v[166:167]
	s_waitcnt_depctr 0xfff
	v_fma_f64 v[185:186], -v[166:167], v[183:184], 1.0
	s_delay_alu instid0(VALU_DEP_1) | instskip(NEXT) | instid1(VALU_DEP_1)
	v_fma_f64 v[183:184], v[183:184], v[185:186], v[183:184]
	v_fma_f64 v[185:186], -v[166:167], v[183:184], 1.0
	s_delay_alu instid0(VALU_DEP_1) | instskip(SKIP_1) | instid1(VALU_DEP_1)
	v_fma_f64 v[183:184], v[183:184], v[185:186], v[183:184]
	v_div_scale_f64 v[185:186], vcc_lo, 1.0, v[164:165], 1.0
	v_mul_f64 v[187:188], v[185:186], v[183:184]
	s_delay_alu instid0(VALU_DEP_1) | instskip(NEXT) | instid1(VALU_DEP_1)
	v_fma_f64 v[166:167], -v[166:167], v[187:188], v[185:186]
	v_div_fmas_f64 v[166:167], v[166:167], v[183:184], v[187:188]
	s_delay_alu instid0(VALU_DEP_1) | instskip(NEXT) | instid1(VALU_DEP_1)
	v_div_fixup_f64 v[164:165], v[166:167], v[164:165], 1.0
	v_mul_f64 v[166:167], v[181:182], -v[164:165]
.LBB80_114:
	s_or_b32 exec_lo, exec_lo, s2
.LBB80_115:
	s_delay_alu instid0(SALU_CYCLE_1) | instskip(NEXT) | instid1(SALU_CYCLE_1)
	s_or_b32 exec_lo, exec_lo, s3
	s_mov_b32 s2, exec_lo
	v_cmpx_ne_u32_e64 v180, v172
	s_xor_b32 s2, exec_lo, s2
	s_cbranch_execz .LBB80_121
; %bb.116:
	s_mov_b32 s3, exec_lo
	v_cmpx_eq_u32_e32 5, v180
	s_cbranch_execz .LBB80_120
; %bb.117:
	v_cmp_ne_u32_e32 vcc_lo, 5, v172
	s_xor_b32 s6, s4, -1
	s_delay_alu instid0(SALU_CYCLE_1) | instskip(NEXT) | instid1(SALU_CYCLE_1)
	s_and_b32 s7, s6, vcc_lo
	s_and_saveexec_b32 s6, s7
	s_cbranch_execz .LBB80_119
; %bb.118:
	v_ashrrev_i32_e32 v173, 31, v172
	s_delay_alu instid0(VALU_DEP_1) | instskip(NEXT) | instid1(VALU_DEP_1)
	v_lshlrev_b64 v[179:180], 2, v[172:173]
	v_add_co_u32 v179, vcc_lo, v170, v179
	s_delay_alu instid0(VALU_DEP_2)
	v_add_co_ci_u32_e32 v180, vcc_lo, v171, v180, vcc_lo
	s_clause 0x1
	flat_load_b32 v173, v[179:180]
	flat_load_b32 v181, v[170:171] offset:20
	s_waitcnt vmcnt(1) lgkmcnt(1)
	flat_store_b32 v[170:171], v173 offset:20
	s_waitcnt vmcnt(0) lgkmcnt(1)
	flat_store_b32 v[179:180], v181
.LBB80_119:
	s_or_b32 exec_lo, exec_lo, s6
	v_mov_b32_e32 v180, v172
	v_mov_b32_e32 v179, v172
.LBB80_120:
	s_or_b32 exec_lo, exec_lo, s3
.LBB80_121:
	s_and_not1_saveexec_b32 s2, s2
	s_cbranch_execz .LBB80_123
; %bb.122:
	v_mov_b32_e32 v180, 5
	ds_store_2addr_b64 v174, v[136:137], v[138:139] offset0:12 offset1:13
	ds_store_2addr_b64 v174, v[132:133], v[134:135] offset0:14 offset1:15
	;; [unrolled: 1-line block ×35, first 2 shown]
.LBB80_123:
	s_or_b32 exec_lo, exec_lo, s2
	s_delay_alu instid0(SALU_CYCLE_1)
	s_mov_b32 s2, exec_lo
	s_waitcnt lgkmcnt(0)
	s_waitcnt_vscnt null, 0x0
	s_barrier
	buffer_gl0_inv
	v_cmpx_lt_i32_e32 5, v180
	s_cbranch_execz .LBB80_125
; %bb.124:
	v_mul_f64 v[172:173], v[166:167], v[142:143]
	v_mul_f64 v[142:143], v[164:165], v[142:143]
	s_delay_alu instid0(VALU_DEP_2) | instskip(NEXT) | instid1(VALU_DEP_2)
	v_fma_f64 v[172:173], v[164:165], v[140:141], -v[172:173]
	v_fma_f64 v[142:143], v[166:167], v[140:141], v[142:143]
	ds_load_2addr_b64 v[164:167], v174 offset0:12 offset1:13
	s_waitcnt lgkmcnt(0)
	v_mul_f64 v[140:141], v[166:167], v[142:143]
	s_delay_alu instid0(VALU_DEP_1) | instskip(SKIP_1) | instid1(VALU_DEP_2)
	v_fma_f64 v[140:141], v[164:165], v[172:173], -v[140:141]
	v_mul_f64 v[164:165], v[164:165], v[142:143]
	v_add_f64 v[136:137], v[136:137], -v[140:141]
	s_delay_alu instid0(VALU_DEP_2) | instskip(NEXT) | instid1(VALU_DEP_1)
	v_fma_f64 v[164:165], v[166:167], v[172:173], v[164:165]
	v_add_f64 v[138:139], v[138:139], -v[164:165]
	ds_load_2addr_b64 v[164:167], v174 offset0:14 offset1:15
	s_waitcnt lgkmcnt(0)
	v_mul_f64 v[140:141], v[166:167], v[142:143]
	s_delay_alu instid0(VALU_DEP_1) | instskip(SKIP_1) | instid1(VALU_DEP_2)
	v_fma_f64 v[140:141], v[164:165], v[172:173], -v[140:141]
	v_mul_f64 v[164:165], v[164:165], v[142:143]
	v_add_f64 v[132:133], v[132:133], -v[140:141]
	s_delay_alu instid0(VALU_DEP_2) | instskip(NEXT) | instid1(VALU_DEP_1)
	v_fma_f64 v[164:165], v[166:167], v[172:173], v[164:165]
	v_add_f64 v[134:135], v[134:135], -v[164:165]
	ds_load_2addr_b64 v[164:167], v174 offset0:16 offset1:17
	s_waitcnt lgkmcnt(0)
	v_mul_f64 v[140:141], v[166:167], v[142:143]
	s_delay_alu instid0(VALU_DEP_1) | instskip(SKIP_1) | instid1(VALU_DEP_2)
	v_fma_f64 v[140:141], v[164:165], v[172:173], -v[140:141]
	v_mul_f64 v[164:165], v[164:165], v[142:143]
	v_add_f64 v[128:129], v[128:129], -v[140:141]
	s_delay_alu instid0(VALU_DEP_2) | instskip(NEXT) | instid1(VALU_DEP_1)
	v_fma_f64 v[164:165], v[166:167], v[172:173], v[164:165]
	v_add_f64 v[130:131], v[130:131], -v[164:165]
	ds_load_2addr_b64 v[164:167], v174 offset0:18 offset1:19
	s_waitcnt lgkmcnt(0)
	v_mul_f64 v[140:141], v[166:167], v[142:143]
	s_delay_alu instid0(VALU_DEP_1) | instskip(SKIP_1) | instid1(VALU_DEP_2)
	v_fma_f64 v[140:141], v[164:165], v[172:173], -v[140:141]
	v_mul_f64 v[164:165], v[164:165], v[142:143]
	v_add_f64 v[124:125], v[124:125], -v[140:141]
	s_delay_alu instid0(VALU_DEP_2) | instskip(NEXT) | instid1(VALU_DEP_1)
	v_fma_f64 v[164:165], v[166:167], v[172:173], v[164:165]
	v_add_f64 v[126:127], v[126:127], -v[164:165]
	ds_load_2addr_b64 v[164:167], v174 offset0:20 offset1:21
	s_waitcnt lgkmcnt(0)
	v_mul_f64 v[140:141], v[166:167], v[142:143]
	s_delay_alu instid0(VALU_DEP_1) | instskip(SKIP_1) | instid1(VALU_DEP_2)
	v_fma_f64 v[140:141], v[164:165], v[172:173], -v[140:141]
	v_mul_f64 v[164:165], v[164:165], v[142:143]
	v_add_f64 v[120:121], v[120:121], -v[140:141]
	s_delay_alu instid0(VALU_DEP_2) | instskip(NEXT) | instid1(VALU_DEP_1)
	v_fma_f64 v[164:165], v[166:167], v[172:173], v[164:165]
	v_add_f64 v[122:123], v[122:123], -v[164:165]
	ds_load_2addr_b64 v[164:167], v174 offset0:22 offset1:23
	s_waitcnt lgkmcnt(0)
	v_mul_f64 v[140:141], v[166:167], v[142:143]
	s_delay_alu instid0(VALU_DEP_1) | instskip(SKIP_1) | instid1(VALU_DEP_2)
	v_fma_f64 v[140:141], v[164:165], v[172:173], -v[140:141]
	v_mul_f64 v[164:165], v[164:165], v[142:143]
	v_add_f64 v[116:117], v[116:117], -v[140:141]
	s_delay_alu instid0(VALU_DEP_2) | instskip(NEXT) | instid1(VALU_DEP_1)
	v_fma_f64 v[164:165], v[166:167], v[172:173], v[164:165]
	v_add_f64 v[118:119], v[118:119], -v[164:165]
	ds_load_2addr_b64 v[164:167], v174 offset0:24 offset1:25
	s_waitcnt lgkmcnt(0)
	v_mul_f64 v[140:141], v[166:167], v[142:143]
	s_delay_alu instid0(VALU_DEP_1) | instskip(SKIP_1) | instid1(VALU_DEP_2)
	v_fma_f64 v[140:141], v[164:165], v[172:173], -v[140:141]
	v_mul_f64 v[164:165], v[164:165], v[142:143]
	v_add_f64 v[112:113], v[112:113], -v[140:141]
	s_delay_alu instid0(VALU_DEP_2) | instskip(NEXT) | instid1(VALU_DEP_1)
	v_fma_f64 v[164:165], v[166:167], v[172:173], v[164:165]
	v_add_f64 v[114:115], v[114:115], -v[164:165]
	ds_load_2addr_b64 v[164:167], v174 offset0:26 offset1:27
	s_waitcnt lgkmcnt(0)
	v_mul_f64 v[140:141], v[166:167], v[142:143]
	s_delay_alu instid0(VALU_DEP_1) | instskip(SKIP_1) | instid1(VALU_DEP_2)
	v_fma_f64 v[140:141], v[164:165], v[172:173], -v[140:141]
	v_mul_f64 v[164:165], v[164:165], v[142:143]
	v_add_f64 v[108:109], v[108:109], -v[140:141]
	s_delay_alu instid0(VALU_DEP_2) | instskip(NEXT) | instid1(VALU_DEP_1)
	v_fma_f64 v[164:165], v[166:167], v[172:173], v[164:165]
	v_add_f64 v[110:111], v[110:111], -v[164:165]
	ds_load_2addr_b64 v[164:167], v174 offset0:28 offset1:29
	s_waitcnt lgkmcnt(0)
	v_mul_f64 v[140:141], v[166:167], v[142:143]
	s_delay_alu instid0(VALU_DEP_1) | instskip(SKIP_1) | instid1(VALU_DEP_2)
	v_fma_f64 v[140:141], v[164:165], v[172:173], -v[140:141]
	v_mul_f64 v[164:165], v[164:165], v[142:143]
	v_add_f64 v[104:105], v[104:105], -v[140:141]
	s_delay_alu instid0(VALU_DEP_2) | instskip(NEXT) | instid1(VALU_DEP_1)
	v_fma_f64 v[164:165], v[166:167], v[172:173], v[164:165]
	v_add_f64 v[106:107], v[106:107], -v[164:165]
	ds_load_2addr_b64 v[164:167], v174 offset0:30 offset1:31
	s_waitcnt lgkmcnt(0)
	v_mul_f64 v[140:141], v[166:167], v[142:143]
	s_delay_alu instid0(VALU_DEP_1) | instskip(SKIP_1) | instid1(VALU_DEP_2)
	v_fma_f64 v[140:141], v[164:165], v[172:173], -v[140:141]
	v_mul_f64 v[164:165], v[164:165], v[142:143]
	v_add_f64 v[100:101], v[100:101], -v[140:141]
	s_delay_alu instid0(VALU_DEP_2) | instskip(NEXT) | instid1(VALU_DEP_1)
	v_fma_f64 v[164:165], v[166:167], v[172:173], v[164:165]
	v_add_f64 v[102:103], v[102:103], -v[164:165]
	ds_load_2addr_b64 v[164:167], v174 offset0:32 offset1:33
	s_waitcnt lgkmcnt(0)
	v_mul_f64 v[140:141], v[166:167], v[142:143]
	s_delay_alu instid0(VALU_DEP_1) | instskip(SKIP_1) | instid1(VALU_DEP_2)
	v_fma_f64 v[140:141], v[164:165], v[172:173], -v[140:141]
	v_mul_f64 v[164:165], v[164:165], v[142:143]
	v_add_f64 v[96:97], v[96:97], -v[140:141]
	s_delay_alu instid0(VALU_DEP_2) | instskip(NEXT) | instid1(VALU_DEP_1)
	v_fma_f64 v[164:165], v[166:167], v[172:173], v[164:165]
	v_add_f64 v[98:99], v[98:99], -v[164:165]
	ds_load_2addr_b64 v[164:167], v174 offset0:34 offset1:35
	s_waitcnt lgkmcnt(0)
	v_mul_f64 v[140:141], v[166:167], v[142:143]
	s_delay_alu instid0(VALU_DEP_1) | instskip(SKIP_1) | instid1(VALU_DEP_2)
	v_fma_f64 v[140:141], v[164:165], v[172:173], -v[140:141]
	v_mul_f64 v[164:165], v[164:165], v[142:143]
	v_add_f64 v[92:93], v[92:93], -v[140:141]
	s_delay_alu instid0(VALU_DEP_2) | instskip(NEXT) | instid1(VALU_DEP_1)
	v_fma_f64 v[164:165], v[166:167], v[172:173], v[164:165]
	v_add_f64 v[94:95], v[94:95], -v[164:165]
	ds_load_2addr_b64 v[164:167], v174 offset0:36 offset1:37
	s_waitcnt lgkmcnt(0)
	v_mul_f64 v[140:141], v[166:167], v[142:143]
	s_delay_alu instid0(VALU_DEP_1) | instskip(SKIP_1) | instid1(VALU_DEP_2)
	v_fma_f64 v[140:141], v[164:165], v[172:173], -v[140:141]
	v_mul_f64 v[164:165], v[164:165], v[142:143]
	v_add_f64 v[88:89], v[88:89], -v[140:141]
	s_delay_alu instid0(VALU_DEP_2) | instskip(NEXT) | instid1(VALU_DEP_1)
	v_fma_f64 v[164:165], v[166:167], v[172:173], v[164:165]
	v_add_f64 v[90:91], v[90:91], -v[164:165]
	ds_load_2addr_b64 v[164:167], v174 offset0:38 offset1:39
	s_waitcnt lgkmcnt(0)
	v_mul_f64 v[140:141], v[166:167], v[142:143]
	s_delay_alu instid0(VALU_DEP_1) | instskip(SKIP_1) | instid1(VALU_DEP_2)
	v_fma_f64 v[140:141], v[164:165], v[172:173], -v[140:141]
	v_mul_f64 v[164:165], v[164:165], v[142:143]
	v_add_f64 v[84:85], v[84:85], -v[140:141]
	s_delay_alu instid0(VALU_DEP_2) | instskip(NEXT) | instid1(VALU_DEP_1)
	v_fma_f64 v[164:165], v[166:167], v[172:173], v[164:165]
	v_add_f64 v[86:87], v[86:87], -v[164:165]
	ds_load_2addr_b64 v[164:167], v174 offset0:40 offset1:41
	s_waitcnt lgkmcnt(0)
	v_mul_f64 v[140:141], v[166:167], v[142:143]
	s_delay_alu instid0(VALU_DEP_1) | instskip(SKIP_1) | instid1(VALU_DEP_2)
	v_fma_f64 v[140:141], v[164:165], v[172:173], -v[140:141]
	v_mul_f64 v[164:165], v[164:165], v[142:143]
	v_add_f64 v[80:81], v[80:81], -v[140:141]
	s_delay_alu instid0(VALU_DEP_2) | instskip(NEXT) | instid1(VALU_DEP_1)
	v_fma_f64 v[164:165], v[166:167], v[172:173], v[164:165]
	v_add_f64 v[82:83], v[82:83], -v[164:165]
	ds_load_2addr_b64 v[164:167], v174 offset0:42 offset1:43
	s_waitcnt lgkmcnt(0)
	v_mul_f64 v[140:141], v[166:167], v[142:143]
	s_delay_alu instid0(VALU_DEP_1) | instskip(SKIP_1) | instid1(VALU_DEP_2)
	v_fma_f64 v[140:141], v[164:165], v[172:173], -v[140:141]
	v_mul_f64 v[164:165], v[164:165], v[142:143]
	v_add_f64 v[76:77], v[76:77], -v[140:141]
	s_delay_alu instid0(VALU_DEP_2) | instskip(NEXT) | instid1(VALU_DEP_1)
	v_fma_f64 v[164:165], v[166:167], v[172:173], v[164:165]
	v_add_f64 v[78:79], v[78:79], -v[164:165]
	ds_load_2addr_b64 v[164:167], v174 offset0:44 offset1:45
	s_waitcnt lgkmcnt(0)
	v_mul_f64 v[140:141], v[166:167], v[142:143]
	s_delay_alu instid0(VALU_DEP_1) | instskip(SKIP_1) | instid1(VALU_DEP_2)
	v_fma_f64 v[140:141], v[164:165], v[172:173], -v[140:141]
	v_mul_f64 v[164:165], v[164:165], v[142:143]
	v_add_f64 v[72:73], v[72:73], -v[140:141]
	s_delay_alu instid0(VALU_DEP_2) | instskip(NEXT) | instid1(VALU_DEP_1)
	v_fma_f64 v[164:165], v[166:167], v[172:173], v[164:165]
	v_add_f64 v[74:75], v[74:75], -v[164:165]
	ds_load_2addr_b64 v[164:167], v174 offset0:46 offset1:47
	s_waitcnt lgkmcnt(0)
	v_mul_f64 v[140:141], v[166:167], v[142:143]
	s_delay_alu instid0(VALU_DEP_1) | instskip(SKIP_1) | instid1(VALU_DEP_2)
	v_fma_f64 v[140:141], v[164:165], v[172:173], -v[140:141]
	v_mul_f64 v[164:165], v[164:165], v[142:143]
	v_add_f64 v[68:69], v[68:69], -v[140:141]
	s_delay_alu instid0(VALU_DEP_2) | instskip(NEXT) | instid1(VALU_DEP_1)
	v_fma_f64 v[164:165], v[166:167], v[172:173], v[164:165]
	v_add_f64 v[70:71], v[70:71], -v[164:165]
	ds_load_2addr_b64 v[164:167], v174 offset0:48 offset1:49
	s_waitcnt lgkmcnt(0)
	v_mul_f64 v[140:141], v[166:167], v[142:143]
	s_delay_alu instid0(VALU_DEP_1) | instskip(SKIP_1) | instid1(VALU_DEP_2)
	v_fma_f64 v[140:141], v[164:165], v[172:173], -v[140:141]
	v_mul_f64 v[164:165], v[164:165], v[142:143]
	v_add_f64 v[64:65], v[64:65], -v[140:141]
	s_delay_alu instid0(VALU_DEP_2) | instskip(NEXT) | instid1(VALU_DEP_1)
	v_fma_f64 v[164:165], v[166:167], v[172:173], v[164:165]
	v_add_f64 v[66:67], v[66:67], -v[164:165]
	ds_load_2addr_b64 v[164:167], v174 offset0:50 offset1:51
	s_waitcnt lgkmcnt(0)
	v_mul_f64 v[140:141], v[166:167], v[142:143]
	s_delay_alu instid0(VALU_DEP_1) | instskip(SKIP_1) | instid1(VALU_DEP_2)
	v_fma_f64 v[140:141], v[164:165], v[172:173], -v[140:141]
	v_mul_f64 v[164:165], v[164:165], v[142:143]
	v_add_f64 v[60:61], v[60:61], -v[140:141]
	s_delay_alu instid0(VALU_DEP_2) | instskip(NEXT) | instid1(VALU_DEP_1)
	v_fma_f64 v[164:165], v[166:167], v[172:173], v[164:165]
	v_add_f64 v[62:63], v[62:63], -v[164:165]
	ds_load_2addr_b64 v[164:167], v174 offset0:52 offset1:53
	s_waitcnt lgkmcnt(0)
	v_mul_f64 v[140:141], v[166:167], v[142:143]
	s_delay_alu instid0(VALU_DEP_1) | instskip(SKIP_1) | instid1(VALU_DEP_2)
	v_fma_f64 v[140:141], v[164:165], v[172:173], -v[140:141]
	v_mul_f64 v[164:165], v[164:165], v[142:143]
	v_add_f64 v[56:57], v[56:57], -v[140:141]
	s_delay_alu instid0(VALU_DEP_2) | instskip(NEXT) | instid1(VALU_DEP_1)
	v_fma_f64 v[164:165], v[166:167], v[172:173], v[164:165]
	v_add_f64 v[58:59], v[58:59], -v[164:165]
	ds_load_2addr_b64 v[164:167], v174 offset0:54 offset1:55
	s_waitcnt lgkmcnt(0)
	v_mul_f64 v[140:141], v[166:167], v[142:143]
	s_delay_alu instid0(VALU_DEP_1) | instskip(SKIP_1) | instid1(VALU_DEP_2)
	v_fma_f64 v[140:141], v[164:165], v[172:173], -v[140:141]
	v_mul_f64 v[164:165], v[164:165], v[142:143]
	v_add_f64 v[52:53], v[52:53], -v[140:141]
	s_delay_alu instid0(VALU_DEP_2) | instskip(NEXT) | instid1(VALU_DEP_1)
	v_fma_f64 v[164:165], v[166:167], v[172:173], v[164:165]
	v_add_f64 v[54:55], v[54:55], -v[164:165]
	ds_load_2addr_b64 v[164:167], v174 offset0:56 offset1:57
	s_waitcnt lgkmcnt(0)
	v_mul_f64 v[140:141], v[166:167], v[142:143]
	s_delay_alu instid0(VALU_DEP_1) | instskip(SKIP_1) | instid1(VALU_DEP_2)
	v_fma_f64 v[140:141], v[164:165], v[172:173], -v[140:141]
	v_mul_f64 v[164:165], v[164:165], v[142:143]
	v_add_f64 v[48:49], v[48:49], -v[140:141]
	s_delay_alu instid0(VALU_DEP_2) | instskip(NEXT) | instid1(VALU_DEP_1)
	v_fma_f64 v[164:165], v[166:167], v[172:173], v[164:165]
	v_add_f64 v[50:51], v[50:51], -v[164:165]
	ds_load_2addr_b64 v[164:167], v174 offset0:58 offset1:59
	s_waitcnt lgkmcnt(0)
	v_mul_f64 v[140:141], v[166:167], v[142:143]
	s_delay_alu instid0(VALU_DEP_1) | instskip(SKIP_1) | instid1(VALU_DEP_2)
	v_fma_f64 v[140:141], v[164:165], v[172:173], -v[140:141]
	v_mul_f64 v[164:165], v[164:165], v[142:143]
	v_add_f64 v[44:45], v[44:45], -v[140:141]
	s_delay_alu instid0(VALU_DEP_2) | instskip(NEXT) | instid1(VALU_DEP_1)
	v_fma_f64 v[164:165], v[166:167], v[172:173], v[164:165]
	v_add_f64 v[46:47], v[46:47], -v[164:165]
	ds_load_2addr_b64 v[164:167], v174 offset0:60 offset1:61
	s_waitcnt lgkmcnt(0)
	v_mul_f64 v[140:141], v[166:167], v[142:143]
	s_delay_alu instid0(VALU_DEP_1) | instskip(SKIP_1) | instid1(VALU_DEP_2)
	v_fma_f64 v[140:141], v[164:165], v[172:173], -v[140:141]
	v_mul_f64 v[164:165], v[164:165], v[142:143]
	v_add_f64 v[40:41], v[40:41], -v[140:141]
	s_delay_alu instid0(VALU_DEP_2) | instskip(NEXT) | instid1(VALU_DEP_1)
	v_fma_f64 v[164:165], v[166:167], v[172:173], v[164:165]
	v_add_f64 v[42:43], v[42:43], -v[164:165]
	ds_load_2addr_b64 v[164:167], v174 offset0:62 offset1:63
	s_waitcnt lgkmcnt(0)
	v_mul_f64 v[140:141], v[166:167], v[142:143]
	s_delay_alu instid0(VALU_DEP_1) | instskip(SKIP_1) | instid1(VALU_DEP_2)
	v_fma_f64 v[140:141], v[164:165], v[172:173], -v[140:141]
	v_mul_f64 v[164:165], v[164:165], v[142:143]
	v_add_f64 v[36:37], v[36:37], -v[140:141]
	s_delay_alu instid0(VALU_DEP_2) | instskip(NEXT) | instid1(VALU_DEP_1)
	v_fma_f64 v[164:165], v[166:167], v[172:173], v[164:165]
	v_add_f64 v[38:39], v[38:39], -v[164:165]
	ds_load_2addr_b64 v[164:167], v174 offset0:64 offset1:65
	s_waitcnt lgkmcnt(0)
	v_mul_f64 v[140:141], v[166:167], v[142:143]
	s_delay_alu instid0(VALU_DEP_1) | instskip(SKIP_1) | instid1(VALU_DEP_2)
	v_fma_f64 v[140:141], v[164:165], v[172:173], -v[140:141]
	v_mul_f64 v[164:165], v[164:165], v[142:143]
	v_add_f64 v[32:33], v[32:33], -v[140:141]
	s_delay_alu instid0(VALU_DEP_2) | instskip(NEXT) | instid1(VALU_DEP_1)
	v_fma_f64 v[164:165], v[166:167], v[172:173], v[164:165]
	v_add_f64 v[34:35], v[34:35], -v[164:165]
	ds_load_2addr_b64 v[164:167], v174 offset0:66 offset1:67
	s_waitcnt lgkmcnt(0)
	v_mul_f64 v[140:141], v[166:167], v[142:143]
	s_delay_alu instid0(VALU_DEP_1) | instskip(SKIP_1) | instid1(VALU_DEP_2)
	v_fma_f64 v[140:141], v[164:165], v[172:173], -v[140:141]
	v_mul_f64 v[164:165], v[164:165], v[142:143]
	v_add_f64 v[28:29], v[28:29], -v[140:141]
	s_delay_alu instid0(VALU_DEP_2) | instskip(NEXT) | instid1(VALU_DEP_1)
	v_fma_f64 v[164:165], v[166:167], v[172:173], v[164:165]
	v_add_f64 v[30:31], v[30:31], -v[164:165]
	ds_load_2addr_b64 v[164:167], v174 offset0:68 offset1:69
	s_waitcnt lgkmcnt(0)
	v_mul_f64 v[140:141], v[166:167], v[142:143]
	s_delay_alu instid0(VALU_DEP_1) | instskip(SKIP_1) | instid1(VALU_DEP_2)
	v_fma_f64 v[140:141], v[164:165], v[172:173], -v[140:141]
	v_mul_f64 v[164:165], v[164:165], v[142:143]
	v_add_f64 v[24:25], v[24:25], -v[140:141]
	s_delay_alu instid0(VALU_DEP_2) | instskip(NEXT) | instid1(VALU_DEP_1)
	v_fma_f64 v[164:165], v[166:167], v[172:173], v[164:165]
	v_add_f64 v[26:27], v[26:27], -v[164:165]
	ds_load_2addr_b64 v[164:167], v174 offset0:70 offset1:71
	s_waitcnt lgkmcnt(0)
	v_mul_f64 v[140:141], v[166:167], v[142:143]
	s_delay_alu instid0(VALU_DEP_1) | instskip(SKIP_1) | instid1(VALU_DEP_2)
	v_fma_f64 v[140:141], v[164:165], v[172:173], -v[140:141]
	v_mul_f64 v[164:165], v[164:165], v[142:143]
	v_add_f64 v[20:21], v[20:21], -v[140:141]
	s_delay_alu instid0(VALU_DEP_2) | instskip(NEXT) | instid1(VALU_DEP_1)
	v_fma_f64 v[164:165], v[166:167], v[172:173], v[164:165]
	v_add_f64 v[22:23], v[22:23], -v[164:165]
	ds_load_2addr_b64 v[164:167], v174 offset0:72 offset1:73
	s_waitcnt lgkmcnt(0)
	v_mul_f64 v[140:141], v[166:167], v[142:143]
	s_delay_alu instid0(VALU_DEP_1) | instskip(SKIP_1) | instid1(VALU_DEP_2)
	v_fma_f64 v[140:141], v[164:165], v[172:173], -v[140:141]
	v_mul_f64 v[164:165], v[164:165], v[142:143]
	v_add_f64 v[16:17], v[16:17], -v[140:141]
	s_delay_alu instid0(VALU_DEP_2) | instskip(NEXT) | instid1(VALU_DEP_1)
	v_fma_f64 v[164:165], v[166:167], v[172:173], v[164:165]
	v_add_f64 v[18:19], v[18:19], -v[164:165]
	ds_load_2addr_b64 v[164:167], v174 offset0:74 offset1:75
	s_waitcnt lgkmcnt(0)
	v_mul_f64 v[140:141], v[166:167], v[142:143]
	s_delay_alu instid0(VALU_DEP_1) | instskip(SKIP_1) | instid1(VALU_DEP_2)
	v_fma_f64 v[140:141], v[164:165], v[172:173], -v[140:141]
	v_mul_f64 v[164:165], v[164:165], v[142:143]
	v_add_f64 v[12:13], v[12:13], -v[140:141]
	s_delay_alu instid0(VALU_DEP_2) | instskip(NEXT) | instid1(VALU_DEP_1)
	v_fma_f64 v[164:165], v[166:167], v[172:173], v[164:165]
	v_add_f64 v[14:15], v[14:15], -v[164:165]
	ds_load_2addr_b64 v[164:167], v174 offset0:76 offset1:77
	s_waitcnt lgkmcnt(0)
	v_mul_f64 v[140:141], v[166:167], v[142:143]
	s_delay_alu instid0(VALU_DEP_1) | instskip(SKIP_1) | instid1(VALU_DEP_2)
	v_fma_f64 v[140:141], v[164:165], v[172:173], -v[140:141]
	v_mul_f64 v[164:165], v[164:165], v[142:143]
	v_add_f64 v[8:9], v[8:9], -v[140:141]
	s_delay_alu instid0(VALU_DEP_2) | instskip(NEXT) | instid1(VALU_DEP_1)
	v_fma_f64 v[164:165], v[166:167], v[172:173], v[164:165]
	v_add_f64 v[10:11], v[10:11], -v[164:165]
	ds_load_2addr_b64 v[164:167], v174 offset0:78 offset1:79
	s_waitcnt lgkmcnt(0)
	v_mul_f64 v[140:141], v[166:167], v[142:143]
	s_delay_alu instid0(VALU_DEP_1) | instskip(SKIP_1) | instid1(VALU_DEP_2)
	v_fma_f64 v[140:141], v[164:165], v[172:173], -v[140:141]
	v_mul_f64 v[164:165], v[164:165], v[142:143]
	v_add_f64 v[4:5], v[4:5], -v[140:141]
	s_delay_alu instid0(VALU_DEP_2) | instskip(NEXT) | instid1(VALU_DEP_1)
	v_fma_f64 v[164:165], v[166:167], v[172:173], v[164:165]
	v_add_f64 v[6:7], v[6:7], -v[164:165]
	ds_load_2addr_b64 v[164:167], v174 offset0:80 offset1:81
	s_waitcnt lgkmcnt(0)
	v_mul_f64 v[140:141], v[166:167], v[142:143]
	s_delay_alu instid0(VALU_DEP_1) | instskip(SKIP_1) | instid1(VALU_DEP_2)
	v_fma_f64 v[140:141], v[164:165], v[172:173], -v[140:141]
	v_mul_f64 v[164:165], v[164:165], v[142:143]
	v_add_f64 v[0:1], v[0:1], -v[140:141]
	s_delay_alu instid0(VALU_DEP_2) | instskip(SKIP_1) | instid1(VALU_DEP_2)
	v_fma_f64 v[164:165], v[166:167], v[172:173], v[164:165]
	v_dual_mov_b32 v140, v172 :: v_dual_mov_b32 v141, v173
	v_add_f64 v[2:3], v[2:3], -v[164:165]
.LBB80_125:
	s_or_b32 exec_lo, exec_lo, s2
	v_lshl_add_u32 v164, v180, 4, v174
	s_barrier
	buffer_gl0_inv
	v_mov_b32_e32 v172, 6
	ds_store_2addr_b64 v164, v[136:137], v[138:139] offset1:1
	s_waitcnt lgkmcnt(0)
	s_barrier
	buffer_gl0_inv
	ds_load_2addr_b64 v[164:167], v174 offset0:12 offset1:13
	s_cmp_lt_i32 s5, 8
	s_cbranch_scc1 .LBB80_128
; %bb.126:
	v_add3_u32 v173, v178, 0, 0x70
	v_mov_b32_e32 v172, 6
	s_mov_b32 s6, 7
	s_set_inst_prefetch_distance 0x1
	.p2align	6
.LBB80_127:                             ; =>This Inner Loop Header: Depth=1
	ds_load_2addr_b64 v[181:184], v173 offset1:1
	s_waitcnt lgkmcnt(1)
	v_cmp_gt_f64_e32 vcc_lo, 0, v[164:165]
	v_xor_b32_e32 v185, 0x80000000, v165
	v_cmp_gt_f64_e64 s2, 0, v[166:167]
	v_xor_b32_e32 v187, 0x80000000, v167
	v_add_nc_u32_e32 v173, 16, v173
	s_waitcnt lgkmcnt(0)
	v_cmp_gt_f64_e64 s3, 0, v[181:182]
	v_mov_b32_e32 v189, v181
	v_dual_mov_b32 v191, v183 :: v_dual_cndmask_b32 v186, v165, v185
	v_xor_b32_e32 v185, 0x80000000, v182
	v_cndmask_b32_e64 v188, v167, v187, s2
	v_xor_b32_e32 v187, 0x80000000, v184
	s_delay_alu instid0(VALU_DEP_3) | instskip(SKIP_2) | instid1(VALU_DEP_2)
	v_cndmask_b32_e64 v190, v182, v185, s3
	v_cmp_gt_f64_e64 s3, 0, v[183:184]
	v_cndmask_b32_e32 v185, v164, v164, vcc_lo
	v_cndmask_b32_e64 v192, v184, v187, s3
	v_cndmask_b32_e64 v187, v166, v166, s2
	s_delay_alu instid0(VALU_DEP_2) | instskip(NEXT) | instid1(VALU_DEP_2)
	v_add_f64 v[189:190], v[189:190], v[191:192]
	v_add_f64 v[185:186], v[185:186], v[187:188]
	s_delay_alu instid0(VALU_DEP_1) | instskip(SKIP_4) | instid1(SALU_CYCLE_1)
	v_cmp_lt_f64_e32 vcc_lo, v[185:186], v[189:190]
	v_dual_cndmask_b32 v166, v166, v183 :: v_dual_cndmask_b32 v165, v165, v182
	v_dual_cndmask_b32 v164, v164, v181 :: v_dual_cndmask_b32 v167, v167, v184
	v_cndmask_b32_e64 v172, v172, s6, vcc_lo
	s_add_i32 s6, s6, 1
	s_cmp_lg_u32 s5, s6
	s_cbranch_scc1 .LBB80_127
.LBB80_128:
	s_set_inst_prefetch_distance 0x2
	s_waitcnt lgkmcnt(0)
	v_cmp_eq_f64_e32 vcc_lo, 0, v[164:165]
	v_cmp_eq_f64_e64 s2, 0, v[166:167]
	s_delay_alu instid0(VALU_DEP_1) | instskip(NEXT) | instid1(SALU_CYCLE_1)
	s_and_b32 s2, vcc_lo, s2
	s_and_saveexec_b32 s3, s2
	s_delay_alu instid0(SALU_CYCLE_1)
	s_xor_b32 s2, exec_lo, s3
; %bb.129:
	v_cmp_ne_u32_e32 vcc_lo, 0, v177
	v_cndmask_b32_e32 v177, 7, v177, vcc_lo
; %bb.130:
	s_and_not1_saveexec_b32 s3, s2
	s_cbranch_execz .LBB80_136
; %bb.131:
	v_cmp_gt_f64_e32 vcc_lo, 0, v[164:165]
	v_cmp_gt_f64_e64 s2, 0, v[166:167]
	v_xor_b32_e32 v173, 0x80000000, v165
	v_xor_b32_e32 v181, 0x80000000, v167
	s_delay_alu instid0(VALU_DEP_2) | instskip(NEXT) | instid1(VALU_DEP_2)
	v_cndmask_b32_e32 v182, v165, v173, vcc_lo
	v_cndmask_b32_e64 v184, v167, v181, s2
	v_cndmask_b32_e32 v181, v164, v164, vcc_lo
	v_cndmask_b32_e64 v183, v166, v166, s2
	s_mov_b32 s2, exec_lo
	s_delay_alu instid0(VALU_DEP_1)
	v_cmpx_ngt_f64_e32 v[181:182], v[183:184]
	s_xor_b32 s2, exec_lo, s2
	s_cbranch_execz .LBB80_133
; %bb.132:
	v_div_scale_f64 v[181:182], null, v[166:167], v[166:167], v[164:165]
	v_div_scale_f64 v[187:188], vcc_lo, v[164:165], v[166:167], v[164:165]
	s_delay_alu instid0(VALU_DEP_2) | instskip(SKIP_2) | instid1(VALU_DEP_1)
	v_rcp_f64_e32 v[183:184], v[181:182]
	s_waitcnt_depctr 0xfff
	v_fma_f64 v[185:186], -v[181:182], v[183:184], 1.0
	v_fma_f64 v[183:184], v[183:184], v[185:186], v[183:184]
	s_delay_alu instid0(VALU_DEP_1) | instskip(NEXT) | instid1(VALU_DEP_1)
	v_fma_f64 v[185:186], -v[181:182], v[183:184], 1.0
	v_fma_f64 v[183:184], v[183:184], v[185:186], v[183:184]
	s_delay_alu instid0(VALU_DEP_1) | instskip(NEXT) | instid1(VALU_DEP_1)
	v_mul_f64 v[185:186], v[187:188], v[183:184]
	v_fma_f64 v[181:182], -v[181:182], v[185:186], v[187:188]
	s_delay_alu instid0(VALU_DEP_1) | instskip(NEXT) | instid1(VALU_DEP_1)
	v_div_fmas_f64 v[181:182], v[181:182], v[183:184], v[185:186]
	v_div_fixup_f64 v[181:182], v[181:182], v[166:167], v[164:165]
	s_delay_alu instid0(VALU_DEP_1) | instskip(NEXT) | instid1(VALU_DEP_1)
	v_fma_f64 v[164:165], v[164:165], v[181:182], v[166:167]
	v_div_scale_f64 v[166:167], null, v[164:165], v[164:165], 1.0
	s_delay_alu instid0(VALU_DEP_1) | instskip(SKIP_2) | instid1(VALU_DEP_1)
	v_rcp_f64_e32 v[183:184], v[166:167]
	s_waitcnt_depctr 0xfff
	v_fma_f64 v[185:186], -v[166:167], v[183:184], 1.0
	v_fma_f64 v[183:184], v[183:184], v[185:186], v[183:184]
	s_delay_alu instid0(VALU_DEP_1) | instskip(NEXT) | instid1(VALU_DEP_1)
	v_fma_f64 v[185:186], -v[166:167], v[183:184], 1.0
	v_fma_f64 v[183:184], v[183:184], v[185:186], v[183:184]
	v_div_scale_f64 v[185:186], vcc_lo, 1.0, v[164:165], 1.0
	s_delay_alu instid0(VALU_DEP_1) | instskip(NEXT) | instid1(VALU_DEP_1)
	v_mul_f64 v[187:188], v[185:186], v[183:184]
	v_fma_f64 v[166:167], -v[166:167], v[187:188], v[185:186]
	s_delay_alu instid0(VALU_DEP_1) | instskip(NEXT) | instid1(VALU_DEP_1)
	v_div_fmas_f64 v[166:167], v[166:167], v[183:184], v[187:188]
	v_div_fixup_f64 v[166:167], v[166:167], v[164:165], 1.0
	s_delay_alu instid0(VALU_DEP_1)
	v_mul_f64 v[164:165], v[181:182], v[166:167]
	v_xor_b32_e32 v167, 0x80000000, v167
.LBB80_133:
	s_and_not1_saveexec_b32 s2, s2
	s_cbranch_execz .LBB80_135
; %bb.134:
	s_delay_alu instid0(VALU_DEP_1) | instskip(SKIP_1) | instid1(VALU_DEP_2)
	v_div_scale_f64 v[181:182], null, v[164:165], v[164:165], v[166:167]
	v_div_scale_f64 v[187:188], vcc_lo, v[166:167], v[164:165], v[166:167]
	v_rcp_f64_e32 v[183:184], v[181:182]
	s_waitcnt_depctr 0xfff
	v_fma_f64 v[185:186], -v[181:182], v[183:184], 1.0
	s_delay_alu instid0(VALU_DEP_1) | instskip(NEXT) | instid1(VALU_DEP_1)
	v_fma_f64 v[183:184], v[183:184], v[185:186], v[183:184]
	v_fma_f64 v[185:186], -v[181:182], v[183:184], 1.0
	s_delay_alu instid0(VALU_DEP_1) | instskip(NEXT) | instid1(VALU_DEP_1)
	v_fma_f64 v[183:184], v[183:184], v[185:186], v[183:184]
	v_mul_f64 v[185:186], v[187:188], v[183:184]
	s_delay_alu instid0(VALU_DEP_1) | instskip(NEXT) | instid1(VALU_DEP_1)
	v_fma_f64 v[181:182], -v[181:182], v[185:186], v[187:188]
	v_div_fmas_f64 v[181:182], v[181:182], v[183:184], v[185:186]
	s_delay_alu instid0(VALU_DEP_1) | instskip(NEXT) | instid1(VALU_DEP_1)
	v_div_fixup_f64 v[181:182], v[181:182], v[164:165], v[166:167]
	v_fma_f64 v[164:165], v[166:167], v[181:182], v[164:165]
	s_delay_alu instid0(VALU_DEP_1) | instskip(NEXT) | instid1(VALU_DEP_1)
	v_div_scale_f64 v[166:167], null, v[164:165], v[164:165], 1.0
	v_rcp_f64_e32 v[183:184], v[166:167]
	s_waitcnt_depctr 0xfff
	v_fma_f64 v[185:186], -v[166:167], v[183:184], 1.0
	s_delay_alu instid0(VALU_DEP_1) | instskip(NEXT) | instid1(VALU_DEP_1)
	v_fma_f64 v[183:184], v[183:184], v[185:186], v[183:184]
	v_fma_f64 v[185:186], -v[166:167], v[183:184], 1.0
	s_delay_alu instid0(VALU_DEP_1) | instskip(SKIP_1) | instid1(VALU_DEP_1)
	v_fma_f64 v[183:184], v[183:184], v[185:186], v[183:184]
	v_div_scale_f64 v[185:186], vcc_lo, 1.0, v[164:165], 1.0
	v_mul_f64 v[187:188], v[185:186], v[183:184]
	s_delay_alu instid0(VALU_DEP_1) | instskip(NEXT) | instid1(VALU_DEP_1)
	v_fma_f64 v[166:167], -v[166:167], v[187:188], v[185:186]
	v_div_fmas_f64 v[166:167], v[166:167], v[183:184], v[187:188]
	s_delay_alu instid0(VALU_DEP_1) | instskip(NEXT) | instid1(VALU_DEP_1)
	v_div_fixup_f64 v[164:165], v[166:167], v[164:165], 1.0
	v_mul_f64 v[166:167], v[181:182], -v[164:165]
.LBB80_135:
	s_or_b32 exec_lo, exec_lo, s2
.LBB80_136:
	s_delay_alu instid0(SALU_CYCLE_1) | instskip(NEXT) | instid1(SALU_CYCLE_1)
	s_or_b32 exec_lo, exec_lo, s3
	s_mov_b32 s2, exec_lo
	v_cmpx_ne_u32_e64 v180, v172
	s_xor_b32 s2, exec_lo, s2
	s_cbranch_execz .LBB80_142
; %bb.137:
	s_mov_b32 s3, exec_lo
	v_cmpx_eq_u32_e32 6, v180
	s_cbranch_execz .LBB80_141
; %bb.138:
	v_cmp_ne_u32_e32 vcc_lo, 6, v172
	s_xor_b32 s6, s4, -1
	s_delay_alu instid0(SALU_CYCLE_1) | instskip(NEXT) | instid1(SALU_CYCLE_1)
	s_and_b32 s7, s6, vcc_lo
	s_and_saveexec_b32 s6, s7
	s_cbranch_execz .LBB80_140
; %bb.139:
	v_ashrrev_i32_e32 v173, 31, v172
	s_delay_alu instid0(VALU_DEP_1) | instskip(NEXT) | instid1(VALU_DEP_1)
	v_lshlrev_b64 v[179:180], 2, v[172:173]
	v_add_co_u32 v179, vcc_lo, v170, v179
	s_delay_alu instid0(VALU_DEP_2)
	v_add_co_ci_u32_e32 v180, vcc_lo, v171, v180, vcc_lo
	s_clause 0x1
	flat_load_b32 v173, v[179:180]
	flat_load_b32 v181, v[170:171] offset:24
	s_waitcnt vmcnt(1) lgkmcnt(1)
	flat_store_b32 v[170:171], v173 offset:24
	s_waitcnt vmcnt(0) lgkmcnt(1)
	flat_store_b32 v[179:180], v181
.LBB80_140:
	s_or_b32 exec_lo, exec_lo, s6
	v_mov_b32_e32 v180, v172
	v_mov_b32_e32 v179, v172
.LBB80_141:
	s_or_b32 exec_lo, exec_lo, s3
.LBB80_142:
	s_and_not1_saveexec_b32 s2, s2
	s_cbranch_execz .LBB80_144
; %bb.143:
	v_mov_b32_e32 v180, 6
	ds_store_2addr_b64 v174, v[132:133], v[134:135] offset0:14 offset1:15
	ds_store_2addr_b64 v174, v[128:129], v[130:131] offset0:16 offset1:17
	;; [unrolled: 1-line block ×34, first 2 shown]
.LBB80_144:
	s_or_b32 exec_lo, exec_lo, s2
	s_delay_alu instid0(SALU_CYCLE_1)
	s_mov_b32 s2, exec_lo
	s_waitcnt lgkmcnt(0)
	s_waitcnt_vscnt null, 0x0
	s_barrier
	buffer_gl0_inv
	v_cmpx_lt_i32_e32 6, v180
	s_cbranch_execz .LBB80_146
; %bb.145:
	v_mul_f64 v[172:173], v[166:167], v[138:139]
	v_mul_f64 v[138:139], v[164:165], v[138:139]
	s_delay_alu instid0(VALU_DEP_2) | instskip(NEXT) | instid1(VALU_DEP_2)
	v_fma_f64 v[172:173], v[164:165], v[136:137], -v[172:173]
	v_fma_f64 v[138:139], v[166:167], v[136:137], v[138:139]
	ds_load_2addr_b64 v[164:167], v174 offset0:14 offset1:15
	s_waitcnt lgkmcnt(0)
	v_mul_f64 v[136:137], v[166:167], v[138:139]
	s_delay_alu instid0(VALU_DEP_1) | instskip(SKIP_1) | instid1(VALU_DEP_2)
	v_fma_f64 v[136:137], v[164:165], v[172:173], -v[136:137]
	v_mul_f64 v[164:165], v[164:165], v[138:139]
	v_add_f64 v[132:133], v[132:133], -v[136:137]
	s_delay_alu instid0(VALU_DEP_2) | instskip(NEXT) | instid1(VALU_DEP_1)
	v_fma_f64 v[164:165], v[166:167], v[172:173], v[164:165]
	v_add_f64 v[134:135], v[134:135], -v[164:165]
	ds_load_2addr_b64 v[164:167], v174 offset0:16 offset1:17
	s_waitcnt lgkmcnt(0)
	v_mul_f64 v[136:137], v[166:167], v[138:139]
	s_delay_alu instid0(VALU_DEP_1) | instskip(SKIP_1) | instid1(VALU_DEP_2)
	v_fma_f64 v[136:137], v[164:165], v[172:173], -v[136:137]
	v_mul_f64 v[164:165], v[164:165], v[138:139]
	v_add_f64 v[128:129], v[128:129], -v[136:137]
	s_delay_alu instid0(VALU_DEP_2) | instskip(NEXT) | instid1(VALU_DEP_1)
	v_fma_f64 v[164:165], v[166:167], v[172:173], v[164:165]
	v_add_f64 v[130:131], v[130:131], -v[164:165]
	;; [unrolled: 10-line block ×33, first 2 shown]
	ds_load_2addr_b64 v[164:167], v174 offset0:80 offset1:81
	s_waitcnt lgkmcnt(0)
	v_mul_f64 v[136:137], v[166:167], v[138:139]
	s_delay_alu instid0(VALU_DEP_1) | instskip(SKIP_1) | instid1(VALU_DEP_2)
	v_fma_f64 v[136:137], v[164:165], v[172:173], -v[136:137]
	v_mul_f64 v[164:165], v[164:165], v[138:139]
	v_add_f64 v[0:1], v[0:1], -v[136:137]
	s_delay_alu instid0(VALU_DEP_2) | instskip(SKIP_1) | instid1(VALU_DEP_2)
	v_fma_f64 v[164:165], v[166:167], v[172:173], v[164:165]
	v_dual_mov_b32 v136, v172 :: v_dual_mov_b32 v137, v173
	v_add_f64 v[2:3], v[2:3], -v[164:165]
.LBB80_146:
	s_or_b32 exec_lo, exec_lo, s2
	v_lshl_add_u32 v164, v180, 4, v174
	s_barrier
	buffer_gl0_inv
	v_mov_b32_e32 v172, 7
	ds_store_2addr_b64 v164, v[132:133], v[134:135] offset1:1
	s_waitcnt lgkmcnt(0)
	s_barrier
	buffer_gl0_inv
	ds_load_2addr_b64 v[164:167], v174 offset0:14 offset1:15
	s_cmp_lt_i32 s5, 9
	s_cbranch_scc1 .LBB80_149
; %bb.147:
	v_add3_u32 v173, v178, 0, 0x80
	v_mov_b32_e32 v172, 7
	s_mov_b32 s6, 8
	s_set_inst_prefetch_distance 0x1
	.p2align	6
.LBB80_148:                             ; =>This Inner Loop Header: Depth=1
	ds_load_2addr_b64 v[181:184], v173 offset1:1
	s_waitcnt lgkmcnt(1)
	v_cmp_gt_f64_e32 vcc_lo, 0, v[164:165]
	v_xor_b32_e32 v185, 0x80000000, v165
	v_cmp_gt_f64_e64 s2, 0, v[166:167]
	v_xor_b32_e32 v187, 0x80000000, v167
	v_add_nc_u32_e32 v173, 16, v173
	s_waitcnt lgkmcnt(0)
	v_cmp_gt_f64_e64 s3, 0, v[181:182]
	v_mov_b32_e32 v189, v181
	v_dual_mov_b32 v191, v183 :: v_dual_cndmask_b32 v186, v165, v185
	v_xor_b32_e32 v185, 0x80000000, v182
	v_cndmask_b32_e64 v188, v167, v187, s2
	v_xor_b32_e32 v187, 0x80000000, v184
	s_delay_alu instid0(VALU_DEP_3) | instskip(SKIP_2) | instid1(VALU_DEP_2)
	v_cndmask_b32_e64 v190, v182, v185, s3
	v_cmp_gt_f64_e64 s3, 0, v[183:184]
	v_cndmask_b32_e32 v185, v164, v164, vcc_lo
	v_cndmask_b32_e64 v192, v184, v187, s3
	v_cndmask_b32_e64 v187, v166, v166, s2
	s_delay_alu instid0(VALU_DEP_2) | instskip(NEXT) | instid1(VALU_DEP_2)
	v_add_f64 v[189:190], v[189:190], v[191:192]
	v_add_f64 v[185:186], v[185:186], v[187:188]
	s_delay_alu instid0(VALU_DEP_1) | instskip(SKIP_4) | instid1(SALU_CYCLE_1)
	v_cmp_lt_f64_e32 vcc_lo, v[185:186], v[189:190]
	v_dual_cndmask_b32 v166, v166, v183 :: v_dual_cndmask_b32 v165, v165, v182
	v_dual_cndmask_b32 v164, v164, v181 :: v_dual_cndmask_b32 v167, v167, v184
	v_cndmask_b32_e64 v172, v172, s6, vcc_lo
	s_add_i32 s6, s6, 1
	s_cmp_lg_u32 s5, s6
	s_cbranch_scc1 .LBB80_148
.LBB80_149:
	s_set_inst_prefetch_distance 0x2
	s_waitcnt lgkmcnt(0)
	v_cmp_eq_f64_e32 vcc_lo, 0, v[164:165]
	v_cmp_eq_f64_e64 s2, 0, v[166:167]
	s_delay_alu instid0(VALU_DEP_1) | instskip(NEXT) | instid1(SALU_CYCLE_1)
	s_and_b32 s2, vcc_lo, s2
	s_and_saveexec_b32 s3, s2
	s_delay_alu instid0(SALU_CYCLE_1)
	s_xor_b32 s2, exec_lo, s3
; %bb.150:
	v_cmp_ne_u32_e32 vcc_lo, 0, v177
	v_cndmask_b32_e32 v177, 8, v177, vcc_lo
; %bb.151:
	s_and_not1_saveexec_b32 s3, s2
	s_cbranch_execz .LBB80_157
; %bb.152:
	v_cmp_gt_f64_e32 vcc_lo, 0, v[164:165]
	v_cmp_gt_f64_e64 s2, 0, v[166:167]
	v_xor_b32_e32 v173, 0x80000000, v165
	v_xor_b32_e32 v181, 0x80000000, v167
	s_delay_alu instid0(VALU_DEP_2) | instskip(NEXT) | instid1(VALU_DEP_2)
	v_cndmask_b32_e32 v182, v165, v173, vcc_lo
	v_cndmask_b32_e64 v184, v167, v181, s2
	v_cndmask_b32_e32 v181, v164, v164, vcc_lo
	v_cndmask_b32_e64 v183, v166, v166, s2
	s_mov_b32 s2, exec_lo
	s_delay_alu instid0(VALU_DEP_1)
	v_cmpx_ngt_f64_e32 v[181:182], v[183:184]
	s_xor_b32 s2, exec_lo, s2
	s_cbranch_execz .LBB80_154
; %bb.153:
	v_div_scale_f64 v[181:182], null, v[166:167], v[166:167], v[164:165]
	v_div_scale_f64 v[187:188], vcc_lo, v[164:165], v[166:167], v[164:165]
	s_delay_alu instid0(VALU_DEP_2) | instskip(SKIP_2) | instid1(VALU_DEP_1)
	v_rcp_f64_e32 v[183:184], v[181:182]
	s_waitcnt_depctr 0xfff
	v_fma_f64 v[185:186], -v[181:182], v[183:184], 1.0
	v_fma_f64 v[183:184], v[183:184], v[185:186], v[183:184]
	s_delay_alu instid0(VALU_DEP_1) | instskip(NEXT) | instid1(VALU_DEP_1)
	v_fma_f64 v[185:186], -v[181:182], v[183:184], 1.0
	v_fma_f64 v[183:184], v[183:184], v[185:186], v[183:184]
	s_delay_alu instid0(VALU_DEP_1) | instskip(NEXT) | instid1(VALU_DEP_1)
	v_mul_f64 v[185:186], v[187:188], v[183:184]
	v_fma_f64 v[181:182], -v[181:182], v[185:186], v[187:188]
	s_delay_alu instid0(VALU_DEP_1) | instskip(NEXT) | instid1(VALU_DEP_1)
	v_div_fmas_f64 v[181:182], v[181:182], v[183:184], v[185:186]
	v_div_fixup_f64 v[181:182], v[181:182], v[166:167], v[164:165]
	s_delay_alu instid0(VALU_DEP_1) | instskip(NEXT) | instid1(VALU_DEP_1)
	v_fma_f64 v[164:165], v[164:165], v[181:182], v[166:167]
	v_div_scale_f64 v[166:167], null, v[164:165], v[164:165], 1.0
	s_delay_alu instid0(VALU_DEP_1) | instskip(SKIP_2) | instid1(VALU_DEP_1)
	v_rcp_f64_e32 v[183:184], v[166:167]
	s_waitcnt_depctr 0xfff
	v_fma_f64 v[185:186], -v[166:167], v[183:184], 1.0
	v_fma_f64 v[183:184], v[183:184], v[185:186], v[183:184]
	s_delay_alu instid0(VALU_DEP_1) | instskip(NEXT) | instid1(VALU_DEP_1)
	v_fma_f64 v[185:186], -v[166:167], v[183:184], 1.0
	v_fma_f64 v[183:184], v[183:184], v[185:186], v[183:184]
	v_div_scale_f64 v[185:186], vcc_lo, 1.0, v[164:165], 1.0
	s_delay_alu instid0(VALU_DEP_1) | instskip(NEXT) | instid1(VALU_DEP_1)
	v_mul_f64 v[187:188], v[185:186], v[183:184]
	v_fma_f64 v[166:167], -v[166:167], v[187:188], v[185:186]
	s_delay_alu instid0(VALU_DEP_1) | instskip(NEXT) | instid1(VALU_DEP_1)
	v_div_fmas_f64 v[166:167], v[166:167], v[183:184], v[187:188]
	v_div_fixup_f64 v[166:167], v[166:167], v[164:165], 1.0
	s_delay_alu instid0(VALU_DEP_1)
	v_mul_f64 v[164:165], v[181:182], v[166:167]
	v_xor_b32_e32 v167, 0x80000000, v167
.LBB80_154:
	s_and_not1_saveexec_b32 s2, s2
	s_cbranch_execz .LBB80_156
; %bb.155:
	s_delay_alu instid0(VALU_DEP_1) | instskip(SKIP_1) | instid1(VALU_DEP_2)
	v_div_scale_f64 v[181:182], null, v[164:165], v[164:165], v[166:167]
	v_div_scale_f64 v[187:188], vcc_lo, v[166:167], v[164:165], v[166:167]
	v_rcp_f64_e32 v[183:184], v[181:182]
	s_waitcnt_depctr 0xfff
	v_fma_f64 v[185:186], -v[181:182], v[183:184], 1.0
	s_delay_alu instid0(VALU_DEP_1) | instskip(NEXT) | instid1(VALU_DEP_1)
	v_fma_f64 v[183:184], v[183:184], v[185:186], v[183:184]
	v_fma_f64 v[185:186], -v[181:182], v[183:184], 1.0
	s_delay_alu instid0(VALU_DEP_1) | instskip(NEXT) | instid1(VALU_DEP_1)
	v_fma_f64 v[183:184], v[183:184], v[185:186], v[183:184]
	v_mul_f64 v[185:186], v[187:188], v[183:184]
	s_delay_alu instid0(VALU_DEP_1) | instskip(NEXT) | instid1(VALU_DEP_1)
	v_fma_f64 v[181:182], -v[181:182], v[185:186], v[187:188]
	v_div_fmas_f64 v[181:182], v[181:182], v[183:184], v[185:186]
	s_delay_alu instid0(VALU_DEP_1) | instskip(NEXT) | instid1(VALU_DEP_1)
	v_div_fixup_f64 v[181:182], v[181:182], v[164:165], v[166:167]
	v_fma_f64 v[164:165], v[166:167], v[181:182], v[164:165]
	s_delay_alu instid0(VALU_DEP_1) | instskip(NEXT) | instid1(VALU_DEP_1)
	v_div_scale_f64 v[166:167], null, v[164:165], v[164:165], 1.0
	v_rcp_f64_e32 v[183:184], v[166:167]
	s_waitcnt_depctr 0xfff
	v_fma_f64 v[185:186], -v[166:167], v[183:184], 1.0
	s_delay_alu instid0(VALU_DEP_1) | instskip(NEXT) | instid1(VALU_DEP_1)
	v_fma_f64 v[183:184], v[183:184], v[185:186], v[183:184]
	v_fma_f64 v[185:186], -v[166:167], v[183:184], 1.0
	s_delay_alu instid0(VALU_DEP_1) | instskip(SKIP_1) | instid1(VALU_DEP_1)
	v_fma_f64 v[183:184], v[183:184], v[185:186], v[183:184]
	v_div_scale_f64 v[185:186], vcc_lo, 1.0, v[164:165], 1.0
	v_mul_f64 v[187:188], v[185:186], v[183:184]
	s_delay_alu instid0(VALU_DEP_1) | instskip(NEXT) | instid1(VALU_DEP_1)
	v_fma_f64 v[166:167], -v[166:167], v[187:188], v[185:186]
	v_div_fmas_f64 v[166:167], v[166:167], v[183:184], v[187:188]
	s_delay_alu instid0(VALU_DEP_1) | instskip(NEXT) | instid1(VALU_DEP_1)
	v_div_fixup_f64 v[164:165], v[166:167], v[164:165], 1.0
	v_mul_f64 v[166:167], v[181:182], -v[164:165]
.LBB80_156:
	s_or_b32 exec_lo, exec_lo, s2
.LBB80_157:
	s_delay_alu instid0(SALU_CYCLE_1) | instskip(NEXT) | instid1(SALU_CYCLE_1)
	s_or_b32 exec_lo, exec_lo, s3
	s_mov_b32 s2, exec_lo
	v_cmpx_ne_u32_e64 v180, v172
	s_xor_b32 s2, exec_lo, s2
	s_cbranch_execz .LBB80_163
; %bb.158:
	s_mov_b32 s3, exec_lo
	v_cmpx_eq_u32_e32 7, v180
	s_cbranch_execz .LBB80_162
; %bb.159:
	v_cmp_ne_u32_e32 vcc_lo, 7, v172
	s_xor_b32 s6, s4, -1
	s_delay_alu instid0(SALU_CYCLE_1) | instskip(NEXT) | instid1(SALU_CYCLE_1)
	s_and_b32 s7, s6, vcc_lo
	s_and_saveexec_b32 s6, s7
	s_cbranch_execz .LBB80_161
; %bb.160:
	v_ashrrev_i32_e32 v173, 31, v172
	s_delay_alu instid0(VALU_DEP_1) | instskip(NEXT) | instid1(VALU_DEP_1)
	v_lshlrev_b64 v[179:180], 2, v[172:173]
	v_add_co_u32 v179, vcc_lo, v170, v179
	s_delay_alu instid0(VALU_DEP_2)
	v_add_co_ci_u32_e32 v180, vcc_lo, v171, v180, vcc_lo
	s_clause 0x1
	flat_load_b32 v173, v[179:180]
	flat_load_b32 v181, v[170:171] offset:28
	s_waitcnt vmcnt(1) lgkmcnt(1)
	flat_store_b32 v[170:171], v173 offset:28
	s_waitcnt vmcnt(0) lgkmcnt(1)
	flat_store_b32 v[179:180], v181
.LBB80_161:
	s_or_b32 exec_lo, exec_lo, s6
	v_mov_b32_e32 v180, v172
	v_mov_b32_e32 v179, v172
.LBB80_162:
	s_or_b32 exec_lo, exec_lo, s3
.LBB80_163:
	s_and_not1_saveexec_b32 s2, s2
	s_cbranch_execz .LBB80_165
; %bb.164:
	v_mov_b32_e32 v180, 7
	ds_store_2addr_b64 v174, v[128:129], v[130:131] offset0:16 offset1:17
	ds_store_2addr_b64 v174, v[124:125], v[126:127] offset0:18 offset1:19
	;; [unrolled: 1-line block ×33, first 2 shown]
.LBB80_165:
	s_or_b32 exec_lo, exec_lo, s2
	s_delay_alu instid0(SALU_CYCLE_1)
	s_mov_b32 s2, exec_lo
	s_waitcnt lgkmcnt(0)
	s_waitcnt_vscnt null, 0x0
	s_barrier
	buffer_gl0_inv
	v_cmpx_lt_i32_e32 7, v180
	s_cbranch_execz .LBB80_167
; %bb.166:
	v_mul_f64 v[172:173], v[166:167], v[134:135]
	v_mul_f64 v[134:135], v[164:165], v[134:135]
	s_delay_alu instid0(VALU_DEP_2) | instskip(NEXT) | instid1(VALU_DEP_2)
	v_fma_f64 v[172:173], v[164:165], v[132:133], -v[172:173]
	v_fma_f64 v[134:135], v[166:167], v[132:133], v[134:135]
	ds_load_2addr_b64 v[164:167], v174 offset0:16 offset1:17
	s_waitcnt lgkmcnt(0)
	v_mul_f64 v[132:133], v[166:167], v[134:135]
	s_delay_alu instid0(VALU_DEP_1) | instskip(SKIP_1) | instid1(VALU_DEP_2)
	v_fma_f64 v[132:133], v[164:165], v[172:173], -v[132:133]
	v_mul_f64 v[164:165], v[164:165], v[134:135]
	v_add_f64 v[128:129], v[128:129], -v[132:133]
	s_delay_alu instid0(VALU_DEP_2) | instskip(NEXT) | instid1(VALU_DEP_1)
	v_fma_f64 v[164:165], v[166:167], v[172:173], v[164:165]
	v_add_f64 v[130:131], v[130:131], -v[164:165]
	ds_load_2addr_b64 v[164:167], v174 offset0:18 offset1:19
	s_waitcnt lgkmcnt(0)
	v_mul_f64 v[132:133], v[166:167], v[134:135]
	s_delay_alu instid0(VALU_DEP_1) | instskip(SKIP_1) | instid1(VALU_DEP_2)
	v_fma_f64 v[132:133], v[164:165], v[172:173], -v[132:133]
	v_mul_f64 v[164:165], v[164:165], v[134:135]
	v_add_f64 v[124:125], v[124:125], -v[132:133]
	s_delay_alu instid0(VALU_DEP_2) | instskip(NEXT) | instid1(VALU_DEP_1)
	v_fma_f64 v[164:165], v[166:167], v[172:173], v[164:165]
	v_add_f64 v[126:127], v[126:127], -v[164:165]
	;; [unrolled: 10-line block ×32, first 2 shown]
	ds_load_2addr_b64 v[164:167], v174 offset0:80 offset1:81
	s_waitcnt lgkmcnt(0)
	v_mul_f64 v[132:133], v[166:167], v[134:135]
	s_delay_alu instid0(VALU_DEP_1) | instskip(SKIP_1) | instid1(VALU_DEP_2)
	v_fma_f64 v[132:133], v[164:165], v[172:173], -v[132:133]
	v_mul_f64 v[164:165], v[164:165], v[134:135]
	v_add_f64 v[0:1], v[0:1], -v[132:133]
	s_delay_alu instid0(VALU_DEP_2) | instskip(SKIP_1) | instid1(VALU_DEP_2)
	v_fma_f64 v[164:165], v[166:167], v[172:173], v[164:165]
	v_dual_mov_b32 v132, v172 :: v_dual_mov_b32 v133, v173
	v_add_f64 v[2:3], v[2:3], -v[164:165]
.LBB80_167:
	s_or_b32 exec_lo, exec_lo, s2
	v_lshl_add_u32 v164, v180, 4, v174
	s_barrier
	buffer_gl0_inv
	v_mov_b32_e32 v172, 8
	ds_store_2addr_b64 v164, v[128:129], v[130:131] offset1:1
	s_waitcnt lgkmcnt(0)
	s_barrier
	buffer_gl0_inv
	ds_load_2addr_b64 v[164:167], v174 offset0:16 offset1:17
	s_cmp_lt_i32 s5, 10
	s_cbranch_scc1 .LBB80_170
; %bb.168:
	v_add3_u32 v173, v178, 0, 0x90
	v_mov_b32_e32 v172, 8
	s_mov_b32 s6, 9
	s_set_inst_prefetch_distance 0x1
	.p2align	6
.LBB80_169:                             ; =>This Inner Loop Header: Depth=1
	ds_load_2addr_b64 v[181:184], v173 offset1:1
	s_waitcnt lgkmcnt(1)
	v_cmp_gt_f64_e32 vcc_lo, 0, v[164:165]
	v_xor_b32_e32 v185, 0x80000000, v165
	v_cmp_gt_f64_e64 s2, 0, v[166:167]
	v_xor_b32_e32 v187, 0x80000000, v167
	v_add_nc_u32_e32 v173, 16, v173
	s_waitcnt lgkmcnt(0)
	v_cmp_gt_f64_e64 s3, 0, v[181:182]
	v_mov_b32_e32 v189, v181
	v_dual_mov_b32 v191, v183 :: v_dual_cndmask_b32 v186, v165, v185
	v_xor_b32_e32 v185, 0x80000000, v182
	v_cndmask_b32_e64 v188, v167, v187, s2
	v_xor_b32_e32 v187, 0x80000000, v184
	s_delay_alu instid0(VALU_DEP_3) | instskip(SKIP_2) | instid1(VALU_DEP_2)
	v_cndmask_b32_e64 v190, v182, v185, s3
	v_cmp_gt_f64_e64 s3, 0, v[183:184]
	v_cndmask_b32_e32 v185, v164, v164, vcc_lo
	v_cndmask_b32_e64 v192, v184, v187, s3
	v_cndmask_b32_e64 v187, v166, v166, s2
	s_delay_alu instid0(VALU_DEP_2) | instskip(NEXT) | instid1(VALU_DEP_2)
	v_add_f64 v[189:190], v[189:190], v[191:192]
	v_add_f64 v[185:186], v[185:186], v[187:188]
	s_delay_alu instid0(VALU_DEP_1) | instskip(SKIP_4) | instid1(SALU_CYCLE_1)
	v_cmp_lt_f64_e32 vcc_lo, v[185:186], v[189:190]
	v_dual_cndmask_b32 v166, v166, v183 :: v_dual_cndmask_b32 v165, v165, v182
	v_dual_cndmask_b32 v164, v164, v181 :: v_dual_cndmask_b32 v167, v167, v184
	v_cndmask_b32_e64 v172, v172, s6, vcc_lo
	s_add_i32 s6, s6, 1
	s_cmp_lg_u32 s5, s6
	s_cbranch_scc1 .LBB80_169
.LBB80_170:
	s_set_inst_prefetch_distance 0x2
	s_waitcnt lgkmcnt(0)
	v_cmp_eq_f64_e32 vcc_lo, 0, v[164:165]
	v_cmp_eq_f64_e64 s2, 0, v[166:167]
	s_delay_alu instid0(VALU_DEP_1) | instskip(NEXT) | instid1(SALU_CYCLE_1)
	s_and_b32 s2, vcc_lo, s2
	s_and_saveexec_b32 s3, s2
	s_delay_alu instid0(SALU_CYCLE_1)
	s_xor_b32 s2, exec_lo, s3
; %bb.171:
	v_cmp_ne_u32_e32 vcc_lo, 0, v177
	v_cndmask_b32_e32 v177, 9, v177, vcc_lo
; %bb.172:
	s_and_not1_saveexec_b32 s3, s2
	s_cbranch_execz .LBB80_178
; %bb.173:
	v_cmp_gt_f64_e32 vcc_lo, 0, v[164:165]
	v_cmp_gt_f64_e64 s2, 0, v[166:167]
	v_xor_b32_e32 v173, 0x80000000, v165
	v_xor_b32_e32 v181, 0x80000000, v167
	s_delay_alu instid0(VALU_DEP_2) | instskip(NEXT) | instid1(VALU_DEP_2)
	v_cndmask_b32_e32 v182, v165, v173, vcc_lo
	v_cndmask_b32_e64 v184, v167, v181, s2
	v_cndmask_b32_e32 v181, v164, v164, vcc_lo
	v_cndmask_b32_e64 v183, v166, v166, s2
	s_mov_b32 s2, exec_lo
	s_delay_alu instid0(VALU_DEP_1)
	v_cmpx_ngt_f64_e32 v[181:182], v[183:184]
	s_xor_b32 s2, exec_lo, s2
	s_cbranch_execz .LBB80_175
; %bb.174:
	v_div_scale_f64 v[181:182], null, v[166:167], v[166:167], v[164:165]
	v_div_scale_f64 v[187:188], vcc_lo, v[164:165], v[166:167], v[164:165]
	s_delay_alu instid0(VALU_DEP_2) | instskip(SKIP_2) | instid1(VALU_DEP_1)
	v_rcp_f64_e32 v[183:184], v[181:182]
	s_waitcnt_depctr 0xfff
	v_fma_f64 v[185:186], -v[181:182], v[183:184], 1.0
	v_fma_f64 v[183:184], v[183:184], v[185:186], v[183:184]
	s_delay_alu instid0(VALU_DEP_1) | instskip(NEXT) | instid1(VALU_DEP_1)
	v_fma_f64 v[185:186], -v[181:182], v[183:184], 1.0
	v_fma_f64 v[183:184], v[183:184], v[185:186], v[183:184]
	s_delay_alu instid0(VALU_DEP_1) | instskip(NEXT) | instid1(VALU_DEP_1)
	v_mul_f64 v[185:186], v[187:188], v[183:184]
	v_fma_f64 v[181:182], -v[181:182], v[185:186], v[187:188]
	s_delay_alu instid0(VALU_DEP_1) | instskip(NEXT) | instid1(VALU_DEP_1)
	v_div_fmas_f64 v[181:182], v[181:182], v[183:184], v[185:186]
	v_div_fixup_f64 v[181:182], v[181:182], v[166:167], v[164:165]
	s_delay_alu instid0(VALU_DEP_1) | instskip(NEXT) | instid1(VALU_DEP_1)
	v_fma_f64 v[164:165], v[164:165], v[181:182], v[166:167]
	v_div_scale_f64 v[166:167], null, v[164:165], v[164:165], 1.0
	s_delay_alu instid0(VALU_DEP_1) | instskip(SKIP_2) | instid1(VALU_DEP_1)
	v_rcp_f64_e32 v[183:184], v[166:167]
	s_waitcnt_depctr 0xfff
	v_fma_f64 v[185:186], -v[166:167], v[183:184], 1.0
	v_fma_f64 v[183:184], v[183:184], v[185:186], v[183:184]
	s_delay_alu instid0(VALU_DEP_1) | instskip(NEXT) | instid1(VALU_DEP_1)
	v_fma_f64 v[185:186], -v[166:167], v[183:184], 1.0
	v_fma_f64 v[183:184], v[183:184], v[185:186], v[183:184]
	v_div_scale_f64 v[185:186], vcc_lo, 1.0, v[164:165], 1.0
	s_delay_alu instid0(VALU_DEP_1) | instskip(NEXT) | instid1(VALU_DEP_1)
	v_mul_f64 v[187:188], v[185:186], v[183:184]
	v_fma_f64 v[166:167], -v[166:167], v[187:188], v[185:186]
	s_delay_alu instid0(VALU_DEP_1) | instskip(NEXT) | instid1(VALU_DEP_1)
	v_div_fmas_f64 v[166:167], v[166:167], v[183:184], v[187:188]
	v_div_fixup_f64 v[166:167], v[166:167], v[164:165], 1.0
	s_delay_alu instid0(VALU_DEP_1)
	v_mul_f64 v[164:165], v[181:182], v[166:167]
	v_xor_b32_e32 v167, 0x80000000, v167
.LBB80_175:
	s_and_not1_saveexec_b32 s2, s2
	s_cbranch_execz .LBB80_177
; %bb.176:
	s_delay_alu instid0(VALU_DEP_1) | instskip(SKIP_1) | instid1(VALU_DEP_2)
	v_div_scale_f64 v[181:182], null, v[164:165], v[164:165], v[166:167]
	v_div_scale_f64 v[187:188], vcc_lo, v[166:167], v[164:165], v[166:167]
	v_rcp_f64_e32 v[183:184], v[181:182]
	s_waitcnt_depctr 0xfff
	v_fma_f64 v[185:186], -v[181:182], v[183:184], 1.0
	s_delay_alu instid0(VALU_DEP_1) | instskip(NEXT) | instid1(VALU_DEP_1)
	v_fma_f64 v[183:184], v[183:184], v[185:186], v[183:184]
	v_fma_f64 v[185:186], -v[181:182], v[183:184], 1.0
	s_delay_alu instid0(VALU_DEP_1) | instskip(NEXT) | instid1(VALU_DEP_1)
	v_fma_f64 v[183:184], v[183:184], v[185:186], v[183:184]
	v_mul_f64 v[185:186], v[187:188], v[183:184]
	s_delay_alu instid0(VALU_DEP_1) | instskip(NEXT) | instid1(VALU_DEP_1)
	v_fma_f64 v[181:182], -v[181:182], v[185:186], v[187:188]
	v_div_fmas_f64 v[181:182], v[181:182], v[183:184], v[185:186]
	s_delay_alu instid0(VALU_DEP_1) | instskip(NEXT) | instid1(VALU_DEP_1)
	v_div_fixup_f64 v[181:182], v[181:182], v[164:165], v[166:167]
	v_fma_f64 v[164:165], v[166:167], v[181:182], v[164:165]
	s_delay_alu instid0(VALU_DEP_1) | instskip(NEXT) | instid1(VALU_DEP_1)
	v_div_scale_f64 v[166:167], null, v[164:165], v[164:165], 1.0
	v_rcp_f64_e32 v[183:184], v[166:167]
	s_waitcnt_depctr 0xfff
	v_fma_f64 v[185:186], -v[166:167], v[183:184], 1.0
	s_delay_alu instid0(VALU_DEP_1) | instskip(NEXT) | instid1(VALU_DEP_1)
	v_fma_f64 v[183:184], v[183:184], v[185:186], v[183:184]
	v_fma_f64 v[185:186], -v[166:167], v[183:184], 1.0
	s_delay_alu instid0(VALU_DEP_1) | instskip(SKIP_1) | instid1(VALU_DEP_1)
	v_fma_f64 v[183:184], v[183:184], v[185:186], v[183:184]
	v_div_scale_f64 v[185:186], vcc_lo, 1.0, v[164:165], 1.0
	v_mul_f64 v[187:188], v[185:186], v[183:184]
	s_delay_alu instid0(VALU_DEP_1) | instskip(NEXT) | instid1(VALU_DEP_1)
	v_fma_f64 v[166:167], -v[166:167], v[187:188], v[185:186]
	v_div_fmas_f64 v[166:167], v[166:167], v[183:184], v[187:188]
	s_delay_alu instid0(VALU_DEP_1) | instskip(NEXT) | instid1(VALU_DEP_1)
	v_div_fixup_f64 v[164:165], v[166:167], v[164:165], 1.0
	v_mul_f64 v[166:167], v[181:182], -v[164:165]
.LBB80_177:
	s_or_b32 exec_lo, exec_lo, s2
.LBB80_178:
	s_delay_alu instid0(SALU_CYCLE_1) | instskip(NEXT) | instid1(SALU_CYCLE_1)
	s_or_b32 exec_lo, exec_lo, s3
	s_mov_b32 s2, exec_lo
	v_cmpx_ne_u32_e64 v180, v172
	s_xor_b32 s2, exec_lo, s2
	s_cbranch_execz .LBB80_184
; %bb.179:
	s_mov_b32 s3, exec_lo
	v_cmpx_eq_u32_e32 8, v180
	s_cbranch_execz .LBB80_183
; %bb.180:
	v_cmp_ne_u32_e32 vcc_lo, 8, v172
	s_xor_b32 s6, s4, -1
	s_delay_alu instid0(SALU_CYCLE_1) | instskip(NEXT) | instid1(SALU_CYCLE_1)
	s_and_b32 s7, s6, vcc_lo
	s_and_saveexec_b32 s6, s7
	s_cbranch_execz .LBB80_182
; %bb.181:
	v_ashrrev_i32_e32 v173, 31, v172
	s_delay_alu instid0(VALU_DEP_1) | instskip(NEXT) | instid1(VALU_DEP_1)
	v_lshlrev_b64 v[179:180], 2, v[172:173]
	v_add_co_u32 v179, vcc_lo, v170, v179
	s_delay_alu instid0(VALU_DEP_2)
	v_add_co_ci_u32_e32 v180, vcc_lo, v171, v180, vcc_lo
	s_clause 0x1
	flat_load_b32 v173, v[179:180]
	flat_load_b32 v181, v[170:171] offset:32
	s_waitcnt vmcnt(1) lgkmcnt(1)
	flat_store_b32 v[170:171], v173 offset:32
	s_waitcnt vmcnt(0) lgkmcnt(1)
	flat_store_b32 v[179:180], v181
.LBB80_182:
	s_or_b32 exec_lo, exec_lo, s6
	v_mov_b32_e32 v180, v172
	v_mov_b32_e32 v179, v172
.LBB80_183:
	s_or_b32 exec_lo, exec_lo, s3
.LBB80_184:
	s_and_not1_saveexec_b32 s2, s2
	s_cbranch_execz .LBB80_186
; %bb.185:
	v_mov_b32_e32 v180, 8
	ds_store_2addr_b64 v174, v[124:125], v[126:127] offset0:18 offset1:19
	ds_store_2addr_b64 v174, v[120:121], v[122:123] offset0:20 offset1:21
	ds_store_2addr_b64 v174, v[116:117], v[118:119] offset0:22 offset1:23
	ds_store_2addr_b64 v174, v[112:113], v[114:115] offset0:24 offset1:25
	ds_store_2addr_b64 v174, v[108:109], v[110:111] offset0:26 offset1:27
	ds_store_2addr_b64 v174, v[104:105], v[106:107] offset0:28 offset1:29
	ds_store_2addr_b64 v174, v[100:101], v[102:103] offset0:30 offset1:31
	ds_store_2addr_b64 v174, v[96:97], v[98:99] offset0:32 offset1:33
	ds_store_2addr_b64 v174, v[92:93], v[94:95] offset0:34 offset1:35
	ds_store_2addr_b64 v174, v[88:89], v[90:91] offset0:36 offset1:37
	ds_store_2addr_b64 v174, v[84:85], v[86:87] offset0:38 offset1:39
	ds_store_2addr_b64 v174, v[80:81], v[82:83] offset0:40 offset1:41
	ds_store_2addr_b64 v174, v[76:77], v[78:79] offset0:42 offset1:43
	ds_store_2addr_b64 v174, v[72:73], v[74:75] offset0:44 offset1:45
	ds_store_2addr_b64 v174, v[68:69], v[70:71] offset0:46 offset1:47
	ds_store_2addr_b64 v174, v[64:65], v[66:67] offset0:48 offset1:49
	ds_store_2addr_b64 v174, v[60:61], v[62:63] offset0:50 offset1:51
	ds_store_2addr_b64 v174, v[56:57], v[58:59] offset0:52 offset1:53
	ds_store_2addr_b64 v174, v[52:53], v[54:55] offset0:54 offset1:55
	ds_store_2addr_b64 v174, v[48:49], v[50:51] offset0:56 offset1:57
	ds_store_2addr_b64 v174, v[44:45], v[46:47] offset0:58 offset1:59
	ds_store_2addr_b64 v174, v[40:41], v[42:43] offset0:60 offset1:61
	ds_store_2addr_b64 v174, v[36:37], v[38:39] offset0:62 offset1:63
	ds_store_2addr_b64 v174, v[32:33], v[34:35] offset0:64 offset1:65
	ds_store_2addr_b64 v174, v[28:29], v[30:31] offset0:66 offset1:67
	ds_store_2addr_b64 v174, v[24:25], v[26:27] offset0:68 offset1:69
	ds_store_2addr_b64 v174, v[20:21], v[22:23] offset0:70 offset1:71
	ds_store_2addr_b64 v174, v[16:17], v[18:19] offset0:72 offset1:73
	ds_store_2addr_b64 v174, v[12:13], v[14:15] offset0:74 offset1:75
	ds_store_2addr_b64 v174, v[8:9], v[10:11] offset0:76 offset1:77
	ds_store_2addr_b64 v174, v[4:5], v[6:7] offset0:78 offset1:79
	ds_store_2addr_b64 v174, v[0:1], v[2:3] offset0:80 offset1:81
.LBB80_186:
	s_or_b32 exec_lo, exec_lo, s2
	s_delay_alu instid0(SALU_CYCLE_1)
	s_mov_b32 s2, exec_lo
	s_waitcnt lgkmcnt(0)
	s_waitcnt_vscnt null, 0x0
	s_barrier
	buffer_gl0_inv
	v_cmpx_lt_i32_e32 8, v180
	s_cbranch_execz .LBB80_188
; %bb.187:
	v_mul_f64 v[172:173], v[166:167], v[130:131]
	v_mul_f64 v[130:131], v[164:165], v[130:131]
	s_delay_alu instid0(VALU_DEP_2) | instskip(NEXT) | instid1(VALU_DEP_2)
	v_fma_f64 v[172:173], v[164:165], v[128:129], -v[172:173]
	v_fma_f64 v[130:131], v[166:167], v[128:129], v[130:131]
	ds_load_2addr_b64 v[164:167], v174 offset0:18 offset1:19
	s_waitcnt lgkmcnt(0)
	v_mul_f64 v[128:129], v[166:167], v[130:131]
	s_delay_alu instid0(VALU_DEP_1) | instskip(SKIP_1) | instid1(VALU_DEP_2)
	v_fma_f64 v[128:129], v[164:165], v[172:173], -v[128:129]
	v_mul_f64 v[164:165], v[164:165], v[130:131]
	v_add_f64 v[124:125], v[124:125], -v[128:129]
	s_delay_alu instid0(VALU_DEP_2) | instskip(NEXT) | instid1(VALU_DEP_1)
	v_fma_f64 v[164:165], v[166:167], v[172:173], v[164:165]
	v_add_f64 v[126:127], v[126:127], -v[164:165]
	ds_load_2addr_b64 v[164:167], v174 offset0:20 offset1:21
	s_waitcnt lgkmcnt(0)
	v_mul_f64 v[128:129], v[166:167], v[130:131]
	s_delay_alu instid0(VALU_DEP_1) | instskip(SKIP_1) | instid1(VALU_DEP_2)
	v_fma_f64 v[128:129], v[164:165], v[172:173], -v[128:129]
	v_mul_f64 v[164:165], v[164:165], v[130:131]
	v_add_f64 v[120:121], v[120:121], -v[128:129]
	s_delay_alu instid0(VALU_DEP_2) | instskip(NEXT) | instid1(VALU_DEP_1)
	v_fma_f64 v[164:165], v[166:167], v[172:173], v[164:165]
	v_add_f64 v[122:123], v[122:123], -v[164:165]
	;; [unrolled: 10-line block ×31, first 2 shown]
	ds_load_2addr_b64 v[164:167], v174 offset0:80 offset1:81
	s_waitcnt lgkmcnt(0)
	v_mul_f64 v[128:129], v[166:167], v[130:131]
	s_delay_alu instid0(VALU_DEP_1) | instskip(SKIP_1) | instid1(VALU_DEP_2)
	v_fma_f64 v[128:129], v[164:165], v[172:173], -v[128:129]
	v_mul_f64 v[164:165], v[164:165], v[130:131]
	v_add_f64 v[0:1], v[0:1], -v[128:129]
	s_delay_alu instid0(VALU_DEP_2) | instskip(SKIP_1) | instid1(VALU_DEP_2)
	v_fma_f64 v[164:165], v[166:167], v[172:173], v[164:165]
	v_dual_mov_b32 v128, v172 :: v_dual_mov_b32 v129, v173
	v_add_f64 v[2:3], v[2:3], -v[164:165]
.LBB80_188:
	s_or_b32 exec_lo, exec_lo, s2
	v_lshl_add_u32 v164, v180, 4, v174
	s_barrier
	buffer_gl0_inv
	v_mov_b32_e32 v172, 9
	ds_store_2addr_b64 v164, v[124:125], v[126:127] offset1:1
	s_waitcnt lgkmcnt(0)
	s_barrier
	buffer_gl0_inv
	ds_load_2addr_b64 v[164:167], v174 offset0:18 offset1:19
	s_cmp_lt_i32 s5, 11
	s_cbranch_scc1 .LBB80_191
; %bb.189:
	v_add3_u32 v173, v178, 0, 0xa0
	v_mov_b32_e32 v172, 9
	s_mov_b32 s6, 10
	s_set_inst_prefetch_distance 0x1
	.p2align	6
.LBB80_190:                             ; =>This Inner Loop Header: Depth=1
	ds_load_2addr_b64 v[181:184], v173 offset1:1
	s_waitcnt lgkmcnt(1)
	v_cmp_gt_f64_e32 vcc_lo, 0, v[164:165]
	v_xor_b32_e32 v185, 0x80000000, v165
	v_cmp_gt_f64_e64 s2, 0, v[166:167]
	v_xor_b32_e32 v187, 0x80000000, v167
	v_add_nc_u32_e32 v173, 16, v173
	s_waitcnt lgkmcnt(0)
	v_cmp_gt_f64_e64 s3, 0, v[181:182]
	v_mov_b32_e32 v189, v181
	v_dual_mov_b32 v191, v183 :: v_dual_cndmask_b32 v186, v165, v185
	v_xor_b32_e32 v185, 0x80000000, v182
	v_cndmask_b32_e64 v188, v167, v187, s2
	v_xor_b32_e32 v187, 0x80000000, v184
	s_delay_alu instid0(VALU_DEP_3) | instskip(SKIP_2) | instid1(VALU_DEP_2)
	v_cndmask_b32_e64 v190, v182, v185, s3
	v_cmp_gt_f64_e64 s3, 0, v[183:184]
	v_cndmask_b32_e32 v185, v164, v164, vcc_lo
	v_cndmask_b32_e64 v192, v184, v187, s3
	v_cndmask_b32_e64 v187, v166, v166, s2
	s_delay_alu instid0(VALU_DEP_2) | instskip(NEXT) | instid1(VALU_DEP_2)
	v_add_f64 v[189:190], v[189:190], v[191:192]
	v_add_f64 v[185:186], v[185:186], v[187:188]
	s_delay_alu instid0(VALU_DEP_1) | instskip(SKIP_4) | instid1(SALU_CYCLE_1)
	v_cmp_lt_f64_e32 vcc_lo, v[185:186], v[189:190]
	v_dual_cndmask_b32 v166, v166, v183 :: v_dual_cndmask_b32 v165, v165, v182
	v_dual_cndmask_b32 v164, v164, v181 :: v_dual_cndmask_b32 v167, v167, v184
	v_cndmask_b32_e64 v172, v172, s6, vcc_lo
	s_add_i32 s6, s6, 1
	s_cmp_lg_u32 s5, s6
	s_cbranch_scc1 .LBB80_190
.LBB80_191:
	s_set_inst_prefetch_distance 0x2
	s_waitcnt lgkmcnt(0)
	v_cmp_eq_f64_e32 vcc_lo, 0, v[164:165]
	v_cmp_eq_f64_e64 s2, 0, v[166:167]
	s_delay_alu instid0(VALU_DEP_1) | instskip(NEXT) | instid1(SALU_CYCLE_1)
	s_and_b32 s2, vcc_lo, s2
	s_and_saveexec_b32 s3, s2
	s_delay_alu instid0(SALU_CYCLE_1)
	s_xor_b32 s2, exec_lo, s3
; %bb.192:
	v_cmp_ne_u32_e32 vcc_lo, 0, v177
	v_cndmask_b32_e32 v177, 10, v177, vcc_lo
; %bb.193:
	s_and_not1_saveexec_b32 s3, s2
	s_cbranch_execz .LBB80_199
; %bb.194:
	v_cmp_gt_f64_e32 vcc_lo, 0, v[164:165]
	v_cmp_gt_f64_e64 s2, 0, v[166:167]
	v_xor_b32_e32 v173, 0x80000000, v165
	v_xor_b32_e32 v181, 0x80000000, v167
	s_delay_alu instid0(VALU_DEP_2) | instskip(NEXT) | instid1(VALU_DEP_2)
	v_cndmask_b32_e32 v182, v165, v173, vcc_lo
	v_cndmask_b32_e64 v184, v167, v181, s2
	v_cndmask_b32_e32 v181, v164, v164, vcc_lo
	v_cndmask_b32_e64 v183, v166, v166, s2
	s_mov_b32 s2, exec_lo
	s_delay_alu instid0(VALU_DEP_1)
	v_cmpx_ngt_f64_e32 v[181:182], v[183:184]
	s_xor_b32 s2, exec_lo, s2
	s_cbranch_execz .LBB80_196
; %bb.195:
	v_div_scale_f64 v[181:182], null, v[166:167], v[166:167], v[164:165]
	v_div_scale_f64 v[187:188], vcc_lo, v[164:165], v[166:167], v[164:165]
	s_delay_alu instid0(VALU_DEP_2) | instskip(SKIP_2) | instid1(VALU_DEP_1)
	v_rcp_f64_e32 v[183:184], v[181:182]
	s_waitcnt_depctr 0xfff
	v_fma_f64 v[185:186], -v[181:182], v[183:184], 1.0
	v_fma_f64 v[183:184], v[183:184], v[185:186], v[183:184]
	s_delay_alu instid0(VALU_DEP_1) | instskip(NEXT) | instid1(VALU_DEP_1)
	v_fma_f64 v[185:186], -v[181:182], v[183:184], 1.0
	v_fma_f64 v[183:184], v[183:184], v[185:186], v[183:184]
	s_delay_alu instid0(VALU_DEP_1) | instskip(NEXT) | instid1(VALU_DEP_1)
	v_mul_f64 v[185:186], v[187:188], v[183:184]
	v_fma_f64 v[181:182], -v[181:182], v[185:186], v[187:188]
	s_delay_alu instid0(VALU_DEP_1) | instskip(NEXT) | instid1(VALU_DEP_1)
	v_div_fmas_f64 v[181:182], v[181:182], v[183:184], v[185:186]
	v_div_fixup_f64 v[181:182], v[181:182], v[166:167], v[164:165]
	s_delay_alu instid0(VALU_DEP_1) | instskip(NEXT) | instid1(VALU_DEP_1)
	v_fma_f64 v[164:165], v[164:165], v[181:182], v[166:167]
	v_div_scale_f64 v[166:167], null, v[164:165], v[164:165], 1.0
	s_delay_alu instid0(VALU_DEP_1) | instskip(SKIP_2) | instid1(VALU_DEP_1)
	v_rcp_f64_e32 v[183:184], v[166:167]
	s_waitcnt_depctr 0xfff
	v_fma_f64 v[185:186], -v[166:167], v[183:184], 1.0
	v_fma_f64 v[183:184], v[183:184], v[185:186], v[183:184]
	s_delay_alu instid0(VALU_DEP_1) | instskip(NEXT) | instid1(VALU_DEP_1)
	v_fma_f64 v[185:186], -v[166:167], v[183:184], 1.0
	v_fma_f64 v[183:184], v[183:184], v[185:186], v[183:184]
	v_div_scale_f64 v[185:186], vcc_lo, 1.0, v[164:165], 1.0
	s_delay_alu instid0(VALU_DEP_1) | instskip(NEXT) | instid1(VALU_DEP_1)
	v_mul_f64 v[187:188], v[185:186], v[183:184]
	v_fma_f64 v[166:167], -v[166:167], v[187:188], v[185:186]
	s_delay_alu instid0(VALU_DEP_1) | instskip(NEXT) | instid1(VALU_DEP_1)
	v_div_fmas_f64 v[166:167], v[166:167], v[183:184], v[187:188]
	v_div_fixup_f64 v[166:167], v[166:167], v[164:165], 1.0
	s_delay_alu instid0(VALU_DEP_1)
	v_mul_f64 v[164:165], v[181:182], v[166:167]
	v_xor_b32_e32 v167, 0x80000000, v167
.LBB80_196:
	s_and_not1_saveexec_b32 s2, s2
	s_cbranch_execz .LBB80_198
; %bb.197:
	s_delay_alu instid0(VALU_DEP_1) | instskip(SKIP_1) | instid1(VALU_DEP_2)
	v_div_scale_f64 v[181:182], null, v[164:165], v[164:165], v[166:167]
	v_div_scale_f64 v[187:188], vcc_lo, v[166:167], v[164:165], v[166:167]
	v_rcp_f64_e32 v[183:184], v[181:182]
	s_waitcnt_depctr 0xfff
	v_fma_f64 v[185:186], -v[181:182], v[183:184], 1.0
	s_delay_alu instid0(VALU_DEP_1) | instskip(NEXT) | instid1(VALU_DEP_1)
	v_fma_f64 v[183:184], v[183:184], v[185:186], v[183:184]
	v_fma_f64 v[185:186], -v[181:182], v[183:184], 1.0
	s_delay_alu instid0(VALU_DEP_1) | instskip(NEXT) | instid1(VALU_DEP_1)
	v_fma_f64 v[183:184], v[183:184], v[185:186], v[183:184]
	v_mul_f64 v[185:186], v[187:188], v[183:184]
	s_delay_alu instid0(VALU_DEP_1) | instskip(NEXT) | instid1(VALU_DEP_1)
	v_fma_f64 v[181:182], -v[181:182], v[185:186], v[187:188]
	v_div_fmas_f64 v[181:182], v[181:182], v[183:184], v[185:186]
	s_delay_alu instid0(VALU_DEP_1) | instskip(NEXT) | instid1(VALU_DEP_1)
	v_div_fixup_f64 v[181:182], v[181:182], v[164:165], v[166:167]
	v_fma_f64 v[164:165], v[166:167], v[181:182], v[164:165]
	s_delay_alu instid0(VALU_DEP_1) | instskip(NEXT) | instid1(VALU_DEP_1)
	v_div_scale_f64 v[166:167], null, v[164:165], v[164:165], 1.0
	v_rcp_f64_e32 v[183:184], v[166:167]
	s_waitcnt_depctr 0xfff
	v_fma_f64 v[185:186], -v[166:167], v[183:184], 1.0
	s_delay_alu instid0(VALU_DEP_1) | instskip(NEXT) | instid1(VALU_DEP_1)
	v_fma_f64 v[183:184], v[183:184], v[185:186], v[183:184]
	v_fma_f64 v[185:186], -v[166:167], v[183:184], 1.0
	s_delay_alu instid0(VALU_DEP_1) | instskip(SKIP_1) | instid1(VALU_DEP_1)
	v_fma_f64 v[183:184], v[183:184], v[185:186], v[183:184]
	v_div_scale_f64 v[185:186], vcc_lo, 1.0, v[164:165], 1.0
	v_mul_f64 v[187:188], v[185:186], v[183:184]
	s_delay_alu instid0(VALU_DEP_1) | instskip(NEXT) | instid1(VALU_DEP_1)
	v_fma_f64 v[166:167], -v[166:167], v[187:188], v[185:186]
	v_div_fmas_f64 v[166:167], v[166:167], v[183:184], v[187:188]
	s_delay_alu instid0(VALU_DEP_1) | instskip(NEXT) | instid1(VALU_DEP_1)
	v_div_fixup_f64 v[164:165], v[166:167], v[164:165], 1.0
	v_mul_f64 v[166:167], v[181:182], -v[164:165]
.LBB80_198:
	s_or_b32 exec_lo, exec_lo, s2
.LBB80_199:
	s_delay_alu instid0(SALU_CYCLE_1) | instskip(NEXT) | instid1(SALU_CYCLE_1)
	s_or_b32 exec_lo, exec_lo, s3
	s_mov_b32 s2, exec_lo
	v_cmpx_ne_u32_e64 v180, v172
	s_xor_b32 s2, exec_lo, s2
	s_cbranch_execz .LBB80_205
; %bb.200:
	s_mov_b32 s3, exec_lo
	v_cmpx_eq_u32_e32 9, v180
	s_cbranch_execz .LBB80_204
; %bb.201:
	v_cmp_ne_u32_e32 vcc_lo, 9, v172
	s_xor_b32 s6, s4, -1
	s_delay_alu instid0(SALU_CYCLE_1) | instskip(NEXT) | instid1(SALU_CYCLE_1)
	s_and_b32 s7, s6, vcc_lo
	s_and_saveexec_b32 s6, s7
	s_cbranch_execz .LBB80_203
; %bb.202:
	v_ashrrev_i32_e32 v173, 31, v172
	s_delay_alu instid0(VALU_DEP_1) | instskip(NEXT) | instid1(VALU_DEP_1)
	v_lshlrev_b64 v[179:180], 2, v[172:173]
	v_add_co_u32 v179, vcc_lo, v170, v179
	s_delay_alu instid0(VALU_DEP_2)
	v_add_co_ci_u32_e32 v180, vcc_lo, v171, v180, vcc_lo
	s_clause 0x1
	flat_load_b32 v173, v[179:180]
	flat_load_b32 v181, v[170:171] offset:36
	s_waitcnt vmcnt(1) lgkmcnt(1)
	flat_store_b32 v[170:171], v173 offset:36
	s_waitcnt vmcnt(0) lgkmcnt(1)
	flat_store_b32 v[179:180], v181
.LBB80_203:
	s_or_b32 exec_lo, exec_lo, s6
	v_mov_b32_e32 v180, v172
	v_mov_b32_e32 v179, v172
.LBB80_204:
	s_or_b32 exec_lo, exec_lo, s3
.LBB80_205:
	s_and_not1_saveexec_b32 s2, s2
	s_cbranch_execz .LBB80_207
; %bb.206:
	v_mov_b32_e32 v180, 9
	ds_store_2addr_b64 v174, v[120:121], v[122:123] offset0:20 offset1:21
	ds_store_2addr_b64 v174, v[116:117], v[118:119] offset0:22 offset1:23
	;; [unrolled: 1-line block ×31, first 2 shown]
.LBB80_207:
	s_or_b32 exec_lo, exec_lo, s2
	s_delay_alu instid0(SALU_CYCLE_1)
	s_mov_b32 s2, exec_lo
	s_waitcnt lgkmcnt(0)
	s_waitcnt_vscnt null, 0x0
	s_barrier
	buffer_gl0_inv
	v_cmpx_lt_i32_e32 9, v180
	s_cbranch_execz .LBB80_209
; %bb.208:
	v_mul_f64 v[172:173], v[166:167], v[126:127]
	v_mul_f64 v[126:127], v[164:165], v[126:127]
	s_delay_alu instid0(VALU_DEP_2) | instskip(NEXT) | instid1(VALU_DEP_2)
	v_fma_f64 v[172:173], v[164:165], v[124:125], -v[172:173]
	v_fma_f64 v[126:127], v[166:167], v[124:125], v[126:127]
	ds_load_2addr_b64 v[164:167], v174 offset0:20 offset1:21
	s_waitcnt lgkmcnt(0)
	v_mul_f64 v[124:125], v[166:167], v[126:127]
	s_delay_alu instid0(VALU_DEP_1) | instskip(SKIP_1) | instid1(VALU_DEP_2)
	v_fma_f64 v[124:125], v[164:165], v[172:173], -v[124:125]
	v_mul_f64 v[164:165], v[164:165], v[126:127]
	v_add_f64 v[120:121], v[120:121], -v[124:125]
	s_delay_alu instid0(VALU_DEP_2) | instskip(NEXT) | instid1(VALU_DEP_1)
	v_fma_f64 v[164:165], v[166:167], v[172:173], v[164:165]
	v_add_f64 v[122:123], v[122:123], -v[164:165]
	ds_load_2addr_b64 v[164:167], v174 offset0:22 offset1:23
	s_waitcnt lgkmcnt(0)
	v_mul_f64 v[124:125], v[166:167], v[126:127]
	s_delay_alu instid0(VALU_DEP_1) | instskip(SKIP_1) | instid1(VALU_DEP_2)
	v_fma_f64 v[124:125], v[164:165], v[172:173], -v[124:125]
	v_mul_f64 v[164:165], v[164:165], v[126:127]
	v_add_f64 v[116:117], v[116:117], -v[124:125]
	s_delay_alu instid0(VALU_DEP_2) | instskip(NEXT) | instid1(VALU_DEP_1)
	v_fma_f64 v[164:165], v[166:167], v[172:173], v[164:165]
	v_add_f64 v[118:119], v[118:119], -v[164:165]
	;; [unrolled: 10-line block ×30, first 2 shown]
	ds_load_2addr_b64 v[164:167], v174 offset0:80 offset1:81
	s_waitcnt lgkmcnt(0)
	v_mul_f64 v[124:125], v[166:167], v[126:127]
	s_delay_alu instid0(VALU_DEP_1) | instskip(SKIP_1) | instid1(VALU_DEP_2)
	v_fma_f64 v[124:125], v[164:165], v[172:173], -v[124:125]
	v_mul_f64 v[164:165], v[164:165], v[126:127]
	v_add_f64 v[0:1], v[0:1], -v[124:125]
	s_delay_alu instid0(VALU_DEP_2) | instskip(SKIP_1) | instid1(VALU_DEP_2)
	v_fma_f64 v[164:165], v[166:167], v[172:173], v[164:165]
	v_dual_mov_b32 v124, v172 :: v_dual_mov_b32 v125, v173
	v_add_f64 v[2:3], v[2:3], -v[164:165]
.LBB80_209:
	s_or_b32 exec_lo, exec_lo, s2
	v_lshl_add_u32 v164, v180, 4, v174
	s_barrier
	buffer_gl0_inv
	v_mov_b32_e32 v172, 10
	ds_store_2addr_b64 v164, v[120:121], v[122:123] offset1:1
	s_waitcnt lgkmcnt(0)
	s_barrier
	buffer_gl0_inv
	ds_load_2addr_b64 v[164:167], v174 offset0:20 offset1:21
	s_cmp_lt_i32 s5, 12
	s_cbranch_scc1 .LBB80_212
; %bb.210:
	v_add3_u32 v173, v178, 0, 0xb0
	v_mov_b32_e32 v172, 10
	s_mov_b32 s6, 11
	s_set_inst_prefetch_distance 0x1
	.p2align	6
.LBB80_211:                             ; =>This Inner Loop Header: Depth=1
	ds_load_2addr_b64 v[181:184], v173 offset1:1
	s_waitcnt lgkmcnt(1)
	v_cmp_gt_f64_e32 vcc_lo, 0, v[164:165]
	v_xor_b32_e32 v185, 0x80000000, v165
	v_cmp_gt_f64_e64 s2, 0, v[166:167]
	v_xor_b32_e32 v187, 0x80000000, v167
	v_add_nc_u32_e32 v173, 16, v173
	s_waitcnt lgkmcnt(0)
	v_cmp_gt_f64_e64 s3, 0, v[181:182]
	v_mov_b32_e32 v189, v181
	v_dual_mov_b32 v191, v183 :: v_dual_cndmask_b32 v186, v165, v185
	v_xor_b32_e32 v185, 0x80000000, v182
	v_cndmask_b32_e64 v188, v167, v187, s2
	v_xor_b32_e32 v187, 0x80000000, v184
	s_delay_alu instid0(VALU_DEP_3) | instskip(SKIP_2) | instid1(VALU_DEP_2)
	v_cndmask_b32_e64 v190, v182, v185, s3
	v_cmp_gt_f64_e64 s3, 0, v[183:184]
	v_cndmask_b32_e32 v185, v164, v164, vcc_lo
	v_cndmask_b32_e64 v192, v184, v187, s3
	v_cndmask_b32_e64 v187, v166, v166, s2
	s_delay_alu instid0(VALU_DEP_2) | instskip(NEXT) | instid1(VALU_DEP_2)
	v_add_f64 v[189:190], v[189:190], v[191:192]
	v_add_f64 v[185:186], v[185:186], v[187:188]
	s_delay_alu instid0(VALU_DEP_1) | instskip(SKIP_4) | instid1(SALU_CYCLE_1)
	v_cmp_lt_f64_e32 vcc_lo, v[185:186], v[189:190]
	v_dual_cndmask_b32 v166, v166, v183 :: v_dual_cndmask_b32 v165, v165, v182
	v_dual_cndmask_b32 v164, v164, v181 :: v_dual_cndmask_b32 v167, v167, v184
	v_cndmask_b32_e64 v172, v172, s6, vcc_lo
	s_add_i32 s6, s6, 1
	s_cmp_lg_u32 s5, s6
	s_cbranch_scc1 .LBB80_211
.LBB80_212:
	s_set_inst_prefetch_distance 0x2
	s_waitcnt lgkmcnt(0)
	v_cmp_eq_f64_e32 vcc_lo, 0, v[164:165]
	v_cmp_eq_f64_e64 s2, 0, v[166:167]
	s_delay_alu instid0(VALU_DEP_1) | instskip(NEXT) | instid1(SALU_CYCLE_1)
	s_and_b32 s2, vcc_lo, s2
	s_and_saveexec_b32 s3, s2
	s_delay_alu instid0(SALU_CYCLE_1)
	s_xor_b32 s2, exec_lo, s3
; %bb.213:
	v_cmp_ne_u32_e32 vcc_lo, 0, v177
	v_cndmask_b32_e32 v177, 11, v177, vcc_lo
; %bb.214:
	s_and_not1_saveexec_b32 s3, s2
	s_cbranch_execz .LBB80_220
; %bb.215:
	v_cmp_gt_f64_e32 vcc_lo, 0, v[164:165]
	v_cmp_gt_f64_e64 s2, 0, v[166:167]
	v_xor_b32_e32 v173, 0x80000000, v165
	v_xor_b32_e32 v181, 0x80000000, v167
	s_delay_alu instid0(VALU_DEP_2) | instskip(NEXT) | instid1(VALU_DEP_2)
	v_cndmask_b32_e32 v182, v165, v173, vcc_lo
	v_cndmask_b32_e64 v184, v167, v181, s2
	v_cndmask_b32_e32 v181, v164, v164, vcc_lo
	v_cndmask_b32_e64 v183, v166, v166, s2
	s_mov_b32 s2, exec_lo
	s_delay_alu instid0(VALU_DEP_1)
	v_cmpx_ngt_f64_e32 v[181:182], v[183:184]
	s_xor_b32 s2, exec_lo, s2
	s_cbranch_execz .LBB80_217
; %bb.216:
	v_div_scale_f64 v[181:182], null, v[166:167], v[166:167], v[164:165]
	v_div_scale_f64 v[187:188], vcc_lo, v[164:165], v[166:167], v[164:165]
	s_delay_alu instid0(VALU_DEP_2) | instskip(SKIP_2) | instid1(VALU_DEP_1)
	v_rcp_f64_e32 v[183:184], v[181:182]
	s_waitcnt_depctr 0xfff
	v_fma_f64 v[185:186], -v[181:182], v[183:184], 1.0
	v_fma_f64 v[183:184], v[183:184], v[185:186], v[183:184]
	s_delay_alu instid0(VALU_DEP_1) | instskip(NEXT) | instid1(VALU_DEP_1)
	v_fma_f64 v[185:186], -v[181:182], v[183:184], 1.0
	v_fma_f64 v[183:184], v[183:184], v[185:186], v[183:184]
	s_delay_alu instid0(VALU_DEP_1) | instskip(NEXT) | instid1(VALU_DEP_1)
	v_mul_f64 v[185:186], v[187:188], v[183:184]
	v_fma_f64 v[181:182], -v[181:182], v[185:186], v[187:188]
	s_delay_alu instid0(VALU_DEP_1) | instskip(NEXT) | instid1(VALU_DEP_1)
	v_div_fmas_f64 v[181:182], v[181:182], v[183:184], v[185:186]
	v_div_fixup_f64 v[181:182], v[181:182], v[166:167], v[164:165]
	s_delay_alu instid0(VALU_DEP_1) | instskip(NEXT) | instid1(VALU_DEP_1)
	v_fma_f64 v[164:165], v[164:165], v[181:182], v[166:167]
	v_div_scale_f64 v[166:167], null, v[164:165], v[164:165], 1.0
	s_delay_alu instid0(VALU_DEP_1) | instskip(SKIP_2) | instid1(VALU_DEP_1)
	v_rcp_f64_e32 v[183:184], v[166:167]
	s_waitcnt_depctr 0xfff
	v_fma_f64 v[185:186], -v[166:167], v[183:184], 1.0
	v_fma_f64 v[183:184], v[183:184], v[185:186], v[183:184]
	s_delay_alu instid0(VALU_DEP_1) | instskip(NEXT) | instid1(VALU_DEP_1)
	v_fma_f64 v[185:186], -v[166:167], v[183:184], 1.0
	v_fma_f64 v[183:184], v[183:184], v[185:186], v[183:184]
	v_div_scale_f64 v[185:186], vcc_lo, 1.0, v[164:165], 1.0
	s_delay_alu instid0(VALU_DEP_1) | instskip(NEXT) | instid1(VALU_DEP_1)
	v_mul_f64 v[187:188], v[185:186], v[183:184]
	v_fma_f64 v[166:167], -v[166:167], v[187:188], v[185:186]
	s_delay_alu instid0(VALU_DEP_1) | instskip(NEXT) | instid1(VALU_DEP_1)
	v_div_fmas_f64 v[166:167], v[166:167], v[183:184], v[187:188]
	v_div_fixup_f64 v[166:167], v[166:167], v[164:165], 1.0
	s_delay_alu instid0(VALU_DEP_1)
	v_mul_f64 v[164:165], v[181:182], v[166:167]
	v_xor_b32_e32 v167, 0x80000000, v167
.LBB80_217:
	s_and_not1_saveexec_b32 s2, s2
	s_cbranch_execz .LBB80_219
; %bb.218:
	s_delay_alu instid0(VALU_DEP_1) | instskip(SKIP_1) | instid1(VALU_DEP_2)
	v_div_scale_f64 v[181:182], null, v[164:165], v[164:165], v[166:167]
	v_div_scale_f64 v[187:188], vcc_lo, v[166:167], v[164:165], v[166:167]
	v_rcp_f64_e32 v[183:184], v[181:182]
	s_waitcnt_depctr 0xfff
	v_fma_f64 v[185:186], -v[181:182], v[183:184], 1.0
	s_delay_alu instid0(VALU_DEP_1) | instskip(NEXT) | instid1(VALU_DEP_1)
	v_fma_f64 v[183:184], v[183:184], v[185:186], v[183:184]
	v_fma_f64 v[185:186], -v[181:182], v[183:184], 1.0
	s_delay_alu instid0(VALU_DEP_1) | instskip(NEXT) | instid1(VALU_DEP_1)
	v_fma_f64 v[183:184], v[183:184], v[185:186], v[183:184]
	v_mul_f64 v[185:186], v[187:188], v[183:184]
	s_delay_alu instid0(VALU_DEP_1) | instskip(NEXT) | instid1(VALU_DEP_1)
	v_fma_f64 v[181:182], -v[181:182], v[185:186], v[187:188]
	v_div_fmas_f64 v[181:182], v[181:182], v[183:184], v[185:186]
	s_delay_alu instid0(VALU_DEP_1) | instskip(NEXT) | instid1(VALU_DEP_1)
	v_div_fixup_f64 v[181:182], v[181:182], v[164:165], v[166:167]
	v_fma_f64 v[164:165], v[166:167], v[181:182], v[164:165]
	s_delay_alu instid0(VALU_DEP_1) | instskip(NEXT) | instid1(VALU_DEP_1)
	v_div_scale_f64 v[166:167], null, v[164:165], v[164:165], 1.0
	v_rcp_f64_e32 v[183:184], v[166:167]
	s_waitcnt_depctr 0xfff
	v_fma_f64 v[185:186], -v[166:167], v[183:184], 1.0
	s_delay_alu instid0(VALU_DEP_1) | instskip(NEXT) | instid1(VALU_DEP_1)
	v_fma_f64 v[183:184], v[183:184], v[185:186], v[183:184]
	v_fma_f64 v[185:186], -v[166:167], v[183:184], 1.0
	s_delay_alu instid0(VALU_DEP_1) | instskip(SKIP_1) | instid1(VALU_DEP_1)
	v_fma_f64 v[183:184], v[183:184], v[185:186], v[183:184]
	v_div_scale_f64 v[185:186], vcc_lo, 1.0, v[164:165], 1.0
	v_mul_f64 v[187:188], v[185:186], v[183:184]
	s_delay_alu instid0(VALU_DEP_1) | instskip(NEXT) | instid1(VALU_DEP_1)
	v_fma_f64 v[166:167], -v[166:167], v[187:188], v[185:186]
	v_div_fmas_f64 v[166:167], v[166:167], v[183:184], v[187:188]
	s_delay_alu instid0(VALU_DEP_1) | instskip(NEXT) | instid1(VALU_DEP_1)
	v_div_fixup_f64 v[164:165], v[166:167], v[164:165], 1.0
	v_mul_f64 v[166:167], v[181:182], -v[164:165]
.LBB80_219:
	s_or_b32 exec_lo, exec_lo, s2
.LBB80_220:
	s_delay_alu instid0(SALU_CYCLE_1) | instskip(NEXT) | instid1(SALU_CYCLE_1)
	s_or_b32 exec_lo, exec_lo, s3
	s_mov_b32 s2, exec_lo
	v_cmpx_ne_u32_e64 v180, v172
	s_xor_b32 s2, exec_lo, s2
	s_cbranch_execz .LBB80_226
; %bb.221:
	s_mov_b32 s3, exec_lo
	v_cmpx_eq_u32_e32 10, v180
	s_cbranch_execz .LBB80_225
; %bb.222:
	v_cmp_ne_u32_e32 vcc_lo, 10, v172
	s_xor_b32 s6, s4, -1
	s_delay_alu instid0(SALU_CYCLE_1) | instskip(NEXT) | instid1(SALU_CYCLE_1)
	s_and_b32 s7, s6, vcc_lo
	s_and_saveexec_b32 s6, s7
	s_cbranch_execz .LBB80_224
; %bb.223:
	v_ashrrev_i32_e32 v173, 31, v172
	s_delay_alu instid0(VALU_DEP_1) | instskip(NEXT) | instid1(VALU_DEP_1)
	v_lshlrev_b64 v[179:180], 2, v[172:173]
	v_add_co_u32 v179, vcc_lo, v170, v179
	s_delay_alu instid0(VALU_DEP_2)
	v_add_co_ci_u32_e32 v180, vcc_lo, v171, v180, vcc_lo
	s_clause 0x1
	flat_load_b32 v173, v[179:180]
	flat_load_b32 v181, v[170:171] offset:40
	s_waitcnt vmcnt(1) lgkmcnt(1)
	flat_store_b32 v[170:171], v173 offset:40
	s_waitcnt vmcnt(0) lgkmcnt(1)
	flat_store_b32 v[179:180], v181
.LBB80_224:
	s_or_b32 exec_lo, exec_lo, s6
	v_mov_b32_e32 v180, v172
	v_mov_b32_e32 v179, v172
.LBB80_225:
	s_or_b32 exec_lo, exec_lo, s3
.LBB80_226:
	s_and_not1_saveexec_b32 s2, s2
	s_cbranch_execz .LBB80_228
; %bb.227:
	v_mov_b32_e32 v180, 10
	ds_store_2addr_b64 v174, v[116:117], v[118:119] offset0:22 offset1:23
	ds_store_2addr_b64 v174, v[112:113], v[114:115] offset0:24 offset1:25
	;; [unrolled: 1-line block ×30, first 2 shown]
.LBB80_228:
	s_or_b32 exec_lo, exec_lo, s2
	s_delay_alu instid0(SALU_CYCLE_1)
	s_mov_b32 s2, exec_lo
	s_waitcnt lgkmcnt(0)
	s_waitcnt_vscnt null, 0x0
	s_barrier
	buffer_gl0_inv
	v_cmpx_lt_i32_e32 10, v180
	s_cbranch_execz .LBB80_230
; %bb.229:
	v_mul_f64 v[172:173], v[166:167], v[122:123]
	v_mul_f64 v[122:123], v[164:165], v[122:123]
	s_delay_alu instid0(VALU_DEP_2) | instskip(NEXT) | instid1(VALU_DEP_2)
	v_fma_f64 v[172:173], v[164:165], v[120:121], -v[172:173]
	v_fma_f64 v[122:123], v[166:167], v[120:121], v[122:123]
	ds_load_2addr_b64 v[164:167], v174 offset0:22 offset1:23
	s_waitcnt lgkmcnt(0)
	v_mul_f64 v[120:121], v[166:167], v[122:123]
	s_delay_alu instid0(VALU_DEP_1) | instskip(SKIP_1) | instid1(VALU_DEP_2)
	v_fma_f64 v[120:121], v[164:165], v[172:173], -v[120:121]
	v_mul_f64 v[164:165], v[164:165], v[122:123]
	v_add_f64 v[116:117], v[116:117], -v[120:121]
	s_delay_alu instid0(VALU_DEP_2) | instskip(NEXT) | instid1(VALU_DEP_1)
	v_fma_f64 v[164:165], v[166:167], v[172:173], v[164:165]
	v_add_f64 v[118:119], v[118:119], -v[164:165]
	ds_load_2addr_b64 v[164:167], v174 offset0:24 offset1:25
	s_waitcnt lgkmcnt(0)
	v_mul_f64 v[120:121], v[166:167], v[122:123]
	s_delay_alu instid0(VALU_DEP_1) | instskip(SKIP_1) | instid1(VALU_DEP_2)
	v_fma_f64 v[120:121], v[164:165], v[172:173], -v[120:121]
	v_mul_f64 v[164:165], v[164:165], v[122:123]
	v_add_f64 v[112:113], v[112:113], -v[120:121]
	s_delay_alu instid0(VALU_DEP_2) | instskip(NEXT) | instid1(VALU_DEP_1)
	v_fma_f64 v[164:165], v[166:167], v[172:173], v[164:165]
	v_add_f64 v[114:115], v[114:115], -v[164:165]
	;; [unrolled: 10-line block ×29, first 2 shown]
	ds_load_2addr_b64 v[164:167], v174 offset0:80 offset1:81
	s_waitcnt lgkmcnt(0)
	v_mul_f64 v[120:121], v[166:167], v[122:123]
	s_delay_alu instid0(VALU_DEP_1) | instskip(SKIP_1) | instid1(VALU_DEP_2)
	v_fma_f64 v[120:121], v[164:165], v[172:173], -v[120:121]
	v_mul_f64 v[164:165], v[164:165], v[122:123]
	v_add_f64 v[0:1], v[0:1], -v[120:121]
	s_delay_alu instid0(VALU_DEP_2) | instskip(SKIP_1) | instid1(VALU_DEP_2)
	v_fma_f64 v[164:165], v[166:167], v[172:173], v[164:165]
	v_dual_mov_b32 v120, v172 :: v_dual_mov_b32 v121, v173
	v_add_f64 v[2:3], v[2:3], -v[164:165]
.LBB80_230:
	s_or_b32 exec_lo, exec_lo, s2
	v_lshl_add_u32 v164, v180, 4, v174
	s_barrier
	buffer_gl0_inv
	v_mov_b32_e32 v172, 11
	ds_store_2addr_b64 v164, v[116:117], v[118:119] offset1:1
	s_waitcnt lgkmcnt(0)
	s_barrier
	buffer_gl0_inv
	ds_load_2addr_b64 v[164:167], v174 offset0:22 offset1:23
	s_cmp_lt_i32 s5, 13
	s_cbranch_scc1 .LBB80_233
; %bb.231:
	v_add3_u32 v173, v178, 0, 0xc0
	v_mov_b32_e32 v172, 11
	s_mov_b32 s6, 12
	s_set_inst_prefetch_distance 0x1
	.p2align	6
.LBB80_232:                             ; =>This Inner Loop Header: Depth=1
	ds_load_2addr_b64 v[181:184], v173 offset1:1
	s_waitcnt lgkmcnt(1)
	v_cmp_gt_f64_e32 vcc_lo, 0, v[164:165]
	v_xor_b32_e32 v185, 0x80000000, v165
	v_cmp_gt_f64_e64 s2, 0, v[166:167]
	v_xor_b32_e32 v187, 0x80000000, v167
	v_add_nc_u32_e32 v173, 16, v173
	s_waitcnt lgkmcnt(0)
	v_cmp_gt_f64_e64 s3, 0, v[181:182]
	v_mov_b32_e32 v189, v181
	v_dual_mov_b32 v191, v183 :: v_dual_cndmask_b32 v186, v165, v185
	v_xor_b32_e32 v185, 0x80000000, v182
	v_cndmask_b32_e64 v188, v167, v187, s2
	v_xor_b32_e32 v187, 0x80000000, v184
	s_delay_alu instid0(VALU_DEP_3) | instskip(SKIP_2) | instid1(VALU_DEP_2)
	v_cndmask_b32_e64 v190, v182, v185, s3
	v_cmp_gt_f64_e64 s3, 0, v[183:184]
	v_cndmask_b32_e32 v185, v164, v164, vcc_lo
	v_cndmask_b32_e64 v192, v184, v187, s3
	v_cndmask_b32_e64 v187, v166, v166, s2
	s_delay_alu instid0(VALU_DEP_2) | instskip(NEXT) | instid1(VALU_DEP_2)
	v_add_f64 v[189:190], v[189:190], v[191:192]
	v_add_f64 v[185:186], v[185:186], v[187:188]
	s_delay_alu instid0(VALU_DEP_1) | instskip(SKIP_4) | instid1(SALU_CYCLE_1)
	v_cmp_lt_f64_e32 vcc_lo, v[185:186], v[189:190]
	v_dual_cndmask_b32 v166, v166, v183 :: v_dual_cndmask_b32 v165, v165, v182
	v_dual_cndmask_b32 v164, v164, v181 :: v_dual_cndmask_b32 v167, v167, v184
	v_cndmask_b32_e64 v172, v172, s6, vcc_lo
	s_add_i32 s6, s6, 1
	s_cmp_lg_u32 s5, s6
	s_cbranch_scc1 .LBB80_232
.LBB80_233:
	s_set_inst_prefetch_distance 0x2
	s_waitcnt lgkmcnt(0)
	v_cmp_eq_f64_e32 vcc_lo, 0, v[164:165]
	v_cmp_eq_f64_e64 s2, 0, v[166:167]
	s_delay_alu instid0(VALU_DEP_1) | instskip(NEXT) | instid1(SALU_CYCLE_1)
	s_and_b32 s2, vcc_lo, s2
	s_and_saveexec_b32 s3, s2
	s_delay_alu instid0(SALU_CYCLE_1)
	s_xor_b32 s2, exec_lo, s3
; %bb.234:
	v_cmp_ne_u32_e32 vcc_lo, 0, v177
	v_cndmask_b32_e32 v177, 12, v177, vcc_lo
; %bb.235:
	s_and_not1_saveexec_b32 s3, s2
	s_cbranch_execz .LBB80_241
; %bb.236:
	v_cmp_gt_f64_e32 vcc_lo, 0, v[164:165]
	v_cmp_gt_f64_e64 s2, 0, v[166:167]
	v_xor_b32_e32 v173, 0x80000000, v165
	v_xor_b32_e32 v181, 0x80000000, v167
	s_delay_alu instid0(VALU_DEP_2) | instskip(NEXT) | instid1(VALU_DEP_2)
	v_cndmask_b32_e32 v182, v165, v173, vcc_lo
	v_cndmask_b32_e64 v184, v167, v181, s2
	v_cndmask_b32_e32 v181, v164, v164, vcc_lo
	v_cndmask_b32_e64 v183, v166, v166, s2
	s_mov_b32 s2, exec_lo
	s_delay_alu instid0(VALU_DEP_1)
	v_cmpx_ngt_f64_e32 v[181:182], v[183:184]
	s_xor_b32 s2, exec_lo, s2
	s_cbranch_execz .LBB80_238
; %bb.237:
	v_div_scale_f64 v[181:182], null, v[166:167], v[166:167], v[164:165]
	v_div_scale_f64 v[187:188], vcc_lo, v[164:165], v[166:167], v[164:165]
	s_delay_alu instid0(VALU_DEP_2) | instskip(SKIP_2) | instid1(VALU_DEP_1)
	v_rcp_f64_e32 v[183:184], v[181:182]
	s_waitcnt_depctr 0xfff
	v_fma_f64 v[185:186], -v[181:182], v[183:184], 1.0
	v_fma_f64 v[183:184], v[183:184], v[185:186], v[183:184]
	s_delay_alu instid0(VALU_DEP_1) | instskip(NEXT) | instid1(VALU_DEP_1)
	v_fma_f64 v[185:186], -v[181:182], v[183:184], 1.0
	v_fma_f64 v[183:184], v[183:184], v[185:186], v[183:184]
	s_delay_alu instid0(VALU_DEP_1) | instskip(NEXT) | instid1(VALU_DEP_1)
	v_mul_f64 v[185:186], v[187:188], v[183:184]
	v_fma_f64 v[181:182], -v[181:182], v[185:186], v[187:188]
	s_delay_alu instid0(VALU_DEP_1) | instskip(NEXT) | instid1(VALU_DEP_1)
	v_div_fmas_f64 v[181:182], v[181:182], v[183:184], v[185:186]
	v_div_fixup_f64 v[181:182], v[181:182], v[166:167], v[164:165]
	s_delay_alu instid0(VALU_DEP_1) | instskip(NEXT) | instid1(VALU_DEP_1)
	v_fma_f64 v[164:165], v[164:165], v[181:182], v[166:167]
	v_div_scale_f64 v[166:167], null, v[164:165], v[164:165], 1.0
	s_delay_alu instid0(VALU_DEP_1) | instskip(SKIP_2) | instid1(VALU_DEP_1)
	v_rcp_f64_e32 v[183:184], v[166:167]
	s_waitcnt_depctr 0xfff
	v_fma_f64 v[185:186], -v[166:167], v[183:184], 1.0
	v_fma_f64 v[183:184], v[183:184], v[185:186], v[183:184]
	s_delay_alu instid0(VALU_DEP_1) | instskip(NEXT) | instid1(VALU_DEP_1)
	v_fma_f64 v[185:186], -v[166:167], v[183:184], 1.0
	v_fma_f64 v[183:184], v[183:184], v[185:186], v[183:184]
	v_div_scale_f64 v[185:186], vcc_lo, 1.0, v[164:165], 1.0
	s_delay_alu instid0(VALU_DEP_1) | instskip(NEXT) | instid1(VALU_DEP_1)
	v_mul_f64 v[187:188], v[185:186], v[183:184]
	v_fma_f64 v[166:167], -v[166:167], v[187:188], v[185:186]
	s_delay_alu instid0(VALU_DEP_1) | instskip(NEXT) | instid1(VALU_DEP_1)
	v_div_fmas_f64 v[166:167], v[166:167], v[183:184], v[187:188]
	v_div_fixup_f64 v[166:167], v[166:167], v[164:165], 1.0
	s_delay_alu instid0(VALU_DEP_1)
	v_mul_f64 v[164:165], v[181:182], v[166:167]
	v_xor_b32_e32 v167, 0x80000000, v167
.LBB80_238:
	s_and_not1_saveexec_b32 s2, s2
	s_cbranch_execz .LBB80_240
; %bb.239:
	s_delay_alu instid0(VALU_DEP_1) | instskip(SKIP_1) | instid1(VALU_DEP_2)
	v_div_scale_f64 v[181:182], null, v[164:165], v[164:165], v[166:167]
	v_div_scale_f64 v[187:188], vcc_lo, v[166:167], v[164:165], v[166:167]
	v_rcp_f64_e32 v[183:184], v[181:182]
	s_waitcnt_depctr 0xfff
	v_fma_f64 v[185:186], -v[181:182], v[183:184], 1.0
	s_delay_alu instid0(VALU_DEP_1) | instskip(NEXT) | instid1(VALU_DEP_1)
	v_fma_f64 v[183:184], v[183:184], v[185:186], v[183:184]
	v_fma_f64 v[185:186], -v[181:182], v[183:184], 1.0
	s_delay_alu instid0(VALU_DEP_1) | instskip(NEXT) | instid1(VALU_DEP_1)
	v_fma_f64 v[183:184], v[183:184], v[185:186], v[183:184]
	v_mul_f64 v[185:186], v[187:188], v[183:184]
	s_delay_alu instid0(VALU_DEP_1) | instskip(NEXT) | instid1(VALU_DEP_1)
	v_fma_f64 v[181:182], -v[181:182], v[185:186], v[187:188]
	v_div_fmas_f64 v[181:182], v[181:182], v[183:184], v[185:186]
	s_delay_alu instid0(VALU_DEP_1) | instskip(NEXT) | instid1(VALU_DEP_1)
	v_div_fixup_f64 v[181:182], v[181:182], v[164:165], v[166:167]
	v_fma_f64 v[164:165], v[166:167], v[181:182], v[164:165]
	s_delay_alu instid0(VALU_DEP_1) | instskip(NEXT) | instid1(VALU_DEP_1)
	v_div_scale_f64 v[166:167], null, v[164:165], v[164:165], 1.0
	v_rcp_f64_e32 v[183:184], v[166:167]
	s_waitcnt_depctr 0xfff
	v_fma_f64 v[185:186], -v[166:167], v[183:184], 1.0
	s_delay_alu instid0(VALU_DEP_1) | instskip(NEXT) | instid1(VALU_DEP_1)
	v_fma_f64 v[183:184], v[183:184], v[185:186], v[183:184]
	v_fma_f64 v[185:186], -v[166:167], v[183:184], 1.0
	s_delay_alu instid0(VALU_DEP_1) | instskip(SKIP_1) | instid1(VALU_DEP_1)
	v_fma_f64 v[183:184], v[183:184], v[185:186], v[183:184]
	v_div_scale_f64 v[185:186], vcc_lo, 1.0, v[164:165], 1.0
	v_mul_f64 v[187:188], v[185:186], v[183:184]
	s_delay_alu instid0(VALU_DEP_1) | instskip(NEXT) | instid1(VALU_DEP_1)
	v_fma_f64 v[166:167], -v[166:167], v[187:188], v[185:186]
	v_div_fmas_f64 v[166:167], v[166:167], v[183:184], v[187:188]
	s_delay_alu instid0(VALU_DEP_1) | instskip(NEXT) | instid1(VALU_DEP_1)
	v_div_fixup_f64 v[164:165], v[166:167], v[164:165], 1.0
	v_mul_f64 v[166:167], v[181:182], -v[164:165]
.LBB80_240:
	s_or_b32 exec_lo, exec_lo, s2
.LBB80_241:
	s_delay_alu instid0(SALU_CYCLE_1) | instskip(NEXT) | instid1(SALU_CYCLE_1)
	s_or_b32 exec_lo, exec_lo, s3
	s_mov_b32 s2, exec_lo
	v_cmpx_ne_u32_e64 v180, v172
	s_xor_b32 s2, exec_lo, s2
	s_cbranch_execz .LBB80_247
; %bb.242:
	s_mov_b32 s3, exec_lo
	v_cmpx_eq_u32_e32 11, v180
	s_cbranch_execz .LBB80_246
; %bb.243:
	v_cmp_ne_u32_e32 vcc_lo, 11, v172
	s_xor_b32 s6, s4, -1
	s_delay_alu instid0(SALU_CYCLE_1) | instskip(NEXT) | instid1(SALU_CYCLE_1)
	s_and_b32 s7, s6, vcc_lo
	s_and_saveexec_b32 s6, s7
	s_cbranch_execz .LBB80_245
; %bb.244:
	v_ashrrev_i32_e32 v173, 31, v172
	s_delay_alu instid0(VALU_DEP_1) | instskip(NEXT) | instid1(VALU_DEP_1)
	v_lshlrev_b64 v[179:180], 2, v[172:173]
	v_add_co_u32 v179, vcc_lo, v170, v179
	s_delay_alu instid0(VALU_DEP_2)
	v_add_co_ci_u32_e32 v180, vcc_lo, v171, v180, vcc_lo
	s_clause 0x1
	flat_load_b32 v173, v[179:180]
	flat_load_b32 v181, v[170:171] offset:44
	s_waitcnt vmcnt(1) lgkmcnt(1)
	flat_store_b32 v[170:171], v173 offset:44
	s_waitcnt vmcnt(0) lgkmcnt(1)
	flat_store_b32 v[179:180], v181
.LBB80_245:
	s_or_b32 exec_lo, exec_lo, s6
	v_mov_b32_e32 v180, v172
	v_mov_b32_e32 v179, v172
.LBB80_246:
	s_or_b32 exec_lo, exec_lo, s3
.LBB80_247:
	s_and_not1_saveexec_b32 s2, s2
	s_cbranch_execz .LBB80_249
; %bb.248:
	v_mov_b32_e32 v180, 11
	ds_store_2addr_b64 v174, v[112:113], v[114:115] offset0:24 offset1:25
	ds_store_2addr_b64 v174, v[108:109], v[110:111] offset0:26 offset1:27
	;; [unrolled: 1-line block ×29, first 2 shown]
.LBB80_249:
	s_or_b32 exec_lo, exec_lo, s2
	s_delay_alu instid0(SALU_CYCLE_1)
	s_mov_b32 s2, exec_lo
	s_waitcnt lgkmcnt(0)
	s_waitcnt_vscnt null, 0x0
	s_barrier
	buffer_gl0_inv
	v_cmpx_lt_i32_e32 11, v180
	s_cbranch_execz .LBB80_251
; %bb.250:
	v_mul_f64 v[172:173], v[166:167], v[118:119]
	v_mul_f64 v[118:119], v[164:165], v[118:119]
	s_delay_alu instid0(VALU_DEP_2) | instskip(NEXT) | instid1(VALU_DEP_2)
	v_fma_f64 v[172:173], v[164:165], v[116:117], -v[172:173]
	v_fma_f64 v[118:119], v[166:167], v[116:117], v[118:119]
	ds_load_2addr_b64 v[164:167], v174 offset0:24 offset1:25
	s_waitcnt lgkmcnt(0)
	v_mul_f64 v[116:117], v[166:167], v[118:119]
	s_delay_alu instid0(VALU_DEP_1) | instskip(SKIP_1) | instid1(VALU_DEP_2)
	v_fma_f64 v[116:117], v[164:165], v[172:173], -v[116:117]
	v_mul_f64 v[164:165], v[164:165], v[118:119]
	v_add_f64 v[112:113], v[112:113], -v[116:117]
	s_delay_alu instid0(VALU_DEP_2) | instskip(NEXT) | instid1(VALU_DEP_1)
	v_fma_f64 v[164:165], v[166:167], v[172:173], v[164:165]
	v_add_f64 v[114:115], v[114:115], -v[164:165]
	ds_load_2addr_b64 v[164:167], v174 offset0:26 offset1:27
	s_waitcnt lgkmcnt(0)
	v_mul_f64 v[116:117], v[166:167], v[118:119]
	s_delay_alu instid0(VALU_DEP_1) | instskip(SKIP_1) | instid1(VALU_DEP_2)
	v_fma_f64 v[116:117], v[164:165], v[172:173], -v[116:117]
	v_mul_f64 v[164:165], v[164:165], v[118:119]
	v_add_f64 v[108:109], v[108:109], -v[116:117]
	s_delay_alu instid0(VALU_DEP_2) | instskip(NEXT) | instid1(VALU_DEP_1)
	v_fma_f64 v[164:165], v[166:167], v[172:173], v[164:165]
	v_add_f64 v[110:111], v[110:111], -v[164:165]
	;; [unrolled: 10-line block ×28, first 2 shown]
	ds_load_2addr_b64 v[164:167], v174 offset0:80 offset1:81
	s_waitcnt lgkmcnt(0)
	v_mul_f64 v[116:117], v[166:167], v[118:119]
	s_delay_alu instid0(VALU_DEP_1) | instskip(SKIP_1) | instid1(VALU_DEP_2)
	v_fma_f64 v[116:117], v[164:165], v[172:173], -v[116:117]
	v_mul_f64 v[164:165], v[164:165], v[118:119]
	v_add_f64 v[0:1], v[0:1], -v[116:117]
	s_delay_alu instid0(VALU_DEP_2) | instskip(SKIP_1) | instid1(VALU_DEP_2)
	v_fma_f64 v[164:165], v[166:167], v[172:173], v[164:165]
	v_dual_mov_b32 v116, v172 :: v_dual_mov_b32 v117, v173
	v_add_f64 v[2:3], v[2:3], -v[164:165]
.LBB80_251:
	s_or_b32 exec_lo, exec_lo, s2
	v_lshl_add_u32 v164, v180, 4, v174
	s_barrier
	buffer_gl0_inv
	v_mov_b32_e32 v172, 12
	ds_store_2addr_b64 v164, v[112:113], v[114:115] offset1:1
	s_waitcnt lgkmcnt(0)
	s_barrier
	buffer_gl0_inv
	ds_load_2addr_b64 v[164:167], v174 offset0:24 offset1:25
	s_cmp_lt_i32 s5, 14
	s_cbranch_scc1 .LBB80_254
; %bb.252:
	v_add3_u32 v173, v178, 0, 0xd0
	v_mov_b32_e32 v172, 12
	s_mov_b32 s6, 13
	s_set_inst_prefetch_distance 0x1
	.p2align	6
.LBB80_253:                             ; =>This Inner Loop Header: Depth=1
	ds_load_2addr_b64 v[181:184], v173 offset1:1
	s_waitcnt lgkmcnt(1)
	v_cmp_gt_f64_e32 vcc_lo, 0, v[164:165]
	v_xor_b32_e32 v185, 0x80000000, v165
	v_cmp_gt_f64_e64 s2, 0, v[166:167]
	v_xor_b32_e32 v187, 0x80000000, v167
	v_add_nc_u32_e32 v173, 16, v173
	s_waitcnt lgkmcnt(0)
	v_cmp_gt_f64_e64 s3, 0, v[181:182]
	v_mov_b32_e32 v189, v181
	v_dual_mov_b32 v191, v183 :: v_dual_cndmask_b32 v186, v165, v185
	v_xor_b32_e32 v185, 0x80000000, v182
	v_cndmask_b32_e64 v188, v167, v187, s2
	v_xor_b32_e32 v187, 0x80000000, v184
	s_delay_alu instid0(VALU_DEP_3) | instskip(SKIP_2) | instid1(VALU_DEP_2)
	v_cndmask_b32_e64 v190, v182, v185, s3
	v_cmp_gt_f64_e64 s3, 0, v[183:184]
	v_cndmask_b32_e32 v185, v164, v164, vcc_lo
	v_cndmask_b32_e64 v192, v184, v187, s3
	v_cndmask_b32_e64 v187, v166, v166, s2
	s_delay_alu instid0(VALU_DEP_2) | instskip(NEXT) | instid1(VALU_DEP_2)
	v_add_f64 v[189:190], v[189:190], v[191:192]
	v_add_f64 v[185:186], v[185:186], v[187:188]
	s_delay_alu instid0(VALU_DEP_1) | instskip(SKIP_4) | instid1(SALU_CYCLE_1)
	v_cmp_lt_f64_e32 vcc_lo, v[185:186], v[189:190]
	v_dual_cndmask_b32 v166, v166, v183 :: v_dual_cndmask_b32 v165, v165, v182
	v_dual_cndmask_b32 v164, v164, v181 :: v_dual_cndmask_b32 v167, v167, v184
	v_cndmask_b32_e64 v172, v172, s6, vcc_lo
	s_add_i32 s6, s6, 1
	s_cmp_lg_u32 s5, s6
	s_cbranch_scc1 .LBB80_253
.LBB80_254:
	s_set_inst_prefetch_distance 0x2
	s_waitcnt lgkmcnt(0)
	v_cmp_eq_f64_e32 vcc_lo, 0, v[164:165]
	v_cmp_eq_f64_e64 s2, 0, v[166:167]
	s_delay_alu instid0(VALU_DEP_1) | instskip(NEXT) | instid1(SALU_CYCLE_1)
	s_and_b32 s2, vcc_lo, s2
	s_and_saveexec_b32 s3, s2
	s_delay_alu instid0(SALU_CYCLE_1)
	s_xor_b32 s2, exec_lo, s3
; %bb.255:
	v_cmp_ne_u32_e32 vcc_lo, 0, v177
	v_cndmask_b32_e32 v177, 13, v177, vcc_lo
; %bb.256:
	s_and_not1_saveexec_b32 s3, s2
	s_cbranch_execz .LBB80_262
; %bb.257:
	v_cmp_gt_f64_e32 vcc_lo, 0, v[164:165]
	v_cmp_gt_f64_e64 s2, 0, v[166:167]
	v_xor_b32_e32 v173, 0x80000000, v165
	v_xor_b32_e32 v181, 0x80000000, v167
	s_delay_alu instid0(VALU_DEP_2) | instskip(NEXT) | instid1(VALU_DEP_2)
	v_cndmask_b32_e32 v182, v165, v173, vcc_lo
	v_cndmask_b32_e64 v184, v167, v181, s2
	v_cndmask_b32_e32 v181, v164, v164, vcc_lo
	v_cndmask_b32_e64 v183, v166, v166, s2
	s_mov_b32 s2, exec_lo
	s_delay_alu instid0(VALU_DEP_1)
	v_cmpx_ngt_f64_e32 v[181:182], v[183:184]
	s_xor_b32 s2, exec_lo, s2
	s_cbranch_execz .LBB80_259
; %bb.258:
	v_div_scale_f64 v[181:182], null, v[166:167], v[166:167], v[164:165]
	v_div_scale_f64 v[187:188], vcc_lo, v[164:165], v[166:167], v[164:165]
	s_delay_alu instid0(VALU_DEP_2) | instskip(SKIP_2) | instid1(VALU_DEP_1)
	v_rcp_f64_e32 v[183:184], v[181:182]
	s_waitcnt_depctr 0xfff
	v_fma_f64 v[185:186], -v[181:182], v[183:184], 1.0
	v_fma_f64 v[183:184], v[183:184], v[185:186], v[183:184]
	s_delay_alu instid0(VALU_DEP_1) | instskip(NEXT) | instid1(VALU_DEP_1)
	v_fma_f64 v[185:186], -v[181:182], v[183:184], 1.0
	v_fma_f64 v[183:184], v[183:184], v[185:186], v[183:184]
	s_delay_alu instid0(VALU_DEP_1) | instskip(NEXT) | instid1(VALU_DEP_1)
	v_mul_f64 v[185:186], v[187:188], v[183:184]
	v_fma_f64 v[181:182], -v[181:182], v[185:186], v[187:188]
	s_delay_alu instid0(VALU_DEP_1) | instskip(NEXT) | instid1(VALU_DEP_1)
	v_div_fmas_f64 v[181:182], v[181:182], v[183:184], v[185:186]
	v_div_fixup_f64 v[181:182], v[181:182], v[166:167], v[164:165]
	s_delay_alu instid0(VALU_DEP_1) | instskip(NEXT) | instid1(VALU_DEP_1)
	v_fma_f64 v[164:165], v[164:165], v[181:182], v[166:167]
	v_div_scale_f64 v[166:167], null, v[164:165], v[164:165], 1.0
	s_delay_alu instid0(VALU_DEP_1) | instskip(SKIP_2) | instid1(VALU_DEP_1)
	v_rcp_f64_e32 v[183:184], v[166:167]
	s_waitcnt_depctr 0xfff
	v_fma_f64 v[185:186], -v[166:167], v[183:184], 1.0
	v_fma_f64 v[183:184], v[183:184], v[185:186], v[183:184]
	s_delay_alu instid0(VALU_DEP_1) | instskip(NEXT) | instid1(VALU_DEP_1)
	v_fma_f64 v[185:186], -v[166:167], v[183:184], 1.0
	v_fma_f64 v[183:184], v[183:184], v[185:186], v[183:184]
	v_div_scale_f64 v[185:186], vcc_lo, 1.0, v[164:165], 1.0
	s_delay_alu instid0(VALU_DEP_1) | instskip(NEXT) | instid1(VALU_DEP_1)
	v_mul_f64 v[187:188], v[185:186], v[183:184]
	v_fma_f64 v[166:167], -v[166:167], v[187:188], v[185:186]
	s_delay_alu instid0(VALU_DEP_1) | instskip(NEXT) | instid1(VALU_DEP_1)
	v_div_fmas_f64 v[166:167], v[166:167], v[183:184], v[187:188]
	v_div_fixup_f64 v[166:167], v[166:167], v[164:165], 1.0
	s_delay_alu instid0(VALU_DEP_1)
	v_mul_f64 v[164:165], v[181:182], v[166:167]
	v_xor_b32_e32 v167, 0x80000000, v167
.LBB80_259:
	s_and_not1_saveexec_b32 s2, s2
	s_cbranch_execz .LBB80_261
; %bb.260:
	s_delay_alu instid0(VALU_DEP_1) | instskip(SKIP_1) | instid1(VALU_DEP_2)
	v_div_scale_f64 v[181:182], null, v[164:165], v[164:165], v[166:167]
	v_div_scale_f64 v[187:188], vcc_lo, v[166:167], v[164:165], v[166:167]
	v_rcp_f64_e32 v[183:184], v[181:182]
	s_waitcnt_depctr 0xfff
	v_fma_f64 v[185:186], -v[181:182], v[183:184], 1.0
	s_delay_alu instid0(VALU_DEP_1) | instskip(NEXT) | instid1(VALU_DEP_1)
	v_fma_f64 v[183:184], v[183:184], v[185:186], v[183:184]
	v_fma_f64 v[185:186], -v[181:182], v[183:184], 1.0
	s_delay_alu instid0(VALU_DEP_1) | instskip(NEXT) | instid1(VALU_DEP_1)
	v_fma_f64 v[183:184], v[183:184], v[185:186], v[183:184]
	v_mul_f64 v[185:186], v[187:188], v[183:184]
	s_delay_alu instid0(VALU_DEP_1) | instskip(NEXT) | instid1(VALU_DEP_1)
	v_fma_f64 v[181:182], -v[181:182], v[185:186], v[187:188]
	v_div_fmas_f64 v[181:182], v[181:182], v[183:184], v[185:186]
	s_delay_alu instid0(VALU_DEP_1) | instskip(NEXT) | instid1(VALU_DEP_1)
	v_div_fixup_f64 v[181:182], v[181:182], v[164:165], v[166:167]
	v_fma_f64 v[164:165], v[166:167], v[181:182], v[164:165]
	s_delay_alu instid0(VALU_DEP_1) | instskip(NEXT) | instid1(VALU_DEP_1)
	v_div_scale_f64 v[166:167], null, v[164:165], v[164:165], 1.0
	v_rcp_f64_e32 v[183:184], v[166:167]
	s_waitcnt_depctr 0xfff
	v_fma_f64 v[185:186], -v[166:167], v[183:184], 1.0
	s_delay_alu instid0(VALU_DEP_1) | instskip(NEXT) | instid1(VALU_DEP_1)
	v_fma_f64 v[183:184], v[183:184], v[185:186], v[183:184]
	v_fma_f64 v[185:186], -v[166:167], v[183:184], 1.0
	s_delay_alu instid0(VALU_DEP_1) | instskip(SKIP_1) | instid1(VALU_DEP_1)
	v_fma_f64 v[183:184], v[183:184], v[185:186], v[183:184]
	v_div_scale_f64 v[185:186], vcc_lo, 1.0, v[164:165], 1.0
	v_mul_f64 v[187:188], v[185:186], v[183:184]
	s_delay_alu instid0(VALU_DEP_1) | instskip(NEXT) | instid1(VALU_DEP_1)
	v_fma_f64 v[166:167], -v[166:167], v[187:188], v[185:186]
	v_div_fmas_f64 v[166:167], v[166:167], v[183:184], v[187:188]
	s_delay_alu instid0(VALU_DEP_1) | instskip(NEXT) | instid1(VALU_DEP_1)
	v_div_fixup_f64 v[164:165], v[166:167], v[164:165], 1.0
	v_mul_f64 v[166:167], v[181:182], -v[164:165]
.LBB80_261:
	s_or_b32 exec_lo, exec_lo, s2
.LBB80_262:
	s_delay_alu instid0(SALU_CYCLE_1) | instskip(NEXT) | instid1(SALU_CYCLE_1)
	s_or_b32 exec_lo, exec_lo, s3
	s_mov_b32 s2, exec_lo
	v_cmpx_ne_u32_e64 v180, v172
	s_xor_b32 s2, exec_lo, s2
	s_cbranch_execz .LBB80_268
; %bb.263:
	s_mov_b32 s3, exec_lo
	v_cmpx_eq_u32_e32 12, v180
	s_cbranch_execz .LBB80_267
; %bb.264:
	v_cmp_ne_u32_e32 vcc_lo, 12, v172
	s_xor_b32 s6, s4, -1
	s_delay_alu instid0(SALU_CYCLE_1) | instskip(NEXT) | instid1(SALU_CYCLE_1)
	s_and_b32 s7, s6, vcc_lo
	s_and_saveexec_b32 s6, s7
	s_cbranch_execz .LBB80_266
; %bb.265:
	v_ashrrev_i32_e32 v173, 31, v172
	s_delay_alu instid0(VALU_DEP_1) | instskip(NEXT) | instid1(VALU_DEP_1)
	v_lshlrev_b64 v[179:180], 2, v[172:173]
	v_add_co_u32 v179, vcc_lo, v170, v179
	s_delay_alu instid0(VALU_DEP_2)
	v_add_co_ci_u32_e32 v180, vcc_lo, v171, v180, vcc_lo
	s_clause 0x1
	flat_load_b32 v173, v[179:180]
	flat_load_b32 v181, v[170:171] offset:48
	s_waitcnt vmcnt(1) lgkmcnt(1)
	flat_store_b32 v[170:171], v173 offset:48
	s_waitcnt vmcnt(0) lgkmcnt(1)
	flat_store_b32 v[179:180], v181
.LBB80_266:
	s_or_b32 exec_lo, exec_lo, s6
	v_mov_b32_e32 v180, v172
	v_mov_b32_e32 v179, v172
.LBB80_267:
	s_or_b32 exec_lo, exec_lo, s3
.LBB80_268:
	s_and_not1_saveexec_b32 s2, s2
	s_cbranch_execz .LBB80_270
; %bb.269:
	v_mov_b32_e32 v180, 12
	ds_store_2addr_b64 v174, v[108:109], v[110:111] offset0:26 offset1:27
	ds_store_2addr_b64 v174, v[104:105], v[106:107] offset0:28 offset1:29
	;; [unrolled: 1-line block ×28, first 2 shown]
.LBB80_270:
	s_or_b32 exec_lo, exec_lo, s2
	s_delay_alu instid0(SALU_CYCLE_1)
	s_mov_b32 s2, exec_lo
	s_waitcnt lgkmcnt(0)
	s_waitcnt_vscnt null, 0x0
	s_barrier
	buffer_gl0_inv
	v_cmpx_lt_i32_e32 12, v180
	s_cbranch_execz .LBB80_272
; %bb.271:
	v_mul_f64 v[172:173], v[166:167], v[114:115]
	v_mul_f64 v[114:115], v[164:165], v[114:115]
	s_delay_alu instid0(VALU_DEP_2) | instskip(NEXT) | instid1(VALU_DEP_2)
	v_fma_f64 v[172:173], v[164:165], v[112:113], -v[172:173]
	v_fma_f64 v[114:115], v[166:167], v[112:113], v[114:115]
	ds_load_2addr_b64 v[164:167], v174 offset0:26 offset1:27
	s_waitcnt lgkmcnt(0)
	v_mul_f64 v[112:113], v[166:167], v[114:115]
	s_delay_alu instid0(VALU_DEP_1) | instskip(SKIP_1) | instid1(VALU_DEP_2)
	v_fma_f64 v[112:113], v[164:165], v[172:173], -v[112:113]
	v_mul_f64 v[164:165], v[164:165], v[114:115]
	v_add_f64 v[108:109], v[108:109], -v[112:113]
	s_delay_alu instid0(VALU_DEP_2) | instskip(NEXT) | instid1(VALU_DEP_1)
	v_fma_f64 v[164:165], v[166:167], v[172:173], v[164:165]
	v_add_f64 v[110:111], v[110:111], -v[164:165]
	ds_load_2addr_b64 v[164:167], v174 offset0:28 offset1:29
	s_waitcnt lgkmcnt(0)
	v_mul_f64 v[112:113], v[166:167], v[114:115]
	s_delay_alu instid0(VALU_DEP_1) | instskip(SKIP_1) | instid1(VALU_DEP_2)
	v_fma_f64 v[112:113], v[164:165], v[172:173], -v[112:113]
	v_mul_f64 v[164:165], v[164:165], v[114:115]
	v_add_f64 v[104:105], v[104:105], -v[112:113]
	s_delay_alu instid0(VALU_DEP_2) | instskip(NEXT) | instid1(VALU_DEP_1)
	v_fma_f64 v[164:165], v[166:167], v[172:173], v[164:165]
	v_add_f64 v[106:107], v[106:107], -v[164:165]
	;; [unrolled: 10-line block ×27, first 2 shown]
	ds_load_2addr_b64 v[164:167], v174 offset0:80 offset1:81
	s_waitcnt lgkmcnt(0)
	v_mul_f64 v[112:113], v[166:167], v[114:115]
	s_delay_alu instid0(VALU_DEP_1) | instskip(SKIP_1) | instid1(VALU_DEP_2)
	v_fma_f64 v[112:113], v[164:165], v[172:173], -v[112:113]
	v_mul_f64 v[164:165], v[164:165], v[114:115]
	v_add_f64 v[0:1], v[0:1], -v[112:113]
	s_delay_alu instid0(VALU_DEP_2) | instskip(SKIP_1) | instid1(VALU_DEP_2)
	v_fma_f64 v[164:165], v[166:167], v[172:173], v[164:165]
	v_dual_mov_b32 v112, v172 :: v_dual_mov_b32 v113, v173
	v_add_f64 v[2:3], v[2:3], -v[164:165]
.LBB80_272:
	s_or_b32 exec_lo, exec_lo, s2
	v_lshl_add_u32 v164, v180, 4, v174
	s_barrier
	buffer_gl0_inv
	v_mov_b32_e32 v172, 13
	ds_store_2addr_b64 v164, v[108:109], v[110:111] offset1:1
	s_waitcnt lgkmcnt(0)
	s_barrier
	buffer_gl0_inv
	ds_load_2addr_b64 v[164:167], v174 offset0:26 offset1:27
	s_cmp_lt_i32 s5, 15
	s_cbranch_scc1 .LBB80_275
; %bb.273:
	v_add3_u32 v173, v178, 0, 0xe0
	v_mov_b32_e32 v172, 13
	s_mov_b32 s6, 14
	s_set_inst_prefetch_distance 0x1
	.p2align	6
.LBB80_274:                             ; =>This Inner Loop Header: Depth=1
	ds_load_2addr_b64 v[181:184], v173 offset1:1
	s_waitcnt lgkmcnt(1)
	v_cmp_gt_f64_e32 vcc_lo, 0, v[164:165]
	v_xor_b32_e32 v185, 0x80000000, v165
	v_cmp_gt_f64_e64 s2, 0, v[166:167]
	v_xor_b32_e32 v187, 0x80000000, v167
	v_add_nc_u32_e32 v173, 16, v173
	s_waitcnt lgkmcnt(0)
	v_cmp_gt_f64_e64 s3, 0, v[181:182]
	v_mov_b32_e32 v189, v181
	v_dual_mov_b32 v191, v183 :: v_dual_cndmask_b32 v186, v165, v185
	v_xor_b32_e32 v185, 0x80000000, v182
	v_cndmask_b32_e64 v188, v167, v187, s2
	v_xor_b32_e32 v187, 0x80000000, v184
	s_delay_alu instid0(VALU_DEP_3) | instskip(SKIP_2) | instid1(VALU_DEP_2)
	v_cndmask_b32_e64 v190, v182, v185, s3
	v_cmp_gt_f64_e64 s3, 0, v[183:184]
	v_cndmask_b32_e32 v185, v164, v164, vcc_lo
	v_cndmask_b32_e64 v192, v184, v187, s3
	v_cndmask_b32_e64 v187, v166, v166, s2
	s_delay_alu instid0(VALU_DEP_2) | instskip(NEXT) | instid1(VALU_DEP_2)
	v_add_f64 v[189:190], v[189:190], v[191:192]
	v_add_f64 v[185:186], v[185:186], v[187:188]
	s_delay_alu instid0(VALU_DEP_1) | instskip(SKIP_4) | instid1(SALU_CYCLE_1)
	v_cmp_lt_f64_e32 vcc_lo, v[185:186], v[189:190]
	v_dual_cndmask_b32 v166, v166, v183 :: v_dual_cndmask_b32 v165, v165, v182
	v_dual_cndmask_b32 v164, v164, v181 :: v_dual_cndmask_b32 v167, v167, v184
	v_cndmask_b32_e64 v172, v172, s6, vcc_lo
	s_add_i32 s6, s6, 1
	s_cmp_lg_u32 s5, s6
	s_cbranch_scc1 .LBB80_274
.LBB80_275:
	s_set_inst_prefetch_distance 0x2
	s_waitcnt lgkmcnt(0)
	v_cmp_eq_f64_e32 vcc_lo, 0, v[164:165]
	v_cmp_eq_f64_e64 s2, 0, v[166:167]
	s_delay_alu instid0(VALU_DEP_1) | instskip(NEXT) | instid1(SALU_CYCLE_1)
	s_and_b32 s2, vcc_lo, s2
	s_and_saveexec_b32 s3, s2
	s_delay_alu instid0(SALU_CYCLE_1)
	s_xor_b32 s2, exec_lo, s3
; %bb.276:
	v_cmp_ne_u32_e32 vcc_lo, 0, v177
	v_cndmask_b32_e32 v177, 14, v177, vcc_lo
; %bb.277:
	s_and_not1_saveexec_b32 s3, s2
	s_cbranch_execz .LBB80_283
; %bb.278:
	v_cmp_gt_f64_e32 vcc_lo, 0, v[164:165]
	v_cmp_gt_f64_e64 s2, 0, v[166:167]
	v_xor_b32_e32 v173, 0x80000000, v165
	v_xor_b32_e32 v181, 0x80000000, v167
	s_delay_alu instid0(VALU_DEP_2) | instskip(NEXT) | instid1(VALU_DEP_2)
	v_cndmask_b32_e32 v182, v165, v173, vcc_lo
	v_cndmask_b32_e64 v184, v167, v181, s2
	v_cndmask_b32_e32 v181, v164, v164, vcc_lo
	v_cndmask_b32_e64 v183, v166, v166, s2
	s_mov_b32 s2, exec_lo
	s_delay_alu instid0(VALU_DEP_1)
	v_cmpx_ngt_f64_e32 v[181:182], v[183:184]
	s_xor_b32 s2, exec_lo, s2
	s_cbranch_execz .LBB80_280
; %bb.279:
	v_div_scale_f64 v[181:182], null, v[166:167], v[166:167], v[164:165]
	v_div_scale_f64 v[187:188], vcc_lo, v[164:165], v[166:167], v[164:165]
	s_delay_alu instid0(VALU_DEP_2) | instskip(SKIP_2) | instid1(VALU_DEP_1)
	v_rcp_f64_e32 v[183:184], v[181:182]
	s_waitcnt_depctr 0xfff
	v_fma_f64 v[185:186], -v[181:182], v[183:184], 1.0
	v_fma_f64 v[183:184], v[183:184], v[185:186], v[183:184]
	s_delay_alu instid0(VALU_DEP_1) | instskip(NEXT) | instid1(VALU_DEP_1)
	v_fma_f64 v[185:186], -v[181:182], v[183:184], 1.0
	v_fma_f64 v[183:184], v[183:184], v[185:186], v[183:184]
	s_delay_alu instid0(VALU_DEP_1) | instskip(NEXT) | instid1(VALU_DEP_1)
	v_mul_f64 v[185:186], v[187:188], v[183:184]
	v_fma_f64 v[181:182], -v[181:182], v[185:186], v[187:188]
	s_delay_alu instid0(VALU_DEP_1) | instskip(NEXT) | instid1(VALU_DEP_1)
	v_div_fmas_f64 v[181:182], v[181:182], v[183:184], v[185:186]
	v_div_fixup_f64 v[181:182], v[181:182], v[166:167], v[164:165]
	s_delay_alu instid0(VALU_DEP_1) | instskip(NEXT) | instid1(VALU_DEP_1)
	v_fma_f64 v[164:165], v[164:165], v[181:182], v[166:167]
	v_div_scale_f64 v[166:167], null, v[164:165], v[164:165], 1.0
	s_delay_alu instid0(VALU_DEP_1) | instskip(SKIP_2) | instid1(VALU_DEP_1)
	v_rcp_f64_e32 v[183:184], v[166:167]
	s_waitcnt_depctr 0xfff
	v_fma_f64 v[185:186], -v[166:167], v[183:184], 1.0
	v_fma_f64 v[183:184], v[183:184], v[185:186], v[183:184]
	s_delay_alu instid0(VALU_DEP_1) | instskip(NEXT) | instid1(VALU_DEP_1)
	v_fma_f64 v[185:186], -v[166:167], v[183:184], 1.0
	v_fma_f64 v[183:184], v[183:184], v[185:186], v[183:184]
	v_div_scale_f64 v[185:186], vcc_lo, 1.0, v[164:165], 1.0
	s_delay_alu instid0(VALU_DEP_1) | instskip(NEXT) | instid1(VALU_DEP_1)
	v_mul_f64 v[187:188], v[185:186], v[183:184]
	v_fma_f64 v[166:167], -v[166:167], v[187:188], v[185:186]
	s_delay_alu instid0(VALU_DEP_1) | instskip(NEXT) | instid1(VALU_DEP_1)
	v_div_fmas_f64 v[166:167], v[166:167], v[183:184], v[187:188]
	v_div_fixup_f64 v[166:167], v[166:167], v[164:165], 1.0
	s_delay_alu instid0(VALU_DEP_1)
	v_mul_f64 v[164:165], v[181:182], v[166:167]
	v_xor_b32_e32 v167, 0x80000000, v167
.LBB80_280:
	s_and_not1_saveexec_b32 s2, s2
	s_cbranch_execz .LBB80_282
; %bb.281:
	s_delay_alu instid0(VALU_DEP_1) | instskip(SKIP_1) | instid1(VALU_DEP_2)
	v_div_scale_f64 v[181:182], null, v[164:165], v[164:165], v[166:167]
	v_div_scale_f64 v[187:188], vcc_lo, v[166:167], v[164:165], v[166:167]
	v_rcp_f64_e32 v[183:184], v[181:182]
	s_waitcnt_depctr 0xfff
	v_fma_f64 v[185:186], -v[181:182], v[183:184], 1.0
	s_delay_alu instid0(VALU_DEP_1) | instskip(NEXT) | instid1(VALU_DEP_1)
	v_fma_f64 v[183:184], v[183:184], v[185:186], v[183:184]
	v_fma_f64 v[185:186], -v[181:182], v[183:184], 1.0
	s_delay_alu instid0(VALU_DEP_1) | instskip(NEXT) | instid1(VALU_DEP_1)
	v_fma_f64 v[183:184], v[183:184], v[185:186], v[183:184]
	v_mul_f64 v[185:186], v[187:188], v[183:184]
	s_delay_alu instid0(VALU_DEP_1) | instskip(NEXT) | instid1(VALU_DEP_1)
	v_fma_f64 v[181:182], -v[181:182], v[185:186], v[187:188]
	v_div_fmas_f64 v[181:182], v[181:182], v[183:184], v[185:186]
	s_delay_alu instid0(VALU_DEP_1) | instskip(NEXT) | instid1(VALU_DEP_1)
	v_div_fixup_f64 v[181:182], v[181:182], v[164:165], v[166:167]
	v_fma_f64 v[164:165], v[166:167], v[181:182], v[164:165]
	s_delay_alu instid0(VALU_DEP_1) | instskip(NEXT) | instid1(VALU_DEP_1)
	v_div_scale_f64 v[166:167], null, v[164:165], v[164:165], 1.0
	v_rcp_f64_e32 v[183:184], v[166:167]
	s_waitcnt_depctr 0xfff
	v_fma_f64 v[185:186], -v[166:167], v[183:184], 1.0
	s_delay_alu instid0(VALU_DEP_1) | instskip(NEXT) | instid1(VALU_DEP_1)
	v_fma_f64 v[183:184], v[183:184], v[185:186], v[183:184]
	v_fma_f64 v[185:186], -v[166:167], v[183:184], 1.0
	s_delay_alu instid0(VALU_DEP_1) | instskip(SKIP_1) | instid1(VALU_DEP_1)
	v_fma_f64 v[183:184], v[183:184], v[185:186], v[183:184]
	v_div_scale_f64 v[185:186], vcc_lo, 1.0, v[164:165], 1.0
	v_mul_f64 v[187:188], v[185:186], v[183:184]
	s_delay_alu instid0(VALU_DEP_1) | instskip(NEXT) | instid1(VALU_DEP_1)
	v_fma_f64 v[166:167], -v[166:167], v[187:188], v[185:186]
	v_div_fmas_f64 v[166:167], v[166:167], v[183:184], v[187:188]
	s_delay_alu instid0(VALU_DEP_1) | instskip(NEXT) | instid1(VALU_DEP_1)
	v_div_fixup_f64 v[164:165], v[166:167], v[164:165], 1.0
	v_mul_f64 v[166:167], v[181:182], -v[164:165]
.LBB80_282:
	s_or_b32 exec_lo, exec_lo, s2
.LBB80_283:
	s_delay_alu instid0(SALU_CYCLE_1) | instskip(NEXT) | instid1(SALU_CYCLE_1)
	s_or_b32 exec_lo, exec_lo, s3
	s_mov_b32 s2, exec_lo
	v_cmpx_ne_u32_e64 v180, v172
	s_xor_b32 s2, exec_lo, s2
	s_cbranch_execz .LBB80_289
; %bb.284:
	s_mov_b32 s3, exec_lo
	v_cmpx_eq_u32_e32 13, v180
	s_cbranch_execz .LBB80_288
; %bb.285:
	v_cmp_ne_u32_e32 vcc_lo, 13, v172
	s_xor_b32 s6, s4, -1
	s_delay_alu instid0(SALU_CYCLE_1) | instskip(NEXT) | instid1(SALU_CYCLE_1)
	s_and_b32 s7, s6, vcc_lo
	s_and_saveexec_b32 s6, s7
	s_cbranch_execz .LBB80_287
; %bb.286:
	v_ashrrev_i32_e32 v173, 31, v172
	s_delay_alu instid0(VALU_DEP_1) | instskip(NEXT) | instid1(VALU_DEP_1)
	v_lshlrev_b64 v[179:180], 2, v[172:173]
	v_add_co_u32 v179, vcc_lo, v170, v179
	s_delay_alu instid0(VALU_DEP_2)
	v_add_co_ci_u32_e32 v180, vcc_lo, v171, v180, vcc_lo
	s_clause 0x1
	flat_load_b32 v173, v[179:180]
	flat_load_b32 v181, v[170:171] offset:52
	s_waitcnt vmcnt(1) lgkmcnt(1)
	flat_store_b32 v[170:171], v173 offset:52
	s_waitcnt vmcnt(0) lgkmcnt(1)
	flat_store_b32 v[179:180], v181
.LBB80_287:
	s_or_b32 exec_lo, exec_lo, s6
	v_mov_b32_e32 v180, v172
	v_mov_b32_e32 v179, v172
.LBB80_288:
	s_or_b32 exec_lo, exec_lo, s3
.LBB80_289:
	s_and_not1_saveexec_b32 s2, s2
	s_cbranch_execz .LBB80_291
; %bb.290:
	v_mov_b32_e32 v180, 13
	ds_store_2addr_b64 v174, v[104:105], v[106:107] offset0:28 offset1:29
	ds_store_2addr_b64 v174, v[100:101], v[102:103] offset0:30 offset1:31
	;; [unrolled: 1-line block ×27, first 2 shown]
.LBB80_291:
	s_or_b32 exec_lo, exec_lo, s2
	s_delay_alu instid0(SALU_CYCLE_1)
	s_mov_b32 s2, exec_lo
	s_waitcnt lgkmcnt(0)
	s_waitcnt_vscnt null, 0x0
	s_barrier
	buffer_gl0_inv
	v_cmpx_lt_i32_e32 13, v180
	s_cbranch_execz .LBB80_293
; %bb.292:
	v_mul_f64 v[172:173], v[166:167], v[110:111]
	v_mul_f64 v[110:111], v[164:165], v[110:111]
	s_delay_alu instid0(VALU_DEP_2) | instskip(NEXT) | instid1(VALU_DEP_2)
	v_fma_f64 v[172:173], v[164:165], v[108:109], -v[172:173]
	v_fma_f64 v[110:111], v[166:167], v[108:109], v[110:111]
	ds_load_2addr_b64 v[164:167], v174 offset0:28 offset1:29
	s_waitcnt lgkmcnt(0)
	v_mul_f64 v[108:109], v[166:167], v[110:111]
	s_delay_alu instid0(VALU_DEP_1) | instskip(SKIP_1) | instid1(VALU_DEP_2)
	v_fma_f64 v[108:109], v[164:165], v[172:173], -v[108:109]
	v_mul_f64 v[164:165], v[164:165], v[110:111]
	v_add_f64 v[104:105], v[104:105], -v[108:109]
	s_delay_alu instid0(VALU_DEP_2) | instskip(NEXT) | instid1(VALU_DEP_1)
	v_fma_f64 v[164:165], v[166:167], v[172:173], v[164:165]
	v_add_f64 v[106:107], v[106:107], -v[164:165]
	ds_load_2addr_b64 v[164:167], v174 offset0:30 offset1:31
	s_waitcnt lgkmcnt(0)
	v_mul_f64 v[108:109], v[166:167], v[110:111]
	s_delay_alu instid0(VALU_DEP_1) | instskip(SKIP_1) | instid1(VALU_DEP_2)
	v_fma_f64 v[108:109], v[164:165], v[172:173], -v[108:109]
	v_mul_f64 v[164:165], v[164:165], v[110:111]
	v_add_f64 v[100:101], v[100:101], -v[108:109]
	s_delay_alu instid0(VALU_DEP_2) | instskip(NEXT) | instid1(VALU_DEP_1)
	v_fma_f64 v[164:165], v[166:167], v[172:173], v[164:165]
	v_add_f64 v[102:103], v[102:103], -v[164:165]
	;; [unrolled: 10-line block ×26, first 2 shown]
	ds_load_2addr_b64 v[164:167], v174 offset0:80 offset1:81
	s_waitcnt lgkmcnt(0)
	v_mul_f64 v[108:109], v[166:167], v[110:111]
	s_delay_alu instid0(VALU_DEP_1) | instskip(SKIP_1) | instid1(VALU_DEP_2)
	v_fma_f64 v[108:109], v[164:165], v[172:173], -v[108:109]
	v_mul_f64 v[164:165], v[164:165], v[110:111]
	v_add_f64 v[0:1], v[0:1], -v[108:109]
	s_delay_alu instid0(VALU_DEP_2) | instskip(SKIP_1) | instid1(VALU_DEP_2)
	v_fma_f64 v[164:165], v[166:167], v[172:173], v[164:165]
	v_dual_mov_b32 v108, v172 :: v_dual_mov_b32 v109, v173
	v_add_f64 v[2:3], v[2:3], -v[164:165]
.LBB80_293:
	s_or_b32 exec_lo, exec_lo, s2
	v_lshl_add_u32 v164, v180, 4, v174
	s_barrier
	buffer_gl0_inv
	v_mov_b32_e32 v172, 14
	ds_store_2addr_b64 v164, v[104:105], v[106:107] offset1:1
	s_waitcnt lgkmcnt(0)
	s_barrier
	buffer_gl0_inv
	ds_load_2addr_b64 v[164:167], v174 offset0:28 offset1:29
	s_cmp_lt_i32 s5, 16
	s_cbranch_scc1 .LBB80_296
; %bb.294:
	v_add3_u32 v173, v178, 0, 0xf0
	v_mov_b32_e32 v172, 14
	s_mov_b32 s6, 15
	s_set_inst_prefetch_distance 0x1
	.p2align	6
.LBB80_295:                             ; =>This Inner Loop Header: Depth=1
	ds_load_2addr_b64 v[181:184], v173 offset1:1
	s_waitcnt lgkmcnt(1)
	v_cmp_gt_f64_e32 vcc_lo, 0, v[164:165]
	v_xor_b32_e32 v185, 0x80000000, v165
	v_cmp_gt_f64_e64 s2, 0, v[166:167]
	v_xor_b32_e32 v187, 0x80000000, v167
	v_add_nc_u32_e32 v173, 16, v173
	s_waitcnt lgkmcnt(0)
	v_cmp_gt_f64_e64 s3, 0, v[181:182]
	v_mov_b32_e32 v189, v181
	v_dual_mov_b32 v191, v183 :: v_dual_cndmask_b32 v186, v165, v185
	v_xor_b32_e32 v185, 0x80000000, v182
	v_cndmask_b32_e64 v188, v167, v187, s2
	v_xor_b32_e32 v187, 0x80000000, v184
	s_delay_alu instid0(VALU_DEP_3) | instskip(SKIP_2) | instid1(VALU_DEP_2)
	v_cndmask_b32_e64 v190, v182, v185, s3
	v_cmp_gt_f64_e64 s3, 0, v[183:184]
	v_cndmask_b32_e32 v185, v164, v164, vcc_lo
	v_cndmask_b32_e64 v192, v184, v187, s3
	v_cndmask_b32_e64 v187, v166, v166, s2
	s_delay_alu instid0(VALU_DEP_2) | instskip(NEXT) | instid1(VALU_DEP_2)
	v_add_f64 v[189:190], v[189:190], v[191:192]
	v_add_f64 v[185:186], v[185:186], v[187:188]
	s_delay_alu instid0(VALU_DEP_1) | instskip(SKIP_4) | instid1(SALU_CYCLE_1)
	v_cmp_lt_f64_e32 vcc_lo, v[185:186], v[189:190]
	v_dual_cndmask_b32 v166, v166, v183 :: v_dual_cndmask_b32 v165, v165, v182
	v_dual_cndmask_b32 v164, v164, v181 :: v_dual_cndmask_b32 v167, v167, v184
	v_cndmask_b32_e64 v172, v172, s6, vcc_lo
	s_add_i32 s6, s6, 1
	s_cmp_lg_u32 s5, s6
	s_cbranch_scc1 .LBB80_295
.LBB80_296:
	s_set_inst_prefetch_distance 0x2
	s_waitcnt lgkmcnt(0)
	v_cmp_eq_f64_e32 vcc_lo, 0, v[164:165]
	v_cmp_eq_f64_e64 s2, 0, v[166:167]
	s_delay_alu instid0(VALU_DEP_1) | instskip(NEXT) | instid1(SALU_CYCLE_1)
	s_and_b32 s2, vcc_lo, s2
	s_and_saveexec_b32 s3, s2
	s_delay_alu instid0(SALU_CYCLE_1)
	s_xor_b32 s2, exec_lo, s3
; %bb.297:
	v_cmp_ne_u32_e32 vcc_lo, 0, v177
	v_cndmask_b32_e32 v177, 15, v177, vcc_lo
; %bb.298:
	s_and_not1_saveexec_b32 s3, s2
	s_cbranch_execz .LBB80_304
; %bb.299:
	v_cmp_gt_f64_e32 vcc_lo, 0, v[164:165]
	v_cmp_gt_f64_e64 s2, 0, v[166:167]
	v_xor_b32_e32 v173, 0x80000000, v165
	v_xor_b32_e32 v181, 0x80000000, v167
	s_delay_alu instid0(VALU_DEP_2) | instskip(NEXT) | instid1(VALU_DEP_2)
	v_cndmask_b32_e32 v182, v165, v173, vcc_lo
	v_cndmask_b32_e64 v184, v167, v181, s2
	v_cndmask_b32_e32 v181, v164, v164, vcc_lo
	v_cndmask_b32_e64 v183, v166, v166, s2
	s_mov_b32 s2, exec_lo
	s_delay_alu instid0(VALU_DEP_1)
	v_cmpx_ngt_f64_e32 v[181:182], v[183:184]
	s_xor_b32 s2, exec_lo, s2
	s_cbranch_execz .LBB80_301
; %bb.300:
	v_div_scale_f64 v[181:182], null, v[166:167], v[166:167], v[164:165]
	v_div_scale_f64 v[187:188], vcc_lo, v[164:165], v[166:167], v[164:165]
	s_delay_alu instid0(VALU_DEP_2) | instskip(SKIP_2) | instid1(VALU_DEP_1)
	v_rcp_f64_e32 v[183:184], v[181:182]
	s_waitcnt_depctr 0xfff
	v_fma_f64 v[185:186], -v[181:182], v[183:184], 1.0
	v_fma_f64 v[183:184], v[183:184], v[185:186], v[183:184]
	s_delay_alu instid0(VALU_DEP_1) | instskip(NEXT) | instid1(VALU_DEP_1)
	v_fma_f64 v[185:186], -v[181:182], v[183:184], 1.0
	v_fma_f64 v[183:184], v[183:184], v[185:186], v[183:184]
	s_delay_alu instid0(VALU_DEP_1) | instskip(NEXT) | instid1(VALU_DEP_1)
	v_mul_f64 v[185:186], v[187:188], v[183:184]
	v_fma_f64 v[181:182], -v[181:182], v[185:186], v[187:188]
	s_delay_alu instid0(VALU_DEP_1) | instskip(NEXT) | instid1(VALU_DEP_1)
	v_div_fmas_f64 v[181:182], v[181:182], v[183:184], v[185:186]
	v_div_fixup_f64 v[181:182], v[181:182], v[166:167], v[164:165]
	s_delay_alu instid0(VALU_DEP_1) | instskip(NEXT) | instid1(VALU_DEP_1)
	v_fma_f64 v[164:165], v[164:165], v[181:182], v[166:167]
	v_div_scale_f64 v[166:167], null, v[164:165], v[164:165], 1.0
	s_delay_alu instid0(VALU_DEP_1) | instskip(SKIP_2) | instid1(VALU_DEP_1)
	v_rcp_f64_e32 v[183:184], v[166:167]
	s_waitcnt_depctr 0xfff
	v_fma_f64 v[185:186], -v[166:167], v[183:184], 1.0
	v_fma_f64 v[183:184], v[183:184], v[185:186], v[183:184]
	s_delay_alu instid0(VALU_DEP_1) | instskip(NEXT) | instid1(VALU_DEP_1)
	v_fma_f64 v[185:186], -v[166:167], v[183:184], 1.0
	v_fma_f64 v[183:184], v[183:184], v[185:186], v[183:184]
	v_div_scale_f64 v[185:186], vcc_lo, 1.0, v[164:165], 1.0
	s_delay_alu instid0(VALU_DEP_1) | instskip(NEXT) | instid1(VALU_DEP_1)
	v_mul_f64 v[187:188], v[185:186], v[183:184]
	v_fma_f64 v[166:167], -v[166:167], v[187:188], v[185:186]
	s_delay_alu instid0(VALU_DEP_1) | instskip(NEXT) | instid1(VALU_DEP_1)
	v_div_fmas_f64 v[166:167], v[166:167], v[183:184], v[187:188]
	v_div_fixup_f64 v[166:167], v[166:167], v[164:165], 1.0
	s_delay_alu instid0(VALU_DEP_1)
	v_mul_f64 v[164:165], v[181:182], v[166:167]
	v_xor_b32_e32 v167, 0x80000000, v167
.LBB80_301:
	s_and_not1_saveexec_b32 s2, s2
	s_cbranch_execz .LBB80_303
; %bb.302:
	s_delay_alu instid0(VALU_DEP_1) | instskip(SKIP_1) | instid1(VALU_DEP_2)
	v_div_scale_f64 v[181:182], null, v[164:165], v[164:165], v[166:167]
	v_div_scale_f64 v[187:188], vcc_lo, v[166:167], v[164:165], v[166:167]
	v_rcp_f64_e32 v[183:184], v[181:182]
	s_waitcnt_depctr 0xfff
	v_fma_f64 v[185:186], -v[181:182], v[183:184], 1.0
	s_delay_alu instid0(VALU_DEP_1) | instskip(NEXT) | instid1(VALU_DEP_1)
	v_fma_f64 v[183:184], v[183:184], v[185:186], v[183:184]
	v_fma_f64 v[185:186], -v[181:182], v[183:184], 1.0
	s_delay_alu instid0(VALU_DEP_1) | instskip(NEXT) | instid1(VALU_DEP_1)
	v_fma_f64 v[183:184], v[183:184], v[185:186], v[183:184]
	v_mul_f64 v[185:186], v[187:188], v[183:184]
	s_delay_alu instid0(VALU_DEP_1) | instskip(NEXT) | instid1(VALU_DEP_1)
	v_fma_f64 v[181:182], -v[181:182], v[185:186], v[187:188]
	v_div_fmas_f64 v[181:182], v[181:182], v[183:184], v[185:186]
	s_delay_alu instid0(VALU_DEP_1) | instskip(NEXT) | instid1(VALU_DEP_1)
	v_div_fixup_f64 v[181:182], v[181:182], v[164:165], v[166:167]
	v_fma_f64 v[164:165], v[166:167], v[181:182], v[164:165]
	s_delay_alu instid0(VALU_DEP_1) | instskip(NEXT) | instid1(VALU_DEP_1)
	v_div_scale_f64 v[166:167], null, v[164:165], v[164:165], 1.0
	v_rcp_f64_e32 v[183:184], v[166:167]
	s_waitcnt_depctr 0xfff
	v_fma_f64 v[185:186], -v[166:167], v[183:184], 1.0
	s_delay_alu instid0(VALU_DEP_1) | instskip(NEXT) | instid1(VALU_DEP_1)
	v_fma_f64 v[183:184], v[183:184], v[185:186], v[183:184]
	v_fma_f64 v[185:186], -v[166:167], v[183:184], 1.0
	s_delay_alu instid0(VALU_DEP_1) | instskip(SKIP_1) | instid1(VALU_DEP_1)
	v_fma_f64 v[183:184], v[183:184], v[185:186], v[183:184]
	v_div_scale_f64 v[185:186], vcc_lo, 1.0, v[164:165], 1.0
	v_mul_f64 v[187:188], v[185:186], v[183:184]
	s_delay_alu instid0(VALU_DEP_1) | instskip(NEXT) | instid1(VALU_DEP_1)
	v_fma_f64 v[166:167], -v[166:167], v[187:188], v[185:186]
	v_div_fmas_f64 v[166:167], v[166:167], v[183:184], v[187:188]
	s_delay_alu instid0(VALU_DEP_1) | instskip(NEXT) | instid1(VALU_DEP_1)
	v_div_fixup_f64 v[164:165], v[166:167], v[164:165], 1.0
	v_mul_f64 v[166:167], v[181:182], -v[164:165]
.LBB80_303:
	s_or_b32 exec_lo, exec_lo, s2
.LBB80_304:
	s_delay_alu instid0(SALU_CYCLE_1) | instskip(NEXT) | instid1(SALU_CYCLE_1)
	s_or_b32 exec_lo, exec_lo, s3
	s_mov_b32 s2, exec_lo
	v_cmpx_ne_u32_e64 v180, v172
	s_xor_b32 s2, exec_lo, s2
	s_cbranch_execz .LBB80_310
; %bb.305:
	s_mov_b32 s3, exec_lo
	v_cmpx_eq_u32_e32 14, v180
	s_cbranch_execz .LBB80_309
; %bb.306:
	v_cmp_ne_u32_e32 vcc_lo, 14, v172
	s_xor_b32 s6, s4, -1
	s_delay_alu instid0(SALU_CYCLE_1) | instskip(NEXT) | instid1(SALU_CYCLE_1)
	s_and_b32 s7, s6, vcc_lo
	s_and_saveexec_b32 s6, s7
	s_cbranch_execz .LBB80_308
; %bb.307:
	v_ashrrev_i32_e32 v173, 31, v172
	s_delay_alu instid0(VALU_DEP_1) | instskip(NEXT) | instid1(VALU_DEP_1)
	v_lshlrev_b64 v[179:180], 2, v[172:173]
	v_add_co_u32 v179, vcc_lo, v170, v179
	s_delay_alu instid0(VALU_DEP_2)
	v_add_co_ci_u32_e32 v180, vcc_lo, v171, v180, vcc_lo
	s_clause 0x1
	flat_load_b32 v173, v[179:180]
	flat_load_b32 v181, v[170:171] offset:56
	s_waitcnt vmcnt(1) lgkmcnt(1)
	flat_store_b32 v[170:171], v173 offset:56
	s_waitcnt vmcnt(0) lgkmcnt(1)
	flat_store_b32 v[179:180], v181
.LBB80_308:
	s_or_b32 exec_lo, exec_lo, s6
	v_mov_b32_e32 v180, v172
	v_mov_b32_e32 v179, v172
.LBB80_309:
	s_or_b32 exec_lo, exec_lo, s3
.LBB80_310:
	s_and_not1_saveexec_b32 s2, s2
	s_cbranch_execz .LBB80_312
; %bb.311:
	v_mov_b32_e32 v180, 14
	ds_store_2addr_b64 v174, v[100:101], v[102:103] offset0:30 offset1:31
	ds_store_2addr_b64 v174, v[96:97], v[98:99] offset0:32 offset1:33
	;; [unrolled: 1-line block ×26, first 2 shown]
.LBB80_312:
	s_or_b32 exec_lo, exec_lo, s2
	s_delay_alu instid0(SALU_CYCLE_1)
	s_mov_b32 s2, exec_lo
	s_waitcnt lgkmcnt(0)
	s_waitcnt_vscnt null, 0x0
	s_barrier
	buffer_gl0_inv
	v_cmpx_lt_i32_e32 14, v180
	s_cbranch_execz .LBB80_314
; %bb.313:
	v_mul_f64 v[172:173], v[166:167], v[106:107]
	v_mul_f64 v[106:107], v[164:165], v[106:107]
	s_delay_alu instid0(VALU_DEP_2) | instskip(NEXT) | instid1(VALU_DEP_2)
	v_fma_f64 v[172:173], v[164:165], v[104:105], -v[172:173]
	v_fma_f64 v[106:107], v[166:167], v[104:105], v[106:107]
	ds_load_2addr_b64 v[164:167], v174 offset0:30 offset1:31
	s_waitcnt lgkmcnt(0)
	v_mul_f64 v[104:105], v[166:167], v[106:107]
	s_delay_alu instid0(VALU_DEP_1) | instskip(SKIP_1) | instid1(VALU_DEP_2)
	v_fma_f64 v[104:105], v[164:165], v[172:173], -v[104:105]
	v_mul_f64 v[164:165], v[164:165], v[106:107]
	v_add_f64 v[100:101], v[100:101], -v[104:105]
	s_delay_alu instid0(VALU_DEP_2) | instskip(NEXT) | instid1(VALU_DEP_1)
	v_fma_f64 v[164:165], v[166:167], v[172:173], v[164:165]
	v_add_f64 v[102:103], v[102:103], -v[164:165]
	ds_load_2addr_b64 v[164:167], v174 offset0:32 offset1:33
	s_waitcnt lgkmcnt(0)
	v_mul_f64 v[104:105], v[166:167], v[106:107]
	s_delay_alu instid0(VALU_DEP_1) | instskip(SKIP_1) | instid1(VALU_DEP_2)
	v_fma_f64 v[104:105], v[164:165], v[172:173], -v[104:105]
	v_mul_f64 v[164:165], v[164:165], v[106:107]
	v_add_f64 v[96:97], v[96:97], -v[104:105]
	s_delay_alu instid0(VALU_DEP_2) | instskip(NEXT) | instid1(VALU_DEP_1)
	v_fma_f64 v[164:165], v[166:167], v[172:173], v[164:165]
	v_add_f64 v[98:99], v[98:99], -v[164:165]
	;; [unrolled: 10-line block ×25, first 2 shown]
	ds_load_2addr_b64 v[164:167], v174 offset0:80 offset1:81
	s_waitcnt lgkmcnt(0)
	v_mul_f64 v[104:105], v[166:167], v[106:107]
	s_delay_alu instid0(VALU_DEP_1) | instskip(SKIP_1) | instid1(VALU_DEP_2)
	v_fma_f64 v[104:105], v[164:165], v[172:173], -v[104:105]
	v_mul_f64 v[164:165], v[164:165], v[106:107]
	v_add_f64 v[0:1], v[0:1], -v[104:105]
	s_delay_alu instid0(VALU_DEP_2) | instskip(SKIP_1) | instid1(VALU_DEP_2)
	v_fma_f64 v[164:165], v[166:167], v[172:173], v[164:165]
	v_dual_mov_b32 v104, v172 :: v_dual_mov_b32 v105, v173
	v_add_f64 v[2:3], v[2:3], -v[164:165]
.LBB80_314:
	s_or_b32 exec_lo, exec_lo, s2
	v_lshl_add_u32 v164, v180, 4, v174
	s_barrier
	buffer_gl0_inv
	v_mov_b32_e32 v172, 15
	ds_store_2addr_b64 v164, v[100:101], v[102:103] offset1:1
	s_waitcnt lgkmcnt(0)
	s_barrier
	buffer_gl0_inv
	ds_load_2addr_b64 v[164:167], v174 offset0:30 offset1:31
	s_cmp_lt_i32 s5, 17
	s_cbranch_scc1 .LBB80_317
; %bb.315:
	v_add3_u32 v173, v178, 0, 0x100
	v_mov_b32_e32 v172, 15
	s_mov_b32 s6, 16
	s_set_inst_prefetch_distance 0x1
	.p2align	6
.LBB80_316:                             ; =>This Inner Loop Header: Depth=1
	ds_load_2addr_b64 v[181:184], v173 offset1:1
	s_waitcnt lgkmcnt(1)
	v_cmp_gt_f64_e32 vcc_lo, 0, v[164:165]
	v_xor_b32_e32 v185, 0x80000000, v165
	v_cmp_gt_f64_e64 s2, 0, v[166:167]
	v_xor_b32_e32 v187, 0x80000000, v167
	v_add_nc_u32_e32 v173, 16, v173
	s_waitcnt lgkmcnt(0)
	v_cmp_gt_f64_e64 s3, 0, v[181:182]
	v_mov_b32_e32 v189, v181
	v_dual_mov_b32 v191, v183 :: v_dual_cndmask_b32 v186, v165, v185
	v_xor_b32_e32 v185, 0x80000000, v182
	v_cndmask_b32_e64 v188, v167, v187, s2
	v_xor_b32_e32 v187, 0x80000000, v184
	s_delay_alu instid0(VALU_DEP_3) | instskip(SKIP_2) | instid1(VALU_DEP_2)
	v_cndmask_b32_e64 v190, v182, v185, s3
	v_cmp_gt_f64_e64 s3, 0, v[183:184]
	v_cndmask_b32_e32 v185, v164, v164, vcc_lo
	v_cndmask_b32_e64 v192, v184, v187, s3
	v_cndmask_b32_e64 v187, v166, v166, s2
	s_delay_alu instid0(VALU_DEP_2) | instskip(NEXT) | instid1(VALU_DEP_2)
	v_add_f64 v[189:190], v[189:190], v[191:192]
	v_add_f64 v[185:186], v[185:186], v[187:188]
	s_delay_alu instid0(VALU_DEP_1) | instskip(SKIP_4) | instid1(SALU_CYCLE_1)
	v_cmp_lt_f64_e32 vcc_lo, v[185:186], v[189:190]
	v_dual_cndmask_b32 v166, v166, v183 :: v_dual_cndmask_b32 v165, v165, v182
	v_dual_cndmask_b32 v164, v164, v181 :: v_dual_cndmask_b32 v167, v167, v184
	v_cndmask_b32_e64 v172, v172, s6, vcc_lo
	s_add_i32 s6, s6, 1
	s_cmp_lg_u32 s5, s6
	s_cbranch_scc1 .LBB80_316
.LBB80_317:
	s_set_inst_prefetch_distance 0x2
	s_waitcnt lgkmcnt(0)
	v_cmp_eq_f64_e32 vcc_lo, 0, v[164:165]
	v_cmp_eq_f64_e64 s2, 0, v[166:167]
	s_delay_alu instid0(VALU_DEP_1) | instskip(NEXT) | instid1(SALU_CYCLE_1)
	s_and_b32 s2, vcc_lo, s2
	s_and_saveexec_b32 s3, s2
	s_delay_alu instid0(SALU_CYCLE_1)
	s_xor_b32 s2, exec_lo, s3
; %bb.318:
	v_cmp_ne_u32_e32 vcc_lo, 0, v177
	v_cndmask_b32_e32 v177, 16, v177, vcc_lo
; %bb.319:
	s_and_not1_saveexec_b32 s3, s2
	s_cbranch_execz .LBB80_325
; %bb.320:
	v_cmp_gt_f64_e32 vcc_lo, 0, v[164:165]
	v_cmp_gt_f64_e64 s2, 0, v[166:167]
	v_xor_b32_e32 v173, 0x80000000, v165
	v_xor_b32_e32 v181, 0x80000000, v167
	s_delay_alu instid0(VALU_DEP_2) | instskip(NEXT) | instid1(VALU_DEP_2)
	v_cndmask_b32_e32 v182, v165, v173, vcc_lo
	v_cndmask_b32_e64 v184, v167, v181, s2
	v_cndmask_b32_e32 v181, v164, v164, vcc_lo
	v_cndmask_b32_e64 v183, v166, v166, s2
	s_mov_b32 s2, exec_lo
	s_delay_alu instid0(VALU_DEP_1)
	v_cmpx_ngt_f64_e32 v[181:182], v[183:184]
	s_xor_b32 s2, exec_lo, s2
	s_cbranch_execz .LBB80_322
; %bb.321:
	v_div_scale_f64 v[181:182], null, v[166:167], v[166:167], v[164:165]
	v_div_scale_f64 v[187:188], vcc_lo, v[164:165], v[166:167], v[164:165]
	s_delay_alu instid0(VALU_DEP_2) | instskip(SKIP_2) | instid1(VALU_DEP_1)
	v_rcp_f64_e32 v[183:184], v[181:182]
	s_waitcnt_depctr 0xfff
	v_fma_f64 v[185:186], -v[181:182], v[183:184], 1.0
	v_fma_f64 v[183:184], v[183:184], v[185:186], v[183:184]
	s_delay_alu instid0(VALU_DEP_1) | instskip(NEXT) | instid1(VALU_DEP_1)
	v_fma_f64 v[185:186], -v[181:182], v[183:184], 1.0
	v_fma_f64 v[183:184], v[183:184], v[185:186], v[183:184]
	s_delay_alu instid0(VALU_DEP_1) | instskip(NEXT) | instid1(VALU_DEP_1)
	v_mul_f64 v[185:186], v[187:188], v[183:184]
	v_fma_f64 v[181:182], -v[181:182], v[185:186], v[187:188]
	s_delay_alu instid0(VALU_DEP_1) | instskip(NEXT) | instid1(VALU_DEP_1)
	v_div_fmas_f64 v[181:182], v[181:182], v[183:184], v[185:186]
	v_div_fixup_f64 v[181:182], v[181:182], v[166:167], v[164:165]
	s_delay_alu instid0(VALU_DEP_1) | instskip(NEXT) | instid1(VALU_DEP_1)
	v_fma_f64 v[164:165], v[164:165], v[181:182], v[166:167]
	v_div_scale_f64 v[166:167], null, v[164:165], v[164:165], 1.0
	s_delay_alu instid0(VALU_DEP_1) | instskip(SKIP_2) | instid1(VALU_DEP_1)
	v_rcp_f64_e32 v[183:184], v[166:167]
	s_waitcnt_depctr 0xfff
	v_fma_f64 v[185:186], -v[166:167], v[183:184], 1.0
	v_fma_f64 v[183:184], v[183:184], v[185:186], v[183:184]
	s_delay_alu instid0(VALU_DEP_1) | instskip(NEXT) | instid1(VALU_DEP_1)
	v_fma_f64 v[185:186], -v[166:167], v[183:184], 1.0
	v_fma_f64 v[183:184], v[183:184], v[185:186], v[183:184]
	v_div_scale_f64 v[185:186], vcc_lo, 1.0, v[164:165], 1.0
	s_delay_alu instid0(VALU_DEP_1) | instskip(NEXT) | instid1(VALU_DEP_1)
	v_mul_f64 v[187:188], v[185:186], v[183:184]
	v_fma_f64 v[166:167], -v[166:167], v[187:188], v[185:186]
	s_delay_alu instid0(VALU_DEP_1) | instskip(NEXT) | instid1(VALU_DEP_1)
	v_div_fmas_f64 v[166:167], v[166:167], v[183:184], v[187:188]
	v_div_fixup_f64 v[166:167], v[166:167], v[164:165], 1.0
	s_delay_alu instid0(VALU_DEP_1)
	v_mul_f64 v[164:165], v[181:182], v[166:167]
	v_xor_b32_e32 v167, 0x80000000, v167
.LBB80_322:
	s_and_not1_saveexec_b32 s2, s2
	s_cbranch_execz .LBB80_324
; %bb.323:
	s_delay_alu instid0(VALU_DEP_1) | instskip(SKIP_1) | instid1(VALU_DEP_2)
	v_div_scale_f64 v[181:182], null, v[164:165], v[164:165], v[166:167]
	v_div_scale_f64 v[187:188], vcc_lo, v[166:167], v[164:165], v[166:167]
	v_rcp_f64_e32 v[183:184], v[181:182]
	s_waitcnt_depctr 0xfff
	v_fma_f64 v[185:186], -v[181:182], v[183:184], 1.0
	s_delay_alu instid0(VALU_DEP_1) | instskip(NEXT) | instid1(VALU_DEP_1)
	v_fma_f64 v[183:184], v[183:184], v[185:186], v[183:184]
	v_fma_f64 v[185:186], -v[181:182], v[183:184], 1.0
	s_delay_alu instid0(VALU_DEP_1) | instskip(NEXT) | instid1(VALU_DEP_1)
	v_fma_f64 v[183:184], v[183:184], v[185:186], v[183:184]
	v_mul_f64 v[185:186], v[187:188], v[183:184]
	s_delay_alu instid0(VALU_DEP_1) | instskip(NEXT) | instid1(VALU_DEP_1)
	v_fma_f64 v[181:182], -v[181:182], v[185:186], v[187:188]
	v_div_fmas_f64 v[181:182], v[181:182], v[183:184], v[185:186]
	s_delay_alu instid0(VALU_DEP_1) | instskip(NEXT) | instid1(VALU_DEP_1)
	v_div_fixup_f64 v[181:182], v[181:182], v[164:165], v[166:167]
	v_fma_f64 v[164:165], v[166:167], v[181:182], v[164:165]
	s_delay_alu instid0(VALU_DEP_1) | instskip(NEXT) | instid1(VALU_DEP_1)
	v_div_scale_f64 v[166:167], null, v[164:165], v[164:165], 1.0
	v_rcp_f64_e32 v[183:184], v[166:167]
	s_waitcnt_depctr 0xfff
	v_fma_f64 v[185:186], -v[166:167], v[183:184], 1.0
	s_delay_alu instid0(VALU_DEP_1) | instskip(NEXT) | instid1(VALU_DEP_1)
	v_fma_f64 v[183:184], v[183:184], v[185:186], v[183:184]
	v_fma_f64 v[185:186], -v[166:167], v[183:184], 1.0
	s_delay_alu instid0(VALU_DEP_1) | instskip(SKIP_1) | instid1(VALU_DEP_1)
	v_fma_f64 v[183:184], v[183:184], v[185:186], v[183:184]
	v_div_scale_f64 v[185:186], vcc_lo, 1.0, v[164:165], 1.0
	v_mul_f64 v[187:188], v[185:186], v[183:184]
	s_delay_alu instid0(VALU_DEP_1) | instskip(NEXT) | instid1(VALU_DEP_1)
	v_fma_f64 v[166:167], -v[166:167], v[187:188], v[185:186]
	v_div_fmas_f64 v[166:167], v[166:167], v[183:184], v[187:188]
	s_delay_alu instid0(VALU_DEP_1) | instskip(NEXT) | instid1(VALU_DEP_1)
	v_div_fixup_f64 v[164:165], v[166:167], v[164:165], 1.0
	v_mul_f64 v[166:167], v[181:182], -v[164:165]
.LBB80_324:
	s_or_b32 exec_lo, exec_lo, s2
.LBB80_325:
	s_delay_alu instid0(SALU_CYCLE_1) | instskip(NEXT) | instid1(SALU_CYCLE_1)
	s_or_b32 exec_lo, exec_lo, s3
	s_mov_b32 s2, exec_lo
	v_cmpx_ne_u32_e64 v180, v172
	s_xor_b32 s2, exec_lo, s2
	s_cbranch_execz .LBB80_331
; %bb.326:
	s_mov_b32 s3, exec_lo
	v_cmpx_eq_u32_e32 15, v180
	s_cbranch_execz .LBB80_330
; %bb.327:
	v_cmp_ne_u32_e32 vcc_lo, 15, v172
	s_xor_b32 s6, s4, -1
	s_delay_alu instid0(SALU_CYCLE_1) | instskip(NEXT) | instid1(SALU_CYCLE_1)
	s_and_b32 s7, s6, vcc_lo
	s_and_saveexec_b32 s6, s7
	s_cbranch_execz .LBB80_329
; %bb.328:
	v_ashrrev_i32_e32 v173, 31, v172
	s_delay_alu instid0(VALU_DEP_1) | instskip(NEXT) | instid1(VALU_DEP_1)
	v_lshlrev_b64 v[179:180], 2, v[172:173]
	v_add_co_u32 v179, vcc_lo, v170, v179
	s_delay_alu instid0(VALU_DEP_2)
	v_add_co_ci_u32_e32 v180, vcc_lo, v171, v180, vcc_lo
	s_clause 0x1
	flat_load_b32 v173, v[179:180]
	flat_load_b32 v181, v[170:171] offset:60
	s_waitcnt vmcnt(1) lgkmcnt(1)
	flat_store_b32 v[170:171], v173 offset:60
	s_waitcnt vmcnt(0) lgkmcnt(1)
	flat_store_b32 v[179:180], v181
.LBB80_329:
	s_or_b32 exec_lo, exec_lo, s6
	v_mov_b32_e32 v180, v172
	v_mov_b32_e32 v179, v172
.LBB80_330:
	s_or_b32 exec_lo, exec_lo, s3
.LBB80_331:
	s_and_not1_saveexec_b32 s2, s2
	s_cbranch_execz .LBB80_333
; %bb.332:
	v_mov_b32_e32 v180, 15
	ds_store_2addr_b64 v174, v[96:97], v[98:99] offset0:32 offset1:33
	ds_store_2addr_b64 v174, v[92:93], v[94:95] offset0:34 offset1:35
	ds_store_2addr_b64 v174, v[88:89], v[90:91] offset0:36 offset1:37
	ds_store_2addr_b64 v174, v[84:85], v[86:87] offset0:38 offset1:39
	ds_store_2addr_b64 v174, v[80:81], v[82:83] offset0:40 offset1:41
	ds_store_2addr_b64 v174, v[76:77], v[78:79] offset0:42 offset1:43
	ds_store_2addr_b64 v174, v[72:73], v[74:75] offset0:44 offset1:45
	ds_store_2addr_b64 v174, v[68:69], v[70:71] offset0:46 offset1:47
	ds_store_2addr_b64 v174, v[64:65], v[66:67] offset0:48 offset1:49
	ds_store_2addr_b64 v174, v[60:61], v[62:63] offset0:50 offset1:51
	ds_store_2addr_b64 v174, v[56:57], v[58:59] offset0:52 offset1:53
	ds_store_2addr_b64 v174, v[52:53], v[54:55] offset0:54 offset1:55
	ds_store_2addr_b64 v174, v[48:49], v[50:51] offset0:56 offset1:57
	ds_store_2addr_b64 v174, v[44:45], v[46:47] offset0:58 offset1:59
	ds_store_2addr_b64 v174, v[40:41], v[42:43] offset0:60 offset1:61
	ds_store_2addr_b64 v174, v[36:37], v[38:39] offset0:62 offset1:63
	ds_store_2addr_b64 v174, v[32:33], v[34:35] offset0:64 offset1:65
	ds_store_2addr_b64 v174, v[28:29], v[30:31] offset0:66 offset1:67
	ds_store_2addr_b64 v174, v[24:25], v[26:27] offset0:68 offset1:69
	ds_store_2addr_b64 v174, v[20:21], v[22:23] offset0:70 offset1:71
	ds_store_2addr_b64 v174, v[16:17], v[18:19] offset0:72 offset1:73
	ds_store_2addr_b64 v174, v[12:13], v[14:15] offset0:74 offset1:75
	ds_store_2addr_b64 v174, v[8:9], v[10:11] offset0:76 offset1:77
	ds_store_2addr_b64 v174, v[4:5], v[6:7] offset0:78 offset1:79
	ds_store_2addr_b64 v174, v[0:1], v[2:3] offset0:80 offset1:81
.LBB80_333:
	s_or_b32 exec_lo, exec_lo, s2
	s_delay_alu instid0(SALU_CYCLE_1)
	s_mov_b32 s2, exec_lo
	s_waitcnt lgkmcnt(0)
	s_waitcnt_vscnt null, 0x0
	s_barrier
	buffer_gl0_inv
	v_cmpx_lt_i32_e32 15, v180
	s_cbranch_execz .LBB80_335
; %bb.334:
	v_mul_f64 v[172:173], v[166:167], v[102:103]
	v_mul_f64 v[102:103], v[164:165], v[102:103]
	s_delay_alu instid0(VALU_DEP_2) | instskip(NEXT) | instid1(VALU_DEP_2)
	v_fma_f64 v[172:173], v[164:165], v[100:101], -v[172:173]
	v_fma_f64 v[102:103], v[166:167], v[100:101], v[102:103]
	ds_load_2addr_b64 v[164:167], v174 offset0:32 offset1:33
	s_waitcnt lgkmcnt(0)
	v_mul_f64 v[100:101], v[166:167], v[102:103]
	s_delay_alu instid0(VALU_DEP_1) | instskip(SKIP_1) | instid1(VALU_DEP_2)
	v_fma_f64 v[100:101], v[164:165], v[172:173], -v[100:101]
	v_mul_f64 v[164:165], v[164:165], v[102:103]
	v_add_f64 v[96:97], v[96:97], -v[100:101]
	s_delay_alu instid0(VALU_DEP_2) | instskip(NEXT) | instid1(VALU_DEP_1)
	v_fma_f64 v[164:165], v[166:167], v[172:173], v[164:165]
	v_add_f64 v[98:99], v[98:99], -v[164:165]
	ds_load_2addr_b64 v[164:167], v174 offset0:34 offset1:35
	s_waitcnt lgkmcnt(0)
	v_mul_f64 v[100:101], v[166:167], v[102:103]
	s_delay_alu instid0(VALU_DEP_1) | instskip(SKIP_1) | instid1(VALU_DEP_2)
	v_fma_f64 v[100:101], v[164:165], v[172:173], -v[100:101]
	v_mul_f64 v[164:165], v[164:165], v[102:103]
	v_add_f64 v[92:93], v[92:93], -v[100:101]
	s_delay_alu instid0(VALU_DEP_2) | instskip(NEXT) | instid1(VALU_DEP_1)
	v_fma_f64 v[164:165], v[166:167], v[172:173], v[164:165]
	v_add_f64 v[94:95], v[94:95], -v[164:165]
	;; [unrolled: 10-line block ×24, first 2 shown]
	ds_load_2addr_b64 v[164:167], v174 offset0:80 offset1:81
	s_waitcnt lgkmcnt(0)
	v_mul_f64 v[100:101], v[166:167], v[102:103]
	s_delay_alu instid0(VALU_DEP_1) | instskip(SKIP_1) | instid1(VALU_DEP_2)
	v_fma_f64 v[100:101], v[164:165], v[172:173], -v[100:101]
	v_mul_f64 v[164:165], v[164:165], v[102:103]
	v_add_f64 v[0:1], v[0:1], -v[100:101]
	s_delay_alu instid0(VALU_DEP_2) | instskip(SKIP_1) | instid1(VALU_DEP_2)
	v_fma_f64 v[164:165], v[166:167], v[172:173], v[164:165]
	v_dual_mov_b32 v100, v172 :: v_dual_mov_b32 v101, v173
	v_add_f64 v[2:3], v[2:3], -v[164:165]
.LBB80_335:
	s_or_b32 exec_lo, exec_lo, s2
	v_lshl_add_u32 v164, v180, 4, v174
	s_barrier
	buffer_gl0_inv
	v_mov_b32_e32 v172, 16
	ds_store_2addr_b64 v164, v[96:97], v[98:99] offset1:1
	s_waitcnt lgkmcnt(0)
	s_barrier
	buffer_gl0_inv
	ds_load_2addr_b64 v[164:167], v174 offset0:32 offset1:33
	s_cmp_lt_i32 s5, 18
	s_cbranch_scc1 .LBB80_338
; %bb.336:
	v_add3_u32 v173, v178, 0, 0x110
	v_mov_b32_e32 v172, 16
	s_mov_b32 s6, 17
	s_set_inst_prefetch_distance 0x1
	.p2align	6
.LBB80_337:                             ; =>This Inner Loop Header: Depth=1
	ds_load_2addr_b64 v[181:184], v173 offset1:1
	s_waitcnt lgkmcnt(1)
	v_cmp_gt_f64_e32 vcc_lo, 0, v[164:165]
	v_xor_b32_e32 v185, 0x80000000, v165
	v_cmp_gt_f64_e64 s2, 0, v[166:167]
	v_xor_b32_e32 v187, 0x80000000, v167
	v_add_nc_u32_e32 v173, 16, v173
	s_waitcnt lgkmcnt(0)
	v_cmp_gt_f64_e64 s3, 0, v[181:182]
	v_mov_b32_e32 v189, v181
	v_dual_mov_b32 v191, v183 :: v_dual_cndmask_b32 v186, v165, v185
	v_xor_b32_e32 v185, 0x80000000, v182
	v_cndmask_b32_e64 v188, v167, v187, s2
	v_xor_b32_e32 v187, 0x80000000, v184
	s_delay_alu instid0(VALU_DEP_3) | instskip(SKIP_2) | instid1(VALU_DEP_2)
	v_cndmask_b32_e64 v190, v182, v185, s3
	v_cmp_gt_f64_e64 s3, 0, v[183:184]
	v_cndmask_b32_e32 v185, v164, v164, vcc_lo
	v_cndmask_b32_e64 v192, v184, v187, s3
	v_cndmask_b32_e64 v187, v166, v166, s2
	s_delay_alu instid0(VALU_DEP_2) | instskip(NEXT) | instid1(VALU_DEP_2)
	v_add_f64 v[189:190], v[189:190], v[191:192]
	v_add_f64 v[185:186], v[185:186], v[187:188]
	s_delay_alu instid0(VALU_DEP_1) | instskip(SKIP_4) | instid1(SALU_CYCLE_1)
	v_cmp_lt_f64_e32 vcc_lo, v[185:186], v[189:190]
	v_dual_cndmask_b32 v166, v166, v183 :: v_dual_cndmask_b32 v165, v165, v182
	v_dual_cndmask_b32 v164, v164, v181 :: v_dual_cndmask_b32 v167, v167, v184
	v_cndmask_b32_e64 v172, v172, s6, vcc_lo
	s_add_i32 s6, s6, 1
	s_cmp_lg_u32 s5, s6
	s_cbranch_scc1 .LBB80_337
.LBB80_338:
	s_set_inst_prefetch_distance 0x2
	s_waitcnt lgkmcnt(0)
	v_cmp_eq_f64_e32 vcc_lo, 0, v[164:165]
	v_cmp_eq_f64_e64 s2, 0, v[166:167]
	s_delay_alu instid0(VALU_DEP_1) | instskip(NEXT) | instid1(SALU_CYCLE_1)
	s_and_b32 s2, vcc_lo, s2
	s_and_saveexec_b32 s3, s2
	s_delay_alu instid0(SALU_CYCLE_1)
	s_xor_b32 s2, exec_lo, s3
; %bb.339:
	v_cmp_ne_u32_e32 vcc_lo, 0, v177
	v_cndmask_b32_e32 v177, 17, v177, vcc_lo
; %bb.340:
	s_and_not1_saveexec_b32 s3, s2
	s_cbranch_execz .LBB80_346
; %bb.341:
	v_cmp_gt_f64_e32 vcc_lo, 0, v[164:165]
	v_cmp_gt_f64_e64 s2, 0, v[166:167]
	v_xor_b32_e32 v173, 0x80000000, v165
	v_xor_b32_e32 v181, 0x80000000, v167
	s_delay_alu instid0(VALU_DEP_2) | instskip(NEXT) | instid1(VALU_DEP_2)
	v_cndmask_b32_e32 v182, v165, v173, vcc_lo
	v_cndmask_b32_e64 v184, v167, v181, s2
	v_cndmask_b32_e32 v181, v164, v164, vcc_lo
	v_cndmask_b32_e64 v183, v166, v166, s2
	s_mov_b32 s2, exec_lo
	s_delay_alu instid0(VALU_DEP_1)
	v_cmpx_ngt_f64_e32 v[181:182], v[183:184]
	s_xor_b32 s2, exec_lo, s2
	s_cbranch_execz .LBB80_343
; %bb.342:
	v_div_scale_f64 v[181:182], null, v[166:167], v[166:167], v[164:165]
	v_div_scale_f64 v[187:188], vcc_lo, v[164:165], v[166:167], v[164:165]
	s_delay_alu instid0(VALU_DEP_2) | instskip(SKIP_2) | instid1(VALU_DEP_1)
	v_rcp_f64_e32 v[183:184], v[181:182]
	s_waitcnt_depctr 0xfff
	v_fma_f64 v[185:186], -v[181:182], v[183:184], 1.0
	v_fma_f64 v[183:184], v[183:184], v[185:186], v[183:184]
	s_delay_alu instid0(VALU_DEP_1) | instskip(NEXT) | instid1(VALU_DEP_1)
	v_fma_f64 v[185:186], -v[181:182], v[183:184], 1.0
	v_fma_f64 v[183:184], v[183:184], v[185:186], v[183:184]
	s_delay_alu instid0(VALU_DEP_1) | instskip(NEXT) | instid1(VALU_DEP_1)
	v_mul_f64 v[185:186], v[187:188], v[183:184]
	v_fma_f64 v[181:182], -v[181:182], v[185:186], v[187:188]
	s_delay_alu instid0(VALU_DEP_1) | instskip(NEXT) | instid1(VALU_DEP_1)
	v_div_fmas_f64 v[181:182], v[181:182], v[183:184], v[185:186]
	v_div_fixup_f64 v[181:182], v[181:182], v[166:167], v[164:165]
	s_delay_alu instid0(VALU_DEP_1) | instskip(NEXT) | instid1(VALU_DEP_1)
	v_fma_f64 v[164:165], v[164:165], v[181:182], v[166:167]
	v_div_scale_f64 v[166:167], null, v[164:165], v[164:165], 1.0
	s_delay_alu instid0(VALU_DEP_1) | instskip(SKIP_2) | instid1(VALU_DEP_1)
	v_rcp_f64_e32 v[183:184], v[166:167]
	s_waitcnt_depctr 0xfff
	v_fma_f64 v[185:186], -v[166:167], v[183:184], 1.0
	v_fma_f64 v[183:184], v[183:184], v[185:186], v[183:184]
	s_delay_alu instid0(VALU_DEP_1) | instskip(NEXT) | instid1(VALU_DEP_1)
	v_fma_f64 v[185:186], -v[166:167], v[183:184], 1.0
	v_fma_f64 v[183:184], v[183:184], v[185:186], v[183:184]
	v_div_scale_f64 v[185:186], vcc_lo, 1.0, v[164:165], 1.0
	s_delay_alu instid0(VALU_DEP_1) | instskip(NEXT) | instid1(VALU_DEP_1)
	v_mul_f64 v[187:188], v[185:186], v[183:184]
	v_fma_f64 v[166:167], -v[166:167], v[187:188], v[185:186]
	s_delay_alu instid0(VALU_DEP_1) | instskip(NEXT) | instid1(VALU_DEP_1)
	v_div_fmas_f64 v[166:167], v[166:167], v[183:184], v[187:188]
	v_div_fixup_f64 v[166:167], v[166:167], v[164:165], 1.0
	s_delay_alu instid0(VALU_DEP_1)
	v_mul_f64 v[164:165], v[181:182], v[166:167]
	v_xor_b32_e32 v167, 0x80000000, v167
.LBB80_343:
	s_and_not1_saveexec_b32 s2, s2
	s_cbranch_execz .LBB80_345
; %bb.344:
	s_delay_alu instid0(VALU_DEP_1) | instskip(SKIP_1) | instid1(VALU_DEP_2)
	v_div_scale_f64 v[181:182], null, v[164:165], v[164:165], v[166:167]
	v_div_scale_f64 v[187:188], vcc_lo, v[166:167], v[164:165], v[166:167]
	v_rcp_f64_e32 v[183:184], v[181:182]
	s_waitcnt_depctr 0xfff
	v_fma_f64 v[185:186], -v[181:182], v[183:184], 1.0
	s_delay_alu instid0(VALU_DEP_1) | instskip(NEXT) | instid1(VALU_DEP_1)
	v_fma_f64 v[183:184], v[183:184], v[185:186], v[183:184]
	v_fma_f64 v[185:186], -v[181:182], v[183:184], 1.0
	s_delay_alu instid0(VALU_DEP_1) | instskip(NEXT) | instid1(VALU_DEP_1)
	v_fma_f64 v[183:184], v[183:184], v[185:186], v[183:184]
	v_mul_f64 v[185:186], v[187:188], v[183:184]
	s_delay_alu instid0(VALU_DEP_1) | instskip(NEXT) | instid1(VALU_DEP_1)
	v_fma_f64 v[181:182], -v[181:182], v[185:186], v[187:188]
	v_div_fmas_f64 v[181:182], v[181:182], v[183:184], v[185:186]
	s_delay_alu instid0(VALU_DEP_1) | instskip(NEXT) | instid1(VALU_DEP_1)
	v_div_fixup_f64 v[181:182], v[181:182], v[164:165], v[166:167]
	v_fma_f64 v[164:165], v[166:167], v[181:182], v[164:165]
	s_delay_alu instid0(VALU_DEP_1) | instskip(NEXT) | instid1(VALU_DEP_1)
	v_div_scale_f64 v[166:167], null, v[164:165], v[164:165], 1.0
	v_rcp_f64_e32 v[183:184], v[166:167]
	s_waitcnt_depctr 0xfff
	v_fma_f64 v[185:186], -v[166:167], v[183:184], 1.0
	s_delay_alu instid0(VALU_DEP_1) | instskip(NEXT) | instid1(VALU_DEP_1)
	v_fma_f64 v[183:184], v[183:184], v[185:186], v[183:184]
	v_fma_f64 v[185:186], -v[166:167], v[183:184], 1.0
	s_delay_alu instid0(VALU_DEP_1) | instskip(SKIP_1) | instid1(VALU_DEP_1)
	v_fma_f64 v[183:184], v[183:184], v[185:186], v[183:184]
	v_div_scale_f64 v[185:186], vcc_lo, 1.0, v[164:165], 1.0
	v_mul_f64 v[187:188], v[185:186], v[183:184]
	s_delay_alu instid0(VALU_DEP_1) | instskip(NEXT) | instid1(VALU_DEP_1)
	v_fma_f64 v[166:167], -v[166:167], v[187:188], v[185:186]
	v_div_fmas_f64 v[166:167], v[166:167], v[183:184], v[187:188]
	s_delay_alu instid0(VALU_DEP_1) | instskip(NEXT) | instid1(VALU_DEP_1)
	v_div_fixup_f64 v[164:165], v[166:167], v[164:165], 1.0
	v_mul_f64 v[166:167], v[181:182], -v[164:165]
.LBB80_345:
	s_or_b32 exec_lo, exec_lo, s2
.LBB80_346:
	s_delay_alu instid0(SALU_CYCLE_1) | instskip(NEXT) | instid1(SALU_CYCLE_1)
	s_or_b32 exec_lo, exec_lo, s3
	s_mov_b32 s2, exec_lo
	v_cmpx_ne_u32_e64 v180, v172
	s_xor_b32 s2, exec_lo, s2
	s_cbranch_execz .LBB80_352
; %bb.347:
	s_mov_b32 s3, exec_lo
	v_cmpx_eq_u32_e32 16, v180
	s_cbranch_execz .LBB80_351
; %bb.348:
	v_cmp_ne_u32_e32 vcc_lo, 16, v172
	s_xor_b32 s6, s4, -1
	s_delay_alu instid0(SALU_CYCLE_1) | instskip(NEXT) | instid1(SALU_CYCLE_1)
	s_and_b32 s7, s6, vcc_lo
	s_and_saveexec_b32 s6, s7
	s_cbranch_execz .LBB80_350
; %bb.349:
	v_ashrrev_i32_e32 v173, 31, v172
	s_delay_alu instid0(VALU_DEP_1) | instskip(NEXT) | instid1(VALU_DEP_1)
	v_lshlrev_b64 v[179:180], 2, v[172:173]
	v_add_co_u32 v179, vcc_lo, v170, v179
	s_delay_alu instid0(VALU_DEP_2)
	v_add_co_ci_u32_e32 v180, vcc_lo, v171, v180, vcc_lo
	s_clause 0x1
	flat_load_b32 v173, v[179:180]
	flat_load_b32 v181, v[170:171] offset:64
	s_waitcnt vmcnt(1) lgkmcnt(1)
	flat_store_b32 v[170:171], v173 offset:64
	s_waitcnt vmcnt(0) lgkmcnt(1)
	flat_store_b32 v[179:180], v181
.LBB80_350:
	s_or_b32 exec_lo, exec_lo, s6
	v_mov_b32_e32 v180, v172
	v_mov_b32_e32 v179, v172
.LBB80_351:
	s_or_b32 exec_lo, exec_lo, s3
.LBB80_352:
	s_and_not1_saveexec_b32 s2, s2
	s_cbranch_execz .LBB80_354
; %bb.353:
	v_mov_b32_e32 v180, 16
	ds_store_2addr_b64 v174, v[92:93], v[94:95] offset0:34 offset1:35
	ds_store_2addr_b64 v174, v[88:89], v[90:91] offset0:36 offset1:37
	ds_store_2addr_b64 v174, v[84:85], v[86:87] offset0:38 offset1:39
	ds_store_2addr_b64 v174, v[80:81], v[82:83] offset0:40 offset1:41
	ds_store_2addr_b64 v174, v[76:77], v[78:79] offset0:42 offset1:43
	ds_store_2addr_b64 v174, v[72:73], v[74:75] offset0:44 offset1:45
	ds_store_2addr_b64 v174, v[68:69], v[70:71] offset0:46 offset1:47
	ds_store_2addr_b64 v174, v[64:65], v[66:67] offset0:48 offset1:49
	ds_store_2addr_b64 v174, v[60:61], v[62:63] offset0:50 offset1:51
	ds_store_2addr_b64 v174, v[56:57], v[58:59] offset0:52 offset1:53
	ds_store_2addr_b64 v174, v[52:53], v[54:55] offset0:54 offset1:55
	ds_store_2addr_b64 v174, v[48:49], v[50:51] offset0:56 offset1:57
	ds_store_2addr_b64 v174, v[44:45], v[46:47] offset0:58 offset1:59
	ds_store_2addr_b64 v174, v[40:41], v[42:43] offset0:60 offset1:61
	ds_store_2addr_b64 v174, v[36:37], v[38:39] offset0:62 offset1:63
	ds_store_2addr_b64 v174, v[32:33], v[34:35] offset0:64 offset1:65
	ds_store_2addr_b64 v174, v[28:29], v[30:31] offset0:66 offset1:67
	ds_store_2addr_b64 v174, v[24:25], v[26:27] offset0:68 offset1:69
	ds_store_2addr_b64 v174, v[20:21], v[22:23] offset0:70 offset1:71
	ds_store_2addr_b64 v174, v[16:17], v[18:19] offset0:72 offset1:73
	ds_store_2addr_b64 v174, v[12:13], v[14:15] offset0:74 offset1:75
	ds_store_2addr_b64 v174, v[8:9], v[10:11] offset0:76 offset1:77
	ds_store_2addr_b64 v174, v[4:5], v[6:7] offset0:78 offset1:79
	ds_store_2addr_b64 v174, v[0:1], v[2:3] offset0:80 offset1:81
.LBB80_354:
	s_or_b32 exec_lo, exec_lo, s2
	s_delay_alu instid0(SALU_CYCLE_1)
	s_mov_b32 s2, exec_lo
	s_waitcnt lgkmcnt(0)
	s_waitcnt_vscnt null, 0x0
	s_barrier
	buffer_gl0_inv
	v_cmpx_lt_i32_e32 16, v180
	s_cbranch_execz .LBB80_356
; %bb.355:
	v_mul_f64 v[172:173], v[166:167], v[98:99]
	v_mul_f64 v[98:99], v[164:165], v[98:99]
	s_delay_alu instid0(VALU_DEP_2) | instskip(NEXT) | instid1(VALU_DEP_2)
	v_fma_f64 v[172:173], v[164:165], v[96:97], -v[172:173]
	v_fma_f64 v[98:99], v[166:167], v[96:97], v[98:99]
	ds_load_2addr_b64 v[164:167], v174 offset0:34 offset1:35
	s_waitcnt lgkmcnt(0)
	v_mul_f64 v[96:97], v[166:167], v[98:99]
	s_delay_alu instid0(VALU_DEP_1) | instskip(SKIP_1) | instid1(VALU_DEP_2)
	v_fma_f64 v[96:97], v[164:165], v[172:173], -v[96:97]
	v_mul_f64 v[164:165], v[164:165], v[98:99]
	v_add_f64 v[92:93], v[92:93], -v[96:97]
	s_delay_alu instid0(VALU_DEP_2) | instskip(NEXT) | instid1(VALU_DEP_1)
	v_fma_f64 v[164:165], v[166:167], v[172:173], v[164:165]
	v_add_f64 v[94:95], v[94:95], -v[164:165]
	ds_load_2addr_b64 v[164:167], v174 offset0:36 offset1:37
	s_waitcnt lgkmcnt(0)
	v_mul_f64 v[96:97], v[166:167], v[98:99]
	s_delay_alu instid0(VALU_DEP_1) | instskip(SKIP_1) | instid1(VALU_DEP_2)
	v_fma_f64 v[96:97], v[164:165], v[172:173], -v[96:97]
	v_mul_f64 v[164:165], v[164:165], v[98:99]
	v_add_f64 v[88:89], v[88:89], -v[96:97]
	s_delay_alu instid0(VALU_DEP_2) | instskip(NEXT) | instid1(VALU_DEP_1)
	v_fma_f64 v[164:165], v[166:167], v[172:173], v[164:165]
	v_add_f64 v[90:91], v[90:91], -v[164:165]
	;; [unrolled: 10-line block ×23, first 2 shown]
	ds_load_2addr_b64 v[164:167], v174 offset0:80 offset1:81
	s_waitcnt lgkmcnt(0)
	v_mul_f64 v[96:97], v[166:167], v[98:99]
	s_delay_alu instid0(VALU_DEP_1) | instskip(SKIP_1) | instid1(VALU_DEP_2)
	v_fma_f64 v[96:97], v[164:165], v[172:173], -v[96:97]
	v_mul_f64 v[164:165], v[164:165], v[98:99]
	v_add_f64 v[0:1], v[0:1], -v[96:97]
	s_delay_alu instid0(VALU_DEP_2) | instskip(SKIP_1) | instid1(VALU_DEP_2)
	v_fma_f64 v[164:165], v[166:167], v[172:173], v[164:165]
	v_dual_mov_b32 v96, v172 :: v_dual_mov_b32 v97, v173
	v_add_f64 v[2:3], v[2:3], -v[164:165]
.LBB80_356:
	s_or_b32 exec_lo, exec_lo, s2
	v_lshl_add_u32 v164, v180, 4, v174
	s_barrier
	buffer_gl0_inv
	v_mov_b32_e32 v172, 17
	ds_store_2addr_b64 v164, v[92:93], v[94:95] offset1:1
	s_waitcnt lgkmcnt(0)
	s_barrier
	buffer_gl0_inv
	ds_load_2addr_b64 v[164:167], v174 offset0:34 offset1:35
	s_cmp_lt_i32 s5, 19
	s_cbranch_scc1 .LBB80_359
; %bb.357:
	v_add3_u32 v173, v178, 0, 0x120
	v_mov_b32_e32 v172, 17
	s_mov_b32 s6, 18
	s_set_inst_prefetch_distance 0x1
	.p2align	6
.LBB80_358:                             ; =>This Inner Loop Header: Depth=1
	ds_load_2addr_b64 v[181:184], v173 offset1:1
	s_waitcnt lgkmcnt(1)
	v_cmp_gt_f64_e32 vcc_lo, 0, v[164:165]
	v_xor_b32_e32 v185, 0x80000000, v165
	v_cmp_gt_f64_e64 s2, 0, v[166:167]
	v_xor_b32_e32 v187, 0x80000000, v167
	v_add_nc_u32_e32 v173, 16, v173
	s_waitcnt lgkmcnt(0)
	v_cmp_gt_f64_e64 s3, 0, v[181:182]
	v_mov_b32_e32 v189, v181
	v_dual_mov_b32 v191, v183 :: v_dual_cndmask_b32 v186, v165, v185
	v_xor_b32_e32 v185, 0x80000000, v182
	v_cndmask_b32_e64 v188, v167, v187, s2
	v_xor_b32_e32 v187, 0x80000000, v184
	s_delay_alu instid0(VALU_DEP_3) | instskip(SKIP_2) | instid1(VALU_DEP_2)
	v_cndmask_b32_e64 v190, v182, v185, s3
	v_cmp_gt_f64_e64 s3, 0, v[183:184]
	v_cndmask_b32_e32 v185, v164, v164, vcc_lo
	v_cndmask_b32_e64 v192, v184, v187, s3
	v_cndmask_b32_e64 v187, v166, v166, s2
	s_delay_alu instid0(VALU_DEP_2) | instskip(NEXT) | instid1(VALU_DEP_2)
	v_add_f64 v[189:190], v[189:190], v[191:192]
	v_add_f64 v[185:186], v[185:186], v[187:188]
	s_delay_alu instid0(VALU_DEP_1) | instskip(SKIP_4) | instid1(SALU_CYCLE_1)
	v_cmp_lt_f64_e32 vcc_lo, v[185:186], v[189:190]
	v_dual_cndmask_b32 v166, v166, v183 :: v_dual_cndmask_b32 v165, v165, v182
	v_dual_cndmask_b32 v164, v164, v181 :: v_dual_cndmask_b32 v167, v167, v184
	v_cndmask_b32_e64 v172, v172, s6, vcc_lo
	s_add_i32 s6, s6, 1
	s_cmp_lg_u32 s5, s6
	s_cbranch_scc1 .LBB80_358
.LBB80_359:
	s_set_inst_prefetch_distance 0x2
	s_waitcnt lgkmcnt(0)
	v_cmp_eq_f64_e32 vcc_lo, 0, v[164:165]
	v_cmp_eq_f64_e64 s2, 0, v[166:167]
	s_delay_alu instid0(VALU_DEP_1) | instskip(NEXT) | instid1(SALU_CYCLE_1)
	s_and_b32 s2, vcc_lo, s2
	s_and_saveexec_b32 s3, s2
	s_delay_alu instid0(SALU_CYCLE_1)
	s_xor_b32 s2, exec_lo, s3
; %bb.360:
	v_cmp_ne_u32_e32 vcc_lo, 0, v177
	v_cndmask_b32_e32 v177, 18, v177, vcc_lo
; %bb.361:
	s_and_not1_saveexec_b32 s3, s2
	s_cbranch_execz .LBB80_367
; %bb.362:
	v_cmp_gt_f64_e32 vcc_lo, 0, v[164:165]
	v_cmp_gt_f64_e64 s2, 0, v[166:167]
	v_xor_b32_e32 v173, 0x80000000, v165
	v_xor_b32_e32 v181, 0x80000000, v167
	s_delay_alu instid0(VALU_DEP_2) | instskip(NEXT) | instid1(VALU_DEP_2)
	v_cndmask_b32_e32 v182, v165, v173, vcc_lo
	v_cndmask_b32_e64 v184, v167, v181, s2
	v_cndmask_b32_e32 v181, v164, v164, vcc_lo
	v_cndmask_b32_e64 v183, v166, v166, s2
	s_mov_b32 s2, exec_lo
	s_delay_alu instid0(VALU_DEP_1)
	v_cmpx_ngt_f64_e32 v[181:182], v[183:184]
	s_xor_b32 s2, exec_lo, s2
	s_cbranch_execz .LBB80_364
; %bb.363:
	v_div_scale_f64 v[181:182], null, v[166:167], v[166:167], v[164:165]
	v_div_scale_f64 v[187:188], vcc_lo, v[164:165], v[166:167], v[164:165]
	s_delay_alu instid0(VALU_DEP_2) | instskip(SKIP_2) | instid1(VALU_DEP_1)
	v_rcp_f64_e32 v[183:184], v[181:182]
	s_waitcnt_depctr 0xfff
	v_fma_f64 v[185:186], -v[181:182], v[183:184], 1.0
	v_fma_f64 v[183:184], v[183:184], v[185:186], v[183:184]
	s_delay_alu instid0(VALU_DEP_1) | instskip(NEXT) | instid1(VALU_DEP_1)
	v_fma_f64 v[185:186], -v[181:182], v[183:184], 1.0
	v_fma_f64 v[183:184], v[183:184], v[185:186], v[183:184]
	s_delay_alu instid0(VALU_DEP_1) | instskip(NEXT) | instid1(VALU_DEP_1)
	v_mul_f64 v[185:186], v[187:188], v[183:184]
	v_fma_f64 v[181:182], -v[181:182], v[185:186], v[187:188]
	s_delay_alu instid0(VALU_DEP_1) | instskip(NEXT) | instid1(VALU_DEP_1)
	v_div_fmas_f64 v[181:182], v[181:182], v[183:184], v[185:186]
	v_div_fixup_f64 v[181:182], v[181:182], v[166:167], v[164:165]
	s_delay_alu instid0(VALU_DEP_1) | instskip(NEXT) | instid1(VALU_DEP_1)
	v_fma_f64 v[164:165], v[164:165], v[181:182], v[166:167]
	v_div_scale_f64 v[166:167], null, v[164:165], v[164:165], 1.0
	s_delay_alu instid0(VALU_DEP_1) | instskip(SKIP_2) | instid1(VALU_DEP_1)
	v_rcp_f64_e32 v[183:184], v[166:167]
	s_waitcnt_depctr 0xfff
	v_fma_f64 v[185:186], -v[166:167], v[183:184], 1.0
	v_fma_f64 v[183:184], v[183:184], v[185:186], v[183:184]
	s_delay_alu instid0(VALU_DEP_1) | instskip(NEXT) | instid1(VALU_DEP_1)
	v_fma_f64 v[185:186], -v[166:167], v[183:184], 1.0
	v_fma_f64 v[183:184], v[183:184], v[185:186], v[183:184]
	v_div_scale_f64 v[185:186], vcc_lo, 1.0, v[164:165], 1.0
	s_delay_alu instid0(VALU_DEP_1) | instskip(NEXT) | instid1(VALU_DEP_1)
	v_mul_f64 v[187:188], v[185:186], v[183:184]
	v_fma_f64 v[166:167], -v[166:167], v[187:188], v[185:186]
	s_delay_alu instid0(VALU_DEP_1) | instskip(NEXT) | instid1(VALU_DEP_1)
	v_div_fmas_f64 v[166:167], v[166:167], v[183:184], v[187:188]
	v_div_fixup_f64 v[166:167], v[166:167], v[164:165], 1.0
	s_delay_alu instid0(VALU_DEP_1)
	v_mul_f64 v[164:165], v[181:182], v[166:167]
	v_xor_b32_e32 v167, 0x80000000, v167
.LBB80_364:
	s_and_not1_saveexec_b32 s2, s2
	s_cbranch_execz .LBB80_366
; %bb.365:
	s_delay_alu instid0(VALU_DEP_1) | instskip(SKIP_1) | instid1(VALU_DEP_2)
	v_div_scale_f64 v[181:182], null, v[164:165], v[164:165], v[166:167]
	v_div_scale_f64 v[187:188], vcc_lo, v[166:167], v[164:165], v[166:167]
	v_rcp_f64_e32 v[183:184], v[181:182]
	s_waitcnt_depctr 0xfff
	v_fma_f64 v[185:186], -v[181:182], v[183:184], 1.0
	s_delay_alu instid0(VALU_DEP_1) | instskip(NEXT) | instid1(VALU_DEP_1)
	v_fma_f64 v[183:184], v[183:184], v[185:186], v[183:184]
	v_fma_f64 v[185:186], -v[181:182], v[183:184], 1.0
	s_delay_alu instid0(VALU_DEP_1) | instskip(NEXT) | instid1(VALU_DEP_1)
	v_fma_f64 v[183:184], v[183:184], v[185:186], v[183:184]
	v_mul_f64 v[185:186], v[187:188], v[183:184]
	s_delay_alu instid0(VALU_DEP_1) | instskip(NEXT) | instid1(VALU_DEP_1)
	v_fma_f64 v[181:182], -v[181:182], v[185:186], v[187:188]
	v_div_fmas_f64 v[181:182], v[181:182], v[183:184], v[185:186]
	s_delay_alu instid0(VALU_DEP_1) | instskip(NEXT) | instid1(VALU_DEP_1)
	v_div_fixup_f64 v[181:182], v[181:182], v[164:165], v[166:167]
	v_fma_f64 v[164:165], v[166:167], v[181:182], v[164:165]
	s_delay_alu instid0(VALU_DEP_1) | instskip(NEXT) | instid1(VALU_DEP_1)
	v_div_scale_f64 v[166:167], null, v[164:165], v[164:165], 1.0
	v_rcp_f64_e32 v[183:184], v[166:167]
	s_waitcnt_depctr 0xfff
	v_fma_f64 v[185:186], -v[166:167], v[183:184], 1.0
	s_delay_alu instid0(VALU_DEP_1) | instskip(NEXT) | instid1(VALU_DEP_1)
	v_fma_f64 v[183:184], v[183:184], v[185:186], v[183:184]
	v_fma_f64 v[185:186], -v[166:167], v[183:184], 1.0
	s_delay_alu instid0(VALU_DEP_1) | instskip(SKIP_1) | instid1(VALU_DEP_1)
	v_fma_f64 v[183:184], v[183:184], v[185:186], v[183:184]
	v_div_scale_f64 v[185:186], vcc_lo, 1.0, v[164:165], 1.0
	v_mul_f64 v[187:188], v[185:186], v[183:184]
	s_delay_alu instid0(VALU_DEP_1) | instskip(NEXT) | instid1(VALU_DEP_1)
	v_fma_f64 v[166:167], -v[166:167], v[187:188], v[185:186]
	v_div_fmas_f64 v[166:167], v[166:167], v[183:184], v[187:188]
	s_delay_alu instid0(VALU_DEP_1) | instskip(NEXT) | instid1(VALU_DEP_1)
	v_div_fixup_f64 v[164:165], v[166:167], v[164:165], 1.0
	v_mul_f64 v[166:167], v[181:182], -v[164:165]
.LBB80_366:
	s_or_b32 exec_lo, exec_lo, s2
.LBB80_367:
	s_delay_alu instid0(SALU_CYCLE_1) | instskip(NEXT) | instid1(SALU_CYCLE_1)
	s_or_b32 exec_lo, exec_lo, s3
	s_mov_b32 s2, exec_lo
	v_cmpx_ne_u32_e64 v180, v172
	s_xor_b32 s2, exec_lo, s2
	s_cbranch_execz .LBB80_373
; %bb.368:
	s_mov_b32 s3, exec_lo
	v_cmpx_eq_u32_e32 17, v180
	s_cbranch_execz .LBB80_372
; %bb.369:
	v_cmp_ne_u32_e32 vcc_lo, 17, v172
	s_xor_b32 s6, s4, -1
	s_delay_alu instid0(SALU_CYCLE_1) | instskip(NEXT) | instid1(SALU_CYCLE_1)
	s_and_b32 s7, s6, vcc_lo
	s_and_saveexec_b32 s6, s7
	s_cbranch_execz .LBB80_371
; %bb.370:
	v_ashrrev_i32_e32 v173, 31, v172
	s_delay_alu instid0(VALU_DEP_1) | instskip(NEXT) | instid1(VALU_DEP_1)
	v_lshlrev_b64 v[179:180], 2, v[172:173]
	v_add_co_u32 v179, vcc_lo, v170, v179
	s_delay_alu instid0(VALU_DEP_2)
	v_add_co_ci_u32_e32 v180, vcc_lo, v171, v180, vcc_lo
	s_clause 0x1
	flat_load_b32 v173, v[179:180]
	flat_load_b32 v181, v[170:171] offset:68
	s_waitcnt vmcnt(1) lgkmcnt(1)
	flat_store_b32 v[170:171], v173 offset:68
	s_waitcnt vmcnt(0) lgkmcnt(1)
	flat_store_b32 v[179:180], v181
.LBB80_371:
	s_or_b32 exec_lo, exec_lo, s6
	v_mov_b32_e32 v180, v172
	v_mov_b32_e32 v179, v172
.LBB80_372:
	s_or_b32 exec_lo, exec_lo, s3
.LBB80_373:
	s_and_not1_saveexec_b32 s2, s2
	s_cbranch_execz .LBB80_375
; %bb.374:
	v_mov_b32_e32 v180, 17
	ds_store_2addr_b64 v174, v[88:89], v[90:91] offset0:36 offset1:37
	ds_store_2addr_b64 v174, v[84:85], v[86:87] offset0:38 offset1:39
	;; [unrolled: 1-line block ×23, first 2 shown]
.LBB80_375:
	s_or_b32 exec_lo, exec_lo, s2
	s_delay_alu instid0(SALU_CYCLE_1)
	s_mov_b32 s2, exec_lo
	s_waitcnt lgkmcnt(0)
	s_waitcnt_vscnt null, 0x0
	s_barrier
	buffer_gl0_inv
	v_cmpx_lt_i32_e32 17, v180
	s_cbranch_execz .LBB80_377
; %bb.376:
	v_mul_f64 v[172:173], v[166:167], v[94:95]
	v_mul_f64 v[94:95], v[164:165], v[94:95]
	s_delay_alu instid0(VALU_DEP_2) | instskip(NEXT) | instid1(VALU_DEP_2)
	v_fma_f64 v[172:173], v[164:165], v[92:93], -v[172:173]
	v_fma_f64 v[94:95], v[166:167], v[92:93], v[94:95]
	ds_load_2addr_b64 v[164:167], v174 offset0:36 offset1:37
	s_waitcnt lgkmcnt(0)
	v_mul_f64 v[92:93], v[166:167], v[94:95]
	s_delay_alu instid0(VALU_DEP_1) | instskip(SKIP_1) | instid1(VALU_DEP_2)
	v_fma_f64 v[92:93], v[164:165], v[172:173], -v[92:93]
	v_mul_f64 v[164:165], v[164:165], v[94:95]
	v_add_f64 v[88:89], v[88:89], -v[92:93]
	s_delay_alu instid0(VALU_DEP_2) | instskip(NEXT) | instid1(VALU_DEP_1)
	v_fma_f64 v[164:165], v[166:167], v[172:173], v[164:165]
	v_add_f64 v[90:91], v[90:91], -v[164:165]
	ds_load_2addr_b64 v[164:167], v174 offset0:38 offset1:39
	s_waitcnt lgkmcnt(0)
	v_mul_f64 v[92:93], v[166:167], v[94:95]
	s_delay_alu instid0(VALU_DEP_1) | instskip(SKIP_1) | instid1(VALU_DEP_2)
	v_fma_f64 v[92:93], v[164:165], v[172:173], -v[92:93]
	v_mul_f64 v[164:165], v[164:165], v[94:95]
	v_add_f64 v[84:85], v[84:85], -v[92:93]
	s_delay_alu instid0(VALU_DEP_2) | instskip(NEXT) | instid1(VALU_DEP_1)
	v_fma_f64 v[164:165], v[166:167], v[172:173], v[164:165]
	v_add_f64 v[86:87], v[86:87], -v[164:165]
	;; [unrolled: 10-line block ×22, first 2 shown]
	ds_load_2addr_b64 v[164:167], v174 offset0:80 offset1:81
	s_waitcnt lgkmcnt(0)
	v_mul_f64 v[92:93], v[166:167], v[94:95]
	s_delay_alu instid0(VALU_DEP_1) | instskip(SKIP_1) | instid1(VALU_DEP_2)
	v_fma_f64 v[92:93], v[164:165], v[172:173], -v[92:93]
	v_mul_f64 v[164:165], v[164:165], v[94:95]
	v_add_f64 v[0:1], v[0:1], -v[92:93]
	s_delay_alu instid0(VALU_DEP_2) | instskip(SKIP_1) | instid1(VALU_DEP_2)
	v_fma_f64 v[164:165], v[166:167], v[172:173], v[164:165]
	v_dual_mov_b32 v92, v172 :: v_dual_mov_b32 v93, v173
	v_add_f64 v[2:3], v[2:3], -v[164:165]
.LBB80_377:
	s_or_b32 exec_lo, exec_lo, s2
	v_lshl_add_u32 v164, v180, 4, v174
	s_barrier
	buffer_gl0_inv
	v_mov_b32_e32 v172, 18
	ds_store_2addr_b64 v164, v[88:89], v[90:91] offset1:1
	s_waitcnt lgkmcnt(0)
	s_barrier
	buffer_gl0_inv
	ds_load_2addr_b64 v[164:167], v174 offset0:36 offset1:37
	s_cmp_lt_i32 s5, 20
	s_cbranch_scc1 .LBB80_380
; %bb.378:
	v_add3_u32 v173, v178, 0, 0x130
	v_mov_b32_e32 v172, 18
	s_mov_b32 s6, 19
	s_set_inst_prefetch_distance 0x1
	.p2align	6
.LBB80_379:                             ; =>This Inner Loop Header: Depth=1
	ds_load_2addr_b64 v[181:184], v173 offset1:1
	s_waitcnt lgkmcnt(1)
	v_cmp_gt_f64_e32 vcc_lo, 0, v[164:165]
	v_xor_b32_e32 v185, 0x80000000, v165
	v_cmp_gt_f64_e64 s2, 0, v[166:167]
	v_xor_b32_e32 v187, 0x80000000, v167
	v_add_nc_u32_e32 v173, 16, v173
	s_waitcnt lgkmcnt(0)
	v_cmp_gt_f64_e64 s3, 0, v[181:182]
	v_mov_b32_e32 v189, v181
	v_dual_mov_b32 v191, v183 :: v_dual_cndmask_b32 v186, v165, v185
	v_xor_b32_e32 v185, 0x80000000, v182
	v_cndmask_b32_e64 v188, v167, v187, s2
	v_xor_b32_e32 v187, 0x80000000, v184
	s_delay_alu instid0(VALU_DEP_3) | instskip(SKIP_2) | instid1(VALU_DEP_2)
	v_cndmask_b32_e64 v190, v182, v185, s3
	v_cmp_gt_f64_e64 s3, 0, v[183:184]
	v_cndmask_b32_e32 v185, v164, v164, vcc_lo
	v_cndmask_b32_e64 v192, v184, v187, s3
	v_cndmask_b32_e64 v187, v166, v166, s2
	s_delay_alu instid0(VALU_DEP_2) | instskip(NEXT) | instid1(VALU_DEP_2)
	v_add_f64 v[189:190], v[189:190], v[191:192]
	v_add_f64 v[185:186], v[185:186], v[187:188]
	s_delay_alu instid0(VALU_DEP_1) | instskip(SKIP_4) | instid1(SALU_CYCLE_1)
	v_cmp_lt_f64_e32 vcc_lo, v[185:186], v[189:190]
	v_dual_cndmask_b32 v166, v166, v183 :: v_dual_cndmask_b32 v165, v165, v182
	v_dual_cndmask_b32 v164, v164, v181 :: v_dual_cndmask_b32 v167, v167, v184
	v_cndmask_b32_e64 v172, v172, s6, vcc_lo
	s_add_i32 s6, s6, 1
	s_cmp_lg_u32 s5, s6
	s_cbranch_scc1 .LBB80_379
.LBB80_380:
	s_set_inst_prefetch_distance 0x2
	s_waitcnt lgkmcnt(0)
	v_cmp_eq_f64_e32 vcc_lo, 0, v[164:165]
	v_cmp_eq_f64_e64 s2, 0, v[166:167]
	s_delay_alu instid0(VALU_DEP_1) | instskip(NEXT) | instid1(SALU_CYCLE_1)
	s_and_b32 s2, vcc_lo, s2
	s_and_saveexec_b32 s3, s2
	s_delay_alu instid0(SALU_CYCLE_1)
	s_xor_b32 s2, exec_lo, s3
; %bb.381:
	v_cmp_ne_u32_e32 vcc_lo, 0, v177
	v_cndmask_b32_e32 v177, 19, v177, vcc_lo
; %bb.382:
	s_and_not1_saveexec_b32 s3, s2
	s_cbranch_execz .LBB80_388
; %bb.383:
	v_cmp_gt_f64_e32 vcc_lo, 0, v[164:165]
	v_cmp_gt_f64_e64 s2, 0, v[166:167]
	v_xor_b32_e32 v173, 0x80000000, v165
	v_xor_b32_e32 v181, 0x80000000, v167
	s_delay_alu instid0(VALU_DEP_2) | instskip(NEXT) | instid1(VALU_DEP_2)
	v_cndmask_b32_e32 v182, v165, v173, vcc_lo
	v_cndmask_b32_e64 v184, v167, v181, s2
	v_cndmask_b32_e32 v181, v164, v164, vcc_lo
	v_cndmask_b32_e64 v183, v166, v166, s2
	s_mov_b32 s2, exec_lo
	s_delay_alu instid0(VALU_DEP_1)
	v_cmpx_ngt_f64_e32 v[181:182], v[183:184]
	s_xor_b32 s2, exec_lo, s2
	s_cbranch_execz .LBB80_385
; %bb.384:
	v_div_scale_f64 v[181:182], null, v[166:167], v[166:167], v[164:165]
	v_div_scale_f64 v[187:188], vcc_lo, v[164:165], v[166:167], v[164:165]
	s_delay_alu instid0(VALU_DEP_2) | instskip(SKIP_2) | instid1(VALU_DEP_1)
	v_rcp_f64_e32 v[183:184], v[181:182]
	s_waitcnt_depctr 0xfff
	v_fma_f64 v[185:186], -v[181:182], v[183:184], 1.0
	v_fma_f64 v[183:184], v[183:184], v[185:186], v[183:184]
	s_delay_alu instid0(VALU_DEP_1) | instskip(NEXT) | instid1(VALU_DEP_1)
	v_fma_f64 v[185:186], -v[181:182], v[183:184], 1.0
	v_fma_f64 v[183:184], v[183:184], v[185:186], v[183:184]
	s_delay_alu instid0(VALU_DEP_1) | instskip(NEXT) | instid1(VALU_DEP_1)
	v_mul_f64 v[185:186], v[187:188], v[183:184]
	v_fma_f64 v[181:182], -v[181:182], v[185:186], v[187:188]
	s_delay_alu instid0(VALU_DEP_1) | instskip(NEXT) | instid1(VALU_DEP_1)
	v_div_fmas_f64 v[181:182], v[181:182], v[183:184], v[185:186]
	v_div_fixup_f64 v[181:182], v[181:182], v[166:167], v[164:165]
	s_delay_alu instid0(VALU_DEP_1) | instskip(NEXT) | instid1(VALU_DEP_1)
	v_fma_f64 v[164:165], v[164:165], v[181:182], v[166:167]
	v_div_scale_f64 v[166:167], null, v[164:165], v[164:165], 1.0
	s_delay_alu instid0(VALU_DEP_1) | instskip(SKIP_2) | instid1(VALU_DEP_1)
	v_rcp_f64_e32 v[183:184], v[166:167]
	s_waitcnt_depctr 0xfff
	v_fma_f64 v[185:186], -v[166:167], v[183:184], 1.0
	v_fma_f64 v[183:184], v[183:184], v[185:186], v[183:184]
	s_delay_alu instid0(VALU_DEP_1) | instskip(NEXT) | instid1(VALU_DEP_1)
	v_fma_f64 v[185:186], -v[166:167], v[183:184], 1.0
	v_fma_f64 v[183:184], v[183:184], v[185:186], v[183:184]
	v_div_scale_f64 v[185:186], vcc_lo, 1.0, v[164:165], 1.0
	s_delay_alu instid0(VALU_DEP_1) | instskip(NEXT) | instid1(VALU_DEP_1)
	v_mul_f64 v[187:188], v[185:186], v[183:184]
	v_fma_f64 v[166:167], -v[166:167], v[187:188], v[185:186]
	s_delay_alu instid0(VALU_DEP_1) | instskip(NEXT) | instid1(VALU_DEP_1)
	v_div_fmas_f64 v[166:167], v[166:167], v[183:184], v[187:188]
	v_div_fixup_f64 v[166:167], v[166:167], v[164:165], 1.0
	s_delay_alu instid0(VALU_DEP_1)
	v_mul_f64 v[164:165], v[181:182], v[166:167]
	v_xor_b32_e32 v167, 0x80000000, v167
.LBB80_385:
	s_and_not1_saveexec_b32 s2, s2
	s_cbranch_execz .LBB80_387
; %bb.386:
	s_delay_alu instid0(VALU_DEP_1) | instskip(SKIP_1) | instid1(VALU_DEP_2)
	v_div_scale_f64 v[181:182], null, v[164:165], v[164:165], v[166:167]
	v_div_scale_f64 v[187:188], vcc_lo, v[166:167], v[164:165], v[166:167]
	v_rcp_f64_e32 v[183:184], v[181:182]
	s_waitcnt_depctr 0xfff
	v_fma_f64 v[185:186], -v[181:182], v[183:184], 1.0
	s_delay_alu instid0(VALU_DEP_1) | instskip(NEXT) | instid1(VALU_DEP_1)
	v_fma_f64 v[183:184], v[183:184], v[185:186], v[183:184]
	v_fma_f64 v[185:186], -v[181:182], v[183:184], 1.0
	s_delay_alu instid0(VALU_DEP_1) | instskip(NEXT) | instid1(VALU_DEP_1)
	v_fma_f64 v[183:184], v[183:184], v[185:186], v[183:184]
	v_mul_f64 v[185:186], v[187:188], v[183:184]
	s_delay_alu instid0(VALU_DEP_1) | instskip(NEXT) | instid1(VALU_DEP_1)
	v_fma_f64 v[181:182], -v[181:182], v[185:186], v[187:188]
	v_div_fmas_f64 v[181:182], v[181:182], v[183:184], v[185:186]
	s_delay_alu instid0(VALU_DEP_1) | instskip(NEXT) | instid1(VALU_DEP_1)
	v_div_fixup_f64 v[181:182], v[181:182], v[164:165], v[166:167]
	v_fma_f64 v[164:165], v[166:167], v[181:182], v[164:165]
	s_delay_alu instid0(VALU_DEP_1) | instskip(NEXT) | instid1(VALU_DEP_1)
	v_div_scale_f64 v[166:167], null, v[164:165], v[164:165], 1.0
	v_rcp_f64_e32 v[183:184], v[166:167]
	s_waitcnt_depctr 0xfff
	v_fma_f64 v[185:186], -v[166:167], v[183:184], 1.0
	s_delay_alu instid0(VALU_DEP_1) | instskip(NEXT) | instid1(VALU_DEP_1)
	v_fma_f64 v[183:184], v[183:184], v[185:186], v[183:184]
	v_fma_f64 v[185:186], -v[166:167], v[183:184], 1.0
	s_delay_alu instid0(VALU_DEP_1) | instskip(SKIP_1) | instid1(VALU_DEP_1)
	v_fma_f64 v[183:184], v[183:184], v[185:186], v[183:184]
	v_div_scale_f64 v[185:186], vcc_lo, 1.0, v[164:165], 1.0
	v_mul_f64 v[187:188], v[185:186], v[183:184]
	s_delay_alu instid0(VALU_DEP_1) | instskip(NEXT) | instid1(VALU_DEP_1)
	v_fma_f64 v[166:167], -v[166:167], v[187:188], v[185:186]
	v_div_fmas_f64 v[166:167], v[166:167], v[183:184], v[187:188]
	s_delay_alu instid0(VALU_DEP_1) | instskip(NEXT) | instid1(VALU_DEP_1)
	v_div_fixup_f64 v[164:165], v[166:167], v[164:165], 1.0
	v_mul_f64 v[166:167], v[181:182], -v[164:165]
.LBB80_387:
	s_or_b32 exec_lo, exec_lo, s2
.LBB80_388:
	s_delay_alu instid0(SALU_CYCLE_1) | instskip(NEXT) | instid1(SALU_CYCLE_1)
	s_or_b32 exec_lo, exec_lo, s3
	s_mov_b32 s2, exec_lo
	v_cmpx_ne_u32_e64 v180, v172
	s_xor_b32 s2, exec_lo, s2
	s_cbranch_execz .LBB80_394
; %bb.389:
	s_mov_b32 s3, exec_lo
	v_cmpx_eq_u32_e32 18, v180
	s_cbranch_execz .LBB80_393
; %bb.390:
	v_cmp_ne_u32_e32 vcc_lo, 18, v172
	s_xor_b32 s6, s4, -1
	s_delay_alu instid0(SALU_CYCLE_1) | instskip(NEXT) | instid1(SALU_CYCLE_1)
	s_and_b32 s7, s6, vcc_lo
	s_and_saveexec_b32 s6, s7
	s_cbranch_execz .LBB80_392
; %bb.391:
	v_ashrrev_i32_e32 v173, 31, v172
	s_delay_alu instid0(VALU_DEP_1) | instskip(NEXT) | instid1(VALU_DEP_1)
	v_lshlrev_b64 v[179:180], 2, v[172:173]
	v_add_co_u32 v179, vcc_lo, v170, v179
	s_delay_alu instid0(VALU_DEP_2)
	v_add_co_ci_u32_e32 v180, vcc_lo, v171, v180, vcc_lo
	s_clause 0x1
	flat_load_b32 v173, v[179:180]
	flat_load_b32 v181, v[170:171] offset:72
	s_waitcnt vmcnt(1) lgkmcnt(1)
	flat_store_b32 v[170:171], v173 offset:72
	s_waitcnt vmcnt(0) lgkmcnt(1)
	flat_store_b32 v[179:180], v181
.LBB80_392:
	s_or_b32 exec_lo, exec_lo, s6
	v_mov_b32_e32 v180, v172
	v_mov_b32_e32 v179, v172
.LBB80_393:
	s_or_b32 exec_lo, exec_lo, s3
.LBB80_394:
	s_and_not1_saveexec_b32 s2, s2
	s_cbranch_execz .LBB80_396
; %bb.395:
	v_mov_b32_e32 v180, 18
	ds_store_2addr_b64 v174, v[84:85], v[86:87] offset0:38 offset1:39
	ds_store_2addr_b64 v174, v[80:81], v[82:83] offset0:40 offset1:41
	;; [unrolled: 1-line block ×22, first 2 shown]
.LBB80_396:
	s_or_b32 exec_lo, exec_lo, s2
	s_delay_alu instid0(SALU_CYCLE_1)
	s_mov_b32 s2, exec_lo
	s_waitcnt lgkmcnt(0)
	s_waitcnt_vscnt null, 0x0
	s_barrier
	buffer_gl0_inv
	v_cmpx_lt_i32_e32 18, v180
	s_cbranch_execz .LBB80_398
; %bb.397:
	v_mul_f64 v[172:173], v[166:167], v[90:91]
	v_mul_f64 v[90:91], v[164:165], v[90:91]
	s_delay_alu instid0(VALU_DEP_2) | instskip(NEXT) | instid1(VALU_DEP_2)
	v_fma_f64 v[172:173], v[164:165], v[88:89], -v[172:173]
	v_fma_f64 v[90:91], v[166:167], v[88:89], v[90:91]
	ds_load_2addr_b64 v[164:167], v174 offset0:38 offset1:39
	s_waitcnt lgkmcnt(0)
	v_mul_f64 v[88:89], v[166:167], v[90:91]
	s_delay_alu instid0(VALU_DEP_1) | instskip(SKIP_1) | instid1(VALU_DEP_2)
	v_fma_f64 v[88:89], v[164:165], v[172:173], -v[88:89]
	v_mul_f64 v[164:165], v[164:165], v[90:91]
	v_add_f64 v[84:85], v[84:85], -v[88:89]
	s_delay_alu instid0(VALU_DEP_2) | instskip(NEXT) | instid1(VALU_DEP_1)
	v_fma_f64 v[164:165], v[166:167], v[172:173], v[164:165]
	v_add_f64 v[86:87], v[86:87], -v[164:165]
	ds_load_2addr_b64 v[164:167], v174 offset0:40 offset1:41
	s_waitcnt lgkmcnt(0)
	v_mul_f64 v[88:89], v[166:167], v[90:91]
	s_delay_alu instid0(VALU_DEP_1) | instskip(SKIP_1) | instid1(VALU_DEP_2)
	v_fma_f64 v[88:89], v[164:165], v[172:173], -v[88:89]
	v_mul_f64 v[164:165], v[164:165], v[90:91]
	v_add_f64 v[80:81], v[80:81], -v[88:89]
	s_delay_alu instid0(VALU_DEP_2) | instskip(NEXT) | instid1(VALU_DEP_1)
	v_fma_f64 v[164:165], v[166:167], v[172:173], v[164:165]
	v_add_f64 v[82:83], v[82:83], -v[164:165]
	;; [unrolled: 10-line block ×21, first 2 shown]
	ds_load_2addr_b64 v[164:167], v174 offset0:80 offset1:81
	s_waitcnt lgkmcnt(0)
	v_mul_f64 v[88:89], v[166:167], v[90:91]
	s_delay_alu instid0(VALU_DEP_1) | instskip(SKIP_1) | instid1(VALU_DEP_2)
	v_fma_f64 v[88:89], v[164:165], v[172:173], -v[88:89]
	v_mul_f64 v[164:165], v[164:165], v[90:91]
	v_add_f64 v[0:1], v[0:1], -v[88:89]
	s_delay_alu instid0(VALU_DEP_2) | instskip(SKIP_1) | instid1(VALU_DEP_2)
	v_fma_f64 v[164:165], v[166:167], v[172:173], v[164:165]
	v_dual_mov_b32 v88, v172 :: v_dual_mov_b32 v89, v173
	v_add_f64 v[2:3], v[2:3], -v[164:165]
.LBB80_398:
	s_or_b32 exec_lo, exec_lo, s2
	v_lshl_add_u32 v164, v180, 4, v174
	s_barrier
	buffer_gl0_inv
	v_mov_b32_e32 v172, 19
	ds_store_2addr_b64 v164, v[84:85], v[86:87] offset1:1
	s_waitcnt lgkmcnt(0)
	s_barrier
	buffer_gl0_inv
	ds_load_2addr_b64 v[164:167], v174 offset0:38 offset1:39
	s_cmp_lt_i32 s5, 21
	s_cbranch_scc1 .LBB80_401
; %bb.399:
	v_add3_u32 v173, v178, 0, 0x140
	v_mov_b32_e32 v172, 19
	s_mov_b32 s6, 20
	s_set_inst_prefetch_distance 0x1
	.p2align	6
.LBB80_400:                             ; =>This Inner Loop Header: Depth=1
	ds_load_2addr_b64 v[181:184], v173 offset1:1
	s_waitcnt lgkmcnt(1)
	v_cmp_gt_f64_e32 vcc_lo, 0, v[164:165]
	v_xor_b32_e32 v185, 0x80000000, v165
	v_cmp_gt_f64_e64 s2, 0, v[166:167]
	v_xor_b32_e32 v187, 0x80000000, v167
	v_add_nc_u32_e32 v173, 16, v173
	s_waitcnt lgkmcnt(0)
	v_cmp_gt_f64_e64 s3, 0, v[181:182]
	v_mov_b32_e32 v189, v181
	v_dual_mov_b32 v191, v183 :: v_dual_cndmask_b32 v186, v165, v185
	v_xor_b32_e32 v185, 0x80000000, v182
	v_cndmask_b32_e64 v188, v167, v187, s2
	v_xor_b32_e32 v187, 0x80000000, v184
	s_delay_alu instid0(VALU_DEP_3) | instskip(SKIP_2) | instid1(VALU_DEP_2)
	v_cndmask_b32_e64 v190, v182, v185, s3
	v_cmp_gt_f64_e64 s3, 0, v[183:184]
	v_cndmask_b32_e32 v185, v164, v164, vcc_lo
	v_cndmask_b32_e64 v192, v184, v187, s3
	v_cndmask_b32_e64 v187, v166, v166, s2
	s_delay_alu instid0(VALU_DEP_2) | instskip(NEXT) | instid1(VALU_DEP_2)
	v_add_f64 v[189:190], v[189:190], v[191:192]
	v_add_f64 v[185:186], v[185:186], v[187:188]
	s_delay_alu instid0(VALU_DEP_1) | instskip(SKIP_4) | instid1(SALU_CYCLE_1)
	v_cmp_lt_f64_e32 vcc_lo, v[185:186], v[189:190]
	v_dual_cndmask_b32 v166, v166, v183 :: v_dual_cndmask_b32 v165, v165, v182
	v_dual_cndmask_b32 v164, v164, v181 :: v_dual_cndmask_b32 v167, v167, v184
	v_cndmask_b32_e64 v172, v172, s6, vcc_lo
	s_add_i32 s6, s6, 1
	s_cmp_lg_u32 s5, s6
	s_cbranch_scc1 .LBB80_400
.LBB80_401:
	s_set_inst_prefetch_distance 0x2
	s_waitcnt lgkmcnt(0)
	v_cmp_eq_f64_e32 vcc_lo, 0, v[164:165]
	v_cmp_eq_f64_e64 s2, 0, v[166:167]
	s_delay_alu instid0(VALU_DEP_1) | instskip(NEXT) | instid1(SALU_CYCLE_1)
	s_and_b32 s2, vcc_lo, s2
	s_and_saveexec_b32 s3, s2
	s_delay_alu instid0(SALU_CYCLE_1)
	s_xor_b32 s2, exec_lo, s3
; %bb.402:
	v_cmp_ne_u32_e32 vcc_lo, 0, v177
	v_cndmask_b32_e32 v177, 20, v177, vcc_lo
; %bb.403:
	s_and_not1_saveexec_b32 s3, s2
	s_cbranch_execz .LBB80_409
; %bb.404:
	v_cmp_gt_f64_e32 vcc_lo, 0, v[164:165]
	v_cmp_gt_f64_e64 s2, 0, v[166:167]
	v_xor_b32_e32 v173, 0x80000000, v165
	v_xor_b32_e32 v181, 0x80000000, v167
	s_delay_alu instid0(VALU_DEP_2) | instskip(NEXT) | instid1(VALU_DEP_2)
	v_cndmask_b32_e32 v182, v165, v173, vcc_lo
	v_cndmask_b32_e64 v184, v167, v181, s2
	v_cndmask_b32_e32 v181, v164, v164, vcc_lo
	v_cndmask_b32_e64 v183, v166, v166, s2
	s_mov_b32 s2, exec_lo
	s_delay_alu instid0(VALU_DEP_1)
	v_cmpx_ngt_f64_e32 v[181:182], v[183:184]
	s_xor_b32 s2, exec_lo, s2
	s_cbranch_execz .LBB80_406
; %bb.405:
	v_div_scale_f64 v[181:182], null, v[166:167], v[166:167], v[164:165]
	v_div_scale_f64 v[187:188], vcc_lo, v[164:165], v[166:167], v[164:165]
	s_delay_alu instid0(VALU_DEP_2) | instskip(SKIP_2) | instid1(VALU_DEP_1)
	v_rcp_f64_e32 v[183:184], v[181:182]
	s_waitcnt_depctr 0xfff
	v_fma_f64 v[185:186], -v[181:182], v[183:184], 1.0
	v_fma_f64 v[183:184], v[183:184], v[185:186], v[183:184]
	s_delay_alu instid0(VALU_DEP_1) | instskip(NEXT) | instid1(VALU_DEP_1)
	v_fma_f64 v[185:186], -v[181:182], v[183:184], 1.0
	v_fma_f64 v[183:184], v[183:184], v[185:186], v[183:184]
	s_delay_alu instid0(VALU_DEP_1) | instskip(NEXT) | instid1(VALU_DEP_1)
	v_mul_f64 v[185:186], v[187:188], v[183:184]
	v_fma_f64 v[181:182], -v[181:182], v[185:186], v[187:188]
	s_delay_alu instid0(VALU_DEP_1) | instskip(NEXT) | instid1(VALU_DEP_1)
	v_div_fmas_f64 v[181:182], v[181:182], v[183:184], v[185:186]
	v_div_fixup_f64 v[181:182], v[181:182], v[166:167], v[164:165]
	s_delay_alu instid0(VALU_DEP_1) | instskip(NEXT) | instid1(VALU_DEP_1)
	v_fma_f64 v[164:165], v[164:165], v[181:182], v[166:167]
	v_div_scale_f64 v[166:167], null, v[164:165], v[164:165], 1.0
	s_delay_alu instid0(VALU_DEP_1) | instskip(SKIP_2) | instid1(VALU_DEP_1)
	v_rcp_f64_e32 v[183:184], v[166:167]
	s_waitcnt_depctr 0xfff
	v_fma_f64 v[185:186], -v[166:167], v[183:184], 1.0
	v_fma_f64 v[183:184], v[183:184], v[185:186], v[183:184]
	s_delay_alu instid0(VALU_DEP_1) | instskip(NEXT) | instid1(VALU_DEP_1)
	v_fma_f64 v[185:186], -v[166:167], v[183:184], 1.0
	v_fma_f64 v[183:184], v[183:184], v[185:186], v[183:184]
	v_div_scale_f64 v[185:186], vcc_lo, 1.0, v[164:165], 1.0
	s_delay_alu instid0(VALU_DEP_1) | instskip(NEXT) | instid1(VALU_DEP_1)
	v_mul_f64 v[187:188], v[185:186], v[183:184]
	v_fma_f64 v[166:167], -v[166:167], v[187:188], v[185:186]
	s_delay_alu instid0(VALU_DEP_1) | instskip(NEXT) | instid1(VALU_DEP_1)
	v_div_fmas_f64 v[166:167], v[166:167], v[183:184], v[187:188]
	v_div_fixup_f64 v[166:167], v[166:167], v[164:165], 1.0
	s_delay_alu instid0(VALU_DEP_1)
	v_mul_f64 v[164:165], v[181:182], v[166:167]
	v_xor_b32_e32 v167, 0x80000000, v167
.LBB80_406:
	s_and_not1_saveexec_b32 s2, s2
	s_cbranch_execz .LBB80_408
; %bb.407:
	s_delay_alu instid0(VALU_DEP_1) | instskip(SKIP_1) | instid1(VALU_DEP_2)
	v_div_scale_f64 v[181:182], null, v[164:165], v[164:165], v[166:167]
	v_div_scale_f64 v[187:188], vcc_lo, v[166:167], v[164:165], v[166:167]
	v_rcp_f64_e32 v[183:184], v[181:182]
	s_waitcnt_depctr 0xfff
	v_fma_f64 v[185:186], -v[181:182], v[183:184], 1.0
	s_delay_alu instid0(VALU_DEP_1) | instskip(NEXT) | instid1(VALU_DEP_1)
	v_fma_f64 v[183:184], v[183:184], v[185:186], v[183:184]
	v_fma_f64 v[185:186], -v[181:182], v[183:184], 1.0
	s_delay_alu instid0(VALU_DEP_1) | instskip(NEXT) | instid1(VALU_DEP_1)
	v_fma_f64 v[183:184], v[183:184], v[185:186], v[183:184]
	v_mul_f64 v[185:186], v[187:188], v[183:184]
	s_delay_alu instid0(VALU_DEP_1) | instskip(NEXT) | instid1(VALU_DEP_1)
	v_fma_f64 v[181:182], -v[181:182], v[185:186], v[187:188]
	v_div_fmas_f64 v[181:182], v[181:182], v[183:184], v[185:186]
	s_delay_alu instid0(VALU_DEP_1) | instskip(NEXT) | instid1(VALU_DEP_1)
	v_div_fixup_f64 v[181:182], v[181:182], v[164:165], v[166:167]
	v_fma_f64 v[164:165], v[166:167], v[181:182], v[164:165]
	s_delay_alu instid0(VALU_DEP_1) | instskip(NEXT) | instid1(VALU_DEP_1)
	v_div_scale_f64 v[166:167], null, v[164:165], v[164:165], 1.0
	v_rcp_f64_e32 v[183:184], v[166:167]
	s_waitcnt_depctr 0xfff
	v_fma_f64 v[185:186], -v[166:167], v[183:184], 1.0
	s_delay_alu instid0(VALU_DEP_1) | instskip(NEXT) | instid1(VALU_DEP_1)
	v_fma_f64 v[183:184], v[183:184], v[185:186], v[183:184]
	v_fma_f64 v[185:186], -v[166:167], v[183:184], 1.0
	s_delay_alu instid0(VALU_DEP_1) | instskip(SKIP_1) | instid1(VALU_DEP_1)
	v_fma_f64 v[183:184], v[183:184], v[185:186], v[183:184]
	v_div_scale_f64 v[185:186], vcc_lo, 1.0, v[164:165], 1.0
	v_mul_f64 v[187:188], v[185:186], v[183:184]
	s_delay_alu instid0(VALU_DEP_1) | instskip(NEXT) | instid1(VALU_DEP_1)
	v_fma_f64 v[166:167], -v[166:167], v[187:188], v[185:186]
	v_div_fmas_f64 v[166:167], v[166:167], v[183:184], v[187:188]
	s_delay_alu instid0(VALU_DEP_1) | instskip(NEXT) | instid1(VALU_DEP_1)
	v_div_fixup_f64 v[164:165], v[166:167], v[164:165], 1.0
	v_mul_f64 v[166:167], v[181:182], -v[164:165]
.LBB80_408:
	s_or_b32 exec_lo, exec_lo, s2
.LBB80_409:
	s_delay_alu instid0(SALU_CYCLE_1) | instskip(NEXT) | instid1(SALU_CYCLE_1)
	s_or_b32 exec_lo, exec_lo, s3
	s_mov_b32 s2, exec_lo
	v_cmpx_ne_u32_e64 v180, v172
	s_xor_b32 s2, exec_lo, s2
	s_cbranch_execz .LBB80_415
; %bb.410:
	s_mov_b32 s3, exec_lo
	v_cmpx_eq_u32_e32 19, v180
	s_cbranch_execz .LBB80_414
; %bb.411:
	v_cmp_ne_u32_e32 vcc_lo, 19, v172
	s_xor_b32 s6, s4, -1
	s_delay_alu instid0(SALU_CYCLE_1) | instskip(NEXT) | instid1(SALU_CYCLE_1)
	s_and_b32 s7, s6, vcc_lo
	s_and_saveexec_b32 s6, s7
	s_cbranch_execz .LBB80_413
; %bb.412:
	v_ashrrev_i32_e32 v173, 31, v172
	s_delay_alu instid0(VALU_DEP_1) | instskip(NEXT) | instid1(VALU_DEP_1)
	v_lshlrev_b64 v[179:180], 2, v[172:173]
	v_add_co_u32 v179, vcc_lo, v170, v179
	s_delay_alu instid0(VALU_DEP_2)
	v_add_co_ci_u32_e32 v180, vcc_lo, v171, v180, vcc_lo
	s_clause 0x1
	flat_load_b32 v173, v[179:180]
	flat_load_b32 v181, v[170:171] offset:76
	s_waitcnt vmcnt(1) lgkmcnt(1)
	flat_store_b32 v[170:171], v173 offset:76
	s_waitcnt vmcnt(0) lgkmcnt(1)
	flat_store_b32 v[179:180], v181
.LBB80_413:
	s_or_b32 exec_lo, exec_lo, s6
	v_mov_b32_e32 v180, v172
	v_mov_b32_e32 v179, v172
.LBB80_414:
	s_or_b32 exec_lo, exec_lo, s3
.LBB80_415:
	s_and_not1_saveexec_b32 s2, s2
	s_cbranch_execz .LBB80_417
; %bb.416:
	v_mov_b32_e32 v180, 19
	ds_store_2addr_b64 v174, v[80:81], v[82:83] offset0:40 offset1:41
	ds_store_2addr_b64 v174, v[76:77], v[78:79] offset0:42 offset1:43
	;; [unrolled: 1-line block ×21, first 2 shown]
.LBB80_417:
	s_or_b32 exec_lo, exec_lo, s2
	s_delay_alu instid0(SALU_CYCLE_1)
	s_mov_b32 s2, exec_lo
	s_waitcnt lgkmcnt(0)
	s_waitcnt_vscnt null, 0x0
	s_barrier
	buffer_gl0_inv
	v_cmpx_lt_i32_e32 19, v180
	s_cbranch_execz .LBB80_419
; %bb.418:
	v_mul_f64 v[172:173], v[166:167], v[86:87]
	v_mul_f64 v[86:87], v[164:165], v[86:87]
	s_delay_alu instid0(VALU_DEP_2) | instskip(NEXT) | instid1(VALU_DEP_2)
	v_fma_f64 v[172:173], v[164:165], v[84:85], -v[172:173]
	v_fma_f64 v[86:87], v[166:167], v[84:85], v[86:87]
	ds_load_2addr_b64 v[164:167], v174 offset0:40 offset1:41
	s_waitcnt lgkmcnt(0)
	v_mul_f64 v[84:85], v[166:167], v[86:87]
	s_delay_alu instid0(VALU_DEP_1) | instskip(SKIP_1) | instid1(VALU_DEP_2)
	v_fma_f64 v[84:85], v[164:165], v[172:173], -v[84:85]
	v_mul_f64 v[164:165], v[164:165], v[86:87]
	v_add_f64 v[80:81], v[80:81], -v[84:85]
	s_delay_alu instid0(VALU_DEP_2) | instskip(NEXT) | instid1(VALU_DEP_1)
	v_fma_f64 v[164:165], v[166:167], v[172:173], v[164:165]
	v_add_f64 v[82:83], v[82:83], -v[164:165]
	ds_load_2addr_b64 v[164:167], v174 offset0:42 offset1:43
	s_waitcnt lgkmcnt(0)
	v_mul_f64 v[84:85], v[166:167], v[86:87]
	s_delay_alu instid0(VALU_DEP_1) | instskip(SKIP_1) | instid1(VALU_DEP_2)
	v_fma_f64 v[84:85], v[164:165], v[172:173], -v[84:85]
	v_mul_f64 v[164:165], v[164:165], v[86:87]
	v_add_f64 v[76:77], v[76:77], -v[84:85]
	s_delay_alu instid0(VALU_DEP_2) | instskip(NEXT) | instid1(VALU_DEP_1)
	v_fma_f64 v[164:165], v[166:167], v[172:173], v[164:165]
	v_add_f64 v[78:79], v[78:79], -v[164:165]
	;; [unrolled: 10-line block ×20, first 2 shown]
	ds_load_2addr_b64 v[164:167], v174 offset0:80 offset1:81
	s_waitcnt lgkmcnt(0)
	v_mul_f64 v[84:85], v[166:167], v[86:87]
	s_delay_alu instid0(VALU_DEP_1) | instskip(SKIP_1) | instid1(VALU_DEP_2)
	v_fma_f64 v[84:85], v[164:165], v[172:173], -v[84:85]
	v_mul_f64 v[164:165], v[164:165], v[86:87]
	v_add_f64 v[0:1], v[0:1], -v[84:85]
	s_delay_alu instid0(VALU_DEP_2) | instskip(SKIP_1) | instid1(VALU_DEP_2)
	v_fma_f64 v[164:165], v[166:167], v[172:173], v[164:165]
	v_dual_mov_b32 v84, v172 :: v_dual_mov_b32 v85, v173
	v_add_f64 v[2:3], v[2:3], -v[164:165]
.LBB80_419:
	s_or_b32 exec_lo, exec_lo, s2
	v_lshl_add_u32 v164, v180, 4, v174
	s_barrier
	buffer_gl0_inv
	v_mov_b32_e32 v172, 20
	ds_store_2addr_b64 v164, v[80:81], v[82:83] offset1:1
	s_waitcnt lgkmcnt(0)
	s_barrier
	buffer_gl0_inv
	ds_load_2addr_b64 v[164:167], v174 offset0:40 offset1:41
	s_cmp_lt_i32 s5, 22
	s_cbranch_scc1 .LBB80_422
; %bb.420:
	v_add3_u32 v173, v178, 0, 0x150
	v_mov_b32_e32 v172, 20
	s_mov_b32 s6, 21
	s_set_inst_prefetch_distance 0x1
	.p2align	6
.LBB80_421:                             ; =>This Inner Loop Header: Depth=1
	ds_load_2addr_b64 v[181:184], v173 offset1:1
	s_waitcnt lgkmcnt(1)
	v_cmp_gt_f64_e32 vcc_lo, 0, v[164:165]
	v_xor_b32_e32 v185, 0x80000000, v165
	v_cmp_gt_f64_e64 s2, 0, v[166:167]
	v_xor_b32_e32 v187, 0x80000000, v167
	v_add_nc_u32_e32 v173, 16, v173
	s_waitcnt lgkmcnt(0)
	v_cmp_gt_f64_e64 s3, 0, v[181:182]
	v_mov_b32_e32 v189, v181
	v_dual_mov_b32 v191, v183 :: v_dual_cndmask_b32 v186, v165, v185
	v_xor_b32_e32 v185, 0x80000000, v182
	v_cndmask_b32_e64 v188, v167, v187, s2
	v_xor_b32_e32 v187, 0x80000000, v184
	s_delay_alu instid0(VALU_DEP_3) | instskip(SKIP_2) | instid1(VALU_DEP_2)
	v_cndmask_b32_e64 v190, v182, v185, s3
	v_cmp_gt_f64_e64 s3, 0, v[183:184]
	v_cndmask_b32_e32 v185, v164, v164, vcc_lo
	v_cndmask_b32_e64 v192, v184, v187, s3
	v_cndmask_b32_e64 v187, v166, v166, s2
	s_delay_alu instid0(VALU_DEP_2) | instskip(NEXT) | instid1(VALU_DEP_2)
	v_add_f64 v[189:190], v[189:190], v[191:192]
	v_add_f64 v[185:186], v[185:186], v[187:188]
	s_delay_alu instid0(VALU_DEP_1) | instskip(SKIP_4) | instid1(SALU_CYCLE_1)
	v_cmp_lt_f64_e32 vcc_lo, v[185:186], v[189:190]
	v_dual_cndmask_b32 v166, v166, v183 :: v_dual_cndmask_b32 v165, v165, v182
	v_dual_cndmask_b32 v164, v164, v181 :: v_dual_cndmask_b32 v167, v167, v184
	v_cndmask_b32_e64 v172, v172, s6, vcc_lo
	s_add_i32 s6, s6, 1
	s_cmp_lg_u32 s5, s6
	s_cbranch_scc1 .LBB80_421
.LBB80_422:
	s_set_inst_prefetch_distance 0x2
	s_waitcnt lgkmcnt(0)
	v_cmp_eq_f64_e32 vcc_lo, 0, v[164:165]
	v_cmp_eq_f64_e64 s2, 0, v[166:167]
	s_delay_alu instid0(VALU_DEP_1) | instskip(NEXT) | instid1(SALU_CYCLE_1)
	s_and_b32 s2, vcc_lo, s2
	s_and_saveexec_b32 s3, s2
	s_delay_alu instid0(SALU_CYCLE_1)
	s_xor_b32 s2, exec_lo, s3
; %bb.423:
	v_cmp_ne_u32_e32 vcc_lo, 0, v177
	v_cndmask_b32_e32 v177, 21, v177, vcc_lo
; %bb.424:
	s_and_not1_saveexec_b32 s3, s2
	s_cbranch_execz .LBB80_430
; %bb.425:
	v_cmp_gt_f64_e32 vcc_lo, 0, v[164:165]
	v_cmp_gt_f64_e64 s2, 0, v[166:167]
	v_xor_b32_e32 v173, 0x80000000, v165
	v_xor_b32_e32 v181, 0x80000000, v167
	s_delay_alu instid0(VALU_DEP_2) | instskip(NEXT) | instid1(VALU_DEP_2)
	v_cndmask_b32_e32 v182, v165, v173, vcc_lo
	v_cndmask_b32_e64 v184, v167, v181, s2
	v_cndmask_b32_e32 v181, v164, v164, vcc_lo
	v_cndmask_b32_e64 v183, v166, v166, s2
	s_mov_b32 s2, exec_lo
	s_delay_alu instid0(VALU_DEP_1)
	v_cmpx_ngt_f64_e32 v[181:182], v[183:184]
	s_xor_b32 s2, exec_lo, s2
	s_cbranch_execz .LBB80_427
; %bb.426:
	v_div_scale_f64 v[181:182], null, v[166:167], v[166:167], v[164:165]
	v_div_scale_f64 v[187:188], vcc_lo, v[164:165], v[166:167], v[164:165]
	s_delay_alu instid0(VALU_DEP_2) | instskip(SKIP_2) | instid1(VALU_DEP_1)
	v_rcp_f64_e32 v[183:184], v[181:182]
	s_waitcnt_depctr 0xfff
	v_fma_f64 v[185:186], -v[181:182], v[183:184], 1.0
	v_fma_f64 v[183:184], v[183:184], v[185:186], v[183:184]
	s_delay_alu instid0(VALU_DEP_1) | instskip(NEXT) | instid1(VALU_DEP_1)
	v_fma_f64 v[185:186], -v[181:182], v[183:184], 1.0
	v_fma_f64 v[183:184], v[183:184], v[185:186], v[183:184]
	s_delay_alu instid0(VALU_DEP_1) | instskip(NEXT) | instid1(VALU_DEP_1)
	v_mul_f64 v[185:186], v[187:188], v[183:184]
	v_fma_f64 v[181:182], -v[181:182], v[185:186], v[187:188]
	s_delay_alu instid0(VALU_DEP_1) | instskip(NEXT) | instid1(VALU_DEP_1)
	v_div_fmas_f64 v[181:182], v[181:182], v[183:184], v[185:186]
	v_div_fixup_f64 v[181:182], v[181:182], v[166:167], v[164:165]
	s_delay_alu instid0(VALU_DEP_1) | instskip(NEXT) | instid1(VALU_DEP_1)
	v_fma_f64 v[164:165], v[164:165], v[181:182], v[166:167]
	v_div_scale_f64 v[166:167], null, v[164:165], v[164:165], 1.0
	s_delay_alu instid0(VALU_DEP_1) | instskip(SKIP_2) | instid1(VALU_DEP_1)
	v_rcp_f64_e32 v[183:184], v[166:167]
	s_waitcnt_depctr 0xfff
	v_fma_f64 v[185:186], -v[166:167], v[183:184], 1.0
	v_fma_f64 v[183:184], v[183:184], v[185:186], v[183:184]
	s_delay_alu instid0(VALU_DEP_1) | instskip(NEXT) | instid1(VALU_DEP_1)
	v_fma_f64 v[185:186], -v[166:167], v[183:184], 1.0
	v_fma_f64 v[183:184], v[183:184], v[185:186], v[183:184]
	v_div_scale_f64 v[185:186], vcc_lo, 1.0, v[164:165], 1.0
	s_delay_alu instid0(VALU_DEP_1) | instskip(NEXT) | instid1(VALU_DEP_1)
	v_mul_f64 v[187:188], v[185:186], v[183:184]
	v_fma_f64 v[166:167], -v[166:167], v[187:188], v[185:186]
	s_delay_alu instid0(VALU_DEP_1) | instskip(NEXT) | instid1(VALU_DEP_1)
	v_div_fmas_f64 v[166:167], v[166:167], v[183:184], v[187:188]
	v_div_fixup_f64 v[166:167], v[166:167], v[164:165], 1.0
	s_delay_alu instid0(VALU_DEP_1)
	v_mul_f64 v[164:165], v[181:182], v[166:167]
	v_xor_b32_e32 v167, 0x80000000, v167
.LBB80_427:
	s_and_not1_saveexec_b32 s2, s2
	s_cbranch_execz .LBB80_429
; %bb.428:
	s_delay_alu instid0(VALU_DEP_1) | instskip(SKIP_1) | instid1(VALU_DEP_2)
	v_div_scale_f64 v[181:182], null, v[164:165], v[164:165], v[166:167]
	v_div_scale_f64 v[187:188], vcc_lo, v[166:167], v[164:165], v[166:167]
	v_rcp_f64_e32 v[183:184], v[181:182]
	s_waitcnt_depctr 0xfff
	v_fma_f64 v[185:186], -v[181:182], v[183:184], 1.0
	s_delay_alu instid0(VALU_DEP_1) | instskip(NEXT) | instid1(VALU_DEP_1)
	v_fma_f64 v[183:184], v[183:184], v[185:186], v[183:184]
	v_fma_f64 v[185:186], -v[181:182], v[183:184], 1.0
	s_delay_alu instid0(VALU_DEP_1) | instskip(NEXT) | instid1(VALU_DEP_1)
	v_fma_f64 v[183:184], v[183:184], v[185:186], v[183:184]
	v_mul_f64 v[185:186], v[187:188], v[183:184]
	s_delay_alu instid0(VALU_DEP_1) | instskip(NEXT) | instid1(VALU_DEP_1)
	v_fma_f64 v[181:182], -v[181:182], v[185:186], v[187:188]
	v_div_fmas_f64 v[181:182], v[181:182], v[183:184], v[185:186]
	s_delay_alu instid0(VALU_DEP_1) | instskip(NEXT) | instid1(VALU_DEP_1)
	v_div_fixup_f64 v[181:182], v[181:182], v[164:165], v[166:167]
	v_fma_f64 v[164:165], v[166:167], v[181:182], v[164:165]
	s_delay_alu instid0(VALU_DEP_1) | instskip(NEXT) | instid1(VALU_DEP_1)
	v_div_scale_f64 v[166:167], null, v[164:165], v[164:165], 1.0
	v_rcp_f64_e32 v[183:184], v[166:167]
	s_waitcnt_depctr 0xfff
	v_fma_f64 v[185:186], -v[166:167], v[183:184], 1.0
	s_delay_alu instid0(VALU_DEP_1) | instskip(NEXT) | instid1(VALU_DEP_1)
	v_fma_f64 v[183:184], v[183:184], v[185:186], v[183:184]
	v_fma_f64 v[185:186], -v[166:167], v[183:184], 1.0
	s_delay_alu instid0(VALU_DEP_1) | instskip(SKIP_1) | instid1(VALU_DEP_1)
	v_fma_f64 v[183:184], v[183:184], v[185:186], v[183:184]
	v_div_scale_f64 v[185:186], vcc_lo, 1.0, v[164:165], 1.0
	v_mul_f64 v[187:188], v[185:186], v[183:184]
	s_delay_alu instid0(VALU_DEP_1) | instskip(NEXT) | instid1(VALU_DEP_1)
	v_fma_f64 v[166:167], -v[166:167], v[187:188], v[185:186]
	v_div_fmas_f64 v[166:167], v[166:167], v[183:184], v[187:188]
	s_delay_alu instid0(VALU_DEP_1) | instskip(NEXT) | instid1(VALU_DEP_1)
	v_div_fixup_f64 v[164:165], v[166:167], v[164:165], 1.0
	v_mul_f64 v[166:167], v[181:182], -v[164:165]
.LBB80_429:
	s_or_b32 exec_lo, exec_lo, s2
.LBB80_430:
	s_delay_alu instid0(SALU_CYCLE_1) | instskip(NEXT) | instid1(SALU_CYCLE_1)
	s_or_b32 exec_lo, exec_lo, s3
	s_mov_b32 s2, exec_lo
	v_cmpx_ne_u32_e64 v180, v172
	s_xor_b32 s2, exec_lo, s2
	s_cbranch_execz .LBB80_436
; %bb.431:
	s_mov_b32 s3, exec_lo
	v_cmpx_eq_u32_e32 20, v180
	s_cbranch_execz .LBB80_435
; %bb.432:
	v_cmp_ne_u32_e32 vcc_lo, 20, v172
	s_xor_b32 s6, s4, -1
	s_delay_alu instid0(SALU_CYCLE_1) | instskip(NEXT) | instid1(SALU_CYCLE_1)
	s_and_b32 s7, s6, vcc_lo
	s_and_saveexec_b32 s6, s7
	s_cbranch_execz .LBB80_434
; %bb.433:
	v_ashrrev_i32_e32 v173, 31, v172
	s_delay_alu instid0(VALU_DEP_1) | instskip(NEXT) | instid1(VALU_DEP_1)
	v_lshlrev_b64 v[179:180], 2, v[172:173]
	v_add_co_u32 v179, vcc_lo, v170, v179
	s_delay_alu instid0(VALU_DEP_2)
	v_add_co_ci_u32_e32 v180, vcc_lo, v171, v180, vcc_lo
	s_clause 0x1
	flat_load_b32 v173, v[179:180]
	flat_load_b32 v181, v[170:171] offset:80
	s_waitcnt vmcnt(1) lgkmcnt(1)
	flat_store_b32 v[170:171], v173 offset:80
	s_waitcnt vmcnt(0) lgkmcnt(1)
	flat_store_b32 v[179:180], v181
.LBB80_434:
	s_or_b32 exec_lo, exec_lo, s6
	v_mov_b32_e32 v180, v172
	v_mov_b32_e32 v179, v172
.LBB80_435:
	s_or_b32 exec_lo, exec_lo, s3
.LBB80_436:
	s_and_not1_saveexec_b32 s2, s2
	s_cbranch_execz .LBB80_438
; %bb.437:
	v_mov_b32_e32 v180, 20
	ds_store_2addr_b64 v174, v[76:77], v[78:79] offset0:42 offset1:43
	ds_store_2addr_b64 v174, v[72:73], v[74:75] offset0:44 offset1:45
	;; [unrolled: 1-line block ×20, first 2 shown]
.LBB80_438:
	s_or_b32 exec_lo, exec_lo, s2
	s_delay_alu instid0(SALU_CYCLE_1)
	s_mov_b32 s2, exec_lo
	s_waitcnt lgkmcnt(0)
	s_waitcnt_vscnt null, 0x0
	s_barrier
	buffer_gl0_inv
	v_cmpx_lt_i32_e32 20, v180
	s_cbranch_execz .LBB80_440
; %bb.439:
	v_mul_f64 v[172:173], v[166:167], v[82:83]
	v_mul_f64 v[82:83], v[164:165], v[82:83]
	s_delay_alu instid0(VALU_DEP_2) | instskip(NEXT) | instid1(VALU_DEP_2)
	v_fma_f64 v[172:173], v[164:165], v[80:81], -v[172:173]
	v_fma_f64 v[82:83], v[166:167], v[80:81], v[82:83]
	ds_load_2addr_b64 v[164:167], v174 offset0:42 offset1:43
	s_waitcnt lgkmcnt(0)
	v_mul_f64 v[80:81], v[166:167], v[82:83]
	s_delay_alu instid0(VALU_DEP_1) | instskip(SKIP_1) | instid1(VALU_DEP_2)
	v_fma_f64 v[80:81], v[164:165], v[172:173], -v[80:81]
	v_mul_f64 v[164:165], v[164:165], v[82:83]
	v_add_f64 v[76:77], v[76:77], -v[80:81]
	s_delay_alu instid0(VALU_DEP_2) | instskip(NEXT) | instid1(VALU_DEP_1)
	v_fma_f64 v[164:165], v[166:167], v[172:173], v[164:165]
	v_add_f64 v[78:79], v[78:79], -v[164:165]
	ds_load_2addr_b64 v[164:167], v174 offset0:44 offset1:45
	s_waitcnt lgkmcnt(0)
	v_mul_f64 v[80:81], v[166:167], v[82:83]
	s_delay_alu instid0(VALU_DEP_1) | instskip(SKIP_1) | instid1(VALU_DEP_2)
	v_fma_f64 v[80:81], v[164:165], v[172:173], -v[80:81]
	v_mul_f64 v[164:165], v[164:165], v[82:83]
	v_add_f64 v[72:73], v[72:73], -v[80:81]
	s_delay_alu instid0(VALU_DEP_2) | instskip(NEXT) | instid1(VALU_DEP_1)
	v_fma_f64 v[164:165], v[166:167], v[172:173], v[164:165]
	v_add_f64 v[74:75], v[74:75], -v[164:165]
	;; [unrolled: 10-line block ×19, first 2 shown]
	ds_load_2addr_b64 v[164:167], v174 offset0:80 offset1:81
	s_waitcnt lgkmcnt(0)
	v_mul_f64 v[80:81], v[166:167], v[82:83]
	s_delay_alu instid0(VALU_DEP_1) | instskip(SKIP_1) | instid1(VALU_DEP_2)
	v_fma_f64 v[80:81], v[164:165], v[172:173], -v[80:81]
	v_mul_f64 v[164:165], v[164:165], v[82:83]
	v_add_f64 v[0:1], v[0:1], -v[80:81]
	s_delay_alu instid0(VALU_DEP_2) | instskip(SKIP_1) | instid1(VALU_DEP_2)
	v_fma_f64 v[164:165], v[166:167], v[172:173], v[164:165]
	v_dual_mov_b32 v80, v172 :: v_dual_mov_b32 v81, v173
	v_add_f64 v[2:3], v[2:3], -v[164:165]
.LBB80_440:
	s_or_b32 exec_lo, exec_lo, s2
	v_lshl_add_u32 v164, v180, 4, v174
	s_barrier
	buffer_gl0_inv
	v_mov_b32_e32 v172, 21
	ds_store_2addr_b64 v164, v[76:77], v[78:79] offset1:1
	s_waitcnt lgkmcnt(0)
	s_barrier
	buffer_gl0_inv
	ds_load_2addr_b64 v[164:167], v174 offset0:42 offset1:43
	s_cmp_lt_i32 s5, 23
	s_cbranch_scc1 .LBB80_443
; %bb.441:
	v_add3_u32 v173, v178, 0, 0x160
	v_mov_b32_e32 v172, 21
	s_mov_b32 s6, 22
	s_set_inst_prefetch_distance 0x1
	.p2align	6
.LBB80_442:                             ; =>This Inner Loop Header: Depth=1
	ds_load_2addr_b64 v[181:184], v173 offset1:1
	s_waitcnt lgkmcnt(1)
	v_cmp_gt_f64_e32 vcc_lo, 0, v[164:165]
	v_xor_b32_e32 v185, 0x80000000, v165
	v_cmp_gt_f64_e64 s2, 0, v[166:167]
	v_xor_b32_e32 v187, 0x80000000, v167
	v_add_nc_u32_e32 v173, 16, v173
	s_waitcnt lgkmcnt(0)
	v_cmp_gt_f64_e64 s3, 0, v[181:182]
	v_mov_b32_e32 v189, v181
	v_dual_mov_b32 v191, v183 :: v_dual_cndmask_b32 v186, v165, v185
	v_xor_b32_e32 v185, 0x80000000, v182
	v_cndmask_b32_e64 v188, v167, v187, s2
	v_xor_b32_e32 v187, 0x80000000, v184
	s_delay_alu instid0(VALU_DEP_3) | instskip(SKIP_2) | instid1(VALU_DEP_2)
	v_cndmask_b32_e64 v190, v182, v185, s3
	v_cmp_gt_f64_e64 s3, 0, v[183:184]
	v_cndmask_b32_e32 v185, v164, v164, vcc_lo
	v_cndmask_b32_e64 v192, v184, v187, s3
	v_cndmask_b32_e64 v187, v166, v166, s2
	s_delay_alu instid0(VALU_DEP_2) | instskip(NEXT) | instid1(VALU_DEP_2)
	v_add_f64 v[189:190], v[189:190], v[191:192]
	v_add_f64 v[185:186], v[185:186], v[187:188]
	s_delay_alu instid0(VALU_DEP_1) | instskip(SKIP_4) | instid1(SALU_CYCLE_1)
	v_cmp_lt_f64_e32 vcc_lo, v[185:186], v[189:190]
	v_dual_cndmask_b32 v166, v166, v183 :: v_dual_cndmask_b32 v165, v165, v182
	v_dual_cndmask_b32 v164, v164, v181 :: v_dual_cndmask_b32 v167, v167, v184
	v_cndmask_b32_e64 v172, v172, s6, vcc_lo
	s_add_i32 s6, s6, 1
	s_cmp_lg_u32 s5, s6
	s_cbranch_scc1 .LBB80_442
.LBB80_443:
	s_set_inst_prefetch_distance 0x2
	s_waitcnt lgkmcnt(0)
	v_cmp_eq_f64_e32 vcc_lo, 0, v[164:165]
	v_cmp_eq_f64_e64 s2, 0, v[166:167]
	s_delay_alu instid0(VALU_DEP_1) | instskip(NEXT) | instid1(SALU_CYCLE_1)
	s_and_b32 s2, vcc_lo, s2
	s_and_saveexec_b32 s3, s2
	s_delay_alu instid0(SALU_CYCLE_1)
	s_xor_b32 s2, exec_lo, s3
; %bb.444:
	v_cmp_ne_u32_e32 vcc_lo, 0, v177
	v_cndmask_b32_e32 v177, 22, v177, vcc_lo
; %bb.445:
	s_and_not1_saveexec_b32 s3, s2
	s_cbranch_execz .LBB80_451
; %bb.446:
	v_cmp_gt_f64_e32 vcc_lo, 0, v[164:165]
	v_cmp_gt_f64_e64 s2, 0, v[166:167]
	v_xor_b32_e32 v173, 0x80000000, v165
	v_xor_b32_e32 v181, 0x80000000, v167
	s_delay_alu instid0(VALU_DEP_2) | instskip(NEXT) | instid1(VALU_DEP_2)
	v_cndmask_b32_e32 v182, v165, v173, vcc_lo
	v_cndmask_b32_e64 v184, v167, v181, s2
	v_cndmask_b32_e32 v181, v164, v164, vcc_lo
	v_cndmask_b32_e64 v183, v166, v166, s2
	s_mov_b32 s2, exec_lo
	s_delay_alu instid0(VALU_DEP_1)
	v_cmpx_ngt_f64_e32 v[181:182], v[183:184]
	s_xor_b32 s2, exec_lo, s2
	s_cbranch_execz .LBB80_448
; %bb.447:
	v_div_scale_f64 v[181:182], null, v[166:167], v[166:167], v[164:165]
	v_div_scale_f64 v[187:188], vcc_lo, v[164:165], v[166:167], v[164:165]
	s_delay_alu instid0(VALU_DEP_2) | instskip(SKIP_2) | instid1(VALU_DEP_1)
	v_rcp_f64_e32 v[183:184], v[181:182]
	s_waitcnt_depctr 0xfff
	v_fma_f64 v[185:186], -v[181:182], v[183:184], 1.0
	v_fma_f64 v[183:184], v[183:184], v[185:186], v[183:184]
	s_delay_alu instid0(VALU_DEP_1) | instskip(NEXT) | instid1(VALU_DEP_1)
	v_fma_f64 v[185:186], -v[181:182], v[183:184], 1.0
	v_fma_f64 v[183:184], v[183:184], v[185:186], v[183:184]
	s_delay_alu instid0(VALU_DEP_1) | instskip(NEXT) | instid1(VALU_DEP_1)
	v_mul_f64 v[185:186], v[187:188], v[183:184]
	v_fma_f64 v[181:182], -v[181:182], v[185:186], v[187:188]
	s_delay_alu instid0(VALU_DEP_1) | instskip(NEXT) | instid1(VALU_DEP_1)
	v_div_fmas_f64 v[181:182], v[181:182], v[183:184], v[185:186]
	v_div_fixup_f64 v[181:182], v[181:182], v[166:167], v[164:165]
	s_delay_alu instid0(VALU_DEP_1) | instskip(NEXT) | instid1(VALU_DEP_1)
	v_fma_f64 v[164:165], v[164:165], v[181:182], v[166:167]
	v_div_scale_f64 v[166:167], null, v[164:165], v[164:165], 1.0
	s_delay_alu instid0(VALU_DEP_1) | instskip(SKIP_2) | instid1(VALU_DEP_1)
	v_rcp_f64_e32 v[183:184], v[166:167]
	s_waitcnt_depctr 0xfff
	v_fma_f64 v[185:186], -v[166:167], v[183:184], 1.0
	v_fma_f64 v[183:184], v[183:184], v[185:186], v[183:184]
	s_delay_alu instid0(VALU_DEP_1) | instskip(NEXT) | instid1(VALU_DEP_1)
	v_fma_f64 v[185:186], -v[166:167], v[183:184], 1.0
	v_fma_f64 v[183:184], v[183:184], v[185:186], v[183:184]
	v_div_scale_f64 v[185:186], vcc_lo, 1.0, v[164:165], 1.0
	s_delay_alu instid0(VALU_DEP_1) | instskip(NEXT) | instid1(VALU_DEP_1)
	v_mul_f64 v[187:188], v[185:186], v[183:184]
	v_fma_f64 v[166:167], -v[166:167], v[187:188], v[185:186]
	s_delay_alu instid0(VALU_DEP_1) | instskip(NEXT) | instid1(VALU_DEP_1)
	v_div_fmas_f64 v[166:167], v[166:167], v[183:184], v[187:188]
	v_div_fixup_f64 v[166:167], v[166:167], v[164:165], 1.0
	s_delay_alu instid0(VALU_DEP_1)
	v_mul_f64 v[164:165], v[181:182], v[166:167]
	v_xor_b32_e32 v167, 0x80000000, v167
.LBB80_448:
	s_and_not1_saveexec_b32 s2, s2
	s_cbranch_execz .LBB80_450
; %bb.449:
	s_delay_alu instid0(VALU_DEP_1) | instskip(SKIP_1) | instid1(VALU_DEP_2)
	v_div_scale_f64 v[181:182], null, v[164:165], v[164:165], v[166:167]
	v_div_scale_f64 v[187:188], vcc_lo, v[166:167], v[164:165], v[166:167]
	v_rcp_f64_e32 v[183:184], v[181:182]
	s_waitcnt_depctr 0xfff
	v_fma_f64 v[185:186], -v[181:182], v[183:184], 1.0
	s_delay_alu instid0(VALU_DEP_1) | instskip(NEXT) | instid1(VALU_DEP_1)
	v_fma_f64 v[183:184], v[183:184], v[185:186], v[183:184]
	v_fma_f64 v[185:186], -v[181:182], v[183:184], 1.0
	s_delay_alu instid0(VALU_DEP_1) | instskip(NEXT) | instid1(VALU_DEP_1)
	v_fma_f64 v[183:184], v[183:184], v[185:186], v[183:184]
	v_mul_f64 v[185:186], v[187:188], v[183:184]
	s_delay_alu instid0(VALU_DEP_1) | instskip(NEXT) | instid1(VALU_DEP_1)
	v_fma_f64 v[181:182], -v[181:182], v[185:186], v[187:188]
	v_div_fmas_f64 v[181:182], v[181:182], v[183:184], v[185:186]
	s_delay_alu instid0(VALU_DEP_1) | instskip(NEXT) | instid1(VALU_DEP_1)
	v_div_fixup_f64 v[181:182], v[181:182], v[164:165], v[166:167]
	v_fma_f64 v[164:165], v[166:167], v[181:182], v[164:165]
	s_delay_alu instid0(VALU_DEP_1) | instskip(NEXT) | instid1(VALU_DEP_1)
	v_div_scale_f64 v[166:167], null, v[164:165], v[164:165], 1.0
	v_rcp_f64_e32 v[183:184], v[166:167]
	s_waitcnt_depctr 0xfff
	v_fma_f64 v[185:186], -v[166:167], v[183:184], 1.0
	s_delay_alu instid0(VALU_DEP_1) | instskip(NEXT) | instid1(VALU_DEP_1)
	v_fma_f64 v[183:184], v[183:184], v[185:186], v[183:184]
	v_fma_f64 v[185:186], -v[166:167], v[183:184], 1.0
	s_delay_alu instid0(VALU_DEP_1) | instskip(SKIP_1) | instid1(VALU_DEP_1)
	v_fma_f64 v[183:184], v[183:184], v[185:186], v[183:184]
	v_div_scale_f64 v[185:186], vcc_lo, 1.0, v[164:165], 1.0
	v_mul_f64 v[187:188], v[185:186], v[183:184]
	s_delay_alu instid0(VALU_DEP_1) | instskip(NEXT) | instid1(VALU_DEP_1)
	v_fma_f64 v[166:167], -v[166:167], v[187:188], v[185:186]
	v_div_fmas_f64 v[166:167], v[166:167], v[183:184], v[187:188]
	s_delay_alu instid0(VALU_DEP_1) | instskip(NEXT) | instid1(VALU_DEP_1)
	v_div_fixup_f64 v[164:165], v[166:167], v[164:165], 1.0
	v_mul_f64 v[166:167], v[181:182], -v[164:165]
.LBB80_450:
	s_or_b32 exec_lo, exec_lo, s2
.LBB80_451:
	s_delay_alu instid0(SALU_CYCLE_1) | instskip(NEXT) | instid1(SALU_CYCLE_1)
	s_or_b32 exec_lo, exec_lo, s3
	s_mov_b32 s2, exec_lo
	v_cmpx_ne_u32_e64 v180, v172
	s_xor_b32 s2, exec_lo, s2
	s_cbranch_execz .LBB80_457
; %bb.452:
	s_mov_b32 s3, exec_lo
	v_cmpx_eq_u32_e32 21, v180
	s_cbranch_execz .LBB80_456
; %bb.453:
	v_cmp_ne_u32_e32 vcc_lo, 21, v172
	s_xor_b32 s6, s4, -1
	s_delay_alu instid0(SALU_CYCLE_1) | instskip(NEXT) | instid1(SALU_CYCLE_1)
	s_and_b32 s7, s6, vcc_lo
	s_and_saveexec_b32 s6, s7
	s_cbranch_execz .LBB80_455
; %bb.454:
	v_ashrrev_i32_e32 v173, 31, v172
	s_delay_alu instid0(VALU_DEP_1) | instskip(NEXT) | instid1(VALU_DEP_1)
	v_lshlrev_b64 v[179:180], 2, v[172:173]
	v_add_co_u32 v179, vcc_lo, v170, v179
	s_delay_alu instid0(VALU_DEP_2)
	v_add_co_ci_u32_e32 v180, vcc_lo, v171, v180, vcc_lo
	s_clause 0x1
	flat_load_b32 v173, v[179:180]
	flat_load_b32 v181, v[170:171] offset:84
	s_waitcnt vmcnt(1) lgkmcnt(1)
	flat_store_b32 v[170:171], v173 offset:84
	s_waitcnt vmcnt(0) lgkmcnt(1)
	flat_store_b32 v[179:180], v181
.LBB80_455:
	s_or_b32 exec_lo, exec_lo, s6
	v_mov_b32_e32 v180, v172
	v_mov_b32_e32 v179, v172
.LBB80_456:
	s_or_b32 exec_lo, exec_lo, s3
.LBB80_457:
	s_and_not1_saveexec_b32 s2, s2
	s_cbranch_execz .LBB80_459
; %bb.458:
	v_mov_b32_e32 v180, 21
	ds_store_2addr_b64 v174, v[72:73], v[74:75] offset0:44 offset1:45
	ds_store_2addr_b64 v174, v[68:69], v[70:71] offset0:46 offset1:47
	;; [unrolled: 1-line block ×19, first 2 shown]
.LBB80_459:
	s_or_b32 exec_lo, exec_lo, s2
	s_delay_alu instid0(SALU_CYCLE_1)
	s_mov_b32 s2, exec_lo
	s_waitcnt lgkmcnt(0)
	s_waitcnt_vscnt null, 0x0
	s_barrier
	buffer_gl0_inv
	v_cmpx_lt_i32_e32 21, v180
	s_cbranch_execz .LBB80_461
; %bb.460:
	v_mul_f64 v[172:173], v[166:167], v[78:79]
	v_mul_f64 v[78:79], v[164:165], v[78:79]
	s_delay_alu instid0(VALU_DEP_2) | instskip(NEXT) | instid1(VALU_DEP_2)
	v_fma_f64 v[172:173], v[164:165], v[76:77], -v[172:173]
	v_fma_f64 v[78:79], v[166:167], v[76:77], v[78:79]
	ds_load_2addr_b64 v[164:167], v174 offset0:44 offset1:45
	s_waitcnt lgkmcnt(0)
	v_mul_f64 v[76:77], v[166:167], v[78:79]
	s_delay_alu instid0(VALU_DEP_1) | instskip(SKIP_1) | instid1(VALU_DEP_2)
	v_fma_f64 v[76:77], v[164:165], v[172:173], -v[76:77]
	v_mul_f64 v[164:165], v[164:165], v[78:79]
	v_add_f64 v[72:73], v[72:73], -v[76:77]
	s_delay_alu instid0(VALU_DEP_2) | instskip(NEXT) | instid1(VALU_DEP_1)
	v_fma_f64 v[164:165], v[166:167], v[172:173], v[164:165]
	v_add_f64 v[74:75], v[74:75], -v[164:165]
	ds_load_2addr_b64 v[164:167], v174 offset0:46 offset1:47
	s_waitcnt lgkmcnt(0)
	v_mul_f64 v[76:77], v[166:167], v[78:79]
	s_delay_alu instid0(VALU_DEP_1) | instskip(SKIP_1) | instid1(VALU_DEP_2)
	v_fma_f64 v[76:77], v[164:165], v[172:173], -v[76:77]
	v_mul_f64 v[164:165], v[164:165], v[78:79]
	v_add_f64 v[68:69], v[68:69], -v[76:77]
	s_delay_alu instid0(VALU_DEP_2) | instskip(NEXT) | instid1(VALU_DEP_1)
	v_fma_f64 v[164:165], v[166:167], v[172:173], v[164:165]
	v_add_f64 v[70:71], v[70:71], -v[164:165]
	;; [unrolled: 10-line block ×18, first 2 shown]
	ds_load_2addr_b64 v[164:167], v174 offset0:80 offset1:81
	s_waitcnt lgkmcnt(0)
	v_mul_f64 v[76:77], v[166:167], v[78:79]
	s_delay_alu instid0(VALU_DEP_1) | instskip(SKIP_1) | instid1(VALU_DEP_2)
	v_fma_f64 v[76:77], v[164:165], v[172:173], -v[76:77]
	v_mul_f64 v[164:165], v[164:165], v[78:79]
	v_add_f64 v[0:1], v[0:1], -v[76:77]
	s_delay_alu instid0(VALU_DEP_2) | instskip(SKIP_1) | instid1(VALU_DEP_2)
	v_fma_f64 v[164:165], v[166:167], v[172:173], v[164:165]
	v_dual_mov_b32 v76, v172 :: v_dual_mov_b32 v77, v173
	v_add_f64 v[2:3], v[2:3], -v[164:165]
.LBB80_461:
	s_or_b32 exec_lo, exec_lo, s2
	v_lshl_add_u32 v164, v180, 4, v174
	s_barrier
	buffer_gl0_inv
	v_mov_b32_e32 v172, 22
	ds_store_2addr_b64 v164, v[72:73], v[74:75] offset1:1
	s_waitcnt lgkmcnt(0)
	s_barrier
	buffer_gl0_inv
	ds_load_2addr_b64 v[164:167], v174 offset0:44 offset1:45
	s_cmp_lt_i32 s5, 24
	s_cbranch_scc1 .LBB80_464
; %bb.462:
	v_add3_u32 v173, v178, 0, 0x170
	v_mov_b32_e32 v172, 22
	s_mov_b32 s6, 23
	s_set_inst_prefetch_distance 0x1
	.p2align	6
.LBB80_463:                             ; =>This Inner Loop Header: Depth=1
	ds_load_2addr_b64 v[181:184], v173 offset1:1
	s_waitcnt lgkmcnt(1)
	v_cmp_gt_f64_e32 vcc_lo, 0, v[164:165]
	v_xor_b32_e32 v185, 0x80000000, v165
	v_cmp_gt_f64_e64 s2, 0, v[166:167]
	v_xor_b32_e32 v187, 0x80000000, v167
	v_add_nc_u32_e32 v173, 16, v173
	s_waitcnt lgkmcnt(0)
	v_cmp_gt_f64_e64 s3, 0, v[181:182]
	v_mov_b32_e32 v189, v181
	v_dual_mov_b32 v191, v183 :: v_dual_cndmask_b32 v186, v165, v185
	v_xor_b32_e32 v185, 0x80000000, v182
	v_cndmask_b32_e64 v188, v167, v187, s2
	v_xor_b32_e32 v187, 0x80000000, v184
	s_delay_alu instid0(VALU_DEP_3) | instskip(SKIP_2) | instid1(VALU_DEP_2)
	v_cndmask_b32_e64 v190, v182, v185, s3
	v_cmp_gt_f64_e64 s3, 0, v[183:184]
	v_cndmask_b32_e32 v185, v164, v164, vcc_lo
	v_cndmask_b32_e64 v192, v184, v187, s3
	v_cndmask_b32_e64 v187, v166, v166, s2
	s_delay_alu instid0(VALU_DEP_2) | instskip(NEXT) | instid1(VALU_DEP_2)
	v_add_f64 v[189:190], v[189:190], v[191:192]
	v_add_f64 v[185:186], v[185:186], v[187:188]
	s_delay_alu instid0(VALU_DEP_1) | instskip(SKIP_4) | instid1(SALU_CYCLE_1)
	v_cmp_lt_f64_e32 vcc_lo, v[185:186], v[189:190]
	v_dual_cndmask_b32 v166, v166, v183 :: v_dual_cndmask_b32 v165, v165, v182
	v_dual_cndmask_b32 v164, v164, v181 :: v_dual_cndmask_b32 v167, v167, v184
	v_cndmask_b32_e64 v172, v172, s6, vcc_lo
	s_add_i32 s6, s6, 1
	s_cmp_lg_u32 s5, s6
	s_cbranch_scc1 .LBB80_463
.LBB80_464:
	s_set_inst_prefetch_distance 0x2
	s_waitcnt lgkmcnt(0)
	v_cmp_eq_f64_e32 vcc_lo, 0, v[164:165]
	v_cmp_eq_f64_e64 s2, 0, v[166:167]
	s_delay_alu instid0(VALU_DEP_1) | instskip(NEXT) | instid1(SALU_CYCLE_1)
	s_and_b32 s2, vcc_lo, s2
	s_and_saveexec_b32 s3, s2
	s_delay_alu instid0(SALU_CYCLE_1)
	s_xor_b32 s2, exec_lo, s3
; %bb.465:
	v_cmp_ne_u32_e32 vcc_lo, 0, v177
	v_cndmask_b32_e32 v177, 23, v177, vcc_lo
; %bb.466:
	s_and_not1_saveexec_b32 s3, s2
	s_cbranch_execz .LBB80_472
; %bb.467:
	v_cmp_gt_f64_e32 vcc_lo, 0, v[164:165]
	v_cmp_gt_f64_e64 s2, 0, v[166:167]
	v_xor_b32_e32 v173, 0x80000000, v165
	v_xor_b32_e32 v181, 0x80000000, v167
	s_delay_alu instid0(VALU_DEP_2) | instskip(NEXT) | instid1(VALU_DEP_2)
	v_cndmask_b32_e32 v182, v165, v173, vcc_lo
	v_cndmask_b32_e64 v184, v167, v181, s2
	v_cndmask_b32_e32 v181, v164, v164, vcc_lo
	v_cndmask_b32_e64 v183, v166, v166, s2
	s_mov_b32 s2, exec_lo
	s_delay_alu instid0(VALU_DEP_1)
	v_cmpx_ngt_f64_e32 v[181:182], v[183:184]
	s_xor_b32 s2, exec_lo, s2
	s_cbranch_execz .LBB80_469
; %bb.468:
	v_div_scale_f64 v[181:182], null, v[166:167], v[166:167], v[164:165]
	v_div_scale_f64 v[187:188], vcc_lo, v[164:165], v[166:167], v[164:165]
	s_delay_alu instid0(VALU_DEP_2) | instskip(SKIP_2) | instid1(VALU_DEP_1)
	v_rcp_f64_e32 v[183:184], v[181:182]
	s_waitcnt_depctr 0xfff
	v_fma_f64 v[185:186], -v[181:182], v[183:184], 1.0
	v_fma_f64 v[183:184], v[183:184], v[185:186], v[183:184]
	s_delay_alu instid0(VALU_DEP_1) | instskip(NEXT) | instid1(VALU_DEP_1)
	v_fma_f64 v[185:186], -v[181:182], v[183:184], 1.0
	v_fma_f64 v[183:184], v[183:184], v[185:186], v[183:184]
	s_delay_alu instid0(VALU_DEP_1) | instskip(NEXT) | instid1(VALU_DEP_1)
	v_mul_f64 v[185:186], v[187:188], v[183:184]
	v_fma_f64 v[181:182], -v[181:182], v[185:186], v[187:188]
	s_delay_alu instid0(VALU_DEP_1) | instskip(NEXT) | instid1(VALU_DEP_1)
	v_div_fmas_f64 v[181:182], v[181:182], v[183:184], v[185:186]
	v_div_fixup_f64 v[181:182], v[181:182], v[166:167], v[164:165]
	s_delay_alu instid0(VALU_DEP_1) | instskip(NEXT) | instid1(VALU_DEP_1)
	v_fma_f64 v[164:165], v[164:165], v[181:182], v[166:167]
	v_div_scale_f64 v[166:167], null, v[164:165], v[164:165], 1.0
	s_delay_alu instid0(VALU_DEP_1) | instskip(SKIP_2) | instid1(VALU_DEP_1)
	v_rcp_f64_e32 v[183:184], v[166:167]
	s_waitcnt_depctr 0xfff
	v_fma_f64 v[185:186], -v[166:167], v[183:184], 1.0
	v_fma_f64 v[183:184], v[183:184], v[185:186], v[183:184]
	s_delay_alu instid0(VALU_DEP_1) | instskip(NEXT) | instid1(VALU_DEP_1)
	v_fma_f64 v[185:186], -v[166:167], v[183:184], 1.0
	v_fma_f64 v[183:184], v[183:184], v[185:186], v[183:184]
	v_div_scale_f64 v[185:186], vcc_lo, 1.0, v[164:165], 1.0
	s_delay_alu instid0(VALU_DEP_1) | instskip(NEXT) | instid1(VALU_DEP_1)
	v_mul_f64 v[187:188], v[185:186], v[183:184]
	v_fma_f64 v[166:167], -v[166:167], v[187:188], v[185:186]
	s_delay_alu instid0(VALU_DEP_1) | instskip(NEXT) | instid1(VALU_DEP_1)
	v_div_fmas_f64 v[166:167], v[166:167], v[183:184], v[187:188]
	v_div_fixup_f64 v[166:167], v[166:167], v[164:165], 1.0
	s_delay_alu instid0(VALU_DEP_1)
	v_mul_f64 v[164:165], v[181:182], v[166:167]
	v_xor_b32_e32 v167, 0x80000000, v167
.LBB80_469:
	s_and_not1_saveexec_b32 s2, s2
	s_cbranch_execz .LBB80_471
; %bb.470:
	s_delay_alu instid0(VALU_DEP_1) | instskip(SKIP_1) | instid1(VALU_DEP_2)
	v_div_scale_f64 v[181:182], null, v[164:165], v[164:165], v[166:167]
	v_div_scale_f64 v[187:188], vcc_lo, v[166:167], v[164:165], v[166:167]
	v_rcp_f64_e32 v[183:184], v[181:182]
	s_waitcnt_depctr 0xfff
	v_fma_f64 v[185:186], -v[181:182], v[183:184], 1.0
	s_delay_alu instid0(VALU_DEP_1) | instskip(NEXT) | instid1(VALU_DEP_1)
	v_fma_f64 v[183:184], v[183:184], v[185:186], v[183:184]
	v_fma_f64 v[185:186], -v[181:182], v[183:184], 1.0
	s_delay_alu instid0(VALU_DEP_1) | instskip(NEXT) | instid1(VALU_DEP_1)
	v_fma_f64 v[183:184], v[183:184], v[185:186], v[183:184]
	v_mul_f64 v[185:186], v[187:188], v[183:184]
	s_delay_alu instid0(VALU_DEP_1) | instskip(NEXT) | instid1(VALU_DEP_1)
	v_fma_f64 v[181:182], -v[181:182], v[185:186], v[187:188]
	v_div_fmas_f64 v[181:182], v[181:182], v[183:184], v[185:186]
	s_delay_alu instid0(VALU_DEP_1) | instskip(NEXT) | instid1(VALU_DEP_1)
	v_div_fixup_f64 v[181:182], v[181:182], v[164:165], v[166:167]
	v_fma_f64 v[164:165], v[166:167], v[181:182], v[164:165]
	s_delay_alu instid0(VALU_DEP_1) | instskip(NEXT) | instid1(VALU_DEP_1)
	v_div_scale_f64 v[166:167], null, v[164:165], v[164:165], 1.0
	v_rcp_f64_e32 v[183:184], v[166:167]
	s_waitcnt_depctr 0xfff
	v_fma_f64 v[185:186], -v[166:167], v[183:184], 1.0
	s_delay_alu instid0(VALU_DEP_1) | instskip(NEXT) | instid1(VALU_DEP_1)
	v_fma_f64 v[183:184], v[183:184], v[185:186], v[183:184]
	v_fma_f64 v[185:186], -v[166:167], v[183:184], 1.0
	s_delay_alu instid0(VALU_DEP_1) | instskip(SKIP_1) | instid1(VALU_DEP_1)
	v_fma_f64 v[183:184], v[183:184], v[185:186], v[183:184]
	v_div_scale_f64 v[185:186], vcc_lo, 1.0, v[164:165], 1.0
	v_mul_f64 v[187:188], v[185:186], v[183:184]
	s_delay_alu instid0(VALU_DEP_1) | instskip(NEXT) | instid1(VALU_DEP_1)
	v_fma_f64 v[166:167], -v[166:167], v[187:188], v[185:186]
	v_div_fmas_f64 v[166:167], v[166:167], v[183:184], v[187:188]
	s_delay_alu instid0(VALU_DEP_1) | instskip(NEXT) | instid1(VALU_DEP_1)
	v_div_fixup_f64 v[164:165], v[166:167], v[164:165], 1.0
	v_mul_f64 v[166:167], v[181:182], -v[164:165]
.LBB80_471:
	s_or_b32 exec_lo, exec_lo, s2
.LBB80_472:
	s_delay_alu instid0(SALU_CYCLE_1) | instskip(NEXT) | instid1(SALU_CYCLE_1)
	s_or_b32 exec_lo, exec_lo, s3
	s_mov_b32 s2, exec_lo
	v_cmpx_ne_u32_e64 v180, v172
	s_xor_b32 s2, exec_lo, s2
	s_cbranch_execz .LBB80_478
; %bb.473:
	s_mov_b32 s3, exec_lo
	v_cmpx_eq_u32_e32 22, v180
	s_cbranch_execz .LBB80_477
; %bb.474:
	v_cmp_ne_u32_e32 vcc_lo, 22, v172
	s_xor_b32 s6, s4, -1
	s_delay_alu instid0(SALU_CYCLE_1) | instskip(NEXT) | instid1(SALU_CYCLE_1)
	s_and_b32 s7, s6, vcc_lo
	s_and_saveexec_b32 s6, s7
	s_cbranch_execz .LBB80_476
; %bb.475:
	v_ashrrev_i32_e32 v173, 31, v172
	s_delay_alu instid0(VALU_DEP_1) | instskip(NEXT) | instid1(VALU_DEP_1)
	v_lshlrev_b64 v[179:180], 2, v[172:173]
	v_add_co_u32 v179, vcc_lo, v170, v179
	s_delay_alu instid0(VALU_DEP_2)
	v_add_co_ci_u32_e32 v180, vcc_lo, v171, v180, vcc_lo
	s_clause 0x1
	flat_load_b32 v173, v[179:180]
	flat_load_b32 v181, v[170:171] offset:88
	s_waitcnt vmcnt(1) lgkmcnt(1)
	flat_store_b32 v[170:171], v173 offset:88
	s_waitcnt vmcnt(0) lgkmcnt(1)
	flat_store_b32 v[179:180], v181
.LBB80_476:
	s_or_b32 exec_lo, exec_lo, s6
	v_mov_b32_e32 v180, v172
	v_mov_b32_e32 v179, v172
.LBB80_477:
	s_or_b32 exec_lo, exec_lo, s3
.LBB80_478:
	s_and_not1_saveexec_b32 s2, s2
	s_cbranch_execz .LBB80_480
; %bb.479:
	v_mov_b32_e32 v180, 22
	ds_store_2addr_b64 v174, v[68:69], v[70:71] offset0:46 offset1:47
	ds_store_2addr_b64 v174, v[64:65], v[66:67] offset0:48 offset1:49
	;; [unrolled: 1-line block ×18, first 2 shown]
.LBB80_480:
	s_or_b32 exec_lo, exec_lo, s2
	s_delay_alu instid0(SALU_CYCLE_1)
	s_mov_b32 s2, exec_lo
	s_waitcnt lgkmcnt(0)
	s_waitcnt_vscnt null, 0x0
	s_barrier
	buffer_gl0_inv
	v_cmpx_lt_i32_e32 22, v180
	s_cbranch_execz .LBB80_482
; %bb.481:
	v_mul_f64 v[172:173], v[166:167], v[74:75]
	v_mul_f64 v[74:75], v[164:165], v[74:75]
	s_delay_alu instid0(VALU_DEP_2) | instskip(NEXT) | instid1(VALU_DEP_2)
	v_fma_f64 v[172:173], v[164:165], v[72:73], -v[172:173]
	v_fma_f64 v[74:75], v[166:167], v[72:73], v[74:75]
	ds_load_2addr_b64 v[164:167], v174 offset0:46 offset1:47
	s_waitcnt lgkmcnt(0)
	v_mul_f64 v[72:73], v[166:167], v[74:75]
	s_delay_alu instid0(VALU_DEP_1) | instskip(SKIP_1) | instid1(VALU_DEP_2)
	v_fma_f64 v[72:73], v[164:165], v[172:173], -v[72:73]
	v_mul_f64 v[164:165], v[164:165], v[74:75]
	v_add_f64 v[68:69], v[68:69], -v[72:73]
	s_delay_alu instid0(VALU_DEP_2) | instskip(NEXT) | instid1(VALU_DEP_1)
	v_fma_f64 v[164:165], v[166:167], v[172:173], v[164:165]
	v_add_f64 v[70:71], v[70:71], -v[164:165]
	ds_load_2addr_b64 v[164:167], v174 offset0:48 offset1:49
	s_waitcnt lgkmcnt(0)
	v_mul_f64 v[72:73], v[166:167], v[74:75]
	s_delay_alu instid0(VALU_DEP_1) | instskip(SKIP_1) | instid1(VALU_DEP_2)
	v_fma_f64 v[72:73], v[164:165], v[172:173], -v[72:73]
	v_mul_f64 v[164:165], v[164:165], v[74:75]
	v_add_f64 v[64:65], v[64:65], -v[72:73]
	s_delay_alu instid0(VALU_DEP_2) | instskip(NEXT) | instid1(VALU_DEP_1)
	v_fma_f64 v[164:165], v[166:167], v[172:173], v[164:165]
	v_add_f64 v[66:67], v[66:67], -v[164:165]
	;; [unrolled: 10-line block ×17, first 2 shown]
	ds_load_2addr_b64 v[164:167], v174 offset0:80 offset1:81
	s_waitcnt lgkmcnt(0)
	v_mul_f64 v[72:73], v[166:167], v[74:75]
	s_delay_alu instid0(VALU_DEP_1) | instskip(SKIP_1) | instid1(VALU_DEP_2)
	v_fma_f64 v[72:73], v[164:165], v[172:173], -v[72:73]
	v_mul_f64 v[164:165], v[164:165], v[74:75]
	v_add_f64 v[0:1], v[0:1], -v[72:73]
	s_delay_alu instid0(VALU_DEP_2) | instskip(SKIP_1) | instid1(VALU_DEP_2)
	v_fma_f64 v[164:165], v[166:167], v[172:173], v[164:165]
	v_dual_mov_b32 v72, v172 :: v_dual_mov_b32 v73, v173
	v_add_f64 v[2:3], v[2:3], -v[164:165]
.LBB80_482:
	s_or_b32 exec_lo, exec_lo, s2
	v_lshl_add_u32 v164, v180, 4, v174
	s_barrier
	buffer_gl0_inv
	v_mov_b32_e32 v172, 23
	ds_store_2addr_b64 v164, v[68:69], v[70:71] offset1:1
	s_waitcnt lgkmcnt(0)
	s_barrier
	buffer_gl0_inv
	ds_load_2addr_b64 v[164:167], v174 offset0:46 offset1:47
	s_cmp_lt_i32 s5, 25
	s_cbranch_scc1 .LBB80_485
; %bb.483:
	v_add3_u32 v173, v178, 0, 0x180
	v_mov_b32_e32 v172, 23
	s_mov_b32 s6, 24
	s_set_inst_prefetch_distance 0x1
	.p2align	6
.LBB80_484:                             ; =>This Inner Loop Header: Depth=1
	ds_load_2addr_b64 v[181:184], v173 offset1:1
	s_waitcnt lgkmcnt(1)
	v_cmp_gt_f64_e32 vcc_lo, 0, v[164:165]
	v_xor_b32_e32 v185, 0x80000000, v165
	v_cmp_gt_f64_e64 s2, 0, v[166:167]
	v_xor_b32_e32 v187, 0x80000000, v167
	v_add_nc_u32_e32 v173, 16, v173
	s_waitcnt lgkmcnt(0)
	v_cmp_gt_f64_e64 s3, 0, v[181:182]
	v_mov_b32_e32 v189, v181
	v_dual_mov_b32 v191, v183 :: v_dual_cndmask_b32 v186, v165, v185
	v_xor_b32_e32 v185, 0x80000000, v182
	v_cndmask_b32_e64 v188, v167, v187, s2
	v_xor_b32_e32 v187, 0x80000000, v184
	s_delay_alu instid0(VALU_DEP_3) | instskip(SKIP_2) | instid1(VALU_DEP_2)
	v_cndmask_b32_e64 v190, v182, v185, s3
	v_cmp_gt_f64_e64 s3, 0, v[183:184]
	v_cndmask_b32_e32 v185, v164, v164, vcc_lo
	v_cndmask_b32_e64 v192, v184, v187, s3
	v_cndmask_b32_e64 v187, v166, v166, s2
	s_delay_alu instid0(VALU_DEP_2) | instskip(NEXT) | instid1(VALU_DEP_2)
	v_add_f64 v[189:190], v[189:190], v[191:192]
	v_add_f64 v[185:186], v[185:186], v[187:188]
	s_delay_alu instid0(VALU_DEP_1) | instskip(SKIP_4) | instid1(SALU_CYCLE_1)
	v_cmp_lt_f64_e32 vcc_lo, v[185:186], v[189:190]
	v_dual_cndmask_b32 v166, v166, v183 :: v_dual_cndmask_b32 v165, v165, v182
	v_dual_cndmask_b32 v164, v164, v181 :: v_dual_cndmask_b32 v167, v167, v184
	v_cndmask_b32_e64 v172, v172, s6, vcc_lo
	s_add_i32 s6, s6, 1
	s_cmp_lg_u32 s5, s6
	s_cbranch_scc1 .LBB80_484
.LBB80_485:
	s_set_inst_prefetch_distance 0x2
	s_waitcnt lgkmcnt(0)
	v_cmp_eq_f64_e32 vcc_lo, 0, v[164:165]
	v_cmp_eq_f64_e64 s2, 0, v[166:167]
	s_delay_alu instid0(VALU_DEP_1) | instskip(NEXT) | instid1(SALU_CYCLE_1)
	s_and_b32 s2, vcc_lo, s2
	s_and_saveexec_b32 s3, s2
	s_delay_alu instid0(SALU_CYCLE_1)
	s_xor_b32 s2, exec_lo, s3
; %bb.486:
	v_cmp_ne_u32_e32 vcc_lo, 0, v177
	v_cndmask_b32_e32 v177, 24, v177, vcc_lo
; %bb.487:
	s_and_not1_saveexec_b32 s3, s2
	s_cbranch_execz .LBB80_493
; %bb.488:
	v_cmp_gt_f64_e32 vcc_lo, 0, v[164:165]
	v_cmp_gt_f64_e64 s2, 0, v[166:167]
	v_xor_b32_e32 v173, 0x80000000, v165
	v_xor_b32_e32 v181, 0x80000000, v167
	s_delay_alu instid0(VALU_DEP_2) | instskip(NEXT) | instid1(VALU_DEP_2)
	v_cndmask_b32_e32 v182, v165, v173, vcc_lo
	v_cndmask_b32_e64 v184, v167, v181, s2
	v_cndmask_b32_e32 v181, v164, v164, vcc_lo
	v_cndmask_b32_e64 v183, v166, v166, s2
	s_mov_b32 s2, exec_lo
	s_delay_alu instid0(VALU_DEP_1)
	v_cmpx_ngt_f64_e32 v[181:182], v[183:184]
	s_xor_b32 s2, exec_lo, s2
	s_cbranch_execz .LBB80_490
; %bb.489:
	v_div_scale_f64 v[181:182], null, v[166:167], v[166:167], v[164:165]
	v_div_scale_f64 v[187:188], vcc_lo, v[164:165], v[166:167], v[164:165]
	s_delay_alu instid0(VALU_DEP_2) | instskip(SKIP_2) | instid1(VALU_DEP_1)
	v_rcp_f64_e32 v[183:184], v[181:182]
	s_waitcnt_depctr 0xfff
	v_fma_f64 v[185:186], -v[181:182], v[183:184], 1.0
	v_fma_f64 v[183:184], v[183:184], v[185:186], v[183:184]
	s_delay_alu instid0(VALU_DEP_1) | instskip(NEXT) | instid1(VALU_DEP_1)
	v_fma_f64 v[185:186], -v[181:182], v[183:184], 1.0
	v_fma_f64 v[183:184], v[183:184], v[185:186], v[183:184]
	s_delay_alu instid0(VALU_DEP_1) | instskip(NEXT) | instid1(VALU_DEP_1)
	v_mul_f64 v[185:186], v[187:188], v[183:184]
	v_fma_f64 v[181:182], -v[181:182], v[185:186], v[187:188]
	s_delay_alu instid0(VALU_DEP_1) | instskip(NEXT) | instid1(VALU_DEP_1)
	v_div_fmas_f64 v[181:182], v[181:182], v[183:184], v[185:186]
	v_div_fixup_f64 v[181:182], v[181:182], v[166:167], v[164:165]
	s_delay_alu instid0(VALU_DEP_1) | instskip(NEXT) | instid1(VALU_DEP_1)
	v_fma_f64 v[164:165], v[164:165], v[181:182], v[166:167]
	v_div_scale_f64 v[166:167], null, v[164:165], v[164:165], 1.0
	s_delay_alu instid0(VALU_DEP_1) | instskip(SKIP_2) | instid1(VALU_DEP_1)
	v_rcp_f64_e32 v[183:184], v[166:167]
	s_waitcnt_depctr 0xfff
	v_fma_f64 v[185:186], -v[166:167], v[183:184], 1.0
	v_fma_f64 v[183:184], v[183:184], v[185:186], v[183:184]
	s_delay_alu instid0(VALU_DEP_1) | instskip(NEXT) | instid1(VALU_DEP_1)
	v_fma_f64 v[185:186], -v[166:167], v[183:184], 1.0
	v_fma_f64 v[183:184], v[183:184], v[185:186], v[183:184]
	v_div_scale_f64 v[185:186], vcc_lo, 1.0, v[164:165], 1.0
	s_delay_alu instid0(VALU_DEP_1) | instskip(NEXT) | instid1(VALU_DEP_1)
	v_mul_f64 v[187:188], v[185:186], v[183:184]
	v_fma_f64 v[166:167], -v[166:167], v[187:188], v[185:186]
	s_delay_alu instid0(VALU_DEP_1) | instskip(NEXT) | instid1(VALU_DEP_1)
	v_div_fmas_f64 v[166:167], v[166:167], v[183:184], v[187:188]
	v_div_fixup_f64 v[166:167], v[166:167], v[164:165], 1.0
	s_delay_alu instid0(VALU_DEP_1)
	v_mul_f64 v[164:165], v[181:182], v[166:167]
	v_xor_b32_e32 v167, 0x80000000, v167
.LBB80_490:
	s_and_not1_saveexec_b32 s2, s2
	s_cbranch_execz .LBB80_492
; %bb.491:
	s_delay_alu instid0(VALU_DEP_1) | instskip(SKIP_1) | instid1(VALU_DEP_2)
	v_div_scale_f64 v[181:182], null, v[164:165], v[164:165], v[166:167]
	v_div_scale_f64 v[187:188], vcc_lo, v[166:167], v[164:165], v[166:167]
	v_rcp_f64_e32 v[183:184], v[181:182]
	s_waitcnt_depctr 0xfff
	v_fma_f64 v[185:186], -v[181:182], v[183:184], 1.0
	s_delay_alu instid0(VALU_DEP_1) | instskip(NEXT) | instid1(VALU_DEP_1)
	v_fma_f64 v[183:184], v[183:184], v[185:186], v[183:184]
	v_fma_f64 v[185:186], -v[181:182], v[183:184], 1.0
	s_delay_alu instid0(VALU_DEP_1) | instskip(NEXT) | instid1(VALU_DEP_1)
	v_fma_f64 v[183:184], v[183:184], v[185:186], v[183:184]
	v_mul_f64 v[185:186], v[187:188], v[183:184]
	s_delay_alu instid0(VALU_DEP_1) | instskip(NEXT) | instid1(VALU_DEP_1)
	v_fma_f64 v[181:182], -v[181:182], v[185:186], v[187:188]
	v_div_fmas_f64 v[181:182], v[181:182], v[183:184], v[185:186]
	s_delay_alu instid0(VALU_DEP_1) | instskip(NEXT) | instid1(VALU_DEP_1)
	v_div_fixup_f64 v[181:182], v[181:182], v[164:165], v[166:167]
	v_fma_f64 v[164:165], v[166:167], v[181:182], v[164:165]
	s_delay_alu instid0(VALU_DEP_1) | instskip(NEXT) | instid1(VALU_DEP_1)
	v_div_scale_f64 v[166:167], null, v[164:165], v[164:165], 1.0
	v_rcp_f64_e32 v[183:184], v[166:167]
	s_waitcnt_depctr 0xfff
	v_fma_f64 v[185:186], -v[166:167], v[183:184], 1.0
	s_delay_alu instid0(VALU_DEP_1) | instskip(NEXT) | instid1(VALU_DEP_1)
	v_fma_f64 v[183:184], v[183:184], v[185:186], v[183:184]
	v_fma_f64 v[185:186], -v[166:167], v[183:184], 1.0
	s_delay_alu instid0(VALU_DEP_1) | instskip(SKIP_1) | instid1(VALU_DEP_1)
	v_fma_f64 v[183:184], v[183:184], v[185:186], v[183:184]
	v_div_scale_f64 v[185:186], vcc_lo, 1.0, v[164:165], 1.0
	v_mul_f64 v[187:188], v[185:186], v[183:184]
	s_delay_alu instid0(VALU_DEP_1) | instskip(NEXT) | instid1(VALU_DEP_1)
	v_fma_f64 v[166:167], -v[166:167], v[187:188], v[185:186]
	v_div_fmas_f64 v[166:167], v[166:167], v[183:184], v[187:188]
	s_delay_alu instid0(VALU_DEP_1) | instskip(NEXT) | instid1(VALU_DEP_1)
	v_div_fixup_f64 v[164:165], v[166:167], v[164:165], 1.0
	v_mul_f64 v[166:167], v[181:182], -v[164:165]
.LBB80_492:
	s_or_b32 exec_lo, exec_lo, s2
.LBB80_493:
	s_delay_alu instid0(SALU_CYCLE_1) | instskip(NEXT) | instid1(SALU_CYCLE_1)
	s_or_b32 exec_lo, exec_lo, s3
	s_mov_b32 s2, exec_lo
	v_cmpx_ne_u32_e64 v180, v172
	s_xor_b32 s2, exec_lo, s2
	s_cbranch_execz .LBB80_499
; %bb.494:
	s_mov_b32 s3, exec_lo
	v_cmpx_eq_u32_e32 23, v180
	s_cbranch_execz .LBB80_498
; %bb.495:
	v_cmp_ne_u32_e32 vcc_lo, 23, v172
	s_xor_b32 s6, s4, -1
	s_delay_alu instid0(SALU_CYCLE_1) | instskip(NEXT) | instid1(SALU_CYCLE_1)
	s_and_b32 s7, s6, vcc_lo
	s_and_saveexec_b32 s6, s7
	s_cbranch_execz .LBB80_497
; %bb.496:
	v_ashrrev_i32_e32 v173, 31, v172
	s_delay_alu instid0(VALU_DEP_1) | instskip(NEXT) | instid1(VALU_DEP_1)
	v_lshlrev_b64 v[179:180], 2, v[172:173]
	v_add_co_u32 v179, vcc_lo, v170, v179
	s_delay_alu instid0(VALU_DEP_2)
	v_add_co_ci_u32_e32 v180, vcc_lo, v171, v180, vcc_lo
	s_clause 0x1
	flat_load_b32 v173, v[179:180]
	flat_load_b32 v181, v[170:171] offset:92
	s_waitcnt vmcnt(1) lgkmcnt(1)
	flat_store_b32 v[170:171], v173 offset:92
	s_waitcnt vmcnt(0) lgkmcnt(1)
	flat_store_b32 v[179:180], v181
.LBB80_497:
	s_or_b32 exec_lo, exec_lo, s6
	v_mov_b32_e32 v180, v172
	v_mov_b32_e32 v179, v172
.LBB80_498:
	s_or_b32 exec_lo, exec_lo, s3
.LBB80_499:
	s_and_not1_saveexec_b32 s2, s2
	s_cbranch_execz .LBB80_501
; %bb.500:
	v_mov_b32_e32 v180, 23
	ds_store_2addr_b64 v174, v[64:65], v[66:67] offset0:48 offset1:49
	ds_store_2addr_b64 v174, v[60:61], v[62:63] offset0:50 offset1:51
	;; [unrolled: 1-line block ×17, first 2 shown]
.LBB80_501:
	s_or_b32 exec_lo, exec_lo, s2
	s_delay_alu instid0(SALU_CYCLE_1)
	s_mov_b32 s2, exec_lo
	s_waitcnt lgkmcnt(0)
	s_waitcnt_vscnt null, 0x0
	s_barrier
	buffer_gl0_inv
	v_cmpx_lt_i32_e32 23, v180
	s_cbranch_execz .LBB80_503
; %bb.502:
	v_mul_f64 v[172:173], v[166:167], v[70:71]
	v_mul_f64 v[70:71], v[164:165], v[70:71]
	s_delay_alu instid0(VALU_DEP_2) | instskip(NEXT) | instid1(VALU_DEP_2)
	v_fma_f64 v[172:173], v[164:165], v[68:69], -v[172:173]
	v_fma_f64 v[70:71], v[166:167], v[68:69], v[70:71]
	ds_load_2addr_b64 v[164:167], v174 offset0:48 offset1:49
	s_waitcnt lgkmcnt(0)
	v_mul_f64 v[68:69], v[166:167], v[70:71]
	s_delay_alu instid0(VALU_DEP_1) | instskip(SKIP_1) | instid1(VALU_DEP_2)
	v_fma_f64 v[68:69], v[164:165], v[172:173], -v[68:69]
	v_mul_f64 v[164:165], v[164:165], v[70:71]
	v_add_f64 v[64:65], v[64:65], -v[68:69]
	s_delay_alu instid0(VALU_DEP_2) | instskip(NEXT) | instid1(VALU_DEP_1)
	v_fma_f64 v[164:165], v[166:167], v[172:173], v[164:165]
	v_add_f64 v[66:67], v[66:67], -v[164:165]
	ds_load_2addr_b64 v[164:167], v174 offset0:50 offset1:51
	s_waitcnt lgkmcnt(0)
	v_mul_f64 v[68:69], v[166:167], v[70:71]
	s_delay_alu instid0(VALU_DEP_1) | instskip(SKIP_1) | instid1(VALU_DEP_2)
	v_fma_f64 v[68:69], v[164:165], v[172:173], -v[68:69]
	v_mul_f64 v[164:165], v[164:165], v[70:71]
	v_add_f64 v[60:61], v[60:61], -v[68:69]
	s_delay_alu instid0(VALU_DEP_2) | instskip(NEXT) | instid1(VALU_DEP_1)
	v_fma_f64 v[164:165], v[166:167], v[172:173], v[164:165]
	v_add_f64 v[62:63], v[62:63], -v[164:165]
	;; [unrolled: 10-line block ×16, first 2 shown]
	ds_load_2addr_b64 v[164:167], v174 offset0:80 offset1:81
	s_waitcnt lgkmcnt(0)
	v_mul_f64 v[68:69], v[166:167], v[70:71]
	s_delay_alu instid0(VALU_DEP_1) | instskip(SKIP_1) | instid1(VALU_DEP_2)
	v_fma_f64 v[68:69], v[164:165], v[172:173], -v[68:69]
	v_mul_f64 v[164:165], v[164:165], v[70:71]
	v_add_f64 v[0:1], v[0:1], -v[68:69]
	s_delay_alu instid0(VALU_DEP_2) | instskip(SKIP_1) | instid1(VALU_DEP_2)
	v_fma_f64 v[164:165], v[166:167], v[172:173], v[164:165]
	v_dual_mov_b32 v68, v172 :: v_dual_mov_b32 v69, v173
	v_add_f64 v[2:3], v[2:3], -v[164:165]
.LBB80_503:
	s_or_b32 exec_lo, exec_lo, s2
	v_lshl_add_u32 v164, v180, 4, v174
	s_barrier
	buffer_gl0_inv
	v_mov_b32_e32 v172, 24
	ds_store_2addr_b64 v164, v[64:65], v[66:67] offset1:1
	s_waitcnt lgkmcnt(0)
	s_barrier
	buffer_gl0_inv
	ds_load_2addr_b64 v[164:167], v174 offset0:48 offset1:49
	s_cmp_lt_i32 s5, 26
	s_cbranch_scc1 .LBB80_506
; %bb.504:
	v_add3_u32 v173, v178, 0, 0x190
	v_mov_b32_e32 v172, 24
	s_mov_b32 s6, 25
	s_set_inst_prefetch_distance 0x1
	.p2align	6
.LBB80_505:                             ; =>This Inner Loop Header: Depth=1
	ds_load_2addr_b64 v[181:184], v173 offset1:1
	s_waitcnt lgkmcnt(1)
	v_cmp_gt_f64_e32 vcc_lo, 0, v[164:165]
	v_xor_b32_e32 v185, 0x80000000, v165
	v_cmp_gt_f64_e64 s2, 0, v[166:167]
	v_xor_b32_e32 v187, 0x80000000, v167
	v_add_nc_u32_e32 v173, 16, v173
	s_waitcnt lgkmcnt(0)
	v_cmp_gt_f64_e64 s3, 0, v[181:182]
	v_mov_b32_e32 v189, v181
	v_dual_mov_b32 v191, v183 :: v_dual_cndmask_b32 v186, v165, v185
	v_xor_b32_e32 v185, 0x80000000, v182
	v_cndmask_b32_e64 v188, v167, v187, s2
	v_xor_b32_e32 v187, 0x80000000, v184
	s_delay_alu instid0(VALU_DEP_3) | instskip(SKIP_2) | instid1(VALU_DEP_2)
	v_cndmask_b32_e64 v190, v182, v185, s3
	v_cmp_gt_f64_e64 s3, 0, v[183:184]
	v_cndmask_b32_e32 v185, v164, v164, vcc_lo
	v_cndmask_b32_e64 v192, v184, v187, s3
	v_cndmask_b32_e64 v187, v166, v166, s2
	s_delay_alu instid0(VALU_DEP_2) | instskip(NEXT) | instid1(VALU_DEP_2)
	v_add_f64 v[189:190], v[189:190], v[191:192]
	v_add_f64 v[185:186], v[185:186], v[187:188]
	s_delay_alu instid0(VALU_DEP_1) | instskip(SKIP_4) | instid1(SALU_CYCLE_1)
	v_cmp_lt_f64_e32 vcc_lo, v[185:186], v[189:190]
	v_dual_cndmask_b32 v166, v166, v183 :: v_dual_cndmask_b32 v165, v165, v182
	v_dual_cndmask_b32 v164, v164, v181 :: v_dual_cndmask_b32 v167, v167, v184
	v_cndmask_b32_e64 v172, v172, s6, vcc_lo
	s_add_i32 s6, s6, 1
	s_cmp_lg_u32 s5, s6
	s_cbranch_scc1 .LBB80_505
.LBB80_506:
	s_set_inst_prefetch_distance 0x2
	s_waitcnt lgkmcnt(0)
	v_cmp_eq_f64_e32 vcc_lo, 0, v[164:165]
	v_cmp_eq_f64_e64 s2, 0, v[166:167]
	s_delay_alu instid0(VALU_DEP_1) | instskip(NEXT) | instid1(SALU_CYCLE_1)
	s_and_b32 s2, vcc_lo, s2
	s_and_saveexec_b32 s3, s2
	s_delay_alu instid0(SALU_CYCLE_1)
	s_xor_b32 s2, exec_lo, s3
; %bb.507:
	v_cmp_ne_u32_e32 vcc_lo, 0, v177
	v_cndmask_b32_e32 v177, 25, v177, vcc_lo
; %bb.508:
	s_and_not1_saveexec_b32 s3, s2
	s_cbranch_execz .LBB80_514
; %bb.509:
	v_cmp_gt_f64_e32 vcc_lo, 0, v[164:165]
	v_cmp_gt_f64_e64 s2, 0, v[166:167]
	v_xor_b32_e32 v173, 0x80000000, v165
	v_xor_b32_e32 v181, 0x80000000, v167
	s_delay_alu instid0(VALU_DEP_2) | instskip(NEXT) | instid1(VALU_DEP_2)
	v_cndmask_b32_e32 v182, v165, v173, vcc_lo
	v_cndmask_b32_e64 v184, v167, v181, s2
	v_cndmask_b32_e32 v181, v164, v164, vcc_lo
	v_cndmask_b32_e64 v183, v166, v166, s2
	s_mov_b32 s2, exec_lo
	s_delay_alu instid0(VALU_DEP_1)
	v_cmpx_ngt_f64_e32 v[181:182], v[183:184]
	s_xor_b32 s2, exec_lo, s2
	s_cbranch_execz .LBB80_511
; %bb.510:
	v_div_scale_f64 v[181:182], null, v[166:167], v[166:167], v[164:165]
	v_div_scale_f64 v[187:188], vcc_lo, v[164:165], v[166:167], v[164:165]
	s_delay_alu instid0(VALU_DEP_2) | instskip(SKIP_2) | instid1(VALU_DEP_1)
	v_rcp_f64_e32 v[183:184], v[181:182]
	s_waitcnt_depctr 0xfff
	v_fma_f64 v[185:186], -v[181:182], v[183:184], 1.0
	v_fma_f64 v[183:184], v[183:184], v[185:186], v[183:184]
	s_delay_alu instid0(VALU_DEP_1) | instskip(NEXT) | instid1(VALU_DEP_1)
	v_fma_f64 v[185:186], -v[181:182], v[183:184], 1.0
	v_fma_f64 v[183:184], v[183:184], v[185:186], v[183:184]
	s_delay_alu instid0(VALU_DEP_1) | instskip(NEXT) | instid1(VALU_DEP_1)
	v_mul_f64 v[185:186], v[187:188], v[183:184]
	v_fma_f64 v[181:182], -v[181:182], v[185:186], v[187:188]
	s_delay_alu instid0(VALU_DEP_1) | instskip(NEXT) | instid1(VALU_DEP_1)
	v_div_fmas_f64 v[181:182], v[181:182], v[183:184], v[185:186]
	v_div_fixup_f64 v[181:182], v[181:182], v[166:167], v[164:165]
	s_delay_alu instid0(VALU_DEP_1) | instskip(NEXT) | instid1(VALU_DEP_1)
	v_fma_f64 v[164:165], v[164:165], v[181:182], v[166:167]
	v_div_scale_f64 v[166:167], null, v[164:165], v[164:165], 1.0
	s_delay_alu instid0(VALU_DEP_1) | instskip(SKIP_2) | instid1(VALU_DEP_1)
	v_rcp_f64_e32 v[183:184], v[166:167]
	s_waitcnt_depctr 0xfff
	v_fma_f64 v[185:186], -v[166:167], v[183:184], 1.0
	v_fma_f64 v[183:184], v[183:184], v[185:186], v[183:184]
	s_delay_alu instid0(VALU_DEP_1) | instskip(NEXT) | instid1(VALU_DEP_1)
	v_fma_f64 v[185:186], -v[166:167], v[183:184], 1.0
	v_fma_f64 v[183:184], v[183:184], v[185:186], v[183:184]
	v_div_scale_f64 v[185:186], vcc_lo, 1.0, v[164:165], 1.0
	s_delay_alu instid0(VALU_DEP_1) | instskip(NEXT) | instid1(VALU_DEP_1)
	v_mul_f64 v[187:188], v[185:186], v[183:184]
	v_fma_f64 v[166:167], -v[166:167], v[187:188], v[185:186]
	s_delay_alu instid0(VALU_DEP_1) | instskip(NEXT) | instid1(VALU_DEP_1)
	v_div_fmas_f64 v[166:167], v[166:167], v[183:184], v[187:188]
	v_div_fixup_f64 v[166:167], v[166:167], v[164:165], 1.0
	s_delay_alu instid0(VALU_DEP_1)
	v_mul_f64 v[164:165], v[181:182], v[166:167]
	v_xor_b32_e32 v167, 0x80000000, v167
.LBB80_511:
	s_and_not1_saveexec_b32 s2, s2
	s_cbranch_execz .LBB80_513
; %bb.512:
	s_delay_alu instid0(VALU_DEP_1) | instskip(SKIP_1) | instid1(VALU_DEP_2)
	v_div_scale_f64 v[181:182], null, v[164:165], v[164:165], v[166:167]
	v_div_scale_f64 v[187:188], vcc_lo, v[166:167], v[164:165], v[166:167]
	v_rcp_f64_e32 v[183:184], v[181:182]
	s_waitcnt_depctr 0xfff
	v_fma_f64 v[185:186], -v[181:182], v[183:184], 1.0
	s_delay_alu instid0(VALU_DEP_1) | instskip(NEXT) | instid1(VALU_DEP_1)
	v_fma_f64 v[183:184], v[183:184], v[185:186], v[183:184]
	v_fma_f64 v[185:186], -v[181:182], v[183:184], 1.0
	s_delay_alu instid0(VALU_DEP_1) | instskip(NEXT) | instid1(VALU_DEP_1)
	v_fma_f64 v[183:184], v[183:184], v[185:186], v[183:184]
	v_mul_f64 v[185:186], v[187:188], v[183:184]
	s_delay_alu instid0(VALU_DEP_1) | instskip(NEXT) | instid1(VALU_DEP_1)
	v_fma_f64 v[181:182], -v[181:182], v[185:186], v[187:188]
	v_div_fmas_f64 v[181:182], v[181:182], v[183:184], v[185:186]
	s_delay_alu instid0(VALU_DEP_1) | instskip(NEXT) | instid1(VALU_DEP_1)
	v_div_fixup_f64 v[181:182], v[181:182], v[164:165], v[166:167]
	v_fma_f64 v[164:165], v[166:167], v[181:182], v[164:165]
	s_delay_alu instid0(VALU_DEP_1) | instskip(NEXT) | instid1(VALU_DEP_1)
	v_div_scale_f64 v[166:167], null, v[164:165], v[164:165], 1.0
	v_rcp_f64_e32 v[183:184], v[166:167]
	s_waitcnt_depctr 0xfff
	v_fma_f64 v[185:186], -v[166:167], v[183:184], 1.0
	s_delay_alu instid0(VALU_DEP_1) | instskip(NEXT) | instid1(VALU_DEP_1)
	v_fma_f64 v[183:184], v[183:184], v[185:186], v[183:184]
	v_fma_f64 v[185:186], -v[166:167], v[183:184], 1.0
	s_delay_alu instid0(VALU_DEP_1) | instskip(SKIP_1) | instid1(VALU_DEP_1)
	v_fma_f64 v[183:184], v[183:184], v[185:186], v[183:184]
	v_div_scale_f64 v[185:186], vcc_lo, 1.0, v[164:165], 1.0
	v_mul_f64 v[187:188], v[185:186], v[183:184]
	s_delay_alu instid0(VALU_DEP_1) | instskip(NEXT) | instid1(VALU_DEP_1)
	v_fma_f64 v[166:167], -v[166:167], v[187:188], v[185:186]
	v_div_fmas_f64 v[166:167], v[166:167], v[183:184], v[187:188]
	s_delay_alu instid0(VALU_DEP_1) | instskip(NEXT) | instid1(VALU_DEP_1)
	v_div_fixup_f64 v[164:165], v[166:167], v[164:165], 1.0
	v_mul_f64 v[166:167], v[181:182], -v[164:165]
.LBB80_513:
	s_or_b32 exec_lo, exec_lo, s2
.LBB80_514:
	s_delay_alu instid0(SALU_CYCLE_1) | instskip(NEXT) | instid1(SALU_CYCLE_1)
	s_or_b32 exec_lo, exec_lo, s3
	s_mov_b32 s2, exec_lo
	v_cmpx_ne_u32_e64 v180, v172
	s_xor_b32 s2, exec_lo, s2
	s_cbranch_execz .LBB80_520
; %bb.515:
	s_mov_b32 s3, exec_lo
	v_cmpx_eq_u32_e32 24, v180
	s_cbranch_execz .LBB80_519
; %bb.516:
	v_cmp_ne_u32_e32 vcc_lo, 24, v172
	s_xor_b32 s6, s4, -1
	s_delay_alu instid0(SALU_CYCLE_1) | instskip(NEXT) | instid1(SALU_CYCLE_1)
	s_and_b32 s7, s6, vcc_lo
	s_and_saveexec_b32 s6, s7
	s_cbranch_execz .LBB80_518
; %bb.517:
	v_ashrrev_i32_e32 v173, 31, v172
	s_delay_alu instid0(VALU_DEP_1) | instskip(NEXT) | instid1(VALU_DEP_1)
	v_lshlrev_b64 v[179:180], 2, v[172:173]
	v_add_co_u32 v179, vcc_lo, v170, v179
	s_delay_alu instid0(VALU_DEP_2)
	v_add_co_ci_u32_e32 v180, vcc_lo, v171, v180, vcc_lo
	s_clause 0x1
	flat_load_b32 v173, v[179:180]
	flat_load_b32 v181, v[170:171] offset:96
	s_waitcnt vmcnt(1) lgkmcnt(1)
	flat_store_b32 v[170:171], v173 offset:96
	s_waitcnt vmcnt(0) lgkmcnt(1)
	flat_store_b32 v[179:180], v181
.LBB80_518:
	s_or_b32 exec_lo, exec_lo, s6
	v_mov_b32_e32 v180, v172
	v_mov_b32_e32 v179, v172
.LBB80_519:
	s_or_b32 exec_lo, exec_lo, s3
.LBB80_520:
	s_and_not1_saveexec_b32 s2, s2
	s_cbranch_execz .LBB80_522
; %bb.521:
	v_mov_b32_e32 v180, 24
	ds_store_2addr_b64 v174, v[60:61], v[62:63] offset0:50 offset1:51
	ds_store_2addr_b64 v174, v[56:57], v[58:59] offset0:52 offset1:53
	ds_store_2addr_b64 v174, v[52:53], v[54:55] offset0:54 offset1:55
	ds_store_2addr_b64 v174, v[48:49], v[50:51] offset0:56 offset1:57
	ds_store_2addr_b64 v174, v[44:45], v[46:47] offset0:58 offset1:59
	ds_store_2addr_b64 v174, v[40:41], v[42:43] offset0:60 offset1:61
	ds_store_2addr_b64 v174, v[36:37], v[38:39] offset0:62 offset1:63
	ds_store_2addr_b64 v174, v[32:33], v[34:35] offset0:64 offset1:65
	ds_store_2addr_b64 v174, v[28:29], v[30:31] offset0:66 offset1:67
	ds_store_2addr_b64 v174, v[24:25], v[26:27] offset0:68 offset1:69
	ds_store_2addr_b64 v174, v[20:21], v[22:23] offset0:70 offset1:71
	ds_store_2addr_b64 v174, v[16:17], v[18:19] offset0:72 offset1:73
	ds_store_2addr_b64 v174, v[12:13], v[14:15] offset0:74 offset1:75
	ds_store_2addr_b64 v174, v[8:9], v[10:11] offset0:76 offset1:77
	ds_store_2addr_b64 v174, v[4:5], v[6:7] offset0:78 offset1:79
	ds_store_2addr_b64 v174, v[0:1], v[2:3] offset0:80 offset1:81
.LBB80_522:
	s_or_b32 exec_lo, exec_lo, s2
	s_delay_alu instid0(SALU_CYCLE_1)
	s_mov_b32 s2, exec_lo
	s_waitcnt lgkmcnt(0)
	s_waitcnt_vscnt null, 0x0
	s_barrier
	buffer_gl0_inv
	v_cmpx_lt_i32_e32 24, v180
	s_cbranch_execz .LBB80_524
; %bb.523:
	v_mul_f64 v[172:173], v[164:165], v[66:67]
	v_mul_f64 v[66:67], v[166:167], v[66:67]
	s_delay_alu instid0(VALU_DEP_2) | instskip(NEXT) | instid1(VALU_DEP_2)
	v_fma_f64 v[172:173], v[166:167], v[64:65], v[172:173]
	v_fma_f64 v[64:65], v[164:165], v[64:65], -v[66:67]
	ds_load_2addr_b64 v[164:167], v174 offset0:50 offset1:51
	s_waitcnt lgkmcnt(0)
	v_mul_f64 v[66:67], v[166:167], v[172:173]
	s_delay_alu instid0(VALU_DEP_1) | instskip(SKIP_1) | instid1(VALU_DEP_2)
	v_fma_f64 v[66:67], v[164:165], v[64:65], -v[66:67]
	v_mul_f64 v[164:165], v[164:165], v[172:173]
	v_add_f64 v[60:61], v[60:61], -v[66:67]
	s_delay_alu instid0(VALU_DEP_2) | instskip(NEXT) | instid1(VALU_DEP_1)
	v_fma_f64 v[164:165], v[166:167], v[64:65], v[164:165]
	v_add_f64 v[62:63], v[62:63], -v[164:165]
	ds_load_2addr_b64 v[164:167], v174 offset0:52 offset1:53
	s_waitcnt lgkmcnt(0)
	v_mul_f64 v[66:67], v[166:167], v[172:173]
	s_delay_alu instid0(VALU_DEP_1) | instskip(SKIP_1) | instid1(VALU_DEP_2)
	v_fma_f64 v[66:67], v[164:165], v[64:65], -v[66:67]
	v_mul_f64 v[164:165], v[164:165], v[172:173]
	v_add_f64 v[56:57], v[56:57], -v[66:67]
	s_delay_alu instid0(VALU_DEP_2) | instskip(NEXT) | instid1(VALU_DEP_1)
	v_fma_f64 v[164:165], v[166:167], v[64:65], v[164:165]
	v_add_f64 v[58:59], v[58:59], -v[164:165]
	;; [unrolled: 10-line block ×15, first 2 shown]
	ds_load_2addr_b64 v[164:167], v174 offset0:80 offset1:81
	s_waitcnt lgkmcnt(0)
	v_mul_f64 v[66:67], v[166:167], v[172:173]
	s_delay_alu instid0(VALU_DEP_1) | instskip(SKIP_1) | instid1(VALU_DEP_2)
	v_fma_f64 v[66:67], v[164:165], v[64:65], -v[66:67]
	v_mul_f64 v[164:165], v[164:165], v[172:173]
	v_add_f64 v[0:1], v[0:1], -v[66:67]
	s_delay_alu instid0(VALU_DEP_2) | instskip(SKIP_1) | instid1(VALU_DEP_2)
	v_fma_f64 v[164:165], v[166:167], v[64:65], v[164:165]
	v_dual_mov_b32 v66, v172 :: v_dual_mov_b32 v67, v173
	v_add_f64 v[2:3], v[2:3], -v[164:165]
.LBB80_524:
	s_or_b32 exec_lo, exec_lo, s2
	v_lshl_add_u32 v164, v180, 4, v174
	s_barrier
	buffer_gl0_inv
	v_mov_b32_e32 v172, 25
	ds_store_2addr_b64 v164, v[60:61], v[62:63] offset1:1
	s_waitcnt lgkmcnt(0)
	s_barrier
	buffer_gl0_inv
	ds_load_2addr_b64 v[164:167], v174 offset0:50 offset1:51
	s_cmp_lt_i32 s5, 27
	s_cbranch_scc1 .LBB80_527
; %bb.525:
	v_add3_u32 v173, v178, 0, 0x1a0
	v_mov_b32_e32 v172, 25
	s_mov_b32 s6, 26
	s_set_inst_prefetch_distance 0x1
	.p2align	6
.LBB80_526:                             ; =>This Inner Loop Header: Depth=1
	ds_load_2addr_b64 v[181:184], v173 offset1:1
	s_waitcnt lgkmcnt(1)
	v_cmp_gt_f64_e32 vcc_lo, 0, v[164:165]
	v_xor_b32_e32 v185, 0x80000000, v165
	v_cmp_gt_f64_e64 s2, 0, v[166:167]
	v_xor_b32_e32 v187, 0x80000000, v167
	v_add_nc_u32_e32 v173, 16, v173
	s_waitcnt lgkmcnt(0)
	v_cmp_gt_f64_e64 s3, 0, v[181:182]
	v_mov_b32_e32 v189, v181
	v_dual_mov_b32 v191, v183 :: v_dual_cndmask_b32 v186, v165, v185
	v_xor_b32_e32 v185, 0x80000000, v182
	v_cndmask_b32_e64 v188, v167, v187, s2
	v_xor_b32_e32 v187, 0x80000000, v184
	s_delay_alu instid0(VALU_DEP_3) | instskip(SKIP_2) | instid1(VALU_DEP_2)
	v_cndmask_b32_e64 v190, v182, v185, s3
	v_cmp_gt_f64_e64 s3, 0, v[183:184]
	v_cndmask_b32_e32 v185, v164, v164, vcc_lo
	v_cndmask_b32_e64 v192, v184, v187, s3
	v_cndmask_b32_e64 v187, v166, v166, s2
	s_delay_alu instid0(VALU_DEP_2) | instskip(NEXT) | instid1(VALU_DEP_2)
	v_add_f64 v[189:190], v[189:190], v[191:192]
	v_add_f64 v[185:186], v[185:186], v[187:188]
	s_delay_alu instid0(VALU_DEP_1) | instskip(SKIP_4) | instid1(SALU_CYCLE_1)
	v_cmp_lt_f64_e32 vcc_lo, v[185:186], v[189:190]
	v_dual_cndmask_b32 v166, v166, v183 :: v_dual_cndmask_b32 v165, v165, v182
	v_dual_cndmask_b32 v164, v164, v181 :: v_dual_cndmask_b32 v167, v167, v184
	v_cndmask_b32_e64 v172, v172, s6, vcc_lo
	s_add_i32 s6, s6, 1
	s_cmp_lg_u32 s5, s6
	s_cbranch_scc1 .LBB80_526
.LBB80_527:
	s_set_inst_prefetch_distance 0x2
	s_waitcnt lgkmcnt(0)
	v_cmp_eq_f64_e32 vcc_lo, 0, v[164:165]
	v_cmp_eq_f64_e64 s2, 0, v[166:167]
	s_delay_alu instid0(VALU_DEP_1) | instskip(NEXT) | instid1(SALU_CYCLE_1)
	s_and_b32 s2, vcc_lo, s2
	s_and_saveexec_b32 s3, s2
	s_delay_alu instid0(SALU_CYCLE_1)
	s_xor_b32 s2, exec_lo, s3
; %bb.528:
	v_cmp_ne_u32_e32 vcc_lo, 0, v177
	v_cndmask_b32_e32 v177, 26, v177, vcc_lo
; %bb.529:
	s_and_not1_saveexec_b32 s3, s2
	s_cbranch_execz .LBB80_535
; %bb.530:
	v_cmp_gt_f64_e32 vcc_lo, 0, v[164:165]
	v_cmp_gt_f64_e64 s2, 0, v[166:167]
	v_xor_b32_e32 v173, 0x80000000, v165
	v_xor_b32_e32 v181, 0x80000000, v167
	s_delay_alu instid0(VALU_DEP_2) | instskip(NEXT) | instid1(VALU_DEP_2)
	v_cndmask_b32_e32 v182, v165, v173, vcc_lo
	v_cndmask_b32_e64 v184, v167, v181, s2
	v_cndmask_b32_e32 v181, v164, v164, vcc_lo
	v_cndmask_b32_e64 v183, v166, v166, s2
	s_mov_b32 s2, exec_lo
	s_delay_alu instid0(VALU_DEP_1)
	v_cmpx_ngt_f64_e32 v[181:182], v[183:184]
	s_xor_b32 s2, exec_lo, s2
	s_cbranch_execz .LBB80_532
; %bb.531:
	v_div_scale_f64 v[181:182], null, v[166:167], v[166:167], v[164:165]
	v_div_scale_f64 v[187:188], vcc_lo, v[164:165], v[166:167], v[164:165]
	s_delay_alu instid0(VALU_DEP_2) | instskip(SKIP_2) | instid1(VALU_DEP_1)
	v_rcp_f64_e32 v[183:184], v[181:182]
	s_waitcnt_depctr 0xfff
	v_fma_f64 v[185:186], -v[181:182], v[183:184], 1.0
	v_fma_f64 v[183:184], v[183:184], v[185:186], v[183:184]
	s_delay_alu instid0(VALU_DEP_1) | instskip(NEXT) | instid1(VALU_DEP_1)
	v_fma_f64 v[185:186], -v[181:182], v[183:184], 1.0
	v_fma_f64 v[183:184], v[183:184], v[185:186], v[183:184]
	s_delay_alu instid0(VALU_DEP_1) | instskip(NEXT) | instid1(VALU_DEP_1)
	v_mul_f64 v[185:186], v[187:188], v[183:184]
	v_fma_f64 v[181:182], -v[181:182], v[185:186], v[187:188]
	s_delay_alu instid0(VALU_DEP_1) | instskip(NEXT) | instid1(VALU_DEP_1)
	v_div_fmas_f64 v[181:182], v[181:182], v[183:184], v[185:186]
	v_div_fixup_f64 v[181:182], v[181:182], v[166:167], v[164:165]
	s_delay_alu instid0(VALU_DEP_1) | instskip(NEXT) | instid1(VALU_DEP_1)
	v_fma_f64 v[164:165], v[164:165], v[181:182], v[166:167]
	v_div_scale_f64 v[166:167], null, v[164:165], v[164:165], 1.0
	s_delay_alu instid0(VALU_DEP_1) | instskip(SKIP_2) | instid1(VALU_DEP_1)
	v_rcp_f64_e32 v[183:184], v[166:167]
	s_waitcnt_depctr 0xfff
	v_fma_f64 v[185:186], -v[166:167], v[183:184], 1.0
	v_fma_f64 v[183:184], v[183:184], v[185:186], v[183:184]
	s_delay_alu instid0(VALU_DEP_1) | instskip(NEXT) | instid1(VALU_DEP_1)
	v_fma_f64 v[185:186], -v[166:167], v[183:184], 1.0
	v_fma_f64 v[183:184], v[183:184], v[185:186], v[183:184]
	v_div_scale_f64 v[185:186], vcc_lo, 1.0, v[164:165], 1.0
	s_delay_alu instid0(VALU_DEP_1) | instskip(NEXT) | instid1(VALU_DEP_1)
	v_mul_f64 v[187:188], v[185:186], v[183:184]
	v_fma_f64 v[166:167], -v[166:167], v[187:188], v[185:186]
	s_delay_alu instid0(VALU_DEP_1) | instskip(NEXT) | instid1(VALU_DEP_1)
	v_div_fmas_f64 v[166:167], v[166:167], v[183:184], v[187:188]
	v_div_fixup_f64 v[166:167], v[166:167], v[164:165], 1.0
	s_delay_alu instid0(VALU_DEP_1)
	v_mul_f64 v[164:165], v[181:182], v[166:167]
	v_xor_b32_e32 v167, 0x80000000, v167
.LBB80_532:
	s_and_not1_saveexec_b32 s2, s2
	s_cbranch_execz .LBB80_534
; %bb.533:
	s_delay_alu instid0(VALU_DEP_1) | instskip(SKIP_1) | instid1(VALU_DEP_2)
	v_div_scale_f64 v[181:182], null, v[164:165], v[164:165], v[166:167]
	v_div_scale_f64 v[187:188], vcc_lo, v[166:167], v[164:165], v[166:167]
	v_rcp_f64_e32 v[183:184], v[181:182]
	s_waitcnt_depctr 0xfff
	v_fma_f64 v[185:186], -v[181:182], v[183:184], 1.0
	s_delay_alu instid0(VALU_DEP_1) | instskip(NEXT) | instid1(VALU_DEP_1)
	v_fma_f64 v[183:184], v[183:184], v[185:186], v[183:184]
	v_fma_f64 v[185:186], -v[181:182], v[183:184], 1.0
	s_delay_alu instid0(VALU_DEP_1) | instskip(NEXT) | instid1(VALU_DEP_1)
	v_fma_f64 v[183:184], v[183:184], v[185:186], v[183:184]
	v_mul_f64 v[185:186], v[187:188], v[183:184]
	s_delay_alu instid0(VALU_DEP_1) | instskip(NEXT) | instid1(VALU_DEP_1)
	v_fma_f64 v[181:182], -v[181:182], v[185:186], v[187:188]
	v_div_fmas_f64 v[181:182], v[181:182], v[183:184], v[185:186]
	s_delay_alu instid0(VALU_DEP_1) | instskip(NEXT) | instid1(VALU_DEP_1)
	v_div_fixup_f64 v[181:182], v[181:182], v[164:165], v[166:167]
	v_fma_f64 v[164:165], v[166:167], v[181:182], v[164:165]
	s_delay_alu instid0(VALU_DEP_1) | instskip(NEXT) | instid1(VALU_DEP_1)
	v_div_scale_f64 v[166:167], null, v[164:165], v[164:165], 1.0
	v_rcp_f64_e32 v[183:184], v[166:167]
	s_waitcnt_depctr 0xfff
	v_fma_f64 v[185:186], -v[166:167], v[183:184], 1.0
	s_delay_alu instid0(VALU_DEP_1) | instskip(NEXT) | instid1(VALU_DEP_1)
	v_fma_f64 v[183:184], v[183:184], v[185:186], v[183:184]
	v_fma_f64 v[185:186], -v[166:167], v[183:184], 1.0
	s_delay_alu instid0(VALU_DEP_1) | instskip(SKIP_1) | instid1(VALU_DEP_1)
	v_fma_f64 v[183:184], v[183:184], v[185:186], v[183:184]
	v_div_scale_f64 v[185:186], vcc_lo, 1.0, v[164:165], 1.0
	v_mul_f64 v[187:188], v[185:186], v[183:184]
	s_delay_alu instid0(VALU_DEP_1) | instskip(NEXT) | instid1(VALU_DEP_1)
	v_fma_f64 v[166:167], -v[166:167], v[187:188], v[185:186]
	v_div_fmas_f64 v[166:167], v[166:167], v[183:184], v[187:188]
	s_delay_alu instid0(VALU_DEP_1) | instskip(NEXT) | instid1(VALU_DEP_1)
	v_div_fixup_f64 v[164:165], v[166:167], v[164:165], 1.0
	v_mul_f64 v[166:167], v[181:182], -v[164:165]
.LBB80_534:
	s_or_b32 exec_lo, exec_lo, s2
.LBB80_535:
	s_delay_alu instid0(SALU_CYCLE_1) | instskip(NEXT) | instid1(SALU_CYCLE_1)
	s_or_b32 exec_lo, exec_lo, s3
	s_mov_b32 s2, exec_lo
	v_cmpx_ne_u32_e64 v180, v172
	s_xor_b32 s2, exec_lo, s2
	s_cbranch_execz .LBB80_541
; %bb.536:
	s_mov_b32 s3, exec_lo
	v_cmpx_eq_u32_e32 25, v180
	s_cbranch_execz .LBB80_540
; %bb.537:
	v_cmp_ne_u32_e32 vcc_lo, 25, v172
	s_xor_b32 s6, s4, -1
	s_delay_alu instid0(SALU_CYCLE_1) | instskip(NEXT) | instid1(SALU_CYCLE_1)
	s_and_b32 s7, s6, vcc_lo
	s_and_saveexec_b32 s6, s7
	s_cbranch_execz .LBB80_539
; %bb.538:
	v_ashrrev_i32_e32 v173, 31, v172
	s_delay_alu instid0(VALU_DEP_1) | instskip(NEXT) | instid1(VALU_DEP_1)
	v_lshlrev_b64 v[179:180], 2, v[172:173]
	v_add_co_u32 v179, vcc_lo, v170, v179
	s_delay_alu instid0(VALU_DEP_2)
	v_add_co_ci_u32_e32 v180, vcc_lo, v171, v180, vcc_lo
	s_clause 0x1
	flat_load_b32 v173, v[179:180]
	flat_load_b32 v181, v[170:171] offset:100
	s_waitcnt vmcnt(1) lgkmcnt(1)
	flat_store_b32 v[170:171], v173 offset:100
	s_waitcnt vmcnt(0) lgkmcnt(1)
	flat_store_b32 v[179:180], v181
.LBB80_539:
	s_or_b32 exec_lo, exec_lo, s6
	v_mov_b32_e32 v180, v172
	v_mov_b32_e32 v179, v172
.LBB80_540:
	s_or_b32 exec_lo, exec_lo, s3
.LBB80_541:
	s_and_not1_saveexec_b32 s2, s2
	s_cbranch_execz .LBB80_543
; %bb.542:
	v_mov_b32_e32 v180, 25
	ds_store_2addr_b64 v174, v[56:57], v[58:59] offset0:52 offset1:53
	ds_store_2addr_b64 v174, v[52:53], v[54:55] offset0:54 offset1:55
	;; [unrolled: 1-line block ×15, first 2 shown]
.LBB80_543:
	s_or_b32 exec_lo, exec_lo, s2
	s_delay_alu instid0(SALU_CYCLE_1)
	s_mov_b32 s2, exec_lo
	s_waitcnt lgkmcnt(0)
	s_waitcnt_vscnt null, 0x0
	s_barrier
	buffer_gl0_inv
	v_cmpx_lt_i32_e32 25, v180
	s_cbranch_execz .LBB80_545
; %bb.544:
	v_mul_f64 v[172:173], v[164:165], v[62:63]
	v_mul_f64 v[62:63], v[166:167], v[62:63]
	s_delay_alu instid0(VALU_DEP_2) | instskip(NEXT) | instid1(VALU_DEP_2)
	v_fma_f64 v[172:173], v[166:167], v[60:61], v[172:173]
	v_fma_f64 v[60:61], v[164:165], v[60:61], -v[62:63]
	ds_load_2addr_b64 v[164:167], v174 offset0:52 offset1:53
	s_waitcnt lgkmcnt(0)
	v_mul_f64 v[62:63], v[166:167], v[172:173]
	s_delay_alu instid0(VALU_DEP_1) | instskip(SKIP_1) | instid1(VALU_DEP_2)
	v_fma_f64 v[62:63], v[164:165], v[60:61], -v[62:63]
	v_mul_f64 v[164:165], v[164:165], v[172:173]
	v_add_f64 v[56:57], v[56:57], -v[62:63]
	s_delay_alu instid0(VALU_DEP_2) | instskip(NEXT) | instid1(VALU_DEP_1)
	v_fma_f64 v[164:165], v[166:167], v[60:61], v[164:165]
	v_add_f64 v[58:59], v[58:59], -v[164:165]
	ds_load_2addr_b64 v[164:167], v174 offset0:54 offset1:55
	s_waitcnt lgkmcnt(0)
	v_mul_f64 v[62:63], v[166:167], v[172:173]
	s_delay_alu instid0(VALU_DEP_1) | instskip(SKIP_1) | instid1(VALU_DEP_2)
	v_fma_f64 v[62:63], v[164:165], v[60:61], -v[62:63]
	v_mul_f64 v[164:165], v[164:165], v[172:173]
	v_add_f64 v[52:53], v[52:53], -v[62:63]
	s_delay_alu instid0(VALU_DEP_2) | instskip(NEXT) | instid1(VALU_DEP_1)
	v_fma_f64 v[164:165], v[166:167], v[60:61], v[164:165]
	v_add_f64 v[54:55], v[54:55], -v[164:165]
	;; [unrolled: 10-line block ×14, first 2 shown]
	ds_load_2addr_b64 v[164:167], v174 offset0:80 offset1:81
	s_waitcnt lgkmcnt(0)
	v_mul_f64 v[62:63], v[166:167], v[172:173]
	s_delay_alu instid0(VALU_DEP_1) | instskip(SKIP_1) | instid1(VALU_DEP_2)
	v_fma_f64 v[62:63], v[164:165], v[60:61], -v[62:63]
	v_mul_f64 v[164:165], v[164:165], v[172:173]
	v_add_f64 v[0:1], v[0:1], -v[62:63]
	s_delay_alu instid0(VALU_DEP_2) | instskip(SKIP_1) | instid1(VALU_DEP_2)
	v_fma_f64 v[164:165], v[166:167], v[60:61], v[164:165]
	v_dual_mov_b32 v62, v172 :: v_dual_mov_b32 v63, v173
	v_add_f64 v[2:3], v[2:3], -v[164:165]
.LBB80_545:
	s_or_b32 exec_lo, exec_lo, s2
	v_lshl_add_u32 v164, v180, 4, v174
	s_barrier
	buffer_gl0_inv
	v_mov_b32_e32 v172, 26
	ds_store_2addr_b64 v164, v[56:57], v[58:59] offset1:1
	s_waitcnt lgkmcnt(0)
	s_barrier
	buffer_gl0_inv
	ds_load_2addr_b64 v[164:167], v174 offset0:52 offset1:53
	s_cmp_lt_i32 s5, 28
	s_cbranch_scc1 .LBB80_548
; %bb.546:
	v_add3_u32 v173, v178, 0, 0x1b0
	v_mov_b32_e32 v172, 26
	s_mov_b32 s6, 27
	s_set_inst_prefetch_distance 0x1
	.p2align	6
.LBB80_547:                             ; =>This Inner Loop Header: Depth=1
	ds_load_2addr_b64 v[181:184], v173 offset1:1
	s_waitcnt lgkmcnt(1)
	v_cmp_gt_f64_e32 vcc_lo, 0, v[164:165]
	v_xor_b32_e32 v185, 0x80000000, v165
	v_cmp_gt_f64_e64 s2, 0, v[166:167]
	v_xor_b32_e32 v187, 0x80000000, v167
	v_add_nc_u32_e32 v173, 16, v173
	s_waitcnt lgkmcnt(0)
	v_cmp_gt_f64_e64 s3, 0, v[181:182]
	v_mov_b32_e32 v189, v181
	v_dual_mov_b32 v191, v183 :: v_dual_cndmask_b32 v186, v165, v185
	v_xor_b32_e32 v185, 0x80000000, v182
	v_cndmask_b32_e64 v188, v167, v187, s2
	v_xor_b32_e32 v187, 0x80000000, v184
	s_delay_alu instid0(VALU_DEP_3) | instskip(SKIP_2) | instid1(VALU_DEP_2)
	v_cndmask_b32_e64 v190, v182, v185, s3
	v_cmp_gt_f64_e64 s3, 0, v[183:184]
	v_cndmask_b32_e32 v185, v164, v164, vcc_lo
	v_cndmask_b32_e64 v192, v184, v187, s3
	v_cndmask_b32_e64 v187, v166, v166, s2
	s_delay_alu instid0(VALU_DEP_2) | instskip(NEXT) | instid1(VALU_DEP_2)
	v_add_f64 v[189:190], v[189:190], v[191:192]
	v_add_f64 v[185:186], v[185:186], v[187:188]
	s_delay_alu instid0(VALU_DEP_1) | instskip(SKIP_4) | instid1(SALU_CYCLE_1)
	v_cmp_lt_f64_e32 vcc_lo, v[185:186], v[189:190]
	v_dual_cndmask_b32 v166, v166, v183 :: v_dual_cndmask_b32 v165, v165, v182
	v_dual_cndmask_b32 v164, v164, v181 :: v_dual_cndmask_b32 v167, v167, v184
	v_cndmask_b32_e64 v172, v172, s6, vcc_lo
	s_add_i32 s6, s6, 1
	s_cmp_lg_u32 s5, s6
	s_cbranch_scc1 .LBB80_547
.LBB80_548:
	s_set_inst_prefetch_distance 0x2
	s_waitcnt lgkmcnt(0)
	v_cmp_eq_f64_e32 vcc_lo, 0, v[164:165]
	v_cmp_eq_f64_e64 s2, 0, v[166:167]
	s_delay_alu instid0(VALU_DEP_1) | instskip(NEXT) | instid1(SALU_CYCLE_1)
	s_and_b32 s2, vcc_lo, s2
	s_and_saveexec_b32 s3, s2
	s_delay_alu instid0(SALU_CYCLE_1)
	s_xor_b32 s2, exec_lo, s3
; %bb.549:
	v_cmp_ne_u32_e32 vcc_lo, 0, v177
	v_cndmask_b32_e32 v177, 27, v177, vcc_lo
; %bb.550:
	s_and_not1_saveexec_b32 s3, s2
	s_cbranch_execz .LBB80_556
; %bb.551:
	v_cmp_gt_f64_e32 vcc_lo, 0, v[164:165]
	v_cmp_gt_f64_e64 s2, 0, v[166:167]
	v_xor_b32_e32 v173, 0x80000000, v165
	v_xor_b32_e32 v181, 0x80000000, v167
	s_delay_alu instid0(VALU_DEP_2) | instskip(NEXT) | instid1(VALU_DEP_2)
	v_cndmask_b32_e32 v182, v165, v173, vcc_lo
	v_cndmask_b32_e64 v184, v167, v181, s2
	v_cndmask_b32_e32 v181, v164, v164, vcc_lo
	v_cndmask_b32_e64 v183, v166, v166, s2
	s_mov_b32 s2, exec_lo
	s_delay_alu instid0(VALU_DEP_1)
	v_cmpx_ngt_f64_e32 v[181:182], v[183:184]
	s_xor_b32 s2, exec_lo, s2
	s_cbranch_execz .LBB80_553
; %bb.552:
	v_div_scale_f64 v[181:182], null, v[166:167], v[166:167], v[164:165]
	v_div_scale_f64 v[187:188], vcc_lo, v[164:165], v[166:167], v[164:165]
	s_delay_alu instid0(VALU_DEP_2) | instskip(SKIP_2) | instid1(VALU_DEP_1)
	v_rcp_f64_e32 v[183:184], v[181:182]
	s_waitcnt_depctr 0xfff
	v_fma_f64 v[185:186], -v[181:182], v[183:184], 1.0
	v_fma_f64 v[183:184], v[183:184], v[185:186], v[183:184]
	s_delay_alu instid0(VALU_DEP_1) | instskip(NEXT) | instid1(VALU_DEP_1)
	v_fma_f64 v[185:186], -v[181:182], v[183:184], 1.0
	v_fma_f64 v[183:184], v[183:184], v[185:186], v[183:184]
	s_delay_alu instid0(VALU_DEP_1) | instskip(NEXT) | instid1(VALU_DEP_1)
	v_mul_f64 v[185:186], v[187:188], v[183:184]
	v_fma_f64 v[181:182], -v[181:182], v[185:186], v[187:188]
	s_delay_alu instid0(VALU_DEP_1) | instskip(NEXT) | instid1(VALU_DEP_1)
	v_div_fmas_f64 v[181:182], v[181:182], v[183:184], v[185:186]
	v_div_fixup_f64 v[181:182], v[181:182], v[166:167], v[164:165]
	s_delay_alu instid0(VALU_DEP_1) | instskip(NEXT) | instid1(VALU_DEP_1)
	v_fma_f64 v[164:165], v[164:165], v[181:182], v[166:167]
	v_div_scale_f64 v[166:167], null, v[164:165], v[164:165], 1.0
	s_delay_alu instid0(VALU_DEP_1) | instskip(SKIP_2) | instid1(VALU_DEP_1)
	v_rcp_f64_e32 v[183:184], v[166:167]
	s_waitcnt_depctr 0xfff
	v_fma_f64 v[185:186], -v[166:167], v[183:184], 1.0
	v_fma_f64 v[183:184], v[183:184], v[185:186], v[183:184]
	s_delay_alu instid0(VALU_DEP_1) | instskip(NEXT) | instid1(VALU_DEP_1)
	v_fma_f64 v[185:186], -v[166:167], v[183:184], 1.0
	v_fma_f64 v[183:184], v[183:184], v[185:186], v[183:184]
	v_div_scale_f64 v[185:186], vcc_lo, 1.0, v[164:165], 1.0
	s_delay_alu instid0(VALU_DEP_1) | instskip(NEXT) | instid1(VALU_DEP_1)
	v_mul_f64 v[187:188], v[185:186], v[183:184]
	v_fma_f64 v[166:167], -v[166:167], v[187:188], v[185:186]
	s_delay_alu instid0(VALU_DEP_1) | instskip(NEXT) | instid1(VALU_DEP_1)
	v_div_fmas_f64 v[166:167], v[166:167], v[183:184], v[187:188]
	v_div_fixup_f64 v[166:167], v[166:167], v[164:165], 1.0
	s_delay_alu instid0(VALU_DEP_1)
	v_mul_f64 v[164:165], v[181:182], v[166:167]
	v_xor_b32_e32 v167, 0x80000000, v167
.LBB80_553:
	s_and_not1_saveexec_b32 s2, s2
	s_cbranch_execz .LBB80_555
; %bb.554:
	s_delay_alu instid0(VALU_DEP_1) | instskip(SKIP_1) | instid1(VALU_DEP_2)
	v_div_scale_f64 v[181:182], null, v[164:165], v[164:165], v[166:167]
	v_div_scale_f64 v[187:188], vcc_lo, v[166:167], v[164:165], v[166:167]
	v_rcp_f64_e32 v[183:184], v[181:182]
	s_waitcnt_depctr 0xfff
	v_fma_f64 v[185:186], -v[181:182], v[183:184], 1.0
	s_delay_alu instid0(VALU_DEP_1) | instskip(NEXT) | instid1(VALU_DEP_1)
	v_fma_f64 v[183:184], v[183:184], v[185:186], v[183:184]
	v_fma_f64 v[185:186], -v[181:182], v[183:184], 1.0
	s_delay_alu instid0(VALU_DEP_1) | instskip(NEXT) | instid1(VALU_DEP_1)
	v_fma_f64 v[183:184], v[183:184], v[185:186], v[183:184]
	v_mul_f64 v[185:186], v[187:188], v[183:184]
	s_delay_alu instid0(VALU_DEP_1) | instskip(NEXT) | instid1(VALU_DEP_1)
	v_fma_f64 v[181:182], -v[181:182], v[185:186], v[187:188]
	v_div_fmas_f64 v[181:182], v[181:182], v[183:184], v[185:186]
	s_delay_alu instid0(VALU_DEP_1) | instskip(NEXT) | instid1(VALU_DEP_1)
	v_div_fixup_f64 v[181:182], v[181:182], v[164:165], v[166:167]
	v_fma_f64 v[164:165], v[166:167], v[181:182], v[164:165]
	s_delay_alu instid0(VALU_DEP_1) | instskip(NEXT) | instid1(VALU_DEP_1)
	v_div_scale_f64 v[166:167], null, v[164:165], v[164:165], 1.0
	v_rcp_f64_e32 v[183:184], v[166:167]
	s_waitcnt_depctr 0xfff
	v_fma_f64 v[185:186], -v[166:167], v[183:184], 1.0
	s_delay_alu instid0(VALU_DEP_1) | instskip(NEXT) | instid1(VALU_DEP_1)
	v_fma_f64 v[183:184], v[183:184], v[185:186], v[183:184]
	v_fma_f64 v[185:186], -v[166:167], v[183:184], 1.0
	s_delay_alu instid0(VALU_DEP_1) | instskip(SKIP_1) | instid1(VALU_DEP_1)
	v_fma_f64 v[183:184], v[183:184], v[185:186], v[183:184]
	v_div_scale_f64 v[185:186], vcc_lo, 1.0, v[164:165], 1.0
	v_mul_f64 v[187:188], v[185:186], v[183:184]
	s_delay_alu instid0(VALU_DEP_1) | instskip(NEXT) | instid1(VALU_DEP_1)
	v_fma_f64 v[166:167], -v[166:167], v[187:188], v[185:186]
	v_div_fmas_f64 v[166:167], v[166:167], v[183:184], v[187:188]
	s_delay_alu instid0(VALU_DEP_1) | instskip(NEXT) | instid1(VALU_DEP_1)
	v_div_fixup_f64 v[164:165], v[166:167], v[164:165], 1.0
	v_mul_f64 v[166:167], v[181:182], -v[164:165]
.LBB80_555:
	s_or_b32 exec_lo, exec_lo, s2
.LBB80_556:
	s_delay_alu instid0(SALU_CYCLE_1) | instskip(NEXT) | instid1(SALU_CYCLE_1)
	s_or_b32 exec_lo, exec_lo, s3
	s_mov_b32 s2, exec_lo
	v_cmpx_ne_u32_e64 v180, v172
	s_xor_b32 s2, exec_lo, s2
	s_cbranch_execz .LBB80_562
; %bb.557:
	s_mov_b32 s3, exec_lo
	v_cmpx_eq_u32_e32 26, v180
	s_cbranch_execz .LBB80_561
; %bb.558:
	v_cmp_ne_u32_e32 vcc_lo, 26, v172
	s_xor_b32 s6, s4, -1
	s_delay_alu instid0(SALU_CYCLE_1) | instskip(NEXT) | instid1(SALU_CYCLE_1)
	s_and_b32 s7, s6, vcc_lo
	s_and_saveexec_b32 s6, s7
	s_cbranch_execz .LBB80_560
; %bb.559:
	v_ashrrev_i32_e32 v173, 31, v172
	s_delay_alu instid0(VALU_DEP_1) | instskip(NEXT) | instid1(VALU_DEP_1)
	v_lshlrev_b64 v[179:180], 2, v[172:173]
	v_add_co_u32 v179, vcc_lo, v170, v179
	s_delay_alu instid0(VALU_DEP_2)
	v_add_co_ci_u32_e32 v180, vcc_lo, v171, v180, vcc_lo
	s_clause 0x1
	flat_load_b32 v173, v[179:180]
	flat_load_b32 v181, v[170:171] offset:104
	s_waitcnt vmcnt(1) lgkmcnt(1)
	flat_store_b32 v[170:171], v173 offset:104
	s_waitcnt vmcnt(0) lgkmcnt(1)
	flat_store_b32 v[179:180], v181
.LBB80_560:
	s_or_b32 exec_lo, exec_lo, s6
	v_mov_b32_e32 v180, v172
	v_mov_b32_e32 v179, v172
.LBB80_561:
	s_or_b32 exec_lo, exec_lo, s3
.LBB80_562:
	s_and_not1_saveexec_b32 s2, s2
	s_cbranch_execz .LBB80_564
; %bb.563:
	v_mov_b32_e32 v180, 26
	ds_store_2addr_b64 v174, v[52:53], v[54:55] offset0:54 offset1:55
	ds_store_2addr_b64 v174, v[48:49], v[50:51] offset0:56 offset1:57
	;; [unrolled: 1-line block ×14, first 2 shown]
.LBB80_564:
	s_or_b32 exec_lo, exec_lo, s2
	s_delay_alu instid0(SALU_CYCLE_1)
	s_mov_b32 s2, exec_lo
	s_waitcnt lgkmcnt(0)
	s_waitcnt_vscnt null, 0x0
	s_barrier
	buffer_gl0_inv
	v_cmpx_lt_i32_e32 26, v180
	s_cbranch_execz .LBB80_566
; %bb.565:
	v_mul_f64 v[172:173], v[164:165], v[58:59]
	v_mul_f64 v[58:59], v[166:167], v[58:59]
	s_delay_alu instid0(VALU_DEP_2) | instskip(NEXT) | instid1(VALU_DEP_2)
	v_fma_f64 v[172:173], v[166:167], v[56:57], v[172:173]
	v_fma_f64 v[56:57], v[164:165], v[56:57], -v[58:59]
	ds_load_2addr_b64 v[164:167], v174 offset0:54 offset1:55
	s_waitcnt lgkmcnt(0)
	v_mul_f64 v[58:59], v[166:167], v[172:173]
	s_delay_alu instid0(VALU_DEP_1) | instskip(SKIP_1) | instid1(VALU_DEP_2)
	v_fma_f64 v[58:59], v[164:165], v[56:57], -v[58:59]
	v_mul_f64 v[164:165], v[164:165], v[172:173]
	v_add_f64 v[52:53], v[52:53], -v[58:59]
	s_delay_alu instid0(VALU_DEP_2) | instskip(NEXT) | instid1(VALU_DEP_1)
	v_fma_f64 v[164:165], v[166:167], v[56:57], v[164:165]
	v_add_f64 v[54:55], v[54:55], -v[164:165]
	ds_load_2addr_b64 v[164:167], v174 offset0:56 offset1:57
	s_waitcnt lgkmcnt(0)
	v_mul_f64 v[58:59], v[166:167], v[172:173]
	s_delay_alu instid0(VALU_DEP_1) | instskip(SKIP_1) | instid1(VALU_DEP_2)
	v_fma_f64 v[58:59], v[164:165], v[56:57], -v[58:59]
	v_mul_f64 v[164:165], v[164:165], v[172:173]
	v_add_f64 v[48:49], v[48:49], -v[58:59]
	s_delay_alu instid0(VALU_DEP_2) | instskip(NEXT) | instid1(VALU_DEP_1)
	v_fma_f64 v[164:165], v[166:167], v[56:57], v[164:165]
	v_add_f64 v[50:51], v[50:51], -v[164:165]
	;; [unrolled: 10-line block ×13, first 2 shown]
	ds_load_2addr_b64 v[164:167], v174 offset0:80 offset1:81
	s_waitcnt lgkmcnt(0)
	v_mul_f64 v[58:59], v[166:167], v[172:173]
	s_delay_alu instid0(VALU_DEP_1) | instskip(SKIP_1) | instid1(VALU_DEP_2)
	v_fma_f64 v[58:59], v[164:165], v[56:57], -v[58:59]
	v_mul_f64 v[164:165], v[164:165], v[172:173]
	v_add_f64 v[0:1], v[0:1], -v[58:59]
	s_delay_alu instid0(VALU_DEP_2) | instskip(SKIP_1) | instid1(VALU_DEP_2)
	v_fma_f64 v[164:165], v[166:167], v[56:57], v[164:165]
	v_dual_mov_b32 v58, v172 :: v_dual_mov_b32 v59, v173
	v_add_f64 v[2:3], v[2:3], -v[164:165]
.LBB80_566:
	s_or_b32 exec_lo, exec_lo, s2
	v_lshl_add_u32 v164, v180, 4, v174
	s_barrier
	buffer_gl0_inv
	v_mov_b32_e32 v172, 27
	ds_store_2addr_b64 v164, v[52:53], v[54:55] offset1:1
	s_waitcnt lgkmcnt(0)
	s_barrier
	buffer_gl0_inv
	ds_load_2addr_b64 v[164:167], v174 offset0:54 offset1:55
	s_cmp_lt_i32 s5, 29
	s_cbranch_scc1 .LBB80_569
; %bb.567:
	v_add3_u32 v173, v178, 0, 0x1c0
	v_mov_b32_e32 v172, 27
	s_mov_b32 s6, 28
	s_set_inst_prefetch_distance 0x1
	.p2align	6
.LBB80_568:                             ; =>This Inner Loop Header: Depth=1
	ds_load_2addr_b64 v[181:184], v173 offset1:1
	s_waitcnt lgkmcnt(1)
	v_cmp_gt_f64_e32 vcc_lo, 0, v[164:165]
	v_xor_b32_e32 v185, 0x80000000, v165
	v_cmp_gt_f64_e64 s2, 0, v[166:167]
	v_xor_b32_e32 v187, 0x80000000, v167
	v_add_nc_u32_e32 v173, 16, v173
	s_waitcnt lgkmcnt(0)
	v_cmp_gt_f64_e64 s3, 0, v[181:182]
	v_mov_b32_e32 v189, v181
	v_dual_mov_b32 v191, v183 :: v_dual_cndmask_b32 v186, v165, v185
	v_xor_b32_e32 v185, 0x80000000, v182
	v_cndmask_b32_e64 v188, v167, v187, s2
	v_xor_b32_e32 v187, 0x80000000, v184
	s_delay_alu instid0(VALU_DEP_3) | instskip(SKIP_2) | instid1(VALU_DEP_2)
	v_cndmask_b32_e64 v190, v182, v185, s3
	v_cmp_gt_f64_e64 s3, 0, v[183:184]
	v_cndmask_b32_e32 v185, v164, v164, vcc_lo
	v_cndmask_b32_e64 v192, v184, v187, s3
	v_cndmask_b32_e64 v187, v166, v166, s2
	s_delay_alu instid0(VALU_DEP_2) | instskip(NEXT) | instid1(VALU_DEP_2)
	v_add_f64 v[189:190], v[189:190], v[191:192]
	v_add_f64 v[185:186], v[185:186], v[187:188]
	s_delay_alu instid0(VALU_DEP_1) | instskip(SKIP_4) | instid1(SALU_CYCLE_1)
	v_cmp_lt_f64_e32 vcc_lo, v[185:186], v[189:190]
	v_dual_cndmask_b32 v166, v166, v183 :: v_dual_cndmask_b32 v165, v165, v182
	v_dual_cndmask_b32 v164, v164, v181 :: v_dual_cndmask_b32 v167, v167, v184
	v_cndmask_b32_e64 v172, v172, s6, vcc_lo
	s_add_i32 s6, s6, 1
	s_cmp_lg_u32 s5, s6
	s_cbranch_scc1 .LBB80_568
.LBB80_569:
	s_set_inst_prefetch_distance 0x2
	s_waitcnt lgkmcnt(0)
	v_cmp_eq_f64_e32 vcc_lo, 0, v[164:165]
	v_cmp_eq_f64_e64 s2, 0, v[166:167]
	s_delay_alu instid0(VALU_DEP_1) | instskip(NEXT) | instid1(SALU_CYCLE_1)
	s_and_b32 s2, vcc_lo, s2
	s_and_saveexec_b32 s3, s2
	s_delay_alu instid0(SALU_CYCLE_1)
	s_xor_b32 s2, exec_lo, s3
; %bb.570:
	v_cmp_ne_u32_e32 vcc_lo, 0, v177
	v_cndmask_b32_e32 v177, 28, v177, vcc_lo
; %bb.571:
	s_and_not1_saveexec_b32 s3, s2
	s_cbranch_execz .LBB80_577
; %bb.572:
	v_cmp_gt_f64_e32 vcc_lo, 0, v[164:165]
	v_cmp_gt_f64_e64 s2, 0, v[166:167]
	v_xor_b32_e32 v173, 0x80000000, v165
	v_xor_b32_e32 v181, 0x80000000, v167
	s_delay_alu instid0(VALU_DEP_2) | instskip(NEXT) | instid1(VALU_DEP_2)
	v_cndmask_b32_e32 v182, v165, v173, vcc_lo
	v_cndmask_b32_e64 v184, v167, v181, s2
	v_cndmask_b32_e32 v181, v164, v164, vcc_lo
	v_cndmask_b32_e64 v183, v166, v166, s2
	s_mov_b32 s2, exec_lo
	s_delay_alu instid0(VALU_DEP_1)
	v_cmpx_ngt_f64_e32 v[181:182], v[183:184]
	s_xor_b32 s2, exec_lo, s2
	s_cbranch_execz .LBB80_574
; %bb.573:
	v_div_scale_f64 v[181:182], null, v[166:167], v[166:167], v[164:165]
	v_div_scale_f64 v[187:188], vcc_lo, v[164:165], v[166:167], v[164:165]
	s_delay_alu instid0(VALU_DEP_2) | instskip(SKIP_2) | instid1(VALU_DEP_1)
	v_rcp_f64_e32 v[183:184], v[181:182]
	s_waitcnt_depctr 0xfff
	v_fma_f64 v[185:186], -v[181:182], v[183:184], 1.0
	v_fma_f64 v[183:184], v[183:184], v[185:186], v[183:184]
	s_delay_alu instid0(VALU_DEP_1) | instskip(NEXT) | instid1(VALU_DEP_1)
	v_fma_f64 v[185:186], -v[181:182], v[183:184], 1.0
	v_fma_f64 v[183:184], v[183:184], v[185:186], v[183:184]
	s_delay_alu instid0(VALU_DEP_1) | instskip(NEXT) | instid1(VALU_DEP_1)
	v_mul_f64 v[185:186], v[187:188], v[183:184]
	v_fma_f64 v[181:182], -v[181:182], v[185:186], v[187:188]
	s_delay_alu instid0(VALU_DEP_1) | instskip(NEXT) | instid1(VALU_DEP_1)
	v_div_fmas_f64 v[181:182], v[181:182], v[183:184], v[185:186]
	v_div_fixup_f64 v[181:182], v[181:182], v[166:167], v[164:165]
	s_delay_alu instid0(VALU_DEP_1) | instskip(NEXT) | instid1(VALU_DEP_1)
	v_fma_f64 v[164:165], v[164:165], v[181:182], v[166:167]
	v_div_scale_f64 v[166:167], null, v[164:165], v[164:165], 1.0
	s_delay_alu instid0(VALU_DEP_1) | instskip(SKIP_2) | instid1(VALU_DEP_1)
	v_rcp_f64_e32 v[183:184], v[166:167]
	s_waitcnt_depctr 0xfff
	v_fma_f64 v[185:186], -v[166:167], v[183:184], 1.0
	v_fma_f64 v[183:184], v[183:184], v[185:186], v[183:184]
	s_delay_alu instid0(VALU_DEP_1) | instskip(NEXT) | instid1(VALU_DEP_1)
	v_fma_f64 v[185:186], -v[166:167], v[183:184], 1.0
	v_fma_f64 v[183:184], v[183:184], v[185:186], v[183:184]
	v_div_scale_f64 v[185:186], vcc_lo, 1.0, v[164:165], 1.0
	s_delay_alu instid0(VALU_DEP_1) | instskip(NEXT) | instid1(VALU_DEP_1)
	v_mul_f64 v[187:188], v[185:186], v[183:184]
	v_fma_f64 v[166:167], -v[166:167], v[187:188], v[185:186]
	s_delay_alu instid0(VALU_DEP_1) | instskip(NEXT) | instid1(VALU_DEP_1)
	v_div_fmas_f64 v[166:167], v[166:167], v[183:184], v[187:188]
	v_div_fixup_f64 v[166:167], v[166:167], v[164:165], 1.0
	s_delay_alu instid0(VALU_DEP_1)
	v_mul_f64 v[164:165], v[181:182], v[166:167]
	v_xor_b32_e32 v167, 0x80000000, v167
.LBB80_574:
	s_and_not1_saveexec_b32 s2, s2
	s_cbranch_execz .LBB80_576
; %bb.575:
	s_delay_alu instid0(VALU_DEP_1) | instskip(SKIP_1) | instid1(VALU_DEP_2)
	v_div_scale_f64 v[181:182], null, v[164:165], v[164:165], v[166:167]
	v_div_scale_f64 v[187:188], vcc_lo, v[166:167], v[164:165], v[166:167]
	v_rcp_f64_e32 v[183:184], v[181:182]
	s_waitcnt_depctr 0xfff
	v_fma_f64 v[185:186], -v[181:182], v[183:184], 1.0
	s_delay_alu instid0(VALU_DEP_1) | instskip(NEXT) | instid1(VALU_DEP_1)
	v_fma_f64 v[183:184], v[183:184], v[185:186], v[183:184]
	v_fma_f64 v[185:186], -v[181:182], v[183:184], 1.0
	s_delay_alu instid0(VALU_DEP_1) | instskip(NEXT) | instid1(VALU_DEP_1)
	v_fma_f64 v[183:184], v[183:184], v[185:186], v[183:184]
	v_mul_f64 v[185:186], v[187:188], v[183:184]
	s_delay_alu instid0(VALU_DEP_1) | instskip(NEXT) | instid1(VALU_DEP_1)
	v_fma_f64 v[181:182], -v[181:182], v[185:186], v[187:188]
	v_div_fmas_f64 v[181:182], v[181:182], v[183:184], v[185:186]
	s_delay_alu instid0(VALU_DEP_1) | instskip(NEXT) | instid1(VALU_DEP_1)
	v_div_fixup_f64 v[181:182], v[181:182], v[164:165], v[166:167]
	v_fma_f64 v[164:165], v[166:167], v[181:182], v[164:165]
	s_delay_alu instid0(VALU_DEP_1) | instskip(NEXT) | instid1(VALU_DEP_1)
	v_div_scale_f64 v[166:167], null, v[164:165], v[164:165], 1.0
	v_rcp_f64_e32 v[183:184], v[166:167]
	s_waitcnt_depctr 0xfff
	v_fma_f64 v[185:186], -v[166:167], v[183:184], 1.0
	s_delay_alu instid0(VALU_DEP_1) | instskip(NEXT) | instid1(VALU_DEP_1)
	v_fma_f64 v[183:184], v[183:184], v[185:186], v[183:184]
	v_fma_f64 v[185:186], -v[166:167], v[183:184], 1.0
	s_delay_alu instid0(VALU_DEP_1) | instskip(SKIP_1) | instid1(VALU_DEP_1)
	v_fma_f64 v[183:184], v[183:184], v[185:186], v[183:184]
	v_div_scale_f64 v[185:186], vcc_lo, 1.0, v[164:165], 1.0
	v_mul_f64 v[187:188], v[185:186], v[183:184]
	s_delay_alu instid0(VALU_DEP_1) | instskip(NEXT) | instid1(VALU_DEP_1)
	v_fma_f64 v[166:167], -v[166:167], v[187:188], v[185:186]
	v_div_fmas_f64 v[166:167], v[166:167], v[183:184], v[187:188]
	s_delay_alu instid0(VALU_DEP_1) | instskip(NEXT) | instid1(VALU_DEP_1)
	v_div_fixup_f64 v[164:165], v[166:167], v[164:165], 1.0
	v_mul_f64 v[166:167], v[181:182], -v[164:165]
.LBB80_576:
	s_or_b32 exec_lo, exec_lo, s2
.LBB80_577:
	s_delay_alu instid0(SALU_CYCLE_1) | instskip(NEXT) | instid1(SALU_CYCLE_1)
	s_or_b32 exec_lo, exec_lo, s3
	s_mov_b32 s2, exec_lo
	v_cmpx_ne_u32_e64 v180, v172
	s_xor_b32 s2, exec_lo, s2
	s_cbranch_execz .LBB80_583
; %bb.578:
	s_mov_b32 s3, exec_lo
	v_cmpx_eq_u32_e32 27, v180
	s_cbranch_execz .LBB80_582
; %bb.579:
	v_cmp_ne_u32_e32 vcc_lo, 27, v172
	s_xor_b32 s6, s4, -1
	s_delay_alu instid0(SALU_CYCLE_1) | instskip(NEXT) | instid1(SALU_CYCLE_1)
	s_and_b32 s7, s6, vcc_lo
	s_and_saveexec_b32 s6, s7
	s_cbranch_execz .LBB80_581
; %bb.580:
	v_ashrrev_i32_e32 v173, 31, v172
	s_delay_alu instid0(VALU_DEP_1) | instskip(NEXT) | instid1(VALU_DEP_1)
	v_lshlrev_b64 v[179:180], 2, v[172:173]
	v_add_co_u32 v179, vcc_lo, v170, v179
	s_delay_alu instid0(VALU_DEP_2)
	v_add_co_ci_u32_e32 v180, vcc_lo, v171, v180, vcc_lo
	s_clause 0x1
	flat_load_b32 v173, v[179:180]
	flat_load_b32 v181, v[170:171] offset:108
	s_waitcnt vmcnt(1) lgkmcnt(1)
	flat_store_b32 v[170:171], v173 offset:108
	s_waitcnt vmcnt(0) lgkmcnt(1)
	flat_store_b32 v[179:180], v181
.LBB80_581:
	s_or_b32 exec_lo, exec_lo, s6
	v_mov_b32_e32 v180, v172
	v_mov_b32_e32 v179, v172
.LBB80_582:
	s_or_b32 exec_lo, exec_lo, s3
.LBB80_583:
	s_and_not1_saveexec_b32 s2, s2
	s_cbranch_execz .LBB80_585
; %bb.584:
	v_mov_b32_e32 v180, 27
	ds_store_2addr_b64 v174, v[48:49], v[50:51] offset0:56 offset1:57
	ds_store_2addr_b64 v174, v[44:45], v[46:47] offset0:58 offset1:59
	;; [unrolled: 1-line block ×13, first 2 shown]
.LBB80_585:
	s_or_b32 exec_lo, exec_lo, s2
	s_delay_alu instid0(SALU_CYCLE_1)
	s_mov_b32 s2, exec_lo
	s_waitcnt lgkmcnt(0)
	s_waitcnt_vscnt null, 0x0
	s_barrier
	buffer_gl0_inv
	v_cmpx_lt_i32_e32 27, v180
	s_cbranch_execz .LBB80_587
; %bb.586:
	v_mul_f64 v[172:173], v[164:165], v[54:55]
	v_mul_f64 v[54:55], v[166:167], v[54:55]
	s_delay_alu instid0(VALU_DEP_2) | instskip(NEXT) | instid1(VALU_DEP_2)
	v_fma_f64 v[172:173], v[166:167], v[52:53], v[172:173]
	v_fma_f64 v[52:53], v[164:165], v[52:53], -v[54:55]
	ds_load_2addr_b64 v[164:167], v174 offset0:56 offset1:57
	s_waitcnt lgkmcnt(0)
	v_mul_f64 v[54:55], v[166:167], v[172:173]
	s_delay_alu instid0(VALU_DEP_1) | instskip(SKIP_1) | instid1(VALU_DEP_2)
	v_fma_f64 v[54:55], v[164:165], v[52:53], -v[54:55]
	v_mul_f64 v[164:165], v[164:165], v[172:173]
	v_add_f64 v[48:49], v[48:49], -v[54:55]
	s_delay_alu instid0(VALU_DEP_2) | instskip(NEXT) | instid1(VALU_DEP_1)
	v_fma_f64 v[164:165], v[166:167], v[52:53], v[164:165]
	v_add_f64 v[50:51], v[50:51], -v[164:165]
	ds_load_2addr_b64 v[164:167], v174 offset0:58 offset1:59
	s_waitcnt lgkmcnt(0)
	v_mul_f64 v[54:55], v[166:167], v[172:173]
	s_delay_alu instid0(VALU_DEP_1) | instskip(SKIP_1) | instid1(VALU_DEP_2)
	v_fma_f64 v[54:55], v[164:165], v[52:53], -v[54:55]
	v_mul_f64 v[164:165], v[164:165], v[172:173]
	v_add_f64 v[44:45], v[44:45], -v[54:55]
	s_delay_alu instid0(VALU_DEP_2) | instskip(NEXT) | instid1(VALU_DEP_1)
	v_fma_f64 v[164:165], v[166:167], v[52:53], v[164:165]
	v_add_f64 v[46:47], v[46:47], -v[164:165]
	;; [unrolled: 10-line block ×12, first 2 shown]
	ds_load_2addr_b64 v[164:167], v174 offset0:80 offset1:81
	s_waitcnt lgkmcnt(0)
	v_mul_f64 v[54:55], v[166:167], v[172:173]
	s_delay_alu instid0(VALU_DEP_1) | instskip(SKIP_1) | instid1(VALU_DEP_2)
	v_fma_f64 v[54:55], v[164:165], v[52:53], -v[54:55]
	v_mul_f64 v[164:165], v[164:165], v[172:173]
	v_add_f64 v[0:1], v[0:1], -v[54:55]
	s_delay_alu instid0(VALU_DEP_2) | instskip(SKIP_1) | instid1(VALU_DEP_2)
	v_fma_f64 v[164:165], v[166:167], v[52:53], v[164:165]
	v_dual_mov_b32 v54, v172 :: v_dual_mov_b32 v55, v173
	v_add_f64 v[2:3], v[2:3], -v[164:165]
.LBB80_587:
	s_or_b32 exec_lo, exec_lo, s2
	v_lshl_add_u32 v164, v180, 4, v174
	s_barrier
	buffer_gl0_inv
	v_mov_b32_e32 v172, 28
	ds_store_2addr_b64 v164, v[48:49], v[50:51] offset1:1
	s_waitcnt lgkmcnt(0)
	s_barrier
	buffer_gl0_inv
	ds_load_2addr_b64 v[164:167], v174 offset0:56 offset1:57
	s_cmp_lt_i32 s5, 30
	s_cbranch_scc1 .LBB80_590
; %bb.588:
	v_add3_u32 v173, v178, 0, 0x1d0
	v_mov_b32_e32 v172, 28
	s_mov_b32 s6, 29
	s_set_inst_prefetch_distance 0x1
	.p2align	6
.LBB80_589:                             ; =>This Inner Loop Header: Depth=1
	ds_load_2addr_b64 v[181:184], v173 offset1:1
	s_waitcnt lgkmcnt(1)
	v_cmp_gt_f64_e32 vcc_lo, 0, v[164:165]
	v_xor_b32_e32 v185, 0x80000000, v165
	v_cmp_gt_f64_e64 s2, 0, v[166:167]
	v_xor_b32_e32 v187, 0x80000000, v167
	v_add_nc_u32_e32 v173, 16, v173
	s_waitcnt lgkmcnt(0)
	v_cmp_gt_f64_e64 s3, 0, v[181:182]
	v_mov_b32_e32 v189, v181
	v_dual_mov_b32 v191, v183 :: v_dual_cndmask_b32 v186, v165, v185
	v_xor_b32_e32 v185, 0x80000000, v182
	v_cndmask_b32_e64 v188, v167, v187, s2
	v_xor_b32_e32 v187, 0x80000000, v184
	s_delay_alu instid0(VALU_DEP_3) | instskip(SKIP_2) | instid1(VALU_DEP_2)
	v_cndmask_b32_e64 v190, v182, v185, s3
	v_cmp_gt_f64_e64 s3, 0, v[183:184]
	v_cndmask_b32_e32 v185, v164, v164, vcc_lo
	v_cndmask_b32_e64 v192, v184, v187, s3
	v_cndmask_b32_e64 v187, v166, v166, s2
	s_delay_alu instid0(VALU_DEP_2) | instskip(NEXT) | instid1(VALU_DEP_2)
	v_add_f64 v[189:190], v[189:190], v[191:192]
	v_add_f64 v[185:186], v[185:186], v[187:188]
	s_delay_alu instid0(VALU_DEP_1) | instskip(SKIP_4) | instid1(SALU_CYCLE_1)
	v_cmp_lt_f64_e32 vcc_lo, v[185:186], v[189:190]
	v_dual_cndmask_b32 v166, v166, v183 :: v_dual_cndmask_b32 v165, v165, v182
	v_dual_cndmask_b32 v164, v164, v181 :: v_dual_cndmask_b32 v167, v167, v184
	v_cndmask_b32_e64 v172, v172, s6, vcc_lo
	s_add_i32 s6, s6, 1
	s_cmp_lg_u32 s5, s6
	s_cbranch_scc1 .LBB80_589
.LBB80_590:
	s_set_inst_prefetch_distance 0x2
	s_waitcnt lgkmcnt(0)
	v_cmp_eq_f64_e32 vcc_lo, 0, v[164:165]
	v_cmp_eq_f64_e64 s2, 0, v[166:167]
	s_delay_alu instid0(VALU_DEP_1) | instskip(NEXT) | instid1(SALU_CYCLE_1)
	s_and_b32 s2, vcc_lo, s2
	s_and_saveexec_b32 s3, s2
	s_delay_alu instid0(SALU_CYCLE_1)
	s_xor_b32 s2, exec_lo, s3
; %bb.591:
	v_cmp_ne_u32_e32 vcc_lo, 0, v177
	v_cndmask_b32_e32 v177, 29, v177, vcc_lo
; %bb.592:
	s_and_not1_saveexec_b32 s3, s2
	s_cbranch_execz .LBB80_598
; %bb.593:
	v_cmp_gt_f64_e32 vcc_lo, 0, v[164:165]
	v_cmp_gt_f64_e64 s2, 0, v[166:167]
	v_xor_b32_e32 v173, 0x80000000, v165
	v_xor_b32_e32 v181, 0x80000000, v167
	s_delay_alu instid0(VALU_DEP_2) | instskip(NEXT) | instid1(VALU_DEP_2)
	v_cndmask_b32_e32 v182, v165, v173, vcc_lo
	v_cndmask_b32_e64 v184, v167, v181, s2
	v_cndmask_b32_e32 v181, v164, v164, vcc_lo
	v_cndmask_b32_e64 v183, v166, v166, s2
	s_mov_b32 s2, exec_lo
	s_delay_alu instid0(VALU_DEP_1)
	v_cmpx_ngt_f64_e32 v[181:182], v[183:184]
	s_xor_b32 s2, exec_lo, s2
	s_cbranch_execz .LBB80_595
; %bb.594:
	v_div_scale_f64 v[181:182], null, v[166:167], v[166:167], v[164:165]
	v_div_scale_f64 v[187:188], vcc_lo, v[164:165], v[166:167], v[164:165]
	s_delay_alu instid0(VALU_DEP_2) | instskip(SKIP_2) | instid1(VALU_DEP_1)
	v_rcp_f64_e32 v[183:184], v[181:182]
	s_waitcnt_depctr 0xfff
	v_fma_f64 v[185:186], -v[181:182], v[183:184], 1.0
	v_fma_f64 v[183:184], v[183:184], v[185:186], v[183:184]
	s_delay_alu instid0(VALU_DEP_1) | instskip(NEXT) | instid1(VALU_DEP_1)
	v_fma_f64 v[185:186], -v[181:182], v[183:184], 1.0
	v_fma_f64 v[183:184], v[183:184], v[185:186], v[183:184]
	s_delay_alu instid0(VALU_DEP_1) | instskip(NEXT) | instid1(VALU_DEP_1)
	v_mul_f64 v[185:186], v[187:188], v[183:184]
	v_fma_f64 v[181:182], -v[181:182], v[185:186], v[187:188]
	s_delay_alu instid0(VALU_DEP_1) | instskip(NEXT) | instid1(VALU_DEP_1)
	v_div_fmas_f64 v[181:182], v[181:182], v[183:184], v[185:186]
	v_div_fixup_f64 v[181:182], v[181:182], v[166:167], v[164:165]
	s_delay_alu instid0(VALU_DEP_1) | instskip(NEXT) | instid1(VALU_DEP_1)
	v_fma_f64 v[164:165], v[164:165], v[181:182], v[166:167]
	v_div_scale_f64 v[166:167], null, v[164:165], v[164:165], 1.0
	s_delay_alu instid0(VALU_DEP_1) | instskip(SKIP_2) | instid1(VALU_DEP_1)
	v_rcp_f64_e32 v[183:184], v[166:167]
	s_waitcnt_depctr 0xfff
	v_fma_f64 v[185:186], -v[166:167], v[183:184], 1.0
	v_fma_f64 v[183:184], v[183:184], v[185:186], v[183:184]
	s_delay_alu instid0(VALU_DEP_1) | instskip(NEXT) | instid1(VALU_DEP_1)
	v_fma_f64 v[185:186], -v[166:167], v[183:184], 1.0
	v_fma_f64 v[183:184], v[183:184], v[185:186], v[183:184]
	v_div_scale_f64 v[185:186], vcc_lo, 1.0, v[164:165], 1.0
	s_delay_alu instid0(VALU_DEP_1) | instskip(NEXT) | instid1(VALU_DEP_1)
	v_mul_f64 v[187:188], v[185:186], v[183:184]
	v_fma_f64 v[166:167], -v[166:167], v[187:188], v[185:186]
	s_delay_alu instid0(VALU_DEP_1) | instskip(NEXT) | instid1(VALU_DEP_1)
	v_div_fmas_f64 v[166:167], v[166:167], v[183:184], v[187:188]
	v_div_fixup_f64 v[166:167], v[166:167], v[164:165], 1.0
	s_delay_alu instid0(VALU_DEP_1)
	v_mul_f64 v[164:165], v[181:182], v[166:167]
	v_xor_b32_e32 v167, 0x80000000, v167
.LBB80_595:
	s_and_not1_saveexec_b32 s2, s2
	s_cbranch_execz .LBB80_597
; %bb.596:
	s_delay_alu instid0(VALU_DEP_1) | instskip(SKIP_1) | instid1(VALU_DEP_2)
	v_div_scale_f64 v[181:182], null, v[164:165], v[164:165], v[166:167]
	v_div_scale_f64 v[187:188], vcc_lo, v[166:167], v[164:165], v[166:167]
	v_rcp_f64_e32 v[183:184], v[181:182]
	s_waitcnt_depctr 0xfff
	v_fma_f64 v[185:186], -v[181:182], v[183:184], 1.0
	s_delay_alu instid0(VALU_DEP_1) | instskip(NEXT) | instid1(VALU_DEP_1)
	v_fma_f64 v[183:184], v[183:184], v[185:186], v[183:184]
	v_fma_f64 v[185:186], -v[181:182], v[183:184], 1.0
	s_delay_alu instid0(VALU_DEP_1) | instskip(NEXT) | instid1(VALU_DEP_1)
	v_fma_f64 v[183:184], v[183:184], v[185:186], v[183:184]
	v_mul_f64 v[185:186], v[187:188], v[183:184]
	s_delay_alu instid0(VALU_DEP_1) | instskip(NEXT) | instid1(VALU_DEP_1)
	v_fma_f64 v[181:182], -v[181:182], v[185:186], v[187:188]
	v_div_fmas_f64 v[181:182], v[181:182], v[183:184], v[185:186]
	s_delay_alu instid0(VALU_DEP_1) | instskip(NEXT) | instid1(VALU_DEP_1)
	v_div_fixup_f64 v[181:182], v[181:182], v[164:165], v[166:167]
	v_fma_f64 v[164:165], v[166:167], v[181:182], v[164:165]
	s_delay_alu instid0(VALU_DEP_1) | instskip(NEXT) | instid1(VALU_DEP_1)
	v_div_scale_f64 v[166:167], null, v[164:165], v[164:165], 1.0
	v_rcp_f64_e32 v[183:184], v[166:167]
	s_waitcnt_depctr 0xfff
	v_fma_f64 v[185:186], -v[166:167], v[183:184], 1.0
	s_delay_alu instid0(VALU_DEP_1) | instskip(NEXT) | instid1(VALU_DEP_1)
	v_fma_f64 v[183:184], v[183:184], v[185:186], v[183:184]
	v_fma_f64 v[185:186], -v[166:167], v[183:184], 1.0
	s_delay_alu instid0(VALU_DEP_1) | instskip(SKIP_1) | instid1(VALU_DEP_1)
	v_fma_f64 v[183:184], v[183:184], v[185:186], v[183:184]
	v_div_scale_f64 v[185:186], vcc_lo, 1.0, v[164:165], 1.0
	v_mul_f64 v[187:188], v[185:186], v[183:184]
	s_delay_alu instid0(VALU_DEP_1) | instskip(NEXT) | instid1(VALU_DEP_1)
	v_fma_f64 v[166:167], -v[166:167], v[187:188], v[185:186]
	v_div_fmas_f64 v[166:167], v[166:167], v[183:184], v[187:188]
	s_delay_alu instid0(VALU_DEP_1) | instskip(NEXT) | instid1(VALU_DEP_1)
	v_div_fixup_f64 v[164:165], v[166:167], v[164:165], 1.0
	v_mul_f64 v[166:167], v[181:182], -v[164:165]
.LBB80_597:
	s_or_b32 exec_lo, exec_lo, s2
.LBB80_598:
	s_delay_alu instid0(SALU_CYCLE_1) | instskip(NEXT) | instid1(SALU_CYCLE_1)
	s_or_b32 exec_lo, exec_lo, s3
	s_mov_b32 s2, exec_lo
	v_cmpx_ne_u32_e64 v180, v172
	s_xor_b32 s2, exec_lo, s2
	s_cbranch_execz .LBB80_604
; %bb.599:
	s_mov_b32 s3, exec_lo
	v_cmpx_eq_u32_e32 28, v180
	s_cbranch_execz .LBB80_603
; %bb.600:
	v_cmp_ne_u32_e32 vcc_lo, 28, v172
	s_xor_b32 s6, s4, -1
	s_delay_alu instid0(SALU_CYCLE_1) | instskip(NEXT) | instid1(SALU_CYCLE_1)
	s_and_b32 s7, s6, vcc_lo
	s_and_saveexec_b32 s6, s7
	s_cbranch_execz .LBB80_602
; %bb.601:
	v_ashrrev_i32_e32 v173, 31, v172
	s_delay_alu instid0(VALU_DEP_1) | instskip(NEXT) | instid1(VALU_DEP_1)
	v_lshlrev_b64 v[179:180], 2, v[172:173]
	v_add_co_u32 v179, vcc_lo, v170, v179
	s_delay_alu instid0(VALU_DEP_2)
	v_add_co_ci_u32_e32 v180, vcc_lo, v171, v180, vcc_lo
	s_clause 0x1
	flat_load_b32 v173, v[179:180]
	flat_load_b32 v181, v[170:171] offset:112
	s_waitcnt vmcnt(1) lgkmcnt(1)
	flat_store_b32 v[170:171], v173 offset:112
	s_waitcnt vmcnt(0) lgkmcnt(1)
	flat_store_b32 v[179:180], v181
.LBB80_602:
	s_or_b32 exec_lo, exec_lo, s6
	v_mov_b32_e32 v180, v172
	v_mov_b32_e32 v179, v172
.LBB80_603:
	s_or_b32 exec_lo, exec_lo, s3
.LBB80_604:
	s_and_not1_saveexec_b32 s2, s2
	s_cbranch_execz .LBB80_606
; %bb.605:
	v_mov_b32_e32 v180, 28
	ds_store_2addr_b64 v174, v[44:45], v[46:47] offset0:58 offset1:59
	ds_store_2addr_b64 v174, v[40:41], v[42:43] offset0:60 offset1:61
	;; [unrolled: 1-line block ×12, first 2 shown]
.LBB80_606:
	s_or_b32 exec_lo, exec_lo, s2
	s_delay_alu instid0(SALU_CYCLE_1)
	s_mov_b32 s2, exec_lo
	s_waitcnt lgkmcnt(0)
	s_waitcnt_vscnt null, 0x0
	s_barrier
	buffer_gl0_inv
	v_cmpx_lt_i32_e32 28, v180
	s_cbranch_execz .LBB80_608
; %bb.607:
	v_mul_f64 v[172:173], v[164:165], v[50:51]
	v_mul_f64 v[50:51], v[166:167], v[50:51]
	s_delay_alu instid0(VALU_DEP_2) | instskip(NEXT) | instid1(VALU_DEP_2)
	v_fma_f64 v[172:173], v[166:167], v[48:49], v[172:173]
	v_fma_f64 v[48:49], v[164:165], v[48:49], -v[50:51]
	ds_load_2addr_b64 v[164:167], v174 offset0:58 offset1:59
	s_waitcnt lgkmcnt(0)
	v_mul_f64 v[50:51], v[166:167], v[172:173]
	s_delay_alu instid0(VALU_DEP_1) | instskip(SKIP_1) | instid1(VALU_DEP_2)
	v_fma_f64 v[50:51], v[164:165], v[48:49], -v[50:51]
	v_mul_f64 v[164:165], v[164:165], v[172:173]
	v_add_f64 v[44:45], v[44:45], -v[50:51]
	s_delay_alu instid0(VALU_DEP_2) | instskip(NEXT) | instid1(VALU_DEP_1)
	v_fma_f64 v[164:165], v[166:167], v[48:49], v[164:165]
	v_add_f64 v[46:47], v[46:47], -v[164:165]
	ds_load_2addr_b64 v[164:167], v174 offset0:60 offset1:61
	s_waitcnt lgkmcnt(0)
	v_mul_f64 v[50:51], v[166:167], v[172:173]
	s_delay_alu instid0(VALU_DEP_1) | instskip(SKIP_1) | instid1(VALU_DEP_2)
	v_fma_f64 v[50:51], v[164:165], v[48:49], -v[50:51]
	v_mul_f64 v[164:165], v[164:165], v[172:173]
	v_add_f64 v[40:41], v[40:41], -v[50:51]
	s_delay_alu instid0(VALU_DEP_2) | instskip(NEXT) | instid1(VALU_DEP_1)
	v_fma_f64 v[164:165], v[166:167], v[48:49], v[164:165]
	v_add_f64 v[42:43], v[42:43], -v[164:165]
	;; [unrolled: 10-line block ×11, first 2 shown]
	ds_load_2addr_b64 v[164:167], v174 offset0:80 offset1:81
	s_waitcnt lgkmcnt(0)
	v_mul_f64 v[50:51], v[166:167], v[172:173]
	s_delay_alu instid0(VALU_DEP_1) | instskip(SKIP_1) | instid1(VALU_DEP_2)
	v_fma_f64 v[50:51], v[164:165], v[48:49], -v[50:51]
	v_mul_f64 v[164:165], v[164:165], v[172:173]
	v_add_f64 v[0:1], v[0:1], -v[50:51]
	s_delay_alu instid0(VALU_DEP_2) | instskip(SKIP_1) | instid1(VALU_DEP_2)
	v_fma_f64 v[164:165], v[166:167], v[48:49], v[164:165]
	v_dual_mov_b32 v50, v172 :: v_dual_mov_b32 v51, v173
	v_add_f64 v[2:3], v[2:3], -v[164:165]
.LBB80_608:
	s_or_b32 exec_lo, exec_lo, s2
	v_lshl_add_u32 v164, v180, 4, v174
	s_barrier
	buffer_gl0_inv
	v_mov_b32_e32 v172, 29
	ds_store_2addr_b64 v164, v[44:45], v[46:47] offset1:1
	s_waitcnt lgkmcnt(0)
	s_barrier
	buffer_gl0_inv
	ds_load_2addr_b64 v[164:167], v174 offset0:58 offset1:59
	s_cmp_lt_i32 s5, 31
	s_cbranch_scc1 .LBB80_611
; %bb.609:
	v_add3_u32 v173, v178, 0, 0x1e0
	v_mov_b32_e32 v172, 29
	s_mov_b32 s6, 30
	s_set_inst_prefetch_distance 0x1
	.p2align	6
.LBB80_610:                             ; =>This Inner Loop Header: Depth=1
	ds_load_2addr_b64 v[181:184], v173 offset1:1
	s_waitcnt lgkmcnt(1)
	v_cmp_gt_f64_e32 vcc_lo, 0, v[164:165]
	v_xor_b32_e32 v185, 0x80000000, v165
	v_cmp_gt_f64_e64 s2, 0, v[166:167]
	v_xor_b32_e32 v187, 0x80000000, v167
	v_add_nc_u32_e32 v173, 16, v173
	s_waitcnt lgkmcnt(0)
	v_cmp_gt_f64_e64 s3, 0, v[181:182]
	v_mov_b32_e32 v189, v181
	v_dual_mov_b32 v191, v183 :: v_dual_cndmask_b32 v186, v165, v185
	v_xor_b32_e32 v185, 0x80000000, v182
	v_cndmask_b32_e64 v188, v167, v187, s2
	v_xor_b32_e32 v187, 0x80000000, v184
	s_delay_alu instid0(VALU_DEP_3) | instskip(SKIP_2) | instid1(VALU_DEP_2)
	v_cndmask_b32_e64 v190, v182, v185, s3
	v_cmp_gt_f64_e64 s3, 0, v[183:184]
	v_cndmask_b32_e32 v185, v164, v164, vcc_lo
	v_cndmask_b32_e64 v192, v184, v187, s3
	v_cndmask_b32_e64 v187, v166, v166, s2
	s_delay_alu instid0(VALU_DEP_2) | instskip(NEXT) | instid1(VALU_DEP_2)
	v_add_f64 v[189:190], v[189:190], v[191:192]
	v_add_f64 v[185:186], v[185:186], v[187:188]
	s_delay_alu instid0(VALU_DEP_1) | instskip(SKIP_4) | instid1(SALU_CYCLE_1)
	v_cmp_lt_f64_e32 vcc_lo, v[185:186], v[189:190]
	v_dual_cndmask_b32 v166, v166, v183 :: v_dual_cndmask_b32 v165, v165, v182
	v_dual_cndmask_b32 v164, v164, v181 :: v_dual_cndmask_b32 v167, v167, v184
	v_cndmask_b32_e64 v172, v172, s6, vcc_lo
	s_add_i32 s6, s6, 1
	s_cmp_lg_u32 s5, s6
	s_cbranch_scc1 .LBB80_610
.LBB80_611:
	s_set_inst_prefetch_distance 0x2
	s_waitcnt lgkmcnt(0)
	v_cmp_eq_f64_e32 vcc_lo, 0, v[164:165]
	v_cmp_eq_f64_e64 s2, 0, v[166:167]
	s_delay_alu instid0(VALU_DEP_1) | instskip(NEXT) | instid1(SALU_CYCLE_1)
	s_and_b32 s2, vcc_lo, s2
	s_and_saveexec_b32 s3, s2
	s_delay_alu instid0(SALU_CYCLE_1)
	s_xor_b32 s2, exec_lo, s3
; %bb.612:
	v_cmp_ne_u32_e32 vcc_lo, 0, v177
	v_cndmask_b32_e32 v177, 30, v177, vcc_lo
; %bb.613:
	s_and_not1_saveexec_b32 s3, s2
	s_cbranch_execz .LBB80_619
; %bb.614:
	v_cmp_gt_f64_e32 vcc_lo, 0, v[164:165]
	v_cmp_gt_f64_e64 s2, 0, v[166:167]
	v_xor_b32_e32 v173, 0x80000000, v165
	v_xor_b32_e32 v181, 0x80000000, v167
	s_delay_alu instid0(VALU_DEP_2) | instskip(NEXT) | instid1(VALU_DEP_2)
	v_cndmask_b32_e32 v182, v165, v173, vcc_lo
	v_cndmask_b32_e64 v184, v167, v181, s2
	v_cndmask_b32_e32 v181, v164, v164, vcc_lo
	v_cndmask_b32_e64 v183, v166, v166, s2
	s_mov_b32 s2, exec_lo
	s_delay_alu instid0(VALU_DEP_1)
	v_cmpx_ngt_f64_e32 v[181:182], v[183:184]
	s_xor_b32 s2, exec_lo, s2
	s_cbranch_execz .LBB80_616
; %bb.615:
	v_div_scale_f64 v[181:182], null, v[166:167], v[166:167], v[164:165]
	v_div_scale_f64 v[187:188], vcc_lo, v[164:165], v[166:167], v[164:165]
	s_delay_alu instid0(VALU_DEP_2) | instskip(SKIP_2) | instid1(VALU_DEP_1)
	v_rcp_f64_e32 v[183:184], v[181:182]
	s_waitcnt_depctr 0xfff
	v_fma_f64 v[185:186], -v[181:182], v[183:184], 1.0
	v_fma_f64 v[183:184], v[183:184], v[185:186], v[183:184]
	s_delay_alu instid0(VALU_DEP_1) | instskip(NEXT) | instid1(VALU_DEP_1)
	v_fma_f64 v[185:186], -v[181:182], v[183:184], 1.0
	v_fma_f64 v[183:184], v[183:184], v[185:186], v[183:184]
	s_delay_alu instid0(VALU_DEP_1) | instskip(NEXT) | instid1(VALU_DEP_1)
	v_mul_f64 v[185:186], v[187:188], v[183:184]
	v_fma_f64 v[181:182], -v[181:182], v[185:186], v[187:188]
	s_delay_alu instid0(VALU_DEP_1) | instskip(NEXT) | instid1(VALU_DEP_1)
	v_div_fmas_f64 v[181:182], v[181:182], v[183:184], v[185:186]
	v_div_fixup_f64 v[181:182], v[181:182], v[166:167], v[164:165]
	s_delay_alu instid0(VALU_DEP_1) | instskip(NEXT) | instid1(VALU_DEP_1)
	v_fma_f64 v[164:165], v[164:165], v[181:182], v[166:167]
	v_div_scale_f64 v[166:167], null, v[164:165], v[164:165], 1.0
	s_delay_alu instid0(VALU_DEP_1) | instskip(SKIP_2) | instid1(VALU_DEP_1)
	v_rcp_f64_e32 v[183:184], v[166:167]
	s_waitcnt_depctr 0xfff
	v_fma_f64 v[185:186], -v[166:167], v[183:184], 1.0
	v_fma_f64 v[183:184], v[183:184], v[185:186], v[183:184]
	s_delay_alu instid0(VALU_DEP_1) | instskip(NEXT) | instid1(VALU_DEP_1)
	v_fma_f64 v[185:186], -v[166:167], v[183:184], 1.0
	v_fma_f64 v[183:184], v[183:184], v[185:186], v[183:184]
	v_div_scale_f64 v[185:186], vcc_lo, 1.0, v[164:165], 1.0
	s_delay_alu instid0(VALU_DEP_1) | instskip(NEXT) | instid1(VALU_DEP_1)
	v_mul_f64 v[187:188], v[185:186], v[183:184]
	v_fma_f64 v[166:167], -v[166:167], v[187:188], v[185:186]
	s_delay_alu instid0(VALU_DEP_1) | instskip(NEXT) | instid1(VALU_DEP_1)
	v_div_fmas_f64 v[166:167], v[166:167], v[183:184], v[187:188]
	v_div_fixup_f64 v[166:167], v[166:167], v[164:165], 1.0
	s_delay_alu instid0(VALU_DEP_1)
	v_mul_f64 v[164:165], v[181:182], v[166:167]
	v_xor_b32_e32 v167, 0x80000000, v167
.LBB80_616:
	s_and_not1_saveexec_b32 s2, s2
	s_cbranch_execz .LBB80_618
; %bb.617:
	s_delay_alu instid0(VALU_DEP_1) | instskip(SKIP_1) | instid1(VALU_DEP_2)
	v_div_scale_f64 v[181:182], null, v[164:165], v[164:165], v[166:167]
	v_div_scale_f64 v[187:188], vcc_lo, v[166:167], v[164:165], v[166:167]
	v_rcp_f64_e32 v[183:184], v[181:182]
	s_waitcnt_depctr 0xfff
	v_fma_f64 v[185:186], -v[181:182], v[183:184], 1.0
	s_delay_alu instid0(VALU_DEP_1) | instskip(NEXT) | instid1(VALU_DEP_1)
	v_fma_f64 v[183:184], v[183:184], v[185:186], v[183:184]
	v_fma_f64 v[185:186], -v[181:182], v[183:184], 1.0
	s_delay_alu instid0(VALU_DEP_1) | instskip(NEXT) | instid1(VALU_DEP_1)
	v_fma_f64 v[183:184], v[183:184], v[185:186], v[183:184]
	v_mul_f64 v[185:186], v[187:188], v[183:184]
	s_delay_alu instid0(VALU_DEP_1) | instskip(NEXT) | instid1(VALU_DEP_1)
	v_fma_f64 v[181:182], -v[181:182], v[185:186], v[187:188]
	v_div_fmas_f64 v[181:182], v[181:182], v[183:184], v[185:186]
	s_delay_alu instid0(VALU_DEP_1) | instskip(NEXT) | instid1(VALU_DEP_1)
	v_div_fixup_f64 v[181:182], v[181:182], v[164:165], v[166:167]
	v_fma_f64 v[164:165], v[166:167], v[181:182], v[164:165]
	s_delay_alu instid0(VALU_DEP_1) | instskip(NEXT) | instid1(VALU_DEP_1)
	v_div_scale_f64 v[166:167], null, v[164:165], v[164:165], 1.0
	v_rcp_f64_e32 v[183:184], v[166:167]
	s_waitcnt_depctr 0xfff
	v_fma_f64 v[185:186], -v[166:167], v[183:184], 1.0
	s_delay_alu instid0(VALU_DEP_1) | instskip(NEXT) | instid1(VALU_DEP_1)
	v_fma_f64 v[183:184], v[183:184], v[185:186], v[183:184]
	v_fma_f64 v[185:186], -v[166:167], v[183:184], 1.0
	s_delay_alu instid0(VALU_DEP_1) | instskip(SKIP_1) | instid1(VALU_DEP_1)
	v_fma_f64 v[183:184], v[183:184], v[185:186], v[183:184]
	v_div_scale_f64 v[185:186], vcc_lo, 1.0, v[164:165], 1.0
	v_mul_f64 v[187:188], v[185:186], v[183:184]
	s_delay_alu instid0(VALU_DEP_1) | instskip(NEXT) | instid1(VALU_DEP_1)
	v_fma_f64 v[166:167], -v[166:167], v[187:188], v[185:186]
	v_div_fmas_f64 v[166:167], v[166:167], v[183:184], v[187:188]
	s_delay_alu instid0(VALU_DEP_1) | instskip(NEXT) | instid1(VALU_DEP_1)
	v_div_fixup_f64 v[164:165], v[166:167], v[164:165], 1.0
	v_mul_f64 v[166:167], v[181:182], -v[164:165]
.LBB80_618:
	s_or_b32 exec_lo, exec_lo, s2
.LBB80_619:
	s_delay_alu instid0(SALU_CYCLE_1) | instskip(NEXT) | instid1(SALU_CYCLE_1)
	s_or_b32 exec_lo, exec_lo, s3
	s_mov_b32 s2, exec_lo
	v_cmpx_ne_u32_e64 v180, v172
	s_xor_b32 s2, exec_lo, s2
	s_cbranch_execz .LBB80_625
; %bb.620:
	s_mov_b32 s3, exec_lo
	v_cmpx_eq_u32_e32 29, v180
	s_cbranch_execz .LBB80_624
; %bb.621:
	v_cmp_ne_u32_e32 vcc_lo, 29, v172
	s_xor_b32 s6, s4, -1
	s_delay_alu instid0(SALU_CYCLE_1) | instskip(NEXT) | instid1(SALU_CYCLE_1)
	s_and_b32 s7, s6, vcc_lo
	s_and_saveexec_b32 s6, s7
	s_cbranch_execz .LBB80_623
; %bb.622:
	v_ashrrev_i32_e32 v173, 31, v172
	s_delay_alu instid0(VALU_DEP_1) | instskip(NEXT) | instid1(VALU_DEP_1)
	v_lshlrev_b64 v[179:180], 2, v[172:173]
	v_add_co_u32 v179, vcc_lo, v170, v179
	s_delay_alu instid0(VALU_DEP_2)
	v_add_co_ci_u32_e32 v180, vcc_lo, v171, v180, vcc_lo
	s_clause 0x1
	flat_load_b32 v173, v[179:180]
	flat_load_b32 v181, v[170:171] offset:116
	s_waitcnt vmcnt(1) lgkmcnt(1)
	flat_store_b32 v[170:171], v173 offset:116
	s_waitcnt vmcnt(0) lgkmcnt(1)
	flat_store_b32 v[179:180], v181
.LBB80_623:
	s_or_b32 exec_lo, exec_lo, s6
	v_mov_b32_e32 v180, v172
	v_mov_b32_e32 v179, v172
.LBB80_624:
	s_or_b32 exec_lo, exec_lo, s3
.LBB80_625:
	s_and_not1_saveexec_b32 s2, s2
	s_cbranch_execz .LBB80_627
; %bb.626:
	v_mov_b32_e32 v180, 29
	ds_store_2addr_b64 v174, v[40:41], v[42:43] offset0:60 offset1:61
	ds_store_2addr_b64 v174, v[36:37], v[38:39] offset0:62 offset1:63
	;; [unrolled: 1-line block ×11, first 2 shown]
.LBB80_627:
	s_or_b32 exec_lo, exec_lo, s2
	s_delay_alu instid0(SALU_CYCLE_1)
	s_mov_b32 s2, exec_lo
	s_waitcnt lgkmcnt(0)
	s_waitcnt_vscnt null, 0x0
	s_barrier
	buffer_gl0_inv
	v_cmpx_lt_i32_e32 29, v180
	s_cbranch_execz .LBB80_629
; %bb.628:
	v_mul_f64 v[172:173], v[164:165], v[46:47]
	v_mul_f64 v[46:47], v[166:167], v[46:47]
	s_delay_alu instid0(VALU_DEP_2) | instskip(NEXT) | instid1(VALU_DEP_2)
	v_fma_f64 v[172:173], v[166:167], v[44:45], v[172:173]
	v_fma_f64 v[44:45], v[164:165], v[44:45], -v[46:47]
	ds_load_2addr_b64 v[164:167], v174 offset0:60 offset1:61
	s_waitcnt lgkmcnt(0)
	v_mul_f64 v[46:47], v[166:167], v[172:173]
	s_delay_alu instid0(VALU_DEP_1) | instskip(SKIP_1) | instid1(VALU_DEP_2)
	v_fma_f64 v[46:47], v[164:165], v[44:45], -v[46:47]
	v_mul_f64 v[164:165], v[164:165], v[172:173]
	v_add_f64 v[40:41], v[40:41], -v[46:47]
	s_delay_alu instid0(VALU_DEP_2) | instskip(NEXT) | instid1(VALU_DEP_1)
	v_fma_f64 v[164:165], v[166:167], v[44:45], v[164:165]
	v_add_f64 v[42:43], v[42:43], -v[164:165]
	ds_load_2addr_b64 v[164:167], v174 offset0:62 offset1:63
	s_waitcnt lgkmcnt(0)
	v_mul_f64 v[46:47], v[166:167], v[172:173]
	s_delay_alu instid0(VALU_DEP_1) | instskip(SKIP_1) | instid1(VALU_DEP_2)
	v_fma_f64 v[46:47], v[164:165], v[44:45], -v[46:47]
	v_mul_f64 v[164:165], v[164:165], v[172:173]
	v_add_f64 v[36:37], v[36:37], -v[46:47]
	s_delay_alu instid0(VALU_DEP_2) | instskip(NEXT) | instid1(VALU_DEP_1)
	v_fma_f64 v[164:165], v[166:167], v[44:45], v[164:165]
	v_add_f64 v[38:39], v[38:39], -v[164:165]
	;; [unrolled: 10-line block ×10, first 2 shown]
	ds_load_2addr_b64 v[164:167], v174 offset0:80 offset1:81
	s_waitcnt lgkmcnt(0)
	v_mul_f64 v[46:47], v[166:167], v[172:173]
	s_delay_alu instid0(VALU_DEP_1) | instskip(SKIP_1) | instid1(VALU_DEP_2)
	v_fma_f64 v[46:47], v[164:165], v[44:45], -v[46:47]
	v_mul_f64 v[164:165], v[164:165], v[172:173]
	v_add_f64 v[0:1], v[0:1], -v[46:47]
	s_delay_alu instid0(VALU_DEP_2) | instskip(SKIP_1) | instid1(VALU_DEP_2)
	v_fma_f64 v[164:165], v[166:167], v[44:45], v[164:165]
	v_dual_mov_b32 v46, v172 :: v_dual_mov_b32 v47, v173
	v_add_f64 v[2:3], v[2:3], -v[164:165]
.LBB80_629:
	s_or_b32 exec_lo, exec_lo, s2
	v_lshl_add_u32 v164, v180, 4, v174
	s_barrier
	buffer_gl0_inv
	v_mov_b32_e32 v172, 30
	ds_store_2addr_b64 v164, v[40:41], v[42:43] offset1:1
	s_waitcnt lgkmcnt(0)
	s_barrier
	buffer_gl0_inv
	ds_load_2addr_b64 v[164:167], v174 offset0:60 offset1:61
	s_cmp_lt_i32 s5, 32
	s_cbranch_scc1 .LBB80_632
; %bb.630:
	v_add3_u32 v173, v178, 0, 0x1f0
	v_mov_b32_e32 v172, 30
	s_mov_b32 s6, 31
	s_set_inst_prefetch_distance 0x1
	.p2align	6
.LBB80_631:                             ; =>This Inner Loop Header: Depth=1
	ds_load_2addr_b64 v[181:184], v173 offset1:1
	s_waitcnt lgkmcnt(1)
	v_cmp_gt_f64_e32 vcc_lo, 0, v[164:165]
	v_xor_b32_e32 v185, 0x80000000, v165
	v_cmp_gt_f64_e64 s2, 0, v[166:167]
	v_xor_b32_e32 v187, 0x80000000, v167
	v_add_nc_u32_e32 v173, 16, v173
	s_waitcnt lgkmcnt(0)
	v_cmp_gt_f64_e64 s3, 0, v[181:182]
	v_mov_b32_e32 v189, v181
	v_dual_mov_b32 v191, v183 :: v_dual_cndmask_b32 v186, v165, v185
	v_xor_b32_e32 v185, 0x80000000, v182
	v_cndmask_b32_e64 v188, v167, v187, s2
	v_xor_b32_e32 v187, 0x80000000, v184
	s_delay_alu instid0(VALU_DEP_3) | instskip(SKIP_2) | instid1(VALU_DEP_2)
	v_cndmask_b32_e64 v190, v182, v185, s3
	v_cmp_gt_f64_e64 s3, 0, v[183:184]
	v_cndmask_b32_e32 v185, v164, v164, vcc_lo
	v_cndmask_b32_e64 v192, v184, v187, s3
	v_cndmask_b32_e64 v187, v166, v166, s2
	s_delay_alu instid0(VALU_DEP_2) | instskip(NEXT) | instid1(VALU_DEP_2)
	v_add_f64 v[189:190], v[189:190], v[191:192]
	v_add_f64 v[185:186], v[185:186], v[187:188]
	s_delay_alu instid0(VALU_DEP_1) | instskip(SKIP_4) | instid1(SALU_CYCLE_1)
	v_cmp_lt_f64_e32 vcc_lo, v[185:186], v[189:190]
	v_dual_cndmask_b32 v166, v166, v183 :: v_dual_cndmask_b32 v165, v165, v182
	v_dual_cndmask_b32 v164, v164, v181 :: v_dual_cndmask_b32 v167, v167, v184
	v_cndmask_b32_e64 v172, v172, s6, vcc_lo
	s_add_i32 s6, s6, 1
	s_cmp_lg_u32 s5, s6
	s_cbranch_scc1 .LBB80_631
.LBB80_632:
	s_set_inst_prefetch_distance 0x2
	s_waitcnt lgkmcnt(0)
	v_cmp_eq_f64_e32 vcc_lo, 0, v[164:165]
	v_cmp_eq_f64_e64 s2, 0, v[166:167]
	s_delay_alu instid0(VALU_DEP_1) | instskip(NEXT) | instid1(SALU_CYCLE_1)
	s_and_b32 s2, vcc_lo, s2
	s_and_saveexec_b32 s3, s2
	s_delay_alu instid0(SALU_CYCLE_1)
	s_xor_b32 s2, exec_lo, s3
; %bb.633:
	v_cmp_ne_u32_e32 vcc_lo, 0, v177
	v_cndmask_b32_e32 v177, 31, v177, vcc_lo
; %bb.634:
	s_and_not1_saveexec_b32 s3, s2
	s_cbranch_execz .LBB80_640
; %bb.635:
	v_cmp_gt_f64_e32 vcc_lo, 0, v[164:165]
	v_cmp_gt_f64_e64 s2, 0, v[166:167]
	v_xor_b32_e32 v173, 0x80000000, v165
	v_xor_b32_e32 v181, 0x80000000, v167
	s_delay_alu instid0(VALU_DEP_2) | instskip(NEXT) | instid1(VALU_DEP_2)
	v_cndmask_b32_e32 v182, v165, v173, vcc_lo
	v_cndmask_b32_e64 v184, v167, v181, s2
	v_cndmask_b32_e32 v181, v164, v164, vcc_lo
	v_cndmask_b32_e64 v183, v166, v166, s2
	s_mov_b32 s2, exec_lo
	s_delay_alu instid0(VALU_DEP_1)
	v_cmpx_ngt_f64_e32 v[181:182], v[183:184]
	s_xor_b32 s2, exec_lo, s2
	s_cbranch_execz .LBB80_637
; %bb.636:
	v_div_scale_f64 v[181:182], null, v[166:167], v[166:167], v[164:165]
	v_div_scale_f64 v[187:188], vcc_lo, v[164:165], v[166:167], v[164:165]
	s_delay_alu instid0(VALU_DEP_2) | instskip(SKIP_2) | instid1(VALU_DEP_1)
	v_rcp_f64_e32 v[183:184], v[181:182]
	s_waitcnt_depctr 0xfff
	v_fma_f64 v[185:186], -v[181:182], v[183:184], 1.0
	v_fma_f64 v[183:184], v[183:184], v[185:186], v[183:184]
	s_delay_alu instid0(VALU_DEP_1) | instskip(NEXT) | instid1(VALU_DEP_1)
	v_fma_f64 v[185:186], -v[181:182], v[183:184], 1.0
	v_fma_f64 v[183:184], v[183:184], v[185:186], v[183:184]
	s_delay_alu instid0(VALU_DEP_1) | instskip(NEXT) | instid1(VALU_DEP_1)
	v_mul_f64 v[185:186], v[187:188], v[183:184]
	v_fma_f64 v[181:182], -v[181:182], v[185:186], v[187:188]
	s_delay_alu instid0(VALU_DEP_1) | instskip(NEXT) | instid1(VALU_DEP_1)
	v_div_fmas_f64 v[181:182], v[181:182], v[183:184], v[185:186]
	v_div_fixup_f64 v[181:182], v[181:182], v[166:167], v[164:165]
	s_delay_alu instid0(VALU_DEP_1) | instskip(NEXT) | instid1(VALU_DEP_1)
	v_fma_f64 v[164:165], v[164:165], v[181:182], v[166:167]
	v_div_scale_f64 v[166:167], null, v[164:165], v[164:165], 1.0
	s_delay_alu instid0(VALU_DEP_1) | instskip(SKIP_2) | instid1(VALU_DEP_1)
	v_rcp_f64_e32 v[183:184], v[166:167]
	s_waitcnt_depctr 0xfff
	v_fma_f64 v[185:186], -v[166:167], v[183:184], 1.0
	v_fma_f64 v[183:184], v[183:184], v[185:186], v[183:184]
	s_delay_alu instid0(VALU_DEP_1) | instskip(NEXT) | instid1(VALU_DEP_1)
	v_fma_f64 v[185:186], -v[166:167], v[183:184], 1.0
	v_fma_f64 v[183:184], v[183:184], v[185:186], v[183:184]
	v_div_scale_f64 v[185:186], vcc_lo, 1.0, v[164:165], 1.0
	s_delay_alu instid0(VALU_DEP_1) | instskip(NEXT) | instid1(VALU_DEP_1)
	v_mul_f64 v[187:188], v[185:186], v[183:184]
	v_fma_f64 v[166:167], -v[166:167], v[187:188], v[185:186]
	s_delay_alu instid0(VALU_DEP_1) | instskip(NEXT) | instid1(VALU_DEP_1)
	v_div_fmas_f64 v[166:167], v[166:167], v[183:184], v[187:188]
	v_div_fixup_f64 v[166:167], v[166:167], v[164:165], 1.0
	s_delay_alu instid0(VALU_DEP_1)
	v_mul_f64 v[164:165], v[181:182], v[166:167]
	v_xor_b32_e32 v167, 0x80000000, v167
.LBB80_637:
	s_and_not1_saveexec_b32 s2, s2
	s_cbranch_execz .LBB80_639
; %bb.638:
	s_delay_alu instid0(VALU_DEP_1) | instskip(SKIP_1) | instid1(VALU_DEP_2)
	v_div_scale_f64 v[181:182], null, v[164:165], v[164:165], v[166:167]
	v_div_scale_f64 v[187:188], vcc_lo, v[166:167], v[164:165], v[166:167]
	v_rcp_f64_e32 v[183:184], v[181:182]
	s_waitcnt_depctr 0xfff
	v_fma_f64 v[185:186], -v[181:182], v[183:184], 1.0
	s_delay_alu instid0(VALU_DEP_1) | instskip(NEXT) | instid1(VALU_DEP_1)
	v_fma_f64 v[183:184], v[183:184], v[185:186], v[183:184]
	v_fma_f64 v[185:186], -v[181:182], v[183:184], 1.0
	s_delay_alu instid0(VALU_DEP_1) | instskip(NEXT) | instid1(VALU_DEP_1)
	v_fma_f64 v[183:184], v[183:184], v[185:186], v[183:184]
	v_mul_f64 v[185:186], v[187:188], v[183:184]
	s_delay_alu instid0(VALU_DEP_1) | instskip(NEXT) | instid1(VALU_DEP_1)
	v_fma_f64 v[181:182], -v[181:182], v[185:186], v[187:188]
	v_div_fmas_f64 v[181:182], v[181:182], v[183:184], v[185:186]
	s_delay_alu instid0(VALU_DEP_1) | instskip(NEXT) | instid1(VALU_DEP_1)
	v_div_fixup_f64 v[181:182], v[181:182], v[164:165], v[166:167]
	v_fma_f64 v[164:165], v[166:167], v[181:182], v[164:165]
	s_delay_alu instid0(VALU_DEP_1) | instskip(NEXT) | instid1(VALU_DEP_1)
	v_div_scale_f64 v[166:167], null, v[164:165], v[164:165], 1.0
	v_rcp_f64_e32 v[183:184], v[166:167]
	s_waitcnt_depctr 0xfff
	v_fma_f64 v[185:186], -v[166:167], v[183:184], 1.0
	s_delay_alu instid0(VALU_DEP_1) | instskip(NEXT) | instid1(VALU_DEP_1)
	v_fma_f64 v[183:184], v[183:184], v[185:186], v[183:184]
	v_fma_f64 v[185:186], -v[166:167], v[183:184], 1.0
	s_delay_alu instid0(VALU_DEP_1) | instskip(SKIP_1) | instid1(VALU_DEP_1)
	v_fma_f64 v[183:184], v[183:184], v[185:186], v[183:184]
	v_div_scale_f64 v[185:186], vcc_lo, 1.0, v[164:165], 1.0
	v_mul_f64 v[187:188], v[185:186], v[183:184]
	s_delay_alu instid0(VALU_DEP_1) | instskip(NEXT) | instid1(VALU_DEP_1)
	v_fma_f64 v[166:167], -v[166:167], v[187:188], v[185:186]
	v_div_fmas_f64 v[166:167], v[166:167], v[183:184], v[187:188]
	s_delay_alu instid0(VALU_DEP_1) | instskip(NEXT) | instid1(VALU_DEP_1)
	v_div_fixup_f64 v[164:165], v[166:167], v[164:165], 1.0
	v_mul_f64 v[166:167], v[181:182], -v[164:165]
.LBB80_639:
	s_or_b32 exec_lo, exec_lo, s2
.LBB80_640:
	s_delay_alu instid0(SALU_CYCLE_1) | instskip(NEXT) | instid1(SALU_CYCLE_1)
	s_or_b32 exec_lo, exec_lo, s3
	s_mov_b32 s2, exec_lo
	v_cmpx_ne_u32_e64 v180, v172
	s_xor_b32 s2, exec_lo, s2
	s_cbranch_execz .LBB80_646
; %bb.641:
	s_mov_b32 s3, exec_lo
	v_cmpx_eq_u32_e32 30, v180
	s_cbranch_execz .LBB80_645
; %bb.642:
	v_cmp_ne_u32_e32 vcc_lo, 30, v172
	s_xor_b32 s6, s4, -1
	s_delay_alu instid0(SALU_CYCLE_1) | instskip(NEXT) | instid1(SALU_CYCLE_1)
	s_and_b32 s7, s6, vcc_lo
	s_and_saveexec_b32 s6, s7
	s_cbranch_execz .LBB80_644
; %bb.643:
	v_ashrrev_i32_e32 v173, 31, v172
	s_delay_alu instid0(VALU_DEP_1) | instskip(NEXT) | instid1(VALU_DEP_1)
	v_lshlrev_b64 v[179:180], 2, v[172:173]
	v_add_co_u32 v179, vcc_lo, v170, v179
	s_delay_alu instid0(VALU_DEP_2)
	v_add_co_ci_u32_e32 v180, vcc_lo, v171, v180, vcc_lo
	s_clause 0x1
	flat_load_b32 v173, v[179:180]
	flat_load_b32 v181, v[170:171] offset:120
	s_waitcnt vmcnt(1) lgkmcnt(1)
	flat_store_b32 v[170:171], v173 offset:120
	s_waitcnt vmcnt(0) lgkmcnt(1)
	flat_store_b32 v[179:180], v181
.LBB80_644:
	s_or_b32 exec_lo, exec_lo, s6
	v_mov_b32_e32 v180, v172
	v_mov_b32_e32 v179, v172
.LBB80_645:
	s_or_b32 exec_lo, exec_lo, s3
.LBB80_646:
	s_and_not1_saveexec_b32 s2, s2
	s_cbranch_execz .LBB80_648
; %bb.647:
	v_mov_b32_e32 v180, 30
	ds_store_2addr_b64 v174, v[36:37], v[38:39] offset0:62 offset1:63
	ds_store_2addr_b64 v174, v[32:33], v[34:35] offset0:64 offset1:65
	;; [unrolled: 1-line block ×10, first 2 shown]
.LBB80_648:
	s_or_b32 exec_lo, exec_lo, s2
	s_delay_alu instid0(SALU_CYCLE_1)
	s_mov_b32 s2, exec_lo
	s_waitcnt lgkmcnt(0)
	s_waitcnt_vscnt null, 0x0
	s_barrier
	buffer_gl0_inv
	v_cmpx_lt_i32_e32 30, v180
	s_cbranch_execz .LBB80_650
; %bb.649:
	v_mul_f64 v[172:173], v[164:165], v[42:43]
	v_mul_f64 v[42:43], v[166:167], v[42:43]
	s_delay_alu instid0(VALU_DEP_2) | instskip(NEXT) | instid1(VALU_DEP_2)
	v_fma_f64 v[172:173], v[166:167], v[40:41], v[172:173]
	v_fma_f64 v[40:41], v[164:165], v[40:41], -v[42:43]
	ds_load_2addr_b64 v[164:167], v174 offset0:62 offset1:63
	s_waitcnt lgkmcnt(0)
	v_mul_f64 v[42:43], v[166:167], v[172:173]
	s_delay_alu instid0(VALU_DEP_1) | instskip(SKIP_1) | instid1(VALU_DEP_2)
	v_fma_f64 v[42:43], v[164:165], v[40:41], -v[42:43]
	v_mul_f64 v[164:165], v[164:165], v[172:173]
	v_add_f64 v[36:37], v[36:37], -v[42:43]
	s_delay_alu instid0(VALU_DEP_2) | instskip(NEXT) | instid1(VALU_DEP_1)
	v_fma_f64 v[164:165], v[166:167], v[40:41], v[164:165]
	v_add_f64 v[38:39], v[38:39], -v[164:165]
	ds_load_2addr_b64 v[164:167], v174 offset0:64 offset1:65
	s_waitcnt lgkmcnt(0)
	v_mul_f64 v[42:43], v[166:167], v[172:173]
	s_delay_alu instid0(VALU_DEP_1) | instskip(SKIP_1) | instid1(VALU_DEP_2)
	v_fma_f64 v[42:43], v[164:165], v[40:41], -v[42:43]
	v_mul_f64 v[164:165], v[164:165], v[172:173]
	v_add_f64 v[32:33], v[32:33], -v[42:43]
	s_delay_alu instid0(VALU_DEP_2) | instskip(NEXT) | instid1(VALU_DEP_1)
	v_fma_f64 v[164:165], v[166:167], v[40:41], v[164:165]
	v_add_f64 v[34:35], v[34:35], -v[164:165]
	;; [unrolled: 10-line block ×9, first 2 shown]
	ds_load_2addr_b64 v[164:167], v174 offset0:80 offset1:81
	s_waitcnt lgkmcnt(0)
	v_mul_f64 v[42:43], v[166:167], v[172:173]
	s_delay_alu instid0(VALU_DEP_1) | instskip(SKIP_1) | instid1(VALU_DEP_2)
	v_fma_f64 v[42:43], v[164:165], v[40:41], -v[42:43]
	v_mul_f64 v[164:165], v[164:165], v[172:173]
	v_add_f64 v[0:1], v[0:1], -v[42:43]
	s_delay_alu instid0(VALU_DEP_2) | instskip(SKIP_1) | instid1(VALU_DEP_2)
	v_fma_f64 v[164:165], v[166:167], v[40:41], v[164:165]
	v_dual_mov_b32 v42, v172 :: v_dual_mov_b32 v43, v173
	v_add_f64 v[2:3], v[2:3], -v[164:165]
.LBB80_650:
	s_or_b32 exec_lo, exec_lo, s2
	v_lshl_add_u32 v164, v180, 4, v174
	s_barrier
	buffer_gl0_inv
	v_mov_b32_e32 v172, 31
	ds_store_2addr_b64 v164, v[36:37], v[38:39] offset1:1
	s_waitcnt lgkmcnt(0)
	s_barrier
	buffer_gl0_inv
	ds_load_2addr_b64 v[164:167], v174 offset0:62 offset1:63
	s_cmp_lt_i32 s5, 33
	s_cbranch_scc1 .LBB80_653
; %bb.651:
	v_add3_u32 v173, v178, 0, 0x200
	v_mov_b32_e32 v172, 31
	s_mov_b32 s6, 32
	s_set_inst_prefetch_distance 0x1
	.p2align	6
.LBB80_652:                             ; =>This Inner Loop Header: Depth=1
	ds_load_2addr_b64 v[181:184], v173 offset1:1
	s_waitcnt lgkmcnt(1)
	v_cmp_gt_f64_e32 vcc_lo, 0, v[164:165]
	v_xor_b32_e32 v185, 0x80000000, v165
	v_cmp_gt_f64_e64 s2, 0, v[166:167]
	v_xor_b32_e32 v187, 0x80000000, v167
	v_add_nc_u32_e32 v173, 16, v173
	s_waitcnt lgkmcnt(0)
	v_cmp_gt_f64_e64 s3, 0, v[181:182]
	v_mov_b32_e32 v189, v181
	v_dual_mov_b32 v191, v183 :: v_dual_cndmask_b32 v186, v165, v185
	v_xor_b32_e32 v185, 0x80000000, v182
	v_cndmask_b32_e64 v188, v167, v187, s2
	v_xor_b32_e32 v187, 0x80000000, v184
	s_delay_alu instid0(VALU_DEP_3) | instskip(SKIP_2) | instid1(VALU_DEP_2)
	v_cndmask_b32_e64 v190, v182, v185, s3
	v_cmp_gt_f64_e64 s3, 0, v[183:184]
	v_cndmask_b32_e32 v185, v164, v164, vcc_lo
	v_cndmask_b32_e64 v192, v184, v187, s3
	v_cndmask_b32_e64 v187, v166, v166, s2
	s_delay_alu instid0(VALU_DEP_2) | instskip(NEXT) | instid1(VALU_DEP_2)
	v_add_f64 v[189:190], v[189:190], v[191:192]
	v_add_f64 v[185:186], v[185:186], v[187:188]
	s_delay_alu instid0(VALU_DEP_1) | instskip(SKIP_4) | instid1(SALU_CYCLE_1)
	v_cmp_lt_f64_e32 vcc_lo, v[185:186], v[189:190]
	v_dual_cndmask_b32 v166, v166, v183 :: v_dual_cndmask_b32 v165, v165, v182
	v_dual_cndmask_b32 v164, v164, v181 :: v_dual_cndmask_b32 v167, v167, v184
	v_cndmask_b32_e64 v172, v172, s6, vcc_lo
	s_add_i32 s6, s6, 1
	s_cmp_lg_u32 s5, s6
	s_cbranch_scc1 .LBB80_652
.LBB80_653:
	s_set_inst_prefetch_distance 0x2
	s_waitcnt lgkmcnt(0)
	v_cmp_eq_f64_e32 vcc_lo, 0, v[164:165]
	v_cmp_eq_f64_e64 s2, 0, v[166:167]
	s_delay_alu instid0(VALU_DEP_1) | instskip(NEXT) | instid1(SALU_CYCLE_1)
	s_and_b32 s2, vcc_lo, s2
	s_and_saveexec_b32 s3, s2
	s_delay_alu instid0(SALU_CYCLE_1)
	s_xor_b32 s2, exec_lo, s3
; %bb.654:
	v_cmp_ne_u32_e32 vcc_lo, 0, v177
	v_cndmask_b32_e32 v177, 32, v177, vcc_lo
; %bb.655:
	s_and_not1_saveexec_b32 s3, s2
	s_cbranch_execz .LBB80_661
; %bb.656:
	v_cmp_gt_f64_e32 vcc_lo, 0, v[164:165]
	v_cmp_gt_f64_e64 s2, 0, v[166:167]
	v_xor_b32_e32 v173, 0x80000000, v165
	v_xor_b32_e32 v181, 0x80000000, v167
	s_delay_alu instid0(VALU_DEP_2) | instskip(NEXT) | instid1(VALU_DEP_2)
	v_cndmask_b32_e32 v182, v165, v173, vcc_lo
	v_cndmask_b32_e64 v184, v167, v181, s2
	v_cndmask_b32_e32 v181, v164, v164, vcc_lo
	v_cndmask_b32_e64 v183, v166, v166, s2
	s_mov_b32 s2, exec_lo
	s_delay_alu instid0(VALU_DEP_1)
	v_cmpx_ngt_f64_e32 v[181:182], v[183:184]
	s_xor_b32 s2, exec_lo, s2
	s_cbranch_execz .LBB80_658
; %bb.657:
	v_div_scale_f64 v[181:182], null, v[166:167], v[166:167], v[164:165]
	v_div_scale_f64 v[187:188], vcc_lo, v[164:165], v[166:167], v[164:165]
	s_delay_alu instid0(VALU_DEP_2) | instskip(SKIP_2) | instid1(VALU_DEP_1)
	v_rcp_f64_e32 v[183:184], v[181:182]
	s_waitcnt_depctr 0xfff
	v_fma_f64 v[185:186], -v[181:182], v[183:184], 1.0
	v_fma_f64 v[183:184], v[183:184], v[185:186], v[183:184]
	s_delay_alu instid0(VALU_DEP_1) | instskip(NEXT) | instid1(VALU_DEP_1)
	v_fma_f64 v[185:186], -v[181:182], v[183:184], 1.0
	v_fma_f64 v[183:184], v[183:184], v[185:186], v[183:184]
	s_delay_alu instid0(VALU_DEP_1) | instskip(NEXT) | instid1(VALU_DEP_1)
	v_mul_f64 v[185:186], v[187:188], v[183:184]
	v_fma_f64 v[181:182], -v[181:182], v[185:186], v[187:188]
	s_delay_alu instid0(VALU_DEP_1) | instskip(NEXT) | instid1(VALU_DEP_1)
	v_div_fmas_f64 v[181:182], v[181:182], v[183:184], v[185:186]
	v_div_fixup_f64 v[181:182], v[181:182], v[166:167], v[164:165]
	s_delay_alu instid0(VALU_DEP_1) | instskip(NEXT) | instid1(VALU_DEP_1)
	v_fma_f64 v[164:165], v[164:165], v[181:182], v[166:167]
	v_div_scale_f64 v[166:167], null, v[164:165], v[164:165], 1.0
	s_delay_alu instid0(VALU_DEP_1) | instskip(SKIP_2) | instid1(VALU_DEP_1)
	v_rcp_f64_e32 v[183:184], v[166:167]
	s_waitcnt_depctr 0xfff
	v_fma_f64 v[185:186], -v[166:167], v[183:184], 1.0
	v_fma_f64 v[183:184], v[183:184], v[185:186], v[183:184]
	s_delay_alu instid0(VALU_DEP_1) | instskip(NEXT) | instid1(VALU_DEP_1)
	v_fma_f64 v[185:186], -v[166:167], v[183:184], 1.0
	v_fma_f64 v[183:184], v[183:184], v[185:186], v[183:184]
	v_div_scale_f64 v[185:186], vcc_lo, 1.0, v[164:165], 1.0
	s_delay_alu instid0(VALU_DEP_1) | instskip(NEXT) | instid1(VALU_DEP_1)
	v_mul_f64 v[187:188], v[185:186], v[183:184]
	v_fma_f64 v[166:167], -v[166:167], v[187:188], v[185:186]
	s_delay_alu instid0(VALU_DEP_1) | instskip(NEXT) | instid1(VALU_DEP_1)
	v_div_fmas_f64 v[166:167], v[166:167], v[183:184], v[187:188]
	v_div_fixup_f64 v[166:167], v[166:167], v[164:165], 1.0
	s_delay_alu instid0(VALU_DEP_1)
	v_mul_f64 v[164:165], v[181:182], v[166:167]
	v_xor_b32_e32 v167, 0x80000000, v167
.LBB80_658:
	s_and_not1_saveexec_b32 s2, s2
	s_cbranch_execz .LBB80_660
; %bb.659:
	s_delay_alu instid0(VALU_DEP_1) | instskip(SKIP_1) | instid1(VALU_DEP_2)
	v_div_scale_f64 v[181:182], null, v[164:165], v[164:165], v[166:167]
	v_div_scale_f64 v[187:188], vcc_lo, v[166:167], v[164:165], v[166:167]
	v_rcp_f64_e32 v[183:184], v[181:182]
	s_waitcnt_depctr 0xfff
	v_fma_f64 v[185:186], -v[181:182], v[183:184], 1.0
	s_delay_alu instid0(VALU_DEP_1) | instskip(NEXT) | instid1(VALU_DEP_1)
	v_fma_f64 v[183:184], v[183:184], v[185:186], v[183:184]
	v_fma_f64 v[185:186], -v[181:182], v[183:184], 1.0
	s_delay_alu instid0(VALU_DEP_1) | instskip(NEXT) | instid1(VALU_DEP_1)
	v_fma_f64 v[183:184], v[183:184], v[185:186], v[183:184]
	v_mul_f64 v[185:186], v[187:188], v[183:184]
	s_delay_alu instid0(VALU_DEP_1) | instskip(NEXT) | instid1(VALU_DEP_1)
	v_fma_f64 v[181:182], -v[181:182], v[185:186], v[187:188]
	v_div_fmas_f64 v[181:182], v[181:182], v[183:184], v[185:186]
	s_delay_alu instid0(VALU_DEP_1) | instskip(NEXT) | instid1(VALU_DEP_1)
	v_div_fixup_f64 v[181:182], v[181:182], v[164:165], v[166:167]
	v_fma_f64 v[164:165], v[166:167], v[181:182], v[164:165]
	s_delay_alu instid0(VALU_DEP_1) | instskip(NEXT) | instid1(VALU_DEP_1)
	v_div_scale_f64 v[166:167], null, v[164:165], v[164:165], 1.0
	v_rcp_f64_e32 v[183:184], v[166:167]
	s_waitcnt_depctr 0xfff
	v_fma_f64 v[185:186], -v[166:167], v[183:184], 1.0
	s_delay_alu instid0(VALU_DEP_1) | instskip(NEXT) | instid1(VALU_DEP_1)
	v_fma_f64 v[183:184], v[183:184], v[185:186], v[183:184]
	v_fma_f64 v[185:186], -v[166:167], v[183:184], 1.0
	s_delay_alu instid0(VALU_DEP_1) | instskip(SKIP_1) | instid1(VALU_DEP_1)
	v_fma_f64 v[183:184], v[183:184], v[185:186], v[183:184]
	v_div_scale_f64 v[185:186], vcc_lo, 1.0, v[164:165], 1.0
	v_mul_f64 v[187:188], v[185:186], v[183:184]
	s_delay_alu instid0(VALU_DEP_1) | instskip(NEXT) | instid1(VALU_DEP_1)
	v_fma_f64 v[166:167], -v[166:167], v[187:188], v[185:186]
	v_div_fmas_f64 v[166:167], v[166:167], v[183:184], v[187:188]
	s_delay_alu instid0(VALU_DEP_1) | instskip(NEXT) | instid1(VALU_DEP_1)
	v_div_fixup_f64 v[164:165], v[166:167], v[164:165], 1.0
	v_mul_f64 v[166:167], v[181:182], -v[164:165]
.LBB80_660:
	s_or_b32 exec_lo, exec_lo, s2
.LBB80_661:
	s_delay_alu instid0(SALU_CYCLE_1) | instskip(NEXT) | instid1(SALU_CYCLE_1)
	s_or_b32 exec_lo, exec_lo, s3
	s_mov_b32 s2, exec_lo
	v_cmpx_ne_u32_e64 v180, v172
	s_xor_b32 s2, exec_lo, s2
	s_cbranch_execz .LBB80_667
; %bb.662:
	s_mov_b32 s3, exec_lo
	v_cmpx_eq_u32_e32 31, v180
	s_cbranch_execz .LBB80_666
; %bb.663:
	v_cmp_ne_u32_e32 vcc_lo, 31, v172
	s_xor_b32 s6, s4, -1
	s_delay_alu instid0(SALU_CYCLE_1) | instskip(NEXT) | instid1(SALU_CYCLE_1)
	s_and_b32 s7, s6, vcc_lo
	s_and_saveexec_b32 s6, s7
	s_cbranch_execz .LBB80_665
; %bb.664:
	v_ashrrev_i32_e32 v173, 31, v172
	s_delay_alu instid0(VALU_DEP_1) | instskip(NEXT) | instid1(VALU_DEP_1)
	v_lshlrev_b64 v[179:180], 2, v[172:173]
	v_add_co_u32 v179, vcc_lo, v170, v179
	s_delay_alu instid0(VALU_DEP_2)
	v_add_co_ci_u32_e32 v180, vcc_lo, v171, v180, vcc_lo
	s_clause 0x1
	flat_load_b32 v173, v[179:180]
	flat_load_b32 v181, v[170:171] offset:124
	s_waitcnt vmcnt(1) lgkmcnt(1)
	flat_store_b32 v[170:171], v173 offset:124
	s_waitcnt vmcnt(0) lgkmcnt(1)
	flat_store_b32 v[179:180], v181
.LBB80_665:
	s_or_b32 exec_lo, exec_lo, s6
	v_mov_b32_e32 v180, v172
	v_mov_b32_e32 v179, v172
.LBB80_666:
	s_or_b32 exec_lo, exec_lo, s3
.LBB80_667:
	s_and_not1_saveexec_b32 s2, s2
	s_cbranch_execz .LBB80_669
; %bb.668:
	v_mov_b32_e32 v180, 31
	ds_store_2addr_b64 v174, v[32:33], v[34:35] offset0:64 offset1:65
	ds_store_2addr_b64 v174, v[28:29], v[30:31] offset0:66 offset1:67
	ds_store_2addr_b64 v174, v[24:25], v[26:27] offset0:68 offset1:69
	ds_store_2addr_b64 v174, v[20:21], v[22:23] offset0:70 offset1:71
	ds_store_2addr_b64 v174, v[16:17], v[18:19] offset0:72 offset1:73
	ds_store_2addr_b64 v174, v[12:13], v[14:15] offset0:74 offset1:75
	ds_store_2addr_b64 v174, v[8:9], v[10:11] offset0:76 offset1:77
	ds_store_2addr_b64 v174, v[4:5], v[6:7] offset0:78 offset1:79
	ds_store_2addr_b64 v174, v[0:1], v[2:3] offset0:80 offset1:81
.LBB80_669:
	s_or_b32 exec_lo, exec_lo, s2
	s_delay_alu instid0(SALU_CYCLE_1)
	s_mov_b32 s2, exec_lo
	s_waitcnt lgkmcnt(0)
	s_waitcnt_vscnt null, 0x0
	s_barrier
	buffer_gl0_inv
	v_cmpx_lt_i32_e32 31, v180
	s_cbranch_execz .LBB80_671
; %bb.670:
	v_mul_f64 v[172:173], v[164:165], v[38:39]
	v_mul_f64 v[38:39], v[166:167], v[38:39]
	ds_load_2addr_b64 v[181:184], v174 offset0:64 offset1:65
	ds_load_2addr_b64 v[185:188], v174 offset0:66 offset1:67
	;; [unrolled: 1-line block ×9, first 2 shown]
	v_fma_f64 v[166:167], v[166:167], v[36:37], v[172:173]
	v_fma_f64 v[36:37], v[164:165], v[36:37], -v[38:39]
	s_waitcnt lgkmcnt(8)
	s_delay_alu instid0(VALU_DEP_2)
	v_mul_f64 v[38:39], v[183:184], v[166:167]
	v_mul_f64 v[164:165], v[181:182], v[166:167]
	s_waitcnt lgkmcnt(7)
	v_mul_f64 v[172:173], v[187:188], v[166:167]
	v_mul_f64 v[217:218], v[185:186], v[166:167]
	s_waitcnt lgkmcnt(6)
	;; [unrolled: 3-line block ×8, first 2 shown]
	v_mul_f64 v[243:244], v[215:216], v[166:167]
	v_mul_f64 v[245:246], v[213:214], v[166:167]
	v_fma_f64 v[38:39], v[181:182], v[36:37], -v[38:39]
	v_fma_f64 v[164:165], v[183:184], v[36:37], v[164:165]
	v_fma_f64 v[172:173], v[185:186], v[36:37], -v[172:173]
	v_fma_f64 v[181:182], v[187:188], v[36:37], v[217:218]
	;; [unrolled: 2-line block ×9, first 2 shown]
	v_add_f64 v[32:33], v[32:33], -v[38:39]
	v_add_f64 v[34:35], v[34:35], -v[164:165]
	;; [unrolled: 1-line block ×18, first 2 shown]
	v_dual_mov_b32 v38, v166 :: v_dual_mov_b32 v39, v167
.LBB80_671:
	s_or_b32 exec_lo, exec_lo, s2
	v_lshl_add_u32 v164, v180, 4, v174
	s_barrier
	buffer_gl0_inv
	v_mov_b32_e32 v172, 32
	ds_store_2addr_b64 v164, v[32:33], v[34:35] offset1:1
	s_waitcnt lgkmcnt(0)
	s_barrier
	buffer_gl0_inv
	ds_load_2addr_b64 v[164:167], v174 offset0:64 offset1:65
	s_cmp_lt_i32 s5, 34
	s_cbranch_scc1 .LBB80_674
; %bb.672:
	v_add3_u32 v173, v178, 0, 0x210
	v_mov_b32_e32 v172, 32
	s_mov_b32 s6, 33
	s_set_inst_prefetch_distance 0x1
	.p2align	6
.LBB80_673:                             ; =>This Inner Loop Header: Depth=1
	ds_load_2addr_b64 v[181:184], v173 offset1:1
	s_waitcnt lgkmcnt(1)
	v_cmp_gt_f64_e32 vcc_lo, 0, v[164:165]
	v_xor_b32_e32 v185, 0x80000000, v165
	v_cmp_gt_f64_e64 s2, 0, v[166:167]
	v_xor_b32_e32 v187, 0x80000000, v167
	v_add_nc_u32_e32 v173, 16, v173
	s_waitcnt lgkmcnt(0)
	v_cmp_gt_f64_e64 s3, 0, v[181:182]
	v_mov_b32_e32 v189, v181
	v_dual_mov_b32 v191, v183 :: v_dual_cndmask_b32 v186, v165, v185
	v_xor_b32_e32 v185, 0x80000000, v182
	v_cndmask_b32_e64 v188, v167, v187, s2
	v_xor_b32_e32 v187, 0x80000000, v184
	s_delay_alu instid0(VALU_DEP_3) | instskip(SKIP_2) | instid1(VALU_DEP_2)
	v_cndmask_b32_e64 v190, v182, v185, s3
	v_cmp_gt_f64_e64 s3, 0, v[183:184]
	v_cndmask_b32_e32 v185, v164, v164, vcc_lo
	v_cndmask_b32_e64 v192, v184, v187, s3
	v_cndmask_b32_e64 v187, v166, v166, s2
	s_delay_alu instid0(VALU_DEP_2) | instskip(NEXT) | instid1(VALU_DEP_2)
	v_add_f64 v[189:190], v[189:190], v[191:192]
	v_add_f64 v[185:186], v[185:186], v[187:188]
	s_delay_alu instid0(VALU_DEP_1) | instskip(SKIP_4) | instid1(SALU_CYCLE_1)
	v_cmp_lt_f64_e32 vcc_lo, v[185:186], v[189:190]
	v_dual_cndmask_b32 v166, v166, v183 :: v_dual_cndmask_b32 v165, v165, v182
	v_dual_cndmask_b32 v164, v164, v181 :: v_dual_cndmask_b32 v167, v167, v184
	v_cndmask_b32_e64 v172, v172, s6, vcc_lo
	s_add_i32 s6, s6, 1
	s_cmp_lg_u32 s5, s6
	s_cbranch_scc1 .LBB80_673
.LBB80_674:
	s_set_inst_prefetch_distance 0x2
	s_waitcnt lgkmcnt(0)
	v_cmp_eq_f64_e32 vcc_lo, 0, v[164:165]
	v_cmp_eq_f64_e64 s2, 0, v[166:167]
	s_delay_alu instid0(VALU_DEP_1) | instskip(NEXT) | instid1(SALU_CYCLE_1)
	s_and_b32 s2, vcc_lo, s2
	s_and_saveexec_b32 s3, s2
	s_delay_alu instid0(SALU_CYCLE_1)
	s_xor_b32 s2, exec_lo, s3
; %bb.675:
	v_cmp_ne_u32_e32 vcc_lo, 0, v177
	v_cndmask_b32_e32 v177, 33, v177, vcc_lo
; %bb.676:
	s_and_not1_saveexec_b32 s3, s2
	s_cbranch_execz .LBB80_682
; %bb.677:
	v_cmp_gt_f64_e32 vcc_lo, 0, v[164:165]
	v_cmp_gt_f64_e64 s2, 0, v[166:167]
	v_xor_b32_e32 v173, 0x80000000, v165
	v_xor_b32_e32 v181, 0x80000000, v167
	s_delay_alu instid0(VALU_DEP_2) | instskip(NEXT) | instid1(VALU_DEP_2)
	v_cndmask_b32_e32 v182, v165, v173, vcc_lo
	v_cndmask_b32_e64 v184, v167, v181, s2
	v_cndmask_b32_e32 v181, v164, v164, vcc_lo
	v_cndmask_b32_e64 v183, v166, v166, s2
	s_mov_b32 s2, exec_lo
	s_delay_alu instid0(VALU_DEP_1)
	v_cmpx_ngt_f64_e32 v[181:182], v[183:184]
	s_xor_b32 s2, exec_lo, s2
	s_cbranch_execz .LBB80_679
; %bb.678:
	v_div_scale_f64 v[181:182], null, v[166:167], v[166:167], v[164:165]
	v_div_scale_f64 v[187:188], vcc_lo, v[164:165], v[166:167], v[164:165]
	s_delay_alu instid0(VALU_DEP_2) | instskip(SKIP_2) | instid1(VALU_DEP_1)
	v_rcp_f64_e32 v[183:184], v[181:182]
	s_waitcnt_depctr 0xfff
	v_fma_f64 v[185:186], -v[181:182], v[183:184], 1.0
	v_fma_f64 v[183:184], v[183:184], v[185:186], v[183:184]
	s_delay_alu instid0(VALU_DEP_1) | instskip(NEXT) | instid1(VALU_DEP_1)
	v_fma_f64 v[185:186], -v[181:182], v[183:184], 1.0
	v_fma_f64 v[183:184], v[183:184], v[185:186], v[183:184]
	s_delay_alu instid0(VALU_DEP_1) | instskip(NEXT) | instid1(VALU_DEP_1)
	v_mul_f64 v[185:186], v[187:188], v[183:184]
	v_fma_f64 v[181:182], -v[181:182], v[185:186], v[187:188]
	s_delay_alu instid0(VALU_DEP_1) | instskip(NEXT) | instid1(VALU_DEP_1)
	v_div_fmas_f64 v[181:182], v[181:182], v[183:184], v[185:186]
	v_div_fixup_f64 v[181:182], v[181:182], v[166:167], v[164:165]
	s_delay_alu instid0(VALU_DEP_1) | instskip(NEXT) | instid1(VALU_DEP_1)
	v_fma_f64 v[164:165], v[164:165], v[181:182], v[166:167]
	v_div_scale_f64 v[166:167], null, v[164:165], v[164:165], 1.0
	s_delay_alu instid0(VALU_DEP_1) | instskip(SKIP_2) | instid1(VALU_DEP_1)
	v_rcp_f64_e32 v[183:184], v[166:167]
	s_waitcnt_depctr 0xfff
	v_fma_f64 v[185:186], -v[166:167], v[183:184], 1.0
	v_fma_f64 v[183:184], v[183:184], v[185:186], v[183:184]
	s_delay_alu instid0(VALU_DEP_1) | instskip(NEXT) | instid1(VALU_DEP_1)
	v_fma_f64 v[185:186], -v[166:167], v[183:184], 1.0
	v_fma_f64 v[183:184], v[183:184], v[185:186], v[183:184]
	v_div_scale_f64 v[185:186], vcc_lo, 1.0, v[164:165], 1.0
	s_delay_alu instid0(VALU_DEP_1) | instskip(NEXT) | instid1(VALU_DEP_1)
	v_mul_f64 v[187:188], v[185:186], v[183:184]
	v_fma_f64 v[166:167], -v[166:167], v[187:188], v[185:186]
	s_delay_alu instid0(VALU_DEP_1) | instskip(NEXT) | instid1(VALU_DEP_1)
	v_div_fmas_f64 v[166:167], v[166:167], v[183:184], v[187:188]
	v_div_fixup_f64 v[166:167], v[166:167], v[164:165], 1.0
	s_delay_alu instid0(VALU_DEP_1)
	v_mul_f64 v[164:165], v[181:182], v[166:167]
	v_xor_b32_e32 v167, 0x80000000, v167
.LBB80_679:
	s_and_not1_saveexec_b32 s2, s2
	s_cbranch_execz .LBB80_681
; %bb.680:
	s_delay_alu instid0(VALU_DEP_1) | instskip(SKIP_1) | instid1(VALU_DEP_2)
	v_div_scale_f64 v[181:182], null, v[164:165], v[164:165], v[166:167]
	v_div_scale_f64 v[187:188], vcc_lo, v[166:167], v[164:165], v[166:167]
	v_rcp_f64_e32 v[183:184], v[181:182]
	s_waitcnt_depctr 0xfff
	v_fma_f64 v[185:186], -v[181:182], v[183:184], 1.0
	s_delay_alu instid0(VALU_DEP_1) | instskip(NEXT) | instid1(VALU_DEP_1)
	v_fma_f64 v[183:184], v[183:184], v[185:186], v[183:184]
	v_fma_f64 v[185:186], -v[181:182], v[183:184], 1.0
	s_delay_alu instid0(VALU_DEP_1) | instskip(NEXT) | instid1(VALU_DEP_1)
	v_fma_f64 v[183:184], v[183:184], v[185:186], v[183:184]
	v_mul_f64 v[185:186], v[187:188], v[183:184]
	s_delay_alu instid0(VALU_DEP_1) | instskip(NEXT) | instid1(VALU_DEP_1)
	v_fma_f64 v[181:182], -v[181:182], v[185:186], v[187:188]
	v_div_fmas_f64 v[181:182], v[181:182], v[183:184], v[185:186]
	s_delay_alu instid0(VALU_DEP_1) | instskip(NEXT) | instid1(VALU_DEP_1)
	v_div_fixup_f64 v[181:182], v[181:182], v[164:165], v[166:167]
	v_fma_f64 v[164:165], v[166:167], v[181:182], v[164:165]
	s_delay_alu instid0(VALU_DEP_1) | instskip(NEXT) | instid1(VALU_DEP_1)
	v_div_scale_f64 v[166:167], null, v[164:165], v[164:165], 1.0
	v_rcp_f64_e32 v[183:184], v[166:167]
	s_waitcnt_depctr 0xfff
	v_fma_f64 v[185:186], -v[166:167], v[183:184], 1.0
	s_delay_alu instid0(VALU_DEP_1) | instskip(NEXT) | instid1(VALU_DEP_1)
	v_fma_f64 v[183:184], v[183:184], v[185:186], v[183:184]
	v_fma_f64 v[185:186], -v[166:167], v[183:184], 1.0
	s_delay_alu instid0(VALU_DEP_1) | instskip(SKIP_1) | instid1(VALU_DEP_1)
	v_fma_f64 v[183:184], v[183:184], v[185:186], v[183:184]
	v_div_scale_f64 v[185:186], vcc_lo, 1.0, v[164:165], 1.0
	v_mul_f64 v[187:188], v[185:186], v[183:184]
	s_delay_alu instid0(VALU_DEP_1) | instskip(NEXT) | instid1(VALU_DEP_1)
	v_fma_f64 v[166:167], -v[166:167], v[187:188], v[185:186]
	v_div_fmas_f64 v[166:167], v[166:167], v[183:184], v[187:188]
	s_delay_alu instid0(VALU_DEP_1) | instskip(NEXT) | instid1(VALU_DEP_1)
	v_div_fixup_f64 v[164:165], v[166:167], v[164:165], 1.0
	v_mul_f64 v[166:167], v[181:182], -v[164:165]
.LBB80_681:
	s_or_b32 exec_lo, exec_lo, s2
.LBB80_682:
	s_delay_alu instid0(SALU_CYCLE_1) | instskip(NEXT) | instid1(SALU_CYCLE_1)
	s_or_b32 exec_lo, exec_lo, s3
	s_mov_b32 s2, exec_lo
	v_cmpx_ne_u32_e64 v180, v172
	s_xor_b32 s2, exec_lo, s2
	s_cbranch_execz .LBB80_688
; %bb.683:
	s_mov_b32 s3, exec_lo
	v_cmpx_eq_u32_e32 32, v180
	s_cbranch_execz .LBB80_687
; %bb.684:
	v_cmp_ne_u32_e32 vcc_lo, 32, v172
	s_xor_b32 s6, s4, -1
	s_delay_alu instid0(SALU_CYCLE_1) | instskip(NEXT) | instid1(SALU_CYCLE_1)
	s_and_b32 s7, s6, vcc_lo
	s_and_saveexec_b32 s6, s7
	s_cbranch_execz .LBB80_686
; %bb.685:
	v_ashrrev_i32_e32 v173, 31, v172
	s_delay_alu instid0(VALU_DEP_1) | instskip(NEXT) | instid1(VALU_DEP_1)
	v_lshlrev_b64 v[179:180], 2, v[172:173]
	v_add_co_u32 v179, vcc_lo, v170, v179
	s_delay_alu instid0(VALU_DEP_2)
	v_add_co_ci_u32_e32 v180, vcc_lo, v171, v180, vcc_lo
	s_clause 0x1
	flat_load_b32 v173, v[179:180]
	flat_load_b32 v181, v[170:171] offset:128
	s_waitcnt vmcnt(1) lgkmcnt(1)
	flat_store_b32 v[170:171], v173 offset:128
	s_waitcnt vmcnt(0) lgkmcnt(1)
	flat_store_b32 v[179:180], v181
.LBB80_686:
	s_or_b32 exec_lo, exec_lo, s6
	v_mov_b32_e32 v180, v172
	v_mov_b32_e32 v179, v172
.LBB80_687:
	s_or_b32 exec_lo, exec_lo, s3
.LBB80_688:
	s_and_not1_saveexec_b32 s2, s2
	s_cbranch_execz .LBB80_690
; %bb.689:
	v_mov_b32_e32 v180, 32
	ds_store_2addr_b64 v174, v[28:29], v[30:31] offset0:66 offset1:67
	ds_store_2addr_b64 v174, v[24:25], v[26:27] offset0:68 offset1:69
	;; [unrolled: 1-line block ×8, first 2 shown]
.LBB80_690:
	s_or_b32 exec_lo, exec_lo, s2
	s_delay_alu instid0(SALU_CYCLE_1)
	s_mov_b32 s2, exec_lo
	s_waitcnt lgkmcnt(0)
	s_waitcnt_vscnt null, 0x0
	s_barrier
	buffer_gl0_inv
	v_cmpx_lt_i32_e32 32, v180
	s_cbranch_execz .LBB80_692
; %bb.691:
	v_mul_f64 v[172:173], v[164:165], v[34:35]
	v_mul_f64 v[34:35], v[166:167], v[34:35]
	ds_load_2addr_b64 v[181:184], v174 offset0:66 offset1:67
	ds_load_2addr_b64 v[185:188], v174 offset0:68 offset1:69
	;; [unrolled: 1-line block ×8, first 2 shown]
	v_fma_f64 v[166:167], v[166:167], v[32:33], v[172:173]
	v_fma_f64 v[32:33], v[164:165], v[32:33], -v[34:35]
	s_waitcnt lgkmcnt(7)
	s_delay_alu instid0(VALU_DEP_2)
	v_mul_f64 v[34:35], v[183:184], v[166:167]
	v_mul_f64 v[164:165], v[181:182], v[166:167]
	s_waitcnt lgkmcnt(6)
	v_mul_f64 v[172:173], v[187:188], v[166:167]
	v_mul_f64 v[213:214], v[185:186], v[166:167]
	s_waitcnt lgkmcnt(5)
	;; [unrolled: 3-line block ×7, first 2 shown]
	v_mul_f64 v[235:236], v[211:212], v[166:167]
	v_mul_f64 v[237:238], v[209:210], v[166:167]
	v_fma_f64 v[34:35], v[181:182], v[32:33], -v[34:35]
	v_fma_f64 v[164:165], v[183:184], v[32:33], v[164:165]
	v_fma_f64 v[172:173], v[185:186], v[32:33], -v[172:173]
	v_fma_f64 v[181:182], v[187:188], v[32:33], v[213:214]
	;; [unrolled: 2-line block ×8, first 2 shown]
	v_add_f64 v[28:29], v[28:29], -v[34:35]
	v_add_f64 v[30:31], v[30:31], -v[164:165]
	;; [unrolled: 1-line block ×16, first 2 shown]
	v_dual_mov_b32 v34, v166 :: v_dual_mov_b32 v35, v167
.LBB80_692:
	s_or_b32 exec_lo, exec_lo, s2
	v_lshl_add_u32 v164, v180, 4, v174
	s_barrier
	buffer_gl0_inv
	v_mov_b32_e32 v172, 33
	ds_store_2addr_b64 v164, v[28:29], v[30:31] offset1:1
	s_waitcnt lgkmcnt(0)
	s_barrier
	buffer_gl0_inv
	ds_load_2addr_b64 v[164:167], v174 offset0:66 offset1:67
	s_cmp_lt_i32 s5, 35
	s_cbranch_scc1 .LBB80_695
; %bb.693:
	v_add3_u32 v173, v178, 0, 0x220
	v_mov_b32_e32 v172, 33
	s_mov_b32 s6, 34
	s_set_inst_prefetch_distance 0x1
	.p2align	6
.LBB80_694:                             ; =>This Inner Loop Header: Depth=1
	ds_load_2addr_b64 v[181:184], v173 offset1:1
	s_waitcnt lgkmcnt(1)
	v_cmp_gt_f64_e32 vcc_lo, 0, v[164:165]
	v_xor_b32_e32 v185, 0x80000000, v165
	v_cmp_gt_f64_e64 s2, 0, v[166:167]
	v_xor_b32_e32 v187, 0x80000000, v167
	v_add_nc_u32_e32 v173, 16, v173
	s_waitcnt lgkmcnt(0)
	v_cmp_gt_f64_e64 s3, 0, v[181:182]
	v_mov_b32_e32 v189, v181
	v_dual_mov_b32 v191, v183 :: v_dual_cndmask_b32 v186, v165, v185
	v_xor_b32_e32 v185, 0x80000000, v182
	v_cndmask_b32_e64 v188, v167, v187, s2
	v_xor_b32_e32 v187, 0x80000000, v184
	s_delay_alu instid0(VALU_DEP_3) | instskip(SKIP_2) | instid1(VALU_DEP_2)
	v_cndmask_b32_e64 v190, v182, v185, s3
	v_cmp_gt_f64_e64 s3, 0, v[183:184]
	v_cndmask_b32_e32 v185, v164, v164, vcc_lo
	v_cndmask_b32_e64 v192, v184, v187, s3
	v_cndmask_b32_e64 v187, v166, v166, s2
	s_delay_alu instid0(VALU_DEP_2) | instskip(NEXT) | instid1(VALU_DEP_2)
	v_add_f64 v[189:190], v[189:190], v[191:192]
	v_add_f64 v[185:186], v[185:186], v[187:188]
	s_delay_alu instid0(VALU_DEP_1) | instskip(SKIP_4) | instid1(SALU_CYCLE_1)
	v_cmp_lt_f64_e32 vcc_lo, v[185:186], v[189:190]
	v_dual_cndmask_b32 v166, v166, v183 :: v_dual_cndmask_b32 v165, v165, v182
	v_dual_cndmask_b32 v164, v164, v181 :: v_dual_cndmask_b32 v167, v167, v184
	v_cndmask_b32_e64 v172, v172, s6, vcc_lo
	s_add_i32 s6, s6, 1
	s_cmp_lg_u32 s5, s6
	s_cbranch_scc1 .LBB80_694
.LBB80_695:
	s_set_inst_prefetch_distance 0x2
	s_waitcnt lgkmcnt(0)
	v_cmp_eq_f64_e32 vcc_lo, 0, v[164:165]
	v_cmp_eq_f64_e64 s2, 0, v[166:167]
	s_delay_alu instid0(VALU_DEP_1) | instskip(NEXT) | instid1(SALU_CYCLE_1)
	s_and_b32 s2, vcc_lo, s2
	s_and_saveexec_b32 s3, s2
	s_delay_alu instid0(SALU_CYCLE_1)
	s_xor_b32 s2, exec_lo, s3
; %bb.696:
	v_cmp_ne_u32_e32 vcc_lo, 0, v177
	v_cndmask_b32_e32 v177, 34, v177, vcc_lo
; %bb.697:
	s_and_not1_saveexec_b32 s3, s2
	s_cbranch_execz .LBB80_703
; %bb.698:
	v_cmp_gt_f64_e32 vcc_lo, 0, v[164:165]
	v_cmp_gt_f64_e64 s2, 0, v[166:167]
	v_xor_b32_e32 v173, 0x80000000, v165
	v_xor_b32_e32 v181, 0x80000000, v167
	s_delay_alu instid0(VALU_DEP_2) | instskip(NEXT) | instid1(VALU_DEP_2)
	v_cndmask_b32_e32 v182, v165, v173, vcc_lo
	v_cndmask_b32_e64 v184, v167, v181, s2
	v_cndmask_b32_e32 v181, v164, v164, vcc_lo
	v_cndmask_b32_e64 v183, v166, v166, s2
	s_mov_b32 s2, exec_lo
	s_delay_alu instid0(VALU_DEP_1)
	v_cmpx_ngt_f64_e32 v[181:182], v[183:184]
	s_xor_b32 s2, exec_lo, s2
	s_cbranch_execz .LBB80_700
; %bb.699:
	v_div_scale_f64 v[181:182], null, v[166:167], v[166:167], v[164:165]
	v_div_scale_f64 v[187:188], vcc_lo, v[164:165], v[166:167], v[164:165]
	s_delay_alu instid0(VALU_DEP_2) | instskip(SKIP_2) | instid1(VALU_DEP_1)
	v_rcp_f64_e32 v[183:184], v[181:182]
	s_waitcnt_depctr 0xfff
	v_fma_f64 v[185:186], -v[181:182], v[183:184], 1.0
	v_fma_f64 v[183:184], v[183:184], v[185:186], v[183:184]
	s_delay_alu instid0(VALU_DEP_1) | instskip(NEXT) | instid1(VALU_DEP_1)
	v_fma_f64 v[185:186], -v[181:182], v[183:184], 1.0
	v_fma_f64 v[183:184], v[183:184], v[185:186], v[183:184]
	s_delay_alu instid0(VALU_DEP_1) | instskip(NEXT) | instid1(VALU_DEP_1)
	v_mul_f64 v[185:186], v[187:188], v[183:184]
	v_fma_f64 v[181:182], -v[181:182], v[185:186], v[187:188]
	s_delay_alu instid0(VALU_DEP_1) | instskip(NEXT) | instid1(VALU_DEP_1)
	v_div_fmas_f64 v[181:182], v[181:182], v[183:184], v[185:186]
	v_div_fixup_f64 v[181:182], v[181:182], v[166:167], v[164:165]
	s_delay_alu instid0(VALU_DEP_1) | instskip(NEXT) | instid1(VALU_DEP_1)
	v_fma_f64 v[164:165], v[164:165], v[181:182], v[166:167]
	v_div_scale_f64 v[166:167], null, v[164:165], v[164:165], 1.0
	s_delay_alu instid0(VALU_DEP_1) | instskip(SKIP_2) | instid1(VALU_DEP_1)
	v_rcp_f64_e32 v[183:184], v[166:167]
	s_waitcnt_depctr 0xfff
	v_fma_f64 v[185:186], -v[166:167], v[183:184], 1.0
	v_fma_f64 v[183:184], v[183:184], v[185:186], v[183:184]
	s_delay_alu instid0(VALU_DEP_1) | instskip(NEXT) | instid1(VALU_DEP_1)
	v_fma_f64 v[185:186], -v[166:167], v[183:184], 1.0
	v_fma_f64 v[183:184], v[183:184], v[185:186], v[183:184]
	v_div_scale_f64 v[185:186], vcc_lo, 1.0, v[164:165], 1.0
	s_delay_alu instid0(VALU_DEP_1) | instskip(NEXT) | instid1(VALU_DEP_1)
	v_mul_f64 v[187:188], v[185:186], v[183:184]
	v_fma_f64 v[166:167], -v[166:167], v[187:188], v[185:186]
	s_delay_alu instid0(VALU_DEP_1) | instskip(NEXT) | instid1(VALU_DEP_1)
	v_div_fmas_f64 v[166:167], v[166:167], v[183:184], v[187:188]
	v_div_fixup_f64 v[166:167], v[166:167], v[164:165], 1.0
	s_delay_alu instid0(VALU_DEP_1)
	v_mul_f64 v[164:165], v[181:182], v[166:167]
	v_xor_b32_e32 v167, 0x80000000, v167
.LBB80_700:
	s_and_not1_saveexec_b32 s2, s2
	s_cbranch_execz .LBB80_702
; %bb.701:
	s_delay_alu instid0(VALU_DEP_1) | instskip(SKIP_1) | instid1(VALU_DEP_2)
	v_div_scale_f64 v[181:182], null, v[164:165], v[164:165], v[166:167]
	v_div_scale_f64 v[187:188], vcc_lo, v[166:167], v[164:165], v[166:167]
	v_rcp_f64_e32 v[183:184], v[181:182]
	s_waitcnt_depctr 0xfff
	v_fma_f64 v[185:186], -v[181:182], v[183:184], 1.0
	s_delay_alu instid0(VALU_DEP_1) | instskip(NEXT) | instid1(VALU_DEP_1)
	v_fma_f64 v[183:184], v[183:184], v[185:186], v[183:184]
	v_fma_f64 v[185:186], -v[181:182], v[183:184], 1.0
	s_delay_alu instid0(VALU_DEP_1) | instskip(NEXT) | instid1(VALU_DEP_1)
	v_fma_f64 v[183:184], v[183:184], v[185:186], v[183:184]
	v_mul_f64 v[185:186], v[187:188], v[183:184]
	s_delay_alu instid0(VALU_DEP_1) | instskip(NEXT) | instid1(VALU_DEP_1)
	v_fma_f64 v[181:182], -v[181:182], v[185:186], v[187:188]
	v_div_fmas_f64 v[181:182], v[181:182], v[183:184], v[185:186]
	s_delay_alu instid0(VALU_DEP_1) | instskip(NEXT) | instid1(VALU_DEP_1)
	v_div_fixup_f64 v[181:182], v[181:182], v[164:165], v[166:167]
	v_fma_f64 v[164:165], v[166:167], v[181:182], v[164:165]
	s_delay_alu instid0(VALU_DEP_1) | instskip(NEXT) | instid1(VALU_DEP_1)
	v_div_scale_f64 v[166:167], null, v[164:165], v[164:165], 1.0
	v_rcp_f64_e32 v[183:184], v[166:167]
	s_waitcnt_depctr 0xfff
	v_fma_f64 v[185:186], -v[166:167], v[183:184], 1.0
	s_delay_alu instid0(VALU_DEP_1) | instskip(NEXT) | instid1(VALU_DEP_1)
	v_fma_f64 v[183:184], v[183:184], v[185:186], v[183:184]
	v_fma_f64 v[185:186], -v[166:167], v[183:184], 1.0
	s_delay_alu instid0(VALU_DEP_1) | instskip(SKIP_1) | instid1(VALU_DEP_1)
	v_fma_f64 v[183:184], v[183:184], v[185:186], v[183:184]
	v_div_scale_f64 v[185:186], vcc_lo, 1.0, v[164:165], 1.0
	v_mul_f64 v[187:188], v[185:186], v[183:184]
	s_delay_alu instid0(VALU_DEP_1) | instskip(NEXT) | instid1(VALU_DEP_1)
	v_fma_f64 v[166:167], -v[166:167], v[187:188], v[185:186]
	v_div_fmas_f64 v[166:167], v[166:167], v[183:184], v[187:188]
	s_delay_alu instid0(VALU_DEP_1) | instskip(NEXT) | instid1(VALU_DEP_1)
	v_div_fixup_f64 v[164:165], v[166:167], v[164:165], 1.0
	v_mul_f64 v[166:167], v[181:182], -v[164:165]
.LBB80_702:
	s_or_b32 exec_lo, exec_lo, s2
.LBB80_703:
	s_delay_alu instid0(SALU_CYCLE_1) | instskip(NEXT) | instid1(SALU_CYCLE_1)
	s_or_b32 exec_lo, exec_lo, s3
	s_mov_b32 s2, exec_lo
	v_cmpx_ne_u32_e64 v180, v172
	s_xor_b32 s2, exec_lo, s2
	s_cbranch_execz .LBB80_709
; %bb.704:
	s_mov_b32 s3, exec_lo
	v_cmpx_eq_u32_e32 33, v180
	s_cbranch_execz .LBB80_708
; %bb.705:
	v_cmp_ne_u32_e32 vcc_lo, 33, v172
	s_xor_b32 s6, s4, -1
	s_delay_alu instid0(SALU_CYCLE_1) | instskip(NEXT) | instid1(SALU_CYCLE_1)
	s_and_b32 s7, s6, vcc_lo
	s_and_saveexec_b32 s6, s7
	s_cbranch_execz .LBB80_707
; %bb.706:
	v_ashrrev_i32_e32 v173, 31, v172
	s_delay_alu instid0(VALU_DEP_1) | instskip(NEXT) | instid1(VALU_DEP_1)
	v_lshlrev_b64 v[179:180], 2, v[172:173]
	v_add_co_u32 v179, vcc_lo, v170, v179
	s_delay_alu instid0(VALU_DEP_2)
	v_add_co_ci_u32_e32 v180, vcc_lo, v171, v180, vcc_lo
	s_clause 0x1
	flat_load_b32 v173, v[179:180]
	flat_load_b32 v181, v[170:171] offset:132
	s_waitcnt vmcnt(1) lgkmcnt(1)
	flat_store_b32 v[170:171], v173 offset:132
	s_waitcnt vmcnt(0) lgkmcnt(1)
	flat_store_b32 v[179:180], v181
.LBB80_707:
	s_or_b32 exec_lo, exec_lo, s6
	v_mov_b32_e32 v180, v172
	v_mov_b32_e32 v179, v172
.LBB80_708:
	s_or_b32 exec_lo, exec_lo, s3
.LBB80_709:
	s_and_not1_saveexec_b32 s2, s2
	s_cbranch_execz .LBB80_711
; %bb.710:
	v_mov_b32_e32 v180, 33
	ds_store_2addr_b64 v174, v[24:25], v[26:27] offset0:68 offset1:69
	ds_store_2addr_b64 v174, v[20:21], v[22:23] offset0:70 offset1:71
	;; [unrolled: 1-line block ×7, first 2 shown]
.LBB80_711:
	s_or_b32 exec_lo, exec_lo, s2
	s_delay_alu instid0(SALU_CYCLE_1)
	s_mov_b32 s2, exec_lo
	s_waitcnt lgkmcnt(0)
	s_waitcnt_vscnt null, 0x0
	s_barrier
	buffer_gl0_inv
	v_cmpx_lt_i32_e32 33, v180
	s_cbranch_execz .LBB80_713
; %bb.712:
	v_mul_f64 v[172:173], v[164:165], v[30:31]
	v_mul_f64 v[30:31], v[166:167], v[30:31]
	ds_load_2addr_b64 v[181:184], v174 offset0:68 offset1:69
	ds_load_2addr_b64 v[185:188], v174 offset0:70 offset1:71
	;; [unrolled: 1-line block ×7, first 2 shown]
	v_fma_f64 v[166:167], v[166:167], v[28:29], v[172:173]
	v_fma_f64 v[28:29], v[164:165], v[28:29], -v[30:31]
	s_waitcnt lgkmcnt(6)
	s_delay_alu instid0(VALU_DEP_2)
	v_mul_f64 v[30:31], v[183:184], v[166:167]
	v_mul_f64 v[164:165], v[181:182], v[166:167]
	s_waitcnt lgkmcnt(5)
	v_mul_f64 v[172:173], v[187:188], v[166:167]
	v_mul_f64 v[209:210], v[185:186], v[166:167]
	s_waitcnt lgkmcnt(4)
	;; [unrolled: 3-line block ×6, first 2 shown]
	v_mul_f64 v[227:228], v[207:208], v[166:167]
	v_mul_f64 v[229:230], v[205:206], v[166:167]
	v_fma_f64 v[30:31], v[181:182], v[28:29], -v[30:31]
	v_fma_f64 v[164:165], v[183:184], v[28:29], v[164:165]
	v_fma_f64 v[172:173], v[185:186], v[28:29], -v[172:173]
	v_fma_f64 v[181:182], v[187:188], v[28:29], v[209:210]
	;; [unrolled: 2-line block ×7, first 2 shown]
	v_add_f64 v[24:25], v[24:25], -v[30:31]
	v_add_f64 v[26:27], v[26:27], -v[164:165]
	;; [unrolled: 1-line block ×14, first 2 shown]
	v_dual_mov_b32 v30, v166 :: v_dual_mov_b32 v31, v167
.LBB80_713:
	s_or_b32 exec_lo, exec_lo, s2
	v_lshl_add_u32 v164, v180, 4, v174
	s_barrier
	buffer_gl0_inv
	v_mov_b32_e32 v172, 34
	ds_store_2addr_b64 v164, v[24:25], v[26:27] offset1:1
	s_waitcnt lgkmcnt(0)
	s_barrier
	buffer_gl0_inv
	ds_load_2addr_b64 v[164:167], v174 offset0:68 offset1:69
	s_cmp_lt_i32 s5, 36
	s_cbranch_scc1 .LBB80_716
; %bb.714:
	v_add3_u32 v173, v178, 0, 0x230
	v_mov_b32_e32 v172, 34
	s_mov_b32 s6, 35
	s_set_inst_prefetch_distance 0x1
	.p2align	6
.LBB80_715:                             ; =>This Inner Loop Header: Depth=1
	ds_load_2addr_b64 v[181:184], v173 offset1:1
	s_waitcnt lgkmcnt(1)
	v_cmp_gt_f64_e32 vcc_lo, 0, v[164:165]
	v_xor_b32_e32 v185, 0x80000000, v165
	v_cmp_gt_f64_e64 s2, 0, v[166:167]
	v_xor_b32_e32 v187, 0x80000000, v167
	v_add_nc_u32_e32 v173, 16, v173
	s_waitcnt lgkmcnt(0)
	v_cmp_gt_f64_e64 s3, 0, v[181:182]
	v_mov_b32_e32 v189, v181
	v_dual_mov_b32 v191, v183 :: v_dual_cndmask_b32 v186, v165, v185
	v_xor_b32_e32 v185, 0x80000000, v182
	v_cndmask_b32_e64 v188, v167, v187, s2
	v_xor_b32_e32 v187, 0x80000000, v184
	s_delay_alu instid0(VALU_DEP_3) | instskip(SKIP_2) | instid1(VALU_DEP_2)
	v_cndmask_b32_e64 v190, v182, v185, s3
	v_cmp_gt_f64_e64 s3, 0, v[183:184]
	v_cndmask_b32_e32 v185, v164, v164, vcc_lo
	v_cndmask_b32_e64 v192, v184, v187, s3
	v_cndmask_b32_e64 v187, v166, v166, s2
	s_delay_alu instid0(VALU_DEP_2) | instskip(NEXT) | instid1(VALU_DEP_2)
	v_add_f64 v[189:190], v[189:190], v[191:192]
	v_add_f64 v[185:186], v[185:186], v[187:188]
	s_delay_alu instid0(VALU_DEP_1) | instskip(SKIP_4) | instid1(SALU_CYCLE_1)
	v_cmp_lt_f64_e32 vcc_lo, v[185:186], v[189:190]
	v_dual_cndmask_b32 v166, v166, v183 :: v_dual_cndmask_b32 v165, v165, v182
	v_dual_cndmask_b32 v164, v164, v181 :: v_dual_cndmask_b32 v167, v167, v184
	v_cndmask_b32_e64 v172, v172, s6, vcc_lo
	s_add_i32 s6, s6, 1
	s_cmp_lg_u32 s5, s6
	s_cbranch_scc1 .LBB80_715
.LBB80_716:
	s_set_inst_prefetch_distance 0x2
	s_waitcnt lgkmcnt(0)
	v_cmp_eq_f64_e32 vcc_lo, 0, v[164:165]
	v_cmp_eq_f64_e64 s2, 0, v[166:167]
	s_delay_alu instid0(VALU_DEP_1) | instskip(NEXT) | instid1(SALU_CYCLE_1)
	s_and_b32 s2, vcc_lo, s2
	s_and_saveexec_b32 s3, s2
	s_delay_alu instid0(SALU_CYCLE_1)
	s_xor_b32 s2, exec_lo, s3
; %bb.717:
	v_cmp_ne_u32_e32 vcc_lo, 0, v177
	v_cndmask_b32_e32 v177, 35, v177, vcc_lo
; %bb.718:
	s_and_not1_saveexec_b32 s3, s2
	s_cbranch_execz .LBB80_724
; %bb.719:
	v_cmp_gt_f64_e32 vcc_lo, 0, v[164:165]
	v_cmp_gt_f64_e64 s2, 0, v[166:167]
	v_xor_b32_e32 v173, 0x80000000, v165
	v_xor_b32_e32 v181, 0x80000000, v167
	s_delay_alu instid0(VALU_DEP_2) | instskip(NEXT) | instid1(VALU_DEP_2)
	v_cndmask_b32_e32 v182, v165, v173, vcc_lo
	v_cndmask_b32_e64 v184, v167, v181, s2
	v_cndmask_b32_e32 v181, v164, v164, vcc_lo
	v_cndmask_b32_e64 v183, v166, v166, s2
	s_mov_b32 s2, exec_lo
	s_delay_alu instid0(VALU_DEP_1)
	v_cmpx_ngt_f64_e32 v[181:182], v[183:184]
	s_xor_b32 s2, exec_lo, s2
	s_cbranch_execz .LBB80_721
; %bb.720:
	v_div_scale_f64 v[181:182], null, v[166:167], v[166:167], v[164:165]
	v_div_scale_f64 v[187:188], vcc_lo, v[164:165], v[166:167], v[164:165]
	s_delay_alu instid0(VALU_DEP_2) | instskip(SKIP_2) | instid1(VALU_DEP_1)
	v_rcp_f64_e32 v[183:184], v[181:182]
	s_waitcnt_depctr 0xfff
	v_fma_f64 v[185:186], -v[181:182], v[183:184], 1.0
	v_fma_f64 v[183:184], v[183:184], v[185:186], v[183:184]
	s_delay_alu instid0(VALU_DEP_1) | instskip(NEXT) | instid1(VALU_DEP_1)
	v_fma_f64 v[185:186], -v[181:182], v[183:184], 1.0
	v_fma_f64 v[183:184], v[183:184], v[185:186], v[183:184]
	s_delay_alu instid0(VALU_DEP_1) | instskip(NEXT) | instid1(VALU_DEP_1)
	v_mul_f64 v[185:186], v[187:188], v[183:184]
	v_fma_f64 v[181:182], -v[181:182], v[185:186], v[187:188]
	s_delay_alu instid0(VALU_DEP_1) | instskip(NEXT) | instid1(VALU_DEP_1)
	v_div_fmas_f64 v[181:182], v[181:182], v[183:184], v[185:186]
	v_div_fixup_f64 v[181:182], v[181:182], v[166:167], v[164:165]
	s_delay_alu instid0(VALU_DEP_1) | instskip(NEXT) | instid1(VALU_DEP_1)
	v_fma_f64 v[164:165], v[164:165], v[181:182], v[166:167]
	v_div_scale_f64 v[166:167], null, v[164:165], v[164:165], 1.0
	s_delay_alu instid0(VALU_DEP_1) | instskip(SKIP_2) | instid1(VALU_DEP_1)
	v_rcp_f64_e32 v[183:184], v[166:167]
	s_waitcnt_depctr 0xfff
	v_fma_f64 v[185:186], -v[166:167], v[183:184], 1.0
	v_fma_f64 v[183:184], v[183:184], v[185:186], v[183:184]
	s_delay_alu instid0(VALU_DEP_1) | instskip(NEXT) | instid1(VALU_DEP_1)
	v_fma_f64 v[185:186], -v[166:167], v[183:184], 1.0
	v_fma_f64 v[183:184], v[183:184], v[185:186], v[183:184]
	v_div_scale_f64 v[185:186], vcc_lo, 1.0, v[164:165], 1.0
	s_delay_alu instid0(VALU_DEP_1) | instskip(NEXT) | instid1(VALU_DEP_1)
	v_mul_f64 v[187:188], v[185:186], v[183:184]
	v_fma_f64 v[166:167], -v[166:167], v[187:188], v[185:186]
	s_delay_alu instid0(VALU_DEP_1) | instskip(NEXT) | instid1(VALU_DEP_1)
	v_div_fmas_f64 v[166:167], v[166:167], v[183:184], v[187:188]
	v_div_fixup_f64 v[166:167], v[166:167], v[164:165], 1.0
	s_delay_alu instid0(VALU_DEP_1)
	v_mul_f64 v[164:165], v[181:182], v[166:167]
	v_xor_b32_e32 v167, 0x80000000, v167
.LBB80_721:
	s_and_not1_saveexec_b32 s2, s2
	s_cbranch_execz .LBB80_723
; %bb.722:
	s_delay_alu instid0(VALU_DEP_1) | instskip(SKIP_1) | instid1(VALU_DEP_2)
	v_div_scale_f64 v[181:182], null, v[164:165], v[164:165], v[166:167]
	v_div_scale_f64 v[187:188], vcc_lo, v[166:167], v[164:165], v[166:167]
	v_rcp_f64_e32 v[183:184], v[181:182]
	s_waitcnt_depctr 0xfff
	v_fma_f64 v[185:186], -v[181:182], v[183:184], 1.0
	s_delay_alu instid0(VALU_DEP_1) | instskip(NEXT) | instid1(VALU_DEP_1)
	v_fma_f64 v[183:184], v[183:184], v[185:186], v[183:184]
	v_fma_f64 v[185:186], -v[181:182], v[183:184], 1.0
	s_delay_alu instid0(VALU_DEP_1) | instskip(NEXT) | instid1(VALU_DEP_1)
	v_fma_f64 v[183:184], v[183:184], v[185:186], v[183:184]
	v_mul_f64 v[185:186], v[187:188], v[183:184]
	s_delay_alu instid0(VALU_DEP_1) | instskip(NEXT) | instid1(VALU_DEP_1)
	v_fma_f64 v[181:182], -v[181:182], v[185:186], v[187:188]
	v_div_fmas_f64 v[181:182], v[181:182], v[183:184], v[185:186]
	s_delay_alu instid0(VALU_DEP_1) | instskip(NEXT) | instid1(VALU_DEP_1)
	v_div_fixup_f64 v[181:182], v[181:182], v[164:165], v[166:167]
	v_fma_f64 v[164:165], v[166:167], v[181:182], v[164:165]
	s_delay_alu instid0(VALU_DEP_1) | instskip(NEXT) | instid1(VALU_DEP_1)
	v_div_scale_f64 v[166:167], null, v[164:165], v[164:165], 1.0
	v_rcp_f64_e32 v[183:184], v[166:167]
	s_waitcnt_depctr 0xfff
	v_fma_f64 v[185:186], -v[166:167], v[183:184], 1.0
	s_delay_alu instid0(VALU_DEP_1) | instskip(NEXT) | instid1(VALU_DEP_1)
	v_fma_f64 v[183:184], v[183:184], v[185:186], v[183:184]
	v_fma_f64 v[185:186], -v[166:167], v[183:184], 1.0
	s_delay_alu instid0(VALU_DEP_1) | instskip(SKIP_1) | instid1(VALU_DEP_1)
	v_fma_f64 v[183:184], v[183:184], v[185:186], v[183:184]
	v_div_scale_f64 v[185:186], vcc_lo, 1.0, v[164:165], 1.0
	v_mul_f64 v[187:188], v[185:186], v[183:184]
	s_delay_alu instid0(VALU_DEP_1) | instskip(NEXT) | instid1(VALU_DEP_1)
	v_fma_f64 v[166:167], -v[166:167], v[187:188], v[185:186]
	v_div_fmas_f64 v[166:167], v[166:167], v[183:184], v[187:188]
	s_delay_alu instid0(VALU_DEP_1) | instskip(NEXT) | instid1(VALU_DEP_1)
	v_div_fixup_f64 v[164:165], v[166:167], v[164:165], 1.0
	v_mul_f64 v[166:167], v[181:182], -v[164:165]
.LBB80_723:
	s_or_b32 exec_lo, exec_lo, s2
.LBB80_724:
	s_delay_alu instid0(SALU_CYCLE_1) | instskip(NEXT) | instid1(SALU_CYCLE_1)
	s_or_b32 exec_lo, exec_lo, s3
	s_mov_b32 s2, exec_lo
	v_cmpx_ne_u32_e64 v180, v172
	s_xor_b32 s2, exec_lo, s2
	s_cbranch_execz .LBB80_730
; %bb.725:
	s_mov_b32 s3, exec_lo
	v_cmpx_eq_u32_e32 34, v180
	s_cbranch_execz .LBB80_729
; %bb.726:
	v_cmp_ne_u32_e32 vcc_lo, 34, v172
	s_xor_b32 s6, s4, -1
	s_delay_alu instid0(SALU_CYCLE_1) | instskip(NEXT) | instid1(SALU_CYCLE_1)
	s_and_b32 s7, s6, vcc_lo
	s_and_saveexec_b32 s6, s7
	s_cbranch_execz .LBB80_728
; %bb.727:
	v_ashrrev_i32_e32 v173, 31, v172
	s_delay_alu instid0(VALU_DEP_1) | instskip(NEXT) | instid1(VALU_DEP_1)
	v_lshlrev_b64 v[179:180], 2, v[172:173]
	v_add_co_u32 v179, vcc_lo, v170, v179
	s_delay_alu instid0(VALU_DEP_2)
	v_add_co_ci_u32_e32 v180, vcc_lo, v171, v180, vcc_lo
	s_clause 0x1
	flat_load_b32 v173, v[179:180]
	flat_load_b32 v181, v[170:171] offset:136
	s_waitcnt vmcnt(1) lgkmcnt(1)
	flat_store_b32 v[170:171], v173 offset:136
	s_waitcnt vmcnt(0) lgkmcnt(1)
	flat_store_b32 v[179:180], v181
.LBB80_728:
	s_or_b32 exec_lo, exec_lo, s6
	v_mov_b32_e32 v180, v172
	v_mov_b32_e32 v179, v172
.LBB80_729:
	s_or_b32 exec_lo, exec_lo, s3
.LBB80_730:
	s_and_not1_saveexec_b32 s2, s2
	s_cbranch_execz .LBB80_732
; %bb.731:
	v_mov_b32_e32 v180, 34
	ds_store_2addr_b64 v174, v[20:21], v[22:23] offset0:70 offset1:71
	ds_store_2addr_b64 v174, v[16:17], v[18:19] offset0:72 offset1:73
	;; [unrolled: 1-line block ×6, first 2 shown]
.LBB80_732:
	s_or_b32 exec_lo, exec_lo, s2
	s_delay_alu instid0(SALU_CYCLE_1)
	s_mov_b32 s2, exec_lo
	s_waitcnt lgkmcnt(0)
	s_waitcnt_vscnt null, 0x0
	s_barrier
	buffer_gl0_inv
	v_cmpx_lt_i32_e32 34, v180
	s_cbranch_execz .LBB80_734
; %bb.733:
	v_mul_f64 v[172:173], v[164:165], v[26:27]
	v_mul_f64 v[26:27], v[166:167], v[26:27]
	ds_load_2addr_b64 v[181:184], v174 offset0:70 offset1:71
	ds_load_2addr_b64 v[185:188], v174 offset0:72 offset1:73
	;; [unrolled: 1-line block ×6, first 2 shown]
	v_fma_f64 v[166:167], v[166:167], v[24:25], v[172:173]
	v_fma_f64 v[24:25], v[164:165], v[24:25], -v[26:27]
	s_waitcnt lgkmcnt(5)
	s_delay_alu instid0(VALU_DEP_2)
	v_mul_f64 v[26:27], v[183:184], v[166:167]
	v_mul_f64 v[164:165], v[181:182], v[166:167]
	s_waitcnt lgkmcnt(4)
	v_mul_f64 v[172:173], v[187:188], v[166:167]
	v_mul_f64 v[205:206], v[185:186], v[166:167]
	s_waitcnt lgkmcnt(3)
	;; [unrolled: 3-line block ×5, first 2 shown]
	v_mul_f64 v[219:220], v[203:204], v[166:167]
	v_mul_f64 v[221:222], v[201:202], v[166:167]
	v_fma_f64 v[26:27], v[181:182], v[24:25], -v[26:27]
	v_fma_f64 v[164:165], v[183:184], v[24:25], v[164:165]
	v_fma_f64 v[172:173], v[185:186], v[24:25], -v[172:173]
	v_fma_f64 v[181:182], v[187:188], v[24:25], v[205:206]
	;; [unrolled: 2-line block ×6, first 2 shown]
	v_add_f64 v[20:21], v[20:21], -v[26:27]
	v_add_f64 v[22:23], v[22:23], -v[164:165]
	;; [unrolled: 1-line block ×12, first 2 shown]
	v_dual_mov_b32 v26, v166 :: v_dual_mov_b32 v27, v167
.LBB80_734:
	s_or_b32 exec_lo, exec_lo, s2
	v_lshl_add_u32 v164, v180, 4, v174
	s_barrier
	buffer_gl0_inv
	v_mov_b32_e32 v172, 35
	ds_store_2addr_b64 v164, v[20:21], v[22:23] offset1:1
	s_waitcnt lgkmcnt(0)
	s_barrier
	buffer_gl0_inv
	ds_load_2addr_b64 v[164:167], v174 offset0:70 offset1:71
	s_cmp_lt_i32 s5, 37
	s_cbranch_scc1 .LBB80_737
; %bb.735:
	v_add3_u32 v173, v178, 0, 0x240
	v_mov_b32_e32 v172, 35
	s_mov_b32 s6, 36
	s_set_inst_prefetch_distance 0x1
	.p2align	6
.LBB80_736:                             ; =>This Inner Loop Header: Depth=1
	ds_load_2addr_b64 v[181:184], v173 offset1:1
	s_waitcnt lgkmcnt(1)
	v_cmp_gt_f64_e32 vcc_lo, 0, v[164:165]
	v_xor_b32_e32 v185, 0x80000000, v165
	v_cmp_gt_f64_e64 s2, 0, v[166:167]
	v_xor_b32_e32 v187, 0x80000000, v167
	v_add_nc_u32_e32 v173, 16, v173
	s_waitcnt lgkmcnt(0)
	v_cmp_gt_f64_e64 s3, 0, v[181:182]
	v_mov_b32_e32 v189, v181
	v_dual_mov_b32 v191, v183 :: v_dual_cndmask_b32 v186, v165, v185
	v_xor_b32_e32 v185, 0x80000000, v182
	v_cndmask_b32_e64 v188, v167, v187, s2
	v_xor_b32_e32 v187, 0x80000000, v184
	s_delay_alu instid0(VALU_DEP_3) | instskip(SKIP_2) | instid1(VALU_DEP_2)
	v_cndmask_b32_e64 v190, v182, v185, s3
	v_cmp_gt_f64_e64 s3, 0, v[183:184]
	v_cndmask_b32_e32 v185, v164, v164, vcc_lo
	v_cndmask_b32_e64 v192, v184, v187, s3
	v_cndmask_b32_e64 v187, v166, v166, s2
	s_delay_alu instid0(VALU_DEP_2) | instskip(NEXT) | instid1(VALU_DEP_2)
	v_add_f64 v[189:190], v[189:190], v[191:192]
	v_add_f64 v[185:186], v[185:186], v[187:188]
	s_delay_alu instid0(VALU_DEP_1) | instskip(SKIP_4) | instid1(SALU_CYCLE_1)
	v_cmp_lt_f64_e32 vcc_lo, v[185:186], v[189:190]
	v_dual_cndmask_b32 v166, v166, v183 :: v_dual_cndmask_b32 v165, v165, v182
	v_dual_cndmask_b32 v164, v164, v181 :: v_dual_cndmask_b32 v167, v167, v184
	v_cndmask_b32_e64 v172, v172, s6, vcc_lo
	s_add_i32 s6, s6, 1
	s_cmp_lg_u32 s5, s6
	s_cbranch_scc1 .LBB80_736
.LBB80_737:
	s_set_inst_prefetch_distance 0x2
	s_waitcnt lgkmcnt(0)
	v_cmp_eq_f64_e32 vcc_lo, 0, v[164:165]
	v_cmp_eq_f64_e64 s2, 0, v[166:167]
	s_delay_alu instid0(VALU_DEP_1) | instskip(NEXT) | instid1(SALU_CYCLE_1)
	s_and_b32 s2, vcc_lo, s2
	s_and_saveexec_b32 s3, s2
	s_delay_alu instid0(SALU_CYCLE_1)
	s_xor_b32 s2, exec_lo, s3
; %bb.738:
	v_cmp_ne_u32_e32 vcc_lo, 0, v177
	v_cndmask_b32_e32 v177, 36, v177, vcc_lo
; %bb.739:
	s_and_not1_saveexec_b32 s3, s2
	s_cbranch_execz .LBB80_745
; %bb.740:
	v_cmp_gt_f64_e32 vcc_lo, 0, v[164:165]
	v_cmp_gt_f64_e64 s2, 0, v[166:167]
	v_xor_b32_e32 v173, 0x80000000, v165
	v_xor_b32_e32 v181, 0x80000000, v167
	s_delay_alu instid0(VALU_DEP_2) | instskip(NEXT) | instid1(VALU_DEP_2)
	v_cndmask_b32_e32 v182, v165, v173, vcc_lo
	v_cndmask_b32_e64 v184, v167, v181, s2
	v_cndmask_b32_e32 v181, v164, v164, vcc_lo
	v_cndmask_b32_e64 v183, v166, v166, s2
	s_mov_b32 s2, exec_lo
	s_delay_alu instid0(VALU_DEP_1)
	v_cmpx_ngt_f64_e32 v[181:182], v[183:184]
	s_xor_b32 s2, exec_lo, s2
	s_cbranch_execz .LBB80_742
; %bb.741:
	v_div_scale_f64 v[181:182], null, v[166:167], v[166:167], v[164:165]
	v_div_scale_f64 v[187:188], vcc_lo, v[164:165], v[166:167], v[164:165]
	s_delay_alu instid0(VALU_DEP_2) | instskip(SKIP_2) | instid1(VALU_DEP_1)
	v_rcp_f64_e32 v[183:184], v[181:182]
	s_waitcnt_depctr 0xfff
	v_fma_f64 v[185:186], -v[181:182], v[183:184], 1.0
	v_fma_f64 v[183:184], v[183:184], v[185:186], v[183:184]
	s_delay_alu instid0(VALU_DEP_1) | instskip(NEXT) | instid1(VALU_DEP_1)
	v_fma_f64 v[185:186], -v[181:182], v[183:184], 1.0
	v_fma_f64 v[183:184], v[183:184], v[185:186], v[183:184]
	s_delay_alu instid0(VALU_DEP_1) | instskip(NEXT) | instid1(VALU_DEP_1)
	v_mul_f64 v[185:186], v[187:188], v[183:184]
	v_fma_f64 v[181:182], -v[181:182], v[185:186], v[187:188]
	s_delay_alu instid0(VALU_DEP_1) | instskip(NEXT) | instid1(VALU_DEP_1)
	v_div_fmas_f64 v[181:182], v[181:182], v[183:184], v[185:186]
	v_div_fixup_f64 v[181:182], v[181:182], v[166:167], v[164:165]
	s_delay_alu instid0(VALU_DEP_1) | instskip(NEXT) | instid1(VALU_DEP_1)
	v_fma_f64 v[164:165], v[164:165], v[181:182], v[166:167]
	v_div_scale_f64 v[166:167], null, v[164:165], v[164:165], 1.0
	s_delay_alu instid0(VALU_DEP_1) | instskip(SKIP_2) | instid1(VALU_DEP_1)
	v_rcp_f64_e32 v[183:184], v[166:167]
	s_waitcnt_depctr 0xfff
	v_fma_f64 v[185:186], -v[166:167], v[183:184], 1.0
	v_fma_f64 v[183:184], v[183:184], v[185:186], v[183:184]
	s_delay_alu instid0(VALU_DEP_1) | instskip(NEXT) | instid1(VALU_DEP_1)
	v_fma_f64 v[185:186], -v[166:167], v[183:184], 1.0
	v_fma_f64 v[183:184], v[183:184], v[185:186], v[183:184]
	v_div_scale_f64 v[185:186], vcc_lo, 1.0, v[164:165], 1.0
	s_delay_alu instid0(VALU_DEP_1) | instskip(NEXT) | instid1(VALU_DEP_1)
	v_mul_f64 v[187:188], v[185:186], v[183:184]
	v_fma_f64 v[166:167], -v[166:167], v[187:188], v[185:186]
	s_delay_alu instid0(VALU_DEP_1) | instskip(NEXT) | instid1(VALU_DEP_1)
	v_div_fmas_f64 v[166:167], v[166:167], v[183:184], v[187:188]
	v_div_fixup_f64 v[166:167], v[166:167], v[164:165], 1.0
	s_delay_alu instid0(VALU_DEP_1)
	v_mul_f64 v[164:165], v[181:182], v[166:167]
	v_xor_b32_e32 v167, 0x80000000, v167
.LBB80_742:
	s_and_not1_saveexec_b32 s2, s2
	s_cbranch_execz .LBB80_744
; %bb.743:
	s_delay_alu instid0(VALU_DEP_1) | instskip(SKIP_1) | instid1(VALU_DEP_2)
	v_div_scale_f64 v[181:182], null, v[164:165], v[164:165], v[166:167]
	v_div_scale_f64 v[187:188], vcc_lo, v[166:167], v[164:165], v[166:167]
	v_rcp_f64_e32 v[183:184], v[181:182]
	s_waitcnt_depctr 0xfff
	v_fma_f64 v[185:186], -v[181:182], v[183:184], 1.0
	s_delay_alu instid0(VALU_DEP_1) | instskip(NEXT) | instid1(VALU_DEP_1)
	v_fma_f64 v[183:184], v[183:184], v[185:186], v[183:184]
	v_fma_f64 v[185:186], -v[181:182], v[183:184], 1.0
	s_delay_alu instid0(VALU_DEP_1) | instskip(NEXT) | instid1(VALU_DEP_1)
	v_fma_f64 v[183:184], v[183:184], v[185:186], v[183:184]
	v_mul_f64 v[185:186], v[187:188], v[183:184]
	s_delay_alu instid0(VALU_DEP_1) | instskip(NEXT) | instid1(VALU_DEP_1)
	v_fma_f64 v[181:182], -v[181:182], v[185:186], v[187:188]
	v_div_fmas_f64 v[181:182], v[181:182], v[183:184], v[185:186]
	s_delay_alu instid0(VALU_DEP_1) | instskip(NEXT) | instid1(VALU_DEP_1)
	v_div_fixup_f64 v[181:182], v[181:182], v[164:165], v[166:167]
	v_fma_f64 v[164:165], v[166:167], v[181:182], v[164:165]
	s_delay_alu instid0(VALU_DEP_1) | instskip(NEXT) | instid1(VALU_DEP_1)
	v_div_scale_f64 v[166:167], null, v[164:165], v[164:165], 1.0
	v_rcp_f64_e32 v[183:184], v[166:167]
	s_waitcnt_depctr 0xfff
	v_fma_f64 v[185:186], -v[166:167], v[183:184], 1.0
	s_delay_alu instid0(VALU_DEP_1) | instskip(NEXT) | instid1(VALU_DEP_1)
	v_fma_f64 v[183:184], v[183:184], v[185:186], v[183:184]
	v_fma_f64 v[185:186], -v[166:167], v[183:184], 1.0
	s_delay_alu instid0(VALU_DEP_1) | instskip(SKIP_1) | instid1(VALU_DEP_1)
	v_fma_f64 v[183:184], v[183:184], v[185:186], v[183:184]
	v_div_scale_f64 v[185:186], vcc_lo, 1.0, v[164:165], 1.0
	v_mul_f64 v[187:188], v[185:186], v[183:184]
	s_delay_alu instid0(VALU_DEP_1) | instskip(NEXT) | instid1(VALU_DEP_1)
	v_fma_f64 v[166:167], -v[166:167], v[187:188], v[185:186]
	v_div_fmas_f64 v[166:167], v[166:167], v[183:184], v[187:188]
	s_delay_alu instid0(VALU_DEP_1) | instskip(NEXT) | instid1(VALU_DEP_1)
	v_div_fixup_f64 v[164:165], v[166:167], v[164:165], 1.0
	v_mul_f64 v[166:167], v[181:182], -v[164:165]
.LBB80_744:
	s_or_b32 exec_lo, exec_lo, s2
.LBB80_745:
	s_delay_alu instid0(SALU_CYCLE_1) | instskip(NEXT) | instid1(SALU_CYCLE_1)
	s_or_b32 exec_lo, exec_lo, s3
	s_mov_b32 s2, exec_lo
	v_cmpx_ne_u32_e64 v180, v172
	s_xor_b32 s2, exec_lo, s2
	s_cbranch_execz .LBB80_751
; %bb.746:
	s_mov_b32 s3, exec_lo
	v_cmpx_eq_u32_e32 35, v180
	s_cbranch_execz .LBB80_750
; %bb.747:
	v_cmp_ne_u32_e32 vcc_lo, 35, v172
	s_xor_b32 s6, s4, -1
	s_delay_alu instid0(SALU_CYCLE_1) | instskip(NEXT) | instid1(SALU_CYCLE_1)
	s_and_b32 s7, s6, vcc_lo
	s_and_saveexec_b32 s6, s7
	s_cbranch_execz .LBB80_749
; %bb.748:
	v_ashrrev_i32_e32 v173, 31, v172
	s_delay_alu instid0(VALU_DEP_1) | instskip(NEXT) | instid1(VALU_DEP_1)
	v_lshlrev_b64 v[179:180], 2, v[172:173]
	v_add_co_u32 v179, vcc_lo, v170, v179
	s_delay_alu instid0(VALU_DEP_2)
	v_add_co_ci_u32_e32 v180, vcc_lo, v171, v180, vcc_lo
	s_clause 0x1
	flat_load_b32 v173, v[179:180]
	flat_load_b32 v181, v[170:171] offset:140
	s_waitcnt vmcnt(1) lgkmcnt(1)
	flat_store_b32 v[170:171], v173 offset:140
	s_waitcnt vmcnt(0) lgkmcnt(1)
	flat_store_b32 v[179:180], v181
.LBB80_749:
	s_or_b32 exec_lo, exec_lo, s6
	v_mov_b32_e32 v180, v172
	v_mov_b32_e32 v179, v172
.LBB80_750:
	s_or_b32 exec_lo, exec_lo, s3
.LBB80_751:
	s_and_not1_saveexec_b32 s2, s2
	s_cbranch_execz .LBB80_753
; %bb.752:
	v_mov_b32_e32 v180, 35
	ds_store_2addr_b64 v174, v[16:17], v[18:19] offset0:72 offset1:73
	ds_store_2addr_b64 v174, v[12:13], v[14:15] offset0:74 offset1:75
	;; [unrolled: 1-line block ×5, first 2 shown]
.LBB80_753:
	s_or_b32 exec_lo, exec_lo, s2
	s_delay_alu instid0(SALU_CYCLE_1)
	s_mov_b32 s2, exec_lo
	s_waitcnt lgkmcnt(0)
	s_waitcnt_vscnt null, 0x0
	s_barrier
	buffer_gl0_inv
	v_cmpx_lt_i32_e32 35, v180
	s_cbranch_execz .LBB80_755
; %bb.754:
	v_mul_f64 v[172:173], v[164:165], v[22:23]
	v_mul_f64 v[22:23], v[166:167], v[22:23]
	ds_load_2addr_b64 v[181:184], v174 offset0:72 offset1:73
	ds_load_2addr_b64 v[185:188], v174 offset0:74 offset1:75
	;; [unrolled: 1-line block ×5, first 2 shown]
	v_fma_f64 v[166:167], v[166:167], v[20:21], v[172:173]
	v_fma_f64 v[20:21], v[164:165], v[20:21], -v[22:23]
	s_waitcnt lgkmcnt(4)
	s_delay_alu instid0(VALU_DEP_2)
	v_mul_f64 v[22:23], v[183:184], v[166:167]
	v_mul_f64 v[164:165], v[181:182], v[166:167]
	s_waitcnt lgkmcnt(3)
	v_mul_f64 v[172:173], v[187:188], v[166:167]
	v_mul_f64 v[201:202], v[185:186], v[166:167]
	s_waitcnt lgkmcnt(2)
	;; [unrolled: 3-line block ×4, first 2 shown]
	v_mul_f64 v[211:212], v[199:200], v[166:167]
	v_mul_f64 v[213:214], v[197:198], v[166:167]
	v_fma_f64 v[22:23], v[181:182], v[20:21], -v[22:23]
	v_fma_f64 v[164:165], v[183:184], v[20:21], v[164:165]
	v_fma_f64 v[172:173], v[185:186], v[20:21], -v[172:173]
	v_fma_f64 v[181:182], v[187:188], v[20:21], v[201:202]
	;; [unrolled: 2-line block ×5, first 2 shown]
	v_add_f64 v[16:17], v[16:17], -v[22:23]
	v_add_f64 v[18:19], v[18:19], -v[164:165]
	;; [unrolled: 1-line block ×10, first 2 shown]
	v_dual_mov_b32 v22, v166 :: v_dual_mov_b32 v23, v167
.LBB80_755:
	s_or_b32 exec_lo, exec_lo, s2
	v_lshl_add_u32 v164, v180, 4, v174
	s_barrier
	buffer_gl0_inv
	v_mov_b32_e32 v172, 36
	ds_store_2addr_b64 v164, v[16:17], v[18:19] offset1:1
	s_waitcnt lgkmcnt(0)
	s_barrier
	buffer_gl0_inv
	ds_load_2addr_b64 v[164:167], v174 offset0:72 offset1:73
	s_cmp_lt_i32 s5, 38
	s_cbranch_scc1 .LBB80_758
; %bb.756:
	v_add3_u32 v173, v178, 0, 0x250
	v_mov_b32_e32 v172, 36
	s_mov_b32 s6, 37
	s_set_inst_prefetch_distance 0x1
	.p2align	6
.LBB80_757:                             ; =>This Inner Loop Header: Depth=1
	ds_load_2addr_b64 v[181:184], v173 offset1:1
	s_waitcnt lgkmcnt(1)
	v_cmp_gt_f64_e32 vcc_lo, 0, v[164:165]
	v_xor_b32_e32 v185, 0x80000000, v165
	v_cmp_gt_f64_e64 s2, 0, v[166:167]
	v_xor_b32_e32 v187, 0x80000000, v167
	v_add_nc_u32_e32 v173, 16, v173
	s_waitcnt lgkmcnt(0)
	v_cmp_gt_f64_e64 s3, 0, v[181:182]
	v_mov_b32_e32 v189, v181
	v_dual_mov_b32 v191, v183 :: v_dual_cndmask_b32 v186, v165, v185
	v_xor_b32_e32 v185, 0x80000000, v182
	v_cndmask_b32_e64 v188, v167, v187, s2
	v_xor_b32_e32 v187, 0x80000000, v184
	s_delay_alu instid0(VALU_DEP_3) | instskip(SKIP_2) | instid1(VALU_DEP_2)
	v_cndmask_b32_e64 v190, v182, v185, s3
	v_cmp_gt_f64_e64 s3, 0, v[183:184]
	v_cndmask_b32_e32 v185, v164, v164, vcc_lo
	v_cndmask_b32_e64 v192, v184, v187, s3
	v_cndmask_b32_e64 v187, v166, v166, s2
	s_delay_alu instid0(VALU_DEP_2) | instskip(NEXT) | instid1(VALU_DEP_2)
	v_add_f64 v[189:190], v[189:190], v[191:192]
	v_add_f64 v[185:186], v[185:186], v[187:188]
	s_delay_alu instid0(VALU_DEP_1) | instskip(SKIP_4) | instid1(SALU_CYCLE_1)
	v_cmp_lt_f64_e32 vcc_lo, v[185:186], v[189:190]
	v_dual_cndmask_b32 v166, v166, v183 :: v_dual_cndmask_b32 v165, v165, v182
	v_dual_cndmask_b32 v164, v164, v181 :: v_dual_cndmask_b32 v167, v167, v184
	v_cndmask_b32_e64 v172, v172, s6, vcc_lo
	s_add_i32 s6, s6, 1
	s_cmp_lg_u32 s5, s6
	s_cbranch_scc1 .LBB80_757
.LBB80_758:
	s_set_inst_prefetch_distance 0x2
	s_waitcnt lgkmcnt(0)
	v_cmp_eq_f64_e32 vcc_lo, 0, v[164:165]
	v_cmp_eq_f64_e64 s2, 0, v[166:167]
	s_delay_alu instid0(VALU_DEP_1) | instskip(NEXT) | instid1(SALU_CYCLE_1)
	s_and_b32 s2, vcc_lo, s2
	s_and_saveexec_b32 s3, s2
	s_delay_alu instid0(SALU_CYCLE_1)
	s_xor_b32 s2, exec_lo, s3
; %bb.759:
	v_cmp_ne_u32_e32 vcc_lo, 0, v177
	v_cndmask_b32_e32 v177, 37, v177, vcc_lo
; %bb.760:
	s_and_not1_saveexec_b32 s3, s2
	s_cbranch_execz .LBB80_766
; %bb.761:
	v_cmp_gt_f64_e32 vcc_lo, 0, v[164:165]
	v_cmp_gt_f64_e64 s2, 0, v[166:167]
	v_xor_b32_e32 v173, 0x80000000, v165
	v_xor_b32_e32 v181, 0x80000000, v167
	s_delay_alu instid0(VALU_DEP_2) | instskip(NEXT) | instid1(VALU_DEP_2)
	v_cndmask_b32_e32 v182, v165, v173, vcc_lo
	v_cndmask_b32_e64 v184, v167, v181, s2
	v_cndmask_b32_e32 v181, v164, v164, vcc_lo
	v_cndmask_b32_e64 v183, v166, v166, s2
	s_mov_b32 s2, exec_lo
	s_delay_alu instid0(VALU_DEP_1)
	v_cmpx_ngt_f64_e32 v[181:182], v[183:184]
	s_xor_b32 s2, exec_lo, s2
	s_cbranch_execz .LBB80_763
; %bb.762:
	v_div_scale_f64 v[181:182], null, v[166:167], v[166:167], v[164:165]
	v_div_scale_f64 v[187:188], vcc_lo, v[164:165], v[166:167], v[164:165]
	s_delay_alu instid0(VALU_DEP_2) | instskip(SKIP_2) | instid1(VALU_DEP_1)
	v_rcp_f64_e32 v[183:184], v[181:182]
	s_waitcnt_depctr 0xfff
	v_fma_f64 v[185:186], -v[181:182], v[183:184], 1.0
	v_fma_f64 v[183:184], v[183:184], v[185:186], v[183:184]
	s_delay_alu instid0(VALU_DEP_1) | instskip(NEXT) | instid1(VALU_DEP_1)
	v_fma_f64 v[185:186], -v[181:182], v[183:184], 1.0
	v_fma_f64 v[183:184], v[183:184], v[185:186], v[183:184]
	s_delay_alu instid0(VALU_DEP_1) | instskip(NEXT) | instid1(VALU_DEP_1)
	v_mul_f64 v[185:186], v[187:188], v[183:184]
	v_fma_f64 v[181:182], -v[181:182], v[185:186], v[187:188]
	s_delay_alu instid0(VALU_DEP_1) | instskip(NEXT) | instid1(VALU_DEP_1)
	v_div_fmas_f64 v[181:182], v[181:182], v[183:184], v[185:186]
	v_div_fixup_f64 v[181:182], v[181:182], v[166:167], v[164:165]
	s_delay_alu instid0(VALU_DEP_1) | instskip(NEXT) | instid1(VALU_DEP_1)
	v_fma_f64 v[164:165], v[164:165], v[181:182], v[166:167]
	v_div_scale_f64 v[166:167], null, v[164:165], v[164:165], 1.0
	s_delay_alu instid0(VALU_DEP_1) | instskip(SKIP_2) | instid1(VALU_DEP_1)
	v_rcp_f64_e32 v[183:184], v[166:167]
	s_waitcnt_depctr 0xfff
	v_fma_f64 v[185:186], -v[166:167], v[183:184], 1.0
	v_fma_f64 v[183:184], v[183:184], v[185:186], v[183:184]
	s_delay_alu instid0(VALU_DEP_1) | instskip(NEXT) | instid1(VALU_DEP_1)
	v_fma_f64 v[185:186], -v[166:167], v[183:184], 1.0
	v_fma_f64 v[183:184], v[183:184], v[185:186], v[183:184]
	v_div_scale_f64 v[185:186], vcc_lo, 1.0, v[164:165], 1.0
	s_delay_alu instid0(VALU_DEP_1) | instskip(NEXT) | instid1(VALU_DEP_1)
	v_mul_f64 v[187:188], v[185:186], v[183:184]
	v_fma_f64 v[166:167], -v[166:167], v[187:188], v[185:186]
	s_delay_alu instid0(VALU_DEP_1) | instskip(NEXT) | instid1(VALU_DEP_1)
	v_div_fmas_f64 v[166:167], v[166:167], v[183:184], v[187:188]
	v_div_fixup_f64 v[166:167], v[166:167], v[164:165], 1.0
	s_delay_alu instid0(VALU_DEP_1)
	v_mul_f64 v[164:165], v[181:182], v[166:167]
	v_xor_b32_e32 v167, 0x80000000, v167
.LBB80_763:
	s_and_not1_saveexec_b32 s2, s2
	s_cbranch_execz .LBB80_765
; %bb.764:
	s_delay_alu instid0(VALU_DEP_1) | instskip(SKIP_1) | instid1(VALU_DEP_2)
	v_div_scale_f64 v[181:182], null, v[164:165], v[164:165], v[166:167]
	v_div_scale_f64 v[187:188], vcc_lo, v[166:167], v[164:165], v[166:167]
	v_rcp_f64_e32 v[183:184], v[181:182]
	s_waitcnt_depctr 0xfff
	v_fma_f64 v[185:186], -v[181:182], v[183:184], 1.0
	s_delay_alu instid0(VALU_DEP_1) | instskip(NEXT) | instid1(VALU_DEP_1)
	v_fma_f64 v[183:184], v[183:184], v[185:186], v[183:184]
	v_fma_f64 v[185:186], -v[181:182], v[183:184], 1.0
	s_delay_alu instid0(VALU_DEP_1) | instskip(NEXT) | instid1(VALU_DEP_1)
	v_fma_f64 v[183:184], v[183:184], v[185:186], v[183:184]
	v_mul_f64 v[185:186], v[187:188], v[183:184]
	s_delay_alu instid0(VALU_DEP_1) | instskip(NEXT) | instid1(VALU_DEP_1)
	v_fma_f64 v[181:182], -v[181:182], v[185:186], v[187:188]
	v_div_fmas_f64 v[181:182], v[181:182], v[183:184], v[185:186]
	s_delay_alu instid0(VALU_DEP_1) | instskip(NEXT) | instid1(VALU_DEP_1)
	v_div_fixup_f64 v[181:182], v[181:182], v[164:165], v[166:167]
	v_fma_f64 v[164:165], v[166:167], v[181:182], v[164:165]
	s_delay_alu instid0(VALU_DEP_1) | instskip(NEXT) | instid1(VALU_DEP_1)
	v_div_scale_f64 v[166:167], null, v[164:165], v[164:165], 1.0
	v_rcp_f64_e32 v[183:184], v[166:167]
	s_waitcnt_depctr 0xfff
	v_fma_f64 v[185:186], -v[166:167], v[183:184], 1.0
	s_delay_alu instid0(VALU_DEP_1) | instskip(NEXT) | instid1(VALU_DEP_1)
	v_fma_f64 v[183:184], v[183:184], v[185:186], v[183:184]
	v_fma_f64 v[185:186], -v[166:167], v[183:184], 1.0
	s_delay_alu instid0(VALU_DEP_1) | instskip(SKIP_1) | instid1(VALU_DEP_1)
	v_fma_f64 v[183:184], v[183:184], v[185:186], v[183:184]
	v_div_scale_f64 v[185:186], vcc_lo, 1.0, v[164:165], 1.0
	v_mul_f64 v[187:188], v[185:186], v[183:184]
	s_delay_alu instid0(VALU_DEP_1) | instskip(NEXT) | instid1(VALU_DEP_1)
	v_fma_f64 v[166:167], -v[166:167], v[187:188], v[185:186]
	v_div_fmas_f64 v[166:167], v[166:167], v[183:184], v[187:188]
	s_delay_alu instid0(VALU_DEP_1) | instskip(NEXT) | instid1(VALU_DEP_1)
	v_div_fixup_f64 v[164:165], v[166:167], v[164:165], 1.0
	v_mul_f64 v[166:167], v[181:182], -v[164:165]
.LBB80_765:
	s_or_b32 exec_lo, exec_lo, s2
.LBB80_766:
	s_delay_alu instid0(SALU_CYCLE_1) | instskip(NEXT) | instid1(SALU_CYCLE_1)
	s_or_b32 exec_lo, exec_lo, s3
	s_mov_b32 s2, exec_lo
	v_cmpx_ne_u32_e64 v180, v172
	s_xor_b32 s2, exec_lo, s2
	s_cbranch_execz .LBB80_772
; %bb.767:
	s_mov_b32 s3, exec_lo
	v_cmpx_eq_u32_e32 36, v180
	s_cbranch_execz .LBB80_771
; %bb.768:
	v_cmp_ne_u32_e32 vcc_lo, 36, v172
	s_xor_b32 s6, s4, -1
	s_delay_alu instid0(SALU_CYCLE_1) | instskip(NEXT) | instid1(SALU_CYCLE_1)
	s_and_b32 s7, s6, vcc_lo
	s_and_saveexec_b32 s6, s7
	s_cbranch_execz .LBB80_770
; %bb.769:
	v_ashrrev_i32_e32 v173, 31, v172
	s_delay_alu instid0(VALU_DEP_1) | instskip(NEXT) | instid1(VALU_DEP_1)
	v_lshlrev_b64 v[179:180], 2, v[172:173]
	v_add_co_u32 v179, vcc_lo, v170, v179
	s_delay_alu instid0(VALU_DEP_2)
	v_add_co_ci_u32_e32 v180, vcc_lo, v171, v180, vcc_lo
	s_clause 0x1
	flat_load_b32 v173, v[179:180]
	flat_load_b32 v181, v[170:171] offset:144
	s_waitcnt vmcnt(1) lgkmcnt(1)
	flat_store_b32 v[170:171], v173 offset:144
	s_waitcnt vmcnt(0) lgkmcnt(1)
	flat_store_b32 v[179:180], v181
.LBB80_770:
	s_or_b32 exec_lo, exec_lo, s6
	v_mov_b32_e32 v180, v172
	v_mov_b32_e32 v179, v172
.LBB80_771:
	s_or_b32 exec_lo, exec_lo, s3
.LBB80_772:
	s_and_not1_saveexec_b32 s2, s2
	s_cbranch_execz .LBB80_774
; %bb.773:
	v_mov_b32_e32 v180, 36
	ds_store_2addr_b64 v174, v[12:13], v[14:15] offset0:74 offset1:75
	ds_store_2addr_b64 v174, v[8:9], v[10:11] offset0:76 offset1:77
	ds_store_2addr_b64 v174, v[4:5], v[6:7] offset0:78 offset1:79
	ds_store_2addr_b64 v174, v[0:1], v[2:3] offset0:80 offset1:81
.LBB80_774:
	s_or_b32 exec_lo, exec_lo, s2
	s_delay_alu instid0(SALU_CYCLE_1)
	s_mov_b32 s2, exec_lo
	s_waitcnt lgkmcnt(0)
	s_waitcnt_vscnt null, 0x0
	s_barrier
	buffer_gl0_inv
	v_cmpx_lt_i32_e32 36, v180
	s_cbranch_execz .LBB80_776
; %bb.775:
	v_mul_f64 v[172:173], v[164:165], v[18:19]
	v_mul_f64 v[18:19], v[166:167], v[18:19]
	ds_load_2addr_b64 v[181:184], v174 offset0:74 offset1:75
	ds_load_2addr_b64 v[185:188], v174 offset0:76 offset1:77
	;; [unrolled: 1-line block ×4, first 2 shown]
	v_fma_f64 v[166:167], v[166:167], v[16:17], v[172:173]
	v_fma_f64 v[16:17], v[164:165], v[16:17], -v[18:19]
	s_waitcnt lgkmcnt(3)
	s_delay_alu instid0(VALU_DEP_2)
	v_mul_f64 v[18:19], v[183:184], v[166:167]
	v_mul_f64 v[164:165], v[181:182], v[166:167]
	s_waitcnt lgkmcnt(2)
	v_mul_f64 v[172:173], v[187:188], v[166:167]
	v_mul_f64 v[197:198], v[185:186], v[166:167]
	s_waitcnt lgkmcnt(1)
	;; [unrolled: 3-line block ×3, first 2 shown]
	v_mul_f64 v[203:204], v[195:196], v[166:167]
	v_mul_f64 v[205:206], v[193:194], v[166:167]
	v_fma_f64 v[18:19], v[181:182], v[16:17], -v[18:19]
	v_fma_f64 v[164:165], v[183:184], v[16:17], v[164:165]
	v_fma_f64 v[172:173], v[185:186], v[16:17], -v[172:173]
	v_fma_f64 v[181:182], v[187:188], v[16:17], v[197:198]
	;; [unrolled: 2-line block ×4, first 2 shown]
	v_add_f64 v[12:13], v[12:13], -v[18:19]
	v_add_f64 v[14:15], v[14:15], -v[164:165]
	;; [unrolled: 1-line block ×8, first 2 shown]
	v_dual_mov_b32 v18, v166 :: v_dual_mov_b32 v19, v167
.LBB80_776:
	s_or_b32 exec_lo, exec_lo, s2
	v_lshl_add_u32 v164, v180, 4, v174
	s_barrier
	buffer_gl0_inv
	v_mov_b32_e32 v172, 37
	ds_store_2addr_b64 v164, v[12:13], v[14:15] offset1:1
	s_waitcnt lgkmcnt(0)
	s_barrier
	buffer_gl0_inv
	ds_load_2addr_b64 v[164:167], v174 offset0:74 offset1:75
	s_cmp_lt_i32 s5, 39
	s_cbranch_scc1 .LBB80_779
; %bb.777:
	v_add3_u32 v173, v178, 0, 0x260
	v_mov_b32_e32 v172, 37
	s_mov_b32 s6, 38
	s_set_inst_prefetch_distance 0x1
	.p2align	6
.LBB80_778:                             ; =>This Inner Loop Header: Depth=1
	ds_load_2addr_b64 v[181:184], v173 offset1:1
	s_waitcnt lgkmcnt(1)
	v_cmp_gt_f64_e32 vcc_lo, 0, v[164:165]
	v_xor_b32_e32 v185, 0x80000000, v165
	v_cmp_gt_f64_e64 s2, 0, v[166:167]
	v_xor_b32_e32 v187, 0x80000000, v167
	v_add_nc_u32_e32 v173, 16, v173
	s_waitcnt lgkmcnt(0)
	v_cmp_gt_f64_e64 s3, 0, v[181:182]
	v_mov_b32_e32 v189, v181
	v_dual_mov_b32 v191, v183 :: v_dual_cndmask_b32 v186, v165, v185
	v_xor_b32_e32 v185, 0x80000000, v182
	v_cndmask_b32_e64 v188, v167, v187, s2
	v_xor_b32_e32 v187, 0x80000000, v184
	s_delay_alu instid0(VALU_DEP_3) | instskip(SKIP_2) | instid1(VALU_DEP_2)
	v_cndmask_b32_e64 v190, v182, v185, s3
	v_cmp_gt_f64_e64 s3, 0, v[183:184]
	v_cndmask_b32_e32 v185, v164, v164, vcc_lo
	v_cndmask_b32_e64 v192, v184, v187, s3
	v_cndmask_b32_e64 v187, v166, v166, s2
	s_delay_alu instid0(VALU_DEP_2) | instskip(NEXT) | instid1(VALU_DEP_2)
	v_add_f64 v[189:190], v[189:190], v[191:192]
	v_add_f64 v[185:186], v[185:186], v[187:188]
	s_delay_alu instid0(VALU_DEP_1) | instskip(SKIP_4) | instid1(SALU_CYCLE_1)
	v_cmp_lt_f64_e32 vcc_lo, v[185:186], v[189:190]
	v_dual_cndmask_b32 v166, v166, v183 :: v_dual_cndmask_b32 v165, v165, v182
	v_dual_cndmask_b32 v164, v164, v181 :: v_dual_cndmask_b32 v167, v167, v184
	v_cndmask_b32_e64 v172, v172, s6, vcc_lo
	s_add_i32 s6, s6, 1
	s_cmp_lg_u32 s5, s6
	s_cbranch_scc1 .LBB80_778
.LBB80_779:
	s_set_inst_prefetch_distance 0x2
	s_waitcnt lgkmcnt(0)
	v_cmp_eq_f64_e32 vcc_lo, 0, v[164:165]
	v_cmp_eq_f64_e64 s2, 0, v[166:167]
	s_delay_alu instid0(VALU_DEP_1) | instskip(NEXT) | instid1(SALU_CYCLE_1)
	s_and_b32 s2, vcc_lo, s2
	s_and_saveexec_b32 s3, s2
	s_delay_alu instid0(SALU_CYCLE_1)
	s_xor_b32 s2, exec_lo, s3
; %bb.780:
	v_cmp_ne_u32_e32 vcc_lo, 0, v177
	v_cndmask_b32_e32 v177, 38, v177, vcc_lo
; %bb.781:
	s_and_not1_saveexec_b32 s3, s2
	s_cbranch_execz .LBB80_787
; %bb.782:
	v_cmp_gt_f64_e32 vcc_lo, 0, v[164:165]
	v_cmp_gt_f64_e64 s2, 0, v[166:167]
	v_xor_b32_e32 v173, 0x80000000, v165
	v_xor_b32_e32 v181, 0x80000000, v167
	s_delay_alu instid0(VALU_DEP_2) | instskip(NEXT) | instid1(VALU_DEP_2)
	v_cndmask_b32_e32 v182, v165, v173, vcc_lo
	v_cndmask_b32_e64 v184, v167, v181, s2
	v_cndmask_b32_e32 v181, v164, v164, vcc_lo
	v_cndmask_b32_e64 v183, v166, v166, s2
	s_mov_b32 s2, exec_lo
	s_delay_alu instid0(VALU_DEP_1)
	v_cmpx_ngt_f64_e32 v[181:182], v[183:184]
	s_xor_b32 s2, exec_lo, s2
	s_cbranch_execz .LBB80_784
; %bb.783:
	v_div_scale_f64 v[181:182], null, v[166:167], v[166:167], v[164:165]
	v_div_scale_f64 v[187:188], vcc_lo, v[164:165], v[166:167], v[164:165]
	s_delay_alu instid0(VALU_DEP_2) | instskip(SKIP_2) | instid1(VALU_DEP_1)
	v_rcp_f64_e32 v[183:184], v[181:182]
	s_waitcnt_depctr 0xfff
	v_fma_f64 v[185:186], -v[181:182], v[183:184], 1.0
	v_fma_f64 v[183:184], v[183:184], v[185:186], v[183:184]
	s_delay_alu instid0(VALU_DEP_1) | instskip(NEXT) | instid1(VALU_DEP_1)
	v_fma_f64 v[185:186], -v[181:182], v[183:184], 1.0
	v_fma_f64 v[183:184], v[183:184], v[185:186], v[183:184]
	s_delay_alu instid0(VALU_DEP_1) | instskip(NEXT) | instid1(VALU_DEP_1)
	v_mul_f64 v[185:186], v[187:188], v[183:184]
	v_fma_f64 v[181:182], -v[181:182], v[185:186], v[187:188]
	s_delay_alu instid0(VALU_DEP_1) | instskip(NEXT) | instid1(VALU_DEP_1)
	v_div_fmas_f64 v[181:182], v[181:182], v[183:184], v[185:186]
	v_div_fixup_f64 v[181:182], v[181:182], v[166:167], v[164:165]
	s_delay_alu instid0(VALU_DEP_1) | instskip(NEXT) | instid1(VALU_DEP_1)
	v_fma_f64 v[164:165], v[164:165], v[181:182], v[166:167]
	v_div_scale_f64 v[166:167], null, v[164:165], v[164:165], 1.0
	s_delay_alu instid0(VALU_DEP_1) | instskip(SKIP_2) | instid1(VALU_DEP_1)
	v_rcp_f64_e32 v[183:184], v[166:167]
	s_waitcnt_depctr 0xfff
	v_fma_f64 v[185:186], -v[166:167], v[183:184], 1.0
	v_fma_f64 v[183:184], v[183:184], v[185:186], v[183:184]
	s_delay_alu instid0(VALU_DEP_1) | instskip(NEXT) | instid1(VALU_DEP_1)
	v_fma_f64 v[185:186], -v[166:167], v[183:184], 1.0
	v_fma_f64 v[183:184], v[183:184], v[185:186], v[183:184]
	v_div_scale_f64 v[185:186], vcc_lo, 1.0, v[164:165], 1.0
	s_delay_alu instid0(VALU_DEP_1) | instskip(NEXT) | instid1(VALU_DEP_1)
	v_mul_f64 v[187:188], v[185:186], v[183:184]
	v_fma_f64 v[166:167], -v[166:167], v[187:188], v[185:186]
	s_delay_alu instid0(VALU_DEP_1) | instskip(NEXT) | instid1(VALU_DEP_1)
	v_div_fmas_f64 v[166:167], v[166:167], v[183:184], v[187:188]
	v_div_fixup_f64 v[166:167], v[166:167], v[164:165], 1.0
	s_delay_alu instid0(VALU_DEP_1)
	v_mul_f64 v[164:165], v[181:182], v[166:167]
	v_xor_b32_e32 v167, 0x80000000, v167
.LBB80_784:
	s_and_not1_saveexec_b32 s2, s2
	s_cbranch_execz .LBB80_786
; %bb.785:
	s_delay_alu instid0(VALU_DEP_1) | instskip(SKIP_1) | instid1(VALU_DEP_2)
	v_div_scale_f64 v[181:182], null, v[164:165], v[164:165], v[166:167]
	v_div_scale_f64 v[187:188], vcc_lo, v[166:167], v[164:165], v[166:167]
	v_rcp_f64_e32 v[183:184], v[181:182]
	s_waitcnt_depctr 0xfff
	v_fma_f64 v[185:186], -v[181:182], v[183:184], 1.0
	s_delay_alu instid0(VALU_DEP_1) | instskip(NEXT) | instid1(VALU_DEP_1)
	v_fma_f64 v[183:184], v[183:184], v[185:186], v[183:184]
	v_fma_f64 v[185:186], -v[181:182], v[183:184], 1.0
	s_delay_alu instid0(VALU_DEP_1) | instskip(NEXT) | instid1(VALU_DEP_1)
	v_fma_f64 v[183:184], v[183:184], v[185:186], v[183:184]
	v_mul_f64 v[185:186], v[187:188], v[183:184]
	s_delay_alu instid0(VALU_DEP_1) | instskip(NEXT) | instid1(VALU_DEP_1)
	v_fma_f64 v[181:182], -v[181:182], v[185:186], v[187:188]
	v_div_fmas_f64 v[181:182], v[181:182], v[183:184], v[185:186]
	s_delay_alu instid0(VALU_DEP_1) | instskip(NEXT) | instid1(VALU_DEP_1)
	v_div_fixup_f64 v[181:182], v[181:182], v[164:165], v[166:167]
	v_fma_f64 v[164:165], v[166:167], v[181:182], v[164:165]
	s_delay_alu instid0(VALU_DEP_1) | instskip(NEXT) | instid1(VALU_DEP_1)
	v_div_scale_f64 v[166:167], null, v[164:165], v[164:165], 1.0
	v_rcp_f64_e32 v[183:184], v[166:167]
	s_waitcnt_depctr 0xfff
	v_fma_f64 v[185:186], -v[166:167], v[183:184], 1.0
	s_delay_alu instid0(VALU_DEP_1) | instskip(NEXT) | instid1(VALU_DEP_1)
	v_fma_f64 v[183:184], v[183:184], v[185:186], v[183:184]
	v_fma_f64 v[185:186], -v[166:167], v[183:184], 1.0
	s_delay_alu instid0(VALU_DEP_1) | instskip(SKIP_1) | instid1(VALU_DEP_1)
	v_fma_f64 v[183:184], v[183:184], v[185:186], v[183:184]
	v_div_scale_f64 v[185:186], vcc_lo, 1.0, v[164:165], 1.0
	v_mul_f64 v[187:188], v[185:186], v[183:184]
	s_delay_alu instid0(VALU_DEP_1) | instskip(NEXT) | instid1(VALU_DEP_1)
	v_fma_f64 v[166:167], -v[166:167], v[187:188], v[185:186]
	v_div_fmas_f64 v[166:167], v[166:167], v[183:184], v[187:188]
	s_delay_alu instid0(VALU_DEP_1) | instskip(NEXT) | instid1(VALU_DEP_1)
	v_div_fixup_f64 v[164:165], v[166:167], v[164:165], 1.0
	v_mul_f64 v[166:167], v[181:182], -v[164:165]
.LBB80_786:
	s_or_b32 exec_lo, exec_lo, s2
.LBB80_787:
	s_delay_alu instid0(SALU_CYCLE_1) | instskip(NEXT) | instid1(SALU_CYCLE_1)
	s_or_b32 exec_lo, exec_lo, s3
	s_mov_b32 s2, exec_lo
	v_cmpx_ne_u32_e64 v180, v172
	s_xor_b32 s2, exec_lo, s2
	s_cbranch_execz .LBB80_793
; %bb.788:
	s_mov_b32 s3, exec_lo
	v_cmpx_eq_u32_e32 37, v180
	s_cbranch_execz .LBB80_792
; %bb.789:
	v_cmp_ne_u32_e32 vcc_lo, 37, v172
	s_xor_b32 s6, s4, -1
	s_delay_alu instid0(SALU_CYCLE_1) | instskip(NEXT) | instid1(SALU_CYCLE_1)
	s_and_b32 s7, s6, vcc_lo
	s_and_saveexec_b32 s6, s7
	s_cbranch_execz .LBB80_791
; %bb.790:
	v_ashrrev_i32_e32 v173, 31, v172
	s_delay_alu instid0(VALU_DEP_1) | instskip(NEXT) | instid1(VALU_DEP_1)
	v_lshlrev_b64 v[179:180], 2, v[172:173]
	v_add_co_u32 v179, vcc_lo, v170, v179
	s_delay_alu instid0(VALU_DEP_2)
	v_add_co_ci_u32_e32 v180, vcc_lo, v171, v180, vcc_lo
	s_clause 0x1
	flat_load_b32 v173, v[179:180]
	flat_load_b32 v181, v[170:171] offset:148
	s_waitcnt vmcnt(1) lgkmcnt(1)
	flat_store_b32 v[170:171], v173 offset:148
	s_waitcnt vmcnt(0) lgkmcnt(1)
	flat_store_b32 v[179:180], v181
.LBB80_791:
	s_or_b32 exec_lo, exec_lo, s6
	v_mov_b32_e32 v180, v172
	v_mov_b32_e32 v179, v172
.LBB80_792:
	s_or_b32 exec_lo, exec_lo, s3
.LBB80_793:
	s_and_not1_saveexec_b32 s2, s2
	s_cbranch_execz .LBB80_795
; %bb.794:
	v_mov_b32_e32 v180, 37
	ds_store_2addr_b64 v174, v[8:9], v[10:11] offset0:76 offset1:77
	ds_store_2addr_b64 v174, v[4:5], v[6:7] offset0:78 offset1:79
	ds_store_2addr_b64 v174, v[0:1], v[2:3] offset0:80 offset1:81
.LBB80_795:
	s_or_b32 exec_lo, exec_lo, s2
	s_delay_alu instid0(SALU_CYCLE_1)
	s_mov_b32 s2, exec_lo
	s_waitcnt lgkmcnt(0)
	s_waitcnt_vscnt null, 0x0
	s_barrier
	buffer_gl0_inv
	v_cmpx_lt_i32_e32 37, v180
	s_cbranch_execz .LBB80_797
; %bb.796:
	v_mul_f64 v[172:173], v[164:165], v[14:15]
	v_mul_f64 v[14:15], v[166:167], v[14:15]
	ds_load_2addr_b64 v[181:184], v174 offset0:76 offset1:77
	ds_load_2addr_b64 v[185:188], v174 offset0:78 offset1:79
	;; [unrolled: 1-line block ×3, first 2 shown]
	v_fma_f64 v[166:167], v[166:167], v[12:13], v[172:173]
	v_fma_f64 v[12:13], v[164:165], v[12:13], -v[14:15]
	s_waitcnt lgkmcnt(2)
	s_delay_alu instid0(VALU_DEP_2)
	v_mul_f64 v[14:15], v[183:184], v[166:167]
	v_mul_f64 v[164:165], v[181:182], v[166:167]
	s_waitcnt lgkmcnt(1)
	v_mul_f64 v[172:173], v[187:188], v[166:167]
	v_mul_f64 v[193:194], v[185:186], v[166:167]
	s_waitcnt lgkmcnt(0)
	v_mul_f64 v[195:196], v[191:192], v[166:167]
	v_mul_f64 v[197:198], v[189:190], v[166:167]
	v_fma_f64 v[14:15], v[181:182], v[12:13], -v[14:15]
	v_fma_f64 v[164:165], v[183:184], v[12:13], v[164:165]
	v_fma_f64 v[172:173], v[185:186], v[12:13], -v[172:173]
	v_fma_f64 v[181:182], v[187:188], v[12:13], v[193:194]
	;; [unrolled: 2-line block ×3, first 2 shown]
	v_add_f64 v[8:9], v[8:9], -v[14:15]
	v_add_f64 v[10:11], v[10:11], -v[164:165]
	v_add_f64 v[4:5], v[4:5], -v[172:173]
	v_add_f64 v[6:7], v[6:7], -v[181:182]
	v_add_f64 v[0:1], v[0:1], -v[183:184]
	v_add_f64 v[2:3], v[2:3], -v[185:186]
	v_dual_mov_b32 v14, v166 :: v_dual_mov_b32 v15, v167
.LBB80_797:
	s_or_b32 exec_lo, exec_lo, s2
	v_lshl_add_u32 v164, v180, 4, v174
	s_barrier
	buffer_gl0_inv
	v_mov_b32_e32 v172, 38
	ds_store_2addr_b64 v164, v[8:9], v[10:11] offset1:1
	s_waitcnt lgkmcnt(0)
	s_barrier
	buffer_gl0_inv
	ds_load_2addr_b64 v[164:167], v174 offset0:76 offset1:77
	s_cmp_lt_i32 s5, 40
	s_cbranch_scc1 .LBB80_800
; %bb.798:
	v_add3_u32 v173, v178, 0, 0x270
	v_mov_b32_e32 v172, 38
	s_mov_b32 s6, 39
	s_set_inst_prefetch_distance 0x1
	.p2align	6
.LBB80_799:                             ; =>This Inner Loop Header: Depth=1
	ds_load_2addr_b64 v[181:184], v173 offset1:1
	s_waitcnt lgkmcnt(1)
	v_cmp_gt_f64_e32 vcc_lo, 0, v[164:165]
	v_xor_b32_e32 v185, 0x80000000, v165
	v_cmp_gt_f64_e64 s2, 0, v[166:167]
	v_xor_b32_e32 v187, 0x80000000, v167
	v_add_nc_u32_e32 v173, 16, v173
	s_waitcnt lgkmcnt(0)
	v_cmp_gt_f64_e64 s3, 0, v[181:182]
	v_mov_b32_e32 v189, v181
	v_dual_mov_b32 v191, v183 :: v_dual_cndmask_b32 v186, v165, v185
	v_xor_b32_e32 v185, 0x80000000, v182
	v_cndmask_b32_e64 v188, v167, v187, s2
	v_xor_b32_e32 v187, 0x80000000, v184
	s_delay_alu instid0(VALU_DEP_3) | instskip(SKIP_2) | instid1(VALU_DEP_2)
	v_cndmask_b32_e64 v190, v182, v185, s3
	v_cmp_gt_f64_e64 s3, 0, v[183:184]
	v_cndmask_b32_e32 v185, v164, v164, vcc_lo
	v_cndmask_b32_e64 v192, v184, v187, s3
	v_cndmask_b32_e64 v187, v166, v166, s2
	s_delay_alu instid0(VALU_DEP_2) | instskip(NEXT) | instid1(VALU_DEP_2)
	v_add_f64 v[189:190], v[189:190], v[191:192]
	v_add_f64 v[185:186], v[185:186], v[187:188]
	s_delay_alu instid0(VALU_DEP_1) | instskip(SKIP_4) | instid1(SALU_CYCLE_1)
	v_cmp_lt_f64_e32 vcc_lo, v[185:186], v[189:190]
	v_dual_cndmask_b32 v166, v166, v183 :: v_dual_cndmask_b32 v165, v165, v182
	v_dual_cndmask_b32 v164, v164, v181 :: v_dual_cndmask_b32 v167, v167, v184
	v_cndmask_b32_e64 v172, v172, s6, vcc_lo
	s_add_i32 s6, s6, 1
	s_cmp_lg_u32 s5, s6
	s_cbranch_scc1 .LBB80_799
.LBB80_800:
	s_set_inst_prefetch_distance 0x2
	s_waitcnt lgkmcnt(0)
	v_cmp_eq_f64_e32 vcc_lo, 0, v[164:165]
	v_cmp_eq_f64_e64 s2, 0, v[166:167]
	s_delay_alu instid0(VALU_DEP_1) | instskip(NEXT) | instid1(SALU_CYCLE_1)
	s_and_b32 s2, vcc_lo, s2
	s_and_saveexec_b32 s3, s2
	s_delay_alu instid0(SALU_CYCLE_1)
	s_xor_b32 s2, exec_lo, s3
; %bb.801:
	v_cmp_ne_u32_e32 vcc_lo, 0, v177
	v_cndmask_b32_e32 v177, 39, v177, vcc_lo
; %bb.802:
	s_and_not1_saveexec_b32 s3, s2
	s_cbranch_execz .LBB80_808
; %bb.803:
	v_cmp_gt_f64_e32 vcc_lo, 0, v[164:165]
	v_cmp_gt_f64_e64 s2, 0, v[166:167]
	v_xor_b32_e32 v173, 0x80000000, v165
	v_xor_b32_e32 v181, 0x80000000, v167
	s_delay_alu instid0(VALU_DEP_2) | instskip(NEXT) | instid1(VALU_DEP_2)
	v_cndmask_b32_e32 v182, v165, v173, vcc_lo
	v_cndmask_b32_e64 v184, v167, v181, s2
	v_cndmask_b32_e32 v181, v164, v164, vcc_lo
	v_cndmask_b32_e64 v183, v166, v166, s2
	s_mov_b32 s2, exec_lo
	s_delay_alu instid0(VALU_DEP_1)
	v_cmpx_ngt_f64_e32 v[181:182], v[183:184]
	s_xor_b32 s2, exec_lo, s2
	s_cbranch_execz .LBB80_805
; %bb.804:
	v_div_scale_f64 v[181:182], null, v[166:167], v[166:167], v[164:165]
	v_div_scale_f64 v[187:188], vcc_lo, v[164:165], v[166:167], v[164:165]
	s_delay_alu instid0(VALU_DEP_2) | instskip(SKIP_2) | instid1(VALU_DEP_1)
	v_rcp_f64_e32 v[183:184], v[181:182]
	s_waitcnt_depctr 0xfff
	v_fma_f64 v[185:186], -v[181:182], v[183:184], 1.0
	v_fma_f64 v[183:184], v[183:184], v[185:186], v[183:184]
	s_delay_alu instid0(VALU_DEP_1) | instskip(NEXT) | instid1(VALU_DEP_1)
	v_fma_f64 v[185:186], -v[181:182], v[183:184], 1.0
	v_fma_f64 v[183:184], v[183:184], v[185:186], v[183:184]
	s_delay_alu instid0(VALU_DEP_1) | instskip(NEXT) | instid1(VALU_DEP_1)
	v_mul_f64 v[185:186], v[187:188], v[183:184]
	v_fma_f64 v[181:182], -v[181:182], v[185:186], v[187:188]
	s_delay_alu instid0(VALU_DEP_1) | instskip(NEXT) | instid1(VALU_DEP_1)
	v_div_fmas_f64 v[181:182], v[181:182], v[183:184], v[185:186]
	v_div_fixup_f64 v[181:182], v[181:182], v[166:167], v[164:165]
	s_delay_alu instid0(VALU_DEP_1) | instskip(NEXT) | instid1(VALU_DEP_1)
	v_fma_f64 v[164:165], v[164:165], v[181:182], v[166:167]
	v_div_scale_f64 v[166:167], null, v[164:165], v[164:165], 1.0
	s_delay_alu instid0(VALU_DEP_1) | instskip(SKIP_2) | instid1(VALU_DEP_1)
	v_rcp_f64_e32 v[183:184], v[166:167]
	s_waitcnt_depctr 0xfff
	v_fma_f64 v[185:186], -v[166:167], v[183:184], 1.0
	v_fma_f64 v[183:184], v[183:184], v[185:186], v[183:184]
	s_delay_alu instid0(VALU_DEP_1) | instskip(NEXT) | instid1(VALU_DEP_1)
	v_fma_f64 v[185:186], -v[166:167], v[183:184], 1.0
	v_fma_f64 v[183:184], v[183:184], v[185:186], v[183:184]
	v_div_scale_f64 v[185:186], vcc_lo, 1.0, v[164:165], 1.0
	s_delay_alu instid0(VALU_DEP_1) | instskip(NEXT) | instid1(VALU_DEP_1)
	v_mul_f64 v[187:188], v[185:186], v[183:184]
	v_fma_f64 v[166:167], -v[166:167], v[187:188], v[185:186]
	s_delay_alu instid0(VALU_DEP_1) | instskip(NEXT) | instid1(VALU_DEP_1)
	v_div_fmas_f64 v[166:167], v[166:167], v[183:184], v[187:188]
	v_div_fixup_f64 v[166:167], v[166:167], v[164:165], 1.0
	s_delay_alu instid0(VALU_DEP_1)
	v_mul_f64 v[164:165], v[181:182], v[166:167]
	v_xor_b32_e32 v167, 0x80000000, v167
.LBB80_805:
	s_and_not1_saveexec_b32 s2, s2
	s_cbranch_execz .LBB80_807
; %bb.806:
	s_delay_alu instid0(VALU_DEP_1) | instskip(SKIP_1) | instid1(VALU_DEP_2)
	v_div_scale_f64 v[181:182], null, v[164:165], v[164:165], v[166:167]
	v_div_scale_f64 v[187:188], vcc_lo, v[166:167], v[164:165], v[166:167]
	v_rcp_f64_e32 v[183:184], v[181:182]
	s_waitcnt_depctr 0xfff
	v_fma_f64 v[185:186], -v[181:182], v[183:184], 1.0
	s_delay_alu instid0(VALU_DEP_1) | instskip(NEXT) | instid1(VALU_DEP_1)
	v_fma_f64 v[183:184], v[183:184], v[185:186], v[183:184]
	v_fma_f64 v[185:186], -v[181:182], v[183:184], 1.0
	s_delay_alu instid0(VALU_DEP_1) | instskip(NEXT) | instid1(VALU_DEP_1)
	v_fma_f64 v[183:184], v[183:184], v[185:186], v[183:184]
	v_mul_f64 v[185:186], v[187:188], v[183:184]
	s_delay_alu instid0(VALU_DEP_1) | instskip(NEXT) | instid1(VALU_DEP_1)
	v_fma_f64 v[181:182], -v[181:182], v[185:186], v[187:188]
	v_div_fmas_f64 v[181:182], v[181:182], v[183:184], v[185:186]
	s_delay_alu instid0(VALU_DEP_1) | instskip(NEXT) | instid1(VALU_DEP_1)
	v_div_fixup_f64 v[181:182], v[181:182], v[164:165], v[166:167]
	v_fma_f64 v[164:165], v[166:167], v[181:182], v[164:165]
	s_delay_alu instid0(VALU_DEP_1) | instskip(NEXT) | instid1(VALU_DEP_1)
	v_div_scale_f64 v[166:167], null, v[164:165], v[164:165], 1.0
	v_rcp_f64_e32 v[183:184], v[166:167]
	s_waitcnt_depctr 0xfff
	v_fma_f64 v[185:186], -v[166:167], v[183:184], 1.0
	s_delay_alu instid0(VALU_DEP_1) | instskip(NEXT) | instid1(VALU_DEP_1)
	v_fma_f64 v[183:184], v[183:184], v[185:186], v[183:184]
	v_fma_f64 v[185:186], -v[166:167], v[183:184], 1.0
	s_delay_alu instid0(VALU_DEP_1) | instskip(SKIP_1) | instid1(VALU_DEP_1)
	v_fma_f64 v[183:184], v[183:184], v[185:186], v[183:184]
	v_div_scale_f64 v[185:186], vcc_lo, 1.0, v[164:165], 1.0
	v_mul_f64 v[187:188], v[185:186], v[183:184]
	s_delay_alu instid0(VALU_DEP_1) | instskip(NEXT) | instid1(VALU_DEP_1)
	v_fma_f64 v[166:167], -v[166:167], v[187:188], v[185:186]
	v_div_fmas_f64 v[166:167], v[166:167], v[183:184], v[187:188]
	s_delay_alu instid0(VALU_DEP_1) | instskip(NEXT) | instid1(VALU_DEP_1)
	v_div_fixup_f64 v[164:165], v[166:167], v[164:165], 1.0
	v_mul_f64 v[166:167], v[181:182], -v[164:165]
.LBB80_807:
	s_or_b32 exec_lo, exec_lo, s2
.LBB80_808:
	s_delay_alu instid0(SALU_CYCLE_1) | instskip(NEXT) | instid1(SALU_CYCLE_1)
	s_or_b32 exec_lo, exec_lo, s3
	s_mov_b32 s2, exec_lo
	v_cmpx_ne_u32_e64 v180, v172
	s_xor_b32 s2, exec_lo, s2
	s_cbranch_execz .LBB80_814
; %bb.809:
	s_mov_b32 s3, exec_lo
	v_cmpx_eq_u32_e32 38, v180
	s_cbranch_execz .LBB80_813
; %bb.810:
	v_cmp_ne_u32_e32 vcc_lo, 38, v172
	s_xor_b32 s6, s4, -1
	s_delay_alu instid0(SALU_CYCLE_1) | instskip(NEXT) | instid1(SALU_CYCLE_1)
	s_and_b32 s7, s6, vcc_lo
	s_and_saveexec_b32 s6, s7
	s_cbranch_execz .LBB80_812
; %bb.811:
	v_ashrrev_i32_e32 v173, 31, v172
	s_delay_alu instid0(VALU_DEP_1) | instskip(NEXT) | instid1(VALU_DEP_1)
	v_lshlrev_b64 v[179:180], 2, v[172:173]
	v_add_co_u32 v179, vcc_lo, v170, v179
	s_delay_alu instid0(VALU_DEP_2)
	v_add_co_ci_u32_e32 v180, vcc_lo, v171, v180, vcc_lo
	s_clause 0x1
	flat_load_b32 v173, v[179:180]
	flat_load_b32 v181, v[170:171] offset:152
	s_waitcnt vmcnt(1) lgkmcnt(1)
	flat_store_b32 v[170:171], v173 offset:152
	s_waitcnt vmcnt(0) lgkmcnt(1)
	flat_store_b32 v[179:180], v181
.LBB80_812:
	s_or_b32 exec_lo, exec_lo, s6
	v_mov_b32_e32 v180, v172
	v_mov_b32_e32 v179, v172
.LBB80_813:
	s_or_b32 exec_lo, exec_lo, s3
.LBB80_814:
	s_and_not1_saveexec_b32 s2, s2
	s_cbranch_execz .LBB80_816
; %bb.815:
	v_mov_b32_e32 v180, 38
	ds_store_2addr_b64 v174, v[4:5], v[6:7] offset0:78 offset1:79
	ds_store_2addr_b64 v174, v[0:1], v[2:3] offset0:80 offset1:81
.LBB80_816:
	s_or_b32 exec_lo, exec_lo, s2
	s_delay_alu instid0(SALU_CYCLE_1)
	s_mov_b32 s2, exec_lo
	s_waitcnt lgkmcnt(0)
	s_waitcnt_vscnt null, 0x0
	s_barrier
	buffer_gl0_inv
	v_cmpx_lt_i32_e32 38, v180
	s_cbranch_execz .LBB80_818
; %bb.817:
	v_mul_f64 v[172:173], v[164:165], v[10:11]
	v_mul_f64 v[10:11], v[166:167], v[10:11]
	ds_load_2addr_b64 v[181:184], v174 offset0:78 offset1:79
	ds_load_2addr_b64 v[185:188], v174 offset0:80 offset1:81
	v_fma_f64 v[166:167], v[166:167], v[8:9], v[172:173]
	v_fma_f64 v[8:9], v[164:165], v[8:9], -v[10:11]
	s_waitcnt lgkmcnt(1)
	s_delay_alu instid0(VALU_DEP_2) | instskip(SKIP_4) | instid1(VALU_DEP_4)
	v_mul_f64 v[10:11], v[183:184], v[166:167]
	v_mul_f64 v[164:165], v[181:182], v[166:167]
	s_waitcnt lgkmcnt(0)
	v_mul_f64 v[172:173], v[187:188], v[166:167]
	v_mul_f64 v[189:190], v[185:186], v[166:167]
	v_fma_f64 v[10:11], v[181:182], v[8:9], -v[10:11]
	s_delay_alu instid0(VALU_DEP_4) | instskip(NEXT) | instid1(VALU_DEP_4)
	v_fma_f64 v[164:165], v[183:184], v[8:9], v[164:165]
	v_fma_f64 v[172:173], v[185:186], v[8:9], -v[172:173]
	s_delay_alu instid0(VALU_DEP_4) | instskip(NEXT) | instid1(VALU_DEP_4)
	v_fma_f64 v[181:182], v[187:188], v[8:9], v[189:190]
	v_add_f64 v[4:5], v[4:5], -v[10:11]
	s_delay_alu instid0(VALU_DEP_4) | instskip(NEXT) | instid1(VALU_DEP_4)
	v_add_f64 v[6:7], v[6:7], -v[164:165]
	v_add_f64 v[0:1], v[0:1], -v[172:173]
	s_delay_alu instid0(VALU_DEP_4)
	v_add_f64 v[2:3], v[2:3], -v[181:182]
	v_dual_mov_b32 v10, v166 :: v_dual_mov_b32 v11, v167
.LBB80_818:
	s_or_b32 exec_lo, exec_lo, s2
	v_lshl_add_u32 v164, v180, 4, v174
	s_barrier
	buffer_gl0_inv
	v_mov_b32_e32 v172, 39
	ds_store_2addr_b64 v164, v[4:5], v[6:7] offset1:1
	s_waitcnt lgkmcnt(0)
	s_barrier
	buffer_gl0_inv
	ds_load_2addr_b64 v[164:167], v174 offset0:78 offset1:79
	s_cmp_lt_i32 s5, 41
	s_cbranch_scc1 .LBB80_821
; %bb.819:
	v_add3_u32 v173, v178, 0, 0x280
	v_mov_b32_e32 v172, 39
	s_mov_b32 s6, 40
	s_set_inst_prefetch_distance 0x1
	.p2align	6
.LBB80_820:                             ; =>This Inner Loop Header: Depth=1
	ds_load_2addr_b64 v[181:184], v173 offset1:1
	s_waitcnt lgkmcnt(1)
	v_cmp_gt_f64_e32 vcc_lo, 0, v[164:165]
	v_xor_b32_e32 v185, 0x80000000, v165
	v_cmp_gt_f64_e64 s2, 0, v[166:167]
	v_xor_b32_e32 v187, 0x80000000, v167
	v_add_nc_u32_e32 v173, 16, v173
	s_waitcnt lgkmcnt(0)
	v_cmp_gt_f64_e64 s3, 0, v[181:182]
	v_mov_b32_e32 v189, v181
	v_dual_mov_b32 v191, v183 :: v_dual_cndmask_b32 v186, v165, v185
	v_xor_b32_e32 v185, 0x80000000, v182
	v_cndmask_b32_e64 v188, v167, v187, s2
	v_xor_b32_e32 v187, 0x80000000, v184
	s_delay_alu instid0(VALU_DEP_3) | instskip(SKIP_2) | instid1(VALU_DEP_2)
	v_cndmask_b32_e64 v190, v182, v185, s3
	v_cmp_gt_f64_e64 s3, 0, v[183:184]
	v_cndmask_b32_e32 v185, v164, v164, vcc_lo
	v_cndmask_b32_e64 v192, v184, v187, s3
	v_cndmask_b32_e64 v187, v166, v166, s2
	s_delay_alu instid0(VALU_DEP_2) | instskip(NEXT) | instid1(VALU_DEP_2)
	v_add_f64 v[189:190], v[189:190], v[191:192]
	v_add_f64 v[185:186], v[185:186], v[187:188]
	s_delay_alu instid0(VALU_DEP_1) | instskip(SKIP_4) | instid1(SALU_CYCLE_1)
	v_cmp_lt_f64_e32 vcc_lo, v[185:186], v[189:190]
	v_dual_cndmask_b32 v166, v166, v183 :: v_dual_cndmask_b32 v165, v165, v182
	v_dual_cndmask_b32 v164, v164, v181 :: v_dual_cndmask_b32 v167, v167, v184
	v_cndmask_b32_e64 v172, v172, s6, vcc_lo
	s_add_i32 s6, s6, 1
	s_cmp_lg_u32 s5, s6
	s_cbranch_scc1 .LBB80_820
.LBB80_821:
	s_set_inst_prefetch_distance 0x2
	s_waitcnt lgkmcnt(0)
	v_cmp_eq_f64_e32 vcc_lo, 0, v[164:165]
	v_cmp_eq_f64_e64 s2, 0, v[166:167]
	s_delay_alu instid0(VALU_DEP_1) | instskip(NEXT) | instid1(SALU_CYCLE_1)
	s_and_b32 s2, vcc_lo, s2
	s_and_saveexec_b32 s3, s2
	s_delay_alu instid0(SALU_CYCLE_1)
	s_xor_b32 s2, exec_lo, s3
; %bb.822:
	v_cmp_ne_u32_e32 vcc_lo, 0, v177
	v_cndmask_b32_e32 v177, 40, v177, vcc_lo
; %bb.823:
	s_and_not1_saveexec_b32 s3, s2
	s_cbranch_execz .LBB80_829
; %bb.824:
	v_cmp_gt_f64_e32 vcc_lo, 0, v[164:165]
	v_cmp_gt_f64_e64 s2, 0, v[166:167]
	v_xor_b32_e32 v173, 0x80000000, v165
	v_xor_b32_e32 v181, 0x80000000, v167
	s_delay_alu instid0(VALU_DEP_2) | instskip(NEXT) | instid1(VALU_DEP_2)
	v_cndmask_b32_e32 v182, v165, v173, vcc_lo
	v_cndmask_b32_e64 v184, v167, v181, s2
	v_cndmask_b32_e32 v181, v164, v164, vcc_lo
	v_cndmask_b32_e64 v183, v166, v166, s2
	s_mov_b32 s2, exec_lo
	s_delay_alu instid0(VALU_DEP_1)
	v_cmpx_ngt_f64_e32 v[181:182], v[183:184]
	s_xor_b32 s2, exec_lo, s2
	s_cbranch_execz .LBB80_826
; %bb.825:
	v_div_scale_f64 v[181:182], null, v[166:167], v[166:167], v[164:165]
	v_div_scale_f64 v[187:188], vcc_lo, v[164:165], v[166:167], v[164:165]
	s_delay_alu instid0(VALU_DEP_2) | instskip(SKIP_2) | instid1(VALU_DEP_1)
	v_rcp_f64_e32 v[183:184], v[181:182]
	s_waitcnt_depctr 0xfff
	v_fma_f64 v[185:186], -v[181:182], v[183:184], 1.0
	v_fma_f64 v[183:184], v[183:184], v[185:186], v[183:184]
	s_delay_alu instid0(VALU_DEP_1) | instskip(NEXT) | instid1(VALU_DEP_1)
	v_fma_f64 v[185:186], -v[181:182], v[183:184], 1.0
	v_fma_f64 v[183:184], v[183:184], v[185:186], v[183:184]
	s_delay_alu instid0(VALU_DEP_1) | instskip(NEXT) | instid1(VALU_DEP_1)
	v_mul_f64 v[185:186], v[187:188], v[183:184]
	v_fma_f64 v[181:182], -v[181:182], v[185:186], v[187:188]
	s_delay_alu instid0(VALU_DEP_1) | instskip(NEXT) | instid1(VALU_DEP_1)
	v_div_fmas_f64 v[181:182], v[181:182], v[183:184], v[185:186]
	v_div_fixup_f64 v[181:182], v[181:182], v[166:167], v[164:165]
	s_delay_alu instid0(VALU_DEP_1) | instskip(NEXT) | instid1(VALU_DEP_1)
	v_fma_f64 v[164:165], v[164:165], v[181:182], v[166:167]
	v_div_scale_f64 v[166:167], null, v[164:165], v[164:165], 1.0
	s_delay_alu instid0(VALU_DEP_1) | instskip(SKIP_2) | instid1(VALU_DEP_1)
	v_rcp_f64_e32 v[183:184], v[166:167]
	s_waitcnt_depctr 0xfff
	v_fma_f64 v[185:186], -v[166:167], v[183:184], 1.0
	v_fma_f64 v[183:184], v[183:184], v[185:186], v[183:184]
	s_delay_alu instid0(VALU_DEP_1) | instskip(NEXT) | instid1(VALU_DEP_1)
	v_fma_f64 v[185:186], -v[166:167], v[183:184], 1.0
	v_fma_f64 v[183:184], v[183:184], v[185:186], v[183:184]
	v_div_scale_f64 v[185:186], vcc_lo, 1.0, v[164:165], 1.0
	s_delay_alu instid0(VALU_DEP_1) | instskip(NEXT) | instid1(VALU_DEP_1)
	v_mul_f64 v[187:188], v[185:186], v[183:184]
	v_fma_f64 v[166:167], -v[166:167], v[187:188], v[185:186]
	s_delay_alu instid0(VALU_DEP_1) | instskip(NEXT) | instid1(VALU_DEP_1)
	v_div_fmas_f64 v[166:167], v[166:167], v[183:184], v[187:188]
	v_div_fixup_f64 v[166:167], v[166:167], v[164:165], 1.0
	s_delay_alu instid0(VALU_DEP_1)
	v_mul_f64 v[164:165], v[181:182], v[166:167]
	v_xor_b32_e32 v167, 0x80000000, v167
.LBB80_826:
	s_and_not1_saveexec_b32 s2, s2
	s_cbranch_execz .LBB80_828
; %bb.827:
	s_delay_alu instid0(VALU_DEP_1) | instskip(SKIP_1) | instid1(VALU_DEP_2)
	v_div_scale_f64 v[181:182], null, v[164:165], v[164:165], v[166:167]
	v_div_scale_f64 v[187:188], vcc_lo, v[166:167], v[164:165], v[166:167]
	v_rcp_f64_e32 v[183:184], v[181:182]
	s_waitcnt_depctr 0xfff
	v_fma_f64 v[185:186], -v[181:182], v[183:184], 1.0
	s_delay_alu instid0(VALU_DEP_1) | instskip(NEXT) | instid1(VALU_DEP_1)
	v_fma_f64 v[183:184], v[183:184], v[185:186], v[183:184]
	v_fma_f64 v[185:186], -v[181:182], v[183:184], 1.0
	s_delay_alu instid0(VALU_DEP_1) | instskip(NEXT) | instid1(VALU_DEP_1)
	v_fma_f64 v[183:184], v[183:184], v[185:186], v[183:184]
	v_mul_f64 v[185:186], v[187:188], v[183:184]
	s_delay_alu instid0(VALU_DEP_1) | instskip(NEXT) | instid1(VALU_DEP_1)
	v_fma_f64 v[181:182], -v[181:182], v[185:186], v[187:188]
	v_div_fmas_f64 v[181:182], v[181:182], v[183:184], v[185:186]
	s_delay_alu instid0(VALU_DEP_1) | instskip(NEXT) | instid1(VALU_DEP_1)
	v_div_fixup_f64 v[181:182], v[181:182], v[164:165], v[166:167]
	v_fma_f64 v[164:165], v[166:167], v[181:182], v[164:165]
	s_delay_alu instid0(VALU_DEP_1) | instskip(NEXT) | instid1(VALU_DEP_1)
	v_div_scale_f64 v[166:167], null, v[164:165], v[164:165], 1.0
	v_rcp_f64_e32 v[183:184], v[166:167]
	s_waitcnt_depctr 0xfff
	v_fma_f64 v[185:186], -v[166:167], v[183:184], 1.0
	s_delay_alu instid0(VALU_DEP_1) | instskip(NEXT) | instid1(VALU_DEP_1)
	v_fma_f64 v[183:184], v[183:184], v[185:186], v[183:184]
	v_fma_f64 v[185:186], -v[166:167], v[183:184], 1.0
	s_delay_alu instid0(VALU_DEP_1) | instskip(SKIP_1) | instid1(VALU_DEP_1)
	v_fma_f64 v[183:184], v[183:184], v[185:186], v[183:184]
	v_div_scale_f64 v[185:186], vcc_lo, 1.0, v[164:165], 1.0
	v_mul_f64 v[187:188], v[185:186], v[183:184]
	s_delay_alu instid0(VALU_DEP_1) | instskip(NEXT) | instid1(VALU_DEP_1)
	v_fma_f64 v[166:167], -v[166:167], v[187:188], v[185:186]
	v_div_fmas_f64 v[166:167], v[166:167], v[183:184], v[187:188]
	s_delay_alu instid0(VALU_DEP_1) | instskip(NEXT) | instid1(VALU_DEP_1)
	v_div_fixup_f64 v[164:165], v[166:167], v[164:165], 1.0
	v_mul_f64 v[166:167], v[181:182], -v[164:165]
.LBB80_828:
	s_or_b32 exec_lo, exec_lo, s2
.LBB80_829:
	s_delay_alu instid0(SALU_CYCLE_1) | instskip(NEXT) | instid1(SALU_CYCLE_1)
	s_or_b32 exec_lo, exec_lo, s3
	s_mov_b32 s2, exec_lo
	v_cmpx_ne_u32_e64 v180, v172
	s_xor_b32 s2, exec_lo, s2
	s_cbranch_execz .LBB80_835
; %bb.830:
	s_mov_b32 s3, exec_lo
	v_cmpx_eq_u32_e32 39, v180
	s_cbranch_execz .LBB80_834
; %bb.831:
	v_cmp_ne_u32_e32 vcc_lo, 39, v172
	s_xor_b32 s6, s4, -1
	s_delay_alu instid0(SALU_CYCLE_1) | instskip(NEXT) | instid1(SALU_CYCLE_1)
	s_and_b32 s7, s6, vcc_lo
	s_and_saveexec_b32 s6, s7
	s_cbranch_execz .LBB80_833
; %bb.832:
	v_ashrrev_i32_e32 v173, 31, v172
	s_delay_alu instid0(VALU_DEP_1) | instskip(NEXT) | instid1(VALU_DEP_1)
	v_lshlrev_b64 v[179:180], 2, v[172:173]
	v_add_co_u32 v179, vcc_lo, v170, v179
	s_delay_alu instid0(VALU_DEP_2)
	v_add_co_ci_u32_e32 v180, vcc_lo, v171, v180, vcc_lo
	s_clause 0x1
	flat_load_b32 v173, v[179:180]
	flat_load_b32 v181, v[170:171] offset:156
	s_waitcnt vmcnt(1) lgkmcnt(1)
	flat_store_b32 v[170:171], v173 offset:156
	s_waitcnt vmcnt(0) lgkmcnt(1)
	flat_store_b32 v[179:180], v181
.LBB80_833:
	s_or_b32 exec_lo, exec_lo, s6
	v_mov_b32_e32 v180, v172
	v_mov_b32_e32 v179, v172
.LBB80_834:
	s_or_b32 exec_lo, exec_lo, s3
.LBB80_835:
	s_and_not1_saveexec_b32 s2, s2
	s_cbranch_execz .LBB80_837
; %bb.836:
	v_mov_b32_e32 v180, 39
	ds_store_2addr_b64 v174, v[0:1], v[2:3] offset0:80 offset1:81
.LBB80_837:
	s_or_b32 exec_lo, exec_lo, s2
	s_delay_alu instid0(SALU_CYCLE_1)
	s_mov_b32 s2, exec_lo
	s_waitcnt lgkmcnt(0)
	s_waitcnt_vscnt null, 0x0
	s_barrier
	buffer_gl0_inv
	v_cmpx_lt_i32_e32 39, v180
	s_cbranch_execz .LBB80_839
; %bb.838:
	v_mul_f64 v[172:173], v[164:165], v[6:7]
	v_mul_f64 v[6:7], v[166:167], v[6:7]
	ds_load_2addr_b64 v[181:184], v174 offset0:80 offset1:81
	v_fma_f64 v[166:167], v[166:167], v[4:5], v[172:173]
	v_fma_f64 v[4:5], v[164:165], v[4:5], -v[6:7]
	s_waitcnt lgkmcnt(0)
	s_delay_alu instid0(VALU_DEP_2) | instskip(SKIP_1) | instid1(VALU_DEP_2)
	v_mul_f64 v[6:7], v[183:184], v[166:167]
	v_mul_f64 v[164:165], v[181:182], v[166:167]
	v_fma_f64 v[6:7], v[181:182], v[4:5], -v[6:7]
	s_delay_alu instid0(VALU_DEP_2) | instskip(NEXT) | instid1(VALU_DEP_2)
	v_fma_f64 v[164:165], v[183:184], v[4:5], v[164:165]
	v_add_f64 v[0:1], v[0:1], -v[6:7]
	s_delay_alu instid0(VALU_DEP_2)
	v_add_f64 v[2:3], v[2:3], -v[164:165]
	v_dual_mov_b32 v6, v166 :: v_dual_mov_b32 v7, v167
.LBB80_839:
	s_or_b32 exec_lo, exec_lo, s2
	v_lshl_add_u32 v164, v180, 4, v174
	s_barrier
	buffer_gl0_inv
	v_mov_b32_e32 v172, 40
	ds_store_2addr_b64 v164, v[0:1], v[2:3] offset1:1
	s_waitcnt lgkmcnt(0)
	s_barrier
	buffer_gl0_inv
	ds_load_2addr_b64 v[164:167], v174 offset0:80 offset1:81
	s_cmp_lt_i32 s5, 42
	s_cbranch_scc1 .LBB80_842
; %bb.840:
	v_add3_u32 v173, v178, 0, 0x290
	v_mov_b32_e32 v172, 40
	s_mov_b32 s6, 41
	s_set_inst_prefetch_distance 0x1
	.p2align	6
.LBB80_841:                             ; =>This Inner Loop Header: Depth=1
	ds_load_2addr_b64 v[181:184], v173 offset1:1
	s_waitcnt lgkmcnt(1)
	v_cmp_gt_f64_e32 vcc_lo, 0, v[164:165]
	v_xor_b32_e32 v174, 0x80000000, v165
	v_cmp_gt_f64_e64 s2, 0, v[166:167]
	v_xor_b32_e32 v178, 0x80000000, v167
	v_add_nc_u32_e32 v173, 16, v173
	s_waitcnt lgkmcnt(0)
	v_cmp_gt_f64_e64 s3, 0, v[181:182]
	v_mov_b32_e32 v189, v181
	v_dual_mov_b32 v191, v183 :: v_dual_cndmask_b32 v186, v165, v174
	v_xor_b32_e32 v174, 0x80000000, v182
	v_cndmask_b32_e64 v188, v167, v178, s2
	v_xor_b32_e32 v178, 0x80000000, v184
	v_cndmask_b32_e32 v185, v164, v164, vcc_lo
	v_cndmask_b32_e64 v187, v166, v166, s2
	s_delay_alu instid0(VALU_DEP_1) | instskip(SKIP_2) | instid1(VALU_DEP_1)
	v_add_f64 v[185:186], v[185:186], v[187:188]
	v_cndmask_b32_e64 v190, v182, v174, s3
	v_cmp_gt_f64_e64 s3, 0, v[183:184]
	v_cndmask_b32_e64 v192, v184, v178, s3
	s_delay_alu instid0(VALU_DEP_1) | instskip(NEXT) | instid1(VALU_DEP_1)
	v_add_f64 v[189:190], v[189:190], v[191:192]
	v_cmp_lt_f64_e32 vcc_lo, v[185:186], v[189:190]
	v_dual_cndmask_b32 v166, v166, v183 :: v_dual_cndmask_b32 v165, v165, v182
	v_dual_cndmask_b32 v164, v164, v181 :: v_dual_cndmask_b32 v167, v167, v184
	v_cndmask_b32_e64 v172, v172, s6, vcc_lo
	s_add_i32 s6, s6, 1
	s_delay_alu instid0(SALU_CYCLE_1)
	s_cmp_lg_u32 s5, s6
	s_cbranch_scc1 .LBB80_841
.LBB80_842:
	s_set_inst_prefetch_distance 0x2
	s_waitcnt lgkmcnt(0)
	v_cmp_eq_f64_e32 vcc_lo, 0, v[164:165]
	v_cmp_eq_f64_e64 s2, 0, v[166:167]
	s_delay_alu instid0(VALU_DEP_1) | instskip(NEXT) | instid1(SALU_CYCLE_1)
	s_and_b32 s2, vcc_lo, s2
	s_and_saveexec_b32 s3, s2
	s_delay_alu instid0(SALU_CYCLE_1)
	s_xor_b32 s2, exec_lo, s3
; %bb.843:
	v_cmp_ne_u32_e32 vcc_lo, 0, v177
	v_cndmask_b32_e32 v177, 41, v177, vcc_lo
; %bb.844:
	s_and_not1_saveexec_b32 s3, s2
	s_cbranch_execz .LBB80_850
; %bb.845:
	v_cmp_gt_f64_e32 vcc_lo, 0, v[164:165]
	v_cmp_gt_f64_e64 s2, 0, v[166:167]
	v_xor_b32_e32 v173, 0x80000000, v165
	v_xor_b32_e32 v178, 0x80000000, v167
	s_delay_alu instid0(VALU_DEP_2) | instskip(NEXT) | instid1(VALU_DEP_2)
	v_dual_cndmask_b32 v174, v165, v173 :: v_dual_cndmask_b32 v173, v164, v164
	v_cndmask_b32_e64 v182, v167, v178, s2
	v_cndmask_b32_e64 v181, v166, v166, s2
	s_mov_b32 s2, exec_lo
	s_delay_alu instid0(VALU_DEP_1)
	v_cmpx_ngt_f64_e32 v[173:174], v[181:182]
	s_xor_b32 s2, exec_lo, s2
	s_cbranch_execz .LBB80_847
; %bb.846:
	v_div_scale_f64 v[173:174], null, v[166:167], v[166:167], v[164:165]
	v_div_scale_f64 v[185:186], vcc_lo, v[164:165], v[166:167], v[164:165]
	s_delay_alu instid0(VALU_DEP_2) | instskip(SKIP_2) | instid1(VALU_DEP_1)
	v_rcp_f64_e32 v[181:182], v[173:174]
	s_waitcnt_depctr 0xfff
	v_fma_f64 v[183:184], -v[173:174], v[181:182], 1.0
	v_fma_f64 v[181:182], v[181:182], v[183:184], v[181:182]
	s_delay_alu instid0(VALU_DEP_1) | instskip(NEXT) | instid1(VALU_DEP_1)
	v_fma_f64 v[183:184], -v[173:174], v[181:182], 1.0
	v_fma_f64 v[181:182], v[181:182], v[183:184], v[181:182]
	s_delay_alu instid0(VALU_DEP_1) | instskip(NEXT) | instid1(VALU_DEP_1)
	v_mul_f64 v[183:184], v[185:186], v[181:182]
	v_fma_f64 v[173:174], -v[173:174], v[183:184], v[185:186]
	s_delay_alu instid0(VALU_DEP_1) | instskip(NEXT) | instid1(VALU_DEP_1)
	v_div_fmas_f64 v[173:174], v[173:174], v[181:182], v[183:184]
	v_div_fixup_f64 v[173:174], v[173:174], v[166:167], v[164:165]
	s_delay_alu instid0(VALU_DEP_1) | instskip(NEXT) | instid1(VALU_DEP_1)
	v_fma_f64 v[164:165], v[164:165], v[173:174], v[166:167]
	v_div_scale_f64 v[166:167], null, v[164:165], v[164:165], 1.0
	s_delay_alu instid0(VALU_DEP_1) | instskip(SKIP_2) | instid1(VALU_DEP_1)
	v_rcp_f64_e32 v[181:182], v[166:167]
	s_waitcnt_depctr 0xfff
	v_fma_f64 v[183:184], -v[166:167], v[181:182], 1.0
	v_fma_f64 v[181:182], v[181:182], v[183:184], v[181:182]
	s_delay_alu instid0(VALU_DEP_1) | instskip(NEXT) | instid1(VALU_DEP_1)
	v_fma_f64 v[183:184], -v[166:167], v[181:182], 1.0
	v_fma_f64 v[181:182], v[181:182], v[183:184], v[181:182]
	v_div_scale_f64 v[183:184], vcc_lo, 1.0, v[164:165], 1.0
	s_delay_alu instid0(VALU_DEP_1) | instskip(NEXT) | instid1(VALU_DEP_1)
	v_mul_f64 v[185:186], v[183:184], v[181:182]
	v_fma_f64 v[166:167], -v[166:167], v[185:186], v[183:184]
	s_delay_alu instid0(VALU_DEP_1) | instskip(NEXT) | instid1(VALU_DEP_1)
	v_div_fmas_f64 v[166:167], v[166:167], v[181:182], v[185:186]
	v_div_fixup_f64 v[166:167], v[166:167], v[164:165], 1.0
	s_delay_alu instid0(VALU_DEP_1)
	v_mul_f64 v[164:165], v[173:174], v[166:167]
	v_xor_b32_e32 v167, 0x80000000, v167
.LBB80_847:
	s_and_not1_saveexec_b32 s2, s2
	s_cbranch_execz .LBB80_849
; %bb.848:
	s_delay_alu instid0(VALU_DEP_1) | instskip(SKIP_1) | instid1(VALU_DEP_2)
	v_div_scale_f64 v[173:174], null, v[164:165], v[164:165], v[166:167]
	v_div_scale_f64 v[185:186], vcc_lo, v[166:167], v[164:165], v[166:167]
	v_rcp_f64_e32 v[181:182], v[173:174]
	s_waitcnt_depctr 0xfff
	v_fma_f64 v[183:184], -v[173:174], v[181:182], 1.0
	s_delay_alu instid0(VALU_DEP_1) | instskip(NEXT) | instid1(VALU_DEP_1)
	v_fma_f64 v[181:182], v[181:182], v[183:184], v[181:182]
	v_fma_f64 v[183:184], -v[173:174], v[181:182], 1.0
	s_delay_alu instid0(VALU_DEP_1) | instskip(NEXT) | instid1(VALU_DEP_1)
	v_fma_f64 v[181:182], v[181:182], v[183:184], v[181:182]
	v_mul_f64 v[183:184], v[185:186], v[181:182]
	s_delay_alu instid0(VALU_DEP_1) | instskip(NEXT) | instid1(VALU_DEP_1)
	v_fma_f64 v[173:174], -v[173:174], v[183:184], v[185:186]
	v_div_fmas_f64 v[173:174], v[173:174], v[181:182], v[183:184]
	s_delay_alu instid0(VALU_DEP_1) | instskip(NEXT) | instid1(VALU_DEP_1)
	v_div_fixup_f64 v[173:174], v[173:174], v[164:165], v[166:167]
	v_fma_f64 v[164:165], v[166:167], v[173:174], v[164:165]
	s_delay_alu instid0(VALU_DEP_1) | instskip(NEXT) | instid1(VALU_DEP_1)
	v_div_scale_f64 v[166:167], null, v[164:165], v[164:165], 1.0
	v_rcp_f64_e32 v[181:182], v[166:167]
	s_waitcnt_depctr 0xfff
	v_fma_f64 v[183:184], -v[166:167], v[181:182], 1.0
	s_delay_alu instid0(VALU_DEP_1) | instskip(NEXT) | instid1(VALU_DEP_1)
	v_fma_f64 v[181:182], v[181:182], v[183:184], v[181:182]
	v_fma_f64 v[183:184], -v[166:167], v[181:182], 1.0
	s_delay_alu instid0(VALU_DEP_1) | instskip(SKIP_1) | instid1(VALU_DEP_1)
	v_fma_f64 v[181:182], v[181:182], v[183:184], v[181:182]
	v_div_scale_f64 v[183:184], vcc_lo, 1.0, v[164:165], 1.0
	v_mul_f64 v[185:186], v[183:184], v[181:182]
	s_delay_alu instid0(VALU_DEP_1) | instskip(NEXT) | instid1(VALU_DEP_1)
	v_fma_f64 v[166:167], -v[166:167], v[185:186], v[183:184]
	v_div_fmas_f64 v[166:167], v[166:167], v[181:182], v[185:186]
	s_delay_alu instid0(VALU_DEP_1) | instskip(NEXT) | instid1(VALU_DEP_1)
	v_div_fixup_f64 v[164:165], v[166:167], v[164:165], 1.0
	v_mul_f64 v[166:167], v[173:174], -v[164:165]
.LBB80_849:
	s_or_b32 exec_lo, exec_lo, s2
.LBB80_850:
	s_delay_alu instid0(SALU_CYCLE_1)
	s_or_b32 exec_lo, exec_lo, s3
	v_mov_b32_e32 v173, 40
	s_mov_b32 s2, exec_lo
	v_cmpx_ne_u32_e64 v180, v172
	s_cbranch_execz .LBB80_856
; %bb.851:
	s_mov_b32 s3, exec_lo
	v_cmpx_eq_u32_e32 40, v180
	s_cbranch_execz .LBB80_855
; %bb.852:
	v_cmp_ne_u32_e32 vcc_lo, 40, v172
	s_xor_b32 s4, s4, -1
	s_delay_alu instid0(SALU_CYCLE_1) | instskip(NEXT) | instid1(SALU_CYCLE_1)
	s_and_b32 s5, s4, vcc_lo
	s_and_saveexec_b32 s4, s5
	s_cbranch_execz .LBB80_854
; %bb.853:
	v_ashrrev_i32_e32 v173, 31, v172
	s_delay_alu instid0(VALU_DEP_1) | instskip(NEXT) | instid1(VALU_DEP_1)
	v_lshlrev_b64 v[173:174], 2, v[172:173]
	v_add_co_u32 v173, vcc_lo, v170, v173
	s_delay_alu instid0(VALU_DEP_2)
	v_add_co_ci_u32_e32 v174, vcc_lo, v171, v174, vcc_lo
	s_clause 0x1
	flat_load_b32 v178, v[173:174]
	flat_load_b32 v179, v[170:171] offset:160
	s_waitcnt vmcnt(1) lgkmcnt(1)
	flat_store_b32 v[170:171], v178 offset:160
	s_waitcnt vmcnt(0) lgkmcnt(1)
	flat_store_b32 v[173:174], v179
.LBB80_854:
	s_or_b32 exec_lo, exec_lo, s4
	v_mov_b32_e32 v180, v172
	v_mov_b32_e32 v179, v172
.LBB80_855:
	s_or_b32 exec_lo, exec_lo, s3
	s_delay_alu instid0(VALU_DEP_2)
	v_mov_b32_e32 v173, v180
.LBB80_856:
	s_or_b32 exec_lo, exec_lo, s2
	s_delay_alu instid0(SALU_CYCLE_1)
	s_mov_b32 s2, exec_lo
	s_waitcnt lgkmcnt(0)
	s_waitcnt_vscnt null, 0x0
	s_barrier
	buffer_gl0_inv
	v_cmpx_lt_i32_e32 40, v173
; %bb.857:
	v_mul_f64 v[170:171], v[166:167], v[2:3]
	v_mul_f64 v[2:3], v[164:165], v[2:3]
	s_delay_alu instid0(VALU_DEP_2) | instskip(NEXT) | instid1(VALU_DEP_2)
	v_fma_f64 v[164:165], v[164:165], v[0:1], -v[170:171]
	v_fma_f64 v[2:3], v[166:167], v[0:1], v[2:3]
	s_delay_alu instid0(VALU_DEP_2)
	v_dual_mov_b32 v0, v164 :: v_dual_mov_b32 v1, v165
; %bb.858:
	s_or_b32 exec_lo, exec_lo, s2
	s_load_b256 s[0:7], s[0:1], 0x28
	v_ashrrev_i32_e32 v174, 31, v173
	s_mov_b32 s9, exec_lo
	s_waitcnt lgkmcnt(0)
	s_barrier
	buffer_gl0_inv
	v_cmpx_gt_i32_e32 41, v173
	s_cbranch_execz .LBB80_860
; %bb.859:
	v_mul_lo_u32 v166, v169, s4
	v_mul_lo_u32 v167, v168, s5
	v_mad_u64_u32 v[164:165], null, v168, s4, 0
	s_lshl_b64 s[2:3], s[2:3], 2
	s_delay_alu instid0(SALU_CYCLE_1) | instskip(SKIP_1) | instid1(VALU_DEP_1)
	s_add_u32 s0, s2, s0
	s_addc_u32 s1, s3, s1
	v_add3_u32 v165, v165, v167, v166
	v_lshlrev_b64 v[166:167], 2, v[173:174]
	s_delay_alu instid0(VALU_DEP_2) | instskip(NEXT) | instid1(VALU_DEP_1)
	v_lshlrev_b64 v[164:165], 2, v[164:165]
	v_add_co_u32 v164, vcc_lo, s0, v164
	s_delay_alu instid0(VALU_DEP_2) | instskip(NEXT) | instid1(VALU_DEP_2)
	v_add_co_ci_u32_e32 v165, vcc_lo, s1, v165, vcc_lo
	v_add_co_u32 v164, vcc_lo, v164, v166
	s_delay_alu instid0(VALU_DEP_2)
	v_add_co_ci_u32_e32 v165, vcc_lo, v165, v167, vcc_lo
	v_add3_u32 v166, v179, s13, 1
	global_store_b32 v[164:165], v166, off
.LBB80_860:
	s_or_b32 exec_lo, exec_lo, s9
	s_delay_alu instid0(SALU_CYCLE_1)
	s_mov_b32 s1, exec_lo
	v_cmpx_eq_u32_e32 0, v173
	s_cbranch_execz .LBB80_863
; %bb.861:
	v_lshlrev_b64 v[164:165], 2, v[168:169]
	v_cmp_lt_i32_e64 s0, 0, v177
	s_delay_alu instid0(VALU_DEP_2) | instskip(NEXT) | instid1(VALU_DEP_3)
	v_add_co_u32 v164, vcc_lo, s6, v164
	v_add_co_ci_u32_e32 v165, vcc_lo, s7, v165, vcc_lo
	global_load_b32 v166, v[164:165], off
	s_waitcnt vmcnt(0)
	v_cmp_eq_u32_e32 vcc_lo, 0, v166
	s_and_b32 s0, vcc_lo, s0
	s_delay_alu instid0(SALU_CYCLE_1)
	s_and_b32 exec_lo, exec_lo, s0
	s_cbranch_execz .LBB80_863
; %bb.862:
	v_add_nc_u32_e32 v166, s13, v177
	global_store_b32 v[164:165], v166, off
.LBB80_863:
	s_or_b32 exec_lo, exec_lo, s1
	v_add3_u32 v164, s8, s8, v173
	v_lshlrev_b64 v[166:167], 4, v[173:174]
	s_delay_alu instid0(VALU_DEP_2) | instskip(SKIP_1) | instid1(VALU_DEP_3)
	v_add_nc_u32_e32 v168, s8, v164
	v_ashrrev_i32_e32 v165, 31, v164
	v_add_co_u32 v166, vcc_lo, v175, v166
	s_delay_alu instid0(VALU_DEP_4) | instskip(NEXT) | instid1(VALU_DEP_4)
	v_add_co_ci_u32_e32 v167, vcc_lo, v176, v167, vcc_lo
	v_ashrrev_i32_e32 v169, 31, v168
	s_delay_alu instid0(VALU_DEP_4)
	v_lshlrev_b64 v[164:165], 4, v[164:165]
	global_store_b128 v[166:167], v[160:163], off
	v_add_co_u32 v160, vcc_lo, v166, s10
	v_lshlrev_b64 v[162:163], 4, v[168:169]
	v_add_co_ci_u32_e32 v161, vcc_lo, s11, v167, vcc_lo
	v_add_nc_u32_e32 v166, s8, v168
	v_add_co_u32 v164, vcc_lo, v175, v164
	v_add_co_ci_u32_e32 v165, vcc_lo, v176, v165, vcc_lo
	v_add_co_u32 v162, vcc_lo, v175, v162
	s_delay_alu instid0(VALU_DEP_4)
	v_add_nc_u32_e32 v168, s8, v166
	v_add_co_ci_u32_e32 v163, vcc_lo, v176, v163, vcc_lo
	v_ashrrev_i32_e32 v167, 31, v166
	global_store_b128 v[160:161], v[156:159], off
	v_ashrrev_i32_e32 v169, 31, v168
	s_clause 0x1
	global_store_b128 v[164:165], v[152:155], off
	global_store_b128 v[162:163], v[148:151], off
	v_add_nc_u32_e32 v150, s8, v168
	v_lshlrev_b64 v[156:157], 4, v[166:167]
	v_lshlrev_b64 v[148:149], 4, v[168:169]
	s_delay_alu instid0(VALU_DEP_3) | instskip(SKIP_1) | instid1(VALU_DEP_4)
	v_add_nc_u32_e32 v154, s8, v150
	v_ashrrev_i32_e32 v151, 31, v150
	v_add_co_u32 v152, vcc_lo, v175, v156
	v_add_co_ci_u32_e32 v153, vcc_lo, v176, v157, vcc_lo
	s_delay_alu instid0(VALU_DEP_4)
	v_add_nc_u32_e32 v156, s8, v154
	v_add_co_u32 v148, vcc_lo, v175, v148
	v_ashrrev_i32_e32 v155, 31, v154
	v_add_co_ci_u32_e32 v149, vcc_lo, v176, v149, vcc_lo
	v_lshlrev_b64 v[150:151], 4, v[150:151]
	v_ashrrev_i32_e32 v157, 31, v156
	s_clause 0x1
	global_store_b128 v[152:153], v[144:147], off
	global_store_b128 v[148:149], v[140:143], off
	v_lshlrev_b64 v[140:141], 4, v[154:155]
	v_add_nc_u32_e32 v146, s8, v156
	v_add_co_u32 v142, vcc_lo, v175, v150
	v_lshlrev_b64 v[144:145], 4, v[156:157]
	v_add_co_ci_u32_e32 v143, vcc_lo, v176, v151, vcc_lo
	v_add_co_u32 v140, vcc_lo, v175, v140
	v_add_co_ci_u32_e32 v141, vcc_lo, v176, v141, vcc_lo
	s_delay_alu instid0(VALU_DEP_4)
	v_add_co_u32 v144, vcc_lo, v175, v144
	v_add_nc_u32_e32 v148, s8, v146
	v_add_co_ci_u32_e32 v145, vcc_lo, v176, v145, vcc_lo
	v_ashrrev_i32_e32 v147, 31, v146
	global_store_b128 v[142:143], v[136:139], off
	v_ashrrev_i32_e32 v149, 31, v148
	s_clause 0x1
	global_store_b128 v[140:141], v[132:135], off
	global_store_b128 v[144:145], v[128:131], off
	v_add_nc_u32_e32 v130, s8, v148
	v_lshlrev_b64 v[136:137], 4, v[146:147]
	v_lshlrev_b64 v[128:129], 4, v[148:149]
	s_delay_alu instid0(VALU_DEP_3) | instskip(SKIP_1) | instid1(VALU_DEP_4)
	v_add_nc_u32_e32 v134, s8, v130
	v_ashrrev_i32_e32 v131, 31, v130
	v_add_co_u32 v132, vcc_lo, v175, v136
	v_add_co_ci_u32_e32 v133, vcc_lo, v176, v137, vcc_lo
	s_delay_alu instid0(VALU_DEP_4)
	v_add_nc_u32_e32 v136, s8, v134
	v_add_co_u32 v128, vcc_lo, v175, v128
	v_ashrrev_i32_e32 v135, 31, v134
	v_add_co_ci_u32_e32 v129, vcc_lo, v176, v129, vcc_lo
	v_lshlrev_b64 v[130:131], 4, v[130:131]
	v_ashrrev_i32_e32 v137, 31, v136
	s_clause 0x1
	global_store_b128 v[132:133], v[124:127], off
	global_store_b128 v[128:129], v[120:123], off
	v_lshlrev_b64 v[120:121], 4, v[134:135]
	v_add_nc_u32_e32 v126, s8, v136
	v_add_co_u32 v122, vcc_lo, v175, v130
	v_lshlrev_b64 v[124:125], 4, v[136:137]
	v_add_co_ci_u32_e32 v123, vcc_lo, v176, v131, vcc_lo
	v_add_co_u32 v120, vcc_lo, v175, v120
	v_add_co_ci_u32_e32 v121, vcc_lo, v176, v121, vcc_lo
	s_delay_alu instid0(VALU_DEP_4)
	v_add_co_u32 v124, vcc_lo, v175, v124
	;; [unrolled: 35-line block ×5, first 2 shown]
	v_add_nc_u32_e32 v68, s8, v66
	v_add_co_ci_u32_e32 v65, vcc_lo, v176, v65, vcc_lo
	v_ashrrev_i32_e32 v67, 31, v66
	global_store_b128 v[62:63], v[56:59], off
	v_ashrrev_i32_e32 v69, 31, v68
	s_clause 0x1
	global_store_b128 v[60:61], v[52:55], off
	global_store_b128 v[64:65], v[48:51], off
	v_add_nc_u32_e32 v50, s8, v68
	v_lshlrev_b64 v[56:57], 4, v[66:67]
	v_lshlrev_b64 v[48:49], 4, v[68:69]
	s_delay_alu instid0(VALU_DEP_3) | instskip(SKIP_1) | instid1(VALU_DEP_4)
	v_add_nc_u32_e32 v54, s8, v50
	v_ashrrev_i32_e32 v51, 31, v50
	v_add_co_u32 v52, vcc_lo, v175, v56
	v_add_co_ci_u32_e32 v53, vcc_lo, v176, v57, vcc_lo
	s_delay_alu instid0(VALU_DEP_4)
	v_add_nc_u32_e32 v56, s8, v54
	v_add_co_u32 v48, vcc_lo, v175, v48
	v_ashrrev_i32_e32 v55, 31, v54
	v_add_co_ci_u32_e32 v49, vcc_lo, v176, v49, vcc_lo
	v_lshlrev_b64 v[50:51], 4, v[50:51]
	v_ashrrev_i32_e32 v57, 31, v56
	s_clause 0x1
	global_store_b128 v[52:53], v[44:47], off
	global_store_b128 v[48:49], v[40:43], off
	v_lshlrev_b64 v[40:41], 4, v[54:55]
	v_add_nc_u32_e32 v46, s8, v56
	v_add_co_u32 v42, vcc_lo, v175, v50
	v_lshlrev_b64 v[44:45], 4, v[56:57]
	v_add_co_ci_u32_e32 v43, vcc_lo, v176, v51, vcc_lo
	v_add_co_u32 v40, vcc_lo, v175, v40
	v_add_nc_u32_e32 v48, s8, v46
	v_add_co_ci_u32_e32 v41, vcc_lo, v176, v41, vcc_lo
	v_ashrrev_i32_e32 v47, 31, v46
	v_add_co_u32 v44, vcc_lo, v175, v44
	v_add_co_ci_u32_e32 v45, vcc_lo, v176, v45, vcc_lo
	v_ashrrev_i32_e32 v49, 31, v48
	global_store_b128 v[42:43], v[36:39], off
	v_lshlrev_b64 v[36:37], 4, v[46:47]
	s_clause 0x1
	global_store_b128 v[40:41], v[32:35], off
	global_store_b128 v[44:45], v[28:31], off
	v_add_nc_u32_e32 v30, s8, v48
	v_lshlrev_b64 v[28:29], 4, v[48:49]
	v_add_co_u32 v32, vcc_lo, v175, v36
	s_delay_alu instid0(VALU_DEP_3) | instskip(SKIP_1) | instid1(VALU_DEP_4)
	v_add_nc_u32_e32 v34, s8, v30
	v_add_co_ci_u32_e32 v33, vcc_lo, v176, v37, vcc_lo
	v_add_co_u32 v28, vcc_lo, v175, v28
	v_add_co_ci_u32_e32 v29, vcc_lo, v176, v29, vcc_lo
	s_delay_alu instid0(VALU_DEP_4)
	v_add_nc_u32_e32 v36, s8, v34
	v_ashrrev_i32_e32 v31, 31, v30
	s_clause 0x1
	global_store_b128 v[32:33], v[24:27], off
	global_store_b128 v[28:29], v[20:23], off
	v_ashrrev_i32_e32 v35, 31, v34
	v_add_nc_u32_e32 v22, s8, v36
	v_lshlrev_b64 v[24:25], 4, v[30:31]
	v_ashrrev_i32_e32 v37, 31, v36
	s_delay_alu instid0(VALU_DEP_4) | instskip(NEXT) | instid1(VALU_DEP_4)
	v_lshlrev_b64 v[20:21], 4, v[34:35]
	v_add_nc_u32_e32 v28, s8, v22
	v_ashrrev_i32_e32 v23, 31, v22
	v_add_co_u32 v24, vcc_lo, v175, v24
	v_lshlrev_b64 v[26:27], 4, v[36:37]
	s_delay_alu instid0(VALU_DEP_4)
	v_ashrrev_i32_e32 v29, 31, v28
	v_add_co_ci_u32_e32 v25, vcc_lo, v176, v25, vcc_lo
	v_add_co_u32 v20, vcc_lo, v175, v20
	v_lshlrev_b64 v[22:23], 4, v[22:23]
	v_add_co_ci_u32_e32 v21, vcc_lo, v176, v21, vcc_lo
	v_add_co_u32 v26, vcc_lo, v175, v26
	v_lshlrev_b64 v[28:29], 4, v[28:29]
	v_add_co_ci_u32_e32 v27, vcc_lo, v176, v27, vcc_lo
	v_add_co_u32 v22, vcc_lo, v175, v22
	v_add_co_ci_u32_e32 v23, vcc_lo, v176, v23, vcc_lo
	s_delay_alu instid0(VALU_DEP_4)
	v_add_co_u32 v28, vcc_lo, v175, v28
	v_add_co_ci_u32_e32 v29, vcc_lo, v176, v29, vcc_lo
	s_clause 0x4
	global_store_b128 v[24:25], v[16:19], off
	global_store_b128 v[20:21], v[12:15], off
	;; [unrolled: 1-line block ×5, first 2 shown]
.LBB80_864:
	s_nop 0
	s_sendmsg sendmsg(MSG_DEALLOC_VGPRS)
	s_endpgm
	.section	.rodata,"a",@progbits
	.p2align	6, 0x0
	.amdhsa_kernel _ZN9rocsolver6v33100L18getf2_small_kernelILi41E19rocblas_complex_numIdEiiPKPS3_EEvT1_T3_lS7_lPS7_llPT2_S7_S7_S9_l
		.amdhsa_group_segment_fixed_size 0
		.amdhsa_private_segment_fixed_size 0
		.amdhsa_kernarg_size 352
		.amdhsa_user_sgpr_count 14
		.amdhsa_user_sgpr_dispatch_ptr 0
		.amdhsa_user_sgpr_queue_ptr 0
		.amdhsa_user_sgpr_kernarg_segment_ptr 1
		.amdhsa_user_sgpr_dispatch_id 0
		.amdhsa_user_sgpr_private_segment_size 0
		.amdhsa_wavefront_size32 1
		.amdhsa_uses_dynamic_stack 0
		.amdhsa_enable_private_segment 0
		.amdhsa_system_sgpr_workgroup_id_x 1
		.amdhsa_system_sgpr_workgroup_id_y 1
		.amdhsa_system_sgpr_workgroup_id_z 0
		.amdhsa_system_sgpr_workgroup_info 0
		.amdhsa_system_vgpr_workitem_id 1
		.amdhsa_next_free_vgpr 247
		.amdhsa_next_free_sgpr 16
		.amdhsa_reserve_vcc 1
		.amdhsa_float_round_mode_32 0
		.amdhsa_float_round_mode_16_64 0
		.amdhsa_float_denorm_mode_32 3
		.amdhsa_float_denorm_mode_16_64 3
		.amdhsa_dx10_clamp 1
		.amdhsa_ieee_mode 1
		.amdhsa_fp16_overflow 0
		.amdhsa_workgroup_processor_mode 1
		.amdhsa_memory_ordered 1
		.amdhsa_forward_progress 0
		.amdhsa_shared_vgpr_count 0
		.amdhsa_exception_fp_ieee_invalid_op 0
		.amdhsa_exception_fp_denorm_src 0
		.amdhsa_exception_fp_ieee_div_zero 0
		.amdhsa_exception_fp_ieee_overflow 0
		.amdhsa_exception_fp_ieee_underflow 0
		.amdhsa_exception_fp_ieee_inexact 0
		.amdhsa_exception_int_div_zero 0
	.end_amdhsa_kernel
	.section	.text._ZN9rocsolver6v33100L18getf2_small_kernelILi41E19rocblas_complex_numIdEiiPKPS3_EEvT1_T3_lS7_lPS7_llPT2_S7_S7_S9_l,"axG",@progbits,_ZN9rocsolver6v33100L18getf2_small_kernelILi41E19rocblas_complex_numIdEiiPKPS3_EEvT1_T3_lS7_lPS7_llPT2_S7_S7_S9_l,comdat
.Lfunc_end80:
	.size	_ZN9rocsolver6v33100L18getf2_small_kernelILi41E19rocblas_complex_numIdEiiPKPS3_EEvT1_T3_lS7_lPS7_llPT2_S7_S7_S9_l, .Lfunc_end80-_ZN9rocsolver6v33100L18getf2_small_kernelILi41E19rocblas_complex_numIdEiiPKPS3_EEvT1_T3_lS7_lPS7_llPT2_S7_S7_S9_l
                                        ; -- End function
	.section	.AMDGPU.csdata,"",@progbits
; Kernel info:
; codeLenInByte = 113120
; NumSgprs: 18
; NumVgprs: 247
; ScratchSize: 0
; MemoryBound: 0
; FloatMode: 240
; IeeeMode: 1
; LDSByteSize: 0 bytes/workgroup (compile time only)
; SGPRBlocks: 2
; VGPRBlocks: 30
; NumSGPRsForWavesPerEU: 18
; NumVGPRsForWavesPerEU: 247
; Occupancy: 5
; WaveLimiterHint : 1
; COMPUTE_PGM_RSRC2:SCRATCH_EN: 0
; COMPUTE_PGM_RSRC2:USER_SGPR: 14
; COMPUTE_PGM_RSRC2:TRAP_HANDLER: 0
; COMPUTE_PGM_RSRC2:TGID_X_EN: 1
; COMPUTE_PGM_RSRC2:TGID_Y_EN: 1
; COMPUTE_PGM_RSRC2:TGID_Z_EN: 0
; COMPUTE_PGM_RSRC2:TIDIG_COMP_CNT: 1
	.section	.text._ZN9rocsolver6v33100L23getf2_npvt_small_kernelILi41E19rocblas_complex_numIdEiiPKPS3_EEvT1_T3_lS7_lPT2_S7_S7_,"axG",@progbits,_ZN9rocsolver6v33100L23getf2_npvt_small_kernelILi41E19rocblas_complex_numIdEiiPKPS3_EEvT1_T3_lS7_lPT2_S7_S7_,comdat
	.globl	_ZN9rocsolver6v33100L23getf2_npvt_small_kernelILi41E19rocblas_complex_numIdEiiPKPS3_EEvT1_T3_lS7_lPT2_S7_S7_ ; -- Begin function _ZN9rocsolver6v33100L23getf2_npvt_small_kernelILi41E19rocblas_complex_numIdEiiPKPS3_EEvT1_T3_lS7_lPT2_S7_S7_
	.p2align	8
	.type	_ZN9rocsolver6v33100L23getf2_npvt_small_kernelILi41E19rocblas_complex_numIdEiiPKPS3_EEvT1_T3_lS7_lPT2_S7_S7_,@function
_ZN9rocsolver6v33100L23getf2_npvt_small_kernelILi41E19rocblas_complex_numIdEiiPKPS3_EEvT1_T3_lS7_lPT2_S7_S7_: ; @_ZN9rocsolver6v33100L23getf2_npvt_small_kernelILi41E19rocblas_complex_numIdEiiPKPS3_EEvT1_T3_lS7_lPT2_S7_S7_
; %bb.0:
	s_clause 0x1
	s_load_b32 s2, s[0:1], 0x44
	s_load_b64 s[10:11], s[0:1], 0x30
	v_bfe_u32 v164, v0, 10, 10
	s_waitcnt lgkmcnt(0)
	s_lshr_b32 s8, s2, 16
	s_mov_b32 s2, exec_lo
	s_delay_alu instid0(VALU_DEP_1) | instskip(NEXT) | instid1(VALU_DEP_1)
	v_mad_u64_u32 v[245:246], null, s15, s8, v[164:165]
	v_cmpx_gt_i32_e64 s10, v245
	s_cbranch_execz .LBB81_374
; %bb.1:
	s_clause 0x1
	s_load_b128 s[4:7], s[0:1], 0x8
	s_load_b32 s2, s[0:1], 0x18
	v_ashrrev_i32_e32 v246, 31, v245
	v_and_b32_e32 v238, 0x3ff, v0
	v_lshlrev_b32_e32 v165, 4, v164
	s_mulk_i32 s8, 0x290
	v_mad_u32_u24 v240, 0x290, v164, 0
	v_lshlrev_b64 v[1:2], 3, v[245:246]
	v_lshlrev_b32_e32 v81, 4, v238
	v_add3_u32 v239, 0, s8, v165
	s_waitcnt lgkmcnt(0)
	s_delay_alu instid0(VALU_DEP_3) | instskip(NEXT) | instid1(VALU_DEP_4)
	v_add_co_u32 v1, vcc_lo, s4, v1
	v_add_co_ci_u32_e32 v2, vcc_lo, s5, v2, vcc_lo
	v_add3_u32 v3, s2, s2, v238
	s_lshl_b64 s[6:7], s[6:7], 4
	s_ashr_i32 s3, s2, 31
	global_load_b64 v[1:2], v[1:2], off
	s_lshl_b64 s[4:5], s[2:3], 4
	v_add_nc_u32_e32 v5, s2, v3
	v_ashrrev_i32_e32 v4, 31, v3
	v_cmp_ne_u32_e64 s3, 0, v238
	s_delay_alu instid0(VALU_DEP_3) | instskip(SKIP_1) | instid1(VALU_DEP_4)
	v_add_nc_u32_e32 v7, s2, v5
	v_ashrrev_i32_e32 v6, 31, v5
	v_lshlrev_b64 v[3:4], 4, v[3:4]
	s_delay_alu instid0(VALU_DEP_3) | instskip(SKIP_1) | instid1(VALU_DEP_4)
	v_add_nc_u32_e32 v9, s2, v7
	v_ashrrev_i32_e32 v8, 31, v7
	v_lshlrev_b64 v[5:6], 4, v[5:6]
	;; [unrolled: 4-line block ×37, first 2 shown]
	v_cmp_eq_u32_e64 s2, 0, v238
	s_delay_alu instid0(VALU_DEP_4) | instskip(NEXT) | instid1(VALU_DEP_4)
	v_ashrrev_i32_e32 v80, 31, v79
	v_lshlrev_b64 v[77:78], 4, v[77:78]
	s_waitcnt vmcnt(0)
	v_add_co_u32 v82, vcc_lo, v1, s6
	v_add_co_ci_u32_e32 v2, vcc_lo, s7, v2, vcc_lo
	v_lshlrev_b64 v[0:1], 4, v[79:80]
	s_delay_alu instid0(VALU_DEP_3) | instskip(NEXT) | instid1(VALU_DEP_3)
	v_add_co_u32 v156, vcc_lo, v82, v81
	v_add_co_ci_u32_e32 v157, vcc_lo, 0, v2, vcc_lo
	v_add_co_u32 v111, vcc_lo, v82, v3
	v_add_co_ci_u32_e32 v112, vcc_lo, v2, v4, vcc_lo
	;; [unrolled: 2-line block ×41, first 2 shown]
	s_clause 0x1f
	scratch_store_b64 off, v[111:112], off offset:256
	scratch_store_b64 off, v[109:110], off offset:248
	;; [unrolled: 1-line block ×32, first 2 shown]
	scratch_store_b64 off, v[3:4], off      ; 8-byte Folded Spill
	s_clause 0x1f
	global_load_b128 v[152:155], v[111:112], off
	global_load_b128 v[148:151], v[109:110], off
	;; [unrolled: 1-line block ×32, first 2 shown]
	s_clause 0x5
	global_load_b128 v[24:27], v[3:4], off
	global_load_b128 v[20:23], v[241:242], off
	;; [unrolled: 1-line block ×6, first 2 shown]
	s_clause 0x1
	scratch_store_b64 off, v[156:157], off offset:264
	scratch_store_b64 off, v[0:1], off offset:272
	s_clause 0x2
	global_load_b128 v[160:163], v[156:157], off
	global_load_b128 v[156:159], v[0:1], off
	;; [unrolled: 1-line block ×3, first 2 shown]
	s_and_saveexec_b32 s5, s2
	s_cbranch_execz .LBB81_8
; %bb.2:
	s_waitcnt vmcnt(2)
	ds_store_2addr_b64 v239, v[160:161], v[162:163] offset1:1
	s_waitcnt vmcnt(1)
	ds_store_2addr_b64 v240, v[156:157], v[158:159] offset0:2 offset1:3
	ds_store_2addr_b64 v240, v[152:153], v[154:155] offset0:4 offset1:5
	;; [unrolled: 1-line block ×39, first 2 shown]
	s_waitcnt vmcnt(0)
	ds_store_2addr_b64 v240, v[0:1], v[2:3] offset0:80 offset1:81
	ds_load_2addr_b64 v[164:167], v239 offset1:1
	s_waitcnt lgkmcnt(0)
	v_cmp_neq_f64_e32 vcc_lo, 0, v[164:165]
	v_cmp_neq_f64_e64 s4, 0, v[166:167]
	s_delay_alu instid0(VALU_DEP_1) | instskip(NEXT) | instid1(SALU_CYCLE_1)
	s_or_b32 s4, vcc_lo, s4
	s_and_b32 exec_lo, exec_lo, s4
	s_cbranch_execz .LBB81_8
; %bb.3:
	v_cmp_gt_f64_e32 vcc_lo, 0, v[164:165]
	v_cmp_gt_f64_e64 s4, 0, v[166:167]
	v_xor_b32_e32 v168, 0x80000000, v165
	v_xor_b32_e32 v170, 0x80000000, v167
                                        ; implicit-def: $vgpr172_vgpr173
	s_delay_alu instid0(VALU_DEP_2) | instskip(NEXT) | instid1(VALU_DEP_2)
	v_cndmask_b32_e32 v169, v165, v168, vcc_lo
	v_cndmask_b32_e64 v171, v167, v170, s4
	v_cndmask_b32_e32 v168, v164, v164, vcc_lo
	v_cndmask_b32_e64 v170, v166, v166, s4
	s_mov_b32 s4, exec_lo
	s_delay_alu instid0(VALU_DEP_1)
	v_cmpx_ngt_f64_e32 v[168:169], v[170:171]
	s_xor_b32 s4, exec_lo, s4
                                        ; implicit-def: $vgpr168_vgpr169_vgpr170_vgpr171
	s_cbranch_execz .LBB81_5
; %bb.4:
	v_div_scale_f64 v[168:169], null, v[166:167], v[166:167], v[164:165]
	v_div_scale_f64 v[174:175], vcc_lo, v[164:165], v[166:167], v[164:165]
	s_delay_alu instid0(VALU_DEP_2) | instskip(SKIP_2) | instid1(VALU_DEP_1)
	v_rcp_f64_e32 v[170:171], v[168:169]
	s_waitcnt_depctr 0xfff
	v_fma_f64 v[172:173], -v[168:169], v[170:171], 1.0
	v_fma_f64 v[170:171], v[170:171], v[172:173], v[170:171]
	s_delay_alu instid0(VALU_DEP_1) | instskip(NEXT) | instid1(VALU_DEP_1)
	v_fma_f64 v[172:173], -v[168:169], v[170:171], 1.0
	v_fma_f64 v[170:171], v[170:171], v[172:173], v[170:171]
	s_delay_alu instid0(VALU_DEP_1) | instskip(NEXT) | instid1(VALU_DEP_1)
	v_mul_f64 v[172:173], v[174:175], v[170:171]
	v_fma_f64 v[168:169], -v[168:169], v[172:173], v[174:175]
	s_delay_alu instid0(VALU_DEP_1) | instskip(NEXT) | instid1(VALU_DEP_1)
	v_div_fmas_f64 v[168:169], v[168:169], v[170:171], v[172:173]
	v_div_fixup_f64 v[168:169], v[168:169], v[166:167], v[164:165]
	s_delay_alu instid0(VALU_DEP_1) | instskip(NEXT) | instid1(VALU_DEP_1)
	v_fma_f64 v[164:165], v[164:165], v[168:169], v[166:167]
	v_div_scale_f64 v[166:167], null, v[164:165], v[164:165], 1.0
	s_delay_alu instid0(VALU_DEP_1) | instskip(SKIP_2) | instid1(VALU_DEP_1)
	v_rcp_f64_e32 v[170:171], v[166:167]
	s_waitcnt_depctr 0xfff
	v_fma_f64 v[172:173], -v[166:167], v[170:171], 1.0
	v_fma_f64 v[170:171], v[170:171], v[172:173], v[170:171]
	s_delay_alu instid0(VALU_DEP_1) | instskip(NEXT) | instid1(VALU_DEP_1)
	v_fma_f64 v[172:173], -v[166:167], v[170:171], 1.0
	v_fma_f64 v[170:171], v[170:171], v[172:173], v[170:171]
	v_div_scale_f64 v[172:173], vcc_lo, 1.0, v[164:165], 1.0
	s_delay_alu instid0(VALU_DEP_1) | instskip(NEXT) | instid1(VALU_DEP_1)
	v_mul_f64 v[174:175], v[172:173], v[170:171]
	v_fma_f64 v[166:167], -v[166:167], v[174:175], v[172:173]
	s_delay_alu instid0(VALU_DEP_1) | instskip(NEXT) | instid1(VALU_DEP_1)
	v_div_fmas_f64 v[166:167], v[166:167], v[170:171], v[174:175]
	v_div_fixup_f64 v[170:171], v[166:167], v[164:165], 1.0
                                        ; implicit-def: $vgpr164_vgpr165
	s_delay_alu instid0(VALU_DEP_1)
	v_mul_f64 v[172:173], v[168:169], v[170:171]
	v_xor_b32_e32 v171, 0x80000000, v171
.LBB81_5:
	s_and_not1_saveexec_b32 s4, s4
	s_cbranch_execz .LBB81_7
; %bb.6:
	v_div_scale_f64 v[168:169], null, v[164:165], v[164:165], v[166:167]
	v_div_scale_f64 v[174:175], vcc_lo, v[166:167], v[164:165], v[166:167]
	s_delay_alu instid0(VALU_DEP_2) | instskip(SKIP_2) | instid1(VALU_DEP_1)
	v_rcp_f64_e32 v[170:171], v[168:169]
	s_waitcnt_depctr 0xfff
	v_fma_f64 v[172:173], -v[168:169], v[170:171], 1.0
	v_fma_f64 v[170:171], v[170:171], v[172:173], v[170:171]
	s_delay_alu instid0(VALU_DEP_1) | instskip(NEXT) | instid1(VALU_DEP_1)
	v_fma_f64 v[172:173], -v[168:169], v[170:171], 1.0
	v_fma_f64 v[170:171], v[170:171], v[172:173], v[170:171]
	s_delay_alu instid0(VALU_DEP_1) | instskip(NEXT) | instid1(VALU_DEP_1)
	v_mul_f64 v[172:173], v[174:175], v[170:171]
	v_fma_f64 v[168:169], -v[168:169], v[172:173], v[174:175]
	s_delay_alu instid0(VALU_DEP_1) | instskip(NEXT) | instid1(VALU_DEP_1)
	v_div_fmas_f64 v[168:169], v[168:169], v[170:171], v[172:173]
	v_div_fixup_f64 v[168:169], v[168:169], v[164:165], v[166:167]
	s_delay_alu instid0(VALU_DEP_1) | instskip(NEXT) | instid1(VALU_DEP_1)
	v_fma_f64 v[164:165], v[166:167], v[168:169], v[164:165]
	v_div_scale_f64 v[166:167], null, v[164:165], v[164:165], 1.0
	s_delay_alu instid0(VALU_DEP_1) | instskip(SKIP_2) | instid1(VALU_DEP_1)
	v_rcp_f64_e32 v[170:171], v[166:167]
	s_waitcnt_depctr 0xfff
	v_fma_f64 v[172:173], -v[166:167], v[170:171], 1.0
	v_fma_f64 v[170:171], v[170:171], v[172:173], v[170:171]
	s_delay_alu instid0(VALU_DEP_1) | instskip(NEXT) | instid1(VALU_DEP_1)
	v_fma_f64 v[172:173], -v[166:167], v[170:171], 1.0
	v_fma_f64 v[170:171], v[170:171], v[172:173], v[170:171]
	v_div_scale_f64 v[172:173], vcc_lo, 1.0, v[164:165], 1.0
	s_delay_alu instid0(VALU_DEP_1) | instskip(NEXT) | instid1(VALU_DEP_1)
	v_mul_f64 v[174:175], v[172:173], v[170:171]
	v_fma_f64 v[166:167], -v[166:167], v[174:175], v[172:173]
	s_delay_alu instid0(VALU_DEP_1) | instskip(NEXT) | instid1(VALU_DEP_1)
	v_div_fmas_f64 v[166:167], v[166:167], v[170:171], v[174:175]
	v_div_fixup_f64 v[172:173], v[166:167], v[164:165], 1.0
	s_delay_alu instid0(VALU_DEP_1)
	v_mul_f64 v[170:171], v[168:169], -v[172:173]
.LBB81_7:
	s_or_b32 exec_lo, exec_lo, s4
	ds_store_2addr_b64 v239, v[172:173], v[170:171] offset1:1
.LBB81_8:
	s_or_b32 exec_lo, exec_lo, s5
	s_waitcnt vmcnt(0) lgkmcnt(0)
	s_waitcnt_vscnt null, 0x0
	s_barrier
	buffer_gl0_inv
	ds_load_2addr_b64 v[164:167], v239 offset1:1
	s_waitcnt lgkmcnt(0)
	scratch_store_b128 off, v[164:167], off offset:280 ; 16-byte Folded Spill
	s_and_saveexec_b32 s4, s3
	s_cbranch_execz .LBB81_10
; %bb.9:
	scratch_load_b128 v[166:169], off, off offset:280 ; 16-byte Folded Reload
	s_waitcnt vmcnt(0)
	v_mul_f64 v[164:165], v[168:169], v[162:163]
	v_mul_f64 v[162:163], v[166:167], v[162:163]
	s_delay_alu instid0(VALU_DEP_2) | instskip(NEXT) | instid1(VALU_DEP_2)
	v_fma_f64 v[164:165], v[166:167], v[160:161], -v[164:165]
	v_fma_f64 v[162:163], v[168:169], v[160:161], v[162:163]
	ds_load_2addr_b64 v[166:169], v240 offset0:2 offset1:3
	s_waitcnt lgkmcnt(0)
	v_mul_f64 v[160:161], v[168:169], v[162:163]
	s_delay_alu instid0(VALU_DEP_1) | instskip(SKIP_1) | instid1(VALU_DEP_2)
	v_fma_f64 v[160:161], v[166:167], v[164:165], -v[160:161]
	v_mul_f64 v[166:167], v[166:167], v[162:163]
	v_add_f64 v[156:157], v[156:157], -v[160:161]
	s_delay_alu instid0(VALU_DEP_2) | instskip(NEXT) | instid1(VALU_DEP_1)
	v_fma_f64 v[166:167], v[168:169], v[164:165], v[166:167]
	v_add_f64 v[158:159], v[158:159], -v[166:167]
	ds_load_2addr_b64 v[166:169], v240 offset0:4 offset1:5
	s_waitcnt lgkmcnt(0)
	v_mul_f64 v[160:161], v[168:169], v[162:163]
	s_delay_alu instid0(VALU_DEP_1) | instskip(SKIP_1) | instid1(VALU_DEP_2)
	v_fma_f64 v[160:161], v[166:167], v[164:165], -v[160:161]
	v_mul_f64 v[166:167], v[166:167], v[162:163]
	v_add_f64 v[152:153], v[152:153], -v[160:161]
	s_delay_alu instid0(VALU_DEP_2) | instskip(NEXT) | instid1(VALU_DEP_1)
	v_fma_f64 v[166:167], v[168:169], v[164:165], v[166:167]
	v_add_f64 v[154:155], v[154:155], -v[166:167]
	;; [unrolled: 10-line block ×39, first 2 shown]
	ds_load_2addr_b64 v[166:169], v240 offset0:80 offset1:81
	s_waitcnt lgkmcnt(0)
	v_mul_f64 v[160:161], v[168:169], v[162:163]
	s_delay_alu instid0(VALU_DEP_1) | instskip(SKIP_1) | instid1(VALU_DEP_2)
	v_fma_f64 v[160:161], v[166:167], v[164:165], -v[160:161]
	v_mul_f64 v[166:167], v[166:167], v[162:163]
	v_add_f64 v[0:1], v[0:1], -v[160:161]
	s_delay_alu instid0(VALU_DEP_2) | instskip(SKIP_1) | instid1(VALU_DEP_2)
	v_fma_f64 v[166:167], v[168:169], v[164:165], v[166:167]
	v_dual_mov_b32 v160, v164 :: v_dual_mov_b32 v161, v165
	v_add_f64 v[2:3], v[2:3], -v[166:167]
.LBB81_10:
	s_or_b32 exec_lo, exec_lo, s4
	s_delay_alu instid0(SALU_CYCLE_1)
	s_mov_b32 s4, exec_lo
	s_waitcnt_vscnt null, 0x0
	s_barrier
	buffer_gl0_inv
	v_cmpx_eq_u32_e32 1, v238
	s_cbranch_execz .LBB81_17
; %bb.11:
	ds_store_2addr_b64 v239, v[156:157], v[158:159] offset1:1
	ds_store_2addr_b64 v240, v[152:153], v[154:155] offset0:4 offset1:5
	ds_store_2addr_b64 v240, v[148:149], v[150:151] offset0:6 offset1:7
	;; [unrolled: 1-line block ×39, first 2 shown]
	ds_load_2addr_b64 v[164:167], v239 offset1:1
	s_waitcnt lgkmcnt(0)
	v_cmp_neq_f64_e32 vcc_lo, 0, v[164:165]
	v_cmp_neq_f64_e64 s3, 0, v[166:167]
	s_delay_alu instid0(VALU_DEP_1) | instskip(NEXT) | instid1(SALU_CYCLE_1)
	s_or_b32 s3, vcc_lo, s3
	s_and_b32 exec_lo, exec_lo, s3
	s_cbranch_execz .LBB81_17
; %bb.12:
	v_cmp_gt_f64_e32 vcc_lo, 0, v[164:165]
	v_xor_b32_e32 v168, 0x80000000, v165
	v_xor_b32_e32 v170, 0x80000000, v167
	s_mov_b32 s3, exec_lo
                                        ; implicit-def: $vgpr172_vgpr173
	s_delay_alu instid0(VALU_DEP_2) | instskip(SKIP_4) | instid1(VALU_DEP_1)
	v_cndmask_b32_e32 v169, v165, v168, vcc_lo
	v_cndmask_b32_e32 v168, v164, v164, vcc_lo
	v_cmp_gt_f64_e32 vcc_lo, 0, v[166:167]
	v_cndmask_b32_e32 v171, v167, v170, vcc_lo
	v_cndmask_b32_e32 v170, v166, v166, vcc_lo
	v_cmpx_ngt_f64_e32 v[168:169], v[170:171]
	s_xor_b32 s3, exec_lo, s3
                                        ; implicit-def: $vgpr168_vgpr169_vgpr170_vgpr171
	s_cbranch_execz .LBB81_14
; %bb.13:
	v_div_scale_f64 v[168:169], null, v[166:167], v[166:167], v[164:165]
	v_div_scale_f64 v[174:175], vcc_lo, v[164:165], v[166:167], v[164:165]
	s_delay_alu instid0(VALU_DEP_2) | instskip(SKIP_2) | instid1(VALU_DEP_1)
	v_rcp_f64_e32 v[170:171], v[168:169]
	s_waitcnt_depctr 0xfff
	v_fma_f64 v[172:173], -v[168:169], v[170:171], 1.0
	v_fma_f64 v[170:171], v[170:171], v[172:173], v[170:171]
	s_delay_alu instid0(VALU_DEP_1) | instskip(NEXT) | instid1(VALU_DEP_1)
	v_fma_f64 v[172:173], -v[168:169], v[170:171], 1.0
	v_fma_f64 v[170:171], v[170:171], v[172:173], v[170:171]
	s_delay_alu instid0(VALU_DEP_1) | instskip(NEXT) | instid1(VALU_DEP_1)
	v_mul_f64 v[172:173], v[174:175], v[170:171]
	v_fma_f64 v[168:169], -v[168:169], v[172:173], v[174:175]
	s_delay_alu instid0(VALU_DEP_1) | instskip(NEXT) | instid1(VALU_DEP_1)
	v_div_fmas_f64 v[168:169], v[168:169], v[170:171], v[172:173]
	v_div_fixup_f64 v[168:169], v[168:169], v[166:167], v[164:165]
	s_delay_alu instid0(VALU_DEP_1) | instskip(NEXT) | instid1(VALU_DEP_1)
	v_fma_f64 v[164:165], v[164:165], v[168:169], v[166:167]
	v_div_scale_f64 v[166:167], null, v[164:165], v[164:165], 1.0
	s_delay_alu instid0(VALU_DEP_1) | instskip(SKIP_2) | instid1(VALU_DEP_1)
	v_rcp_f64_e32 v[170:171], v[166:167]
	s_waitcnt_depctr 0xfff
	v_fma_f64 v[172:173], -v[166:167], v[170:171], 1.0
	v_fma_f64 v[170:171], v[170:171], v[172:173], v[170:171]
	s_delay_alu instid0(VALU_DEP_1) | instskip(NEXT) | instid1(VALU_DEP_1)
	v_fma_f64 v[172:173], -v[166:167], v[170:171], 1.0
	v_fma_f64 v[170:171], v[170:171], v[172:173], v[170:171]
	v_div_scale_f64 v[172:173], vcc_lo, 1.0, v[164:165], 1.0
	s_delay_alu instid0(VALU_DEP_1) | instskip(NEXT) | instid1(VALU_DEP_1)
	v_mul_f64 v[174:175], v[172:173], v[170:171]
	v_fma_f64 v[166:167], -v[166:167], v[174:175], v[172:173]
	s_delay_alu instid0(VALU_DEP_1) | instskip(NEXT) | instid1(VALU_DEP_1)
	v_div_fmas_f64 v[166:167], v[166:167], v[170:171], v[174:175]
	v_div_fixup_f64 v[170:171], v[166:167], v[164:165], 1.0
                                        ; implicit-def: $vgpr164_vgpr165
	s_delay_alu instid0(VALU_DEP_1)
	v_mul_f64 v[172:173], v[168:169], v[170:171]
	v_xor_b32_e32 v171, 0x80000000, v171
.LBB81_14:
	s_and_not1_saveexec_b32 s3, s3
	s_cbranch_execz .LBB81_16
; %bb.15:
	v_div_scale_f64 v[168:169], null, v[164:165], v[164:165], v[166:167]
	v_div_scale_f64 v[174:175], vcc_lo, v[166:167], v[164:165], v[166:167]
	s_delay_alu instid0(VALU_DEP_2) | instskip(SKIP_2) | instid1(VALU_DEP_1)
	v_rcp_f64_e32 v[170:171], v[168:169]
	s_waitcnt_depctr 0xfff
	v_fma_f64 v[172:173], -v[168:169], v[170:171], 1.0
	v_fma_f64 v[170:171], v[170:171], v[172:173], v[170:171]
	s_delay_alu instid0(VALU_DEP_1) | instskip(NEXT) | instid1(VALU_DEP_1)
	v_fma_f64 v[172:173], -v[168:169], v[170:171], 1.0
	v_fma_f64 v[170:171], v[170:171], v[172:173], v[170:171]
	s_delay_alu instid0(VALU_DEP_1) | instskip(NEXT) | instid1(VALU_DEP_1)
	v_mul_f64 v[172:173], v[174:175], v[170:171]
	v_fma_f64 v[168:169], -v[168:169], v[172:173], v[174:175]
	s_delay_alu instid0(VALU_DEP_1) | instskip(NEXT) | instid1(VALU_DEP_1)
	v_div_fmas_f64 v[168:169], v[168:169], v[170:171], v[172:173]
	v_div_fixup_f64 v[168:169], v[168:169], v[164:165], v[166:167]
	s_delay_alu instid0(VALU_DEP_1) | instskip(NEXT) | instid1(VALU_DEP_1)
	v_fma_f64 v[164:165], v[166:167], v[168:169], v[164:165]
	v_div_scale_f64 v[166:167], null, v[164:165], v[164:165], 1.0
	s_delay_alu instid0(VALU_DEP_1) | instskip(SKIP_2) | instid1(VALU_DEP_1)
	v_rcp_f64_e32 v[170:171], v[166:167]
	s_waitcnt_depctr 0xfff
	v_fma_f64 v[172:173], -v[166:167], v[170:171], 1.0
	v_fma_f64 v[170:171], v[170:171], v[172:173], v[170:171]
	s_delay_alu instid0(VALU_DEP_1) | instskip(NEXT) | instid1(VALU_DEP_1)
	v_fma_f64 v[172:173], -v[166:167], v[170:171], 1.0
	v_fma_f64 v[170:171], v[170:171], v[172:173], v[170:171]
	v_div_scale_f64 v[172:173], vcc_lo, 1.0, v[164:165], 1.0
	s_delay_alu instid0(VALU_DEP_1) | instskip(NEXT) | instid1(VALU_DEP_1)
	v_mul_f64 v[174:175], v[172:173], v[170:171]
	v_fma_f64 v[166:167], -v[166:167], v[174:175], v[172:173]
	s_delay_alu instid0(VALU_DEP_1) | instskip(NEXT) | instid1(VALU_DEP_1)
	v_div_fmas_f64 v[166:167], v[166:167], v[170:171], v[174:175]
	v_div_fixup_f64 v[172:173], v[166:167], v[164:165], 1.0
	s_delay_alu instid0(VALU_DEP_1)
	v_mul_f64 v[170:171], v[168:169], -v[172:173]
.LBB81_16:
	s_or_b32 exec_lo, exec_lo, s3
	ds_store_2addr_b64 v239, v[172:173], v[170:171] offset1:1
.LBB81_17:
	s_or_b32 exec_lo, exec_lo, s4
	s_waitcnt lgkmcnt(0)
	s_barrier
	buffer_gl0_inv
	ds_load_2addr_b64 v[164:167], v239 offset1:1
	s_mov_b32 s3, exec_lo
	s_waitcnt lgkmcnt(0)
	scratch_store_b128 off, v[164:167], off offset:296 ; 16-byte Folded Spill
	v_cmpx_lt_u32_e32 1, v238
	s_cbranch_execz .LBB81_19
; %bb.18:
	scratch_load_b128 v[166:169], off, off offset:296 ; 16-byte Folded Reload
	s_waitcnt vmcnt(0)
	v_mul_f64 v[164:165], v[168:169], v[158:159]
	v_mul_f64 v[158:159], v[166:167], v[158:159]
	s_delay_alu instid0(VALU_DEP_2) | instskip(NEXT) | instid1(VALU_DEP_2)
	v_fma_f64 v[164:165], v[166:167], v[156:157], -v[164:165]
	v_fma_f64 v[158:159], v[168:169], v[156:157], v[158:159]
	ds_load_2addr_b64 v[166:169], v240 offset0:4 offset1:5
	s_waitcnt lgkmcnt(0)
	v_mul_f64 v[156:157], v[168:169], v[158:159]
	s_delay_alu instid0(VALU_DEP_1) | instskip(SKIP_1) | instid1(VALU_DEP_2)
	v_fma_f64 v[156:157], v[166:167], v[164:165], -v[156:157]
	v_mul_f64 v[166:167], v[166:167], v[158:159]
	v_add_f64 v[152:153], v[152:153], -v[156:157]
	s_delay_alu instid0(VALU_DEP_2) | instskip(NEXT) | instid1(VALU_DEP_1)
	v_fma_f64 v[166:167], v[168:169], v[164:165], v[166:167]
	v_add_f64 v[154:155], v[154:155], -v[166:167]
	ds_load_2addr_b64 v[166:169], v240 offset0:6 offset1:7
	s_waitcnt lgkmcnt(0)
	v_mul_f64 v[156:157], v[168:169], v[158:159]
	s_delay_alu instid0(VALU_DEP_1) | instskip(SKIP_1) | instid1(VALU_DEP_2)
	v_fma_f64 v[156:157], v[166:167], v[164:165], -v[156:157]
	v_mul_f64 v[166:167], v[166:167], v[158:159]
	v_add_f64 v[148:149], v[148:149], -v[156:157]
	s_delay_alu instid0(VALU_DEP_2) | instskip(NEXT) | instid1(VALU_DEP_1)
	v_fma_f64 v[166:167], v[168:169], v[164:165], v[166:167]
	v_add_f64 v[150:151], v[150:151], -v[166:167]
	;; [unrolled: 10-line block ×38, first 2 shown]
	ds_load_2addr_b64 v[166:169], v240 offset0:80 offset1:81
	s_waitcnt lgkmcnt(0)
	v_mul_f64 v[156:157], v[168:169], v[158:159]
	s_delay_alu instid0(VALU_DEP_1) | instskip(SKIP_1) | instid1(VALU_DEP_2)
	v_fma_f64 v[156:157], v[166:167], v[164:165], -v[156:157]
	v_mul_f64 v[166:167], v[166:167], v[158:159]
	v_add_f64 v[0:1], v[0:1], -v[156:157]
	s_delay_alu instid0(VALU_DEP_2) | instskip(SKIP_1) | instid1(VALU_DEP_2)
	v_fma_f64 v[166:167], v[168:169], v[164:165], v[166:167]
	v_dual_mov_b32 v156, v164 :: v_dual_mov_b32 v157, v165
	v_add_f64 v[2:3], v[2:3], -v[166:167]
.LBB81_19:
	s_or_b32 exec_lo, exec_lo, s3
	s_delay_alu instid0(SALU_CYCLE_1)
	s_mov_b32 s4, exec_lo
	s_waitcnt_vscnt null, 0x0
	s_barrier
	buffer_gl0_inv
	v_cmpx_eq_u32_e32 2, v238
	s_cbranch_execz .LBB81_26
; %bb.20:
	ds_store_2addr_b64 v239, v[152:153], v[154:155] offset1:1
	ds_store_2addr_b64 v240, v[148:149], v[150:151] offset0:6 offset1:7
	ds_store_2addr_b64 v240, v[144:145], v[146:147] offset0:8 offset1:9
	;; [unrolled: 1-line block ×38, first 2 shown]
	ds_load_2addr_b64 v[164:167], v239 offset1:1
	s_waitcnt lgkmcnt(0)
	v_cmp_neq_f64_e32 vcc_lo, 0, v[164:165]
	v_cmp_neq_f64_e64 s3, 0, v[166:167]
	s_delay_alu instid0(VALU_DEP_1) | instskip(NEXT) | instid1(SALU_CYCLE_1)
	s_or_b32 s3, vcc_lo, s3
	s_and_b32 exec_lo, exec_lo, s3
	s_cbranch_execz .LBB81_26
; %bb.21:
	v_cmp_gt_f64_e32 vcc_lo, 0, v[164:165]
	v_xor_b32_e32 v168, 0x80000000, v165
	v_xor_b32_e32 v170, 0x80000000, v167
	s_mov_b32 s3, exec_lo
                                        ; implicit-def: $vgpr172_vgpr173
	s_delay_alu instid0(VALU_DEP_2) | instskip(SKIP_4) | instid1(VALU_DEP_1)
	v_cndmask_b32_e32 v169, v165, v168, vcc_lo
	v_cndmask_b32_e32 v168, v164, v164, vcc_lo
	v_cmp_gt_f64_e32 vcc_lo, 0, v[166:167]
	v_cndmask_b32_e32 v171, v167, v170, vcc_lo
	v_cndmask_b32_e32 v170, v166, v166, vcc_lo
	v_cmpx_ngt_f64_e32 v[168:169], v[170:171]
	s_xor_b32 s3, exec_lo, s3
                                        ; implicit-def: $vgpr168_vgpr169_vgpr170_vgpr171
	s_cbranch_execz .LBB81_23
; %bb.22:
	v_div_scale_f64 v[168:169], null, v[166:167], v[166:167], v[164:165]
	v_div_scale_f64 v[174:175], vcc_lo, v[164:165], v[166:167], v[164:165]
	s_delay_alu instid0(VALU_DEP_2) | instskip(SKIP_2) | instid1(VALU_DEP_1)
	v_rcp_f64_e32 v[170:171], v[168:169]
	s_waitcnt_depctr 0xfff
	v_fma_f64 v[172:173], -v[168:169], v[170:171], 1.0
	v_fma_f64 v[170:171], v[170:171], v[172:173], v[170:171]
	s_delay_alu instid0(VALU_DEP_1) | instskip(NEXT) | instid1(VALU_DEP_1)
	v_fma_f64 v[172:173], -v[168:169], v[170:171], 1.0
	v_fma_f64 v[170:171], v[170:171], v[172:173], v[170:171]
	s_delay_alu instid0(VALU_DEP_1) | instskip(NEXT) | instid1(VALU_DEP_1)
	v_mul_f64 v[172:173], v[174:175], v[170:171]
	v_fma_f64 v[168:169], -v[168:169], v[172:173], v[174:175]
	s_delay_alu instid0(VALU_DEP_1) | instskip(NEXT) | instid1(VALU_DEP_1)
	v_div_fmas_f64 v[168:169], v[168:169], v[170:171], v[172:173]
	v_div_fixup_f64 v[168:169], v[168:169], v[166:167], v[164:165]
	s_delay_alu instid0(VALU_DEP_1) | instskip(NEXT) | instid1(VALU_DEP_1)
	v_fma_f64 v[164:165], v[164:165], v[168:169], v[166:167]
	v_div_scale_f64 v[166:167], null, v[164:165], v[164:165], 1.0
	s_delay_alu instid0(VALU_DEP_1) | instskip(SKIP_2) | instid1(VALU_DEP_1)
	v_rcp_f64_e32 v[170:171], v[166:167]
	s_waitcnt_depctr 0xfff
	v_fma_f64 v[172:173], -v[166:167], v[170:171], 1.0
	v_fma_f64 v[170:171], v[170:171], v[172:173], v[170:171]
	s_delay_alu instid0(VALU_DEP_1) | instskip(NEXT) | instid1(VALU_DEP_1)
	v_fma_f64 v[172:173], -v[166:167], v[170:171], 1.0
	v_fma_f64 v[170:171], v[170:171], v[172:173], v[170:171]
	v_div_scale_f64 v[172:173], vcc_lo, 1.0, v[164:165], 1.0
	s_delay_alu instid0(VALU_DEP_1) | instskip(NEXT) | instid1(VALU_DEP_1)
	v_mul_f64 v[174:175], v[172:173], v[170:171]
	v_fma_f64 v[166:167], -v[166:167], v[174:175], v[172:173]
	s_delay_alu instid0(VALU_DEP_1) | instskip(NEXT) | instid1(VALU_DEP_1)
	v_div_fmas_f64 v[166:167], v[166:167], v[170:171], v[174:175]
	v_div_fixup_f64 v[170:171], v[166:167], v[164:165], 1.0
                                        ; implicit-def: $vgpr164_vgpr165
	s_delay_alu instid0(VALU_DEP_1)
	v_mul_f64 v[172:173], v[168:169], v[170:171]
	v_xor_b32_e32 v171, 0x80000000, v171
.LBB81_23:
	s_and_not1_saveexec_b32 s3, s3
	s_cbranch_execz .LBB81_25
; %bb.24:
	v_div_scale_f64 v[168:169], null, v[164:165], v[164:165], v[166:167]
	v_div_scale_f64 v[174:175], vcc_lo, v[166:167], v[164:165], v[166:167]
	s_delay_alu instid0(VALU_DEP_2) | instskip(SKIP_2) | instid1(VALU_DEP_1)
	v_rcp_f64_e32 v[170:171], v[168:169]
	s_waitcnt_depctr 0xfff
	v_fma_f64 v[172:173], -v[168:169], v[170:171], 1.0
	v_fma_f64 v[170:171], v[170:171], v[172:173], v[170:171]
	s_delay_alu instid0(VALU_DEP_1) | instskip(NEXT) | instid1(VALU_DEP_1)
	v_fma_f64 v[172:173], -v[168:169], v[170:171], 1.0
	v_fma_f64 v[170:171], v[170:171], v[172:173], v[170:171]
	s_delay_alu instid0(VALU_DEP_1) | instskip(NEXT) | instid1(VALU_DEP_1)
	v_mul_f64 v[172:173], v[174:175], v[170:171]
	v_fma_f64 v[168:169], -v[168:169], v[172:173], v[174:175]
	s_delay_alu instid0(VALU_DEP_1) | instskip(NEXT) | instid1(VALU_DEP_1)
	v_div_fmas_f64 v[168:169], v[168:169], v[170:171], v[172:173]
	v_div_fixup_f64 v[168:169], v[168:169], v[164:165], v[166:167]
	s_delay_alu instid0(VALU_DEP_1) | instskip(NEXT) | instid1(VALU_DEP_1)
	v_fma_f64 v[164:165], v[166:167], v[168:169], v[164:165]
	v_div_scale_f64 v[166:167], null, v[164:165], v[164:165], 1.0
	s_delay_alu instid0(VALU_DEP_1) | instskip(SKIP_2) | instid1(VALU_DEP_1)
	v_rcp_f64_e32 v[170:171], v[166:167]
	s_waitcnt_depctr 0xfff
	v_fma_f64 v[172:173], -v[166:167], v[170:171], 1.0
	v_fma_f64 v[170:171], v[170:171], v[172:173], v[170:171]
	s_delay_alu instid0(VALU_DEP_1) | instskip(NEXT) | instid1(VALU_DEP_1)
	v_fma_f64 v[172:173], -v[166:167], v[170:171], 1.0
	v_fma_f64 v[170:171], v[170:171], v[172:173], v[170:171]
	v_div_scale_f64 v[172:173], vcc_lo, 1.0, v[164:165], 1.0
	s_delay_alu instid0(VALU_DEP_1) | instskip(NEXT) | instid1(VALU_DEP_1)
	v_mul_f64 v[174:175], v[172:173], v[170:171]
	v_fma_f64 v[166:167], -v[166:167], v[174:175], v[172:173]
	s_delay_alu instid0(VALU_DEP_1) | instskip(NEXT) | instid1(VALU_DEP_1)
	v_div_fmas_f64 v[166:167], v[166:167], v[170:171], v[174:175]
	v_div_fixup_f64 v[172:173], v[166:167], v[164:165], 1.0
	s_delay_alu instid0(VALU_DEP_1)
	v_mul_f64 v[170:171], v[168:169], -v[172:173]
.LBB81_25:
	s_or_b32 exec_lo, exec_lo, s3
	ds_store_2addr_b64 v239, v[172:173], v[170:171] offset1:1
.LBB81_26:
	s_or_b32 exec_lo, exec_lo, s4
	s_waitcnt lgkmcnt(0)
	s_barrier
	buffer_gl0_inv
	ds_load_2addr_b64 v[164:167], v239 offset1:1
	s_mov_b32 s3, exec_lo
	s_waitcnt lgkmcnt(0)
	scratch_store_b128 off, v[164:167], off offset:312 ; 16-byte Folded Spill
	v_cmpx_lt_u32_e32 2, v238
	s_cbranch_execz .LBB81_28
; %bb.27:
	scratch_load_b128 v[166:169], off, off offset:312 ; 16-byte Folded Reload
	s_waitcnt vmcnt(0)
	v_mul_f64 v[164:165], v[168:169], v[154:155]
	v_mul_f64 v[154:155], v[166:167], v[154:155]
	s_delay_alu instid0(VALU_DEP_2) | instskip(NEXT) | instid1(VALU_DEP_2)
	v_fma_f64 v[164:165], v[166:167], v[152:153], -v[164:165]
	v_fma_f64 v[154:155], v[168:169], v[152:153], v[154:155]
	ds_load_2addr_b64 v[166:169], v240 offset0:6 offset1:7
	s_waitcnt lgkmcnt(0)
	v_mul_f64 v[152:153], v[168:169], v[154:155]
	s_delay_alu instid0(VALU_DEP_1) | instskip(SKIP_1) | instid1(VALU_DEP_2)
	v_fma_f64 v[152:153], v[166:167], v[164:165], -v[152:153]
	v_mul_f64 v[166:167], v[166:167], v[154:155]
	v_add_f64 v[148:149], v[148:149], -v[152:153]
	s_delay_alu instid0(VALU_DEP_2) | instskip(NEXT) | instid1(VALU_DEP_1)
	v_fma_f64 v[166:167], v[168:169], v[164:165], v[166:167]
	v_add_f64 v[150:151], v[150:151], -v[166:167]
	ds_load_2addr_b64 v[166:169], v240 offset0:8 offset1:9
	s_waitcnt lgkmcnt(0)
	v_mul_f64 v[152:153], v[168:169], v[154:155]
	s_delay_alu instid0(VALU_DEP_1) | instskip(SKIP_1) | instid1(VALU_DEP_2)
	v_fma_f64 v[152:153], v[166:167], v[164:165], -v[152:153]
	v_mul_f64 v[166:167], v[166:167], v[154:155]
	v_add_f64 v[144:145], v[144:145], -v[152:153]
	s_delay_alu instid0(VALU_DEP_2) | instskip(NEXT) | instid1(VALU_DEP_1)
	v_fma_f64 v[166:167], v[168:169], v[164:165], v[166:167]
	v_add_f64 v[146:147], v[146:147], -v[166:167]
	;; [unrolled: 10-line block ×37, first 2 shown]
	ds_load_2addr_b64 v[166:169], v240 offset0:80 offset1:81
	s_waitcnt lgkmcnt(0)
	v_mul_f64 v[152:153], v[168:169], v[154:155]
	s_delay_alu instid0(VALU_DEP_1) | instskip(SKIP_1) | instid1(VALU_DEP_2)
	v_fma_f64 v[152:153], v[166:167], v[164:165], -v[152:153]
	v_mul_f64 v[166:167], v[166:167], v[154:155]
	v_add_f64 v[0:1], v[0:1], -v[152:153]
	s_delay_alu instid0(VALU_DEP_2) | instskip(SKIP_1) | instid1(VALU_DEP_2)
	v_fma_f64 v[166:167], v[168:169], v[164:165], v[166:167]
	v_dual_mov_b32 v152, v164 :: v_dual_mov_b32 v153, v165
	v_add_f64 v[2:3], v[2:3], -v[166:167]
.LBB81_28:
	s_or_b32 exec_lo, exec_lo, s3
	s_delay_alu instid0(SALU_CYCLE_1)
	s_mov_b32 s4, exec_lo
	s_waitcnt_vscnt null, 0x0
	s_barrier
	buffer_gl0_inv
	v_cmpx_eq_u32_e32 3, v238
	s_cbranch_execz .LBB81_35
; %bb.29:
	ds_store_2addr_b64 v239, v[148:149], v[150:151] offset1:1
	ds_store_2addr_b64 v240, v[144:145], v[146:147] offset0:8 offset1:9
	ds_store_2addr_b64 v240, v[140:141], v[142:143] offset0:10 offset1:11
	;; [unrolled: 1-line block ×37, first 2 shown]
	ds_load_2addr_b64 v[164:167], v239 offset1:1
	s_waitcnt lgkmcnt(0)
	v_cmp_neq_f64_e32 vcc_lo, 0, v[164:165]
	v_cmp_neq_f64_e64 s3, 0, v[166:167]
	s_delay_alu instid0(VALU_DEP_1) | instskip(NEXT) | instid1(SALU_CYCLE_1)
	s_or_b32 s3, vcc_lo, s3
	s_and_b32 exec_lo, exec_lo, s3
	s_cbranch_execz .LBB81_35
; %bb.30:
	v_cmp_gt_f64_e32 vcc_lo, 0, v[164:165]
	v_xor_b32_e32 v168, 0x80000000, v165
	v_xor_b32_e32 v170, 0x80000000, v167
	s_mov_b32 s3, exec_lo
                                        ; implicit-def: $vgpr172_vgpr173
	s_delay_alu instid0(VALU_DEP_2) | instskip(SKIP_4) | instid1(VALU_DEP_1)
	v_cndmask_b32_e32 v169, v165, v168, vcc_lo
	v_cndmask_b32_e32 v168, v164, v164, vcc_lo
	v_cmp_gt_f64_e32 vcc_lo, 0, v[166:167]
	v_cndmask_b32_e32 v171, v167, v170, vcc_lo
	v_cndmask_b32_e32 v170, v166, v166, vcc_lo
	v_cmpx_ngt_f64_e32 v[168:169], v[170:171]
	s_xor_b32 s3, exec_lo, s3
                                        ; implicit-def: $vgpr168_vgpr169_vgpr170_vgpr171
	s_cbranch_execz .LBB81_32
; %bb.31:
	v_div_scale_f64 v[168:169], null, v[166:167], v[166:167], v[164:165]
	v_div_scale_f64 v[174:175], vcc_lo, v[164:165], v[166:167], v[164:165]
	s_delay_alu instid0(VALU_DEP_2) | instskip(SKIP_2) | instid1(VALU_DEP_1)
	v_rcp_f64_e32 v[170:171], v[168:169]
	s_waitcnt_depctr 0xfff
	v_fma_f64 v[172:173], -v[168:169], v[170:171], 1.0
	v_fma_f64 v[170:171], v[170:171], v[172:173], v[170:171]
	s_delay_alu instid0(VALU_DEP_1) | instskip(NEXT) | instid1(VALU_DEP_1)
	v_fma_f64 v[172:173], -v[168:169], v[170:171], 1.0
	v_fma_f64 v[170:171], v[170:171], v[172:173], v[170:171]
	s_delay_alu instid0(VALU_DEP_1) | instskip(NEXT) | instid1(VALU_DEP_1)
	v_mul_f64 v[172:173], v[174:175], v[170:171]
	v_fma_f64 v[168:169], -v[168:169], v[172:173], v[174:175]
	s_delay_alu instid0(VALU_DEP_1) | instskip(NEXT) | instid1(VALU_DEP_1)
	v_div_fmas_f64 v[168:169], v[168:169], v[170:171], v[172:173]
	v_div_fixup_f64 v[168:169], v[168:169], v[166:167], v[164:165]
	s_delay_alu instid0(VALU_DEP_1) | instskip(NEXT) | instid1(VALU_DEP_1)
	v_fma_f64 v[164:165], v[164:165], v[168:169], v[166:167]
	v_div_scale_f64 v[166:167], null, v[164:165], v[164:165], 1.0
	s_delay_alu instid0(VALU_DEP_1) | instskip(SKIP_2) | instid1(VALU_DEP_1)
	v_rcp_f64_e32 v[170:171], v[166:167]
	s_waitcnt_depctr 0xfff
	v_fma_f64 v[172:173], -v[166:167], v[170:171], 1.0
	v_fma_f64 v[170:171], v[170:171], v[172:173], v[170:171]
	s_delay_alu instid0(VALU_DEP_1) | instskip(NEXT) | instid1(VALU_DEP_1)
	v_fma_f64 v[172:173], -v[166:167], v[170:171], 1.0
	v_fma_f64 v[170:171], v[170:171], v[172:173], v[170:171]
	v_div_scale_f64 v[172:173], vcc_lo, 1.0, v[164:165], 1.0
	s_delay_alu instid0(VALU_DEP_1) | instskip(NEXT) | instid1(VALU_DEP_1)
	v_mul_f64 v[174:175], v[172:173], v[170:171]
	v_fma_f64 v[166:167], -v[166:167], v[174:175], v[172:173]
	s_delay_alu instid0(VALU_DEP_1) | instskip(NEXT) | instid1(VALU_DEP_1)
	v_div_fmas_f64 v[166:167], v[166:167], v[170:171], v[174:175]
	v_div_fixup_f64 v[170:171], v[166:167], v[164:165], 1.0
                                        ; implicit-def: $vgpr164_vgpr165
	s_delay_alu instid0(VALU_DEP_1)
	v_mul_f64 v[172:173], v[168:169], v[170:171]
	v_xor_b32_e32 v171, 0x80000000, v171
.LBB81_32:
	s_and_not1_saveexec_b32 s3, s3
	s_cbranch_execz .LBB81_34
; %bb.33:
	v_div_scale_f64 v[168:169], null, v[164:165], v[164:165], v[166:167]
	v_div_scale_f64 v[174:175], vcc_lo, v[166:167], v[164:165], v[166:167]
	s_delay_alu instid0(VALU_DEP_2) | instskip(SKIP_2) | instid1(VALU_DEP_1)
	v_rcp_f64_e32 v[170:171], v[168:169]
	s_waitcnt_depctr 0xfff
	v_fma_f64 v[172:173], -v[168:169], v[170:171], 1.0
	v_fma_f64 v[170:171], v[170:171], v[172:173], v[170:171]
	s_delay_alu instid0(VALU_DEP_1) | instskip(NEXT) | instid1(VALU_DEP_1)
	v_fma_f64 v[172:173], -v[168:169], v[170:171], 1.0
	v_fma_f64 v[170:171], v[170:171], v[172:173], v[170:171]
	s_delay_alu instid0(VALU_DEP_1) | instskip(NEXT) | instid1(VALU_DEP_1)
	v_mul_f64 v[172:173], v[174:175], v[170:171]
	v_fma_f64 v[168:169], -v[168:169], v[172:173], v[174:175]
	s_delay_alu instid0(VALU_DEP_1) | instskip(NEXT) | instid1(VALU_DEP_1)
	v_div_fmas_f64 v[168:169], v[168:169], v[170:171], v[172:173]
	v_div_fixup_f64 v[168:169], v[168:169], v[164:165], v[166:167]
	s_delay_alu instid0(VALU_DEP_1) | instskip(NEXT) | instid1(VALU_DEP_1)
	v_fma_f64 v[164:165], v[166:167], v[168:169], v[164:165]
	v_div_scale_f64 v[166:167], null, v[164:165], v[164:165], 1.0
	s_delay_alu instid0(VALU_DEP_1) | instskip(SKIP_2) | instid1(VALU_DEP_1)
	v_rcp_f64_e32 v[170:171], v[166:167]
	s_waitcnt_depctr 0xfff
	v_fma_f64 v[172:173], -v[166:167], v[170:171], 1.0
	v_fma_f64 v[170:171], v[170:171], v[172:173], v[170:171]
	s_delay_alu instid0(VALU_DEP_1) | instskip(NEXT) | instid1(VALU_DEP_1)
	v_fma_f64 v[172:173], -v[166:167], v[170:171], 1.0
	v_fma_f64 v[170:171], v[170:171], v[172:173], v[170:171]
	v_div_scale_f64 v[172:173], vcc_lo, 1.0, v[164:165], 1.0
	s_delay_alu instid0(VALU_DEP_1) | instskip(NEXT) | instid1(VALU_DEP_1)
	v_mul_f64 v[174:175], v[172:173], v[170:171]
	v_fma_f64 v[166:167], -v[166:167], v[174:175], v[172:173]
	s_delay_alu instid0(VALU_DEP_1) | instskip(NEXT) | instid1(VALU_DEP_1)
	v_div_fmas_f64 v[166:167], v[166:167], v[170:171], v[174:175]
	v_div_fixup_f64 v[172:173], v[166:167], v[164:165], 1.0
	s_delay_alu instid0(VALU_DEP_1)
	v_mul_f64 v[170:171], v[168:169], -v[172:173]
.LBB81_34:
	s_or_b32 exec_lo, exec_lo, s3
	ds_store_2addr_b64 v239, v[172:173], v[170:171] offset1:1
.LBB81_35:
	s_or_b32 exec_lo, exec_lo, s4
	s_waitcnt lgkmcnt(0)
	s_barrier
	buffer_gl0_inv
	ds_load_2addr_b64 v[164:167], v239 offset1:1
	s_mov_b32 s3, exec_lo
	s_waitcnt lgkmcnt(0)
	scratch_store_b128 off, v[164:167], off offset:328 ; 16-byte Folded Spill
	v_cmpx_lt_u32_e32 3, v238
	s_cbranch_execz .LBB81_37
; %bb.36:
	scratch_load_b128 v[166:169], off, off offset:328 ; 16-byte Folded Reload
	s_waitcnt vmcnt(0)
	v_mul_f64 v[164:165], v[168:169], v[150:151]
	v_mul_f64 v[150:151], v[166:167], v[150:151]
	s_delay_alu instid0(VALU_DEP_2) | instskip(NEXT) | instid1(VALU_DEP_2)
	v_fma_f64 v[164:165], v[166:167], v[148:149], -v[164:165]
	v_fma_f64 v[150:151], v[168:169], v[148:149], v[150:151]
	ds_load_2addr_b64 v[166:169], v240 offset0:8 offset1:9
	s_waitcnt lgkmcnt(0)
	v_mul_f64 v[148:149], v[168:169], v[150:151]
	s_delay_alu instid0(VALU_DEP_1) | instskip(SKIP_1) | instid1(VALU_DEP_2)
	v_fma_f64 v[148:149], v[166:167], v[164:165], -v[148:149]
	v_mul_f64 v[166:167], v[166:167], v[150:151]
	v_add_f64 v[144:145], v[144:145], -v[148:149]
	s_delay_alu instid0(VALU_DEP_2) | instskip(NEXT) | instid1(VALU_DEP_1)
	v_fma_f64 v[166:167], v[168:169], v[164:165], v[166:167]
	v_add_f64 v[146:147], v[146:147], -v[166:167]
	ds_load_2addr_b64 v[166:169], v240 offset0:10 offset1:11
	s_waitcnt lgkmcnt(0)
	v_mul_f64 v[148:149], v[168:169], v[150:151]
	s_delay_alu instid0(VALU_DEP_1) | instskip(SKIP_1) | instid1(VALU_DEP_2)
	v_fma_f64 v[148:149], v[166:167], v[164:165], -v[148:149]
	v_mul_f64 v[166:167], v[166:167], v[150:151]
	v_add_f64 v[140:141], v[140:141], -v[148:149]
	s_delay_alu instid0(VALU_DEP_2) | instskip(NEXT) | instid1(VALU_DEP_1)
	v_fma_f64 v[166:167], v[168:169], v[164:165], v[166:167]
	v_add_f64 v[142:143], v[142:143], -v[166:167]
	;; [unrolled: 10-line block ×36, first 2 shown]
	ds_load_2addr_b64 v[166:169], v240 offset0:80 offset1:81
	s_waitcnt lgkmcnt(0)
	v_mul_f64 v[148:149], v[168:169], v[150:151]
	s_delay_alu instid0(VALU_DEP_1) | instskip(SKIP_1) | instid1(VALU_DEP_2)
	v_fma_f64 v[148:149], v[166:167], v[164:165], -v[148:149]
	v_mul_f64 v[166:167], v[166:167], v[150:151]
	v_add_f64 v[0:1], v[0:1], -v[148:149]
	s_delay_alu instid0(VALU_DEP_2) | instskip(SKIP_1) | instid1(VALU_DEP_2)
	v_fma_f64 v[166:167], v[168:169], v[164:165], v[166:167]
	v_dual_mov_b32 v148, v164 :: v_dual_mov_b32 v149, v165
	v_add_f64 v[2:3], v[2:3], -v[166:167]
.LBB81_37:
	s_or_b32 exec_lo, exec_lo, s3
	s_delay_alu instid0(SALU_CYCLE_1)
	s_mov_b32 s4, exec_lo
	s_waitcnt_vscnt null, 0x0
	s_barrier
	buffer_gl0_inv
	v_cmpx_eq_u32_e32 4, v238
	s_cbranch_execz .LBB81_44
; %bb.38:
	ds_store_2addr_b64 v239, v[144:145], v[146:147] offset1:1
	ds_store_2addr_b64 v240, v[140:141], v[142:143] offset0:10 offset1:11
	ds_store_2addr_b64 v240, v[136:137], v[138:139] offset0:12 offset1:13
	;; [unrolled: 1-line block ×36, first 2 shown]
	ds_load_2addr_b64 v[164:167], v239 offset1:1
	s_waitcnt lgkmcnt(0)
	v_cmp_neq_f64_e32 vcc_lo, 0, v[164:165]
	v_cmp_neq_f64_e64 s3, 0, v[166:167]
	s_delay_alu instid0(VALU_DEP_1) | instskip(NEXT) | instid1(SALU_CYCLE_1)
	s_or_b32 s3, vcc_lo, s3
	s_and_b32 exec_lo, exec_lo, s3
	s_cbranch_execz .LBB81_44
; %bb.39:
	v_cmp_gt_f64_e32 vcc_lo, 0, v[164:165]
	v_xor_b32_e32 v168, 0x80000000, v165
	v_xor_b32_e32 v170, 0x80000000, v167
	s_mov_b32 s3, exec_lo
                                        ; implicit-def: $vgpr172_vgpr173
	s_delay_alu instid0(VALU_DEP_2) | instskip(SKIP_4) | instid1(VALU_DEP_1)
	v_cndmask_b32_e32 v169, v165, v168, vcc_lo
	v_cndmask_b32_e32 v168, v164, v164, vcc_lo
	v_cmp_gt_f64_e32 vcc_lo, 0, v[166:167]
	v_cndmask_b32_e32 v171, v167, v170, vcc_lo
	v_cndmask_b32_e32 v170, v166, v166, vcc_lo
	v_cmpx_ngt_f64_e32 v[168:169], v[170:171]
	s_xor_b32 s3, exec_lo, s3
                                        ; implicit-def: $vgpr168_vgpr169_vgpr170_vgpr171
	s_cbranch_execz .LBB81_41
; %bb.40:
	v_div_scale_f64 v[168:169], null, v[166:167], v[166:167], v[164:165]
	v_div_scale_f64 v[174:175], vcc_lo, v[164:165], v[166:167], v[164:165]
	s_delay_alu instid0(VALU_DEP_2) | instskip(SKIP_2) | instid1(VALU_DEP_1)
	v_rcp_f64_e32 v[170:171], v[168:169]
	s_waitcnt_depctr 0xfff
	v_fma_f64 v[172:173], -v[168:169], v[170:171], 1.0
	v_fma_f64 v[170:171], v[170:171], v[172:173], v[170:171]
	s_delay_alu instid0(VALU_DEP_1) | instskip(NEXT) | instid1(VALU_DEP_1)
	v_fma_f64 v[172:173], -v[168:169], v[170:171], 1.0
	v_fma_f64 v[170:171], v[170:171], v[172:173], v[170:171]
	s_delay_alu instid0(VALU_DEP_1) | instskip(NEXT) | instid1(VALU_DEP_1)
	v_mul_f64 v[172:173], v[174:175], v[170:171]
	v_fma_f64 v[168:169], -v[168:169], v[172:173], v[174:175]
	s_delay_alu instid0(VALU_DEP_1) | instskip(NEXT) | instid1(VALU_DEP_1)
	v_div_fmas_f64 v[168:169], v[168:169], v[170:171], v[172:173]
	v_div_fixup_f64 v[168:169], v[168:169], v[166:167], v[164:165]
	s_delay_alu instid0(VALU_DEP_1) | instskip(NEXT) | instid1(VALU_DEP_1)
	v_fma_f64 v[164:165], v[164:165], v[168:169], v[166:167]
	v_div_scale_f64 v[166:167], null, v[164:165], v[164:165], 1.0
	s_delay_alu instid0(VALU_DEP_1) | instskip(SKIP_2) | instid1(VALU_DEP_1)
	v_rcp_f64_e32 v[170:171], v[166:167]
	s_waitcnt_depctr 0xfff
	v_fma_f64 v[172:173], -v[166:167], v[170:171], 1.0
	v_fma_f64 v[170:171], v[170:171], v[172:173], v[170:171]
	s_delay_alu instid0(VALU_DEP_1) | instskip(NEXT) | instid1(VALU_DEP_1)
	v_fma_f64 v[172:173], -v[166:167], v[170:171], 1.0
	v_fma_f64 v[170:171], v[170:171], v[172:173], v[170:171]
	v_div_scale_f64 v[172:173], vcc_lo, 1.0, v[164:165], 1.0
	s_delay_alu instid0(VALU_DEP_1) | instskip(NEXT) | instid1(VALU_DEP_1)
	v_mul_f64 v[174:175], v[172:173], v[170:171]
	v_fma_f64 v[166:167], -v[166:167], v[174:175], v[172:173]
	s_delay_alu instid0(VALU_DEP_1) | instskip(NEXT) | instid1(VALU_DEP_1)
	v_div_fmas_f64 v[166:167], v[166:167], v[170:171], v[174:175]
	v_div_fixup_f64 v[170:171], v[166:167], v[164:165], 1.0
                                        ; implicit-def: $vgpr164_vgpr165
	s_delay_alu instid0(VALU_DEP_1)
	v_mul_f64 v[172:173], v[168:169], v[170:171]
	v_xor_b32_e32 v171, 0x80000000, v171
.LBB81_41:
	s_and_not1_saveexec_b32 s3, s3
	s_cbranch_execz .LBB81_43
; %bb.42:
	v_div_scale_f64 v[168:169], null, v[164:165], v[164:165], v[166:167]
	v_div_scale_f64 v[174:175], vcc_lo, v[166:167], v[164:165], v[166:167]
	s_delay_alu instid0(VALU_DEP_2) | instskip(SKIP_2) | instid1(VALU_DEP_1)
	v_rcp_f64_e32 v[170:171], v[168:169]
	s_waitcnt_depctr 0xfff
	v_fma_f64 v[172:173], -v[168:169], v[170:171], 1.0
	v_fma_f64 v[170:171], v[170:171], v[172:173], v[170:171]
	s_delay_alu instid0(VALU_DEP_1) | instskip(NEXT) | instid1(VALU_DEP_1)
	v_fma_f64 v[172:173], -v[168:169], v[170:171], 1.0
	v_fma_f64 v[170:171], v[170:171], v[172:173], v[170:171]
	s_delay_alu instid0(VALU_DEP_1) | instskip(NEXT) | instid1(VALU_DEP_1)
	v_mul_f64 v[172:173], v[174:175], v[170:171]
	v_fma_f64 v[168:169], -v[168:169], v[172:173], v[174:175]
	s_delay_alu instid0(VALU_DEP_1) | instskip(NEXT) | instid1(VALU_DEP_1)
	v_div_fmas_f64 v[168:169], v[168:169], v[170:171], v[172:173]
	v_div_fixup_f64 v[168:169], v[168:169], v[164:165], v[166:167]
	s_delay_alu instid0(VALU_DEP_1) | instskip(NEXT) | instid1(VALU_DEP_1)
	v_fma_f64 v[164:165], v[166:167], v[168:169], v[164:165]
	v_div_scale_f64 v[166:167], null, v[164:165], v[164:165], 1.0
	s_delay_alu instid0(VALU_DEP_1) | instskip(SKIP_2) | instid1(VALU_DEP_1)
	v_rcp_f64_e32 v[170:171], v[166:167]
	s_waitcnt_depctr 0xfff
	v_fma_f64 v[172:173], -v[166:167], v[170:171], 1.0
	v_fma_f64 v[170:171], v[170:171], v[172:173], v[170:171]
	s_delay_alu instid0(VALU_DEP_1) | instskip(NEXT) | instid1(VALU_DEP_1)
	v_fma_f64 v[172:173], -v[166:167], v[170:171], 1.0
	v_fma_f64 v[170:171], v[170:171], v[172:173], v[170:171]
	v_div_scale_f64 v[172:173], vcc_lo, 1.0, v[164:165], 1.0
	s_delay_alu instid0(VALU_DEP_1) | instskip(NEXT) | instid1(VALU_DEP_1)
	v_mul_f64 v[174:175], v[172:173], v[170:171]
	v_fma_f64 v[166:167], -v[166:167], v[174:175], v[172:173]
	s_delay_alu instid0(VALU_DEP_1) | instskip(NEXT) | instid1(VALU_DEP_1)
	v_div_fmas_f64 v[166:167], v[166:167], v[170:171], v[174:175]
	v_div_fixup_f64 v[172:173], v[166:167], v[164:165], 1.0
	s_delay_alu instid0(VALU_DEP_1)
	v_mul_f64 v[170:171], v[168:169], -v[172:173]
.LBB81_43:
	s_or_b32 exec_lo, exec_lo, s3
	ds_store_2addr_b64 v239, v[172:173], v[170:171] offset1:1
.LBB81_44:
	s_or_b32 exec_lo, exec_lo, s4
	s_waitcnt lgkmcnt(0)
	s_barrier
	buffer_gl0_inv
	ds_load_2addr_b64 v[164:167], v239 offset1:1
	s_mov_b32 s3, exec_lo
	s_waitcnt lgkmcnt(0)
	scratch_store_b128 off, v[164:167], off offset:344 ; 16-byte Folded Spill
	v_cmpx_lt_u32_e32 4, v238
	s_cbranch_execz .LBB81_46
; %bb.45:
	scratch_load_b128 v[166:169], off, off offset:344 ; 16-byte Folded Reload
	s_waitcnt vmcnt(0)
	v_mul_f64 v[164:165], v[168:169], v[146:147]
	v_mul_f64 v[146:147], v[166:167], v[146:147]
	s_delay_alu instid0(VALU_DEP_2) | instskip(NEXT) | instid1(VALU_DEP_2)
	v_fma_f64 v[164:165], v[166:167], v[144:145], -v[164:165]
	v_fma_f64 v[146:147], v[168:169], v[144:145], v[146:147]
	ds_load_2addr_b64 v[166:169], v240 offset0:10 offset1:11
	s_waitcnt lgkmcnt(0)
	v_mul_f64 v[144:145], v[168:169], v[146:147]
	s_delay_alu instid0(VALU_DEP_1) | instskip(SKIP_1) | instid1(VALU_DEP_2)
	v_fma_f64 v[144:145], v[166:167], v[164:165], -v[144:145]
	v_mul_f64 v[166:167], v[166:167], v[146:147]
	v_add_f64 v[140:141], v[140:141], -v[144:145]
	s_delay_alu instid0(VALU_DEP_2) | instskip(NEXT) | instid1(VALU_DEP_1)
	v_fma_f64 v[166:167], v[168:169], v[164:165], v[166:167]
	v_add_f64 v[142:143], v[142:143], -v[166:167]
	ds_load_2addr_b64 v[166:169], v240 offset0:12 offset1:13
	s_waitcnt lgkmcnt(0)
	v_mul_f64 v[144:145], v[168:169], v[146:147]
	s_delay_alu instid0(VALU_DEP_1) | instskip(SKIP_1) | instid1(VALU_DEP_2)
	v_fma_f64 v[144:145], v[166:167], v[164:165], -v[144:145]
	v_mul_f64 v[166:167], v[166:167], v[146:147]
	v_add_f64 v[136:137], v[136:137], -v[144:145]
	s_delay_alu instid0(VALU_DEP_2) | instskip(NEXT) | instid1(VALU_DEP_1)
	v_fma_f64 v[166:167], v[168:169], v[164:165], v[166:167]
	v_add_f64 v[138:139], v[138:139], -v[166:167]
	;; [unrolled: 10-line block ×35, first 2 shown]
	ds_load_2addr_b64 v[166:169], v240 offset0:80 offset1:81
	s_waitcnt lgkmcnt(0)
	v_mul_f64 v[144:145], v[168:169], v[146:147]
	s_delay_alu instid0(VALU_DEP_1) | instskip(SKIP_1) | instid1(VALU_DEP_2)
	v_fma_f64 v[144:145], v[166:167], v[164:165], -v[144:145]
	v_mul_f64 v[166:167], v[166:167], v[146:147]
	v_add_f64 v[0:1], v[0:1], -v[144:145]
	s_delay_alu instid0(VALU_DEP_2) | instskip(SKIP_1) | instid1(VALU_DEP_2)
	v_fma_f64 v[166:167], v[168:169], v[164:165], v[166:167]
	v_dual_mov_b32 v144, v164 :: v_dual_mov_b32 v145, v165
	v_add_f64 v[2:3], v[2:3], -v[166:167]
.LBB81_46:
	s_or_b32 exec_lo, exec_lo, s3
	s_delay_alu instid0(SALU_CYCLE_1)
	s_mov_b32 s4, exec_lo
	s_waitcnt_vscnt null, 0x0
	s_barrier
	buffer_gl0_inv
	v_cmpx_eq_u32_e32 5, v238
	s_cbranch_execz .LBB81_53
; %bb.47:
	ds_store_2addr_b64 v239, v[140:141], v[142:143] offset1:1
	ds_store_2addr_b64 v240, v[136:137], v[138:139] offset0:12 offset1:13
	ds_store_2addr_b64 v240, v[132:133], v[134:135] offset0:14 offset1:15
	;; [unrolled: 1-line block ×35, first 2 shown]
	ds_load_2addr_b64 v[164:167], v239 offset1:1
	s_waitcnt lgkmcnt(0)
	v_cmp_neq_f64_e32 vcc_lo, 0, v[164:165]
	v_cmp_neq_f64_e64 s3, 0, v[166:167]
	s_delay_alu instid0(VALU_DEP_1) | instskip(NEXT) | instid1(SALU_CYCLE_1)
	s_or_b32 s3, vcc_lo, s3
	s_and_b32 exec_lo, exec_lo, s3
	s_cbranch_execz .LBB81_53
; %bb.48:
	v_cmp_gt_f64_e32 vcc_lo, 0, v[164:165]
	v_xor_b32_e32 v168, 0x80000000, v165
	v_xor_b32_e32 v170, 0x80000000, v167
	s_mov_b32 s3, exec_lo
                                        ; implicit-def: $vgpr172_vgpr173
	s_delay_alu instid0(VALU_DEP_2) | instskip(SKIP_4) | instid1(VALU_DEP_1)
	v_cndmask_b32_e32 v169, v165, v168, vcc_lo
	v_cndmask_b32_e32 v168, v164, v164, vcc_lo
	v_cmp_gt_f64_e32 vcc_lo, 0, v[166:167]
	v_cndmask_b32_e32 v171, v167, v170, vcc_lo
	v_cndmask_b32_e32 v170, v166, v166, vcc_lo
	v_cmpx_ngt_f64_e32 v[168:169], v[170:171]
	s_xor_b32 s3, exec_lo, s3
                                        ; implicit-def: $vgpr168_vgpr169_vgpr170_vgpr171
	s_cbranch_execz .LBB81_50
; %bb.49:
	v_div_scale_f64 v[168:169], null, v[166:167], v[166:167], v[164:165]
	v_div_scale_f64 v[174:175], vcc_lo, v[164:165], v[166:167], v[164:165]
	s_delay_alu instid0(VALU_DEP_2) | instskip(SKIP_2) | instid1(VALU_DEP_1)
	v_rcp_f64_e32 v[170:171], v[168:169]
	s_waitcnt_depctr 0xfff
	v_fma_f64 v[172:173], -v[168:169], v[170:171], 1.0
	v_fma_f64 v[170:171], v[170:171], v[172:173], v[170:171]
	s_delay_alu instid0(VALU_DEP_1) | instskip(NEXT) | instid1(VALU_DEP_1)
	v_fma_f64 v[172:173], -v[168:169], v[170:171], 1.0
	v_fma_f64 v[170:171], v[170:171], v[172:173], v[170:171]
	s_delay_alu instid0(VALU_DEP_1) | instskip(NEXT) | instid1(VALU_DEP_1)
	v_mul_f64 v[172:173], v[174:175], v[170:171]
	v_fma_f64 v[168:169], -v[168:169], v[172:173], v[174:175]
	s_delay_alu instid0(VALU_DEP_1) | instskip(NEXT) | instid1(VALU_DEP_1)
	v_div_fmas_f64 v[168:169], v[168:169], v[170:171], v[172:173]
	v_div_fixup_f64 v[168:169], v[168:169], v[166:167], v[164:165]
	s_delay_alu instid0(VALU_DEP_1) | instskip(NEXT) | instid1(VALU_DEP_1)
	v_fma_f64 v[164:165], v[164:165], v[168:169], v[166:167]
	v_div_scale_f64 v[166:167], null, v[164:165], v[164:165], 1.0
	s_delay_alu instid0(VALU_DEP_1) | instskip(SKIP_2) | instid1(VALU_DEP_1)
	v_rcp_f64_e32 v[170:171], v[166:167]
	s_waitcnt_depctr 0xfff
	v_fma_f64 v[172:173], -v[166:167], v[170:171], 1.0
	v_fma_f64 v[170:171], v[170:171], v[172:173], v[170:171]
	s_delay_alu instid0(VALU_DEP_1) | instskip(NEXT) | instid1(VALU_DEP_1)
	v_fma_f64 v[172:173], -v[166:167], v[170:171], 1.0
	v_fma_f64 v[170:171], v[170:171], v[172:173], v[170:171]
	v_div_scale_f64 v[172:173], vcc_lo, 1.0, v[164:165], 1.0
	s_delay_alu instid0(VALU_DEP_1) | instskip(NEXT) | instid1(VALU_DEP_1)
	v_mul_f64 v[174:175], v[172:173], v[170:171]
	v_fma_f64 v[166:167], -v[166:167], v[174:175], v[172:173]
	s_delay_alu instid0(VALU_DEP_1) | instskip(NEXT) | instid1(VALU_DEP_1)
	v_div_fmas_f64 v[166:167], v[166:167], v[170:171], v[174:175]
	v_div_fixup_f64 v[170:171], v[166:167], v[164:165], 1.0
                                        ; implicit-def: $vgpr164_vgpr165
	s_delay_alu instid0(VALU_DEP_1)
	v_mul_f64 v[172:173], v[168:169], v[170:171]
	v_xor_b32_e32 v171, 0x80000000, v171
.LBB81_50:
	s_and_not1_saveexec_b32 s3, s3
	s_cbranch_execz .LBB81_52
; %bb.51:
	v_div_scale_f64 v[168:169], null, v[164:165], v[164:165], v[166:167]
	v_div_scale_f64 v[174:175], vcc_lo, v[166:167], v[164:165], v[166:167]
	s_delay_alu instid0(VALU_DEP_2) | instskip(SKIP_2) | instid1(VALU_DEP_1)
	v_rcp_f64_e32 v[170:171], v[168:169]
	s_waitcnt_depctr 0xfff
	v_fma_f64 v[172:173], -v[168:169], v[170:171], 1.0
	v_fma_f64 v[170:171], v[170:171], v[172:173], v[170:171]
	s_delay_alu instid0(VALU_DEP_1) | instskip(NEXT) | instid1(VALU_DEP_1)
	v_fma_f64 v[172:173], -v[168:169], v[170:171], 1.0
	v_fma_f64 v[170:171], v[170:171], v[172:173], v[170:171]
	s_delay_alu instid0(VALU_DEP_1) | instskip(NEXT) | instid1(VALU_DEP_1)
	v_mul_f64 v[172:173], v[174:175], v[170:171]
	v_fma_f64 v[168:169], -v[168:169], v[172:173], v[174:175]
	s_delay_alu instid0(VALU_DEP_1) | instskip(NEXT) | instid1(VALU_DEP_1)
	v_div_fmas_f64 v[168:169], v[168:169], v[170:171], v[172:173]
	v_div_fixup_f64 v[168:169], v[168:169], v[164:165], v[166:167]
	s_delay_alu instid0(VALU_DEP_1) | instskip(NEXT) | instid1(VALU_DEP_1)
	v_fma_f64 v[164:165], v[166:167], v[168:169], v[164:165]
	v_div_scale_f64 v[166:167], null, v[164:165], v[164:165], 1.0
	s_delay_alu instid0(VALU_DEP_1) | instskip(SKIP_2) | instid1(VALU_DEP_1)
	v_rcp_f64_e32 v[170:171], v[166:167]
	s_waitcnt_depctr 0xfff
	v_fma_f64 v[172:173], -v[166:167], v[170:171], 1.0
	v_fma_f64 v[170:171], v[170:171], v[172:173], v[170:171]
	s_delay_alu instid0(VALU_DEP_1) | instskip(NEXT) | instid1(VALU_DEP_1)
	v_fma_f64 v[172:173], -v[166:167], v[170:171], 1.0
	v_fma_f64 v[170:171], v[170:171], v[172:173], v[170:171]
	v_div_scale_f64 v[172:173], vcc_lo, 1.0, v[164:165], 1.0
	s_delay_alu instid0(VALU_DEP_1) | instskip(NEXT) | instid1(VALU_DEP_1)
	v_mul_f64 v[174:175], v[172:173], v[170:171]
	v_fma_f64 v[166:167], -v[166:167], v[174:175], v[172:173]
	s_delay_alu instid0(VALU_DEP_1) | instskip(NEXT) | instid1(VALU_DEP_1)
	v_div_fmas_f64 v[166:167], v[166:167], v[170:171], v[174:175]
	v_div_fixup_f64 v[172:173], v[166:167], v[164:165], 1.0
	s_delay_alu instid0(VALU_DEP_1)
	v_mul_f64 v[170:171], v[168:169], -v[172:173]
.LBB81_52:
	s_or_b32 exec_lo, exec_lo, s3
	ds_store_2addr_b64 v239, v[172:173], v[170:171] offset1:1
.LBB81_53:
	s_or_b32 exec_lo, exec_lo, s4
	s_waitcnt lgkmcnt(0)
	s_barrier
	buffer_gl0_inv
	ds_load_2addr_b64 v[164:167], v239 offset1:1
	s_mov_b32 s3, exec_lo
	s_waitcnt lgkmcnt(0)
	scratch_store_b128 off, v[164:167], off offset:360 ; 16-byte Folded Spill
	v_cmpx_lt_u32_e32 5, v238
	s_cbranch_execz .LBB81_55
; %bb.54:
	scratch_load_b128 v[166:169], off, off offset:360 ; 16-byte Folded Reload
	s_waitcnt vmcnt(0)
	v_mul_f64 v[164:165], v[168:169], v[142:143]
	v_mul_f64 v[142:143], v[166:167], v[142:143]
	s_delay_alu instid0(VALU_DEP_2) | instskip(NEXT) | instid1(VALU_DEP_2)
	v_fma_f64 v[164:165], v[166:167], v[140:141], -v[164:165]
	v_fma_f64 v[142:143], v[168:169], v[140:141], v[142:143]
	ds_load_2addr_b64 v[166:169], v240 offset0:12 offset1:13
	s_waitcnt lgkmcnt(0)
	v_mul_f64 v[140:141], v[168:169], v[142:143]
	s_delay_alu instid0(VALU_DEP_1) | instskip(SKIP_1) | instid1(VALU_DEP_2)
	v_fma_f64 v[140:141], v[166:167], v[164:165], -v[140:141]
	v_mul_f64 v[166:167], v[166:167], v[142:143]
	v_add_f64 v[136:137], v[136:137], -v[140:141]
	s_delay_alu instid0(VALU_DEP_2) | instskip(NEXT) | instid1(VALU_DEP_1)
	v_fma_f64 v[166:167], v[168:169], v[164:165], v[166:167]
	v_add_f64 v[138:139], v[138:139], -v[166:167]
	ds_load_2addr_b64 v[166:169], v240 offset0:14 offset1:15
	s_waitcnt lgkmcnt(0)
	v_mul_f64 v[140:141], v[168:169], v[142:143]
	s_delay_alu instid0(VALU_DEP_1) | instskip(SKIP_1) | instid1(VALU_DEP_2)
	v_fma_f64 v[140:141], v[166:167], v[164:165], -v[140:141]
	v_mul_f64 v[166:167], v[166:167], v[142:143]
	v_add_f64 v[132:133], v[132:133], -v[140:141]
	s_delay_alu instid0(VALU_DEP_2) | instskip(NEXT) | instid1(VALU_DEP_1)
	v_fma_f64 v[166:167], v[168:169], v[164:165], v[166:167]
	v_add_f64 v[134:135], v[134:135], -v[166:167]
	;; [unrolled: 10-line block ×34, first 2 shown]
	ds_load_2addr_b64 v[166:169], v240 offset0:80 offset1:81
	s_waitcnt lgkmcnt(0)
	v_mul_f64 v[140:141], v[168:169], v[142:143]
	s_delay_alu instid0(VALU_DEP_1) | instskip(SKIP_1) | instid1(VALU_DEP_2)
	v_fma_f64 v[140:141], v[166:167], v[164:165], -v[140:141]
	v_mul_f64 v[166:167], v[166:167], v[142:143]
	v_add_f64 v[0:1], v[0:1], -v[140:141]
	s_delay_alu instid0(VALU_DEP_2) | instskip(SKIP_1) | instid1(VALU_DEP_2)
	v_fma_f64 v[166:167], v[168:169], v[164:165], v[166:167]
	v_dual_mov_b32 v140, v164 :: v_dual_mov_b32 v141, v165
	v_add_f64 v[2:3], v[2:3], -v[166:167]
.LBB81_55:
	s_or_b32 exec_lo, exec_lo, s3
	s_delay_alu instid0(SALU_CYCLE_1)
	s_mov_b32 s4, exec_lo
	s_waitcnt_vscnt null, 0x0
	s_barrier
	buffer_gl0_inv
	v_cmpx_eq_u32_e32 6, v238
	s_cbranch_execz .LBB81_62
; %bb.56:
	ds_store_2addr_b64 v239, v[136:137], v[138:139] offset1:1
	ds_store_2addr_b64 v240, v[132:133], v[134:135] offset0:14 offset1:15
	ds_store_2addr_b64 v240, v[128:129], v[130:131] offset0:16 offset1:17
	;; [unrolled: 1-line block ×34, first 2 shown]
	ds_load_2addr_b64 v[164:167], v239 offset1:1
	s_waitcnt lgkmcnt(0)
	v_cmp_neq_f64_e32 vcc_lo, 0, v[164:165]
	v_cmp_neq_f64_e64 s3, 0, v[166:167]
	s_delay_alu instid0(VALU_DEP_1) | instskip(NEXT) | instid1(SALU_CYCLE_1)
	s_or_b32 s3, vcc_lo, s3
	s_and_b32 exec_lo, exec_lo, s3
	s_cbranch_execz .LBB81_62
; %bb.57:
	v_cmp_gt_f64_e32 vcc_lo, 0, v[164:165]
	v_xor_b32_e32 v168, 0x80000000, v165
	v_xor_b32_e32 v170, 0x80000000, v167
	s_mov_b32 s3, exec_lo
                                        ; implicit-def: $vgpr172_vgpr173
	s_delay_alu instid0(VALU_DEP_2) | instskip(SKIP_4) | instid1(VALU_DEP_1)
	v_cndmask_b32_e32 v169, v165, v168, vcc_lo
	v_cndmask_b32_e32 v168, v164, v164, vcc_lo
	v_cmp_gt_f64_e32 vcc_lo, 0, v[166:167]
	v_cndmask_b32_e32 v171, v167, v170, vcc_lo
	v_cndmask_b32_e32 v170, v166, v166, vcc_lo
	v_cmpx_ngt_f64_e32 v[168:169], v[170:171]
	s_xor_b32 s3, exec_lo, s3
                                        ; implicit-def: $vgpr168_vgpr169_vgpr170_vgpr171
	s_cbranch_execz .LBB81_59
; %bb.58:
	v_div_scale_f64 v[168:169], null, v[166:167], v[166:167], v[164:165]
	v_div_scale_f64 v[174:175], vcc_lo, v[164:165], v[166:167], v[164:165]
	s_delay_alu instid0(VALU_DEP_2) | instskip(SKIP_2) | instid1(VALU_DEP_1)
	v_rcp_f64_e32 v[170:171], v[168:169]
	s_waitcnt_depctr 0xfff
	v_fma_f64 v[172:173], -v[168:169], v[170:171], 1.0
	v_fma_f64 v[170:171], v[170:171], v[172:173], v[170:171]
	s_delay_alu instid0(VALU_DEP_1) | instskip(NEXT) | instid1(VALU_DEP_1)
	v_fma_f64 v[172:173], -v[168:169], v[170:171], 1.0
	v_fma_f64 v[170:171], v[170:171], v[172:173], v[170:171]
	s_delay_alu instid0(VALU_DEP_1) | instskip(NEXT) | instid1(VALU_DEP_1)
	v_mul_f64 v[172:173], v[174:175], v[170:171]
	v_fma_f64 v[168:169], -v[168:169], v[172:173], v[174:175]
	s_delay_alu instid0(VALU_DEP_1) | instskip(NEXT) | instid1(VALU_DEP_1)
	v_div_fmas_f64 v[168:169], v[168:169], v[170:171], v[172:173]
	v_div_fixup_f64 v[168:169], v[168:169], v[166:167], v[164:165]
	s_delay_alu instid0(VALU_DEP_1) | instskip(NEXT) | instid1(VALU_DEP_1)
	v_fma_f64 v[164:165], v[164:165], v[168:169], v[166:167]
	v_div_scale_f64 v[166:167], null, v[164:165], v[164:165], 1.0
	s_delay_alu instid0(VALU_DEP_1) | instskip(SKIP_2) | instid1(VALU_DEP_1)
	v_rcp_f64_e32 v[170:171], v[166:167]
	s_waitcnt_depctr 0xfff
	v_fma_f64 v[172:173], -v[166:167], v[170:171], 1.0
	v_fma_f64 v[170:171], v[170:171], v[172:173], v[170:171]
	s_delay_alu instid0(VALU_DEP_1) | instskip(NEXT) | instid1(VALU_DEP_1)
	v_fma_f64 v[172:173], -v[166:167], v[170:171], 1.0
	v_fma_f64 v[170:171], v[170:171], v[172:173], v[170:171]
	v_div_scale_f64 v[172:173], vcc_lo, 1.0, v[164:165], 1.0
	s_delay_alu instid0(VALU_DEP_1) | instskip(NEXT) | instid1(VALU_DEP_1)
	v_mul_f64 v[174:175], v[172:173], v[170:171]
	v_fma_f64 v[166:167], -v[166:167], v[174:175], v[172:173]
	s_delay_alu instid0(VALU_DEP_1) | instskip(NEXT) | instid1(VALU_DEP_1)
	v_div_fmas_f64 v[166:167], v[166:167], v[170:171], v[174:175]
	v_div_fixup_f64 v[170:171], v[166:167], v[164:165], 1.0
                                        ; implicit-def: $vgpr164_vgpr165
	s_delay_alu instid0(VALU_DEP_1)
	v_mul_f64 v[172:173], v[168:169], v[170:171]
	v_xor_b32_e32 v171, 0x80000000, v171
.LBB81_59:
	s_and_not1_saveexec_b32 s3, s3
	s_cbranch_execz .LBB81_61
; %bb.60:
	v_div_scale_f64 v[168:169], null, v[164:165], v[164:165], v[166:167]
	v_div_scale_f64 v[174:175], vcc_lo, v[166:167], v[164:165], v[166:167]
	s_delay_alu instid0(VALU_DEP_2) | instskip(SKIP_2) | instid1(VALU_DEP_1)
	v_rcp_f64_e32 v[170:171], v[168:169]
	s_waitcnt_depctr 0xfff
	v_fma_f64 v[172:173], -v[168:169], v[170:171], 1.0
	v_fma_f64 v[170:171], v[170:171], v[172:173], v[170:171]
	s_delay_alu instid0(VALU_DEP_1) | instskip(NEXT) | instid1(VALU_DEP_1)
	v_fma_f64 v[172:173], -v[168:169], v[170:171], 1.0
	v_fma_f64 v[170:171], v[170:171], v[172:173], v[170:171]
	s_delay_alu instid0(VALU_DEP_1) | instskip(NEXT) | instid1(VALU_DEP_1)
	v_mul_f64 v[172:173], v[174:175], v[170:171]
	v_fma_f64 v[168:169], -v[168:169], v[172:173], v[174:175]
	s_delay_alu instid0(VALU_DEP_1) | instskip(NEXT) | instid1(VALU_DEP_1)
	v_div_fmas_f64 v[168:169], v[168:169], v[170:171], v[172:173]
	v_div_fixup_f64 v[168:169], v[168:169], v[164:165], v[166:167]
	s_delay_alu instid0(VALU_DEP_1) | instskip(NEXT) | instid1(VALU_DEP_1)
	v_fma_f64 v[164:165], v[166:167], v[168:169], v[164:165]
	v_div_scale_f64 v[166:167], null, v[164:165], v[164:165], 1.0
	s_delay_alu instid0(VALU_DEP_1) | instskip(SKIP_2) | instid1(VALU_DEP_1)
	v_rcp_f64_e32 v[170:171], v[166:167]
	s_waitcnt_depctr 0xfff
	v_fma_f64 v[172:173], -v[166:167], v[170:171], 1.0
	v_fma_f64 v[170:171], v[170:171], v[172:173], v[170:171]
	s_delay_alu instid0(VALU_DEP_1) | instskip(NEXT) | instid1(VALU_DEP_1)
	v_fma_f64 v[172:173], -v[166:167], v[170:171], 1.0
	v_fma_f64 v[170:171], v[170:171], v[172:173], v[170:171]
	v_div_scale_f64 v[172:173], vcc_lo, 1.0, v[164:165], 1.0
	s_delay_alu instid0(VALU_DEP_1) | instskip(NEXT) | instid1(VALU_DEP_1)
	v_mul_f64 v[174:175], v[172:173], v[170:171]
	v_fma_f64 v[166:167], -v[166:167], v[174:175], v[172:173]
	s_delay_alu instid0(VALU_DEP_1) | instskip(NEXT) | instid1(VALU_DEP_1)
	v_div_fmas_f64 v[166:167], v[166:167], v[170:171], v[174:175]
	v_div_fixup_f64 v[172:173], v[166:167], v[164:165], 1.0
	s_delay_alu instid0(VALU_DEP_1)
	v_mul_f64 v[170:171], v[168:169], -v[172:173]
.LBB81_61:
	s_or_b32 exec_lo, exec_lo, s3
	ds_store_2addr_b64 v239, v[172:173], v[170:171] offset1:1
.LBB81_62:
	s_or_b32 exec_lo, exec_lo, s4
	s_waitcnt lgkmcnt(0)
	s_barrier
	buffer_gl0_inv
	ds_load_2addr_b64 v[164:167], v239 offset1:1
	s_mov_b32 s3, exec_lo
	s_waitcnt lgkmcnt(0)
	scratch_store_b128 off, v[164:167], off offset:376 ; 16-byte Folded Spill
	v_cmpx_lt_u32_e32 6, v238
	s_cbranch_execz .LBB81_64
; %bb.63:
	scratch_load_b128 v[166:169], off, off offset:376 ; 16-byte Folded Reload
	s_waitcnt vmcnt(0)
	v_mul_f64 v[164:165], v[168:169], v[138:139]
	v_mul_f64 v[138:139], v[166:167], v[138:139]
	s_delay_alu instid0(VALU_DEP_2) | instskip(NEXT) | instid1(VALU_DEP_2)
	v_fma_f64 v[164:165], v[166:167], v[136:137], -v[164:165]
	v_fma_f64 v[138:139], v[168:169], v[136:137], v[138:139]
	ds_load_2addr_b64 v[166:169], v240 offset0:14 offset1:15
	s_waitcnt lgkmcnt(0)
	v_mul_f64 v[136:137], v[168:169], v[138:139]
	s_delay_alu instid0(VALU_DEP_1) | instskip(SKIP_1) | instid1(VALU_DEP_2)
	v_fma_f64 v[136:137], v[166:167], v[164:165], -v[136:137]
	v_mul_f64 v[166:167], v[166:167], v[138:139]
	v_add_f64 v[132:133], v[132:133], -v[136:137]
	s_delay_alu instid0(VALU_DEP_2) | instskip(NEXT) | instid1(VALU_DEP_1)
	v_fma_f64 v[166:167], v[168:169], v[164:165], v[166:167]
	v_add_f64 v[134:135], v[134:135], -v[166:167]
	ds_load_2addr_b64 v[166:169], v240 offset0:16 offset1:17
	s_waitcnt lgkmcnt(0)
	v_mul_f64 v[136:137], v[168:169], v[138:139]
	s_delay_alu instid0(VALU_DEP_1) | instskip(SKIP_1) | instid1(VALU_DEP_2)
	v_fma_f64 v[136:137], v[166:167], v[164:165], -v[136:137]
	v_mul_f64 v[166:167], v[166:167], v[138:139]
	v_add_f64 v[128:129], v[128:129], -v[136:137]
	s_delay_alu instid0(VALU_DEP_2) | instskip(NEXT) | instid1(VALU_DEP_1)
	v_fma_f64 v[166:167], v[168:169], v[164:165], v[166:167]
	v_add_f64 v[130:131], v[130:131], -v[166:167]
	;; [unrolled: 10-line block ×33, first 2 shown]
	ds_load_2addr_b64 v[166:169], v240 offset0:80 offset1:81
	s_waitcnt lgkmcnt(0)
	v_mul_f64 v[136:137], v[168:169], v[138:139]
	s_delay_alu instid0(VALU_DEP_1) | instskip(SKIP_1) | instid1(VALU_DEP_2)
	v_fma_f64 v[136:137], v[166:167], v[164:165], -v[136:137]
	v_mul_f64 v[166:167], v[166:167], v[138:139]
	v_add_f64 v[0:1], v[0:1], -v[136:137]
	s_delay_alu instid0(VALU_DEP_2) | instskip(SKIP_1) | instid1(VALU_DEP_2)
	v_fma_f64 v[166:167], v[168:169], v[164:165], v[166:167]
	v_dual_mov_b32 v136, v164 :: v_dual_mov_b32 v137, v165
	v_add_f64 v[2:3], v[2:3], -v[166:167]
.LBB81_64:
	s_or_b32 exec_lo, exec_lo, s3
	s_delay_alu instid0(SALU_CYCLE_1)
	s_mov_b32 s4, exec_lo
	s_waitcnt_vscnt null, 0x0
	s_barrier
	buffer_gl0_inv
	v_cmpx_eq_u32_e32 7, v238
	s_cbranch_execz .LBB81_71
; %bb.65:
	ds_store_2addr_b64 v239, v[132:133], v[134:135] offset1:1
	ds_store_2addr_b64 v240, v[128:129], v[130:131] offset0:16 offset1:17
	ds_store_2addr_b64 v240, v[124:125], v[126:127] offset0:18 offset1:19
	;; [unrolled: 1-line block ×33, first 2 shown]
	ds_load_2addr_b64 v[164:167], v239 offset1:1
	s_waitcnt lgkmcnt(0)
	v_cmp_neq_f64_e32 vcc_lo, 0, v[164:165]
	v_cmp_neq_f64_e64 s3, 0, v[166:167]
	s_delay_alu instid0(VALU_DEP_1) | instskip(NEXT) | instid1(SALU_CYCLE_1)
	s_or_b32 s3, vcc_lo, s3
	s_and_b32 exec_lo, exec_lo, s3
	s_cbranch_execz .LBB81_71
; %bb.66:
	v_cmp_gt_f64_e32 vcc_lo, 0, v[164:165]
	v_xor_b32_e32 v168, 0x80000000, v165
	v_xor_b32_e32 v170, 0x80000000, v167
	s_mov_b32 s3, exec_lo
                                        ; implicit-def: $vgpr172_vgpr173
	s_delay_alu instid0(VALU_DEP_2) | instskip(SKIP_4) | instid1(VALU_DEP_1)
	v_cndmask_b32_e32 v169, v165, v168, vcc_lo
	v_cndmask_b32_e32 v168, v164, v164, vcc_lo
	v_cmp_gt_f64_e32 vcc_lo, 0, v[166:167]
	v_cndmask_b32_e32 v171, v167, v170, vcc_lo
	v_cndmask_b32_e32 v170, v166, v166, vcc_lo
	v_cmpx_ngt_f64_e32 v[168:169], v[170:171]
	s_xor_b32 s3, exec_lo, s3
                                        ; implicit-def: $vgpr168_vgpr169_vgpr170_vgpr171
	s_cbranch_execz .LBB81_68
; %bb.67:
	v_div_scale_f64 v[168:169], null, v[166:167], v[166:167], v[164:165]
	v_div_scale_f64 v[174:175], vcc_lo, v[164:165], v[166:167], v[164:165]
	s_delay_alu instid0(VALU_DEP_2) | instskip(SKIP_2) | instid1(VALU_DEP_1)
	v_rcp_f64_e32 v[170:171], v[168:169]
	s_waitcnt_depctr 0xfff
	v_fma_f64 v[172:173], -v[168:169], v[170:171], 1.0
	v_fma_f64 v[170:171], v[170:171], v[172:173], v[170:171]
	s_delay_alu instid0(VALU_DEP_1) | instskip(NEXT) | instid1(VALU_DEP_1)
	v_fma_f64 v[172:173], -v[168:169], v[170:171], 1.0
	v_fma_f64 v[170:171], v[170:171], v[172:173], v[170:171]
	s_delay_alu instid0(VALU_DEP_1) | instskip(NEXT) | instid1(VALU_DEP_1)
	v_mul_f64 v[172:173], v[174:175], v[170:171]
	v_fma_f64 v[168:169], -v[168:169], v[172:173], v[174:175]
	s_delay_alu instid0(VALU_DEP_1) | instskip(NEXT) | instid1(VALU_DEP_1)
	v_div_fmas_f64 v[168:169], v[168:169], v[170:171], v[172:173]
	v_div_fixup_f64 v[168:169], v[168:169], v[166:167], v[164:165]
	s_delay_alu instid0(VALU_DEP_1) | instskip(NEXT) | instid1(VALU_DEP_1)
	v_fma_f64 v[164:165], v[164:165], v[168:169], v[166:167]
	v_div_scale_f64 v[166:167], null, v[164:165], v[164:165], 1.0
	s_delay_alu instid0(VALU_DEP_1) | instskip(SKIP_2) | instid1(VALU_DEP_1)
	v_rcp_f64_e32 v[170:171], v[166:167]
	s_waitcnt_depctr 0xfff
	v_fma_f64 v[172:173], -v[166:167], v[170:171], 1.0
	v_fma_f64 v[170:171], v[170:171], v[172:173], v[170:171]
	s_delay_alu instid0(VALU_DEP_1) | instskip(NEXT) | instid1(VALU_DEP_1)
	v_fma_f64 v[172:173], -v[166:167], v[170:171], 1.0
	v_fma_f64 v[170:171], v[170:171], v[172:173], v[170:171]
	v_div_scale_f64 v[172:173], vcc_lo, 1.0, v[164:165], 1.0
	s_delay_alu instid0(VALU_DEP_1) | instskip(NEXT) | instid1(VALU_DEP_1)
	v_mul_f64 v[174:175], v[172:173], v[170:171]
	v_fma_f64 v[166:167], -v[166:167], v[174:175], v[172:173]
	s_delay_alu instid0(VALU_DEP_1) | instskip(NEXT) | instid1(VALU_DEP_1)
	v_div_fmas_f64 v[166:167], v[166:167], v[170:171], v[174:175]
	v_div_fixup_f64 v[170:171], v[166:167], v[164:165], 1.0
                                        ; implicit-def: $vgpr164_vgpr165
	s_delay_alu instid0(VALU_DEP_1)
	v_mul_f64 v[172:173], v[168:169], v[170:171]
	v_xor_b32_e32 v171, 0x80000000, v171
.LBB81_68:
	s_and_not1_saveexec_b32 s3, s3
	s_cbranch_execz .LBB81_70
; %bb.69:
	v_div_scale_f64 v[168:169], null, v[164:165], v[164:165], v[166:167]
	v_div_scale_f64 v[174:175], vcc_lo, v[166:167], v[164:165], v[166:167]
	s_delay_alu instid0(VALU_DEP_2) | instskip(SKIP_2) | instid1(VALU_DEP_1)
	v_rcp_f64_e32 v[170:171], v[168:169]
	s_waitcnt_depctr 0xfff
	v_fma_f64 v[172:173], -v[168:169], v[170:171], 1.0
	v_fma_f64 v[170:171], v[170:171], v[172:173], v[170:171]
	s_delay_alu instid0(VALU_DEP_1) | instskip(NEXT) | instid1(VALU_DEP_1)
	v_fma_f64 v[172:173], -v[168:169], v[170:171], 1.0
	v_fma_f64 v[170:171], v[170:171], v[172:173], v[170:171]
	s_delay_alu instid0(VALU_DEP_1) | instskip(NEXT) | instid1(VALU_DEP_1)
	v_mul_f64 v[172:173], v[174:175], v[170:171]
	v_fma_f64 v[168:169], -v[168:169], v[172:173], v[174:175]
	s_delay_alu instid0(VALU_DEP_1) | instskip(NEXT) | instid1(VALU_DEP_1)
	v_div_fmas_f64 v[168:169], v[168:169], v[170:171], v[172:173]
	v_div_fixup_f64 v[168:169], v[168:169], v[164:165], v[166:167]
	s_delay_alu instid0(VALU_DEP_1) | instskip(NEXT) | instid1(VALU_DEP_1)
	v_fma_f64 v[164:165], v[166:167], v[168:169], v[164:165]
	v_div_scale_f64 v[166:167], null, v[164:165], v[164:165], 1.0
	s_delay_alu instid0(VALU_DEP_1) | instskip(SKIP_2) | instid1(VALU_DEP_1)
	v_rcp_f64_e32 v[170:171], v[166:167]
	s_waitcnt_depctr 0xfff
	v_fma_f64 v[172:173], -v[166:167], v[170:171], 1.0
	v_fma_f64 v[170:171], v[170:171], v[172:173], v[170:171]
	s_delay_alu instid0(VALU_DEP_1) | instskip(NEXT) | instid1(VALU_DEP_1)
	v_fma_f64 v[172:173], -v[166:167], v[170:171], 1.0
	v_fma_f64 v[170:171], v[170:171], v[172:173], v[170:171]
	v_div_scale_f64 v[172:173], vcc_lo, 1.0, v[164:165], 1.0
	s_delay_alu instid0(VALU_DEP_1) | instskip(NEXT) | instid1(VALU_DEP_1)
	v_mul_f64 v[174:175], v[172:173], v[170:171]
	v_fma_f64 v[166:167], -v[166:167], v[174:175], v[172:173]
	s_delay_alu instid0(VALU_DEP_1) | instskip(NEXT) | instid1(VALU_DEP_1)
	v_div_fmas_f64 v[166:167], v[166:167], v[170:171], v[174:175]
	v_div_fixup_f64 v[172:173], v[166:167], v[164:165], 1.0
	s_delay_alu instid0(VALU_DEP_1)
	v_mul_f64 v[170:171], v[168:169], -v[172:173]
.LBB81_70:
	s_or_b32 exec_lo, exec_lo, s3
	ds_store_2addr_b64 v239, v[172:173], v[170:171] offset1:1
.LBB81_71:
	s_or_b32 exec_lo, exec_lo, s4
	s_waitcnt lgkmcnt(0)
	s_barrier
	buffer_gl0_inv
	ds_load_2addr_b64 v[164:167], v239 offset1:1
	s_mov_b32 s3, exec_lo
	s_waitcnt lgkmcnt(0)
	scratch_store_b128 off, v[164:167], off offset:392 ; 16-byte Folded Spill
	v_cmpx_lt_u32_e32 7, v238
	s_cbranch_execz .LBB81_73
; %bb.72:
	scratch_load_b128 v[166:169], off, off offset:392 ; 16-byte Folded Reload
	s_waitcnt vmcnt(0)
	v_mul_f64 v[164:165], v[168:169], v[134:135]
	v_mul_f64 v[134:135], v[166:167], v[134:135]
	s_delay_alu instid0(VALU_DEP_2) | instskip(NEXT) | instid1(VALU_DEP_2)
	v_fma_f64 v[164:165], v[166:167], v[132:133], -v[164:165]
	v_fma_f64 v[134:135], v[168:169], v[132:133], v[134:135]
	ds_load_2addr_b64 v[166:169], v240 offset0:16 offset1:17
	s_waitcnt lgkmcnt(0)
	v_mul_f64 v[132:133], v[168:169], v[134:135]
	s_delay_alu instid0(VALU_DEP_1) | instskip(SKIP_1) | instid1(VALU_DEP_2)
	v_fma_f64 v[132:133], v[166:167], v[164:165], -v[132:133]
	v_mul_f64 v[166:167], v[166:167], v[134:135]
	v_add_f64 v[128:129], v[128:129], -v[132:133]
	s_delay_alu instid0(VALU_DEP_2) | instskip(NEXT) | instid1(VALU_DEP_1)
	v_fma_f64 v[166:167], v[168:169], v[164:165], v[166:167]
	v_add_f64 v[130:131], v[130:131], -v[166:167]
	ds_load_2addr_b64 v[166:169], v240 offset0:18 offset1:19
	s_waitcnt lgkmcnt(0)
	v_mul_f64 v[132:133], v[168:169], v[134:135]
	s_delay_alu instid0(VALU_DEP_1) | instskip(SKIP_1) | instid1(VALU_DEP_2)
	v_fma_f64 v[132:133], v[166:167], v[164:165], -v[132:133]
	v_mul_f64 v[166:167], v[166:167], v[134:135]
	v_add_f64 v[124:125], v[124:125], -v[132:133]
	s_delay_alu instid0(VALU_DEP_2) | instskip(NEXT) | instid1(VALU_DEP_1)
	v_fma_f64 v[166:167], v[168:169], v[164:165], v[166:167]
	v_add_f64 v[126:127], v[126:127], -v[166:167]
	;; [unrolled: 10-line block ×32, first 2 shown]
	ds_load_2addr_b64 v[166:169], v240 offset0:80 offset1:81
	s_waitcnt lgkmcnt(0)
	v_mul_f64 v[132:133], v[168:169], v[134:135]
	s_delay_alu instid0(VALU_DEP_1) | instskip(SKIP_1) | instid1(VALU_DEP_2)
	v_fma_f64 v[132:133], v[166:167], v[164:165], -v[132:133]
	v_mul_f64 v[166:167], v[166:167], v[134:135]
	v_add_f64 v[0:1], v[0:1], -v[132:133]
	s_delay_alu instid0(VALU_DEP_2) | instskip(SKIP_1) | instid1(VALU_DEP_2)
	v_fma_f64 v[166:167], v[168:169], v[164:165], v[166:167]
	v_dual_mov_b32 v132, v164 :: v_dual_mov_b32 v133, v165
	v_add_f64 v[2:3], v[2:3], -v[166:167]
.LBB81_73:
	s_or_b32 exec_lo, exec_lo, s3
	s_delay_alu instid0(SALU_CYCLE_1)
	s_mov_b32 s4, exec_lo
	s_waitcnt_vscnt null, 0x0
	s_barrier
	buffer_gl0_inv
	v_cmpx_eq_u32_e32 8, v238
	s_cbranch_execz .LBB81_80
; %bb.74:
	ds_store_2addr_b64 v239, v[128:129], v[130:131] offset1:1
	ds_store_2addr_b64 v240, v[124:125], v[126:127] offset0:18 offset1:19
	ds_store_2addr_b64 v240, v[120:121], v[122:123] offset0:20 offset1:21
	;; [unrolled: 1-line block ×32, first 2 shown]
	ds_load_2addr_b64 v[164:167], v239 offset1:1
	s_waitcnt lgkmcnt(0)
	v_cmp_neq_f64_e32 vcc_lo, 0, v[164:165]
	v_cmp_neq_f64_e64 s3, 0, v[166:167]
	s_delay_alu instid0(VALU_DEP_1) | instskip(NEXT) | instid1(SALU_CYCLE_1)
	s_or_b32 s3, vcc_lo, s3
	s_and_b32 exec_lo, exec_lo, s3
	s_cbranch_execz .LBB81_80
; %bb.75:
	v_cmp_gt_f64_e32 vcc_lo, 0, v[164:165]
	v_xor_b32_e32 v168, 0x80000000, v165
	v_xor_b32_e32 v170, 0x80000000, v167
	s_mov_b32 s3, exec_lo
                                        ; implicit-def: $vgpr172_vgpr173
	s_delay_alu instid0(VALU_DEP_2) | instskip(SKIP_4) | instid1(VALU_DEP_1)
	v_cndmask_b32_e32 v169, v165, v168, vcc_lo
	v_cndmask_b32_e32 v168, v164, v164, vcc_lo
	v_cmp_gt_f64_e32 vcc_lo, 0, v[166:167]
	v_cndmask_b32_e32 v171, v167, v170, vcc_lo
	v_cndmask_b32_e32 v170, v166, v166, vcc_lo
	v_cmpx_ngt_f64_e32 v[168:169], v[170:171]
	s_xor_b32 s3, exec_lo, s3
                                        ; implicit-def: $vgpr168_vgpr169_vgpr170_vgpr171
	s_cbranch_execz .LBB81_77
; %bb.76:
	v_div_scale_f64 v[168:169], null, v[166:167], v[166:167], v[164:165]
	v_div_scale_f64 v[174:175], vcc_lo, v[164:165], v[166:167], v[164:165]
	s_delay_alu instid0(VALU_DEP_2) | instskip(SKIP_2) | instid1(VALU_DEP_1)
	v_rcp_f64_e32 v[170:171], v[168:169]
	s_waitcnt_depctr 0xfff
	v_fma_f64 v[172:173], -v[168:169], v[170:171], 1.0
	v_fma_f64 v[170:171], v[170:171], v[172:173], v[170:171]
	s_delay_alu instid0(VALU_DEP_1) | instskip(NEXT) | instid1(VALU_DEP_1)
	v_fma_f64 v[172:173], -v[168:169], v[170:171], 1.0
	v_fma_f64 v[170:171], v[170:171], v[172:173], v[170:171]
	s_delay_alu instid0(VALU_DEP_1) | instskip(NEXT) | instid1(VALU_DEP_1)
	v_mul_f64 v[172:173], v[174:175], v[170:171]
	v_fma_f64 v[168:169], -v[168:169], v[172:173], v[174:175]
	s_delay_alu instid0(VALU_DEP_1) | instskip(NEXT) | instid1(VALU_DEP_1)
	v_div_fmas_f64 v[168:169], v[168:169], v[170:171], v[172:173]
	v_div_fixup_f64 v[168:169], v[168:169], v[166:167], v[164:165]
	s_delay_alu instid0(VALU_DEP_1) | instskip(NEXT) | instid1(VALU_DEP_1)
	v_fma_f64 v[164:165], v[164:165], v[168:169], v[166:167]
	v_div_scale_f64 v[166:167], null, v[164:165], v[164:165], 1.0
	s_delay_alu instid0(VALU_DEP_1) | instskip(SKIP_2) | instid1(VALU_DEP_1)
	v_rcp_f64_e32 v[170:171], v[166:167]
	s_waitcnt_depctr 0xfff
	v_fma_f64 v[172:173], -v[166:167], v[170:171], 1.0
	v_fma_f64 v[170:171], v[170:171], v[172:173], v[170:171]
	s_delay_alu instid0(VALU_DEP_1) | instskip(NEXT) | instid1(VALU_DEP_1)
	v_fma_f64 v[172:173], -v[166:167], v[170:171], 1.0
	v_fma_f64 v[170:171], v[170:171], v[172:173], v[170:171]
	v_div_scale_f64 v[172:173], vcc_lo, 1.0, v[164:165], 1.0
	s_delay_alu instid0(VALU_DEP_1) | instskip(NEXT) | instid1(VALU_DEP_1)
	v_mul_f64 v[174:175], v[172:173], v[170:171]
	v_fma_f64 v[166:167], -v[166:167], v[174:175], v[172:173]
	s_delay_alu instid0(VALU_DEP_1) | instskip(NEXT) | instid1(VALU_DEP_1)
	v_div_fmas_f64 v[166:167], v[166:167], v[170:171], v[174:175]
	v_div_fixup_f64 v[170:171], v[166:167], v[164:165], 1.0
                                        ; implicit-def: $vgpr164_vgpr165
	s_delay_alu instid0(VALU_DEP_1)
	v_mul_f64 v[172:173], v[168:169], v[170:171]
	v_xor_b32_e32 v171, 0x80000000, v171
.LBB81_77:
	s_and_not1_saveexec_b32 s3, s3
	s_cbranch_execz .LBB81_79
; %bb.78:
	v_div_scale_f64 v[168:169], null, v[164:165], v[164:165], v[166:167]
	v_div_scale_f64 v[174:175], vcc_lo, v[166:167], v[164:165], v[166:167]
	s_delay_alu instid0(VALU_DEP_2) | instskip(SKIP_2) | instid1(VALU_DEP_1)
	v_rcp_f64_e32 v[170:171], v[168:169]
	s_waitcnt_depctr 0xfff
	v_fma_f64 v[172:173], -v[168:169], v[170:171], 1.0
	v_fma_f64 v[170:171], v[170:171], v[172:173], v[170:171]
	s_delay_alu instid0(VALU_DEP_1) | instskip(NEXT) | instid1(VALU_DEP_1)
	v_fma_f64 v[172:173], -v[168:169], v[170:171], 1.0
	v_fma_f64 v[170:171], v[170:171], v[172:173], v[170:171]
	s_delay_alu instid0(VALU_DEP_1) | instskip(NEXT) | instid1(VALU_DEP_1)
	v_mul_f64 v[172:173], v[174:175], v[170:171]
	v_fma_f64 v[168:169], -v[168:169], v[172:173], v[174:175]
	s_delay_alu instid0(VALU_DEP_1) | instskip(NEXT) | instid1(VALU_DEP_1)
	v_div_fmas_f64 v[168:169], v[168:169], v[170:171], v[172:173]
	v_div_fixup_f64 v[168:169], v[168:169], v[164:165], v[166:167]
	s_delay_alu instid0(VALU_DEP_1) | instskip(NEXT) | instid1(VALU_DEP_1)
	v_fma_f64 v[164:165], v[166:167], v[168:169], v[164:165]
	v_div_scale_f64 v[166:167], null, v[164:165], v[164:165], 1.0
	s_delay_alu instid0(VALU_DEP_1) | instskip(SKIP_2) | instid1(VALU_DEP_1)
	v_rcp_f64_e32 v[170:171], v[166:167]
	s_waitcnt_depctr 0xfff
	v_fma_f64 v[172:173], -v[166:167], v[170:171], 1.0
	v_fma_f64 v[170:171], v[170:171], v[172:173], v[170:171]
	s_delay_alu instid0(VALU_DEP_1) | instskip(NEXT) | instid1(VALU_DEP_1)
	v_fma_f64 v[172:173], -v[166:167], v[170:171], 1.0
	v_fma_f64 v[170:171], v[170:171], v[172:173], v[170:171]
	v_div_scale_f64 v[172:173], vcc_lo, 1.0, v[164:165], 1.0
	s_delay_alu instid0(VALU_DEP_1) | instskip(NEXT) | instid1(VALU_DEP_1)
	v_mul_f64 v[174:175], v[172:173], v[170:171]
	v_fma_f64 v[166:167], -v[166:167], v[174:175], v[172:173]
	s_delay_alu instid0(VALU_DEP_1) | instskip(NEXT) | instid1(VALU_DEP_1)
	v_div_fmas_f64 v[166:167], v[166:167], v[170:171], v[174:175]
	v_div_fixup_f64 v[172:173], v[166:167], v[164:165], 1.0
	s_delay_alu instid0(VALU_DEP_1)
	v_mul_f64 v[170:171], v[168:169], -v[172:173]
.LBB81_79:
	s_or_b32 exec_lo, exec_lo, s3
	ds_store_2addr_b64 v239, v[172:173], v[170:171] offset1:1
.LBB81_80:
	s_or_b32 exec_lo, exec_lo, s4
	s_waitcnt lgkmcnt(0)
	s_barrier
	buffer_gl0_inv
	ds_load_2addr_b64 v[164:167], v239 offset1:1
	s_mov_b32 s3, exec_lo
	s_waitcnt lgkmcnt(0)
	scratch_store_b128 off, v[164:167], off offset:408 ; 16-byte Folded Spill
	v_cmpx_lt_u32_e32 8, v238
	s_cbranch_execz .LBB81_82
; %bb.81:
	scratch_load_b128 v[166:169], off, off offset:408 ; 16-byte Folded Reload
	s_waitcnt vmcnt(0)
	v_mul_f64 v[164:165], v[168:169], v[130:131]
	v_mul_f64 v[130:131], v[166:167], v[130:131]
	s_delay_alu instid0(VALU_DEP_2) | instskip(NEXT) | instid1(VALU_DEP_2)
	v_fma_f64 v[164:165], v[166:167], v[128:129], -v[164:165]
	v_fma_f64 v[130:131], v[168:169], v[128:129], v[130:131]
	ds_load_2addr_b64 v[166:169], v240 offset0:18 offset1:19
	s_waitcnt lgkmcnt(0)
	v_mul_f64 v[128:129], v[168:169], v[130:131]
	s_delay_alu instid0(VALU_DEP_1) | instskip(SKIP_1) | instid1(VALU_DEP_2)
	v_fma_f64 v[128:129], v[166:167], v[164:165], -v[128:129]
	v_mul_f64 v[166:167], v[166:167], v[130:131]
	v_add_f64 v[124:125], v[124:125], -v[128:129]
	s_delay_alu instid0(VALU_DEP_2) | instskip(NEXT) | instid1(VALU_DEP_1)
	v_fma_f64 v[166:167], v[168:169], v[164:165], v[166:167]
	v_add_f64 v[126:127], v[126:127], -v[166:167]
	ds_load_2addr_b64 v[166:169], v240 offset0:20 offset1:21
	s_waitcnt lgkmcnt(0)
	v_mul_f64 v[128:129], v[168:169], v[130:131]
	s_delay_alu instid0(VALU_DEP_1) | instskip(SKIP_1) | instid1(VALU_DEP_2)
	v_fma_f64 v[128:129], v[166:167], v[164:165], -v[128:129]
	v_mul_f64 v[166:167], v[166:167], v[130:131]
	v_add_f64 v[120:121], v[120:121], -v[128:129]
	s_delay_alu instid0(VALU_DEP_2) | instskip(NEXT) | instid1(VALU_DEP_1)
	v_fma_f64 v[166:167], v[168:169], v[164:165], v[166:167]
	v_add_f64 v[122:123], v[122:123], -v[166:167]
	ds_load_2addr_b64 v[166:169], v240 offset0:22 offset1:23
	s_waitcnt lgkmcnt(0)
	v_mul_f64 v[128:129], v[168:169], v[130:131]
	s_delay_alu instid0(VALU_DEP_1) | instskip(SKIP_1) | instid1(VALU_DEP_2)
	v_fma_f64 v[128:129], v[166:167], v[164:165], -v[128:129]
	v_mul_f64 v[166:167], v[166:167], v[130:131]
	v_add_f64 v[116:117], v[116:117], -v[128:129]
	s_delay_alu instid0(VALU_DEP_2) | instskip(NEXT) | instid1(VALU_DEP_1)
	v_fma_f64 v[166:167], v[168:169], v[164:165], v[166:167]
	v_add_f64 v[118:119], v[118:119], -v[166:167]
	ds_load_2addr_b64 v[166:169], v240 offset0:24 offset1:25
	s_waitcnt lgkmcnt(0)
	v_mul_f64 v[128:129], v[168:169], v[130:131]
	s_delay_alu instid0(VALU_DEP_1) | instskip(SKIP_1) | instid1(VALU_DEP_2)
	v_fma_f64 v[128:129], v[166:167], v[164:165], -v[128:129]
	v_mul_f64 v[166:167], v[166:167], v[130:131]
	v_add_f64 v[112:113], v[112:113], -v[128:129]
	s_delay_alu instid0(VALU_DEP_2) | instskip(NEXT) | instid1(VALU_DEP_1)
	v_fma_f64 v[166:167], v[168:169], v[164:165], v[166:167]
	v_add_f64 v[114:115], v[114:115], -v[166:167]
	ds_load_2addr_b64 v[166:169], v240 offset0:26 offset1:27
	s_waitcnt lgkmcnt(0)
	v_mul_f64 v[128:129], v[168:169], v[130:131]
	s_delay_alu instid0(VALU_DEP_1) | instskip(SKIP_1) | instid1(VALU_DEP_2)
	v_fma_f64 v[128:129], v[166:167], v[164:165], -v[128:129]
	v_mul_f64 v[166:167], v[166:167], v[130:131]
	v_add_f64 v[108:109], v[108:109], -v[128:129]
	s_delay_alu instid0(VALU_DEP_2) | instskip(NEXT) | instid1(VALU_DEP_1)
	v_fma_f64 v[166:167], v[168:169], v[164:165], v[166:167]
	v_add_f64 v[110:111], v[110:111], -v[166:167]
	ds_load_2addr_b64 v[166:169], v240 offset0:28 offset1:29
	s_waitcnt lgkmcnt(0)
	v_mul_f64 v[128:129], v[168:169], v[130:131]
	s_delay_alu instid0(VALU_DEP_1) | instskip(SKIP_1) | instid1(VALU_DEP_2)
	v_fma_f64 v[128:129], v[166:167], v[164:165], -v[128:129]
	v_mul_f64 v[166:167], v[166:167], v[130:131]
	v_add_f64 v[104:105], v[104:105], -v[128:129]
	s_delay_alu instid0(VALU_DEP_2) | instskip(NEXT) | instid1(VALU_DEP_1)
	v_fma_f64 v[166:167], v[168:169], v[164:165], v[166:167]
	v_add_f64 v[106:107], v[106:107], -v[166:167]
	ds_load_2addr_b64 v[166:169], v240 offset0:30 offset1:31
	s_waitcnt lgkmcnt(0)
	v_mul_f64 v[128:129], v[168:169], v[130:131]
	s_delay_alu instid0(VALU_DEP_1) | instskip(SKIP_1) | instid1(VALU_DEP_2)
	v_fma_f64 v[128:129], v[166:167], v[164:165], -v[128:129]
	v_mul_f64 v[166:167], v[166:167], v[130:131]
	v_add_f64 v[100:101], v[100:101], -v[128:129]
	s_delay_alu instid0(VALU_DEP_2) | instskip(NEXT) | instid1(VALU_DEP_1)
	v_fma_f64 v[166:167], v[168:169], v[164:165], v[166:167]
	v_add_f64 v[102:103], v[102:103], -v[166:167]
	ds_load_2addr_b64 v[166:169], v240 offset0:32 offset1:33
	s_waitcnt lgkmcnt(0)
	v_mul_f64 v[128:129], v[168:169], v[130:131]
	s_delay_alu instid0(VALU_DEP_1) | instskip(SKIP_1) | instid1(VALU_DEP_2)
	v_fma_f64 v[128:129], v[166:167], v[164:165], -v[128:129]
	v_mul_f64 v[166:167], v[166:167], v[130:131]
	v_add_f64 v[96:97], v[96:97], -v[128:129]
	s_delay_alu instid0(VALU_DEP_2) | instskip(NEXT) | instid1(VALU_DEP_1)
	v_fma_f64 v[166:167], v[168:169], v[164:165], v[166:167]
	v_add_f64 v[98:99], v[98:99], -v[166:167]
	ds_load_2addr_b64 v[166:169], v240 offset0:34 offset1:35
	s_waitcnt lgkmcnt(0)
	v_mul_f64 v[128:129], v[168:169], v[130:131]
	s_delay_alu instid0(VALU_DEP_1) | instskip(SKIP_1) | instid1(VALU_DEP_2)
	v_fma_f64 v[128:129], v[166:167], v[164:165], -v[128:129]
	v_mul_f64 v[166:167], v[166:167], v[130:131]
	v_add_f64 v[92:93], v[92:93], -v[128:129]
	s_delay_alu instid0(VALU_DEP_2) | instskip(NEXT) | instid1(VALU_DEP_1)
	v_fma_f64 v[166:167], v[168:169], v[164:165], v[166:167]
	v_add_f64 v[94:95], v[94:95], -v[166:167]
	ds_load_2addr_b64 v[166:169], v240 offset0:36 offset1:37
	s_waitcnt lgkmcnt(0)
	v_mul_f64 v[128:129], v[168:169], v[130:131]
	s_delay_alu instid0(VALU_DEP_1) | instskip(SKIP_1) | instid1(VALU_DEP_2)
	v_fma_f64 v[128:129], v[166:167], v[164:165], -v[128:129]
	v_mul_f64 v[166:167], v[166:167], v[130:131]
	v_add_f64 v[88:89], v[88:89], -v[128:129]
	s_delay_alu instid0(VALU_DEP_2) | instskip(NEXT) | instid1(VALU_DEP_1)
	v_fma_f64 v[166:167], v[168:169], v[164:165], v[166:167]
	v_add_f64 v[90:91], v[90:91], -v[166:167]
	ds_load_2addr_b64 v[166:169], v240 offset0:38 offset1:39
	s_waitcnt lgkmcnt(0)
	v_mul_f64 v[128:129], v[168:169], v[130:131]
	s_delay_alu instid0(VALU_DEP_1) | instskip(SKIP_1) | instid1(VALU_DEP_2)
	v_fma_f64 v[128:129], v[166:167], v[164:165], -v[128:129]
	v_mul_f64 v[166:167], v[166:167], v[130:131]
	v_add_f64 v[84:85], v[84:85], -v[128:129]
	s_delay_alu instid0(VALU_DEP_2) | instskip(NEXT) | instid1(VALU_DEP_1)
	v_fma_f64 v[166:167], v[168:169], v[164:165], v[166:167]
	v_add_f64 v[86:87], v[86:87], -v[166:167]
	ds_load_2addr_b64 v[166:169], v240 offset0:40 offset1:41
	s_waitcnt lgkmcnt(0)
	v_mul_f64 v[128:129], v[168:169], v[130:131]
	s_delay_alu instid0(VALU_DEP_1) | instskip(SKIP_1) | instid1(VALU_DEP_2)
	v_fma_f64 v[128:129], v[166:167], v[164:165], -v[128:129]
	v_mul_f64 v[166:167], v[166:167], v[130:131]
	v_add_f64 v[80:81], v[80:81], -v[128:129]
	s_delay_alu instid0(VALU_DEP_2) | instskip(NEXT) | instid1(VALU_DEP_1)
	v_fma_f64 v[166:167], v[168:169], v[164:165], v[166:167]
	v_add_f64 v[82:83], v[82:83], -v[166:167]
	ds_load_2addr_b64 v[166:169], v240 offset0:42 offset1:43
	s_waitcnt lgkmcnt(0)
	v_mul_f64 v[128:129], v[168:169], v[130:131]
	s_delay_alu instid0(VALU_DEP_1) | instskip(SKIP_1) | instid1(VALU_DEP_2)
	v_fma_f64 v[128:129], v[166:167], v[164:165], -v[128:129]
	v_mul_f64 v[166:167], v[166:167], v[130:131]
	v_add_f64 v[76:77], v[76:77], -v[128:129]
	s_delay_alu instid0(VALU_DEP_2) | instskip(NEXT) | instid1(VALU_DEP_1)
	v_fma_f64 v[166:167], v[168:169], v[164:165], v[166:167]
	v_add_f64 v[78:79], v[78:79], -v[166:167]
	ds_load_2addr_b64 v[166:169], v240 offset0:44 offset1:45
	s_waitcnt lgkmcnt(0)
	v_mul_f64 v[128:129], v[168:169], v[130:131]
	s_delay_alu instid0(VALU_DEP_1) | instskip(SKIP_1) | instid1(VALU_DEP_2)
	v_fma_f64 v[128:129], v[166:167], v[164:165], -v[128:129]
	v_mul_f64 v[166:167], v[166:167], v[130:131]
	v_add_f64 v[72:73], v[72:73], -v[128:129]
	s_delay_alu instid0(VALU_DEP_2) | instskip(NEXT) | instid1(VALU_DEP_1)
	v_fma_f64 v[166:167], v[168:169], v[164:165], v[166:167]
	v_add_f64 v[74:75], v[74:75], -v[166:167]
	ds_load_2addr_b64 v[166:169], v240 offset0:46 offset1:47
	s_waitcnt lgkmcnt(0)
	v_mul_f64 v[128:129], v[168:169], v[130:131]
	s_delay_alu instid0(VALU_DEP_1) | instskip(SKIP_1) | instid1(VALU_DEP_2)
	v_fma_f64 v[128:129], v[166:167], v[164:165], -v[128:129]
	v_mul_f64 v[166:167], v[166:167], v[130:131]
	v_add_f64 v[68:69], v[68:69], -v[128:129]
	s_delay_alu instid0(VALU_DEP_2) | instskip(NEXT) | instid1(VALU_DEP_1)
	v_fma_f64 v[166:167], v[168:169], v[164:165], v[166:167]
	v_add_f64 v[70:71], v[70:71], -v[166:167]
	ds_load_2addr_b64 v[166:169], v240 offset0:48 offset1:49
	s_waitcnt lgkmcnt(0)
	v_mul_f64 v[128:129], v[168:169], v[130:131]
	s_delay_alu instid0(VALU_DEP_1) | instskip(SKIP_1) | instid1(VALU_DEP_2)
	v_fma_f64 v[128:129], v[166:167], v[164:165], -v[128:129]
	v_mul_f64 v[166:167], v[166:167], v[130:131]
	v_add_f64 v[64:65], v[64:65], -v[128:129]
	s_delay_alu instid0(VALU_DEP_2) | instskip(NEXT) | instid1(VALU_DEP_1)
	v_fma_f64 v[166:167], v[168:169], v[164:165], v[166:167]
	v_add_f64 v[66:67], v[66:67], -v[166:167]
	ds_load_2addr_b64 v[166:169], v240 offset0:50 offset1:51
	s_waitcnt lgkmcnt(0)
	v_mul_f64 v[128:129], v[168:169], v[130:131]
	s_delay_alu instid0(VALU_DEP_1) | instskip(SKIP_1) | instid1(VALU_DEP_2)
	v_fma_f64 v[128:129], v[166:167], v[164:165], -v[128:129]
	v_mul_f64 v[166:167], v[166:167], v[130:131]
	v_add_f64 v[60:61], v[60:61], -v[128:129]
	s_delay_alu instid0(VALU_DEP_2) | instskip(NEXT) | instid1(VALU_DEP_1)
	v_fma_f64 v[166:167], v[168:169], v[164:165], v[166:167]
	v_add_f64 v[62:63], v[62:63], -v[166:167]
	ds_load_2addr_b64 v[166:169], v240 offset0:52 offset1:53
	s_waitcnt lgkmcnt(0)
	v_mul_f64 v[128:129], v[168:169], v[130:131]
	s_delay_alu instid0(VALU_DEP_1) | instskip(SKIP_1) | instid1(VALU_DEP_2)
	v_fma_f64 v[128:129], v[166:167], v[164:165], -v[128:129]
	v_mul_f64 v[166:167], v[166:167], v[130:131]
	v_add_f64 v[56:57], v[56:57], -v[128:129]
	s_delay_alu instid0(VALU_DEP_2) | instskip(NEXT) | instid1(VALU_DEP_1)
	v_fma_f64 v[166:167], v[168:169], v[164:165], v[166:167]
	v_add_f64 v[58:59], v[58:59], -v[166:167]
	ds_load_2addr_b64 v[166:169], v240 offset0:54 offset1:55
	s_waitcnt lgkmcnt(0)
	v_mul_f64 v[128:129], v[168:169], v[130:131]
	s_delay_alu instid0(VALU_DEP_1) | instskip(SKIP_1) | instid1(VALU_DEP_2)
	v_fma_f64 v[128:129], v[166:167], v[164:165], -v[128:129]
	v_mul_f64 v[166:167], v[166:167], v[130:131]
	v_add_f64 v[52:53], v[52:53], -v[128:129]
	s_delay_alu instid0(VALU_DEP_2) | instskip(NEXT) | instid1(VALU_DEP_1)
	v_fma_f64 v[166:167], v[168:169], v[164:165], v[166:167]
	v_add_f64 v[54:55], v[54:55], -v[166:167]
	ds_load_2addr_b64 v[166:169], v240 offset0:56 offset1:57
	s_waitcnt lgkmcnt(0)
	v_mul_f64 v[128:129], v[168:169], v[130:131]
	s_delay_alu instid0(VALU_DEP_1) | instskip(SKIP_1) | instid1(VALU_DEP_2)
	v_fma_f64 v[128:129], v[166:167], v[164:165], -v[128:129]
	v_mul_f64 v[166:167], v[166:167], v[130:131]
	v_add_f64 v[48:49], v[48:49], -v[128:129]
	s_delay_alu instid0(VALU_DEP_2) | instskip(NEXT) | instid1(VALU_DEP_1)
	v_fma_f64 v[166:167], v[168:169], v[164:165], v[166:167]
	v_add_f64 v[50:51], v[50:51], -v[166:167]
	ds_load_2addr_b64 v[166:169], v240 offset0:58 offset1:59
	s_waitcnt lgkmcnt(0)
	v_mul_f64 v[128:129], v[168:169], v[130:131]
	s_delay_alu instid0(VALU_DEP_1) | instskip(SKIP_1) | instid1(VALU_DEP_2)
	v_fma_f64 v[128:129], v[166:167], v[164:165], -v[128:129]
	v_mul_f64 v[166:167], v[166:167], v[130:131]
	v_add_f64 v[44:45], v[44:45], -v[128:129]
	s_delay_alu instid0(VALU_DEP_2) | instskip(NEXT) | instid1(VALU_DEP_1)
	v_fma_f64 v[166:167], v[168:169], v[164:165], v[166:167]
	v_add_f64 v[46:47], v[46:47], -v[166:167]
	ds_load_2addr_b64 v[166:169], v240 offset0:60 offset1:61
	s_waitcnt lgkmcnt(0)
	v_mul_f64 v[128:129], v[168:169], v[130:131]
	s_delay_alu instid0(VALU_DEP_1) | instskip(SKIP_1) | instid1(VALU_DEP_2)
	v_fma_f64 v[128:129], v[166:167], v[164:165], -v[128:129]
	v_mul_f64 v[166:167], v[166:167], v[130:131]
	v_add_f64 v[40:41], v[40:41], -v[128:129]
	s_delay_alu instid0(VALU_DEP_2) | instskip(NEXT) | instid1(VALU_DEP_1)
	v_fma_f64 v[166:167], v[168:169], v[164:165], v[166:167]
	v_add_f64 v[42:43], v[42:43], -v[166:167]
	ds_load_2addr_b64 v[166:169], v240 offset0:62 offset1:63
	s_waitcnt lgkmcnt(0)
	v_mul_f64 v[128:129], v[168:169], v[130:131]
	s_delay_alu instid0(VALU_DEP_1) | instskip(SKIP_1) | instid1(VALU_DEP_2)
	v_fma_f64 v[128:129], v[166:167], v[164:165], -v[128:129]
	v_mul_f64 v[166:167], v[166:167], v[130:131]
	v_add_f64 v[36:37], v[36:37], -v[128:129]
	s_delay_alu instid0(VALU_DEP_2) | instskip(NEXT) | instid1(VALU_DEP_1)
	v_fma_f64 v[166:167], v[168:169], v[164:165], v[166:167]
	v_add_f64 v[38:39], v[38:39], -v[166:167]
	ds_load_2addr_b64 v[166:169], v240 offset0:64 offset1:65
	s_waitcnt lgkmcnt(0)
	v_mul_f64 v[128:129], v[168:169], v[130:131]
	s_delay_alu instid0(VALU_DEP_1) | instskip(SKIP_1) | instid1(VALU_DEP_2)
	v_fma_f64 v[128:129], v[166:167], v[164:165], -v[128:129]
	v_mul_f64 v[166:167], v[166:167], v[130:131]
	v_add_f64 v[32:33], v[32:33], -v[128:129]
	s_delay_alu instid0(VALU_DEP_2) | instskip(NEXT) | instid1(VALU_DEP_1)
	v_fma_f64 v[166:167], v[168:169], v[164:165], v[166:167]
	v_add_f64 v[34:35], v[34:35], -v[166:167]
	ds_load_2addr_b64 v[166:169], v240 offset0:66 offset1:67
	s_waitcnt lgkmcnt(0)
	v_mul_f64 v[128:129], v[168:169], v[130:131]
	s_delay_alu instid0(VALU_DEP_1) | instskip(SKIP_1) | instid1(VALU_DEP_2)
	v_fma_f64 v[128:129], v[166:167], v[164:165], -v[128:129]
	v_mul_f64 v[166:167], v[166:167], v[130:131]
	v_add_f64 v[28:29], v[28:29], -v[128:129]
	s_delay_alu instid0(VALU_DEP_2) | instskip(NEXT) | instid1(VALU_DEP_1)
	v_fma_f64 v[166:167], v[168:169], v[164:165], v[166:167]
	v_add_f64 v[30:31], v[30:31], -v[166:167]
	ds_load_2addr_b64 v[166:169], v240 offset0:68 offset1:69
	s_waitcnt lgkmcnt(0)
	v_mul_f64 v[128:129], v[168:169], v[130:131]
	s_delay_alu instid0(VALU_DEP_1) | instskip(SKIP_1) | instid1(VALU_DEP_2)
	v_fma_f64 v[128:129], v[166:167], v[164:165], -v[128:129]
	v_mul_f64 v[166:167], v[166:167], v[130:131]
	v_add_f64 v[24:25], v[24:25], -v[128:129]
	s_delay_alu instid0(VALU_DEP_2) | instskip(NEXT) | instid1(VALU_DEP_1)
	v_fma_f64 v[166:167], v[168:169], v[164:165], v[166:167]
	v_add_f64 v[26:27], v[26:27], -v[166:167]
	ds_load_2addr_b64 v[166:169], v240 offset0:70 offset1:71
	s_waitcnt lgkmcnt(0)
	v_mul_f64 v[128:129], v[168:169], v[130:131]
	s_delay_alu instid0(VALU_DEP_1) | instskip(SKIP_1) | instid1(VALU_DEP_2)
	v_fma_f64 v[128:129], v[166:167], v[164:165], -v[128:129]
	v_mul_f64 v[166:167], v[166:167], v[130:131]
	v_add_f64 v[20:21], v[20:21], -v[128:129]
	s_delay_alu instid0(VALU_DEP_2) | instskip(NEXT) | instid1(VALU_DEP_1)
	v_fma_f64 v[166:167], v[168:169], v[164:165], v[166:167]
	v_add_f64 v[22:23], v[22:23], -v[166:167]
	ds_load_2addr_b64 v[166:169], v240 offset0:72 offset1:73
	s_waitcnt lgkmcnt(0)
	v_mul_f64 v[128:129], v[168:169], v[130:131]
	s_delay_alu instid0(VALU_DEP_1) | instskip(SKIP_1) | instid1(VALU_DEP_2)
	v_fma_f64 v[128:129], v[166:167], v[164:165], -v[128:129]
	v_mul_f64 v[166:167], v[166:167], v[130:131]
	v_add_f64 v[16:17], v[16:17], -v[128:129]
	s_delay_alu instid0(VALU_DEP_2) | instskip(NEXT) | instid1(VALU_DEP_1)
	v_fma_f64 v[166:167], v[168:169], v[164:165], v[166:167]
	v_add_f64 v[18:19], v[18:19], -v[166:167]
	ds_load_2addr_b64 v[166:169], v240 offset0:74 offset1:75
	s_waitcnt lgkmcnt(0)
	v_mul_f64 v[128:129], v[168:169], v[130:131]
	s_delay_alu instid0(VALU_DEP_1) | instskip(SKIP_1) | instid1(VALU_DEP_2)
	v_fma_f64 v[128:129], v[166:167], v[164:165], -v[128:129]
	v_mul_f64 v[166:167], v[166:167], v[130:131]
	v_add_f64 v[12:13], v[12:13], -v[128:129]
	s_delay_alu instid0(VALU_DEP_2) | instskip(NEXT) | instid1(VALU_DEP_1)
	v_fma_f64 v[166:167], v[168:169], v[164:165], v[166:167]
	v_add_f64 v[14:15], v[14:15], -v[166:167]
	ds_load_2addr_b64 v[166:169], v240 offset0:76 offset1:77
	s_waitcnt lgkmcnt(0)
	v_mul_f64 v[128:129], v[168:169], v[130:131]
	s_delay_alu instid0(VALU_DEP_1) | instskip(SKIP_1) | instid1(VALU_DEP_2)
	v_fma_f64 v[128:129], v[166:167], v[164:165], -v[128:129]
	v_mul_f64 v[166:167], v[166:167], v[130:131]
	v_add_f64 v[8:9], v[8:9], -v[128:129]
	s_delay_alu instid0(VALU_DEP_2) | instskip(NEXT) | instid1(VALU_DEP_1)
	v_fma_f64 v[166:167], v[168:169], v[164:165], v[166:167]
	v_add_f64 v[10:11], v[10:11], -v[166:167]
	ds_load_2addr_b64 v[166:169], v240 offset0:78 offset1:79
	s_waitcnt lgkmcnt(0)
	v_mul_f64 v[128:129], v[168:169], v[130:131]
	s_delay_alu instid0(VALU_DEP_1) | instskip(SKIP_1) | instid1(VALU_DEP_2)
	v_fma_f64 v[128:129], v[166:167], v[164:165], -v[128:129]
	v_mul_f64 v[166:167], v[166:167], v[130:131]
	v_add_f64 v[4:5], v[4:5], -v[128:129]
	s_delay_alu instid0(VALU_DEP_2) | instskip(NEXT) | instid1(VALU_DEP_1)
	v_fma_f64 v[166:167], v[168:169], v[164:165], v[166:167]
	v_add_f64 v[6:7], v[6:7], -v[166:167]
	ds_load_2addr_b64 v[166:169], v240 offset0:80 offset1:81
	s_waitcnt lgkmcnt(0)
	v_mul_f64 v[128:129], v[168:169], v[130:131]
	s_delay_alu instid0(VALU_DEP_1) | instskip(SKIP_1) | instid1(VALU_DEP_2)
	v_fma_f64 v[128:129], v[166:167], v[164:165], -v[128:129]
	v_mul_f64 v[166:167], v[166:167], v[130:131]
	v_add_f64 v[0:1], v[0:1], -v[128:129]
	s_delay_alu instid0(VALU_DEP_2) | instskip(SKIP_1) | instid1(VALU_DEP_2)
	v_fma_f64 v[166:167], v[168:169], v[164:165], v[166:167]
	v_dual_mov_b32 v128, v164 :: v_dual_mov_b32 v129, v165
	v_add_f64 v[2:3], v[2:3], -v[166:167]
.LBB81_82:
	s_or_b32 exec_lo, exec_lo, s3
	s_delay_alu instid0(SALU_CYCLE_1)
	s_mov_b32 s4, exec_lo
	s_waitcnt_vscnt null, 0x0
	s_barrier
	buffer_gl0_inv
	v_cmpx_eq_u32_e32 9, v238
	s_cbranch_execz .LBB81_89
; %bb.83:
	ds_store_2addr_b64 v239, v[124:125], v[126:127] offset1:1
	ds_store_2addr_b64 v240, v[120:121], v[122:123] offset0:20 offset1:21
	ds_store_2addr_b64 v240, v[116:117], v[118:119] offset0:22 offset1:23
	;; [unrolled: 1-line block ×31, first 2 shown]
	ds_load_2addr_b64 v[164:167], v239 offset1:1
	s_waitcnt lgkmcnt(0)
	v_cmp_neq_f64_e32 vcc_lo, 0, v[164:165]
	v_cmp_neq_f64_e64 s3, 0, v[166:167]
	s_delay_alu instid0(VALU_DEP_1) | instskip(NEXT) | instid1(SALU_CYCLE_1)
	s_or_b32 s3, vcc_lo, s3
	s_and_b32 exec_lo, exec_lo, s3
	s_cbranch_execz .LBB81_89
; %bb.84:
	v_cmp_gt_f64_e32 vcc_lo, 0, v[164:165]
	v_xor_b32_e32 v168, 0x80000000, v165
	v_xor_b32_e32 v170, 0x80000000, v167
	s_mov_b32 s3, exec_lo
                                        ; implicit-def: $vgpr172_vgpr173
	s_delay_alu instid0(VALU_DEP_2) | instskip(SKIP_4) | instid1(VALU_DEP_1)
	v_cndmask_b32_e32 v169, v165, v168, vcc_lo
	v_cndmask_b32_e32 v168, v164, v164, vcc_lo
	v_cmp_gt_f64_e32 vcc_lo, 0, v[166:167]
	v_cndmask_b32_e32 v171, v167, v170, vcc_lo
	v_cndmask_b32_e32 v170, v166, v166, vcc_lo
	v_cmpx_ngt_f64_e32 v[168:169], v[170:171]
	s_xor_b32 s3, exec_lo, s3
                                        ; implicit-def: $vgpr168_vgpr169_vgpr170_vgpr171
	s_cbranch_execz .LBB81_86
; %bb.85:
	v_div_scale_f64 v[168:169], null, v[166:167], v[166:167], v[164:165]
	v_div_scale_f64 v[174:175], vcc_lo, v[164:165], v[166:167], v[164:165]
	s_delay_alu instid0(VALU_DEP_2) | instskip(SKIP_2) | instid1(VALU_DEP_1)
	v_rcp_f64_e32 v[170:171], v[168:169]
	s_waitcnt_depctr 0xfff
	v_fma_f64 v[172:173], -v[168:169], v[170:171], 1.0
	v_fma_f64 v[170:171], v[170:171], v[172:173], v[170:171]
	s_delay_alu instid0(VALU_DEP_1) | instskip(NEXT) | instid1(VALU_DEP_1)
	v_fma_f64 v[172:173], -v[168:169], v[170:171], 1.0
	v_fma_f64 v[170:171], v[170:171], v[172:173], v[170:171]
	s_delay_alu instid0(VALU_DEP_1) | instskip(NEXT) | instid1(VALU_DEP_1)
	v_mul_f64 v[172:173], v[174:175], v[170:171]
	v_fma_f64 v[168:169], -v[168:169], v[172:173], v[174:175]
	s_delay_alu instid0(VALU_DEP_1) | instskip(NEXT) | instid1(VALU_DEP_1)
	v_div_fmas_f64 v[168:169], v[168:169], v[170:171], v[172:173]
	v_div_fixup_f64 v[168:169], v[168:169], v[166:167], v[164:165]
	s_delay_alu instid0(VALU_DEP_1) | instskip(NEXT) | instid1(VALU_DEP_1)
	v_fma_f64 v[164:165], v[164:165], v[168:169], v[166:167]
	v_div_scale_f64 v[166:167], null, v[164:165], v[164:165], 1.0
	s_delay_alu instid0(VALU_DEP_1) | instskip(SKIP_2) | instid1(VALU_DEP_1)
	v_rcp_f64_e32 v[170:171], v[166:167]
	s_waitcnt_depctr 0xfff
	v_fma_f64 v[172:173], -v[166:167], v[170:171], 1.0
	v_fma_f64 v[170:171], v[170:171], v[172:173], v[170:171]
	s_delay_alu instid0(VALU_DEP_1) | instskip(NEXT) | instid1(VALU_DEP_1)
	v_fma_f64 v[172:173], -v[166:167], v[170:171], 1.0
	v_fma_f64 v[170:171], v[170:171], v[172:173], v[170:171]
	v_div_scale_f64 v[172:173], vcc_lo, 1.0, v[164:165], 1.0
	s_delay_alu instid0(VALU_DEP_1) | instskip(NEXT) | instid1(VALU_DEP_1)
	v_mul_f64 v[174:175], v[172:173], v[170:171]
	v_fma_f64 v[166:167], -v[166:167], v[174:175], v[172:173]
	s_delay_alu instid0(VALU_DEP_1) | instskip(NEXT) | instid1(VALU_DEP_1)
	v_div_fmas_f64 v[166:167], v[166:167], v[170:171], v[174:175]
	v_div_fixup_f64 v[170:171], v[166:167], v[164:165], 1.0
                                        ; implicit-def: $vgpr164_vgpr165
	s_delay_alu instid0(VALU_DEP_1)
	v_mul_f64 v[172:173], v[168:169], v[170:171]
	v_xor_b32_e32 v171, 0x80000000, v171
.LBB81_86:
	s_and_not1_saveexec_b32 s3, s3
	s_cbranch_execz .LBB81_88
; %bb.87:
	v_div_scale_f64 v[168:169], null, v[164:165], v[164:165], v[166:167]
	v_div_scale_f64 v[174:175], vcc_lo, v[166:167], v[164:165], v[166:167]
	s_delay_alu instid0(VALU_DEP_2) | instskip(SKIP_2) | instid1(VALU_DEP_1)
	v_rcp_f64_e32 v[170:171], v[168:169]
	s_waitcnt_depctr 0xfff
	v_fma_f64 v[172:173], -v[168:169], v[170:171], 1.0
	v_fma_f64 v[170:171], v[170:171], v[172:173], v[170:171]
	s_delay_alu instid0(VALU_DEP_1) | instskip(NEXT) | instid1(VALU_DEP_1)
	v_fma_f64 v[172:173], -v[168:169], v[170:171], 1.0
	v_fma_f64 v[170:171], v[170:171], v[172:173], v[170:171]
	s_delay_alu instid0(VALU_DEP_1) | instskip(NEXT) | instid1(VALU_DEP_1)
	v_mul_f64 v[172:173], v[174:175], v[170:171]
	v_fma_f64 v[168:169], -v[168:169], v[172:173], v[174:175]
	s_delay_alu instid0(VALU_DEP_1) | instskip(NEXT) | instid1(VALU_DEP_1)
	v_div_fmas_f64 v[168:169], v[168:169], v[170:171], v[172:173]
	v_div_fixup_f64 v[168:169], v[168:169], v[164:165], v[166:167]
	s_delay_alu instid0(VALU_DEP_1) | instskip(NEXT) | instid1(VALU_DEP_1)
	v_fma_f64 v[164:165], v[166:167], v[168:169], v[164:165]
	v_div_scale_f64 v[166:167], null, v[164:165], v[164:165], 1.0
	s_delay_alu instid0(VALU_DEP_1) | instskip(SKIP_2) | instid1(VALU_DEP_1)
	v_rcp_f64_e32 v[170:171], v[166:167]
	s_waitcnt_depctr 0xfff
	v_fma_f64 v[172:173], -v[166:167], v[170:171], 1.0
	v_fma_f64 v[170:171], v[170:171], v[172:173], v[170:171]
	s_delay_alu instid0(VALU_DEP_1) | instskip(NEXT) | instid1(VALU_DEP_1)
	v_fma_f64 v[172:173], -v[166:167], v[170:171], 1.0
	v_fma_f64 v[170:171], v[170:171], v[172:173], v[170:171]
	v_div_scale_f64 v[172:173], vcc_lo, 1.0, v[164:165], 1.0
	s_delay_alu instid0(VALU_DEP_1) | instskip(NEXT) | instid1(VALU_DEP_1)
	v_mul_f64 v[174:175], v[172:173], v[170:171]
	v_fma_f64 v[166:167], -v[166:167], v[174:175], v[172:173]
	s_delay_alu instid0(VALU_DEP_1) | instskip(NEXT) | instid1(VALU_DEP_1)
	v_div_fmas_f64 v[166:167], v[166:167], v[170:171], v[174:175]
	v_div_fixup_f64 v[172:173], v[166:167], v[164:165], 1.0
	s_delay_alu instid0(VALU_DEP_1)
	v_mul_f64 v[170:171], v[168:169], -v[172:173]
.LBB81_88:
	s_or_b32 exec_lo, exec_lo, s3
	ds_store_2addr_b64 v239, v[172:173], v[170:171] offset1:1
.LBB81_89:
	s_or_b32 exec_lo, exec_lo, s4
	s_waitcnt lgkmcnt(0)
	s_barrier
	buffer_gl0_inv
	ds_load_2addr_b64 v[164:167], v239 offset1:1
	s_mov_b32 s3, exec_lo
	s_waitcnt lgkmcnt(0)
	scratch_store_b128 off, v[164:167], off offset:424 ; 16-byte Folded Spill
	v_cmpx_lt_u32_e32 9, v238
	s_cbranch_execz .LBB81_91
; %bb.90:
	scratch_load_b128 v[166:169], off, off offset:424 ; 16-byte Folded Reload
	s_waitcnt vmcnt(0)
	v_mul_f64 v[164:165], v[168:169], v[126:127]
	v_mul_f64 v[126:127], v[166:167], v[126:127]
	s_delay_alu instid0(VALU_DEP_2) | instskip(NEXT) | instid1(VALU_DEP_2)
	v_fma_f64 v[164:165], v[166:167], v[124:125], -v[164:165]
	v_fma_f64 v[126:127], v[168:169], v[124:125], v[126:127]
	ds_load_2addr_b64 v[166:169], v240 offset0:20 offset1:21
	s_waitcnt lgkmcnt(0)
	v_mul_f64 v[124:125], v[168:169], v[126:127]
	s_delay_alu instid0(VALU_DEP_1) | instskip(SKIP_1) | instid1(VALU_DEP_2)
	v_fma_f64 v[124:125], v[166:167], v[164:165], -v[124:125]
	v_mul_f64 v[166:167], v[166:167], v[126:127]
	v_add_f64 v[120:121], v[120:121], -v[124:125]
	s_delay_alu instid0(VALU_DEP_2) | instskip(NEXT) | instid1(VALU_DEP_1)
	v_fma_f64 v[166:167], v[168:169], v[164:165], v[166:167]
	v_add_f64 v[122:123], v[122:123], -v[166:167]
	ds_load_2addr_b64 v[166:169], v240 offset0:22 offset1:23
	s_waitcnt lgkmcnt(0)
	v_mul_f64 v[124:125], v[168:169], v[126:127]
	s_delay_alu instid0(VALU_DEP_1) | instskip(SKIP_1) | instid1(VALU_DEP_2)
	v_fma_f64 v[124:125], v[166:167], v[164:165], -v[124:125]
	v_mul_f64 v[166:167], v[166:167], v[126:127]
	v_add_f64 v[116:117], v[116:117], -v[124:125]
	s_delay_alu instid0(VALU_DEP_2) | instskip(NEXT) | instid1(VALU_DEP_1)
	v_fma_f64 v[166:167], v[168:169], v[164:165], v[166:167]
	v_add_f64 v[118:119], v[118:119], -v[166:167]
	;; [unrolled: 10-line block ×30, first 2 shown]
	ds_load_2addr_b64 v[166:169], v240 offset0:80 offset1:81
	s_waitcnt lgkmcnt(0)
	v_mul_f64 v[124:125], v[168:169], v[126:127]
	s_delay_alu instid0(VALU_DEP_1) | instskip(SKIP_1) | instid1(VALU_DEP_2)
	v_fma_f64 v[124:125], v[166:167], v[164:165], -v[124:125]
	v_mul_f64 v[166:167], v[166:167], v[126:127]
	v_add_f64 v[0:1], v[0:1], -v[124:125]
	s_delay_alu instid0(VALU_DEP_2) | instskip(SKIP_1) | instid1(VALU_DEP_2)
	v_fma_f64 v[166:167], v[168:169], v[164:165], v[166:167]
	v_dual_mov_b32 v124, v164 :: v_dual_mov_b32 v125, v165
	v_add_f64 v[2:3], v[2:3], -v[166:167]
.LBB81_91:
	s_or_b32 exec_lo, exec_lo, s3
	s_delay_alu instid0(SALU_CYCLE_1)
	s_mov_b32 s4, exec_lo
	s_waitcnt_vscnt null, 0x0
	s_barrier
	buffer_gl0_inv
	v_cmpx_eq_u32_e32 10, v238
	s_cbranch_execz .LBB81_98
; %bb.92:
	ds_store_2addr_b64 v239, v[120:121], v[122:123] offset1:1
	ds_store_2addr_b64 v240, v[116:117], v[118:119] offset0:22 offset1:23
	ds_store_2addr_b64 v240, v[112:113], v[114:115] offset0:24 offset1:25
	;; [unrolled: 1-line block ×30, first 2 shown]
	ds_load_2addr_b64 v[164:167], v239 offset1:1
	s_waitcnt lgkmcnt(0)
	v_cmp_neq_f64_e32 vcc_lo, 0, v[164:165]
	v_cmp_neq_f64_e64 s3, 0, v[166:167]
	s_delay_alu instid0(VALU_DEP_1) | instskip(NEXT) | instid1(SALU_CYCLE_1)
	s_or_b32 s3, vcc_lo, s3
	s_and_b32 exec_lo, exec_lo, s3
	s_cbranch_execz .LBB81_98
; %bb.93:
	v_cmp_gt_f64_e32 vcc_lo, 0, v[164:165]
	v_xor_b32_e32 v168, 0x80000000, v165
	v_xor_b32_e32 v170, 0x80000000, v167
	s_mov_b32 s3, exec_lo
                                        ; implicit-def: $vgpr172_vgpr173
	s_delay_alu instid0(VALU_DEP_2) | instskip(SKIP_4) | instid1(VALU_DEP_1)
	v_cndmask_b32_e32 v169, v165, v168, vcc_lo
	v_cndmask_b32_e32 v168, v164, v164, vcc_lo
	v_cmp_gt_f64_e32 vcc_lo, 0, v[166:167]
	v_cndmask_b32_e32 v171, v167, v170, vcc_lo
	v_cndmask_b32_e32 v170, v166, v166, vcc_lo
	v_cmpx_ngt_f64_e32 v[168:169], v[170:171]
	s_xor_b32 s3, exec_lo, s3
                                        ; implicit-def: $vgpr168_vgpr169_vgpr170_vgpr171
	s_cbranch_execz .LBB81_95
; %bb.94:
	v_div_scale_f64 v[168:169], null, v[166:167], v[166:167], v[164:165]
	v_div_scale_f64 v[174:175], vcc_lo, v[164:165], v[166:167], v[164:165]
	s_delay_alu instid0(VALU_DEP_2) | instskip(SKIP_2) | instid1(VALU_DEP_1)
	v_rcp_f64_e32 v[170:171], v[168:169]
	s_waitcnt_depctr 0xfff
	v_fma_f64 v[172:173], -v[168:169], v[170:171], 1.0
	v_fma_f64 v[170:171], v[170:171], v[172:173], v[170:171]
	s_delay_alu instid0(VALU_DEP_1) | instskip(NEXT) | instid1(VALU_DEP_1)
	v_fma_f64 v[172:173], -v[168:169], v[170:171], 1.0
	v_fma_f64 v[170:171], v[170:171], v[172:173], v[170:171]
	s_delay_alu instid0(VALU_DEP_1) | instskip(NEXT) | instid1(VALU_DEP_1)
	v_mul_f64 v[172:173], v[174:175], v[170:171]
	v_fma_f64 v[168:169], -v[168:169], v[172:173], v[174:175]
	s_delay_alu instid0(VALU_DEP_1) | instskip(NEXT) | instid1(VALU_DEP_1)
	v_div_fmas_f64 v[168:169], v[168:169], v[170:171], v[172:173]
	v_div_fixup_f64 v[168:169], v[168:169], v[166:167], v[164:165]
	s_delay_alu instid0(VALU_DEP_1) | instskip(NEXT) | instid1(VALU_DEP_1)
	v_fma_f64 v[164:165], v[164:165], v[168:169], v[166:167]
	v_div_scale_f64 v[166:167], null, v[164:165], v[164:165], 1.0
	s_delay_alu instid0(VALU_DEP_1) | instskip(SKIP_2) | instid1(VALU_DEP_1)
	v_rcp_f64_e32 v[170:171], v[166:167]
	s_waitcnt_depctr 0xfff
	v_fma_f64 v[172:173], -v[166:167], v[170:171], 1.0
	v_fma_f64 v[170:171], v[170:171], v[172:173], v[170:171]
	s_delay_alu instid0(VALU_DEP_1) | instskip(NEXT) | instid1(VALU_DEP_1)
	v_fma_f64 v[172:173], -v[166:167], v[170:171], 1.0
	v_fma_f64 v[170:171], v[170:171], v[172:173], v[170:171]
	v_div_scale_f64 v[172:173], vcc_lo, 1.0, v[164:165], 1.0
	s_delay_alu instid0(VALU_DEP_1) | instskip(NEXT) | instid1(VALU_DEP_1)
	v_mul_f64 v[174:175], v[172:173], v[170:171]
	v_fma_f64 v[166:167], -v[166:167], v[174:175], v[172:173]
	s_delay_alu instid0(VALU_DEP_1) | instskip(NEXT) | instid1(VALU_DEP_1)
	v_div_fmas_f64 v[166:167], v[166:167], v[170:171], v[174:175]
	v_div_fixup_f64 v[170:171], v[166:167], v[164:165], 1.0
                                        ; implicit-def: $vgpr164_vgpr165
	s_delay_alu instid0(VALU_DEP_1)
	v_mul_f64 v[172:173], v[168:169], v[170:171]
	v_xor_b32_e32 v171, 0x80000000, v171
.LBB81_95:
	s_and_not1_saveexec_b32 s3, s3
	s_cbranch_execz .LBB81_97
; %bb.96:
	v_div_scale_f64 v[168:169], null, v[164:165], v[164:165], v[166:167]
	v_div_scale_f64 v[174:175], vcc_lo, v[166:167], v[164:165], v[166:167]
	s_delay_alu instid0(VALU_DEP_2) | instskip(SKIP_2) | instid1(VALU_DEP_1)
	v_rcp_f64_e32 v[170:171], v[168:169]
	s_waitcnt_depctr 0xfff
	v_fma_f64 v[172:173], -v[168:169], v[170:171], 1.0
	v_fma_f64 v[170:171], v[170:171], v[172:173], v[170:171]
	s_delay_alu instid0(VALU_DEP_1) | instskip(NEXT) | instid1(VALU_DEP_1)
	v_fma_f64 v[172:173], -v[168:169], v[170:171], 1.0
	v_fma_f64 v[170:171], v[170:171], v[172:173], v[170:171]
	s_delay_alu instid0(VALU_DEP_1) | instskip(NEXT) | instid1(VALU_DEP_1)
	v_mul_f64 v[172:173], v[174:175], v[170:171]
	v_fma_f64 v[168:169], -v[168:169], v[172:173], v[174:175]
	s_delay_alu instid0(VALU_DEP_1) | instskip(NEXT) | instid1(VALU_DEP_1)
	v_div_fmas_f64 v[168:169], v[168:169], v[170:171], v[172:173]
	v_div_fixup_f64 v[168:169], v[168:169], v[164:165], v[166:167]
	s_delay_alu instid0(VALU_DEP_1) | instskip(NEXT) | instid1(VALU_DEP_1)
	v_fma_f64 v[164:165], v[166:167], v[168:169], v[164:165]
	v_div_scale_f64 v[166:167], null, v[164:165], v[164:165], 1.0
	s_delay_alu instid0(VALU_DEP_1) | instskip(SKIP_2) | instid1(VALU_DEP_1)
	v_rcp_f64_e32 v[170:171], v[166:167]
	s_waitcnt_depctr 0xfff
	v_fma_f64 v[172:173], -v[166:167], v[170:171], 1.0
	v_fma_f64 v[170:171], v[170:171], v[172:173], v[170:171]
	s_delay_alu instid0(VALU_DEP_1) | instskip(NEXT) | instid1(VALU_DEP_1)
	v_fma_f64 v[172:173], -v[166:167], v[170:171], 1.0
	v_fma_f64 v[170:171], v[170:171], v[172:173], v[170:171]
	v_div_scale_f64 v[172:173], vcc_lo, 1.0, v[164:165], 1.0
	s_delay_alu instid0(VALU_DEP_1) | instskip(NEXT) | instid1(VALU_DEP_1)
	v_mul_f64 v[174:175], v[172:173], v[170:171]
	v_fma_f64 v[166:167], -v[166:167], v[174:175], v[172:173]
	s_delay_alu instid0(VALU_DEP_1) | instskip(NEXT) | instid1(VALU_DEP_1)
	v_div_fmas_f64 v[166:167], v[166:167], v[170:171], v[174:175]
	v_div_fixup_f64 v[172:173], v[166:167], v[164:165], 1.0
	s_delay_alu instid0(VALU_DEP_1)
	v_mul_f64 v[170:171], v[168:169], -v[172:173]
.LBB81_97:
	s_or_b32 exec_lo, exec_lo, s3
	ds_store_2addr_b64 v239, v[172:173], v[170:171] offset1:1
.LBB81_98:
	s_or_b32 exec_lo, exec_lo, s4
	s_waitcnt lgkmcnt(0)
	s_barrier
	buffer_gl0_inv
	ds_load_2addr_b64 v[164:167], v239 offset1:1
	s_mov_b32 s3, exec_lo
	s_waitcnt lgkmcnt(0)
	scratch_store_b128 off, v[164:167], off offset:440 ; 16-byte Folded Spill
	v_cmpx_lt_u32_e32 10, v238
	s_cbranch_execz .LBB81_100
; %bb.99:
	scratch_load_b128 v[166:169], off, off offset:440 ; 16-byte Folded Reload
	s_waitcnt vmcnt(0)
	v_mul_f64 v[164:165], v[168:169], v[122:123]
	v_mul_f64 v[122:123], v[166:167], v[122:123]
	s_delay_alu instid0(VALU_DEP_2) | instskip(NEXT) | instid1(VALU_DEP_2)
	v_fma_f64 v[164:165], v[166:167], v[120:121], -v[164:165]
	v_fma_f64 v[122:123], v[168:169], v[120:121], v[122:123]
	ds_load_2addr_b64 v[166:169], v240 offset0:22 offset1:23
	s_waitcnt lgkmcnt(0)
	v_mul_f64 v[120:121], v[168:169], v[122:123]
	s_delay_alu instid0(VALU_DEP_1) | instskip(SKIP_1) | instid1(VALU_DEP_2)
	v_fma_f64 v[120:121], v[166:167], v[164:165], -v[120:121]
	v_mul_f64 v[166:167], v[166:167], v[122:123]
	v_add_f64 v[116:117], v[116:117], -v[120:121]
	s_delay_alu instid0(VALU_DEP_2) | instskip(NEXT) | instid1(VALU_DEP_1)
	v_fma_f64 v[166:167], v[168:169], v[164:165], v[166:167]
	v_add_f64 v[118:119], v[118:119], -v[166:167]
	ds_load_2addr_b64 v[166:169], v240 offset0:24 offset1:25
	s_waitcnt lgkmcnt(0)
	v_mul_f64 v[120:121], v[168:169], v[122:123]
	s_delay_alu instid0(VALU_DEP_1) | instskip(SKIP_1) | instid1(VALU_DEP_2)
	v_fma_f64 v[120:121], v[166:167], v[164:165], -v[120:121]
	v_mul_f64 v[166:167], v[166:167], v[122:123]
	v_add_f64 v[112:113], v[112:113], -v[120:121]
	s_delay_alu instid0(VALU_DEP_2) | instskip(NEXT) | instid1(VALU_DEP_1)
	v_fma_f64 v[166:167], v[168:169], v[164:165], v[166:167]
	v_add_f64 v[114:115], v[114:115], -v[166:167]
	ds_load_2addr_b64 v[166:169], v240 offset0:26 offset1:27
	s_waitcnt lgkmcnt(0)
	v_mul_f64 v[120:121], v[168:169], v[122:123]
	s_delay_alu instid0(VALU_DEP_1) | instskip(SKIP_1) | instid1(VALU_DEP_2)
	v_fma_f64 v[120:121], v[166:167], v[164:165], -v[120:121]
	v_mul_f64 v[166:167], v[166:167], v[122:123]
	v_add_f64 v[108:109], v[108:109], -v[120:121]
	s_delay_alu instid0(VALU_DEP_2) | instskip(NEXT) | instid1(VALU_DEP_1)
	v_fma_f64 v[166:167], v[168:169], v[164:165], v[166:167]
	v_add_f64 v[110:111], v[110:111], -v[166:167]
	ds_load_2addr_b64 v[166:169], v240 offset0:28 offset1:29
	s_waitcnt lgkmcnt(0)
	v_mul_f64 v[120:121], v[168:169], v[122:123]
	s_delay_alu instid0(VALU_DEP_1) | instskip(SKIP_1) | instid1(VALU_DEP_2)
	v_fma_f64 v[120:121], v[166:167], v[164:165], -v[120:121]
	v_mul_f64 v[166:167], v[166:167], v[122:123]
	v_add_f64 v[104:105], v[104:105], -v[120:121]
	s_delay_alu instid0(VALU_DEP_2) | instskip(NEXT) | instid1(VALU_DEP_1)
	v_fma_f64 v[166:167], v[168:169], v[164:165], v[166:167]
	v_add_f64 v[106:107], v[106:107], -v[166:167]
	ds_load_2addr_b64 v[166:169], v240 offset0:30 offset1:31
	s_waitcnt lgkmcnt(0)
	v_mul_f64 v[120:121], v[168:169], v[122:123]
	s_delay_alu instid0(VALU_DEP_1) | instskip(SKIP_1) | instid1(VALU_DEP_2)
	v_fma_f64 v[120:121], v[166:167], v[164:165], -v[120:121]
	v_mul_f64 v[166:167], v[166:167], v[122:123]
	v_add_f64 v[100:101], v[100:101], -v[120:121]
	s_delay_alu instid0(VALU_DEP_2) | instskip(NEXT) | instid1(VALU_DEP_1)
	v_fma_f64 v[166:167], v[168:169], v[164:165], v[166:167]
	v_add_f64 v[102:103], v[102:103], -v[166:167]
	ds_load_2addr_b64 v[166:169], v240 offset0:32 offset1:33
	s_waitcnt lgkmcnt(0)
	v_mul_f64 v[120:121], v[168:169], v[122:123]
	s_delay_alu instid0(VALU_DEP_1) | instskip(SKIP_1) | instid1(VALU_DEP_2)
	v_fma_f64 v[120:121], v[166:167], v[164:165], -v[120:121]
	v_mul_f64 v[166:167], v[166:167], v[122:123]
	v_add_f64 v[96:97], v[96:97], -v[120:121]
	s_delay_alu instid0(VALU_DEP_2) | instskip(NEXT) | instid1(VALU_DEP_1)
	v_fma_f64 v[166:167], v[168:169], v[164:165], v[166:167]
	v_add_f64 v[98:99], v[98:99], -v[166:167]
	ds_load_2addr_b64 v[166:169], v240 offset0:34 offset1:35
	s_waitcnt lgkmcnt(0)
	v_mul_f64 v[120:121], v[168:169], v[122:123]
	s_delay_alu instid0(VALU_DEP_1) | instskip(SKIP_1) | instid1(VALU_DEP_2)
	v_fma_f64 v[120:121], v[166:167], v[164:165], -v[120:121]
	v_mul_f64 v[166:167], v[166:167], v[122:123]
	v_add_f64 v[92:93], v[92:93], -v[120:121]
	s_delay_alu instid0(VALU_DEP_2) | instskip(NEXT) | instid1(VALU_DEP_1)
	v_fma_f64 v[166:167], v[168:169], v[164:165], v[166:167]
	v_add_f64 v[94:95], v[94:95], -v[166:167]
	ds_load_2addr_b64 v[166:169], v240 offset0:36 offset1:37
	s_waitcnt lgkmcnt(0)
	v_mul_f64 v[120:121], v[168:169], v[122:123]
	s_delay_alu instid0(VALU_DEP_1) | instskip(SKIP_1) | instid1(VALU_DEP_2)
	v_fma_f64 v[120:121], v[166:167], v[164:165], -v[120:121]
	v_mul_f64 v[166:167], v[166:167], v[122:123]
	v_add_f64 v[88:89], v[88:89], -v[120:121]
	s_delay_alu instid0(VALU_DEP_2) | instskip(NEXT) | instid1(VALU_DEP_1)
	v_fma_f64 v[166:167], v[168:169], v[164:165], v[166:167]
	v_add_f64 v[90:91], v[90:91], -v[166:167]
	ds_load_2addr_b64 v[166:169], v240 offset0:38 offset1:39
	s_waitcnt lgkmcnt(0)
	v_mul_f64 v[120:121], v[168:169], v[122:123]
	s_delay_alu instid0(VALU_DEP_1) | instskip(SKIP_1) | instid1(VALU_DEP_2)
	v_fma_f64 v[120:121], v[166:167], v[164:165], -v[120:121]
	v_mul_f64 v[166:167], v[166:167], v[122:123]
	v_add_f64 v[84:85], v[84:85], -v[120:121]
	s_delay_alu instid0(VALU_DEP_2) | instskip(NEXT) | instid1(VALU_DEP_1)
	v_fma_f64 v[166:167], v[168:169], v[164:165], v[166:167]
	v_add_f64 v[86:87], v[86:87], -v[166:167]
	ds_load_2addr_b64 v[166:169], v240 offset0:40 offset1:41
	s_waitcnt lgkmcnt(0)
	v_mul_f64 v[120:121], v[168:169], v[122:123]
	s_delay_alu instid0(VALU_DEP_1) | instskip(SKIP_1) | instid1(VALU_DEP_2)
	v_fma_f64 v[120:121], v[166:167], v[164:165], -v[120:121]
	v_mul_f64 v[166:167], v[166:167], v[122:123]
	v_add_f64 v[80:81], v[80:81], -v[120:121]
	s_delay_alu instid0(VALU_DEP_2) | instskip(NEXT) | instid1(VALU_DEP_1)
	v_fma_f64 v[166:167], v[168:169], v[164:165], v[166:167]
	v_add_f64 v[82:83], v[82:83], -v[166:167]
	ds_load_2addr_b64 v[166:169], v240 offset0:42 offset1:43
	s_waitcnt lgkmcnt(0)
	v_mul_f64 v[120:121], v[168:169], v[122:123]
	s_delay_alu instid0(VALU_DEP_1) | instskip(SKIP_1) | instid1(VALU_DEP_2)
	v_fma_f64 v[120:121], v[166:167], v[164:165], -v[120:121]
	v_mul_f64 v[166:167], v[166:167], v[122:123]
	v_add_f64 v[76:77], v[76:77], -v[120:121]
	s_delay_alu instid0(VALU_DEP_2) | instskip(NEXT) | instid1(VALU_DEP_1)
	v_fma_f64 v[166:167], v[168:169], v[164:165], v[166:167]
	v_add_f64 v[78:79], v[78:79], -v[166:167]
	ds_load_2addr_b64 v[166:169], v240 offset0:44 offset1:45
	s_waitcnt lgkmcnt(0)
	v_mul_f64 v[120:121], v[168:169], v[122:123]
	s_delay_alu instid0(VALU_DEP_1) | instskip(SKIP_1) | instid1(VALU_DEP_2)
	v_fma_f64 v[120:121], v[166:167], v[164:165], -v[120:121]
	v_mul_f64 v[166:167], v[166:167], v[122:123]
	v_add_f64 v[72:73], v[72:73], -v[120:121]
	s_delay_alu instid0(VALU_DEP_2) | instskip(NEXT) | instid1(VALU_DEP_1)
	v_fma_f64 v[166:167], v[168:169], v[164:165], v[166:167]
	v_add_f64 v[74:75], v[74:75], -v[166:167]
	ds_load_2addr_b64 v[166:169], v240 offset0:46 offset1:47
	s_waitcnt lgkmcnt(0)
	v_mul_f64 v[120:121], v[168:169], v[122:123]
	s_delay_alu instid0(VALU_DEP_1) | instskip(SKIP_1) | instid1(VALU_DEP_2)
	v_fma_f64 v[120:121], v[166:167], v[164:165], -v[120:121]
	v_mul_f64 v[166:167], v[166:167], v[122:123]
	v_add_f64 v[68:69], v[68:69], -v[120:121]
	s_delay_alu instid0(VALU_DEP_2) | instskip(NEXT) | instid1(VALU_DEP_1)
	v_fma_f64 v[166:167], v[168:169], v[164:165], v[166:167]
	v_add_f64 v[70:71], v[70:71], -v[166:167]
	ds_load_2addr_b64 v[166:169], v240 offset0:48 offset1:49
	s_waitcnt lgkmcnt(0)
	v_mul_f64 v[120:121], v[168:169], v[122:123]
	s_delay_alu instid0(VALU_DEP_1) | instskip(SKIP_1) | instid1(VALU_DEP_2)
	v_fma_f64 v[120:121], v[166:167], v[164:165], -v[120:121]
	v_mul_f64 v[166:167], v[166:167], v[122:123]
	v_add_f64 v[64:65], v[64:65], -v[120:121]
	s_delay_alu instid0(VALU_DEP_2) | instskip(NEXT) | instid1(VALU_DEP_1)
	v_fma_f64 v[166:167], v[168:169], v[164:165], v[166:167]
	v_add_f64 v[66:67], v[66:67], -v[166:167]
	ds_load_2addr_b64 v[166:169], v240 offset0:50 offset1:51
	s_waitcnt lgkmcnt(0)
	v_mul_f64 v[120:121], v[168:169], v[122:123]
	s_delay_alu instid0(VALU_DEP_1) | instskip(SKIP_1) | instid1(VALU_DEP_2)
	v_fma_f64 v[120:121], v[166:167], v[164:165], -v[120:121]
	v_mul_f64 v[166:167], v[166:167], v[122:123]
	v_add_f64 v[60:61], v[60:61], -v[120:121]
	s_delay_alu instid0(VALU_DEP_2) | instskip(NEXT) | instid1(VALU_DEP_1)
	v_fma_f64 v[166:167], v[168:169], v[164:165], v[166:167]
	v_add_f64 v[62:63], v[62:63], -v[166:167]
	ds_load_2addr_b64 v[166:169], v240 offset0:52 offset1:53
	s_waitcnt lgkmcnt(0)
	v_mul_f64 v[120:121], v[168:169], v[122:123]
	s_delay_alu instid0(VALU_DEP_1) | instskip(SKIP_1) | instid1(VALU_DEP_2)
	v_fma_f64 v[120:121], v[166:167], v[164:165], -v[120:121]
	v_mul_f64 v[166:167], v[166:167], v[122:123]
	v_add_f64 v[56:57], v[56:57], -v[120:121]
	s_delay_alu instid0(VALU_DEP_2) | instskip(NEXT) | instid1(VALU_DEP_1)
	v_fma_f64 v[166:167], v[168:169], v[164:165], v[166:167]
	v_add_f64 v[58:59], v[58:59], -v[166:167]
	ds_load_2addr_b64 v[166:169], v240 offset0:54 offset1:55
	s_waitcnt lgkmcnt(0)
	v_mul_f64 v[120:121], v[168:169], v[122:123]
	s_delay_alu instid0(VALU_DEP_1) | instskip(SKIP_1) | instid1(VALU_DEP_2)
	v_fma_f64 v[120:121], v[166:167], v[164:165], -v[120:121]
	v_mul_f64 v[166:167], v[166:167], v[122:123]
	v_add_f64 v[52:53], v[52:53], -v[120:121]
	s_delay_alu instid0(VALU_DEP_2) | instskip(NEXT) | instid1(VALU_DEP_1)
	v_fma_f64 v[166:167], v[168:169], v[164:165], v[166:167]
	v_add_f64 v[54:55], v[54:55], -v[166:167]
	ds_load_2addr_b64 v[166:169], v240 offset0:56 offset1:57
	s_waitcnt lgkmcnt(0)
	v_mul_f64 v[120:121], v[168:169], v[122:123]
	s_delay_alu instid0(VALU_DEP_1) | instskip(SKIP_1) | instid1(VALU_DEP_2)
	v_fma_f64 v[120:121], v[166:167], v[164:165], -v[120:121]
	v_mul_f64 v[166:167], v[166:167], v[122:123]
	v_add_f64 v[48:49], v[48:49], -v[120:121]
	s_delay_alu instid0(VALU_DEP_2) | instskip(NEXT) | instid1(VALU_DEP_1)
	v_fma_f64 v[166:167], v[168:169], v[164:165], v[166:167]
	v_add_f64 v[50:51], v[50:51], -v[166:167]
	ds_load_2addr_b64 v[166:169], v240 offset0:58 offset1:59
	s_waitcnt lgkmcnt(0)
	v_mul_f64 v[120:121], v[168:169], v[122:123]
	s_delay_alu instid0(VALU_DEP_1) | instskip(SKIP_1) | instid1(VALU_DEP_2)
	v_fma_f64 v[120:121], v[166:167], v[164:165], -v[120:121]
	v_mul_f64 v[166:167], v[166:167], v[122:123]
	v_add_f64 v[44:45], v[44:45], -v[120:121]
	s_delay_alu instid0(VALU_DEP_2) | instskip(NEXT) | instid1(VALU_DEP_1)
	v_fma_f64 v[166:167], v[168:169], v[164:165], v[166:167]
	v_add_f64 v[46:47], v[46:47], -v[166:167]
	ds_load_2addr_b64 v[166:169], v240 offset0:60 offset1:61
	s_waitcnt lgkmcnt(0)
	v_mul_f64 v[120:121], v[168:169], v[122:123]
	s_delay_alu instid0(VALU_DEP_1) | instskip(SKIP_1) | instid1(VALU_DEP_2)
	v_fma_f64 v[120:121], v[166:167], v[164:165], -v[120:121]
	v_mul_f64 v[166:167], v[166:167], v[122:123]
	v_add_f64 v[40:41], v[40:41], -v[120:121]
	s_delay_alu instid0(VALU_DEP_2) | instskip(NEXT) | instid1(VALU_DEP_1)
	v_fma_f64 v[166:167], v[168:169], v[164:165], v[166:167]
	v_add_f64 v[42:43], v[42:43], -v[166:167]
	ds_load_2addr_b64 v[166:169], v240 offset0:62 offset1:63
	s_waitcnt lgkmcnt(0)
	v_mul_f64 v[120:121], v[168:169], v[122:123]
	s_delay_alu instid0(VALU_DEP_1) | instskip(SKIP_1) | instid1(VALU_DEP_2)
	v_fma_f64 v[120:121], v[166:167], v[164:165], -v[120:121]
	v_mul_f64 v[166:167], v[166:167], v[122:123]
	v_add_f64 v[36:37], v[36:37], -v[120:121]
	s_delay_alu instid0(VALU_DEP_2) | instskip(NEXT) | instid1(VALU_DEP_1)
	v_fma_f64 v[166:167], v[168:169], v[164:165], v[166:167]
	v_add_f64 v[38:39], v[38:39], -v[166:167]
	ds_load_2addr_b64 v[166:169], v240 offset0:64 offset1:65
	s_waitcnt lgkmcnt(0)
	v_mul_f64 v[120:121], v[168:169], v[122:123]
	s_delay_alu instid0(VALU_DEP_1) | instskip(SKIP_1) | instid1(VALU_DEP_2)
	v_fma_f64 v[120:121], v[166:167], v[164:165], -v[120:121]
	v_mul_f64 v[166:167], v[166:167], v[122:123]
	v_add_f64 v[32:33], v[32:33], -v[120:121]
	s_delay_alu instid0(VALU_DEP_2) | instskip(NEXT) | instid1(VALU_DEP_1)
	v_fma_f64 v[166:167], v[168:169], v[164:165], v[166:167]
	v_add_f64 v[34:35], v[34:35], -v[166:167]
	ds_load_2addr_b64 v[166:169], v240 offset0:66 offset1:67
	s_waitcnt lgkmcnt(0)
	v_mul_f64 v[120:121], v[168:169], v[122:123]
	s_delay_alu instid0(VALU_DEP_1) | instskip(SKIP_1) | instid1(VALU_DEP_2)
	v_fma_f64 v[120:121], v[166:167], v[164:165], -v[120:121]
	v_mul_f64 v[166:167], v[166:167], v[122:123]
	v_add_f64 v[28:29], v[28:29], -v[120:121]
	s_delay_alu instid0(VALU_DEP_2) | instskip(NEXT) | instid1(VALU_DEP_1)
	v_fma_f64 v[166:167], v[168:169], v[164:165], v[166:167]
	v_add_f64 v[30:31], v[30:31], -v[166:167]
	ds_load_2addr_b64 v[166:169], v240 offset0:68 offset1:69
	s_waitcnt lgkmcnt(0)
	v_mul_f64 v[120:121], v[168:169], v[122:123]
	s_delay_alu instid0(VALU_DEP_1) | instskip(SKIP_1) | instid1(VALU_DEP_2)
	v_fma_f64 v[120:121], v[166:167], v[164:165], -v[120:121]
	v_mul_f64 v[166:167], v[166:167], v[122:123]
	v_add_f64 v[24:25], v[24:25], -v[120:121]
	s_delay_alu instid0(VALU_DEP_2) | instskip(NEXT) | instid1(VALU_DEP_1)
	v_fma_f64 v[166:167], v[168:169], v[164:165], v[166:167]
	v_add_f64 v[26:27], v[26:27], -v[166:167]
	ds_load_2addr_b64 v[166:169], v240 offset0:70 offset1:71
	s_waitcnt lgkmcnt(0)
	v_mul_f64 v[120:121], v[168:169], v[122:123]
	s_delay_alu instid0(VALU_DEP_1) | instskip(SKIP_1) | instid1(VALU_DEP_2)
	v_fma_f64 v[120:121], v[166:167], v[164:165], -v[120:121]
	v_mul_f64 v[166:167], v[166:167], v[122:123]
	v_add_f64 v[20:21], v[20:21], -v[120:121]
	s_delay_alu instid0(VALU_DEP_2) | instskip(NEXT) | instid1(VALU_DEP_1)
	v_fma_f64 v[166:167], v[168:169], v[164:165], v[166:167]
	v_add_f64 v[22:23], v[22:23], -v[166:167]
	ds_load_2addr_b64 v[166:169], v240 offset0:72 offset1:73
	s_waitcnt lgkmcnt(0)
	v_mul_f64 v[120:121], v[168:169], v[122:123]
	s_delay_alu instid0(VALU_DEP_1) | instskip(SKIP_1) | instid1(VALU_DEP_2)
	v_fma_f64 v[120:121], v[166:167], v[164:165], -v[120:121]
	v_mul_f64 v[166:167], v[166:167], v[122:123]
	v_add_f64 v[16:17], v[16:17], -v[120:121]
	s_delay_alu instid0(VALU_DEP_2) | instskip(NEXT) | instid1(VALU_DEP_1)
	v_fma_f64 v[166:167], v[168:169], v[164:165], v[166:167]
	v_add_f64 v[18:19], v[18:19], -v[166:167]
	ds_load_2addr_b64 v[166:169], v240 offset0:74 offset1:75
	s_waitcnt lgkmcnt(0)
	v_mul_f64 v[120:121], v[168:169], v[122:123]
	s_delay_alu instid0(VALU_DEP_1) | instskip(SKIP_1) | instid1(VALU_DEP_2)
	v_fma_f64 v[120:121], v[166:167], v[164:165], -v[120:121]
	v_mul_f64 v[166:167], v[166:167], v[122:123]
	v_add_f64 v[12:13], v[12:13], -v[120:121]
	s_delay_alu instid0(VALU_DEP_2) | instskip(NEXT) | instid1(VALU_DEP_1)
	v_fma_f64 v[166:167], v[168:169], v[164:165], v[166:167]
	v_add_f64 v[14:15], v[14:15], -v[166:167]
	ds_load_2addr_b64 v[166:169], v240 offset0:76 offset1:77
	s_waitcnt lgkmcnt(0)
	v_mul_f64 v[120:121], v[168:169], v[122:123]
	s_delay_alu instid0(VALU_DEP_1) | instskip(SKIP_1) | instid1(VALU_DEP_2)
	v_fma_f64 v[120:121], v[166:167], v[164:165], -v[120:121]
	v_mul_f64 v[166:167], v[166:167], v[122:123]
	v_add_f64 v[8:9], v[8:9], -v[120:121]
	s_delay_alu instid0(VALU_DEP_2) | instskip(NEXT) | instid1(VALU_DEP_1)
	v_fma_f64 v[166:167], v[168:169], v[164:165], v[166:167]
	v_add_f64 v[10:11], v[10:11], -v[166:167]
	ds_load_2addr_b64 v[166:169], v240 offset0:78 offset1:79
	s_waitcnt lgkmcnt(0)
	v_mul_f64 v[120:121], v[168:169], v[122:123]
	s_delay_alu instid0(VALU_DEP_1) | instskip(SKIP_1) | instid1(VALU_DEP_2)
	v_fma_f64 v[120:121], v[166:167], v[164:165], -v[120:121]
	v_mul_f64 v[166:167], v[166:167], v[122:123]
	v_add_f64 v[4:5], v[4:5], -v[120:121]
	s_delay_alu instid0(VALU_DEP_2) | instskip(NEXT) | instid1(VALU_DEP_1)
	v_fma_f64 v[166:167], v[168:169], v[164:165], v[166:167]
	v_add_f64 v[6:7], v[6:7], -v[166:167]
	ds_load_2addr_b64 v[166:169], v240 offset0:80 offset1:81
	s_waitcnt lgkmcnt(0)
	v_mul_f64 v[120:121], v[168:169], v[122:123]
	s_delay_alu instid0(VALU_DEP_1) | instskip(SKIP_1) | instid1(VALU_DEP_2)
	v_fma_f64 v[120:121], v[166:167], v[164:165], -v[120:121]
	v_mul_f64 v[166:167], v[166:167], v[122:123]
	v_add_f64 v[0:1], v[0:1], -v[120:121]
	s_delay_alu instid0(VALU_DEP_2) | instskip(SKIP_1) | instid1(VALU_DEP_2)
	v_fma_f64 v[166:167], v[168:169], v[164:165], v[166:167]
	v_dual_mov_b32 v120, v164 :: v_dual_mov_b32 v121, v165
	v_add_f64 v[2:3], v[2:3], -v[166:167]
.LBB81_100:
	s_or_b32 exec_lo, exec_lo, s3
	s_delay_alu instid0(SALU_CYCLE_1)
	s_mov_b32 s4, exec_lo
	s_waitcnt_vscnt null, 0x0
	s_barrier
	buffer_gl0_inv
	v_cmpx_eq_u32_e32 11, v238
	s_cbranch_execz .LBB81_107
; %bb.101:
	ds_store_2addr_b64 v239, v[116:117], v[118:119] offset1:1
	ds_store_2addr_b64 v240, v[112:113], v[114:115] offset0:24 offset1:25
	ds_store_2addr_b64 v240, v[108:109], v[110:111] offset0:26 offset1:27
	;; [unrolled: 1-line block ×29, first 2 shown]
	ds_load_2addr_b64 v[164:167], v239 offset1:1
	s_waitcnt lgkmcnt(0)
	v_cmp_neq_f64_e32 vcc_lo, 0, v[164:165]
	v_cmp_neq_f64_e64 s3, 0, v[166:167]
	s_delay_alu instid0(VALU_DEP_1) | instskip(NEXT) | instid1(SALU_CYCLE_1)
	s_or_b32 s3, vcc_lo, s3
	s_and_b32 exec_lo, exec_lo, s3
	s_cbranch_execz .LBB81_107
; %bb.102:
	v_cmp_gt_f64_e32 vcc_lo, 0, v[164:165]
	v_xor_b32_e32 v168, 0x80000000, v165
	v_xor_b32_e32 v170, 0x80000000, v167
	s_mov_b32 s3, exec_lo
                                        ; implicit-def: $vgpr172_vgpr173
	s_delay_alu instid0(VALU_DEP_2) | instskip(SKIP_4) | instid1(VALU_DEP_1)
	v_cndmask_b32_e32 v169, v165, v168, vcc_lo
	v_cndmask_b32_e32 v168, v164, v164, vcc_lo
	v_cmp_gt_f64_e32 vcc_lo, 0, v[166:167]
	v_cndmask_b32_e32 v171, v167, v170, vcc_lo
	v_cndmask_b32_e32 v170, v166, v166, vcc_lo
	v_cmpx_ngt_f64_e32 v[168:169], v[170:171]
	s_xor_b32 s3, exec_lo, s3
                                        ; implicit-def: $vgpr168_vgpr169_vgpr170_vgpr171
	s_cbranch_execz .LBB81_104
; %bb.103:
	v_div_scale_f64 v[168:169], null, v[166:167], v[166:167], v[164:165]
	v_div_scale_f64 v[174:175], vcc_lo, v[164:165], v[166:167], v[164:165]
	s_delay_alu instid0(VALU_DEP_2) | instskip(SKIP_2) | instid1(VALU_DEP_1)
	v_rcp_f64_e32 v[170:171], v[168:169]
	s_waitcnt_depctr 0xfff
	v_fma_f64 v[172:173], -v[168:169], v[170:171], 1.0
	v_fma_f64 v[170:171], v[170:171], v[172:173], v[170:171]
	s_delay_alu instid0(VALU_DEP_1) | instskip(NEXT) | instid1(VALU_DEP_1)
	v_fma_f64 v[172:173], -v[168:169], v[170:171], 1.0
	v_fma_f64 v[170:171], v[170:171], v[172:173], v[170:171]
	s_delay_alu instid0(VALU_DEP_1) | instskip(NEXT) | instid1(VALU_DEP_1)
	v_mul_f64 v[172:173], v[174:175], v[170:171]
	v_fma_f64 v[168:169], -v[168:169], v[172:173], v[174:175]
	s_delay_alu instid0(VALU_DEP_1) | instskip(NEXT) | instid1(VALU_DEP_1)
	v_div_fmas_f64 v[168:169], v[168:169], v[170:171], v[172:173]
	v_div_fixup_f64 v[168:169], v[168:169], v[166:167], v[164:165]
	s_delay_alu instid0(VALU_DEP_1) | instskip(NEXT) | instid1(VALU_DEP_1)
	v_fma_f64 v[164:165], v[164:165], v[168:169], v[166:167]
	v_div_scale_f64 v[166:167], null, v[164:165], v[164:165], 1.0
	s_delay_alu instid0(VALU_DEP_1) | instskip(SKIP_2) | instid1(VALU_DEP_1)
	v_rcp_f64_e32 v[170:171], v[166:167]
	s_waitcnt_depctr 0xfff
	v_fma_f64 v[172:173], -v[166:167], v[170:171], 1.0
	v_fma_f64 v[170:171], v[170:171], v[172:173], v[170:171]
	s_delay_alu instid0(VALU_DEP_1) | instskip(NEXT) | instid1(VALU_DEP_1)
	v_fma_f64 v[172:173], -v[166:167], v[170:171], 1.0
	v_fma_f64 v[170:171], v[170:171], v[172:173], v[170:171]
	v_div_scale_f64 v[172:173], vcc_lo, 1.0, v[164:165], 1.0
	s_delay_alu instid0(VALU_DEP_1) | instskip(NEXT) | instid1(VALU_DEP_1)
	v_mul_f64 v[174:175], v[172:173], v[170:171]
	v_fma_f64 v[166:167], -v[166:167], v[174:175], v[172:173]
	s_delay_alu instid0(VALU_DEP_1) | instskip(NEXT) | instid1(VALU_DEP_1)
	v_div_fmas_f64 v[166:167], v[166:167], v[170:171], v[174:175]
	v_div_fixup_f64 v[170:171], v[166:167], v[164:165], 1.0
                                        ; implicit-def: $vgpr164_vgpr165
	s_delay_alu instid0(VALU_DEP_1)
	v_mul_f64 v[172:173], v[168:169], v[170:171]
	v_xor_b32_e32 v171, 0x80000000, v171
.LBB81_104:
	s_and_not1_saveexec_b32 s3, s3
	s_cbranch_execz .LBB81_106
; %bb.105:
	v_div_scale_f64 v[168:169], null, v[164:165], v[164:165], v[166:167]
	v_div_scale_f64 v[174:175], vcc_lo, v[166:167], v[164:165], v[166:167]
	s_delay_alu instid0(VALU_DEP_2) | instskip(SKIP_2) | instid1(VALU_DEP_1)
	v_rcp_f64_e32 v[170:171], v[168:169]
	s_waitcnt_depctr 0xfff
	v_fma_f64 v[172:173], -v[168:169], v[170:171], 1.0
	v_fma_f64 v[170:171], v[170:171], v[172:173], v[170:171]
	s_delay_alu instid0(VALU_DEP_1) | instskip(NEXT) | instid1(VALU_DEP_1)
	v_fma_f64 v[172:173], -v[168:169], v[170:171], 1.0
	v_fma_f64 v[170:171], v[170:171], v[172:173], v[170:171]
	s_delay_alu instid0(VALU_DEP_1) | instskip(NEXT) | instid1(VALU_DEP_1)
	v_mul_f64 v[172:173], v[174:175], v[170:171]
	v_fma_f64 v[168:169], -v[168:169], v[172:173], v[174:175]
	s_delay_alu instid0(VALU_DEP_1) | instskip(NEXT) | instid1(VALU_DEP_1)
	v_div_fmas_f64 v[168:169], v[168:169], v[170:171], v[172:173]
	v_div_fixup_f64 v[168:169], v[168:169], v[164:165], v[166:167]
	s_delay_alu instid0(VALU_DEP_1) | instskip(NEXT) | instid1(VALU_DEP_1)
	v_fma_f64 v[164:165], v[166:167], v[168:169], v[164:165]
	v_div_scale_f64 v[166:167], null, v[164:165], v[164:165], 1.0
	s_delay_alu instid0(VALU_DEP_1) | instskip(SKIP_2) | instid1(VALU_DEP_1)
	v_rcp_f64_e32 v[170:171], v[166:167]
	s_waitcnt_depctr 0xfff
	v_fma_f64 v[172:173], -v[166:167], v[170:171], 1.0
	v_fma_f64 v[170:171], v[170:171], v[172:173], v[170:171]
	s_delay_alu instid0(VALU_DEP_1) | instskip(NEXT) | instid1(VALU_DEP_1)
	v_fma_f64 v[172:173], -v[166:167], v[170:171], 1.0
	v_fma_f64 v[170:171], v[170:171], v[172:173], v[170:171]
	v_div_scale_f64 v[172:173], vcc_lo, 1.0, v[164:165], 1.0
	s_delay_alu instid0(VALU_DEP_1) | instskip(NEXT) | instid1(VALU_DEP_1)
	v_mul_f64 v[174:175], v[172:173], v[170:171]
	v_fma_f64 v[166:167], -v[166:167], v[174:175], v[172:173]
	s_delay_alu instid0(VALU_DEP_1) | instskip(NEXT) | instid1(VALU_DEP_1)
	v_div_fmas_f64 v[166:167], v[166:167], v[170:171], v[174:175]
	v_div_fixup_f64 v[172:173], v[166:167], v[164:165], 1.0
	s_delay_alu instid0(VALU_DEP_1)
	v_mul_f64 v[170:171], v[168:169], -v[172:173]
.LBB81_106:
	s_or_b32 exec_lo, exec_lo, s3
	ds_store_2addr_b64 v239, v[172:173], v[170:171] offset1:1
.LBB81_107:
	s_or_b32 exec_lo, exec_lo, s4
	s_waitcnt lgkmcnt(0)
	s_barrier
	buffer_gl0_inv
	ds_load_2addr_b64 v[164:167], v239 offset1:1
	s_mov_b32 s3, exec_lo
	s_waitcnt lgkmcnt(0)
	scratch_store_b128 off, v[164:167], off offset:456 ; 16-byte Folded Spill
	v_cmpx_lt_u32_e32 11, v238
	s_cbranch_execz .LBB81_109
; %bb.108:
	scratch_load_b128 v[166:169], off, off offset:456 ; 16-byte Folded Reload
	s_waitcnt vmcnt(0)
	v_mul_f64 v[164:165], v[168:169], v[118:119]
	v_mul_f64 v[118:119], v[166:167], v[118:119]
	s_delay_alu instid0(VALU_DEP_2) | instskip(NEXT) | instid1(VALU_DEP_2)
	v_fma_f64 v[164:165], v[166:167], v[116:117], -v[164:165]
	v_fma_f64 v[118:119], v[168:169], v[116:117], v[118:119]
	ds_load_2addr_b64 v[166:169], v240 offset0:24 offset1:25
	s_waitcnt lgkmcnt(0)
	v_mul_f64 v[116:117], v[168:169], v[118:119]
	s_delay_alu instid0(VALU_DEP_1) | instskip(SKIP_1) | instid1(VALU_DEP_2)
	v_fma_f64 v[116:117], v[166:167], v[164:165], -v[116:117]
	v_mul_f64 v[166:167], v[166:167], v[118:119]
	v_add_f64 v[112:113], v[112:113], -v[116:117]
	s_delay_alu instid0(VALU_DEP_2) | instskip(NEXT) | instid1(VALU_DEP_1)
	v_fma_f64 v[166:167], v[168:169], v[164:165], v[166:167]
	v_add_f64 v[114:115], v[114:115], -v[166:167]
	ds_load_2addr_b64 v[166:169], v240 offset0:26 offset1:27
	s_waitcnt lgkmcnt(0)
	v_mul_f64 v[116:117], v[168:169], v[118:119]
	s_delay_alu instid0(VALU_DEP_1) | instskip(SKIP_1) | instid1(VALU_DEP_2)
	v_fma_f64 v[116:117], v[166:167], v[164:165], -v[116:117]
	v_mul_f64 v[166:167], v[166:167], v[118:119]
	v_add_f64 v[108:109], v[108:109], -v[116:117]
	s_delay_alu instid0(VALU_DEP_2) | instskip(NEXT) | instid1(VALU_DEP_1)
	v_fma_f64 v[166:167], v[168:169], v[164:165], v[166:167]
	v_add_f64 v[110:111], v[110:111], -v[166:167]
	;; [unrolled: 10-line block ×28, first 2 shown]
	ds_load_2addr_b64 v[166:169], v240 offset0:80 offset1:81
	s_waitcnt lgkmcnt(0)
	v_mul_f64 v[116:117], v[168:169], v[118:119]
	s_delay_alu instid0(VALU_DEP_1) | instskip(SKIP_1) | instid1(VALU_DEP_2)
	v_fma_f64 v[116:117], v[166:167], v[164:165], -v[116:117]
	v_mul_f64 v[166:167], v[166:167], v[118:119]
	v_add_f64 v[0:1], v[0:1], -v[116:117]
	s_delay_alu instid0(VALU_DEP_2) | instskip(SKIP_1) | instid1(VALU_DEP_2)
	v_fma_f64 v[166:167], v[168:169], v[164:165], v[166:167]
	v_dual_mov_b32 v116, v164 :: v_dual_mov_b32 v117, v165
	v_add_f64 v[2:3], v[2:3], -v[166:167]
.LBB81_109:
	s_or_b32 exec_lo, exec_lo, s3
	s_delay_alu instid0(SALU_CYCLE_1)
	s_mov_b32 s4, exec_lo
	s_waitcnt_vscnt null, 0x0
	s_barrier
	buffer_gl0_inv
	v_cmpx_eq_u32_e32 12, v238
	s_cbranch_execz .LBB81_116
; %bb.110:
	ds_store_2addr_b64 v239, v[112:113], v[114:115] offset1:1
	ds_store_2addr_b64 v240, v[108:109], v[110:111] offset0:26 offset1:27
	ds_store_2addr_b64 v240, v[104:105], v[106:107] offset0:28 offset1:29
	;; [unrolled: 1-line block ×28, first 2 shown]
	ds_load_2addr_b64 v[164:167], v239 offset1:1
	s_waitcnt lgkmcnt(0)
	v_cmp_neq_f64_e32 vcc_lo, 0, v[164:165]
	v_cmp_neq_f64_e64 s3, 0, v[166:167]
	s_delay_alu instid0(VALU_DEP_1) | instskip(NEXT) | instid1(SALU_CYCLE_1)
	s_or_b32 s3, vcc_lo, s3
	s_and_b32 exec_lo, exec_lo, s3
	s_cbranch_execz .LBB81_116
; %bb.111:
	v_cmp_gt_f64_e32 vcc_lo, 0, v[164:165]
	v_xor_b32_e32 v168, 0x80000000, v165
	v_xor_b32_e32 v170, 0x80000000, v167
	s_mov_b32 s3, exec_lo
                                        ; implicit-def: $vgpr172_vgpr173
	s_delay_alu instid0(VALU_DEP_2) | instskip(SKIP_4) | instid1(VALU_DEP_1)
	v_cndmask_b32_e32 v169, v165, v168, vcc_lo
	v_cndmask_b32_e32 v168, v164, v164, vcc_lo
	v_cmp_gt_f64_e32 vcc_lo, 0, v[166:167]
	v_cndmask_b32_e32 v171, v167, v170, vcc_lo
	v_cndmask_b32_e32 v170, v166, v166, vcc_lo
	v_cmpx_ngt_f64_e32 v[168:169], v[170:171]
	s_xor_b32 s3, exec_lo, s3
                                        ; implicit-def: $vgpr168_vgpr169_vgpr170_vgpr171
	s_cbranch_execz .LBB81_113
; %bb.112:
	v_div_scale_f64 v[168:169], null, v[166:167], v[166:167], v[164:165]
	v_div_scale_f64 v[174:175], vcc_lo, v[164:165], v[166:167], v[164:165]
	s_delay_alu instid0(VALU_DEP_2) | instskip(SKIP_2) | instid1(VALU_DEP_1)
	v_rcp_f64_e32 v[170:171], v[168:169]
	s_waitcnt_depctr 0xfff
	v_fma_f64 v[172:173], -v[168:169], v[170:171], 1.0
	v_fma_f64 v[170:171], v[170:171], v[172:173], v[170:171]
	s_delay_alu instid0(VALU_DEP_1) | instskip(NEXT) | instid1(VALU_DEP_1)
	v_fma_f64 v[172:173], -v[168:169], v[170:171], 1.0
	v_fma_f64 v[170:171], v[170:171], v[172:173], v[170:171]
	s_delay_alu instid0(VALU_DEP_1) | instskip(NEXT) | instid1(VALU_DEP_1)
	v_mul_f64 v[172:173], v[174:175], v[170:171]
	v_fma_f64 v[168:169], -v[168:169], v[172:173], v[174:175]
	s_delay_alu instid0(VALU_DEP_1) | instskip(NEXT) | instid1(VALU_DEP_1)
	v_div_fmas_f64 v[168:169], v[168:169], v[170:171], v[172:173]
	v_div_fixup_f64 v[168:169], v[168:169], v[166:167], v[164:165]
	s_delay_alu instid0(VALU_DEP_1) | instskip(NEXT) | instid1(VALU_DEP_1)
	v_fma_f64 v[164:165], v[164:165], v[168:169], v[166:167]
	v_div_scale_f64 v[166:167], null, v[164:165], v[164:165], 1.0
	s_delay_alu instid0(VALU_DEP_1) | instskip(SKIP_2) | instid1(VALU_DEP_1)
	v_rcp_f64_e32 v[170:171], v[166:167]
	s_waitcnt_depctr 0xfff
	v_fma_f64 v[172:173], -v[166:167], v[170:171], 1.0
	v_fma_f64 v[170:171], v[170:171], v[172:173], v[170:171]
	s_delay_alu instid0(VALU_DEP_1) | instskip(NEXT) | instid1(VALU_DEP_1)
	v_fma_f64 v[172:173], -v[166:167], v[170:171], 1.0
	v_fma_f64 v[170:171], v[170:171], v[172:173], v[170:171]
	v_div_scale_f64 v[172:173], vcc_lo, 1.0, v[164:165], 1.0
	s_delay_alu instid0(VALU_DEP_1) | instskip(NEXT) | instid1(VALU_DEP_1)
	v_mul_f64 v[174:175], v[172:173], v[170:171]
	v_fma_f64 v[166:167], -v[166:167], v[174:175], v[172:173]
	s_delay_alu instid0(VALU_DEP_1) | instskip(NEXT) | instid1(VALU_DEP_1)
	v_div_fmas_f64 v[166:167], v[166:167], v[170:171], v[174:175]
	v_div_fixup_f64 v[170:171], v[166:167], v[164:165], 1.0
                                        ; implicit-def: $vgpr164_vgpr165
	s_delay_alu instid0(VALU_DEP_1)
	v_mul_f64 v[172:173], v[168:169], v[170:171]
	v_xor_b32_e32 v171, 0x80000000, v171
.LBB81_113:
	s_and_not1_saveexec_b32 s3, s3
	s_cbranch_execz .LBB81_115
; %bb.114:
	v_div_scale_f64 v[168:169], null, v[164:165], v[164:165], v[166:167]
	v_div_scale_f64 v[174:175], vcc_lo, v[166:167], v[164:165], v[166:167]
	s_delay_alu instid0(VALU_DEP_2) | instskip(SKIP_2) | instid1(VALU_DEP_1)
	v_rcp_f64_e32 v[170:171], v[168:169]
	s_waitcnt_depctr 0xfff
	v_fma_f64 v[172:173], -v[168:169], v[170:171], 1.0
	v_fma_f64 v[170:171], v[170:171], v[172:173], v[170:171]
	s_delay_alu instid0(VALU_DEP_1) | instskip(NEXT) | instid1(VALU_DEP_1)
	v_fma_f64 v[172:173], -v[168:169], v[170:171], 1.0
	v_fma_f64 v[170:171], v[170:171], v[172:173], v[170:171]
	s_delay_alu instid0(VALU_DEP_1) | instskip(NEXT) | instid1(VALU_DEP_1)
	v_mul_f64 v[172:173], v[174:175], v[170:171]
	v_fma_f64 v[168:169], -v[168:169], v[172:173], v[174:175]
	s_delay_alu instid0(VALU_DEP_1) | instskip(NEXT) | instid1(VALU_DEP_1)
	v_div_fmas_f64 v[168:169], v[168:169], v[170:171], v[172:173]
	v_div_fixup_f64 v[168:169], v[168:169], v[164:165], v[166:167]
	s_delay_alu instid0(VALU_DEP_1) | instskip(NEXT) | instid1(VALU_DEP_1)
	v_fma_f64 v[164:165], v[166:167], v[168:169], v[164:165]
	v_div_scale_f64 v[166:167], null, v[164:165], v[164:165], 1.0
	s_delay_alu instid0(VALU_DEP_1) | instskip(SKIP_2) | instid1(VALU_DEP_1)
	v_rcp_f64_e32 v[170:171], v[166:167]
	s_waitcnt_depctr 0xfff
	v_fma_f64 v[172:173], -v[166:167], v[170:171], 1.0
	v_fma_f64 v[170:171], v[170:171], v[172:173], v[170:171]
	s_delay_alu instid0(VALU_DEP_1) | instskip(NEXT) | instid1(VALU_DEP_1)
	v_fma_f64 v[172:173], -v[166:167], v[170:171], 1.0
	v_fma_f64 v[170:171], v[170:171], v[172:173], v[170:171]
	v_div_scale_f64 v[172:173], vcc_lo, 1.0, v[164:165], 1.0
	s_delay_alu instid0(VALU_DEP_1) | instskip(NEXT) | instid1(VALU_DEP_1)
	v_mul_f64 v[174:175], v[172:173], v[170:171]
	v_fma_f64 v[166:167], -v[166:167], v[174:175], v[172:173]
	s_delay_alu instid0(VALU_DEP_1) | instskip(NEXT) | instid1(VALU_DEP_1)
	v_div_fmas_f64 v[166:167], v[166:167], v[170:171], v[174:175]
	v_div_fixup_f64 v[172:173], v[166:167], v[164:165], 1.0
	s_delay_alu instid0(VALU_DEP_1)
	v_mul_f64 v[170:171], v[168:169], -v[172:173]
.LBB81_115:
	s_or_b32 exec_lo, exec_lo, s3
	ds_store_2addr_b64 v239, v[172:173], v[170:171] offset1:1
.LBB81_116:
	s_or_b32 exec_lo, exec_lo, s4
	s_waitcnt lgkmcnt(0)
	s_barrier
	buffer_gl0_inv
	ds_load_2addr_b64 v[164:167], v239 offset1:1
	s_mov_b32 s3, exec_lo
	s_waitcnt lgkmcnt(0)
	scratch_store_b128 off, v[164:167], off offset:472 ; 16-byte Folded Spill
	v_cmpx_lt_u32_e32 12, v238
	s_cbranch_execz .LBB81_118
; %bb.117:
	scratch_load_b128 v[166:169], off, off offset:472 ; 16-byte Folded Reload
	s_waitcnt vmcnt(0)
	v_mul_f64 v[164:165], v[168:169], v[114:115]
	v_mul_f64 v[114:115], v[166:167], v[114:115]
	s_delay_alu instid0(VALU_DEP_2) | instskip(NEXT) | instid1(VALU_DEP_2)
	v_fma_f64 v[164:165], v[166:167], v[112:113], -v[164:165]
	v_fma_f64 v[114:115], v[168:169], v[112:113], v[114:115]
	ds_load_2addr_b64 v[166:169], v240 offset0:26 offset1:27
	s_waitcnt lgkmcnt(0)
	v_mul_f64 v[112:113], v[168:169], v[114:115]
	s_delay_alu instid0(VALU_DEP_1) | instskip(SKIP_1) | instid1(VALU_DEP_2)
	v_fma_f64 v[112:113], v[166:167], v[164:165], -v[112:113]
	v_mul_f64 v[166:167], v[166:167], v[114:115]
	v_add_f64 v[108:109], v[108:109], -v[112:113]
	s_delay_alu instid0(VALU_DEP_2) | instskip(NEXT) | instid1(VALU_DEP_1)
	v_fma_f64 v[166:167], v[168:169], v[164:165], v[166:167]
	v_add_f64 v[110:111], v[110:111], -v[166:167]
	ds_load_2addr_b64 v[166:169], v240 offset0:28 offset1:29
	s_waitcnt lgkmcnt(0)
	v_mul_f64 v[112:113], v[168:169], v[114:115]
	s_delay_alu instid0(VALU_DEP_1) | instskip(SKIP_1) | instid1(VALU_DEP_2)
	v_fma_f64 v[112:113], v[166:167], v[164:165], -v[112:113]
	v_mul_f64 v[166:167], v[166:167], v[114:115]
	v_add_f64 v[104:105], v[104:105], -v[112:113]
	s_delay_alu instid0(VALU_DEP_2) | instskip(NEXT) | instid1(VALU_DEP_1)
	v_fma_f64 v[166:167], v[168:169], v[164:165], v[166:167]
	v_add_f64 v[106:107], v[106:107], -v[166:167]
	;; [unrolled: 10-line block ×27, first 2 shown]
	ds_load_2addr_b64 v[166:169], v240 offset0:80 offset1:81
	s_waitcnt lgkmcnt(0)
	v_mul_f64 v[112:113], v[168:169], v[114:115]
	s_delay_alu instid0(VALU_DEP_1) | instskip(SKIP_1) | instid1(VALU_DEP_2)
	v_fma_f64 v[112:113], v[166:167], v[164:165], -v[112:113]
	v_mul_f64 v[166:167], v[166:167], v[114:115]
	v_add_f64 v[0:1], v[0:1], -v[112:113]
	s_delay_alu instid0(VALU_DEP_2) | instskip(SKIP_1) | instid1(VALU_DEP_2)
	v_fma_f64 v[166:167], v[168:169], v[164:165], v[166:167]
	v_dual_mov_b32 v112, v164 :: v_dual_mov_b32 v113, v165
	v_add_f64 v[2:3], v[2:3], -v[166:167]
.LBB81_118:
	s_or_b32 exec_lo, exec_lo, s3
	s_delay_alu instid0(SALU_CYCLE_1)
	s_mov_b32 s4, exec_lo
	s_waitcnt_vscnt null, 0x0
	s_barrier
	buffer_gl0_inv
	v_cmpx_eq_u32_e32 13, v238
	s_cbranch_execz .LBB81_125
; %bb.119:
	ds_store_2addr_b64 v239, v[108:109], v[110:111] offset1:1
	ds_store_2addr_b64 v240, v[104:105], v[106:107] offset0:28 offset1:29
	ds_store_2addr_b64 v240, v[100:101], v[102:103] offset0:30 offset1:31
	;; [unrolled: 1-line block ×27, first 2 shown]
	ds_load_2addr_b64 v[164:167], v239 offset1:1
	s_waitcnt lgkmcnt(0)
	v_cmp_neq_f64_e32 vcc_lo, 0, v[164:165]
	v_cmp_neq_f64_e64 s3, 0, v[166:167]
	s_delay_alu instid0(VALU_DEP_1) | instskip(NEXT) | instid1(SALU_CYCLE_1)
	s_or_b32 s3, vcc_lo, s3
	s_and_b32 exec_lo, exec_lo, s3
	s_cbranch_execz .LBB81_125
; %bb.120:
	v_cmp_gt_f64_e32 vcc_lo, 0, v[164:165]
	v_xor_b32_e32 v168, 0x80000000, v165
	v_xor_b32_e32 v170, 0x80000000, v167
	s_mov_b32 s3, exec_lo
                                        ; implicit-def: $vgpr172_vgpr173
	s_delay_alu instid0(VALU_DEP_2) | instskip(SKIP_4) | instid1(VALU_DEP_1)
	v_cndmask_b32_e32 v169, v165, v168, vcc_lo
	v_cndmask_b32_e32 v168, v164, v164, vcc_lo
	v_cmp_gt_f64_e32 vcc_lo, 0, v[166:167]
	v_cndmask_b32_e32 v171, v167, v170, vcc_lo
	v_cndmask_b32_e32 v170, v166, v166, vcc_lo
	v_cmpx_ngt_f64_e32 v[168:169], v[170:171]
	s_xor_b32 s3, exec_lo, s3
                                        ; implicit-def: $vgpr168_vgpr169_vgpr170_vgpr171
	s_cbranch_execz .LBB81_122
; %bb.121:
	v_div_scale_f64 v[168:169], null, v[166:167], v[166:167], v[164:165]
	v_div_scale_f64 v[174:175], vcc_lo, v[164:165], v[166:167], v[164:165]
	s_delay_alu instid0(VALU_DEP_2) | instskip(SKIP_2) | instid1(VALU_DEP_1)
	v_rcp_f64_e32 v[170:171], v[168:169]
	s_waitcnt_depctr 0xfff
	v_fma_f64 v[172:173], -v[168:169], v[170:171], 1.0
	v_fma_f64 v[170:171], v[170:171], v[172:173], v[170:171]
	s_delay_alu instid0(VALU_DEP_1) | instskip(NEXT) | instid1(VALU_DEP_1)
	v_fma_f64 v[172:173], -v[168:169], v[170:171], 1.0
	v_fma_f64 v[170:171], v[170:171], v[172:173], v[170:171]
	s_delay_alu instid0(VALU_DEP_1) | instskip(NEXT) | instid1(VALU_DEP_1)
	v_mul_f64 v[172:173], v[174:175], v[170:171]
	v_fma_f64 v[168:169], -v[168:169], v[172:173], v[174:175]
	s_delay_alu instid0(VALU_DEP_1) | instskip(NEXT) | instid1(VALU_DEP_1)
	v_div_fmas_f64 v[168:169], v[168:169], v[170:171], v[172:173]
	v_div_fixup_f64 v[168:169], v[168:169], v[166:167], v[164:165]
	s_delay_alu instid0(VALU_DEP_1) | instskip(NEXT) | instid1(VALU_DEP_1)
	v_fma_f64 v[164:165], v[164:165], v[168:169], v[166:167]
	v_div_scale_f64 v[166:167], null, v[164:165], v[164:165], 1.0
	s_delay_alu instid0(VALU_DEP_1) | instskip(SKIP_2) | instid1(VALU_DEP_1)
	v_rcp_f64_e32 v[170:171], v[166:167]
	s_waitcnt_depctr 0xfff
	v_fma_f64 v[172:173], -v[166:167], v[170:171], 1.0
	v_fma_f64 v[170:171], v[170:171], v[172:173], v[170:171]
	s_delay_alu instid0(VALU_DEP_1) | instskip(NEXT) | instid1(VALU_DEP_1)
	v_fma_f64 v[172:173], -v[166:167], v[170:171], 1.0
	v_fma_f64 v[170:171], v[170:171], v[172:173], v[170:171]
	v_div_scale_f64 v[172:173], vcc_lo, 1.0, v[164:165], 1.0
	s_delay_alu instid0(VALU_DEP_1) | instskip(NEXT) | instid1(VALU_DEP_1)
	v_mul_f64 v[174:175], v[172:173], v[170:171]
	v_fma_f64 v[166:167], -v[166:167], v[174:175], v[172:173]
	s_delay_alu instid0(VALU_DEP_1) | instskip(NEXT) | instid1(VALU_DEP_1)
	v_div_fmas_f64 v[166:167], v[166:167], v[170:171], v[174:175]
	v_div_fixup_f64 v[170:171], v[166:167], v[164:165], 1.0
                                        ; implicit-def: $vgpr164_vgpr165
	s_delay_alu instid0(VALU_DEP_1)
	v_mul_f64 v[172:173], v[168:169], v[170:171]
	v_xor_b32_e32 v171, 0x80000000, v171
.LBB81_122:
	s_and_not1_saveexec_b32 s3, s3
	s_cbranch_execz .LBB81_124
; %bb.123:
	v_div_scale_f64 v[168:169], null, v[164:165], v[164:165], v[166:167]
	v_div_scale_f64 v[174:175], vcc_lo, v[166:167], v[164:165], v[166:167]
	s_delay_alu instid0(VALU_DEP_2) | instskip(SKIP_2) | instid1(VALU_DEP_1)
	v_rcp_f64_e32 v[170:171], v[168:169]
	s_waitcnt_depctr 0xfff
	v_fma_f64 v[172:173], -v[168:169], v[170:171], 1.0
	v_fma_f64 v[170:171], v[170:171], v[172:173], v[170:171]
	s_delay_alu instid0(VALU_DEP_1) | instskip(NEXT) | instid1(VALU_DEP_1)
	v_fma_f64 v[172:173], -v[168:169], v[170:171], 1.0
	v_fma_f64 v[170:171], v[170:171], v[172:173], v[170:171]
	s_delay_alu instid0(VALU_DEP_1) | instskip(NEXT) | instid1(VALU_DEP_1)
	v_mul_f64 v[172:173], v[174:175], v[170:171]
	v_fma_f64 v[168:169], -v[168:169], v[172:173], v[174:175]
	s_delay_alu instid0(VALU_DEP_1) | instskip(NEXT) | instid1(VALU_DEP_1)
	v_div_fmas_f64 v[168:169], v[168:169], v[170:171], v[172:173]
	v_div_fixup_f64 v[168:169], v[168:169], v[164:165], v[166:167]
	s_delay_alu instid0(VALU_DEP_1) | instskip(NEXT) | instid1(VALU_DEP_1)
	v_fma_f64 v[164:165], v[166:167], v[168:169], v[164:165]
	v_div_scale_f64 v[166:167], null, v[164:165], v[164:165], 1.0
	s_delay_alu instid0(VALU_DEP_1) | instskip(SKIP_2) | instid1(VALU_DEP_1)
	v_rcp_f64_e32 v[170:171], v[166:167]
	s_waitcnt_depctr 0xfff
	v_fma_f64 v[172:173], -v[166:167], v[170:171], 1.0
	v_fma_f64 v[170:171], v[170:171], v[172:173], v[170:171]
	s_delay_alu instid0(VALU_DEP_1) | instskip(NEXT) | instid1(VALU_DEP_1)
	v_fma_f64 v[172:173], -v[166:167], v[170:171], 1.0
	v_fma_f64 v[170:171], v[170:171], v[172:173], v[170:171]
	v_div_scale_f64 v[172:173], vcc_lo, 1.0, v[164:165], 1.0
	s_delay_alu instid0(VALU_DEP_1) | instskip(NEXT) | instid1(VALU_DEP_1)
	v_mul_f64 v[174:175], v[172:173], v[170:171]
	v_fma_f64 v[166:167], -v[166:167], v[174:175], v[172:173]
	s_delay_alu instid0(VALU_DEP_1) | instskip(NEXT) | instid1(VALU_DEP_1)
	v_div_fmas_f64 v[166:167], v[166:167], v[170:171], v[174:175]
	v_div_fixup_f64 v[172:173], v[166:167], v[164:165], 1.0
	s_delay_alu instid0(VALU_DEP_1)
	v_mul_f64 v[170:171], v[168:169], -v[172:173]
.LBB81_124:
	s_or_b32 exec_lo, exec_lo, s3
	ds_store_2addr_b64 v239, v[172:173], v[170:171] offset1:1
.LBB81_125:
	s_or_b32 exec_lo, exec_lo, s4
	s_waitcnt lgkmcnt(0)
	s_barrier
	buffer_gl0_inv
	ds_load_2addr_b64 v[164:167], v239 offset1:1
	s_mov_b32 s3, exec_lo
	s_waitcnt lgkmcnt(0)
	scratch_store_b128 off, v[164:167], off offset:488 ; 16-byte Folded Spill
	v_cmpx_lt_u32_e32 13, v238
	s_cbranch_execz .LBB81_127
; %bb.126:
	scratch_load_b128 v[166:169], off, off offset:488 ; 16-byte Folded Reload
	s_waitcnt vmcnt(0)
	v_mul_f64 v[164:165], v[168:169], v[110:111]
	v_mul_f64 v[110:111], v[166:167], v[110:111]
	s_delay_alu instid0(VALU_DEP_2) | instskip(NEXT) | instid1(VALU_DEP_2)
	v_fma_f64 v[164:165], v[166:167], v[108:109], -v[164:165]
	v_fma_f64 v[110:111], v[168:169], v[108:109], v[110:111]
	ds_load_2addr_b64 v[166:169], v240 offset0:28 offset1:29
	s_waitcnt lgkmcnt(0)
	v_mul_f64 v[108:109], v[168:169], v[110:111]
	s_delay_alu instid0(VALU_DEP_1) | instskip(SKIP_1) | instid1(VALU_DEP_2)
	v_fma_f64 v[108:109], v[166:167], v[164:165], -v[108:109]
	v_mul_f64 v[166:167], v[166:167], v[110:111]
	v_add_f64 v[104:105], v[104:105], -v[108:109]
	s_delay_alu instid0(VALU_DEP_2) | instskip(NEXT) | instid1(VALU_DEP_1)
	v_fma_f64 v[166:167], v[168:169], v[164:165], v[166:167]
	v_add_f64 v[106:107], v[106:107], -v[166:167]
	ds_load_2addr_b64 v[166:169], v240 offset0:30 offset1:31
	s_waitcnt lgkmcnt(0)
	v_mul_f64 v[108:109], v[168:169], v[110:111]
	s_delay_alu instid0(VALU_DEP_1) | instskip(SKIP_1) | instid1(VALU_DEP_2)
	v_fma_f64 v[108:109], v[166:167], v[164:165], -v[108:109]
	v_mul_f64 v[166:167], v[166:167], v[110:111]
	v_add_f64 v[100:101], v[100:101], -v[108:109]
	s_delay_alu instid0(VALU_DEP_2) | instskip(NEXT) | instid1(VALU_DEP_1)
	v_fma_f64 v[166:167], v[168:169], v[164:165], v[166:167]
	v_add_f64 v[102:103], v[102:103], -v[166:167]
	;; [unrolled: 10-line block ×26, first 2 shown]
	ds_load_2addr_b64 v[166:169], v240 offset0:80 offset1:81
	s_waitcnt lgkmcnt(0)
	v_mul_f64 v[108:109], v[168:169], v[110:111]
	s_delay_alu instid0(VALU_DEP_1) | instskip(SKIP_1) | instid1(VALU_DEP_2)
	v_fma_f64 v[108:109], v[166:167], v[164:165], -v[108:109]
	v_mul_f64 v[166:167], v[166:167], v[110:111]
	v_add_f64 v[0:1], v[0:1], -v[108:109]
	s_delay_alu instid0(VALU_DEP_2) | instskip(SKIP_1) | instid1(VALU_DEP_2)
	v_fma_f64 v[166:167], v[168:169], v[164:165], v[166:167]
	v_dual_mov_b32 v108, v164 :: v_dual_mov_b32 v109, v165
	v_add_f64 v[2:3], v[2:3], -v[166:167]
.LBB81_127:
	s_or_b32 exec_lo, exec_lo, s3
	s_delay_alu instid0(SALU_CYCLE_1)
	s_mov_b32 s4, exec_lo
	s_waitcnt_vscnt null, 0x0
	s_barrier
	buffer_gl0_inv
	v_cmpx_eq_u32_e32 14, v238
	s_cbranch_execz .LBB81_134
; %bb.128:
	ds_store_2addr_b64 v239, v[104:105], v[106:107] offset1:1
	ds_store_2addr_b64 v240, v[100:101], v[102:103] offset0:30 offset1:31
	ds_store_2addr_b64 v240, v[96:97], v[98:99] offset0:32 offset1:33
	;; [unrolled: 1-line block ×26, first 2 shown]
	ds_load_2addr_b64 v[164:167], v239 offset1:1
	s_waitcnt lgkmcnt(0)
	v_cmp_neq_f64_e32 vcc_lo, 0, v[164:165]
	v_cmp_neq_f64_e64 s3, 0, v[166:167]
	s_delay_alu instid0(VALU_DEP_1) | instskip(NEXT) | instid1(SALU_CYCLE_1)
	s_or_b32 s3, vcc_lo, s3
	s_and_b32 exec_lo, exec_lo, s3
	s_cbranch_execz .LBB81_134
; %bb.129:
	v_cmp_gt_f64_e32 vcc_lo, 0, v[164:165]
	v_xor_b32_e32 v168, 0x80000000, v165
	v_xor_b32_e32 v170, 0x80000000, v167
	s_mov_b32 s3, exec_lo
                                        ; implicit-def: $vgpr172_vgpr173
	s_delay_alu instid0(VALU_DEP_2) | instskip(SKIP_4) | instid1(VALU_DEP_1)
	v_cndmask_b32_e32 v169, v165, v168, vcc_lo
	v_cndmask_b32_e32 v168, v164, v164, vcc_lo
	v_cmp_gt_f64_e32 vcc_lo, 0, v[166:167]
	v_cndmask_b32_e32 v171, v167, v170, vcc_lo
	v_cndmask_b32_e32 v170, v166, v166, vcc_lo
	v_cmpx_ngt_f64_e32 v[168:169], v[170:171]
	s_xor_b32 s3, exec_lo, s3
                                        ; implicit-def: $vgpr168_vgpr169_vgpr170_vgpr171
	s_cbranch_execz .LBB81_131
; %bb.130:
	v_div_scale_f64 v[168:169], null, v[166:167], v[166:167], v[164:165]
	v_div_scale_f64 v[174:175], vcc_lo, v[164:165], v[166:167], v[164:165]
	s_delay_alu instid0(VALU_DEP_2) | instskip(SKIP_2) | instid1(VALU_DEP_1)
	v_rcp_f64_e32 v[170:171], v[168:169]
	s_waitcnt_depctr 0xfff
	v_fma_f64 v[172:173], -v[168:169], v[170:171], 1.0
	v_fma_f64 v[170:171], v[170:171], v[172:173], v[170:171]
	s_delay_alu instid0(VALU_DEP_1) | instskip(NEXT) | instid1(VALU_DEP_1)
	v_fma_f64 v[172:173], -v[168:169], v[170:171], 1.0
	v_fma_f64 v[170:171], v[170:171], v[172:173], v[170:171]
	s_delay_alu instid0(VALU_DEP_1) | instskip(NEXT) | instid1(VALU_DEP_1)
	v_mul_f64 v[172:173], v[174:175], v[170:171]
	v_fma_f64 v[168:169], -v[168:169], v[172:173], v[174:175]
	s_delay_alu instid0(VALU_DEP_1) | instskip(NEXT) | instid1(VALU_DEP_1)
	v_div_fmas_f64 v[168:169], v[168:169], v[170:171], v[172:173]
	v_div_fixup_f64 v[168:169], v[168:169], v[166:167], v[164:165]
	s_delay_alu instid0(VALU_DEP_1) | instskip(NEXT) | instid1(VALU_DEP_1)
	v_fma_f64 v[164:165], v[164:165], v[168:169], v[166:167]
	v_div_scale_f64 v[166:167], null, v[164:165], v[164:165], 1.0
	s_delay_alu instid0(VALU_DEP_1) | instskip(SKIP_2) | instid1(VALU_DEP_1)
	v_rcp_f64_e32 v[170:171], v[166:167]
	s_waitcnt_depctr 0xfff
	v_fma_f64 v[172:173], -v[166:167], v[170:171], 1.0
	v_fma_f64 v[170:171], v[170:171], v[172:173], v[170:171]
	s_delay_alu instid0(VALU_DEP_1) | instskip(NEXT) | instid1(VALU_DEP_1)
	v_fma_f64 v[172:173], -v[166:167], v[170:171], 1.0
	v_fma_f64 v[170:171], v[170:171], v[172:173], v[170:171]
	v_div_scale_f64 v[172:173], vcc_lo, 1.0, v[164:165], 1.0
	s_delay_alu instid0(VALU_DEP_1) | instskip(NEXT) | instid1(VALU_DEP_1)
	v_mul_f64 v[174:175], v[172:173], v[170:171]
	v_fma_f64 v[166:167], -v[166:167], v[174:175], v[172:173]
	s_delay_alu instid0(VALU_DEP_1) | instskip(NEXT) | instid1(VALU_DEP_1)
	v_div_fmas_f64 v[166:167], v[166:167], v[170:171], v[174:175]
	v_div_fixup_f64 v[170:171], v[166:167], v[164:165], 1.0
                                        ; implicit-def: $vgpr164_vgpr165
	s_delay_alu instid0(VALU_DEP_1)
	v_mul_f64 v[172:173], v[168:169], v[170:171]
	v_xor_b32_e32 v171, 0x80000000, v171
.LBB81_131:
	s_and_not1_saveexec_b32 s3, s3
	s_cbranch_execz .LBB81_133
; %bb.132:
	v_div_scale_f64 v[168:169], null, v[164:165], v[164:165], v[166:167]
	v_div_scale_f64 v[174:175], vcc_lo, v[166:167], v[164:165], v[166:167]
	s_delay_alu instid0(VALU_DEP_2) | instskip(SKIP_2) | instid1(VALU_DEP_1)
	v_rcp_f64_e32 v[170:171], v[168:169]
	s_waitcnt_depctr 0xfff
	v_fma_f64 v[172:173], -v[168:169], v[170:171], 1.0
	v_fma_f64 v[170:171], v[170:171], v[172:173], v[170:171]
	s_delay_alu instid0(VALU_DEP_1) | instskip(NEXT) | instid1(VALU_DEP_1)
	v_fma_f64 v[172:173], -v[168:169], v[170:171], 1.0
	v_fma_f64 v[170:171], v[170:171], v[172:173], v[170:171]
	s_delay_alu instid0(VALU_DEP_1) | instskip(NEXT) | instid1(VALU_DEP_1)
	v_mul_f64 v[172:173], v[174:175], v[170:171]
	v_fma_f64 v[168:169], -v[168:169], v[172:173], v[174:175]
	s_delay_alu instid0(VALU_DEP_1) | instskip(NEXT) | instid1(VALU_DEP_1)
	v_div_fmas_f64 v[168:169], v[168:169], v[170:171], v[172:173]
	v_div_fixup_f64 v[168:169], v[168:169], v[164:165], v[166:167]
	s_delay_alu instid0(VALU_DEP_1) | instskip(NEXT) | instid1(VALU_DEP_1)
	v_fma_f64 v[164:165], v[166:167], v[168:169], v[164:165]
	v_div_scale_f64 v[166:167], null, v[164:165], v[164:165], 1.0
	s_delay_alu instid0(VALU_DEP_1) | instskip(SKIP_2) | instid1(VALU_DEP_1)
	v_rcp_f64_e32 v[170:171], v[166:167]
	s_waitcnt_depctr 0xfff
	v_fma_f64 v[172:173], -v[166:167], v[170:171], 1.0
	v_fma_f64 v[170:171], v[170:171], v[172:173], v[170:171]
	s_delay_alu instid0(VALU_DEP_1) | instskip(NEXT) | instid1(VALU_DEP_1)
	v_fma_f64 v[172:173], -v[166:167], v[170:171], 1.0
	v_fma_f64 v[170:171], v[170:171], v[172:173], v[170:171]
	v_div_scale_f64 v[172:173], vcc_lo, 1.0, v[164:165], 1.0
	s_delay_alu instid0(VALU_DEP_1) | instskip(NEXT) | instid1(VALU_DEP_1)
	v_mul_f64 v[174:175], v[172:173], v[170:171]
	v_fma_f64 v[166:167], -v[166:167], v[174:175], v[172:173]
	s_delay_alu instid0(VALU_DEP_1) | instskip(NEXT) | instid1(VALU_DEP_1)
	v_div_fmas_f64 v[166:167], v[166:167], v[170:171], v[174:175]
	v_div_fixup_f64 v[172:173], v[166:167], v[164:165], 1.0
	s_delay_alu instid0(VALU_DEP_1)
	v_mul_f64 v[170:171], v[168:169], -v[172:173]
.LBB81_133:
	s_or_b32 exec_lo, exec_lo, s3
	ds_store_2addr_b64 v239, v[172:173], v[170:171] offset1:1
.LBB81_134:
	s_or_b32 exec_lo, exec_lo, s4
	s_waitcnt lgkmcnt(0)
	s_barrier
	buffer_gl0_inv
	ds_load_2addr_b64 v[164:167], v239 offset1:1
	s_mov_b32 s3, exec_lo
	s_waitcnt lgkmcnt(0)
	scratch_store_b128 off, v[164:167], off offset:504 ; 16-byte Folded Spill
	v_cmpx_lt_u32_e32 14, v238
	s_cbranch_execz .LBB81_136
; %bb.135:
	scratch_load_b128 v[166:169], off, off offset:504 ; 16-byte Folded Reload
	s_waitcnt vmcnt(0)
	v_mul_f64 v[164:165], v[168:169], v[106:107]
	v_mul_f64 v[106:107], v[166:167], v[106:107]
	s_delay_alu instid0(VALU_DEP_2) | instskip(NEXT) | instid1(VALU_DEP_2)
	v_fma_f64 v[164:165], v[166:167], v[104:105], -v[164:165]
	v_fma_f64 v[106:107], v[168:169], v[104:105], v[106:107]
	ds_load_2addr_b64 v[166:169], v240 offset0:30 offset1:31
	s_waitcnt lgkmcnt(0)
	v_mul_f64 v[104:105], v[168:169], v[106:107]
	s_delay_alu instid0(VALU_DEP_1) | instskip(SKIP_1) | instid1(VALU_DEP_2)
	v_fma_f64 v[104:105], v[166:167], v[164:165], -v[104:105]
	v_mul_f64 v[166:167], v[166:167], v[106:107]
	v_add_f64 v[100:101], v[100:101], -v[104:105]
	s_delay_alu instid0(VALU_DEP_2) | instskip(NEXT) | instid1(VALU_DEP_1)
	v_fma_f64 v[166:167], v[168:169], v[164:165], v[166:167]
	v_add_f64 v[102:103], v[102:103], -v[166:167]
	ds_load_2addr_b64 v[166:169], v240 offset0:32 offset1:33
	s_waitcnt lgkmcnt(0)
	v_mul_f64 v[104:105], v[168:169], v[106:107]
	s_delay_alu instid0(VALU_DEP_1) | instskip(SKIP_1) | instid1(VALU_DEP_2)
	v_fma_f64 v[104:105], v[166:167], v[164:165], -v[104:105]
	v_mul_f64 v[166:167], v[166:167], v[106:107]
	v_add_f64 v[96:97], v[96:97], -v[104:105]
	s_delay_alu instid0(VALU_DEP_2) | instskip(NEXT) | instid1(VALU_DEP_1)
	v_fma_f64 v[166:167], v[168:169], v[164:165], v[166:167]
	v_add_f64 v[98:99], v[98:99], -v[166:167]
	;; [unrolled: 10-line block ×25, first 2 shown]
	ds_load_2addr_b64 v[166:169], v240 offset0:80 offset1:81
	s_waitcnt lgkmcnt(0)
	v_mul_f64 v[104:105], v[168:169], v[106:107]
	s_delay_alu instid0(VALU_DEP_1) | instskip(SKIP_1) | instid1(VALU_DEP_2)
	v_fma_f64 v[104:105], v[166:167], v[164:165], -v[104:105]
	v_mul_f64 v[166:167], v[166:167], v[106:107]
	v_add_f64 v[0:1], v[0:1], -v[104:105]
	s_delay_alu instid0(VALU_DEP_2) | instskip(SKIP_1) | instid1(VALU_DEP_2)
	v_fma_f64 v[166:167], v[168:169], v[164:165], v[166:167]
	v_dual_mov_b32 v104, v164 :: v_dual_mov_b32 v105, v165
	v_add_f64 v[2:3], v[2:3], -v[166:167]
.LBB81_136:
	s_or_b32 exec_lo, exec_lo, s3
	s_delay_alu instid0(SALU_CYCLE_1)
	s_mov_b32 s4, exec_lo
	s_waitcnt_vscnt null, 0x0
	s_barrier
	buffer_gl0_inv
	v_cmpx_eq_u32_e32 15, v238
	s_cbranch_execz .LBB81_143
; %bb.137:
	ds_store_2addr_b64 v239, v[100:101], v[102:103] offset1:1
	ds_store_2addr_b64 v240, v[96:97], v[98:99] offset0:32 offset1:33
	ds_store_2addr_b64 v240, v[92:93], v[94:95] offset0:34 offset1:35
	;; [unrolled: 1-line block ×25, first 2 shown]
	ds_load_2addr_b64 v[164:167], v239 offset1:1
	s_waitcnt lgkmcnt(0)
	v_cmp_neq_f64_e32 vcc_lo, 0, v[164:165]
	v_cmp_neq_f64_e64 s3, 0, v[166:167]
	s_delay_alu instid0(VALU_DEP_1) | instskip(NEXT) | instid1(SALU_CYCLE_1)
	s_or_b32 s3, vcc_lo, s3
	s_and_b32 exec_lo, exec_lo, s3
	s_cbranch_execz .LBB81_143
; %bb.138:
	v_cmp_gt_f64_e32 vcc_lo, 0, v[164:165]
	v_xor_b32_e32 v168, 0x80000000, v165
	v_xor_b32_e32 v170, 0x80000000, v167
	s_mov_b32 s3, exec_lo
                                        ; implicit-def: $vgpr172_vgpr173
	s_delay_alu instid0(VALU_DEP_2) | instskip(SKIP_4) | instid1(VALU_DEP_1)
	v_cndmask_b32_e32 v169, v165, v168, vcc_lo
	v_cndmask_b32_e32 v168, v164, v164, vcc_lo
	v_cmp_gt_f64_e32 vcc_lo, 0, v[166:167]
	v_cndmask_b32_e32 v171, v167, v170, vcc_lo
	v_cndmask_b32_e32 v170, v166, v166, vcc_lo
	v_cmpx_ngt_f64_e32 v[168:169], v[170:171]
	s_xor_b32 s3, exec_lo, s3
                                        ; implicit-def: $vgpr168_vgpr169_vgpr170_vgpr171
	s_cbranch_execz .LBB81_140
; %bb.139:
	v_div_scale_f64 v[168:169], null, v[166:167], v[166:167], v[164:165]
	v_div_scale_f64 v[174:175], vcc_lo, v[164:165], v[166:167], v[164:165]
	s_delay_alu instid0(VALU_DEP_2) | instskip(SKIP_2) | instid1(VALU_DEP_1)
	v_rcp_f64_e32 v[170:171], v[168:169]
	s_waitcnt_depctr 0xfff
	v_fma_f64 v[172:173], -v[168:169], v[170:171], 1.0
	v_fma_f64 v[170:171], v[170:171], v[172:173], v[170:171]
	s_delay_alu instid0(VALU_DEP_1) | instskip(NEXT) | instid1(VALU_DEP_1)
	v_fma_f64 v[172:173], -v[168:169], v[170:171], 1.0
	v_fma_f64 v[170:171], v[170:171], v[172:173], v[170:171]
	s_delay_alu instid0(VALU_DEP_1) | instskip(NEXT) | instid1(VALU_DEP_1)
	v_mul_f64 v[172:173], v[174:175], v[170:171]
	v_fma_f64 v[168:169], -v[168:169], v[172:173], v[174:175]
	s_delay_alu instid0(VALU_DEP_1) | instskip(NEXT) | instid1(VALU_DEP_1)
	v_div_fmas_f64 v[168:169], v[168:169], v[170:171], v[172:173]
	v_div_fixup_f64 v[168:169], v[168:169], v[166:167], v[164:165]
	s_delay_alu instid0(VALU_DEP_1) | instskip(NEXT) | instid1(VALU_DEP_1)
	v_fma_f64 v[164:165], v[164:165], v[168:169], v[166:167]
	v_div_scale_f64 v[166:167], null, v[164:165], v[164:165], 1.0
	s_delay_alu instid0(VALU_DEP_1) | instskip(SKIP_2) | instid1(VALU_DEP_1)
	v_rcp_f64_e32 v[170:171], v[166:167]
	s_waitcnt_depctr 0xfff
	v_fma_f64 v[172:173], -v[166:167], v[170:171], 1.0
	v_fma_f64 v[170:171], v[170:171], v[172:173], v[170:171]
	s_delay_alu instid0(VALU_DEP_1) | instskip(NEXT) | instid1(VALU_DEP_1)
	v_fma_f64 v[172:173], -v[166:167], v[170:171], 1.0
	v_fma_f64 v[170:171], v[170:171], v[172:173], v[170:171]
	v_div_scale_f64 v[172:173], vcc_lo, 1.0, v[164:165], 1.0
	s_delay_alu instid0(VALU_DEP_1) | instskip(NEXT) | instid1(VALU_DEP_1)
	v_mul_f64 v[174:175], v[172:173], v[170:171]
	v_fma_f64 v[166:167], -v[166:167], v[174:175], v[172:173]
	s_delay_alu instid0(VALU_DEP_1) | instskip(NEXT) | instid1(VALU_DEP_1)
	v_div_fmas_f64 v[166:167], v[166:167], v[170:171], v[174:175]
	v_div_fixup_f64 v[170:171], v[166:167], v[164:165], 1.0
                                        ; implicit-def: $vgpr164_vgpr165
	s_delay_alu instid0(VALU_DEP_1)
	v_mul_f64 v[172:173], v[168:169], v[170:171]
	v_xor_b32_e32 v171, 0x80000000, v171
.LBB81_140:
	s_and_not1_saveexec_b32 s3, s3
	s_cbranch_execz .LBB81_142
; %bb.141:
	v_div_scale_f64 v[168:169], null, v[164:165], v[164:165], v[166:167]
	v_div_scale_f64 v[174:175], vcc_lo, v[166:167], v[164:165], v[166:167]
	s_delay_alu instid0(VALU_DEP_2) | instskip(SKIP_2) | instid1(VALU_DEP_1)
	v_rcp_f64_e32 v[170:171], v[168:169]
	s_waitcnt_depctr 0xfff
	v_fma_f64 v[172:173], -v[168:169], v[170:171], 1.0
	v_fma_f64 v[170:171], v[170:171], v[172:173], v[170:171]
	s_delay_alu instid0(VALU_DEP_1) | instskip(NEXT) | instid1(VALU_DEP_1)
	v_fma_f64 v[172:173], -v[168:169], v[170:171], 1.0
	v_fma_f64 v[170:171], v[170:171], v[172:173], v[170:171]
	s_delay_alu instid0(VALU_DEP_1) | instskip(NEXT) | instid1(VALU_DEP_1)
	v_mul_f64 v[172:173], v[174:175], v[170:171]
	v_fma_f64 v[168:169], -v[168:169], v[172:173], v[174:175]
	s_delay_alu instid0(VALU_DEP_1) | instskip(NEXT) | instid1(VALU_DEP_1)
	v_div_fmas_f64 v[168:169], v[168:169], v[170:171], v[172:173]
	v_div_fixup_f64 v[168:169], v[168:169], v[164:165], v[166:167]
	s_delay_alu instid0(VALU_DEP_1) | instskip(NEXT) | instid1(VALU_DEP_1)
	v_fma_f64 v[164:165], v[166:167], v[168:169], v[164:165]
	v_div_scale_f64 v[166:167], null, v[164:165], v[164:165], 1.0
	s_delay_alu instid0(VALU_DEP_1) | instskip(SKIP_2) | instid1(VALU_DEP_1)
	v_rcp_f64_e32 v[170:171], v[166:167]
	s_waitcnt_depctr 0xfff
	v_fma_f64 v[172:173], -v[166:167], v[170:171], 1.0
	v_fma_f64 v[170:171], v[170:171], v[172:173], v[170:171]
	s_delay_alu instid0(VALU_DEP_1) | instskip(NEXT) | instid1(VALU_DEP_1)
	v_fma_f64 v[172:173], -v[166:167], v[170:171], 1.0
	v_fma_f64 v[170:171], v[170:171], v[172:173], v[170:171]
	v_div_scale_f64 v[172:173], vcc_lo, 1.0, v[164:165], 1.0
	s_delay_alu instid0(VALU_DEP_1) | instskip(NEXT) | instid1(VALU_DEP_1)
	v_mul_f64 v[174:175], v[172:173], v[170:171]
	v_fma_f64 v[166:167], -v[166:167], v[174:175], v[172:173]
	s_delay_alu instid0(VALU_DEP_1) | instskip(NEXT) | instid1(VALU_DEP_1)
	v_div_fmas_f64 v[166:167], v[166:167], v[170:171], v[174:175]
	v_div_fixup_f64 v[172:173], v[166:167], v[164:165], 1.0
	s_delay_alu instid0(VALU_DEP_1)
	v_mul_f64 v[170:171], v[168:169], -v[172:173]
.LBB81_142:
	s_or_b32 exec_lo, exec_lo, s3
	ds_store_2addr_b64 v239, v[172:173], v[170:171] offset1:1
.LBB81_143:
	s_or_b32 exec_lo, exec_lo, s4
	s_waitcnt lgkmcnt(0)
	s_barrier
	buffer_gl0_inv
	ds_load_2addr_b64 v[164:167], v239 offset1:1
	s_mov_b32 s3, exec_lo
	s_waitcnt lgkmcnt(0)
	scratch_store_b128 off, v[164:167], off offset:520 ; 16-byte Folded Spill
	v_cmpx_lt_u32_e32 15, v238
	s_cbranch_execz .LBB81_145
; %bb.144:
	scratch_load_b128 v[166:169], off, off offset:520 ; 16-byte Folded Reload
	s_waitcnt vmcnt(0)
	v_mul_f64 v[164:165], v[168:169], v[102:103]
	v_mul_f64 v[102:103], v[166:167], v[102:103]
	s_delay_alu instid0(VALU_DEP_2) | instskip(NEXT) | instid1(VALU_DEP_2)
	v_fma_f64 v[164:165], v[166:167], v[100:101], -v[164:165]
	v_fma_f64 v[102:103], v[168:169], v[100:101], v[102:103]
	ds_load_2addr_b64 v[166:169], v240 offset0:32 offset1:33
	s_waitcnt lgkmcnt(0)
	v_mul_f64 v[100:101], v[168:169], v[102:103]
	s_delay_alu instid0(VALU_DEP_1) | instskip(SKIP_1) | instid1(VALU_DEP_2)
	v_fma_f64 v[100:101], v[166:167], v[164:165], -v[100:101]
	v_mul_f64 v[166:167], v[166:167], v[102:103]
	v_add_f64 v[96:97], v[96:97], -v[100:101]
	s_delay_alu instid0(VALU_DEP_2) | instskip(NEXT) | instid1(VALU_DEP_1)
	v_fma_f64 v[166:167], v[168:169], v[164:165], v[166:167]
	v_add_f64 v[98:99], v[98:99], -v[166:167]
	ds_load_2addr_b64 v[166:169], v240 offset0:34 offset1:35
	s_waitcnt lgkmcnt(0)
	v_mul_f64 v[100:101], v[168:169], v[102:103]
	s_delay_alu instid0(VALU_DEP_1) | instskip(SKIP_1) | instid1(VALU_DEP_2)
	v_fma_f64 v[100:101], v[166:167], v[164:165], -v[100:101]
	v_mul_f64 v[166:167], v[166:167], v[102:103]
	v_add_f64 v[92:93], v[92:93], -v[100:101]
	s_delay_alu instid0(VALU_DEP_2) | instskip(NEXT) | instid1(VALU_DEP_1)
	v_fma_f64 v[166:167], v[168:169], v[164:165], v[166:167]
	v_add_f64 v[94:95], v[94:95], -v[166:167]
	ds_load_2addr_b64 v[166:169], v240 offset0:36 offset1:37
	s_waitcnt lgkmcnt(0)
	v_mul_f64 v[100:101], v[168:169], v[102:103]
	s_delay_alu instid0(VALU_DEP_1) | instskip(SKIP_1) | instid1(VALU_DEP_2)
	v_fma_f64 v[100:101], v[166:167], v[164:165], -v[100:101]
	v_mul_f64 v[166:167], v[166:167], v[102:103]
	v_add_f64 v[88:89], v[88:89], -v[100:101]
	s_delay_alu instid0(VALU_DEP_2) | instskip(NEXT) | instid1(VALU_DEP_1)
	v_fma_f64 v[166:167], v[168:169], v[164:165], v[166:167]
	v_add_f64 v[90:91], v[90:91], -v[166:167]
	ds_load_2addr_b64 v[166:169], v240 offset0:38 offset1:39
	s_waitcnt lgkmcnt(0)
	v_mul_f64 v[100:101], v[168:169], v[102:103]
	s_delay_alu instid0(VALU_DEP_1) | instskip(SKIP_1) | instid1(VALU_DEP_2)
	v_fma_f64 v[100:101], v[166:167], v[164:165], -v[100:101]
	v_mul_f64 v[166:167], v[166:167], v[102:103]
	v_add_f64 v[84:85], v[84:85], -v[100:101]
	s_delay_alu instid0(VALU_DEP_2) | instskip(NEXT) | instid1(VALU_DEP_1)
	v_fma_f64 v[166:167], v[168:169], v[164:165], v[166:167]
	v_add_f64 v[86:87], v[86:87], -v[166:167]
	ds_load_2addr_b64 v[166:169], v240 offset0:40 offset1:41
	s_waitcnt lgkmcnt(0)
	v_mul_f64 v[100:101], v[168:169], v[102:103]
	s_delay_alu instid0(VALU_DEP_1) | instskip(SKIP_1) | instid1(VALU_DEP_2)
	v_fma_f64 v[100:101], v[166:167], v[164:165], -v[100:101]
	v_mul_f64 v[166:167], v[166:167], v[102:103]
	v_add_f64 v[80:81], v[80:81], -v[100:101]
	s_delay_alu instid0(VALU_DEP_2) | instskip(NEXT) | instid1(VALU_DEP_1)
	v_fma_f64 v[166:167], v[168:169], v[164:165], v[166:167]
	v_add_f64 v[82:83], v[82:83], -v[166:167]
	ds_load_2addr_b64 v[166:169], v240 offset0:42 offset1:43
	s_waitcnt lgkmcnt(0)
	v_mul_f64 v[100:101], v[168:169], v[102:103]
	s_delay_alu instid0(VALU_DEP_1) | instskip(SKIP_1) | instid1(VALU_DEP_2)
	v_fma_f64 v[100:101], v[166:167], v[164:165], -v[100:101]
	v_mul_f64 v[166:167], v[166:167], v[102:103]
	v_add_f64 v[76:77], v[76:77], -v[100:101]
	s_delay_alu instid0(VALU_DEP_2) | instskip(NEXT) | instid1(VALU_DEP_1)
	v_fma_f64 v[166:167], v[168:169], v[164:165], v[166:167]
	v_add_f64 v[78:79], v[78:79], -v[166:167]
	ds_load_2addr_b64 v[166:169], v240 offset0:44 offset1:45
	s_waitcnt lgkmcnt(0)
	v_mul_f64 v[100:101], v[168:169], v[102:103]
	s_delay_alu instid0(VALU_DEP_1) | instskip(SKIP_1) | instid1(VALU_DEP_2)
	v_fma_f64 v[100:101], v[166:167], v[164:165], -v[100:101]
	v_mul_f64 v[166:167], v[166:167], v[102:103]
	v_add_f64 v[72:73], v[72:73], -v[100:101]
	s_delay_alu instid0(VALU_DEP_2) | instskip(NEXT) | instid1(VALU_DEP_1)
	v_fma_f64 v[166:167], v[168:169], v[164:165], v[166:167]
	v_add_f64 v[74:75], v[74:75], -v[166:167]
	ds_load_2addr_b64 v[166:169], v240 offset0:46 offset1:47
	s_waitcnt lgkmcnt(0)
	v_mul_f64 v[100:101], v[168:169], v[102:103]
	s_delay_alu instid0(VALU_DEP_1) | instskip(SKIP_1) | instid1(VALU_DEP_2)
	v_fma_f64 v[100:101], v[166:167], v[164:165], -v[100:101]
	v_mul_f64 v[166:167], v[166:167], v[102:103]
	v_add_f64 v[68:69], v[68:69], -v[100:101]
	s_delay_alu instid0(VALU_DEP_2) | instskip(NEXT) | instid1(VALU_DEP_1)
	v_fma_f64 v[166:167], v[168:169], v[164:165], v[166:167]
	v_add_f64 v[70:71], v[70:71], -v[166:167]
	ds_load_2addr_b64 v[166:169], v240 offset0:48 offset1:49
	s_waitcnt lgkmcnt(0)
	v_mul_f64 v[100:101], v[168:169], v[102:103]
	s_delay_alu instid0(VALU_DEP_1) | instskip(SKIP_1) | instid1(VALU_DEP_2)
	v_fma_f64 v[100:101], v[166:167], v[164:165], -v[100:101]
	v_mul_f64 v[166:167], v[166:167], v[102:103]
	v_add_f64 v[64:65], v[64:65], -v[100:101]
	s_delay_alu instid0(VALU_DEP_2) | instskip(NEXT) | instid1(VALU_DEP_1)
	v_fma_f64 v[166:167], v[168:169], v[164:165], v[166:167]
	v_add_f64 v[66:67], v[66:67], -v[166:167]
	ds_load_2addr_b64 v[166:169], v240 offset0:50 offset1:51
	s_waitcnt lgkmcnt(0)
	v_mul_f64 v[100:101], v[168:169], v[102:103]
	s_delay_alu instid0(VALU_DEP_1) | instskip(SKIP_1) | instid1(VALU_DEP_2)
	v_fma_f64 v[100:101], v[166:167], v[164:165], -v[100:101]
	v_mul_f64 v[166:167], v[166:167], v[102:103]
	v_add_f64 v[60:61], v[60:61], -v[100:101]
	s_delay_alu instid0(VALU_DEP_2) | instskip(NEXT) | instid1(VALU_DEP_1)
	v_fma_f64 v[166:167], v[168:169], v[164:165], v[166:167]
	v_add_f64 v[62:63], v[62:63], -v[166:167]
	ds_load_2addr_b64 v[166:169], v240 offset0:52 offset1:53
	s_waitcnt lgkmcnt(0)
	v_mul_f64 v[100:101], v[168:169], v[102:103]
	s_delay_alu instid0(VALU_DEP_1) | instskip(SKIP_1) | instid1(VALU_DEP_2)
	v_fma_f64 v[100:101], v[166:167], v[164:165], -v[100:101]
	v_mul_f64 v[166:167], v[166:167], v[102:103]
	v_add_f64 v[56:57], v[56:57], -v[100:101]
	s_delay_alu instid0(VALU_DEP_2) | instskip(NEXT) | instid1(VALU_DEP_1)
	v_fma_f64 v[166:167], v[168:169], v[164:165], v[166:167]
	v_add_f64 v[58:59], v[58:59], -v[166:167]
	ds_load_2addr_b64 v[166:169], v240 offset0:54 offset1:55
	s_waitcnt lgkmcnt(0)
	v_mul_f64 v[100:101], v[168:169], v[102:103]
	s_delay_alu instid0(VALU_DEP_1) | instskip(SKIP_1) | instid1(VALU_DEP_2)
	v_fma_f64 v[100:101], v[166:167], v[164:165], -v[100:101]
	v_mul_f64 v[166:167], v[166:167], v[102:103]
	v_add_f64 v[52:53], v[52:53], -v[100:101]
	s_delay_alu instid0(VALU_DEP_2) | instskip(NEXT) | instid1(VALU_DEP_1)
	v_fma_f64 v[166:167], v[168:169], v[164:165], v[166:167]
	v_add_f64 v[54:55], v[54:55], -v[166:167]
	ds_load_2addr_b64 v[166:169], v240 offset0:56 offset1:57
	s_waitcnt lgkmcnt(0)
	v_mul_f64 v[100:101], v[168:169], v[102:103]
	s_delay_alu instid0(VALU_DEP_1) | instskip(SKIP_1) | instid1(VALU_DEP_2)
	v_fma_f64 v[100:101], v[166:167], v[164:165], -v[100:101]
	v_mul_f64 v[166:167], v[166:167], v[102:103]
	v_add_f64 v[48:49], v[48:49], -v[100:101]
	s_delay_alu instid0(VALU_DEP_2) | instskip(NEXT) | instid1(VALU_DEP_1)
	v_fma_f64 v[166:167], v[168:169], v[164:165], v[166:167]
	v_add_f64 v[50:51], v[50:51], -v[166:167]
	ds_load_2addr_b64 v[166:169], v240 offset0:58 offset1:59
	s_waitcnt lgkmcnt(0)
	v_mul_f64 v[100:101], v[168:169], v[102:103]
	s_delay_alu instid0(VALU_DEP_1) | instskip(SKIP_1) | instid1(VALU_DEP_2)
	v_fma_f64 v[100:101], v[166:167], v[164:165], -v[100:101]
	v_mul_f64 v[166:167], v[166:167], v[102:103]
	v_add_f64 v[44:45], v[44:45], -v[100:101]
	s_delay_alu instid0(VALU_DEP_2) | instskip(NEXT) | instid1(VALU_DEP_1)
	v_fma_f64 v[166:167], v[168:169], v[164:165], v[166:167]
	v_add_f64 v[46:47], v[46:47], -v[166:167]
	ds_load_2addr_b64 v[166:169], v240 offset0:60 offset1:61
	s_waitcnt lgkmcnt(0)
	v_mul_f64 v[100:101], v[168:169], v[102:103]
	s_delay_alu instid0(VALU_DEP_1) | instskip(SKIP_1) | instid1(VALU_DEP_2)
	v_fma_f64 v[100:101], v[166:167], v[164:165], -v[100:101]
	v_mul_f64 v[166:167], v[166:167], v[102:103]
	v_add_f64 v[40:41], v[40:41], -v[100:101]
	s_delay_alu instid0(VALU_DEP_2) | instskip(NEXT) | instid1(VALU_DEP_1)
	v_fma_f64 v[166:167], v[168:169], v[164:165], v[166:167]
	v_add_f64 v[42:43], v[42:43], -v[166:167]
	ds_load_2addr_b64 v[166:169], v240 offset0:62 offset1:63
	s_waitcnt lgkmcnt(0)
	v_mul_f64 v[100:101], v[168:169], v[102:103]
	s_delay_alu instid0(VALU_DEP_1) | instskip(SKIP_1) | instid1(VALU_DEP_2)
	v_fma_f64 v[100:101], v[166:167], v[164:165], -v[100:101]
	v_mul_f64 v[166:167], v[166:167], v[102:103]
	v_add_f64 v[36:37], v[36:37], -v[100:101]
	s_delay_alu instid0(VALU_DEP_2) | instskip(NEXT) | instid1(VALU_DEP_1)
	v_fma_f64 v[166:167], v[168:169], v[164:165], v[166:167]
	v_add_f64 v[38:39], v[38:39], -v[166:167]
	ds_load_2addr_b64 v[166:169], v240 offset0:64 offset1:65
	s_waitcnt lgkmcnt(0)
	v_mul_f64 v[100:101], v[168:169], v[102:103]
	s_delay_alu instid0(VALU_DEP_1) | instskip(SKIP_1) | instid1(VALU_DEP_2)
	v_fma_f64 v[100:101], v[166:167], v[164:165], -v[100:101]
	v_mul_f64 v[166:167], v[166:167], v[102:103]
	v_add_f64 v[32:33], v[32:33], -v[100:101]
	s_delay_alu instid0(VALU_DEP_2) | instskip(NEXT) | instid1(VALU_DEP_1)
	v_fma_f64 v[166:167], v[168:169], v[164:165], v[166:167]
	v_add_f64 v[34:35], v[34:35], -v[166:167]
	ds_load_2addr_b64 v[166:169], v240 offset0:66 offset1:67
	s_waitcnt lgkmcnt(0)
	v_mul_f64 v[100:101], v[168:169], v[102:103]
	s_delay_alu instid0(VALU_DEP_1) | instskip(SKIP_1) | instid1(VALU_DEP_2)
	v_fma_f64 v[100:101], v[166:167], v[164:165], -v[100:101]
	v_mul_f64 v[166:167], v[166:167], v[102:103]
	v_add_f64 v[28:29], v[28:29], -v[100:101]
	s_delay_alu instid0(VALU_DEP_2) | instskip(NEXT) | instid1(VALU_DEP_1)
	v_fma_f64 v[166:167], v[168:169], v[164:165], v[166:167]
	v_add_f64 v[30:31], v[30:31], -v[166:167]
	ds_load_2addr_b64 v[166:169], v240 offset0:68 offset1:69
	s_waitcnt lgkmcnt(0)
	v_mul_f64 v[100:101], v[168:169], v[102:103]
	s_delay_alu instid0(VALU_DEP_1) | instskip(SKIP_1) | instid1(VALU_DEP_2)
	v_fma_f64 v[100:101], v[166:167], v[164:165], -v[100:101]
	v_mul_f64 v[166:167], v[166:167], v[102:103]
	v_add_f64 v[24:25], v[24:25], -v[100:101]
	s_delay_alu instid0(VALU_DEP_2) | instskip(NEXT) | instid1(VALU_DEP_1)
	v_fma_f64 v[166:167], v[168:169], v[164:165], v[166:167]
	v_add_f64 v[26:27], v[26:27], -v[166:167]
	ds_load_2addr_b64 v[166:169], v240 offset0:70 offset1:71
	s_waitcnt lgkmcnt(0)
	v_mul_f64 v[100:101], v[168:169], v[102:103]
	s_delay_alu instid0(VALU_DEP_1) | instskip(SKIP_1) | instid1(VALU_DEP_2)
	v_fma_f64 v[100:101], v[166:167], v[164:165], -v[100:101]
	v_mul_f64 v[166:167], v[166:167], v[102:103]
	v_add_f64 v[20:21], v[20:21], -v[100:101]
	s_delay_alu instid0(VALU_DEP_2) | instskip(NEXT) | instid1(VALU_DEP_1)
	v_fma_f64 v[166:167], v[168:169], v[164:165], v[166:167]
	v_add_f64 v[22:23], v[22:23], -v[166:167]
	ds_load_2addr_b64 v[166:169], v240 offset0:72 offset1:73
	s_waitcnt lgkmcnt(0)
	v_mul_f64 v[100:101], v[168:169], v[102:103]
	s_delay_alu instid0(VALU_DEP_1) | instskip(SKIP_1) | instid1(VALU_DEP_2)
	v_fma_f64 v[100:101], v[166:167], v[164:165], -v[100:101]
	v_mul_f64 v[166:167], v[166:167], v[102:103]
	v_add_f64 v[16:17], v[16:17], -v[100:101]
	s_delay_alu instid0(VALU_DEP_2) | instskip(NEXT) | instid1(VALU_DEP_1)
	v_fma_f64 v[166:167], v[168:169], v[164:165], v[166:167]
	v_add_f64 v[18:19], v[18:19], -v[166:167]
	ds_load_2addr_b64 v[166:169], v240 offset0:74 offset1:75
	s_waitcnt lgkmcnt(0)
	v_mul_f64 v[100:101], v[168:169], v[102:103]
	s_delay_alu instid0(VALU_DEP_1) | instskip(SKIP_1) | instid1(VALU_DEP_2)
	v_fma_f64 v[100:101], v[166:167], v[164:165], -v[100:101]
	v_mul_f64 v[166:167], v[166:167], v[102:103]
	v_add_f64 v[12:13], v[12:13], -v[100:101]
	s_delay_alu instid0(VALU_DEP_2) | instskip(NEXT) | instid1(VALU_DEP_1)
	v_fma_f64 v[166:167], v[168:169], v[164:165], v[166:167]
	v_add_f64 v[14:15], v[14:15], -v[166:167]
	ds_load_2addr_b64 v[166:169], v240 offset0:76 offset1:77
	s_waitcnt lgkmcnt(0)
	v_mul_f64 v[100:101], v[168:169], v[102:103]
	s_delay_alu instid0(VALU_DEP_1) | instskip(SKIP_1) | instid1(VALU_DEP_2)
	v_fma_f64 v[100:101], v[166:167], v[164:165], -v[100:101]
	v_mul_f64 v[166:167], v[166:167], v[102:103]
	v_add_f64 v[8:9], v[8:9], -v[100:101]
	s_delay_alu instid0(VALU_DEP_2) | instskip(NEXT) | instid1(VALU_DEP_1)
	v_fma_f64 v[166:167], v[168:169], v[164:165], v[166:167]
	v_add_f64 v[10:11], v[10:11], -v[166:167]
	ds_load_2addr_b64 v[166:169], v240 offset0:78 offset1:79
	s_waitcnt lgkmcnt(0)
	v_mul_f64 v[100:101], v[168:169], v[102:103]
	s_delay_alu instid0(VALU_DEP_1) | instskip(SKIP_1) | instid1(VALU_DEP_2)
	v_fma_f64 v[100:101], v[166:167], v[164:165], -v[100:101]
	v_mul_f64 v[166:167], v[166:167], v[102:103]
	v_add_f64 v[4:5], v[4:5], -v[100:101]
	s_delay_alu instid0(VALU_DEP_2) | instskip(NEXT) | instid1(VALU_DEP_1)
	v_fma_f64 v[166:167], v[168:169], v[164:165], v[166:167]
	v_add_f64 v[6:7], v[6:7], -v[166:167]
	ds_load_2addr_b64 v[166:169], v240 offset0:80 offset1:81
	s_waitcnt lgkmcnt(0)
	v_mul_f64 v[100:101], v[168:169], v[102:103]
	s_delay_alu instid0(VALU_DEP_1) | instskip(SKIP_1) | instid1(VALU_DEP_2)
	v_fma_f64 v[100:101], v[166:167], v[164:165], -v[100:101]
	v_mul_f64 v[166:167], v[166:167], v[102:103]
	v_add_f64 v[0:1], v[0:1], -v[100:101]
	s_delay_alu instid0(VALU_DEP_2) | instskip(SKIP_1) | instid1(VALU_DEP_2)
	v_fma_f64 v[166:167], v[168:169], v[164:165], v[166:167]
	v_dual_mov_b32 v100, v164 :: v_dual_mov_b32 v101, v165
	v_add_f64 v[2:3], v[2:3], -v[166:167]
.LBB81_145:
	s_or_b32 exec_lo, exec_lo, s3
	s_delay_alu instid0(SALU_CYCLE_1)
	s_mov_b32 s4, exec_lo
	s_waitcnt_vscnt null, 0x0
	s_barrier
	buffer_gl0_inv
	v_cmpx_eq_u32_e32 16, v238
	s_cbranch_execz .LBB81_152
; %bb.146:
	ds_store_2addr_b64 v239, v[96:97], v[98:99] offset1:1
	ds_store_2addr_b64 v240, v[92:93], v[94:95] offset0:34 offset1:35
	ds_store_2addr_b64 v240, v[88:89], v[90:91] offset0:36 offset1:37
	;; [unrolled: 1-line block ×24, first 2 shown]
	ds_load_2addr_b64 v[164:167], v239 offset1:1
	s_waitcnt lgkmcnt(0)
	v_cmp_neq_f64_e32 vcc_lo, 0, v[164:165]
	v_cmp_neq_f64_e64 s3, 0, v[166:167]
	s_delay_alu instid0(VALU_DEP_1) | instskip(NEXT) | instid1(SALU_CYCLE_1)
	s_or_b32 s3, vcc_lo, s3
	s_and_b32 exec_lo, exec_lo, s3
	s_cbranch_execz .LBB81_152
; %bb.147:
	v_cmp_gt_f64_e32 vcc_lo, 0, v[164:165]
	v_xor_b32_e32 v168, 0x80000000, v165
	v_xor_b32_e32 v170, 0x80000000, v167
	s_mov_b32 s3, exec_lo
                                        ; implicit-def: $vgpr172_vgpr173
	s_delay_alu instid0(VALU_DEP_2) | instskip(SKIP_4) | instid1(VALU_DEP_1)
	v_cndmask_b32_e32 v169, v165, v168, vcc_lo
	v_cndmask_b32_e32 v168, v164, v164, vcc_lo
	v_cmp_gt_f64_e32 vcc_lo, 0, v[166:167]
	v_cndmask_b32_e32 v171, v167, v170, vcc_lo
	v_cndmask_b32_e32 v170, v166, v166, vcc_lo
	v_cmpx_ngt_f64_e32 v[168:169], v[170:171]
	s_xor_b32 s3, exec_lo, s3
                                        ; implicit-def: $vgpr168_vgpr169_vgpr170_vgpr171
	s_cbranch_execz .LBB81_149
; %bb.148:
	v_div_scale_f64 v[168:169], null, v[166:167], v[166:167], v[164:165]
	v_div_scale_f64 v[174:175], vcc_lo, v[164:165], v[166:167], v[164:165]
	s_delay_alu instid0(VALU_DEP_2) | instskip(SKIP_2) | instid1(VALU_DEP_1)
	v_rcp_f64_e32 v[170:171], v[168:169]
	s_waitcnt_depctr 0xfff
	v_fma_f64 v[172:173], -v[168:169], v[170:171], 1.0
	v_fma_f64 v[170:171], v[170:171], v[172:173], v[170:171]
	s_delay_alu instid0(VALU_DEP_1) | instskip(NEXT) | instid1(VALU_DEP_1)
	v_fma_f64 v[172:173], -v[168:169], v[170:171], 1.0
	v_fma_f64 v[170:171], v[170:171], v[172:173], v[170:171]
	s_delay_alu instid0(VALU_DEP_1) | instskip(NEXT) | instid1(VALU_DEP_1)
	v_mul_f64 v[172:173], v[174:175], v[170:171]
	v_fma_f64 v[168:169], -v[168:169], v[172:173], v[174:175]
	s_delay_alu instid0(VALU_DEP_1) | instskip(NEXT) | instid1(VALU_DEP_1)
	v_div_fmas_f64 v[168:169], v[168:169], v[170:171], v[172:173]
	v_div_fixup_f64 v[168:169], v[168:169], v[166:167], v[164:165]
	s_delay_alu instid0(VALU_DEP_1) | instskip(NEXT) | instid1(VALU_DEP_1)
	v_fma_f64 v[164:165], v[164:165], v[168:169], v[166:167]
	v_div_scale_f64 v[166:167], null, v[164:165], v[164:165], 1.0
	s_delay_alu instid0(VALU_DEP_1) | instskip(SKIP_2) | instid1(VALU_DEP_1)
	v_rcp_f64_e32 v[170:171], v[166:167]
	s_waitcnt_depctr 0xfff
	v_fma_f64 v[172:173], -v[166:167], v[170:171], 1.0
	v_fma_f64 v[170:171], v[170:171], v[172:173], v[170:171]
	s_delay_alu instid0(VALU_DEP_1) | instskip(NEXT) | instid1(VALU_DEP_1)
	v_fma_f64 v[172:173], -v[166:167], v[170:171], 1.0
	v_fma_f64 v[170:171], v[170:171], v[172:173], v[170:171]
	v_div_scale_f64 v[172:173], vcc_lo, 1.0, v[164:165], 1.0
	s_delay_alu instid0(VALU_DEP_1) | instskip(NEXT) | instid1(VALU_DEP_1)
	v_mul_f64 v[174:175], v[172:173], v[170:171]
	v_fma_f64 v[166:167], -v[166:167], v[174:175], v[172:173]
	s_delay_alu instid0(VALU_DEP_1) | instskip(NEXT) | instid1(VALU_DEP_1)
	v_div_fmas_f64 v[166:167], v[166:167], v[170:171], v[174:175]
	v_div_fixup_f64 v[170:171], v[166:167], v[164:165], 1.0
                                        ; implicit-def: $vgpr164_vgpr165
	s_delay_alu instid0(VALU_DEP_1)
	v_mul_f64 v[172:173], v[168:169], v[170:171]
	v_xor_b32_e32 v171, 0x80000000, v171
.LBB81_149:
	s_and_not1_saveexec_b32 s3, s3
	s_cbranch_execz .LBB81_151
; %bb.150:
	v_div_scale_f64 v[168:169], null, v[164:165], v[164:165], v[166:167]
	v_div_scale_f64 v[174:175], vcc_lo, v[166:167], v[164:165], v[166:167]
	s_delay_alu instid0(VALU_DEP_2) | instskip(SKIP_2) | instid1(VALU_DEP_1)
	v_rcp_f64_e32 v[170:171], v[168:169]
	s_waitcnt_depctr 0xfff
	v_fma_f64 v[172:173], -v[168:169], v[170:171], 1.0
	v_fma_f64 v[170:171], v[170:171], v[172:173], v[170:171]
	s_delay_alu instid0(VALU_DEP_1) | instskip(NEXT) | instid1(VALU_DEP_1)
	v_fma_f64 v[172:173], -v[168:169], v[170:171], 1.0
	v_fma_f64 v[170:171], v[170:171], v[172:173], v[170:171]
	s_delay_alu instid0(VALU_DEP_1) | instskip(NEXT) | instid1(VALU_DEP_1)
	v_mul_f64 v[172:173], v[174:175], v[170:171]
	v_fma_f64 v[168:169], -v[168:169], v[172:173], v[174:175]
	s_delay_alu instid0(VALU_DEP_1) | instskip(NEXT) | instid1(VALU_DEP_1)
	v_div_fmas_f64 v[168:169], v[168:169], v[170:171], v[172:173]
	v_div_fixup_f64 v[168:169], v[168:169], v[164:165], v[166:167]
	s_delay_alu instid0(VALU_DEP_1) | instskip(NEXT) | instid1(VALU_DEP_1)
	v_fma_f64 v[164:165], v[166:167], v[168:169], v[164:165]
	v_div_scale_f64 v[166:167], null, v[164:165], v[164:165], 1.0
	s_delay_alu instid0(VALU_DEP_1) | instskip(SKIP_2) | instid1(VALU_DEP_1)
	v_rcp_f64_e32 v[170:171], v[166:167]
	s_waitcnt_depctr 0xfff
	v_fma_f64 v[172:173], -v[166:167], v[170:171], 1.0
	v_fma_f64 v[170:171], v[170:171], v[172:173], v[170:171]
	s_delay_alu instid0(VALU_DEP_1) | instskip(NEXT) | instid1(VALU_DEP_1)
	v_fma_f64 v[172:173], -v[166:167], v[170:171], 1.0
	v_fma_f64 v[170:171], v[170:171], v[172:173], v[170:171]
	v_div_scale_f64 v[172:173], vcc_lo, 1.0, v[164:165], 1.0
	s_delay_alu instid0(VALU_DEP_1) | instskip(NEXT) | instid1(VALU_DEP_1)
	v_mul_f64 v[174:175], v[172:173], v[170:171]
	v_fma_f64 v[166:167], -v[166:167], v[174:175], v[172:173]
	s_delay_alu instid0(VALU_DEP_1) | instskip(NEXT) | instid1(VALU_DEP_1)
	v_div_fmas_f64 v[166:167], v[166:167], v[170:171], v[174:175]
	v_div_fixup_f64 v[172:173], v[166:167], v[164:165], 1.0
	s_delay_alu instid0(VALU_DEP_1)
	v_mul_f64 v[170:171], v[168:169], -v[172:173]
.LBB81_151:
	s_or_b32 exec_lo, exec_lo, s3
	ds_store_2addr_b64 v239, v[172:173], v[170:171] offset1:1
.LBB81_152:
	s_or_b32 exec_lo, exec_lo, s4
	s_waitcnt lgkmcnt(0)
	s_barrier
	buffer_gl0_inv
	ds_load_2addr_b64 v[164:167], v239 offset1:1
	s_mov_b32 s3, exec_lo
	s_waitcnt lgkmcnt(0)
	scratch_store_b128 off, v[164:167], off offset:536 ; 16-byte Folded Spill
	v_cmpx_lt_u32_e32 16, v238
	s_cbranch_execz .LBB81_154
; %bb.153:
	scratch_load_b128 v[166:169], off, off offset:536 ; 16-byte Folded Reload
	s_waitcnt vmcnt(0)
	v_mul_f64 v[164:165], v[168:169], v[98:99]
	v_mul_f64 v[98:99], v[166:167], v[98:99]
	s_delay_alu instid0(VALU_DEP_2) | instskip(NEXT) | instid1(VALU_DEP_2)
	v_fma_f64 v[164:165], v[166:167], v[96:97], -v[164:165]
	v_fma_f64 v[98:99], v[168:169], v[96:97], v[98:99]
	ds_load_2addr_b64 v[166:169], v240 offset0:34 offset1:35
	s_waitcnt lgkmcnt(0)
	v_mul_f64 v[96:97], v[168:169], v[98:99]
	s_delay_alu instid0(VALU_DEP_1) | instskip(SKIP_1) | instid1(VALU_DEP_2)
	v_fma_f64 v[96:97], v[166:167], v[164:165], -v[96:97]
	v_mul_f64 v[166:167], v[166:167], v[98:99]
	v_add_f64 v[92:93], v[92:93], -v[96:97]
	s_delay_alu instid0(VALU_DEP_2) | instskip(NEXT) | instid1(VALU_DEP_1)
	v_fma_f64 v[166:167], v[168:169], v[164:165], v[166:167]
	v_add_f64 v[94:95], v[94:95], -v[166:167]
	ds_load_2addr_b64 v[166:169], v240 offset0:36 offset1:37
	s_waitcnt lgkmcnt(0)
	v_mul_f64 v[96:97], v[168:169], v[98:99]
	s_delay_alu instid0(VALU_DEP_1) | instskip(SKIP_1) | instid1(VALU_DEP_2)
	v_fma_f64 v[96:97], v[166:167], v[164:165], -v[96:97]
	v_mul_f64 v[166:167], v[166:167], v[98:99]
	v_add_f64 v[88:89], v[88:89], -v[96:97]
	s_delay_alu instid0(VALU_DEP_2) | instskip(NEXT) | instid1(VALU_DEP_1)
	v_fma_f64 v[166:167], v[168:169], v[164:165], v[166:167]
	v_add_f64 v[90:91], v[90:91], -v[166:167]
	;; [unrolled: 10-line block ×23, first 2 shown]
	ds_load_2addr_b64 v[166:169], v240 offset0:80 offset1:81
	s_waitcnt lgkmcnt(0)
	v_mul_f64 v[96:97], v[168:169], v[98:99]
	s_delay_alu instid0(VALU_DEP_1) | instskip(SKIP_1) | instid1(VALU_DEP_2)
	v_fma_f64 v[96:97], v[166:167], v[164:165], -v[96:97]
	v_mul_f64 v[166:167], v[166:167], v[98:99]
	v_add_f64 v[0:1], v[0:1], -v[96:97]
	s_delay_alu instid0(VALU_DEP_2) | instskip(SKIP_1) | instid1(VALU_DEP_2)
	v_fma_f64 v[166:167], v[168:169], v[164:165], v[166:167]
	v_dual_mov_b32 v96, v164 :: v_dual_mov_b32 v97, v165
	v_add_f64 v[2:3], v[2:3], -v[166:167]
.LBB81_154:
	s_or_b32 exec_lo, exec_lo, s3
	s_delay_alu instid0(SALU_CYCLE_1)
	s_mov_b32 s4, exec_lo
	s_waitcnt_vscnt null, 0x0
	s_barrier
	buffer_gl0_inv
	v_cmpx_eq_u32_e32 17, v238
	s_cbranch_execz .LBB81_161
; %bb.155:
	ds_store_2addr_b64 v239, v[92:93], v[94:95] offset1:1
	ds_store_2addr_b64 v240, v[88:89], v[90:91] offset0:36 offset1:37
	ds_store_2addr_b64 v240, v[84:85], v[86:87] offset0:38 offset1:39
	;; [unrolled: 1-line block ×23, first 2 shown]
	ds_load_2addr_b64 v[164:167], v239 offset1:1
	s_waitcnt lgkmcnt(0)
	v_cmp_neq_f64_e32 vcc_lo, 0, v[164:165]
	v_cmp_neq_f64_e64 s3, 0, v[166:167]
	s_delay_alu instid0(VALU_DEP_1) | instskip(NEXT) | instid1(SALU_CYCLE_1)
	s_or_b32 s3, vcc_lo, s3
	s_and_b32 exec_lo, exec_lo, s3
	s_cbranch_execz .LBB81_161
; %bb.156:
	v_cmp_gt_f64_e32 vcc_lo, 0, v[164:165]
	v_xor_b32_e32 v168, 0x80000000, v165
	v_xor_b32_e32 v170, 0x80000000, v167
	s_mov_b32 s3, exec_lo
                                        ; implicit-def: $vgpr172_vgpr173
	s_delay_alu instid0(VALU_DEP_2) | instskip(SKIP_4) | instid1(VALU_DEP_1)
	v_cndmask_b32_e32 v169, v165, v168, vcc_lo
	v_cndmask_b32_e32 v168, v164, v164, vcc_lo
	v_cmp_gt_f64_e32 vcc_lo, 0, v[166:167]
	v_cndmask_b32_e32 v171, v167, v170, vcc_lo
	v_cndmask_b32_e32 v170, v166, v166, vcc_lo
	v_cmpx_ngt_f64_e32 v[168:169], v[170:171]
	s_xor_b32 s3, exec_lo, s3
                                        ; implicit-def: $vgpr168_vgpr169_vgpr170_vgpr171
	s_cbranch_execz .LBB81_158
; %bb.157:
	v_div_scale_f64 v[168:169], null, v[166:167], v[166:167], v[164:165]
	v_div_scale_f64 v[174:175], vcc_lo, v[164:165], v[166:167], v[164:165]
	s_delay_alu instid0(VALU_DEP_2) | instskip(SKIP_2) | instid1(VALU_DEP_1)
	v_rcp_f64_e32 v[170:171], v[168:169]
	s_waitcnt_depctr 0xfff
	v_fma_f64 v[172:173], -v[168:169], v[170:171], 1.0
	v_fma_f64 v[170:171], v[170:171], v[172:173], v[170:171]
	s_delay_alu instid0(VALU_DEP_1) | instskip(NEXT) | instid1(VALU_DEP_1)
	v_fma_f64 v[172:173], -v[168:169], v[170:171], 1.0
	v_fma_f64 v[170:171], v[170:171], v[172:173], v[170:171]
	s_delay_alu instid0(VALU_DEP_1) | instskip(NEXT) | instid1(VALU_DEP_1)
	v_mul_f64 v[172:173], v[174:175], v[170:171]
	v_fma_f64 v[168:169], -v[168:169], v[172:173], v[174:175]
	s_delay_alu instid0(VALU_DEP_1) | instskip(NEXT) | instid1(VALU_DEP_1)
	v_div_fmas_f64 v[168:169], v[168:169], v[170:171], v[172:173]
	v_div_fixup_f64 v[168:169], v[168:169], v[166:167], v[164:165]
	s_delay_alu instid0(VALU_DEP_1) | instskip(NEXT) | instid1(VALU_DEP_1)
	v_fma_f64 v[164:165], v[164:165], v[168:169], v[166:167]
	v_div_scale_f64 v[166:167], null, v[164:165], v[164:165], 1.0
	s_delay_alu instid0(VALU_DEP_1) | instskip(SKIP_2) | instid1(VALU_DEP_1)
	v_rcp_f64_e32 v[170:171], v[166:167]
	s_waitcnt_depctr 0xfff
	v_fma_f64 v[172:173], -v[166:167], v[170:171], 1.0
	v_fma_f64 v[170:171], v[170:171], v[172:173], v[170:171]
	s_delay_alu instid0(VALU_DEP_1) | instskip(NEXT) | instid1(VALU_DEP_1)
	v_fma_f64 v[172:173], -v[166:167], v[170:171], 1.0
	v_fma_f64 v[170:171], v[170:171], v[172:173], v[170:171]
	v_div_scale_f64 v[172:173], vcc_lo, 1.0, v[164:165], 1.0
	s_delay_alu instid0(VALU_DEP_1) | instskip(NEXT) | instid1(VALU_DEP_1)
	v_mul_f64 v[174:175], v[172:173], v[170:171]
	v_fma_f64 v[166:167], -v[166:167], v[174:175], v[172:173]
	s_delay_alu instid0(VALU_DEP_1) | instskip(NEXT) | instid1(VALU_DEP_1)
	v_div_fmas_f64 v[166:167], v[166:167], v[170:171], v[174:175]
	v_div_fixup_f64 v[170:171], v[166:167], v[164:165], 1.0
                                        ; implicit-def: $vgpr164_vgpr165
	s_delay_alu instid0(VALU_DEP_1)
	v_mul_f64 v[172:173], v[168:169], v[170:171]
	v_xor_b32_e32 v171, 0x80000000, v171
.LBB81_158:
	s_and_not1_saveexec_b32 s3, s3
	s_cbranch_execz .LBB81_160
; %bb.159:
	v_div_scale_f64 v[168:169], null, v[164:165], v[164:165], v[166:167]
	v_div_scale_f64 v[174:175], vcc_lo, v[166:167], v[164:165], v[166:167]
	s_delay_alu instid0(VALU_DEP_2) | instskip(SKIP_2) | instid1(VALU_DEP_1)
	v_rcp_f64_e32 v[170:171], v[168:169]
	s_waitcnt_depctr 0xfff
	v_fma_f64 v[172:173], -v[168:169], v[170:171], 1.0
	v_fma_f64 v[170:171], v[170:171], v[172:173], v[170:171]
	s_delay_alu instid0(VALU_DEP_1) | instskip(NEXT) | instid1(VALU_DEP_1)
	v_fma_f64 v[172:173], -v[168:169], v[170:171], 1.0
	v_fma_f64 v[170:171], v[170:171], v[172:173], v[170:171]
	s_delay_alu instid0(VALU_DEP_1) | instskip(NEXT) | instid1(VALU_DEP_1)
	v_mul_f64 v[172:173], v[174:175], v[170:171]
	v_fma_f64 v[168:169], -v[168:169], v[172:173], v[174:175]
	s_delay_alu instid0(VALU_DEP_1) | instskip(NEXT) | instid1(VALU_DEP_1)
	v_div_fmas_f64 v[168:169], v[168:169], v[170:171], v[172:173]
	v_div_fixup_f64 v[168:169], v[168:169], v[164:165], v[166:167]
	s_delay_alu instid0(VALU_DEP_1) | instskip(NEXT) | instid1(VALU_DEP_1)
	v_fma_f64 v[164:165], v[166:167], v[168:169], v[164:165]
	v_div_scale_f64 v[166:167], null, v[164:165], v[164:165], 1.0
	s_delay_alu instid0(VALU_DEP_1) | instskip(SKIP_2) | instid1(VALU_DEP_1)
	v_rcp_f64_e32 v[170:171], v[166:167]
	s_waitcnt_depctr 0xfff
	v_fma_f64 v[172:173], -v[166:167], v[170:171], 1.0
	v_fma_f64 v[170:171], v[170:171], v[172:173], v[170:171]
	s_delay_alu instid0(VALU_DEP_1) | instskip(NEXT) | instid1(VALU_DEP_1)
	v_fma_f64 v[172:173], -v[166:167], v[170:171], 1.0
	v_fma_f64 v[170:171], v[170:171], v[172:173], v[170:171]
	v_div_scale_f64 v[172:173], vcc_lo, 1.0, v[164:165], 1.0
	s_delay_alu instid0(VALU_DEP_1) | instskip(NEXT) | instid1(VALU_DEP_1)
	v_mul_f64 v[174:175], v[172:173], v[170:171]
	v_fma_f64 v[166:167], -v[166:167], v[174:175], v[172:173]
	s_delay_alu instid0(VALU_DEP_1) | instskip(NEXT) | instid1(VALU_DEP_1)
	v_div_fmas_f64 v[166:167], v[166:167], v[170:171], v[174:175]
	v_div_fixup_f64 v[172:173], v[166:167], v[164:165], 1.0
	s_delay_alu instid0(VALU_DEP_1)
	v_mul_f64 v[170:171], v[168:169], -v[172:173]
.LBB81_160:
	s_or_b32 exec_lo, exec_lo, s3
	ds_store_2addr_b64 v239, v[172:173], v[170:171] offset1:1
.LBB81_161:
	s_or_b32 exec_lo, exec_lo, s4
	s_waitcnt lgkmcnt(0)
	s_barrier
	buffer_gl0_inv
	ds_load_2addr_b64 v[164:167], v239 offset1:1
	s_mov_b32 s3, exec_lo
	s_waitcnt lgkmcnt(0)
	scratch_store_b128 off, v[164:167], off offset:552 ; 16-byte Folded Spill
	v_cmpx_lt_u32_e32 17, v238
	s_cbranch_execz .LBB81_163
; %bb.162:
	scratch_load_b128 v[166:169], off, off offset:552 ; 16-byte Folded Reload
	s_waitcnt vmcnt(0)
	v_mul_f64 v[164:165], v[168:169], v[94:95]
	v_mul_f64 v[94:95], v[166:167], v[94:95]
	s_delay_alu instid0(VALU_DEP_2) | instskip(NEXT) | instid1(VALU_DEP_2)
	v_fma_f64 v[164:165], v[166:167], v[92:93], -v[164:165]
	v_fma_f64 v[94:95], v[168:169], v[92:93], v[94:95]
	ds_load_2addr_b64 v[166:169], v240 offset0:36 offset1:37
	s_waitcnt lgkmcnt(0)
	v_mul_f64 v[92:93], v[168:169], v[94:95]
	s_delay_alu instid0(VALU_DEP_1) | instskip(SKIP_1) | instid1(VALU_DEP_2)
	v_fma_f64 v[92:93], v[166:167], v[164:165], -v[92:93]
	v_mul_f64 v[166:167], v[166:167], v[94:95]
	v_add_f64 v[88:89], v[88:89], -v[92:93]
	s_delay_alu instid0(VALU_DEP_2) | instskip(NEXT) | instid1(VALU_DEP_1)
	v_fma_f64 v[166:167], v[168:169], v[164:165], v[166:167]
	v_add_f64 v[90:91], v[90:91], -v[166:167]
	ds_load_2addr_b64 v[166:169], v240 offset0:38 offset1:39
	s_waitcnt lgkmcnt(0)
	v_mul_f64 v[92:93], v[168:169], v[94:95]
	s_delay_alu instid0(VALU_DEP_1) | instskip(SKIP_1) | instid1(VALU_DEP_2)
	v_fma_f64 v[92:93], v[166:167], v[164:165], -v[92:93]
	v_mul_f64 v[166:167], v[166:167], v[94:95]
	v_add_f64 v[84:85], v[84:85], -v[92:93]
	s_delay_alu instid0(VALU_DEP_2) | instskip(NEXT) | instid1(VALU_DEP_1)
	v_fma_f64 v[166:167], v[168:169], v[164:165], v[166:167]
	v_add_f64 v[86:87], v[86:87], -v[166:167]
	;; [unrolled: 10-line block ×22, first 2 shown]
	ds_load_2addr_b64 v[166:169], v240 offset0:80 offset1:81
	s_waitcnt lgkmcnt(0)
	v_mul_f64 v[92:93], v[168:169], v[94:95]
	s_delay_alu instid0(VALU_DEP_1) | instskip(SKIP_1) | instid1(VALU_DEP_2)
	v_fma_f64 v[92:93], v[166:167], v[164:165], -v[92:93]
	v_mul_f64 v[166:167], v[166:167], v[94:95]
	v_add_f64 v[0:1], v[0:1], -v[92:93]
	s_delay_alu instid0(VALU_DEP_2) | instskip(SKIP_1) | instid1(VALU_DEP_2)
	v_fma_f64 v[166:167], v[168:169], v[164:165], v[166:167]
	v_dual_mov_b32 v92, v164 :: v_dual_mov_b32 v93, v165
	v_add_f64 v[2:3], v[2:3], -v[166:167]
.LBB81_163:
	s_or_b32 exec_lo, exec_lo, s3
	s_delay_alu instid0(SALU_CYCLE_1)
	s_mov_b32 s4, exec_lo
	s_waitcnt_vscnt null, 0x0
	s_barrier
	buffer_gl0_inv
	v_cmpx_eq_u32_e32 18, v238
	s_cbranch_execz .LBB81_170
; %bb.164:
	ds_store_2addr_b64 v239, v[88:89], v[90:91] offset1:1
	ds_store_2addr_b64 v240, v[84:85], v[86:87] offset0:38 offset1:39
	ds_store_2addr_b64 v240, v[80:81], v[82:83] offset0:40 offset1:41
	;; [unrolled: 1-line block ×22, first 2 shown]
	ds_load_2addr_b64 v[164:167], v239 offset1:1
	s_waitcnt lgkmcnt(0)
	v_cmp_neq_f64_e32 vcc_lo, 0, v[164:165]
	v_cmp_neq_f64_e64 s3, 0, v[166:167]
	s_delay_alu instid0(VALU_DEP_1) | instskip(NEXT) | instid1(SALU_CYCLE_1)
	s_or_b32 s3, vcc_lo, s3
	s_and_b32 exec_lo, exec_lo, s3
	s_cbranch_execz .LBB81_170
; %bb.165:
	v_cmp_gt_f64_e32 vcc_lo, 0, v[164:165]
	v_xor_b32_e32 v168, 0x80000000, v165
	v_xor_b32_e32 v170, 0x80000000, v167
	s_mov_b32 s3, exec_lo
                                        ; implicit-def: $vgpr172_vgpr173
	s_delay_alu instid0(VALU_DEP_2) | instskip(SKIP_4) | instid1(VALU_DEP_1)
	v_cndmask_b32_e32 v169, v165, v168, vcc_lo
	v_cndmask_b32_e32 v168, v164, v164, vcc_lo
	v_cmp_gt_f64_e32 vcc_lo, 0, v[166:167]
	v_cndmask_b32_e32 v171, v167, v170, vcc_lo
	v_cndmask_b32_e32 v170, v166, v166, vcc_lo
	v_cmpx_ngt_f64_e32 v[168:169], v[170:171]
	s_xor_b32 s3, exec_lo, s3
                                        ; implicit-def: $vgpr168_vgpr169_vgpr170_vgpr171
	s_cbranch_execz .LBB81_167
; %bb.166:
	v_div_scale_f64 v[168:169], null, v[166:167], v[166:167], v[164:165]
	v_div_scale_f64 v[174:175], vcc_lo, v[164:165], v[166:167], v[164:165]
	s_delay_alu instid0(VALU_DEP_2) | instskip(SKIP_2) | instid1(VALU_DEP_1)
	v_rcp_f64_e32 v[170:171], v[168:169]
	s_waitcnt_depctr 0xfff
	v_fma_f64 v[172:173], -v[168:169], v[170:171], 1.0
	v_fma_f64 v[170:171], v[170:171], v[172:173], v[170:171]
	s_delay_alu instid0(VALU_DEP_1) | instskip(NEXT) | instid1(VALU_DEP_1)
	v_fma_f64 v[172:173], -v[168:169], v[170:171], 1.0
	v_fma_f64 v[170:171], v[170:171], v[172:173], v[170:171]
	s_delay_alu instid0(VALU_DEP_1) | instskip(NEXT) | instid1(VALU_DEP_1)
	v_mul_f64 v[172:173], v[174:175], v[170:171]
	v_fma_f64 v[168:169], -v[168:169], v[172:173], v[174:175]
	s_delay_alu instid0(VALU_DEP_1) | instskip(NEXT) | instid1(VALU_DEP_1)
	v_div_fmas_f64 v[168:169], v[168:169], v[170:171], v[172:173]
	v_div_fixup_f64 v[168:169], v[168:169], v[166:167], v[164:165]
	s_delay_alu instid0(VALU_DEP_1) | instskip(NEXT) | instid1(VALU_DEP_1)
	v_fma_f64 v[164:165], v[164:165], v[168:169], v[166:167]
	v_div_scale_f64 v[166:167], null, v[164:165], v[164:165], 1.0
	s_delay_alu instid0(VALU_DEP_1) | instskip(SKIP_2) | instid1(VALU_DEP_1)
	v_rcp_f64_e32 v[170:171], v[166:167]
	s_waitcnt_depctr 0xfff
	v_fma_f64 v[172:173], -v[166:167], v[170:171], 1.0
	v_fma_f64 v[170:171], v[170:171], v[172:173], v[170:171]
	s_delay_alu instid0(VALU_DEP_1) | instskip(NEXT) | instid1(VALU_DEP_1)
	v_fma_f64 v[172:173], -v[166:167], v[170:171], 1.0
	v_fma_f64 v[170:171], v[170:171], v[172:173], v[170:171]
	v_div_scale_f64 v[172:173], vcc_lo, 1.0, v[164:165], 1.0
	s_delay_alu instid0(VALU_DEP_1) | instskip(NEXT) | instid1(VALU_DEP_1)
	v_mul_f64 v[174:175], v[172:173], v[170:171]
	v_fma_f64 v[166:167], -v[166:167], v[174:175], v[172:173]
	s_delay_alu instid0(VALU_DEP_1) | instskip(NEXT) | instid1(VALU_DEP_1)
	v_div_fmas_f64 v[166:167], v[166:167], v[170:171], v[174:175]
	v_div_fixup_f64 v[170:171], v[166:167], v[164:165], 1.0
                                        ; implicit-def: $vgpr164_vgpr165
	s_delay_alu instid0(VALU_DEP_1)
	v_mul_f64 v[172:173], v[168:169], v[170:171]
	v_xor_b32_e32 v171, 0x80000000, v171
.LBB81_167:
	s_and_not1_saveexec_b32 s3, s3
	s_cbranch_execz .LBB81_169
; %bb.168:
	v_div_scale_f64 v[168:169], null, v[164:165], v[164:165], v[166:167]
	v_div_scale_f64 v[174:175], vcc_lo, v[166:167], v[164:165], v[166:167]
	s_delay_alu instid0(VALU_DEP_2) | instskip(SKIP_2) | instid1(VALU_DEP_1)
	v_rcp_f64_e32 v[170:171], v[168:169]
	s_waitcnt_depctr 0xfff
	v_fma_f64 v[172:173], -v[168:169], v[170:171], 1.0
	v_fma_f64 v[170:171], v[170:171], v[172:173], v[170:171]
	s_delay_alu instid0(VALU_DEP_1) | instskip(NEXT) | instid1(VALU_DEP_1)
	v_fma_f64 v[172:173], -v[168:169], v[170:171], 1.0
	v_fma_f64 v[170:171], v[170:171], v[172:173], v[170:171]
	s_delay_alu instid0(VALU_DEP_1) | instskip(NEXT) | instid1(VALU_DEP_1)
	v_mul_f64 v[172:173], v[174:175], v[170:171]
	v_fma_f64 v[168:169], -v[168:169], v[172:173], v[174:175]
	s_delay_alu instid0(VALU_DEP_1) | instskip(NEXT) | instid1(VALU_DEP_1)
	v_div_fmas_f64 v[168:169], v[168:169], v[170:171], v[172:173]
	v_div_fixup_f64 v[168:169], v[168:169], v[164:165], v[166:167]
	s_delay_alu instid0(VALU_DEP_1) | instskip(NEXT) | instid1(VALU_DEP_1)
	v_fma_f64 v[164:165], v[166:167], v[168:169], v[164:165]
	v_div_scale_f64 v[166:167], null, v[164:165], v[164:165], 1.0
	s_delay_alu instid0(VALU_DEP_1) | instskip(SKIP_2) | instid1(VALU_DEP_1)
	v_rcp_f64_e32 v[170:171], v[166:167]
	s_waitcnt_depctr 0xfff
	v_fma_f64 v[172:173], -v[166:167], v[170:171], 1.0
	v_fma_f64 v[170:171], v[170:171], v[172:173], v[170:171]
	s_delay_alu instid0(VALU_DEP_1) | instskip(NEXT) | instid1(VALU_DEP_1)
	v_fma_f64 v[172:173], -v[166:167], v[170:171], 1.0
	v_fma_f64 v[170:171], v[170:171], v[172:173], v[170:171]
	v_div_scale_f64 v[172:173], vcc_lo, 1.0, v[164:165], 1.0
	s_delay_alu instid0(VALU_DEP_1) | instskip(NEXT) | instid1(VALU_DEP_1)
	v_mul_f64 v[174:175], v[172:173], v[170:171]
	v_fma_f64 v[166:167], -v[166:167], v[174:175], v[172:173]
	s_delay_alu instid0(VALU_DEP_1) | instskip(NEXT) | instid1(VALU_DEP_1)
	v_div_fmas_f64 v[166:167], v[166:167], v[170:171], v[174:175]
	v_div_fixup_f64 v[172:173], v[166:167], v[164:165], 1.0
	s_delay_alu instid0(VALU_DEP_1)
	v_mul_f64 v[170:171], v[168:169], -v[172:173]
.LBB81_169:
	s_or_b32 exec_lo, exec_lo, s3
	ds_store_2addr_b64 v239, v[172:173], v[170:171] offset1:1
.LBB81_170:
	s_or_b32 exec_lo, exec_lo, s4
	s_waitcnt lgkmcnt(0)
	s_barrier
	buffer_gl0_inv
	ds_load_2addr_b64 v[164:167], v239 offset1:1
	s_mov_b32 s3, exec_lo
	s_waitcnt lgkmcnt(0)
	scratch_store_b128 off, v[164:167], off offset:568 ; 16-byte Folded Spill
	v_cmpx_lt_u32_e32 18, v238
	s_cbranch_execz .LBB81_172
; %bb.171:
	scratch_load_b128 v[166:169], off, off offset:568 ; 16-byte Folded Reload
	s_waitcnt vmcnt(0)
	v_mul_f64 v[164:165], v[168:169], v[90:91]
	v_mul_f64 v[90:91], v[166:167], v[90:91]
	s_delay_alu instid0(VALU_DEP_2) | instskip(NEXT) | instid1(VALU_DEP_2)
	v_fma_f64 v[164:165], v[166:167], v[88:89], -v[164:165]
	v_fma_f64 v[90:91], v[168:169], v[88:89], v[90:91]
	ds_load_2addr_b64 v[166:169], v240 offset0:38 offset1:39
	s_waitcnt lgkmcnt(0)
	v_mul_f64 v[88:89], v[168:169], v[90:91]
	s_delay_alu instid0(VALU_DEP_1) | instskip(SKIP_1) | instid1(VALU_DEP_2)
	v_fma_f64 v[88:89], v[166:167], v[164:165], -v[88:89]
	v_mul_f64 v[166:167], v[166:167], v[90:91]
	v_add_f64 v[84:85], v[84:85], -v[88:89]
	s_delay_alu instid0(VALU_DEP_2) | instskip(NEXT) | instid1(VALU_DEP_1)
	v_fma_f64 v[166:167], v[168:169], v[164:165], v[166:167]
	v_add_f64 v[86:87], v[86:87], -v[166:167]
	ds_load_2addr_b64 v[166:169], v240 offset0:40 offset1:41
	s_waitcnt lgkmcnt(0)
	v_mul_f64 v[88:89], v[168:169], v[90:91]
	s_delay_alu instid0(VALU_DEP_1) | instskip(SKIP_1) | instid1(VALU_DEP_2)
	v_fma_f64 v[88:89], v[166:167], v[164:165], -v[88:89]
	v_mul_f64 v[166:167], v[166:167], v[90:91]
	v_add_f64 v[80:81], v[80:81], -v[88:89]
	s_delay_alu instid0(VALU_DEP_2) | instskip(NEXT) | instid1(VALU_DEP_1)
	v_fma_f64 v[166:167], v[168:169], v[164:165], v[166:167]
	v_add_f64 v[82:83], v[82:83], -v[166:167]
	;; [unrolled: 10-line block ×21, first 2 shown]
	ds_load_2addr_b64 v[166:169], v240 offset0:80 offset1:81
	s_waitcnt lgkmcnt(0)
	v_mul_f64 v[88:89], v[168:169], v[90:91]
	s_delay_alu instid0(VALU_DEP_1) | instskip(SKIP_1) | instid1(VALU_DEP_2)
	v_fma_f64 v[88:89], v[166:167], v[164:165], -v[88:89]
	v_mul_f64 v[166:167], v[166:167], v[90:91]
	v_add_f64 v[0:1], v[0:1], -v[88:89]
	s_delay_alu instid0(VALU_DEP_2) | instskip(SKIP_1) | instid1(VALU_DEP_2)
	v_fma_f64 v[166:167], v[168:169], v[164:165], v[166:167]
	v_dual_mov_b32 v88, v164 :: v_dual_mov_b32 v89, v165
	v_add_f64 v[2:3], v[2:3], -v[166:167]
.LBB81_172:
	s_or_b32 exec_lo, exec_lo, s3
	s_delay_alu instid0(SALU_CYCLE_1)
	s_mov_b32 s4, exec_lo
	s_waitcnt_vscnt null, 0x0
	s_barrier
	buffer_gl0_inv
	v_cmpx_eq_u32_e32 19, v238
	s_cbranch_execz .LBB81_179
; %bb.173:
	ds_store_2addr_b64 v239, v[84:85], v[86:87] offset1:1
	ds_store_2addr_b64 v240, v[80:81], v[82:83] offset0:40 offset1:41
	ds_store_2addr_b64 v240, v[76:77], v[78:79] offset0:42 offset1:43
	;; [unrolled: 1-line block ×21, first 2 shown]
	ds_load_2addr_b64 v[164:167], v239 offset1:1
	s_waitcnt lgkmcnt(0)
	v_cmp_neq_f64_e32 vcc_lo, 0, v[164:165]
	v_cmp_neq_f64_e64 s3, 0, v[166:167]
	s_delay_alu instid0(VALU_DEP_1) | instskip(NEXT) | instid1(SALU_CYCLE_1)
	s_or_b32 s3, vcc_lo, s3
	s_and_b32 exec_lo, exec_lo, s3
	s_cbranch_execz .LBB81_179
; %bb.174:
	v_cmp_gt_f64_e32 vcc_lo, 0, v[164:165]
	v_xor_b32_e32 v168, 0x80000000, v165
	v_xor_b32_e32 v170, 0x80000000, v167
	s_mov_b32 s3, exec_lo
                                        ; implicit-def: $vgpr172_vgpr173
	s_delay_alu instid0(VALU_DEP_2) | instskip(SKIP_4) | instid1(VALU_DEP_1)
	v_cndmask_b32_e32 v169, v165, v168, vcc_lo
	v_cndmask_b32_e32 v168, v164, v164, vcc_lo
	v_cmp_gt_f64_e32 vcc_lo, 0, v[166:167]
	v_cndmask_b32_e32 v171, v167, v170, vcc_lo
	v_cndmask_b32_e32 v170, v166, v166, vcc_lo
	v_cmpx_ngt_f64_e32 v[168:169], v[170:171]
	s_xor_b32 s3, exec_lo, s3
                                        ; implicit-def: $vgpr168_vgpr169_vgpr170_vgpr171
	s_cbranch_execz .LBB81_176
; %bb.175:
	v_div_scale_f64 v[168:169], null, v[166:167], v[166:167], v[164:165]
	v_div_scale_f64 v[174:175], vcc_lo, v[164:165], v[166:167], v[164:165]
	s_delay_alu instid0(VALU_DEP_2) | instskip(SKIP_2) | instid1(VALU_DEP_1)
	v_rcp_f64_e32 v[170:171], v[168:169]
	s_waitcnt_depctr 0xfff
	v_fma_f64 v[172:173], -v[168:169], v[170:171], 1.0
	v_fma_f64 v[170:171], v[170:171], v[172:173], v[170:171]
	s_delay_alu instid0(VALU_DEP_1) | instskip(NEXT) | instid1(VALU_DEP_1)
	v_fma_f64 v[172:173], -v[168:169], v[170:171], 1.0
	v_fma_f64 v[170:171], v[170:171], v[172:173], v[170:171]
	s_delay_alu instid0(VALU_DEP_1) | instskip(NEXT) | instid1(VALU_DEP_1)
	v_mul_f64 v[172:173], v[174:175], v[170:171]
	v_fma_f64 v[168:169], -v[168:169], v[172:173], v[174:175]
	s_delay_alu instid0(VALU_DEP_1) | instskip(NEXT) | instid1(VALU_DEP_1)
	v_div_fmas_f64 v[168:169], v[168:169], v[170:171], v[172:173]
	v_div_fixup_f64 v[168:169], v[168:169], v[166:167], v[164:165]
	s_delay_alu instid0(VALU_DEP_1) | instskip(NEXT) | instid1(VALU_DEP_1)
	v_fma_f64 v[164:165], v[164:165], v[168:169], v[166:167]
	v_div_scale_f64 v[166:167], null, v[164:165], v[164:165], 1.0
	s_delay_alu instid0(VALU_DEP_1) | instskip(SKIP_2) | instid1(VALU_DEP_1)
	v_rcp_f64_e32 v[170:171], v[166:167]
	s_waitcnt_depctr 0xfff
	v_fma_f64 v[172:173], -v[166:167], v[170:171], 1.0
	v_fma_f64 v[170:171], v[170:171], v[172:173], v[170:171]
	s_delay_alu instid0(VALU_DEP_1) | instskip(NEXT) | instid1(VALU_DEP_1)
	v_fma_f64 v[172:173], -v[166:167], v[170:171], 1.0
	v_fma_f64 v[170:171], v[170:171], v[172:173], v[170:171]
	v_div_scale_f64 v[172:173], vcc_lo, 1.0, v[164:165], 1.0
	s_delay_alu instid0(VALU_DEP_1) | instskip(NEXT) | instid1(VALU_DEP_1)
	v_mul_f64 v[174:175], v[172:173], v[170:171]
	v_fma_f64 v[166:167], -v[166:167], v[174:175], v[172:173]
	s_delay_alu instid0(VALU_DEP_1) | instskip(NEXT) | instid1(VALU_DEP_1)
	v_div_fmas_f64 v[166:167], v[166:167], v[170:171], v[174:175]
	v_div_fixup_f64 v[170:171], v[166:167], v[164:165], 1.0
                                        ; implicit-def: $vgpr164_vgpr165
	s_delay_alu instid0(VALU_DEP_1)
	v_mul_f64 v[172:173], v[168:169], v[170:171]
	v_xor_b32_e32 v171, 0x80000000, v171
.LBB81_176:
	s_and_not1_saveexec_b32 s3, s3
	s_cbranch_execz .LBB81_178
; %bb.177:
	v_div_scale_f64 v[168:169], null, v[164:165], v[164:165], v[166:167]
	v_div_scale_f64 v[174:175], vcc_lo, v[166:167], v[164:165], v[166:167]
	s_delay_alu instid0(VALU_DEP_2) | instskip(SKIP_2) | instid1(VALU_DEP_1)
	v_rcp_f64_e32 v[170:171], v[168:169]
	s_waitcnt_depctr 0xfff
	v_fma_f64 v[172:173], -v[168:169], v[170:171], 1.0
	v_fma_f64 v[170:171], v[170:171], v[172:173], v[170:171]
	s_delay_alu instid0(VALU_DEP_1) | instskip(NEXT) | instid1(VALU_DEP_1)
	v_fma_f64 v[172:173], -v[168:169], v[170:171], 1.0
	v_fma_f64 v[170:171], v[170:171], v[172:173], v[170:171]
	s_delay_alu instid0(VALU_DEP_1) | instskip(NEXT) | instid1(VALU_DEP_1)
	v_mul_f64 v[172:173], v[174:175], v[170:171]
	v_fma_f64 v[168:169], -v[168:169], v[172:173], v[174:175]
	s_delay_alu instid0(VALU_DEP_1) | instskip(NEXT) | instid1(VALU_DEP_1)
	v_div_fmas_f64 v[168:169], v[168:169], v[170:171], v[172:173]
	v_div_fixup_f64 v[168:169], v[168:169], v[164:165], v[166:167]
	s_delay_alu instid0(VALU_DEP_1) | instskip(NEXT) | instid1(VALU_DEP_1)
	v_fma_f64 v[164:165], v[166:167], v[168:169], v[164:165]
	v_div_scale_f64 v[166:167], null, v[164:165], v[164:165], 1.0
	s_delay_alu instid0(VALU_DEP_1) | instskip(SKIP_2) | instid1(VALU_DEP_1)
	v_rcp_f64_e32 v[170:171], v[166:167]
	s_waitcnt_depctr 0xfff
	v_fma_f64 v[172:173], -v[166:167], v[170:171], 1.0
	v_fma_f64 v[170:171], v[170:171], v[172:173], v[170:171]
	s_delay_alu instid0(VALU_DEP_1) | instskip(NEXT) | instid1(VALU_DEP_1)
	v_fma_f64 v[172:173], -v[166:167], v[170:171], 1.0
	v_fma_f64 v[170:171], v[170:171], v[172:173], v[170:171]
	v_div_scale_f64 v[172:173], vcc_lo, 1.0, v[164:165], 1.0
	s_delay_alu instid0(VALU_DEP_1) | instskip(NEXT) | instid1(VALU_DEP_1)
	v_mul_f64 v[174:175], v[172:173], v[170:171]
	v_fma_f64 v[166:167], -v[166:167], v[174:175], v[172:173]
	s_delay_alu instid0(VALU_DEP_1) | instskip(NEXT) | instid1(VALU_DEP_1)
	v_div_fmas_f64 v[166:167], v[166:167], v[170:171], v[174:175]
	v_div_fixup_f64 v[172:173], v[166:167], v[164:165], 1.0
	s_delay_alu instid0(VALU_DEP_1)
	v_mul_f64 v[170:171], v[168:169], -v[172:173]
.LBB81_178:
	s_or_b32 exec_lo, exec_lo, s3
	ds_store_2addr_b64 v239, v[172:173], v[170:171] offset1:1
.LBB81_179:
	s_or_b32 exec_lo, exec_lo, s4
	s_waitcnt lgkmcnt(0)
	s_barrier
	buffer_gl0_inv
	ds_load_2addr_b64 v[164:167], v239 offset1:1
	s_mov_b32 s3, exec_lo
	s_waitcnt lgkmcnt(0)
	scratch_store_b128 off, v[164:167], off offset:584 ; 16-byte Folded Spill
	v_cmpx_lt_u32_e32 19, v238
	s_cbranch_execz .LBB81_181
; %bb.180:
	scratch_load_b128 v[166:169], off, off offset:584 ; 16-byte Folded Reload
	s_waitcnt vmcnt(0)
	v_mul_f64 v[164:165], v[168:169], v[86:87]
	v_mul_f64 v[86:87], v[166:167], v[86:87]
	s_delay_alu instid0(VALU_DEP_2) | instskip(NEXT) | instid1(VALU_DEP_2)
	v_fma_f64 v[164:165], v[166:167], v[84:85], -v[164:165]
	v_fma_f64 v[86:87], v[168:169], v[84:85], v[86:87]
	ds_load_2addr_b64 v[166:169], v240 offset0:40 offset1:41
	s_waitcnt lgkmcnt(0)
	v_mul_f64 v[84:85], v[168:169], v[86:87]
	s_delay_alu instid0(VALU_DEP_1) | instskip(SKIP_1) | instid1(VALU_DEP_2)
	v_fma_f64 v[84:85], v[166:167], v[164:165], -v[84:85]
	v_mul_f64 v[166:167], v[166:167], v[86:87]
	v_add_f64 v[80:81], v[80:81], -v[84:85]
	s_delay_alu instid0(VALU_DEP_2) | instskip(NEXT) | instid1(VALU_DEP_1)
	v_fma_f64 v[166:167], v[168:169], v[164:165], v[166:167]
	v_add_f64 v[82:83], v[82:83], -v[166:167]
	ds_load_2addr_b64 v[166:169], v240 offset0:42 offset1:43
	s_waitcnt lgkmcnt(0)
	v_mul_f64 v[84:85], v[168:169], v[86:87]
	s_delay_alu instid0(VALU_DEP_1) | instskip(SKIP_1) | instid1(VALU_DEP_2)
	v_fma_f64 v[84:85], v[166:167], v[164:165], -v[84:85]
	v_mul_f64 v[166:167], v[166:167], v[86:87]
	v_add_f64 v[76:77], v[76:77], -v[84:85]
	s_delay_alu instid0(VALU_DEP_2) | instskip(NEXT) | instid1(VALU_DEP_1)
	v_fma_f64 v[166:167], v[168:169], v[164:165], v[166:167]
	v_add_f64 v[78:79], v[78:79], -v[166:167]
	;; [unrolled: 10-line block ×20, first 2 shown]
	ds_load_2addr_b64 v[166:169], v240 offset0:80 offset1:81
	s_waitcnt lgkmcnt(0)
	v_mul_f64 v[84:85], v[168:169], v[86:87]
	s_delay_alu instid0(VALU_DEP_1) | instskip(SKIP_1) | instid1(VALU_DEP_2)
	v_fma_f64 v[84:85], v[166:167], v[164:165], -v[84:85]
	v_mul_f64 v[166:167], v[166:167], v[86:87]
	v_add_f64 v[0:1], v[0:1], -v[84:85]
	s_delay_alu instid0(VALU_DEP_2) | instskip(SKIP_1) | instid1(VALU_DEP_2)
	v_fma_f64 v[166:167], v[168:169], v[164:165], v[166:167]
	v_dual_mov_b32 v84, v164 :: v_dual_mov_b32 v85, v165
	v_add_f64 v[2:3], v[2:3], -v[166:167]
.LBB81_181:
	s_or_b32 exec_lo, exec_lo, s3
	s_delay_alu instid0(SALU_CYCLE_1)
	s_mov_b32 s4, exec_lo
	s_waitcnt_vscnt null, 0x0
	s_barrier
	buffer_gl0_inv
	v_cmpx_eq_u32_e32 20, v238
	s_cbranch_execz .LBB81_188
; %bb.182:
	ds_store_2addr_b64 v239, v[80:81], v[82:83] offset1:1
	ds_store_2addr_b64 v240, v[76:77], v[78:79] offset0:42 offset1:43
	ds_store_2addr_b64 v240, v[72:73], v[74:75] offset0:44 offset1:45
	;; [unrolled: 1-line block ×20, first 2 shown]
	ds_load_2addr_b64 v[164:167], v239 offset1:1
	s_waitcnt lgkmcnt(0)
	v_cmp_neq_f64_e32 vcc_lo, 0, v[164:165]
	v_cmp_neq_f64_e64 s3, 0, v[166:167]
	s_delay_alu instid0(VALU_DEP_1) | instskip(NEXT) | instid1(SALU_CYCLE_1)
	s_or_b32 s3, vcc_lo, s3
	s_and_b32 exec_lo, exec_lo, s3
	s_cbranch_execz .LBB81_188
; %bb.183:
	v_cmp_gt_f64_e32 vcc_lo, 0, v[164:165]
	v_xor_b32_e32 v168, 0x80000000, v165
	v_xor_b32_e32 v170, 0x80000000, v167
	s_mov_b32 s3, exec_lo
                                        ; implicit-def: $vgpr172_vgpr173
	s_delay_alu instid0(VALU_DEP_2) | instskip(SKIP_4) | instid1(VALU_DEP_1)
	v_cndmask_b32_e32 v169, v165, v168, vcc_lo
	v_cndmask_b32_e32 v168, v164, v164, vcc_lo
	v_cmp_gt_f64_e32 vcc_lo, 0, v[166:167]
	v_cndmask_b32_e32 v171, v167, v170, vcc_lo
	v_cndmask_b32_e32 v170, v166, v166, vcc_lo
	v_cmpx_ngt_f64_e32 v[168:169], v[170:171]
	s_xor_b32 s3, exec_lo, s3
                                        ; implicit-def: $vgpr168_vgpr169_vgpr170_vgpr171
	s_cbranch_execz .LBB81_185
; %bb.184:
	v_div_scale_f64 v[168:169], null, v[166:167], v[166:167], v[164:165]
	v_div_scale_f64 v[174:175], vcc_lo, v[164:165], v[166:167], v[164:165]
	s_delay_alu instid0(VALU_DEP_2) | instskip(SKIP_2) | instid1(VALU_DEP_1)
	v_rcp_f64_e32 v[170:171], v[168:169]
	s_waitcnt_depctr 0xfff
	v_fma_f64 v[172:173], -v[168:169], v[170:171], 1.0
	v_fma_f64 v[170:171], v[170:171], v[172:173], v[170:171]
	s_delay_alu instid0(VALU_DEP_1) | instskip(NEXT) | instid1(VALU_DEP_1)
	v_fma_f64 v[172:173], -v[168:169], v[170:171], 1.0
	v_fma_f64 v[170:171], v[170:171], v[172:173], v[170:171]
	s_delay_alu instid0(VALU_DEP_1) | instskip(NEXT) | instid1(VALU_DEP_1)
	v_mul_f64 v[172:173], v[174:175], v[170:171]
	v_fma_f64 v[168:169], -v[168:169], v[172:173], v[174:175]
	s_delay_alu instid0(VALU_DEP_1) | instskip(NEXT) | instid1(VALU_DEP_1)
	v_div_fmas_f64 v[168:169], v[168:169], v[170:171], v[172:173]
	v_div_fixup_f64 v[168:169], v[168:169], v[166:167], v[164:165]
	s_delay_alu instid0(VALU_DEP_1) | instskip(NEXT) | instid1(VALU_DEP_1)
	v_fma_f64 v[164:165], v[164:165], v[168:169], v[166:167]
	v_div_scale_f64 v[166:167], null, v[164:165], v[164:165], 1.0
	s_delay_alu instid0(VALU_DEP_1) | instskip(SKIP_2) | instid1(VALU_DEP_1)
	v_rcp_f64_e32 v[170:171], v[166:167]
	s_waitcnt_depctr 0xfff
	v_fma_f64 v[172:173], -v[166:167], v[170:171], 1.0
	v_fma_f64 v[170:171], v[170:171], v[172:173], v[170:171]
	s_delay_alu instid0(VALU_DEP_1) | instskip(NEXT) | instid1(VALU_DEP_1)
	v_fma_f64 v[172:173], -v[166:167], v[170:171], 1.0
	v_fma_f64 v[170:171], v[170:171], v[172:173], v[170:171]
	v_div_scale_f64 v[172:173], vcc_lo, 1.0, v[164:165], 1.0
	s_delay_alu instid0(VALU_DEP_1) | instskip(NEXT) | instid1(VALU_DEP_1)
	v_mul_f64 v[174:175], v[172:173], v[170:171]
	v_fma_f64 v[166:167], -v[166:167], v[174:175], v[172:173]
	s_delay_alu instid0(VALU_DEP_1) | instskip(NEXT) | instid1(VALU_DEP_1)
	v_div_fmas_f64 v[166:167], v[166:167], v[170:171], v[174:175]
	v_div_fixup_f64 v[170:171], v[166:167], v[164:165], 1.0
                                        ; implicit-def: $vgpr164_vgpr165
	s_delay_alu instid0(VALU_DEP_1)
	v_mul_f64 v[172:173], v[168:169], v[170:171]
	v_xor_b32_e32 v171, 0x80000000, v171
.LBB81_185:
	s_and_not1_saveexec_b32 s3, s3
	s_cbranch_execz .LBB81_187
; %bb.186:
	v_div_scale_f64 v[168:169], null, v[164:165], v[164:165], v[166:167]
	v_div_scale_f64 v[174:175], vcc_lo, v[166:167], v[164:165], v[166:167]
	s_delay_alu instid0(VALU_DEP_2) | instskip(SKIP_2) | instid1(VALU_DEP_1)
	v_rcp_f64_e32 v[170:171], v[168:169]
	s_waitcnt_depctr 0xfff
	v_fma_f64 v[172:173], -v[168:169], v[170:171], 1.0
	v_fma_f64 v[170:171], v[170:171], v[172:173], v[170:171]
	s_delay_alu instid0(VALU_DEP_1) | instskip(NEXT) | instid1(VALU_DEP_1)
	v_fma_f64 v[172:173], -v[168:169], v[170:171], 1.0
	v_fma_f64 v[170:171], v[170:171], v[172:173], v[170:171]
	s_delay_alu instid0(VALU_DEP_1) | instskip(NEXT) | instid1(VALU_DEP_1)
	v_mul_f64 v[172:173], v[174:175], v[170:171]
	v_fma_f64 v[168:169], -v[168:169], v[172:173], v[174:175]
	s_delay_alu instid0(VALU_DEP_1) | instskip(NEXT) | instid1(VALU_DEP_1)
	v_div_fmas_f64 v[168:169], v[168:169], v[170:171], v[172:173]
	v_div_fixup_f64 v[168:169], v[168:169], v[164:165], v[166:167]
	s_delay_alu instid0(VALU_DEP_1) | instskip(NEXT) | instid1(VALU_DEP_1)
	v_fma_f64 v[164:165], v[166:167], v[168:169], v[164:165]
	v_div_scale_f64 v[166:167], null, v[164:165], v[164:165], 1.0
	s_delay_alu instid0(VALU_DEP_1) | instskip(SKIP_2) | instid1(VALU_DEP_1)
	v_rcp_f64_e32 v[170:171], v[166:167]
	s_waitcnt_depctr 0xfff
	v_fma_f64 v[172:173], -v[166:167], v[170:171], 1.0
	v_fma_f64 v[170:171], v[170:171], v[172:173], v[170:171]
	s_delay_alu instid0(VALU_DEP_1) | instskip(NEXT) | instid1(VALU_DEP_1)
	v_fma_f64 v[172:173], -v[166:167], v[170:171], 1.0
	v_fma_f64 v[170:171], v[170:171], v[172:173], v[170:171]
	v_div_scale_f64 v[172:173], vcc_lo, 1.0, v[164:165], 1.0
	s_delay_alu instid0(VALU_DEP_1) | instskip(NEXT) | instid1(VALU_DEP_1)
	v_mul_f64 v[174:175], v[172:173], v[170:171]
	v_fma_f64 v[166:167], -v[166:167], v[174:175], v[172:173]
	s_delay_alu instid0(VALU_DEP_1) | instskip(NEXT) | instid1(VALU_DEP_1)
	v_div_fmas_f64 v[166:167], v[166:167], v[170:171], v[174:175]
	v_div_fixup_f64 v[172:173], v[166:167], v[164:165], 1.0
	s_delay_alu instid0(VALU_DEP_1)
	v_mul_f64 v[170:171], v[168:169], -v[172:173]
.LBB81_187:
	s_or_b32 exec_lo, exec_lo, s3
	ds_store_2addr_b64 v239, v[172:173], v[170:171] offset1:1
.LBB81_188:
	s_or_b32 exec_lo, exec_lo, s4
	s_waitcnt lgkmcnt(0)
	s_barrier
	buffer_gl0_inv
	ds_load_2addr_b64 v[164:167], v239 offset1:1
	s_mov_b32 s3, exec_lo
	s_waitcnt lgkmcnt(0)
	scratch_store_b128 off, v[164:167], off offset:600 ; 16-byte Folded Spill
	v_cmpx_lt_u32_e32 20, v238
	s_cbranch_execz .LBB81_190
; %bb.189:
	scratch_load_b128 v[166:169], off, off offset:600 ; 16-byte Folded Reload
	s_waitcnt vmcnt(0)
	v_mul_f64 v[164:165], v[168:169], v[82:83]
	v_mul_f64 v[82:83], v[166:167], v[82:83]
	s_delay_alu instid0(VALU_DEP_2) | instskip(NEXT) | instid1(VALU_DEP_2)
	v_fma_f64 v[164:165], v[166:167], v[80:81], -v[164:165]
	v_fma_f64 v[82:83], v[168:169], v[80:81], v[82:83]
	ds_load_2addr_b64 v[166:169], v240 offset0:42 offset1:43
	s_waitcnt lgkmcnt(0)
	v_mul_f64 v[80:81], v[168:169], v[82:83]
	s_delay_alu instid0(VALU_DEP_1) | instskip(SKIP_1) | instid1(VALU_DEP_2)
	v_fma_f64 v[80:81], v[166:167], v[164:165], -v[80:81]
	v_mul_f64 v[166:167], v[166:167], v[82:83]
	v_add_f64 v[76:77], v[76:77], -v[80:81]
	s_delay_alu instid0(VALU_DEP_2) | instskip(NEXT) | instid1(VALU_DEP_1)
	v_fma_f64 v[166:167], v[168:169], v[164:165], v[166:167]
	v_add_f64 v[78:79], v[78:79], -v[166:167]
	ds_load_2addr_b64 v[166:169], v240 offset0:44 offset1:45
	s_waitcnt lgkmcnt(0)
	v_mul_f64 v[80:81], v[168:169], v[82:83]
	s_delay_alu instid0(VALU_DEP_1) | instskip(SKIP_1) | instid1(VALU_DEP_2)
	v_fma_f64 v[80:81], v[166:167], v[164:165], -v[80:81]
	v_mul_f64 v[166:167], v[166:167], v[82:83]
	v_add_f64 v[72:73], v[72:73], -v[80:81]
	s_delay_alu instid0(VALU_DEP_2) | instskip(NEXT) | instid1(VALU_DEP_1)
	v_fma_f64 v[166:167], v[168:169], v[164:165], v[166:167]
	v_add_f64 v[74:75], v[74:75], -v[166:167]
	;; [unrolled: 10-line block ×19, first 2 shown]
	ds_load_2addr_b64 v[166:169], v240 offset0:80 offset1:81
	s_waitcnt lgkmcnt(0)
	v_mul_f64 v[80:81], v[168:169], v[82:83]
	s_delay_alu instid0(VALU_DEP_1) | instskip(SKIP_1) | instid1(VALU_DEP_2)
	v_fma_f64 v[80:81], v[166:167], v[164:165], -v[80:81]
	v_mul_f64 v[166:167], v[166:167], v[82:83]
	v_add_f64 v[0:1], v[0:1], -v[80:81]
	s_delay_alu instid0(VALU_DEP_2) | instskip(SKIP_1) | instid1(VALU_DEP_2)
	v_fma_f64 v[166:167], v[168:169], v[164:165], v[166:167]
	v_dual_mov_b32 v80, v164 :: v_dual_mov_b32 v81, v165
	v_add_f64 v[2:3], v[2:3], -v[166:167]
.LBB81_190:
	s_or_b32 exec_lo, exec_lo, s3
	s_delay_alu instid0(SALU_CYCLE_1)
	s_mov_b32 s4, exec_lo
	s_waitcnt_vscnt null, 0x0
	s_barrier
	buffer_gl0_inv
	v_cmpx_eq_u32_e32 21, v238
	s_cbranch_execz .LBB81_197
; %bb.191:
	ds_store_2addr_b64 v239, v[76:77], v[78:79] offset1:1
	ds_store_2addr_b64 v240, v[72:73], v[74:75] offset0:44 offset1:45
	ds_store_2addr_b64 v240, v[68:69], v[70:71] offset0:46 offset1:47
	;; [unrolled: 1-line block ×19, first 2 shown]
	ds_load_2addr_b64 v[164:167], v239 offset1:1
	s_waitcnt lgkmcnt(0)
	v_cmp_neq_f64_e32 vcc_lo, 0, v[164:165]
	v_cmp_neq_f64_e64 s3, 0, v[166:167]
	s_delay_alu instid0(VALU_DEP_1) | instskip(NEXT) | instid1(SALU_CYCLE_1)
	s_or_b32 s3, vcc_lo, s3
	s_and_b32 exec_lo, exec_lo, s3
	s_cbranch_execz .LBB81_197
; %bb.192:
	v_cmp_gt_f64_e32 vcc_lo, 0, v[164:165]
	v_xor_b32_e32 v168, 0x80000000, v165
	v_xor_b32_e32 v170, 0x80000000, v167
	s_mov_b32 s3, exec_lo
                                        ; implicit-def: $vgpr172_vgpr173
	s_delay_alu instid0(VALU_DEP_2) | instskip(SKIP_4) | instid1(VALU_DEP_1)
	v_cndmask_b32_e32 v169, v165, v168, vcc_lo
	v_cndmask_b32_e32 v168, v164, v164, vcc_lo
	v_cmp_gt_f64_e32 vcc_lo, 0, v[166:167]
	v_cndmask_b32_e32 v171, v167, v170, vcc_lo
	v_cndmask_b32_e32 v170, v166, v166, vcc_lo
	v_cmpx_ngt_f64_e32 v[168:169], v[170:171]
	s_xor_b32 s3, exec_lo, s3
                                        ; implicit-def: $vgpr168_vgpr169_vgpr170_vgpr171
	s_cbranch_execz .LBB81_194
; %bb.193:
	v_div_scale_f64 v[168:169], null, v[166:167], v[166:167], v[164:165]
	v_div_scale_f64 v[174:175], vcc_lo, v[164:165], v[166:167], v[164:165]
	s_delay_alu instid0(VALU_DEP_2) | instskip(SKIP_2) | instid1(VALU_DEP_1)
	v_rcp_f64_e32 v[170:171], v[168:169]
	s_waitcnt_depctr 0xfff
	v_fma_f64 v[172:173], -v[168:169], v[170:171], 1.0
	v_fma_f64 v[170:171], v[170:171], v[172:173], v[170:171]
	s_delay_alu instid0(VALU_DEP_1) | instskip(NEXT) | instid1(VALU_DEP_1)
	v_fma_f64 v[172:173], -v[168:169], v[170:171], 1.0
	v_fma_f64 v[170:171], v[170:171], v[172:173], v[170:171]
	s_delay_alu instid0(VALU_DEP_1) | instskip(NEXT) | instid1(VALU_DEP_1)
	v_mul_f64 v[172:173], v[174:175], v[170:171]
	v_fma_f64 v[168:169], -v[168:169], v[172:173], v[174:175]
	s_delay_alu instid0(VALU_DEP_1) | instskip(NEXT) | instid1(VALU_DEP_1)
	v_div_fmas_f64 v[168:169], v[168:169], v[170:171], v[172:173]
	v_div_fixup_f64 v[168:169], v[168:169], v[166:167], v[164:165]
	s_delay_alu instid0(VALU_DEP_1) | instskip(NEXT) | instid1(VALU_DEP_1)
	v_fma_f64 v[164:165], v[164:165], v[168:169], v[166:167]
	v_div_scale_f64 v[166:167], null, v[164:165], v[164:165], 1.0
	s_delay_alu instid0(VALU_DEP_1) | instskip(SKIP_2) | instid1(VALU_DEP_1)
	v_rcp_f64_e32 v[170:171], v[166:167]
	s_waitcnt_depctr 0xfff
	v_fma_f64 v[172:173], -v[166:167], v[170:171], 1.0
	v_fma_f64 v[170:171], v[170:171], v[172:173], v[170:171]
	s_delay_alu instid0(VALU_DEP_1) | instskip(NEXT) | instid1(VALU_DEP_1)
	v_fma_f64 v[172:173], -v[166:167], v[170:171], 1.0
	v_fma_f64 v[170:171], v[170:171], v[172:173], v[170:171]
	v_div_scale_f64 v[172:173], vcc_lo, 1.0, v[164:165], 1.0
	s_delay_alu instid0(VALU_DEP_1) | instskip(NEXT) | instid1(VALU_DEP_1)
	v_mul_f64 v[174:175], v[172:173], v[170:171]
	v_fma_f64 v[166:167], -v[166:167], v[174:175], v[172:173]
	s_delay_alu instid0(VALU_DEP_1) | instskip(NEXT) | instid1(VALU_DEP_1)
	v_div_fmas_f64 v[166:167], v[166:167], v[170:171], v[174:175]
	v_div_fixup_f64 v[170:171], v[166:167], v[164:165], 1.0
                                        ; implicit-def: $vgpr164_vgpr165
	s_delay_alu instid0(VALU_DEP_1)
	v_mul_f64 v[172:173], v[168:169], v[170:171]
	v_xor_b32_e32 v171, 0x80000000, v171
.LBB81_194:
	s_and_not1_saveexec_b32 s3, s3
	s_cbranch_execz .LBB81_196
; %bb.195:
	v_div_scale_f64 v[168:169], null, v[164:165], v[164:165], v[166:167]
	v_div_scale_f64 v[174:175], vcc_lo, v[166:167], v[164:165], v[166:167]
	s_delay_alu instid0(VALU_DEP_2) | instskip(SKIP_2) | instid1(VALU_DEP_1)
	v_rcp_f64_e32 v[170:171], v[168:169]
	s_waitcnt_depctr 0xfff
	v_fma_f64 v[172:173], -v[168:169], v[170:171], 1.0
	v_fma_f64 v[170:171], v[170:171], v[172:173], v[170:171]
	s_delay_alu instid0(VALU_DEP_1) | instskip(NEXT) | instid1(VALU_DEP_1)
	v_fma_f64 v[172:173], -v[168:169], v[170:171], 1.0
	v_fma_f64 v[170:171], v[170:171], v[172:173], v[170:171]
	s_delay_alu instid0(VALU_DEP_1) | instskip(NEXT) | instid1(VALU_DEP_1)
	v_mul_f64 v[172:173], v[174:175], v[170:171]
	v_fma_f64 v[168:169], -v[168:169], v[172:173], v[174:175]
	s_delay_alu instid0(VALU_DEP_1) | instskip(NEXT) | instid1(VALU_DEP_1)
	v_div_fmas_f64 v[168:169], v[168:169], v[170:171], v[172:173]
	v_div_fixup_f64 v[168:169], v[168:169], v[164:165], v[166:167]
	s_delay_alu instid0(VALU_DEP_1) | instskip(NEXT) | instid1(VALU_DEP_1)
	v_fma_f64 v[164:165], v[166:167], v[168:169], v[164:165]
	v_div_scale_f64 v[166:167], null, v[164:165], v[164:165], 1.0
	s_delay_alu instid0(VALU_DEP_1) | instskip(SKIP_2) | instid1(VALU_DEP_1)
	v_rcp_f64_e32 v[170:171], v[166:167]
	s_waitcnt_depctr 0xfff
	v_fma_f64 v[172:173], -v[166:167], v[170:171], 1.0
	v_fma_f64 v[170:171], v[170:171], v[172:173], v[170:171]
	s_delay_alu instid0(VALU_DEP_1) | instskip(NEXT) | instid1(VALU_DEP_1)
	v_fma_f64 v[172:173], -v[166:167], v[170:171], 1.0
	v_fma_f64 v[170:171], v[170:171], v[172:173], v[170:171]
	v_div_scale_f64 v[172:173], vcc_lo, 1.0, v[164:165], 1.0
	s_delay_alu instid0(VALU_DEP_1) | instskip(NEXT) | instid1(VALU_DEP_1)
	v_mul_f64 v[174:175], v[172:173], v[170:171]
	v_fma_f64 v[166:167], -v[166:167], v[174:175], v[172:173]
	s_delay_alu instid0(VALU_DEP_1) | instskip(NEXT) | instid1(VALU_DEP_1)
	v_div_fmas_f64 v[166:167], v[166:167], v[170:171], v[174:175]
	v_div_fixup_f64 v[172:173], v[166:167], v[164:165], 1.0
	s_delay_alu instid0(VALU_DEP_1)
	v_mul_f64 v[170:171], v[168:169], -v[172:173]
.LBB81_196:
	s_or_b32 exec_lo, exec_lo, s3
	ds_store_2addr_b64 v239, v[172:173], v[170:171] offset1:1
.LBB81_197:
	s_or_b32 exec_lo, exec_lo, s4
	s_waitcnt lgkmcnt(0)
	s_barrier
	buffer_gl0_inv
	ds_load_2addr_b64 v[164:167], v239 offset1:1
	s_mov_b32 s3, exec_lo
	s_waitcnt lgkmcnt(0)
	scratch_store_b128 off, v[164:167], off offset:616 ; 16-byte Folded Spill
	v_cmpx_lt_u32_e32 21, v238
	s_cbranch_execz .LBB81_199
; %bb.198:
	scratch_load_b128 v[166:169], off, off offset:616 ; 16-byte Folded Reload
	s_waitcnt vmcnt(0)
	v_mul_f64 v[164:165], v[168:169], v[78:79]
	v_mul_f64 v[78:79], v[166:167], v[78:79]
	s_delay_alu instid0(VALU_DEP_2) | instskip(NEXT) | instid1(VALU_DEP_2)
	v_fma_f64 v[164:165], v[166:167], v[76:77], -v[164:165]
	v_fma_f64 v[78:79], v[168:169], v[76:77], v[78:79]
	ds_load_2addr_b64 v[166:169], v240 offset0:44 offset1:45
	s_waitcnt lgkmcnt(0)
	v_mul_f64 v[76:77], v[168:169], v[78:79]
	s_delay_alu instid0(VALU_DEP_1) | instskip(SKIP_1) | instid1(VALU_DEP_2)
	v_fma_f64 v[76:77], v[166:167], v[164:165], -v[76:77]
	v_mul_f64 v[166:167], v[166:167], v[78:79]
	v_add_f64 v[72:73], v[72:73], -v[76:77]
	s_delay_alu instid0(VALU_DEP_2) | instskip(NEXT) | instid1(VALU_DEP_1)
	v_fma_f64 v[166:167], v[168:169], v[164:165], v[166:167]
	v_add_f64 v[74:75], v[74:75], -v[166:167]
	ds_load_2addr_b64 v[166:169], v240 offset0:46 offset1:47
	s_waitcnt lgkmcnt(0)
	v_mul_f64 v[76:77], v[168:169], v[78:79]
	s_delay_alu instid0(VALU_DEP_1) | instskip(SKIP_1) | instid1(VALU_DEP_2)
	v_fma_f64 v[76:77], v[166:167], v[164:165], -v[76:77]
	v_mul_f64 v[166:167], v[166:167], v[78:79]
	v_add_f64 v[68:69], v[68:69], -v[76:77]
	s_delay_alu instid0(VALU_DEP_2) | instskip(NEXT) | instid1(VALU_DEP_1)
	v_fma_f64 v[166:167], v[168:169], v[164:165], v[166:167]
	v_add_f64 v[70:71], v[70:71], -v[166:167]
	;; [unrolled: 10-line block ×18, first 2 shown]
	ds_load_2addr_b64 v[166:169], v240 offset0:80 offset1:81
	s_waitcnt lgkmcnt(0)
	v_mul_f64 v[76:77], v[168:169], v[78:79]
	s_delay_alu instid0(VALU_DEP_1) | instskip(SKIP_1) | instid1(VALU_DEP_2)
	v_fma_f64 v[76:77], v[166:167], v[164:165], -v[76:77]
	v_mul_f64 v[166:167], v[166:167], v[78:79]
	v_add_f64 v[0:1], v[0:1], -v[76:77]
	s_delay_alu instid0(VALU_DEP_2) | instskip(SKIP_1) | instid1(VALU_DEP_2)
	v_fma_f64 v[166:167], v[168:169], v[164:165], v[166:167]
	v_dual_mov_b32 v76, v164 :: v_dual_mov_b32 v77, v165
	v_add_f64 v[2:3], v[2:3], -v[166:167]
.LBB81_199:
	s_or_b32 exec_lo, exec_lo, s3
	s_delay_alu instid0(SALU_CYCLE_1)
	s_mov_b32 s4, exec_lo
	s_waitcnt_vscnt null, 0x0
	s_barrier
	buffer_gl0_inv
	v_cmpx_eq_u32_e32 22, v238
	s_cbranch_execz .LBB81_206
; %bb.200:
	ds_store_2addr_b64 v239, v[72:73], v[74:75] offset1:1
	ds_store_2addr_b64 v240, v[68:69], v[70:71] offset0:46 offset1:47
	ds_store_2addr_b64 v240, v[64:65], v[66:67] offset0:48 offset1:49
	;; [unrolled: 1-line block ×18, first 2 shown]
	ds_load_2addr_b64 v[164:167], v239 offset1:1
	s_waitcnt lgkmcnt(0)
	v_cmp_neq_f64_e32 vcc_lo, 0, v[164:165]
	v_cmp_neq_f64_e64 s3, 0, v[166:167]
	s_delay_alu instid0(VALU_DEP_1) | instskip(NEXT) | instid1(SALU_CYCLE_1)
	s_or_b32 s3, vcc_lo, s3
	s_and_b32 exec_lo, exec_lo, s3
	s_cbranch_execz .LBB81_206
; %bb.201:
	v_cmp_gt_f64_e32 vcc_lo, 0, v[164:165]
	v_xor_b32_e32 v168, 0x80000000, v165
	v_xor_b32_e32 v170, 0x80000000, v167
	s_mov_b32 s3, exec_lo
                                        ; implicit-def: $vgpr172_vgpr173
	s_delay_alu instid0(VALU_DEP_2) | instskip(SKIP_4) | instid1(VALU_DEP_1)
	v_cndmask_b32_e32 v169, v165, v168, vcc_lo
	v_cndmask_b32_e32 v168, v164, v164, vcc_lo
	v_cmp_gt_f64_e32 vcc_lo, 0, v[166:167]
	v_cndmask_b32_e32 v171, v167, v170, vcc_lo
	v_cndmask_b32_e32 v170, v166, v166, vcc_lo
	v_cmpx_ngt_f64_e32 v[168:169], v[170:171]
	s_xor_b32 s3, exec_lo, s3
                                        ; implicit-def: $vgpr168_vgpr169_vgpr170_vgpr171
	s_cbranch_execz .LBB81_203
; %bb.202:
	v_div_scale_f64 v[168:169], null, v[166:167], v[166:167], v[164:165]
	v_div_scale_f64 v[174:175], vcc_lo, v[164:165], v[166:167], v[164:165]
	s_delay_alu instid0(VALU_DEP_2) | instskip(SKIP_2) | instid1(VALU_DEP_1)
	v_rcp_f64_e32 v[170:171], v[168:169]
	s_waitcnt_depctr 0xfff
	v_fma_f64 v[172:173], -v[168:169], v[170:171], 1.0
	v_fma_f64 v[170:171], v[170:171], v[172:173], v[170:171]
	s_delay_alu instid0(VALU_DEP_1) | instskip(NEXT) | instid1(VALU_DEP_1)
	v_fma_f64 v[172:173], -v[168:169], v[170:171], 1.0
	v_fma_f64 v[170:171], v[170:171], v[172:173], v[170:171]
	s_delay_alu instid0(VALU_DEP_1) | instskip(NEXT) | instid1(VALU_DEP_1)
	v_mul_f64 v[172:173], v[174:175], v[170:171]
	v_fma_f64 v[168:169], -v[168:169], v[172:173], v[174:175]
	s_delay_alu instid0(VALU_DEP_1) | instskip(NEXT) | instid1(VALU_DEP_1)
	v_div_fmas_f64 v[168:169], v[168:169], v[170:171], v[172:173]
	v_div_fixup_f64 v[168:169], v[168:169], v[166:167], v[164:165]
	s_delay_alu instid0(VALU_DEP_1) | instskip(NEXT) | instid1(VALU_DEP_1)
	v_fma_f64 v[164:165], v[164:165], v[168:169], v[166:167]
	v_div_scale_f64 v[166:167], null, v[164:165], v[164:165], 1.0
	s_delay_alu instid0(VALU_DEP_1) | instskip(SKIP_2) | instid1(VALU_DEP_1)
	v_rcp_f64_e32 v[170:171], v[166:167]
	s_waitcnt_depctr 0xfff
	v_fma_f64 v[172:173], -v[166:167], v[170:171], 1.0
	v_fma_f64 v[170:171], v[170:171], v[172:173], v[170:171]
	s_delay_alu instid0(VALU_DEP_1) | instskip(NEXT) | instid1(VALU_DEP_1)
	v_fma_f64 v[172:173], -v[166:167], v[170:171], 1.0
	v_fma_f64 v[170:171], v[170:171], v[172:173], v[170:171]
	v_div_scale_f64 v[172:173], vcc_lo, 1.0, v[164:165], 1.0
	s_delay_alu instid0(VALU_DEP_1) | instskip(NEXT) | instid1(VALU_DEP_1)
	v_mul_f64 v[174:175], v[172:173], v[170:171]
	v_fma_f64 v[166:167], -v[166:167], v[174:175], v[172:173]
	s_delay_alu instid0(VALU_DEP_1) | instskip(NEXT) | instid1(VALU_DEP_1)
	v_div_fmas_f64 v[166:167], v[166:167], v[170:171], v[174:175]
	v_div_fixup_f64 v[170:171], v[166:167], v[164:165], 1.0
                                        ; implicit-def: $vgpr164_vgpr165
	s_delay_alu instid0(VALU_DEP_1)
	v_mul_f64 v[172:173], v[168:169], v[170:171]
	v_xor_b32_e32 v171, 0x80000000, v171
.LBB81_203:
	s_and_not1_saveexec_b32 s3, s3
	s_cbranch_execz .LBB81_205
; %bb.204:
	v_div_scale_f64 v[168:169], null, v[164:165], v[164:165], v[166:167]
	v_div_scale_f64 v[174:175], vcc_lo, v[166:167], v[164:165], v[166:167]
	s_delay_alu instid0(VALU_DEP_2) | instskip(SKIP_2) | instid1(VALU_DEP_1)
	v_rcp_f64_e32 v[170:171], v[168:169]
	s_waitcnt_depctr 0xfff
	v_fma_f64 v[172:173], -v[168:169], v[170:171], 1.0
	v_fma_f64 v[170:171], v[170:171], v[172:173], v[170:171]
	s_delay_alu instid0(VALU_DEP_1) | instskip(NEXT) | instid1(VALU_DEP_1)
	v_fma_f64 v[172:173], -v[168:169], v[170:171], 1.0
	v_fma_f64 v[170:171], v[170:171], v[172:173], v[170:171]
	s_delay_alu instid0(VALU_DEP_1) | instskip(NEXT) | instid1(VALU_DEP_1)
	v_mul_f64 v[172:173], v[174:175], v[170:171]
	v_fma_f64 v[168:169], -v[168:169], v[172:173], v[174:175]
	s_delay_alu instid0(VALU_DEP_1) | instskip(NEXT) | instid1(VALU_DEP_1)
	v_div_fmas_f64 v[168:169], v[168:169], v[170:171], v[172:173]
	v_div_fixup_f64 v[168:169], v[168:169], v[164:165], v[166:167]
	s_delay_alu instid0(VALU_DEP_1) | instskip(NEXT) | instid1(VALU_DEP_1)
	v_fma_f64 v[164:165], v[166:167], v[168:169], v[164:165]
	v_div_scale_f64 v[166:167], null, v[164:165], v[164:165], 1.0
	s_delay_alu instid0(VALU_DEP_1) | instskip(SKIP_2) | instid1(VALU_DEP_1)
	v_rcp_f64_e32 v[170:171], v[166:167]
	s_waitcnt_depctr 0xfff
	v_fma_f64 v[172:173], -v[166:167], v[170:171], 1.0
	v_fma_f64 v[170:171], v[170:171], v[172:173], v[170:171]
	s_delay_alu instid0(VALU_DEP_1) | instskip(NEXT) | instid1(VALU_DEP_1)
	v_fma_f64 v[172:173], -v[166:167], v[170:171], 1.0
	v_fma_f64 v[170:171], v[170:171], v[172:173], v[170:171]
	v_div_scale_f64 v[172:173], vcc_lo, 1.0, v[164:165], 1.0
	s_delay_alu instid0(VALU_DEP_1) | instskip(NEXT) | instid1(VALU_DEP_1)
	v_mul_f64 v[174:175], v[172:173], v[170:171]
	v_fma_f64 v[166:167], -v[166:167], v[174:175], v[172:173]
	s_delay_alu instid0(VALU_DEP_1) | instskip(NEXT) | instid1(VALU_DEP_1)
	v_div_fmas_f64 v[166:167], v[166:167], v[170:171], v[174:175]
	v_div_fixup_f64 v[172:173], v[166:167], v[164:165], 1.0
	s_delay_alu instid0(VALU_DEP_1)
	v_mul_f64 v[170:171], v[168:169], -v[172:173]
.LBB81_205:
	s_or_b32 exec_lo, exec_lo, s3
	ds_store_2addr_b64 v239, v[172:173], v[170:171] offset1:1
.LBB81_206:
	s_or_b32 exec_lo, exec_lo, s4
	s_waitcnt lgkmcnt(0)
	s_barrier
	buffer_gl0_inv
	ds_load_2addr_b64 v[164:167], v239 offset1:1
	s_mov_b32 s3, exec_lo
	s_waitcnt lgkmcnt(0)
	scratch_store_b128 off, v[164:167], off offset:632 ; 16-byte Folded Spill
	v_cmpx_lt_u32_e32 22, v238
	s_cbranch_execz .LBB81_208
; %bb.207:
	scratch_load_b128 v[166:169], off, off offset:632 ; 16-byte Folded Reload
	s_waitcnt vmcnt(0)
	v_mul_f64 v[164:165], v[168:169], v[74:75]
	v_mul_f64 v[74:75], v[166:167], v[74:75]
	s_delay_alu instid0(VALU_DEP_2) | instskip(NEXT) | instid1(VALU_DEP_2)
	v_fma_f64 v[164:165], v[166:167], v[72:73], -v[164:165]
	v_fma_f64 v[74:75], v[168:169], v[72:73], v[74:75]
	ds_load_2addr_b64 v[166:169], v240 offset0:46 offset1:47
	s_waitcnt lgkmcnt(0)
	v_mul_f64 v[72:73], v[168:169], v[74:75]
	s_delay_alu instid0(VALU_DEP_1) | instskip(SKIP_1) | instid1(VALU_DEP_2)
	v_fma_f64 v[72:73], v[166:167], v[164:165], -v[72:73]
	v_mul_f64 v[166:167], v[166:167], v[74:75]
	v_add_f64 v[68:69], v[68:69], -v[72:73]
	s_delay_alu instid0(VALU_DEP_2) | instskip(NEXT) | instid1(VALU_DEP_1)
	v_fma_f64 v[166:167], v[168:169], v[164:165], v[166:167]
	v_add_f64 v[70:71], v[70:71], -v[166:167]
	ds_load_2addr_b64 v[166:169], v240 offset0:48 offset1:49
	s_waitcnt lgkmcnt(0)
	v_mul_f64 v[72:73], v[168:169], v[74:75]
	s_delay_alu instid0(VALU_DEP_1) | instskip(SKIP_1) | instid1(VALU_DEP_2)
	v_fma_f64 v[72:73], v[166:167], v[164:165], -v[72:73]
	v_mul_f64 v[166:167], v[166:167], v[74:75]
	v_add_f64 v[64:65], v[64:65], -v[72:73]
	s_delay_alu instid0(VALU_DEP_2) | instskip(NEXT) | instid1(VALU_DEP_1)
	v_fma_f64 v[166:167], v[168:169], v[164:165], v[166:167]
	v_add_f64 v[66:67], v[66:67], -v[166:167]
	ds_load_2addr_b64 v[166:169], v240 offset0:50 offset1:51
	s_waitcnt lgkmcnt(0)
	v_mul_f64 v[72:73], v[168:169], v[74:75]
	s_delay_alu instid0(VALU_DEP_1) | instskip(SKIP_1) | instid1(VALU_DEP_2)
	v_fma_f64 v[72:73], v[166:167], v[164:165], -v[72:73]
	v_mul_f64 v[166:167], v[166:167], v[74:75]
	v_add_f64 v[60:61], v[60:61], -v[72:73]
	s_delay_alu instid0(VALU_DEP_2) | instskip(NEXT) | instid1(VALU_DEP_1)
	v_fma_f64 v[166:167], v[168:169], v[164:165], v[166:167]
	v_add_f64 v[62:63], v[62:63], -v[166:167]
	ds_load_2addr_b64 v[166:169], v240 offset0:52 offset1:53
	s_waitcnt lgkmcnt(0)
	v_mul_f64 v[72:73], v[168:169], v[74:75]
	s_delay_alu instid0(VALU_DEP_1) | instskip(SKIP_1) | instid1(VALU_DEP_2)
	v_fma_f64 v[72:73], v[166:167], v[164:165], -v[72:73]
	v_mul_f64 v[166:167], v[166:167], v[74:75]
	v_add_f64 v[56:57], v[56:57], -v[72:73]
	s_delay_alu instid0(VALU_DEP_2) | instskip(NEXT) | instid1(VALU_DEP_1)
	v_fma_f64 v[166:167], v[168:169], v[164:165], v[166:167]
	v_add_f64 v[58:59], v[58:59], -v[166:167]
	ds_load_2addr_b64 v[166:169], v240 offset0:54 offset1:55
	s_waitcnt lgkmcnt(0)
	v_mul_f64 v[72:73], v[168:169], v[74:75]
	s_delay_alu instid0(VALU_DEP_1) | instskip(SKIP_1) | instid1(VALU_DEP_2)
	v_fma_f64 v[72:73], v[166:167], v[164:165], -v[72:73]
	v_mul_f64 v[166:167], v[166:167], v[74:75]
	v_add_f64 v[52:53], v[52:53], -v[72:73]
	s_delay_alu instid0(VALU_DEP_2) | instskip(NEXT) | instid1(VALU_DEP_1)
	v_fma_f64 v[166:167], v[168:169], v[164:165], v[166:167]
	v_add_f64 v[54:55], v[54:55], -v[166:167]
	ds_load_2addr_b64 v[166:169], v240 offset0:56 offset1:57
	s_waitcnt lgkmcnt(0)
	v_mul_f64 v[72:73], v[168:169], v[74:75]
	s_delay_alu instid0(VALU_DEP_1) | instskip(SKIP_1) | instid1(VALU_DEP_2)
	v_fma_f64 v[72:73], v[166:167], v[164:165], -v[72:73]
	v_mul_f64 v[166:167], v[166:167], v[74:75]
	v_add_f64 v[48:49], v[48:49], -v[72:73]
	s_delay_alu instid0(VALU_DEP_2) | instskip(NEXT) | instid1(VALU_DEP_1)
	v_fma_f64 v[166:167], v[168:169], v[164:165], v[166:167]
	v_add_f64 v[50:51], v[50:51], -v[166:167]
	ds_load_2addr_b64 v[166:169], v240 offset0:58 offset1:59
	s_waitcnt lgkmcnt(0)
	v_mul_f64 v[72:73], v[168:169], v[74:75]
	s_delay_alu instid0(VALU_DEP_1) | instskip(SKIP_1) | instid1(VALU_DEP_2)
	v_fma_f64 v[72:73], v[166:167], v[164:165], -v[72:73]
	v_mul_f64 v[166:167], v[166:167], v[74:75]
	v_add_f64 v[44:45], v[44:45], -v[72:73]
	s_delay_alu instid0(VALU_DEP_2) | instskip(NEXT) | instid1(VALU_DEP_1)
	v_fma_f64 v[166:167], v[168:169], v[164:165], v[166:167]
	v_add_f64 v[46:47], v[46:47], -v[166:167]
	ds_load_2addr_b64 v[166:169], v240 offset0:60 offset1:61
	s_waitcnt lgkmcnt(0)
	v_mul_f64 v[72:73], v[168:169], v[74:75]
	s_delay_alu instid0(VALU_DEP_1) | instskip(SKIP_1) | instid1(VALU_DEP_2)
	v_fma_f64 v[72:73], v[166:167], v[164:165], -v[72:73]
	v_mul_f64 v[166:167], v[166:167], v[74:75]
	v_add_f64 v[40:41], v[40:41], -v[72:73]
	s_delay_alu instid0(VALU_DEP_2) | instskip(NEXT) | instid1(VALU_DEP_1)
	v_fma_f64 v[166:167], v[168:169], v[164:165], v[166:167]
	v_add_f64 v[42:43], v[42:43], -v[166:167]
	ds_load_2addr_b64 v[166:169], v240 offset0:62 offset1:63
	s_waitcnt lgkmcnt(0)
	v_mul_f64 v[72:73], v[168:169], v[74:75]
	s_delay_alu instid0(VALU_DEP_1) | instskip(SKIP_1) | instid1(VALU_DEP_2)
	v_fma_f64 v[72:73], v[166:167], v[164:165], -v[72:73]
	v_mul_f64 v[166:167], v[166:167], v[74:75]
	v_add_f64 v[36:37], v[36:37], -v[72:73]
	s_delay_alu instid0(VALU_DEP_2) | instskip(NEXT) | instid1(VALU_DEP_1)
	v_fma_f64 v[166:167], v[168:169], v[164:165], v[166:167]
	v_add_f64 v[38:39], v[38:39], -v[166:167]
	ds_load_2addr_b64 v[166:169], v240 offset0:64 offset1:65
	s_waitcnt lgkmcnt(0)
	v_mul_f64 v[72:73], v[168:169], v[74:75]
	s_delay_alu instid0(VALU_DEP_1) | instskip(SKIP_1) | instid1(VALU_DEP_2)
	v_fma_f64 v[72:73], v[166:167], v[164:165], -v[72:73]
	v_mul_f64 v[166:167], v[166:167], v[74:75]
	v_add_f64 v[32:33], v[32:33], -v[72:73]
	s_delay_alu instid0(VALU_DEP_2) | instskip(NEXT) | instid1(VALU_DEP_1)
	v_fma_f64 v[166:167], v[168:169], v[164:165], v[166:167]
	v_add_f64 v[34:35], v[34:35], -v[166:167]
	ds_load_2addr_b64 v[166:169], v240 offset0:66 offset1:67
	s_waitcnt lgkmcnt(0)
	v_mul_f64 v[72:73], v[168:169], v[74:75]
	s_delay_alu instid0(VALU_DEP_1) | instskip(SKIP_1) | instid1(VALU_DEP_2)
	v_fma_f64 v[72:73], v[166:167], v[164:165], -v[72:73]
	v_mul_f64 v[166:167], v[166:167], v[74:75]
	v_add_f64 v[28:29], v[28:29], -v[72:73]
	s_delay_alu instid0(VALU_DEP_2) | instskip(NEXT) | instid1(VALU_DEP_1)
	v_fma_f64 v[166:167], v[168:169], v[164:165], v[166:167]
	v_add_f64 v[30:31], v[30:31], -v[166:167]
	ds_load_2addr_b64 v[166:169], v240 offset0:68 offset1:69
	s_waitcnt lgkmcnt(0)
	v_mul_f64 v[72:73], v[168:169], v[74:75]
	s_delay_alu instid0(VALU_DEP_1) | instskip(SKIP_1) | instid1(VALU_DEP_2)
	v_fma_f64 v[72:73], v[166:167], v[164:165], -v[72:73]
	v_mul_f64 v[166:167], v[166:167], v[74:75]
	v_add_f64 v[24:25], v[24:25], -v[72:73]
	s_delay_alu instid0(VALU_DEP_2) | instskip(NEXT) | instid1(VALU_DEP_1)
	v_fma_f64 v[166:167], v[168:169], v[164:165], v[166:167]
	v_add_f64 v[26:27], v[26:27], -v[166:167]
	ds_load_2addr_b64 v[166:169], v240 offset0:70 offset1:71
	s_waitcnt lgkmcnt(0)
	v_mul_f64 v[72:73], v[168:169], v[74:75]
	s_delay_alu instid0(VALU_DEP_1) | instskip(SKIP_1) | instid1(VALU_DEP_2)
	v_fma_f64 v[72:73], v[166:167], v[164:165], -v[72:73]
	v_mul_f64 v[166:167], v[166:167], v[74:75]
	v_add_f64 v[20:21], v[20:21], -v[72:73]
	s_delay_alu instid0(VALU_DEP_2) | instskip(NEXT) | instid1(VALU_DEP_1)
	v_fma_f64 v[166:167], v[168:169], v[164:165], v[166:167]
	v_add_f64 v[22:23], v[22:23], -v[166:167]
	ds_load_2addr_b64 v[166:169], v240 offset0:72 offset1:73
	s_waitcnt lgkmcnt(0)
	v_mul_f64 v[72:73], v[168:169], v[74:75]
	s_delay_alu instid0(VALU_DEP_1) | instskip(SKIP_1) | instid1(VALU_DEP_2)
	v_fma_f64 v[72:73], v[166:167], v[164:165], -v[72:73]
	v_mul_f64 v[166:167], v[166:167], v[74:75]
	v_add_f64 v[16:17], v[16:17], -v[72:73]
	s_delay_alu instid0(VALU_DEP_2) | instskip(NEXT) | instid1(VALU_DEP_1)
	v_fma_f64 v[166:167], v[168:169], v[164:165], v[166:167]
	v_add_f64 v[18:19], v[18:19], -v[166:167]
	ds_load_2addr_b64 v[166:169], v240 offset0:74 offset1:75
	s_waitcnt lgkmcnt(0)
	v_mul_f64 v[72:73], v[168:169], v[74:75]
	s_delay_alu instid0(VALU_DEP_1) | instskip(SKIP_1) | instid1(VALU_DEP_2)
	v_fma_f64 v[72:73], v[166:167], v[164:165], -v[72:73]
	v_mul_f64 v[166:167], v[166:167], v[74:75]
	v_add_f64 v[12:13], v[12:13], -v[72:73]
	s_delay_alu instid0(VALU_DEP_2) | instskip(NEXT) | instid1(VALU_DEP_1)
	v_fma_f64 v[166:167], v[168:169], v[164:165], v[166:167]
	v_add_f64 v[14:15], v[14:15], -v[166:167]
	ds_load_2addr_b64 v[166:169], v240 offset0:76 offset1:77
	s_waitcnt lgkmcnt(0)
	v_mul_f64 v[72:73], v[168:169], v[74:75]
	s_delay_alu instid0(VALU_DEP_1) | instskip(SKIP_1) | instid1(VALU_DEP_2)
	v_fma_f64 v[72:73], v[166:167], v[164:165], -v[72:73]
	v_mul_f64 v[166:167], v[166:167], v[74:75]
	v_add_f64 v[8:9], v[8:9], -v[72:73]
	s_delay_alu instid0(VALU_DEP_2) | instskip(NEXT) | instid1(VALU_DEP_1)
	v_fma_f64 v[166:167], v[168:169], v[164:165], v[166:167]
	v_add_f64 v[10:11], v[10:11], -v[166:167]
	ds_load_2addr_b64 v[166:169], v240 offset0:78 offset1:79
	s_waitcnt lgkmcnt(0)
	v_mul_f64 v[72:73], v[168:169], v[74:75]
	s_delay_alu instid0(VALU_DEP_1) | instskip(SKIP_1) | instid1(VALU_DEP_2)
	v_fma_f64 v[72:73], v[166:167], v[164:165], -v[72:73]
	v_mul_f64 v[166:167], v[166:167], v[74:75]
	v_add_f64 v[4:5], v[4:5], -v[72:73]
	s_delay_alu instid0(VALU_DEP_2) | instskip(NEXT) | instid1(VALU_DEP_1)
	v_fma_f64 v[166:167], v[168:169], v[164:165], v[166:167]
	v_add_f64 v[6:7], v[6:7], -v[166:167]
	ds_load_2addr_b64 v[166:169], v240 offset0:80 offset1:81
	s_waitcnt lgkmcnt(0)
	v_mul_f64 v[72:73], v[168:169], v[74:75]
	s_delay_alu instid0(VALU_DEP_1) | instskip(SKIP_1) | instid1(VALU_DEP_2)
	v_fma_f64 v[72:73], v[166:167], v[164:165], -v[72:73]
	v_mul_f64 v[166:167], v[166:167], v[74:75]
	v_add_f64 v[0:1], v[0:1], -v[72:73]
	s_delay_alu instid0(VALU_DEP_2) | instskip(SKIP_1) | instid1(VALU_DEP_2)
	v_fma_f64 v[166:167], v[168:169], v[164:165], v[166:167]
	v_dual_mov_b32 v72, v164 :: v_dual_mov_b32 v73, v165
	v_add_f64 v[2:3], v[2:3], -v[166:167]
.LBB81_208:
	s_or_b32 exec_lo, exec_lo, s3
	s_delay_alu instid0(SALU_CYCLE_1)
	s_mov_b32 s4, exec_lo
	s_waitcnt_vscnt null, 0x0
	s_barrier
	buffer_gl0_inv
	v_cmpx_eq_u32_e32 23, v238
	s_cbranch_execz .LBB81_215
; %bb.209:
	ds_store_2addr_b64 v239, v[68:69], v[70:71] offset1:1
	ds_store_2addr_b64 v240, v[64:65], v[66:67] offset0:48 offset1:49
	ds_store_2addr_b64 v240, v[60:61], v[62:63] offset0:50 offset1:51
	;; [unrolled: 1-line block ×17, first 2 shown]
	ds_load_2addr_b64 v[164:167], v239 offset1:1
	s_waitcnt lgkmcnt(0)
	v_cmp_neq_f64_e32 vcc_lo, 0, v[164:165]
	v_cmp_neq_f64_e64 s3, 0, v[166:167]
	s_delay_alu instid0(VALU_DEP_1) | instskip(NEXT) | instid1(SALU_CYCLE_1)
	s_or_b32 s3, vcc_lo, s3
	s_and_b32 exec_lo, exec_lo, s3
	s_cbranch_execz .LBB81_215
; %bb.210:
	v_cmp_gt_f64_e32 vcc_lo, 0, v[164:165]
	v_xor_b32_e32 v168, 0x80000000, v165
	v_xor_b32_e32 v170, 0x80000000, v167
	s_mov_b32 s3, exec_lo
                                        ; implicit-def: $vgpr172_vgpr173
	s_delay_alu instid0(VALU_DEP_2) | instskip(SKIP_4) | instid1(VALU_DEP_1)
	v_cndmask_b32_e32 v169, v165, v168, vcc_lo
	v_cndmask_b32_e32 v168, v164, v164, vcc_lo
	v_cmp_gt_f64_e32 vcc_lo, 0, v[166:167]
	v_cndmask_b32_e32 v171, v167, v170, vcc_lo
	v_cndmask_b32_e32 v170, v166, v166, vcc_lo
	v_cmpx_ngt_f64_e32 v[168:169], v[170:171]
	s_xor_b32 s3, exec_lo, s3
                                        ; implicit-def: $vgpr168_vgpr169_vgpr170_vgpr171
	s_cbranch_execz .LBB81_212
; %bb.211:
	v_div_scale_f64 v[168:169], null, v[166:167], v[166:167], v[164:165]
	v_div_scale_f64 v[174:175], vcc_lo, v[164:165], v[166:167], v[164:165]
	s_delay_alu instid0(VALU_DEP_2) | instskip(SKIP_2) | instid1(VALU_DEP_1)
	v_rcp_f64_e32 v[170:171], v[168:169]
	s_waitcnt_depctr 0xfff
	v_fma_f64 v[172:173], -v[168:169], v[170:171], 1.0
	v_fma_f64 v[170:171], v[170:171], v[172:173], v[170:171]
	s_delay_alu instid0(VALU_DEP_1) | instskip(NEXT) | instid1(VALU_DEP_1)
	v_fma_f64 v[172:173], -v[168:169], v[170:171], 1.0
	v_fma_f64 v[170:171], v[170:171], v[172:173], v[170:171]
	s_delay_alu instid0(VALU_DEP_1) | instskip(NEXT) | instid1(VALU_DEP_1)
	v_mul_f64 v[172:173], v[174:175], v[170:171]
	v_fma_f64 v[168:169], -v[168:169], v[172:173], v[174:175]
	s_delay_alu instid0(VALU_DEP_1) | instskip(NEXT) | instid1(VALU_DEP_1)
	v_div_fmas_f64 v[168:169], v[168:169], v[170:171], v[172:173]
	v_div_fixup_f64 v[168:169], v[168:169], v[166:167], v[164:165]
	s_delay_alu instid0(VALU_DEP_1) | instskip(NEXT) | instid1(VALU_DEP_1)
	v_fma_f64 v[164:165], v[164:165], v[168:169], v[166:167]
	v_div_scale_f64 v[166:167], null, v[164:165], v[164:165], 1.0
	s_delay_alu instid0(VALU_DEP_1) | instskip(SKIP_2) | instid1(VALU_DEP_1)
	v_rcp_f64_e32 v[170:171], v[166:167]
	s_waitcnt_depctr 0xfff
	v_fma_f64 v[172:173], -v[166:167], v[170:171], 1.0
	v_fma_f64 v[170:171], v[170:171], v[172:173], v[170:171]
	s_delay_alu instid0(VALU_DEP_1) | instskip(NEXT) | instid1(VALU_DEP_1)
	v_fma_f64 v[172:173], -v[166:167], v[170:171], 1.0
	v_fma_f64 v[170:171], v[170:171], v[172:173], v[170:171]
	v_div_scale_f64 v[172:173], vcc_lo, 1.0, v[164:165], 1.0
	s_delay_alu instid0(VALU_DEP_1) | instskip(NEXT) | instid1(VALU_DEP_1)
	v_mul_f64 v[174:175], v[172:173], v[170:171]
	v_fma_f64 v[166:167], -v[166:167], v[174:175], v[172:173]
	s_delay_alu instid0(VALU_DEP_1) | instskip(NEXT) | instid1(VALU_DEP_1)
	v_div_fmas_f64 v[166:167], v[166:167], v[170:171], v[174:175]
	v_div_fixup_f64 v[170:171], v[166:167], v[164:165], 1.0
                                        ; implicit-def: $vgpr164_vgpr165
	s_delay_alu instid0(VALU_DEP_1)
	v_mul_f64 v[172:173], v[168:169], v[170:171]
	v_xor_b32_e32 v171, 0x80000000, v171
.LBB81_212:
	s_and_not1_saveexec_b32 s3, s3
	s_cbranch_execz .LBB81_214
; %bb.213:
	v_div_scale_f64 v[168:169], null, v[164:165], v[164:165], v[166:167]
	v_div_scale_f64 v[174:175], vcc_lo, v[166:167], v[164:165], v[166:167]
	s_delay_alu instid0(VALU_DEP_2) | instskip(SKIP_2) | instid1(VALU_DEP_1)
	v_rcp_f64_e32 v[170:171], v[168:169]
	s_waitcnt_depctr 0xfff
	v_fma_f64 v[172:173], -v[168:169], v[170:171], 1.0
	v_fma_f64 v[170:171], v[170:171], v[172:173], v[170:171]
	s_delay_alu instid0(VALU_DEP_1) | instskip(NEXT) | instid1(VALU_DEP_1)
	v_fma_f64 v[172:173], -v[168:169], v[170:171], 1.0
	v_fma_f64 v[170:171], v[170:171], v[172:173], v[170:171]
	s_delay_alu instid0(VALU_DEP_1) | instskip(NEXT) | instid1(VALU_DEP_1)
	v_mul_f64 v[172:173], v[174:175], v[170:171]
	v_fma_f64 v[168:169], -v[168:169], v[172:173], v[174:175]
	s_delay_alu instid0(VALU_DEP_1) | instskip(NEXT) | instid1(VALU_DEP_1)
	v_div_fmas_f64 v[168:169], v[168:169], v[170:171], v[172:173]
	v_div_fixup_f64 v[168:169], v[168:169], v[164:165], v[166:167]
	s_delay_alu instid0(VALU_DEP_1) | instskip(NEXT) | instid1(VALU_DEP_1)
	v_fma_f64 v[164:165], v[166:167], v[168:169], v[164:165]
	v_div_scale_f64 v[166:167], null, v[164:165], v[164:165], 1.0
	s_delay_alu instid0(VALU_DEP_1) | instskip(SKIP_2) | instid1(VALU_DEP_1)
	v_rcp_f64_e32 v[170:171], v[166:167]
	s_waitcnt_depctr 0xfff
	v_fma_f64 v[172:173], -v[166:167], v[170:171], 1.0
	v_fma_f64 v[170:171], v[170:171], v[172:173], v[170:171]
	s_delay_alu instid0(VALU_DEP_1) | instskip(NEXT) | instid1(VALU_DEP_1)
	v_fma_f64 v[172:173], -v[166:167], v[170:171], 1.0
	v_fma_f64 v[170:171], v[170:171], v[172:173], v[170:171]
	v_div_scale_f64 v[172:173], vcc_lo, 1.0, v[164:165], 1.0
	s_delay_alu instid0(VALU_DEP_1) | instskip(NEXT) | instid1(VALU_DEP_1)
	v_mul_f64 v[174:175], v[172:173], v[170:171]
	v_fma_f64 v[166:167], -v[166:167], v[174:175], v[172:173]
	s_delay_alu instid0(VALU_DEP_1) | instskip(NEXT) | instid1(VALU_DEP_1)
	v_div_fmas_f64 v[166:167], v[166:167], v[170:171], v[174:175]
	v_div_fixup_f64 v[172:173], v[166:167], v[164:165], 1.0
	s_delay_alu instid0(VALU_DEP_1)
	v_mul_f64 v[170:171], v[168:169], -v[172:173]
.LBB81_214:
	s_or_b32 exec_lo, exec_lo, s3
	ds_store_2addr_b64 v239, v[172:173], v[170:171] offset1:1
.LBB81_215:
	s_or_b32 exec_lo, exec_lo, s4
	s_waitcnt lgkmcnt(0)
	s_barrier
	buffer_gl0_inv
	ds_load_2addr_b64 v[164:167], v239 offset1:1
	s_mov_b32 s3, exec_lo
	s_waitcnt lgkmcnt(0)
	scratch_store_b128 off, v[164:167], off offset:648 ; 16-byte Folded Spill
	v_cmpx_lt_u32_e32 23, v238
	s_cbranch_execz .LBB81_217
; %bb.216:
	scratch_load_b128 v[164:167], off, off offset:648 ; 16-byte Folded Reload
	ds_load_2addr_b64 v[170:173], v240 offset0:48 offset1:49
	s_waitcnt vmcnt(0)
	v_mul_f64 v[168:169], v[166:167], v[70:71]
	v_mul_f64 v[70:71], v[164:165], v[70:71]
	s_delay_alu instid0(VALU_DEP_2) | instskip(NEXT) | instid1(VALU_DEP_2)
	v_fma_f64 v[168:169], v[164:165], v[68:69], -v[168:169]
	v_fma_f64 v[70:71], v[166:167], v[68:69], v[70:71]
	s_waitcnt lgkmcnt(0)
	s_delay_alu instid0(VALU_DEP_1) | instskip(NEXT) | instid1(VALU_DEP_1)
	v_mul_f64 v[68:69], v[172:173], v[70:71]
	v_fma_f64 v[68:69], v[170:171], v[168:169], -v[68:69]
	v_mul_f64 v[170:171], v[170:171], v[70:71]
	s_delay_alu instid0(VALU_DEP_2) | instskip(NEXT) | instid1(VALU_DEP_2)
	v_add_f64 v[64:65], v[64:65], -v[68:69]
	v_fma_f64 v[170:171], v[172:173], v[168:169], v[170:171]
	s_delay_alu instid0(VALU_DEP_1) | instskip(SKIP_3) | instid1(VALU_DEP_1)
	v_add_f64 v[66:67], v[66:67], -v[170:171]
	ds_load_2addr_b64 v[170:173], v240 offset0:50 offset1:51
	s_waitcnt lgkmcnt(0)
	v_mul_f64 v[68:69], v[172:173], v[70:71]
	v_fma_f64 v[68:69], v[170:171], v[168:169], -v[68:69]
	v_mul_f64 v[170:171], v[170:171], v[70:71]
	s_delay_alu instid0(VALU_DEP_2) | instskip(NEXT) | instid1(VALU_DEP_2)
	v_add_f64 v[60:61], v[60:61], -v[68:69]
	v_fma_f64 v[170:171], v[172:173], v[168:169], v[170:171]
	s_delay_alu instid0(VALU_DEP_1) | instskip(SKIP_3) | instid1(VALU_DEP_1)
	v_add_f64 v[62:63], v[62:63], -v[170:171]
	ds_load_2addr_b64 v[170:173], v240 offset0:52 offset1:53
	s_waitcnt lgkmcnt(0)
	;; [unrolled: 10-line block ×16, first 2 shown]
	v_mul_f64 v[68:69], v[172:173], v[70:71]
	v_fma_f64 v[68:69], v[170:171], v[168:169], -v[68:69]
	v_mul_f64 v[170:171], v[170:171], v[70:71]
	s_delay_alu instid0(VALU_DEP_2) | instskip(NEXT) | instid1(VALU_DEP_2)
	v_add_f64 v[0:1], v[0:1], -v[68:69]
	v_fma_f64 v[170:171], v[172:173], v[168:169], v[170:171]
	v_dual_mov_b32 v68, v168 :: v_dual_mov_b32 v69, v169
	s_delay_alu instid0(VALU_DEP_2)
	v_add_f64 v[2:3], v[2:3], -v[170:171]
.LBB81_217:
	s_or_b32 exec_lo, exec_lo, s3
	s_delay_alu instid0(SALU_CYCLE_1)
	s_mov_b32 s4, exec_lo
	s_waitcnt_vscnt null, 0x0
	s_barrier
	buffer_gl0_inv
	v_cmpx_eq_u32_e32 24, v238
	s_cbranch_execz .LBB81_224
; %bb.218:
	ds_store_2addr_b64 v239, v[64:65], v[66:67] offset1:1
	ds_store_2addr_b64 v240, v[60:61], v[62:63] offset0:50 offset1:51
	ds_store_2addr_b64 v240, v[56:57], v[58:59] offset0:52 offset1:53
	;; [unrolled: 1-line block ×16, first 2 shown]
	ds_load_2addr_b64 v[168:171], v239 offset1:1
	s_waitcnt lgkmcnt(0)
	v_cmp_neq_f64_e32 vcc_lo, 0, v[168:169]
	v_cmp_neq_f64_e64 s3, 0, v[170:171]
	s_delay_alu instid0(VALU_DEP_1) | instskip(NEXT) | instid1(SALU_CYCLE_1)
	s_or_b32 s3, vcc_lo, s3
	s_and_b32 exec_lo, exec_lo, s3
	s_cbranch_execz .LBB81_224
; %bb.219:
	v_cmp_gt_f64_e32 vcc_lo, 0, v[168:169]
	v_xor_b32_e32 v172, 0x80000000, v169
	v_xor_b32_e32 v174, 0x80000000, v171
	s_mov_b32 s3, exec_lo
                                        ; implicit-def: $vgpr176_vgpr177
	s_delay_alu instid0(VALU_DEP_2) | instskip(SKIP_4) | instid1(VALU_DEP_1)
	v_cndmask_b32_e32 v173, v169, v172, vcc_lo
	v_cndmask_b32_e32 v172, v168, v168, vcc_lo
	v_cmp_gt_f64_e32 vcc_lo, 0, v[170:171]
	v_cndmask_b32_e32 v175, v171, v174, vcc_lo
	v_cndmask_b32_e32 v174, v170, v170, vcc_lo
	v_cmpx_ngt_f64_e32 v[172:173], v[174:175]
	s_xor_b32 s3, exec_lo, s3
                                        ; implicit-def: $vgpr172_vgpr173_vgpr174_vgpr175
	s_cbranch_execz .LBB81_221
; %bb.220:
	v_div_scale_f64 v[172:173], null, v[170:171], v[170:171], v[168:169]
	v_div_scale_f64 v[178:179], vcc_lo, v[168:169], v[170:171], v[168:169]
	s_delay_alu instid0(VALU_DEP_2) | instskip(SKIP_2) | instid1(VALU_DEP_1)
	v_rcp_f64_e32 v[174:175], v[172:173]
	s_waitcnt_depctr 0xfff
	v_fma_f64 v[176:177], -v[172:173], v[174:175], 1.0
	v_fma_f64 v[174:175], v[174:175], v[176:177], v[174:175]
	s_delay_alu instid0(VALU_DEP_1) | instskip(NEXT) | instid1(VALU_DEP_1)
	v_fma_f64 v[176:177], -v[172:173], v[174:175], 1.0
	v_fma_f64 v[174:175], v[174:175], v[176:177], v[174:175]
	s_delay_alu instid0(VALU_DEP_1) | instskip(NEXT) | instid1(VALU_DEP_1)
	v_mul_f64 v[176:177], v[178:179], v[174:175]
	v_fma_f64 v[172:173], -v[172:173], v[176:177], v[178:179]
	s_delay_alu instid0(VALU_DEP_1) | instskip(NEXT) | instid1(VALU_DEP_1)
	v_div_fmas_f64 v[172:173], v[172:173], v[174:175], v[176:177]
	v_div_fixup_f64 v[172:173], v[172:173], v[170:171], v[168:169]
	s_delay_alu instid0(VALU_DEP_1) | instskip(NEXT) | instid1(VALU_DEP_1)
	v_fma_f64 v[168:169], v[168:169], v[172:173], v[170:171]
	v_div_scale_f64 v[170:171], null, v[168:169], v[168:169], 1.0
	s_delay_alu instid0(VALU_DEP_1) | instskip(SKIP_2) | instid1(VALU_DEP_1)
	v_rcp_f64_e32 v[174:175], v[170:171]
	s_waitcnt_depctr 0xfff
	v_fma_f64 v[176:177], -v[170:171], v[174:175], 1.0
	v_fma_f64 v[174:175], v[174:175], v[176:177], v[174:175]
	s_delay_alu instid0(VALU_DEP_1) | instskip(NEXT) | instid1(VALU_DEP_1)
	v_fma_f64 v[176:177], -v[170:171], v[174:175], 1.0
	v_fma_f64 v[174:175], v[174:175], v[176:177], v[174:175]
	v_div_scale_f64 v[176:177], vcc_lo, 1.0, v[168:169], 1.0
	s_delay_alu instid0(VALU_DEP_1) | instskip(NEXT) | instid1(VALU_DEP_1)
	v_mul_f64 v[178:179], v[176:177], v[174:175]
	v_fma_f64 v[170:171], -v[170:171], v[178:179], v[176:177]
	s_delay_alu instid0(VALU_DEP_1) | instskip(NEXT) | instid1(VALU_DEP_1)
	v_div_fmas_f64 v[170:171], v[170:171], v[174:175], v[178:179]
	v_div_fixup_f64 v[174:175], v[170:171], v[168:169], 1.0
                                        ; implicit-def: $vgpr168_vgpr169
	s_delay_alu instid0(VALU_DEP_1)
	v_mul_f64 v[176:177], v[172:173], v[174:175]
	v_xor_b32_e32 v175, 0x80000000, v175
.LBB81_221:
	s_and_not1_saveexec_b32 s3, s3
	s_cbranch_execz .LBB81_223
; %bb.222:
	v_div_scale_f64 v[172:173], null, v[168:169], v[168:169], v[170:171]
	v_div_scale_f64 v[178:179], vcc_lo, v[170:171], v[168:169], v[170:171]
	s_delay_alu instid0(VALU_DEP_2) | instskip(SKIP_2) | instid1(VALU_DEP_1)
	v_rcp_f64_e32 v[174:175], v[172:173]
	s_waitcnt_depctr 0xfff
	v_fma_f64 v[176:177], -v[172:173], v[174:175], 1.0
	v_fma_f64 v[174:175], v[174:175], v[176:177], v[174:175]
	s_delay_alu instid0(VALU_DEP_1) | instskip(NEXT) | instid1(VALU_DEP_1)
	v_fma_f64 v[176:177], -v[172:173], v[174:175], 1.0
	v_fma_f64 v[174:175], v[174:175], v[176:177], v[174:175]
	s_delay_alu instid0(VALU_DEP_1) | instskip(NEXT) | instid1(VALU_DEP_1)
	v_mul_f64 v[176:177], v[178:179], v[174:175]
	v_fma_f64 v[172:173], -v[172:173], v[176:177], v[178:179]
	s_delay_alu instid0(VALU_DEP_1) | instskip(NEXT) | instid1(VALU_DEP_1)
	v_div_fmas_f64 v[172:173], v[172:173], v[174:175], v[176:177]
	v_div_fixup_f64 v[172:173], v[172:173], v[168:169], v[170:171]
	s_delay_alu instid0(VALU_DEP_1) | instskip(NEXT) | instid1(VALU_DEP_1)
	v_fma_f64 v[168:169], v[170:171], v[172:173], v[168:169]
	v_div_scale_f64 v[170:171], null, v[168:169], v[168:169], 1.0
	s_delay_alu instid0(VALU_DEP_1) | instskip(SKIP_2) | instid1(VALU_DEP_1)
	v_rcp_f64_e32 v[174:175], v[170:171]
	s_waitcnt_depctr 0xfff
	v_fma_f64 v[176:177], -v[170:171], v[174:175], 1.0
	v_fma_f64 v[174:175], v[174:175], v[176:177], v[174:175]
	s_delay_alu instid0(VALU_DEP_1) | instskip(NEXT) | instid1(VALU_DEP_1)
	v_fma_f64 v[176:177], -v[170:171], v[174:175], 1.0
	v_fma_f64 v[174:175], v[174:175], v[176:177], v[174:175]
	v_div_scale_f64 v[176:177], vcc_lo, 1.0, v[168:169], 1.0
	s_delay_alu instid0(VALU_DEP_1) | instskip(NEXT) | instid1(VALU_DEP_1)
	v_mul_f64 v[178:179], v[176:177], v[174:175]
	v_fma_f64 v[170:171], -v[170:171], v[178:179], v[176:177]
	s_delay_alu instid0(VALU_DEP_1) | instskip(NEXT) | instid1(VALU_DEP_1)
	v_div_fmas_f64 v[170:171], v[170:171], v[174:175], v[178:179]
	v_div_fixup_f64 v[176:177], v[170:171], v[168:169], 1.0
	s_delay_alu instid0(VALU_DEP_1)
	v_mul_f64 v[174:175], v[172:173], -v[176:177]
.LBB81_223:
	s_or_b32 exec_lo, exec_lo, s3
	ds_store_2addr_b64 v239, v[176:177], v[174:175] offset1:1
.LBB81_224:
	s_or_b32 exec_lo, exec_lo, s4
	s_waitcnt lgkmcnt(0)
	s_barrier
	buffer_gl0_inv
	ds_load_2addr_b64 v[168:171], v239 offset1:1
	s_mov_b32 s3, exec_lo
	v_cmpx_lt_u32_e32 24, v238
	s_cbranch_execz .LBB81_226
; %bb.225:
	s_waitcnt lgkmcnt(0)
	v_mul_f64 v[172:173], v[168:169], v[66:67]
	v_mul_f64 v[66:67], v[170:171], v[66:67]
	ds_load_2addr_b64 v[174:177], v240 offset0:50 offset1:51
	v_fma_f64 v[172:173], v[170:171], v[64:65], v[172:173]
	v_fma_f64 v[64:65], v[168:169], v[64:65], -v[66:67]
	s_waitcnt lgkmcnt(0)
	s_delay_alu instid0(VALU_DEP_2) | instskip(NEXT) | instid1(VALU_DEP_1)
	v_mul_f64 v[66:67], v[176:177], v[172:173]
	v_fma_f64 v[66:67], v[174:175], v[64:65], -v[66:67]
	v_mul_f64 v[174:175], v[174:175], v[172:173]
	s_delay_alu instid0(VALU_DEP_2) | instskip(NEXT) | instid1(VALU_DEP_2)
	v_add_f64 v[60:61], v[60:61], -v[66:67]
	v_fma_f64 v[174:175], v[176:177], v[64:65], v[174:175]
	s_delay_alu instid0(VALU_DEP_1) | instskip(SKIP_3) | instid1(VALU_DEP_1)
	v_add_f64 v[62:63], v[62:63], -v[174:175]
	ds_load_2addr_b64 v[174:177], v240 offset0:52 offset1:53
	s_waitcnt lgkmcnt(0)
	v_mul_f64 v[66:67], v[176:177], v[172:173]
	v_fma_f64 v[66:67], v[174:175], v[64:65], -v[66:67]
	v_mul_f64 v[174:175], v[174:175], v[172:173]
	s_delay_alu instid0(VALU_DEP_2) | instskip(NEXT) | instid1(VALU_DEP_2)
	v_add_f64 v[56:57], v[56:57], -v[66:67]
	v_fma_f64 v[174:175], v[176:177], v[64:65], v[174:175]
	s_delay_alu instid0(VALU_DEP_1) | instskip(SKIP_3) | instid1(VALU_DEP_1)
	v_add_f64 v[58:59], v[58:59], -v[174:175]
	ds_load_2addr_b64 v[174:177], v240 offset0:54 offset1:55
	s_waitcnt lgkmcnt(0)
	;; [unrolled: 10-line block ×15, first 2 shown]
	v_mul_f64 v[66:67], v[176:177], v[172:173]
	v_fma_f64 v[66:67], v[174:175], v[64:65], -v[66:67]
	v_mul_f64 v[174:175], v[174:175], v[172:173]
	s_delay_alu instid0(VALU_DEP_2) | instskip(NEXT) | instid1(VALU_DEP_2)
	v_add_f64 v[0:1], v[0:1], -v[66:67]
	v_fma_f64 v[174:175], v[176:177], v[64:65], v[174:175]
	v_dual_mov_b32 v66, v172 :: v_dual_mov_b32 v67, v173
	s_delay_alu instid0(VALU_DEP_2)
	v_add_f64 v[2:3], v[2:3], -v[174:175]
.LBB81_226:
	s_or_b32 exec_lo, exec_lo, s3
	s_delay_alu instid0(SALU_CYCLE_1)
	s_mov_b32 s4, exec_lo
	s_waitcnt lgkmcnt(0)
	s_barrier
	buffer_gl0_inv
	v_cmpx_eq_u32_e32 25, v238
	s_cbranch_execz .LBB81_233
; %bb.227:
	ds_store_2addr_b64 v239, v[60:61], v[62:63] offset1:1
	ds_store_2addr_b64 v240, v[56:57], v[58:59] offset0:52 offset1:53
	ds_store_2addr_b64 v240, v[52:53], v[54:55] offset0:54 offset1:55
	;; [unrolled: 1-line block ×15, first 2 shown]
	ds_load_2addr_b64 v[172:175], v239 offset1:1
	s_waitcnt lgkmcnt(0)
	v_cmp_neq_f64_e32 vcc_lo, 0, v[172:173]
	v_cmp_neq_f64_e64 s3, 0, v[174:175]
	s_delay_alu instid0(VALU_DEP_1) | instskip(NEXT) | instid1(SALU_CYCLE_1)
	s_or_b32 s3, vcc_lo, s3
	s_and_b32 exec_lo, exec_lo, s3
	s_cbranch_execz .LBB81_233
; %bb.228:
	v_cmp_gt_f64_e32 vcc_lo, 0, v[172:173]
	v_xor_b32_e32 v176, 0x80000000, v173
	v_xor_b32_e32 v178, 0x80000000, v175
	s_mov_b32 s3, exec_lo
                                        ; implicit-def: $vgpr180_vgpr181
	s_delay_alu instid0(VALU_DEP_2) | instskip(SKIP_4) | instid1(VALU_DEP_1)
	v_cndmask_b32_e32 v177, v173, v176, vcc_lo
	v_cndmask_b32_e32 v176, v172, v172, vcc_lo
	v_cmp_gt_f64_e32 vcc_lo, 0, v[174:175]
	v_cndmask_b32_e32 v179, v175, v178, vcc_lo
	v_cndmask_b32_e32 v178, v174, v174, vcc_lo
	v_cmpx_ngt_f64_e32 v[176:177], v[178:179]
	s_xor_b32 s3, exec_lo, s3
                                        ; implicit-def: $vgpr176_vgpr177_vgpr178_vgpr179
	s_cbranch_execz .LBB81_230
; %bb.229:
	v_div_scale_f64 v[176:177], null, v[174:175], v[174:175], v[172:173]
	v_div_scale_f64 v[182:183], vcc_lo, v[172:173], v[174:175], v[172:173]
	s_delay_alu instid0(VALU_DEP_2) | instskip(SKIP_2) | instid1(VALU_DEP_1)
	v_rcp_f64_e32 v[178:179], v[176:177]
	s_waitcnt_depctr 0xfff
	v_fma_f64 v[180:181], -v[176:177], v[178:179], 1.0
	v_fma_f64 v[178:179], v[178:179], v[180:181], v[178:179]
	s_delay_alu instid0(VALU_DEP_1) | instskip(NEXT) | instid1(VALU_DEP_1)
	v_fma_f64 v[180:181], -v[176:177], v[178:179], 1.0
	v_fma_f64 v[178:179], v[178:179], v[180:181], v[178:179]
	s_delay_alu instid0(VALU_DEP_1) | instskip(NEXT) | instid1(VALU_DEP_1)
	v_mul_f64 v[180:181], v[182:183], v[178:179]
	v_fma_f64 v[176:177], -v[176:177], v[180:181], v[182:183]
	s_delay_alu instid0(VALU_DEP_1) | instskip(NEXT) | instid1(VALU_DEP_1)
	v_div_fmas_f64 v[176:177], v[176:177], v[178:179], v[180:181]
	v_div_fixup_f64 v[176:177], v[176:177], v[174:175], v[172:173]
	s_delay_alu instid0(VALU_DEP_1) | instskip(NEXT) | instid1(VALU_DEP_1)
	v_fma_f64 v[172:173], v[172:173], v[176:177], v[174:175]
	v_div_scale_f64 v[174:175], null, v[172:173], v[172:173], 1.0
	s_delay_alu instid0(VALU_DEP_1) | instskip(SKIP_2) | instid1(VALU_DEP_1)
	v_rcp_f64_e32 v[178:179], v[174:175]
	s_waitcnt_depctr 0xfff
	v_fma_f64 v[180:181], -v[174:175], v[178:179], 1.0
	v_fma_f64 v[178:179], v[178:179], v[180:181], v[178:179]
	s_delay_alu instid0(VALU_DEP_1) | instskip(NEXT) | instid1(VALU_DEP_1)
	v_fma_f64 v[180:181], -v[174:175], v[178:179], 1.0
	v_fma_f64 v[178:179], v[178:179], v[180:181], v[178:179]
	v_div_scale_f64 v[180:181], vcc_lo, 1.0, v[172:173], 1.0
	s_delay_alu instid0(VALU_DEP_1) | instskip(NEXT) | instid1(VALU_DEP_1)
	v_mul_f64 v[182:183], v[180:181], v[178:179]
	v_fma_f64 v[174:175], -v[174:175], v[182:183], v[180:181]
	s_delay_alu instid0(VALU_DEP_1) | instskip(NEXT) | instid1(VALU_DEP_1)
	v_div_fmas_f64 v[174:175], v[174:175], v[178:179], v[182:183]
	v_div_fixup_f64 v[178:179], v[174:175], v[172:173], 1.0
                                        ; implicit-def: $vgpr172_vgpr173
	s_delay_alu instid0(VALU_DEP_1)
	v_mul_f64 v[180:181], v[176:177], v[178:179]
	v_xor_b32_e32 v179, 0x80000000, v179
.LBB81_230:
	s_and_not1_saveexec_b32 s3, s3
	s_cbranch_execz .LBB81_232
; %bb.231:
	v_div_scale_f64 v[176:177], null, v[172:173], v[172:173], v[174:175]
	v_div_scale_f64 v[182:183], vcc_lo, v[174:175], v[172:173], v[174:175]
	s_delay_alu instid0(VALU_DEP_2) | instskip(SKIP_2) | instid1(VALU_DEP_1)
	v_rcp_f64_e32 v[178:179], v[176:177]
	s_waitcnt_depctr 0xfff
	v_fma_f64 v[180:181], -v[176:177], v[178:179], 1.0
	v_fma_f64 v[178:179], v[178:179], v[180:181], v[178:179]
	s_delay_alu instid0(VALU_DEP_1) | instskip(NEXT) | instid1(VALU_DEP_1)
	v_fma_f64 v[180:181], -v[176:177], v[178:179], 1.0
	v_fma_f64 v[178:179], v[178:179], v[180:181], v[178:179]
	s_delay_alu instid0(VALU_DEP_1) | instskip(NEXT) | instid1(VALU_DEP_1)
	v_mul_f64 v[180:181], v[182:183], v[178:179]
	v_fma_f64 v[176:177], -v[176:177], v[180:181], v[182:183]
	s_delay_alu instid0(VALU_DEP_1) | instskip(NEXT) | instid1(VALU_DEP_1)
	v_div_fmas_f64 v[176:177], v[176:177], v[178:179], v[180:181]
	v_div_fixup_f64 v[176:177], v[176:177], v[172:173], v[174:175]
	s_delay_alu instid0(VALU_DEP_1) | instskip(NEXT) | instid1(VALU_DEP_1)
	v_fma_f64 v[172:173], v[174:175], v[176:177], v[172:173]
	v_div_scale_f64 v[174:175], null, v[172:173], v[172:173], 1.0
	s_delay_alu instid0(VALU_DEP_1) | instskip(SKIP_2) | instid1(VALU_DEP_1)
	v_rcp_f64_e32 v[178:179], v[174:175]
	s_waitcnt_depctr 0xfff
	v_fma_f64 v[180:181], -v[174:175], v[178:179], 1.0
	v_fma_f64 v[178:179], v[178:179], v[180:181], v[178:179]
	s_delay_alu instid0(VALU_DEP_1) | instskip(NEXT) | instid1(VALU_DEP_1)
	v_fma_f64 v[180:181], -v[174:175], v[178:179], 1.0
	v_fma_f64 v[178:179], v[178:179], v[180:181], v[178:179]
	v_div_scale_f64 v[180:181], vcc_lo, 1.0, v[172:173], 1.0
	s_delay_alu instid0(VALU_DEP_1) | instskip(NEXT) | instid1(VALU_DEP_1)
	v_mul_f64 v[182:183], v[180:181], v[178:179]
	v_fma_f64 v[174:175], -v[174:175], v[182:183], v[180:181]
	s_delay_alu instid0(VALU_DEP_1) | instskip(NEXT) | instid1(VALU_DEP_1)
	v_div_fmas_f64 v[174:175], v[174:175], v[178:179], v[182:183]
	v_div_fixup_f64 v[180:181], v[174:175], v[172:173], 1.0
	s_delay_alu instid0(VALU_DEP_1)
	v_mul_f64 v[178:179], v[176:177], -v[180:181]
.LBB81_232:
	s_or_b32 exec_lo, exec_lo, s3
	ds_store_2addr_b64 v239, v[180:181], v[178:179] offset1:1
.LBB81_233:
	s_or_b32 exec_lo, exec_lo, s4
	s_waitcnt lgkmcnt(0)
	s_barrier
	buffer_gl0_inv
	ds_load_2addr_b64 v[172:175], v239 offset1:1
	s_mov_b32 s3, exec_lo
	v_cmpx_lt_u32_e32 25, v238
	s_cbranch_execz .LBB81_235
; %bb.234:
	s_waitcnt lgkmcnt(0)
	v_mul_f64 v[176:177], v[172:173], v[62:63]
	v_mul_f64 v[62:63], v[174:175], v[62:63]
	ds_load_2addr_b64 v[178:181], v240 offset0:52 offset1:53
	v_fma_f64 v[176:177], v[174:175], v[60:61], v[176:177]
	v_fma_f64 v[60:61], v[172:173], v[60:61], -v[62:63]
	s_waitcnt lgkmcnt(0)
	s_delay_alu instid0(VALU_DEP_2) | instskip(NEXT) | instid1(VALU_DEP_1)
	v_mul_f64 v[62:63], v[180:181], v[176:177]
	v_fma_f64 v[62:63], v[178:179], v[60:61], -v[62:63]
	v_mul_f64 v[178:179], v[178:179], v[176:177]
	s_delay_alu instid0(VALU_DEP_2) | instskip(NEXT) | instid1(VALU_DEP_2)
	v_add_f64 v[56:57], v[56:57], -v[62:63]
	v_fma_f64 v[178:179], v[180:181], v[60:61], v[178:179]
	s_delay_alu instid0(VALU_DEP_1) | instskip(SKIP_3) | instid1(VALU_DEP_1)
	v_add_f64 v[58:59], v[58:59], -v[178:179]
	ds_load_2addr_b64 v[178:181], v240 offset0:54 offset1:55
	s_waitcnt lgkmcnt(0)
	v_mul_f64 v[62:63], v[180:181], v[176:177]
	v_fma_f64 v[62:63], v[178:179], v[60:61], -v[62:63]
	v_mul_f64 v[178:179], v[178:179], v[176:177]
	s_delay_alu instid0(VALU_DEP_2) | instskip(NEXT) | instid1(VALU_DEP_2)
	v_add_f64 v[52:53], v[52:53], -v[62:63]
	v_fma_f64 v[178:179], v[180:181], v[60:61], v[178:179]
	s_delay_alu instid0(VALU_DEP_1) | instskip(SKIP_3) | instid1(VALU_DEP_1)
	v_add_f64 v[54:55], v[54:55], -v[178:179]
	ds_load_2addr_b64 v[178:181], v240 offset0:56 offset1:57
	s_waitcnt lgkmcnt(0)
	;; [unrolled: 10-line block ×14, first 2 shown]
	v_mul_f64 v[62:63], v[180:181], v[176:177]
	v_fma_f64 v[62:63], v[178:179], v[60:61], -v[62:63]
	v_mul_f64 v[178:179], v[178:179], v[176:177]
	s_delay_alu instid0(VALU_DEP_2) | instskip(NEXT) | instid1(VALU_DEP_2)
	v_add_f64 v[0:1], v[0:1], -v[62:63]
	v_fma_f64 v[178:179], v[180:181], v[60:61], v[178:179]
	v_dual_mov_b32 v62, v176 :: v_dual_mov_b32 v63, v177
	s_delay_alu instid0(VALU_DEP_2)
	v_add_f64 v[2:3], v[2:3], -v[178:179]
.LBB81_235:
	s_or_b32 exec_lo, exec_lo, s3
	s_delay_alu instid0(SALU_CYCLE_1)
	s_mov_b32 s4, exec_lo
	s_waitcnt lgkmcnt(0)
	s_barrier
	buffer_gl0_inv
	v_cmpx_eq_u32_e32 26, v238
	s_cbranch_execz .LBB81_242
; %bb.236:
	ds_store_2addr_b64 v239, v[56:57], v[58:59] offset1:1
	ds_store_2addr_b64 v240, v[52:53], v[54:55] offset0:54 offset1:55
	ds_store_2addr_b64 v240, v[48:49], v[50:51] offset0:56 offset1:57
	;; [unrolled: 1-line block ×14, first 2 shown]
	ds_load_2addr_b64 v[176:179], v239 offset1:1
	s_waitcnt lgkmcnt(0)
	v_cmp_neq_f64_e32 vcc_lo, 0, v[176:177]
	v_cmp_neq_f64_e64 s3, 0, v[178:179]
	s_delay_alu instid0(VALU_DEP_1) | instskip(NEXT) | instid1(SALU_CYCLE_1)
	s_or_b32 s3, vcc_lo, s3
	s_and_b32 exec_lo, exec_lo, s3
	s_cbranch_execz .LBB81_242
; %bb.237:
	v_cmp_gt_f64_e32 vcc_lo, 0, v[176:177]
	v_xor_b32_e32 v180, 0x80000000, v177
	v_xor_b32_e32 v182, 0x80000000, v179
	s_mov_b32 s3, exec_lo
                                        ; implicit-def: $vgpr184_vgpr185
	s_delay_alu instid0(VALU_DEP_2) | instskip(SKIP_4) | instid1(VALU_DEP_1)
	v_cndmask_b32_e32 v181, v177, v180, vcc_lo
	v_cndmask_b32_e32 v180, v176, v176, vcc_lo
	v_cmp_gt_f64_e32 vcc_lo, 0, v[178:179]
	v_cndmask_b32_e32 v183, v179, v182, vcc_lo
	v_cndmask_b32_e32 v182, v178, v178, vcc_lo
	v_cmpx_ngt_f64_e32 v[180:181], v[182:183]
	s_xor_b32 s3, exec_lo, s3
                                        ; implicit-def: $vgpr180_vgpr181_vgpr182_vgpr183
	s_cbranch_execz .LBB81_239
; %bb.238:
	v_div_scale_f64 v[180:181], null, v[178:179], v[178:179], v[176:177]
	v_div_scale_f64 v[186:187], vcc_lo, v[176:177], v[178:179], v[176:177]
	s_delay_alu instid0(VALU_DEP_2) | instskip(SKIP_2) | instid1(VALU_DEP_1)
	v_rcp_f64_e32 v[182:183], v[180:181]
	s_waitcnt_depctr 0xfff
	v_fma_f64 v[184:185], -v[180:181], v[182:183], 1.0
	v_fma_f64 v[182:183], v[182:183], v[184:185], v[182:183]
	s_delay_alu instid0(VALU_DEP_1) | instskip(NEXT) | instid1(VALU_DEP_1)
	v_fma_f64 v[184:185], -v[180:181], v[182:183], 1.0
	v_fma_f64 v[182:183], v[182:183], v[184:185], v[182:183]
	s_delay_alu instid0(VALU_DEP_1) | instskip(NEXT) | instid1(VALU_DEP_1)
	v_mul_f64 v[184:185], v[186:187], v[182:183]
	v_fma_f64 v[180:181], -v[180:181], v[184:185], v[186:187]
	s_delay_alu instid0(VALU_DEP_1) | instskip(NEXT) | instid1(VALU_DEP_1)
	v_div_fmas_f64 v[180:181], v[180:181], v[182:183], v[184:185]
	v_div_fixup_f64 v[180:181], v[180:181], v[178:179], v[176:177]
	s_delay_alu instid0(VALU_DEP_1) | instskip(NEXT) | instid1(VALU_DEP_1)
	v_fma_f64 v[176:177], v[176:177], v[180:181], v[178:179]
	v_div_scale_f64 v[178:179], null, v[176:177], v[176:177], 1.0
	s_delay_alu instid0(VALU_DEP_1) | instskip(SKIP_2) | instid1(VALU_DEP_1)
	v_rcp_f64_e32 v[182:183], v[178:179]
	s_waitcnt_depctr 0xfff
	v_fma_f64 v[184:185], -v[178:179], v[182:183], 1.0
	v_fma_f64 v[182:183], v[182:183], v[184:185], v[182:183]
	s_delay_alu instid0(VALU_DEP_1) | instskip(NEXT) | instid1(VALU_DEP_1)
	v_fma_f64 v[184:185], -v[178:179], v[182:183], 1.0
	v_fma_f64 v[182:183], v[182:183], v[184:185], v[182:183]
	v_div_scale_f64 v[184:185], vcc_lo, 1.0, v[176:177], 1.0
	s_delay_alu instid0(VALU_DEP_1) | instskip(NEXT) | instid1(VALU_DEP_1)
	v_mul_f64 v[186:187], v[184:185], v[182:183]
	v_fma_f64 v[178:179], -v[178:179], v[186:187], v[184:185]
	s_delay_alu instid0(VALU_DEP_1) | instskip(NEXT) | instid1(VALU_DEP_1)
	v_div_fmas_f64 v[178:179], v[178:179], v[182:183], v[186:187]
	v_div_fixup_f64 v[182:183], v[178:179], v[176:177], 1.0
                                        ; implicit-def: $vgpr176_vgpr177
	s_delay_alu instid0(VALU_DEP_1)
	v_mul_f64 v[184:185], v[180:181], v[182:183]
	v_xor_b32_e32 v183, 0x80000000, v183
.LBB81_239:
	s_and_not1_saveexec_b32 s3, s3
	s_cbranch_execz .LBB81_241
; %bb.240:
	v_div_scale_f64 v[180:181], null, v[176:177], v[176:177], v[178:179]
	v_div_scale_f64 v[186:187], vcc_lo, v[178:179], v[176:177], v[178:179]
	s_delay_alu instid0(VALU_DEP_2) | instskip(SKIP_2) | instid1(VALU_DEP_1)
	v_rcp_f64_e32 v[182:183], v[180:181]
	s_waitcnt_depctr 0xfff
	v_fma_f64 v[184:185], -v[180:181], v[182:183], 1.0
	v_fma_f64 v[182:183], v[182:183], v[184:185], v[182:183]
	s_delay_alu instid0(VALU_DEP_1) | instskip(NEXT) | instid1(VALU_DEP_1)
	v_fma_f64 v[184:185], -v[180:181], v[182:183], 1.0
	v_fma_f64 v[182:183], v[182:183], v[184:185], v[182:183]
	s_delay_alu instid0(VALU_DEP_1) | instskip(NEXT) | instid1(VALU_DEP_1)
	v_mul_f64 v[184:185], v[186:187], v[182:183]
	v_fma_f64 v[180:181], -v[180:181], v[184:185], v[186:187]
	s_delay_alu instid0(VALU_DEP_1) | instskip(NEXT) | instid1(VALU_DEP_1)
	v_div_fmas_f64 v[180:181], v[180:181], v[182:183], v[184:185]
	v_div_fixup_f64 v[180:181], v[180:181], v[176:177], v[178:179]
	s_delay_alu instid0(VALU_DEP_1) | instskip(NEXT) | instid1(VALU_DEP_1)
	v_fma_f64 v[176:177], v[178:179], v[180:181], v[176:177]
	v_div_scale_f64 v[178:179], null, v[176:177], v[176:177], 1.0
	s_delay_alu instid0(VALU_DEP_1) | instskip(SKIP_2) | instid1(VALU_DEP_1)
	v_rcp_f64_e32 v[182:183], v[178:179]
	s_waitcnt_depctr 0xfff
	v_fma_f64 v[184:185], -v[178:179], v[182:183], 1.0
	v_fma_f64 v[182:183], v[182:183], v[184:185], v[182:183]
	s_delay_alu instid0(VALU_DEP_1) | instskip(NEXT) | instid1(VALU_DEP_1)
	v_fma_f64 v[184:185], -v[178:179], v[182:183], 1.0
	v_fma_f64 v[182:183], v[182:183], v[184:185], v[182:183]
	v_div_scale_f64 v[184:185], vcc_lo, 1.0, v[176:177], 1.0
	s_delay_alu instid0(VALU_DEP_1) | instskip(NEXT) | instid1(VALU_DEP_1)
	v_mul_f64 v[186:187], v[184:185], v[182:183]
	v_fma_f64 v[178:179], -v[178:179], v[186:187], v[184:185]
	s_delay_alu instid0(VALU_DEP_1) | instskip(NEXT) | instid1(VALU_DEP_1)
	v_div_fmas_f64 v[178:179], v[178:179], v[182:183], v[186:187]
	v_div_fixup_f64 v[184:185], v[178:179], v[176:177], 1.0
	s_delay_alu instid0(VALU_DEP_1)
	v_mul_f64 v[182:183], v[180:181], -v[184:185]
.LBB81_241:
	s_or_b32 exec_lo, exec_lo, s3
	ds_store_2addr_b64 v239, v[184:185], v[182:183] offset1:1
.LBB81_242:
	s_or_b32 exec_lo, exec_lo, s4
	s_waitcnt lgkmcnt(0)
	s_barrier
	buffer_gl0_inv
	ds_load_2addr_b64 v[176:179], v239 offset1:1
	s_mov_b32 s3, exec_lo
	v_cmpx_lt_u32_e32 26, v238
	s_cbranch_execz .LBB81_244
; %bb.243:
	s_waitcnt lgkmcnt(0)
	v_mul_f64 v[180:181], v[176:177], v[58:59]
	v_mul_f64 v[58:59], v[178:179], v[58:59]
	ds_load_2addr_b64 v[182:185], v240 offset0:54 offset1:55
	v_fma_f64 v[180:181], v[178:179], v[56:57], v[180:181]
	v_fma_f64 v[56:57], v[176:177], v[56:57], -v[58:59]
	s_waitcnt lgkmcnt(0)
	s_delay_alu instid0(VALU_DEP_2) | instskip(NEXT) | instid1(VALU_DEP_1)
	v_mul_f64 v[58:59], v[184:185], v[180:181]
	v_fma_f64 v[58:59], v[182:183], v[56:57], -v[58:59]
	v_mul_f64 v[182:183], v[182:183], v[180:181]
	s_delay_alu instid0(VALU_DEP_2) | instskip(NEXT) | instid1(VALU_DEP_2)
	v_add_f64 v[52:53], v[52:53], -v[58:59]
	v_fma_f64 v[182:183], v[184:185], v[56:57], v[182:183]
	s_delay_alu instid0(VALU_DEP_1) | instskip(SKIP_3) | instid1(VALU_DEP_1)
	v_add_f64 v[54:55], v[54:55], -v[182:183]
	ds_load_2addr_b64 v[182:185], v240 offset0:56 offset1:57
	s_waitcnt lgkmcnt(0)
	v_mul_f64 v[58:59], v[184:185], v[180:181]
	v_fma_f64 v[58:59], v[182:183], v[56:57], -v[58:59]
	v_mul_f64 v[182:183], v[182:183], v[180:181]
	s_delay_alu instid0(VALU_DEP_2) | instskip(NEXT) | instid1(VALU_DEP_2)
	v_add_f64 v[48:49], v[48:49], -v[58:59]
	v_fma_f64 v[182:183], v[184:185], v[56:57], v[182:183]
	s_delay_alu instid0(VALU_DEP_1) | instskip(SKIP_3) | instid1(VALU_DEP_1)
	v_add_f64 v[50:51], v[50:51], -v[182:183]
	ds_load_2addr_b64 v[182:185], v240 offset0:58 offset1:59
	s_waitcnt lgkmcnt(0)
	;; [unrolled: 10-line block ×13, first 2 shown]
	v_mul_f64 v[58:59], v[184:185], v[180:181]
	v_fma_f64 v[58:59], v[182:183], v[56:57], -v[58:59]
	v_mul_f64 v[182:183], v[182:183], v[180:181]
	s_delay_alu instid0(VALU_DEP_2) | instskip(NEXT) | instid1(VALU_DEP_2)
	v_add_f64 v[0:1], v[0:1], -v[58:59]
	v_fma_f64 v[182:183], v[184:185], v[56:57], v[182:183]
	v_dual_mov_b32 v58, v180 :: v_dual_mov_b32 v59, v181
	s_delay_alu instid0(VALU_DEP_2)
	v_add_f64 v[2:3], v[2:3], -v[182:183]
.LBB81_244:
	s_or_b32 exec_lo, exec_lo, s3
	s_delay_alu instid0(SALU_CYCLE_1)
	s_mov_b32 s4, exec_lo
	s_waitcnt lgkmcnt(0)
	s_barrier
	buffer_gl0_inv
	v_cmpx_eq_u32_e32 27, v238
	s_cbranch_execz .LBB81_251
; %bb.245:
	ds_store_2addr_b64 v239, v[52:53], v[54:55] offset1:1
	ds_store_2addr_b64 v240, v[48:49], v[50:51] offset0:56 offset1:57
	ds_store_2addr_b64 v240, v[44:45], v[46:47] offset0:58 offset1:59
	;; [unrolled: 1-line block ×13, first 2 shown]
	ds_load_2addr_b64 v[180:183], v239 offset1:1
	s_waitcnt lgkmcnt(0)
	v_cmp_neq_f64_e32 vcc_lo, 0, v[180:181]
	v_cmp_neq_f64_e64 s3, 0, v[182:183]
	s_delay_alu instid0(VALU_DEP_1) | instskip(NEXT) | instid1(SALU_CYCLE_1)
	s_or_b32 s3, vcc_lo, s3
	s_and_b32 exec_lo, exec_lo, s3
	s_cbranch_execz .LBB81_251
; %bb.246:
	v_cmp_gt_f64_e32 vcc_lo, 0, v[180:181]
	v_xor_b32_e32 v184, 0x80000000, v181
	v_xor_b32_e32 v186, 0x80000000, v183
	s_mov_b32 s3, exec_lo
                                        ; implicit-def: $vgpr188_vgpr189
	s_delay_alu instid0(VALU_DEP_2) | instskip(SKIP_4) | instid1(VALU_DEP_1)
	v_cndmask_b32_e32 v185, v181, v184, vcc_lo
	v_cndmask_b32_e32 v184, v180, v180, vcc_lo
	v_cmp_gt_f64_e32 vcc_lo, 0, v[182:183]
	v_cndmask_b32_e32 v187, v183, v186, vcc_lo
	v_cndmask_b32_e32 v186, v182, v182, vcc_lo
	v_cmpx_ngt_f64_e32 v[184:185], v[186:187]
	s_xor_b32 s3, exec_lo, s3
                                        ; implicit-def: $vgpr184_vgpr185_vgpr186_vgpr187
	s_cbranch_execz .LBB81_248
; %bb.247:
	v_div_scale_f64 v[184:185], null, v[182:183], v[182:183], v[180:181]
	v_div_scale_f64 v[190:191], vcc_lo, v[180:181], v[182:183], v[180:181]
	s_delay_alu instid0(VALU_DEP_2) | instskip(SKIP_2) | instid1(VALU_DEP_1)
	v_rcp_f64_e32 v[186:187], v[184:185]
	s_waitcnt_depctr 0xfff
	v_fma_f64 v[188:189], -v[184:185], v[186:187], 1.0
	v_fma_f64 v[186:187], v[186:187], v[188:189], v[186:187]
	s_delay_alu instid0(VALU_DEP_1) | instskip(NEXT) | instid1(VALU_DEP_1)
	v_fma_f64 v[188:189], -v[184:185], v[186:187], 1.0
	v_fma_f64 v[186:187], v[186:187], v[188:189], v[186:187]
	s_delay_alu instid0(VALU_DEP_1) | instskip(NEXT) | instid1(VALU_DEP_1)
	v_mul_f64 v[188:189], v[190:191], v[186:187]
	v_fma_f64 v[184:185], -v[184:185], v[188:189], v[190:191]
	s_delay_alu instid0(VALU_DEP_1) | instskip(NEXT) | instid1(VALU_DEP_1)
	v_div_fmas_f64 v[184:185], v[184:185], v[186:187], v[188:189]
	v_div_fixup_f64 v[184:185], v[184:185], v[182:183], v[180:181]
	s_delay_alu instid0(VALU_DEP_1) | instskip(NEXT) | instid1(VALU_DEP_1)
	v_fma_f64 v[180:181], v[180:181], v[184:185], v[182:183]
	v_div_scale_f64 v[182:183], null, v[180:181], v[180:181], 1.0
	s_delay_alu instid0(VALU_DEP_1) | instskip(SKIP_2) | instid1(VALU_DEP_1)
	v_rcp_f64_e32 v[186:187], v[182:183]
	s_waitcnt_depctr 0xfff
	v_fma_f64 v[188:189], -v[182:183], v[186:187], 1.0
	v_fma_f64 v[186:187], v[186:187], v[188:189], v[186:187]
	s_delay_alu instid0(VALU_DEP_1) | instskip(NEXT) | instid1(VALU_DEP_1)
	v_fma_f64 v[188:189], -v[182:183], v[186:187], 1.0
	v_fma_f64 v[186:187], v[186:187], v[188:189], v[186:187]
	v_div_scale_f64 v[188:189], vcc_lo, 1.0, v[180:181], 1.0
	s_delay_alu instid0(VALU_DEP_1) | instskip(NEXT) | instid1(VALU_DEP_1)
	v_mul_f64 v[190:191], v[188:189], v[186:187]
	v_fma_f64 v[182:183], -v[182:183], v[190:191], v[188:189]
	s_delay_alu instid0(VALU_DEP_1) | instskip(NEXT) | instid1(VALU_DEP_1)
	v_div_fmas_f64 v[182:183], v[182:183], v[186:187], v[190:191]
	v_div_fixup_f64 v[186:187], v[182:183], v[180:181], 1.0
                                        ; implicit-def: $vgpr180_vgpr181
	s_delay_alu instid0(VALU_DEP_1)
	v_mul_f64 v[188:189], v[184:185], v[186:187]
	v_xor_b32_e32 v187, 0x80000000, v187
.LBB81_248:
	s_and_not1_saveexec_b32 s3, s3
	s_cbranch_execz .LBB81_250
; %bb.249:
	v_div_scale_f64 v[184:185], null, v[180:181], v[180:181], v[182:183]
	v_div_scale_f64 v[190:191], vcc_lo, v[182:183], v[180:181], v[182:183]
	s_delay_alu instid0(VALU_DEP_2) | instskip(SKIP_2) | instid1(VALU_DEP_1)
	v_rcp_f64_e32 v[186:187], v[184:185]
	s_waitcnt_depctr 0xfff
	v_fma_f64 v[188:189], -v[184:185], v[186:187], 1.0
	v_fma_f64 v[186:187], v[186:187], v[188:189], v[186:187]
	s_delay_alu instid0(VALU_DEP_1) | instskip(NEXT) | instid1(VALU_DEP_1)
	v_fma_f64 v[188:189], -v[184:185], v[186:187], 1.0
	v_fma_f64 v[186:187], v[186:187], v[188:189], v[186:187]
	s_delay_alu instid0(VALU_DEP_1) | instskip(NEXT) | instid1(VALU_DEP_1)
	v_mul_f64 v[188:189], v[190:191], v[186:187]
	v_fma_f64 v[184:185], -v[184:185], v[188:189], v[190:191]
	s_delay_alu instid0(VALU_DEP_1) | instskip(NEXT) | instid1(VALU_DEP_1)
	v_div_fmas_f64 v[184:185], v[184:185], v[186:187], v[188:189]
	v_div_fixup_f64 v[184:185], v[184:185], v[180:181], v[182:183]
	s_delay_alu instid0(VALU_DEP_1) | instskip(NEXT) | instid1(VALU_DEP_1)
	v_fma_f64 v[180:181], v[182:183], v[184:185], v[180:181]
	v_div_scale_f64 v[182:183], null, v[180:181], v[180:181], 1.0
	s_delay_alu instid0(VALU_DEP_1) | instskip(SKIP_2) | instid1(VALU_DEP_1)
	v_rcp_f64_e32 v[186:187], v[182:183]
	s_waitcnt_depctr 0xfff
	v_fma_f64 v[188:189], -v[182:183], v[186:187], 1.0
	v_fma_f64 v[186:187], v[186:187], v[188:189], v[186:187]
	s_delay_alu instid0(VALU_DEP_1) | instskip(NEXT) | instid1(VALU_DEP_1)
	v_fma_f64 v[188:189], -v[182:183], v[186:187], 1.0
	v_fma_f64 v[186:187], v[186:187], v[188:189], v[186:187]
	v_div_scale_f64 v[188:189], vcc_lo, 1.0, v[180:181], 1.0
	s_delay_alu instid0(VALU_DEP_1) | instskip(NEXT) | instid1(VALU_DEP_1)
	v_mul_f64 v[190:191], v[188:189], v[186:187]
	v_fma_f64 v[182:183], -v[182:183], v[190:191], v[188:189]
	s_delay_alu instid0(VALU_DEP_1) | instskip(NEXT) | instid1(VALU_DEP_1)
	v_div_fmas_f64 v[182:183], v[182:183], v[186:187], v[190:191]
	v_div_fixup_f64 v[188:189], v[182:183], v[180:181], 1.0
	s_delay_alu instid0(VALU_DEP_1)
	v_mul_f64 v[186:187], v[184:185], -v[188:189]
.LBB81_250:
	s_or_b32 exec_lo, exec_lo, s3
	ds_store_2addr_b64 v239, v[188:189], v[186:187] offset1:1
.LBB81_251:
	s_or_b32 exec_lo, exec_lo, s4
	s_waitcnt lgkmcnt(0)
	s_barrier
	buffer_gl0_inv
	ds_load_2addr_b64 v[180:183], v239 offset1:1
	s_mov_b32 s3, exec_lo
	v_cmpx_lt_u32_e32 27, v238
	s_cbranch_execz .LBB81_253
; %bb.252:
	s_waitcnt lgkmcnt(0)
	v_mul_f64 v[184:185], v[180:181], v[54:55]
	v_mul_f64 v[54:55], v[182:183], v[54:55]
	ds_load_2addr_b64 v[186:189], v240 offset0:56 offset1:57
	v_fma_f64 v[184:185], v[182:183], v[52:53], v[184:185]
	v_fma_f64 v[52:53], v[180:181], v[52:53], -v[54:55]
	s_waitcnt lgkmcnt(0)
	s_delay_alu instid0(VALU_DEP_2) | instskip(NEXT) | instid1(VALU_DEP_1)
	v_mul_f64 v[54:55], v[188:189], v[184:185]
	v_fma_f64 v[54:55], v[186:187], v[52:53], -v[54:55]
	v_mul_f64 v[186:187], v[186:187], v[184:185]
	s_delay_alu instid0(VALU_DEP_2) | instskip(NEXT) | instid1(VALU_DEP_2)
	v_add_f64 v[48:49], v[48:49], -v[54:55]
	v_fma_f64 v[186:187], v[188:189], v[52:53], v[186:187]
	s_delay_alu instid0(VALU_DEP_1) | instskip(SKIP_3) | instid1(VALU_DEP_1)
	v_add_f64 v[50:51], v[50:51], -v[186:187]
	ds_load_2addr_b64 v[186:189], v240 offset0:58 offset1:59
	s_waitcnt lgkmcnt(0)
	v_mul_f64 v[54:55], v[188:189], v[184:185]
	v_fma_f64 v[54:55], v[186:187], v[52:53], -v[54:55]
	v_mul_f64 v[186:187], v[186:187], v[184:185]
	s_delay_alu instid0(VALU_DEP_2) | instskip(NEXT) | instid1(VALU_DEP_2)
	v_add_f64 v[44:45], v[44:45], -v[54:55]
	v_fma_f64 v[186:187], v[188:189], v[52:53], v[186:187]
	s_delay_alu instid0(VALU_DEP_1) | instskip(SKIP_3) | instid1(VALU_DEP_1)
	v_add_f64 v[46:47], v[46:47], -v[186:187]
	ds_load_2addr_b64 v[186:189], v240 offset0:60 offset1:61
	s_waitcnt lgkmcnt(0)
	;; [unrolled: 10-line block ×12, first 2 shown]
	v_mul_f64 v[54:55], v[188:189], v[184:185]
	v_fma_f64 v[54:55], v[186:187], v[52:53], -v[54:55]
	v_mul_f64 v[186:187], v[186:187], v[184:185]
	s_delay_alu instid0(VALU_DEP_2) | instskip(NEXT) | instid1(VALU_DEP_2)
	v_add_f64 v[0:1], v[0:1], -v[54:55]
	v_fma_f64 v[186:187], v[188:189], v[52:53], v[186:187]
	v_dual_mov_b32 v54, v184 :: v_dual_mov_b32 v55, v185
	s_delay_alu instid0(VALU_DEP_2)
	v_add_f64 v[2:3], v[2:3], -v[186:187]
.LBB81_253:
	s_or_b32 exec_lo, exec_lo, s3
	s_delay_alu instid0(SALU_CYCLE_1)
	s_mov_b32 s4, exec_lo
	s_waitcnt lgkmcnt(0)
	s_barrier
	buffer_gl0_inv
	v_cmpx_eq_u32_e32 28, v238
	s_cbranch_execz .LBB81_260
; %bb.254:
	ds_store_2addr_b64 v239, v[48:49], v[50:51] offset1:1
	ds_store_2addr_b64 v240, v[44:45], v[46:47] offset0:58 offset1:59
	ds_store_2addr_b64 v240, v[40:41], v[42:43] offset0:60 offset1:61
	ds_store_2addr_b64 v240, v[36:37], v[38:39] offset0:62 offset1:63
	ds_store_2addr_b64 v240, v[32:33], v[34:35] offset0:64 offset1:65
	ds_store_2addr_b64 v240, v[28:29], v[30:31] offset0:66 offset1:67
	ds_store_2addr_b64 v240, v[24:25], v[26:27] offset0:68 offset1:69
	ds_store_2addr_b64 v240, v[20:21], v[22:23] offset0:70 offset1:71
	ds_store_2addr_b64 v240, v[16:17], v[18:19] offset0:72 offset1:73
	ds_store_2addr_b64 v240, v[12:13], v[14:15] offset0:74 offset1:75
	ds_store_2addr_b64 v240, v[8:9], v[10:11] offset0:76 offset1:77
	ds_store_2addr_b64 v240, v[4:5], v[6:7] offset0:78 offset1:79
	ds_store_2addr_b64 v240, v[0:1], v[2:3] offset0:80 offset1:81
	ds_load_2addr_b64 v[184:187], v239 offset1:1
	s_waitcnt lgkmcnt(0)
	v_cmp_neq_f64_e32 vcc_lo, 0, v[184:185]
	v_cmp_neq_f64_e64 s3, 0, v[186:187]
	s_delay_alu instid0(VALU_DEP_1) | instskip(NEXT) | instid1(SALU_CYCLE_1)
	s_or_b32 s3, vcc_lo, s3
	s_and_b32 exec_lo, exec_lo, s3
	s_cbranch_execz .LBB81_260
; %bb.255:
	v_cmp_gt_f64_e32 vcc_lo, 0, v[184:185]
	v_xor_b32_e32 v188, 0x80000000, v185
	v_xor_b32_e32 v190, 0x80000000, v187
	s_mov_b32 s3, exec_lo
                                        ; implicit-def: $vgpr192_vgpr193
	s_delay_alu instid0(VALU_DEP_2) | instskip(SKIP_4) | instid1(VALU_DEP_1)
	v_cndmask_b32_e32 v189, v185, v188, vcc_lo
	v_cndmask_b32_e32 v188, v184, v184, vcc_lo
	v_cmp_gt_f64_e32 vcc_lo, 0, v[186:187]
	v_cndmask_b32_e32 v191, v187, v190, vcc_lo
	v_cndmask_b32_e32 v190, v186, v186, vcc_lo
	v_cmpx_ngt_f64_e32 v[188:189], v[190:191]
	s_xor_b32 s3, exec_lo, s3
                                        ; implicit-def: $vgpr188_vgpr189_vgpr190_vgpr191
	s_cbranch_execz .LBB81_257
; %bb.256:
	v_div_scale_f64 v[188:189], null, v[186:187], v[186:187], v[184:185]
	v_div_scale_f64 v[194:195], vcc_lo, v[184:185], v[186:187], v[184:185]
	s_delay_alu instid0(VALU_DEP_2) | instskip(SKIP_2) | instid1(VALU_DEP_1)
	v_rcp_f64_e32 v[190:191], v[188:189]
	s_waitcnt_depctr 0xfff
	v_fma_f64 v[192:193], -v[188:189], v[190:191], 1.0
	v_fma_f64 v[190:191], v[190:191], v[192:193], v[190:191]
	s_delay_alu instid0(VALU_DEP_1) | instskip(NEXT) | instid1(VALU_DEP_1)
	v_fma_f64 v[192:193], -v[188:189], v[190:191], 1.0
	v_fma_f64 v[190:191], v[190:191], v[192:193], v[190:191]
	s_delay_alu instid0(VALU_DEP_1) | instskip(NEXT) | instid1(VALU_DEP_1)
	v_mul_f64 v[192:193], v[194:195], v[190:191]
	v_fma_f64 v[188:189], -v[188:189], v[192:193], v[194:195]
	s_delay_alu instid0(VALU_DEP_1) | instskip(NEXT) | instid1(VALU_DEP_1)
	v_div_fmas_f64 v[188:189], v[188:189], v[190:191], v[192:193]
	v_div_fixup_f64 v[188:189], v[188:189], v[186:187], v[184:185]
	s_delay_alu instid0(VALU_DEP_1) | instskip(NEXT) | instid1(VALU_DEP_1)
	v_fma_f64 v[184:185], v[184:185], v[188:189], v[186:187]
	v_div_scale_f64 v[186:187], null, v[184:185], v[184:185], 1.0
	s_delay_alu instid0(VALU_DEP_1) | instskip(SKIP_2) | instid1(VALU_DEP_1)
	v_rcp_f64_e32 v[190:191], v[186:187]
	s_waitcnt_depctr 0xfff
	v_fma_f64 v[192:193], -v[186:187], v[190:191], 1.0
	v_fma_f64 v[190:191], v[190:191], v[192:193], v[190:191]
	s_delay_alu instid0(VALU_DEP_1) | instskip(NEXT) | instid1(VALU_DEP_1)
	v_fma_f64 v[192:193], -v[186:187], v[190:191], 1.0
	v_fma_f64 v[190:191], v[190:191], v[192:193], v[190:191]
	v_div_scale_f64 v[192:193], vcc_lo, 1.0, v[184:185], 1.0
	s_delay_alu instid0(VALU_DEP_1) | instskip(NEXT) | instid1(VALU_DEP_1)
	v_mul_f64 v[194:195], v[192:193], v[190:191]
	v_fma_f64 v[186:187], -v[186:187], v[194:195], v[192:193]
	s_delay_alu instid0(VALU_DEP_1) | instskip(NEXT) | instid1(VALU_DEP_1)
	v_div_fmas_f64 v[186:187], v[186:187], v[190:191], v[194:195]
	v_div_fixup_f64 v[190:191], v[186:187], v[184:185], 1.0
                                        ; implicit-def: $vgpr184_vgpr185
	s_delay_alu instid0(VALU_DEP_1)
	v_mul_f64 v[192:193], v[188:189], v[190:191]
	v_xor_b32_e32 v191, 0x80000000, v191
.LBB81_257:
	s_and_not1_saveexec_b32 s3, s3
	s_cbranch_execz .LBB81_259
; %bb.258:
	v_div_scale_f64 v[188:189], null, v[184:185], v[184:185], v[186:187]
	v_div_scale_f64 v[194:195], vcc_lo, v[186:187], v[184:185], v[186:187]
	s_delay_alu instid0(VALU_DEP_2) | instskip(SKIP_2) | instid1(VALU_DEP_1)
	v_rcp_f64_e32 v[190:191], v[188:189]
	s_waitcnt_depctr 0xfff
	v_fma_f64 v[192:193], -v[188:189], v[190:191], 1.0
	v_fma_f64 v[190:191], v[190:191], v[192:193], v[190:191]
	s_delay_alu instid0(VALU_DEP_1) | instskip(NEXT) | instid1(VALU_DEP_1)
	v_fma_f64 v[192:193], -v[188:189], v[190:191], 1.0
	v_fma_f64 v[190:191], v[190:191], v[192:193], v[190:191]
	s_delay_alu instid0(VALU_DEP_1) | instskip(NEXT) | instid1(VALU_DEP_1)
	v_mul_f64 v[192:193], v[194:195], v[190:191]
	v_fma_f64 v[188:189], -v[188:189], v[192:193], v[194:195]
	s_delay_alu instid0(VALU_DEP_1) | instskip(NEXT) | instid1(VALU_DEP_1)
	v_div_fmas_f64 v[188:189], v[188:189], v[190:191], v[192:193]
	v_div_fixup_f64 v[188:189], v[188:189], v[184:185], v[186:187]
	s_delay_alu instid0(VALU_DEP_1) | instskip(NEXT) | instid1(VALU_DEP_1)
	v_fma_f64 v[184:185], v[186:187], v[188:189], v[184:185]
	v_div_scale_f64 v[186:187], null, v[184:185], v[184:185], 1.0
	s_delay_alu instid0(VALU_DEP_1) | instskip(SKIP_2) | instid1(VALU_DEP_1)
	v_rcp_f64_e32 v[190:191], v[186:187]
	s_waitcnt_depctr 0xfff
	v_fma_f64 v[192:193], -v[186:187], v[190:191], 1.0
	v_fma_f64 v[190:191], v[190:191], v[192:193], v[190:191]
	s_delay_alu instid0(VALU_DEP_1) | instskip(NEXT) | instid1(VALU_DEP_1)
	v_fma_f64 v[192:193], -v[186:187], v[190:191], 1.0
	v_fma_f64 v[190:191], v[190:191], v[192:193], v[190:191]
	v_div_scale_f64 v[192:193], vcc_lo, 1.0, v[184:185], 1.0
	s_delay_alu instid0(VALU_DEP_1) | instskip(NEXT) | instid1(VALU_DEP_1)
	v_mul_f64 v[194:195], v[192:193], v[190:191]
	v_fma_f64 v[186:187], -v[186:187], v[194:195], v[192:193]
	s_delay_alu instid0(VALU_DEP_1) | instskip(NEXT) | instid1(VALU_DEP_1)
	v_div_fmas_f64 v[186:187], v[186:187], v[190:191], v[194:195]
	v_div_fixup_f64 v[192:193], v[186:187], v[184:185], 1.0
	s_delay_alu instid0(VALU_DEP_1)
	v_mul_f64 v[190:191], v[188:189], -v[192:193]
.LBB81_259:
	s_or_b32 exec_lo, exec_lo, s3
	ds_store_2addr_b64 v239, v[192:193], v[190:191] offset1:1
.LBB81_260:
	s_or_b32 exec_lo, exec_lo, s4
	s_waitcnt lgkmcnt(0)
	s_barrier
	buffer_gl0_inv
	ds_load_2addr_b64 v[184:187], v239 offset1:1
	s_mov_b32 s3, exec_lo
	v_cmpx_lt_u32_e32 28, v238
	s_cbranch_execz .LBB81_262
; %bb.261:
	s_waitcnt lgkmcnt(0)
	v_mul_f64 v[188:189], v[184:185], v[50:51]
	v_mul_f64 v[50:51], v[186:187], v[50:51]
	s_delay_alu instid0(VALU_DEP_2) | instskip(SKIP_4) | instid1(VALU_DEP_1)
	v_fma_f64 v[192:193], v[186:187], v[48:49], v[188:189]
	ds_load_2addr_b64 v[188:191], v240 offset0:58 offset1:59
	v_fma_f64 v[48:49], v[184:185], v[48:49], -v[50:51]
	s_waitcnt lgkmcnt(0)
	v_mul_f64 v[50:51], v[190:191], v[192:193]
	v_fma_f64 v[50:51], v[188:189], v[48:49], -v[50:51]
	v_mul_f64 v[188:189], v[188:189], v[192:193]
	s_delay_alu instid0(VALU_DEP_2) | instskip(NEXT) | instid1(VALU_DEP_2)
	v_add_f64 v[44:45], v[44:45], -v[50:51]
	v_fma_f64 v[188:189], v[190:191], v[48:49], v[188:189]
	s_delay_alu instid0(VALU_DEP_1) | instskip(SKIP_3) | instid1(VALU_DEP_1)
	v_add_f64 v[46:47], v[46:47], -v[188:189]
	ds_load_2addr_b64 v[188:191], v240 offset0:60 offset1:61
	s_waitcnt lgkmcnt(0)
	v_mul_f64 v[50:51], v[190:191], v[192:193]
	v_fma_f64 v[50:51], v[188:189], v[48:49], -v[50:51]
	v_mul_f64 v[188:189], v[188:189], v[192:193]
	s_delay_alu instid0(VALU_DEP_2) | instskip(NEXT) | instid1(VALU_DEP_2)
	v_add_f64 v[40:41], v[40:41], -v[50:51]
	v_fma_f64 v[188:189], v[190:191], v[48:49], v[188:189]
	s_delay_alu instid0(VALU_DEP_1) | instskip(SKIP_3) | instid1(VALU_DEP_1)
	v_add_f64 v[42:43], v[42:43], -v[188:189]
	ds_load_2addr_b64 v[188:191], v240 offset0:62 offset1:63
	;; [unrolled: 10-line block ×11, first 2 shown]
	s_waitcnt lgkmcnt(0)
	v_mul_f64 v[50:51], v[190:191], v[192:193]
	v_fma_f64 v[50:51], v[188:189], v[48:49], -v[50:51]
	v_mul_f64 v[188:189], v[188:189], v[192:193]
	s_delay_alu instid0(VALU_DEP_2) | instskip(NEXT) | instid1(VALU_DEP_2)
	v_add_f64 v[0:1], v[0:1], -v[50:51]
	v_fma_f64 v[188:189], v[190:191], v[48:49], v[188:189]
	v_dual_mov_b32 v50, v192 :: v_dual_mov_b32 v51, v193
	s_delay_alu instid0(VALU_DEP_2)
	v_add_f64 v[2:3], v[2:3], -v[188:189]
.LBB81_262:
	s_or_b32 exec_lo, exec_lo, s3
	s_delay_alu instid0(SALU_CYCLE_1)
	s_mov_b32 s4, exec_lo
	s_waitcnt lgkmcnt(0)
	s_barrier
	buffer_gl0_inv
	v_cmpx_eq_u32_e32 29, v238
	s_cbranch_execz .LBB81_269
; %bb.263:
	ds_store_2addr_b64 v239, v[44:45], v[46:47] offset1:1
	ds_store_2addr_b64 v240, v[40:41], v[42:43] offset0:60 offset1:61
	ds_store_2addr_b64 v240, v[36:37], v[38:39] offset0:62 offset1:63
	;; [unrolled: 1-line block ×11, first 2 shown]
	ds_load_2addr_b64 v[188:191], v239 offset1:1
	s_waitcnt lgkmcnt(0)
	v_cmp_neq_f64_e32 vcc_lo, 0, v[188:189]
	v_cmp_neq_f64_e64 s3, 0, v[190:191]
	s_delay_alu instid0(VALU_DEP_1) | instskip(NEXT) | instid1(SALU_CYCLE_1)
	s_or_b32 s3, vcc_lo, s3
	s_and_b32 exec_lo, exec_lo, s3
	s_cbranch_execz .LBB81_269
; %bb.264:
	v_cmp_gt_f64_e32 vcc_lo, 0, v[188:189]
	v_xor_b32_e32 v192, 0x80000000, v189
	v_xor_b32_e32 v194, 0x80000000, v191
	s_mov_b32 s3, exec_lo
                                        ; implicit-def: $vgpr196_vgpr197
	s_delay_alu instid0(VALU_DEP_2) | instskip(SKIP_4) | instid1(VALU_DEP_1)
	v_cndmask_b32_e32 v193, v189, v192, vcc_lo
	v_cndmask_b32_e32 v192, v188, v188, vcc_lo
	v_cmp_gt_f64_e32 vcc_lo, 0, v[190:191]
	v_cndmask_b32_e32 v195, v191, v194, vcc_lo
	v_cndmask_b32_e32 v194, v190, v190, vcc_lo
	v_cmpx_ngt_f64_e32 v[192:193], v[194:195]
	s_xor_b32 s3, exec_lo, s3
                                        ; implicit-def: $vgpr192_vgpr193_vgpr194_vgpr195
	s_cbranch_execz .LBB81_266
; %bb.265:
	v_div_scale_f64 v[192:193], null, v[190:191], v[190:191], v[188:189]
	v_div_scale_f64 v[198:199], vcc_lo, v[188:189], v[190:191], v[188:189]
	s_delay_alu instid0(VALU_DEP_2) | instskip(SKIP_2) | instid1(VALU_DEP_1)
	v_rcp_f64_e32 v[194:195], v[192:193]
	s_waitcnt_depctr 0xfff
	v_fma_f64 v[196:197], -v[192:193], v[194:195], 1.0
	v_fma_f64 v[194:195], v[194:195], v[196:197], v[194:195]
	s_delay_alu instid0(VALU_DEP_1) | instskip(NEXT) | instid1(VALU_DEP_1)
	v_fma_f64 v[196:197], -v[192:193], v[194:195], 1.0
	v_fma_f64 v[194:195], v[194:195], v[196:197], v[194:195]
	s_delay_alu instid0(VALU_DEP_1) | instskip(NEXT) | instid1(VALU_DEP_1)
	v_mul_f64 v[196:197], v[198:199], v[194:195]
	v_fma_f64 v[192:193], -v[192:193], v[196:197], v[198:199]
	s_delay_alu instid0(VALU_DEP_1) | instskip(NEXT) | instid1(VALU_DEP_1)
	v_div_fmas_f64 v[192:193], v[192:193], v[194:195], v[196:197]
	v_div_fixup_f64 v[192:193], v[192:193], v[190:191], v[188:189]
	s_delay_alu instid0(VALU_DEP_1) | instskip(NEXT) | instid1(VALU_DEP_1)
	v_fma_f64 v[188:189], v[188:189], v[192:193], v[190:191]
	v_div_scale_f64 v[190:191], null, v[188:189], v[188:189], 1.0
	s_delay_alu instid0(VALU_DEP_1) | instskip(SKIP_2) | instid1(VALU_DEP_1)
	v_rcp_f64_e32 v[194:195], v[190:191]
	s_waitcnt_depctr 0xfff
	v_fma_f64 v[196:197], -v[190:191], v[194:195], 1.0
	v_fma_f64 v[194:195], v[194:195], v[196:197], v[194:195]
	s_delay_alu instid0(VALU_DEP_1) | instskip(NEXT) | instid1(VALU_DEP_1)
	v_fma_f64 v[196:197], -v[190:191], v[194:195], 1.0
	v_fma_f64 v[194:195], v[194:195], v[196:197], v[194:195]
	v_div_scale_f64 v[196:197], vcc_lo, 1.0, v[188:189], 1.0
	s_delay_alu instid0(VALU_DEP_1) | instskip(NEXT) | instid1(VALU_DEP_1)
	v_mul_f64 v[198:199], v[196:197], v[194:195]
	v_fma_f64 v[190:191], -v[190:191], v[198:199], v[196:197]
	s_delay_alu instid0(VALU_DEP_1) | instskip(NEXT) | instid1(VALU_DEP_1)
	v_div_fmas_f64 v[190:191], v[190:191], v[194:195], v[198:199]
	v_div_fixup_f64 v[194:195], v[190:191], v[188:189], 1.0
                                        ; implicit-def: $vgpr188_vgpr189
	s_delay_alu instid0(VALU_DEP_1)
	v_mul_f64 v[196:197], v[192:193], v[194:195]
	v_xor_b32_e32 v195, 0x80000000, v195
.LBB81_266:
	s_and_not1_saveexec_b32 s3, s3
	s_cbranch_execz .LBB81_268
; %bb.267:
	v_div_scale_f64 v[192:193], null, v[188:189], v[188:189], v[190:191]
	v_div_scale_f64 v[198:199], vcc_lo, v[190:191], v[188:189], v[190:191]
	s_delay_alu instid0(VALU_DEP_2) | instskip(SKIP_2) | instid1(VALU_DEP_1)
	v_rcp_f64_e32 v[194:195], v[192:193]
	s_waitcnt_depctr 0xfff
	v_fma_f64 v[196:197], -v[192:193], v[194:195], 1.0
	v_fma_f64 v[194:195], v[194:195], v[196:197], v[194:195]
	s_delay_alu instid0(VALU_DEP_1) | instskip(NEXT) | instid1(VALU_DEP_1)
	v_fma_f64 v[196:197], -v[192:193], v[194:195], 1.0
	v_fma_f64 v[194:195], v[194:195], v[196:197], v[194:195]
	s_delay_alu instid0(VALU_DEP_1) | instskip(NEXT) | instid1(VALU_DEP_1)
	v_mul_f64 v[196:197], v[198:199], v[194:195]
	v_fma_f64 v[192:193], -v[192:193], v[196:197], v[198:199]
	s_delay_alu instid0(VALU_DEP_1) | instskip(NEXT) | instid1(VALU_DEP_1)
	v_div_fmas_f64 v[192:193], v[192:193], v[194:195], v[196:197]
	v_div_fixup_f64 v[192:193], v[192:193], v[188:189], v[190:191]
	s_delay_alu instid0(VALU_DEP_1) | instskip(NEXT) | instid1(VALU_DEP_1)
	v_fma_f64 v[188:189], v[190:191], v[192:193], v[188:189]
	v_div_scale_f64 v[190:191], null, v[188:189], v[188:189], 1.0
	s_delay_alu instid0(VALU_DEP_1) | instskip(SKIP_2) | instid1(VALU_DEP_1)
	v_rcp_f64_e32 v[194:195], v[190:191]
	s_waitcnt_depctr 0xfff
	v_fma_f64 v[196:197], -v[190:191], v[194:195], 1.0
	v_fma_f64 v[194:195], v[194:195], v[196:197], v[194:195]
	s_delay_alu instid0(VALU_DEP_1) | instskip(NEXT) | instid1(VALU_DEP_1)
	v_fma_f64 v[196:197], -v[190:191], v[194:195], 1.0
	v_fma_f64 v[194:195], v[194:195], v[196:197], v[194:195]
	v_div_scale_f64 v[196:197], vcc_lo, 1.0, v[188:189], 1.0
	s_delay_alu instid0(VALU_DEP_1) | instskip(NEXT) | instid1(VALU_DEP_1)
	v_mul_f64 v[198:199], v[196:197], v[194:195]
	v_fma_f64 v[190:191], -v[190:191], v[198:199], v[196:197]
	s_delay_alu instid0(VALU_DEP_1) | instskip(NEXT) | instid1(VALU_DEP_1)
	v_div_fmas_f64 v[190:191], v[190:191], v[194:195], v[198:199]
	v_div_fixup_f64 v[196:197], v[190:191], v[188:189], 1.0
	s_delay_alu instid0(VALU_DEP_1)
	v_mul_f64 v[194:195], v[192:193], -v[196:197]
.LBB81_268:
	s_or_b32 exec_lo, exec_lo, s3
	ds_store_2addr_b64 v239, v[196:197], v[194:195] offset1:1
.LBB81_269:
	s_or_b32 exec_lo, exec_lo, s4
	s_waitcnt lgkmcnt(0)
	s_barrier
	buffer_gl0_inv
	ds_load_2addr_b64 v[188:191], v239 offset1:1
	s_mov_b32 s3, exec_lo
	v_cmpx_lt_u32_e32 29, v238
	s_cbranch_execz .LBB81_271
; %bb.270:
	s_waitcnt lgkmcnt(0)
	v_mul_f64 v[192:193], v[188:189], v[46:47]
	v_mul_f64 v[46:47], v[190:191], v[46:47]
	s_delay_alu instid0(VALU_DEP_2) | instskip(SKIP_4) | instid1(VALU_DEP_1)
	v_fma_f64 v[196:197], v[190:191], v[44:45], v[192:193]
	ds_load_2addr_b64 v[192:195], v240 offset0:60 offset1:61
	v_fma_f64 v[44:45], v[188:189], v[44:45], -v[46:47]
	s_waitcnt lgkmcnt(0)
	v_mul_f64 v[46:47], v[194:195], v[196:197]
	v_fma_f64 v[46:47], v[192:193], v[44:45], -v[46:47]
	v_mul_f64 v[192:193], v[192:193], v[196:197]
	s_delay_alu instid0(VALU_DEP_2) | instskip(NEXT) | instid1(VALU_DEP_2)
	v_add_f64 v[40:41], v[40:41], -v[46:47]
	v_fma_f64 v[192:193], v[194:195], v[44:45], v[192:193]
	s_delay_alu instid0(VALU_DEP_1) | instskip(SKIP_3) | instid1(VALU_DEP_1)
	v_add_f64 v[42:43], v[42:43], -v[192:193]
	ds_load_2addr_b64 v[192:195], v240 offset0:62 offset1:63
	s_waitcnt lgkmcnt(0)
	v_mul_f64 v[46:47], v[194:195], v[196:197]
	v_fma_f64 v[46:47], v[192:193], v[44:45], -v[46:47]
	v_mul_f64 v[192:193], v[192:193], v[196:197]
	s_delay_alu instid0(VALU_DEP_2) | instskip(NEXT) | instid1(VALU_DEP_2)
	v_add_f64 v[36:37], v[36:37], -v[46:47]
	v_fma_f64 v[192:193], v[194:195], v[44:45], v[192:193]
	s_delay_alu instid0(VALU_DEP_1) | instskip(SKIP_3) | instid1(VALU_DEP_1)
	v_add_f64 v[38:39], v[38:39], -v[192:193]
	ds_load_2addr_b64 v[192:195], v240 offset0:64 offset1:65
	;; [unrolled: 10-line block ×10, first 2 shown]
	s_waitcnt lgkmcnt(0)
	v_mul_f64 v[46:47], v[194:195], v[196:197]
	v_fma_f64 v[46:47], v[192:193], v[44:45], -v[46:47]
	v_mul_f64 v[192:193], v[192:193], v[196:197]
	s_delay_alu instid0(VALU_DEP_2) | instskip(NEXT) | instid1(VALU_DEP_2)
	v_add_f64 v[0:1], v[0:1], -v[46:47]
	v_fma_f64 v[192:193], v[194:195], v[44:45], v[192:193]
	v_dual_mov_b32 v46, v196 :: v_dual_mov_b32 v47, v197
	s_delay_alu instid0(VALU_DEP_2)
	v_add_f64 v[2:3], v[2:3], -v[192:193]
.LBB81_271:
	s_or_b32 exec_lo, exec_lo, s3
	s_delay_alu instid0(SALU_CYCLE_1)
	s_mov_b32 s4, exec_lo
	s_waitcnt lgkmcnt(0)
	s_barrier
	buffer_gl0_inv
	v_cmpx_eq_u32_e32 30, v238
	s_cbranch_execz .LBB81_278
; %bb.272:
	ds_store_2addr_b64 v239, v[40:41], v[42:43] offset1:1
	ds_store_2addr_b64 v240, v[36:37], v[38:39] offset0:62 offset1:63
	ds_store_2addr_b64 v240, v[32:33], v[34:35] offset0:64 offset1:65
	;; [unrolled: 1-line block ×10, first 2 shown]
	ds_load_2addr_b64 v[192:195], v239 offset1:1
	s_waitcnt lgkmcnt(0)
	v_cmp_neq_f64_e32 vcc_lo, 0, v[192:193]
	v_cmp_neq_f64_e64 s3, 0, v[194:195]
	s_delay_alu instid0(VALU_DEP_1) | instskip(NEXT) | instid1(SALU_CYCLE_1)
	s_or_b32 s3, vcc_lo, s3
	s_and_b32 exec_lo, exec_lo, s3
	s_cbranch_execz .LBB81_278
; %bb.273:
	v_cmp_gt_f64_e32 vcc_lo, 0, v[192:193]
	v_xor_b32_e32 v196, 0x80000000, v193
	v_xor_b32_e32 v198, 0x80000000, v195
	s_mov_b32 s3, exec_lo
                                        ; implicit-def: $vgpr200_vgpr201
	s_delay_alu instid0(VALU_DEP_2) | instskip(SKIP_4) | instid1(VALU_DEP_1)
	v_cndmask_b32_e32 v197, v193, v196, vcc_lo
	v_cndmask_b32_e32 v196, v192, v192, vcc_lo
	v_cmp_gt_f64_e32 vcc_lo, 0, v[194:195]
	v_cndmask_b32_e32 v199, v195, v198, vcc_lo
	v_cndmask_b32_e32 v198, v194, v194, vcc_lo
	v_cmpx_ngt_f64_e32 v[196:197], v[198:199]
	s_xor_b32 s3, exec_lo, s3
                                        ; implicit-def: $vgpr196_vgpr197_vgpr198_vgpr199
	s_cbranch_execz .LBB81_275
; %bb.274:
	v_div_scale_f64 v[196:197], null, v[194:195], v[194:195], v[192:193]
	v_div_scale_f64 v[202:203], vcc_lo, v[192:193], v[194:195], v[192:193]
	s_delay_alu instid0(VALU_DEP_2) | instskip(SKIP_2) | instid1(VALU_DEP_1)
	v_rcp_f64_e32 v[198:199], v[196:197]
	s_waitcnt_depctr 0xfff
	v_fma_f64 v[200:201], -v[196:197], v[198:199], 1.0
	v_fma_f64 v[198:199], v[198:199], v[200:201], v[198:199]
	s_delay_alu instid0(VALU_DEP_1) | instskip(NEXT) | instid1(VALU_DEP_1)
	v_fma_f64 v[200:201], -v[196:197], v[198:199], 1.0
	v_fma_f64 v[198:199], v[198:199], v[200:201], v[198:199]
	s_delay_alu instid0(VALU_DEP_1) | instskip(NEXT) | instid1(VALU_DEP_1)
	v_mul_f64 v[200:201], v[202:203], v[198:199]
	v_fma_f64 v[196:197], -v[196:197], v[200:201], v[202:203]
	s_delay_alu instid0(VALU_DEP_1) | instskip(NEXT) | instid1(VALU_DEP_1)
	v_div_fmas_f64 v[196:197], v[196:197], v[198:199], v[200:201]
	v_div_fixup_f64 v[196:197], v[196:197], v[194:195], v[192:193]
	s_delay_alu instid0(VALU_DEP_1) | instskip(NEXT) | instid1(VALU_DEP_1)
	v_fma_f64 v[192:193], v[192:193], v[196:197], v[194:195]
	v_div_scale_f64 v[194:195], null, v[192:193], v[192:193], 1.0
	s_delay_alu instid0(VALU_DEP_1) | instskip(SKIP_2) | instid1(VALU_DEP_1)
	v_rcp_f64_e32 v[198:199], v[194:195]
	s_waitcnt_depctr 0xfff
	v_fma_f64 v[200:201], -v[194:195], v[198:199], 1.0
	v_fma_f64 v[198:199], v[198:199], v[200:201], v[198:199]
	s_delay_alu instid0(VALU_DEP_1) | instskip(NEXT) | instid1(VALU_DEP_1)
	v_fma_f64 v[200:201], -v[194:195], v[198:199], 1.0
	v_fma_f64 v[198:199], v[198:199], v[200:201], v[198:199]
	v_div_scale_f64 v[200:201], vcc_lo, 1.0, v[192:193], 1.0
	s_delay_alu instid0(VALU_DEP_1) | instskip(NEXT) | instid1(VALU_DEP_1)
	v_mul_f64 v[202:203], v[200:201], v[198:199]
	v_fma_f64 v[194:195], -v[194:195], v[202:203], v[200:201]
	s_delay_alu instid0(VALU_DEP_1) | instskip(NEXT) | instid1(VALU_DEP_1)
	v_div_fmas_f64 v[194:195], v[194:195], v[198:199], v[202:203]
	v_div_fixup_f64 v[198:199], v[194:195], v[192:193], 1.0
                                        ; implicit-def: $vgpr192_vgpr193
	s_delay_alu instid0(VALU_DEP_1)
	v_mul_f64 v[200:201], v[196:197], v[198:199]
	v_xor_b32_e32 v199, 0x80000000, v199
.LBB81_275:
	s_and_not1_saveexec_b32 s3, s3
	s_cbranch_execz .LBB81_277
; %bb.276:
	v_div_scale_f64 v[196:197], null, v[192:193], v[192:193], v[194:195]
	v_div_scale_f64 v[202:203], vcc_lo, v[194:195], v[192:193], v[194:195]
	s_delay_alu instid0(VALU_DEP_2) | instskip(SKIP_2) | instid1(VALU_DEP_1)
	v_rcp_f64_e32 v[198:199], v[196:197]
	s_waitcnt_depctr 0xfff
	v_fma_f64 v[200:201], -v[196:197], v[198:199], 1.0
	v_fma_f64 v[198:199], v[198:199], v[200:201], v[198:199]
	s_delay_alu instid0(VALU_DEP_1) | instskip(NEXT) | instid1(VALU_DEP_1)
	v_fma_f64 v[200:201], -v[196:197], v[198:199], 1.0
	v_fma_f64 v[198:199], v[198:199], v[200:201], v[198:199]
	s_delay_alu instid0(VALU_DEP_1) | instskip(NEXT) | instid1(VALU_DEP_1)
	v_mul_f64 v[200:201], v[202:203], v[198:199]
	v_fma_f64 v[196:197], -v[196:197], v[200:201], v[202:203]
	s_delay_alu instid0(VALU_DEP_1) | instskip(NEXT) | instid1(VALU_DEP_1)
	v_div_fmas_f64 v[196:197], v[196:197], v[198:199], v[200:201]
	v_div_fixup_f64 v[196:197], v[196:197], v[192:193], v[194:195]
	s_delay_alu instid0(VALU_DEP_1) | instskip(NEXT) | instid1(VALU_DEP_1)
	v_fma_f64 v[192:193], v[194:195], v[196:197], v[192:193]
	v_div_scale_f64 v[194:195], null, v[192:193], v[192:193], 1.0
	s_delay_alu instid0(VALU_DEP_1) | instskip(SKIP_2) | instid1(VALU_DEP_1)
	v_rcp_f64_e32 v[198:199], v[194:195]
	s_waitcnt_depctr 0xfff
	v_fma_f64 v[200:201], -v[194:195], v[198:199], 1.0
	v_fma_f64 v[198:199], v[198:199], v[200:201], v[198:199]
	s_delay_alu instid0(VALU_DEP_1) | instskip(NEXT) | instid1(VALU_DEP_1)
	v_fma_f64 v[200:201], -v[194:195], v[198:199], 1.0
	v_fma_f64 v[198:199], v[198:199], v[200:201], v[198:199]
	v_div_scale_f64 v[200:201], vcc_lo, 1.0, v[192:193], 1.0
	s_delay_alu instid0(VALU_DEP_1) | instskip(NEXT) | instid1(VALU_DEP_1)
	v_mul_f64 v[202:203], v[200:201], v[198:199]
	v_fma_f64 v[194:195], -v[194:195], v[202:203], v[200:201]
	s_delay_alu instid0(VALU_DEP_1) | instskip(NEXT) | instid1(VALU_DEP_1)
	v_div_fmas_f64 v[194:195], v[194:195], v[198:199], v[202:203]
	v_div_fixup_f64 v[200:201], v[194:195], v[192:193], 1.0
	s_delay_alu instid0(VALU_DEP_1)
	v_mul_f64 v[198:199], v[196:197], -v[200:201]
.LBB81_277:
	s_or_b32 exec_lo, exec_lo, s3
	ds_store_2addr_b64 v239, v[200:201], v[198:199] offset1:1
.LBB81_278:
	s_or_b32 exec_lo, exec_lo, s4
	s_waitcnt lgkmcnt(0)
	s_barrier
	buffer_gl0_inv
	ds_load_2addr_b64 v[192:195], v239 offset1:1
	s_mov_b32 s3, exec_lo
	v_cmpx_lt_u32_e32 30, v238
	s_cbranch_execz .LBB81_280
; %bb.279:
	s_waitcnt lgkmcnt(0)
	v_mul_f64 v[196:197], v[192:193], v[42:43]
	v_mul_f64 v[42:43], v[194:195], v[42:43]
	s_delay_alu instid0(VALU_DEP_2) | instskip(SKIP_4) | instid1(VALU_DEP_1)
	v_fma_f64 v[200:201], v[194:195], v[40:41], v[196:197]
	ds_load_2addr_b64 v[196:199], v240 offset0:62 offset1:63
	v_fma_f64 v[40:41], v[192:193], v[40:41], -v[42:43]
	s_waitcnt lgkmcnt(0)
	v_mul_f64 v[42:43], v[198:199], v[200:201]
	v_fma_f64 v[42:43], v[196:197], v[40:41], -v[42:43]
	v_mul_f64 v[196:197], v[196:197], v[200:201]
	s_delay_alu instid0(VALU_DEP_2) | instskip(NEXT) | instid1(VALU_DEP_2)
	v_add_f64 v[36:37], v[36:37], -v[42:43]
	v_fma_f64 v[196:197], v[198:199], v[40:41], v[196:197]
	s_delay_alu instid0(VALU_DEP_1) | instskip(SKIP_3) | instid1(VALU_DEP_1)
	v_add_f64 v[38:39], v[38:39], -v[196:197]
	ds_load_2addr_b64 v[196:199], v240 offset0:64 offset1:65
	s_waitcnt lgkmcnt(0)
	v_mul_f64 v[42:43], v[198:199], v[200:201]
	v_fma_f64 v[42:43], v[196:197], v[40:41], -v[42:43]
	v_mul_f64 v[196:197], v[196:197], v[200:201]
	s_delay_alu instid0(VALU_DEP_2) | instskip(NEXT) | instid1(VALU_DEP_2)
	v_add_f64 v[32:33], v[32:33], -v[42:43]
	v_fma_f64 v[196:197], v[198:199], v[40:41], v[196:197]
	s_delay_alu instid0(VALU_DEP_1) | instskip(SKIP_3) | instid1(VALU_DEP_1)
	v_add_f64 v[34:35], v[34:35], -v[196:197]
	ds_load_2addr_b64 v[196:199], v240 offset0:66 offset1:67
	;; [unrolled: 10-line block ×9, first 2 shown]
	s_waitcnt lgkmcnt(0)
	v_mul_f64 v[42:43], v[198:199], v[200:201]
	v_fma_f64 v[42:43], v[196:197], v[40:41], -v[42:43]
	v_mul_f64 v[196:197], v[196:197], v[200:201]
	s_delay_alu instid0(VALU_DEP_2) | instskip(NEXT) | instid1(VALU_DEP_2)
	v_add_f64 v[0:1], v[0:1], -v[42:43]
	v_fma_f64 v[196:197], v[198:199], v[40:41], v[196:197]
	v_dual_mov_b32 v42, v200 :: v_dual_mov_b32 v43, v201
	s_delay_alu instid0(VALU_DEP_2)
	v_add_f64 v[2:3], v[2:3], -v[196:197]
.LBB81_280:
	s_or_b32 exec_lo, exec_lo, s3
	s_delay_alu instid0(SALU_CYCLE_1)
	s_mov_b32 s4, exec_lo
	s_waitcnt lgkmcnt(0)
	s_barrier
	buffer_gl0_inv
	v_cmpx_eq_u32_e32 31, v238
	s_cbranch_execz .LBB81_287
; %bb.281:
	ds_store_2addr_b64 v239, v[36:37], v[38:39] offset1:1
	ds_store_2addr_b64 v240, v[32:33], v[34:35] offset0:64 offset1:65
	ds_store_2addr_b64 v240, v[28:29], v[30:31] offset0:66 offset1:67
	;; [unrolled: 1-line block ×9, first 2 shown]
	ds_load_2addr_b64 v[196:199], v239 offset1:1
	s_waitcnt lgkmcnt(0)
	v_cmp_neq_f64_e32 vcc_lo, 0, v[196:197]
	v_cmp_neq_f64_e64 s3, 0, v[198:199]
	s_delay_alu instid0(VALU_DEP_1) | instskip(NEXT) | instid1(SALU_CYCLE_1)
	s_or_b32 s3, vcc_lo, s3
	s_and_b32 exec_lo, exec_lo, s3
	s_cbranch_execz .LBB81_287
; %bb.282:
	v_cmp_gt_f64_e32 vcc_lo, 0, v[196:197]
	v_xor_b32_e32 v200, 0x80000000, v197
	v_xor_b32_e32 v202, 0x80000000, v199
	s_mov_b32 s3, exec_lo
                                        ; implicit-def: $vgpr204_vgpr205
	s_delay_alu instid0(VALU_DEP_2) | instskip(SKIP_4) | instid1(VALU_DEP_1)
	v_cndmask_b32_e32 v201, v197, v200, vcc_lo
	v_cndmask_b32_e32 v200, v196, v196, vcc_lo
	v_cmp_gt_f64_e32 vcc_lo, 0, v[198:199]
	v_cndmask_b32_e32 v203, v199, v202, vcc_lo
	v_cndmask_b32_e32 v202, v198, v198, vcc_lo
	v_cmpx_ngt_f64_e32 v[200:201], v[202:203]
	s_xor_b32 s3, exec_lo, s3
                                        ; implicit-def: $vgpr200_vgpr201_vgpr202_vgpr203
	s_cbranch_execz .LBB81_284
; %bb.283:
	v_div_scale_f64 v[200:201], null, v[198:199], v[198:199], v[196:197]
	v_div_scale_f64 v[206:207], vcc_lo, v[196:197], v[198:199], v[196:197]
	s_delay_alu instid0(VALU_DEP_2) | instskip(SKIP_2) | instid1(VALU_DEP_1)
	v_rcp_f64_e32 v[202:203], v[200:201]
	s_waitcnt_depctr 0xfff
	v_fma_f64 v[204:205], -v[200:201], v[202:203], 1.0
	v_fma_f64 v[202:203], v[202:203], v[204:205], v[202:203]
	s_delay_alu instid0(VALU_DEP_1) | instskip(NEXT) | instid1(VALU_DEP_1)
	v_fma_f64 v[204:205], -v[200:201], v[202:203], 1.0
	v_fma_f64 v[202:203], v[202:203], v[204:205], v[202:203]
	s_delay_alu instid0(VALU_DEP_1) | instskip(NEXT) | instid1(VALU_DEP_1)
	v_mul_f64 v[204:205], v[206:207], v[202:203]
	v_fma_f64 v[200:201], -v[200:201], v[204:205], v[206:207]
	s_delay_alu instid0(VALU_DEP_1) | instskip(NEXT) | instid1(VALU_DEP_1)
	v_div_fmas_f64 v[200:201], v[200:201], v[202:203], v[204:205]
	v_div_fixup_f64 v[200:201], v[200:201], v[198:199], v[196:197]
	s_delay_alu instid0(VALU_DEP_1) | instskip(NEXT) | instid1(VALU_DEP_1)
	v_fma_f64 v[196:197], v[196:197], v[200:201], v[198:199]
	v_div_scale_f64 v[198:199], null, v[196:197], v[196:197], 1.0
	s_delay_alu instid0(VALU_DEP_1) | instskip(SKIP_2) | instid1(VALU_DEP_1)
	v_rcp_f64_e32 v[202:203], v[198:199]
	s_waitcnt_depctr 0xfff
	v_fma_f64 v[204:205], -v[198:199], v[202:203], 1.0
	v_fma_f64 v[202:203], v[202:203], v[204:205], v[202:203]
	s_delay_alu instid0(VALU_DEP_1) | instskip(NEXT) | instid1(VALU_DEP_1)
	v_fma_f64 v[204:205], -v[198:199], v[202:203], 1.0
	v_fma_f64 v[202:203], v[202:203], v[204:205], v[202:203]
	v_div_scale_f64 v[204:205], vcc_lo, 1.0, v[196:197], 1.0
	s_delay_alu instid0(VALU_DEP_1) | instskip(NEXT) | instid1(VALU_DEP_1)
	v_mul_f64 v[206:207], v[204:205], v[202:203]
	v_fma_f64 v[198:199], -v[198:199], v[206:207], v[204:205]
	s_delay_alu instid0(VALU_DEP_1) | instskip(NEXT) | instid1(VALU_DEP_1)
	v_div_fmas_f64 v[198:199], v[198:199], v[202:203], v[206:207]
	v_div_fixup_f64 v[202:203], v[198:199], v[196:197], 1.0
                                        ; implicit-def: $vgpr196_vgpr197
	s_delay_alu instid0(VALU_DEP_1)
	v_mul_f64 v[204:205], v[200:201], v[202:203]
	v_xor_b32_e32 v203, 0x80000000, v203
.LBB81_284:
	s_and_not1_saveexec_b32 s3, s3
	s_cbranch_execz .LBB81_286
; %bb.285:
	v_div_scale_f64 v[200:201], null, v[196:197], v[196:197], v[198:199]
	v_div_scale_f64 v[206:207], vcc_lo, v[198:199], v[196:197], v[198:199]
	s_delay_alu instid0(VALU_DEP_2) | instskip(SKIP_2) | instid1(VALU_DEP_1)
	v_rcp_f64_e32 v[202:203], v[200:201]
	s_waitcnt_depctr 0xfff
	v_fma_f64 v[204:205], -v[200:201], v[202:203], 1.0
	v_fma_f64 v[202:203], v[202:203], v[204:205], v[202:203]
	s_delay_alu instid0(VALU_DEP_1) | instskip(NEXT) | instid1(VALU_DEP_1)
	v_fma_f64 v[204:205], -v[200:201], v[202:203], 1.0
	v_fma_f64 v[202:203], v[202:203], v[204:205], v[202:203]
	s_delay_alu instid0(VALU_DEP_1) | instskip(NEXT) | instid1(VALU_DEP_1)
	v_mul_f64 v[204:205], v[206:207], v[202:203]
	v_fma_f64 v[200:201], -v[200:201], v[204:205], v[206:207]
	s_delay_alu instid0(VALU_DEP_1) | instskip(NEXT) | instid1(VALU_DEP_1)
	v_div_fmas_f64 v[200:201], v[200:201], v[202:203], v[204:205]
	v_div_fixup_f64 v[200:201], v[200:201], v[196:197], v[198:199]
	s_delay_alu instid0(VALU_DEP_1) | instskip(NEXT) | instid1(VALU_DEP_1)
	v_fma_f64 v[196:197], v[198:199], v[200:201], v[196:197]
	v_div_scale_f64 v[198:199], null, v[196:197], v[196:197], 1.0
	s_delay_alu instid0(VALU_DEP_1) | instskip(SKIP_2) | instid1(VALU_DEP_1)
	v_rcp_f64_e32 v[202:203], v[198:199]
	s_waitcnt_depctr 0xfff
	v_fma_f64 v[204:205], -v[198:199], v[202:203], 1.0
	v_fma_f64 v[202:203], v[202:203], v[204:205], v[202:203]
	s_delay_alu instid0(VALU_DEP_1) | instskip(NEXT) | instid1(VALU_DEP_1)
	v_fma_f64 v[204:205], -v[198:199], v[202:203], 1.0
	v_fma_f64 v[202:203], v[202:203], v[204:205], v[202:203]
	v_div_scale_f64 v[204:205], vcc_lo, 1.0, v[196:197], 1.0
	s_delay_alu instid0(VALU_DEP_1) | instskip(NEXT) | instid1(VALU_DEP_1)
	v_mul_f64 v[206:207], v[204:205], v[202:203]
	v_fma_f64 v[198:199], -v[198:199], v[206:207], v[204:205]
	s_delay_alu instid0(VALU_DEP_1) | instskip(NEXT) | instid1(VALU_DEP_1)
	v_div_fmas_f64 v[198:199], v[198:199], v[202:203], v[206:207]
	v_div_fixup_f64 v[204:205], v[198:199], v[196:197], 1.0
	s_delay_alu instid0(VALU_DEP_1)
	v_mul_f64 v[202:203], v[200:201], -v[204:205]
.LBB81_286:
	s_or_b32 exec_lo, exec_lo, s3
	ds_store_2addr_b64 v239, v[204:205], v[202:203] offset1:1
.LBB81_287:
	s_or_b32 exec_lo, exec_lo, s4
	s_waitcnt lgkmcnt(0)
	s_barrier
	buffer_gl0_inv
	ds_load_2addr_b64 v[196:199], v239 offset1:1
	s_mov_b32 s3, exec_lo
	v_cmpx_lt_u32_e32 31, v238
	s_cbranch_execz .LBB81_289
; %bb.288:
	s_waitcnt lgkmcnt(0)
	v_mul_f64 v[200:201], v[196:197], v[38:39]
	v_mul_f64 v[38:39], v[198:199], v[38:39]
	s_delay_alu instid0(VALU_DEP_2) | instskip(SKIP_4) | instid1(VALU_DEP_1)
	v_fma_f64 v[204:205], v[198:199], v[36:37], v[200:201]
	ds_load_2addr_b64 v[200:203], v240 offset0:64 offset1:65
	v_fma_f64 v[36:37], v[196:197], v[36:37], -v[38:39]
	s_waitcnt lgkmcnt(0)
	v_mul_f64 v[38:39], v[202:203], v[204:205]
	v_fma_f64 v[38:39], v[200:201], v[36:37], -v[38:39]
	v_mul_f64 v[200:201], v[200:201], v[204:205]
	s_delay_alu instid0(VALU_DEP_2) | instskip(NEXT) | instid1(VALU_DEP_2)
	v_add_f64 v[32:33], v[32:33], -v[38:39]
	v_fma_f64 v[200:201], v[202:203], v[36:37], v[200:201]
	s_delay_alu instid0(VALU_DEP_1) | instskip(SKIP_3) | instid1(VALU_DEP_1)
	v_add_f64 v[34:35], v[34:35], -v[200:201]
	ds_load_2addr_b64 v[200:203], v240 offset0:66 offset1:67
	s_waitcnt lgkmcnt(0)
	v_mul_f64 v[38:39], v[202:203], v[204:205]
	v_fma_f64 v[38:39], v[200:201], v[36:37], -v[38:39]
	v_mul_f64 v[200:201], v[200:201], v[204:205]
	s_delay_alu instid0(VALU_DEP_2) | instskip(NEXT) | instid1(VALU_DEP_2)
	v_add_f64 v[28:29], v[28:29], -v[38:39]
	v_fma_f64 v[200:201], v[202:203], v[36:37], v[200:201]
	s_delay_alu instid0(VALU_DEP_1) | instskip(SKIP_3) | instid1(VALU_DEP_1)
	v_add_f64 v[30:31], v[30:31], -v[200:201]
	ds_load_2addr_b64 v[200:203], v240 offset0:68 offset1:69
	;; [unrolled: 10-line block ×8, first 2 shown]
	s_waitcnt lgkmcnt(0)
	v_mul_f64 v[38:39], v[202:203], v[204:205]
	v_fma_f64 v[38:39], v[200:201], v[36:37], -v[38:39]
	v_mul_f64 v[200:201], v[200:201], v[204:205]
	s_delay_alu instid0(VALU_DEP_2) | instskip(NEXT) | instid1(VALU_DEP_2)
	v_add_f64 v[0:1], v[0:1], -v[38:39]
	v_fma_f64 v[200:201], v[202:203], v[36:37], v[200:201]
	v_dual_mov_b32 v38, v204 :: v_dual_mov_b32 v39, v205
	s_delay_alu instid0(VALU_DEP_2)
	v_add_f64 v[2:3], v[2:3], -v[200:201]
.LBB81_289:
	s_or_b32 exec_lo, exec_lo, s3
	s_delay_alu instid0(SALU_CYCLE_1)
	s_mov_b32 s4, exec_lo
	s_waitcnt lgkmcnt(0)
	s_barrier
	buffer_gl0_inv
	v_cmpx_eq_u32_e32 32, v238
	s_cbranch_execz .LBB81_296
; %bb.290:
	ds_store_2addr_b64 v239, v[32:33], v[34:35] offset1:1
	ds_store_2addr_b64 v240, v[28:29], v[30:31] offset0:66 offset1:67
	ds_store_2addr_b64 v240, v[24:25], v[26:27] offset0:68 offset1:69
	;; [unrolled: 1-line block ×8, first 2 shown]
	ds_load_2addr_b64 v[200:203], v239 offset1:1
	s_waitcnt lgkmcnt(0)
	v_cmp_neq_f64_e32 vcc_lo, 0, v[200:201]
	v_cmp_neq_f64_e64 s3, 0, v[202:203]
	s_delay_alu instid0(VALU_DEP_1) | instskip(NEXT) | instid1(SALU_CYCLE_1)
	s_or_b32 s3, vcc_lo, s3
	s_and_b32 exec_lo, exec_lo, s3
	s_cbranch_execz .LBB81_296
; %bb.291:
	v_cmp_gt_f64_e32 vcc_lo, 0, v[200:201]
	v_xor_b32_e32 v204, 0x80000000, v201
	v_xor_b32_e32 v206, 0x80000000, v203
	s_mov_b32 s3, exec_lo
                                        ; implicit-def: $vgpr208_vgpr209
	s_delay_alu instid0(VALU_DEP_2) | instskip(SKIP_4) | instid1(VALU_DEP_1)
	v_cndmask_b32_e32 v205, v201, v204, vcc_lo
	v_cndmask_b32_e32 v204, v200, v200, vcc_lo
	v_cmp_gt_f64_e32 vcc_lo, 0, v[202:203]
	v_cndmask_b32_e32 v207, v203, v206, vcc_lo
	v_cndmask_b32_e32 v206, v202, v202, vcc_lo
	v_cmpx_ngt_f64_e32 v[204:205], v[206:207]
	s_xor_b32 s3, exec_lo, s3
                                        ; implicit-def: $vgpr204_vgpr205_vgpr206_vgpr207
	s_cbranch_execz .LBB81_293
; %bb.292:
	v_div_scale_f64 v[204:205], null, v[202:203], v[202:203], v[200:201]
	v_div_scale_f64 v[210:211], vcc_lo, v[200:201], v[202:203], v[200:201]
	s_delay_alu instid0(VALU_DEP_2) | instskip(SKIP_2) | instid1(VALU_DEP_1)
	v_rcp_f64_e32 v[206:207], v[204:205]
	s_waitcnt_depctr 0xfff
	v_fma_f64 v[208:209], -v[204:205], v[206:207], 1.0
	v_fma_f64 v[206:207], v[206:207], v[208:209], v[206:207]
	s_delay_alu instid0(VALU_DEP_1) | instskip(NEXT) | instid1(VALU_DEP_1)
	v_fma_f64 v[208:209], -v[204:205], v[206:207], 1.0
	v_fma_f64 v[206:207], v[206:207], v[208:209], v[206:207]
	s_delay_alu instid0(VALU_DEP_1) | instskip(NEXT) | instid1(VALU_DEP_1)
	v_mul_f64 v[208:209], v[210:211], v[206:207]
	v_fma_f64 v[204:205], -v[204:205], v[208:209], v[210:211]
	s_delay_alu instid0(VALU_DEP_1) | instskip(NEXT) | instid1(VALU_DEP_1)
	v_div_fmas_f64 v[204:205], v[204:205], v[206:207], v[208:209]
	v_div_fixup_f64 v[204:205], v[204:205], v[202:203], v[200:201]
	s_delay_alu instid0(VALU_DEP_1) | instskip(NEXT) | instid1(VALU_DEP_1)
	v_fma_f64 v[200:201], v[200:201], v[204:205], v[202:203]
	v_div_scale_f64 v[202:203], null, v[200:201], v[200:201], 1.0
	s_delay_alu instid0(VALU_DEP_1) | instskip(SKIP_2) | instid1(VALU_DEP_1)
	v_rcp_f64_e32 v[206:207], v[202:203]
	s_waitcnt_depctr 0xfff
	v_fma_f64 v[208:209], -v[202:203], v[206:207], 1.0
	v_fma_f64 v[206:207], v[206:207], v[208:209], v[206:207]
	s_delay_alu instid0(VALU_DEP_1) | instskip(NEXT) | instid1(VALU_DEP_1)
	v_fma_f64 v[208:209], -v[202:203], v[206:207], 1.0
	v_fma_f64 v[206:207], v[206:207], v[208:209], v[206:207]
	v_div_scale_f64 v[208:209], vcc_lo, 1.0, v[200:201], 1.0
	s_delay_alu instid0(VALU_DEP_1) | instskip(NEXT) | instid1(VALU_DEP_1)
	v_mul_f64 v[210:211], v[208:209], v[206:207]
	v_fma_f64 v[202:203], -v[202:203], v[210:211], v[208:209]
	s_delay_alu instid0(VALU_DEP_1) | instskip(NEXT) | instid1(VALU_DEP_1)
	v_div_fmas_f64 v[202:203], v[202:203], v[206:207], v[210:211]
	v_div_fixup_f64 v[206:207], v[202:203], v[200:201], 1.0
                                        ; implicit-def: $vgpr200_vgpr201
	s_delay_alu instid0(VALU_DEP_1)
	v_mul_f64 v[208:209], v[204:205], v[206:207]
	v_xor_b32_e32 v207, 0x80000000, v207
.LBB81_293:
	s_and_not1_saveexec_b32 s3, s3
	s_cbranch_execz .LBB81_295
; %bb.294:
	v_div_scale_f64 v[204:205], null, v[200:201], v[200:201], v[202:203]
	v_div_scale_f64 v[210:211], vcc_lo, v[202:203], v[200:201], v[202:203]
	s_delay_alu instid0(VALU_DEP_2) | instskip(SKIP_2) | instid1(VALU_DEP_1)
	v_rcp_f64_e32 v[206:207], v[204:205]
	s_waitcnt_depctr 0xfff
	v_fma_f64 v[208:209], -v[204:205], v[206:207], 1.0
	v_fma_f64 v[206:207], v[206:207], v[208:209], v[206:207]
	s_delay_alu instid0(VALU_DEP_1) | instskip(NEXT) | instid1(VALU_DEP_1)
	v_fma_f64 v[208:209], -v[204:205], v[206:207], 1.0
	v_fma_f64 v[206:207], v[206:207], v[208:209], v[206:207]
	s_delay_alu instid0(VALU_DEP_1) | instskip(NEXT) | instid1(VALU_DEP_1)
	v_mul_f64 v[208:209], v[210:211], v[206:207]
	v_fma_f64 v[204:205], -v[204:205], v[208:209], v[210:211]
	s_delay_alu instid0(VALU_DEP_1) | instskip(NEXT) | instid1(VALU_DEP_1)
	v_div_fmas_f64 v[204:205], v[204:205], v[206:207], v[208:209]
	v_div_fixup_f64 v[204:205], v[204:205], v[200:201], v[202:203]
	s_delay_alu instid0(VALU_DEP_1) | instskip(NEXT) | instid1(VALU_DEP_1)
	v_fma_f64 v[200:201], v[202:203], v[204:205], v[200:201]
	v_div_scale_f64 v[202:203], null, v[200:201], v[200:201], 1.0
	s_delay_alu instid0(VALU_DEP_1) | instskip(SKIP_2) | instid1(VALU_DEP_1)
	v_rcp_f64_e32 v[206:207], v[202:203]
	s_waitcnt_depctr 0xfff
	v_fma_f64 v[208:209], -v[202:203], v[206:207], 1.0
	v_fma_f64 v[206:207], v[206:207], v[208:209], v[206:207]
	s_delay_alu instid0(VALU_DEP_1) | instskip(NEXT) | instid1(VALU_DEP_1)
	v_fma_f64 v[208:209], -v[202:203], v[206:207], 1.0
	v_fma_f64 v[206:207], v[206:207], v[208:209], v[206:207]
	v_div_scale_f64 v[208:209], vcc_lo, 1.0, v[200:201], 1.0
	s_delay_alu instid0(VALU_DEP_1) | instskip(NEXT) | instid1(VALU_DEP_1)
	v_mul_f64 v[210:211], v[208:209], v[206:207]
	v_fma_f64 v[202:203], -v[202:203], v[210:211], v[208:209]
	s_delay_alu instid0(VALU_DEP_1) | instskip(NEXT) | instid1(VALU_DEP_1)
	v_div_fmas_f64 v[202:203], v[202:203], v[206:207], v[210:211]
	v_div_fixup_f64 v[208:209], v[202:203], v[200:201], 1.0
	s_delay_alu instid0(VALU_DEP_1)
	v_mul_f64 v[206:207], v[204:205], -v[208:209]
.LBB81_295:
	s_or_b32 exec_lo, exec_lo, s3
	ds_store_2addr_b64 v239, v[208:209], v[206:207] offset1:1
.LBB81_296:
	s_or_b32 exec_lo, exec_lo, s4
	s_waitcnt lgkmcnt(0)
	s_barrier
	buffer_gl0_inv
	ds_load_2addr_b64 v[200:203], v239 offset1:1
	s_mov_b32 s3, exec_lo
	v_cmpx_lt_u32_e32 32, v238
	s_cbranch_execz .LBB81_298
; %bb.297:
	s_waitcnt lgkmcnt(0)
	v_mul_f64 v[204:205], v[200:201], v[34:35]
	v_mul_f64 v[34:35], v[202:203], v[34:35]
	s_delay_alu instid0(VALU_DEP_2) | instskip(SKIP_4) | instid1(VALU_DEP_1)
	v_fma_f64 v[208:209], v[202:203], v[32:33], v[204:205]
	ds_load_2addr_b64 v[204:207], v240 offset0:66 offset1:67
	v_fma_f64 v[32:33], v[200:201], v[32:33], -v[34:35]
	s_waitcnt lgkmcnt(0)
	v_mul_f64 v[34:35], v[206:207], v[208:209]
	v_fma_f64 v[34:35], v[204:205], v[32:33], -v[34:35]
	v_mul_f64 v[204:205], v[204:205], v[208:209]
	s_delay_alu instid0(VALU_DEP_2) | instskip(NEXT) | instid1(VALU_DEP_2)
	v_add_f64 v[28:29], v[28:29], -v[34:35]
	v_fma_f64 v[204:205], v[206:207], v[32:33], v[204:205]
	s_delay_alu instid0(VALU_DEP_1) | instskip(SKIP_3) | instid1(VALU_DEP_1)
	v_add_f64 v[30:31], v[30:31], -v[204:205]
	ds_load_2addr_b64 v[204:207], v240 offset0:68 offset1:69
	s_waitcnt lgkmcnt(0)
	v_mul_f64 v[34:35], v[206:207], v[208:209]
	v_fma_f64 v[34:35], v[204:205], v[32:33], -v[34:35]
	v_mul_f64 v[204:205], v[204:205], v[208:209]
	s_delay_alu instid0(VALU_DEP_2) | instskip(NEXT) | instid1(VALU_DEP_2)
	v_add_f64 v[24:25], v[24:25], -v[34:35]
	v_fma_f64 v[204:205], v[206:207], v[32:33], v[204:205]
	s_delay_alu instid0(VALU_DEP_1) | instskip(SKIP_3) | instid1(VALU_DEP_1)
	v_add_f64 v[26:27], v[26:27], -v[204:205]
	ds_load_2addr_b64 v[204:207], v240 offset0:70 offset1:71
	;; [unrolled: 10-line block ×7, first 2 shown]
	s_waitcnt lgkmcnt(0)
	v_mul_f64 v[34:35], v[206:207], v[208:209]
	v_fma_f64 v[34:35], v[204:205], v[32:33], -v[34:35]
	v_mul_f64 v[204:205], v[204:205], v[208:209]
	s_delay_alu instid0(VALU_DEP_2) | instskip(NEXT) | instid1(VALU_DEP_2)
	v_add_f64 v[0:1], v[0:1], -v[34:35]
	v_fma_f64 v[204:205], v[206:207], v[32:33], v[204:205]
	v_dual_mov_b32 v34, v208 :: v_dual_mov_b32 v35, v209
	s_delay_alu instid0(VALU_DEP_2)
	v_add_f64 v[2:3], v[2:3], -v[204:205]
.LBB81_298:
	s_or_b32 exec_lo, exec_lo, s3
	s_delay_alu instid0(SALU_CYCLE_1)
	s_mov_b32 s4, exec_lo
	s_waitcnt lgkmcnt(0)
	s_barrier
	buffer_gl0_inv
	v_cmpx_eq_u32_e32 33, v238
	s_cbranch_execz .LBB81_305
; %bb.299:
	ds_store_2addr_b64 v239, v[28:29], v[30:31] offset1:1
	ds_store_2addr_b64 v240, v[24:25], v[26:27] offset0:68 offset1:69
	ds_store_2addr_b64 v240, v[20:21], v[22:23] offset0:70 offset1:71
	;; [unrolled: 1-line block ×7, first 2 shown]
	ds_load_2addr_b64 v[204:207], v239 offset1:1
	s_waitcnt lgkmcnt(0)
	v_cmp_neq_f64_e32 vcc_lo, 0, v[204:205]
	v_cmp_neq_f64_e64 s3, 0, v[206:207]
	s_delay_alu instid0(VALU_DEP_1) | instskip(NEXT) | instid1(SALU_CYCLE_1)
	s_or_b32 s3, vcc_lo, s3
	s_and_b32 exec_lo, exec_lo, s3
	s_cbranch_execz .LBB81_305
; %bb.300:
	v_cmp_gt_f64_e32 vcc_lo, 0, v[204:205]
	v_xor_b32_e32 v208, 0x80000000, v205
	v_xor_b32_e32 v210, 0x80000000, v207
	s_mov_b32 s3, exec_lo
                                        ; implicit-def: $vgpr212_vgpr213
	s_delay_alu instid0(VALU_DEP_2) | instskip(SKIP_4) | instid1(VALU_DEP_1)
	v_cndmask_b32_e32 v209, v205, v208, vcc_lo
	v_cndmask_b32_e32 v208, v204, v204, vcc_lo
	v_cmp_gt_f64_e32 vcc_lo, 0, v[206:207]
	v_cndmask_b32_e32 v211, v207, v210, vcc_lo
	v_cndmask_b32_e32 v210, v206, v206, vcc_lo
	v_cmpx_ngt_f64_e32 v[208:209], v[210:211]
	s_xor_b32 s3, exec_lo, s3
                                        ; implicit-def: $vgpr208_vgpr209_vgpr210_vgpr211
	s_cbranch_execz .LBB81_302
; %bb.301:
	v_div_scale_f64 v[208:209], null, v[206:207], v[206:207], v[204:205]
	v_div_scale_f64 v[214:215], vcc_lo, v[204:205], v[206:207], v[204:205]
	s_delay_alu instid0(VALU_DEP_2) | instskip(SKIP_2) | instid1(VALU_DEP_1)
	v_rcp_f64_e32 v[210:211], v[208:209]
	s_waitcnt_depctr 0xfff
	v_fma_f64 v[212:213], -v[208:209], v[210:211], 1.0
	v_fma_f64 v[210:211], v[210:211], v[212:213], v[210:211]
	s_delay_alu instid0(VALU_DEP_1) | instskip(NEXT) | instid1(VALU_DEP_1)
	v_fma_f64 v[212:213], -v[208:209], v[210:211], 1.0
	v_fma_f64 v[210:211], v[210:211], v[212:213], v[210:211]
	s_delay_alu instid0(VALU_DEP_1) | instskip(NEXT) | instid1(VALU_DEP_1)
	v_mul_f64 v[212:213], v[214:215], v[210:211]
	v_fma_f64 v[208:209], -v[208:209], v[212:213], v[214:215]
	s_delay_alu instid0(VALU_DEP_1) | instskip(NEXT) | instid1(VALU_DEP_1)
	v_div_fmas_f64 v[208:209], v[208:209], v[210:211], v[212:213]
	v_div_fixup_f64 v[208:209], v[208:209], v[206:207], v[204:205]
	s_delay_alu instid0(VALU_DEP_1) | instskip(NEXT) | instid1(VALU_DEP_1)
	v_fma_f64 v[204:205], v[204:205], v[208:209], v[206:207]
	v_div_scale_f64 v[206:207], null, v[204:205], v[204:205], 1.0
	s_delay_alu instid0(VALU_DEP_1) | instskip(SKIP_2) | instid1(VALU_DEP_1)
	v_rcp_f64_e32 v[210:211], v[206:207]
	s_waitcnt_depctr 0xfff
	v_fma_f64 v[212:213], -v[206:207], v[210:211], 1.0
	v_fma_f64 v[210:211], v[210:211], v[212:213], v[210:211]
	s_delay_alu instid0(VALU_DEP_1) | instskip(NEXT) | instid1(VALU_DEP_1)
	v_fma_f64 v[212:213], -v[206:207], v[210:211], 1.0
	v_fma_f64 v[210:211], v[210:211], v[212:213], v[210:211]
	v_div_scale_f64 v[212:213], vcc_lo, 1.0, v[204:205], 1.0
	s_delay_alu instid0(VALU_DEP_1) | instskip(NEXT) | instid1(VALU_DEP_1)
	v_mul_f64 v[214:215], v[212:213], v[210:211]
	v_fma_f64 v[206:207], -v[206:207], v[214:215], v[212:213]
	s_delay_alu instid0(VALU_DEP_1) | instskip(NEXT) | instid1(VALU_DEP_1)
	v_div_fmas_f64 v[206:207], v[206:207], v[210:211], v[214:215]
	v_div_fixup_f64 v[210:211], v[206:207], v[204:205], 1.0
                                        ; implicit-def: $vgpr204_vgpr205
	s_delay_alu instid0(VALU_DEP_1)
	v_mul_f64 v[212:213], v[208:209], v[210:211]
	v_xor_b32_e32 v211, 0x80000000, v211
.LBB81_302:
	s_and_not1_saveexec_b32 s3, s3
	s_cbranch_execz .LBB81_304
; %bb.303:
	v_div_scale_f64 v[208:209], null, v[204:205], v[204:205], v[206:207]
	v_div_scale_f64 v[214:215], vcc_lo, v[206:207], v[204:205], v[206:207]
	s_delay_alu instid0(VALU_DEP_2) | instskip(SKIP_2) | instid1(VALU_DEP_1)
	v_rcp_f64_e32 v[210:211], v[208:209]
	s_waitcnt_depctr 0xfff
	v_fma_f64 v[212:213], -v[208:209], v[210:211], 1.0
	v_fma_f64 v[210:211], v[210:211], v[212:213], v[210:211]
	s_delay_alu instid0(VALU_DEP_1) | instskip(NEXT) | instid1(VALU_DEP_1)
	v_fma_f64 v[212:213], -v[208:209], v[210:211], 1.0
	v_fma_f64 v[210:211], v[210:211], v[212:213], v[210:211]
	s_delay_alu instid0(VALU_DEP_1) | instskip(NEXT) | instid1(VALU_DEP_1)
	v_mul_f64 v[212:213], v[214:215], v[210:211]
	v_fma_f64 v[208:209], -v[208:209], v[212:213], v[214:215]
	s_delay_alu instid0(VALU_DEP_1) | instskip(NEXT) | instid1(VALU_DEP_1)
	v_div_fmas_f64 v[208:209], v[208:209], v[210:211], v[212:213]
	v_div_fixup_f64 v[208:209], v[208:209], v[204:205], v[206:207]
	s_delay_alu instid0(VALU_DEP_1) | instskip(NEXT) | instid1(VALU_DEP_1)
	v_fma_f64 v[204:205], v[206:207], v[208:209], v[204:205]
	v_div_scale_f64 v[206:207], null, v[204:205], v[204:205], 1.0
	s_delay_alu instid0(VALU_DEP_1) | instskip(SKIP_2) | instid1(VALU_DEP_1)
	v_rcp_f64_e32 v[210:211], v[206:207]
	s_waitcnt_depctr 0xfff
	v_fma_f64 v[212:213], -v[206:207], v[210:211], 1.0
	v_fma_f64 v[210:211], v[210:211], v[212:213], v[210:211]
	s_delay_alu instid0(VALU_DEP_1) | instskip(NEXT) | instid1(VALU_DEP_1)
	v_fma_f64 v[212:213], -v[206:207], v[210:211], 1.0
	v_fma_f64 v[210:211], v[210:211], v[212:213], v[210:211]
	v_div_scale_f64 v[212:213], vcc_lo, 1.0, v[204:205], 1.0
	s_delay_alu instid0(VALU_DEP_1) | instskip(NEXT) | instid1(VALU_DEP_1)
	v_mul_f64 v[214:215], v[212:213], v[210:211]
	v_fma_f64 v[206:207], -v[206:207], v[214:215], v[212:213]
	s_delay_alu instid0(VALU_DEP_1) | instskip(NEXT) | instid1(VALU_DEP_1)
	v_div_fmas_f64 v[206:207], v[206:207], v[210:211], v[214:215]
	v_div_fixup_f64 v[212:213], v[206:207], v[204:205], 1.0
	s_delay_alu instid0(VALU_DEP_1)
	v_mul_f64 v[210:211], v[208:209], -v[212:213]
.LBB81_304:
	s_or_b32 exec_lo, exec_lo, s3
	ds_store_2addr_b64 v239, v[212:213], v[210:211] offset1:1
.LBB81_305:
	s_or_b32 exec_lo, exec_lo, s4
	s_waitcnt lgkmcnt(0)
	s_barrier
	buffer_gl0_inv
	ds_load_2addr_b64 v[204:207], v239 offset1:1
	s_mov_b32 s3, exec_lo
	v_cmpx_lt_u32_e32 33, v238
	s_cbranch_execz .LBB81_307
; %bb.306:
	s_waitcnt lgkmcnt(0)
	v_mul_f64 v[208:209], v[204:205], v[30:31]
	v_mul_f64 v[30:31], v[206:207], v[30:31]
	s_delay_alu instid0(VALU_DEP_2) | instskip(SKIP_4) | instid1(VALU_DEP_1)
	v_fma_f64 v[212:213], v[206:207], v[28:29], v[208:209]
	ds_load_2addr_b64 v[208:211], v240 offset0:68 offset1:69
	v_fma_f64 v[28:29], v[204:205], v[28:29], -v[30:31]
	s_waitcnt lgkmcnt(0)
	v_mul_f64 v[30:31], v[210:211], v[212:213]
	v_fma_f64 v[30:31], v[208:209], v[28:29], -v[30:31]
	v_mul_f64 v[208:209], v[208:209], v[212:213]
	s_delay_alu instid0(VALU_DEP_2) | instskip(NEXT) | instid1(VALU_DEP_2)
	v_add_f64 v[24:25], v[24:25], -v[30:31]
	v_fma_f64 v[208:209], v[210:211], v[28:29], v[208:209]
	s_delay_alu instid0(VALU_DEP_1) | instskip(SKIP_3) | instid1(VALU_DEP_1)
	v_add_f64 v[26:27], v[26:27], -v[208:209]
	ds_load_2addr_b64 v[208:211], v240 offset0:70 offset1:71
	s_waitcnt lgkmcnt(0)
	v_mul_f64 v[30:31], v[210:211], v[212:213]
	v_fma_f64 v[30:31], v[208:209], v[28:29], -v[30:31]
	v_mul_f64 v[208:209], v[208:209], v[212:213]
	s_delay_alu instid0(VALU_DEP_2) | instskip(NEXT) | instid1(VALU_DEP_2)
	v_add_f64 v[20:21], v[20:21], -v[30:31]
	v_fma_f64 v[208:209], v[210:211], v[28:29], v[208:209]
	s_delay_alu instid0(VALU_DEP_1) | instskip(SKIP_3) | instid1(VALU_DEP_1)
	v_add_f64 v[22:23], v[22:23], -v[208:209]
	ds_load_2addr_b64 v[208:211], v240 offset0:72 offset1:73
	;; [unrolled: 10-line block ×6, first 2 shown]
	s_waitcnt lgkmcnt(0)
	v_mul_f64 v[30:31], v[210:211], v[212:213]
	v_fma_f64 v[30:31], v[208:209], v[28:29], -v[30:31]
	v_mul_f64 v[208:209], v[208:209], v[212:213]
	s_delay_alu instid0(VALU_DEP_2) | instskip(NEXT) | instid1(VALU_DEP_2)
	v_add_f64 v[0:1], v[0:1], -v[30:31]
	v_fma_f64 v[208:209], v[210:211], v[28:29], v[208:209]
	v_dual_mov_b32 v30, v212 :: v_dual_mov_b32 v31, v213
	s_delay_alu instid0(VALU_DEP_2)
	v_add_f64 v[2:3], v[2:3], -v[208:209]
.LBB81_307:
	s_or_b32 exec_lo, exec_lo, s3
	s_delay_alu instid0(SALU_CYCLE_1)
	s_mov_b32 s4, exec_lo
	s_waitcnt lgkmcnt(0)
	s_barrier
	buffer_gl0_inv
	v_cmpx_eq_u32_e32 34, v238
	s_cbranch_execz .LBB81_314
; %bb.308:
	ds_store_2addr_b64 v239, v[24:25], v[26:27] offset1:1
	ds_store_2addr_b64 v240, v[20:21], v[22:23] offset0:70 offset1:71
	ds_store_2addr_b64 v240, v[16:17], v[18:19] offset0:72 offset1:73
	;; [unrolled: 1-line block ×6, first 2 shown]
	ds_load_2addr_b64 v[208:211], v239 offset1:1
	s_waitcnt lgkmcnt(0)
	v_cmp_neq_f64_e32 vcc_lo, 0, v[208:209]
	v_cmp_neq_f64_e64 s3, 0, v[210:211]
	s_delay_alu instid0(VALU_DEP_1) | instskip(NEXT) | instid1(SALU_CYCLE_1)
	s_or_b32 s3, vcc_lo, s3
	s_and_b32 exec_lo, exec_lo, s3
	s_cbranch_execz .LBB81_314
; %bb.309:
	v_cmp_gt_f64_e32 vcc_lo, 0, v[208:209]
	v_xor_b32_e32 v212, 0x80000000, v209
	v_xor_b32_e32 v214, 0x80000000, v211
	s_mov_b32 s3, exec_lo
                                        ; implicit-def: $vgpr216_vgpr217
	s_delay_alu instid0(VALU_DEP_2) | instskip(SKIP_4) | instid1(VALU_DEP_1)
	v_cndmask_b32_e32 v213, v209, v212, vcc_lo
	v_cndmask_b32_e32 v212, v208, v208, vcc_lo
	v_cmp_gt_f64_e32 vcc_lo, 0, v[210:211]
	v_cndmask_b32_e32 v215, v211, v214, vcc_lo
	v_cndmask_b32_e32 v214, v210, v210, vcc_lo
	v_cmpx_ngt_f64_e32 v[212:213], v[214:215]
	s_xor_b32 s3, exec_lo, s3
                                        ; implicit-def: $vgpr212_vgpr213_vgpr214_vgpr215
	s_cbranch_execz .LBB81_311
; %bb.310:
	v_div_scale_f64 v[212:213], null, v[210:211], v[210:211], v[208:209]
	v_div_scale_f64 v[218:219], vcc_lo, v[208:209], v[210:211], v[208:209]
	s_delay_alu instid0(VALU_DEP_2) | instskip(SKIP_2) | instid1(VALU_DEP_1)
	v_rcp_f64_e32 v[214:215], v[212:213]
	s_waitcnt_depctr 0xfff
	v_fma_f64 v[216:217], -v[212:213], v[214:215], 1.0
	v_fma_f64 v[214:215], v[214:215], v[216:217], v[214:215]
	s_delay_alu instid0(VALU_DEP_1) | instskip(NEXT) | instid1(VALU_DEP_1)
	v_fma_f64 v[216:217], -v[212:213], v[214:215], 1.0
	v_fma_f64 v[214:215], v[214:215], v[216:217], v[214:215]
	s_delay_alu instid0(VALU_DEP_1) | instskip(NEXT) | instid1(VALU_DEP_1)
	v_mul_f64 v[216:217], v[218:219], v[214:215]
	v_fma_f64 v[212:213], -v[212:213], v[216:217], v[218:219]
	s_delay_alu instid0(VALU_DEP_1) | instskip(NEXT) | instid1(VALU_DEP_1)
	v_div_fmas_f64 v[212:213], v[212:213], v[214:215], v[216:217]
	v_div_fixup_f64 v[212:213], v[212:213], v[210:211], v[208:209]
	s_delay_alu instid0(VALU_DEP_1) | instskip(NEXT) | instid1(VALU_DEP_1)
	v_fma_f64 v[208:209], v[208:209], v[212:213], v[210:211]
	v_div_scale_f64 v[210:211], null, v[208:209], v[208:209], 1.0
	s_delay_alu instid0(VALU_DEP_1) | instskip(SKIP_2) | instid1(VALU_DEP_1)
	v_rcp_f64_e32 v[214:215], v[210:211]
	s_waitcnt_depctr 0xfff
	v_fma_f64 v[216:217], -v[210:211], v[214:215], 1.0
	v_fma_f64 v[214:215], v[214:215], v[216:217], v[214:215]
	s_delay_alu instid0(VALU_DEP_1) | instskip(NEXT) | instid1(VALU_DEP_1)
	v_fma_f64 v[216:217], -v[210:211], v[214:215], 1.0
	v_fma_f64 v[214:215], v[214:215], v[216:217], v[214:215]
	v_div_scale_f64 v[216:217], vcc_lo, 1.0, v[208:209], 1.0
	s_delay_alu instid0(VALU_DEP_1) | instskip(NEXT) | instid1(VALU_DEP_1)
	v_mul_f64 v[218:219], v[216:217], v[214:215]
	v_fma_f64 v[210:211], -v[210:211], v[218:219], v[216:217]
	s_delay_alu instid0(VALU_DEP_1) | instskip(NEXT) | instid1(VALU_DEP_1)
	v_div_fmas_f64 v[210:211], v[210:211], v[214:215], v[218:219]
	v_div_fixup_f64 v[214:215], v[210:211], v[208:209], 1.0
                                        ; implicit-def: $vgpr208_vgpr209
	s_delay_alu instid0(VALU_DEP_1)
	v_mul_f64 v[216:217], v[212:213], v[214:215]
	v_xor_b32_e32 v215, 0x80000000, v215
.LBB81_311:
	s_and_not1_saveexec_b32 s3, s3
	s_cbranch_execz .LBB81_313
; %bb.312:
	v_div_scale_f64 v[212:213], null, v[208:209], v[208:209], v[210:211]
	v_div_scale_f64 v[218:219], vcc_lo, v[210:211], v[208:209], v[210:211]
	s_delay_alu instid0(VALU_DEP_2) | instskip(SKIP_2) | instid1(VALU_DEP_1)
	v_rcp_f64_e32 v[214:215], v[212:213]
	s_waitcnt_depctr 0xfff
	v_fma_f64 v[216:217], -v[212:213], v[214:215], 1.0
	v_fma_f64 v[214:215], v[214:215], v[216:217], v[214:215]
	s_delay_alu instid0(VALU_DEP_1) | instskip(NEXT) | instid1(VALU_DEP_1)
	v_fma_f64 v[216:217], -v[212:213], v[214:215], 1.0
	v_fma_f64 v[214:215], v[214:215], v[216:217], v[214:215]
	s_delay_alu instid0(VALU_DEP_1) | instskip(NEXT) | instid1(VALU_DEP_1)
	v_mul_f64 v[216:217], v[218:219], v[214:215]
	v_fma_f64 v[212:213], -v[212:213], v[216:217], v[218:219]
	s_delay_alu instid0(VALU_DEP_1) | instskip(NEXT) | instid1(VALU_DEP_1)
	v_div_fmas_f64 v[212:213], v[212:213], v[214:215], v[216:217]
	v_div_fixup_f64 v[212:213], v[212:213], v[208:209], v[210:211]
	s_delay_alu instid0(VALU_DEP_1) | instskip(NEXT) | instid1(VALU_DEP_1)
	v_fma_f64 v[208:209], v[210:211], v[212:213], v[208:209]
	v_div_scale_f64 v[210:211], null, v[208:209], v[208:209], 1.0
	s_delay_alu instid0(VALU_DEP_1) | instskip(SKIP_2) | instid1(VALU_DEP_1)
	v_rcp_f64_e32 v[214:215], v[210:211]
	s_waitcnt_depctr 0xfff
	v_fma_f64 v[216:217], -v[210:211], v[214:215], 1.0
	v_fma_f64 v[214:215], v[214:215], v[216:217], v[214:215]
	s_delay_alu instid0(VALU_DEP_1) | instskip(NEXT) | instid1(VALU_DEP_1)
	v_fma_f64 v[216:217], -v[210:211], v[214:215], 1.0
	v_fma_f64 v[214:215], v[214:215], v[216:217], v[214:215]
	v_div_scale_f64 v[216:217], vcc_lo, 1.0, v[208:209], 1.0
	s_delay_alu instid0(VALU_DEP_1) | instskip(NEXT) | instid1(VALU_DEP_1)
	v_mul_f64 v[218:219], v[216:217], v[214:215]
	v_fma_f64 v[210:211], -v[210:211], v[218:219], v[216:217]
	s_delay_alu instid0(VALU_DEP_1) | instskip(NEXT) | instid1(VALU_DEP_1)
	v_div_fmas_f64 v[210:211], v[210:211], v[214:215], v[218:219]
	v_div_fixup_f64 v[216:217], v[210:211], v[208:209], 1.0
	s_delay_alu instid0(VALU_DEP_1)
	v_mul_f64 v[214:215], v[212:213], -v[216:217]
.LBB81_313:
	s_or_b32 exec_lo, exec_lo, s3
	ds_store_2addr_b64 v239, v[216:217], v[214:215] offset1:1
.LBB81_314:
	s_or_b32 exec_lo, exec_lo, s4
	s_waitcnt lgkmcnt(0)
	s_barrier
	buffer_gl0_inv
	ds_load_2addr_b64 v[208:211], v239 offset1:1
	s_mov_b32 s3, exec_lo
	v_cmpx_lt_u32_e32 34, v238
	s_cbranch_execz .LBB81_316
; %bb.315:
	s_waitcnt lgkmcnt(0)
	v_mul_f64 v[212:213], v[208:209], v[26:27]
	v_mul_f64 v[26:27], v[210:211], v[26:27]
	s_delay_alu instid0(VALU_DEP_2) | instskip(SKIP_4) | instid1(VALU_DEP_1)
	v_fma_f64 v[216:217], v[210:211], v[24:25], v[212:213]
	ds_load_2addr_b64 v[212:215], v240 offset0:70 offset1:71
	v_fma_f64 v[24:25], v[208:209], v[24:25], -v[26:27]
	s_waitcnt lgkmcnt(0)
	v_mul_f64 v[26:27], v[214:215], v[216:217]
	v_fma_f64 v[26:27], v[212:213], v[24:25], -v[26:27]
	v_mul_f64 v[212:213], v[212:213], v[216:217]
	s_delay_alu instid0(VALU_DEP_2) | instskip(NEXT) | instid1(VALU_DEP_2)
	v_add_f64 v[20:21], v[20:21], -v[26:27]
	v_fma_f64 v[212:213], v[214:215], v[24:25], v[212:213]
	s_delay_alu instid0(VALU_DEP_1) | instskip(SKIP_3) | instid1(VALU_DEP_1)
	v_add_f64 v[22:23], v[22:23], -v[212:213]
	ds_load_2addr_b64 v[212:215], v240 offset0:72 offset1:73
	s_waitcnt lgkmcnt(0)
	v_mul_f64 v[26:27], v[214:215], v[216:217]
	v_fma_f64 v[26:27], v[212:213], v[24:25], -v[26:27]
	v_mul_f64 v[212:213], v[212:213], v[216:217]
	s_delay_alu instid0(VALU_DEP_2) | instskip(NEXT) | instid1(VALU_DEP_2)
	v_add_f64 v[16:17], v[16:17], -v[26:27]
	v_fma_f64 v[212:213], v[214:215], v[24:25], v[212:213]
	s_delay_alu instid0(VALU_DEP_1) | instskip(SKIP_3) | instid1(VALU_DEP_1)
	v_add_f64 v[18:19], v[18:19], -v[212:213]
	ds_load_2addr_b64 v[212:215], v240 offset0:74 offset1:75
	;; [unrolled: 10-line block ×5, first 2 shown]
	s_waitcnt lgkmcnt(0)
	v_mul_f64 v[26:27], v[214:215], v[216:217]
	v_fma_f64 v[26:27], v[212:213], v[24:25], -v[26:27]
	v_mul_f64 v[212:213], v[212:213], v[216:217]
	s_delay_alu instid0(VALU_DEP_2) | instskip(NEXT) | instid1(VALU_DEP_2)
	v_add_f64 v[0:1], v[0:1], -v[26:27]
	v_fma_f64 v[212:213], v[214:215], v[24:25], v[212:213]
	v_dual_mov_b32 v26, v216 :: v_dual_mov_b32 v27, v217
	s_delay_alu instid0(VALU_DEP_2)
	v_add_f64 v[2:3], v[2:3], -v[212:213]
.LBB81_316:
	s_or_b32 exec_lo, exec_lo, s3
	s_delay_alu instid0(SALU_CYCLE_1)
	s_mov_b32 s4, exec_lo
	s_waitcnt lgkmcnt(0)
	s_barrier
	buffer_gl0_inv
	v_cmpx_eq_u32_e32 35, v238
	s_cbranch_execz .LBB81_323
; %bb.317:
	ds_store_2addr_b64 v239, v[20:21], v[22:23] offset1:1
	ds_store_2addr_b64 v240, v[16:17], v[18:19] offset0:72 offset1:73
	ds_store_2addr_b64 v240, v[12:13], v[14:15] offset0:74 offset1:75
	;; [unrolled: 1-line block ×5, first 2 shown]
	ds_load_2addr_b64 v[212:215], v239 offset1:1
	s_waitcnt lgkmcnt(0)
	v_cmp_neq_f64_e32 vcc_lo, 0, v[212:213]
	v_cmp_neq_f64_e64 s3, 0, v[214:215]
	s_delay_alu instid0(VALU_DEP_1) | instskip(NEXT) | instid1(SALU_CYCLE_1)
	s_or_b32 s3, vcc_lo, s3
	s_and_b32 exec_lo, exec_lo, s3
	s_cbranch_execz .LBB81_323
; %bb.318:
	v_cmp_gt_f64_e32 vcc_lo, 0, v[212:213]
	v_xor_b32_e32 v216, 0x80000000, v213
	v_xor_b32_e32 v218, 0x80000000, v215
	s_mov_b32 s3, exec_lo
                                        ; implicit-def: $vgpr220_vgpr221
	s_delay_alu instid0(VALU_DEP_2) | instskip(SKIP_4) | instid1(VALU_DEP_1)
	v_cndmask_b32_e32 v217, v213, v216, vcc_lo
	v_cndmask_b32_e32 v216, v212, v212, vcc_lo
	v_cmp_gt_f64_e32 vcc_lo, 0, v[214:215]
	v_cndmask_b32_e32 v219, v215, v218, vcc_lo
	v_cndmask_b32_e32 v218, v214, v214, vcc_lo
	v_cmpx_ngt_f64_e32 v[216:217], v[218:219]
	s_xor_b32 s3, exec_lo, s3
                                        ; implicit-def: $vgpr216_vgpr217_vgpr218_vgpr219
	s_cbranch_execz .LBB81_320
; %bb.319:
	v_div_scale_f64 v[216:217], null, v[214:215], v[214:215], v[212:213]
	v_div_scale_f64 v[222:223], vcc_lo, v[212:213], v[214:215], v[212:213]
	s_delay_alu instid0(VALU_DEP_2) | instskip(SKIP_2) | instid1(VALU_DEP_1)
	v_rcp_f64_e32 v[218:219], v[216:217]
	s_waitcnt_depctr 0xfff
	v_fma_f64 v[220:221], -v[216:217], v[218:219], 1.0
	v_fma_f64 v[218:219], v[218:219], v[220:221], v[218:219]
	s_delay_alu instid0(VALU_DEP_1) | instskip(NEXT) | instid1(VALU_DEP_1)
	v_fma_f64 v[220:221], -v[216:217], v[218:219], 1.0
	v_fma_f64 v[218:219], v[218:219], v[220:221], v[218:219]
	s_delay_alu instid0(VALU_DEP_1) | instskip(NEXT) | instid1(VALU_DEP_1)
	v_mul_f64 v[220:221], v[222:223], v[218:219]
	v_fma_f64 v[216:217], -v[216:217], v[220:221], v[222:223]
	s_delay_alu instid0(VALU_DEP_1) | instskip(NEXT) | instid1(VALU_DEP_1)
	v_div_fmas_f64 v[216:217], v[216:217], v[218:219], v[220:221]
	v_div_fixup_f64 v[216:217], v[216:217], v[214:215], v[212:213]
	s_delay_alu instid0(VALU_DEP_1) | instskip(NEXT) | instid1(VALU_DEP_1)
	v_fma_f64 v[212:213], v[212:213], v[216:217], v[214:215]
	v_div_scale_f64 v[214:215], null, v[212:213], v[212:213], 1.0
	s_delay_alu instid0(VALU_DEP_1) | instskip(SKIP_2) | instid1(VALU_DEP_1)
	v_rcp_f64_e32 v[218:219], v[214:215]
	s_waitcnt_depctr 0xfff
	v_fma_f64 v[220:221], -v[214:215], v[218:219], 1.0
	v_fma_f64 v[218:219], v[218:219], v[220:221], v[218:219]
	s_delay_alu instid0(VALU_DEP_1) | instskip(NEXT) | instid1(VALU_DEP_1)
	v_fma_f64 v[220:221], -v[214:215], v[218:219], 1.0
	v_fma_f64 v[218:219], v[218:219], v[220:221], v[218:219]
	v_div_scale_f64 v[220:221], vcc_lo, 1.0, v[212:213], 1.0
	s_delay_alu instid0(VALU_DEP_1) | instskip(NEXT) | instid1(VALU_DEP_1)
	v_mul_f64 v[222:223], v[220:221], v[218:219]
	v_fma_f64 v[214:215], -v[214:215], v[222:223], v[220:221]
	s_delay_alu instid0(VALU_DEP_1) | instskip(NEXT) | instid1(VALU_DEP_1)
	v_div_fmas_f64 v[214:215], v[214:215], v[218:219], v[222:223]
	v_div_fixup_f64 v[218:219], v[214:215], v[212:213], 1.0
                                        ; implicit-def: $vgpr212_vgpr213
	s_delay_alu instid0(VALU_DEP_1)
	v_mul_f64 v[220:221], v[216:217], v[218:219]
	v_xor_b32_e32 v219, 0x80000000, v219
.LBB81_320:
	s_and_not1_saveexec_b32 s3, s3
	s_cbranch_execz .LBB81_322
; %bb.321:
	v_div_scale_f64 v[216:217], null, v[212:213], v[212:213], v[214:215]
	v_div_scale_f64 v[222:223], vcc_lo, v[214:215], v[212:213], v[214:215]
	s_delay_alu instid0(VALU_DEP_2) | instskip(SKIP_2) | instid1(VALU_DEP_1)
	v_rcp_f64_e32 v[218:219], v[216:217]
	s_waitcnt_depctr 0xfff
	v_fma_f64 v[220:221], -v[216:217], v[218:219], 1.0
	v_fma_f64 v[218:219], v[218:219], v[220:221], v[218:219]
	s_delay_alu instid0(VALU_DEP_1) | instskip(NEXT) | instid1(VALU_DEP_1)
	v_fma_f64 v[220:221], -v[216:217], v[218:219], 1.0
	v_fma_f64 v[218:219], v[218:219], v[220:221], v[218:219]
	s_delay_alu instid0(VALU_DEP_1) | instskip(NEXT) | instid1(VALU_DEP_1)
	v_mul_f64 v[220:221], v[222:223], v[218:219]
	v_fma_f64 v[216:217], -v[216:217], v[220:221], v[222:223]
	s_delay_alu instid0(VALU_DEP_1) | instskip(NEXT) | instid1(VALU_DEP_1)
	v_div_fmas_f64 v[216:217], v[216:217], v[218:219], v[220:221]
	v_div_fixup_f64 v[216:217], v[216:217], v[212:213], v[214:215]
	s_delay_alu instid0(VALU_DEP_1) | instskip(NEXT) | instid1(VALU_DEP_1)
	v_fma_f64 v[212:213], v[214:215], v[216:217], v[212:213]
	v_div_scale_f64 v[214:215], null, v[212:213], v[212:213], 1.0
	s_delay_alu instid0(VALU_DEP_1) | instskip(SKIP_2) | instid1(VALU_DEP_1)
	v_rcp_f64_e32 v[218:219], v[214:215]
	s_waitcnt_depctr 0xfff
	v_fma_f64 v[220:221], -v[214:215], v[218:219], 1.0
	v_fma_f64 v[218:219], v[218:219], v[220:221], v[218:219]
	s_delay_alu instid0(VALU_DEP_1) | instskip(NEXT) | instid1(VALU_DEP_1)
	v_fma_f64 v[220:221], -v[214:215], v[218:219], 1.0
	v_fma_f64 v[218:219], v[218:219], v[220:221], v[218:219]
	v_div_scale_f64 v[220:221], vcc_lo, 1.0, v[212:213], 1.0
	s_delay_alu instid0(VALU_DEP_1) | instskip(NEXT) | instid1(VALU_DEP_1)
	v_mul_f64 v[222:223], v[220:221], v[218:219]
	v_fma_f64 v[214:215], -v[214:215], v[222:223], v[220:221]
	s_delay_alu instid0(VALU_DEP_1) | instskip(NEXT) | instid1(VALU_DEP_1)
	v_div_fmas_f64 v[214:215], v[214:215], v[218:219], v[222:223]
	v_div_fixup_f64 v[220:221], v[214:215], v[212:213], 1.0
	s_delay_alu instid0(VALU_DEP_1)
	v_mul_f64 v[218:219], v[216:217], -v[220:221]
.LBB81_322:
	s_or_b32 exec_lo, exec_lo, s3
	ds_store_2addr_b64 v239, v[220:221], v[218:219] offset1:1
.LBB81_323:
	s_or_b32 exec_lo, exec_lo, s4
	s_waitcnt lgkmcnt(0)
	s_barrier
	buffer_gl0_inv
	ds_load_2addr_b64 v[212:215], v239 offset1:1
	s_mov_b32 s3, exec_lo
	v_cmpx_lt_u32_e32 35, v238
	s_cbranch_execz .LBB81_325
; %bb.324:
	s_waitcnt lgkmcnt(0)
	v_mul_f64 v[216:217], v[212:213], v[22:23]
	v_mul_f64 v[22:23], v[214:215], v[22:23]
	s_delay_alu instid0(VALU_DEP_2) | instskip(SKIP_4) | instid1(VALU_DEP_1)
	v_fma_f64 v[220:221], v[214:215], v[20:21], v[216:217]
	ds_load_2addr_b64 v[216:219], v240 offset0:72 offset1:73
	v_fma_f64 v[20:21], v[212:213], v[20:21], -v[22:23]
	s_waitcnt lgkmcnt(0)
	v_mul_f64 v[22:23], v[218:219], v[220:221]
	v_fma_f64 v[22:23], v[216:217], v[20:21], -v[22:23]
	v_mul_f64 v[216:217], v[216:217], v[220:221]
	s_delay_alu instid0(VALU_DEP_2) | instskip(NEXT) | instid1(VALU_DEP_2)
	v_add_f64 v[16:17], v[16:17], -v[22:23]
	v_fma_f64 v[216:217], v[218:219], v[20:21], v[216:217]
	s_delay_alu instid0(VALU_DEP_1) | instskip(SKIP_3) | instid1(VALU_DEP_1)
	v_add_f64 v[18:19], v[18:19], -v[216:217]
	ds_load_2addr_b64 v[216:219], v240 offset0:74 offset1:75
	s_waitcnt lgkmcnt(0)
	v_mul_f64 v[22:23], v[218:219], v[220:221]
	v_fma_f64 v[22:23], v[216:217], v[20:21], -v[22:23]
	v_mul_f64 v[216:217], v[216:217], v[220:221]
	s_delay_alu instid0(VALU_DEP_2) | instskip(NEXT) | instid1(VALU_DEP_2)
	v_add_f64 v[12:13], v[12:13], -v[22:23]
	v_fma_f64 v[216:217], v[218:219], v[20:21], v[216:217]
	s_delay_alu instid0(VALU_DEP_1) | instskip(SKIP_3) | instid1(VALU_DEP_1)
	v_add_f64 v[14:15], v[14:15], -v[216:217]
	ds_load_2addr_b64 v[216:219], v240 offset0:76 offset1:77
	s_waitcnt lgkmcnt(0)
	v_mul_f64 v[22:23], v[218:219], v[220:221]
	v_fma_f64 v[22:23], v[216:217], v[20:21], -v[22:23]
	v_mul_f64 v[216:217], v[216:217], v[220:221]
	s_delay_alu instid0(VALU_DEP_2) | instskip(NEXT) | instid1(VALU_DEP_2)
	v_add_f64 v[8:9], v[8:9], -v[22:23]
	v_fma_f64 v[216:217], v[218:219], v[20:21], v[216:217]
	s_delay_alu instid0(VALU_DEP_1) | instskip(SKIP_3) | instid1(VALU_DEP_1)
	v_add_f64 v[10:11], v[10:11], -v[216:217]
	ds_load_2addr_b64 v[216:219], v240 offset0:78 offset1:79
	s_waitcnt lgkmcnt(0)
	v_mul_f64 v[22:23], v[218:219], v[220:221]
	v_fma_f64 v[22:23], v[216:217], v[20:21], -v[22:23]
	v_mul_f64 v[216:217], v[216:217], v[220:221]
	s_delay_alu instid0(VALU_DEP_2) | instskip(NEXT) | instid1(VALU_DEP_2)
	v_add_f64 v[4:5], v[4:5], -v[22:23]
	v_fma_f64 v[216:217], v[218:219], v[20:21], v[216:217]
	s_delay_alu instid0(VALU_DEP_1) | instskip(SKIP_3) | instid1(VALU_DEP_1)
	v_add_f64 v[6:7], v[6:7], -v[216:217]
	ds_load_2addr_b64 v[216:219], v240 offset0:80 offset1:81
	s_waitcnt lgkmcnt(0)
	v_mul_f64 v[22:23], v[218:219], v[220:221]
	v_fma_f64 v[22:23], v[216:217], v[20:21], -v[22:23]
	v_mul_f64 v[216:217], v[216:217], v[220:221]
	s_delay_alu instid0(VALU_DEP_2) | instskip(NEXT) | instid1(VALU_DEP_2)
	v_add_f64 v[0:1], v[0:1], -v[22:23]
	v_fma_f64 v[216:217], v[218:219], v[20:21], v[216:217]
	v_dual_mov_b32 v22, v220 :: v_dual_mov_b32 v23, v221
	s_delay_alu instid0(VALU_DEP_2)
	v_add_f64 v[2:3], v[2:3], -v[216:217]
.LBB81_325:
	s_or_b32 exec_lo, exec_lo, s3
	s_delay_alu instid0(SALU_CYCLE_1)
	s_mov_b32 s4, exec_lo
	s_waitcnt lgkmcnt(0)
	s_barrier
	buffer_gl0_inv
	v_cmpx_eq_u32_e32 36, v238
	s_cbranch_execz .LBB81_332
; %bb.326:
	ds_store_2addr_b64 v239, v[16:17], v[18:19] offset1:1
	ds_store_2addr_b64 v240, v[12:13], v[14:15] offset0:74 offset1:75
	ds_store_2addr_b64 v240, v[8:9], v[10:11] offset0:76 offset1:77
	;; [unrolled: 1-line block ×4, first 2 shown]
	ds_load_2addr_b64 v[216:219], v239 offset1:1
	s_waitcnt lgkmcnt(0)
	v_cmp_neq_f64_e32 vcc_lo, 0, v[216:217]
	v_cmp_neq_f64_e64 s3, 0, v[218:219]
	s_delay_alu instid0(VALU_DEP_1) | instskip(NEXT) | instid1(SALU_CYCLE_1)
	s_or_b32 s3, vcc_lo, s3
	s_and_b32 exec_lo, exec_lo, s3
	s_cbranch_execz .LBB81_332
; %bb.327:
	v_cmp_gt_f64_e32 vcc_lo, 0, v[216:217]
	v_xor_b32_e32 v220, 0x80000000, v217
	v_xor_b32_e32 v222, 0x80000000, v219
	s_mov_b32 s3, exec_lo
                                        ; implicit-def: $vgpr224_vgpr225
	s_delay_alu instid0(VALU_DEP_2) | instskip(SKIP_4) | instid1(VALU_DEP_1)
	v_cndmask_b32_e32 v221, v217, v220, vcc_lo
	v_cndmask_b32_e32 v220, v216, v216, vcc_lo
	v_cmp_gt_f64_e32 vcc_lo, 0, v[218:219]
	v_cndmask_b32_e32 v223, v219, v222, vcc_lo
	v_cndmask_b32_e32 v222, v218, v218, vcc_lo
	v_cmpx_ngt_f64_e32 v[220:221], v[222:223]
	s_xor_b32 s3, exec_lo, s3
                                        ; implicit-def: $vgpr220_vgpr221_vgpr222_vgpr223
	s_cbranch_execz .LBB81_329
; %bb.328:
	v_div_scale_f64 v[220:221], null, v[218:219], v[218:219], v[216:217]
	v_div_scale_f64 v[226:227], vcc_lo, v[216:217], v[218:219], v[216:217]
	s_delay_alu instid0(VALU_DEP_2) | instskip(SKIP_2) | instid1(VALU_DEP_1)
	v_rcp_f64_e32 v[222:223], v[220:221]
	s_waitcnt_depctr 0xfff
	v_fma_f64 v[224:225], -v[220:221], v[222:223], 1.0
	v_fma_f64 v[222:223], v[222:223], v[224:225], v[222:223]
	s_delay_alu instid0(VALU_DEP_1) | instskip(NEXT) | instid1(VALU_DEP_1)
	v_fma_f64 v[224:225], -v[220:221], v[222:223], 1.0
	v_fma_f64 v[222:223], v[222:223], v[224:225], v[222:223]
	s_delay_alu instid0(VALU_DEP_1) | instskip(NEXT) | instid1(VALU_DEP_1)
	v_mul_f64 v[224:225], v[226:227], v[222:223]
	v_fma_f64 v[220:221], -v[220:221], v[224:225], v[226:227]
	s_delay_alu instid0(VALU_DEP_1) | instskip(NEXT) | instid1(VALU_DEP_1)
	v_div_fmas_f64 v[220:221], v[220:221], v[222:223], v[224:225]
	v_div_fixup_f64 v[220:221], v[220:221], v[218:219], v[216:217]
	s_delay_alu instid0(VALU_DEP_1) | instskip(NEXT) | instid1(VALU_DEP_1)
	v_fma_f64 v[216:217], v[216:217], v[220:221], v[218:219]
	v_div_scale_f64 v[218:219], null, v[216:217], v[216:217], 1.0
	s_delay_alu instid0(VALU_DEP_1) | instskip(SKIP_2) | instid1(VALU_DEP_1)
	v_rcp_f64_e32 v[222:223], v[218:219]
	s_waitcnt_depctr 0xfff
	v_fma_f64 v[224:225], -v[218:219], v[222:223], 1.0
	v_fma_f64 v[222:223], v[222:223], v[224:225], v[222:223]
	s_delay_alu instid0(VALU_DEP_1) | instskip(NEXT) | instid1(VALU_DEP_1)
	v_fma_f64 v[224:225], -v[218:219], v[222:223], 1.0
	v_fma_f64 v[222:223], v[222:223], v[224:225], v[222:223]
	v_div_scale_f64 v[224:225], vcc_lo, 1.0, v[216:217], 1.0
	s_delay_alu instid0(VALU_DEP_1) | instskip(NEXT) | instid1(VALU_DEP_1)
	v_mul_f64 v[226:227], v[224:225], v[222:223]
	v_fma_f64 v[218:219], -v[218:219], v[226:227], v[224:225]
	s_delay_alu instid0(VALU_DEP_1) | instskip(NEXT) | instid1(VALU_DEP_1)
	v_div_fmas_f64 v[218:219], v[218:219], v[222:223], v[226:227]
	v_div_fixup_f64 v[222:223], v[218:219], v[216:217], 1.0
                                        ; implicit-def: $vgpr216_vgpr217
	s_delay_alu instid0(VALU_DEP_1)
	v_mul_f64 v[224:225], v[220:221], v[222:223]
	v_xor_b32_e32 v223, 0x80000000, v223
.LBB81_329:
	s_and_not1_saveexec_b32 s3, s3
	s_cbranch_execz .LBB81_331
; %bb.330:
	v_div_scale_f64 v[220:221], null, v[216:217], v[216:217], v[218:219]
	v_div_scale_f64 v[226:227], vcc_lo, v[218:219], v[216:217], v[218:219]
	s_delay_alu instid0(VALU_DEP_2) | instskip(SKIP_2) | instid1(VALU_DEP_1)
	v_rcp_f64_e32 v[222:223], v[220:221]
	s_waitcnt_depctr 0xfff
	v_fma_f64 v[224:225], -v[220:221], v[222:223], 1.0
	v_fma_f64 v[222:223], v[222:223], v[224:225], v[222:223]
	s_delay_alu instid0(VALU_DEP_1) | instskip(NEXT) | instid1(VALU_DEP_1)
	v_fma_f64 v[224:225], -v[220:221], v[222:223], 1.0
	v_fma_f64 v[222:223], v[222:223], v[224:225], v[222:223]
	s_delay_alu instid0(VALU_DEP_1) | instskip(NEXT) | instid1(VALU_DEP_1)
	v_mul_f64 v[224:225], v[226:227], v[222:223]
	v_fma_f64 v[220:221], -v[220:221], v[224:225], v[226:227]
	s_delay_alu instid0(VALU_DEP_1) | instskip(NEXT) | instid1(VALU_DEP_1)
	v_div_fmas_f64 v[220:221], v[220:221], v[222:223], v[224:225]
	v_div_fixup_f64 v[220:221], v[220:221], v[216:217], v[218:219]
	s_delay_alu instid0(VALU_DEP_1) | instskip(NEXT) | instid1(VALU_DEP_1)
	v_fma_f64 v[216:217], v[218:219], v[220:221], v[216:217]
	v_div_scale_f64 v[218:219], null, v[216:217], v[216:217], 1.0
	s_delay_alu instid0(VALU_DEP_1) | instskip(SKIP_2) | instid1(VALU_DEP_1)
	v_rcp_f64_e32 v[222:223], v[218:219]
	s_waitcnt_depctr 0xfff
	v_fma_f64 v[224:225], -v[218:219], v[222:223], 1.0
	v_fma_f64 v[222:223], v[222:223], v[224:225], v[222:223]
	s_delay_alu instid0(VALU_DEP_1) | instskip(NEXT) | instid1(VALU_DEP_1)
	v_fma_f64 v[224:225], -v[218:219], v[222:223], 1.0
	v_fma_f64 v[222:223], v[222:223], v[224:225], v[222:223]
	v_div_scale_f64 v[224:225], vcc_lo, 1.0, v[216:217], 1.0
	s_delay_alu instid0(VALU_DEP_1) | instskip(NEXT) | instid1(VALU_DEP_1)
	v_mul_f64 v[226:227], v[224:225], v[222:223]
	v_fma_f64 v[218:219], -v[218:219], v[226:227], v[224:225]
	s_delay_alu instid0(VALU_DEP_1) | instskip(NEXT) | instid1(VALU_DEP_1)
	v_div_fmas_f64 v[218:219], v[218:219], v[222:223], v[226:227]
	v_div_fixup_f64 v[224:225], v[218:219], v[216:217], 1.0
	s_delay_alu instid0(VALU_DEP_1)
	v_mul_f64 v[222:223], v[220:221], -v[224:225]
.LBB81_331:
	s_or_b32 exec_lo, exec_lo, s3
	ds_store_2addr_b64 v239, v[224:225], v[222:223] offset1:1
.LBB81_332:
	s_or_b32 exec_lo, exec_lo, s4
	s_waitcnt lgkmcnt(0)
	s_barrier
	buffer_gl0_inv
	ds_load_2addr_b64 v[216:219], v239 offset1:1
	s_mov_b32 s3, exec_lo
	v_cmpx_lt_u32_e32 36, v238
	s_cbranch_execz .LBB81_334
; %bb.333:
	s_waitcnt lgkmcnt(0)
	v_mul_f64 v[220:221], v[216:217], v[18:19]
	v_mul_f64 v[18:19], v[218:219], v[18:19]
	s_delay_alu instid0(VALU_DEP_2) | instskip(SKIP_4) | instid1(VALU_DEP_1)
	v_fma_f64 v[224:225], v[218:219], v[16:17], v[220:221]
	ds_load_2addr_b64 v[220:223], v240 offset0:74 offset1:75
	v_fma_f64 v[16:17], v[216:217], v[16:17], -v[18:19]
	s_waitcnt lgkmcnt(0)
	v_mul_f64 v[18:19], v[222:223], v[224:225]
	v_fma_f64 v[18:19], v[220:221], v[16:17], -v[18:19]
	v_mul_f64 v[220:221], v[220:221], v[224:225]
	s_delay_alu instid0(VALU_DEP_2) | instskip(NEXT) | instid1(VALU_DEP_2)
	v_add_f64 v[12:13], v[12:13], -v[18:19]
	v_fma_f64 v[220:221], v[222:223], v[16:17], v[220:221]
	s_delay_alu instid0(VALU_DEP_1) | instskip(SKIP_3) | instid1(VALU_DEP_1)
	v_add_f64 v[14:15], v[14:15], -v[220:221]
	ds_load_2addr_b64 v[220:223], v240 offset0:76 offset1:77
	s_waitcnt lgkmcnt(0)
	v_mul_f64 v[18:19], v[222:223], v[224:225]
	v_fma_f64 v[18:19], v[220:221], v[16:17], -v[18:19]
	v_mul_f64 v[220:221], v[220:221], v[224:225]
	s_delay_alu instid0(VALU_DEP_2) | instskip(NEXT) | instid1(VALU_DEP_2)
	v_add_f64 v[8:9], v[8:9], -v[18:19]
	v_fma_f64 v[220:221], v[222:223], v[16:17], v[220:221]
	s_delay_alu instid0(VALU_DEP_1) | instskip(SKIP_3) | instid1(VALU_DEP_1)
	v_add_f64 v[10:11], v[10:11], -v[220:221]
	ds_load_2addr_b64 v[220:223], v240 offset0:78 offset1:79
	;; [unrolled: 10-line block ×3, first 2 shown]
	s_waitcnt lgkmcnt(0)
	v_mul_f64 v[18:19], v[222:223], v[224:225]
	v_fma_f64 v[18:19], v[220:221], v[16:17], -v[18:19]
	v_mul_f64 v[220:221], v[220:221], v[224:225]
	s_delay_alu instid0(VALU_DEP_2) | instskip(NEXT) | instid1(VALU_DEP_2)
	v_add_f64 v[0:1], v[0:1], -v[18:19]
	v_fma_f64 v[220:221], v[222:223], v[16:17], v[220:221]
	v_dual_mov_b32 v18, v224 :: v_dual_mov_b32 v19, v225
	s_delay_alu instid0(VALU_DEP_2)
	v_add_f64 v[2:3], v[2:3], -v[220:221]
.LBB81_334:
	s_or_b32 exec_lo, exec_lo, s3
	s_delay_alu instid0(SALU_CYCLE_1)
	s_mov_b32 s4, exec_lo
	s_waitcnt lgkmcnt(0)
	s_barrier
	buffer_gl0_inv
	v_cmpx_eq_u32_e32 37, v238
	s_cbranch_execz .LBB81_341
; %bb.335:
	ds_store_2addr_b64 v239, v[12:13], v[14:15] offset1:1
	ds_store_2addr_b64 v240, v[8:9], v[10:11] offset0:76 offset1:77
	ds_store_2addr_b64 v240, v[4:5], v[6:7] offset0:78 offset1:79
	;; [unrolled: 1-line block ×3, first 2 shown]
	ds_load_2addr_b64 v[220:223], v239 offset1:1
	s_waitcnt lgkmcnt(0)
	v_cmp_neq_f64_e32 vcc_lo, 0, v[220:221]
	v_cmp_neq_f64_e64 s3, 0, v[222:223]
	s_delay_alu instid0(VALU_DEP_1) | instskip(NEXT) | instid1(SALU_CYCLE_1)
	s_or_b32 s3, vcc_lo, s3
	s_and_b32 exec_lo, exec_lo, s3
	s_cbranch_execz .LBB81_341
; %bb.336:
	v_cmp_gt_f64_e32 vcc_lo, 0, v[220:221]
	v_xor_b32_e32 v224, 0x80000000, v221
	v_xor_b32_e32 v226, 0x80000000, v223
	s_mov_b32 s3, exec_lo
                                        ; implicit-def: $vgpr228_vgpr229
	s_delay_alu instid0(VALU_DEP_2) | instskip(SKIP_4) | instid1(VALU_DEP_1)
	v_cndmask_b32_e32 v225, v221, v224, vcc_lo
	v_cndmask_b32_e32 v224, v220, v220, vcc_lo
	v_cmp_gt_f64_e32 vcc_lo, 0, v[222:223]
	v_cndmask_b32_e32 v227, v223, v226, vcc_lo
	v_cndmask_b32_e32 v226, v222, v222, vcc_lo
	v_cmpx_ngt_f64_e32 v[224:225], v[226:227]
	s_xor_b32 s3, exec_lo, s3
                                        ; implicit-def: $vgpr224_vgpr225_vgpr226_vgpr227
	s_cbranch_execz .LBB81_338
; %bb.337:
	v_div_scale_f64 v[224:225], null, v[222:223], v[222:223], v[220:221]
	v_div_scale_f64 v[230:231], vcc_lo, v[220:221], v[222:223], v[220:221]
	s_delay_alu instid0(VALU_DEP_2) | instskip(SKIP_2) | instid1(VALU_DEP_1)
	v_rcp_f64_e32 v[226:227], v[224:225]
	s_waitcnt_depctr 0xfff
	v_fma_f64 v[228:229], -v[224:225], v[226:227], 1.0
	v_fma_f64 v[226:227], v[226:227], v[228:229], v[226:227]
	s_delay_alu instid0(VALU_DEP_1) | instskip(NEXT) | instid1(VALU_DEP_1)
	v_fma_f64 v[228:229], -v[224:225], v[226:227], 1.0
	v_fma_f64 v[226:227], v[226:227], v[228:229], v[226:227]
	s_delay_alu instid0(VALU_DEP_1) | instskip(NEXT) | instid1(VALU_DEP_1)
	v_mul_f64 v[228:229], v[230:231], v[226:227]
	v_fma_f64 v[224:225], -v[224:225], v[228:229], v[230:231]
	s_delay_alu instid0(VALU_DEP_1) | instskip(NEXT) | instid1(VALU_DEP_1)
	v_div_fmas_f64 v[224:225], v[224:225], v[226:227], v[228:229]
	v_div_fixup_f64 v[224:225], v[224:225], v[222:223], v[220:221]
	s_delay_alu instid0(VALU_DEP_1) | instskip(NEXT) | instid1(VALU_DEP_1)
	v_fma_f64 v[220:221], v[220:221], v[224:225], v[222:223]
	v_div_scale_f64 v[222:223], null, v[220:221], v[220:221], 1.0
	s_delay_alu instid0(VALU_DEP_1) | instskip(SKIP_2) | instid1(VALU_DEP_1)
	v_rcp_f64_e32 v[226:227], v[222:223]
	s_waitcnt_depctr 0xfff
	v_fma_f64 v[228:229], -v[222:223], v[226:227], 1.0
	v_fma_f64 v[226:227], v[226:227], v[228:229], v[226:227]
	s_delay_alu instid0(VALU_DEP_1) | instskip(NEXT) | instid1(VALU_DEP_1)
	v_fma_f64 v[228:229], -v[222:223], v[226:227], 1.0
	v_fma_f64 v[226:227], v[226:227], v[228:229], v[226:227]
	v_div_scale_f64 v[228:229], vcc_lo, 1.0, v[220:221], 1.0
	s_delay_alu instid0(VALU_DEP_1) | instskip(NEXT) | instid1(VALU_DEP_1)
	v_mul_f64 v[230:231], v[228:229], v[226:227]
	v_fma_f64 v[222:223], -v[222:223], v[230:231], v[228:229]
	s_delay_alu instid0(VALU_DEP_1) | instskip(NEXT) | instid1(VALU_DEP_1)
	v_div_fmas_f64 v[222:223], v[222:223], v[226:227], v[230:231]
	v_div_fixup_f64 v[226:227], v[222:223], v[220:221], 1.0
                                        ; implicit-def: $vgpr220_vgpr221
	s_delay_alu instid0(VALU_DEP_1)
	v_mul_f64 v[228:229], v[224:225], v[226:227]
	v_xor_b32_e32 v227, 0x80000000, v227
.LBB81_338:
	s_and_not1_saveexec_b32 s3, s3
	s_cbranch_execz .LBB81_340
; %bb.339:
	v_div_scale_f64 v[224:225], null, v[220:221], v[220:221], v[222:223]
	v_div_scale_f64 v[230:231], vcc_lo, v[222:223], v[220:221], v[222:223]
	s_delay_alu instid0(VALU_DEP_2) | instskip(SKIP_2) | instid1(VALU_DEP_1)
	v_rcp_f64_e32 v[226:227], v[224:225]
	s_waitcnt_depctr 0xfff
	v_fma_f64 v[228:229], -v[224:225], v[226:227], 1.0
	v_fma_f64 v[226:227], v[226:227], v[228:229], v[226:227]
	s_delay_alu instid0(VALU_DEP_1) | instskip(NEXT) | instid1(VALU_DEP_1)
	v_fma_f64 v[228:229], -v[224:225], v[226:227], 1.0
	v_fma_f64 v[226:227], v[226:227], v[228:229], v[226:227]
	s_delay_alu instid0(VALU_DEP_1) | instskip(NEXT) | instid1(VALU_DEP_1)
	v_mul_f64 v[228:229], v[230:231], v[226:227]
	v_fma_f64 v[224:225], -v[224:225], v[228:229], v[230:231]
	s_delay_alu instid0(VALU_DEP_1) | instskip(NEXT) | instid1(VALU_DEP_1)
	v_div_fmas_f64 v[224:225], v[224:225], v[226:227], v[228:229]
	v_div_fixup_f64 v[224:225], v[224:225], v[220:221], v[222:223]
	s_delay_alu instid0(VALU_DEP_1) | instskip(NEXT) | instid1(VALU_DEP_1)
	v_fma_f64 v[220:221], v[222:223], v[224:225], v[220:221]
	v_div_scale_f64 v[222:223], null, v[220:221], v[220:221], 1.0
	s_delay_alu instid0(VALU_DEP_1) | instskip(SKIP_2) | instid1(VALU_DEP_1)
	v_rcp_f64_e32 v[226:227], v[222:223]
	s_waitcnt_depctr 0xfff
	v_fma_f64 v[228:229], -v[222:223], v[226:227], 1.0
	v_fma_f64 v[226:227], v[226:227], v[228:229], v[226:227]
	s_delay_alu instid0(VALU_DEP_1) | instskip(NEXT) | instid1(VALU_DEP_1)
	v_fma_f64 v[228:229], -v[222:223], v[226:227], 1.0
	v_fma_f64 v[226:227], v[226:227], v[228:229], v[226:227]
	v_div_scale_f64 v[228:229], vcc_lo, 1.0, v[220:221], 1.0
	s_delay_alu instid0(VALU_DEP_1) | instskip(NEXT) | instid1(VALU_DEP_1)
	v_mul_f64 v[230:231], v[228:229], v[226:227]
	v_fma_f64 v[222:223], -v[222:223], v[230:231], v[228:229]
	s_delay_alu instid0(VALU_DEP_1) | instskip(NEXT) | instid1(VALU_DEP_1)
	v_div_fmas_f64 v[222:223], v[222:223], v[226:227], v[230:231]
	v_div_fixup_f64 v[228:229], v[222:223], v[220:221], 1.0
	s_delay_alu instid0(VALU_DEP_1)
	v_mul_f64 v[226:227], v[224:225], -v[228:229]
.LBB81_340:
	s_or_b32 exec_lo, exec_lo, s3
	ds_store_2addr_b64 v239, v[228:229], v[226:227] offset1:1
.LBB81_341:
	s_or_b32 exec_lo, exec_lo, s4
	s_waitcnt lgkmcnt(0)
	s_barrier
	buffer_gl0_inv
	ds_load_2addr_b64 v[220:223], v239 offset1:1
	s_mov_b32 s3, exec_lo
	v_cmpx_lt_u32_e32 37, v238
	s_cbranch_execz .LBB81_343
; %bb.342:
	s_waitcnt lgkmcnt(0)
	v_mul_f64 v[224:225], v[220:221], v[14:15]
	v_mul_f64 v[14:15], v[222:223], v[14:15]
	s_delay_alu instid0(VALU_DEP_2) | instskip(SKIP_4) | instid1(VALU_DEP_1)
	v_fma_f64 v[228:229], v[222:223], v[12:13], v[224:225]
	ds_load_2addr_b64 v[224:227], v240 offset0:76 offset1:77
	v_fma_f64 v[12:13], v[220:221], v[12:13], -v[14:15]
	s_waitcnt lgkmcnt(0)
	v_mul_f64 v[14:15], v[226:227], v[228:229]
	v_fma_f64 v[14:15], v[224:225], v[12:13], -v[14:15]
	v_mul_f64 v[224:225], v[224:225], v[228:229]
	s_delay_alu instid0(VALU_DEP_2) | instskip(NEXT) | instid1(VALU_DEP_2)
	v_add_f64 v[8:9], v[8:9], -v[14:15]
	v_fma_f64 v[224:225], v[226:227], v[12:13], v[224:225]
	s_delay_alu instid0(VALU_DEP_1) | instskip(SKIP_3) | instid1(VALU_DEP_1)
	v_add_f64 v[10:11], v[10:11], -v[224:225]
	ds_load_2addr_b64 v[224:227], v240 offset0:78 offset1:79
	s_waitcnt lgkmcnt(0)
	v_mul_f64 v[14:15], v[226:227], v[228:229]
	v_fma_f64 v[14:15], v[224:225], v[12:13], -v[14:15]
	v_mul_f64 v[224:225], v[224:225], v[228:229]
	s_delay_alu instid0(VALU_DEP_2) | instskip(NEXT) | instid1(VALU_DEP_2)
	v_add_f64 v[4:5], v[4:5], -v[14:15]
	v_fma_f64 v[224:225], v[226:227], v[12:13], v[224:225]
	s_delay_alu instid0(VALU_DEP_1) | instskip(SKIP_3) | instid1(VALU_DEP_1)
	v_add_f64 v[6:7], v[6:7], -v[224:225]
	ds_load_2addr_b64 v[224:227], v240 offset0:80 offset1:81
	s_waitcnt lgkmcnt(0)
	v_mul_f64 v[14:15], v[226:227], v[228:229]
	v_fma_f64 v[14:15], v[224:225], v[12:13], -v[14:15]
	v_mul_f64 v[224:225], v[224:225], v[228:229]
	s_delay_alu instid0(VALU_DEP_2) | instskip(NEXT) | instid1(VALU_DEP_2)
	v_add_f64 v[0:1], v[0:1], -v[14:15]
	v_fma_f64 v[224:225], v[226:227], v[12:13], v[224:225]
	v_dual_mov_b32 v14, v228 :: v_dual_mov_b32 v15, v229
	s_delay_alu instid0(VALU_DEP_2)
	v_add_f64 v[2:3], v[2:3], -v[224:225]
.LBB81_343:
	s_or_b32 exec_lo, exec_lo, s3
	s_delay_alu instid0(SALU_CYCLE_1)
	s_mov_b32 s4, exec_lo
	s_waitcnt lgkmcnt(0)
	s_barrier
	buffer_gl0_inv
	v_cmpx_eq_u32_e32 38, v238
	s_cbranch_execz .LBB81_350
; %bb.344:
	ds_store_2addr_b64 v239, v[8:9], v[10:11] offset1:1
	ds_store_2addr_b64 v240, v[4:5], v[6:7] offset0:78 offset1:79
	ds_store_2addr_b64 v240, v[0:1], v[2:3] offset0:80 offset1:81
	ds_load_2addr_b64 v[224:227], v239 offset1:1
	s_waitcnt lgkmcnt(0)
	v_cmp_neq_f64_e32 vcc_lo, 0, v[224:225]
	v_cmp_neq_f64_e64 s3, 0, v[226:227]
	s_delay_alu instid0(VALU_DEP_1) | instskip(NEXT) | instid1(SALU_CYCLE_1)
	s_or_b32 s3, vcc_lo, s3
	s_and_b32 exec_lo, exec_lo, s3
	s_cbranch_execz .LBB81_350
; %bb.345:
	v_cmp_gt_f64_e32 vcc_lo, 0, v[224:225]
	v_xor_b32_e32 v228, 0x80000000, v225
	v_xor_b32_e32 v230, 0x80000000, v227
	s_mov_b32 s3, exec_lo
                                        ; implicit-def: $vgpr232_vgpr233
	s_delay_alu instid0(VALU_DEP_2) | instskip(SKIP_4) | instid1(VALU_DEP_1)
	v_cndmask_b32_e32 v229, v225, v228, vcc_lo
	v_cndmask_b32_e32 v228, v224, v224, vcc_lo
	v_cmp_gt_f64_e32 vcc_lo, 0, v[226:227]
	v_cndmask_b32_e32 v231, v227, v230, vcc_lo
	v_cndmask_b32_e32 v230, v226, v226, vcc_lo
	v_cmpx_ngt_f64_e32 v[228:229], v[230:231]
	s_xor_b32 s3, exec_lo, s3
                                        ; implicit-def: $vgpr228_vgpr229_vgpr230_vgpr231
	s_cbranch_execz .LBB81_347
; %bb.346:
	v_div_scale_f64 v[228:229], null, v[226:227], v[226:227], v[224:225]
	v_div_scale_f64 v[234:235], vcc_lo, v[224:225], v[226:227], v[224:225]
	s_delay_alu instid0(VALU_DEP_2) | instskip(SKIP_2) | instid1(VALU_DEP_1)
	v_rcp_f64_e32 v[230:231], v[228:229]
	s_waitcnt_depctr 0xfff
	v_fma_f64 v[232:233], -v[228:229], v[230:231], 1.0
	v_fma_f64 v[230:231], v[230:231], v[232:233], v[230:231]
	s_delay_alu instid0(VALU_DEP_1) | instskip(NEXT) | instid1(VALU_DEP_1)
	v_fma_f64 v[232:233], -v[228:229], v[230:231], 1.0
	v_fma_f64 v[230:231], v[230:231], v[232:233], v[230:231]
	s_delay_alu instid0(VALU_DEP_1) | instskip(NEXT) | instid1(VALU_DEP_1)
	v_mul_f64 v[232:233], v[234:235], v[230:231]
	v_fma_f64 v[228:229], -v[228:229], v[232:233], v[234:235]
	s_delay_alu instid0(VALU_DEP_1) | instskip(NEXT) | instid1(VALU_DEP_1)
	v_div_fmas_f64 v[228:229], v[228:229], v[230:231], v[232:233]
	v_div_fixup_f64 v[228:229], v[228:229], v[226:227], v[224:225]
	s_delay_alu instid0(VALU_DEP_1) | instskip(NEXT) | instid1(VALU_DEP_1)
	v_fma_f64 v[224:225], v[224:225], v[228:229], v[226:227]
	v_div_scale_f64 v[226:227], null, v[224:225], v[224:225], 1.0
	s_delay_alu instid0(VALU_DEP_1) | instskip(SKIP_2) | instid1(VALU_DEP_1)
	v_rcp_f64_e32 v[230:231], v[226:227]
	s_waitcnt_depctr 0xfff
	v_fma_f64 v[232:233], -v[226:227], v[230:231], 1.0
	v_fma_f64 v[230:231], v[230:231], v[232:233], v[230:231]
	s_delay_alu instid0(VALU_DEP_1) | instskip(NEXT) | instid1(VALU_DEP_1)
	v_fma_f64 v[232:233], -v[226:227], v[230:231], 1.0
	v_fma_f64 v[230:231], v[230:231], v[232:233], v[230:231]
	v_div_scale_f64 v[232:233], vcc_lo, 1.0, v[224:225], 1.0
	s_delay_alu instid0(VALU_DEP_1) | instskip(NEXT) | instid1(VALU_DEP_1)
	v_mul_f64 v[234:235], v[232:233], v[230:231]
	v_fma_f64 v[226:227], -v[226:227], v[234:235], v[232:233]
	s_delay_alu instid0(VALU_DEP_1) | instskip(NEXT) | instid1(VALU_DEP_1)
	v_div_fmas_f64 v[226:227], v[226:227], v[230:231], v[234:235]
	v_div_fixup_f64 v[230:231], v[226:227], v[224:225], 1.0
                                        ; implicit-def: $vgpr224_vgpr225
	s_delay_alu instid0(VALU_DEP_1)
	v_mul_f64 v[232:233], v[228:229], v[230:231]
	v_xor_b32_e32 v231, 0x80000000, v231
.LBB81_347:
	s_and_not1_saveexec_b32 s3, s3
	s_cbranch_execz .LBB81_349
; %bb.348:
	v_div_scale_f64 v[228:229], null, v[224:225], v[224:225], v[226:227]
	v_div_scale_f64 v[234:235], vcc_lo, v[226:227], v[224:225], v[226:227]
	s_delay_alu instid0(VALU_DEP_2) | instskip(SKIP_2) | instid1(VALU_DEP_1)
	v_rcp_f64_e32 v[230:231], v[228:229]
	s_waitcnt_depctr 0xfff
	v_fma_f64 v[232:233], -v[228:229], v[230:231], 1.0
	v_fma_f64 v[230:231], v[230:231], v[232:233], v[230:231]
	s_delay_alu instid0(VALU_DEP_1) | instskip(NEXT) | instid1(VALU_DEP_1)
	v_fma_f64 v[232:233], -v[228:229], v[230:231], 1.0
	v_fma_f64 v[230:231], v[230:231], v[232:233], v[230:231]
	s_delay_alu instid0(VALU_DEP_1) | instskip(NEXT) | instid1(VALU_DEP_1)
	v_mul_f64 v[232:233], v[234:235], v[230:231]
	v_fma_f64 v[228:229], -v[228:229], v[232:233], v[234:235]
	s_delay_alu instid0(VALU_DEP_1) | instskip(NEXT) | instid1(VALU_DEP_1)
	v_div_fmas_f64 v[228:229], v[228:229], v[230:231], v[232:233]
	v_div_fixup_f64 v[228:229], v[228:229], v[224:225], v[226:227]
	s_delay_alu instid0(VALU_DEP_1) | instskip(NEXT) | instid1(VALU_DEP_1)
	v_fma_f64 v[224:225], v[226:227], v[228:229], v[224:225]
	v_div_scale_f64 v[226:227], null, v[224:225], v[224:225], 1.0
	s_delay_alu instid0(VALU_DEP_1) | instskip(SKIP_2) | instid1(VALU_DEP_1)
	v_rcp_f64_e32 v[230:231], v[226:227]
	s_waitcnt_depctr 0xfff
	v_fma_f64 v[232:233], -v[226:227], v[230:231], 1.0
	v_fma_f64 v[230:231], v[230:231], v[232:233], v[230:231]
	s_delay_alu instid0(VALU_DEP_1) | instskip(NEXT) | instid1(VALU_DEP_1)
	v_fma_f64 v[232:233], -v[226:227], v[230:231], 1.0
	v_fma_f64 v[230:231], v[230:231], v[232:233], v[230:231]
	v_div_scale_f64 v[232:233], vcc_lo, 1.0, v[224:225], 1.0
	s_delay_alu instid0(VALU_DEP_1) | instskip(NEXT) | instid1(VALU_DEP_1)
	v_mul_f64 v[234:235], v[232:233], v[230:231]
	v_fma_f64 v[226:227], -v[226:227], v[234:235], v[232:233]
	s_delay_alu instid0(VALU_DEP_1) | instskip(NEXT) | instid1(VALU_DEP_1)
	v_div_fmas_f64 v[226:227], v[226:227], v[230:231], v[234:235]
	v_div_fixup_f64 v[232:233], v[226:227], v[224:225], 1.0
	s_delay_alu instid0(VALU_DEP_1)
	v_mul_f64 v[230:231], v[228:229], -v[232:233]
.LBB81_349:
	s_or_b32 exec_lo, exec_lo, s3
	ds_store_2addr_b64 v239, v[232:233], v[230:231] offset1:1
.LBB81_350:
	s_or_b32 exec_lo, exec_lo, s4
	s_waitcnt lgkmcnt(0)
	s_barrier
	buffer_gl0_inv
	ds_load_2addr_b64 v[224:227], v239 offset1:1
	s_mov_b32 s3, exec_lo
	v_cmpx_lt_u32_e32 38, v238
	s_cbranch_execz .LBB81_352
; %bb.351:
	s_waitcnt lgkmcnt(0)
	v_mul_f64 v[228:229], v[224:225], v[10:11]
	v_mul_f64 v[10:11], v[226:227], v[10:11]
	s_delay_alu instid0(VALU_DEP_2) | instskip(SKIP_4) | instid1(VALU_DEP_1)
	v_fma_f64 v[232:233], v[226:227], v[8:9], v[228:229]
	ds_load_2addr_b64 v[228:231], v240 offset0:78 offset1:79
	v_fma_f64 v[8:9], v[224:225], v[8:9], -v[10:11]
	s_waitcnt lgkmcnt(0)
	v_mul_f64 v[10:11], v[230:231], v[232:233]
	v_fma_f64 v[10:11], v[228:229], v[8:9], -v[10:11]
	v_mul_f64 v[228:229], v[228:229], v[232:233]
	s_delay_alu instid0(VALU_DEP_2) | instskip(NEXT) | instid1(VALU_DEP_2)
	v_add_f64 v[4:5], v[4:5], -v[10:11]
	v_fma_f64 v[228:229], v[230:231], v[8:9], v[228:229]
	s_delay_alu instid0(VALU_DEP_1) | instskip(SKIP_3) | instid1(VALU_DEP_1)
	v_add_f64 v[6:7], v[6:7], -v[228:229]
	ds_load_2addr_b64 v[228:231], v240 offset0:80 offset1:81
	s_waitcnt lgkmcnt(0)
	v_mul_f64 v[10:11], v[230:231], v[232:233]
	v_fma_f64 v[10:11], v[228:229], v[8:9], -v[10:11]
	v_mul_f64 v[228:229], v[228:229], v[232:233]
	s_delay_alu instid0(VALU_DEP_2) | instskip(NEXT) | instid1(VALU_DEP_2)
	v_add_f64 v[0:1], v[0:1], -v[10:11]
	v_fma_f64 v[228:229], v[230:231], v[8:9], v[228:229]
	v_dual_mov_b32 v10, v232 :: v_dual_mov_b32 v11, v233
	s_delay_alu instid0(VALU_DEP_2)
	v_add_f64 v[2:3], v[2:3], -v[228:229]
.LBB81_352:
	s_or_b32 exec_lo, exec_lo, s3
	s_delay_alu instid0(SALU_CYCLE_1)
	s_mov_b32 s4, exec_lo
	s_waitcnt lgkmcnt(0)
	s_barrier
	buffer_gl0_inv
	v_cmpx_eq_u32_e32 39, v238
	s_cbranch_execz .LBB81_359
; %bb.353:
	ds_store_2addr_b64 v239, v[4:5], v[6:7] offset1:1
	ds_store_2addr_b64 v240, v[0:1], v[2:3] offset0:80 offset1:81
	ds_load_2addr_b64 v[228:231], v239 offset1:1
	s_waitcnt lgkmcnt(0)
	v_cmp_neq_f64_e32 vcc_lo, 0, v[228:229]
	v_cmp_neq_f64_e64 s3, 0, v[230:231]
	s_delay_alu instid0(VALU_DEP_1) | instskip(NEXT) | instid1(SALU_CYCLE_1)
	s_or_b32 s3, vcc_lo, s3
	s_and_b32 exec_lo, exec_lo, s3
	s_cbranch_execz .LBB81_359
; %bb.354:
	v_cmp_gt_f64_e32 vcc_lo, 0, v[228:229]
	v_xor_b32_e32 v232, 0x80000000, v229
	v_xor_b32_e32 v234, 0x80000000, v231
	s_mov_b32 s3, exec_lo
                                        ; implicit-def: $vgpr236_vgpr237
	s_delay_alu instid0(VALU_DEP_2) | instskip(SKIP_4) | instid1(VALU_DEP_1)
	v_cndmask_b32_e32 v233, v229, v232, vcc_lo
	v_cndmask_b32_e32 v232, v228, v228, vcc_lo
	v_cmp_gt_f64_e32 vcc_lo, 0, v[230:231]
	v_cndmask_b32_e32 v235, v231, v234, vcc_lo
	v_cndmask_b32_e32 v234, v230, v230, vcc_lo
	v_cmpx_ngt_f64_e32 v[232:233], v[234:235]
	s_xor_b32 s3, exec_lo, s3
                                        ; implicit-def: $vgpr232_vgpr233_vgpr234_vgpr235
	s_cbranch_execz .LBB81_356
; %bb.355:
	v_div_scale_f64 v[232:233], null, v[230:231], v[230:231], v[228:229]
	v_dual_mov_b32 v164, v241 :: v_dual_mov_b32 v165, v242
	v_div_scale_f64 v[241:242], vcc_lo, v[228:229], v[230:231], v[228:229]
	s_delay_alu instid0(VALU_DEP_3) | instskip(SKIP_2) | instid1(VALU_DEP_1)
	v_rcp_f64_e32 v[234:235], v[232:233]
	s_waitcnt_depctr 0xfff
	v_fma_f64 v[236:237], -v[232:233], v[234:235], 1.0
	v_fma_f64 v[234:235], v[234:235], v[236:237], v[234:235]
	s_delay_alu instid0(VALU_DEP_1) | instskip(NEXT) | instid1(VALU_DEP_1)
	v_fma_f64 v[236:237], -v[232:233], v[234:235], 1.0
	v_fma_f64 v[234:235], v[234:235], v[236:237], v[234:235]
	s_delay_alu instid0(VALU_DEP_1) | instskip(NEXT) | instid1(VALU_DEP_1)
	v_mul_f64 v[236:237], v[241:242], v[234:235]
	v_fma_f64 v[232:233], -v[232:233], v[236:237], v[241:242]
	s_delay_alu instid0(VALU_DEP_1) | instskip(NEXT) | instid1(VALU_DEP_1)
	v_div_fmas_f64 v[232:233], v[232:233], v[234:235], v[236:237]
	v_div_fixup_f64 v[232:233], v[232:233], v[230:231], v[228:229]
	s_delay_alu instid0(VALU_DEP_1) | instskip(NEXT) | instid1(VALU_DEP_1)
	v_fma_f64 v[228:229], v[228:229], v[232:233], v[230:231]
	v_div_scale_f64 v[230:231], null, v[228:229], v[228:229], 1.0
	s_delay_alu instid0(VALU_DEP_1) | instskip(SKIP_2) | instid1(VALU_DEP_1)
	v_rcp_f64_e32 v[234:235], v[230:231]
	s_waitcnt_depctr 0xfff
	v_fma_f64 v[236:237], -v[230:231], v[234:235], 1.0
	v_fma_f64 v[234:235], v[234:235], v[236:237], v[234:235]
	s_delay_alu instid0(VALU_DEP_1) | instskip(NEXT) | instid1(VALU_DEP_1)
	v_fma_f64 v[236:237], -v[230:231], v[234:235], 1.0
	v_fma_f64 v[234:235], v[234:235], v[236:237], v[234:235]
	v_div_scale_f64 v[236:237], vcc_lo, 1.0, v[228:229], 1.0
	s_delay_alu instid0(VALU_DEP_1) | instskip(NEXT) | instid1(VALU_DEP_1)
	v_mul_f64 v[241:242], v[236:237], v[234:235]
	v_fma_f64 v[230:231], -v[230:231], v[241:242], v[236:237]
	s_delay_alu instid0(VALU_DEP_1) | instskip(SKIP_1) | instid1(VALU_DEP_2)
	v_div_fmas_f64 v[230:231], v[230:231], v[234:235], v[241:242]
	v_dual_mov_b32 v242, v165 :: v_dual_mov_b32 v241, v164
	v_div_fixup_f64 v[234:235], v[230:231], v[228:229], 1.0
                                        ; implicit-def: $vgpr228_vgpr229
	s_delay_alu instid0(VALU_DEP_1)
	v_mul_f64 v[236:237], v[232:233], v[234:235]
	v_xor_b32_e32 v235, 0x80000000, v235
.LBB81_356:
	s_and_not1_saveexec_b32 s3, s3
	s_cbranch_execz .LBB81_358
; %bb.357:
	v_div_scale_f64 v[232:233], null, v[228:229], v[228:229], v[230:231]
	v_dual_mov_b32 v164, v241 :: v_dual_mov_b32 v165, v242
	v_div_scale_f64 v[241:242], vcc_lo, v[230:231], v[228:229], v[230:231]
	s_delay_alu instid0(VALU_DEP_3) | instskip(SKIP_2) | instid1(VALU_DEP_1)
	v_rcp_f64_e32 v[234:235], v[232:233]
	s_waitcnt_depctr 0xfff
	v_fma_f64 v[236:237], -v[232:233], v[234:235], 1.0
	v_fma_f64 v[234:235], v[234:235], v[236:237], v[234:235]
	s_delay_alu instid0(VALU_DEP_1) | instskip(NEXT) | instid1(VALU_DEP_1)
	v_fma_f64 v[236:237], -v[232:233], v[234:235], 1.0
	v_fma_f64 v[234:235], v[234:235], v[236:237], v[234:235]
	s_delay_alu instid0(VALU_DEP_1) | instskip(NEXT) | instid1(VALU_DEP_1)
	v_mul_f64 v[236:237], v[241:242], v[234:235]
	v_fma_f64 v[232:233], -v[232:233], v[236:237], v[241:242]
	s_delay_alu instid0(VALU_DEP_1) | instskip(NEXT) | instid1(VALU_DEP_1)
	v_div_fmas_f64 v[232:233], v[232:233], v[234:235], v[236:237]
	v_div_fixup_f64 v[232:233], v[232:233], v[228:229], v[230:231]
	s_delay_alu instid0(VALU_DEP_1) | instskip(NEXT) | instid1(VALU_DEP_1)
	v_fma_f64 v[228:229], v[230:231], v[232:233], v[228:229]
	v_div_scale_f64 v[230:231], null, v[228:229], v[228:229], 1.0
	s_delay_alu instid0(VALU_DEP_1) | instskip(SKIP_2) | instid1(VALU_DEP_1)
	v_rcp_f64_e32 v[234:235], v[230:231]
	s_waitcnt_depctr 0xfff
	v_fma_f64 v[236:237], -v[230:231], v[234:235], 1.0
	v_fma_f64 v[234:235], v[234:235], v[236:237], v[234:235]
	s_delay_alu instid0(VALU_DEP_1) | instskip(NEXT) | instid1(VALU_DEP_1)
	v_fma_f64 v[236:237], -v[230:231], v[234:235], 1.0
	v_fma_f64 v[234:235], v[234:235], v[236:237], v[234:235]
	v_div_scale_f64 v[236:237], vcc_lo, 1.0, v[228:229], 1.0
	s_delay_alu instid0(VALU_DEP_1) | instskip(NEXT) | instid1(VALU_DEP_1)
	v_mul_f64 v[241:242], v[236:237], v[234:235]
	v_fma_f64 v[230:231], -v[230:231], v[241:242], v[236:237]
	s_delay_alu instid0(VALU_DEP_1) | instskip(SKIP_1) | instid1(VALU_DEP_2)
	v_div_fmas_f64 v[230:231], v[230:231], v[234:235], v[241:242]
	v_dual_mov_b32 v242, v165 :: v_dual_mov_b32 v241, v164
	v_div_fixup_f64 v[236:237], v[230:231], v[228:229], 1.0
	s_delay_alu instid0(VALU_DEP_1)
	v_mul_f64 v[234:235], v[232:233], -v[236:237]
.LBB81_358:
	s_or_b32 exec_lo, exec_lo, s3
	ds_store_2addr_b64 v239, v[236:237], v[234:235] offset1:1
.LBB81_359:
	s_or_b32 exec_lo, exec_lo, s4
	s_waitcnt lgkmcnt(0)
	s_barrier
	buffer_gl0_inv
	ds_load_2addr_b64 v[228:231], v239 offset1:1
	s_mov_b32 s3, exec_lo
	v_cmpx_lt_u32_e32 39, v238
	s_cbranch_execz .LBB81_361
; %bb.360:
	s_waitcnt lgkmcnt(0)
	v_mul_f64 v[232:233], v[228:229], v[6:7]
	v_mul_f64 v[6:7], v[230:231], v[6:7]
	s_delay_alu instid0(VALU_DEP_2) | instskip(SKIP_4) | instid1(VALU_DEP_1)
	v_fma_f64 v[236:237], v[230:231], v[4:5], v[232:233]
	ds_load_2addr_b64 v[232:235], v240 offset0:80 offset1:81
	v_fma_f64 v[4:5], v[228:229], v[4:5], -v[6:7]
	s_waitcnt lgkmcnt(0)
	v_mul_f64 v[6:7], v[234:235], v[236:237]
	v_fma_f64 v[6:7], v[232:233], v[4:5], -v[6:7]
	v_mul_f64 v[232:233], v[232:233], v[236:237]
	s_delay_alu instid0(VALU_DEP_2) | instskip(NEXT) | instid1(VALU_DEP_2)
	v_add_f64 v[0:1], v[0:1], -v[6:7]
	v_fma_f64 v[232:233], v[234:235], v[4:5], v[232:233]
	v_dual_mov_b32 v6, v236 :: v_dual_mov_b32 v7, v237
	s_delay_alu instid0(VALU_DEP_2)
	v_add_f64 v[2:3], v[2:3], -v[232:233]
.LBB81_361:
	s_or_b32 exec_lo, exec_lo, s3
	s_delay_alu instid0(SALU_CYCLE_1)
	s_mov_b32 s4, exec_lo
	s_waitcnt lgkmcnt(0)
	s_barrier
	buffer_gl0_inv
	v_cmpx_eq_u32_e32 40, v238
	s_cbranch_execz .LBB81_368
; %bb.362:
	v_cmp_neq_f64_e32 vcc_lo, 0, v[0:1]
	v_cmp_neq_f64_e64 s3, 0, v[2:3]
	ds_store_2addr_b64 v239, v[0:1], v[2:3] offset1:1
	s_or_b32 s3, vcc_lo, s3
	s_delay_alu instid0(SALU_CYCLE_1)
	s_and_b32 exec_lo, exec_lo, s3
	s_cbranch_execz .LBB81_368
; %bb.363:
	v_cmp_gt_f64_e32 vcc_lo, 0, v[0:1]
	v_xor_b32_e32 v232, 0x80000000, v1
	v_xor_b32_e32 v234, 0x80000000, v3
	s_mov_b32 s3, exec_lo
                                        ; implicit-def: $vgpr236_vgpr237
	s_delay_alu instid0(VALU_DEP_2) | instskip(SKIP_4) | instid1(VALU_DEP_1)
	v_cndmask_b32_e32 v233, v1, v232, vcc_lo
	v_cndmask_b32_e32 v232, v0, v0, vcc_lo
	v_cmp_gt_f64_e32 vcc_lo, 0, v[2:3]
	v_cndmask_b32_e32 v235, v3, v234, vcc_lo
	v_cndmask_b32_e32 v234, v2, v2, vcc_lo
	v_cmpx_ngt_f64_e32 v[232:233], v[234:235]
	s_xor_b32 s3, exec_lo, s3
                                        ; implicit-def: $vgpr232_vgpr233_vgpr234_vgpr235
	s_cbranch_execz .LBB81_365
; %bb.364:
	v_div_scale_f64 v[232:233], null, v[2:3], v[2:3], v[0:1]
	v_dual_mov_b32 v166, v241 :: v_dual_mov_b32 v167, v242
	v_div_scale_f64 v[240:241], vcc_lo, v[0:1], v[2:3], v[0:1]
	v_dual_mov_b32 v164, v253 :: v_dual_mov_b32 v165, v254
	v_dual_mov_b32 v255, v252 :: v_dual_mov_b32 v254, v251
	;; [unrolled: 1-line block ×6, first 2 shown]
	v_rcp_f64_e32 v[234:235], v[232:233]
	s_waitcnt_depctr 0xfff
	v_fma_f64 v[236:237], -v[232:233], v[234:235], 1.0
	s_delay_alu instid0(VALU_DEP_1) | instskip(NEXT) | instid1(VALU_DEP_1)
	v_fma_f64 v[234:235], v[234:235], v[236:237], v[234:235]
	v_fma_f64 v[236:237], -v[232:233], v[234:235], 1.0
	s_delay_alu instid0(VALU_DEP_1) | instskip(NEXT) | instid1(VALU_DEP_1)
	v_fma_f64 v[234:235], v[234:235], v[236:237], v[234:235]
	v_mul_f64 v[236:237], v[240:241], v[234:235]
	s_delay_alu instid0(VALU_DEP_1) | instskip(NEXT) | instid1(VALU_DEP_1)
	v_fma_f64 v[232:233], -v[232:233], v[236:237], v[240:241]
	v_div_fmas_f64 v[232:233], v[232:233], v[234:235], v[236:237]
	s_delay_alu instid0(VALU_DEP_1) | instskip(NEXT) | instid1(VALU_DEP_1)
	v_div_fixup_f64 v[232:233], v[232:233], v[2:3], v[0:1]
	v_fma_f64 v[234:235], v[0:1], v[232:233], v[2:3]
	s_delay_alu instid0(VALU_DEP_1) | instskip(NEXT) | instid1(VALU_DEP_1)
	v_div_scale_f64 v[236:237], null, v[234:235], v[234:235], 1.0
	v_rcp_f64_e32 v[240:241], v[236:237]
	s_waitcnt_depctr 0xfff
	v_fma_f64 v[242:243], -v[236:237], v[240:241], 1.0
	s_delay_alu instid0(VALU_DEP_1) | instskip(NEXT) | instid1(VALU_DEP_1)
	v_fma_f64 v[240:241], v[240:241], v[242:243], v[240:241]
	v_fma_f64 v[242:243], -v[236:237], v[240:241], 1.0
	s_delay_alu instid0(VALU_DEP_1) | instskip(SKIP_1) | instid1(VALU_DEP_1)
	v_fma_f64 v[240:241], v[240:241], v[242:243], v[240:241]
	v_div_scale_f64 v[242:243], vcc_lo, 1.0, v[234:235], 1.0
	v_mul_f64 v[244:245], v[242:243], v[240:241]
	s_delay_alu instid0(VALU_DEP_1) | instskip(NEXT) | instid1(VALU_DEP_1)
	v_fma_f64 v[236:237], -v[236:237], v[244:245], v[242:243]
	v_div_fmas_f64 v[236:237], v[236:237], v[240:241], v[244:245]
	v_dual_mov_b32 v242, v167 :: v_dual_mov_b32 v241, v166
	v_dual_mov_b32 v243, v246 :: v_dual_mov_b32 v244, v247
	;; [unrolled: 1-line block ×7, first 2 shown]
	v_div_fixup_f64 v[234:235], v[236:237], v[234:235], 1.0
	s_delay_alu instid0(VALU_DEP_1)
	v_mul_f64 v[236:237], v[232:233], v[234:235]
	v_xor_b32_e32 v235, 0x80000000, v235
.LBB81_365:
	s_and_not1_saveexec_b32 s3, s3
	s_cbranch_execz .LBB81_367
; %bb.366:
	v_div_scale_f64 v[232:233], null, v[0:1], v[0:1], v[2:3]
	v_dual_mov_b32 v166, v241 :: v_dual_mov_b32 v167, v242
	v_div_scale_f64 v[240:241], vcc_lo, v[2:3], v[0:1], v[2:3]
	v_dual_mov_b32 v164, v253 :: v_dual_mov_b32 v165, v254
	v_dual_mov_b32 v255, v252 :: v_dual_mov_b32 v254, v251
	;; [unrolled: 1-line block ×6, first 2 shown]
	v_rcp_f64_e32 v[234:235], v[232:233]
	s_waitcnt_depctr 0xfff
	v_fma_f64 v[236:237], -v[232:233], v[234:235], 1.0
	s_delay_alu instid0(VALU_DEP_1) | instskip(NEXT) | instid1(VALU_DEP_1)
	v_fma_f64 v[234:235], v[234:235], v[236:237], v[234:235]
	v_fma_f64 v[236:237], -v[232:233], v[234:235], 1.0
	s_delay_alu instid0(VALU_DEP_1) | instskip(NEXT) | instid1(VALU_DEP_1)
	v_fma_f64 v[234:235], v[234:235], v[236:237], v[234:235]
	v_mul_f64 v[236:237], v[240:241], v[234:235]
	s_delay_alu instid0(VALU_DEP_1) | instskip(NEXT) | instid1(VALU_DEP_1)
	v_fma_f64 v[232:233], -v[232:233], v[236:237], v[240:241]
	v_div_fmas_f64 v[232:233], v[232:233], v[234:235], v[236:237]
	s_delay_alu instid0(VALU_DEP_1) | instskip(NEXT) | instid1(VALU_DEP_1)
	v_div_fixup_f64 v[232:233], v[232:233], v[0:1], v[2:3]
	v_fma_f64 v[234:235], v[2:3], v[232:233], v[0:1]
	s_delay_alu instid0(VALU_DEP_1) | instskip(NEXT) | instid1(VALU_DEP_1)
	v_div_scale_f64 v[236:237], null, v[234:235], v[234:235], 1.0
	v_rcp_f64_e32 v[240:241], v[236:237]
	s_waitcnt_depctr 0xfff
	v_fma_f64 v[242:243], -v[236:237], v[240:241], 1.0
	s_delay_alu instid0(VALU_DEP_1) | instskip(NEXT) | instid1(VALU_DEP_1)
	v_fma_f64 v[240:241], v[240:241], v[242:243], v[240:241]
	v_fma_f64 v[242:243], -v[236:237], v[240:241], 1.0
	s_delay_alu instid0(VALU_DEP_1) | instskip(SKIP_1) | instid1(VALU_DEP_1)
	v_fma_f64 v[240:241], v[240:241], v[242:243], v[240:241]
	v_div_scale_f64 v[242:243], vcc_lo, 1.0, v[234:235], 1.0
	v_mul_f64 v[244:245], v[242:243], v[240:241]
	s_delay_alu instid0(VALU_DEP_1) | instskip(NEXT) | instid1(VALU_DEP_1)
	v_fma_f64 v[236:237], -v[236:237], v[244:245], v[242:243]
	v_div_fmas_f64 v[236:237], v[236:237], v[240:241], v[244:245]
	v_dual_mov_b32 v242, v167 :: v_dual_mov_b32 v241, v166
	v_dual_mov_b32 v243, v246 :: v_dual_mov_b32 v244, v247
	;; [unrolled: 1-line block ×7, first 2 shown]
	v_div_fixup_f64 v[236:237], v[236:237], v[234:235], 1.0
	s_delay_alu instid0(VALU_DEP_1)
	v_mul_f64 v[234:235], v[232:233], -v[236:237]
.LBB81_367:
	s_or_b32 exec_lo, exec_lo, s3
	ds_store_2addr_b64 v239, v[236:237], v[234:235] offset1:1
.LBB81_368:
	s_or_b32 exec_lo, exec_lo, s4
	s_waitcnt lgkmcnt(0)
	s_barrier
	buffer_gl0_inv
	ds_load_2addr_b64 v[232:235], v239 offset1:1
	s_mov_b32 s3, exec_lo
	v_cmpx_lt_u32_e32 40, v238
	s_cbranch_execz .LBB81_370
; %bb.369:
	s_waitcnt lgkmcnt(0)
	v_mul_f64 v[236:237], v[234:235], v[2:3]
	v_mul_f64 v[2:3], v[232:233], v[2:3]
	s_delay_alu instid0(VALU_DEP_2) | instskip(NEXT) | instid1(VALU_DEP_2)
	v_fma_f64 v[236:237], v[232:233], v[0:1], -v[236:237]
	v_fma_f64 v[2:3], v[234:235], v[0:1], v[2:3]
	s_delay_alu instid0(VALU_DEP_2)
	v_dual_mov_b32 v0, v236 :: v_dual_mov_b32 v1, v237
.LBB81_370:
	s_or_b32 exec_lo, exec_lo, s3
	s_waitcnt lgkmcnt(0)
	s_barrier
	buffer_gl0_inv
	s_and_saveexec_b32 s12, s2
	s_cbranch_execz .LBB81_373
; %bb.371:
	scratch_load_b128 v[164:167], off, off offset:280 ; 16-byte Folded Reload
	s_load_b64 s[14:15], s[0:1], 0x28
	s_waitcnt vmcnt(0)
	v_cmp_eq_f64_e32 vcc_lo, 0, v[164:165]
	v_cmp_eq_f64_e64 s2, 0, v[166:167]
	scratch_load_b128 v[164:167], off, off offset:296 ; 16-byte Folded Reload
	s_and_b32 s2, vcc_lo, s2
	s_delay_alu instid0(SALU_CYCLE_1)
	v_cndmask_b32_e64 v236, 0, 1, s2
	s_waitcnt vmcnt(0)
	v_cmp_neq_f64_e64 s3, 0, v[164:165]
	v_cmp_neq_f64_e64 s4, 0, v[166:167]
	scratch_load_b128 v[164:167], off, off offset:312 ; 16-byte Folded Reload
	s_or_b32 s3, s3, s4
	s_delay_alu instid0(SALU_CYCLE_1) | instskip(SKIP_1) | instid1(VALU_DEP_1)
	s_or_b32 vcc_lo, s3, s2
	v_cndmask_b32_e32 v236, 2, v236, vcc_lo
	v_cmp_eq_u32_e64 s3, 0, v236
	s_waitcnt vmcnt(0)
	v_cmp_eq_f64_e64 s5, 0, v[164:165]
	v_cmp_eq_f64_e64 s6, 0, v[166:167]
	scratch_load_b128 v[164:167], off, off offset:328 ; 16-byte Folded Reload
	s_and_b32 s4, s5, s6
	s_delay_alu instid0(SALU_CYCLE_1) | instskip(NEXT) | instid1(SALU_CYCLE_1)
	s_and_b32 s3, s4, s3
	v_cndmask_b32_e64 v236, v236, 3, s3
	s_delay_alu instid0(VALU_DEP_1)
	v_cmp_eq_u32_e64 s5, 0, v236
	s_waitcnt vmcnt(0)
	v_cmp_eq_f64_e64 s7, 0, v[164:165]
	v_cmp_eq_f64_e64 s8, 0, v[166:167]
	scratch_load_b128 v[164:167], off, off offset:344 ; 16-byte Folded Reload
	s_and_b32 s6, s7, s8
	s_delay_alu instid0(SALU_CYCLE_1) | instskip(NEXT) | instid1(SALU_CYCLE_1)
	s_and_b32 s5, s6, s5
	v_cndmask_b32_e64 v236, v236, 4, s5
	s_delay_alu instid0(VALU_DEP_1)
	;; [unrolled: 10-line block ×3, first 2 shown]
	v_cmp_eq_u32_e64 s9, 0, v236
	s_waitcnt vmcnt(0)
	v_cmp_eq_f64_e32 vcc_lo, 0, v[164:165]
	v_cmp_eq_f64_e64 s2, 0, v[166:167]
	scratch_load_b128 v[164:167], off, off offset:376 ; 16-byte Folded Reload
	s_and_b32 s2, vcc_lo, s2
	s_delay_alu instid0(SALU_CYCLE_1) | instskip(NEXT) | instid1(SALU_CYCLE_1)
	s_and_b32 s2, s2, s9
	v_cndmask_b32_e64 v236, v236, 6, s2
	s_delay_alu instid0(VALU_DEP_1)
	v_cmp_eq_u32_e64 s9, 0, v236
	s_waitcnt vmcnt(0)
	v_cmp_eq_f64_e64 s3, 0, v[164:165]
	v_cmp_eq_f64_e64 s4, 0, v[166:167]
	scratch_load_b128 v[164:167], off, off offset:392 ; 16-byte Folded Reload
	s_and_b32 s3, s3, s4
	s_delay_alu instid0(SALU_CYCLE_1) | instskip(NEXT) | instid1(SALU_CYCLE_1)
	s_and_b32 s3, s3, s9
	v_cndmask_b32_e64 v236, v236, 7, s3
	s_delay_alu instid0(VALU_DEP_1)
	v_cmp_eq_u32_e64 s9, 0, v236
	s_waitcnt vmcnt(0)
	v_cmp_eq_f64_e64 s5, 0, v[164:165]
	v_cmp_eq_f64_e64 s6, 0, v[166:167]
	scratch_load_b128 v[164:167], off, off offset:408 ; 16-byte Folded Reload
	s_and_b32 s6, s5, s6
	;; [unrolled: 10-line block ×3, first 2 shown]
	s_delay_alu instid0(SALU_CYCLE_1) | instskip(NEXT) | instid1(SALU_CYCLE_1)
	s_and_b32 s6, s7, s6
	v_cndmask_b32_e64 v236, v236, 9, s6
	s_delay_alu instid0(VALU_DEP_1)
	v_cmp_eq_u32_e64 s8, 0, v236
	s_waitcnt vmcnt(0)
	v_cmp_eq_f64_e32 vcc_lo, 0, v[164:165]
	v_cmp_eq_f64_e64 s2, 0, v[166:167]
	scratch_load_b128 v[164:167], off, off offset:440 ; 16-byte Folded Reload
	s_and_b32 s2, vcc_lo, s2
	s_delay_alu instid0(SALU_CYCLE_1) | instskip(NEXT) | instid1(SALU_CYCLE_1)
	s_and_b32 s0, s2, s8
	v_cndmask_b32_e64 v236, v236, 10, s0
	s_delay_alu instid0(VALU_DEP_1)
	v_cmp_eq_u32_e64 s1, 0, v236
	s_waitcnt vmcnt(0)
	v_cmp_eq_f64_e64 s3, 0, v[164:165]
	v_cmp_eq_f64_e64 s4, 0, v[166:167]
	scratch_load_b128 v[164:167], off, off offset:456 ; 16-byte Folded Reload
	s_and_b32 s2, s3, s4
	s_delay_alu instid0(SALU_CYCLE_1) | instskip(NEXT) | instid1(SALU_CYCLE_1)
	s_and_b32 s1, s2, s1
	v_cndmask_b32_e64 v238, v236, 11, s1
	v_lshlrev_b64 v[236:237], 2, v[245:246]
	s_delay_alu instid0(VALU_DEP_2) | instskip(SKIP_1) | instid1(VALU_DEP_2)
	v_cmp_eq_u32_e64 s3, 0, v238
	s_waitcnt lgkmcnt(0)
	v_add_co_u32 v236, s4, s14, v236
	s_delay_alu instid0(VALU_DEP_1)
	v_add_co_ci_u32_e64 v237, s4, s15, v237, s4
	s_waitcnt vmcnt(0)
	v_cmp_eq_f64_e64 s10, 0, v[164:165]
	v_cmp_eq_f64_e64 s5, 0, v[166:167]
	scratch_load_b128 v[164:167], off, off offset:472 ; 16-byte Folded Reload
	s_and_b32 s5, s10, s5
	s_delay_alu instid0(SALU_CYCLE_1) | instskip(NEXT) | instid1(SALU_CYCLE_1)
	s_and_b32 s3, s5, s3
	v_cndmask_b32_e64 v239, v238, 12, s3
	global_load_b32 v238, v[236:237], off
	v_cmp_eq_u32_e64 s5, 0, v239
	s_waitcnt vmcnt(1)
	v_cmp_eq_f64_e64 s6, 0, v[164:165]
	v_cmp_eq_f64_e64 s7, 0, v[166:167]
	scratch_load_b128 v[164:167], off, off offset:488 ; 16-byte Folded Reload
	s_and_b32 s6, s6, s7
	s_delay_alu instid0(SALU_CYCLE_1) | instskip(NEXT) | instid1(SALU_CYCLE_1)
	s_and_b32 s5, s6, s5
	v_cndmask_b32_e64 v239, v239, 13, s5
	s_delay_alu instid0(VALU_DEP_1)
	v_cmp_eq_u32_e64 s7, 0, v239
	s_waitcnt vmcnt(0)
	v_cmp_eq_f64_e32 vcc_lo, 0, v[164:165]
	v_cmp_eq_f64_e64 s0, 0, v[166:167]
	scratch_load_b128 v[164:167], off, off offset:504 ; 16-byte Folded Reload
	s_and_b32 s0, vcc_lo, s0
	s_delay_alu instid0(SALU_CYCLE_1) | instskip(NEXT) | instid1(SALU_CYCLE_1)
	s_and_b32 s0, s0, s7
	v_cndmask_b32_e64 v239, v239, 14, s0
	s_delay_alu instid0(VALU_DEP_1)
	v_cmp_eq_u32_e64 s7, 0, v239
	s_waitcnt vmcnt(0)
	v_cmp_eq_f64_e64 s1, 0, v[164:165]
	v_cmp_eq_f64_e64 s2, 0, v[166:167]
	scratch_load_b128 v[164:167], off, off offset:520 ; 16-byte Folded Reload
	s_and_b32 s1, s1, s2
	s_delay_alu instid0(SALU_CYCLE_1) | instskip(NEXT) | instid1(SALU_CYCLE_1)
	s_and_b32 s1, s1, s7
	v_cndmask_b32_e64 v239, v239, 15, s1
	s_delay_alu instid0(VALU_DEP_1)
	v_cmp_eq_u32_e64 s7, 0, v239
	s_waitcnt vmcnt(0)
	v_cmp_eq_f64_e64 s3, 0, v[164:165]
	v_cmp_eq_f64_e64 s4, 0, v[166:167]
	scratch_load_b128 v[164:167], off, off offset:536 ; 16-byte Folded Reload
	s_and_b32 s3, s3, s4
	;; [unrolled: 10-line block ×3, first 2 shown]
	s_delay_alu instid0(SALU_CYCLE_1) | instskip(NEXT) | instid1(SALU_CYCLE_1)
	s_and_b32 s5, s5, s7
	v_cndmask_b32_e64 v239, v239, 17, s5
	s_delay_alu instid0(VALU_DEP_1)
	v_cmp_eq_u32_e64 s7, 0, v239
	s_waitcnt vmcnt(0)
	v_cmp_eq_f64_e32 vcc_lo, 0, v[164:165]
	v_cmp_eq_f64_e64 s0, 0, v[166:167]
	scratch_load_b128 v[164:167], off, off offset:568 ; 16-byte Folded Reload
	s_and_b32 s0, vcc_lo, s0
	s_delay_alu instid0(SALU_CYCLE_1) | instskip(NEXT) | instid1(SALU_CYCLE_1)
	s_and_b32 s0, s0, s7
	v_cndmask_b32_e64 v239, v239, 18, s0
	s_delay_alu instid0(VALU_DEP_1)
	v_cmp_eq_u32_e32 vcc_lo, 0, v239
	s_waitcnt vmcnt(0)
	v_cmp_eq_f64_e64 s1, 0, v[164:165]
	v_cmp_eq_f64_e64 s2, 0, v[166:167]
	scratch_load_b128 v[164:167], off, off offset:584 ; 16-byte Folded Reload
	s_and_b32 s0, s1, s2
	s_delay_alu instid0(SALU_CYCLE_1) | instskip(NEXT) | instid1(SALU_CYCLE_1)
	s_and_b32 s0, s0, vcc_lo
	v_cndmask_b32_e64 v239, v239, 19, s0
	s_delay_alu instid0(VALU_DEP_1)
	v_cmp_eq_u32_e32 vcc_lo, 0, v239
	s_waitcnt vmcnt(0)
	v_cmp_eq_f64_e64 s3, 0, v[164:165]
	v_cmp_eq_f64_e64 s4, 0, v[166:167]
	scratch_load_b128 v[164:167], off, off offset:600 ; 16-byte Folded Reload
	s_and_b32 s0, s3, s4
	s_delay_alu instid0(SALU_CYCLE_1) | instskip(NEXT) | instid1(SALU_CYCLE_1)
	s_and_b32 s0, s0, vcc_lo
	v_cndmask_b32_e64 v239, v239, 20, s0
	s_delay_alu instid0(VALU_DEP_1)
	v_cmp_eq_u32_e64 s3, 0, v239
	s_waitcnt vmcnt(0)
	v_cmp_eq_f64_e64 s5, 0, v[164:165]
	v_cmp_eq_f64_e64 s6, 0, v[166:167]
	scratch_load_b128 v[164:167], off, off offset:616 ; 16-byte Folded Reload
	s_and_b32 s4, s5, s6
	s_delay_alu instid0(SALU_CYCLE_1)
	s_and_b32 s3, s4, s3
	v_cmp_eq_f64_e64 s4, 0, v[170:171]
	s_waitcnt vmcnt(0)
	v_cmp_eq_f64_e64 s7, 0, v[164:165]
	v_cmp_eq_f64_e64 s8, 0, v[166:167]
	scratch_load_b128 v[164:167], off, off offset:632 ; 16-byte Folded Reload
	s_and_b32 s6, s7, s8
	s_waitcnt vmcnt(0)
	v_cmp_eq_f64_e64 s1, 0, v[164:165]
	v_cmp_eq_f64_e64 s2, 0, v[166:167]
	scratch_load_b128 v[164:167], off, off offset:648 ; 16-byte Folded Reload
	s_and_b32 s1, s1, s2
	v_cmp_eq_f64_e64 s2, 0, v[178:179]
	s_waitcnt vmcnt(0)
	v_cmp_eq_f64_e32 vcc_lo, 0, v[164:165]
	v_cmp_eq_f64_e64 s0, 0, v[166:167]
	v_cndmask_b32_e64 v164, v239, 21, s3
	v_cmp_eq_f64_e64 s3, 0, v[168:169]
	s_delay_alu instid0(VALU_DEP_2) | instskip(NEXT) | instid1(VALU_DEP_1)
	v_cmp_eq_u32_e64 s5, 0, v164
	s_and_b32 s5, s6, s5
	v_cmp_eq_f64_e64 s6, 0, v[174:175]
	v_cndmask_b32_e64 v164, v164, 22, s5
	v_cmp_eq_f64_e64 s5, 0, v[172:173]
	s_delay_alu instid0(VALU_DEP_2) | instskip(NEXT) | instid1(VALU_DEP_1)
	v_cmp_eq_u32_e64 s7, 0, v164
	s_and_b32 s1, s1, s7
	s_delay_alu instid0(SALU_CYCLE_1) | instskip(SKIP_1) | instid1(VALU_DEP_2)
	v_cndmask_b32_e64 v164, v164, 23, s1
	v_cmp_eq_f64_e64 s1, 0, v[176:177]
	v_cmp_eq_u32_e64 s7, 0, v164
	s_and_b32 s0, vcc_lo, s0
	v_cmp_eq_f64_e32 vcc_lo, 0, v[180:181]
	s_delay_alu instid0(VALU_DEP_2) | instskip(SKIP_4) | instid1(VALU_DEP_3)
	s_and_b32 s0, s0, s7
	s_and_b32 s3, s3, s4
	v_cndmask_b32_e64 v164, v164, 24, s0
	v_cmp_eq_f64_e64 s0, 0, v[182:183]
	v_cmp_eq_f64_e64 s4, 0, v[186:187]
	v_cmp_eq_u32_e64 s7, 0, v164
	s_delay_alu instid0(VALU_DEP_1) | instskip(SKIP_4) | instid1(VALU_DEP_3)
	s_and_b32 s3, s3, s7
	s_and_b32 s5, s5, s6
	v_cndmask_b32_e64 v164, v164, 25, s3
	v_cmp_eq_f64_e64 s3, 0, v[184:185]
	v_cmp_eq_f64_e64 s6, 0, v[190:191]
	v_cmp_eq_u32_e64 s7, 0, v164
	s_delay_alu instid0(VALU_DEP_1) | instskip(SKIP_4) | instid1(VALU_DEP_3)
	s_and_b32 s5, s5, s7
	s_and_b32 s1, s1, s2
	v_cndmask_b32_e64 v164, v164, 26, s5
	v_cmp_eq_f64_e64 s5, 0, v[188:189]
	v_cmp_eq_f64_e64 s2, 0, v[194:195]
	v_cmp_eq_u32_e64 s7, 0, v164
	s_delay_alu instid0(VALU_DEP_1) | instskip(NEXT) | instid1(SALU_CYCLE_1)
	s_and_b32 s1, s1, s7
	v_cndmask_b32_e64 v164, v164, 27, s1
	v_cmp_eq_f64_e64 s1, 0, v[192:193]
	s_and_b32 s0, vcc_lo, s0
	v_cmp_eq_f64_e32 vcc_lo, 0, v[196:197]
	s_delay_alu instid0(VALU_DEP_3) | instskip(NEXT) | instid1(VALU_DEP_1)
	v_cmp_eq_u32_e64 s7, 0, v164
	s_and_b32 s0, s0, s7
	s_delay_alu instid0(SALU_CYCLE_1) | instskip(SKIP_3) | instid1(VALU_DEP_3)
	v_cndmask_b32_e64 v164, v164, 28, s0
	v_cmp_eq_f64_e64 s0, 0, v[198:199]
	s_and_b32 s3, s3, s4
	v_cmp_eq_f64_e64 s4, 0, v[202:203]
	v_cmp_eq_u32_e64 s7, 0, v164
	s_delay_alu instid0(VALU_DEP_1) | instskip(NEXT) | instid1(SALU_CYCLE_1)
	s_and_b32 s3, s3, s7
	v_cndmask_b32_e64 v164, v164, 29, s3
	v_cmp_eq_f64_e64 s3, 0, v[200:201]
	s_and_b32 s5, s5, s6
	v_cmp_eq_f64_e64 s6, 0, v[206:207]
	s_delay_alu instid0(VALU_DEP_3) | instskip(NEXT) | instid1(VALU_DEP_1)
	v_cmp_eq_u32_e64 s7, 0, v164
	s_and_b32 s5, s5, s7
	s_delay_alu instid0(SALU_CYCLE_1) | instskip(SKIP_3) | instid1(VALU_DEP_3)
	v_cndmask_b32_e64 v164, v164, 30, s5
	v_cmp_eq_f64_e64 s5, 0, v[204:205]
	s_and_b32 s1, s1, s2
	v_cmp_eq_f64_e64 s2, 0, v[210:211]
	v_cmp_eq_u32_e64 s7, 0, v164
	s_delay_alu instid0(VALU_DEP_1) | instskip(NEXT) | instid1(SALU_CYCLE_1)
	s_and_b32 s1, s1, s7
	v_cndmask_b32_e64 v164, v164, 31, s1
	v_cmp_eq_f64_e64 s1, 0, v[208:209]
	s_and_b32 s0, vcc_lo, s0
	v_cmp_eq_f64_e32 vcc_lo, 0, v[212:213]
	s_delay_alu instid0(VALU_DEP_3) | instskip(NEXT) | instid1(VALU_DEP_1)
	v_cmp_eq_u32_e64 s7, 0, v164
	s_and_b32 s0, s0, s7
	s_delay_alu instid0(SALU_CYCLE_1) | instskip(SKIP_3) | instid1(VALU_DEP_3)
	v_cndmask_b32_e64 v164, v164, 32, s0
	v_cmp_eq_f64_e64 s0, 0, v[214:215]
	s_and_b32 s3, s3, s4
	v_cmp_eq_f64_e64 s4, 0, v[218:219]
	v_cmp_eq_u32_e64 s7, 0, v164
	s_delay_alu instid0(VALU_DEP_1) | instskip(NEXT) | instid1(SALU_CYCLE_1)
	s_and_b32 s3, s3, s7
	v_cndmask_b32_e64 v164, v164, 33, s3
	v_cmp_eq_f64_e64 s3, 0, v[216:217]
	s_and_b32 s5, s5, s6
	v_cmp_eq_f64_e64 s6, 0, v[222:223]
	s_delay_alu instid0(VALU_DEP_3) | instskip(NEXT) | instid1(VALU_DEP_1)
	v_cmp_eq_u32_e64 s7, 0, v164
	s_and_b32 s5, s5, s7
	s_delay_alu instid0(SALU_CYCLE_1) | instskip(SKIP_3) | instid1(VALU_DEP_3)
	v_cndmask_b32_e64 v164, v164, 34, s5
	v_cmp_eq_f64_e64 s5, 0, v[220:221]
	s_and_b32 s1, s1, s2
	v_cmp_eq_f64_e64 s2, 0, v[226:227]
	v_cmp_eq_u32_e64 s7, 0, v164
	s_delay_alu instid0(VALU_DEP_1) | instskip(NEXT) | instid1(SALU_CYCLE_1)
	s_and_b32 s1, s1, s7
	v_cndmask_b32_e64 v164, v164, 35, s1
	v_cmp_eq_f64_e64 s1, 0, v[224:225]
	s_and_b32 s0, vcc_lo, s0
	v_cmp_eq_f64_e32 vcc_lo, 0, v[228:229]
	s_delay_alu instid0(VALU_DEP_3) | instskip(NEXT) | instid1(VALU_DEP_1)
	v_cmp_eq_u32_e64 s7, 0, v164
	s_and_b32 s0, s0, s7
	s_delay_alu instid0(SALU_CYCLE_1) | instskip(SKIP_3) | instid1(VALU_DEP_3)
	v_cndmask_b32_e64 v164, v164, 36, s0
	v_cmp_eq_f64_e64 s0, 0, v[230:231]
	s_and_b32 s3, s3, s4
	v_cmp_eq_f64_e64 s4, 0, v[234:235]
	v_cmp_eq_u32_e64 s7, 0, v164
	s_delay_alu instid0(VALU_DEP_1) | instskip(NEXT) | instid1(SALU_CYCLE_1)
	s_and_b32 s3, s3, s7
	v_cndmask_b32_e64 v164, v164, 37, s3
	v_cmp_eq_f64_e64 s3, 0, v[232:233]
	s_and_b32 s5, s5, s6
	s_delay_alu instid0(VALU_DEP_2) | instskip(NEXT) | instid1(VALU_DEP_1)
	v_cmp_eq_u32_e64 s7, 0, v164
	s_and_b32 s5, s5, s7
	s_delay_alu instid0(SALU_CYCLE_1) | instskip(SKIP_1) | instid1(VALU_DEP_1)
	v_cndmask_b32_e64 v164, v164, 38, s5
	s_and_b32 s1, s1, s2
	v_cmp_eq_u32_e64 s5, 0, v164
	s_delay_alu instid0(VALU_DEP_1) | instskip(NEXT) | instid1(SALU_CYCLE_1)
	s_and_b32 s1, s1, s5
	v_cndmask_b32_e64 v164, v164, 39, s1
	s_and_b32 s0, vcc_lo, s0
	s_delay_alu instid0(VALU_DEP_1) | instskip(NEXT) | instid1(VALU_DEP_1)
	v_cmp_eq_u32_e64 s1, 0, v164
	s_and_b32 s0, s0, s1
	s_delay_alu instid0(SALU_CYCLE_1) | instskip(SKIP_1) | instid1(VALU_DEP_1)
	v_cndmask_b32_e64 v164, v164, 40, s0
	s_and_b32 s0, s3, s4
	v_cmp_eq_u32_e32 vcc_lo, 0, v164
	s_and_b32 s0, s0, vcc_lo
	v_cmp_eq_u32_e32 vcc_lo, 0, v238
	v_cndmask_b32_e64 v164, v164, 41, s0
	s_delay_alu instid0(VALU_DEP_1) | instskip(NEXT) | instid1(VALU_DEP_1)
	v_cmp_ne_u32_e64 s0, 0, v164
	s_and_b32 s0, vcc_lo, s0
	s_delay_alu instid0(SALU_CYCLE_1)
	s_and_b32 exec_lo, exec_lo, s0
	s_cbranch_execz .LBB81_373
; %bb.372:
	v_add_nc_u32_e32 v164, s11, v164
	global_store_b32 v[236:237], v164, off
.LBB81_373:
	s_or_b32 exec_lo, exec_lo, s12
	scratch_load_b64 v[164:165], off, off offset:264 ; 8-byte Folded Reload
	s_waitcnt vmcnt(0)
	global_store_b128 v[164:165], v[160:163], off
	scratch_load_b64 v[160:161], off, off offset:272 ; 8-byte Folded Reload
	s_waitcnt vmcnt(0)
	global_store_b128 v[160:161], v[156:159], off
	scratch_load_b64 v[156:157], off, off offset:256 ; 8-byte Folded Reload
	s_waitcnt vmcnt(0)
	global_store_b128 v[156:157], v[152:155], off
	scratch_load_b64 v[152:153], off, off offset:248 ; 8-byte Folded Reload
	s_waitcnt vmcnt(0)
	global_store_b128 v[152:153], v[148:151], off
	scratch_load_b64 v[148:149], off, off offset:240 ; 8-byte Folded Reload
	s_waitcnt vmcnt(0)
	global_store_b128 v[148:149], v[144:147], off
	scratch_load_b64 v[144:145], off, off offset:232 ; 8-byte Folded Reload
	s_waitcnt vmcnt(0)
	global_store_b128 v[144:145], v[140:143], off
	scratch_load_b64 v[140:141], off, off offset:224 ; 8-byte Folded Reload
	s_waitcnt vmcnt(0)
	global_store_b128 v[140:141], v[136:139], off
	scratch_load_b64 v[136:137], off, off offset:216 ; 8-byte Folded Reload
	s_waitcnt vmcnt(0)
	global_store_b128 v[136:137], v[132:135], off
	scratch_load_b64 v[132:133], off, off offset:208 ; 8-byte Folded Reload
	s_waitcnt vmcnt(0)
	global_store_b128 v[132:133], v[128:131], off
	scratch_load_b64 v[128:129], off, off offset:200 ; 8-byte Folded Reload
	s_waitcnt vmcnt(0)
	global_store_b128 v[128:129], v[124:127], off
	scratch_load_b64 v[124:125], off, off offset:192 ; 8-byte Folded Reload
	s_waitcnt vmcnt(0)
	global_store_b128 v[124:125], v[120:123], off
	scratch_load_b64 v[120:121], off, off offset:184 ; 8-byte Folded Reload
	s_waitcnt vmcnt(0)
	global_store_b128 v[120:121], v[116:119], off
	scratch_load_b64 v[116:117], off, off offset:176 ; 8-byte Folded Reload
	s_waitcnt vmcnt(0)
	global_store_b128 v[116:117], v[112:115], off
	scratch_load_b64 v[112:113], off, off offset:168 ; 8-byte Folded Reload
	s_waitcnt vmcnt(0)
	global_store_b128 v[112:113], v[108:111], off
	scratch_load_b64 v[108:109], off, off offset:160 ; 8-byte Folded Reload
	s_waitcnt vmcnt(0)
	global_store_b128 v[108:109], v[104:107], off
	scratch_load_b64 v[104:105], off, off offset:152 ; 8-byte Folded Reload
	s_waitcnt vmcnt(0)
	global_store_b128 v[104:105], v[100:103], off
	scratch_load_b64 v[100:101], off, off offset:144 ; 8-byte Folded Reload
	s_waitcnt vmcnt(0)
	global_store_b128 v[100:101], v[96:99], off
	scratch_load_b64 v[96:97], off, off offset:136 ; 8-byte Folded Reload
	s_waitcnt vmcnt(0)
	global_store_b128 v[96:97], v[92:95], off
	scratch_load_b64 v[92:93], off, off offset:128 ; 8-byte Folded Reload
	s_waitcnt vmcnt(0)
	global_store_b128 v[92:93], v[88:91], off
	scratch_load_b64 v[88:89], off, off offset:120 ; 8-byte Folded Reload
	s_waitcnt vmcnt(0)
	global_store_b128 v[88:89], v[84:87], off
	scratch_load_b64 v[84:85], off, off offset:112 ; 8-byte Folded Reload
	s_waitcnt vmcnt(0)
	global_store_b128 v[84:85], v[80:83], off
	scratch_load_b64 v[80:81], off, off offset:104 ; 8-byte Folded Reload
	s_waitcnt vmcnt(0)
	global_store_b128 v[80:81], v[76:79], off
	scratch_load_b64 v[76:77], off, off offset:96 ; 8-byte Folded Reload
	s_waitcnt vmcnt(0)
	global_store_b128 v[76:77], v[72:75], off
	scratch_load_b64 v[72:73], off, off offset:88 ; 8-byte Folded Reload
	s_waitcnt vmcnt(0)
	global_store_b128 v[72:73], v[68:71], off
	scratch_load_b64 v[68:69], off, off offset:80 ; 8-byte Folded Reload
	s_waitcnt vmcnt(0)
	global_store_b128 v[68:69], v[64:67], off
	scratch_load_b64 v[64:65], off, off offset:72 ; 8-byte Folded Reload
	s_waitcnt vmcnt(0)
	global_store_b128 v[64:65], v[60:63], off
	scratch_load_b64 v[60:61], off, off offset:64 ; 8-byte Folded Reload
	s_waitcnt vmcnt(0)
	global_store_b128 v[60:61], v[56:59], off
	scratch_load_b64 v[56:57], off, off offset:56 ; 8-byte Folded Reload
	s_waitcnt vmcnt(0)
	global_store_b128 v[56:57], v[52:55], off
	scratch_load_b64 v[52:53], off, off offset:48 ; 8-byte Folded Reload
	s_waitcnt vmcnt(0)
	global_store_b128 v[52:53], v[48:51], off
	scratch_load_b64 v[48:49], off, off offset:40 ; 8-byte Folded Reload
	s_waitcnt vmcnt(0)
	global_store_b128 v[48:49], v[44:47], off
	scratch_load_b64 v[44:45], off, off offset:32 ; 8-byte Folded Reload
	s_waitcnt vmcnt(0)
	global_store_b128 v[44:45], v[40:43], off
	scratch_load_b64 v[40:41], off, off offset:24 ; 8-byte Folded Reload
	s_waitcnt vmcnt(0)
	global_store_b128 v[40:41], v[36:39], off
	scratch_load_b64 v[36:37], off, off offset:16 ; 8-byte Folded Reload
	s_waitcnt vmcnt(0)
	global_store_b128 v[36:37], v[32:35], off
	scratch_load_b64 v[32:33], off, off offset:8 ; 8-byte Folded Reload
	s_waitcnt vmcnt(0)
	global_store_b128 v[32:33], v[28:31], off
	scratch_load_b64 v[28:29], off, off     ; 8-byte Folded Reload
	s_waitcnt vmcnt(0)
	s_clause 0x6
	global_store_b128 v[28:29], v[24:27], off
	global_store_b128 v[241:242], v[20:23], off
	global_store_b128 v[251:252], v[16:19], off
	global_store_b128 v[253:254], v[12:15], off
	global_store_b128 v[247:248], v[8:11], off
	global_store_b128 v[249:250], v[4:7], off
	global_store_b128 v[243:244], v[0:3], off
.LBB81_374:
	s_nop 0
	s_sendmsg sendmsg(MSG_DEALLOC_VGPRS)
	s_endpgm
	.section	.rodata,"a",@progbits
	.p2align	6, 0x0
	.amdhsa_kernel _ZN9rocsolver6v33100L23getf2_npvt_small_kernelILi41E19rocblas_complex_numIdEiiPKPS3_EEvT1_T3_lS7_lPT2_S7_S7_
		.amdhsa_group_segment_fixed_size 0
		.amdhsa_private_segment_fixed_size 668
		.amdhsa_kernarg_size 312
		.amdhsa_user_sgpr_count 14
		.amdhsa_user_sgpr_dispatch_ptr 0
		.amdhsa_user_sgpr_queue_ptr 0
		.amdhsa_user_sgpr_kernarg_segment_ptr 1
		.amdhsa_user_sgpr_dispatch_id 0
		.amdhsa_user_sgpr_private_segment_size 0
		.amdhsa_wavefront_size32 1
		.amdhsa_uses_dynamic_stack 0
		.amdhsa_enable_private_segment 1
		.amdhsa_system_sgpr_workgroup_id_x 1
		.amdhsa_system_sgpr_workgroup_id_y 1
		.amdhsa_system_sgpr_workgroup_id_z 0
		.amdhsa_system_sgpr_workgroup_info 0
		.amdhsa_system_vgpr_workitem_id 1
		.amdhsa_next_free_vgpr 256
		.amdhsa_next_free_sgpr 16
		.amdhsa_reserve_vcc 1
		.amdhsa_float_round_mode_32 0
		.amdhsa_float_round_mode_16_64 0
		.amdhsa_float_denorm_mode_32 3
		.amdhsa_float_denorm_mode_16_64 3
		.amdhsa_dx10_clamp 1
		.amdhsa_ieee_mode 1
		.amdhsa_fp16_overflow 0
		.amdhsa_workgroup_processor_mode 1
		.amdhsa_memory_ordered 1
		.amdhsa_forward_progress 0
		.amdhsa_shared_vgpr_count 0
		.amdhsa_exception_fp_ieee_invalid_op 0
		.amdhsa_exception_fp_denorm_src 0
		.amdhsa_exception_fp_ieee_div_zero 0
		.amdhsa_exception_fp_ieee_overflow 0
		.amdhsa_exception_fp_ieee_underflow 0
		.amdhsa_exception_fp_ieee_inexact 0
		.amdhsa_exception_int_div_zero 0
	.end_amdhsa_kernel
	.section	.text._ZN9rocsolver6v33100L23getf2_npvt_small_kernelILi41E19rocblas_complex_numIdEiiPKPS3_EEvT1_T3_lS7_lPT2_S7_S7_,"axG",@progbits,_ZN9rocsolver6v33100L23getf2_npvt_small_kernelILi41E19rocblas_complex_numIdEiiPKPS3_EEvT1_T3_lS7_lPT2_S7_S7_,comdat
.Lfunc_end81:
	.size	_ZN9rocsolver6v33100L23getf2_npvt_small_kernelILi41E19rocblas_complex_numIdEiiPKPS3_EEvT1_T3_lS7_lPT2_S7_S7_, .Lfunc_end81-_ZN9rocsolver6v33100L23getf2_npvt_small_kernelILi41E19rocblas_complex_numIdEiiPKPS3_EEvT1_T3_lS7_lPT2_S7_S7_
                                        ; -- End function
	.section	.AMDGPU.csdata,"",@progbits
; Kernel info:
; codeLenInByte = 97840
; NumSgprs: 18
; NumVgprs: 256
; ScratchSize: 668
; MemoryBound: 1
; FloatMode: 240
; IeeeMode: 1
; LDSByteSize: 0 bytes/workgroup (compile time only)
; SGPRBlocks: 2
; VGPRBlocks: 31
; NumSGPRsForWavesPerEU: 18
; NumVGPRsForWavesPerEU: 256
; Occupancy: 5
; WaveLimiterHint : 1
; COMPUTE_PGM_RSRC2:SCRATCH_EN: 1
; COMPUTE_PGM_RSRC2:USER_SGPR: 14
; COMPUTE_PGM_RSRC2:TRAP_HANDLER: 0
; COMPUTE_PGM_RSRC2:TGID_X_EN: 1
; COMPUTE_PGM_RSRC2:TGID_Y_EN: 1
; COMPUTE_PGM_RSRC2:TGID_Z_EN: 0
; COMPUTE_PGM_RSRC2:TIDIG_COMP_CNT: 1
	.section	.text._ZN9rocsolver6v33100L18getf2_small_kernelILi42E19rocblas_complex_numIdEiiPKPS3_EEvT1_T3_lS7_lPS7_llPT2_S7_S7_S9_l,"axG",@progbits,_ZN9rocsolver6v33100L18getf2_small_kernelILi42E19rocblas_complex_numIdEiiPKPS3_EEvT1_T3_lS7_lPS7_llPT2_S7_S7_S9_l,comdat
	.globl	_ZN9rocsolver6v33100L18getf2_small_kernelILi42E19rocblas_complex_numIdEiiPKPS3_EEvT1_T3_lS7_lPS7_llPT2_S7_S7_S9_l ; -- Begin function _ZN9rocsolver6v33100L18getf2_small_kernelILi42E19rocblas_complex_numIdEiiPKPS3_EEvT1_T3_lS7_lPS7_llPT2_S7_S7_S9_l
	.p2align	8
	.type	_ZN9rocsolver6v33100L18getf2_small_kernelILi42E19rocblas_complex_numIdEiiPKPS3_EEvT1_T3_lS7_lPS7_llPT2_S7_S7_S9_l,@function
_ZN9rocsolver6v33100L18getf2_small_kernelILi42E19rocblas_complex_numIdEiiPKPS3_EEvT1_T3_lS7_lPS7_llPT2_S7_S7_S9_l: ; @_ZN9rocsolver6v33100L18getf2_small_kernelILi42E19rocblas_complex_numIdEiiPKPS3_EEvT1_T3_lS7_lPS7_llPT2_S7_S7_S9_l
; %bb.0:
	s_clause 0x1
	s_load_b32 s2, s[0:1], 0x6c
	s_load_b64 s[12:13], s[0:1], 0x48
	v_bfe_u32 v168, v0, 10, 10
	s_waitcnt lgkmcnt(0)
	s_lshr_b32 s2, s2, 16
	s_delay_alu instid0(VALU_DEP_1) | instid1(SALU_CYCLE_1)
	v_mad_u64_u32 v[172:173], null, s15, s2, v[168:169]
	s_mov_b32 s2, exec_lo
	s_delay_alu instid0(VALU_DEP_1)
	v_cmpx_gt_i32_e64 s12, v172
	s_cbranch_execz .LBB82_885
; %bb.1:
	s_clause 0x1
	s_load_b128 s[4:7], s[0:1], 0x8
	s_load_b128 s[8:11], s[0:1], 0x50
	v_ashrrev_i32_e32 v173, 31, v172
	v_mov_b32_e32 v174, 0
	v_mov_b32_e32 v175, 0
	s_delay_alu instid0(VALU_DEP_3) | instskip(SKIP_1) | instid1(VALU_DEP_1)
	v_lshlrev_b64 v[1:2], 3, v[172:173]
	s_waitcnt lgkmcnt(0)
	v_add_co_u32 v1, vcc_lo, s4, v1
	s_delay_alu instid0(VALU_DEP_2)
	v_add_co_ci_u32_e32 v2, vcc_lo, s5, v2, vcc_lo
	s_cmp_eq_u64 s[8:9], 0
	s_cselect_b32 s4, -1, 0
	global_load_b64 v[1:2], v[1:2], off
	s_and_b32 vcc_lo, exec_lo, s4
	s_cbranch_vccnz .LBB82_3
; %bb.2:
	v_mul_lo_u32 v5, v173, s10
	v_mul_lo_u32 v6, v172, s11
	v_mad_u64_u32 v[3:4], null, v172, s10, 0
	s_delay_alu instid0(VALU_DEP_1) | instskip(NEXT) | instid1(VALU_DEP_1)
	v_add3_u32 v4, v4, v6, v5
	v_lshlrev_b64 v[3:4], 2, v[3:4]
	s_delay_alu instid0(VALU_DEP_1) | instskip(NEXT) | instid1(VALU_DEP_2)
	v_add_co_u32 v174, vcc_lo, s8, v3
	v_add_co_ci_u32_e32 v175, vcc_lo, s9, v4, vcc_lo
.LBB82_3:
	s_clause 0x1
	s_load_b32 s8, s[0:1], 0x18
	s_load_b32 s5, s[0:1], 0x0
	v_and_b32_e32 v181, 0x3ff, v0
	s_lshl_b64 s[2:3], s[6:7], 4
	s_waitcnt vmcnt(0)
	v_add_co_u32 v179, vcc_lo, v1, s2
	v_add_co_ci_u32_e32 v180, vcc_lo, s3, v2, vcc_lo
	v_lshlrev_b32_e32 v171, 4, v181
	s_delay_alu instid0(VALU_DEP_1) | instskip(NEXT) | instid1(VALU_DEP_3)
	v_add_co_u32 v4, vcc_lo, v179, v171
	v_add_co_ci_u32_e32 v5, vcc_lo, 0, v180, vcc_lo
	s_waitcnt lgkmcnt(0)
	v_add3_u32 v0, s8, s8, v181
	s_ashr_i32 s9, s8, 31
	s_max_i32 s2, s5, 42
	s_lshl_b64 s[10:11], s[8:9], 4
	s_cmp_lt_i32 s5, 2
	v_add_nc_u32_e32 v2, s8, v0
	v_ashrrev_i32_e32 v1, 31, v0
	v_add_co_u32 v8, vcc_lo, v4, s10
	v_add_co_ci_u32_e32 v9, vcc_lo, s11, v5, vcc_lo
	s_delay_alu instid0(VALU_DEP_4) | instskip(SKIP_2) | instid1(VALU_DEP_3)
	v_add_nc_u32_e32 v6, s8, v2
	v_ashrrev_i32_e32 v3, 31, v2
	v_lshlrev_b64 v[0:1], 4, v[0:1]
	v_add_nc_u32_e32 v10, s8, v6
	v_ashrrev_i32_e32 v7, 31, v6
	s_delay_alu instid0(VALU_DEP_4) | instskip(NEXT) | instid1(VALU_DEP_4)
	v_lshlrev_b64 v[2:3], 4, v[2:3]
	v_add_co_u32 v0, vcc_lo, v179, v0
	s_delay_alu instid0(VALU_DEP_4) | instskip(SKIP_3) | instid1(VALU_DEP_4)
	v_add_nc_u32_e32 v12, s8, v10
	v_ashrrev_i32_e32 v11, 31, v10
	v_lshlrev_b64 v[6:7], 4, v[6:7]
	v_add_co_ci_u32_e32 v1, vcc_lo, v180, v1, vcc_lo
	v_add_nc_u32_e32 v14, s8, v12
	v_ashrrev_i32_e32 v13, 31, v12
	v_add_co_u32 v2, vcc_lo, v179, v2
	v_lshlrev_b64 v[10:11], 4, v[10:11]
	s_delay_alu instid0(VALU_DEP_4) | instskip(SKIP_3) | instid1(VALU_DEP_4)
	v_add_nc_u32_e32 v16, s8, v14
	v_ashrrev_i32_e32 v15, 31, v14
	v_add_co_ci_u32_e32 v3, vcc_lo, v180, v3, vcc_lo
	v_add_co_u32 v6, vcc_lo, v179, v6
	v_add_nc_u32_e32 v18, s8, v16
	v_lshlrev_b64 v[12:13], 4, v[12:13]
	v_ashrrev_i32_e32 v17, 31, v16
	v_add_co_ci_u32_e32 v7, vcc_lo, v180, v7, vcc_lo
	s_delay_alu instid0(VALU_DEP_4) | instskip(SKIP_3) | instid1(VALU_DEP_4)
	v_add_nc_u32_e32 v20, s8, v18
	v_add_co_u32 v10, vcc_lo, v179, v10
	v_lshlrev_b64 v[14:15], 4, v[14:15]
	v_ashrrev_i32_e32 v19, 31, v18
	v_add_nc_u32_e32 v22, s8, v20
	v_add_co_ci_u32_e32 v11, vcc_lo, v180, v11, vcc_lo
	v_add_co_u32 v12, vcc_lo, v179, v12
	s_delay_alu instid0(VALU_DEP_3) | instskip(SKIP_3) | instid1(VALU_DEP_4)
	v_add_nc_u32_e32 v24, s8, v22
	v_lshlrev_b64 v[16:17], 4, v[16:17]
	v_ashrrev_i32_e32 v21, 31, v20
	v_add_co_ci_u32_e32 v13, vcc_lo, v180, v13, vcc_lo
	v_add_nc_u32_e32 v26, s8, v24
	v_add_co_u32 v14, vcc_lo, v179, v14
	v_lshlrev_b64 v[18:19], 4, v[18:19]
	v_ashrrev_i32_e32 v23, 31, v22
	s_delay_alu instid0(VALU_DEP_4) | instskip(SKIP_2) | instid1(VALU_DEP_3)
	v_add_nc_u32_e32 v28, s8, v26
	v_add_co_ci_u32_e32 v15, vcc_lo, v180, v15, vcc_lo
	v_add_co_u32 v16, vcc_lo, v179, v16
	v_add_nc_u32_e32 v30, s8, v28
	v_lshlrev_b64 v[20:21], 4, v[20:21]
	v_ashrrev_i32_e32 v25, 31, v24
	v_add_co_ci_u32_e32 v17, vcc_lo, v180, v17, vcc_lo
	s_delay_alu instid0(VALU_DEP_4) | instskip(SKIP_3) | instid1(VALU_DEP_4)
	v_add_nc_u32_e32 v32, s8, v30
	v_add_co_u32 v18, vcc_lo, v179, v18
	v_lshlrev_b64 v[22:23], 4, v[22:23]
	v_ashrrev_i32_e32 v27, 31, v26
	v_add_nc_u32_e32 v34, s8, v32
	v_add_co_ci_u32_e32 v19, vcc_lo, v180, v19, vcc_lo
	v_add_co_u32 v20, vcc_lo, v179, v20
	s_delay_alu instid0(VALU_DEP_3) | instskip(SKIP_3) | instid1(VALU_DEP_4)
	v_add_nc_u32_e32 v36, s8, v34
	v_lshlrev_b64 v[24:25], 4, v[24:25]
	v_ashrrev_i32_e32 v29, 31, v28
	v_add_co_ci_u32_e32 v21, vcc_lo, v180, v21, vcc_lo
	v_add_nc_u32_e32 v38, s8, v36
	v_add_co_u32 v22, vcc_lo, v179, v22
	v_lshlrev_b64 v[26:27], 4, v[26:27]
	v_ashrrev_i32_e32 v31, 31, v30
	s_delay_alu instid0(VALU_DEP_4) | instskip(SKIP_2) | instid1(VALU_DEP_3)
	v_add_nc_u32_e32 v40, s8, v38
	v_add_co_ci_u32_e32 v23, vcc_lo, v180, v23, vcc_lo
	v_add_co_u32 v24, vcc_lo, v179, v24
	v_add_nc_u32_e32 v42, s8, v40
	v_lshlrev_b64 v[28:29], 4, v[28:29]
	v_ashrrev_i32_e32 v33, 31, v32
	v_add_co_ci_u32_e32 v25, vcc_lo, v180, v25, vcc_lo
	s_delay_alu instid0(VALU_DEP_4)
	v_add_nc_u32_e32 v44, s8, v42
	v_add_co_u32 v26, vcc_lo, v179, v26
	v_lshlrev_b64 v[30:31], 4, v[30:31]
	v_ashrrev_i32_e32 v35, 31, v34
	v_add_co_ci_u32_e32 v27, vcc_lo, v180, v27, vcc_lo
	v_add_nc_u32_e32 v46, s8, v44
	v_add_co_u32 v28, vcc_lo, v179, v28
	v_lshlrev_b64 v[32:33], 4, v[32:33]
	v_ashrrev_i32_e32 v37, 31, v36
	v_add_co_ci_u32_e32 v29, vcc_lo, v180, v29, vcc_lo
	v_add_co_u32 v30, vcc_lo, v179, v30
	v_lshlrev_b64 v[34:35], 4, v[34:35]
	v_ashrrev_i32_e32 v39, 31, v38
	v_add_nc_u32_e32 v48, s8, v46
	v_add_co_ci_u32_e32 v31, vcc_lo, v180, v31, vcc_lo
	v_add_co_u32 v32, vcc_lo, v179, v32
	v_lshlrev_b64 v[36:37], 4, v[36:37]
	v_ashrrev_i32_e32 v41, 31, v40
	v_add_co_ci_u32_e32 v33, vcc_lo, v180, v33, vcc_lo
	v_add_co_u32 v34, vcc_lo, v179, v34
	v_lshlrev_b64 v[38:39], 4, v[38:39]
	v_add_nc_u32_e32 v50, s8, v48
	v_ashrrev_i32_e32 v43, 31, v42
	v_add_co_ci_u32_e32 v35, vcc_lo, v180, v35, vcc_lo
	v_add_co_u32 v36, vcc_lo, v179, v36
	v_lshlrev_b64 v[40:41], 4, v[40:41]
	v_ashrrev_i32_e32 v45, 31, v44
	v_add_co_ci_u32_e32 v37, vcc_lo, v180, v37, vcc_lo
	v_add_nc_u32_e32 v52, s8, v50
	v_add_co_u32 v38, vcc_lo, v179, v38
	v_lshlrev_b64 v[42:43], 4, v[42:43]
	v_ashrrev_i32_e32 v47, 31, v46
	v_add_co_ci_u32_e32 v39, vcc_lo, v180, v39, vcc_lo
	v_add_co_u32 v40, vcc_lo, v179, v40
	v_lshlrev_b64 v[44:45], 4, v[44:45]
	v_ashrrev_i32_e32 v49, 31, v48
	v_add_nc_u32_e32 v54, s8, v52
	v_add_co_ci_u32_e32 v41, vcc_lo, v180, v41, vcc_lo
	v_add_co_u32 v42, vcc_lo, v179, v42
	v_lshlrev_b64 v[46:47], 4, v[46:47]
	v_ashrrev_i32_e32 v51, 31, v50
	v_add_co_ci_u32_e32 v43, vcc_lo, v180, v43, vcc_lo
	v_add_co_u32 v44, vcc_lo, v179, v44
	v_lshlrev_b64 v[48:49], 4, v[48:49]
	v_add_nc_u32_e32 v56, s8, v54
	v_ashrrev_i32_e32 v53, 31, v52
	v_add_co_ci_u32_e32 v45, vcc_lo, v180, v45, vcc_lo
	v_add_co_u32 v46, vcc_lo, v179, v46
	v_lshlrev_b64 v[50:51], 4, v[50:51]
	v_ashrrev_i32_e32 v55, 31, v54
	v_add_co_ci_u32_e32 v47, vcc_lo, v180, v47, vcc_lo
	v_add_nc_u32_e32 v58, s8, v56
	v_add_co_u32 v48, vcc_lo, v179, v48
	v_lshlrev_b64 v[52:53], 4, v[52:53]
	v_ashrrev_i32_e32 v57, 31, v56
	v_add_co_ci_u32_e32 v49, vcc_lo, v180, v49, vcc_lo
	v_add_co_u32 v50, vcc_lo, v179, v50
	v_lshlrev_b64 v[54:55], 4, v[54:55]
	v_add_nc_u32_e32 v60, s8, v58
	v_add_co_ci_u32_e32 v51, vcc_lo, v180, v51, vcc_lo
	v_add_co_u32 v52, vcc_lo, v179, v52
	v_lshlrev_b64 v[56:57], 4, v[56:57]
	v_ashrrev_i32_e32 v59, 31, v58
	v_add_co_ci_u32_e32 v53, vcc_lo, v180, v53, vcc_lo
	v_add_co_u32 v54, vcc_lo, v179, v54
	v_ashrrev_i32_e32 v61, 31, v60
	v_add_nc_u32_e32 v62, s8, v60
	v_add_co_ci_u32_e32 v55, vcc_lo, v180, v55, vcc_lo
	v_lshlrev_b64 v[58:59], 4, v[58:59]
	v_add_co_u32 v169, vcc_lo, v179, v56
	v_add_co_ci_u32_e32 v170, vcc_lo, v180, v57, vcc_lo
	v_lshlrev_b64 v[56:57], 4, v[60:61]
	v_ashrrev_i32_e32 v63, 31, v62
	v_add_nc_u32_e32 v60, s8, v62
	v_add_co_u32 v176, vcc_lo, v179, v58
	v_add_co_ci_u32_e32 v177, vcc_lo, v180, v59, vcc_lo
	s_delay_alu instid0(VALU_DEP_4) | instskip(NEXT) | instid1(VALU_DEP_4)
	v_lshlrev_b64 v[58:59], 4, v[62:63]
	v_ashrrev_i32_e32 v61, 31, v60
	v_add_nc_u32_e32 v62, s8, v60
	v_add_co_u32 v182, vcc_lo, v179, v56
	v_add_co_ci_u32_e32 v183, vcc_lo, v180, v57, vcc_lo
	s_delay_alu instid0(VALU_DEP_4) | instskip(NEXT) | instid1(VALU_DEP_4)
	;; [unrolled: 6-line block ×9, first 2 shown]
	v_lshlrev_b64 v[58:59], 4, v[62:63]
	v_add_nc_u32_e32 v62, s8, v60
	v_ashrrev_i32_e32 v61, 31, v60
	v_add_co_u32 v198, vcc_lo, v179, v56
	v_add_co_ci_u32_e32 v199, vcc_lo, v180, v57, vcc_lo
	s_delay_alu instid0(VALU_DEP_4) | instskip(NEXT) | instid1(VALU_DEP_4)
	v_ashrrev_i32_e32 v63, 31, v62
	v_lshlrev_b64 v[56:57], 4, v[60:61]
	v_add_co_u32 v200, vcc_lo, v179, v58
	v_add_co_ci_u32_e32 v201, vcc_lo, v180, v59, vcc_lo
	s_delay_alu instid0(VALU_DEP_4) | instskip(NEXT) | instid1(VALU_DEP_4)
	v_lshlrev_b64 v[58:59], 4, v[62:63]
	v_add_co_u32 v202, vcc_lo, v179, v56
	v_add_co_ci_u32_e32 v203, vcc_lo, v180, v57, vcc_lo
	s_delay_alu instid0(VALU_DEP_3) | instskip(NEXT) | instid1(VALU_DEP_4)
	v_add_co_u32 v204, vcc_lo, v179, v58
	v_add_co_ci_u32_e32 v205, vcc_lo, v180, v59, vcc_lo
	s_clause 0x1f
	global_load_b128 v[160:163], v[4:5], off
	global_load_b128 v[164:167], v[8:9], off
	;; [unrolled: 1-line block ×32, first 2 shown]
	s_clause 0x9
	global_load_b128 v[36:39], v[186:187], off
	global_load_b128 v[32:35], v[188:189], off
	;; [unrolled: 1-line block ×10, first 2 shown]
	v_mul_lo_u32 v176, s2, v168
	s_delay_alu instid0(VALU_DEP_1) | instskip(SKIP_1) | instid1(VALU_DEP_2)
	v_lshl_add_u32 v178, v176, 4, 0
	v_dual_mov_b32 v176, 0 :: v_dual_lshlrev_b32 v183, 4, v176
	v_add_nc_u32_e32 v168, v178, v171
	s_waitcnt vmcnt(41)
	ds_store_2addr_b64 v168, v[160:161], v[162:163] offset1:1
	s_waitcnt vmcnt(0) lgkmcnt(0)
	s_barrier
	buffer_gl0_inv
	ds_load_2addr_b64 v[168:171], v178 offset1:1
	s_cbranch_scc1 .LBB82_6
; %bb.4:
	v_add3_u32 v177, v183, 0, 16
	v_mov_b32_e32 v176, 0
	s_mov_b32 s6, 1
	s_set_inst_prefetch_distance 0x1
	.p2align	6
.LBB82_5:                               ; =>This Inner Loop Header: Depth=1
	ds_load_2addr_b64 v[184:187], v177 offset1:1
	s_waitcnt lgkmcnt(1)
	v_cmp_gt_f64_e32 vcc_lo, 0, v[168:169]
	v_xor_b32_e32 v182, 0x80000000, v169
	v_cmp_gt_f64_e64 s2, 0, v[170:171]
	v_xor_b32_e32 v188, 0x80000000, v171
	v_add_nc_u32_e32 v177, 16, v177
	s_waitcnt lgkmcnt(0)
	v_cmp_gt_f64_e64 s3, 0, v[184:185]
	v_mov_b32_e32 v192, v184
	v_dual_mov_b32 v194, v186 :: v_dual_cndmask_b32 v189, v169, v182
	v_xor_b32_e32 v182, 0x80000000, v185
	v_cndmask_b32_e64 v191, v171, v188, s2
	v_xor_b32_e32 v188, 0x80000000, v187
	v_cndmask_b32_e64 v190, v170, v170, s2
	s_delay_alu instid0(VALU_DEP_4) | instskip(SKIP_1) | instid1(VALU_DEP_1)
	v_cndmask_b32_e64 v193, v185, v182, s3
	v_cmp_gt_f64_e64 s3, 0, v[186:187]
	v_cndmask_b32_e64 v195, v187, v188, s3
	v_cndmask_b32_e32 v188, v168, v168, vcc_lo
	s_delay_alu instid0(VALU_DEP_2) | instskip(NEXT) | instid1(VALU_DEP_2)
	v_add_f64 v[192:193], v[192:193], v[194:195]
	v_add_f64 v[188:189], v[188:189], v[190:191]
	s_delay_alu instid0(VALU_DEP_1)
	v_cmp_lt_f64_e32 vcc_lo, v[188:189], v[192:193]
	v_cndmask_b32_e32 v171, v171, v187, vcc_lo
	v_dual_cndmask_b32 v169, v169, v185 :: v_dual_cndmask_b32 v168, v168, v184
	v_cndmask_b32_e32 v170, v170, v186, vcc_lo
	v_cndmask_b32_e64 v176, v176, s6, vcc_lo
	s_add_i32 s6, s6, 1
	s_delay_alu instid0(SALU_CYCLE_1)
	s_cmp_eq_u32 s5, s6
	s_cbranch_scc0 .LBB82_5
.LBB82_6:
	s_set_inst_prefetch_distance 0x2
	s_waitcnt lgkmcnt(0)
	v_cmp_neq_f64_e32 vcc_lo, 0, v[168:169]
	v_cmp_neq_f64_e64 s2, 0, v[170:171]
	v_dual_mov_b32 v182, 1 :: v_dual_mov_b32 v185, 1
	s_delay_alu instid0(VALU_DEP_2) | instskip(NEXT) | instid1(SALU_CYCLE_1)
	s_or_b32 s2, vcc_lo, s2
	s_and_saveexec_b32 s3, s2
	s_cbranch_execz .LBB82_12
; %bb.7:
	v_cmp_gt_f64_e32 vcc_lo, 0, v[168:169]
	v_cmp_gt_f64_e64 s2, 0, v[170:171]
	v_xor_b32_e32 v177, 0x80000000, v169
	v_xor_b32_e32 v182, 0x80000000, v171
                                        ; implicit-def: $sgpr6
                                        ; implicit-def: $sgpr7
	s_delay_alu instid0(VALU_DEP_2) | instskip(NEXT) | instid1(VALU_DEP_2)
	v_dual_cndmask_b32 v185, v169, v177 :: v_dual_cndmask_b32 v184, v168, v168
	v_cndmask_b32_e64 v187, v171, v182, s2
	v_cndmask_b32_e64 v186, v170, v170, s2
	s_mov_b32 s2, exec_lo
	s_delay_alu instid0(VALU_DEP_1)
	v_cmpx_ngt_f64_e32 v[184:185], v[186:187]
	s_xor_b32 s2, exec_lo, s2
	s_cbranch_execz .LBB82_9
; %bb.8:
	v_div_scale_f64 v[184:185], null, v[170:171], v[170:171], v[168:169]
	v_div_scale_f64 v[190:191], vcc_lo, v[168:169], v[170:171], v[168:169]
	s_mov_b32 s7, 2
	s_mov_b32 s6, 0
	s_delay_alu instid0(VALU_DEP_2) | instskip(SKIP_2) | instid1(VALU_DEP_1)
	v_rcp_f64_e32 v[186:187], v[184:185]
	s_waitcnt_depctr 0xfff
	v_fma_f64 v[188:189], -v[184:185], v[186:187], 1.0
	v_fma_f64 v[186:187], v[186:187], v[188:189], v[186:187]
	s_delay_alu instid0(VALU_DEP_1) | instskip(NEXT) | instid1(VALU_DEP_1)
	v_fma_f64 v[188:189], -v[184:185], v[186:187], 1.0
	v_fma_f64 v[186:187], v[186:187], v[188:189], v[186:187]
	s_delay_alu instid0(VALU_DEP_1) | instskip(NEXT) | instid1(VALU_DEP_1)
	v_mul_f64 v[188:189], v[190:191], v[186:187]
	v_fma_f64 v[184:185], -v[184:185], v[188:189], v[190:191]
	s_delay_alu instid0(VALU_DEP_1) | instskip(NEXT) | instid1(VALU_DEP_1)
	v_div_fmas_f64 v[184:185], v[184:185], v[186:187], v[188:189]
	v_div_fixup_f64 v[184:185], v[184:185], v[170:171], v[168:169]
	s_delay_alu instid0(VALU_DEP_1) | instskip(NEXT) | instid1(VALU_DEP_1)
	v_fma_f64 v[168:169], v[168:169], v[184:185], v[170:171]
	v_div_scale_f64 v[170:171], null, v[168:169], v[168:169], 1.0
	s_delay_alu instid0(VALU_DEP_1) | instskip(SKIP_2) | instid1(VALU_DEP_1)
	v_rcp_f64_e32 v[186:187], v[170:171]
	s_waitcnt_depctr 0xfff
	v_fma_f64 v[188:189], -v[170:171], v[186:187], 1.0
	v_fma_f64 v[186:187], v[186:187], v[188:189], v[186:187]
	s_delay_alu instid0(VALU_DEP_1) | instskip(NEXT) | instid1(VALU_DEP_1)
	v_fma_f64 v[188:189], -v[170:171], v[186:187], 1.0
	v_fma_f64 v[186:187], v[186:187], v[188:189], v[186:187]
	v_div_scale_f64 v[188:189], vcc_lo, 1.0, v[168:169], 1.0
	s_delay_alu instid0(VALU_DEP_1) | instskip(NEXT) | instid1(VALU_DEP_1)
	v_mul_f64 v[190:191], v[188:189], v[186:187]
	v_fma_f64 v[170:171], -v[170:171], v[190:191], v[188:189]
	s_delay_alu instid0(VALU_DEP_1) | instskip(NEXT) | instid1(VALU_DEP_1)
	v_div_fmas_f64 v[170:171], v[170:171], v[186:187], v[190:191]
	v_div_fixup_f64 v[170:171], v[170:171], v[168:169], 1.0
	s_delay_alu instid0(VALU_DEP_1)
	v_mul_f64 v[168:169], v[184:185], v[170:171]
	v_xor_b32_e32 v171, 0x80000000, v171
.LBB82_9:
	s_or_saveexec_b32 s2, s2
	v_dual_mov_b32 v185, s6 :: v_dual_mov_b32 v182, s7
	s_xor_b32 exec_lo, exec_lo, s2
	s_cbranch_execz .LBB82_11
; %bb.10:
	s_delay_alu instid0(VALU_DEP_3) | instskip(SKIP_2) | instid1(VALU_DEP_3)
	v_div_scale_f64 v[184:185], null, v[168:169], v[168:169], v[170:171]
	v_div_scale_f64 v[190:191], vcc_lo, v[170:171], v[168:169], v[170:171]
	v_mov_b32_e32 v182, 2
	v_rcp_f64_e32 v[186:187], v[184:185]
	s_waitcnt_depctr 0xfff
	v_fma_f64 v[188:189], -v[184:185], v[186:187], 1.0
	s_delay_alu instid0(VALU_DEP_1) | instskip(NEXT) | instid1(VALU_DEP_1)
	v_fma_f64 v[186:187], v[186:187], v[188:189], v[186:187]
	v_fma_f64 v[188:189], -v[184:185], v[186:187], 1.0
	s_delay_alu instid0(VALU_DEP_1) | instskip(NEXT) | instid1(VALU_DEP_1)
	v_fma_f64 v[186:187], v[186:187], v[188:189], v[186:187]
	v_mul_f64 v[188:189], v[190:191], v[186:187]
	s_delay_alu instid0(VALU_DEP_1) | instskip(NEXT) | instid1(VALU_DEP_1)
	v_fma_f64 v[184:185], -v[184:185], v[188:189], v[190:191]
	v_div_fmas_f64 v[184:185], v[184:185], v[186:187], v[188:189]
	s_delay_alu instid0(VALU_DEP_1) | instskip(NEXT) | instid1(VALU_DEP_1)
	v_div_fixup_f64 v[184:185], v[184:185], v[168:169], v[170:171]
	v_fma_f64 v[168:169], v[170:171], v[184:185], v[168:169]
	s_delay_alu instid0(VALU_DEP_1) | instskip(NEXT) | instid1(VALU_DEP_1)
	v_div_scale_f64 v[170:171], null, v[168:169], v[168:169], 1.0
	v_rcp_f64_e32 v[186:187], v[170:171]
	s_waitcnt_depctr 0xfff
	v_fma_f64 v[188:189], -v[170:171], v[186:187], 1.0
	s_delay_alu instid0(VALU_DEP_1) | instskip(NEXT) | instid1(VALU_DEP_1)
	v_fma_f64 v[186:187], v[186:187], v[188:189], v[186:187]
	v_fma_f64 v[188:189], -v[170:171], v[186:187], 1.0
	s_delay_alu instid0(VALU_DEP_1) | instskip(SKIP_1) | instid1(VALU_DEP_1)
	v_fma_f64 v[186:187], v[186:187], v[188:189], v[186:187]
	v_div_scale_f64 v[188:189], vcc_lo, 1.0, v[168:169], 1.0
	v_mul_f64 v[190:191], v[188:189], v[186:187]
	s_delay_alu instid0(VALU_DEP_1) | instskip(NEXT) | instid1(VALU_DEP_1)
	v_fma_f64 v[170:171], -v[170:171], v[190:191], v[188:189]
	v_div_fmas_f64 v[170:171], v[170:171], v[186:187], v[190:191]
	s_delay_alu instid0(VALU_DEP_1) | instskip(NEXT) | instid1(VALU_DEP_1)
	v_div_fixup_f64 v[168:169], v[170:171], v[168:169], 1.0
	v_mul_f64 v[170:171], v[184:185], -v[168:169]
	v_mov_b32_e32 v185, 0
.LBB82_11:
	s_or_b32 exec_lo, exec_lo, s2
.LBB82_12:
	s_delay_alu instid0(SALU_CYCLE_1) | instskip(NEXT) | instid1(SALU_CYCLE_1)
	s_or_b32 exec_lo, exec_lo, s3
	s_mov_b32 s2, exec_lo
	v_cmpx_ne_u32_e64 v181, v176
	s_xor_b32 s2, exec_lo, s2
	s_cbranch_execz .LBB82_18
; %bb.13:
	s_mov_b32 s3, exec_lo
	v_cmpx_eq_u32_e32 0, v181
	s_cbranch_execz .LBB82_17
; %bb.14:
	v_cmp_ne_u32_e32 vcc_lo, 0, v176
	s_xor_b32 s6, s4, -1
	s_delay_alu instid0(SALU_CYCLE_1) | instskip(NEXT) | instid1(SALU_CYCLE_1)
	s_and_b32 s7, s6, vcc_lo
	s_and_saveexec_b32 s6, s7
	s_cbranch_execz .LBB82_16
; %bb.15:
	v_ashrrev_i32_e32 v177, 31, v176
	s_delay_alu instid0(VALU_DEP_1) | instskip(NEXT) | instid1(VALU_DEP_1)
	v_lshlrev_b64 v[186:187], 2, v[176:177]
	v_add_co_u32 v186, vcc_lo, v174, v186
	s_delay_alu instid0(VALU_DEP_2)
	v_add_co_ci_u32_e32 v187, vcc_lo, v175, v187, vcc_lo
	s_clause 0x1
	flat_load_b32 v177, v[186:187]
	flat_load_b32 v181, v[174:175]
	s_waitcnt vmcnt(1) lgkmcnt(1)
	flat_store_b32 v[174:175], v177
	s_waitcnt vmcnt(0) lgkmcnt(1)
	flat_store_b32 v[186:187], v181
.LBB82_16:
	s_or_b32 exec_lo, exec_lo, s6
	v_mov_b32_e32 v181, v176
.LBB82_17:
	s_or_b32 exec_lo, exec_lo, s3
.LBB82_18:
	s_or_saveexec_b32 s2, s2
	s_delay_alu instid0(VALU_DEP_1)
	v_mov_b32_e32 v184, v181
	s_xor_b32 exec_lo, exec_lo, s2
	s_cbranch_execz .LBB82_20
; %bb.19:
	v_mov_b32_e32 v184, 0
	ds_store_2addr_b64 v178, v[164:165], v[166:167] offset0:2 offset1:3
	ds_store_2addr_b64 v178, v[156:157], v[158:159] offset0:4 offset1:5
	;; [unrolled: 1-line block ×41, first 2 shown]
.LBB82_20:
	s_or_b32 exec_lo, exec_lo, s2
	s_delay_alu instid0(SALU_CYCLE_1)
	s_mov_b32 s2, exec_lo
	s_waitcnt lgkmcnt(0)
	s_waitcnt_vscnt null, 0x0
	s_barrier
	buffer_gl0_inv
	v_cmpx_lt_i32_e32 0, v184
	s_cbranch_execz .LBB82_22
; %bb.21:
	v_mul_f64 v[176:177], v[170:171], v[162:163]
	v_mul_f64 v[162:163], v[168:169], v[162:163]
	s_delay_alu instid0(VALU_DEP_2) | instskip(NEXT) | instid1(VALU_DEP_2)
	v_fma_f64 v[176:177], v[168:169], v[160:161], -v[176:177]
	v_fma_f64 v[162:163], v[170:171], v[160:161], v[162:163]
	ds_load_2addr_b64 v[168:171], v178 offset0:2 offset1:3
	s_waitcnt lgkmcnt(0)
	v_mul_f64 v[160:161], v[170:171], v[162:163]
	s_delay_alu instid0(VALU_DEP_1) | instskip(SKIP_1) | instid1(VALU_DEP_2)
	v_fma_f64 v[160:161], v[168:169], v[176:177], -v[160:161]
	v_mul_f64 v[168:169], v[168:169], v[162:163]
	v_add_f64 v[164:165], v[164:165], -v[160:161]
	s_delay_alu instid0(VALU_DEP_2) | instskip(NEXT) | instid1(VALU_DEP_1)
	v_fma_f64 v[168:169], v[170:171], v[176:177], v[168:169]
	v_add_f64 v[166:167], v[166:167], -v[168:169]
	ds_load_2addr_b64 v[168:171], v178 offset0:4 offset1:5
	s_waitcnt lgkmcnt(0)
	v_mul_f64 v[160:161], v[170:171], v[162:163]
	s_delay_alu instid0(VALU_DEP_1) | instskip(SKIP_1) | instid1(VALU_DEP_2)
	v_fma_f64 v[160:161], v[168:169], v[176:177], -v[160:161]
	v_mul_f64 v[168:169], v[168:169], v[162:163]
	v_add_f64 v[156:157], v[156:157], -v[160:161]
	s_delay_alu instid0(VALU_DEP_2) | instskip(NEXT) | instid1(VALU_DEP_1)
	v_fma_f64 v[168:169], v[170:171], v[176:177], v[168:169]
	v_add_f64 v[158:159], v[158:159], -v[168:169]
	;; [unrolled: 10-line block ×40, first 2 shown]
	ds_load_2addr_b64 v[168:171], v178 offset0:82 offset1:83
	s_waitcnt lgkmcnt(0)
	v_mul_f64 v[160:161], v[170:171], v[162:163]
	s_delay_alu instid0(VALU_DEP_1) | instskip(SKIP_1) | instid1(VALU_DEP_2)
	v_fma_f64 v[160:161], v[168:169], v[176:177], -v[160:161]
	v_mul_f64 v[168:169], v[168:169], v[162:163]
	v_add_f64 v[0:1], v[0:1], -v[160:161]
	s_delay_alu instid0(VALU_DEP_2) | instskip(SKIP_1) | instid1(VALU_DEP_2)
	v_fma_f64 v[168:169], v[170:171], v[176:177], v[168:169]
	v_dual_mov_b32 v160, v176 :: v_dual_mov_b32 v161, v177
	v_add_f64 v[2:3], v[2:3], -v[168:169]
.LBB82_22:
	s_or_b32 exec_lo, exec_lo, s2
	v_lshl_add_u32 v168, v184, 4, v178
	s_barrier
	buffer_gl0_inv
	v_mov_b32_e32 v176, 1
	ds_store_2addr_b64 v168, v[164:165], v[166:167] offset1:1
	s_waitcnt lgkmcnt(0)
	s_barrier
	buffer_gl0_inv
	ds_load_2addr_b64 v[168:171], v178 offset0:2 offset1:3
	s_cmp_lt_i32 s5, 3
	s_cbranch_scc1 .LBB82_25
; %bb.23:
	v_add3_u32 v177, v183, 0, 32
	v_mov_b32_e32 v176, 1
	s_mov_b32 s6, 2
	s_set_inst_prefetch_distance 0x1
	.p2align	6
.LBB82_24:                              ; =>This Inner Loop Header: Depth=1
	ds_load_2addr_b64 v[186:189], v177 offset1:1
	s_waitcnt lgkmcnt(1)
	v_cmp_gt_f64_e32 vcc_lo, 0, v[168:169]
	v_xor_b32_e32 v190, 0x80000000, v169
	v_cmp_gt_f64_e64 s2, 0, v[170:171]
	v_xor_b32_e32 v192, 0x80000000, v171
	v_add_nc_u32_e32 v177, 16, v177
	s_waitcnt lgkmcnt(0)
	v_cmp_gt_f64_e64 s3, 0, v[186:187]
	v_mov_b32_e32 v194, v186
	v_dual_mov_b32 v196, v188 :: v_dual_cndmask_b32 v191, v169, v190
	v_xor_b32_e32 v190, 0x80000000, v187
	v_cndmask_b32_e64 v193, v171, v192, s2
	v_xor_b32_e32 v192, 0x80000000, v189
	s_delay_alu instid0(VALU_DEP_3) | instskip(SKIP_2) | instid1(VALU_DEP_2)
	v_cndmask_b32_e64 v195, v187, v190, s3
	v_cmp_gt_f64_e64 s3, 0, v[188:189]
	v_cndmask_b32_e32 v190, v168, v168, vcc_lo
	v_cndmask_b32_e64 v197, v189, v192, s3
	v_cndmask_b32_e64 v192, v170, v170, s2
	s_delay_alu instid0(VALU_DEP_2) | instskip(NEXT) | instid1(VALU_DEP_2)
	v_add_f64 v[194:195], v[194:195], v[196:197]
	v_add_f64 v[190:191], v[190:191], v[192:193]
	s_delay_alu instid0(VALU_DEP_1)
	v_cmp_lt_f64_e32 vcc_lo, v[190:191], v[194:195]
	v_cndmask_b32_e32 v171, v171, v189, vcc_lo
	v_dual_cndmask_b32 v169, v169, v187 :: v_dual_cndmask_b32 v168, v168, v186
	v_cndmask_b32_e32 v170, v170, v188, vcc_lo
	v_cndmask_b32_e64 v176, v176, s6, vcc_lo
	s_add_i32 s6, s6, 1
	s_delay_alu instid0(SALU_CYCLE_1)
	s_cmp_lg_u32 s5, s6
	s_cbranch_scc1 .LBB82_24
.LBB82_25:
	s_set_inst_prefetch_distance 0x2
	s_waitcnt lgkmcnt(0)
	v_cmp_neq_f64_e32 vcc_lo, 0, v[168:169]
	v_cmp_neq_f64_e64 s2, 0, v[170:171]
	s_delay_alu instid0(VALU_DEP_1) | instskip(NEXT) | instid1(SALU_CYCLE_1)
	s_or_b32 s2, vcc_lo, s2
	s_and_saveexec_b32 s3, s2
	s_cbranch_execz .LBB82_31
; %bb.26:
	v_cmp_gt_f64_e32 vcc_lo, 0, v[168:169]
	v_cmp_gt_f64_e64 s2, 0, v[170:171]
	v_xor_b32_e32 v177, 0x80000000, v169
	v_xor_b32_e32 v182, 0x80000000, v171
	s_delay_alu instid0(VALU_DEP_2) | instskip(NEXT) | instid1(VALU_DEP_2)
	v_dual_cndmask_b32 v187, v169, v177 :: v_dual_cndmask_b32 v186, v168, v168
	v_cndmask_b32_e64 v189, v171, v182, s2
	v_cndmask_b32_e64 v188, v170, v170, s2
	s_mov_b32 s2, exec_lo
	s_delay_alu instid0(VALU_DEP_1)
	v_cmpx_ngt_f64_e32 v[186:187], v[188:189]
	s_xor_b32 s2, exec_lo, s2
	s_cbranch_execz .LBB82_28
; %bb.27:
	v_div_scale_f64 v[186:187], null, v[170:171], v[170:171], v[168:169]
	v_div_scale_f64 v[192:193], vcc_lo, v[168:169], v[170:171], v[168:169]
	s_delay_alu instid0(VALU_DEP_2) | instskip(SKIP_2) | instid1(VALU_DEP_1)
	v_rcp_f64_e32 v[188:189], v[186:187]
	s_waitcnt_depctr 0xfff
	v_fma_f64 v[190:191], -v[186:187], v[188:189], 1.0
	v_fma_f64 v[188:189], v[188:189], v[190:191], v[188:189]
	s_delay_alu instid0(VALU_DEP_1) | instskip(NEXT) | instid1(VALU_DEP_1)
	v_fma_f64 v[190:191], -v[186:187], v[188:189], 1.0
	v_fma_f64 v[188:189], v[188:189], v[190:191], v[188:189]
	s_delay_alu instid0(VALU_DEP_1) | instskip(NEXT) | instid1(VALU_DEP_1)
	v_mul_f64 v[190:191], v[192:193], v[188:189]
	v_fma_f64 v[186:187], -v[186:187], v[190:191], v[192:193]
	s_delay_alu instid0(VALU_DEP_1) | instskip(NEXT) | instid1(VALU_DEP_1)
	v_div_fmas_f64 v[186:187], v[186:187], v[188:189], v[190:191]
	v_div_fixup_f64 v[186:187], v[186:187], v[170:171], v[168:169]
	s_delay_alu instid0(VALU_DEP_1) | instskip(NEXT) | instid1(VALU_DEP_1)
	v_fma_f64 v[168:169], v[168:169], v[186:187], v[170:171]
	v_div_scale_f64 v[170:171], null, v[168:169], v[168:169], 1.0
	s_delay_alu instid0(VALU_DEP_1) | instskip(SKIP_2) | instid1(VALU_DEP_1)
	v_rcp_f64_e32 v[188:189], v[170:171]
	s_waitcnt_depctr 0xfff
	v_fma_f64 v[190:191], -v[170:171], v[188:189], 1.0
	v_fma_f64 v[188:189], v[188:189], v[190:191], v[188:189]
	s_delay_alu instid0(VALU_DEP_1) | instskip(NEXT) | instid1(VALU_DEP_1)
	v_fma_f64 v[190:191], -v[170:171], v[188:189], 1.0
	v_fma_f64 v[188:189], v[188:189], v[190:191], v[188:189]
	v_div_scale_f64 v[190:191], vcc_lo, 1.0, v[168:169], 1.0
	s_delay_alu instid0(VALU_DEP_1) | instskip(NEXT) | instid1(VALU_DEP_1)
	v_mul_f64 v[192:193], v[190:191], v[188:189]
	v_fma_f64 v[170:171], -v[170:171], v[192:193], v[190:191]
	s_delay_alu instid0(VALU_DEP_1) | instskip(NEXT) | instid1(VALU_DEP_1)
	v_div_fmas_f64 v[170:171], v[170:171], v[188:189], v[192:193]
	v_div_fixup_f64 v[170:171], v[170:171], v[168:169], 1.0
	s_delay_alu instid0(VALU_DEP_1)
	v_mul_f64 v[168:169], v[186:187], v[170:171]
	v_xor_b32_e32 v171, 0x80000000, v171
.LBB82_28:
	s_and_not1_saveexec_b32 s2, s2
	s_cbranch_execz .LBB82_30
; %bb.29:
	s_delay_alu instid0(VALU_DEP_1) | instskip(SKIP_1) | instid1(VALU_DEP_2)
	v_div_scale_f64 v[186:187], null, v[168:169], v[168:169], v[170:171]
	v_div_scale_f64 v[192:193], vcc_lo, v[170:171], v[168:169], v[170:171]
	v_rcp_f64_e32 v[188:189], v[186:187]
	s_waitcnt_depctr 0xfff
	v_fma_f64 v[190:191], -v[186:187], v[188:189], 1.0
	s_delay_alu instid0(VALU_DEP_1) | instskip(NEXT) | instid1(VALU_DEP_1)
	v_fma_f64 v[188:189], v[188:189], v[190:191], v[188:189]
	v_fma_f64 v[190:191], -v[186:187], v[188:189], 1.0
	s_delay_alu instid0(VALU_DEP_1) | instskip(NEXT) | instid1(VALU_DEP_1)
	v_fma_f64 v[188:189], v[188:189], v[190:191], v[188:189]
	v_mul_f64 v[190:191], v[192:193], v[188:189]
	s_delay_alu instid0(VALU_DEP_1) | instskip(NEXT) | instid1(VALU_DEP_1)
	v_fma_f64 v[186:187], -v[186:187], v[190:191], v[192:193]
	v_div_fmas_f64 v[186:187], v[186:187], v[188:189], v[190:191]
	s_delay_alu instid0(VALU_DEP_1) | instskip(NEXT) | instid1(VALU_DEP_1)
	v_div_fixup_f64 v[186:187], v[186:187], v[168:169], v[170:171]
	v_fma_f64 v[168:169], v[170:171], v[186:187], v[168:169]
	s_delay_alu instid0(VALU_DEP_1) | instskip(NEXT) | instid1(VALU_DEP_1)
	v_div_scale_f64 v[170:171], null, v[168:169], v[168:169], 1.0
	v_rcp_f64_e32 v[188:189], v[170:171]
	s_waitcnt_depctr 0xfff
	v_fma_f64 v[190:191], -v[170:171], v[188:189], 1.0
	s_delay_alu instid0(VALU_DEP_1) | instskip(NEXT) | instid1(VALU_DEP_1)
	v_fma_f64 v[188:189], v[188:189], v[190:191], v[188:189]
	v_fma_f64 v[190:191], -v[170:171], v[188:189], 1.0
	s_delay_alu instid0(VALU_DEP_1) | instskip(SKIP_1) | instid1(VALU_DEP_1)
	v_fma_f64 v[188:189], v[188:189], v[190:191], v[188:189]
	v_div_scale_f64 v[190:191], vcc_lo, 1.0, v[168:169], 1.0
	v_mul_f64 v[192:193], v[190:191], v[188:189]
	s_delay_alu instid0(VALU_DEP_1) | instskip(NEXT) | instid1(VALU_DEP_1)
	v_fma_f64 v[170:171], -v[170:171], v[192:193], v[190:191]
	v_div_fmas_f64 v[170:171], v[170:171], v[188:189], v[192:193]
	s_delay_alu instid0(VALU_DEP_1) | instskip(NEXT) | instid1(VALU_DEP_1)
	v_div_fixup_f64 v[168:169], v[170:171], v[168:169], 1.0
	v_mul_f64 v[170:171], v[186:187], -v[168:169]
.LBB82_30:
	s_or_b32 exec_lo, exec_lo, s2
	v_mov_b32_e32 v182, v185
.LBB82_31:
	s_or_b32 exec_lo, exec_lo, s3
	s_delay_alu instid0(SALU_CYCLE_1)
	s_mov_b32 s2, exec_lo
	v_cmpx_ne_u32_e64 v184, v176
	s_xor_b32 s2, exec_lo, s2
	s_cbranch_execz .LBB82_37
; %bb.32:
	s_mov_b32 s3, exec_lo
	v_cmpx_eq_u32_e32 1, v184
	s_cbranch_execz .LBB82_36
; %bb.33:
	v_cmp_ne_u32_e32 vcc_lo, 1, v176
	s_xor_b32 s6, s4, -1
	s_delay_alu instid0(SALU_CYCLE_1) | instskip(NEXT) | instid1(SALU_CYCLE_1)
	s_and_b32 s7, s6, vcc_lo
	s_and_saveexec_b32 s6, s7
	s_cbranch_execz .LBB82_35
; %bb.34:
	v_ashrrev_i32_e32 v177, 31, v176
	s_delay_alu instid0(VALU_DEP_1) | instskip(NEXT) | instid1(VALU_DEP_1)
	v_lshlrev_b64 v[184:185], 2, v[176:177]
	v_add_co_u32 v184, vcc_lo, v174, v184
	s_delay_alu instid0(VALU_DEP_2)
	v_add_co_ci_u32_e32 v185, vcc_lo, v175, v185, vcc_lo
	s_clause 0x1
	flat_load_b32 v177, v[184:185]
	flat_load_b32 v181, v[174:175] offset:4
	s_waitcnt vmcnt(1) lgkmcnt(1)
	flat_store_b32 v[174:175], v177 offset:4
	s_waitcnt vmcnt(0) lgkmcnt(1)
	flat_store_b32 v[184:185], v181
.LBB82_35:
	s_or_b32 exec_lo, exec_lo, s6
	v_mov_b32_e32 v184, v176
	v_mov_b32_e32 v181, v176
.LBB82_36:
	s_or_b32 exec_lo, exec_lo, s3
.LBB82_37:
	s_and_not1_saveexec_b32 s2, s2
	s_cbranch_execz .LBB82_39
; %bb.38:
	v_mov_b32_e32 v184, 1
	ds_store_2addr_b64 v178, v[156:157], v[158:159] offset0:4 offset1:5
	ds_store_2addr_b64 v178, v[152:153], v[154:155] offset0:6 offset1:7
	;; [unrolled: 1-line block ×40, first 2 shown]
.LBB82_39:
	s_or_b32 exec_lo, exec_lo, s2
	s_delay_alu instid0(SALU_CYCLE_1)
	s_mov_b32 s2, exec_lo
	s_waitcnt lgkmcnt(0)
	s_waitcnt_vscnt null, 0x0
	s_barrier
	buffer_gl0_inv
	v_cmpx_lt_i32_e32 1, v184
	s_cbranch_execz .LBB82_41
; %bb.40:
	v_mul_f64 v[176:177], v[170:171], v[166:167]
	v_mul_f64 v[166:167], v[168:169], v[166:167]
	s_delay_alu instid0(VALU_DEP_2) | instskip(NEXT) | instid1(VALU_DEP_2)
	v_fma_f64 v[176:177], v[168:169], v[164:165], -v[176:177]
	v_fma_f64 v[166:167], v[170:171], v[164:165], v[166:167]
	ds_load_2addr_b64 v[168:171], v178 offset0:4 offset1:5
	s_waitcnt lgkmcnt(0)
	v_mul_f64 v[164:165], v[170:171], v[166:167]
	s_delay_alu instid0(VALU_DEP_1) | instskip(SKIP_1) | instid1(VALU_DEP_2)
	v_fma_f64 v[164:165], v[168:169], v[176:177], -v[164:165]
	v_mul_f64 v[168:169], v[168:169], v[166:167]
	v_add_f64 v[156:157], v[156:157], -v[164:165]
	s_delay_alu instid0(VALU_DEP_2) | instskip(NEXT) | instid1(VALU_DEP_1)
	v_fma_f64 v[168:169], v[170:171], v[176:177], v[168:169]
	v_add_f64 v[158:159], v[158:159], -v[168:169]
	ds_load_2addr_b64 v[168:171], v178 offset0:6 offset1:7
	s_waitcnt lgkmcnt(0)
	v_mul_f64 v[164:165], v[170:171], v[166:167]
	s_delay_alu instid0(VALU_DEP_1) | instskip(SKIP_1) | instid1(VALU_DEP_2)
	v_fma_f64 v[164:165], v[168:169], v[176:177], -v[164:165]
	v_mul_f64 v[168:169], v[168:169], v[166:167]
	v_add_f64 v[152:153], v[152:153], -v[164:165]
	s_delay_alu instid0(VALU_DEP_2) | instskip(NEXT) | instid1(VALU_DEP_1)
	v_fma_f64 v[168:169], v[170:171], v[176:177], v[168:169]
	v_add_f64 v[154:155], v[154:155], -v[168:169]
	;; [unrolled: 10-line block ×39, first 2 shown]
	ds_load_2addr_b64 v[168:171], v178 offset0:82 offset1:83
	s_waitcnt lgkmcnt(0)
	v_mul_f64 v[164:165], v[170:171], v[166:167]
	s_delay_alu instid0(VALU_DEP_1) | instskip(SKIP_1) | instid1(VALU_DEP_2)
	v_fma_f64 v[164:165], v[168:169], v[176:177], -v[164:165]
	v_mul_f64 v[168:169], v[168:169], v[166:167]
	v_add_f64 v[0:1], v[0:1], -v[164:165]
	s_delay_alu instid0(VALU_DEP_2) | instskip(SKIP_1) | instid1(VALU_DEP_2)
	v_fma_f64 v[168:169], v[170:171], v[176:177], v[168:169]
	v_dual_mov_b32 v164, v176 :: v_dual_mov_b32 v165, v177
	v_add_f64 v[2:3], v[2:3], -v[168:169]
.LBB82_41:
	s_or_b32 exec_lo, exec_lo, s2
	v_lshl_add_u32 v168, v184, 4, v178
	s_barrier
	buffer_gl0_inv
	v_mov_b32_e32 v176, 2
	ds_store_2addr_b64 v168, v[156:157], v[158:159] offset1:1
	s_waitcnt lgkmcnt(0)
	s_barrier
	buffer_gl0_inv
	ds_load_2addr_b64 v[168:171], v178 offset0:4 offset1:5
	s_cmp_lt_i32 s5, 4
	s_cbranch_scc1 .LBB82_44
; %bb.42:
	v_add3_u32 v177, v183, 0, 48
	v_mov_b32_e32 v176, 2
	s_mov_b32 s6, 3
	s_set_inst_prefetch_distance 0x1
	.p2align	6
.LBB82_43:                              ; =>This Inner Loop Header: Depth=1
	ds_load_2addr_b64 v[185:188], v177 offset1:1
	s_waitcnt lgkmcnt(1)
	v_cmp_gt_f64_e32 vcc_lo, 0, v[168:169]
	v_xor_b32_e32 v189, 0x80000000, v169
	v_cmp_gt_f64_e64 s2, 0, v[170:171]
	v_xor_b32_e32 v191, 0x80000000, v171
	v_add_nc_u32_e32 v177, 16, v177
	s_waitcnt lgkmcnt(0)
	v_cmp_gt_f64_e64 s3, 0, v[185:186]
	v_mov_b32_e32 v193, v185
	v_dual_mov_b32 v195, v187 :: v_dual_cndmask_b32 v190, v169, v189
	v_xor_b32_e32 v189, 0x80000000, v186
	v_cndmask_b32_e64 v192, v171, v191, s2
	v_xor_b32_e32 v191, 0x80000000, v188
	s_delay_alu instid0(VALU_DEP_3) | instskip(SKIP_2) | instid1(VALU_DEP_2)
	v_cndmask_b32_e64 v194, v186, v189, s3
	v_cmp_gt_f64_e64 s3, 0, v[187:188]
	v_cndmask_b32_e32 v189, v168, v168, vcc_lo
	v_cndmask_b32_e64 v196, v188, v191, s3
	v_cndmask_b32_e64 v191, v170, v170, s2
	s_delay_alu instid0(VALU_DEP_2) | instskip(NEXT) | instid1(VALU_DEP_2)
	v_add_f64 v[193:194], v[193:194], v[195:196]
	v_add_f64 v[189:190], v[189:190], v[191:192]
	s_delay_alu instid0(VALU_DEP_1) | instskip(SKIP_4) | instid1(SALU_CYCLE_1)
	v_cmp_lt_f64_e32 vcc_lo, v[189:190], v[193:194]
	v_dual_cndmask_b32 v170, v170, v187 :: v_dual_cndmask_b32 v169, v169, v186
	v_dual_cndmask_b32 v168, v168, v185 :: v_dual_cndmask_b32 v171, v171, v188
	v_cndmask_b32_e64 v176, v176, s6, vcc_lo
	s_add_i32 s6, s6, 1
	s_cmp_lg_u32 s5, s6
	s_cbranch_scc1 .LBB82_43
.LBB82_44:
	s_set_inst_prefetch_distance 0x2
	s_waitcnt lgkmcnt(0)
	v_cmp_eq_f64_e32 vcc_lo, 0, v[168:169]
	v_cmp_eq_f64_e64 s2, 0, v[170:171]
	s_delay_alu instid0(VALU_DEP_1) | instskip(NEXT) | instid1(SALU_CYCLE_1)
	s_and_b32 s2, vcc_lo, s2
	s_and_saveexec_b32 s3, s2
	s_delay_alu instid0(SALU_CYCLE_1)
	s_xor_b32 s2, exec_lo, s3
; %bb.45:
	v_cmp_ne_u32_e32 vcc_lo, 0, v182
	v_cndmask_b32_e32 v182, 3, v182, vcc_lo
; %bb.46:
	s_and_not1_saveexec_b32 s3, s2
	s_cbranch_execz .LBB82_52
; %bb.47:
	v_cmp_gt_f64_e32 vcc_lo, 0, v[168:169]
	v_cmp_gt_f64_e64 s2, 0, v[170:171]
	v_xor_b32_e32 v177, 0x80000000, v169
	v_xor_b32_e32 v185, 0x80000000, v171
	s_delay_alu instid0(VALU_DEP_2) | instskip(NEXT) | instid1(VALU_DEP_2)
	v_cndmask_b32_e32 v186, v169, v177, vcc_lo
	v_cndmask_b32_e64 v188, v171, v185, s2
	v_cndmask_b32_e32 v185, v168, v168, vcc_lo
	v_cndmask_b32_e64 v187, v170, v170, s2
	s_mov_b32 s2, exec_lo
	s_delay_alu instid0(VALU_DEP_1)
	v_cmpx_ngt_f64_e32 v[185:186], v[187:188]
	s_xor_b32 s2, exec_lo, s2
	s_cbranch_execz .LBB82_49
; %bb.48:
	v_div_scale_f64 v[185:186], null, v[170:171], v[170:171], v[168:169]
	v_div_scale_f64 v[191:192], vcc_lo, v[168:169], v[170:171], v[168:169]
	s_delay_alu instid0(VALU_DEP_2) | instskip(SKIP_2) | instid1(VALU_DEP_1)
	v_rcp_f64_e32 v[187:188], v[185:186]
	s_waitcnt_depctr 0xfff
	v_fma_f64 v[189:190], -v[185:186], v[187:188], 1.0
	v_fma_f64 v[187:188], v[187:188], v[189:190], v[187:188]
	s_delay_alu instid0(VALU_DEP_1) | instskip(NEXT) | instid1(VALU_DEP_1)
	v_fma_f64 v[189:190], -v[185:186], v[187:188], 1.0
	v_fma_f64 v[187:188], v[187:188], v[189:190], v[187:188]
	s_delay_alu instid0(VALU_DEP_1) | instskip(NEXT) | instid1(VALU_DEP_1)
	v_mul_f64 v[189:190], v[191:192], v[187:188]
	v_fma_f64 v[185:186], -v[185:186], v[189:190], v[191:192]
	s_delay_alu instid0(VALU_DEP_1) | instskip(NEXT) | instid1(VALU_DEP_1)
	v_div_fmas_f64 v[185:186], v[185:186], v[187:188], v[189:190]
	v_div_fixup_f64 v[185:186], v[185:186], v[170:171], v[168:169]
	s_delay_alu instid0(VALU_DEP_1) | instskip(NEXT) | instid1(VALU_DEP_1)
	v_fma_f64 v[168:169], v[168:169], v[185:186], v[170:171]
	v_div_scale_f64 v[170:171], null, v[168:169], v[168:169], 1.0
	s_delay_alu instid0(VALU_DEP_1) | instskip(SKIP_2) | instid1(VALU_DEP_1)
	v_rcp_f64_e32 v[187:188], v[170:171]
	s_waitcnt_depctr 0xfff
	v_fma_f64 v[189:190], -v[170:171], v[187:188], 1.0
	v_fma_f64 v[187:188], v[187:188], v[189:190], v[187:188]
	s_delay_alu instid0(VALU_DEP_1) | instskip(NEXT) | instid1(VALU_DEP_1)
	v_fma_f64 v[189:190], -v[170:171], v[187:188], 1.0
	v_fma_f64 v[187:188], v[187:188], v[189:190], v[187:188]
	v_div_scale_f64 v[189:190], vcc_lo, 1.0, v[168:169], 1.0
	s_delay_alu instid0(VALU_DEP_1) | instskip(NEXT) | instid1(VALU_DEP_1)
	v_mul_f64 v[191:192], v[189:190], v[187:188]
	v_fma_f64 v[170:171], -v[170:171], v[191:192], v[189:190]
	s_delay_alu instid0(VALU_DEP_1) | instskip(NEXT) | instid1(VALU_DEP_1)
	v_div_fmas_f64 v[170:171], v[170:171], v[187:188], v[191:192]
	v_div_fixup_f64 v[170:171], v[170:171], v[168:169], 1.0
	s_delay_alu instid0(VALU_DEP_1)
	v_mul_f64 v[168:169], v[185:186], v[170:171]
	v_xor_b32_e32 v171, 0x80000000, v171
.LBB82_49:
	s_and_not1_saveexec_b32 s2, s2
	s_cbranch_execz .LBB82_51
; %bb.50:
	s_delay_alu instid0(VALU_DEP_1) | instskip(SKIP_1) | instid1(VALU_DEP_2)
	v_div_scale_f64 v[185:186], null, v[168:169], v[168:169], v[170:171]
	v_div_scale_f64 v[191:192], vcc_lo, v[170:171], v[168:169], v[170:171]
	v_rcp_f64_e32 v[187:188], v[185:186]
	s_waitcnt_depctr 0xfff
	v_fma_f64 v[189:190], -v[185:186], v[187:188], 1.0
	s_delay_alu instid0(VALU_DEP_1) | instskip(NEXT) | instid1(VALU_DEP_1)
	v_fma_f64 v[187:188], v[187:188], v[189:190], v[187:188]
	v_fma_f64 v[189:190], -v[185:186], v[187:188], 1.0
	s_delay_alu instid0(VALU_DEP_1) | instskip(NEXT) | instid1(VALU_DEP_1)
	v_fma_f64 v[187:188], v[187:188], v[189:190], v[187:188]
	v_mul_f64 v[189:190], v[191:192], v[187:188]
	s_delay_alu instid0(VALU_DEP_1) | instskip(NEXT) | instid1(VALU_DEP_1)
	v_fma_f64 v[185:186], -v[185:186], v[189:190], v[191:192]
	v_div_fmas_f64 v[185:186], v[185:186], v[187:188], v[189:190]
	s_delay_alu instid0(VALU_DEP_1) | instskip(NEXT) | instid1(VALU_DEP_1)
	v_div_fixup_f64 v[185:186], v[185:186], v[168:169], v[170:171]
	v_fma_f64 v[168:169], v[170:171], v[185:186], v[168:169]
	s_delay_alu instid0(VALU_DEP_1) | instskip(NEXT) | instid1(VALU_DEP_1)
	v_div_scale_f64 v[170:171], null, v[168:169], v[168:169], 1.0
	v_rcp_f64_e32 v[187:188], v[170:171]
	s_waitcnt_depctr 0xfff
	v_fma_f64 v[189:190], -v[170:171], v[187:188], 1.0
	s_delay_alu instid0(VALU_DEP_1) | instskip(NEXT) | instid1(VALU_DEP_1)
	v_fma_f64 v[187:188], v[187:188], v[189:190], v[187:188]
	v_fma_f64 v[189:190], -v[170:171], v[187:188], 1.0
	s_delay_alu instid0(VALU_DEP_1) | instskip(SKIP_1) | instid1(VALU_DEP_1)
	v_fma_f64 v[187:188], v[187:188], v[189:190], v[187:188]
	v_div_scale_f64 v[189:190], vcc_lo, 1.0, v[168:169], 1.0
	v_mul_f64 v[191:192], v[189:190], v[187:188]
	s_delay_alu instid0(VALU_DEP_1) | instskip(NEXT) | instid1(VALU_DEP_1)
	v_fma_f64 v[170:171], -v[170:171], v[191:192], v[189:190]
	v_div_fmas_f64 v[170:171], v[170:171], v[187:188], v[191:192]
	s_delay_alu instid0(VALU_DEP_1) | instskip(NEXT) | instid1(VALU_DEP_1)
	v_div_fixup_f64 v[168:169], v[170:171], v[168:169], 1.0
	v_mul_f64 v[170:171], v[185:186], -v[168:169]
.LBB82_51:
	s_or_b32 exec_lo, exec_lo, s2
.LBB82_52:
	s_delay_alu instid0(SALU_CYCLE_1) | instskip(NEXT) | instid1(SALU_CYCLE_1)
	s_or_b32 exec_lo, exec_lo, s3
	s_mov_b32 s2, exec_lo
	v_cmpx_ne_u32_e64 v184, v176
	s_xor_b32 s2, exec_lo, s2
	s_cbranch_execz .LBB82_58
; %bb.53:
	s_mov_b32 s3, exec_lo
	v_cmpx_eq_u32_e32 2, v184
	s_cbranch_execz .LBB82_57
; %bb.54:
	v_cmp_ne_u32_e32 vcc_lo, 2, v176
	s_xor_b32 s6, s4, -1
	s_delay_alu instid0(SALU_CYCLE_1) | instskip(NEXT) | instid1(SALU_CYCLE_1)
	s_and_b32 s7, s6, vcc_lo
	s_and_saveexec_b32 s6, s7
	s_cbranch_execz .LBB82_56
; %bb.55:
	v_ashrrev_i32_e32 v177, 31, v176
	s_delay_alu instid0(VALU_DEP_1) | instskip(NEXT) | instid1(VALU_DEP_1)
	v_lshlrev_b64 v[184:185], 2, v[176:177]
	v_add_co_u32 v184, vcc_lo, v174, v184
	s_delay_alu instid0(VALU_DEP_2)
	v_add_co_ci_u32_e32 v185, vcc_lo, v175, v185, vcc_lo
	s_clause 0x1
	flat_load_b32 v177, v[184:185]
	flat_load_b32 v181, v[174:175] offset:8
	s_waitcnt vmcnt(1) lgkmcnt(1)
	flat_store_b32 v[174:175], v177 offset:8
	s_waitcnt vmcnt(0) lgkmcnt(1)
	flat_store_b32 v[184:185], v181
.LBB82_56:
	s_or_b32 exec_lo, exec_lo, s6
	v_mov_b32_e32 v184, v176
	v_mov_b32_e32 v181, v176
.LBB82_57:
	s_or_b32 exec_lo, exec_lo, s3
.LBB82_58:
	s_and_not1_saveexec_b32 s2, s2
	s_cbranch_execz .LBB82_60
; %bb.59:
	v_mov_b32_e32 v184, 2
	ds_store_2addr_b64 v178, v[152:153], v[154:155] offset0:6 offset1:7
	ds_store_2addr_b64 v178, v[148:149], v[150:151] offset0:8 offset1:9
	;; [unrolled: 1-line block ×39, first 2 shown]
.LBB82_60:
	s_or_b32 exec_lo, exec_lo, s2
	s_delay_alu instid0(SALU_CYCLE_1)
	s_mov_b32 s2, exec_lo
	s_waitcnt lgkmcnt(0)
	s_waitcnt_vscnt null, 0x0
	s_barrier
	buffer_gl0_inv
	v_cmpx_lt_i32_e32 2, v184
	s_cbranch_execz .LBB82_62
; %bb.61:
	v_mul_f64 v[176:177], v[170:171], v[158:159]
	v_mul_f64 v[158:159], v[168:169], v[158:159]
	s_delay_alu instid0(VALU_DEP_2) | instskip(NEXT) | instid1(VALU_DEP_2)
	v_fma_f64 v[176:177], v[168:169], v[156:157], -v[176:177]
	v_fma_f64 v[158:159], v[170:171], v[156:157], v[158:159]
	ds_load_2addr_b64 v[168:171], v178 offset0:6 offset1:7
	s_waitcnt lgkmcnt(0)
	v_mul_f64 v[156:157], v[170:171], v[158:159]
	s_delay_alu instid0(VALU_DEP_1) | instskip(SKIP_1) | instid1(VALU_DEP_2)
	v_fma_f64 v[156:157], v[168:169], v[176:177], -v[156:157]
	v_mul_f64 v[168:169], v[168:169], v[158:159]
	v_add_f64 v[152:153], v[152:153], -v[156:157]
	s_delay_alu instid0(VALU_DEP_2) | instskip(NEXT) | instid1(VALU_DEP_1)
	v_fma_f64 v[168:169], v[170:171], v[176:177], v[168:169]
	v_add_f64 v[154:155], v[154:155], -v[168:169]
	ds_load_2addr_b64 v[168:171], v178 offset0:8 offset1:9
	s_waitcnt lgkmcnt(0)
	v_mul_f64 v[156:157], v[170:171], v[158:159]
	s_delay_alu instid0(VALU_DEP_1) | instskip(SKIP_1) | instid1(VALU_DEP_2)
	v_fma_f64 v[156:157], v[168:169], v[176:177], -v[156:157]
	v_mul_f64 v[168:169], v[168:169], v[158:159]
	v_add_f64 v[148:149], v[148:149], -v[156:157]
	s_delay_alu instid0(VALU_DEP_2) | instskip(NEXT) | instid1(VALU_DEP_1)
	v_fma_f64 v[168:169], v[170:171], v[176:177], v[168:169]
	v_add_f64 v[150:151], v[150:151], -v[168:169]
	ds_load_2addr_b64 v[168:171], v178 offset0:10 offset1:11
	s_waitcnt lgkmcnt(0)
	v_mul_f64 v[156:157], v[170:171], v[158:159]
	s_delay_alu instid0(VALU_DEP_1) | instskip(SKIP_1) | instid1(VALU_DEP_2)
	v_fma_f64 v[156:157], v[168:169], v[176:177], -v[156:157]
	v_mul_f64 v[168:169], v[168:169], v[158:159]
	v_add_f64 v[144:145], v[144:145], -v[156:157]
	s_delay_alu instid0(VALU_DEP_2) | instskip(NEXT) | instid1(VALU_DEP_1)
	v_fma_f64 v[168:169], v[170:171], v[176:177], v[168:169]
	v_add_f64 v[146:147], v[146:147], -v[168:169]
	ds_load_2addr_b64 v[168:171], v178 offset0:12 offset1:13
	s_waitcnt lgkmcnt(0)
	v_mul_f64 v[156:157], v[170:171], v[158:159]
	s_delay_alu instid0(VALU_DEP_1) | instskip(SKIP_1) | instid1(VALU_DEP_2)
	v_fma_f64 v[156:157], v[168:169], v[176:177], -v[156:157]
	v_mul_f64 v[168:169], v[168:169], v[158:159]
	v_add_f64 v[140:141], v[140:141], -v[156:157]
	s_delay_alu instid0(VALU_DEP_2) | instskip(NEXT) | instid1(VALU_DEP_1)
	v_fma_f64 v[168:169], v[170:171], v[176:177], v[168:169]
	v_add_f64 v[142:143], v[142:143], -v[168:169]
	ds_load_2addr_b64 v[168:171], v178 offset0:14 offset1:15
	s_waitcnt lgkmcnt(0)
	v_mul_f64 v[156:157], v[170:171], v[158:159]
	s_delay_alu instid0(VALU_DEP_1) | instskip(SKIP_1) | instid1(VALU_DEP_2)
	v_fma_f64 v[156:157], v[168:169], v[176:177], -v[156:157]
	v_mul_f64 v[168:169], v[168:169], v[158:159]
	v_add_f64 v[136:137], v[136:137], -v[156:157]
	s_delay_alu instid0(VALU_DEP_2) | instskip(NEXT) | instid1(VALU_DEP_1)
	v_fma_f64 v[168:169], v[170:171], v[176:177], v[168:169]
	v_add_f64 v[138:139], v[138:139], -v[168:169]
	ds_load_2addr_b64 v[168:171], v178 offset0:16 offset1:17
	s_waitcnt lgkmcnt(0)
	v_mul_f64 v[156:157], v[170:171], v[158:159]
	s_delay_alu instid0(VALU_DEP_1) | instskip(SKIP_1) | instid1(VALU_DEP_2)
	v_fma_f64 v[156:157], v[168:169], v[176:177], -v[156:157]
	v_mul_f64 v[168:169], v[168:169], v[158:159]
	v_add_f64 v[132:133], v[132:133], -v[156:157]
	s_delay_alu instid0(VALU_DEP_2) | instskip(NEXT) | instid1(VALU_DEP_1)
	v_fma_f64 v[168:169], v[170:171], v[176:177], v[168:169]
	v_add_f64 v[134:135], v[134:135], -v[168:169]
	ds_load_2addr_b64 v[168:171], v178 offset0:18 offset1:19
	s_waitcnt lgkmcnt(0)
	v_mul_f64 v[156:157], v[170:171], v[158:159]
	s_delay_alu instid0(VALU_DEP_1) | instskip(SKIP_1) | instid1(VALU_DEP_2)
	v_fma_f64 v[156:157], v[168:169], v[176:177], -v[156:157]
	v_mul_f64 v[168:169], v[168:169], v[158:159]
	v_add_f64 v[128:129], v[128:129], -v[156:157]
	s_delay_alu instid0(VALU_DEP_2) | instskip(NEXT) | instid1(VALU_DEP_1)
	v_fma_f64 v[168:169], v[170:171], v[176:177], v[168:169]
	v_add_f64 v[130:131], v[130:131], -v[168:169]
	ds_load_2addr_b64 v[168:171], v178 offset0:20 offset1:21
	s_waitcnt lgkmcnt(0)
	v_mul_f64 v[156:157], v[170:171], v[158:159]
	s_delay_alu instid0(VALU_DEP_1) | instskip(SKIP_1) | instid1(VALU_DEP_2)
	v_fma_f64 v[156:157], v[168:169], v[176:177], -v[156:157]
	v_mul_f64 v[168:169], v[168:169], v[158:159]
	v_add_f64 v[124:125], v[124:125], -v[156:157]
	s_delay_alu instid0(VALU_DEP_2) | instskip(NEXT) | instid1(VALU_DEP_1)
	v_fma_f64 v[168:169], v[170:171], v[176:177], v[168:169]
	v_add_f64 v[126:127], v[126:127], -v[168:169]
	ds_load_2addr_b64 v[168:171], v178 offset0:22 offset1:23
	s_waitcnt lgkmcnt(0)
	v_mul_f64 v[156:157], v[170:171], v[158:159]
	s_delay_alu instid0(VALU_DEP_1) | instskip(SKIP_1) | instid1(VALU_DEP_2)
	v_fma_f64 v[156:157], v[168:169], v[176:177], -v[156:157]
	v_mul_f64 v[168:169], v[168:169], v[158:159]
	v_add_f64 v[120:121], v[120:121], -v[156:157]
	s_delay_alu instid0(VALU_DEP_2) | instskip(NEXT) | instid1(VALU_DEP_1)
	v_fma_f64 v[168:169], v[170:171], v[176:177], v[168:169]
	v_add_f64 v[122:123], v[122:123], -v[168:169]
	ds_load_2addr_b64 v[168:171], v178 offset0:24 offset1:25
	s_waitcnt lgkmcnt(0)
	v_mul_f64 v[156:157], v[170:171], v[158:159]
	s_delay_alu instid0(VALU_DEP_1) | instskip(SKIP_1) | instid1(VALU_DEP_2)
	v_fma_f64 v[156:157], v[168:169], v[176:177], -v[156:157]
	v_mul_f64 v[168:169], v[168:169], v[158:159]
	v_add_f64 v[116:117], v[116:117], -v[156:157]
	s_delay_alu instid0(VALU_DEP_2) | instskip(NEXT) | instid1(VALU_DEP_1)
	v_fma_f64 v[168:169], v[170:171], v[176:177], v[168:169]
	v_add_f64 v[118:119], v[118:119], -v[168:169]
	ds_load_2addr_b64 v[168:171], v178 offset0:26 offset1:27
	s_waitcnt lgkmcnt(0)
	v_mul_f64 v[156:157], v[170:171], v[158:159]
	s_delay_alu instid0(VALU_DEP_1) | instskip(SKIP_1) | instid1(VALU_DEP_2)
	v_fma_f64 v[156:157], v[168:169], v[176:177], -v[156:157]
	v_mul_f64 v[168:169], v[168:169], v[158:159]
	v_add_f64 v[112:113], v[112:113], -v[156:157]
	s_delay_alu instid0(VALU_DEP_2) | instskip(NEXT) | instid1(VALU_DEP_1)
	v_fma_f64 v[168:169], v[170:171], v[176:177], v[168:169]
	v_add_f64 v[114:115], v[114:115], -v[168:169]
	ds_load_2addr_b64 v[168:171], v178 offset0:28 offset1:29
	s_waitcnt lgkmcnt(0)
	v_mul_f64 v[156:157], v[170:171], v[158:159]
	s_delay_alu instid0(VALU_DEP_1) | instskip(SKIP_1) | instid1(VALU_DEP_2)
	v_fma_f64 v[156:157], v[168:169], v[176:177], -v[156:157]
	v_mul_f64 v[168:169], v[168:169], v[158:159]
	v_add_f64 v[108:109], v[108:109], -v[156:157]
	s_delay_alu instid0(VALU_DEP_2) | instskip(NEXT) | instid1(VALU_DEP_1)
	v_fma_f64 v[168:169], v[170:171], v[176:177], v[168:169]
	v_add_f64 v[110:111], v[110:111], -v[168:169]
	ds_load_2addr_b64 v[168:171], v178 offset0:30 offset1:31
	s_waitcnt lgkmcnt(0)
	v_mul_f64 v[156:157], v[170:171], v[158:159]
	s_delay_alu instid0(VALU_DEP_1) | instskip(SKIP_1) | instid1(VALU_DEP_2)
	v_fma_f64 v[156:157], v[168:169], v[176:177], -v[156:157]
	v_mul_f64 v[168:169], v[168:169], v[158:159]
	v_add_f64 v[104:105], v[104:105], -v[156:157]
	s_delay_alu instid0(VALU_DEP_2) | instskip(NEXT) | instid1(VALU_DEP_1)
	v_fma_f64 v[168:169], v[170:171], v[176:177], v[168:169]
	v_add_f64 v[106:107], v[106:107], -v[168:169]
	ds_load_2addr_b64 v[168:171], v178 offset0:32 offset1:33
	s_waitcnt lgkmcnt(0)
	v_mul_f64 v[156:157], v[170:171], v[158:159]
	s_delay_alu instid0(VALU_DEP_1) | instskip(SKIP_1) | instid1(VALU_DEP_2)
	v_fma_f64 v[156:157], v[168:169], v[176:177], -v[156:157]
	v_mul_f64 v[168:169], v[168:169], v[158:159]
	v_add_f64 v[100:101], v[100:101], -v[156:157]
	s_delay_alu instid0(VALU_DEP_2) | instskip(NEXT) | instid1(VALU_DEP_1)
	v_fma_f64 v[168:169], v[170:171], v[176:177], v[168:169]
	v_add_f64 v[102:103], v[102:103], -v[168:169]
	ds_load_2addr_b64 v[168:171], v178 offset0:34 offset1:35
	s_waitcnt lgkmcnt(0)
	v_mul_f64 v[156:157], v[170:171], v[158:159]
	s_delay_alu instid0(VALU_DEP_1) | instskip(SKIP_1) | instid1(VALU_DEP_2)
	v_fma_f64 v[156:157], v[168:169], v[176:177], -v[156:157]
	v_mul_f64 v[168:169], v[168:169], v[158:159]
	v_add_f64 v[96:97], v[96:97], -v[156:157]
	s_delay_alu instid0(VALU_DEP_2) | instskip(NEXT) | instid1(VALU_DEP_1)
	v_fma_f64 v[168:169], v[170:171], v[176:177], v[168:169]
	v_add_f64 v[98:99], v[98:99], -v[168:169]
	ds_load_2addr_b64 v[168:171], v178 offset0:36 offset1:37
	s_waitcnt lgkmcnt(0)
	v_mul_f64 v[156:157], v[170:171], v[158:159]
	s_delay_alu instid0(VALU_DEP_1) | instskip(SKIP_1) | instid1(VALU_DEP_2)
	v_fma_f64 v[156:157], v[168:169], v[176:177], -v[156:157]
	v_mul_f64 v[168:169], v[168:169], v[158:159]
	v_add_f64 v[92:93], v[92:93], -v[156:157]
	s_delay_alu instid0(VALU_DEP_2) | instskip(NEXT) | instid1(VALU_DEP_1)
	v_fma_f64 v[168:169], v[170:171], v[176:177], v[168:169]
	v_add_f64 v[94:95], v[94:95], -v[168:169]
	ds_load_2addr_b64 v[168:171], v178 offset0:38 offset1:39
	s_waitcnt lgkmcnt(0)
	v_mul_f64 v[156:157], v[170:171], v[158:159]
	s_delay_alu instid0(VALU_DEP_1) | instskip(SKIP_1) | instid1(VALU_DEP_2)
	v_fma_f64 v[156:157], v[168:169], v[176:177], -v[156:157]
	v_mul_f64 v[168:169], v[168:169], v[158:159]
	v_add_f64 v[88:89], v[88:89], -v[156:157]
	s_delay_alu instid0(VALU_DEP_2) | instskip(NEXT) | instid1(VALU_DEP_1)
	v_fma_f64 v[168:169], v[170:171], v[176:177], v[168:169]
	v_add_f64 v[90:91], v[90:91], -v[168:169]
	ds_load_2addr_b64 v[168:171], v178 offset0:40 offset1:41
	s_waitcnt lgkmcnt(0)
	v_mul_f64 v[156:157], v[170:171], v[158:159]
	s_delay_alu instid0(VALU_DEP_1) | instskip(SKIP_1) | instid1(VALU_DEP_2)
	v_fma_f64 v[156:157], v[168:169], v[176:177], -v[156:157]
	v_mul_f64 v[168:169], v[168:169], v[158:159]
	v_add_f64 v[84:85], v[84:85], -v[156:157]
	s_delay_alu instid0(VALU_DEP_2) | instskip(NEXT) | instid1(VALU_DEP_1)
	v_fma_f64 v[168:169], v[170:171], v[176:177], v[168:169]
	v_add_f64 v[86:87], v[86:87], -v[168:169]
	ds_load_2addr_b64 v[168:171], v178 offset0:42 offset1:43
	s_waitcnt lgkmcnt(0)
	v_mul_f64 v[156:157], v[170:171], v[158:159]
	s_delay_alu instid0(VALU_DEP_1) | instskip(SKIP_1) | instid1(VALU_DEP_2)
	v_fma_f64 v[156:157], v[168:169], v[176:177], -v[156:157]
	v_mul_f64 v[168:169], v[168:169], v[158:159]
	v_add_f64 v[80:81], v[80:81], -v[156:157]
	s_delay_alu instid0(VALU_DEP_2) | instskip(NEXT) | instid1(VALU_DEP_1)
	v_fma_f64 v[168:169], v[170:171], v[176:177], v[168:169]
	v_add_f64 v[82:83], v[82:83], -v[168:169]
	ds_load_2addr_b64 v[168:171], v178 offset0:44 offset1:45
	s_waitcnt lgkmcnt(0)
	v_mul_f64 v[156:157], v[170:171], v[158:159]
	s_delay_alu instid0(VALU_DEP_1) | instskip(SKIP_1) | instid1(VALU_DEP_2)
	v_fma_f64 v[156:157], v[168:169], v[176:177], -v[156:157]
	v_mul_f64 v[168:169], v[168:169], v[158:159]
	v_add_f64 v[76:77], v[76:77], -v[156:157]
	s_delay_alu instid0(VALU_DEP_2) | instskip(NEXT) | instid1(VALU_DEP_1)
	v_fma_f64 v[168:169], v[170:171], v[176:177], v[168:169]
	v_add_f64 v[78:79], v[78:79], -v[168:169]
	ds_load_2addr_b64 v[168:171], v178 offset0:46 offset1:47
	s_waitcnt lgkmcnt(0)
	v_mul_f64 v[156:157], v[170:171], v[158:159]
	s_delay_alu instid0(VALU_DEP_1) | instskip(SKIP_1) | instid1(VALU_DEP_2)
	v_fma_f64 v[156:157], v[168:169], v[176:177], -v[156:157]
	v_mul_f64 v[168:169], v[168:169], v[158:159]
	v_add_f64 v[72:73], v[72:73], -v[156:157]
	s_delay_alu instid0(VALU_DEP_2) | instskip(NEXT) | instid1(VALU_DEP_1)
	v_fma_f64 v[168:169], v[170:171], v[176:177], v[168:169]
	v_add_f64 v[74:75], v[74:75], -v[168:169]
	ds_load_2addr_b64 v[168:171], v178 offset0:48 offset1:49
	s_waitcnt lgkmcnt(0)
	v_mul_f64 v[156:157], v[170:171], v[158:159]
	s_delay_alu instid0(VALU_DEP_1) | instskip(SKIP_1) | instid1(VALU_DEP_2)
	v_fma_f64 v[156:157], v[168:169], v[176:177], -v[156:157]
	v_mul_f64 v[168:169], v[168:169], v[158:159]
	v_add_f64 v[68:69], v[68:69], -v[156:157]
	s_delay_alu instid0(VALU_DEP_2) | instskip(NEXT) | instid1(VALU_DEP_1)
	v_fma_f64 v[168:169], v[170:171], v[176:177], v[168:169]
	v_add_f64 v[70:71], v[70:71], -v[168:169]
	ds_load_2addr_b64 v[168:171], v178 offset0:50 offset1:51
	s_waitcnt lgkmcnt(0)
	v_mul_f64 v[156:157], v[170:171], v[158:159]
	s_delay_alu instid0(VALU_DEP_1) | instskip(SKIP_1) | instid1(VALU_DEP_2)
	v_fma_f64 v[156:157], v[168:169], v[176:177], -v[156:157]
	v_mul_f64 v[168:169], v[168:169], v[158:159]
	v_add_f64 v[64:65], v[64:65], -v[156:157]
	s_delay_alu instid0(VALU_DEP_2) | instskip(NEXT) | instid1(VALU_DEP_1)
	v_fma_f64 v[168:169], v[170:171], v[176:177], v[168:169]
	v_add_f64 v[66:67], v[66:67], -v[168:169]
	ds_load_2addr_b64 v[168:171], v178 offset0:52 offset1:53
	s_waitcnt lgkmcnt(0)
	v_mul_f64 v[156:157], v[170:171], v[158:159]
	s_delay_alu instid0(VALU_DEP_1) | instskip(SKIP_1) | instid1(VALU_DEP_2)
	v_fma_f64 v[156:157], v[168:169], v[176:177], -v[156:157]
	v_mul_f64 v[168:169], v[168:169], v[158:159]
	v_add_f64 v[60:61], v[60:61], -v[156:157]
	s_delay_alu instid0(VALU_DEP_2) | instskip(NEXT) | instid1(VALU_DEP_1)
	v_fma_f64 v[168:169], v[170:171], v[176:177], v[168:169]
	v_add_f64 v[62:63], v[62:63], -v[168:169]
	ds_load_2addr_b64 v[168:171], v178 offset0:54 offset1:55
	s_waitcnt lgkmcnt(0)
	v_mul_f64 v[156:157], v[170:171], v[158:159]
	s_delay_alu instid0(VALU_DEP_1) | instskip(SKIP_1) | instid1(VALU_DEP_2)
	v_fma_f64 v[156:157], v[168:169], v[176:177], -v[156:157]
	v_mul_f64 v[168:169], v[168:169], v[158:159]
	v_add_f64 v[56:57], v[56:57], -v[156:157]
	s_delay_alu instid0(VALU_DEP_2) | instskip(NEXT) | instid1(VALU_DEP_1)
	v_fma_f64 v[168:169], v[170:171], v[176:177], v[168:169]
	v_add_f64 v[58:59], v[58:59], -v[168:169]
	ds_load_2addr_b64 v[168:171], v178 offset0:56 offset1:57
	s_waitcnt lgkmcnt(0)
	v_mul_f64 v[156:157], v[170:171], v[158:159]
	s_delay_alu instid0(VALU_DEP_1) | instskip(SKIP_1) | instid1(VALU_DEP_2)
	v_fma_f64 v[156:157], v[168:169], v[176:177], -v[156:157]
	v_mul_f64 v[168:169], v[168:169], v[158:159]
	v_add_f64 v[52:53], v[52:53], -v[156:157]
	s_delay_alu instid0(VALU_DEP_2) | instskip(NEXT) | instid1(VALU_DEP_1)
	v_fma_f64 v[168:169], v[170:171], v[176:177], v[168:169]
	v_add_f64 v[54:55], v[54:55], -v[168:169]
	ds_load_2addr_b64 v[168:171], v178 offset0:58 offset1:59
	s_waitcnt lgkmcnt(0)
	v_mul_f64 v[156:157], v[170:171], v[158:159]
	s_delay_alu instid0(VALU_DEP_1) | instskip(SKIP_1) | instid1(VALU_DEP_2)
	v_fma_f64 v[156:157], v[168:169], v[176:177], -v[156:157]
	v_mul_f64 v[168:169], v[168:169], v[158:159]
	v_add_f64 v[48:49], v[48:49], -v[156:157]
	s_delay_alu instid0(VALU_DEP_2) | instskip(NEXT) | instid1(VALU_DEP_1)
	v_fma_f64 v[168:169], v[170:171], v[176:177], v[168:169]
	v_add_f64 v[50:51], v[50:51], -v[168:169]
	ds_load_2addr_b64 v[168:171], v178 offset0:60 offset1:61
	s_waitcnt lgkmcnt(0)
	v_mul_f64 v[156:157], v[170:171], v[158:159]
	s_delay_alu instid0(VALU_DEP_1) | instskip(SKIP_1) | instid1(VALU_DEP_2)
	v_fma_f64 v[156:157], v[168:169], v[176:177], -v[156:157]
	v_mul_f64 v[168:169], v[168:169], v[158:159]
	v_add_f64 v[44:45], v[44:45], -v[156:157]
	s_delay_alu instid0(VALU_DEP_2) | instskip(NEXT) | instid1(VALU_DEP_1)
	v_fma_f64 v[168:169], v[170:171], v[176:177], v[168:169]
	v_add_f64 v[46:47], v[46:47], -v[168:169]
	ds_load_2addr_b64 v[168:171], v178 offset0:62 offset1:63
	s_waitcnt lgkmcnt(0)
	v_mul_f64 v[156:157], v[170:171], v[158:159]
	s_delay_alu instid0(VALU_DEP_1) | instskip(SKIP_1) | instid1(VALU_DEP_2)
	v_fma_f64 v[156:157], v[168:169], v[176:177], -v[156:157]
	v_mul_f64 v[168:169], v[168:169], v[158:159]
	v_add_f64 v[40:41], v[40:41], -v[156:157]
	s_delay_alu instid0(VALU_DEP_2) | instskip(NEXT) | instid1(VALU_DEP_1)
	v_fma_f64 v[168:169], v[170:171], v[176:177], v[168:169]
	v_add_f64 v[42:43], v[42:43], -v[168:169]
	ds_load_2addr_b64 v[168:171], v178 offset0:64 offset1:65
	s_waitcnt lgkmcnt(0)
	v_mul_f64 v[156:157], v[170:171], v[158:159]
	s_delay_alu instid0(VALU_DEP_1) | instskip(SKIP_1) | instid1(VALU_DEP_2)
	v_fma_f64 v[156:157], v[168:169], v[176:177], -v[156:157]
	v_mul_f64 v[168:169], v[168:169], v[158:159]
	v_add_f64 v[36:37], v[36:37], -v[156:157]
	s_delay_alu instid0(VALU_DEP_2) | instskip(NEXT) | instid1(VALU_DEP_1)
	v_fma_f64 v[168:169], v[170:171], v[176:177], v[168:169]
	v_add_f64 v[38:39], v[38:39], -v[168:169]
	ds_load_2addr_b64 v[168:171], v178 offset0:66 offset1:67
	s_waitcnt lgkmcnt(0)
	v_mul_f64 v[156:157], v[170:171], v[158:159]
	s_delay_alu instid0(VALU_DEP_1) | instskip(SKIP_1) | instid1(VALU_DEP_2)
	v_fma_f64 v[156:157], v[168:169], v[176:177], -v[156:157]
	v_mul_f64 v[168:169], v[168:169], v[158:159]
	v_add_f64 v[32:33], v[32:33], -v[156:157]
	s_delay_alu instid0(VALU_DEP_2) | instskip(NEXT) | instid1(VALU_DEP_1)
	v_fma_f64 v[168:169], v[170:171], v[176:177], v[168:169]
	v_add_f64 v[34:35], v[34:35], -v[168:169]
	ds_load_2addr_b64 v[168:171], v178 offset0:68 offset1:69
	s_waitcnt lgkmcnt(0)
	v_mul_f64 v[156:157], v[170:171], v[158:159]
	s_delay_alu instid0(VALU_DEP_1) | instskip(SKIP_1) | instid1(VALU_DEP_2)
	v_fma_f64 v[156:157], v[168:169], v[176:177], -v[156:157]
	v_mul_f64 v[168:169], v[168:169], v[158:159]
	v_add_f64 v[28:29], v[28:29], -v[156:157]
	s_delay_alu instid0(VALU_DEP_2) | instskip(NEXT) | instid1(VALU_DEP_1)
	v_fma_f64 v[168:169], v[170:171], v[176:177], v[168:169]
	v_add_f64 v[30:31], v[30:31], -v[168:169]
	ds_load_2addr_b64 v[168:171], v178 offset0:70 offset1:71
	s_waitcnt lgkmcnt(0)
	v_mul_f64 v[156:157], v[170:171], v[158:159]
	s_delay_alu instid0(VALU_DEP_1) | instskip(SKIP_1) | instid1(VALU_DEP_2)
	v_fma_f64 v[156:157], v[168:169], v[176:177], -v[156:157]
	v_mul_f64 v[168:169], v[168:169], v[158:159]
	v_add_f64 v[24:25], v[24:25], -v[156:157]
	s_delay_alu instid0(VALU_DEP_2) | instskip(NEXT) | instid1(VALU_DEP_1)
	v_fma_f64 v[168:169], v[170:171], v[176:177], v[168:169]
	v_add_f64 v[26:27], v[26:27], -v[168:169]
	ds_load_2addr_b64 v[168:171], v178 offset0:72 offset1:73
	s_waitcnt lgkmcnt(0)
	v_mul_f64 v[156:157], v[170:171], v[158:159]
	s_delay_alu instid0(VALU_DEP_1) | instskip(SKIP_1) | instid1(VALU_DEP_2)
	v_fma_f64 v[156:157], v[168:169], v[176:177], -v[156:157]
	v_mul_f64 v[168:169], v[168:169], v[158:159]
	v_add_f64 v[20:21], v[20:21], -v[156:157]
	s_delay_alu instid0(VALU_DEP_2) | instskip(NEXT) | instid1(VALU_DEP_1)
	v_fma_f64 v[168:169], v[170:171], v[176:177], v[168:169]
	v_add_f64 v[22:23], v[22:23], -v[168:169]
	ds_load_2addr_b64 v[168:171], v178 offset0:74 offset1:75
	s_waitcnt lgkmcnt(0)
	v_mul_f64 v[156:157], v[170:171], v[158:159]
	s_delay_alu instid0(VALU_DEP_1) | instskip(SKIP_1) | instid1(VALU_DEP_2)
	v_fma_f64 v[156:157], v[168:169], v[176:177], -v[156:157]
	v_mul_f64 v[168:169], v[168:169], v[158:159]
	v_add_f64 v[16:17], v[16:17], -v[156:157]
	s_delay_alu instid0(VALU_DEP_2) | instskip(NEXT) | instid1(VALU_DEP_1)
	v_fma_f64 v[168:169], v[170:171], v[176:177], v[168:169]
	v_add_f64 v[18:19], v[18:19], -v[168:169]
	ds_load_2addr_b64 v[168:171], v178 offset0:76 offset1:77
	s_waitcnt lgkmcnt(0)
	v_mul_f64 v[156:157], v[170:171], v[158:159]
	s_delay_alu instid0(VALU_DEP_1) | instskip(SKIP_1) | instid1(VALU_DEP_2)
	v_fma_f64 v[156:157], v[168:169], v[176:177], -v[156:157]
	v_mul_f64 v[168:169], v[168:169], v[158:159]
	v_add_f64 v[12:13], v[12:13], -v[156:157]
	s_delay_alu instid0(VALU_DEP_2) | instskip(NEXT) | instid1(VALU_DEP_1)
	v_fma_f64 v[168:169], v[170:171], v[176:177], v[168:169]
	v_add_f64 v[14:15], v[14:15], -v[168:169]
	ds_load_2addr_b64 v[168:171], v178 offset0:78 offset1:79
	s_waitcnt lgkmcnt(0)
	v_mul_f64 v[156:157], v[170:171], v[158:159]
	s_delay_alu instid0(VALU_DEP_1) | instskip(SKIP_1) | instid1(VALU_DEP_2)
	v_fma_f64 v[156:157], v[168:169], v[176:177], -v[156:157]
	v_mul_f64 v[168:169], v[168:169], v[158:159]
	v_add_f64 v[8:9], v[8:9], -v[156:157]
	s_delay_alu instid0(VALU_DEP_2) | instskip(NEXT) | instid1(VALU_DEP_1)
	v_fma_f64 v[168:169], v[170:171], v[176:177], v[168:169]
	v_add_f64 v[10:11], v[10:11], -v[168:169]
	ds_load_2addr_b64 v[168:171], v178 offset0:80 offset1:81
	s_waitcnt lgkmcnt(0)
	v_mul_f64 v[156:157], v[170:171], v[158:159]
	s_delay_alu instid0(VALU_DEP_1) | instskip(SKIP_1) | instid1(VALU_DEP_2)
	v_fma_f64 v[156:157], v[168:169], v[176:177], -v[156:157]
	v_mul_f64 v[168:169], v[168:169], v[158:159]
	v_add_f64 v[4:5], v[4:5], -v[156:157]
	s_delay_alu instid0(VALU_DEP_2) | instskip(NEXT) | instid1(VALU_DEP_1)
	v_fma_f64 v[168:169], v[170:171], v[176:177], v[168:169]
	v_add_f64 v[6:7], v[6:7], -v[168:169]
	ds_load_2addr_b64 v[168:171], v178 offset0:82 offset1:83
	s_waitcnt lgkmcnt(0)
	v_mul_f64 v[156:157], v[170:171], v[158:159]
	s_delay_alu instid0(VALU_DEP_1) | instskip(SKIP_1) | instid1(VALU_DEP_2)
	v_fma_f64 v[156:157], v[168:169], v[176:177], -v[156:157]
	v_mul_f64 v[168:169], v[168:169], v[158:159]
	v_add_f64 v[0:1], v[0:1], -v[156:157]
	s_delay_alu instid0(VALU_DEP_2) | instskip(SKIP_1) | instid1(VALU_DEP_2)
	v_fma_f64 v[168:169], v[170:171], v[176:177], v[168:169]
	v_dual_mov_b32 v156, v176 :: v_dual_mov_b32 v157, v177
	v_add_f64 v[2:3], v[2:3], -v[168:169]
.LBB82_62:
	s_or_b32 exec_lo, exec_lo, s2
	v_lshl_add_u32 v168, v184, 4, v178
	s_barrier
	buffer_gl0_inv
	v_mov_b32_e32 v176, 3
	ds_store_2addr_b64 v168, v[152:153], v[154:155] offset1:1
	s_waitcnt lgkmcnt(0)
	s_barrier
	buffer_gl0_inv
	ds_load_2addr_b64 v[168:171], v178 offset0:6 offset1:7
	s_cmp_lt_i32 s5, 5
	s_mov_b32 s6, 4
	s_cbranch_scc1 .LBB82_65
; %bb.63:
	v_add3_u32 v177, v183, 0, 64
	v_mov_b32_e32 v176, 3
	s_set_inst_prefetch_distance 0x1
	.p2align	6
.LBB82_64:                              ; =>This Inner Loop Header: Depth=1
	ds_load_2addr_b64 v[185:188], v177 offset1:1
	s_waitcnt lgkmcnt(1)
	v_cmp_gt_f64_e32 vcc_lo, 0, v[168:169]
	v_xor_b32_e32 v189, 0x80000000, v169
	v_cmp_gt_f64_e64 s2, 0, v[170:171]
	v_xor_b32_e32 v191, 0x80000000, v171
	v_add_nc_u32_e32 v177, 16, v177
	s_waitcnt lgkmcnt(0)
	v_cmp_gt_f64_e64 s3, 0, v[185:186]
	v_mov_b32_e32 v193, v185
	v_dual_mov_b32 v195, v187 :: v_dual_cndmask_b32 v190, v169, v189
	v_xor_b32_e32 v189, 0x80000000, v186
	v_cndmask_b32_e64 v192, v171, v191, s2
	v_xor_b32_e32 v191, 0x80000000, v188
	s_delay_alu instid0(VALU_DEP_3) | instskip(SKIP_2) | instid1(VALU_DEP_2)
	v_cndmask_b32_e64 v194, v186, v189, s3
	v_cmp_gt_f64_e64 s3, 0, v[187:188]
	v_cndmask_b32_e32 v189, v168, v168, vcc_lo
	v_cndmask_b32_e64 v196, v188, v191, s3
	v_cndmask_b32_e64 v191, v170, v170, s2
	s_delay_alu instid0(VALU_DEP_2) | instskip(NEXT) | instid1(VALU_DEP_2)
	v_add_f64 v[193:194], v[193:194], v[195:196]
	v_add_f64 v[189:190], v[189:190], v[191:192]
	s_delay_alu instid0(VALU_DEP_1) | instskip(SKIP_4) | instid1(SALU_CYCLE_1)
	v_cmp_lt_f64_e32 vcc_lo, v[189:190], v[193:194]
	v_dual_cndmask_b32 v170, v170, v187 :: v_dual_cndmask_b32 v169, v169, v186
	v_dual_cndmask_b32 v168, v168, v185 :: v_dual_cndmask_b32 v171, v171, v188
	v_cndmask_b32_e64 v176, v176, s6, vcc_lo
	s_add_i32 s6, s6, 1
	s_cmp_lg_u32 s5, s6
	s_cbranch_scc1 .LBB82_64
.LBB82_65:
	s_set_inst_prefetch_distance 0x2
	s_waitcnt lgkmcnt(0)
	v_cmp_eq_f64_e32 vcc_lo, 0, v[168:169]
	v_cmp_eq_f64_e64 s2, 0, v[170:171]
	s_delay_alu instid0(VALU_DEP_1) | instskip(NEXT) | instid1(SALU_CYCLE_1)
	s_and_b32 s2, vcc_lo, s2
	s_and_saveexec_b32 s3, s2
	s_delay_alu instid0(SALU_CYCLE_1)
	s_xor_b32 s2, exec_lo, s3
; %bb.66:
	v_cmp_ne_u32_e32 vcc_lo, 0, v182
	v_cndmask_b32_e32 v182, 4, v182, vcc_lo
; %bb.67:
	s_and_not1_saveexec_b32 s3, s2
	s_cbranch_execz .LBB82_73
; %bb.68:
	v_cmp_gt_f64_e32 vcc_lo, 0, v[168:169]
	v_cmp_gt_f64_e64 s2, 0, v[170:171]
	v_xor_b32_e32 v177, 0x80000000, v169
	v_xor_b32_e32 v185, 0x80000000, v171
	s_delay_alu instid0(VALU_DEP_2) | instskip(NEXT) | instid1(VALU_DEP_2)
	v_cndmask_b32_e32 v186, v169, v177, vcc_lo
	v_cndmask_b32_e64 v188, v171, v185, s2
	v_cndmask_b32_e32 v185, v168, v168, vcc_lo
	v_cndmask_b32_e64 v187, v170, v170, s2
	s_mov_b32 s2, exec_lo
	s_delay_alu instid0(VALU_DEP_1)
	v_cmpx_ngt_f64_e32 v[185:186], v[187:188]
	s_xor_b32 s2, exec_lo, s2
	s_cbranch_execz .LBB82_70
; %bb.69:
	v_div_scale_f64 v[185:186], null, v[170:171], v[170:171], v[168:169]
	v_div_scale_f64 v[191:192], vcc_lo, v[168:169], v[170:171], v[168:169]
	s_delay_alu instid0(VALU_DEP_2) | instskip(SKIP_2) | instid1(VALU_DEP_1)
	v_rcp_f64_e32 v[187:188], v[185:186]
	s_waitcnt_depctr 0xfff
	v_fma_f64 v[189:190], -v[185:186], v[187:188], 1.0
	v_fma_f64 v[187:188], v[187:188], v[189:190], v[187:188]
	s_delay_alu instid0(VALU_DEP_1) | instskip(NEXT) | instid1(VALU_DEP_1)
	v_fma_f64 v[189:190], -v[185:186], v[187:188], 1.0
	v_fma_f64 v[187:188], v[187:188], v[189:190], v[187:188]
	s_delay_alu instid0(VALU_DEP_1) | instskip(NEXT) | instid1(VALU_DEP_1)
	v_mul_f64 v[189:190], v[191:192], v[187:188]
	v_fma_f64 v[185:186], -v[185:186], v[189:190], v[191:192]
	s_delay_alu instid0(VALU_DEP_1) | instskip(NEXT) | instid1(VALU_DEP_1)
	v_div_fmas_f64 v[185:186], v[185:186], v[187:188], v[189:190]
	v_div_fixup_f64 v[185:186], v[185:186], v[170:171], v[168:169]
	s_delay_alu instid0(VALU_DEP_1) | instskip(NEXT) | instid1(VALU_DEP_1)
	v_fma_f64 v[168:169], v[168:169], v[185:186], v[170:171]
	v_div_scale_f64 v[170:171], null, v[168:169], v[168:169], 1.0
	s_delay_alu instid0(VALU_DEP_1) | instskip(SKIP_2) | instid1(VALU_DEP_1)
	v_rcp_f64_e32 v[187:188], v[170:171]
	s_waitcnt_depctr 0xfff
	v_fma_f64 v[189:190], -v[170:171], v[187:188], 1.0
	v_fma_f64 v[187:188], v[187:188], v[189:190], v[187:188]
	s_delay_alu instid0(VALU_DEP_1) | instskip(NEXT) | instid1(VALU_DEP_1)
	v_fma_f64 v[189:190], -v[170:171], v[187:188], 1.0
	v_fma_f64 v[187:188], v[187:188], v[189:190], v[187:188]
	v_div_scale_f64 v[189:190], vcc_lo, 1.0, v[168:169], 1.0
	s_delay_alu instid0(VALU_DEP_1) | instskip(NEXT) | instid1(VALU_DEP_1)
	v_mul_f64 v[191:192], v[189:190], v[187:188]
	v_fma_f64 v[170:171], -v[170:171], v[191:192], v[189:190]
	s_delay_alu instid0(VALU_DEP_1) | instskip(NEXT) | instid1(VALU_DEP_1)
	v_div_fmas_f64 v[170:171], v[170:171], v[187:188], v[191:192]
	v_div_fixup_f64 v[170:171], v[170:171], v[168:169], 1.0
	s_delay_alu instid0(VALU_DEP_1)
	v_mul_f64 v[168:169], v[185:186], v[170:171]
	v_xor_b32_e32 v171, 0x80000000, v171
.LBB82_70:
	s_and_not1_saveexec_b32 s2, s2
	s_cbranch_execz .LBB82_72
; %bb.71:
	s_delay_alu instid0(VALU_DEP_1) | instskip(SKIP_1) | instid1(VALU_DEP_2)
	v_div_scale_f64 v[185:186], null, v[168:169], v[168:169], v[170:171]
	v_div_scale_f64 v[191:192], vcc_lo, v[170:171], v[168:169], v[170:171]
	v_rcp_f64_e32 v[187:188], v[185:186]
	s_waitcnt_depctr 0xfff
	v_fma_f64 v[189:190], -v[185:186], v[187:188], 1.0
	s_delay_alu instid0(VALU_DEP_1) | instskip(NEXT) | instid1(VALU_DEP_1)
	v_fma_f64 v[187:188], v[187:188], v[189:190], v[187:188]
	v_fma_f64 v[189:190], -v[185:186], v[187:188], 1.0
	s_delay_alu instid0(VALU_DEP_1) | instskip(NEXT) | instid1(VALU_DEP_1)
	v_fma_f64 v[187:188], v[187:188], v[189:190], v[187:188]
	v_mul_f64 v[189:190], v[191:192], v[187:188]
	s_delay_alu instid0(VALU_DEP_1) | instskip(NEXT) | instid1(VALU_DEP_1)
	v_fma_f64 v[185:186], -v[185:186], v[189:190], v[191:192]
	v_div_fmas_f64 v[185:186], v[185:186], v[187:188], v[189:190]
	s_delay_alu instid0(VALU_DEP_1) | instskip(NEXT) | instid1(VALU_DEP_1)
	v_div_fixup_f64 v[185:186], v[185:186], v[168:169], v[170:171]
	v_fma_f64 v[168:169], v[170:171], v[185:186], v[168:169]
	s_delay_alu instid0(VALU_DEP_1) | instskip(NEXT) | instid1(VALU_DEP_1)
	v_div_scale_f64 v[170:171], null, v[168:169], v[168:169], 1.0
	v_rcp_f64_e32 v[187:188], v[170:171]
	s_waitcnt_depctr 0xfff
	v_fma_f64 v[189:190], -v[170:171], v[187:188], 1.0
	s_delay_alu instid0(VALU_DEP_1) | instskip(NEXT) | instid1(VALU_DEP_1)
	v_fma_f64 v[187:188], v[187:188], v[189:190], v[187:188]
	v_fma_f64 v[189:190], -v[170:171], v[187:188], 1.0
	s_delay_alu instid0(VALU_DEP_1) | instskip(SKIP_1) | instid1(VALU_DEP_1)
	v_fma_f64 v[187:188], v[187:188], v[189:190], v[187:188]
	v_div_scale_f64 v[189:190], vcc_lo, 1.0, v[168:169], 1.0
	v_mul_f64 v[191:192], v[189:190], v[187:188]
	s_delay_alu instid0(VALU_DEP_1) | instskip(NEXT) | instid1(VALU_DEP_1)
	v_fma_f64 v[170:171], -v[170:171], v[191:192], v[189:190]
	v_div_fmas_f64 v[170:171], v[170:171], v[187:188], v[191:192]
	s_delay_alu instid0(VALU_DEP_1) | instskip(NEXT) | instid1(VALU_DEP_1)
	v_div_fixup_f64 v[168:169], v[170:171], v[168:169], 1.0
	v_mul_f64 v[170:171], v[185:186], -v[168:169]
.LBB82_72:
	s_or_b32 exec_lo, exec_lo, s2
.LBB82_73:
	s_delay_alu instid0(SALU_CYCLE_1) | instskip(NEXT) | instid1(SALU_CYCLE_1)
	s_or_b32 exec_lo, exec_lo, s3
	s_mov_b32 s2, exec_lo
	v_cmpx_ne_u32_e64 v184, v176
	s_xor_b32 s2, exec_lo, s2
	s_cbranch_execz .LBB82_79
; %bb.74:
	s_mov_b32 s3, exec_lo
	v_cmpx_eq_u32_e32 3, v184
	s_cbranch_execz .LBB82_78
; %bb.75:
	v_cmp_ne_u32_e32 vcc_lo, 3, v176
	s_xor_b32 s6, s4, -1
	s_delay_alu instid0(SALU_CYCLE_1) | instskip(NEXT) | instid1(SALU_CYCLE_1)
	s_and_b32 s7, s6, vcc_lo
	s_and_saveexec_b32 s6, s7
	s_cbranch_execz .LBB82_77
; %bb.76:
	v_ashrrev_i32_e32 v177, 31, v176
	s_delay_alu instid0(VALU_DEP_1) | instskip(NEXT) | instid1(VALU_DEP_1)
	v_lshlrev_b64 v[184:185], 2, v[176:177]
	v_add_co_u32 v184, vcc_lo, v174, v184
	s_delay_alu instid0(VALU_DEP_2)
	v_add_co_ci_u32_e32 v185, vcc_lo, v175, v185, vcc_lo
	s_clause 0x1
	flat_load_b32 v177, v[184:185]
	flat_load_b32 v181, v[174:175] offset:12
	s_waitcnt vmcnt(1) lgkmcnt(1)
	flat_store_b32 v[174:175], v177 offset:12
	s_waitcnt vmcnt(0) lgkmcnt(1)
	flat_store_b32 v[184:185], v181
.LBB82_77:
	s_or_b32 exec_lo, exec_lo, s6
	v_mov_b32_e32 v184, v176
	v_mov_b32_e32 v181, v176
.LBB82_78:
	s_or_b32 exec_lo, exec_lo, s3
.LBB82_79:
	s_and_not1_saveexec_b32 s2, s2
	s_cbranch_execz .LBB82_81
; %bb.80:
	v_mov_b32_e32 v184, 3
	ds_store_2addr_b64 v178, v[148:149], v[150:151] offset0:8 offset1:9
	ds_store_2addr_b64 v178, v[144:145], v[146:147] offset0:10 offset1:11
	;; [unrolled: 1-line block ×38, first 2 shown]
.LBB82_81:
	s_or_b32 exec_lo, exec_lo, s2
	s_delay_alu instid0(SALU_CYCLE_1)
	s_mov_b32 s2, exec_lo
	s_waitcnt lgkmcnt(0)
	s_waitcnt_vscnt null, 0x0
	s_barrier
	buffer_gl0_inv
	v_cmpx_lt_i32_e32 3, v184
	s_cbranch_execz .LBB82_83
; %bb.82:
	v_mul_f64 v[176:177], v[170:171], v[154:155]
	v_mul_f64 v[154:155], v[168:169], v[154:155]
	s_delay_alu instid0(VALU_DEP_2) | instskip(NEXT) | instid1(VALU_DEP_2)
	v_fma_f64 v[176:177], v[168:169], v[152:153], -v[176:177]
	v_fma_f64 v[154:155], v[170:171], v[152:153], v[154:155]
	ds_load_2addr_b64 v[168:171], v178 offset0:8 offset1:9
	s_waitcnt lgkmcnt(0)
	v_mul_f64 v[152:153], v[170:171], v[154:155]
	s_delay_alu instid0(VALU_DEP_1) | instskip(SKIP_1) | instid1(VALU_DEP_2)
	v_fma_f64 v[152:153], v[168:169], v[176:177], -v[152:153]
	v_mul_f64 v[168:169], v[168:169], v[154:155]
	v_add_f64 v[148:149], v[148:149], -v[152:153]
	s_delay_alu instid0(VALU_DEP_2) | instskip(NEXT) | instid1(VALU_DEP_1)
	v_fma_f64 v[168:169], v[170:171], v[176:177], v[168:169]
	v_add_f64 v[150:151], v[150:151], -v[168:169]
	ds_load_2addr_b64 v[168:171], v178 offset0:10 offset1:11
	s_waitcnt lgkmcnt(0)
	v_mul_f64 v[152:153], v[170:171], v[154:155]
	s_delay_alu instid0(VALU_DEP_1) | instskip(SKIP_1) | instid1(VALU_DEP_2)
	v_fma_f64 v[152:153], v[168:169], v[176:177], -v[152:153]
	v_mul_f64 v[168:169], v[168:169], v[154:155]
	v_add_f64 v[144:145], v[144:145], -v[152:153]
	s_delay_alu instid0(VALU_DEP_2) | instskip(NEXT) | instid1(VALU_DEP_1)
	v_fma_f64 v[168:169], v[170:171], v[176:177], v[168:169]
	v_add_f64 v[146:147], v[146:147], -v[168:169]
	ds_load_2addr_b64 v[168:171], v178 offset0:12 offset1:13
	s_waitcnt lgkmcnt(0)
	v_mul_f64 v[152:153], v[170:171], v[154:155]
	s_delay_alu instid0(VALU_DEP_1) | instskip(SKIP_1) | instid1(VALU_DEP_2)
	v_fma_f64 v[152:153], v[168:169], v[176:177], -v[152:153]
	v_mul_f64 v[168:169], v[168:169], v[154:155]
	v_add_f64 v[140:141], v[140:141], -v[152:153]
	s_delay_alu instid0(VALU_DEP_2) | instskip(NEXT) | instid1(VALU_DEP_1)
	v_fma_f64 v[168:169], v[170:171], v[176:177], v[168:169]
	v_add_f64 v[142:143], v[142:143], -v[168:169]
	ds_load_2addr_b64 v[168:171], v178 offset0:14 offset1:15
	s_waitcnt lgkmcnt(0)
	v_mul_f64 v[152:153], v[170:171], v[154:155]
	s_delay_alu instid0(VALU_DEP_1) | instskip(SKIP_1) | instid1(VALU_DEP_2)
	v_fma_f64 v[152:153], v[168:169], v[176:177], -v[152:153]
	v_mul_f64 v[168:169], v[168:169], v[154:155]
	v_add_f64 v[136:137], v[136:137], -v[152:153]
	s_delay_alu instid0(VALU_DEP_2) | instskip(NEXT) | instid1(VALU_DEP_1)
	v_fma_f64 v[168:169], v[170:171], v[176:177], v[168:169]
	v_add_f64 v[138:139], v[138:139], -v[168:169]
	ds_load_2addr_b64 v[168:171], v178 offset0:16 offset1:17
	s_waitcnt lgkmcnt(0)
	v_mul_f64 v[152:153], v[170:171], v[154:155]
	s_delay_alu instid0(VALU_DEP_1) | instskip(SKIP_1) | instid1(VALU_DEP_2)
	v_fma_f64 v[152:153], v[168:169], v[176:177], -v[152:153]
	v_mul_f64 v[168:169], v[168:169], v[154:155]
	v_add_f64 v[132:133], v[132:133], -v[152:153]
	s_delay_alu instid0(VALU_DEP_2) | instskip(NEXT) | instid1(VALU_DEP_1)
	v_fma_f64 v[168:169], v[170:171], v[176:177], v[168:169]
	v_add_f64 v[134:135], v[134:135], -v[168:169]
	ds_load_2addr_b64 v[168:171], v178 offset0:18 offset1:19
	s_waitcnt lgkmcnt(0)
	v_mul_f64 v[152:153], v[170:171], v[154:155]
	s_delay_alu instid0(VALU_DEP_1) | instskip(SKIP_1) | instid1(VALU_DEP_2)
	v_fma_f64 v[152:153], v[168:169], v[176:177], -v[152:153]
	v_mul_f64 v[168:169], v[168:169], v[154:155]
	v_add_f64 v[128:129], v[128:129], -v[152:153]
	s_delay_alu instid0(VALU_DEP_2) | instskip(NEXT) | instid1(VALU_DEP_1)
	v_fma_f64 v[168:169], v[170:171], v[176:177], v[168:169]
	v_add_f64 v[130:131], v[130:131], -v[168:169]
	ds_load_2addr_b64 v[168:171], v178 offset0:20 offset1:21
	s_waitcnt lgkmcnt(0)
	v_mul_f64 v[152:153], v[170:171], v[154:155]
	s_delay_alu instid0(VALU_DEP_1) | instskip(SKIP_1) | instid1(VALU_DEP_2)
	v_fma_f64 v[152:153], v[168:169], v[176:177], -v[152:153]
	v_mul_f64 v[168:169], v[168:169], v[154:155]
	v_add_f64 v[124:125], v[124:125], -v[152:153]
	s_delay_alu instid0(VALU_DEP_2) | instskip(NEXT) | instid1(VALU_DEP_1)
	v_fma_f64 v[168:169], v[170:171], v[176:177], v[168:169]
	v_add_f64 v[126:127], v[126:127], -v[168:169]
	ds_load_2addr_b64 v[168:171], v178 offset0:22 offset1:23
	s_waitcnt lgkmcnt(0)
	v_mul_f64 v[152:153], v[170:171], v[154:155]
	s_delay_alu instid0(VALU_DEP_1) | instskip(SKIP_1) | instid1(VALU_DEP_2)
	v_fma_f64 v[152:153], v[168:169], v[176:177], -v[152:153]
	v_mul_f64 v[168:169], v[168:169], v[154:155]
	v_add_f64 v[120:121], v[120:121], -v[152:153]
	s_delay_alu instid0(VALU_DEP_2) | instskip(NEXT) | instid1(VALU_DEP_1)
	v_fma_f64 v[168:169], v[170:171], v[176:177], v[168:169]
	v_add_f64 v[122:123], v[122:123], -v[168:169]
	ds_load_2addr_b64 v[168:171], v178 offset0:24 offset1:25
	s_waitcnt lgkmcnt(0)
	v_mul_f64 v[152:153], v[170:171], v[154:155]
	s_delay_alu instid0(VALU_DEP_1) | instskip(SKIP_1) | instid1(VALU_DEP_2)
	v_fma_f64 v[152:153], v[168:169], v[176:177], -v[152:153]
	v_mul_f64 v[168:169], v[168:169], v[154:155]
	v_add_f64 v[116:117], v[116:117], -v[152:153]
	s_delay_alu instid0(VALU_DEP_2) | instskip(NEXT) | instid1(VALU_DEP_1)
	v_fma_f64 v[168:169], v[170:171], v[176:177], v[168:169]
	v_add_f64 v[118:119], v[118:119], -v[168:169]
	ds_load_2addr_b64 v[168:171], v178 offset0:26 offset1:27
	s_waitcnt lgkmcnt(0)
	v_mul_f64 v[152:153], v[170:171], v[154:155]
	s_delay_alu instid0(VALU_DEP_1) | instskip(SKIP_1) | instid1(VALU_DEP_2)
	v_fma_f64 v[152:153], v[168:169], v[176:177], -v[152:153]
	v_mul_f64 v[168:169], v[168:169], v[154:155]
	v_add_f64 v[112:113], v[112:113], -v[152:153]
	s_delay_alu instid0(VALU_DEP_2) | instskip(NEXT) | instid1(VALU_DEP_1)
	v_fma_f64 v[168:169], v[170:171], v[176:177], v[168:169]
	v_add_f64 v[114:115], v[114:115], -v[168:169]
	ds_load_2addr_b64 v[168:171], v178 offset0:28 offset1:29
	s_waitcnt lgkmcnt(0)
	v_mul_f64 v[152:153], v[170:171], v[154:155]
	s_delay_alu instid0(VALU_DEP_1) | instskip(SKIP_1) | instid1(VALU_DEP_2)
	v_fma_f64 v[152:153], v[168:169], v[176:177], -v[152:153]
	v_mul_f64 v[168:169], v[168:169], v[154:155]
	v_add_f64 v[108:109], v[108:109], -v[152:153]
	s_delay_alu instid0(VALU_DEP_2) | instskip(NEXT) | instid1(VALU_DEP_1)
	v_fma_f64 v[168:169], v[170:171], v[176:177], v[168:169]
	v_add_f64 v[110:111], v[110:111], -v[168:169]
	ds_load_2addr_b64 v[168:171], v178 offset0:30 offset1:31
	s_waitcnt lgkmcnt(0)
	v_mul_f64 v[152:153], v[170:171], v[154:155]
	s_delay_alu instid0(VALU_DEP_1) | instskip(SKIP_1) | instid1(VALU_DEP_2)
	v_fma_f64 v[152:153], v[168:169], v[176:177], -v[152:153]
	v_mul_f64 v[168:169], v[168:169], v[154:155]
	v_add_f64 v[104:105], v[104:105], -v[152:153]
	s_delay_alu instid0(VALU_DEP_2) | instskip(NEXT) | instid1(VALU_DEP_1)
	v_fma_f64 v[168:169], v[170:171], v[176:177], v[168:169]
	v_add_f64 v[106:107], v[106:107], -v[168:169]
	ds_load_2addr_b64 v[168:171], v178 offset0:32 offset1:33
	s_waitcnt lgkmcnt(0)
	v_mul_f64 v[152:153], v[170:171], v[154:155]
	s_delay_alu instid0(VALU_DEP_1) | instskip(SKIP_1) | instid1(VALU_DEP_2)
	v_fma_f64 v[152:153], v[168:169], v[176:177], -v[152:153]
	v_mul_f64 v[168:169], v[168:169], v[154:155]
	v_add_f64 v[100:101], v[100:101], -v[152:153]
	s_delay_alu instid0(VALU_DEP_2) | instskip(NEXT) | instid1(VALU_DEP_1)
	v_fma_f64 v[168:169], v[170:171], v[176:177], v[168:169]
	v_add_f64 v[102:103], v[102:103], -v[168:169]
	ds_load_2addr_b64 v[168:171], v178 offset0:34 offset1:35
	s_waitcnt lgkmcnt(0)
	v_mul_f64 v[152:153], v[170:171], v[154:155]
	s_delay_alu instid0(VALU_DEP_1) | instskip(SKIP_1) | instid1(VALU_DEP_2)
	v_fma_f64 v[152:153], v[168:169], v[176:177], -v[152:153]
	v_mul_f64 v[168:169], v[168:169], v[154:155]
	v_add_f64 v[96:97], v[96:97], -v[152:153]
	s_delay_alu instid0(VALU_DEP_2) | instskip(NEXT) | instid1(VALU_DEP_1)
	v_fma_f64 v[168:169], v[170:171], v[176:177], v[168:169]
	v_add_f64 v[98:99], v[98:99], -v[168:169]
	ds_load_2addr_b64 v[168:171], v178 offset0:36 offset1:37
	s_waitcnt lgkmcnt(0)
	v_mul_f64 v[152:153], v[170:171], v[154:155]
	s_delay_alu instid0(VALU_DEP_1) | instskip(SKIP_1) | instid1(VALU_DEP_2)
	v_fma_f64 v[152:153], v[168:169], v[176:177], -v[152:153]
	v_mul_f64 v[168:169], v[168:169], v[154:155]
	v_add_f64 v[92:93], v[92:93], -v[152:153]
	s_delay_alu instid0(VALU_DEP_2) | instskip(NEXT) | instid1(VALU_DEP_1)
	v_fma_f64 v[168:169], v[170:171], v[176:177], v[168:169]
	v_add_f64 v[94:95], v[94:95], -v[168:169]
	ds_load_2addr_b64 v[168:171], v178 offset0:38 offset1:39
	s_waitcnt lgkmcnt(0)
	v_mul_f64 v[152:153], v[170:171], v[154:155]
	s_delay_alu instid0(VALU_DEP_1) | instskip(SKIP_1) | instid1(VALU_DEP_2)
	v_fma_f64 v[152:153], v[168:169], v[176:177], -v[152:153]
	v_mul_f64 v[168:169], v[168:169], v[154:155]
	v_add_f64 v[88:89], v[88:89], -v[152:153]
	s_delay_alu instid0(VALU_DEP_2) | instskip(NEXT) | instid1(VALU_DEP_1)
	v_fma_f64 v[168:169], v[170:171], v[176:177], v[168:169]
	v_add_f64 v[90:91], v[90:91], -v[168:169]
	ds_load_2addr_b64 v[168:171], v178 offset0:40 offset1:41
	s_waitcnt lgkmcnt(0)
	v_mul_f64 v[152:153], v[170:171], v[154:155]
	s_delay_alu instid0(VALU_DEP_1) | instskip(SKIP_1) | instid1(VALU_DEP_2)
	v_fma_f64 v[152:153], v[168:169], v[176:177], -v[152:153]
	v_mul_f64 v[168:169], v[168:169], v[154:155]
	v_add_f64 v[84:85], v[84:85], -v[152:153]
	s_delay_alu instid0(VALU_DEP_2) | instskip(NEXT) | instid1(VALU_DEP_1)
	v_fma_f64 v[168:169], v[170:171], v[176:177], v[168:169]
	v_add_f64 v[86:87], v[86:87], -v[168:169]
	ds_load_2addr_b64 v[168:171], v178 offset0:42 offset1:43
	s_waitcnt lgkmcnt(0)
	v_mul_f64 v[152:153], v[170:171], v[154:155]
	s_delay_alu instid0(VALU_DEP_1) | instskip(SKIP_1) | instid1(VALU_DEP_2)
	v_fma_f64 v[152:153], v[168:169], v[176:177], -v[152:153]
	v_mul_f64 v[168:169], v[168:169], v[154:155]
	v_add_f64 v[80:81], v[80:81], -v[152:153]
	s_delay_alu instid0(VALU_DEP_2) | instskip(NEXT) | instid1(VALU_DEP_1)
	v_fma_f64 v[168:169], v[170:171], v[176:177], v[168:169]
	v_add_f64 v[82:83], v[82:83], -v[168:169]
	ds_load_2addr_b64 v[168:171], v178 offset0:44 offset1:45
	s_waitcnt lgkmcnt(0)
	v_mul_f64 v[152:153], v[170:171], v[154:155]
	s_delay_alu instid0(VALU_DEP_1) | instskip(SKIP_1) | instid1(VALU_DEP_2)
	v_fma_f64 v[152:153], v[168:169], v[176:177], -v[152:153]
	v_mul_f64 v[168:169], v[168:169], v[154:155]
	v_add_f64 v[76:77], v[76:77], -v[152:153]
	s_delay_alu instid0(VALU_DEP_2) | instskip(NEXT) | instid1(VALU_DEP_1)
	v_fma_f64 v[168:169], v[170:171], v[176:177], v[168:169]
	v_add_f64 v[78:79], v[78:79], -v[168:169]
	ds_load_2addr_b64 v[168:171], v178 offset0:46 offset1:47
	s_waitcnt lgkmcnt(0)
	v_mul_f64 v[152:153], v[170:171], v[154:155]
	s_delay_alu instid0(VALU_DEP_1) | instskip(SKIP_1) | instid1(VALU_DEP_2)
	v_fma_f64 v[152:153], v[168:169], v[176:177], -v[152:153]
	v_mul_f64 v[168:169], v[168:169], v[154:155]
	v_add_f64 v[72:73], v[72:73], -v[152:153]
	s_delay_alu instid0(VALU_DEP_2) | instskip(NEXT) | instid1(VALU_DEP_1)
	v_fma_f64 v[168:169], v[170:171], v[176:177], v[168:169]
	v_add_f64 v[74:75], v[74:75], -v[168:169]
	ds_load_2addr_b64 v[168:171], v178 offset0:48 offset1:49
	s_waitcnt lgkmcnt(0)
	v_mul_f64 v[152:153], v[170:171], v[154:155]
	s_delay_alu instid0(VALU_DEP_1) | instskip(SKIP_1) | instid1(VALU_DEP_2)
	v_fma_f64 v[152:153], v[168:169], v[176:177], -v[152:153]
	v_mul_f64 v[168:169], v[168:169], v[154:155]
	v_add_f64 v[68:69], v[68:69], -v[152:153]
	s_delay_alu instid0(VALU_DEP_2) | instskip(NEXT) | instid1(VALU_DEP_1)
	v_fma_f64 v[168:169], v[170:171], v[176:177], v[168:169]
	v_add_f64 v[70:71], v[70:71], -v[168:169]
	ds_load_2addr_b64 v[168:171], v178 offset0:50 offset1:51
	s_waitcnt lgkmcnt(0)
	v_mul_f64 v[152:153], v[170:171], v[154:155]
	s_delay_alu instid0(VALU_DEP_1) | instskip(SKIP_1) | instid1(VALU_DEP_2)
	v_fma_f64 v[152:153], v[168:169], v[176:177], -v[152:153]
	v_mul_f64 v[168:169], v[168:169], v[154:155]
	v_add_f64 v[64:65], v[64:65], -v[152:153]
	s_delay_alu instid0(VALU_DEP_2) | instskip(NEXT) | instid1(VALU_DEP_1)
	v_fma_f64 v[168:169], v[170:171], v[176:177], v[168:169]
	v_add_f64 v[66:67], v[66:67], -v[168:169]
	ds_load_2addr_b64 v[168:171], v178 offset0:52 offset1:53
	s_waitcnt lgkmcnt(0)
	v_mul_f64 v[152:153], v[170:171], v[154:155]
	s_delay_alu instid0(VALU_DEP_1) | instskip(SKIP_1) | instid1(VALU_DEP_2)
	v_fma_f64 v[152:153], v[168:169], v[176:177], -v[152:153]
	v_mul_f64 v[168:169], v[168:169], v[154:155]
	v_add_f64 v[60:61], v[60:61], -v[152:153]
	s_delay_alu instid0(VALU_DEP_2) | instskip(NEXT) | instid1(VALU_DEP_1)
	v_fma_f64 v[168:169], v[170:171], v[176:177], v[168:169]
	v_add_f64 v[62:63], v[62:63], -v[168:169]
	ds_load_2addr_b64 v[168:171], v178 offset0:54 offset1:55
	s_waitcnt lgkmcnt(0)
	v_mul_f64 v[152:153], v[170:171], v[154:155]
	s_delay_alu instid0(VALU_DEP_1) | instskip(SKIP_1) | instid1(VALU_DEP_2)
	v_fma_f64 v[152:153], v[168:169], v[176:177], -v[152:153]
	v_mul_f64 v[168:169], v[168:169], v[154:155]
	v_add_f64 v[56:57], v[56:57], -v[152:153]
	s_delay_alu instid0(VALU_DEP_2) | instskip(NEXT) | instid1(VALU_DEP_1)
	v_fma_f64 v[168:169], v[170:171], v[176:177], v[168:169]
	v_add_f64 v[58:59], v[58:59], -v[168:169]
	ds_load_2addr_b64 v[168:171], v178 offset0:56 offset1:57
	s_waitcnt lgkmcnt(0)
	v_mul_f64 v[152:153], v[170:171], v[154:155]
	s_delay_alu instid0(VALU_DEP_1) | instskip(SKIP_1) | instid1(VALU_DEP_2)
	v_fma_f64 v[152:153], v[168:169], v[176:177], -v[152:153]
	v_mul_f64 v[168:169], v[168:169], v[154:155]
	v_add_f64 v[52:53], v[52:53], -v[152:153]
	s_delay_alu instid0(VALU_DEP_2) | instskip(NEXT) | instid1(VALU_DEP_1)
	v_fma_f64 v[168:169], v[170:171], v[176:177], v[168:169]
	v_add_f64 v[54:55], v[54:55], -v[168:169]
	ds_load_2addr_b64 v[168:171], v178 offset0:58 offset1:59
	s_waitcnt lgkmcnt(0)
	v_mul_f64 v[152:153], v[170:171], v[154:155]
	s_delay_alu instid0(VALU_DEP_1) | instskip(SKIP_1) | instid1(VALU_DEP_2)
	v_fma_f64 v[152:153], v[168:169], v[176:177], -v[152:153]
	v_mul_f64 v[168:169], v[168:169], v[154:155]
	v_add_f64 v[48:49], v[48:49], -v[152:153]
	s_delay_alu instid0(VALU_DEP_2) | instskip(NEXT) | instid1(VALU_DEP_1)
	v_fma_f64 v[168:169], v[170:171], v[176:177], v[168:169]
	v_add_f64 v[50:51], v[50:51], -v[168:169]
	ds_load_2addr_b64 v[168:171], v178 offset0:60 offset1:61
	s_waitcnt lgkmcnt(0)
	v_mul_f64 v[152:153], v[170:171], v[154:155]
	s_delay_alu instid0(VALU_DEP_1) | instskip(SKIP_1) | instid1(VALU_DEP_2)
	v_fma_f64 v[152:153], v[168:169], v[176:177], -v[152:153]
	v_mul_f64 v[168:169], v[168:169], v[154:155]
	v_add_f64 v[44:45], v[44:45], -v[152:153]
	s_delay_alu instid0(VALU_DEP_2) | instskip(NEXT) | instid1(VALU_DEP_1)
	v_fma_f64 v[168:169], v[170:171], v[176:177], v[168:169]
	v_add_f64 v[46:47], v[46:47], -v[168:169]
	ds_load_2addr_b64 v[168:171], v178 offset0:62 offset1:63
	s_waitcnt lgkmcnt(0)
	v_mul_f64 v[152:153], v[170:171], v[154:155]
	s_delay_alu instid0(VALU_DEP_1) | instskip(SKIP_1) | instid1(VALU_DEP_2)
	v_fma_f64 v[152:153], v[168:169], v[176:177], -v[152:153]
	v_mul_f64 v[168:169], v[168:169], v[154:155]
	v_add_f64 v[40:41], v[40:41], -v[152:153]
	s_delay_alu instid0(VALU_DEP_2) | instskip(NEXT) | instid1(VALU_DEP_1)
	v_fma_f64 v[168:169], v[170:171], v[176:177], v[168:169]
	v_add_f64 v[42:43], v[42:43], -v[168:169]
	ds_load_2addr_b64 v[168:171], v178 offset0:64 offset1:65
	s_waitcnt lgkmcnt(0)
	v_mul_f64 v[152:153], v[170:171], v[154:155]
	s_delay_alu instid0(VALU_DEP_1) | instskip(SKIP_1) | instid1(VALU_DEP_2)
	v_fma_f64 v[152:153], v[168:169], v[176:177], -v[152:153]
	v_mul_f64 v[168:169], v[168:169], v[154:155]
	v_add_f64 v[36:37], v[36:37], -v[152:153]
	s_delay_alu instid0(VALU_DEP_2) | instskip(NEXT) | instid1(VALU_DEP_1)
	v_fma_f64 v[168:169], v[170:171], v[176:177], v[168:169]
	v_add_f64 v[38:39], v[38:39], -v[168:169]
	ds_load_2addr_b64 v[168:171], v178 offset0:66 offset1:67
	s_waitcnt lgkmcnt(0)
	v_mul_f64 v[152:153], v[170:171], v[154:155]
	s_delay_alu instid0(VALU_DEP_1) | instskip(SKIP_1) | instid1(VALU_DEP_2)
	v_fma_f64 v[152:153], v[168:169], v[176:177], -v[152:153]
	v_mul_f64 v[168:169], v[168:169], v[154:155]
	v_add_f64 v[32:33], v[32:33], -v[152:153]
	s_delay_alu instid0(VALU_DEP_2) | instskip(NEXT) | instid1(VALU_DEP_1)
	v_fma_f64 v[168:169], v[170:171], v[176:177], v[168:169]
	v_add_f64 v[34:35], v[34:35], -v[168:169]
	ds_load_2addr_b64 v[168:171], v178 offset0:68 offset1:69
	s_waitcnt lgkmcnt(0)
	v_mul_f64 v[152:153], v[170:171], v[154:155]
	s_delay_alu instid0(VALU_DEP_1) | instskip(SKIP_1) | instid1(VALU_DEP_2)
	v_fma_f64 v[152:153], v[168:169], v[176:177], -v[152:153]
	v_mul_f64 v[168:169], v[168:169], v[154:155]
	v_add_f64 v[28:29], v[28:29], -v[152:153]
	s_delay_alu instid0(VALU_DEP_2) | instskip(NEXT) | instid1(VALU_DEP_1)
	v_fma_f64 v[168:169], v[170:171], v[176:177], v[168:169]
	v_add_f64 v[30:31], v[30:31], -v[168:169]
	ds_load_2addr_b64 v[168:171], v178 offset0:70 offset1:71
	s_waitcnt lgkmcnt(0)
	v_mul_f64 v[152:153], v[170:171], v[154:155]
	s_delay_alu instid0(VALU_DEP_1) | instskip(SKIP_1) | instid1(VALU_DEP_2)
	v_fma_f64 v[152:153], v[168:169], v[176:177], -v[152:153]
	v_mul_f64 v[168:169], v[168:169], v[154:155]
	v_add_f64 v[24:25], v[24:25], -v[152:153]
	s_delay_alu instid0(VALU_DEP_2) | instskip(NEXT) | instid1(VALU_DEP_1)
	v_fma_f64 v[168:169], v[170:171], v[176:177], v[168:169]
	v_add_f64 v[26:27], v[26:27], -v[168:169]
	ds_load_2addr_b64 v[168:171], v178 offset0:72 offset1:73
	s_waitcnt lgkmcnt(0)
	v_mul_f64 v[152:153], v[170:171], v[154:155]
	s_delay_alu instid0(VALU_DEP_1) | instskip(SKIP_1) | instid1(VALU_DEP_2)
	v_fma_f64 v[152:153], v[168:169], v[176:177], -v[152:153]
	v_mul_f64 v[168:169], v[168:169], v[154:155]
	v_add_f64 v[20:21], v[20:21], -v[152:153]
	s_delay_alu instid0(VALU_DEP_2) | instskip(NEXT) | instid1(VALU_DEP_1)
	v_fma_f64 v[168:169], v[170:171], v[176:177], v[168:169]
	v_add_f64 v[22:23], v[22:23], -v[168:169]
	ds_load_2addr_b64 v[168:171], v178 offset0:74 offset1:75
	s_waitcnt lgkmcnt(0)
	v_mul_f64 v[152:153], v[170:171], v[154:155]
	s_delay_alu instid0(VALU_DEP_1) | instskip(SKIP_1) | instid1(VALU_DEP_2)
	v_fma_f64 v[152:153], v[168:169], v[176:177], -v[152:153]
	v_mul_f64 v[168:169], v[168:169], v[154:155]
	v_add_f64 v[16:17], v[16:17], -v[152:153]
	s_delay_alu instid0(VALU_DEP_2) | instskip(NEXT) | instid1(VALU_DEP_1)
	v_fma_f64 v[168:169], v[170:171], v[176:177], v[168:169]
	v_add_f64 v[18:19], v[18:19], -v[168:169]
	ds_load_2addr_b64 v[168:171], v178 offset0:76 offset1:77
	s_waitcnt lgkmcnt(0)
	v_mul_f64 v[152:153], v[170:171], v[154:155]
	s_delay_alu instid0(VALU_DEP_1) | instskip(SKIP_1) | instid1(VALU_DEP_2)
	v_fma_f64 v[152:153], v[168:169], v[176:177], -v[152:153]
	v_mul_f64 v[168:169], v[168:169], v[154:155]
	v_add_f64 v[12:13], v[12:13], -v[152:153]
	s_delay_alu instid0(VALU_DEP_2) | instskip(NEXT) | instid1(VALU_DEP_1)
	v_fma_f64 v[168:169], v[170:171], v[176:177], v[168:169]
	v_add_f64 v[14:15], v[14:15], -v[168:169]
	ds_load_2addr_b64 v[168:171], v178 offset0:78 offset1:79
	s_waitcnt lgkmcnt(0)
	v_mul_f64 v[152:153], v[170:171], v[154:155]
	s_delay_alu instid0(VALU_DEP_1) | instskip(SKIP_1) | instid1(VALU_DEP_2)
	v_fma_f64 v[152:153], v[168:169], v[176:177], -v[152:153]
	v_mul_f64 v[168:169], v[168:169], v[154:155]
	v_add_f64 v[8:9], v[8:9], -v[152:153]
	s_delay_alu instid0(VALU_DEP_2) | instskip(NEXT) | instid1(VALU_DEP_1)
	v_fma_f64 v[168:169], v[170:171], v[176:177], v[168:169]
	v_add_f64 v[10:11], v[10:11], -v[168:169]
	ds_load_2addr_b64 v[168:171], v178 offset0:80 offset1:81
	s_waitcnt lgkmcnt(0)
	v_mul_f64 v[152:153], v[170:171], v[154:155]
	s_delay_alu instid0(VALU_DEP_1) | instskip(SKIP_1) | instid1(VALU_DEP_2)
	v_fma_f64 v[152:153], v[168:169], v[176:177], -v[152:153]
	v_mul_f64 v[168:169], v[168:169], v[154:155]
	v_add_f64 v[4:5], v[4:5], -v[152:153]
	s_delay_alu instid0(VALU_DEP_2) | instskip(NEXT) | instid1(VALU_DEP_1)
	v_fma_f64 v[168:169], v[170:171], v[176:177], v[168:169]
	v_add_f64 v[6:7], v[6:7], -v[168:169]
	ds_load_2addr_b64 v[168:171], v178 offset0:82 offset1:83
	s_waitcnt lgkmcnt(0)
	v_mul_f64 v[152:153], v[170:171], v[154:155]
	s_delay_alu instid0(VALU_DEP_1) | instskip(SKIP_1) | instid1(VALU_DEP_2)
	v_fma_f64 v[152:153], v[168:169], v[176:177], -v[152:153]
	v_mul_f64 v[168:169], v[168:169], v[154:155]
	v_add_f64 v[0:1], v[0:1], -v[152:153]
	s_delay_alu instid0(VALU_DEP_2) | instskip(SKIP_1) | instid1(VALU_DEP_2)
	v_fma_f64 v[168:169], v[170:171], v[176:177], v[168:169]
	v_dual_mov_b32 v152, v176 :: v_dual_mov_b32 v153, v177
	v_add_f64 v[2:3], v[2:3], -v[168:169]
.LBB82_83:
	s_or_b32 exec_lo, exec_lo, s2
	v_lshl_add_u32 v168, v184, 4, v178
	s_barrier
	buffer_gl0_inv
	v_mov_b32_e32 v176, 4
	ds_store_2addr_b64 v168, v[148:149], v[150:151] offset1:1
	s_waitcnt lgkmcnt(0)
	s_barrier
	buffer_gl0_inv
	ds_load_2addr_b64 v[168:171], v178 offset0:8 offset1:9
	s_cmp_lt_i32 s5, 6
	s_cbranch_scc1 .LBB82_86
; %bb.84:
	v_add3_u32 v177, v183, 0, 0x50
	v_mov_b32_e32 v176, 4
	s_mov_b32 s6, 5
	s_set_inst_prefetch_distance 0x1
	.p2align	6
.LBB82_85:                              ; =>This Inner Loop Header: Depth=1
	ds_load_2addr_b64 v[185:188], v177 offset1:1
	s_waitcnt lgkmcnt(1)
	v_cmp_gt_f64_e32 vcc_lo, 0, v[168:169]
	v_xor_b32_e32 v189, 0x80000000, v169
	v_cmp_gt_f64_e64 s2, 0, v[170:171]
	v_xor_b32_e32 v191, 0x80000000, v171
	v_add_nc_u32_e32 v177, 16, v177
	s_waitcnt lgkmcnt(0)
	v_cmp_gt_f64_e64 s3, 0, v[185:186]
	v_mov_b32_e32 v193, v185
	v_dual_mov_b32 v195, v187 :: v_dual_cndmask_b32 v190, v169, v189
	v_xor_b32_e32 v189, 0x80000000, v186
	v_cndmask_b32_e64 v192, v171, v191, s2
	v_xor_b32_e32 v191, 0x80000000, v188
	s_delay_alu instid0(VALU_DEP_3) | instskip(SKIP_2) | instid1(VALU_DEP_2)
	v_cndmask_b32_e64 v194, v186, v189, s3
	v_cmp_gt_f64_e64 s3, 0, v[187:188]
	v_cndmask_b32_e32 v189, v168, v168, vcc_lo
	v_cndmask_b32_e64 v196, v188, v191, s3
	v_cndmask_b32_e64 v191, v170, v170, s2
	s_delay_alu instid0(VALU_DEP_2) | instskip(NEXT) | instid1(VALU_DEP_2)
	v_add_f64 v[193:194], v[193:194], v[195:196]
	v_add_f64 v[189:190], v[189:190], v[191:192]
	s_delay_alu instid0(VALU_DEP_1) | instskip(SKIP_4) | instid1(SALU_CYCLE_1)
	v_cmp_lt_f64_e32 vcc_lo, v[189:190], v[193:194]
	v_dual_cndmask_b32 v170, v170, v187 :: v_dual_cndmask_b32 v169, v169, v186
	v_dual_cndmask_b32 v168, v168, v185 :: v_dual_cndmask_b32 v171, v171, v188
	v_cndmask_b32_e64 v176, v176, s6, vcc_lo
	s_add_i32 s6, s6, 1
	s_cmp_lg_u32 s5, s6
	s_cbranch_scc1 .LBB82_85
.LBB82_86:
	s_set_inst_prefetch_distance 0x2
	s_waitcnt lgkmcnt(0)
	v_cmp_eq_f64_e32 vcc_lo, 0, v[168:169]
	v_cmp_eq_f64_e64 s2, 0, v[170:171]
	s_delay_alu instid0(VALU_DEP_1) | instskip(NEXT) | instid1(SALU_CYCLE_1)
	s_and_b32 s2, vcc_lo, s2
	s_and_saveexec_b32 s3, s2
	s_delay_alu instid0(SALU_CYCLE_1)
	s_xor_b32 s2, exec_lo, s3
; %bb.87:
	v_cmp_ne_u32_e32 vcc_lo, 0, v182
	v_cndmask_b32_e32 v182, 5, v182, vcc_lo
; %bb.88:
	s_and_not1_saveexec_b32 s3, s2
	s_cbranch_execz .LBB82_94
; %bb.89:
	v_cmp_gt_f64_e32 vcc_lo, 0, v[168:169]
	v_cmp_gt_f64_e64 s2, 0, v[170:171]
	v_xor_b32_e32 v177, 0x80000000, v169
	v_xor_b32_e32 v185, 0x80000000, v171
	s_delay_alu instid0(VALU_DEP_2) | instskip(NEXT) | instid1(VALU_DEP_2)
	v_cndmask_b32_e32 v186, v169, v177, vcc_lo
	v_cndmask_b32_e64 v188, v171, v185, s2
	v_cndmask_b32_e32 v185, v168, v168, vcc_lo
	v_cndmask_b32_e64 v187, v170, v170, s2
	s_mov_b32 s2, exec_lo
	s_delay_alu instid0(VALU_DEP_1)
	v_cmpx_ngt_f64_e32 v[185:186], v[187:188]
	s_xor_b32 s2, exec_lo, s2
	s_cbranch_execz .LBB82_91
; %bb.90:
	v_div_scale_f64 v[185:186], null, v[170:171], v[170:171], v[168:169]
	v_div_scale_f64 v[191:192], vcc_lo, v[168:169], v[170:171], v[168:169]
	s_delay_alu instid0(VALU_DEP_2) | instskip(SKIP_2) | instid1(VALU_DEP_1)
	v_rcp_f64_e32 v[187:188], v[185:186]
	s_waitcnt_depctr 0xfff
	v_fma_f64 v[189:190], -v[185:186], v[187:188], 1.0
	v_fma_f64 v[187:188], v[187:188], v[189:190], v[187:188]
	s_delay_alu instid0(VALU_DEP_1) | instskip(NEXT) | instid1(VALU_DEP_1)
	v_fma_f64 v[189:190], -v[185:186], v[187:188], 1.0
	v_fma_f64 v[187:188], v[187:188], v[189:190], v[187:188]
	s_delay_alu instid0(VALU_DEP_1) | instskip(NEXT) | instid1(VALU_DEP_1)
	v_mul_f64 v[189:190], v[191:192], v[187:188]
	v_fma_f64 v[185:186], -v[185:186], v[189:190], v[191:192]
	s_delay_alu instid0(VALU_DEP_1) | instskip(NEXT) | instid1(VALU_DEP_1)
	v_div_fmas_f64 v[185:186], v[185:186], v[187:188], v[189:190]
	v_div_fixup_f64 v[185:186], v[185:186], v[170:171], v[168:169]
	s_delay_alu instid0(VALU_DEP_1) | instskip(NEXT) | instid1(VALU_DEP_1)
	v_fma_f64 v[168:169], v[168:169], v[185:186], v[170:171]
	v_div_scale_f64 v[170:171], null, v[168:169], v[168:169], 1.0
	s_delay_alu instid0(VALU_DEP_1) | instskip(SKIP_2) | instid1(VALU_DEP_1)
	v_rcp_f64_e32 v[187:188], v[170:171]
	s_waitcnt_depctr 0xfff
	v_fma_f64 v[189:190], -v[170:171], v[187:188], 1.0
	v_fma_f64 v[187:188], v[187:188], v[189:190], v[187:188]
	s_delay_alu instid0(VALU_DEP_1) | instskip(NEXT) | instid1(VALU_DEP_1)
	v_fma_f64 v[189:190], -v[170:171], v[187:188], 1.0
	v_fma_f64 v[187:188], v[187:188], v[189:190], v[187:188]
	v_div_scale_f64 v[189:190], vcc_lo, 1.0, v[168:169], 1.0
	s_delay_alu instid0(VALU_DEP_1) | instskip(NEXT) | instid1(VALU_DEP_1)
	v_mul_f64 v[191:192], v[189:190], v[187:188]
	v_fma_f64 v[170:171], -v[170:171], v[191:192], v[189:190]
	s_delay_alu instid0(VALU_DEP_1) | instskip(NEXT) | instid1(VALU_DEP_1)
	v_div_fmas_f64 v[170:171], v[170:171], v[187:188], v[191:192]
	v_div_fixup_f64 v[170:171], v[170:171], v[168:169], 1.0
	s_delay_alu instid0(VALU_DEP_1)
	v_mul_f64 v[168:169], v[185:186], v[170:171]
	v_xor_b32_e32 v171, 0x80000000, v171
.LBB82_91:
	s_and_not1_saveexec_b32 s2, s2
	s_cbranch_execz .LBB82_93
; %bb.92:
	s_delay_alu instid0(VALU_DEP_1) | instskip(SKIP_1) | instid1(VALU_DEP_2)
	v_div_scale_f64 v[185:186], null, v[168:169], v[168:169], v[170:171]
	v_div_scale_f64 v[191:192], vcc_lo, v[170:171], v[168:169], v[170:171]
	v_rcp_f64_e32 v[187:188], v[185:186]
	s_waitcnt_depctr 0xfff
	v_fma_f64 v[189:190], -v[185:186], v[187:188], 1.0
	s_delay_alu instid0(VALU_DEP_1) | instskip(NEXT) | instid1(VALU_DEP_1)
	v_fma_f64 v[187:188], v[187:188], v[189:190], v[187:188]
	v_fma_f64 v[189:190], -v[185:186], v[187:188], 1.0
	s_delay_alu instid0(VALU_DEP_1) | instskip(NEXT) | instid1(VALU_DEP_1)
	v_fma_f64 v[187:188], v[187:188], v[189:190], v[187:188]
	v_mul_f64 v[189:190], v[191:192], v[187:188]
	s_delay_alu instid0(VALU_DEP_1) | instskip(NEXT) | instid1(VALU_DEP_1)
	v_fma_f64 v[185:186], -v[185:186], v[189:190], v[191:192]
	v_div_fmas_f64 v[185:186], v[185:186], v[187:188], v[189:190]
	s_delay_alu instid0(VALU_DEP_1) | instskip(NEXT) | instid1(VALU_DEP_1)
	v_div_fixup_f64 v[185:186], v[185:186], v[168:169], v[170:171]
	v_fma_f64 v[168:169], v[170:171], v[185:186], v[168:169]
	s_delay_alu instid0(VALU_DEP_1) | instskip(NEXT) | instid1(VALU_DEP_1)
	v_div_scale_f64 v[170:171], null, v[168:169], v[168:169], 1.0
	v_rcp_f64_e32 v[187:188], v[170:171]
	s_waitcnt_depctr 0xfff
	v_fma_f64 v[189:190], -v[170:171], v[187:188], 1.0
	s_delay_alu instid0(VALU_DEP_1) | instskip(NEXT) | instid1(VALU_DEP_1)
	v_fma_f64 v[187:188], v[187:188], v[189:190], v[187:188]
	v_fma_f64 v[189:190], -v[170:171], v[187:188], 1.0
	s_delay_alu instid0(VALU_DEP_1) | instskip(SKIP_1) | instid1(VALU_DEP_1)
	v_fma_f64 v[187:188], v[187:188], v[189:190], v[187:188]
	v_div_scale_f64 v[189:190], vcc_lo, 1.0, v[168:169], 1.0
	v_mul_f64 v[191:192], v[189:190], v[187:188]
	s_delay_alu instid0(VALU_DEP_1) | instskip(NEXT) | instid1(VALU_DEP_1)
	v_fma_f64 v[170:171], -v[170:171], v[191:192], v[189:190]
	v_div_fmas_f64 v[170:171], v[170:171], v[187:188], v[191:192]
	s_delay_alu instid0(VALU_DEP_1) | instskip(NEXT) | instid1(VALU_DEP_1)
	v_div_fixup_f64 v[168:169], v[170:171], v[168:169], 1.0
	v_mul_f64 v[170:171], v[185:186], -v[168:169]
.LBB82_93:
	s_or_b32 exec_lo, exec_lo, s2
.LBB82_94:
	s_delay_alu instid0(SALU_CYCLE_1) | instskip(NEXT) | instid1(SALU_CYCLE_1)
	s_or_b32 exec_lo, exec_lo, s3
	s_mov_b32 s2, exec_lo
	v_cmpx_ne_u32_e64 v184, v176
	s_xor_b32 s2, exec_lo, s2
	s_cbranch_execz .LBB82_100
; %bb.95:
	s_mov_b32 s3, exec_lo
	v_cmpx_eq_u32_e32 4, v184
	s_cbranch_execz .LBB82_99
; %bb.96:
	v_cmp_ne_u32_e32 vcc_lo, 4, v176
	s_xor_b32 s6, s4, -1
	s_delay_alu instid0(SALU_CYCLE_1) | instskip(NEXT) | instid1(SALU_CYCLE_1)
	s_and_b32 s7, s6, vcc_lo
	s_and_saveexec_b32 s6, s7
	s_cbranch_execz .LBB82_98
; %bb.97:
	v_ashrrev_i32_e32 v177, 31, v176
	s_delay_alu instid0(VALU_DEP_1) | instskip(NEXT) | instid1(VALU_DEP_1)
	v_lshlrev_b64 v[184:185], 2, v[176:177]
	v_add_co_u32 v184, vcc_lo, v174, v184
	s_delay_alu instid0(VALU_DEP_2)
	v_add_co_ci_u32_e32 v185, vcc_lo, v175, v185, vcc_lo
	s_clause 0x1
	flat_load_b32 v177, v[184:185]
	flat_load_b32 v181, v[174:175] offset:16
	s_waitcnt vmcnt(1) lgkmcnt(1)
	flat_store_b32 v[174:175], v177 offset:16
	s_waitcnt vmcnt(0) lgkmcnt(1)
	flat_store_b32 v[184:185], v181
.LBB82_98:
	s_or_b32 exec_lo, exec_lo, s6
	v_mov_b32_e32 v184, v176
	v_mov_b32_e32 v181, v176
.LBB82_99:
	s_or_b32 exec_lo, exec_lo, s3
.LBB82_100:
	s_and_not1_saveexec_b32 s2, s2
	s_cbranch_execz .LBB82_102
; %bb.101:
	v_mov_b32_e32 v184, 4
	ds_store_2addr_b64 v178, v[144:145], v[146:147] offset0:10 offset1:11
	ds_store_2addr_b64 v178, v[140:141], v[142:143] offset0:12 offset1:13
	;; [unrolled: 1-line block ×37, first 2 shown]
.LBB82_102:
	s_or_b32 exec_lo, exec_lo, s2
	s_delay_alu instid0(SALU_CYCLE_1)
	s_mov_b32 s2, exec_lo
	s_waitcnt lgkmcnt(0)
	s_waitcnt_vscnt null, 0x0
	s_barrier
	buffer_gl0_inv
	v_cmpx_lt_i32_e32 4, v184
	s_cbranch_execz .LBB82_104
; %bb.103:
	v_mul_f64 v[176:177], v[170:171], v[150:151]
	v_mul_f64 v[150:151], v[168:169], v[150:151]
	s_delay_alu instid0(VALU_DEP_2) | instskip(NEXT) | instid1(VALU_DEP_2)
	v_fma_f64 v[176:177], v[168:169], v[148:149], -v[176:177]
	v_fma_f64 v[150:151], v[170:171], v[148:149], v[150:151]
	ds_load_2addr_b64 v[168:171], v178 offset0:10 offset1:11
	s_waitcnt lgkmcnt(0)
	v_mul_f64 v[148:149], v[170:171], v[150:151]
	s_delay_alu instid0(VALU_DEP_1) | instskip(SKIP_1) | instid1(VALU_DEP_2)
	v_fma_f64 v[148:149], v[168:169], v[176:177], -v[148:149]
	v_mul_f64 v[168:169], v[168:169], v[150:151]
	v_add_f64 v[144:145], v[144:145], -v[148:149]
	s_delay_alu instid0(VALU_DEP_2) | instskip(NEXT) | instid1(VALU_DEP_1)
	v_fma_f64 v[168:169], v[170:171], v[176:177], v[168:169]
	v_add_f64 v[146:147], v[146:147], -v[168:169]
	ds_load_2addr_b64 v[168:171], v178 offset0:12 offset1:13
	s_waitcnt lgkmcnt(0)
	v_mul_f64 v[148:149], v[170:171], v[150:151]
	s_delay_alu instid0(VALU_DEP_1) | instskip(SKIP_1) | instid1(VALU_DEP_2)
	v_fma_f64 v[148:149], v[168:169], v[176:177], -v[148:149]
	v_mul_f64 v[168:169], v[168:169], v[150:151]
	v_add_f64 v[140:141], v[140:141], -v[148:149]
	s_delay_alu instid0(VALU_DEP_2) | instskip(NEXT) | instid1(VALU_DEP_1)
	v_fma_f64 v[168:169], v[170:171], v[176:177], v[168:169]
	v_add_f64 v[142:143], v[142:143], -v[168:169]
	;; [unrolled: 10-line block ×36, first 2 shown]
	ds_load_2addr_b64 v[168:171], v178 offset0:82 offset1:83
	s_waitcnt lgkmcnt(0)
	v_mul_f64 v[148:149], v[170:171], v[150:151]
	s_delay_alu instid0(VALU_DEP_1) | instskip(SKIP_1) | instid1(VALU_DEP_2)
	v_fma_f64 v[148:149], v[168:169], v[176:177], -v[148:149]
	v_mul_f64 v[168:169], v[168:169], v[150:151]
	v_add_f64 v[0:1], v[0:1], -v[148:149]
	s_delay_alu instid0(VALU_DEP_2) | instskip(SKIP_1) | instid1(VALU_DEP_2)
	v_fma_f64 v[168:169], v[170:171], v[176:177], v[168:169]
	v_dual_mov_b32 v148, v176 :: v_dual_mov_b32 v149, v177
	v_add_f64 v[2:3], v[2:3], -v[168:169]
.LBB82_104:
	s_or_b32 exec_lo, exec_lo, s2
	v_lshl_add_u32 v168, v184, 4, v178
	s_barrier
	buffer_gl0_inv
	v_mov_b32_e32 v176, 5
	ds_store_2addr_b64 v168, v[144:145], v[146:147] offset1:1
	s_waitcnt lgkmcnt(0)
	s_barrier
	buffer_gl0_inv
	ds_load_2addr_b64 v[168:171], v178 offset0:10 offset1:11
	s_cmp_lt_i32 s5, 7
	s_cbranch_scc1 .LBB82_107
; %bb.105:
	v_add3_u32 v177, v183, 0, 0x60
	v_mov_b32_e32 v176, 5
	s_mov_b32 s6, 6
	s_set_inst_prefetch_distance 0x1
	.p2align	6
.LBB82_106:                             ; =>This Inner Loop Header: Depth=1
	ds_load_2addr_b64 v[185:188], v177 offset1:1
	s_waitcnt lgkmcnt(1)
	v_cmp_gt_f64_e32 vcc_lo, 0, v[168:169]
	v_xor_b32_e32 v189, 0x80000000, v169
	v_cmp_gt_f64_e64 s2, 0, v[170:171]
	v_xor_b32_e32 v191, 0x80000000, v171
	v_add_nc_u32_e32 v177, 16, v177
	s_waitcnt lgkmcnt(0)
	v_cmp_gt_f64_e64 s3, 0, v[185:186]
	v_mov_b32_e32 v193, v185
	v_dual_mov_b32 v195, v187 :: v_dual_cndmask_b32 v190, v169, v189
	v_xor_b32_e32 v189, 0x80000000, v186
	v_cndmask_b32_e64 v192, v171, v191, s2
	v_xor_b32_e32 v191, 0x80000000, v188
	s_delay_alu instid0(VALU_DEP_3) | instskip(SKIP_2) | instid1(VALU_DEP_2)
	v_cndmask_b32_e64 v194, v186, v189, s3
	v_cmp_gt_f64_e64 s3, 0, v[187:188]
	v_cndmask_b32_e32 v189, v168, v168, vcc_lo
	v_cndmask_b32_e64 v196, v188, v191, s3
	v_cndmask_b32_e64 v191, v170, v170, s2
	s_delay_alu instid0(VALU_DEP_2) | instskip(NEXT) | instid1(VALU_DEP_2)
	v_add_f64 v[193:194], v[193:194], v[195:196]
	v_add_f64 v[189:190], v[189:190], v[191:192]
	s_delay_alu instid0(VALU_DEP_1) | instskip(SKIP_4) | instid1(SALU_CYCLE_1)
	v_cmp_lt_f64_e32 vcc_lo, v[189:190], v[193:194]
	v_dual_cndmask_b32 v170, v170, v187 :: v_dual_cndmask_b32 v169, v169, v186
	v_dual_cndmask_b32 v168, v168, v185 :: v_dual_cndmask_b32 v171, v171, v188
	v_cndmask_b32_e64 v176, v176, s6, vcc_lo
	s_add_i32 s6, s6, 1
	s_cmp_lg_u32 s5, s6
	s_cbranch_scc1 .LBB82_106
.LBB82_107:
	s_set_inst_prefetch_distance 0x2
	s_waitcnt lgkmcnt(0)
	v_cmp_eq_f64_e32 vcc_lo, 0, v[168:169]
	v_cmp_eq_f64_e64 s2, 0, v[170:171]
	s_delay_alu instid0(VALU_DEP_1) | instskip(NEXT) | instid1(SALU_CYCLE_1)
	s_and_b32 s2, vcc_lo, s2
	s_and_saveexec_b32 s3, s2
	s_delay_alu instid0(SALU_CYCLE_1)
	s_xor_b32 s2, exec_lo, s3
; %bb.108:
	v_cmp_ne_u32_e32 vcc_lo, 0, v182
	v_cndmask_b32_e32 v182, 6, v182, vcc_lo
; %bb.109:
	s_and_not1_saveexec_b32 s3, s2
	s_cbranch_execz .LBB82_115
; %bb.110:
	v_cmp_gt_f64_e32 vcc_lo, 0, v[168:169]
	v_cmp_gt_f64_e64 s2, 0, v[170:171]
	v_xor_b32_e32 v177, 0x80000000, v169
	v_xor_b32_e32 v185, 0x80000000, v171
	s_delay_alu instid0(VALU_DEP_2) | instskip(NEXT) | instid1(VALU_DEP_2)
	v_cndmask_b32_e32 v186, v169, v177, vcc_lo
	v_cndmask_b32_e64 v188, v171, v185, s2
	v_cndmask_b32_e32 v185, v168, v168, vcc_lo
	v_cndmask_b32_e64 v187, v170, v170, s2
	s_mov_b32 s2, exec_lo
	s_delay_alu instid0(VALU_DEP_1)
	v_cmpx_ngt_f64_e32 v[185:186], v[187:188]
	s_xor_b32 s2, exec_lo, s2
	s_cbranch_execz .LBB82_112
; %bb.111:
	v_div_scale_f64 v[185:186], null, v[170:171], v[170:171], v[168:169]
	v_div_scale_f64 v[191:192], vcc_lo, v[168:169], v[170:171], v[168:169]
	s_delay_alu instid0(VALU_DEP_2) | instskip(SKIP_2) | instid1(VALU_DEP_1)
	v_rcp_f64_e32 v[187:188], v[185:186]
	s_waitcnt_depctr 0xfff
	v_fma_f64 v[189:190], -v[185:186], v[187:188], 1.0
	v_fma_f64 v[187:188], v[187:188], v[189:190], v[187:188]
	s_delay_alu instid0(VALU_DEP_1) | instskip(NEXT) | instid1(VALU_DEP_1)
	v_fma_f64 v[189:190], -v[185:186], v[187:188], 1.0
	v_fma_f64 v[187:188], v[187:188], v[189:190], v[187:188]
	s_delay_alu instid0(VALU_DEP_1) | instskip(NEXT) | instid1(VALU_DEP_1)
	v_mul_f64 v[189:190], v[191:192], v[187:188]
	v_fma_f64 v[185:186], -v[185:186], v[189:190], v[191:192]
	s_delay_alu instid0(VALU_DEP_1) | instskip(NEXT) | instid1(VALU_DEP_1)
	v_div_fmas_f64 v[185:186], v[185:186], v[187:188], v[189:190]
	v_div_fixup_f64 v[185:186], v[185:186], v[170:171], v[168:169]
	s_delay_alu instid0(VALU_DEP_1) | instskip(NEXT) | instid1(VALU_DEP_1)
	v_fma_f64 v[168:169], v[168:169], v[185:186], v[170:171]
	v_div_scale_f64 v[170:171], null, v[168:169], v[168:169], 1.0
	s_delay_alu instid0(VALU_DEP_1) | instskip(SKIP_2) | instid1(VALU_DEP_1)
	v_rcp_f64_e32 v[187:188], v[170:171]
	s_waitcnt_depctr 0xfff
	v_fma_f64 v[189:190], -v[170:171], v[187:188], 1.0
	v_fma_f64 v[187:188], v[187:188], v[189:190], v[187:188]
	s_delay_alu instid0(VALU_DEP_1) | instskip(NEXT) | instid1(VALU_DEP_1)
	v_fma_f64 v[189:190], -v[170:171], v[187:188], 1.0
	v_fma_f64 v[187:188], v[187:188], v[189:190], v[187:188]
	v_div_scale_f64 v[189:190], vcc_lo, 1.0, v[168:169], 1.0
	s_delay_alu instid0(VALU_DEP_1) | instskip(NEXT) | instid1(VALU_DEP_1)
	v_mul_f64 v[191:192], v[189:190], v[187:188]
	v_fma_f64 v[170:171], -v[170:171], v[191:192], v[189:190]
	s_delay_alu instid0(VALU_DEP_1) | instskip(NEXT) | instid1(VALU_DEP_1)
	v_div_fmas_f64 v[170:171], v[170:171], v[187:188], v[191:192]
	v_div_fixup_f64 v[170:171], v[170:171], v[168:169], 1.0
	s_delay_alu instid0(VALU_DEP_1)
	v_mul_f64 v[168:169], v[185:186], v[170:171]
	v_xor_b32_e32 v171, 0x80000000, v171
.LBB82_112:
	s_and_not1_saveexec_b32 s2, s2
	s_cbranch_execz .LBB82_114
; %bb.113:
	s_delay_alu instid0(VALU_DEP_1) | instskip(SKIP_1) | instid1(VALU_DEP_2)
	v_div_scale_f64 v[185:186], null, v[168:169], v[168:169], v[170:171]
	v_div_scale_f64 v[191:192], vcc_lo, v[170:171], v[168:169], v[170:171]
	v_rcp_f64_e32 v[187:188], v[185:186]
	s_waitcnt_depctr 0xfff
	v_fma_f64 v[189:190], -v[185:186], v[187:188], 1.0
	s_delay_alu instid0(VALU_DEP_1) | instskip(NEXT) | instid1(VALU_DEP_1)
	v_fma_f64 v[187:188], v[187:188], v[189:190], v[187:188]
	v_fma_f64 v[189:190], -v[185:186], v[187:188], 1.0
	s_delay_alu instid0(VALU_DEP_1) | instskip(NEXT) | instid1(VALU_DEP_1)
	v_fma_f64 v[187:188], v[187:188], v[189:190], v[187:188]
	v_mul_f64 v[189:190], v[191:192], v[187:188]
	s_delay_alu instid0(VALU_DEP_1) | instskip(NEXT) | instid1(VALU_DEP_1)
	v_fma_f64 v[185:186], -v[185:186], v[189:190], v[191:192]
	v_div_fmas_f64 v[185:186], v[185:186], v[187:188], v[189:190]
	s_delay_alu instid0(VALU_DEP_1) | instskip(NEXT) | instid1(VALU_DEP_1)
	v_div_fixup_f64 v[185:186], v[185:186], v[168:169], v[170:171]
	v_fma_f64 v[168:169], v[170:171], v[185:186], v[168:169]
	s_delay_alu instid0(VALU_DEP_1) | instskip(NEXT) | instid1(VALU_DEP_1)
	v_div_scale_f64 v[170:171], null, v[168:169], v[168:169], 1.0
	v_rcp_f64_e32 v[187:188], v[170:171]
	s_waitcnt_depctr 0xfff
	v_fma_f64 v[189:190], -v[170:171], v[187:188], 1.0
	s_delay_alu instid0(VALU_DEP_1) | instskip(NEXT) | instid1(VALU_DEP_1)
	v_fma_f64 v[187:188], v[187:188], v[189:190], v[187:188]
	v_fma_f64 v[189:190], -v[170:171], v[187:188], 1.0
	s_delay_alu instid0(VALU_DEP_1) | instskip(SKIP_1) | instid1(VALU_DEP_1)
	v_fma_f64 v[187:188], v[187:188], v[189:190], v[187:188]
	v_div_scale_f64 v[189:190], vcc_lo, 1.0, v[168:169], 1.0
	v_mul_f64 v[191:192], v[189:190], v[187:188]
	s_delay_alu instid0(VALU_DEP_1) | instskip(NEXT) | instid1(VALU_DEP_1)
	v_fma_f64 v[170:171], -v[170:171], v[191:192], v[189:190]
	v_div_fmas_f64 v[170:171], v[170:171], v[187:188], v[191:192]
	s_delay_alu instid0(VALU_DEP_1) | instskip(NEXT) | instid1(VALU_DEP_1)
	v_div_fixup_f64 v[168:169], v[170:171], v[168:169], 1.0
	v_mul_f64 v[170:171], v[185:186], -v[168:169]
.LBB82_114:
	s_or_b32 exec_lo, exec_lo, s2
.LBB82_115:
	s_delay_alu instid0(SALU_CYCLE_1) | instskip(NEXT) | instid1(SALU_CYCLE_1)
	s_or_b32 exec_lo, exec_lo, s3
	s_mov_b32 s2, exec_lo
	v_cmpx_ne_u32_e64 v184, v176
	s_xor_b32 s2, exec_lo, s2
	s_cbranch_execz .LBB82_121
; %bb.116:
	s_mov_b32 s3, exec_lo
	v_cmpx_eq_u32_e32 5, v184
	s_cbranch_execz .LBB82_120
; %bb.117:
	v_cmp_ne_u32_e32 vcc_lo, 5, v176
	s_xor_b32 s6, s4, -1
	s_delay_alu instid0(SALU_CYCLE_1) | instskip(NEXT) | instid1(SALU_CYCLE_1)
	s_and_b32 s7, s6, vcc_lo
	s_and_saveexec_b32 s6, s7
	s_cbranch_execz .LBB82_119
; %bb.118:
	v_ashrrev_i32_e32 v177, 31, v176
	s_delay_alu instid0(VALU_DEP_1) | instskip(NEXT) | instid1(VALU_DEP_1)
	v_lshlrev_b64 v[184:185], 2, v[176:177]
	v_add_co_u32 v184, vcc_lo, v174, v184
	s_delay_alu instid0(VALU_DEP_2)
	v_add_co_ci_u32_e32 v185, vcc_lo, v175, v185, vcc_lo
	s_clause 0x1
	flat_load_b32 v177, v[184:185]
	flat_load_b32 v181, v[174:175] offset:20
	s_waitcnt vmcnt(1) lgkmcnt(1)
	flat_store_b32 v[174:175], v177 offset:20
	s_waitcnt vmcnt(0) lgkmcnt(1)
	flat_store_b32 v[184:185], v181
.LBB82_119:
	s_or_b32 exec_lo, exec_lo, s6
	v_mov_b32_e32 v184, v176
	v_mov_b32_e32 v181, v176
.LBB82_120:
	s_or_b32 exec_lo, exec_lo, s3
.LBB82_121:
	s_and_not1_saveexec_b32 s2, s2
	s_cbranch_execz .LBB82_123
; %bb.122:
	v_mov_b32_e32 v184, 5
	ds_store_2addr_b64 v178, v[140:141], v[142:143] offset0:12 offset1:13
	ds_store_2addr_b64 v178, v[136:137], v[138:139] offset0:14 offset1:15
	;; [unrolled: 1-line block ×36, first 2 shown]
.LBB82_123:
	s_or_b32 exec_lo, exec_lo, s2
	s_delay_alu instid0(SALU_CYCLE_1)
	s_mov_b32 s2, exec_lo
	s_waitcnt lgkmcnt(0)
	s_waitcnt_vscnt null, 0x0
	s_barrier
	buffer_gl0_inv
	v_cmpx_lt_i32_e32 5, v184
	s_cbranch_execz .LBB82_125
; %bb.124:
	v_mul_f64 v[176:177], v[170:171], v[146:147]
	v_mul_f64 v[146:147], v[168:169], v[146:147]
	s_delay_alu instid0(VALU_DEP_2) | instskip(NEXT) | instid1(VALU_DEP_2)
	v_fma_f64 v[176:177], v[168:169], v[144:145], -v[176:177]
	v_fma_f64 v[146:147], v[170:171], v[144:145], v[146:147]
	ds_load_2addr_b64 v[168:171], v178 offset0:12 offset1:13
	s_waitcnt lgkmcnt(0)
	v_mul_f64 v[144:145], v[170:171], v[146:147]
	s_delay_alu instid0(VALU_DEP_1) | instskip(SKIP_1) | instid1(VALU_DEP_2)
	v_fma_f64 v[144:145], v[168:169], v[176:177], -v[144:145]
	v_mul_f64 v[168:169], v[168:169], v[146:147]
	v_add_f64 v[140:141], v[140:141], -v[144:145]
	s_delay_alu instid0(VALU_DEP_2) | instskip(NEXT) | instid1(VALU_DEP_1)
	v_fma_f64 v[168:169], v[170:171], v[176:177], v[168:169]
	v_add_f64 v[142:143], v[142:143], -v[168:169]
	ds_load_2addr_b64 v[168:171], v178 offset0:14 offset1:15
	s_waitcnt lgkmcnt(0)
	v_mul_f64 v[144:145], v[170:171], v[146:147]
	s_delay_alu instid0(VALU_DEP_1) | instskip(SKIP_1) | instid1(VALU_DEP_2)
	v_fma_f64 v[144:145], v[168:169], v[176:177], -v[144:145]
	v_mul_f64 v[168:169], v[168:169], v[146:147]
	v_add_f64 v[136:137], v[136:137], -v[144:145]
	s_delay_alu instid0(VALU_DEP_2) | instskip(NEXT) | instid1(VALU_DEP_1)
	v_fma_f64 v[168:169], v[170:171], v[176:177], v[168:169]
	v_add_f64 v[138:139], v[138:139], -v[168:169]
	;; [unrolled: 10-line block ×35, first 2 shown]
	ds_load_2addr_b64 v[168:171], v178 offset0:82 offset1:83
	s_waitcnt lgkmcnt(0)
	v_mul_f64 v[144:145], v[170:171], v[146:147]
	s_delay_alu instid0(VALU_DEP_1) | instskip(SKIP_1) | instid1(VALU_DEP_2)
	v_fma_f64 v[144:145], v[168:169], v[176:177], -v[144:145]
	v_mul_f64 v[168:169], v[168:169], v[146:147]
	v_add_f64 v[0:1], v[0:1], -v[144:145]
	s_delay_alu instid0(VALU_DEP_2) | instskip(SKIP_1) | instid1(VALU_DEP_2)
	v_fma_f64 v[168:169], v[170:171], v[176:177], v[168:169]
	v_dual_mov_b32 v144, v176 :: v_dual_mov_b32 v145, v177
	v_add_f64 v[2:3], v[2:3], -v[168:169]
.LBB82_125:
	s_or_b32 exec_lo, exec_lo, s2
	v_lshl_add_u32 v168, v184, 4, v178
	s_barrier
	buffer_gl0_inv
	v_mov_b32_e32 v176, 6
	ds_store_2addr_b64 v168, v[140:141], v[142:143] offset1:1
	s_waitcnt lgkmcnt(0)
	s_barrier
	buffer_gl0_inv
	ds_load_2addr_b64 v[168:171], v178 offset0:12 offset1:13
	s_cmp_lt_i32 s5, 8
	s_cbranch_scc1 .LBB82_128
; %bb.126:
	v_add3_u32 v177, v183, 0, 0x70
	v_mov_b32_e32 v176, 6
	s_mov_b32 s6, 7
	s_set_inst_prefetch_distance 0x1
	.p2align	6
.LBB82_127:                             ; =>This Inner Loop Header: Depth=1
	ds_load_2addr_b64 v[185:188], v177 offset1:1
	s_waitcnt lgkmcnt(1)
	v_cmp_gt_f64_e32 vcc_lo, 0, v[168:169]
	v_xor_b32_e32 v189, 0x80000000, v169
	v_cmp_gt_f64_e64 s2, 0, v[170:171]
	v_xor_b32_e32 v191, 0x80000000, v171
	v_add_nc_u32_e32 v177, 16, v177
	s_waitcnt lgkmcnt(0)
	v_cmp_gt_f64_e64 s3, 0, v[185:186]
	v_mov_b32_e32 v193, v185
	v_dual_mov_b32 v195, v187 :: v_dual_cndmask_b32 v190, v169, v189
	v_xor_b32_e32 v189, 0x80000000, v186
	v_cndmask_b32_e64 v192, v171, v191, s2
	v_xor_b32_e32 v191, 0x80000000, v188
	s_delay_alu instid0(VALU_DEP_3) | instskip(SKIP_2) | instid1(VALU_DEP_2)
	v_cndmask_b32_e64 v194, v186, v189, s3
	v_cmp_gt_f64_e64 s3, 0, v[187:188]
	v_cndmask_b32_e32 v189, v168, v168, vcc_lo
	v_cndmask_b32_e64 v196, v188, v191, s3
	v_cndmask_b32_e64 v191, v170, v170, s2
	s_delay_alu instid0(VALU_DEP_2) | instskip(NEXT) | instid1(VALU_DEP_2)
	v_add_f64 v[193:194], v[193:194], v[195:196]
	v_add_f64 v[189:190], v[189:190], v[191:192]
	s_delay_alu instid0(VALU_DEP_1) | instskip(SKIP_4) | instid1(SALU_CYCLE_1)
	v_cmp_lt_f64_e32 vcc_lo, v[189:190], v[193:194]
	v_dual_cndmask_b32 v170, v170, v187 :: v_dual_cndmask_b32 v169, v169, v186
	v_dual_cndmask_b32 v168, v168, v185 :: v_dual_cndmask_b32 v171, v171, v188
	v_cndmask_b32_e64 v176, v176, s6, vcc_lo
	s_add_i32 s6, s6, 1
	s_cmp_lg_u32 s5, s6
	s_cbranch_scc1 .LBB82_127
.LBB82_128:
	s_set_inst_prefetch_distance 0x2
	s_waitcnt lgkmcnt(0)
	v_cmp_eq_f64_e32 vcc_lo, 0, v[168:169]
	v_cmp_eq_f64_e64 s2, 0, v[170:171]
	s_delay_alu instid0(VALU_DEP_1) | instskip(NEXT) | instid1(SALU_CYCLE_1)
	s_and_b32 s2, vcc_lo, s2
	s_and_saveexec_b32 s3, s2
	s_delay_alu instid0(SALU_CYCLE_1)
	s_xor_b32 s2, exec_lo, s3
; %bb.129:
	v_cmp_ne_u32_e32 vcc_lo, 0, v182
	v_cndmask_b32_e32 v182, 7, v182, vcc_lo
; %bb.130:
	s_and_not1_saveexec_b32 s3, s2
	s_cbranch_execz .LBB82_136
; %bb.131:
	v_cmp_gt_f64_e32 vcc_lo, 0, v[168:169]
	v_cmp_gt_f64_e64 s2, 0, v[170:171]
	v_xor_b32_e32 v177, 0x80000000, v169
	v_xor_b32_e32 v185, 0x80000000, v171
	s_delay_alu instid0(VALU_DEP_2) | instskip(NEXT) | instid1(VALU_DEP_2)
	v_cndmask_b32_e32 v186, v169, v177, vcc_lo
	v_cndmask_b32_e64 v188, v171, v185, s2
	v_cndmask_b32_e32 v185, v168, v168, vcc_lo
	v_cndmask_b32_e64 v187, v170, v170, s2
	s_mov_b32 s2, exec_lo
	s_delay_alu instid0(VALU_DEP_1)
	v_cmpx_ngt_f64_e32 v[185:186], v[187:188]
	s_xor_b32 s2, exec_lo, s2
	s_cbranch_execz .LBB82_133
; %bb.132:
	v_div_scale_f64 v[185:186], null, v[170:171], v[170:171], v[168:169]
	v_div_scale_f64 v[191:192], vcc_lo, v[168:169], v[170:171], v[168:169]
	s_delay_alu instid0(VALU_DEP_2) | instskip(SKIP_2) | instid1(VALU_DEP_1)
	v_rcp_f64_e32 v[187:188], v[185:186]
	s_waitcnt_depctr 0xfff
	v_fma_f64 v[189:190], -v[185:186], v[187:188], 1.0
	v_fma_f64 v[187:188], v[187:188], v[189:190], v[187:188]
	s_delay_alu instid0(VALU_DEP_1) | instskip(NEXT) | instid1(VALU_DEP_1)
	v_fma_f64 v[189:190], -v[185:186], v[187:188], 1.0
	v_fma_f64 v[187:188], v[187:188], v[189:190], v[187:188]
	s_delay_alu instid0(VALU_DEP_1) | instskip(NEXT) | instid1(VALU_DEP_1)
	v_mul_f64 v[189:190], v[191:192], v[187:188]
	v_fma_f64 v[185:186], -v[185:186], v[189:190], v[191:192]
	s_delay_alu instid0(VALU_DEP_1) | instskip(NEXT) | instid1(VALU_DEP_1)
	v_div_fmas_f64 v[185:186], v[185:186], v[187:188], v[189:190]
	v_div_fixup_f64 v[185:186], v[185:186], v[170:171], v[168:169]
	s_delay_alu instid0(VALU_DEP_1) | instskip(NEXT) | instid1(VALU_DEP_1)
	v_fma_f64 v[168:169], v[168:169], v[185:186], v[170:171]
	v_div_scale_f64 v[170:171], null, v[168:169], v[168:169], 1.0
	s_delay_alu instid0(VALU_DEP_1) | instskip(SKIP_2) | instid1(VALU_DEP_1)
	v_rcp_f64_e32 v[187:188], v[170:171]
	s_waitcnt_depctr 0xfff
	v_fma_f64 v[189:190], -v[170:171], v[187:188], 1.0
	v_fma_f64 v[187:188], v[187:188], v[189:190], v[187:188]
	s_delay_alu instid0(VALU_DEP_1) | instskip(NEXT) | instid1(VALU_DEP_1)
	v_fma_f64 v[189:190], -v[170:171], v[187:188], 1.0
	v_fma_f64 v[187:188], v[187:188], v[189:190], v[187:188]
	v_div_scale_f64 v[189:190], vcc_lo, 1.0, v[168:169], 1.0
	s_delay_alu instid0(VALU_DEP_1) | instskip(NEXT) | instid1(VALU_DEP_1)
	v_mul_f64 v[191:192], v[189:190], v[187:188]
	v_fma_f64 v[170:171], -v[170:171], v[191:192], v[189:190]
	s_delay_alu instid0(VALU_DEP_1) | instskip(NEXT) | instid1(VALU_DEP_1)
	v_div_fmas_f64 v[170:171], v[170:171], v[187:188], v[191:192]
	v_div_fixup_f64 v[170:171], v[170:171], v[168:169], 1.0
	s_delay_alu instid0(VALU_DEP_1)
	v_mul_f64 v[168:169], v[185:186], v[170:171]
	v_xor_b32_e32 v171, 0x80000000, v171
.LBB82_133:
	s_and_not1_saveexec_b32 s2, s2
	s_cbranch_execz .LBB82_135
; %bb.134:
	s_delay_alu instid0(VALU_DEP_1) | instskip(SKIP_1) | instid1(VALU_DEP_2)
	v_div_scale_f64 v[185:186], null, v[168:169], v[168:169], v[170:171]
	v_div_scale_f64 v[191:192], vcc_lo, v[170:171], v[168:169], v[170:171]
	v_rcp_f64_e32 v[187:188], v[185:186]
	s_waitcnt_depctr 0xfff
	v_fma_f64 v[189:190], -v[185:186], v[187:188], 1.0
	s_delay_alu instid0(VALU_DEP_1) | instskip(NEXT) | instid1(VALU_DEP_1)
	v_fma_f64 v[187:188], v[187:188], v[189:190], v[187:188]
	v_fma_f64 v[189:190], -v[185:186], v[187:188], 1.0
	s_delay_alu instid0(VALU_DEP_1) | instskip(NEXT) | instid1(VALU_DEP_1)
	v_fma_f64 v[187:188], v[187:188], v[189:190], v[187:188]
	v_mul_f64 v[189:190], v[191:192], v[187:188]
	s_delay_alu instid0(VALU_DEP_1) | instskip(NEXT) | instid1(VALU_DEP_1)
	v_fma_f64 v[185:186], -v[185:186], v[189:190], v[191:192]
	v_div_fmas_f64 v[185:186], v[185:186], v[187:188], v[189:190]
	s_delay_alu instid0(VALU_DEP_1) | instskip(NEXT) | instid1(VALU_DEP_1)
	v_div_fixup_f64 v[185:186], v[185:186], v[168:169], v[170:171]
	v_fma_f64 v[168:169], v[170:171], v[185:186], v[168:169]
	s_delay_alu instid0(VALU_DEP_1) | instskip(NEXT) | instid1(VALU_DEP_1)
	v_div_scale_f64 v[170:171], null, v[168:169], v[168:169], 1.0
	v_rcp_f64_e32 v[187:188], v[170:171]
	s_waitcnt_depctr 0xfff
	v_fma_f64 v[189:190], -v[170:171], v[187:188], 1.0
	s_delay_alu instid0(VALU_DEP_1) | instskip(NEXT) | instid1(VALU_DEP_1)
	v_fma_f64 v[187:188], v[187:188], v[189:190], v[187:188]
	v_fma_f64 v[189:190], -v[170:171], v[187:188], 1.0
	s_delay_alu instid0(VALU_DEP_1) | instskip(SKIP_1) | instid1(VALU_DEP_1)
	v_fma_f64 v[187:188], v[187:188], v[189:190], v[187:188]
	v_div_scale_f64 v[189:190], vcc_lo, 1.0, v[168:169], 1.0
	v_mul_f64 v[191:192], v[189:190], v[187:188]
	s_delay_alu instid0(VALU_DEP_1) | instskip(NEXT) | instid1(VALU_DEP_1)
	v_fma_f64 v[170:171], -v[170:171], v[191:192], v[189:190]
	v_div_fmas_f64 v[170:171], v[170:171], v[187:188], v[191:192]
	s_delay_alu instid0(VALU_DEP_1) | instskip(NEXT) | instid1(VALU_DEP_1)
	v_div_fixup_f64 v[168:169], v[170:171], v[168:169], 1.0
	v_mul_f64 v[170:171], v[185:186], -v[168:169]
.LBB82_135:
	s_or_b32 exec_lo, exec_lo, s2
.LBB82_136:
	s_delay_alu instid0(SALU_CYCLE_1) | instskip(NEXT) | instid1(SALU_CYCLE_1)
	s_or_b32 exec_lo, exec_lo, s3
	s_mov_b32 s2, exec_lo
	v_cmpx_ne_u32_e64 v184, v176
	s_xor_b32 s2, exec_lo, s2
	s_cbranch_execz .LBB82_142
; %bb.137:
	s_mov_b32 s3, exec_lo
	v_cmpx_eq_u32_e32 6, v184
	s_cbranch_execz .LBB82_141
; %bb.138:
	v_cmp_ne_u32_e32 vcc_lo, 6, v176
	s_xor_b32 s6, s4, -1
	s_delay_alu instid0(SALU_CYCLE_1) | instskip(NEXT) | instid1(SALU_CYCLE_1)
	s_and_b32 s7, s6, vcc_lo
	s_and_saveexec_b32 s6, s7
	s_cbranch_execz .LBB82_140
; %bb.139:
	v_ashrrev_i32_e32 v177, 31, v176
	s_delay_alu instid0(VALU_DEP_1) | instskip(NEXT) | instid1(VALU_DEP_1)
	v_lshlrev_b64 v[184:185], 2, v[176:177]
	v_add_co_u32 v184, vcc_lo, v174, v184
	s_delay_alu instid0(VALU_DEP_2)
	v_add_co_ci_u32_e32 v185, vcc_lo, v175, v185, vcc_lo
	s_clause 0x1
	flat_load_b32 v177, v[184:185]
	flat_load_b32 v181, v[174:175] offset:24
	s_waitcnt vmcnt(1) lgkmcnt(1)
	flat_store_b32 v[174:175], v177 offset:24
	s_waitcnt vmcnt(0) lgkmcnt(1)
	flat_store_b32 v[184:185], v181
.LBB82_140:
	s_or_b32 exec_lo, exec_lo, s6
	v_mov_b32_e32 v184, v176
	v_mov_b32_e32 v181, v176
.LBB82_141:
	s_or_b32 exec_lo, exec_lo, s3
.LBB82_142:
	s_and_not1_saveexec_b32 s2, s2
	s_cbranch_execz .LBB82_144
; %bb.143:
	v_mov_b32_e32 v184, 6
	ds_store_2addr_b64 v178, v[136:137], v[138:139] offset0:14 offset1:15
	ds_store_2addr_b64 v178, v[132:133], v[134:135] offset0:16 offset1:17
	;; [unrolled: 1-line block ×35, first 2 shown]
.LBB82_144:
	s_or_b32 exec_lo, exec_lo, s2
	s_delay_alu instid0(SALU_CYCLE_1)
	s_mov_b32 s2, exec_lo
	s_waitcnt lgkmcnt(0)
	s_waitcnt_vscnt null, 0x0
	s_barrier
	buffer_gl0_inv
	v_cmpx_lt_i32_e32 6, v184
	s_cbranch_execz .LBB82_146
; %bb.145:
	v_mul_f64 v[176:177], v[170:171], v[142:143]
	v_mul_f64 v[142:143], v[168:169], v[142:143]
	s_delay_alu instid0(VALU_DEP_2) | instskip(NEXT) | instid1(VALU_DEP_2)
	v_fma_f64 v[176:177], v[168:169], v[140:141], -v[176:177]
	v_fma_f64 v[142:143], v[170:171], v[140:141], v[142:143]
	ds_load_2addr_b64 v[168:171], v178 offset0:14 offset1:15
	s_waitcnt lgkmcnt(0)
	v_mul_f64 v[140:141], v[170:171], v[142:143]
	s_delay_alu instid0(VALU_DEP_1) | instskip(SKIP_1) | instid1(VALU_DEP_2)
	v_fma_f64 v[140:141], v[168:169], v[176:177], -v[140:141]
	v_mul_f64 v[168:169], v[168:169], v[142:143]
	v_add_f64 v[136:137], v[136:137], -v[140:141]
	s_delay_alu instid0(VALU_DEP_2) | instskip(NEXT) | instid1(VALU_DEP_1)
	v_fma_f64 v[168:169], v[170:171], v[176:177], v[168:169]
	v_add_f64 v[138:139], v[138:139], -v[168:169]
	ds_load_2addr_b64 v[168:171], v178 offset0:16 offset1:17
	s_waitcnt lgkmcnt(0)
	v_mul_f64 v[140:141], v[170:171], v[142:143]
	s_delay_alu instid0(VALU_DEP_1) | instskip(SKIP_1) | instid1(VALU_DEP_2)
	v_fma_f64 v[140:141], v[168:169], v[176:177], -v[140:141]
	v_mul_f64 v[168:169], v[168:169], v[142:143]
	v_add_f64 v[132:133], v[132:133], -v[140:141]
	s_delay_alu instid0(VALU_DEP_2) | instskip(NEXT) | instid1(VALU_DEP_1)
	v_fma_f64 v[168:169], v[170:171], v[176:177], v[168:169]
	v_add_f64 v[134:135], v[134:135], -v[168:169]
	;; [unrolled: 10-line block ×34, first 2 shown]
	ds_load_2addr_b64 v[168:171], v178 offset0:82 offset1:83
	s_waitcnt lgkmcnt(0)
	v_mul_f64 v[140:141], v[170:171], v[142:143]
	s_delay_alu instid0(VALU_DEP_1) | instskip(SKIP_1) | instid1(VALU_DEP_2)
	v_fma_f64 v[140:141], v[168:169], v[176:177], -v[140:141]
	v_mul_f64 v[168:169], v[168:169], v[142:143]
	v_add_f64 v[0:1], v[0:1], -v[140:141]
	s_delay_alu instid0(VALU_DEP_2) | instskip(SKIP_1) | instid1(VALU_DEP_2)
	v_fma_f64 v[168:169], v[170:171], v[176:177], v[168:169]
	v_dual_mov_b32 v140, v176 :: v_dual_mov_b32 v141, v177
	v_add_f64 v[2:3], v[2:3], -v[168:169]
.LBB82_146:
	s_or_b32 exec_lo, exec_lo, s2
	v_lshl_add_u32 v168, v184, 4, v178
	s_barrier
	buffer_gl0_inv
	v_mov_b32_e32 v176, 7
	ds_store_2addr_b64 v168, v[136:137], v[138:139] offset1:1
	s_waitcnt lgkmcnt(0)
	s_barrier
	buffer_gl0_inv
	ds_load_2addr_b64 v[168:171], v178 offset0:14 offset1:15
	s_cmp_lt_i32 s5, 9
	s_cbranch_scc1 .LBB82_149
; %bb.147:
	v_add3_u32 v177, v183, 0, 0x80
	v_mov_b32_e32 v176, 7
	s_mov_b32 s6, 8
	s_set_inst_prefetch_distance 0x1
	.p2align	6
.LBB82_148:                             ; =>This Inner Loop Header: Depth=1
	ds_load_2addr_b64 v[185:188], v177 offset1:1
	s_waitcnt lgkmcnt(1)
	v_cmp_gt_f64_e32 vcc_lo, 0, v[168:169]
	v_xor_b32_e32 v189, 0x80000000, v169
	v_cmp_gt_f64_e64 s2, 0, v[170:171]
	v_xor_b32_e32 v191, 0x80000000, v171
	v_add_nc_u32_e32 v177, 16, v177
	s_waitcnt lgkmcnt(0)
	v_cmp_gt_f64_e64 s3, 0, v[185:186]
	v_mov_b32_e32 v193, v185
	v_dual_mov_b32 v195, v187 :: v_dual_cndmask_b32 v190, v169, v189
	v_xor_b32_e32 v189, 0x80000000, v186
	v_cndmask_b32_e64 v192, v171, v191, s2
	v_xor_b32_e32 v191, 0x80000000, v188
	s_delay_alu instid0(VALU_DEP_3) | instskip(SKIP_2) | instid1(VALU_DEP_2)
	v_cndmask_b32_e64 v194, v186, v189, s3
	v_cmp_gt_f64_e64 s3, 0, v[187:188]
	v_cndmask_b32_e32 v189, v168, v168, vcc_lo
	v_cndmask_b32_e64 v196, v188, v191, s3
	v_cndmask_b32_e64 v191, v170, v170, s2
	s_delay_alu instid0(VALU_DEP_2) | instskip(NEXT) | instid1(VALU_DEP_2)
	v_add_f64 v[193:194], v[193:194], v[195:196]
	v_add_f64 v[189:190], v[189:190], v[191:192]
	s_delay_alu instid0(VALU_DEP_1) | instskip(SKIP_4) | instid1(SALU_CYCLE_1)
	v_cmp_lt_f64_e32 vcc_lo, v[189:190], v[193:194]
	v_dual_cndmask_b32 v170, v170, v187 :: v_dual_cndmask_b32 v169, v169, v186
	v_dual_cndmask_b32 v168, v168, v185 :: v_dual_cndmask_b32 v171, v171, v188
	v_cndmask_b32_e64 v176, v176, s6, vcc_lo
	s_add_i32 s6, s6, 1
	s_cmp_lg_u32 s5, s6
	s_cbranch_scc1 .LBB82_148
.LBB82_149:
	s_set_inst_prefetch_distance 0x2
	s_waitcnt lgkmcnt(0)
	v_cmp_eq_f64_e32 vcc_lo, 0, v[168:169]
	v_cmp_eq_f64_e64 s2, 0, v[170:171]
	s_delay_alu instid0(VALU_DEP_1) | instskip(NEXT) | instid1(SALU_CYCLE_1)
	s_and_b32 s2, vcc_lo, s2
	s_and_saveexec_b32 s3, s2
	s_delay_alu instid0(SALU_CYCLE_1)
	s_xor_b32 s2, exec_lo, s3
; %bb.150:
	v_cmp_ne_u32_e32 vcc_lo, 0, v182
	v_cndmask_b32_e32 v182, 8, v182, vcc_lo
; %bb.151:
	s_and_not1_saveexec_b32 s3, s2
	s_cbranch_execz .LBB82_157
; %bb.152:
	v_cmp_gt_f64_e32 vcc_lo, 0, v[168:169]
	v_cmp_gt_f64_e64 s2, 0, v[170:171]
	v_xor_b32_e32 v177, 0x80000000, v169
	v_xor_b32_e32 v185, 0x80000000, v171
	s_delay_alu instid0(VALU_DEP_2) | instskip(NEXT) | instid1(VALU_DEP_2)
	v_cndmask_b32_e32 v186, v169, v177, vcc_lo
	v_cndmask_b32_e64 v188, v171, v185, s2
	v_cndmask_b32_e32 v185, v168, v168, vcc_lo
	v_cndmask_b32_e64 v187, v170, v170, s2
	s_mov_b32 s2, exec_lo
	s_delay_alu instid0(VALU_DEP_1)
	v_cmpx_ngt_f64_e32 v[185:186], v[187:188]
	s_xor_b32 s2, exec_lo, s2
	s_cbranch_execz .LBB82_154
; %bb.153:
	v_div_scale_f64 v[185:186], null, v[170:171], v[170:171], v[168:169]
	v_div_scale_f64 v[191:192], vcc_lo, v[168:169], v[170:171], v[168:169]
	s_delay_alu instid0(VALU_DEP_2) | instskip(SKIP_2) | instid1(VALU_DEP_1)
	v_rcp_f64_e32 v[187:188], v[185:186]
	s_waitcnt_depctr 0xfff
	v_fma_f64 v[189:190], -v[185:186], v[187:188], 1.0
	v_fma_f64 v[187:188], v[187:188], v[189:190], v[187:188]
	s_delay_alu instid0(VALU_DEP_1) | instskip(NEXT) | instid1(VALU_DEP_1)
	v_fma_f64 v[189:190], -v[185:186], v[187:188], 1.0
	v_fma_f64 v[187:188], v[187:188], v[189:190], v[187:188]
	s_delay_alu instid0(VALU_DEP_1) | instskip(NEXT) | instid1(VALU_DEP_1)
	v_mul_f64 v[189:190], v[191:192], v[187:188]
	v_fma_f64 v[185:186], -v[185:186], v[189:190], v[191:192]
	s_delay_alu instid0(VALU_DEP_1) | instskip(NEXT) | instid1(VALU_DEP_1)
	v_div_fmas_f64 v[185:186], v[185:186], v[187:188], v[189:190]
	v_div_fixup_f64 v[185:186], v[185:186], v[170:171], v[168:169]
	s_delay_alu instid0(VALU_DEP_1) | instskip(NEXT) | instid1(VALU_DEP_1)
	v_fma_f64 v[168:169], v[168:169], v[185:186], v[170:171]
	v_div_scale_f64 v[170:171], null, v[168:169], v[168:169], 1.0
	s_delay_alu instid0(VALU_DEP_1) | instskip(SKIP_2) | instid1(VALU_DEP_1)
	v_rcp_f64_e32 v[187:188], v[170:171]
	s_waitcnt_depctr 0xfff
	v_fma_f64 v[189:190], -v[170:171], v[187:188], 1.0
	v_fma_f64 v[187:188], v[187:188], v[189:190], v[187:188]
	s_delay_alu instid0(VALU_DEP_1) | instskip(NEXT) | instid1(VALU_DEP_1)
	v_fma_f64 v[189:190], -v[170:171], v[187:188], 1.0
	v_fma_f64 v[187:188], v[187:188], v[189:190], v[187:188]
	v_div_scale_f64 v[189:190], vcc_lo, 1.0, v[168:169], 1.0
	s_delay_alu instid0(VALU_DEP_1) | instskip(NEXT) | instid1(VALU_DEP_1)
	v_mul_f64 v[191:192], v[189:190], v[187:188]
	v_fma_f64 v[170:171], -v[170:171], v[191:192], v[189:190]
	s_delay_alu instid0(VALU_DEP_1) | instskip(NEXT) | instid1(VALU_DEP_1)
	v_div_fmas_f64 v[170:171], v[170:171], v[187:188], v[191:192]
	v_div_fixup_f64 v[170:171], v[170:171], v[168:169], 1.0
	s_delay_alu instid0(VALU_DEP_1)
	v_mul_f64 v[168:169], v[185:186], v[170:171]
	v_xor_b32_e32 v171, 0x80000000, v171
.LBB82_154:
	s_and_not1_saveexec_b32 s2, s2
	s_cbranch_execz .LBB82_156
; %bb.155:
	s_delay_alu instid0(VALU_DEP_1) | instskip(SKIP_1) | instid1(VALU_DEP_2)
	v_div_scale_f64 v[185:186], null, v[168:169], v[168:169], v[170:171]
	v_div_scale_f64 v[191:192], vcc_lo, v[170:171], v[168:169], v[170:171]
	v_rcp_f64_e32 v[187:188], v[185:186]
	s_waitcnt_depctr 0xfff
	v_fma_f64 v[189:190], -v[185:186], v[187:188], 1.0
	s_delay_alu instid0(VALU_DEP_1) | instskip(NEXT) | instid1(VALU_DEP_1)
	v_fma_f64 v[187:188], v[187:188], v[189:190], v[187:188]
	v_fma_f64 v[189:190], -v[185:186], v[187:188], 1.0
	s_delay_alu instid0(VALU_DEP_1) | instskip(NEXT) | instid1(VALU_DEP_1)
	v_fma_f64 v[187:188], v[187:188], v[189:190], v[187:188]
	v_mul_f64 v[189:190], v[191:192], v[187:188]
	s_delay_alu instid0(VALU_DEP_1) | instskip(NEXT) | instid1(VALU_DEP_1)
	v_fma_f64 v[185:186], -v[185:186], v[189:190], v[191:192]
	v_div_fmas_f64 v[185:186], v[185:186], v[187:188], v[189:190]
	s_delay_alu instid0(VALU_DEP_1) | instskip(NEXT) | instid1(VALU_DEP_1)
	v_div_fixup_f64 v[185:186], v[185:186], v[168:169], v[170:171]
	v_fma_f64 v[168:169], v[170:171], v[185:186], v[168:169]
	s_delay_alu instid0(VALU_DEP_1) | instskip(NEXT) | instid1(VALU_DEP_1)
	v_div_scale_f64 v[170:171], null, v[168:169], v[168:169], 1.0
	v_rcp_f64_e32 v[187:188], v[170:171]
	s_waitcnt_depctr 0xfff
	v_fma_f64 v[189:190], -v[170:171], v[187:188], 1.0
	s_delay_alu instid0(VALU_DEP_1) | instskip(NEXT) | instid1(VALU_DEP_1)
	v_fma_f64 v[187:188], v[187:188], v[189:190], v[187:188]
	v_fma_f64 v[189:190], -v[170:171], v[187:188], 1.0
	s_delay_alu instid0(VALU_DEP_1) | instskip(SKIP_1) | instid1(VALU_DEP_1)
	v_fma_f64 v[187:188], v[187:188], v[189:190], v[187:188]
	v_div_scale_f64 v[189:190], vcc_lo, 1.0, v[168:169], 1.0
	v_mul_f64 v[191:192], v[189:190], v[187:188]
	s_delay_alu instid0(VALU_DEP_1) | instskip(NEXT) | instid1(VALU_DEP_1)
	v_fma_f64 v[170:171], -v[170:171], v[191:192], v[189:190]
	v_div_fmas_f64 v[170:171], v[170:171], v[187:188], v[191:192]
	s_delay_alu instid0(VALU_DEP_1) | instskip(NEXT) | instid1(VALU_DEP_1)
	v_div_fixup_f64 v[168:169], v[170:171], v[168:169], 1.0
	v_mul_f64 v[170:171], v[185:186], -v[168:169]
.LBB82_156:
	s_or_b32 exec_lo, exec_lo, s2
.LBB82_157:
	s_delay_alu instid0(SALU_CYCLE_1) | instskip(NEXT) | instid1(SALU_CYCLE_1)
	s_or_b32 exec_lo, exec_lo, s3
	s_mov_b32 s2, exec_lo
	v_cmpx_ne_u32_e64 v184, v176
	s_xor_b32 s2, exec_lo, s2
	s_cbranch_execz .LBB82_163
; %bb.158:
	s_mov_b32 s3, exec_lo
	v_cmpx_eq_u32_e32 7, v184
	s_cbranch_execz .LBB82_162
; %bb.159:
	v_cmp_ne_u32_e32 vcc_lo, 7, v176
	s_xor_b32 s6, s4, -1
	s_delay_alu instid0(SALU_CYCLE_1) | instskip(NEXT) | instid1(SALU_CYCLE_1)
	s_and_b32 s7, s6, vcc_lo
	s_and_saveexec_b32 s6, s7
	s_cbranch_execz .LBB82_161
; %bb.160:
	v_ashrrev_i32_e32 v177, 31, v176
	s_delay_alu instid0(VALU_DEP_1) | instskip(NEXT) | instid1(VALU_DEP_1)
	v_lshlrev_b64 v[184:185], 2, v[176:177]
	v_add_co_u32 v184, vcc_lo, v174, v184
	s_delay_alu instid0(VALU_DEP_2)
	v_add_co_ci_u32_e32 v185, vcc_lo, v175, v185, vcc_lo
	s_clause 0x1
	flat_load_b32 v177, v[184:185]
	flat_load_b32 v181, v[174:175] offset:28
	s_waitcnt vmcnt(1) lgkmcnt(1)
	flat_store_b32 v[174:175], v177 offset:28
	s_waitcnt vmcnt(0) lgkmcnt(1)
	flat_store_b32 v[184:185], v181
.LBB82_161:
	s_or_b32 exec_lo, exec_lo, s6
	v_mov_b32_e32 v184, v176
	v_mov_b32_e32 v181, v176
.LBB82_162:
	s_or_b32 exec_lo, exec_lo, s3
.LBB82_163:
	s_and_not1_saveexec_b32 s2, s2
	s_cbranch_execz .LBB82_165
; %bb.164:
	v_mov_b32_e32 v184, 7
	ds_store_2addr_b64 v178, v[132:133], v[134:135] offset0:16 offset1:17
	ds_store_2addr_b64 v178, v[128:129], v[130:131] offset0:18 offset1:19
	;; [unrolled: 1-line block ×34, first 2 shown]
.LBB82_165:
	s_or_b32 exec_lo, exec_lo, s2
	s_delay_alu instid0(SALU_CYCLE_1)
	s_mov_b32 s2, exec_lo
	s_waitcnt lgkmcnt(0)
	s_waitcnt_vscnt null, 0x0
	s_barrier
	buffer_gl0_inv
	v_cmpx_lt_i32_e32 7, v184
	s_cbranch_execz .LBB82_167
; %bb.166:
	v_mul_f64 v[176:177], v[170:171], v[138:139]
	v_mul_f64 v[138:139], v[168:169], v[138:139]
	s_delay_alu instid0(VALU_DEP_2) | instskip(NEXT) | instid1(VALU_DEP_2)
	v_fma_f64 v[176:177], v[168:169], v[136:137], -v[176:177]
	v_fma_f64 v[138:139], v[170:171], v[136:137], v[138:139]
	ds_load_2addr_b64 v[168:171], v178 offset0:16 offset1:17
	s_waitcnt lgkmcnt(0)
	v_mul_f64 v[136:137], v[170:171], v[138:139]
	s_delay_alu instid0(VALU_DEP_1) | instskip(SKIP_1) | instid1(VALU_DEP_2)
	v_fma_f64 v[136:137], v[168:169], v[176:177], -v[136:137]
	v_mul_f64 v[168:169], v[168:169], v[138:139]
	v_add_f64 v[132:133], v[132:133], -v[136:137]
	s_delay_alu instid0(VALU_DEP_2) | instskip(NEXT) | instid1(VALU_DEP_1)
	v_fma_f64 v[168:169], v[170:171], v[176:177], v[168:169]
	v_add_f64 v[134:135], v[134:135], -v[168:169]
	ds_load_2addr_b64 v[168:171], v178 offset0:18 offset1:19
	s_waitcnt lgkmcnt(0)
	v_mul_f64 v[136:137], v[170:171], v[138:139]
	s_delay_alu instid0(VALU_DEP_1) | instskip(SKIP_1) | instid1(VALU_DEP_2)
	v_fma_f64 v[136:137], v[168:169], v[176:177], -v[136:137]
	v_mul_f64 v[168:169], v[168:169], v[138:139]
	v_add_f64 v[128:129], v[128:129], -v[136:137]
	s_delay_alu instid0(VALU_DEP_2) | instskip(NEXT) | instid1(VALU_DEP_1)
	v_fma_f64 v[168:169], v[170:171], v[176:177], v[168:169]
	v_add_f64 v[130:131], v[130:131], -v[168:169]
	;; [unrolled: 10-line block ×33, first 2 shown]
	ds_load_2addr_b64 v[168:171], v178 offset0:82 offset1:83
	s_waitcnt lgkmcnt(0)
	v_mul_f64 v[136:137], v[170:171], v[138:139]
	s_delay_alu instid0(VALU_DEP_1) | instskip(SKIP_1) | instid1(VALU_DEP_2)
	v_fma_f64 v[136:137], v[168:169], v[176:177], -v[136:137]
	v_mul_f64 v[168:169], v[168:169], v[138:139]
	v_add_f64 v[0:1], v[0:1], -v[136:137]
	s_delay_alu instid0(VALU_DEP_2) | instskip(SKIP_1) | instid1(VALU_DEP_2)
	v_fma_f64 v[168:169], v[170:171], v[176:177], v[168:169]
	v_dual_mov_b32 v136, v176 :: v_dual_mov_b32 v137, v177
	v_add_f64 v[2:3], v[2:3], -v[168:169]
.LBB82_167:
	s_or_b32 exec_lo, exec_lo, s2
	v_lshl_add_u32 v168, v184, 4, v178
	s_barrier
	buffer_gl0_inv
	v_mov_b32_e32 v176, 8
	ds_store_2addr_b64 v168, v[132:133], v[134:135] offset1:1
	s_waitcnt lgkmcnt(0)
	s_barrier
	buffer_gl0_inv
	ds_load_2addr_b64 v[168:171], v178 offset0:16 offset1:17
	s_cmp_lt_i32 s5, 10
	s_cbranch_scc1 .LBB82_170
; %bb.168:
	v_add3_u32 v177, v183, 0, 0x90
	v_mov_b32_e32 v176, 8
	s_mov_b32 s6, 9
	s_set_inst_prefetch_distance 0x1
	.p2align	6
.LBB82_169:                             ; =>This Inner Loop Header: Depth=1
	ds_load_2addr_b64 v[185:188], v177 offset1:1
	s_waitcnt lgkmcnt(1)
	v_cmp_gt_f64_e32 vcc_lo, 0, v[168:169]
	v_xor_b32_e32 v189, 0x80000000, v169
	v_cmp_gt_f64_e64 s2, 0, v[170:171]
	v_xor_b32_e32 v191, 0x80000000, v171
	v_add_nc_u32_e32 v177, 16, v177
	s_waitcnt lgkmcnt(0)
	v_cmp_gt_f64_e64 s3, 0, v[185:186]
	v_mov_b32_e32 v193, v185
	v_dual_mov_b32 v195, v187 :: v_dual_cndmask_b32 v190, v169, v189
	v_xor_b32_e32 v189, 0x80000000, v186
	v_cndmask_b32_e64 v192, v171, v191, s2
	v_xor_b32_e32 v191, 0x80000000, v188
	s_delay_alu instid0(VALU_DEP_3) | instskip(SKIP_2) | instid1(VALU_DEP_2)
	v_cndmask_b32_e64 v194, v186, v189, s3
	v_cmp_gt_f64_e64 s3, 0, v[187:188]
	v_cndmask_b32_e32 v189, v168, v168, vcc_lo
	v_cndmask_b32_e64 v196, v188, v191, s3
	v_cndmask_b32_e64 v191, v170, v170, s2
	s_delay_alu instid0(VALU_DEP_2) | instskip(NEXT) | instid1(VALU_DEP_2)
	v_add_f64 v[193:194], v[193:194], v[195:196]
	v_add_f64 v[189:190], v[189:190], v[191:192]
	s_delay_alu instid0(VALU_DEP_1) | instskip(SKIP_4) | instid1(SALU_CYCLE_1)
	v_cmp_lt_f64_e32 vcc_lo, v[189:190], v[193:194]
	v_dual_cndmask_b32 v170, v170, v187 :: v_dual_cndmask_b32 v169, v169, v186
	v_dual_cndmask_b32 v168, v168, v185 :: v_dual_cndmask_b32 v171, v171, v188
	v_cndmask_b32_e64 v176, v176, s6, vcc_lo
	s_add_i32 s6, s6, 1
	s_cmp_lg_u32 s5, s6
	s_cbranch_scc1 .LBB82_169
.LBB82_170:
	s_set_inst_prefetch_distance 0x2
	s_waitcnt lgkmcnt(0)
	v_cmp_eq_f64_e32 vcc_lo, 0, v[168:169]
	v_cmp_eq_f64_e64 s2, 0, v[170:171]
	s_delay_alu instid0(VALU_DEP_1) | instskip(NEXT) | instid1(SALU_CYCLE_1)
	s_and_b32 s2, vcc_lo, s2
	s_and_saveexec_b32 s3, s2
	s_delay_alu instid0(SALU_CYCLE_1)
	s_xor_b32 s2, exec_lo, s3
; %bb.171:
	v_cmp_ne_u32_e32 vcc_lo, 0, v182
	v_cndmask_b32_e32 v182, 9, v182, vcc_lo
; %bb.172:
	s_and_not1_saveexec_b32 s3, s2
	s_cbranch_execz .LBB82_178
; %bb.173:
	v_cmp_gt_f64_e32 vcc_lo, 0, v[168:169]
	v_cmp_gt_f64_e64 s2, 0, v[170:171]
	v_xor_b32_e32 v177, 0x80000000, v169
	v_xor_b32_e32 v185, 0x80000000, v171
	s_delay_alu instid0(VALU_DEP_2) | instskip(NEXT) | instid1(VALU_DEP_2)
	v_cndmask_b32_e32 v186, v169, v177, vcc_lo
	v_cndmask_b32_e64 v188, v171, v185, s2
	v_cndmask_b32_e32 v185, v168, v168, vcc_lo
	v_cndmask_b32_e64 v187, v170, v170, s2
	s_mov_b32 s2, exec_lo
	s_delay_alu instid0(VALU_DEP_1)
	v_cmpx_ngt_f64_e32 v[185:186], v[187:188]
	s_xor_b32 s2, exec_lo, s2
	s_cbranch_execz .LBB82_175
; %bb.174:
	v_div_scale_f64 v[185:186], null, v[170:171], v[170:171], v[168:169]
	v_div_scale_f64 v[191:192], vcc_lo, v[168:169], v[170:171], v[168:169]
	s_delay_alu instid0(VALU_DEP_2) | instskip(SKIP_2) | instid1(VALU_DEP_1)
	v_rcp_f64_e32 v[187:188], v[185:186]
	s_waitcnt_depctr 0xfff
	v_fma_f64 v[189:190], -v[185:186], v[187:188], 1.0
	v_fma_f64 v[187:188], v[187:188], v[189:190], v[187:188]
	s_delay_alu instid0(VALU_DEP_1) | instskip(NEXT) | instid1(VALU_DEP_1)
	v_fma_f64 v[189:190], -v[185:186], v[187:188], 1.0
	v_fma_f64 v[187:188], v[187:188], v[189:190], v[187:188]
	s_delay_alu instid0(VALU_DEP_1) | instskip(NEXT) | instid1(VALU_DEP_1)
	v_mul_f64 v[189:190], v[191:192], v[187:188]
	v_fma_f64 v[185:186], -v[185:186], v[189:190], v[191:192]
	s_delay_alu instid0(VALU_DEP_1) | instskip(NEXT) | instid1(VALU_DEP_1)
	v_div_fmas_f64 v[185:186], v[185:186], v[187:188], v[189:190]
	v_div_fixup_f64 v[185:186], v[185:186], v[170:171], v[168:169]
	s_delay_alu instid0(VALU_DEP_1) | instskip(NEXT) | instid1(VALU_DEP_1)
	v_fma_f64 v[168:169], v[168:169], v[185:186], v[170:171]
	v_div_scale_f64 v[170:171], null, v[168:169], v[168:169], 1.0
	s_delay_alu instid0(VALU_DEP_1) | instskip(SKIP_2) | instid1(VALU_DEP_1)
	v_rcp_f64_e32 v[187:188], v[170:171]
	s_waitcnt_depctr 0xfff
	v_fma_f64 v[189:190], -v[170:171], v[187:188], 1.0
	v_fma_f64 v[187:188], v[187:188], v[189:190], v[187:188]
	s_delay_alu instid0(VALU_DEP_1) | instskip(NEXT) | instid1(VALU_DEP_1)
	v_fma_f64 v[189:190], -v[170:171], v[187:188], 1.0
	v_fma_f64 v[187:188], v[187:188], v[189:190], v[187:188]
	v_div_scale_f64 v[189:190], vcc_lo, 1.0, v[168:169], 1.0
	s_delay_alu instid0(VALU_DEP_1) | instskip(NEXT) | instid1(VALU_DEP_1)
	v_mul_f64 v[191:192], v[189:190], v[187:188]
	v_fma_f64 v[170:171], -v[170:171], v[191:192], v[189:190]
	s_delay_alu instid0(VALU_DEP_1) | instskip(NEXT) | instid1(VALU_DEP_1)
	v_div_fmas_f64 v[170:171], v[170:171], v[187:188], v[191:192]
	v_div_fixup_f64 v[170:171], v[170:171], v[168:169], 1.0
	s_delay_alu instid0(VALU_DEP_1)
	v_mul_f64 v[168:169], v[185:186], v[170:171]
	v_xor_b32_e32 v171, 0x80000000, v171
.LBB82_175:
	s_and_not1_saveexec_b32 s2, s2
	s_cbranch_execz .LBB82_177
; %bb.176:
	s_delay_alu instid0(VALU_DEP_1) | instskip(SKIP_1) | instid1(VALU_DEP_2)
	v_div_scale_f64 v[185:186], null, v[168:169], v[168:169], v[170:171]
	v_div_scale_f64 v[191:192], vcc_lo, v[170:171], v[168:169], v[170:171]
	v_rcp_f64_e32 v[187:188], v[185:186]
	s_waitcnt_depctr 0xfff
	v_fma_f64 v[189:190], -v[185:186], v[187:188], 1.0
	s_delay_alu instid0(VALU_DEP_1) | instskip(NEXT) | instid1(VALU_DEP_1)
	v_fma_f64 v[187:188], v[187:188], v[189:190], v[187:188]
	v_fma_f64 v[189:190], -v[185:186], v[187:188], 1.0
	s_delay_alu instid0(VALU_DEP_1) | instskip(NEXT) | instid1(VALU_DEP_1)
	v_fma_f64 v[187:188], v[187:188], v[189:190], v[187:188]
	v_mul_f64 v[189:190], v[191:192], v[187:188]
	s_delay_alu instid0(VALU_DEP_1) | instskip(NEXT) | instid1(VALU_DEP_1)
	v_fma_f64 v[185:186], -v[185:186], v[189:190], v[191:192]
	v_div_fmas_f64 v[185:186], v[185:186], v[187:188], v[189:190]
	s_delay_alu instid0(VALU_DEP_1) | instskip(NEXT) | instid1(VALU_DEP_1)
	v_div_fixup_f64 v[185:186], v[185:186], v[168:169], v[170:171]
	v_fma_f64 v[168:169], v[170:171], v[185:186], v[168:169]
	s_delay_alu instid0(VALU_DEP_1) | instskip(NEXT) | instid1(VALU_DEP_1)
	v_div_scale_f64 v[170:171], null, v[168:169], v[168:169], 1.0
	v_rcp_f64_e32 v[187:188], v[170:171]
	s_waitcnt_depctr 0xfff
	v_fma_f64 v[189:190], -v[170:171], v[187:188], 1.0
	s_delay_alu instid0(VALU_DEP_1) | instskip(NEXT) | instid1(VALU_DEP_1)
	v_fma_f64 v[187:188], v[187:188], v[189:190], v[187:188]
	v_fma_f64 v[189:190], -v[170:171], v[187:188], 1.0
	s_delay_alu instid0(VALU_DEP_1) | instskip(SKIP_1) | instid1(VALU_DEP_1)
	v_fma_f64 v[187:188], v[187:188], v[189:190], v[187:188]
	v_div_scale_f64 v[189:190], vcc_lo, 1.0, v[168:169], 1.0
	v_mul_f64 v[191:192], v[189:190], v[187:188]
	s_delay_alu instid0(VALU_DEP_1) | instskip(NEXT) | instid1(VALU_DEP_1)
	v_fma_f64 v[170:171], -v[170:171], v[191:192], v[189:190]
	v_div_fmas_f64 v[170:171], v[170:171], v[187:188], v[191:192]
	s_delay_alu instid0(VALU_DEP_1) | instskip(NEXT) | instid1(VALU_DEP_1)
	v_div_fixup_f64 v[168:169], v[170:171], v[168:169], 1.0
	v_mul_f64 v[170:171], v[185:186], -v[168:169]
.LBB82_177:
	s_or_b32 exec_lo, exec_lo, s2
.LBB82_178:
	s_delay_alu instid0(SALU_CYCLE_1) | instskip(NEXT) | instid1(SALU_CYCLE_1)
	s_or_b32 exec_lo, exec_lo, s3
	s_mov_b32 s2, exec_lo
	v_cmpx_ne_u32_e64 v184, v176
	s_xor_b32 s2, exec_lo, s2
	s_cbranch_execz .LBB82_184
; %bb.179:
	s_mov_b32 s3, exec_lo
	v_cmpx_eq_u32_e32 8, v184
	s_cbranch_execz .LBB82_183
; %bb.180:
	v_cmp_ne_u32_e32 vcc_lo, 8, v176
	s_xor_b32 s6, s4, -1
	s_delay_alu instid0(SALU_CYCLE_1) | instskip(NEXT) | instid1(SALU_CYCLE_1)
	s_and_b32 s7, s6, vcc_lo
	s_and_saveexec_b32 s6, s7
	s_cbranch_execz .LBB82_182
; %bb.181:
	v_ashrrev_i32_e32 v177, 31, v176
	s_delay_alu instid0(VALU_DEP_1) | instskip(NEXT) | instid1(VALU_DEP_1)
	v_lshlrev_b64 v[184:185], 2, v[176:177]
	v_add_co_u32 v184, vcc_lo, v174, v184
	s_delay_alu instid0(VALU_DEP_2)
	v_add_co_ci_u32_e32 v185, vcc_lo, v175, v185, vcc_lo
	s_clause 0x1
	flat_load_b32 v177, v[184:185]
	flat_load_b32 v181, v[174:175] offset:32
	s_waitcnt vmcnt(1) lgkmcnt(1)
	flat_store_b32 v[174:175], v177 offset:32
	s_waitcnt vmcnt(0) lgkmcnt(1)
	flat_store_b32 v[184:185], v181
.LBB82_182:
	s_or_b32 exec_lo, exec_lo, s6
	v_mov_b32_e32 v184, v176
	v_mov_b32_e32 v181, v176
.LBB82_183:
	s_or_b32 exec_lo, exec_lo, s3
.LBB82_184:
	s_and_not1_saveexec_b32 s2, s2
	s_cbranch_execz .LBB82_186
; %bb.185:
	v_mov_b32_e32 v184, 8
	ds_store_2addr_b64 v178, v[128:129], v[130:131] offset0:18 offset1:19
	ds_store_2addr_b64 v178, v[124:125], v[126:127] offset0:20 offset1:21
	;; [unrolled: 1-line block ×33, first 2 shown]
.LBB82_186:
	s_or_b32 exec_lo, exec_lo, s2
	s_delay_alu instid0(SALU_CYCLE_1)
	s_mov_b32 s2, exec_lo
	s_waitcnt lgkmcnt(0)
	s_waitcnt_vscnt null, 0x0
	s_barrier
	buffer_gl0_inv
	v_cmpx_lt_i32_e32 8, v184
	s_cbranch_execz .LBB82_188
; %bb.187:
	v_mul_f64 v[176:177], v[170:171], v[134:135]
	v_mul_f64 v[134:135], v[168:169], v[134:135]
	s_delay_alu instid0(VALU_DEP_2) | instskip(NEXT) | instid1(VALU_DEP_2)
	v_fma_f64 v[176:177], v[168:169], v[132:133], -v[176:177]
	v_fma_f64 v[134:135], v[170:171], v[132:133], v[134:135]
	ds_load_2addr_b64 v[168:171], v178 offset0:18 offset1:19
	s_waitcnt lgkmcnt(0)
	v_mul_f64 v[132:133], v[170:171], v[134:135]
	s_delay_alu instid0(VALU_DEP_1) | instskip(SKIP_1) | instid1(VALU_DEP_2)
	v_fma_f64 v[132:133], v[168:169], v[176:177], -v[132:133]
	v_mul_f64 v[168:169], v[168:169], v[134:135]
	v_add_f64 v[128:129], v[128:129], -v[132:133]
	s_delay_alu instid0(VALU_DEP_2) | instskip(NEXT) | instid1(VALU_DEP_1)
	v_fma_f64 v[168:169], v[170:171], v[176:177], v[168:169]
	v_add_f64 v[130:131], v[130:131], -v[168:169]
	ds_load_2addr_b64 v[168:171], v178 offset0:20 offset1:21
	s_waitcnt lgkmcnt(0)
	v_mul_f64 v[132:133], v[170:171], v[134:135]
	s_delay_alu instid0(VALU_DEP_1) | instskip(SKIP_1) | instid1(VALU_DEP_2)
	v_fma_f64 v[132:133], v[168:169], v[176:177], -v[132:133]
	v_mul_f64 v[168:169], v[168:169], v[134:135]
	v_add_f64 v[124:125], v[124:125], -v[132:133]
	s_delay_alu instid0(VALU_DEP_2) | instskip(NEXT) | instid1(VALU_DEP_1)
	v_fma_f64 v[168:169], v[170:171], v[176:177], v[168:169]
	v_add_f64 v[126:127], v[126:127], -v[168:169]
	;; [unrolled: 10-line block ×32, first 2 shown]
	ds_load_2addr_b64 v[168:171], v178 offset0:82 offset1:83
	s_waitcnt lgkmcnt(0)
	v_mul_f64 v[132:133], v[170:171], v[134:135]
	s_delay_alu instid0(VALU_DEP_1) | instskip(SKIP_1) | instid1(VALU_DEP_2)
	v_fma_f64 v[132:133], v[168:169], v[176:177], -v[132:133]
	v_mul_f64 v[168:169], v[168:169], v[134:135]
	v_add_f64 v[0:1], v[0:1], -v[132:133]
	s_delay_alu instid0(VALU_DEP_2) | instskip(SKIP_1) | instid1(VALU_DEP_2)
	v_fma_f64 v[168:169], v[170:171], v[176:177], v[168:169]
	v_dual_mov_b32 v132, v176 :: v_dual_mov_b32 v133, v177
	v_add_f64 v[2:3], v[2:3], -v[168:169]
.LBB82_188:
	s_or_b32 exec_lo, exec_lo, s2
	v_lshl_add_u32 v168, v184, 4, v178
	s_barrier
	buffer_gl0_inv
	v_mov_b32_e32 v176, 9
	ds_store_2addr_b64 v168, v[128:129], v[130:131] offset1:1
	s_waitcnt lgkmcnt(0)
	s_barrier
	buffer_gl0_inv
	ds_load_2addr_b64 v[168:171], v178 offset0:18 offset1:19
	s_cmp_lt_i32 s5, 11
	s_cbranch_scc1 .LBB82_191
; %bb.189:
	v_add3_u32 v177, v183, 0, 0xa0
	v_mov_b32_e32 v176, 9
	s_mov_b32 s6, 10
	s_set_inst_prefetch_distance 0x1
	.p2align	6
.LBB82_190:                             ; =>This Inner Loop Header: Depth=1
	ds_load_2addr_b64 v[185:188], v177 offset1:1
	s_waitcnt lgkmcnt(1)
	v_cmp_gt_f64_e32 vcc_lo, 0, v[168:169]
	v_xor_b32_e32 v189, 0x80000000, v169
	v_cmp_gt_f64_e64 s2, 0, v[170:171]
	v_xor_b32_e32 v191, 0x80000000, v171
	v_add_nc_u32_e32 v177, 16, v177
	s_waitcnt lgkmcnt(0)
	v_cmp_gt_f64_e64 s3, 0, v[185:186]
	v_mov_b32_e32 v193, v185
	v_dual_mov_b32 v195, v187 :: v_dual_cndmask_b32 v190, v169, v189
	v_xor_b32_e32 v189, 0x80000000, v186
	v_cndmask_b32_e64 v192, v171, v191, s2
	v_xor_b32_e32 v191, 0x80000000, v188
	s_delay_alu instid0(VALU_DEP_3) | instskip(SKIP_2) | instid1(VALU_DEP_2)
	v_cndmask_b32_e64 v194, v186, v189, s3
	v_cmp_gt_f64_e64 s3, 0, v[187:188]
	v_cndmask_b32_e32 v189, v168, v168, vcc_lo
	v_cndmask_b32_e64 v196, v188, v191, s3
	v_cndmask_b32_e64 v191, v170, v170, s2
	s_delay_alu instid0(VALU_DEP_2) | instskip(NEXT) | instid1(VALU_DEP_2)
	v_add_f64 v[193:194], v[193:194], v[195:196]
	v_add_f64 v[189:190], v[189:190], v[191:192]
	s_delay_alu instid0(VALU_DEP_1) | instskip(SKIP_4) | instid1(SALU_CYCLE_1)
	v_cmp_lt_f64_e32 vcc_lo, v[189:190], v[193:194]
	v_dual_cndmask_b32 v170, v170, v187 :: v_dual_cndmask_b32 v169, v169, v186
	v_dual_cndmask_b32 v168, v168, v185 :: v_dual_cndmask_b32 v171, v171, v188
	v_cndmask_b32_e64 v176, v176, s6, vcc_lo
	s_add_i32 s6, s6, 1
	s_cmp_lg_u32 s5, s6
	s_cbranch_scc1 .LBB82_190
.LBB82_191:
	s_set_inst_prefetch_distance 0x2
	s_waitcnt lgkmcnt(0)
	v_cmp_eq_f64_e32 vcc_lo, 0, v[168:169]
	v_cmp_eq_f64_e64 s2, 0, v[170:171]
	s_delay_alu instid0(VALU_DEP_1) | instskip(NEXT) | instid1(SALU_CYCLE_1)
	s_and_b32 s2, vcc_lo, s2
	s_and_saveexec_b32 s3, s2
	s_delay_alu instid0(SALU_CYCLE_1)
	s_xor_b32 s2, exec_lo, s3
; %bb.192:
	v_cmp_ne_u32_e32 vcc_lo, 0, v182
	v_cndmask_b32_e32 v182, 10, v182, vcc_lo
; %bb.193:
	s_and_not1_saveexec_b32 s3, s2
	s_cbranch_execz .LBB82_199
; %bb.194:
	v_cmp_gt_f64_e32 vcc_lo, 0, v[168:169]
	v_cmp_gt_f64_e64 s2, 0, v[170:171]
	v_xor_b32_e32 v177, 0x80000000, v169
	v_xor_b32_e32 v185, 0x80000000, v171
	s_delay_alu instid0(VALU_DEP_2) | instskip(NEXT) | instid1(VALU_DEP_2)
	v_cndmask_b32_e32 v186, v169, v177, vcc_lo
	v_cndmask_b32_e64 v188, v171, v185, s2
	v_cndmask_b32_e32 v185, v168, v168, vcc_lo
	v_cndmask_b32_e64 v187, v170, v170, s2
	s_mov_b32 s2, exec_lo
	s_delay_alu instid0(VALU_DEP_1)
	v_cmpx_ngt_f64_e32 v[185:186], v[187:188]
	s_xor_b32 s2, exec_lo, s2
	s_cbranch_execz .LBB82_196
; %bb.195:
	v_div_scale_f64 v[185:186], null, v[170:171], v[170:171], v[168:169]
	v_div_scale_f64 v[191:192], vcc_lo, v[168:169], v[170:171], v[168:169]
	s_delay_alu instid0(VALU_DEP_2) | instskip(SKIP_2) | instid1(VALU_DEP_1)
	v_rcp_f64_e32 v[187:188], v[185:186]
	s_waitcnt_depctr 0xfff
	v_fma_f64 v[189:190], -v[185:186], v[187:188], 1.0
	v_fma_f64 v[187:188], v[187:188], v[189:190], v[187:188]
	s_delay_alu instid0(VALU_DEP_1) | instskip(NEXT) | instid1(VALU_DEP_1)
	v_fma_f64 v[189:190], -v[185:186], v[187:188], 1.0
	v_fma_f64 v[187:188], v[187:188], v[189:190], v[187:188]
	s_delay_alu instid0(VALU_DEP_1) | instskip(NEXT) | instid1(VALU_DEP_1)
	v_mul_f64 v[189:190], v[191:192], v[187:188]
	v_fma_f64 v[185:186], -v[185:186], v[189:190], v[191:192]
	s_delay_alu instid0(VALU_DEP_1) | instskip(NEXT) | instid1(VALU_DEP_1)
	v_div_fmas_f64 v[185:186], v[185:186], v[187:188], v[189:190]
	v_div_fixup_f64 v[185:186], v[185:186], v[170:171], v[168:169]
	s_delay_alu instid0(VALU_DEP_1) | instskip(NEXT) | instid1(VALU_DEP_1)
	v_fma_f64 v[168:169], v[168:169], v[185:186], v[170:171]
	v_div_scale_f64 v[170:171], null, v[168:169], v[168:169], 1.0
	s_delay_alu instid0(VALU_DEP_1) | instskip(SKIP_2) | instid1(VALU_DEP_1)
	v_rcp_f64_e32 v[187:188], v[170:171]
	s_waitcnt_depctr 0xfff
	v_fma_f64 v[189:190], -v[170:171], v[187:188], 1.0
	v_fma_f64 v[187:188], v[187:188], v[189:190], v[187:188]
	s_delay_alu instid0(VALU_DEP_1) | instskip(NEXT) | instid1(VALU_DEP_1)
	v_fma_f64 v[189:190], -v[170:171], v[187:188], 1.0
	v_fma_f64 v[187:188], v[187:188], v[189:190], v[187:188]
	v_div_scale_f64 v[189:190], vcc_lo, 1.0, v[168:169], 1.0
	s_delay_alu instid0(VALU_DEP_1) | instskip(NEXT) | instid1(VALU_DEP_1)
	v_mul_f64 v[191:192], v[189:190], v[187:188]
	v_fma_f64 v[170:171], -v[170:171], v[191:192], v[189:190]
	s_delay_alu instid0(VALU_DEP_1) | instskip(NEXT) | instid1(VALU_DEP_1)
	v_div_fmas_f64 v[170:171], v[170:171], v[187:188], v[191:192]
	v_div_fixup_f64 v[170:171], v[170:171], v[168:169], 1.0
	s_delay_alu instid0(VALU_DEP_1)
	v_mul_f64 v[168:169], v[185:186], v[170:171]
	v_xor_b32_e32 v171, 0x80000000, v171
.LBB82_196:
	s_and_not1_saveexec_b32 s2, s2
	s_cbranch_execz .LBB82_198
; %bb.197:
	s_delay_alu instid0(VALU_DEP_1) | instskip(SKIP_1) | instid1(VALU_DEP_2)
	v_div_scale_f64 v[185:186], null, v[168:169], v[168:169], v[170:171]
	v_div_scale_f64 v[191:192], vcc_lo, v[170:171], v[168:169], v[170:171]
	v_rcp_f64_e32 v[187:188], v[185:186]
	s_waitcnt_depctr 0xfff
	v_fma_f64 v[189:190], -v[185:186], v[187:188], 1.0
	s_delay_alu instid0(VALU_DEP_1) | instskip(NEXT) | instid1(VALU_DEP_1)
	v_fma_f64 v[187:188], v[187:188], v[189:190], v[187:188]
	v_fma_f64 v[189:190], -v[185:186], v[187:188], 1.0
	s_delay_alu instid0(VALU_DEP_1) | instskip(NEXT) | instid1(VALU_DEP_1)
	v_fma_f64 v[187:188], v[187:188], v[189:190], v[187:188]
	v_mul_f64 v[189:190], v[191:192], v[187:188]
	s_delay_alu instid0(VALU_DEP_1) | instskip(NEXT) | instid1(VALU_DEP_1)
	v_fma_f64 v[185:186], -v[185:186], v[189:190], v[191:192]
	v_div_fmas_f64 v[185:186], v[185:186], v[187:188], v[189:190]
	s_delay_alu instid0(VALU_DEP_1) | instskip(NEXT) | instid1(VALU_DEP_1)
	v_div_fixup_f64 v[185:186], v[185:186], v[168:169], v[170:171]
	v_fma_f64 v[168:169], v[170:171], v[185:186], v[168:169]
	s_delay_alu instid0(VALU_DEP_1) | instskip(NEXT) | instid1(VALU_DEP_1)
	v_div_scale_f64 v[170:171], null, v[168:169], v[168:169], 1.0
	v_rcp_f64_e32 v[187:188], v[170:171]
	s_waitcnt_depctr 0xfff
	v_fma_f64 v[189:190], -v[170:171], v[187:188], 1.0
	s_delay_alu instid0(VALU_DEP_1) | instskip(NEXT) | instid1(VALU_DEP_1)
	v_fma_f64 v[187:188], v[187:188], v[189:190], v[187:188]
	v_fma_f64 v[189:190], -v[170:171], v[187:188], 1.0
	s_delay_alu instid0(VALU_DEP_1) | instskip(SKIP_1) | instid1(VALU_DEP_1)
	v_fma_f64 v[187:188], v[187:188], v[189:190], v[187:188]
	v_div_scale_f64 v[189:190], vcc_lo, 1.0, v[168:169], 1.0
	v_mul_f64 v[191:192], v[189:190], v[187:188]
	s_delay_alu instid0(VALU_DEP_1) | instskip(NEXT) | instid1(VALU_DEP_1)
	v_fma_f64 v[170:171], -v[170:171], v[191:192], v[189:190]
	v_div_fmas_f64 v[170:171], v[170:171], v[187:188], v[191:192]
	s_delay_alu instid0(VALU_DEP_1) | instskip(NEXT) | instid1(VALU_DEP_1)
	v_div_fixup_f64 v[168:169], v[170:171], v[168:169], 1.0
	v_mul_f64 v[170:171], v[185:186], -v[168:169]
.LBB82_198:
	s_or_b32 exec_lo, exec_lo, s2
.LBB82_199:
	s_delay_alu instid0(SALU_CYCLE_1) | instskip(NEXT) | instid1(SALU_CYCLE_1)
	s_or_b32 exec_lo, exec_lo, s3
	s_mov_b32 s2, exec_lo
	v_cmpx_ne_u32_e64 v184, v176
	s_xor_b32 s2, exec_lo, s2
	s_cbranch_execz .LBB82_205
; %bb.200:
	s_mov_b32 s3, exec_lo
	v_cmpx_eq_u32_e32 9, v184
	s_cbranch_execz .LBB82_204
; %bb.201:
	v_cmp_ne_u32_e32 vcc_lo, 9, v176
	s_xor_b32 s6, s4, -1
	s_delay_alu instid0(SALU_CYCLE_1) | instskip(NEXT) | instid1(SALU_CYCLE_1)
	s_and_b32 s7, s6, vcc_lo
	s_and_saveexec_b32 s6, s7
	s_cbranch_execz .LBB82_203
; %bb.202:
	v_ashrrev_i32_e32 v177, 31, v176
	s_delay_alu instid0(VALU_DEP_1) | instskip(NEXT) | instid1(VALU_DEP_1)
	v_lshlrev_b64 v[184:185], 2, v[176:177]
	v_add_co_u32 v184, vcc_lo, v174, v184
	s_delay_alu instid0(VALU_DEP_2)
	v_add_co_ci_u32_e32 v185, vcc_lo, v175, v185, vcc_lo
	s_clause 0x1
	flat_load_b32 v177, v[184:185]
	flat_load_b32 v181, v[174:175] offset:36
	s_waitcnt vmcnt(1) lgkmcnt(1)
	flat_store_b32 v[174:175], v177 offset:36
	s_waitcnt vmcnt(0) lgkmcnt(1)
	flat_store_b32 v[184:185], v181
.LBB82_203:
	s_or_b32 exec_lo, exec_lo, s6
	v_mov_b32_e32 v184, v176
	v_mov_b32_e32 v181, v176
.LBB82_204:
	s_or_b32 exec_lo, exec_lo, s3
.LBB82_205:
	s_and_not1_saveexec_b32 s2, s2
	s_cbranch_execz .LBB82_207
; %bb.206:
	v_mov_b32_e32 v184, 9
	ds_store_2addr_b64 v178, v[124:125], v[126:127] offset0:20 offset1:21
	ds_store_2addr_b64 v178, v[120:121], v[122:123] offset0:22 offset1:23
	;; [unrolled: 1-line block ×32, first 2 shown]
.LBB82_207:
	s_or_b32 exec_lo, exec_lo, s2
	s_delay_alu instid0(SALU_CYCLE_1)
	s_mov_b32 s2, exec_lo
	s_waitcnt lgkmcnt(0)
	s_waitcnt_vscnt null, 0x0
	s_barrier
	buffer_gl0_inv
	v_cmpx_lt_i32_e32 9, v184
	s_cbranch_execz .LBB82_209
; %bb.208:
	v_mul_f64 v[176:177], v[170:171], v[130:131]
	v_mul_f64 v[130:131], v[168:169], v[130:131]
	s_delay_alu instid0(VALU_DEP_2) | instskip(NEXT) | instid1(VALU_DEP_2)
	v_fma_f64 v[176:177], v[168:169], v[128:129], -v[176:177]
	v_fma_f64 v[130:131], v[170:171], v[128:129], v[130:131]
	ds_load_2addr_b64 v[168:171], v178 offset0:20 offset1:21
	s_waitcnt lgkmcnt(0)
	v_mul_f64 v[128:129], v[170:171], v[130:131]
	s_delay_alu instid0(VALU_DEP_1) | instskip(SKIP_1) | instid1(VALU_DEP_2)
	v_fma_f64 v[128:129], v[168:169], v[176:177], -v[128:129]
	v_mul_f64 v[168:169], v[168:169], v[130:131]
	v_add_f64 v[124:125], v[124:125], -v[128:129]
	s_delay_alu instid0(VALU_DEP_2) | instskip(NEXT) | instid1(VALU_DEP_1)
	v_fma_f64 v[168:169], v[170:171], v[176:177], v[168:169]
	v_add_f64 v[126:127], v[126:127], -v[168:169]
	ds_load_2addr_b64 v[168:171], v178 offset0:22 offset1:23
	s_waitcnt lgkmcnt(0)
	v_mul_f64 v[128:129], v[170:171], v[130:131]
	s_delay_alu instid0(VALU_DEP_1) | instskip(SKIP_1) | instid1(VALU_DEP_2)
	v_fma_f64 v[128:129], v[168:169], v[176:177], -v[128:129]
	v_mul_f64 v[168:169], v[168:169], v[130:131]
	v_add_f64 v[120:121], v[120:121], -v[128:129]
	s_delay_alu instid0(VALU_DEP_2) | instskip(NEXT) | instid1(VALU_DEP_1)
	v_fma_f64 v[168:169], v[170:171], v[176:177], v[168:169]
	v_add_f64 v[122:123], v[122:123], -v[168:169]
	;; [unrolled: 10-line block ×31, first 2 shown]
	ds_load_2addr_b64 v[168:171], v178 offset0:82 offset1:83
	s_waitcnt lgkmcnt(0)
	v_mul_f64 v[128:129], v[170:171], v[130:131]
	s_delay_alu instid0(VALU_DEP_1) | instskip(SKIP_1) | instid1(VALU_DEP_2)
	v_fma_f64 v[128:129], v[168:169], v[176:177], -v[128:129]
	v_mul_f64 v[168:169], v[168:169], v[130:131]
	v_add_f64 v[0:1], v[0:1], -v[128:129]
	s_delay_alu instid0(VALU_DEP_2) | instskip(SKIP_1) | instid1(VALU_DEP_2)
	v_fma_f64 v[168:169], v[170:171], v[176:177], v[168:169]
	v_dual_mov_b32 v128, v176 :: v_dual_mov_b32 v129, v177
	v_add_f64 v[2:3], v[2:3], -v[168:169]
.LBB82_209:
	s_or_b32 exec_lo, exec_lo, s2
	v_lshl_add_u32 v168, v184, 4, v178
	s_barrier
	buffer_gl0_inv
	v_mov_b32_e32 v176, 10
	ds_store_2addr_b64 v168, v[124:125], v[126:127] offset1:1
	s_waitcnt lgkmcnt(0)
	s_barrier
	buffer_gl0_inv
	ds_load_2addr_b64 v[168:171], v178 offset0:20 offset1:21
	s_cmp_lt_i32 s5, 12
	s_cbranch_scc1 .LBB82_212
; %bb.210:
	v_add3_u32 v177, v183, 0, 0xb0
	v_mov_b32_e32 v176, 10
	s_mov_b32 s6, 11
	s_set_inst_prefetch_distance 0x1
	.p2align	6
.LBB82_211:                             ; =>This Inner Loop Header: Depth=1
	ds_load_2addr_b64 v[185:188], v177 offset1:1
	s_waitcnt lgkmcnt(1)
	v_cmp_gt_f64_e32 vcc_lo, 0, v[168:169]
	v_xor_b32_e32 v189, 0x80000000, v169
	v_cmp_gt_f64_e64 s2, 0, v[170:171]
	v_xor_b32_e32 v191, 0x80000000, v171
	v_add_nc_u32_e32 v177, 16, v177
	s_waitcnt lgkmcnt(0)
	v_cmp_gt_f64_e64 s3, 0, v[185:186]
	v_mov_b32_e32 v193, v185
	v_dual_mov_b32 v195, v187 :: v_dual_cndmask_b32 v190, v169, v189
	v_xor_b32_e32 v189, 0x80000000, v186
	v_cndmask_b32_e64 v192, v171, v191, s2
	v_xor_b32_e32 v191, 0x80000000, v188
	s_delay_alu instid0(VALU_DEP_3) | instskip(SKIP_2) | instid1(VALU_DEP_2)
	v_cndmask_b32_e64 v194, v186, v189, s3
	v_cmp_gt_f64_e64 s3, 0, v[187:188]
	v_cndmask_b32_e32 v189, v168, v168, vcc_lo
	v_cndmask_b32_e64 v196, v188, v191, s3
	v_cndmask_b32_e64 v191, v170, v170, s2
	s_delay_alu instid0(VALU_DEP_2) | instskip(NEXT) | instid1(VALU_DEP_2)
	v_add_f64 v[193:194], v[193:194], v[195:196]
	v_add_f64 v[189:190], v[189:190], v[191:192]
	s_delay_alu instid0(VALU_DEP_1) | instskip(SKIP_4) | instid1(SALU_CYCLE_1)
	v_cmp_lt_f64_e32 vcc_lo, v[189:190], v[193:194]
	v_dual_cndmask_b32 v170, v170, v187 :: v_dual_cndmask_b32 v169, v169, v186
	v_dual_cndmask_b32 v168, v168, v185 :: v_dual_cndmask_b32 v171, v171, v188
	v_cndmask_b32_e64 v176, v176, s6, vcc_lo
	s_add_i32 s6, s6, 1
	s_cmp_lg_u32 s5, s6
	s_cbranch_scc1 .LBB82_211
.LBB82_212:
	s_set_inst_prefetch_distance 0x2
	s_waitcnt lgkmcnt(0)
	v_cmp_eq_f64_e32 vcc_lo, 0, v[168:169]
	v_cmp_eq_f64_e64 s2, 0, v[170:171]
	s_delay_alu instid0(VALU_DEP_1) | instskip(NEXT) | instid1(SALU_CYCLE_1)
	s_and_b32 s2, vcc_lo, s2
	s_and_saveexec_b32 s3, s2
	s_delay_alu instid0(SALU_CYCLE_1)
	s_xor_b32 s2, exec_lo, s3
; %bb.213:
	v_cmp_ne_u32_e32 vcc_lo, 0, v182
	v_cndmask_b32_e32 v182, 11, v182, vcc_lo
; %bb.214:
	s_and_not1_saveexec_b32 s3, s2
	s_cbranch_execz .LBB82_220
; %bb.215:
	v_cmp_gt_f64_e32 vcc_lo, 0, v[168:169]
	v_cmp_gt_f64_e64 s2, 0, v[170:171]
	v_xor_b32_e32 v177, 0x80000000, v169
	v_xor_b32_e32 v185, 0x80000000, v171
	s_delay_alu instid0(VALU_DEP_2) | instskip(NEXT) | instid1(VALU_DEP_2)
	v_cndmask_b32_e32 v186, v169, v177, vcc_lo
	v_cndmask_b32_e64 v188, v171, v185, s2
	v_cndmask_b32_e32 v185, v168, v168, vcc_lo
	v_cndmask_b32_e64 v187, v170, v170, s2
	s_mov_b32 s2, exec_lo
	s_delay_alu instid0(VALU_DEP_1)
	v_cmpx_ngt_f64_e32 v[185:186], v[187:188]
	s_xor_b32 s2, exec_lo, s2
	s_cbranch_execz .LBB82_217
; %bb.216:
	v_div_scale_f64 v[185:186], null, v[170:171], v[170:171], v[168:169]
	v_div_scale_f64 v[191:192], vcc_lo, v[168:169], v[170:171], v[168:169]
	s_delay_alu instid0(VALU_DEP_2) | instskip(SKIP_2) | instid1(VALU_DEP_1)
	v_rcp_f64_e32 v[187:188], v[185:186]
	s_waitcnt_depctr 0xfff
	v_fma_f64 v[189:190], -v[185:186], v[187:188], 1.0
	v_fma_f64 v[187:188], v[187:188], v[189:190], v[187:188]
	s_delay_alu instid0(VALU_DEP_1) | instskip(NEXT) | instid1(VALU_DEP_1)
	v_fma_f64 v[189:190], -v[185:186], v[187:188], 1.0
	v_fma_f64 v[187:188], v[187:188], v[189:190], v[187:188]
	s_delay_alu instid0(VALU_DEP_1) | instskip(NEXT) | instid1(VALU_DEP_1)
	v_mul_f64 v[189:190], v[191:192], v[187:188]
	v_fma_f64 v[185:186], -v[185:186], v[189:190], v[191:192]
	s_delay_alu instid0(VALU_DEP_1) | instskip(NEXT) | instid1(VALU_DEP_1)
	v_div_fmas_f64 v[185:186], v[185:186], v[187:188], v[189:190]
	v_div_fixup_f64 v[185:186], v[185:186], v[170:171], v[168:169]
	s_delay_alu instid0(VALU_DEP_1) | instskip(NEXT) | instid1(VALU_DEP_1)
	v_fma_f64 v[168:169], v[168:169], v[185:186], v[170:171]
	v_div_scale_f64 v[170:171], null, v[168:169], v[168:169], 1.0
	s_delay_alu instid0(VALU_DEP_1) | instskip(SKIP_2) | instid1(VALU_DEP_1)
	v_rcp_f64_e32 v[187:188], v[170:171]
	s_waitcnt_depctr 0xfff
	v_fma_f64 v[189:190], -v[170:171], v[187:188], 1.0
	v_fma_f64 v[187:188], v[187:188], v[189:190], v[187:188]
	s_delay_alu instid0(VALU_DEP_1) | instskip(NEXT) | instid1(VALU_DEP_1)
	v_fma_f64 v[189:190], -v[170:171], v[187:188], 1.0
	v_fma_f64 v[187:188], v[187:188], v[189:190], v[187:188]
	v_div_scale_f64 v[189:190], vcc_lo, 1.0, v[168:169], 1.0
	s_delay_alu instid0(VALU_DEP_1) | instskip(NEXT) | instid1(VALU_DEP_1)
	v_mul_f64 v[191:192], v[189:190], v[187:188]
	v_fma_f64 v[170:171], -v[170:171], v[191:192], v[189:190]
	s_delay_alu instid0(VALU_DEP_1) | instskip(NEXT) | instid1(VALU_DEP_1)
	v_div_fmas_f64 v[170:171], v[170:171], v[187:188], v[191:192]
	v_div_fixup_f64 v[170:171], v[170:171], v[168:169], 1.0
	s_delay_alu instid0(VALU_DEP_1)
	v_mul_f64 v[168:169], v[185:186], v[170:171]
	v_xor_b32_e32 v171, 0x80000000, v171
.LBB82_217:
	s_and_not1_saveexec_b32 s2, s2
	s_cbranch_execz .LBB82_219
; %bb.218:
	s_delay_alu instid0(VALU_DEP_1) | instskip(SKIP_1) | instid1(VALU_DEP_2)
	v_div_scale_f64 v[185:186], null, v[168:169], v[168:169], v[170:171]
	v_div_scale_f64 v[191:192], vcc_lo, v[170:171], v[168:169], v[170:171]
	v_rcp_f64_e32 v[187:188], v[185:186]
	s_waitcnt_depctr 0xfff
	v_fma_f64 v[189:190], -v[185:186], v[187:188], 1.0
	s_delay_alu instid0(VALU_DEP_1) | instskip(NEXT) | instid1(VALU_DEP_1)
	v_fma_f64 v[187:188], v[187:188], v[189:190], v[187:188]
	v_fma_f64 v[189:190], -v[185:186], v[187:188], 1.0
	s_delay_alu instid0(VALU_DEP_1) | instskip(NEXT) | instid1(VALU_DEP_1)
	v_fma_f64 v[187:188], v[187:188], v[189:190], v[187:188]
	v_mul_f64 v[189:190], v[191:192], v[187:188]
	s_delay_alu instid0(VALU_DEP_1) | instskip(NEXT) | instid1(VALU_DEP_1)
	v_fma_f64 v[185:186], -v[185:186], v[189:190], v[191:192]
	v_div_fmas_f64 v[185:186], v[185:186], v[187:188], v[189:190]
	s_delay_alu instid0(VALU_DEP_1) | instskip(NEXT) | instid1(VALU_DEP_1)
	v_div_fixup_f64 v[185:186], v[185:186], v[168:169], v[170:171]
	v_fma_f64 v[168:169], v[170:171], v[185:186], v[168:169]
	s_delay_alu instid0(VALU_DEP_1) | instskip(NEXT) | instid1(VALU_DEP_1)
	v_div_scale_f64 v[170:171], null, v[168:169], v[168:169], 1.0
	v_rcp_f64_e32 v[187:188], v[170:171]
	s_waitcnt_depctr 0xfff
	v_fma_f64 v[189:190], -v[170:171], v[187:188], 1.0
	s_delay_alu instid0(VALU_DEP_1) | instskip(NEXT) | instid1(VALU_DEP_1)
	v_fma_f64 v[187:188], v[187:188], v[189:190], v[187:188]
	v_fma_f64 v[189:190], -v[170:171], v[187:188], 1.0
	s_delay_alu instid0(VALU_DEP_1) | instskip(SKIP_1) | instid1(VALU_DEP_1)
	v_fma_f64 v[187:188], v[187:188], v[189:190], v[187:188]
	v_div_scale_f64 v[189:190], vcc_lo, 1.0, v[168:169], 1.0
	v_mul_f64 v[191:192], v[189:190], v[187:188]
	s_delay_alu instid0(VALU_DEP_1) | instskip(NEXT) | instid1(VALU_DEP_1)
	v_fma_f64 v[170:171], -v[170:171], v[191:192], v[189:190]
	v_div_fmas_f64 v[170:171], v[170:171], v[187:188], v[191:192]
	s_delay_alu instid0(VALU_DEP_1) | instskip(NEXT) | instid1(VALU_DEP_1)
	v_div_fixup_f64 v[168:169], v[170:171], v[168:169], 1.0
	v_mul_f64 v[170:171], v[185:186], -v[168:169]
.LBB82_219:
	s_or_b32 exec_lo, exec_lo, s2
.LBB82_220:
	s_delay_alu instid0(SALU_CYCLE_1) | instskip(NEXT) | instid1(SALU_CYCLE_1)
	s_or_b32 exec_lo, exec_lo, s3
	s_mov_b32 s2, exec_lo
	v_cmpx_ne_u32_e64 v184, v176
	s_xor_b32 s2, exec_lo, s2
	s_cbranch_execz .LBB82_226
; %bb.221:
	s_mov_b32 s3, exec_lo
	v_cmpx_eq_u32_e32 10, v184
	s_cbranch_execz .LBB82_225
; %bb.222:
	v_cmp_ne_u32_e32 vcc_lo, 10, v176
	s_xor_b32 s6, s4, -1
	s_delay_alu instid0(SALU_CYCLE_1) | instskip(NEXT) | instid1(SALU_CYCLE_1)
	s_and_b32 s7, s6, vcc_lo
	s_and_saveexec_b32 s6, s7
	s_cbranch_execz .LBB82_224
; %bb.223:
	v_ashrrev_i32_e32 v177, 31, v176
	s_delay_alu instid0(VALU_DEP_1) | instskip(NEXT) | instid1(VALU_DEP_1)
	v_lshlrev_b64 v[184:185], 2, v[176:177]
	v_add_co_u32 v184, vcc_lo, v174, v184
	s_delay_alu instid0(VALU_DEP_2)
	v_add_co_ci_u32_e32 v185, vcc_lo, v175, v185, vcc_lo
	s_clause 0x1
	flat_load_b32 v177, v[184:185]
	flat_load_b32 v181, v[174:175] offset:40
	s_waitcnt vmcnt(1) lgkmcnt(1)
	flat_store_b32 v[174:175], v177 offset:40
	s_waitcnt vmcnt(0) lgkmcnt(1)
	flat_store_b32 v[184:185], v181
.LBB82_224:
	s_or_b32 exec_lo, exec_lo, s6
	v_mov_b32_e32 v184, v176
	v_mov_b32_e32 v181, v176
.LBB82_225:
	s_or_b32 exec_lo, exec_lo, s3
.LBB82_226:
	s_and_not1_saveexec_b32 s2, s2
	s_cbranch_execz .LBB82_228
; %bb.227:
	v_mov_b32_e32 v184, 10
	ds_store_2addr_b64 v178, v[120:121], v[122:123] offset0:22 offset1:23
	ds_store_2addr_b64 v178, v[116:117], v[118:119] offset0:24 offset1:25
	;; [unrolled: 1-line block ×31, first 2 shown]
.LBB82_228:
	s_or_b32 exec_lo, exec_lo, s2
	s_delay_alu instid0(SALU_CYCLE_1)
	s_mov_b32 s2, exec_lo
	s_waitcnt lgkmcnt(0)
	s_waitcnt_vscnt null, 0x0
	s_barrier
	buffer_gl0_inv
	v_cmpx_lt_i32_e32 10, v184
	s_cbranch_execz .LBB82_230
; %bb.229:
	v_mul_f64 v[176:177], v[170:171], v[126:127]
	v_mul_f64 v[126:127], v[168:169], v[126:127]
	s_delay_alu instid0(VALU_DEP_2) | instskip(NEXT) | instid1(VALU_DEP_2)
	v_fma_f64 v[176:177], v[168:169], v[124:125], -v[176:177]
	v_fma_f64 v[126:127], v[170:171], v[124:125], v[126:127]
	ds_load_2addr_b64 v[168:171], v178 offset0:22 offset1:23
	s_waitcnt lgkmcnt(0)
	v_mul_f64 v[124:125], v[170:171], v[126:127]
	s_delay_alu instid0(VALU_DEP_1) | instskip(SKIP_1) | instid1(VALU_DEP_2)
	v_fma_f64 v[124:125], v[168:169], v[176:177], -v[124:125]
	v_mul_f64 v[168:169], v[168:169], v[126:127]
	v_add_f64 v[120:121], v[120:121], -v[124:125]
	s_delay_alu instid0(VALU_DEP_2) | instskip(NEXT) | instid1(VALU_DEP_1)
	v_fma_f64 v[168:169], v[170:171], v[176:177], v[168:169]
	v_add_f64 v[122:123], v[122:123], -v[168:169]
	ds_load_2addr_b64 v[168:171], v178 offset0:24 offset1:25
	s_waitcnt lgkmcnt(0)
	v_mul_f64 v[124:125], v[170:171], v[126:127]
	s_delay_alu instid0(VALU_DEP_1) | instskip(SKIP_1) | instid1(VALU_DEP_2)
	v_fma_f64 v[124:125], v[168:169], v[176:177], -v[124:125]
	v_mul_f64 v[168:169], v[168:169], v[126:127]
	v_add_f64 v[116:117], v[116:117], -v[124:125]
	s_delay_alu instid0(VALU_DEP_2) | instskip(NEXT) | instid1(VALU_DEP_1)
	v_fma_f64 v[168:169], v[170:171], v[176:177], v[168:169]
	v_add_f64 v[118:119], v[118:119], -v[168:169]
	;; [unrolled: 10-line block ×30, first 2 shown]
	ds_load_2addr_b64 v[168:171], v178 offset0:82 offset1:83
	s_waitcnt lgkmcnt(0)
	v_mul_f64 v[124:125], v[170:171], v[126:127]
	s_delay_alu instid0(VALU_DEP_1) | instskip(SKIP_1) | instid1(VALU_DEP_2)
	v_fma_f64 v[124:125], v[168:169], v[176:177], -v[124:125]
	v_mul_f64 v[168:169], v[168:169], v[126:127]
	v_add_f64 v[0:1], v[0:1], -v[124:125]
	s_delay_alu instid0(VALU_DEP_2) | instskip(SKIP_1) | instid1(VALU_DEP_2)
	v_fma_f64 v[168:169], v[170:171], v[176:177], v[168:169]
	v_dual_mov_b32 v124, v176 :: v_dual_mov_b32 v125, v177
	v_add_f64 v[2:3], v[2:3], -v[168:169]
.LBB82_230:
	s_or_b32 exec_lo, exec_lo, s2
	v_lshl_add_u32 v168, v184, 4, v178
	s_barrier
	buffer_gl0_inv
	v_mov_b32_e32 v176, 11
	ds_store_2addr_b64 v168, v[120:121], v[122:123] offset1:1
	s_waitcnt lgkmcnt(0)
	s_barrier
	buffer_gl0_inv
	ds_load_2addr_b64 v[168:171], v178 offset0:22 offset1:23
	s_cmp_lt_i32 s5, 13
	s_cbranch_scc1 .LBB82_233
; %bb.231:
	v_add3_u32 v177, v183, 0, 0xc0
	v_mov_b32_e32 v176, 11
	s_mov_b32 s6, 12
	s_set_inst_prefetch_distance 0x1
	.p2align	6
.LBB82_232:                             ; =>This Inner Loop Header: Depth=1
	ds_load_2addr_b64 v[185:188], v177 offset1:1
	s_waitcnt lgkmcnt(1)
	v_cmp_gt_f64_e32 vcc_lo, 0, v[168:169]
	v_xor_b32_e32 v189, 0x80000000, v169
	v_cmp_gt_f64_e64 s2, 0, v[170:171]
	v_xor_b32_e32 v191, 0x80000000, v171
	v_add_nc_u32_e32 v177, 16, v177
	s_waitcnt lgkmcnt(0)
	v_cmp_gt_f64_e64 s3, 0, v[185:186]
	v_mov_b32_e32 v193, v185
	v_dual_mov_b32 v195, v187 :: v_dual_cndmask_b32 v190, v169, v189
	v_xor_b32_e32 v189, 0x80000000, v186
	v_cndmask_b32_e64 v192, v171, v191, s2
	v_xor_b32_e32 v191, 0x80000000, v188
	s_delay_alu instid0(VALU_DEP_3) | instskip(SKIP_2) | instid1(VALU_DEP_2)
	v_cndmask_b32_e64 v194, v186, v189, s3
	v_cmp_gt_f64_e64 s3, 0, v[187:188]
	v_cndmask_b32_e32 v189, v168, v168, vcc_lo
	v_cndmask_b32_e64 v196, v188, v191, s3
	v_cndmask_b32_e64 v191, v170, v170, s2
	s_delay_alu instid0(VALU_DEP_2) | instskip(NEXT) | instid1(VALU_DEP_2)
	v_add_f64 v[193:194], v[193:194], v[195:196]
	v_add_f64 v[189:190], v[189:190], v[191:192]
	s_delay_alu instid0(VALU_DEP_1) | instskip(SKIP_4) | instid1(SALU_CYCLE_1)
	v_cmp_lt_f64_e32 vcc_lo, v[189:190], v[193:194]
	v_dual_cndmask_b32 v170, v170, v187 :: v_dual_cndmask_b32 v169, v169, v186
	v_dual_cndmask_b32 v168, v168, v185 :: v_dual_cndmask_b32 v171, v171, v188
	v_cndmask_b32_e64 v176, v176, s6, vcc_lo
	s_add_i32 s6, s6, 1
	s_cmp_lg_u32 s5, s6
	s_cbranch_scc1 .LBB82_232
.LBB82_233:
	s_set_inst_prefetch_distance 0x2
	s_waitcnt lgkmcnt(0)
	v_cmp_eq_f64_e32 vcc_lo, 0, v[168:169]
	v_cmp_eq_f64_e64 s2, 0, v[170:171]
	s_delay_alu instid0(VALU_DEP_1) | instskip(NEXT) | instid1(SALU_CYCLE_1)
	s_and_b32 s2, vcc_lo, s2
	s_and_saveexec_b32 s3, s2
	s_delay_alu instid0(SALU_CYCLE_1)
	s_xor_b32 s2, exec_lo, s3
; %bb.234:
	v_cmp_ne_u32_e32 vcc_lo, 0, v182
	v_cndmask_b32_e32 v182, 12, v182, vcc_lo
; %bb.235:
	s_and_not1_saveexec_b32 s3, s2
	s_cbranch_execz .LBB82_241
; %bb.236:
	v_cmp_gt_f64_e32 vcc_lo, 0, v[168:169]
	v_cmp_gt_f64_e64 s2, 0, v[170:171]
	v_xor_b32_e32 v177, 0x80000000, v169
	v_xor_b32_e32 v185, 0x80000000, v171
	s_delay_alu instid0(VALU_DEP_2) | instskip(NEXT) | instid1(VALU_DEP_2)
	v_cndmask_b32_e32 v186, v169, v177, vcc_lo
	v_cndmask_b32_e64 v188, v171, v185, s2
	v_cndmask_b32_e32 v185, v168, v168, vcc_lo
	v_cndmask_b32_e64 v187, v170, v170, s2
	s_mov_b32 s2, exec_lo
	s_delay_alu instid0(VALU_DEP_1)
	v_cmpx_ngt_f64_e32 v[185:186], v[187:188]
	s_xor_b32 s2, exec_lo, s2
	s_cbranch_execz .LBB82_238
; %bb.237:
	v_div_scale_f64 v[185:186], null, v[170:171], v[170:171], v[168:169]
	v_div_scale_f64 v[191:192], vcc_lo, v[168:169], v[170:171], v[168:169]
	s_delay_alu instid0(VALU_DEP_2) | instskip(SKIP_2) | instid1(VALU_DEP_1)
	v_rcp_f64_e32 v[187:188], v[185:186]
	s_waitcnt_depctr 0xfff
	v_fma_f64 v[189:190], -v[185:186], v[187:188], 1.0
	v_fma_f64 v[187:188], v[187:188], v[189:190], v[187:188]
	s_delay_alu instid0(VALU_DEP_1) | instskip(NEXT) | instid1(VALU_DEP_1)
	v_fma_f64 v[189:190], -v[185:186], v[187:188], 1.0
	v_fma_f64 v[187:188], v[187:188], v[189:190], v[187:188]
	s_delay_alu instid0(VALU_DEP_1) | instskip(NEXT) | instid1(VALU_DEP_1)
	v_mul_f64 v[189:190], v[191:192], v[187:188]
	v_fma_f64 v[185:186], -v[185:186], v[189:190], v[191:192]
	s_delay_alu instid0(VALU_DEP_1) | instskip(NEXT) | instid1(VALU_DEP_1)
	v_div_fmas_f64 v[185:186], v[185:186], v[187:188], v[189:190]
	v_div_fixup_f64 v[185:186], v[185:186], v[170:171], v[168:169]
	s_delay_alu instid0(VALU_DEP_1) | instskip(NEXT) | instid1(VALU_DEP_1)
	v_fma_f64 v[168:169], v[168:169], v[185:186], v[170:171]
	v_div_scale_f64 v[170:171], null, v[168:169], v[168:169], 1.0
	s_delay_alu instid0(VALU_DEP_1) | instskip(SKIP_2) | instid1(VALU_DEP_1)
	v_rcp_f64_e32 v[187:188], v[170:171]
	s_waitcnt_depctr 0xfff
	v_fma_f64 v[189:190], -v[170:171], v[187:188], 1.0
	v_fma_f64 v[187:188], v[187:188], v[189:190], v[187:188]
	s_delay_alu instid0(VALU_DEP_1) | instskip(NEXT) | instid1(VALU_DEP_1)
	v_fma_f64 v[189:190], -v[170:171], v[187:188], 1.0
	v_fma_f64 v[187:188], v[187:188], v[189:190], v[187:188]
	v_div_scale_f64 v[189:190], vcc_lo, 1.0, v[168:169], 1.0
	s_delay_alu instid0(VALU_DEP_1) | instskip(NEXT) | instid1(VALU_DEP_1)
	v_mul_f64 v[191:192], v[189:190], v[187:188]
	v_fma_f64 v[170:171], -v[170:171], v[191:192], v[189:190]
	s_delay_alu instid0(VALU_DEP_1) | instskip(NEXT) | instid1(VALU_DEP_1)
	v_div_fmas_f64 v[170:171], v[170:171], v[187:188], v[191:192]
	v_div_fixup_f64 v[170:171], v[170:171], v[168:169], 1.0
	s_delay_alu instid0(VALU_DEP_1)
	v_mul_f64 v[168:169], v[185:186], v[170:171]
	v_xor_b32_e32 v171, 0x80000000, v171
.LBB82_238:
	s_and_not1_saveexec_b32 s2, s2
	s_cbranch_execz .LBB82_240
; %bb.239:
	s_delay_alu instid0(VALU_DEP_1) | instskip(SKIP_1) | instid1(VALU_DEP_2)
	v_div_scale_f64 v[185:186], null, v[168:169], v[168:169], v[170:171]
	v_div_scale_f64 v[191:192], vcc_lo, v[170:171], v[168:169], v[170:171]
	v_rcp_f64_e32 v[187:188], v[185:186]
	s_waitcnt_depctr 0xfff
	v_fma_f64 v[189:190], -v[185:186], v[187:188], 1.0
	s_delay_alu instid0(VALU_DEP_1) | instskip(NEXT) | instid1(VALU_DEP_1)
	v_fma_f64 v[187:188], v[187:188], v[189:190], v[187:188]
	v_fma_f64 v[189:190], -v[185:186], v[187:188], 1.0
	s_delay_alu instid0(VALU_DEP_1) | instskip(NEXT) | instid1(VALU_DEP_1)
	v_fma_f64 v[187:188], v[187:188], v[189:190], v[187:188]
	v_mul_f64 v[189:190], v[191:192], v[187:188]
	s_delay_alu instid0(VALU_DEP_1) | instskip(NEXT) | instid1(VALU_DEP_1)
	v_fma_f64 v[185:186], -v[185:186], v[189:190], v[191:192]
	v_div_fmas_f64 v[185:186], v[185:186], v[187:188], v[189:190]
	s_delay_alu instid0(VALU_DEP_1) | instskip(NEXT) | instid1(VALU_DEP_1)
	v_div_fixup_f64 v[185:186], v[185:186], v[168:169], v[170:171]
	v_fma_f64 v[168:169], v[170:171], v[185:186], v[168:169]
	s_delay_alu instid0(VALU_DEP_1) | instskip(NEXT) | instid1(VALU_DEP_1)
	v_div_scale_f64 v[170:171], null, v[168:169], v[168:169], 1.0
	v_rcp_f64_e32 v[187:188], v[170:171]
	s_waitcnt_depctr 0xfff
	v_fma_f64 v[189:190], -v[170:171], v[187:188], 1.0
	s_delay_alu instid0(VALU_DEP_1) | instskip(NEXT) | instid1(VALU_DEP_1)
	v_fma_f64 v[187:188], v[187:188], v[189:190], v[187:188]
	v_fma_f64 v[189:190], -v[170:171], v[187:188], 1.0
	s_delay_alu instid0(VALU_DEP_1) | instskip(SKIP_1) | instid1(VALU_DEP_1)
	v_fma_f64 v[187:188], v[187:188], v[189:190], v[187:188]
	v_div_scale_f64 v[189:190], vcc_lo, 1.0, v[168:169], 1.0
	v_mul_f64 v[191:192], v[189:190], v[187:188]
	s_delay_alu instid0(VALU_DEP_1) | instskip(NEXT) | instid1(VALU_DEP_1)
	v_fma_f64 v[170:171], -v[170:171], v[191:192], v[189:190]
	v_div_fmas_f64 v[170:171], v[170:171], v[187:188], v[191:192]
	s_delay_alu instid0(VALU_DEP_1) | instskip(NEXT) | instid1(VALU_DEP_1)
	v_div_fixup_f64 v[168:169], v[170:171], v[168:169], 1.0
	v_mul_f64 v[170:171], v[185:186], -v[168:169]
.LBB82_240:
	s_or_b32 exec_lo, exec_lo, s2
.LBB82_241:
	s_delay_alu instid0(SALU_CYCLE_1) | instskip(NEXT) | instid1(SALU_CYCLE_1)
	s_or_b32 exec_lo, exec_lo, s3
	s_mov_b32 s2, exec_lo
	v_cmpx_ne_u32_e64 v184, v176
	s_xor_b32 s2, exec_lo, s2
	s_cbranch_execz .LBB82_247
; %bb.242:
	s_mov_b32 s3, exec_lo
	v_cmpx_eq_u32_e32 11, v184
	s_cbranch_execz .LBB82_246
; %bb.243:
	v_cmp_ne_u32_e32 vcc_lo, 11, v176
	s_xor_b32 s6, s4, -1
	s_delay_alu instid0(SALU_CYCLE_1) | instskip(NEXT) | instid1(SALU_CYCLE_1)
	s_and_b32 s7, s6, vcc_lo
	s_and_saveexec_b32 s6, s7
	s_cbranch_execz .LBB82_245
; %bb.244:
	v_ashrrev_i32_e32 v177, 31, v176
	s_delay_alu instid0(VALU_DEP_1) | instskip(NEXT) | instid1(VALU_DEP_1)
	v_lshlrev_b64 v[184:185], 2, v[176:177]
	v_add_co_u32 v184, vcc_lo, v174, v184
	s_delay_alu instid0(VALU_DEP_2)
	v_add_co_ci_u32_e32 v185, vcc_lo, v175, v185, vcc_lo
	s_clause 0x1
	flat_load_b32 v177, v[184:185]
	flat_load_b32 v181, v[174:175] offset:44
	s_waitcnt vmcnt(1) lgkmcnt(1)
	flat_store_b32 v[174:175], v177 offset:44
	s_waitcnt vmcnt(0) lgkmcnt(1)
	flat_store_b32 v[184:185], v181
.LBB82_245:
	s_or_b32 exec_lo, exec_lo, s6
	v_mov_b32_e32 v184, v176
	v_mov_b32_e32 v181, v176
.LBB82_246:
	s_or_b32 exec_lo, exec_lo, s3
.LBB82_247:
	s_and_not1_saveexec_b32 s2, s2
	s_cbranch_execz .LBB82_249
; %bb.248:
	v_mov_b32_e32 v184, 11
	ds_store_2addr_b64 v178, v[116:117], v[118:119] offset0:24 offset1:25
	ds_store_2addr_b64 v178, v[112:113], v[114:115] offset0:26 offset1:27
	;; [unrolled: 1-line block ×30, first 2 shown]
.LBB82_249:
	s_or_b32 exec_lo, exec_lo, s2
	s_delay_alu instid0(SALU_CYCLE_1)
	s_mov_b32 s2, exec_lo
	s_waitcnt lgkmcnt(0)
	s_waitcnt_vscnt null, 0x0
	s_barrier
	buffer_gl0_inv
	v_cmpx_lt_i32_e32 11, v184
	s_cbranch_execz .LBB82_251
; %bb.250:
	v_mul_f64 v[176:177], v[170:171], v[122:123]
	v_mul_f64 v[122:123], v[168:169], v[122:123]
	s_delay_alu instid0(VALU_DEP_2) | instskip(NEXT) | instid1(VALU_DEP_2)
	v_fma_f64 v[176:177], v[168:169], v[120:121], -v[176:177]
	v_fma_f64 v[122:123], v[170:171], v[120:121], v[122:123]
	ds_load_2addr_b64 v[168:171], v178 offset0:24 offset1:25
	s_waitcnt lgkmcnt(0)
	v_mul_f64 v[120:121], v[170:171], v[122:123]
	s_delay_alu instid0(VALU_DEP_1) | instskip(SKIP_1) | instid1(VALU_DEP_2)
	v_fma_f64 v[120:121], v[168:169], v[176:177], -v[120:121]
	v_mul_f64 v[168:169], v[168:169], v[122:123]
	v_add_f64 v[116:117], v[116:117], -v[120:121]
	s_delay_alu instid0(VALU_DEP_2) | instskip(NEXT) | instid1(VALU_DEP_1)
	v_fma_f64 v[168:169], v[170:171], v[176:177], v[168:169]
	v_add_f64 v[118:119], v[118:119], -v[168:169]
	ds_load_2addr_b64 v[168:171], v178 offset0:26 offset1:27
	s_waitcnt lgkmcnt(0)
	v_mul_f64 v[120:121], v[170:171], v[122:123]
	s_delay_alu instid0(VALU_DEP_1) | instskip(SKIP_1) | instid1(VALU_DEP_2)
	v_fma_f64 v[120:121], v[168:169], v[176:177], -v[120:121]
	v_mul_f64 v[168:169], v[168:169], v[122:123]
	v_add_f64 v[112:113], v[112:113], -v[120:121]
	s_delay_alu instid0(VALU_DEP_2) | instskip(NEXT) | instid1(VALU_DEP_1)
	v_fma_f64 v[168:169], v[170:171], v[176:177], v[168:169]
	v_add_f64 v[114:115], v[114:115], -v[168:169]
	;; [unrolled: 10-line block ×29, first 2 shown]
	ds_load_2addr_b64 v[168:171], v178 offset0:82 offset1:83
	s_waitcnt lgkmcnt(0)
	v_mul_f64 v[120:121], v[170:171], v[122:123]
	s_delay_alu instid0(VALU_DEP_1) | instskip(SKIP_1) | instid1(VALU_DEP_2)
	v_fma_f64 v[120:121], v[168:169], v[176:177], -v[120:121]
	v_mul_f64 v[168:169], v[168:169], v[122:123]
	v_add_f64 v[0:1], v[0:1], -v[120:121]
	s_delay_alu instid0(VALU_DEP_2) | instskip(SKIP_1) | instid1(VALU_DEP_2)
	v_fma_f64 v[168:169], v[170:171], v[176:177], v[168:169]
	v_dual_mov_b32 v120, v176 :: v_dual_mov_b32 v121, v177
	v_add_f64 v[2:3], v[2:3], -v[168:169]
.LBB82_251:
	s_or_b32 exec_lo, exec_lo, s2
	v_lshl_add_u32 v168, v184, 4, v178
	s_barrier
	buffer_gl0_inv
	v_mov_b32_e32 v176, 12
	ds_store_2addr_b64 v168, v[116:117], v[118:119] offset1:1
	s_waitcnt lgkmcnt(0)
	s_barrier
	buffer_gl0_inv
	ds_load_2addr_b64 v[168:171], v178 offset0:24 offset1:25
	s_cmp_lt_i32 s5, 14
	s_cbranch_scc1 .LBB82_254
; %bb.252:
	v_add3_u32 v177, v183, 0, 0xd0
	v_mov_b32_e32 v176, 12
	s_mov_b32 s6, 13
	s_set_inst_prefetch_distance 0x1
	.p2align	6
.LBB82_253:                             ; =>This Inner Loop Header: Depth=1
	ds_load_2addr_b64 v[185:188], v177 offset1:1
	s_waitcnt lgkmcnt(1)
	v_cmp_gt_f64_e32 vcc_lo, 0, v[168:169]
	v_xor_b32_e32 v189, 0x80000000, v169
	v_cmp_gt_f64_e64 s2, 0, v[170:171]
	v_xor_b32_e32 v191, 0x80000000, v171
	v_add_nc_u32_e32 v177, 16, v177
	s_waitcnt lgkmcnt(0)
	v_cmp_gt_f64_e64 s3, 0, v[185:186]
	v_mov_b32_e32 v193, v185
	v_dual_mov_b32 v195, v187 :: v_dual_cndmask_b32 v190, v169, v189
	v_xor_b32_e32 v189, 0x80000000, v186
	v_cndmask_b32_e64 v192, v171, v191, s2
	v_xor_b32_e32 v191, 0x80000000, v188
	s_delay_alu instid0(VALU_DEP_3) | instskip(SKIP_2) | instid1(VALU_DEP_2)
	v_cndmask_b32_e64 v194, v186, v189, s3
	v_cmp_gt_f64_e64 s3, 0, v[187:188]
	v_cndmask_b32_e32 v189, v168, v168, vcc_lo
	v_cndmask_b32_e64 v196, v188, v191, s3
	v_cndmask_b32_e64 v191, v170, v170, s2
	s_delay_alu instid0(VALU_DEP_2) | instskip(NEXT) | instid1(VALU_DEP_2)
	v_add_f64 v[193:194], v[193:194], v[195:196]
	v_add_f64 v[189:190], v[189:190], v[191:192]
	s_delay_alu instid0(VALU_DEP_1) | instskip(SKIP_4) | instid1(SALU_CYCLE_1)
	v_cmp_lt_f64_e32 vcc_lo, v[189:190], v[193:194]
	v_dual_cndmask_b32 v170, v170, v187 :: v_dual_cndmask_b32 v169, v169, v186
	v_dual_cndmask_b32 v168, v168, v185 :: v_dual_cndmask_b32 v171, v171, v188
	v_cndmask_b32_e64 v176, v176, s6, vcc_lo
	s_add_i32 s6, s6, 1
	s_cmp_lg_u32 s5, s6
	s_cbranch_scc1 .LBB82_253
.LBB82_254:
	s_set_inst_prefetch_distance 0x2
	s_waitcnt lgkmcnt(0)
	v_cmp_eq_f64_e32 vcc_lo, 0, v[168:169]
	v_cmp_eq_f64_e64 s2, 0, v[170:171]
	s_delay_alu instid0(VALU_DEP_1) | instskip(NEXT) | instid1(SALU_CYCLE_1)
	s_and_b32 s2, vcc_lo, s2
	s_and_saveexec_b32 s3, s2
	s_delay_alu instid0(SALU_CYCLE_1)
	s_xor_b32 s2, exec_lo, s3
; %bb.255:
	v_cmp_ne_u32_e32 vcc_lo, 0, v182
	v_cndmask_b32_e32 v182, 13, v182, vcc_lo
; %bb.256:
	s_and_not1_saveexec_b32 s3, s2
	s_cbranch_execz .LBB82_262
; %bb.257:
	v_cmp_gt_f64_e32 vcc_lo, 0, v[168:169]
	v_cmp_gt_f64_e64 s2, 0, v[170:171]
	v_xor_b32_e32 v177, 0x80000000, v169
	v_xor_b32_e32 v185, 0x80000000, v171
	s_delay_alu instid0(VALU_DEP_2) | instskip(NEXT) | instid1(VALU_DEP_2)
	v_cndmask_b32_e32 v186, v169, v177, vcc_lo
	v_cndmask_b32_e64 v188, v171, v185, s2
	v_cndmask_b32_e32 v185, v168, v168, vcc_lo
	v_cndmask_b32_e64 v187, v170, v170, s2
	s_mov_b32 s2, exec_lo
	s_delay_alu instid0(VALU_DEP_1)
	v_cmpx_ngt_f64_e32 v[185:186], v[187:188]
	s_xor_b32 s2, exec_lo, s2
	s_cbranch_execz .LBB82_259
; %bb.258:
	v_div_scale_f64 v[185:186], null, v[170:171], v[170:171], v[168:169]
	v_div_scale_f64 v[191:192], vcc_lo, v[168:169], v[170:171], v[168:169]
	s_delay_alu instid0(VALU_DEP_2) | instskip(SKIP_2) | instid1(VALU_DEP_1)
	v_rcp_f64_e32 v[187:188], v[185:186]
	s_waitcnt_depctr 0xfff
	v_fma_f64 v[189:190], -v[185:186], v[187:188], 1.0
	v_fma_f64 v[187:188], v[187:188], v[189:190], v[187:188]
	s_delay_alu instid0(VALU_DEP_1) | instskip(NEXT) | instid1(VALU_DEP_1)
	v_fma_f64 v[189:190], -v[185:186], v[187:188], 1.0
	v_fma_f64 v[187:188], v[187:188], v[189:190], v[187:188]
	s_delay_alu instid0(VALU_DEP_1) | instskip(NEXT) | instid1(VALU_DEP_1)
	v_mul_f64 v[189:190], v[191:192], v[187:188]
	v_fma_f64 v[185:186], -v[185:186], v[189:190], v[191:192]
	s_delay_alu instid0(VALU_DEP_1) | instskip(NEXT) | instid1(VALU_DEP_1)
	v_div_fmas_f64 v[185:186], v[185:186], v[187:188], v[189:190]
	v_div_fixup_f64 v[185:186], v[185:186], v[170:171], v[168:169]
	s_delay_alu instid0(VALU_DEP_1) | instskip(NEXT) | instid1(VALU_DEP_1)
	v_fma_f64 v[168:169], v[168:169], v[185:186], v[170:171]
	v_div_scale_f64 v[170:171], null, v[168:169], v[168:169], 1.0
	s_delay_alu instid0(VALU_DEP_1) | instskip(SKIP_2) | instid1(VALU_DEP_1)
	v_rcp_f64_e32 v[187:188], v[170:171]
	s_waitcnt_depctr 0xfff
	v_fma_f64 v[189:190], -v[170:171], v[187:188], 1.0
	v_fma_f64 v[187:188], v[187:188], v[189:190], v[187:188]
	s_delay_alu instid0(VALU_DEP_1) | instskip(NEXT) | instid1(VALU_DEP_1)
	v_fma_f64 v[189:190], -v[170:171], v[187:188], 1.0
	v_fma_f64 v[187:188], v[187:188], v[189:190], v[187:188]
	v_div_scale_f64 v[189:190], vcc_lo, 1.0, v[168:169], 1.0
	s_delay_alu instid0(VALU_DEP_1) | instskip(NEXT) | instid1(VALU_DEP_1)
	v_mul_f64 v[191:192], v[189:190], v[187:188]
	v_fma_f64 v[170:171], -v[170:171], v[191:192], v[189:190]
	s_delay_alu instid0(VALU_DEP_1) | instskip(NEXT) | instid1(VALU_DEP_1)
	v_div_fmas_f64 v[170:171], v[170:171], v[187:188], v[191:192]
	v_div_fixup_f64 v[170:171], v[170:171], v[168:169], 1.0
	s_delay_alu instid0(VALU_DEP_1)
	v_mul_f64 v[168:169], v[185:186], v[170:171]
	v_xor_b32_e32 v171, 0x80000000, v171
.LBB82_259:
	s_and_not1_saveexec_b32 s2, s2
	s_cbranch_execz .LBB82_261
; %bb.260:
	s_delay_alu instid0(VALU_DEP_1) | instskip(SKIP_1) | instid1(VALU_DEP_2)
	v_div_scale_f64 v[185:186], null, v[168:169], v[168:169], v[170:171]
	v_div_scale_f64 v[191:192], vcc_lo, v[170:171], v[168:169], v[170:171]
	v_rcp_f64_e32 v[187:188], v[185:186]
	s_waitcnt_depctr 0xfff
	v_fma_f64 v[189:190], -v[185:186], v[187:188], 1.0
	s_delay_alu instid0(VALU_DEP_1) | instskip(NEXT) | instid1(VALU_DEP_1)
	v_fma_f64 v[187:188], v[187:188], v[189:190], v[187:188]
	v_fma_f64 v[189:190], -v[185:186], v[187:188], 1.0
	s_delay_alu instid0(VALU_DEP_1) | instskip(NEXT) | instid1(VALU_DEP_1)
	v_fma_f64 v[187:188], v[187:188], v[189:190], v[187:188]
	v_mul_f64 v[189:190], v[191:192], v[187:188]
	s_delay_alu instid0(VALU_DEP_1) | instskip(NEXT) | instid1(VALU_DEP_1)
	v_fma_f64 v[185:186], -v[185:186], v[189:190], v[191:192]
	v_div_fmas_f64 v[185:186], v[185:186], v[187:188], v[189:190]
	s_delay_alu instid0(VALU_DEP_1) | instskip(NEXT) | instid1(VALU_DEP_1)
	v_div_fixup_f64 v[185:186], v[185:186], v[168:169], v[170:171]
	v_fma_f64 v[168:169], v[170:171], v[185:186], v[168:169]
	s_delay_alu instid0(VALU_DEP_1) | instskip(NEXT) | instid1(VALU_DEP_1)
	v_div_scale_f64 v[170:171], null, v[168:169], v[168:169], 1.0
	v_rcp_f64_e32 v[187:188], v[170:171]
	s_waitcnt_depctr 0xfff
	v_fma_f64 v[189:190], -v[170:171], v[187:188], 1.0
	s_delay_alu instid0(VALU_DEP_1) | instskip(NEXT) | instid1(VALU_DEP_1)
	v_fma_f64 v[187:188], v[187:188], v[189:190], v[187:188]
	v_fma_f64 v[189:190], -v[170:171], v[187:188], 1.0
	s_delay_alu instid0(VALU_DEP_1) | instskip(SKIP_1) | instid1(VALU_DEP_1)
	v_fma_f64 v[187:188], v[187:188], v[189:190], v[187:188]
	v_div_scale_f64 v[189:190], vcc_lo, 1.0, v[168:169], 1.0
	v_mul_f64 v[191:192], v[189:190], v[187:188]
	s_delay_alu instid0(VALU_DEP_1) | instskip(NEXT) | instid1(VALU_DEP_1)
	v_fma_f64 v[170:171], -v[170:171], v[191:192], v[189:190]
	v_div_fmas_f64 v[170:171], v[170:171], v[187:188], v[191:192]
	s_delay_alu instid0(VALU_DEP_1) | instskip(NEXT) | instid1(VALU_DEP_1)
	v_div_fixup_f64 v[168:169], v[170:171], v[168:169], 1.0
	v_mul_f64 v[170:171], v[185:186], -v[168:169]
.LBB82_261:
	s_or_b32 exec_lo, exec_lo, s2
.LBB82_262:
	s_delay_alu instid0(SALU_CYCLE_1) | instskip(NEXT) | instid1(SALU_CYCLE_1)
	s_or_b32 exec_lo, exec_lo, s3
	s_mov_b32 s2, exec_lo
	v_cmpx_ne_u32_e64 v184, v176
	s_xor_b32 s2, exec_lo, s2
	s_cbranch_execz .LBB82_268
; %bb.263:
	s_mov_b32 s3, exec_lo
	v_cmpx_eq_u32_e32 12, v184
	s_cbranch_execz .LBB82_267
; %bb.264:
	v_cmp_ne_u32_e32 vcc_lo, 12, v176
	s_xor_b32 s6, s4, -1
	s_delay_alu instid0(SALU_CYCLE_1) | instskip(NEXT) | instid1(SALU_CYCLE_1)
	s_and_b32 s7, s6, vcc_lo
	s_and_saveexec_b32 s6, s7
	s_cbranch_execz .LBB82_266
; %bb.265:
	v_ashrrev_i32_e32 v177, 31, v176
	s_delay_alu instid0(VALU_DEP_1) | instskip(NEXT) | instid1(VALU_DEP_1)
	v_lshlrev_b64 v[184:185], 2, v[176:177]
	v_add_co_u32 v184, vcc_lo, v174, v184
	s_delay_alu instid0(VALU_DEP_2)
	v_add_co_ci_u32_e32 v185, vcc_lo, v175, v185, vcc_lo
	s_clause 0x1
	flat_load_b32 v177, v[184:185]
	flat_load_b32 v181, v[174:175] offset:48
	s_waitcnt vmcnt(1) lgkmcnt(1)
	flat_store_b32 v[174:175], v177 offset:48
	s_waitcnt vmcnt(0) lgkmcnt(1)
	flat_store_b32 v[184:185], v181
.LBB82_266:
	s_or_b32 exec_lo, exec_lo, s6
	v_mov_b32_e32 v184, v176
	v_mov_b32_e32 v181, v176
.LBB82_267:
	s_or_b32 exec_lo, exec_lo, s3
.LBB82_268:
	s_and_not1_saveexec_b32 s2, s2
	s_cbranch_execz .LBB82_270
; %bb.269:
	v_mov_b32_e32 v184, 12
	ds_store_2addr_b64 v178, v[112:113], v[114:115] offset0:26 offset1:27
	ds_store_2addr_b64 v178, v[108:109], v[110:111] offset0:28 offset1:29
	;; [unrolled: 1-line block ×29, first 2 shown]
.LBB82_270:
	s_or_b32 exec_lo, exec_lo, s2
	s_delay_alu instid0(SALU_CYCLE_1)
	s_mov_b32 s2, exec_lo
	s_waitcnt lgkmcnt(0)
	s_waitcnt_vscnt null, 0x0
	s_barrier
	buffer_gl0_inv
	v_cmpx_lt_i32_e32 12, v184
	s_cbranch_execz .LBB82_272
; %bb.271:
	v_mul_f64 v[176:177], v[170:171], v[118:119]
	v_mul_f64 v[118:119], v[168:169], v[118:119]
	s_delay_alu instid0(VALU_DEP_2) | instskip(NEXT) | instid1(VALU_DEP_2)
	v_fma_f64 v[176:177], v[168:169], v[116:117], -v[176:177]
	v_fma_f64 v[118:119], v[170:171], v[116:117], v[118:119]
	ds_load_2addr_b64 v[168:171], v178 offset0:26 offset1:27
	s_waitcnt lgkmcnt(0)
	v_mul_f64 v[116:117], v[170:171], v[118:119]
	s_delay_alu instid0(VALU_DEP_1) | instskip(SKIP_1) | instid1(VALU_DEP_2)
	v_fma_f64 v[116:117], v[168:169], v[176:177], -v[116:117]
	v_mul_f64 v[168:169], v[168:169], v[118:119]
	v_add_f64 v[112:113], v[112:113], -v[116:117]
	s_delay_alu instid0(VALU_DEP_2) | instskip(NEXT) | instid1(VALU_DEP_1)
	v_fma_f64 v[168:169], v[170:171], v[176:177], v[168:169]
	v_add_f64 v[114:115], v[114:115], -v[168:169]
	ds_load_2addr_b64 v[168:171], v178 offset0:28 offset1:29
	s_waitcnt lgkmcnt(0)
	v_mul_f64 v[116:117], v[170:171], v[118:119]
	s_delay_alu instid0(VALU_DEP_1) | instskip(SKIP_1) | instid1(VALU_DEP_2)
	v_fma_f64 v[116:117], v[168:169], v[176:177], -v[116:117]
	v_mul_f64 v[168:169], v[168:169], v[118:119]
	v_add_f64 v[108:109], v[108:109], -v[116:117]
	s_delay_alu instid0(VALU_DEP_2) | instskip(NEXT) | instid1(VALU_DEP_1)
	v_fma_f64 v[168:169], v[170:171], v[176:177], v[168:169]
	v_add_f64 v[110:111], v[110:111], -v[168:169]
	;; [unrolled: 10-line block ×28, first 2 shown]
	ds_load_2addr_b64 v[168:171], v178 offset0:82 offset1:83
	s_waitcnt lgkmcnt(0)
	v_mul_f64 v[116:117], v[170:171], v[118:119]
	s_delay_alu instid0(VALU_DEP_1) | instskip(SKIP_1) | instid1(VALU_DEP_2)
	v_fma_f64 v[116:117], v[168:169], v[176:177], -v[116:117]
	v_mul_f64 v[168:169], v[168:169], v[118:119]
	v_add_f64 v[0:1], v[0:1], -v[116:117]
	s_delay_alu instid0(VALU_DEP_2) | instskip(SKIP_1) | instid1(VALU_DEP_2)
	v_fma_f64 v[168:169], v[170:171], v[176:177], v[168:169]
	v_dual_mov_b32 v116, v176 :: v_dual_mov_b32 v117, v177
	v_add_f64 v[2:3], v[2:3], -v[168:169]
.LBB82_272:
	s_or_b32 exec_lo, exec_lo, s2
	v_lshl_add_u32 v168, v184, 4, v178
	s_barrier
	buffer_gl0_inv
	v_mov_b32_e32 v176, 13
	ds_store_2addr_b64 v168, v[112:113], v[114:115] offset1:1
	s_waitcnt lgkmcnt(0)
	s_barrier
	buffer_gl0_inv
	ds_load_2addr_b64 v[168:171], v178 offset0:26 offset1:27
	s_cmp_lt_i32 s5, 15
	s_cbranch_scc1 .LBB82_275
; %bb.273:
	v_add3_u32 v177, v183, 0, 0xe0
	v_mov_b32_e32 v176, 13
	s_mov_b32 s6, 14
	s_set_inst_prefetch_distance 0x1
	.p2align	6
.LBB82_274:                             ; =>This Inner Loop Header: Depth=1
	ds_load_2addr_b64 v[185:188], v177 offset1:1
	s_waitcnt lgkmcnt(1)
	v_cmp_gt_f64_e32 vcc_lo, 0, v[168:169]
	v_xor_b32_e32 v189, 0x80000000, v169
	v_cmp_gt_f64_e64 s2, 0, v[170:171]
	v_xor_b32_e32 v191, 0x80000000, v171
	v_add_nc_u32_e32 v177, 16, v177
	s_waitcnt lgkmcnt(0)
	v_cmp_gt_f64_e64 s3, 0, v[185:186]
	v_mov_b32_e32 v193, v185
	v_dual_mov_b32 v195, v187 :: v_dual_cndmask_b32 v190, v169, v189
	v_xor_b32_e32 v189, 0x80000000, v186
	v_cndmask_b32_e64 v192, v171, v191, s2
	v_xor_b32_e32 v191, 0x80000000, v188
	s_delay_alu instid0(VALU_DEP_3) | instskip(SKIP_2) | instid1(VALU_DEP_2)
	v_cndmask_b32_e64 v194, v186, v189, s3
	v_cmp_gt_f64_e64 s3, 0, v[187:188]
	v_cndmask_b32_e32 v189, v168, v168, vcc_lo
	v_cndmask_b32_e64 v196, v188, v191, s3
	v_cndmask_b32_e64 v191, v170, v170, s2
	s_delay_alu instid0(VALU_DEP_2) | instskip(NEXT) | instid1(VALU_DEP_2)
	v_add_f64 v[193:194], v[193:194], v[195:196]
	v_add_f64 v[189:190], v[189:190], v[191:192]
	s_delay_alu instid0(VALU_DEP_1) | instskip(SKIP_4) | instid1(SALU_CYCLE_1)
	v_cmp_lt_f64_e32 vcc_lo, v[189:190], v[193:194]
	v_dual_cndmask_b32 v170, v170, v187 :: v_dual_cndmask_b32 v169, v169, v186
	v_dual_cndmask_b32 v168, v168, v185 :: v_dual_cndmask_b32 v171, v171, v188
	v_cndmask_b32_e64 v176, v176, s6, vcc_lo
	s_add_i32 s6, s6, 1
	s_cmp_lg_u32 s5, s6
	s_cbranch_scc1 .LBB82_274
.LBB82_275:
	s_set_inst_prefetch_distance 0x2
	s_waitcnt lgkmcnt(0)
	v_cmp_eq_f64_e32 vcc_lo, 0, v[168:169]
	v_cmp_eq_f64_e64 s2, 0, v[170:171]
	s_delay_alu instid0(VALU_DEP_1) | instskip(NEXT) | instid1(SALU_CYCLE_1)
	s_and_b32 s2, vcc_lo, s2
	s_and_saveexec_b32 s3, s2
	s_delay_alu instid0(SALU_CYCLE_1)
	s_xor_b32 s2, exec_lo, s3
; %bb.276:
	v_cmp_ne_u32_e32 vcc_lo, 0, v182
	v_cndmask_b32_e32 v182, 14, v182, vcc_lo
; %bb.277:
	s_and_not1_saveexec_b32 s3, s2
	s_cbranch_execz .LBB82_283
; %bb.278:
	v_cmp_gt_f64_e32 vcc_lo, 0, v[168:169]
	v_cmp_gt_f64_e64 s2, 0, v[170:171]
	v_xor_b32_e32 v177, 0x80000000, v169
	v_xor_b32_e32 v185, 0x80000000, v171
	s_delay_alu instid0(VALU_DEP_2) | instskip(NEXT) | instid1(VALU_DEP_2)
	v_cndmask_b32_e32 v186, v169, v177, vcc_lo
	v_cndmask_b32_e64 v188, v171, v185, s2
	v_cndmask_b32_e32 v185, v168, v168, vcc_lo
	v_cndmask_b32_e64 v187, v170, v170, s2
	s_mov_b32 s2, exec_lo
	s_delay_alu instid0(VALU_DEP_1)
	v_cmpx_ngt_f64_e32 v[185:186], v[187:188]
	s_xor_b32 s2, exec_lo, s2
	s_cbranch_execz .LBB82_280
; %bb.279:
	v_div_scale_f64 v[185:186], null, v[170:171], v[170:171], v[168:169]
	v_div_scale_f64 v[191:192], vcc_lo, v[168:169], v[170:171], v[168:169]
	s_delay_alu instid0(VALU_DEP_2) | instskip(SKIP_2) | instid1(VALU_DEP_1)
	v_rcp_f64_e32 v[187:188], v[185:186]
	s_waitcnt_depctr 0xfff
	v_fma_f64 v[189:190], -v[185:186], v[187:188], 1.0
	v_fma_f64 v[187:188], v[187:188], v[189:190], v[187:188]
	s_delay_alu instid0(VALU_DEP_1) | instskip(NEXT) | instid1(VALU_DEP_1)
	v_fma_f64 v[189:190], -v[185:186], v[187:188], 1.0
	v_fma_f64 v[187:188], v[187:188], v[189:190], v[187:188]
	s_delay_alu instid0(VALU_DEP_1) | instskip(NEXT) | instid1(VALU_DEP_1)
	v_mul_f64 v[189:190], v[191:192], v[187:188]
	v_fma_f64 v[185:186], -v[185:186], v[189:190], v[191:192]
	s_delay_alu instid0(VALU_DEP_1) | instskip(NEXT) | instid1(VALU_DEP_1)
	v_div_fmas_f64 v[185:186], v[185:186], v[187:188], v[189:190]
	v_div_fixup_f64 v[185:186], v[185:186], v[170:171], v[168:169]
	s_delay_alu instid0(VALU_DEP_1) | instskip(NEXT) | instid1(VALU_DEP_1)
	v_fma_f64 v[168:169], v[168:169], v[185:186], v[170:171]
	v_div_scale_f64 v[170:171], null, v[168:169], v[168:169], 1.0
	s_delay_alu instid0(VALU_DEP_1) | instskip(SKIP_2) | instid1(VALU_DEP_1)
	v_rcp_f64_e32 v[187:188], v[170:171]
	s_waitcnt_depctr 0xfff
	v_fma_f64 v[189:190], -v[170:171], v[187:188], 1.0
	v_fma_f64 v[187:188], v[187:188], v[189:190], v[187:188]
	s_delay_alu instid0(VALU_DEP_1) | instskip(NEXT) | instid1(VALU_DEP_1)
	v_fma_f64 v[189:190], -v[170:171], v[187:188], 1.0
	v_fma_f64 v[187:188], v[187:188], v[189:190], v[187:188]
	v_div_scale_f64 v[189:190], vcc_lo, 1.0, v[168:169], 1.0
	s_delay_alu instid0(VALU_DEP_1) | instskip(NEXT) | instid1(VALU_DEP_1)
	v_mul_f64 v[191:192], v[189:190], v[187:188]
	v_fma_f64 v[170:171], -v[170:171], v[191:192], v[189:190]
	s_delay_alu instid0(VALU_DEP_1) | instskip(NEXT) | instid1(VALU_DEP_1)
	v_div_fmas_f64 v[170:171], v[170:171], v[187:188], v[191:192]
	v_div_fixup_f64 v[170:171], v[170:171], v[168:169], 1.0
	s_delay_alu instid0(VALU_DEP_1)
	v_mul_f64 v[168:169], v[185:186], v[170:171]
	v_xor_b32_e32 v171, 0x80000000, v171
.LBB82_280:
	s_and_not1_saveexec_b32 s2, s2
	s_cbranch_execz .LBB82_282
; %bb.281:
	s_delay_alu instid0(VALU_DEP_1) | instskip(SKIP_1) | instid1(VALU_DEP_2)
	v_div_scale_f64 v[185:186], null, v[168:169], v[168:169], v[170:171]
	v_div_scale_f64 v[191:192], vcc_lo, v[170:171], v[168:169], v[170:171]
	v_rcp_f64_e32 v[187:188], v[185:186]
	s_waitcnt_depctr 0xfff
	v_fma_f64 v[189:190], -v[185:186], v[187:188], 1.0
	s_delay_alu instid0(VALU_DEP_1) | instskip(NEXT) | instid1(VALU_DEP_1)
	v_fma_f64 v[187:188], v[187:188], v[189:190], v[187:188]
	v_fma_f64 v[189:190], -v[185:186], v[187:188], 1.0
	s_delay_alu instid0(VALU_DEP_1) | instskip(NEXT) | instid1(VALU_DEP_1)
	v_fma_f64 v[187:188], v[187:188], v[189:190], v[187:188]
	v_mul_f64 v[189:190], v[191:192], v[187:188]
	s_delay_alu instid0(VALU_DEP_1) | instskip(NEXT) | instid1(VALU_DEP_1)
	v_fma_f64 v[185:186], -v[185:186], v[189:190], v[191:192]
	v_div_fmas_f64 v[185:186], v[185:186], v[187:188], v[189:190]
	s_delay_alu instid0(VALU_DEP_1) | instskip(NEXT) | instid1(VALU_DEP_1)
	v_div_fixup_f64 v[185:186], v[185:186], v[168:169], v[170:171]
	v_fma_f64 v[168:169], v[170:171], v[185:186], v[168:169]
	s_delay_alu instid0(VALU_DEP_1) | instskip(NEXT) | instid1(VALU_DEP_1)
	v_div_scale_f64 v[170:171], null, v[168:169], v[168:169], 1.0
	v_rcp_f64_e32 v[187:188], v[170:171]
	s_waitcnt_depctr 0xfff
	v_fma_f64 v[189:190], -v[170:171], v[187:188], 1.0
	s_delay_alu instid0(VALU_DEP_1) | instskip(NEXT) | instid1(VALU_DEP_1)
	v_fma_f64 v[187:188], v[187:188], v[189:190], v[187:188]
	v_fma_f64 v[189:190], -v[170:171], v[187:188], 1.0
	s_delay_alu instid0(VALU_DEP_1) | instskip(SKIP_1) | instid1(VALU_DEP_1)
	v_fma_f64 v[187:188], v[187:188], v[189:190], v[187:188]
	v_div_scale_f64 v[189:190], vcc_lo, 1.0, v[168:169], 1.0
	v_mul_f64 v[191:192], v[189:190], v[187:188]
	s_delay_alu instid0(VALU_DEP_1) | instskip(NEXT) | instid1(VALU_DEP_1)
	v_fma_f64 v[170:171], -v[170:171], v[191:192], v[189:190]
	v_div_fmas_f64 v[170:171], v[170:171], v[187:188], v[191:192]
	s_delay_alu instid0(VALU_DEP_1) | instskip(NEXT) | instid1(VALU_DEP_1)
	v_div_fixup_f64 v[168:169], v[170:171], v[168:169], 1.0
	v_mul_f64 v[170:171], v[185:186], -v[168:169]
.LBB82_282:
	s_or_b32 exec_lo, exec_lo, s2
.LBB82_283:
	s_delay_alu instid0(SALU_CYCLE_1) | instskip(NEXT) | instid1(SALU_CYCLE_1)
	s_or_b32 exec_lo, exec_lo, s3
	s_mov_b32 s2, exec_lo
	v_cmpx_ne_u32_e64 v184, v176
	s_xor_b32 s2, exec_lo, s2
	s_cbranch_execz .LBB82_289
; %bb.284:
	s_mov_b32 s3, exec_lo
	v_cmpx_eq_u32_e32 13, v184
	s_cbranch_execz .LBB82_288
; %bb.285:
	v_cmp_ne_u32_e32 vcc_lo, 13, v176
	s_xor_b32 s6, s4, -1
	s_delay_alu instid0(SALU_CYCLE_1) | instskip(NEXT) | instid1(SALU_CYCLE_1)
	s_and_b32 s7, s6, vcc_lo
	s_and_saveexec_b32 s6, s7
	s_cbranch_execz .LBB82_287
; %bb.286:
	v_ashrrev_i32_e32 v177, 31, v176
	s_delay_alu instid0(VALU_DEP_1) | instskip(NEXT) | instid1(VALU_DEP_1)
	v_lshlrev_b64 v[184:185], 2, v[176:177]
	v_add_co_u32 v184, vcc_lo, v174, v184
	s_delay_alu instid0(VALU_DEP_2)
	v_add_co_ci_u32_e32 v185, vcc_lo, v175, v185, vcc_lo
	s_clause 0x1
	flat_load_b32 v177, v[184:185]
	flat_load_b32 v181, v[174:175] offset:52
	s_waitcnt vmcnt(1) lgkmcnt(1)
	flat_store_b32 v[174:175], v177 offset:52
	s_waitcnt vmcnt(0) lgkmcnt(1)
	flat_store_b32 v[184:185], v181
.LBB82_287:
	s_or_b32 exec_lo, exec_lo, s6
	v_mov_b32_e32 v184, v176
	v_mov_b32_e32 v181, v176
.LBB82_288:
	s_or_b32 exec_lo, exec_lo, s3
.LBB82_289:
	s_and_not1_saveexec_b32 s2, s2
	s_cbranch_execz .LBB82_291
; %bb.290:
	v_mov_b32_e32 v184, 13
	ds_store_2addr_b64 v178, v[108:109], v[110:111] offset0:28 offset1:29
	ds_store_2addr_b64 v178, v[104:105], v[106:107] offset0:30 offset1:31
	;; [unrolled: 1-line block ×28, first 2 shown]
.LBB82_291:
	s_or_b32 exec_lo, exec_lo, s2
	s_delay_alu instid0(SALU_CYCLE_1)
	s_mov_b32 s2, exec_lo
	s_waitcnt lgkmcnt(0)
	s_waitcnt_vscnt null, 0x0
	s_barrier
	buffer_gl0_inv
	v_cmpx_lt_i32_e32 13, v184
	s_cbranch_execz .LBB82_293
; %bb.292:
	v_mul_f64 v[176:177], v[170:171], v[114:115]
	v_mul_f64 v[114:115], v[168:169], v[114:115]
	s_delay_alu instid0(VALU_DEP_2) | instskip(NEXT) | instid1(VALU_DEP_2)
	v_fma_f64 v[176:177], v[168:169], v[112:113], -v[176:177]
	v_fma_f64 v[114:115], v[170:171], v[112:113], v[114:115]
	ds_load_2addr_b64 v[168:171], v178 offset0:28 offset1:29
	s_waitcnt lgkmcnt(0)
	v_mul_f64 v[112:113], v[170:171], v[114:115]
	s_delay_alu instid0(VALU_DEP_1) | instskip(SKIP_1) | instid1(VALU_DEP_2)
	v_fma_f64 v[112:113], v[168:169], v[176:177], -v[112:113]
	v_mul_f64 v[168:169], v[168:169], v[114:115]
	v_add_f64 v[108:109], v[108:109], -v[112:113]
	s_delay_alu instid0(VALU_DEP_2) | instskip(NEXT) | instid1(VALU_DEP_1)
	v_fma_f64 v[168:169], v[170:171], v[176:177], v[168:169]
	v_add_f64 v[110:111], v[110:111], -v[168:169]
	ds_load_2addr_b64 v[168:171], v178 offset0:30 offset1:31
	s_waitcnt lgkmcnt(0)
	v_mul_f64 v[112:113], v[170:171], v[114:115]
	s_delay_alu instid0(VALU_DEP_1) | instskip(SKIP_1) | instid1(VALU_DEP_2)
	v_fma_f64 v[112:113], v[168:169], v[176:177], -v[112:113]
	v_mul_f64 v[168:169], v[168:169], v[114:115]
	v_add_f64 v[104:105], v[104:105], -v[112:113]
	s_delay_alu instid0(VALU_DEP_2) | instskip(NEXT) | instid1(VALU_DEP_1)
	v_fma_f64 v[168:169], v[170:171], v[176:177], v[168:169]
	v_add_f64 v[106:107], v[106:107], -v[168:169]
	;; [unrolled: 10-line block ×27, first 2 shown]
	ds_load_2addr_b64 v[168:171], v178 offset0:82 offset1:83
	s_waitcnt lgkmcnt(0)
	v_mul_f64 v[112:113], v[170:171], v[114:115]
	s_delay_alu instid0(VALU_DEP_1) | instskip(SKIP_1) | instid1(VALU_DEP_2)
	v_fma_f64 v[112:113], v[168:169], v[176:177], -v[112:113]
	v_mul_f64 v[168:169], v[168:169], v[114:115]
	v_add_f64 v[0:1], v[0:1], -v[112:113]
	s_delay_alu instid0(VALU_DEP_2) | instskip(SKIP_1) | instid1(VALU_DEP_2)
	v_fma_f64 v[168:169], v[170:171], v[176:177], v[168:169]
	v_dual_mov_b32 v112, v176 :: v_dual_mov_b32 v113, v177
	v_add_f64 v[2:3], v[2:3], -v[168:169]
.LBB82_293:
	s_or_b32 exec_lo, exec_lo, s2
	v_lshl_add_u32 v168, v184, 4, v178
	s_barrier
	buffer_gl0_inv
	v_mov_b32_e32 v176, 14
	ds_store_2addr_b64 v168, v[108:109], v[110:111] offset1:1
	s_waitcnt lgkmcnt(0)
	s_barrier
	buffer_gl0_inv
	ds_load_2addr_b64 v[168:171], v178 offset0:28 offset1:29
	s_cmp_lt_i32 s5, 16
	s_cbranch_scc1 .LBB82_296
; %bb.294:
	v_add3_u32 v177, v183, 0, 0xf0
	v_mov_b32_e32 v176, 14
	s_mov_b32 s6, 15
	s_set_inst_prefetch_distance 0x1
	.p2align	6
.LBB82_295:                             ; =>This Inner Loop Header: Depth=1
	ds_load_2addr_b64 v[185:188], v177 offset1:1
	s_waitcnt lgkmcnt(1)
	v_cmp_gt_f64_e32 vcc_lo, 0, v[168:169]
	v_xor_b32_e32 v189, 0x80000000, v169
	v_cmp_gt_f64_e64 s2, 0, v[170:171]
	v_xor_b32_e32 v191, 0x80000000, v171
	v_add_nc_u32_e32 v177, 16, v177
	s_waitcnt lgkmcnt(0)
	v_cmp_gt_f64_e64 s3, 0, v[185:186]
	v_mov_b32_e32 v193, v185
	v_dual_mov_b32 v195, v187 :: v_dual_cndmask_b32 v190, v169, v189
	v_xor_b32_e32 v189, 0x80000000, v186
	v_cndmask_b32_e64 v192, v171, v191, s2
	v_xor_b32_e32 v191, 0x80000000, v188
	s_delay_alu instid0(VALU_DEP_3) | instskip(SKIP_2) | instid1(VALU_DEP_2)
	v_cndmask_b32_e64 v194, v186, v189, s3
	v_cmp_gt_f64_e64 s3, 0, v[187:188]
	v_cndmask_b32_e32 v189, v168, v168, vcc_lo
	v_cndmask_b32_e64 v196, v188, v191, s3
	v_cndmask_b32_e64 v191, v170, v170, s2
	s_delay_alu instid0(VALU_DEP_2) | instskip(NEXT) | instid1(VALU_DEP_2)
	v_add_f64 v[193:194], v[193:194], v[195:196]
	v_add_f64 v[189:190], v[189:190], v[191:192]
	s_delay_alu instid0(VALU_DEP_1) | instskip(SKIP_4) | instid1(SALU_CYCLE_1)
	v_cmp_lt_f64_e32 vcc_lo, v[189:190], v[193:194]
	v_dual_cndmask_b32 v170, v170, v187 :: v_dual_cndmask_b32 v169, v169, v186
	v_dual_cndmask_b32 v168, v168, v185 :: v_dual_cndmask_b32 v171, v171, v188
	v_cndmask_b32_e64 v176, v176, s6, vcc_lo
	s_add_i32 s6, s6, 1
	s_cmp_lg_u32 s5, s6
	s_cbranch_scc1 .LBB82_295
.LBB82_296:
	s_set_inst_prefetch_distance 0x2
	s_waitcnt lgkmcnt(0)
	v_cmp_eq_f64_e32 vcc_lo, 0, v[168:169]
	v_cmp_eq_f64_e64 s2, 0, v[170:171]
	s_delay_alu instid0(VALU_DEP_1) | instskip(NEXT) | instid1(SALU_CYCLE_1)
	s_and_b32 s2, vcc_lo, s2
	s_and_saveexec_b32 s3, s2
	s_delay_alu instid0(SALU_CYCLE_1)
	s_xor_b32 s2, exec_lo, s3
; %bb.297:
	v_cmp_ne_u32_e32 vcc_lo, 0, v182
	v_cndmask_b32_e32 v182, 15, v182, vcc_lo
; %bb.298:
	s_and_not1_saveexec_b32 s3, s2
	s_cbranch_execz .LBB82_304
; %bb.299:
	v_cmp_gt_f64_e32 vcc_lo, 0, v[168:169]
	v_cmp_gt_f64_e64 s2, 0, v[170:171]
	v_xor_b32_e32 v177, 0x80000000, v169
	v_xor_b32_e32 v185, 0x80000000, v171
	s_delay_alu instid0(VALU_DEP_2) | instskip(NEXT) | instid1(VALU_DEP_2)
	v_cndmask_b32_e32 v186, v169, v177, vcc_lo
	v_cndmask_b32_e64 v188, v171, v185, s2
	v_cndmask_b32_e32 v185, v168, v168, vcc_lo
	v_cndmask_b32_e64 v187, v170, v170, s2
	s_mov_b32 s2, exec_lo
	s_delay_alu instid0(VALU_DEP_1)
	v_cmpx_ngt_f64_e32 v[185:186], v[187:188]
	s_xor_b32 s2, exec_lo, s2
	s_cbranch_execz .LBB82_301
; %bb.300:
	v_div_scale_f64 v[185:186], null, v[170:171], v[170:171], v[168:169]
	v_div_scale_f64 v[191:192], vcc_lo, v[168:169], v[170:171], v[168:169]
	s_delay_alu instid0(VALU_DEP_2) | instskip(SKIP_2) | instid1(VALU_DEP_1)
	v_rcp_f64_e32 v[187:188], v[185:186]
	s_waitcnt_depctr 0xfff
	v_fma_f64 v[189:190], -v[185:186], v[187:188], 1.0
	v_fma_f64 v[187:188], v[187:188], v[189:190], v[187:188]
	s_delay_alu instid0(VALU_DEP_1) | instskip(NEXT) | instid1(VALU_DEP_1)
	v_fma_f64 v[189:190], -v[185:186], v[187:188], 1.0
	v_fma_f64 v[187:188], v[187:188], v[189:190], v[187:188]
	s_delay_alu instid0(VALU_DEP_1) | instskip(NEXT) | instid1(VALU_DEP_1)
	v_mul_f64 v[189:190], v[191:192], v[187:188]
	v_fma_f64 v[185:186], -v[185:186], v[189:190], v[191:192]
	s_delay_alu instid0(VALU_DEP_1) | instskip(NEXT) | instid1(VALU_DEP_1)
	v_div_fmas_f64 v[185:186], v[185:186], v[187:188], v[189:190]
	v_div_fixup_f64 v[185:186], v[185:186], v[170:171], v[168:169]
	s_delay_alu instid0(VALU_DEP_1) | instskip(NEXT) | instid1(VALU_DEP_1)
	v_fma_f64 v[168:169], v[168:169], v[185:186], v[170:171]
	v_div_scale_f64 v[170:171], null, v[168:169], v[168:169], 1.0
	s_delay_alu instid0(VALU_DEP_1) | instskip(SKIP_2) | instid1(VALU_DEP_1)
	v_rcp_f64_e32 v[187:188], v[170:171]
	s_waitcnt_depctr 0xfff
	v_fma_f64 v[189:190], -v[170:171], v[187:188], 1.0
	v_fma_f64 v[187:188], v[187:188], v[189:190], v[187:188]
	s_delay_alu instid0(VALU_DEP_1) | instskip(NEXT) | instid1(VALU_DEP_1)
	v_fma_f64 v[189:190], -v[170:171], v[187:188], 1.0
	v_fma_f64 v[187:188], v[187:188], v[189:190], v[187:188]
	v_div_scale_f64 v[189:190], vcc_lo, 1.0, v[168:169], 1.0
	s_delay_alu instid0(VALU_DEP_1) | instskip(NEXT) | instid1(VALU_DEP_1)
	v_mul_f64 v[191:192], v[189:190], v[187:188]
	v_fma_f64 v[170:171], -v[170:171], v[191:192], v[189:190]
	s_delay_alu instid0(VALU_DEP_1) | instskip(NEXT) | instid1(VALU_DEP_1)
	v_div_fmas_f64 v[170:171], v[170:171], v[187:188], v[191:192]
	v_div_fixup_f64 v[170:171], v[170:171], v[168:169], 1.0
	s_delay_alu instid0(VALU_DEP_1)
	v_mul_f64 v[168:169], v[185:186], v[170:171]
	v_xor_b32_e32 v171, 0x80000000, v171
.LBB82_301:
	s_and_not1_saveexec_b32 s2, s2
	s_cbranch_execz .LBB82_303
; %bb.302:
	s_delay_alu instid0(VALU_DEP_1) | instskip(SKIP_1) | instid1(VALU_DEP_2)
	v_div_scale_f64 v[185:186], null, v[168:169], v[168:169], v[170:171]
	v_div_scale_f64 v[191:192], vcc_lo, v[170:171], v[168:169], v[170:171]
	v_rcp_f64_e32 v[187:188], v[185:186]
	s_waitcnt_depctr 0xfff
	v_fma_f64 v[189:190], -v[185:186], v[187:188], 1.0
	s_delay_alu instid0(VALU_DEP_1) | instskip(NEXT) | instid1(VALU_DEP_1)
	v_fma_f64 v[187:188], v[187:188], v[189:190], v[187:188]
	v_fma_f64 v[189:190], -v[185:186], v[187:188], 1.0
	s_delay_alu instid0(VALU_DEP_1) | instskip(NEXT) | instid1(VALU_DEP_1)
	v_fma_f64 v[187:188], v[187:188], v[189:190], v[187:188]
	v_mul_f64 v[189:190], v[191:192], v[187:188]
	s_delay_alu instid0(VALU_DEP_1) | instskip(NEXT) | instid1(VALU_DEP_1)
	v_fma_f64 v[185:186], -v[185:186], v[189:190], v[191:192]
	v_div_fmas_f64 v[185:186], v[185:186], v[187:188], v[189:190]
	s_delay_alu instid0(VALU_DEP_1) | instskip(NEXT) | instid1(VALU_DEP_1)
	v_div_fixup_f64 v[185:186], v[185:186], v[168:169], v[170:171]
	v_fma_f64 v[168:169], v[170:171], v[185:186], v[168:169]
	s_delay_alu instid0(VALU_DEP_1) | instskip(NEXT) | instid1(VALU_DEP_1)
	v_div_scale_f64 v[170:171], null, v[168:169], v[168:169], 1.0
	v_rcp_f64_e32 v[187:188], v[170:171]
	s_waitcnt_depctr 0xfff
	v_fma_f64 v[189:190], -v[170:171], v[187:188], 1.0
	s_delay_alu instid0(VALU_DEP_1) | instskip(NEXT) | instid1(VALU_DEP_1)
	v_fma_f64 v[187:188], v[187:188], v[189:190], v[187:188]
	v_fma_f64 v[189:190], -v[170:171], v[187:188], 1.0
	s_delay_alu instid0(VALU_DEP_1) | instskip(SKIP_1) | instid1(VALU_DEP_1)
	v_fma_f64 v[187:188], v[187:188], v[189:190], v[187:188]
	v_div_scale_f64 v[189:190], vcc_lo, 1.0, v[168:169], 1.0
	v_mul_f64 v[191:192], v[189:190], v[187:188]
	s_delay_alu instid0(VALU_DEP_1) | instskip(NEXT) | instid1(VALU_DEP_1)
	v_fma_f64 v[170:171], -v[170:171], v[191:192], v[189:190]
	v_div_fmas_f64 v[170:171], v[170:171], v[187:188], v[191:192]
	s_delay_alu instid0(VALU_DEP_1) | instskip(NEXT) | instid1(VALU_DEP_1)
	v_div_fixup_f64 v[168:169], v[170:171], v[168:169], 1.0
	v_mul_f64 v[170:171], v[185:186], -v[168:169]
.LBB82_303:
	s_or_b32 exec_lo, exec_lo, s2
.LBB82_304:
	s_delay_alu instid0(SALU_CYCLE_1) | instskip(NEXT) | instid1(SALU_CYCLE_1)
	s_or_b32 exec_lo, exec_lo, s3
	s_mov_b32 s2, exec_lo
	v_cmpx_ne_u32_e64 v184, v176
	s_xor_b32 s2, exec_lo, s2
	s_cbranch_execz .LBB82_310
; %bb.305:
	s_mov_b32 s3, exec_lo
	v_cmpx_eq_u32_e32 14, v184
	s_cbranch_execz .LBB82_309
; %bb.306:
	v_cmp_ne_u32_e32 vcc_lo, 14, v176
	s_xor_b32 s6, s4, -1
	s_delay_alu instid0(SALU_CYCLE_1) | instskip(NEXT) | instid1(SALU_CYCLE_1)
	s_and_b32 s7, s6, vcc_lo
	s_and_saveexec_b32 s6, s7
	s_cbranch_execz .LBB82_308
; %bb.307:
	v_ashrrev_i32_e32 v177, 31, v176
	s_delay_alu instid0(VALU_DEP_1) | instskip(NEXT) | instid1(VALU_DEP_1)
	v_lshlrev_b64 v[184:185], 2, v[176:177]
	v_add_co_u32 v184, vcc_lo, v174, v184
	s_delay_alu instid0(VALU_DEP_2)
	v_add_co_ci_u32_e32 v185, vcc_lo, v175, v185, vcc_lo
	s_clause 0x1
	flat_load_b32 v177, v[184:185]
	flat_load_b32 v181, v[174:175] offset:56
	s_waitcnt vmcnt(1) lgkmcnt(1)
	flat_store_b32 v[174:175], v177 offset:56
	s_waitcnt vmcnt(0) lgkmcnt(1)
	flat_store_b32 v[184:185], v181
.LBB82_308:
	s_or_b32 exec_lo, exec_lo, s6
	v_mov_b32_e32 v184, v176
	v_mov_b32_e32 v181, v176
.LBB82_309:
	s_or_b32 exec_lo, exec_lo, s3
.LBB82_310:
	s_and_not1_saveexec_b32 s2, s2
	s_cbranch_execz .LBB82_312
; %bb.311:
	v_mov_b32_e32 v184, 14
	ds_store_2addr_b64 v178, v[104:105], v[106:107] offset0:30 offset1:31
	ds_store_2addr_b64 v178, v[100:101], v[102:103] offset0:32 offset1:33
	;; [unrolled: 1-line block ×27, first 2 shown]
.LBB82_312:
	s_or_b32 exec_lo, exec_lo, s2
	s_delay_alu instid0(SALU_CYCLE_1)
	s_mov_b32 s2, exec_lo
	s_waitcnt lgkmcnt(0)
	s_waitcnt_vscnt null, 0x0
	s_barrier
	buffer_gl0_inv
	v_cmpx_lt_i32_e32 14, v184
	s_cbranch_execz .LBB82_314
; %bb.313:
	v_mul_f64 v[176:177], v[170:171], v[110:111]
	v_mul_f64 v[110:111], v[168:169], v[110:111]
	s_delay_alu instid0(VALU_DEP_2) | instskip(NEXT) | instid1(VALU_DEP_2)
	v_fma_f64 v[176:177], v[168:169], v[108:109], -v[176:177]
	v_fma_f64 v[110:111], v[170:171], v[108:109], v[110:111]
	ds_load_2addr_b64 v[168:171], v178 offset0:30 offset1:31
	s_waitcnt lgkmcnt(0)
	v_mul_f64 v[108:109], v[170:171], v[110:111]
	s_delay_alu instid0(VALU_DEP_1) | instskip(SKIP_1) | instid1(VALU_DEP_2)
	v_fma_f64 v[108:109], v[168:169], v[176:177], -v[108:109]
	v_mul_f64 v[168:169], v[168:169], v[110:111]
	v_add_f64 v[104:105], v[104:105], -v[108:109]
	s_delay_alu instid0(VALU_DEP_2) | instskip(NEXT) | instid1(VALU_DEP_1)
	v_fma_f64 v[168:169], v[170:171], v[176:177], v[168:169]
	v_add_f64 v[106:107], v[106:107], -v[168:169]
	ds_load_2addr_b64 v[168:171], v178 offset0:32 offset1:33
	s_waitcnt lgkmcnt(0)
	v_mul_f64 v[108:109], v[170:171], v[110:111]
	s_delay_alu instid0(VALU_DEP_1) | instskip(SKIP_1) | instid1(VALU_DEP_2)
	v_fma_f64 v[108:109], v[168:169], v[176:177], -v[108:109]
	v_mul_f64 v[168:169], v[168:169], v[110:111]
	v_add_f64 v[100:101], v[100:101], -v[108:109]
	s_delay_alu instid0(VALU_DEP_2) | instskip(NEXT) | instid1(VALU_DEP_1)
	v_fma_f64 v[168:169], v[170:171], v[176:177], v[168:169]
	v_add_f64 v[102:103], v[102:103], -v[168:169]
	ds_load_2addr_b64 v[168:171], v178 offset0:34 offset1:35
	s_waitcnt lgkmcnt(0)
	v_mul_f64 v[108:109], v[170:171], v[110:111]
	s_delay_alu instid0(VALU_DEP_1) | instskip(SKIP_1) | instid1(VALU_DEP_2)
	v_fma_f64 v[108:109], v[168:169], v[176:177], -v[108:109]
	v_mul_f64 v[168:169], v[168:169], v[110:111]
	v_add_f64 v[96:97], v[96:97], -v[108:109]
	s_delay_alu instid0(VALU_DEP_2) | instskip(NEXT) | instid1(VALU_DEP_1)
	v_fma_f64 v[168:169], v[170:171], v[176:177], v[168:169]
	v_add_f64 v[98:99], v[98:99], -v[168:169]
	ds_load_2addr_b64 v[168:171], v178 offset0:36 offset1:37
	s_waitcnt lgkmcnt(0)
	v_mul_f64 v[108:109], v[170:171], v[110:111]
	s_delay_alu instid0(VALU_DEP_1) | instskip(SKIP_1) | instid1(VALU_DEP_2)
	v_fma_f64 v[108:109], v[168:169], v[176:177], -v[108:109]
	v_mul_f64 v[168:169], v[168:169], v[110:111]
	v_add_f64 v[92:93], v[92:93], -v[108:109]
	s_delay_alu instid0(VALU_DEP_2) | instskip(NEXT) | instid1(VALU_DEP_1)
	v_fma_f64 v[168:169], v[170:171], v[176:177], v[168:169]
	v_add_f64 v[94:95], v[94:95], -v[168:169]
	ds_load_2addr_b64 v[168:171], v178 offset0:38 offset1:39
	s_waitcnt lgkmcnt(0)
	v_mul_f64 v[108:109], v[170:171], v[110:111]
	s_delay_alu instid0(VALU_DEP_1) | instskip(SKIP_1) | instid1(VALU_DEP_2)
	v_fma_f64 v[108:109], v[168:169], v[176:177], -v[108:109]
	v_mul_f64 v[168:169], v[168:169], v[110:111]
	v_add_f64 v[88:89], v[88:89], -v[108:109]
	s_delay_alu instid0(VALU_DEP_2) | instskip(NEXT) | instid1(VALU_DEP_1)
	v_fma_f64 v[168:169], v[170:171], v[176:177], v[168:169]
	v_add_f64 v[90:91], v[90:91], -v[168:169]
	ds_load_2addr_b64 v[168:171], v178 offset0:40 offset1:41
	s_waitcnt lgkmcnt(0)
	v_mul_f64 v[108:109], v[170:171], v[110:111]
	s_delay_alu instid0(VALU_DEP_1) | instskip(SKIP_1) | instid1(VALU_DEP_2)
	v_fma_f64 v[108:109], v[168:169], v[176:177], -v[108:109]
	v_mul_f64 v[168:169], v[168:169], v[110:111]
	v_add_f64 v[84:85], v[84:85], -v[108:109]
	s_delay_alu instid0(VALU_DEP_2) | instskip(NEXT) | instid1(VALU_DEP_1)
	v_fma_f64 v[168:169], v[170:171], v[176:177], v[168:169]
	v_add_f64 v[86:87], v[86:87], -v[168:169]
	ds_load_2addr_b64 v[168:171], v178 offset0:42 offset1:43
	s_waitcnt lgkmcnt(0)
	v_mul_f64 v[108:109], v[170:171], v[110:111]
	s_delay_alu instid0(VALU_DEP_1) | instskip(SKIP_1) | instid1(VALU_DEP_2)
	v_fma_f64 v[108:109], v[168:169], v[176:177], -v[108:109]
	v_mul_f64 v[168:169], v[168:169], v[110:111]
	v_add_f64 v[80:81], v[80:81], -v[108:109]
	s_delay_alu instid0(VALU_DEP_2) | instskip(NEXT) | instid1(VALU_DEP_1)
	v_fma_f64 v[168:169], v[170:171], v[176:177], v[168:169]
	v_add_f64 v[82:83], v[82:83], -v[168:169]
	ds_load_2addr_b64 v[168:171], v178 offset0:44 offset1:45
	s_waitcnt lgkmcnt(0)
	v_mul_f64 v[108:109], v[170:171], v[110:111]
	s_delay_alu instid0(VALU_DEP_1) | instskip(SKIP_1) | instid1(VALU_DEP_2)
	v_fma_f64 v[108:109], v[168:169], v[176:177], -v[108:109]
	v_mul_f64 v[168:169], v[168:169], v[110:111]
	v_add_f64 v[76:77], v[76:77], -v[108:109]
	s_delay_alu instid0(VALU_DEP_2) | instskip(NEXT) | instid1(VALU_DEP_1)
	v_fma_f64 v[168:169], v[170:171], v[176:177], v[168:169]
	v_add_f64 v[78:79], v[78:79], -v[168:169]
	ds_load_2addr_b64 v[168:171], v178 offset0:46 offset1:47
	s_waitcnt lgkmcnt(0)
	v_mul_f64 v[108:109], v[170:171], v[110:111]
	s_delay_alu instid0(VALU_DEP_1) | instskip(SKIP_1) | instid1(VALU_DEP_2)
	v_fma_f64 v[108:109], v[168:169], v[176:177], -v[108:109]
	v_mul_f64 v[168:169], v[168:169], v[110:111]
	v_add_f64 v[72:73], v[72:73], -v[108:109]
	s_delay_alu instid0(VALU_DEP_2) | instskip(NEXT) | instid1(VALU_DEP_1)
	v_fma_f64 v[168:169], v[170:171], v[176:177], v[168:169]
	v_add_f64 v[74:75], v[74:75], -v[168:169]
	ds_load_2addr_b64 v[168:171], v178 offset0:48 offset1:49
	s_waitcnt lgkmcnt(0)
	v_mul_f64 v[108:109], v[170:171], v[110:111]
	s_delay_alu instid0(VALU_DEP_1) | instskip(SKIP_1) | instid1(VALU_DEP_2)
	v_fma_f64 v[108:109], v[168:169], v[176:177], -v[108:109]
	v_mul_f64 v[168:169], v[168:169], v[110:111]
	v_add_f64 v[68:69], v[68:69], -v[108:109]
	s_delay_alu instid0(VALU_DEP_2) | instskip(NEXT) | instid1(VALU_DEP_1)
	v_fma_f64 v[168:169], v[170:171], v[176:177], v[168:169]
	v_add_f64 v[70:71], v[70:71], -v[168:169]
	ds_load_2addr_b64 v[168:171], v178 offset0:50 offset1:51
	s_waitcnt lgkmcnt(0)
	v_mul_f64 v[108:109], v[170:171], v[110:111]
	s_delay_alu instid0(VALU_DEP_1) | instskip(SKIP_1) | instid1(VALU_DEP_2)
	v_fma_f64 v[108:109], v[168:169], v[176:177], -v[108:109]
	v_mul_f64 v[168:169], v[168:169], v[110:111]
	v_add_f64 v[64:65], v[64:65], -v[108:109]
	s_delay_alu instid0(VALU_DEP_2) | instskip(NEXT) | instid1(VALU_DEP_1)
	v_fma_f64 v[168:169], v[170:171], v[176:177], v[168:169]
	v_add_f64 v[66:67], v[66:67], -v[168:169]
	ds_load_2addr_b64 v[168:171], v178 offset0:52 offset1:53
	s_waitcnt lgkmcnt(0)
	v_mul_f64 v[108:109], v[170:171], v[110:111]
	s_delay_alu instid0(VALU_DEP_1) | instskip(SKIP_1) | instid1(VALU_DEP_2)
	v_fma_f64 v[108:109], v[168:169], v[176:177], -v[108:109]
	v_mul_f64 v[168:169], v[168:169], v[110:111]
	v_add_f64 v[60:61], v[60:61], -v[108:109]
	s_delay_alu instid0(VALU_DEP_2) | instskip(NEXT) | instid1(VALU_DEP_1)
	v_fma_f64 v[168:169], v[170:171], v[176:177], v[168:169]
	v_add_f64 v[62:63], v[62:63], -v[168:169]
	ds_load_2addr_b64 v[168:171], v178 offset0:54 offset1:55
	s_waitcnt lgkmcnt(0)
	v_mul_f64 v[108:109], v[170:171], v[110:111]
	s_delay_alu instid0(VALU_DEP_1) | instskip(SKIP_1) | instid1(VALU_DEP_2)
	v_fma_f64 v[108:109], v[168:169], v[176:177], -v[108:109]
	v_mul_f64 v[168:169], v[168:169], v[110:111]
	v_add_f64 v[56:57], v[56:57], -v[108:109]
	s_delay_alu instid0(VALU_DEP_2) | instskip(NEXT) | instid1(VALU_DEP_1)
	v_fma_f64 v[168:169], v[170:171], v[176:177], v[168:169]
	v_add_f64 v[58:59], v[58:59], -v[168:169]
	ds_load_2addr_b64 v[168:171], v178 offset0:56 offset1:57
	s_waitcnt lgkmcnt(0)
	v_mul_f64 v[108:109], v[170:171], v[110:111]
	s_delay_alu instid0(VALU_DEP_1) | instskip(SKIP_1) | instid1(VALU_DEP_2)
	v_fma_f64 v[108:109], v[168:169], v[176:177], -v[108:109]
	v_mul_f64 v[168:169], v[168:169], v[110:111]
	v_add_f64 v[52:53], v[52:53], -v[108:109]
	s_delay_alu instid0(VALU_DEP_2) | instskip(NEXT) | instid1(VALU_DEP_1)
	v_fma_f64 v[168:169], v[170:171], v[176:177], v[168:169]
	v_add_f64 v[54:55], v[54:55], -v[168:169]
	ds_load_2addr_b64 v[168:171], v178 offset0:58 offset1:59
	s_waitcnt lgkmcnt(0)
	v_mul_f64 v[108:109], v[170:171], v[110:111]
	s_delay_alu instid0(VALU_DEP_1) | instskip(SKIP_1) | instid1(VALU_DEP_2)
	v_fma_f64 v[108:109], v[168:169], v[176:177], -v[108:109]
	v_mul_f64 v[168:169], v[168:169], v[110:111]
	v_add_f64 v[48:49], v[48:49], -v[108:109]
	s_delay_alu instid0(VALU_DEP_2) | instskip(NEXT) | instid1(VALU_DEP_1)
	v_fma_f64 v[168:169], v[170:171], v[176:177], v[168:169]
	v_add_f64 v[50:51], v[50:51], -v[168:169]
	ds_load_2addr_b64 v[168:171], v178 offset0:60 offset1:61
	s_waitcnt lgkmcnt(0)
	v_mul_f64 v[108:109], v[170:171], v[110:111]
	s_delay_alu instid0(VALU_DEP_1) | instskip(SKIP_1) | instid1(VALU_DEP_2)
	v_fma_f64 v[108:109], v[168:169], v[176:177], -v[108:109]
	v_mul_f64 v[168:169], v[168:169], v[110:111]
	v_add_f64 v[44:45], v[44:45], -v[108:109]
	s_delay_alu instid0(VALU_DEP_2) | instskip(NEXT) | instid1(VALU_DEP_1)
	v_fma_f64 v[168:169], v[170:171], v[176:177], v[168:169]
	v_add_f64 v[46:47], v[46:47], -v[168:169]
	ds_load_2addr_b64 v[168:171], v178 offset0:62 offset1:63
	s_waitcnt lgkmcnt(0)
	v_mul_f64 v[108:109], v[170:171], v[110:111]
	s_delay_alu instid0(VALU_DEP_1) | instskip(SKIP_1) | instid1(VALU_DEP_2)
	v_fma_f64 v[108:109], v[168:169], v[176:177], -v[108:109]
	v_mul_f64 v[168:169], v[168:169], v[110:111]
	v_add_f64 v[40:41], v[40:41], -v[108:109]
	s_delay_alu instid0(VALU_DEP_2) | instskip(NEXT) | instid1(VALU_DEP_1)
	v_fma_f64 v[168:169], v[170:171], v[176:177], v[168:169]
	v_add_f64 v[42:43], v[42:43], -v[168:169]
	ds_load_2addr_b64 v[168:171], v178 offset0:64 offset1:65
	s_waitcnt lgkmcnt(0)
	v_mul_f64 v[108:109], v[170:171], v[110:111]
	s_delay_alu instid0(VALU_DEP_1) | instskip(SKIP_1) | instid1(VALU_DEP_2)
	v_fma_f64 v[108:109], v[168:169], v[176:177], -v[108:109]
	v_mul_f64 v[168:169], v[168:169], v[110:111]
	v_add_f64 v[36:37], v[36:37], -v[108:109]
	s_delay_alu instid0(VALU_DEP_2) | instskip(NEXT) | instid1(VALU_DEP_1)
	v_fma_f64 v[168:169], v[170:171], v[176:177], v[168:169]
	v_add_f64 v[38:39], v[38:39], -v[168:169]
	ds_load_2addr_b64 v[168:171], v178 offset0:66 offset1:67
	s_waitcnt lgkmcnt(0)
	v_mul_f64 v[108:109], v[170:171], v[110:111]
	s_delay_alu instid0(VALU_DEP_1) | instskip(SKIP_1) | instid1(VALU_DEP_2)
	v_fma_f64 v[108:109], v[168:169], v[176:177], -v[108:109]
	v_mul_f64 v[168:169], v[168:169], v[110:111]
	v_add_f64 v[32:33], v[32:33], -v[108:109]
	s_delay_alu instid0(VALU_DEP_2) | instskip(NEXT) | instid1(VALU_DEP_1)
	v_fma_f64 v[168:169], v[170:171], v[176:177], v[168:169]
	v_add_f64 v[34:35], v[34:35], -v[168:169]
	ds_load_2addr_b64 v[168:171], v178 offset0:68 offset1:69
	s_waitcnt lgkmcnt(0)
	v_mul_f64 v[108:109], v[170:171], v[110:111]
	s_delay_alu instid0(VALU_DEP_1) | instskip(SKIP_1) | instid1(VALU_DEP_2)
	v_fma_f64 v[108:109], v[168:169], v[176:177], -v[108:109]
	v_mul_f64 v[168:169], v[168:169], v[110:111]
	v_add_f64 v[28:29], v[28:29], -v[108:109]
	s_delay_alu instid0(VALU_DEP_2) | instskip(NEXT) | instid1(VALU_DEP_1)
	v_fma_f64 v[168:169], v[170:171], v[176:177], v[168:169]
	v_add_f64 v[30:31], v[30:31], -v[168:169]
	ds_load_2addr_b64 v[168:171], v178 offset0:70 offset1:71
	s_waitcnt lgkmcnt(0)
	v_mul_f64 v[108:109], v[170:171], v[110:111]
	s_delay_alu instid0(VALU_DEP_1) | instskip(SKIP_1) | instid1(VALU_DEP_2)
	v_fma_f64 v[108:109], v[168:169], v[176:177], -v[108:109]
	v_mul_f64 v[168:169], v[168:169], v[110:111]
	v_add_f64 v[24:25], v[24:25], -v[108:109]
	s_delay_alu instid0(VALU_DEP_2) | instskip(NEXT) | instid1(VALU_DEP_1)
	v_fma_f64 v[168:169], v[170:171], v[176:177], v[168:169]
	v_add_f64 v[26:27], v[26:27], -v[168:169]
	ds_load_2addr_b64 v[168:171], v178 offset0:72 offset1:73
	s_waitcnt lgkmcnt(0)
	v_mul_f64 v[108:109], v[170:171], v[110:111]
	s_delay_alu instid0(VALU_DEP_1) | instskip(SKIP_1) | instid1(VALU_DEP_2)
	v_fma_f64 v[108:109], v[168:169], v[176:177], -v[108:109]
	v_mul_f64 v[168:169], v[168:169], v[110:111]
	v_add_f64 v[20:21], v[20:21], -v[108:109]
	s_delay_alu instid0(VALU_DEP_2) | instskip(NEXT) | instid1(VALU_DEP_1)
	v_fma_f64 v[168:169], v[170:171], v[176:177], v[168:169]
	v_add_f64 v[22:23], v[22:23], -v[168:169]
	ds_load_2addr_b64 v[168:171], v178 offset0:74 offset1:75
	s_waitcnt lgkmcnt(0)
	v_mul_f64 v[108:109], v[170:171], v[110:111]
	s_delay_alu instid0(VALU_DEP_1) | instskip(SKIP_1) | instid1(VALU_DEP_2)
	v_fma_f64 v[108:109], v[168:169], v[176:177], -v[108:109]
	v_mul_f64 v[168:169], v[168:169], v[110:111]
	v_add_f64 v[16:17], v[16:17], -v[108:109]
	s_delay_alu instid0(VALU_DEP_2) | instskip(NEXT) | instid1(VALU_DEP_1)
	v_fma_f64 v[168:169], v[170:171], v[176:177], v[168:169]
	v_add_f64 v[18:19], v[18:19], -v[168:169]
	ds_load_2addr_b64 v[168:171], v178 offset0:76 offset1:77
	s_waitcnt lgkmcnt(0)
	v_mul_f64 v[108:109], v[170:171], v[110:111]
	s_delay_alu instid0(VALU_DEP_1) | instskip(SKIP_1) | instid1(VALU_DEP_2)
	v_fma_f64 v[108:109], v[168:169], v[176:177], -v[108:109]
	v_mul_f64 v[168:169], v[168:169], v[110:111]
	v_add_f64 v[12:13], v[12:13], -v[108:109]
	s_delay_alu instid0(VALU_DEP_2) | instskip(NEXT) | instid1(VALU_DEP_1)
	v_fma_f64 v[168:169], v[170:171], v[176:177], v[168:169]
	v_add_f64 v[14:15], v[14:15], -v[168:169]
	ds_load_2addr_b64 v[168:171], v178 offset0:78 offset1:79
	s_waitcnt lgkmcnt(0)
	v_mul_f64 v[108:109], v[170:171], v[110:111]
	s_delay_alu instid0(VALU_DEP_1) | instskip(SKIP_1) | instid1(VALU_DEP_2)
	v_fma_f64 v[108:109], v[168:169], v[176:177], -v[108:109]
	v_mul_f64 v[168:169], v[168:169], v[110:111]
	v_add_f64 v[8:9], v[8:9], -v[108:109]
	s_delay_alu instid0(VALU_DEP_2) | instskip(NEXT) | instid1(VALU_DEP_1)
	v_fma_f64 v[168:169], v[170:171], v[176:177], v[168:169]
	v_add_f64 v[10:11], v[10:11], -v[168:169]
	ds_load_2addr_b64 v[168:171], v178 offset0:80 offset1:81
	s_waitcnt lgkmcnt(0)
	v_mul_f64 v[108:109], v[170:171], v[110:111]
	s_delay_alu instid0(VALU_DEP_1) | instskip(SKIP_1) | instid1(VALU_DEP_2)
	v_fma_f64 v[108:109], v[168:169], v[176:177], -v[108:109]
	v_mul_f64 v[168:169], v[168:169], v[110:111]
	v_add_f64 v[4:5], v[4:5], -v[108:109]
	s_delay_alu instid0(VALU_DEP_2) | instskip(NEXT) | instid1(VALU_DEP_1)
	v_fma_f64 v[168:169], v[170:171], v[176:177], v[168:169]
	v_add_f64 v[6:7], v[6:7], -v[168:169]
	ds_load_2addr_b64 v[168:171], v178 offset0:82 offset1:83
	s_waitcnt lgkmcnt(0)
	v_mul_f64 v[108:109], v[170:171], v[110:111]
	s_delay_alu instid0(VALU_DEP_1) | instskip(SKIP_1) | instid1(VALU_DEP_2)
	v_fma_f64 v[108:109], v[168:169], v[176:177], -v[108:109]
	v_mul_f64 v[168:169], v[168:169], v[110:111]
	v_add_f64 v[0:1], v[0:1], -v[108:109]
	s_delay_alu instid0(VALU_DEP_2) | instskip(SKIP_1) | instid1(VALU_DEP_2)
	v_fma_f64 v[168:169], v[170:171], v[176:177], v[168:169]
	v_dual_mov_b32 v108, v176 :: v_dual_mov_b32 v109, v177
	v_add_f64 v[2:3], v[2:3], -v[168:169]
.LBB82_314:
	s_or_b32 exec_lo, exec_lo, s2
	v_lshl_add_u32 v168, v184, 4, v178
	s_barrier
	buffer_gl0_inv
	v_mov_b32_e32 v176, 15
	ds_store_2addr_b64 v168, v[104:105], v[106:107] offset1:1
	s_waitcnt lgkmcnt(0)
	s_barrier
	buffer_gl0_inv
	ds_load_2addr_b64 v[168:171], v178 offset0:30 offset1:31
	s_cmp_lt_i32 s5, 17
	s_cbranch_scc1 .LBB82_317
; %bb.315:
	v_add3_u32 v177, v183, 0, 0x100
	v_mov_b32_e32 v176, 15
	s_mov_b32 s6, 16
	s_set_inst_prefetch_distance 0x1
	.p2align	6
.LBB82_316:                             ; =>This Inner Loop Header: Depth=1
	ds_load_2addr_b64 v[185:188], v177 offset1:1
	s_waitcnt lgkmcnt(1)
	v_cmp_gt_f64_e32 vcc_lo, 0, v[168:169]
	v_xor_b32_e32 v189, 0x80000000, v169
	v_cmp_gt_f64_e64 s2, 0, v[170:171]
	v_xor_b32_e32 v191, 0x80000000, v171
	v_add_nc_u32_e32 v177, 16, v177
	s_waitcnt lgkmcnt(0)
	v_cmp_gt_f64_e64 s3, 0, v[185:186]
	v_mov_b32_e32 v193, v185
	v_dual_mov_b32 v195, v187 :: v_dual_cndmask_b32 v190, v169, v189
	v_xor_b32_e32 v189, 0x80000000, v186
	v_cndmask_b32_e64 v192, v171, v191, s2
	v_xor_b32_e32 v191, 0x80000000, v188
	s_delay_alu instid0(VALU_DEP_3) | instskip(SKIP_2) | instid1(VALU_DEP_2)
	v_cndmask_b32_e64 v194, v186, v189, s3
	v_cmp_gt_f64_e64 s3, 0, v[187:188]
	v_cndmask_b32_e32 v189, v168, v168, vcc_lo
	v_cndmask_b32_e64 v196, v188, v191, s3
	v_cndmask_b32_e64 v191, v170, v170, s2
	s_delay_alu instid0(VALU_DEP_2) | instskip(NEXT) | instid1(VALU_DEP_2)
	v_add_f64 v[193:194], v[193:194], v[195:196]
	v_add_f64 v[189:190], v[189:190], v[191:192]
	s_delay_alu instid0(VALU_DEP_1) | instskip(SKIP_4) | instid1(SALU_CYCLE_1)
	v_cmp_lt_f64_e32 vcc_lo, v[189:190], v[193:194]
	v_dual_cndmask_b32 v170, v170, v187 :: v_dual_cndmask_b32 v169, v169, v186
	v_dual_cndmask_b32 v168, v168, v185 :: v_dual_cndmask_b32 v171, v171, v188
	v_cndmask_b32_e64 v176, v176, s6, vcc_lo
	s_add_i32 s6, s6, 1
	s_cmp_lg_u32 s5, s6
	s_cbranch_scc1 .LBB82_316
.LBB82_317:
	s_set_inst_prefetch_distance 0x2
	s_waitcnt lgkmcnt(0)
	v_cmp_eq_f64_e32 vcc_lo, 0, v[168:169]
	v_cmp_eq_f64_e64 s2, 0, v[170:171]
	s_delay_alu instid0(VALU_DEP_1) | instskip(NEXT) | instid1(SALU_CYCLE_1)
	s_and_b32 s2, vcc_lo, s2
	s_and_saveexec_b32 s3, s2
	s_delay_alu instid0(SALU_CYCLE_1)
	s_xor_b32 s2, exec_lo, s3
; %bb.318:
	v_cmp_ne_u32_e32 vcc_lo, 0, v182
	v_cndmask_b32_e32 v182, 16, v182, vcc_lo
; %bb.319:
	s_and_not1_saveexec_b32 s3, s2
	s_cbranch_execz .LBB82_325
; %bb.320:
	v_cmp_gt_f64_e32 vcc_lo, 0, v[168:169]
	v_cmp_gt_f64_e64 s2, 0, v[170:171]
	v_xor_b32_e32 v177, 0x80000000, v169
	v_xor_b32_e32 v185, 0x80000000, v171
	s_delay_alu instid0(VALU_DEP_2) | instskip(NEXT) | instid1(VALU_DEP_2)
	v_cndmask_b32_e32 v186, v169, v177, vcc_lo
	v_cndmask_b32_e64 v188, v171, v185, s2
	v_cndmask_b32_e32 v185, v168, v168, vcc_lo
	v_cndmask_b32_e64 v187, v170, v170, s2
	s_mov_b32 s2, exec_lo
	s_delay_alu instid0(VALU_DEP_1)
	v_cmpx_ngt_f64_e32 v[185:186], v[187:188]
	s_xor_b32 s2, exec_lo, s2
	s_cbranch_execz .LBB82_322
; %bb.321:
	v_div_scale_f64 v[185:186], null, v[170:171], v[170:171], v[168:169]
	v_div_scale_f64 v[191:192], vcc_lo, v[168:169], v[170:171], v[168:169]
	s_delay_alu instid0(VALU_DEP_2) | instskip(SKIP_2) | instid1(VALU_DEP_1)
	v_rcp_f64_e32 v[187:188], v[185:186]
	s_waitcnt_depctr 0xfff
	v_fma_f64 v[189:190], -v[185:186], v[187:188], 1.0
	v_fma_f64 v[187:188], v[187:188], v[189:190], v[187:188]
	s_delay_alu instid0(VALU_DEP_1) | instskip(NEXT) | instid1(VALU_DEP_1)
	v_fma_f64 v[189:190], -v[185:186], v[187:188], 1.0
	v_fma_f64 v[187:188], v[187:188], v[189:190], v[187:188]
	s_delay_alu instid0(VALU_DEP_1) | instskip(NEXT) | instid1(VALU_DEP_1)
	v_mul_f64 v[189:190], v[191:192], v[187:188]
	v_fma_f64 v[185:186], -v[185:186], v[189:190], v[191:192]
	s_delay_alu instid0(VALU_DEP_1) | instskip(NEXT) | instid1(VALU_DEP_1)
	v_div_fmas_f64 v[185:186], v[185:186], v[187:188], v[189:190]
	v_div_fixup_f64 v[185:186], v[185:186], v[170:171], v[168:169]
	s_delay_alu instid0(VALU_DEP_1) | instskip(NEXT) | instid1(VALU_DEP_1)
	v_fma_f64 v[168:169], v[168:169], v[185:186], v[170:171]
	v_div_scale_f64 v[170:171], null, v[168:169], v[168:169], 1.0
	s_delay_alu instid0(VALU_DEP_1) | instskip(SKIP_2) | instid1(VALU_DEP_1)
	v_rcp_f64_e32 v[187:188], v[170:171]
	s_waitcnt_depctr 0xfff
	v_fma_f64 v[189:190], -v[170:171], v[187:188], 1.0
	v_fma_f64 v[187:188], v[187:188], v[189:190], v[187:188]
	s_delay_alu instid0(VALU_DEP_1) | instskip(NEXT) | instid1(VALU_DEP_1)
	v_fma_f64 v[189:190], -v[170:171], v[187:188], 1.0
	v_fma_f64 v[187:188], v[187:188], v[189:190], v[187:188]
	v_div_scale_f64 v[189:190], vcc_lo, 1.0, v[168:169], 1.0
	s_delay_alu instid0(VALU_DEP_1) | instskip(NEXT) | instid1(VALU_DEP_1)
	v_mul_f64 v[191:192], v[189:190], v[187:188]
	v_fma_f64 v[170:171], -v[170:171], v[191:192], v[189:190]
	s_delay_alu instid0(VALU_DEP_1) | instskip(NEXT) | instid1(VALU_DEP_1)
	v_div_fmas_f64 v[170:171], v[170:171], v[187:188], v[191:192]
	v_div_fixup_f64 v[170:171], v[170:171], v[168:169], 1.0
	s_delay_alu instid0(VALU_DEP_1)
	v_mul_f64 v[168:169], v[185:186], v[170:171]
	v_xor_b32_e32 v171, 0x80000000, v171
.LBB82_322:
	s_and_not1_saveexec_b32 s2, s2
	s_cbranch_execz .LBB82_324
; %bb.323:
	s_delay_alu instid0(VALU_DEP_1) | instskip(SKIP_1) | instid1(VALU_DEP_2)
	v_div_scale_f64 v[185:186], null, v[168:169], v[168:169], v[170:171]
	v_div_scale_f64 v[191:192], vcc_lo, v[170:171], v[168:169], v[170:171]
	v_rcp_f64_e32 v[187:188], v[185:186]
	s_waitcnt_depctr 0xfff
	v_fma_f64 v[189:190], -v[185:186], v[187:188], 1.0
	s_delay_alu instid0(VALU_DEP_1) | instskip(NEXT) | instid1(VALU_DEP_1)
	v_fma_f64 v[187:188], v[187:188], v[189:190], v[187:188]
	v_fma_f64 v[189:190], -v[185:186], v[187:188], 1.0
	s_delay_alu instid0(VALU_DEP_1) | instskip(NEXT) | instid1(VALU_DEP_1)
	v_fma_f64 v[187:188], v[187:188], v[189:190], v[187:188]
	v_mul_f64 v[189:190], v[191:192], v[187:188]
	s_delay_alu instid0(VALU_DEP_1) | instskip(NEXT) | instid1(VALU_DEP_1)
	v_fma_f64 v[185:186], -v[185:186], v[189:190], v[191:192]
	v_div_fmas_f64 v[185:186], v[185:186], v[187:188], v[189:190]
	s_delay_alu instid0(VALU_DEP_1) | instskip(NEXT) | instid1(VALU_DEP_1)
	v_div_fixup_f64 v[185:186], v[185:186], v[168:169], v[170:171]
	v_fma_f64 v[168:169], v[170:171], v[185:186], v[168:169]
	s_delay_alu instid0(VALU_DEP_1) | instskip(NEXT) | instid1(VALU_DEP_1)
	v_div_scale_f64 v[170:171], null, v[168:169], v[168:169], 1.0
	v_rcp_f64_e32 v[187:188], v[170:171]
	s_waitcnt_depctr 0xfff
	v_fma_f64 v[189:190], -v[170:171], v[187:188], 1.0
	s_delay_alu instid0(VALU_DEP_1) | instskip(NEXT) | instid1(VALU_DEP_1)
	v_fma_f64 v[187:188], v[187:188], v[189:190], v[187:188]
	v_fma_f64 v[189:190], -v[170:171], v[187:188], 1.0
	s_delay_alu instid0(VALU_DEP_1) | instskip(SKIP_1) | instid1(VALU_DEP_1)
	v_fma_f64 v[187:188], v[187:188], v[189:190], v[187:188]
	v_div_scale_f64 v[189:190], vcc_lo, 1.0, v[168:169], 1.0
	v_mul_f64 v[191:192], v[189:190], v[187:188]
	s_delay_alu instid0(VALU_DEP_1) | instskip(NEXT) | instid1(VALU_DEP_1)
	v_fma_f64 v[170:171], -v[170:171], v[191:192], v[189:190]
	v_div_fmas_f64 v[170:171], v[170:171], v[187:188], v[191:192]
	s_delay_alu instid0(VALU_DEP_1) | instskip(NEXT) | instid1(VALU_DEP_1)
	v_div_fixup_f64 v[168:169], v[170:171], v[168:169], 1.0
	v_mul_f64 v[170:171], v[185:186], -v[168:169]
.LBB82_324:
	s_or_b32 exec_lo, exec_lo, s2
.LBB82_325:
	s_delay_alu instid0(SALU_CYCLE_1) | instskip(NEXT) | instid1(SALU_CYCLE_1)
	s_or_b32 exec_lo, exec_lo, s3
	s_mov_b32 s2, exec_lo
	v_cmpx_ne_u32_e64 v184, v176
	s_xor_b32 s2, exec_lo, s2
	s_cbranch_execz .LBB82_331
; %bb.326:
	s_mov_b32 s3, exec_lo
	v_cmpx_eq_u32_e32 15, v184
	s_cbranch_execz .LBB82_330
; %bb.327:
	v_cmp_ne_u32_e32 vcc_lo, 15, v176
	s_xor_b32 s6, s4, -1
	s_delay_alu instid0(SALU_CYCLE_1) | instskip(NEXT) | instid1(SALU_CYCLE_1)
	s_and_b32 s7, s6, vcc_lo
	s_and_saveexec_b32 s6, s7
	s_cbranch_execz .LBB82_329
; %bb.328:
	v_ashrrev_i32_e32 v177, 31, v176
	s_delay_alu instid0(VALU_DEP_1) | instskip(NEXT) | instid1(VALU_DEP_1)
	v_lshlrev_b64 v[184:185], 2, v[176:177]
	v_add_co_u32 v184, vcc_lo, v174, v184
	s_delay_alu instid0(VALU_DEP_2)
	v_add_co_ci_u32_e32 v185, vcc_lo, v175, v185, vcc_lo
	s_clause 0x1
	flat_load_b32 v177, v[184:185]
	flat_load_b32 v181, v[174:175] offset:60
	s_waitcnt vmcnt(1) lgkmcnt(1)
	flat_store_b32 v[174:175], v177 offset:60
	s_waitcnt vmcnt(0) lgkmcnt(1)
	flat_store_b32 v[184:185], v181
.LBB82_329:
	s_or_b32 exec_lo, exec_lo, s6
	v_mov_b32_e32 v184, v176
	v_mov_b32_e32 v181, v176
.LBB82_330:
	s_or_b32 exec_lo, exec_lo, s3
.LBB82_331:
	s_and_not1_saveexec_b32 s2, s2
	s_cbranch_execz .LBB82_333
; %bb.332:
	v_mov_b32_e32 v184, 15
	ds_store_2addr_b64 v178, v[100:101], v[102:103] offset0:32 offset1:33
	ds_store_2addr_b64 v178, v[96:97], v[98:99] offset0:34 offset1:35
	;; [unrolled: 1-line block ×26, first 2 shown]
.LBB82_333:
	s_or_b32 exec_lo, exec_lo, s2
	s_delay_alu instid0(SALU_CYCLE_1)
	s_mov_b32 s2, exec_lo
	s_waitcnt lgkmcnt(0)
	s_waitcnt_vscnt null, 0x0
	s_barrier
	buffer_gl0_inv
	v_cmpx_lt_i32_e32 15, v184
	s_cbranch_execz .LBB82_335
; %bb.334:
	v_mul_f64 v[176:177], v[170:171], v[106:107]
	v_mul_f64 v[106:107], v[168:169], v[106:107]
	s_delay_alu instid0(VALU_DEP_2) | instskip(NEXT) | instid1(VALU_DEP_2)
	v_fma_f64 v[176:177], v[168:169], v[104:105], -v[176:177]
	v_fma_f64 v[106:107], v[170:171], v[104:105], v[106:107]
	ds_load_2addr_b64 v[168:171], v178 offset0:32 offset1:33
	s_waitcnt lgkmcnt(0)
	v_mul_f64 v[104:105], v[170:171], v[106:107]
	s_delay_alu instid0(VALU_DEP_1) | instskip(SKIP_1) | instid1(VALU_DEP_2)
	v_fma_f64 v[104:105], v[168:169], v[176:177], -v[104:105]
	v_mul_f64 v[168:169], v[168:169], v[106:107]
	v_add_f64 v[100:101], v[100:101], -v[104:105]
	s_delay_alu instid0(VALU_DEP_2) | instskip(NEXT) | instid1(VALU_DEP_1)
	v_fma_f64 v[168:169], v[170:171], v[176:177], v[168:169]
	v_add_f64 v[102:103], v[102:103], -v[168:169]
	ds_load_2addr_b64 v[168:171], v178 offset0:34 offset1:35
	s_waitcnt lgkmcnt(0)
	v_mul_f64 v[104:105], v[170:171], v[106:107]
	s_delay_alu instid0(VALU_DEP_1) | instskip(SKIP_1) | instid1(VALU_DEP_2)
	v_fma_f64 v[104:105], v[168:169], v[176:177], -v[104:105]
	v_mul_f64 v[168:169], v[168:169], v[106:107]
	v_add_f64 v[96:97], v[96:97], -v[104:105]
	s_delay_alu instid0(VALU_DEP_2) | instskip(NEXT) | instid1(VALU_DEP_1)
	v_fma_f64 v[168:169], v[170:171], v[176:177], v[168:169]
	v_add_f64 v[98:99], v[98:99], -v[168:169]
	;; [unrolled: 10-line block ×25, first 2 shown]
	ds_load_2addr_b64 v[168:171], v178 offset0:82 offset1:83
	s_waitcnt lgkmcnt(0)
	v_mul_f64 v[104:105], v[170:171], v[106:107]
	s_delay_alu instid0(VALU_DEP_1) | instskip(SKIP_1) | instid1(VALU_DEP_2)
	v_fma_f64 v[104:105], v[168:169], v[176:177], -v[104:105]
	v_mul_f64 v[168:169], v[168:169], v[106:107]
	v_add_f64 v[0:1], v[0:1], -v[104:105]
	s_delay_alu instid0(VALU_DEP_2) | instskip(SKIP_1) | instid1(VALU_DEP_2)
	v_fma_f64 v[168:169], v[170:171], v[176:177], v[168:169]
	v_dual_mov_b32 v104, v176 :: v_dual_mov_b32 v105, v177
	v_add_f64 v[2:3], v[2:3], -v[168:169]
.LBB82_335:
	s_or_b32 exec_lo, exec_lo, s2
	v_lshl_add_u32 v168, v184, 4, v178
	s_barrier
	buffer_gl0_inv
	v_mov_b32_e32 v176, 16
	ds_store_2addr_b64 v168, v[100:101], v[102:103] offset1:1
	s_waitcnt lgkmcnt(0)
	s_barrier
	buffer_gl0_inv
	ds_load_2addr_b64 v[168:171], v178 offset0:32 offset1:33
	s_cmp_lt_i32 s5, 18
	s_cbranch_scc1 .LBB82_338
; %bb.336:
	v_add3_u32 v177, v183, 0, 0x110
	v_mov_b32_e32 v176, 16
	s_mov_b32 s6, 17
	s_set_inst_prefetch_distance 0x1
	.p2align	6
.LBB82_337:                             ; =>This Inner Loop Header: Depth=1
	ds_load_2addr_b64 v[185:188], v177 offset1:1
	s_waitcnt lgkmcnt(1)
	v_cmp_gt_f64_e32 vcc_lo, 0, v[168:169]
	v_xor_b32_e32 v189, 0x80000000, v169
	v_cmp_gt_f64_e64 s2, 0, v[170:171]
	v_xor_b32_e32 v191, 0x80000000, v171
	v_add_nc_u32_e32 v177, 16, v177
	s_waitcnt lgkmcnt(0)
	v_cmp_gt_f64_e64 s3, 0, v[185:186]
	v_mov_b32_e32 v193, v185
	v_dual_mov_b32 v195, v187 :: v_dual_cndmask_b32 v190, v169, v189
	v_xor_b32_e32 v189, 0x80000000, v186
	v_cndmask_b32_e64 v192, v171, v191, s2
	v_xor_b32_e32 v191, 0x80000000, v188
	s_delay_alu instid0(VALU_DEP_3) | instskip(SKIP_2) | instid1(VALU_DEP_2)
	v_cndmask_b32_e64 v194, v186, v189, s3
	v_cmp_gt_f64_e64 s3, 0, v[187:188]
	v_cndmask_b32_e32 v189, v168, v168, vcc_lo
	v_cndmask_b32_e64 v196, v188, v191, s3
	v_cndmask_b32_e64 v191, v170, v170, s2
	s_delay_alu instid0(VALU_DEP_2) | instskip(NEXT) | instid1(VALU_DEP_2)
	v_add_f64 v[193:194], v[193:194], v[195:196]
	v_add_f64 v[189:190], v[189:190], v[191:192]
	s_delay_alu instid0(VALU_DEP_1) | instskip(SKIP_4) | instid1(SALU_CYCLE_1)
	v_cmp_lt_f64_e32 vcc_lo, v[189:190], v[193:194]
	v_dual_cndmask_b32 v170, v170, v187 :: v_dual_cndmask_b32 v169, v169, v186
	v_dual_cndmask_b32 v168, v168, v185 :: v_dual_cndmask_b32 v171, v171, v188
	v_cndmask_b32_e64 v176, v176, s6, vcc_lo
	s_add_i32 s6, s6, 1
	s_cmp_lg_u32 s5, s6
	s_cbranch_scc1 .LBB82_337
.LBB82_338:
	s_set_inst_prefetch_distance 0x2
	s_waitcnt lgkmcnt(0)
	v_cmp_eq_f64_e32 vcc_lo, 0, v[168:169]
	v_cmp_eq_f64_e64 s2, 0, v[170:171]
	s_delay_alu instid0(VALU_DEP_1) | instskip(NEXT) | instid1(SALU_CYCLE_1)
	s_and_b32 s2, vcc_lo, s2
	s_and_saveexec_b32 s3, s2
	s_delay_alu instid0(SALU_CYCLE_1)
	s_xor_b32 s2, exec_lo, s3
; %bb.339:
	v_cmp_ne_u32_e32 vcc_lo, 0, v182
	v_cndmask_b32_e32 v182, 17, v182, vcc_lo
; %bb.340:
	s_and_not1_saveexec_b32 s3, s2
	s_cbranch_execz .LBB82_346
; %bb.341:
	v_cmp_gt_f64_e32 vcc_lo, 0, v[168:169]
	v_cmp_gt_f64_e64 s2, 0, v[170:171]
	v_xor_b32_e32 v177, 0x80000000, v169
	v_xor_b32_e32 v185, 0x80000000, v171
	s_delay_alu instid0(VALU_DEP_2) | instskip(NEXT) | instid1(VALU_DEP_2)
	v_cndmask_b32_e32 v186, v169, v177, vcc_lo
	v_cndmask_b32_e64 v188, v171, v185, s2
	v_cndmask_b32_e32 v185, v168, v168, vcc_lo
	v_cndmask_b32_e64 v187, v170, v170, s2
	s_mov_b32 s2, exec_lo
	s_delay_alu instid0(VALU_DEP_1)
	v_cmpx_ngt_f64_e32 v[185:186], v[187:188]
	s_xor_b32 s2, exec_lo, s2
	s_cbranch_execz .LBB82_343
; %bb.342:
	v_div_scale_f64 v[185:186], null, v[170:171], v[170:171], v[168:169]
	v_div_scale_f64 v[191:192], vcc_lo, v[168:169], v[170:171], v[168:169]
	s_delay_alu instid0(VALU_DEP_2) | instskip(SKIP_2) | instid1(VALU_DEP_1)
	v_rcp_f64_e32 v[187:188], v[185:186]
	s_waitcnt_depctr 0xfff
	v_fma_f64 v[189:190], -v[185:186], v[187:188], 1.0
	v_fma_f64 v[187:188], v[187:188], v[189:190], v[187:188]
	s_delay_alu instid0(VALU_DEP_1) | instskip(NEXT) | instid1(VALU_DEP_1)
	v_fma_f64 v[189:190], -v[185:186], v[187:188], 1.0
	v_fma_f64 v[187:188], v[187:188], v[189:190], v[187:188]
	s_delay_alu instid0(VALU_DEP_1) | instskip(NEXT) | instid1(VALU_DEP_1)
	v_mul_f64 v[189:190], v[191:192], v[187:188]
	v_fma_f64 v[185:186], -v[185:186], v[189:190], v[191:192]
	s_delay_alu instid0(VALU_DEP_1) | instskip(NEXT) | instid1(VALU_DEP_1)
	v_div_fmas_f64 v[185:186], v[185:186], v[187:188], v[189:190]
	v_div_fixup_f64 v[185:186], v[185:186], v[170:171], v[168:169]
	s_delay_alu instid0(VALU_DEP_1) | instskip(NEXT) | instid1(VALU_DEP_1)
	v_fma_f64 v[168:169], v[168:169], v[185:186], v[170:171]
	v_div_scale_f64 v[170:171], null, v[168:169], v[168:169], 1.0
	s_delay_alu instid0(VALU_DEP_1) | instskip(SKIP_2) | instid1(VALU_DEP_1)
	v_rcp_f64_e32 v[187:188], v[170:171]
	s_waitcnt_depctr 0xfff
	v_fma_f64 v[189:190], -v[170:171], v[187:188], 1.0
	v_fma_f64 v[187:188], v[187:188], v[189:190], v[187:188]
	s_delay_alu instid0(VALU_DEP_1) | instskip(NEXT) | instid1(VALU_DEP_1)
	v_fma_f64 v[189:190], -v[170:171], v[187:188], 1.0
	v_fma_f64 v[187:188], v[187:188], v[189:190], v[187:188]
	v_div_scale_f64 v[189:190], vcc_lo, 1.0, v[168:169], 1.0
	s_delay_alu instid0(VALU_DEP_1) | instskip(NEXT) | instid1(VALU_DEP_1)
	v_mul_f64 v[191:192], v[189:190], v[187:188]
	v_fma_f64 v[170:171], -v[170:171], v[191:192], v[189:190]
	s_delay_alu instid0(VALU_DEP_1) | instskip(NEXT) | instid1(VALU_DEP_1)
	v_div_fmas_f64 v[170:171], v[170:171], v[187:188], v[191:192]
	v_div_fixup_f64 v[170:171], v[170:171], v[168:169], 1.0
	s_delay_alu instid0(VALU_DEP_1)
	v_mul_f64 v[168:169], v[185:186], v[170:171]
	v_xor_b32_e32 v171, 0x80000000, v171
.LBB82_343:
	s_and_not1_saveexec_b32 s2, s2
	s_cbranch_execz .LBB82_345
; %bb.344:
	s_delay_alu instid0(VALU_DEP_1) | instskip(SKIP_1) | instid1(VALU_DEP_2)
	v_div_scale_f64 v[185:186], null, v[168:169], v[168:169], v[170:171]
	v_div_scale_f64 v[191:192], vcc_lo, v[170:171], v[168:169], v[170:171]
	v_rcp_f64_e32 v[187:188], v[185:186]
	s_waitcnt_depctr 0xfff
	v_fma_f64 v[189:190], -v[185:186], v[187:188], 1.0
	s_delay_alu instid0(VALU_DEP_1) | instskip(NEXT) | instid1(VALU_DEP_1)
	v_fma_f64 v[187:188], v[187:188], v[189:190], v[187:188]
	v_fma_f64 v[189:190], -v[185:186], v[187:188], 1.0
	s_delay_alu instid0(VALU_DEP_1) | instskip(NEXT) | instid1(VALU_DEP_1)
	v_fma_f64 v[187:188], v[187:188], v[189:190], v[187:188]
	v_mul_f64 v[189:190], v[191:192], v[187:188]
	s_delay_alu instid0(VALU_DEP_1) | instskip(NEXT) | instid1(VALU_DEP_1)
	v_fma_f64 v[185:186], -v[185:186], v[189:190], v[191:192]
	v_div_fmas_f64 v[185:186], v[185:186], v[187:188], v[189:190]
	s_delay_alu instid0(VALU_DEP_1) | instskip(NEXT) | instid1(VALU_DEP_1)
	v_div_fixup_f64 v[185:186], v[185:186], v[168:169], v[170:171]
	v_fma_f64 v[168:169], v[170:171], v[185:186], v[168:169]
	s_delay_alu instid0(VALU_DEP_1) | instskip(NEXT) | instid1(VALU_DEP_1)
	v_div_scale_f64 v[170:171], null, v[168:169], v[168:169], 1.0
	v_rcp_f64_e32 v[187:188], v[170:171]
	s_waitcnt_depctr 0xfff
	v_fma_f64 v[189:190], -v[170:171], v[187:188], 1.0
	s_delay_alu instid0(VALU_DEP_1) | instskip(NEXT) | instid1(VALU_DEP_1)
	v_fma_f64 v[187:188], v[187:188], v[189:190], v[187:188]
	v_fma_f64 v[189:190], -v[170:171], v[187:188], 1.0
	s_delay_alu instid0(VALU_DEP_1) | instskip(SKIP_1) | instid1(VALU_DEP_1)
	v_fma_f64 v[187:188], v[187:188], v[189:190], v[187:188]
	v_div_scale_f64 v[189:190], vcc_lo, 1.0, v[168:169], 1.0
	v_mul_f64 v[191:192], v[189:190], v[187:188]
	s_delay_alu instid0(VALU_DEP_1) | instskip(NEXT) | instid1(VALU_DEP_1)
	v_fma_f64 v[170:171], -v[170:171], v[191:192], v[189:190]
	v_div_fmas_f64 v[170:171], v[170:171], v[187:188], v[191:192]
	s_delay_alu instid0(VALU_DEP_1) | instskip(NEXT) | instid1(VALU_DEP_1)
	v_div_fixup_f64 v[168:169], v[170:171], v[168:169], 1.0
	v_mul_f64 v[170:171], v[185:186], -v[168:169]
.LBB82_345:
	s_or_b32 exec_lo, exec_lo, s2
.LBB82_346:
	s_delay_alu instid0(SALU_CYCLE_1) | instskip(NEXT) | instid1(SALU_CYCLE_1)
	s_or_b32 exec_lo, exec_lo, s3
	s_mov_b32 s2, exec_lo
	v_cmpx_ne_u32_e64 v184, v176
	s_xor_b32 s2, exec_lo, s2
	s_cbranch_execz .LBB82_352
; %bb.347:
	s_mov_b32 s3, exec_lo
	v_cmpx_eq_u32_e32 16, v184
	s_cbranch_execz .LBB82_351
; %bb.348:
	v_cmp_ne_u32_e32 vcc_lo, 16, v176
	s_xor_b32 s6, s4, -1
	s_delay_alu instid0(SALU_CYCLE_1) | instskip(NEXT) | instid1(SALU_CYCLE_1)
	s_and_b32 s7, s6, vcc_lo
	s_and_saveexec_b32 s6, s7
	s_cbranch_execz .LBB82_350
; %bb.349:
	v_ashrrev_i32_e32 v177, 31, v176
	s_delay_alu instid0(VALU_DEP_1) | instskip(NEXT) | instid1(VALU_DEP_1)
	v_lshlrev_b64 v[184:185], 2, v[176:177]
	v_add_co_u32 v184, vcc_lo, v174, v184
	s_delay_alu instid0(VALU_DEP_2)
	v_add_co_ci_u32_e32 v185, vcc_lo, v175, v185, vcc_lo
	s_clause 0x1
	flat_load_b32 v177, v[184:185]
	flat_load_b32 v181, v[174:175] offset:64
	s_waitcnt vmcnt(1) lgkmcnt(1)
	flat_store_b32 v[174:175], v177 offset:64
	s_waitcnt vmcnt(0) lgkmcnt(1)
	flat_store_b32 v[184:185], v181
.LBB82_350:
	s_or_b32 exec_lo, exec_lo, s6
	v_mov_b32_e32 v184, v176
	v_mov_b32_e32 v181, v176
.LBB82_351:
	s_or_b32 exec_lo, exec_lo, s3
.LBB82_352:
	s_and_not1_saveexec_b32 s2, s2
	s_cbranch_execz .LBB82_354
; %bb.353:
	v_mov_b32_e32 v184, 16
	ds_store_2addr_b64 v178, v[96:97], v[98:99] offset0:34 offset1:35
	ds_store_2addr_b64 v178, v[92:93], v[94:95] offset0:36 offset1:37
	;; [unrolled: 1-line block ×25, first 2 shown]
.LBB82_354:
	s_or_b32 exec_lo, exec_lo, s2
	s_delay_alu instid0(SALU_CYCLE_1)
	s_mov_b32 s2, exec_lo
	s_waitcnt lgkmcnt(0)
	s_waitcnt_vscnt null, 0x0
	s_barrier
	buffer_gl0_inv
	v_cmpx_lt_i32_e32 16, v184
	s_cbranch_execz .LBB82_356
; %bb.355:
	v_mul_f64 v[176:177], v[170:171], v[102:103]
	v_mul_f64 v[102:103], v[168:169], v[102:103]
	s_delay_alu instid0(VALU_DEP_2) | instskip(NEXT) | instid1(VALU_DEP_2)
	v_fma_f64 v[176:177], v[168:169], v[100:101], -v[176:177]
	v_fma_f64 v[102:103], v[170:171], v[100:101], v[102:103]
	ds_load_2addr_b64 v[168:171], v178 offset0:34 offset1:35
	s_waitcnt lgkmcnt(0)
	v_mul_f64 v[100:101], v[170:171], v[102:103]
	s_delay_alu instid0(VALU_DEP_1) | instskip(SKIP_1) | instid1(VALU_DEP_2)
	v_fma_f64 v[100:101], v[168:169], v[176:177], -v[100:101]
	v_mul_f64 v[168:169], v[168:169], v[102:103]
	v_add_f64 v[96:97], v[96:97], -v[100:101]
	s_delay_alu instid0(VALU_DEP_2) | instskip(NEXT) | instid1(VALU_DEP_1)
	v_fma_f64 v[168:169], v[170:171], v[176:177], v[168:169]
	v_add_f64 v[98:99], v[98:99], -v[168:169]
	ds_load_2addr_b64 v[168:171], v178 offset0:36 offset1:37
	s_waitcnt lgkmcnt(0)
	v_mul_f64 v[100:101], v[170:171], v[102:103]
	s_delay_alu instid0(VALU_DEP_1) | instskip(SKIP_1) | instid1(VALU_DEP_2)
	v_fma_f64 v[100:101], v[168:169], v[176:177], -v[100:101]
	v_mul_f64 v[168:169], v[168:169], v[102:103]
	v_add_f64 v[92:93], v[92:93], -v[100:101]
	s_delay_alu instid0(VALU_DEP_2) | instskip(NEXT) | instid1(VALU_DEP_1)
	v_fma_f64 v[168:169], v[170:171], v[176:177], v[168:169]
	v_add_f64 v[94:95], v[94:95], -v[168:169]
	;; [unrolled: 10-line block ×24, first 2 shown]
	ds_load_2addr_b64 v[168:171], v178 offset0:82 offset1:83
	s_waitcnt lgkmcnt(0)
	v_mul_f64 v[100:101], v[170:171], v[102:103]
	s_delay_alu instid0(VALU_DEP_1) | instskip(SKIP_1) | instid1(VALU_DEP_2)
	v_fma_f64 v[100:101], v[168:169], v[176:177], -v[100:101]
	v_mul_f64 v[168:169], v[168:169], v[102:103]
	v_add_f64 v[0:1], v[0:1], -v[100:101]
	s_delay_alu instid0(VALU_DEP_2) | instskip(SKIP_1) | instid1(VALU_DEP_2)
	v_fma_f64 v[168:169], v[170:171], v[176:177], v[168:169]
	v_dual_mov_b32 v100, v176 :: v_dual_mov_b32 v101, v177
	v_add_f64 v[2:3], v[2:3], -v[168:169]
.LBB82_356:
	s_or_b32 exec_lo, exec_lo, s2
	v_lshl_add_u32 v168, v184, 4, v178
	s_barrier
	buffer_gl0_inv
	v_mov_b32_e32 v176, 17
	ds_store_2addr_b64 v168, v[96:97], v[98:99] offset1:1
	s_waitcnt lgkmcnt(0)
	s_barrier
	buffer_gl0_inv
	ds_load_2addr_b64 v[168:171], v178 offset0:34 offset1:35
	s_cmp_lt_i32 s5, 19
	s_cbranch_scc1 .LBB82_359
; %bb.357:
	v_add3_u32 v177, v183, 0, 0x120
	v_mov_b32_e32 v176, 17
	s_mov_b32 s6, 18
	s_set_inst_prefetch_distance 0x1
	.p2align	6
.LBB82_358:                             ; =>This Inner Loop Header: Depth=1
	ds_load_2addr_b64 v[185:188], v177 offset1:1
	s_waitcnt lgkmcnt(1)
	v_cmp_gt_f64_e32 vcc_lo, 0, v[168:169]
	v_xor_b32_e32 v189, 0x80000000, v169
	v_cmp_gt_f64_e64 s2, 0, v[170:171]
	v_xor_b32_e32 v191, 0x80000000, v171
	v_add_nc_u32_e32 v177, 16, v177
	s_waitcnt lgkmcnt(0)
	v_cmp_gt_f64_e64 s3, 0, v[185:186]
	v_mov_b32_e32 v193, v185
	v_dual_mov_b32 v195, v187 :: v_dual_cndmask_b32 v190, v169, v189
	v_xor_b32_e32 v189, 0x80000000, v186
	v_cndmask_b32_e64 v192, v171, v191, s2
	v_xor_b32_e32 v191, 0x80000000, v188
	s_delay_alu instid0(VALU_DEP_3) | instskip(SKIP_2) | instid1(VALU_DEP_2)
	v_cndmask_b32_e64 v194, v186, v189, s3
	v_cmp_gt_f64_e64 s3, 0, v[187:188]
	v_cndmask_b32_e32 v189, v168, v168, vcc_lo
	v_cndmask_b32_e64 v196, v188, v191, s3
	v_cndmask_b32_e64 v191, v170, v170, s2
	s_delay_alu instid0(VALU_DEP_2) | instskip(NEXT) | instid1(VALU_DEP_2)
	v_add_f64 v[193:194], v[193:194], v[195:196]
	v_add_f64 v[189:190], v[189:190], v[191:192]
	s_delay_alu instid0(VALU_DEP_1) | instskip(SKIP_4) | instid1(SALU_CYCLE_1)
	v_cmp_lt_f64_e32 vcc_lo, v[189:190], v[193:194]
	v_dual_cndmask_b32 v170, v170, v187 :: v_dual_cndmask_b32 v169, v169, v186
	v_dual_cndmask_b32 v168, v168, v185 :: v_dual_cndmask_b32 v171, v171, v188
	v_cndmask_b32_e64 v176, v176, s6, vcc_lo
	s_add_i32 s6, s6, 1
	s_cmp_lg_u32 s5, s6
	s_cbranch_scc1 .LBB82_358
.LBB82_359:
	s_set_inst_prefetch_distance 0x2
	s_waitcnt lgkmcnt(0)
	v_cmp_eq_f64_e32 vcc_lo, 0, v[168:169]
	v_cmp_eq_f64_e64 s2, 0, v[170:171]
	s_delay_alu instid0(VALU_DEP_1) | instskip(NEXT) | instid1(SALU_CYCLE_1)
	s_and_b32 s2, vcc_lo, s2
	s_and_saveexec_b32 s3, s2
	s_delay_alu instid0(SALU_CYCLE_1)
	s_xor_b32 s2, exec_lo, s3
; %bb.360:
	v_cmp_ne_u32_e32 vcc_lo, 0, v182
	v_cndmask_b32_e32 v182, 18, v182, vcc_lo
; %bb.361:
	s_and_not1_saveexec_b32 s3, s2
	s_cbranch_execz .LBB82_367
; %bb.362:
	v_cmp_gt_f64_e32 vcc_lo, 0, v[168:169]
	v_cmp_gt_f64_e64 s2, 0, v[170:171]
	v_xor_b32_e32 v177, 0x80000000, v169
	v_xor_b32_e32 v185, 0x80000000, v171
	s_delay_alu instid0(VALU_DEP_2) | instskip(NEXT) | instid1(VALU_DEP_2)
	v_cndmask_b32_e32 v186, v169, v177, vcc_lo
	v_cndmask_b32_e64 v188, v171, v185, s2
	v_cndmask_b32_e32 v185, v168, v168, vcc_lo
	v_cndmask_b32_e64 v187, v170, v170, s2
	s_mov_b32 s2, exec_lo
	s_delay_alu instid0(VALU_DEP_1)
	v_cmpx_ngt_f64_e32 v[185:186], v[187:188]
	s_xor_b32 s2, exec_lo, s2
	s_cbranch_execz .LBB82_364
; %bb.363:
	v_div_scale_f64 v[185:186], null, v[170:171], v[170:171], v[168:169]
	v_div_scale_f64 v[191:192], vcc_lo, v[168:169], v[170:171], v[168:169]
	s_delay_alu instid0(VALU_DEP_2) | instskip(SKIP_2) | instid1(VALU_DEP_1)
	v_rcp_f64_e32 v[187:188], v[185:186]
	s_waitcnt_depctr 0xfff
	v_fma_f64 v[189:190], -v[185:186], v[187:188], 1.0
	v_fma_f64 v[187:188], v[187:188], v[189:190], v[187:188]
	s_delay_alu instid0(VALU_DEP_1) | instskip(NEXT) | instid1(VALU_DEP_1)
	v_fma_f64 v[189:190], -v[185:186], v[187:188], 1.0
	v_fma_f64 v[187:188], v[187:188], v[189:190], v[187:188]
	s_delay_alu instid0(VALU_DEP_1) | instskip(NEXT) | instid1(VALU_DEP_1)
	v_mul_f64 v[189:190], v[191:192], v[187:188]
	v_fma_f64 v[185:186], -v[185:186], v[189:190], v[191:192]
	s_delay_alu instid0(VALU_DEP_1) | instskip(NEXT) | instid1(VALU_DEP_1)
	v_div_fmas_f64 v[185:186], v[185:186], v[187:188], v[189:190]
	v_div_fixup_f64 v[185:186], v[185:186], v[170:171], v[168:169]
	s_delay_alu instid0(VALU_DEP_1) | instskip(NEXT) | instid1(VALU_DEP_1)
	v_fma_f64 v[168:169], v[168:169], v[185:186], v[170:171]
	v_div_scale_f64 v[170:171], null, v[168:169], v[168:169], 1.0
	s_delay_alu instid0(VALU_DEP_1) | instskip(SKIP_2) | instid1(VALU_DEP_1)
	v_rcp_f64_e32 v[187:188], v[170:171]
	s_waitcnt_depctr 0xfff
	v_fma_f64 v[189:190], -v[170:171], v[187:188], 1.0
	v_fma_f64 v[187:188], v[187:188], v[189:190], v[187:188]
	s_delay_alu instid0(VALU_DEP_1) | instskip(NEXT) | instid1(VALU_DEP_1)
	v_fma_f64 v[189:190], -v[170:171], v[187:188], 1.0
	v_fma_f64 v[187:188], v[187:188], v[189:190], v[187:188]
	v_div_scale_f64 v[189:190], vcc_lo, 1.0, v[168:169], 1.0
	s_delay_alu instid0(VALU_DEP_1) | instskip(NEXT) | instid1(VALU_DEP_1)
	v_mul_f64 v[191:192], v[189:190], v[187:188]
	v_fma_f64 v[170:171], -v[170:171], v[191:192], v[189:190]
	s_delay_alu instid0(VALU_DEP_1) | instskip(NEXT) | instid1(VALU_DEP_1)
	v_div_fmas_f64 v[170:171], v[170:171], v[187:188], v[191:192]
	v_div_fixup_f64 v[170:171], v[170:171], v[168:169], 1.0
	s_delay_alu instid0(VALU_DEP_1)
	v_mul_f64 v[168:169], v[185:186], v[170:171]
	v_xor_b32_e32 v171, 0x80000000, v171
.LBB82_364:
	s_and_not1_saveexec_b32 s2, s2
	s_cbranch_execz .LBB82_366
; %bb.365:
	s_delay_alu instid0(VALU_DEP_1) | instskip(SKIP_1) | instid1(VALU_DEP_2)
	v_div_scale_f64 v[185:186], null, v[168:169], v[168:169], v[170:171]
	v_div_scale_f64 v[191:192], vcc_lo, v[170:171], v[168:169], v[170:171]
	v_rcp_f64_e32 v[187:188], v[185:186]
	s_waitcnt_depctr 0xfff
	v_fma_f64 v[189:190], -v[185:186], v[187:188], 1.0
	s_delay_alu instid0(VALU_DEP_1) | instskip(NEXT) | instid1(VALU_DEP_1)
	v_fma_f64 v[187:188], v[187:188], v[189:190], v[187:188]
	v_fma_f64 v[189:190], -v[185:186], v[187:188], 1.0
	s_delay_alu instid0(VALU_DEP_1) | instskip(NEXT) | instid1(VALU_DEP_1)
	v_fma_f64 v[187:188], v[187:188], v[189:190], v[187:188]
	v_mul_f64 v[189:190], v[191:192], v[187:188]
	s_delay_alu instid0(VALU_DEP_1) | instskip(NEXT) | instid1(VALU_DEP_1)
	v_fma_f64 v[185:186], -v[185:186], v[189:190], v[191:192]
	v_div_fmas_f64 v[185:186], v[185:186], v[187:188], v[189:190]
	s_delay_alu instid0(VALU_DEP_1) | instskip(NEXT) | instid1(VALU_DEP_1)
	v_div_fixup_f64 v[185:186], v[185:186], v[168:169], v[170:171]
	v_fma_f64 v[168:169], v[170:171], v[185:186], v[168:169]
	s_delay_alu instid0(VALU_DEP_1) | instskip(NEXT) | instid1(VALU_DEP_1)
	v_div_scale_f64 v[170:171], null, v[168:169], v[168:169], 1.0
	v_rcp_f64_e32 v[187:188], v[170:171]
	s_waitcnt_depctr 0xfff
	v_fma_f64 v[189:190], -v[170:171], v[187:188], 1.0
	s_delay_alu instid0(VALU_DEP_1) | instskip(NEXT) | instid1(VALU_DEP_1)
	v_fma_f64 v[187:188], v[187:188], v[189:190], v[187:188]
	v_fma_f64 v[189:190], -v[170:171], v[187:188], 1.0
	s_delay_alu instid0(VALU_DEP_1) | instskip(SKIP_1) | instid1(VALU_DEP_1)
	v_fma_f64 v[187:188], v[187:188], v[189:190], v[187:188]
	v_div_scale_f64 v[189:190], vcc_lo, 1.0, v[168:169], 1.0
	v_mul_f64 v[191:192], v[189:190], v[187:188]
	s_delay_alu instid0(VALU_DEP_1) | instskip(NEXT) | instid1(VALU_DEP_1)
	v_fma_f64 v[170:171], -v[170:171], v[191:192], v[189:190]
	v_div_fmas_f64 v[170:171], v[170:171], v[187:188], v[191:192]
	s_delay_alu instid0(VALU_DEP_1) | instskip(NEXT) | instid1(VALU_DEP_1)
	v_div_fixup_f64 v[168:169], v[170:171], v[168:169], 1.0
	v_mul_f64 v[170:171], v[185:186], -v[168:169]
.LBB82_366:
	s_or_b32 exec_lo, exec_lo, s2
.LBB82_367:
	s_delay_alu instid0(SALU_CYCLE_1) | instskip(NEXT) | instid1(SALU_CYCLE_1)
	s_or_b32 exec_lo, exec_lo, s3
	s_mov_b32 s2, exec_lo
	v_cmpx_ne_u32_e64 v184, v176
	s_xor_b32 s2, exec_lo, s2
	s_cbranch_execz .LBB82_373
; %bb.368:
	s_mov_b32 s3, exec_lo
	v_cmpx_eq_u32_e32 17, v184
	s_cbranch_execz .LBB82_372
; %bb.369:
	v_cmp_ne_u32_e32 vcc_lo, 17, v176
	s_xor_b32 s6, s4, -1
	s_delay_alu instid0(SALU_CYCLE_1) | instskip(NEXT) | instid1(SALU_CYCLE_1)
	s_and_b32 s7, s6, vcc_lo
	s_and_saveexec_b32 s6, s7
	s_cbranch_execz .LBB82_371
; %bb.370:
	v_ashrrev_i32_e32 v177, 31, v176
	s_delay_alu instid0(VALU_DEP_1) | instskip(NEXT) | instid1(VALU_DEP_1)
	v_lshlrev_b64 v[184:185], 2, v[176:177]
	v_add_co_u32 v184, vcc_lo, v174, v184
	s_delay_alu instid0(VALU_DEP_2)
	v_add_co_ci_u32_e32 v185, vcc_lo, v175, v185, vcc_lo
	s_clause 0x1
	flat_load_b32 v177, v[184:185]
	flat_load_b32 v181, v[174:175] offset:68
	s_waitcnt vmcnt(1) lgkmcnt(1)
	flat_store_b32 v[174:175], v177 offset:68
	s_waitcnt vmcnt(0) lgkmcnt(1)
	flat_store_b32 v[184:185], v181
.LBB82_371:
	s_or_b32 exec_lo, exec_lo, s6
	v_mov_b32_e32 v184, v176
	v_mov_b32_e32 v181, v176
.LBB82_372:
	s_or_b32 exec_lo, exec_lo, s3
.LBB82_373:
	s_and_not1_saveexec_b32 s2, s2
	s_cbranch_execz .LBB82_375
; %bb.374:
	v_mov_b32_e32 v184, 17
	ds_store_2addr_b64 v178, v[92:93], v[94:95] offset0:36 offset1:37
	ds_store_2addr_b64 v178, v[88:89], v[90:91] offset0:38 offset1:39
	ds_store_2addr_b64 v178, v[84:85], v[86:87] offset0:40 offset1:41
	ds_store_2addr_b64 v178, v[80:81], v[82:83] offset0:42 offset1:43
	ds_store_2addr_b64 v178, v[76:77], v[78:79] offset0:44 offset1:45
	ds_store_2addr_b64 v178, v[72:73], v[74:75] offset0:46 offset1:47
	ds_store_2addr_b64 v178, v[68:69], v[70:71] offset0:48 offset1:49
	ds_store_2addr_b64 v178, v[64:65], v[66:67] offset0:50 offset1:51
	ds_store_2addr_b64 v178, v[60:61], v[62:63] offset0:52 offset1:53
	ds_store_2addr_b64 v178, v[56:57], v[58:59] offset0:54 offset1:55
	ds_store_2addr_b64 v178, v[52:53], v[54:55] offset0:56 offset1:57
	ds_store_2addr_b64 v178, v[48:49], v[50:51] offset0:58 offset1:59
	ds_store_2addr_b64 v178, v[44:45], v[46:47] offset0:60 offset1:61
	ds_store_2addr_b64 v178, v[40:41], v[42:43] offset0:62 offset1:63
	ds_store_2addr_b64 v178, v[36:37], v[38:39] offset0:64 offset1:65
	ds_store_2addr_b64 v178, v[32:33], v[34:35] offset0:66 offset1:67
	ds_store_2addr_b64 v178, v[28:29], v[30:31] offset0:68 offset1:69
	ds_store_2addr_b64 v178, v[24:25], v[26:27] offset0:70 offset1:71
	ds_store_2addr_b64 v178, v[20:21], v[22:23] offset0:72 offset1:73
	ds_store_2addr_b64 v178, v[16:17], v[18:19] offset0:74 offset1:75
	ds_store_2addr_b64 v178, v[12:13], v[14:15] offset0:76 offset1:77
	ds_store_2addr_b64 v178, v[8:9], v[10:11] offset0:78 offset1:79
	ds_store_2addr_b64 v178, v[4:5], v[6:7] offset0:80 offset1:81
	ds_store_2addr_b64 v178, v[0:1], v[2:3] offset0:82 offset1:83
.LBB82_375:
	s_or_b32 exec_lo, exec_lo, s2
	s_delay_alu instid0(SALU_CYCLE_1)
	s_mov_b32 s2, exec_lo
	s_waitcnt lgkmcnt(0)
	s_waitcnt_vscnt null, 0x0
	s_barrier
	buffer_gl0_inv
	v_cmpx_lt_i32_e32 17, v184
	s_cbranch_execz .LBB82_377
; %bb.376:
	v_mul_f64 v[176:177], v[170:171], v[98:99]
	v_mul_f64 v[98:99], v[168:169], v[98:99]
	s_delay_alu instid0(VALU_DEP_2) | instskip(NEXT) | instid1(VALU_DEP_2)
	v_fma_f64 v[176:177], v[168:169], v[96:97], -v[176:177]
	v_fma_f64 v[98:99], v[170:171], v[96:97], v[98:99]
	ds_load_2addr_b64 v[168:171], v178 offset0:36 offset1:37
	s_waitcnt lgkmcnt(0)
	v_mul_f64 v[96:97], v[170:171], v[98:99]
	s_delay_alu instid0(VALU_DEP_1) | instskip(SKIP_1) | instid1(VALU_DEP_2)
	v_fma_f64 v[96:97], v[168:169], v[176:177], -v[96:97]
	v_mul_f64 v[168:169], v[168:169], v[98:99]
	v_add_f64 v[92:93], v[92:93], -v[96:97]
	s_delay_alu instid0(VALU_DEP_2) | instskip(NEXT) | instid1(VALU_DEP_1)
	v_fma_f64 v[168:169], v[170:171], v[176:177], v[168:169]
	v_add_f64 v[94:95], v[94:95], -v[168:169]
	ds_load_2addr_b64 v[168:171], v178 offset0:38 offset1:39
	s_waitcnt lgkmcnt(0)
	v_mul_f64 v[96:97], v[170:171], v[98:99]
	s_delay_alu instid0(VALU_DEP_1) | instskip(SKIP_1) | instid1(VALU_DEP_2)
	v_fma_f64 v[96:97], v[168:169], v[176:177], -v[96:97]
	v_mul_f64 v[168:169], v[168:169], v[98:99]
	v_add_f64 v[88:89], v[88:89], -v[96:97]
	s_delay_alu instid0(VALU_DEP_2) | instskip(NEXT) | instid1(VALU_DEP_1)
	v_fma_f64 v[168:169], v[170:171], v[176:177], v[168:169]
	v_add_f64 v[90:91], v[90:91], -v[168:169]
	;; [unrolled: 10-line block ×23, first 2 shown]
	ds_load_2addr_b64 v[168:171], v178 offset0:82 offset1:83
	s_waitcnt lgkmcnt(0)
	v_mul_f64 v[96:97], v[170:171], v[98:99]
	s_delay_alu instid0(VALU_DEP_1) | instskip(SKIP_1) | instid1(VALU_DEP_2)
	v_fma_f64 v[96:97], v[168:169], v[176:177], -v[96:97]
	v_mul_f64 v[168:169], v[168:169], v[98:99]
	v_add_f64 v[0:1], v[0:1], -v[96:97]
	s_delay_alu instid0(VALU_DEP_2) | instskip(SKIP_1) | instid1(VALU_DEP_2)
	v_fma_f64 v[168:169], v[170:171], v[176:177], v[168:169]
	v_dual_mov_b32 v96, v176 :: v_dual_mov_b32 v97, v177
	v_add_f64 v[2:3], v[2:3], -v[168:169]
.LBB82_377:
	s_or_b32 exec_lo, exec_lo, s2
	v_lshl_add_u32 v168, v184, 4, v178
	s_barrier
	buffer_gl0_inv
	v_mov_b32_e32 v176, 18
	ds_store_2addr_b64 v168, v[92:93], v[94:95] offset1:1
	s_waitcnt lgkmcnt(0)
	s_barrier
	buffer_gl0_inv
	ds_load_2addr_b64 v[168:171], v178 offset0:36 offset1:37
	s_cmp_lt_i32 s5, 20
	s_cbranch_scc1 .LBB82_380
; %bb.378:
	v_add3_u32 v177, v183, 0, 0x130
	v_mov_b32_e32 v176, 18
	s_mov_b32 s6, 19
	s_set_inst_prefetch_distance 0x1
	.p2align	6
.LBB82_379:                             ; =>This Inner Loop Header: Depth=1
	ds_load_2addr_b64 v[185:188], v177 offset1:1
	s_waitcnt lgkmcnt(1)
	v_cmp_gt_f64_e32 vcc_lo, 0, v[168:169]
	v_xor_b32_e32 v189, 0x80000000, v169
	v_cmp_gt_f64_e64 s2, 0, v[170:171]
	v_xor_b32_e32 v191, 0x80000000, v171
	v_add_nc_u32_e32 v177, 16, v177
	s_waitcnt lgkmcnt(0)
	v_cmp_gt_f64_e64 s3, 0, v[185:186]
	v_mov_b32_e32 v193, v185
	v_dual_mov_b32 v195, v187 :: v_dual_cndmask_b32 v190, v169, v189
	v_xor_b32_e32 v189, 0x80000000, v186
	v_cndmask_b32_e64 v192, v171, v191, s2
	v_xor_b32_e32 v191, 0x80000000, v188
	s_delay_alu instid0(VALU_DEP_3) | instskip(SKIP_2) | instid1(VALU_DEP_2)
	v_cndmask_b32_e64 v194, v186, v189, s3
	v_cmp_gt_f64_e64 s3, 0, v[187:188]
	v_cndmask_b32_e32 v189, v168, v168, vcc_lo
	v_cndmask_b32_e64 v196, v188, v191, s3
	v_cndmask_b32_e64 v191, v170, v170, s2
	s_delay_alu instid0(VALU_DEP_2) | instskip(NEXT) | instid1(VALU_DEP_2)
	v_add_f64 v[193:194], v[193:194], v[195:196]
	v_add_f64 v[189:190], v[189:190], v[191:192]
	s_delay_alu instid0(VALU_DEP_1) | instskip(SKIP_4) | instid1(SALU_CYCLE_1)
	v_cmp_lt_f64_e32 vcc_lo, v[189:190], v[193:194]
	v_dual_cndmask_b32 v170, v170, v187 :: v_dual_cndmask_b32 v169, v169, v186
	v_dual_cndmask_b32 v168, v168, v185 :: v_dual_cndmask_b32 v171, v171, v188
	v_cndmask_b32_e64 v176, v176, s6, vcc_lo
	s_add_i32 s6, s6, 1
	s_cmp_lg_u32 s5, s6
	s_cbranch_scc1 .LBB82_379
.LBB82_380:
	s_set_inst_prefetch_distance 0x2
	s_waitcnt lgkmcnt(0)
	v_cmp_eq_f64_e32 vcc_lo, 0, v[168:169]
	v_cmp_eq_f64_e64 s2, 0, v[170:171]
	s_delay_alu instid0(VALU_DEP_1) | instskip(NEXT) | instid1(SALU_CYCLE_1)
	s_and_b32 s2, vcc_lo, s2
	s_and_saveexec_b32 s3, s2
	s_delay_alu instid0(SALU_CYCLE_1)
	s_xor_b32 s2, exec_lo, s3
; %bb.381:
	v_cmp_ne_u32_e32 vcc_lo, 0, v182
	v_cndmask_b32_e32 v182, 19, v182, vcc_lo
; %bb.382:
	s_and_not1_saveexec_b32 s3, s2
	s_cbranch_execz .LBB82_388
; %bb.383:
	v_cmp_gt_f64_e32 vcc_lo, 0, v[168:169]
	v_cmp_gt_f64_e64 s2, 0, v[170:171]
	v_xor_b32_e32 v177, 0x80000000, v169
	v_xor_b32_e32 v185, 0x80000000, v171
	s_delay_alu instid0(VALU_DEP_2) | instskip(NEXT) | instid1(VALU_DEP_2)
	v_cndmask_b32_e32 v186, v169, v177, vcc_lo
	v_cndmask_b32_e64 v188, v171, v185, s2
	v_cndmask_b32_e32 v185, v168, v168, vcc_lo
	v_cndmask_b32_e64 v187, v170, v170, s2
	s_mov_b32 s2, exec_lo
	s_delay_alu instid0(VALU_DEP_1)
	v_cmpx_ngt_f64_e32 v[185:186], v[187:188]
	s_xor_b32 s2, exec_lo, s2
	s_cbranch_execz .LBB82_385
; %bb.384:
	v_div_scale_f64 v[185:186], null, v[170:171], v[170:171], v[168:169]
	v_div_scale_f64 v[191:192], vcc_lo, v[168:169], v[170:171], v[168:169]
	s_delay_alu instid0(VALU_DEP_2) | instskip(SKIP_2) | instid1(VALU_DEP_1)
	v_rcp_f64_e32 v[187:188], v[185:186]
	s_waitcnt_depctr 0xfff
	v_fma_f64 v[189:190], -v[185:186], v[187:188], 1.0
	v_fma_f64 v[187:188], v[187:188], v[189:190], v[187:188]
	s_delay_alu instid0(VALU_DEP_1) | instskip(NEXT) | instid1(VALU_DEP_1)
	v_fma_f64 v[189:190], -v[185:186], v[187:188], 1.0
	v_fma_f64 v[187:188], v[187:188], v[189:190], v[187:188]
	s_delay_alu instid0(VALU_DEP_1) | instskip(NEXT) | instid1(VALU_DEP_1)
	v_mul_f64 v[189:190], v[191:192], v[187:188]
	v_fma_f64 v[185:186], -v[185:186], v[189:190], v[191:192]
	s_delay_alu instid0(VALU_DEP_1) | instskip(NEXT) | instid1(VALU_DEP_1)
	v_div_fmas_f64 v[185:186], v[185:186], v[187:188], v[189:190]
	v_div_fixup_f64 v[185:186], v[185:186], v[170:171], v[168:169]
	s_delay_alu instid0(VALU_DEP_1) | instskip(NEXT) | instid1(VALU_DEP_1)
	v_fma_f64 v[168:169], v[168:169], v[185:186], v[170:171]
	v_div_scale_f64 v[170:171], null, v[168:169], v[168:169], 1.0
	s_delay_alu instid0(VALU_DEP_1) | instskip(SKIP_2) | instid1(VALU_DEP_1)
	v_rcp_f64_e32 v[187:188], v[170:171]
	s_waitcnt_depctr 0xfff
	v_fma_f64 v[189:190], -v[170:171], v[187:188], 1.0
	v_fma_f64 v[187:188], v[187:188], v[189:190], v[187:188]
	s_delay_alu instid0(VALU_DEP_1) | instskip(NEXT) | instid1(VALU_DEP_1)
	v_fma_f64 v[189:190], -v[170:171], v[187:188], 1.0
	v_fma_f64 v[187:188], v[187:188], v[189:190], v[187:188]
	v_div_scale_f64 v[189:190], vcc_lo, 1.0, v[168:169], 1.0
	s_delay_alu instid0(VALU_DEP_1) | instskip(NEXT) | instid1(VALU_DEP_1)
	v_mul_f64 v[191:192], v[189:190], v[187:188]
	v_fma_f64 v[170:171], -v[170:171], v[191:192], v[189:190]
	s_delay_alu instid0(VALU_DEP_1) | instskip(NEXT) | instid1(VALU_DEP_1)
	v_div_fmas_f64 v[170:171], v[170:171], v[187:188], v[191:192]
	v_div_fixup_f64 v[170:171], v[170:171], v[168:169], 1.0
	s_delay_alu instid0(VALU_DEP_1)
	v_mul_f64 v[168:169], v[185:186], v[170:171]
	v_xor_b32_e32 v171, 0x80000000, v171
.LBB82_385:
	s_and_not1_saveexec_b32 s2, s2
	s_cbranch_execz .LBB82_387
; %bb.386:
	s_delay_alu instid0(VALU_DEP_1) | instskip(SKIP_1) | instid1(VALU_DEP_2)
	v_div_scale_f64 v[185:186], null, v[168:169], v[168:169], v[170:171]
	v_div_scale_f64 v[191:192], vcc_lo, v[170:171], v[168:169], v[170:171]
	v_rcp_f64_e32 v[187:188], v[185:186]
	s_waitcnt_depctr 0xfff
	v_fma_f64 v[189:190], -v[185:186], v[187:188], 1.0
	s_delay_alu instid0(VALU_DEP_1) | instskip(NEXT) | instid1(VALU_DEP_1)
	v_fma_f64 v[187:188], v[187:188], v[189:190], v[187:188]
	v_fma_f64 v[189:190], -v[185:186], v[187:188], 1.0
	s_delay_alu instid0(VALU_DEP_1) | instskip(NEXT) | instid1(VALU_DEP_1)
	v_fma_f64 v[187:188], v[187:188], v[189:190], v[187:188]
	v_mul_f64 v[189:190], v[191:192], v[187:188]
	s_delay_alu instid0(VALU_DEP_1) | instskip(NEXT) | instid1(VALU_DEP_1)
	v_fma_f64 v[185:186], -v[185:186], v[189:190], v[191:192]
	v_div_fmas_f64 v[185:186], v[185:186], v[187:188], v[189:190]
	s_delay_alu instid0(VALU_DEP_1) | instskip(NEXT) | instid1(VALU_DEP_1)
	v_div_fixup_f64 v[185:186], v[185:186], v[168:169], v[170:171]
	v_fma_f64 v[168:169], v[170:171], v[185:186], v[168:169]
	s_delay_alu instid0(VALU_DEP_1) | instskip(NEXT) | instid1(VALU_DEP_1)
	v_div_scale_f64 v[170:171], null, v[168:169], v[168:169], 1.0
	v_rcp_f64_e32 v[187:188], v[170:171]
	s_waitcnt_depctr 0xfff
	v_fma_f64 v[189:190], -v[170:171], v[187:188], 1.0
	s_delay_alu instid0(VALU_DEP_1) | instskip(NEXT) | instid1(VALU_DEP_1)
	v_fma_f64 v[187:188], v[187:188], v[189:190], v[187:188]
	v_fma_f64 v[189:190], -v[170:171], v[187:188], 1.0
	s_delay_alu instid0(VALU_DEP_1) | instskip(SKIP_1) | instid1(VALU_DEP_1)
	v_fma_f64 v[187:188], v[187:188], v[189:190], v[187:188]
	v_div_scale_f64 v[189:190], vcc_lo, 1.0, v[168:169], 1.0
	v_mul_f64 v[191:192], v[189:190], v[187:188]
	s_delay_alu instid0(VALU_DEP_1) | instskip(NEXT) | instid1(VALU_DEP_1)
	v_fma_f64 v[170:171], -v[170:171], v[191:192], v[189:190]
	v_div_fmas_f64 v[170:171], v[170:171], v[187:188], v[191:192]
	s_delay_alu instid0(VALU_DEP_1) | instskip(NEXT) | instid1(VALU_DEP_1)
	v_div_fixup_f64 v[168:169], v[170:171], v[168:169], 1.0
	v_mul_f64 v[170:171], v[185:186], -v[168:169]
.LBB82_387:
	s_or_b32 exec_lo, exec_lo, s2
.LBB82_388:
	s_delay_alu instid0(SALU_CYCLE_1) | instskip(NEXT) | instid1(SALU_CYCLE_1)
	s_or_b32 exec_lo, exec_lo, s3
	s_mov_b32 s2, exec_lo
	v_cmpx_ne_u32_e64 v184, v176
	s_xor_b32 s2, exec_lo, s2
	s_cbranch_execz .LBB82_394
; %bb.389:
	s_mov_b32 s3, exec_lo
	v_cmpx_eq_u32_e32 18, v184
	s_cbranch_execz .LBB82_393
; %bb.390:
	v_cmp_ne_u32_e32 vcc_lo, 18, v176
	s_xor_b32 s6, s4, -1
	s_delay_alu instid0(SALU_CYCLE_1) | instskip(NEXT) | instid1(SALU_CYCLE_1)
	s_and_b32 s7, s6, vcc_lo
	s_and_saveexec_b32 s6, s7
	s_cbranch_execz .LBB82_392
; %bb.391:
	v_ashrrev_i32_e32 v177, 31, v176
	s_delay_alu instid0(VALU_DEP_1) | instskip(NEXT) | instid1(VALU_DEP_1)
	v_lshlrev_b64 v[184:185], 2, v[176:177]
	v_add_co_u32 v184, vcc_lo, v174, v184
	s_delay_alu instid0(VALU_DEP_2)
	v_add_co_ci_u32_e32 v185, vcc_lo, v175, v185, vcc_lo
	s_clause 0x1
	flat_load_b32 v177, v[184:185]
	flat_load_b32 v181, v[174:175] offset:72
	s_waitcnt vmcnt(1) lgkmcnt(1)
	flat_store_b32 v[174:175], v177 offset:72
	s_waitcnt vmcnt(0) lgkmcnt(1)
	flat_store_b32 v[184:185], v181
.LBB82_392:
	s_or_b32 exec_lo, exec_lo, s6
	v_mov_b32_e32 v184, v176
	v_mov_b32_e32 v181, v176
.LBB82_393:
	s_or_b32 exec_lo, exec_lo, s3
.LBB82_394:
	s_and_not1_saveexec_b32 s2, s2
	s_cbranch_execz .LBB82_396
; %bb.395:
	v_mov_b32_e32 v184, 18
	ds_store_2addr_b64 v178, v[88:89], v[90:91] offset0:38 offset1:39
	ds_store_2addr_b64 v178, v[84:85], v[86:87] offset0:40 offset1:41
	;; [unrolled: 1-line block ×23, first 2 shown]
.LBB82_396:
	s_or_b32 exec_lo, exec_lo, s2
	s_delay_alu instid0(SALU_CYCLE_1)
	s_mov_b32 s2, exec_lo
	s_waitcnt lgkmcnt(0)
	s_waitcnt_vscnt null, 0x0
	s_barrier
	buffer_gl0_inv
	v_cmpx_lt_i32_e32 18, v184
	s_cbranch_execz .LBB82_398
; %bb.397:
	v_mul_f64 v[176:177], v[170:171], v[94:95]
	v_mul_f64 v[94:95], v[168:169], v[94:95]
	s_delay_alu instid0(VALU_DEP_2) | instskip(NEXT) | instid1(VALU_DEP_2)
	v_fma_f64 v[176:177], v[168:169], v[92:93], -v[176:177]
	v_fma_f64 v[94:95], v[170:171], v[92:93], v[94:95]
	ds_load_2addr_b64 v[168:171], v178 offset0:38 offset1:39
	s_waitcnt lgkmcnt(0)
	v_mul_f64 v[92:93], v[170:171], v[94:95]
	s_delay_alu instid0(VALU_DEP_1) | instskip(SKIP_1) | instid1(VALU_DEP_2)
	v_fma_f64 v[92:93], v[168:169], v[176:177], -v[92:93]
	v_mul_f64 v[168:169], v[168:169], v[94:95]
	v_add_f64 v[88:89], v[88:89], -v[92:93]
	s_delay_alu instid0(VALU_DEP_2) | instskip(NEXT) | instid1(VALU_DEP_1)
	v_fma_f64 v[168:169], v[170:171], v[176:177], v[168:169]
	v_add_f64 v[90:91], v[90:91], -v[168:169]
	ds_load_2addr_b64 v[168:171], v178 offset0:40 offset1:41
	s_waitcnt lgkmcnt(0)
	v_mul_f64 v[92:93], v[170:171], v[94:95]
	s_delay_alu instid0(VALU_DEP_1) | instskip(SKIP_1) | instid1(VALU_DEP_2)
	v_fma_f64 v[92:93], v[168:169], v[176:177], -v[92:93]
	v_mul_f64 v[168:169], v[168:169], v[94:95]
	v_add_f64 v[84:85], v[84:85], -v[92:93]
	s_delay_alu instid0(VALU_DEP_2) | instskip(NEXT) | instid1(VALU_DEP_1)
	v_fma_f64 v[168:169], v[170:171], v[176:177], v[168:169]
	v_add_f64 v[86:87], v[86:87], -v[168:169]
	;; [unrolled: 10-line block ×22, first 2 shown]
	ds_load_2addr_b64 v[168:171], v178 offset0:82 offset1:83
	s_waitcnt lgkmcnt(0)
	v_mul_f64 v[92:93], v[170:171], v[94:95]
	s_delay_alu instid0(VALU_DEP_1) | instskip(SKIP_1) | instid1(VALU_DEP_2)
	v_fma_f64 v[92:93], v[168:169], v[176:177], -v[92:93]
	v_mul_f64 v[168:169], v[168:169], v[94:95]
	v_add_f64 v[0:1], v[0:1], -v[92:93]
	s_delay_alu instid0(VALU_DEP_2) | instskip(SKIP_1) | instid1(VALU_DEP_2)
	v_fma_f64 v[168:169], v[170:171], v[176:177], v[168:169]
	v_dual_mov_b32 v92, v176 :: v_dual_mov_b32 v93, v177
	v_add_f64 v[2:3], v[2:3], -v[168:169]
.LBB82_398:
	s_or_b32 exec_lo, exec_lo, s2
	v_lshl_add_u32 v168, v184, 4, v178
	s_barrier
	buffer_gl0_inv
	v_mov_b32_e32 v176, 19
	ds_store_2addr_b64 v168, v[88:89], v[90:91] offset1:1
	s_waitcnt lgkmcnt(0)
	s_barrier
	buffer_gl0_inv
	ds_load_2addr_b64 v[168:171], v178 offset0:38 offset1:39
	s_cmp_lt_i32 s5, 21
	s_cbranch_scc1 .LBB82_401
; %bb.399:
	v_add3_u32 v177, v183, 0, 0x140
	v_mov_b32_e32 v176, 19
	s_mov_b32 s6, 20
	s_set_inst_prefetch_distance 0x1
	.p2align	6
.LBB82_400:                             ; =>This Inner Loop Header: Depth=1
	ds_load_2addr_b64 v[185:188], v177 offset1:1
	s_waitcnt lgkmcnt(1)
	v_cmp_gt_f64_e32 vcc_lo, 0, v[168:169]
	v_xor_b32_e32 v189, 0x80000000, v169
	v_cmp_gt_f64_e64 s2, 0, v[170:171]
	v_xor_b32_e32 v191, 0x80000000, v171
	v_add_nc_u32_e32 v177, 16, v177
	s_waitcnt lgkmcnt(0)
	v_cmp_gt_f64_e64 s3, 0, v[185:186]
	v_mov_b32_e32 v193, v185
	v_dual_mov_b32 v195, v187 :: v_dual_cndmask_b32 v190, v169, v189
	v_xor_b32_e32 v189, 0x80000000, v186
	v_cndmask_b32_e64 v192, v171, v191, s2
	v_xor_b32_e32 v191, 0x80000000, v188
	s_delay_alu instid0(VALU_DEP_3) | instskip(SKIP_2) | instid1(VALU_DEP_2)
	v_cndmask_b32_e64 v194, v186, v189, s3
	v_cmp_gt_f64_e64 s3, 0, v[187:188]
	v_cndmask_b32_e32 v189, v168, v168, vcc_lo
	v_cndmask_b32_e64 v196, v188, v191, s3
	v_cndmask_b32_e64 v191, v170, v170, s2
	s_delay_alu instid0(VALU_DEP_2) | instskip(NEXT) | instid1(VALU_DEP_2)
	v_add_f64 v[193:194], v[193:194], v[195:196]
	v_add_f64 v[189:190], v[189:190], v[191:192]
	s_delay_alu instid0(VALU_DEP_1) | instskip(SKIP_4) | instid1(SALU_CYCLE_1)
	v_cmp_lt_f64_e32 vcc_lo, v[189:190], v[193:194]
	v_dual_cndmask_b32 v170, v170, v187 :: v_dual_cndmask_b32 v169, v169, v186
	v_dual_cndmask_b32 v168, v168, v185 :: v_dual_cndmask_b32 v171, v171, v188
	v_cndmask_b32_e64 v176, v176, s6, vcc_lo
	s_add_i32 s6, s6, 1
	s_cmp_lg_u32 s5, s6
	s_cbranch_scc1 .LBB82_400
.LBB82_401:
	s_set_inst_prefetch_distance 0x2
	s_waitcnt lgkmcnt(0)
	v_cmp_eq_f64_e32 vcc_lo, 0, v[168:169]
	v_cmp_eq_f64_e64 s2, 0, v[170:171]
	s_delay_alu instid0(VALU_DEP_1) | instskip(NEXT) | instid1(SALU_CYCLE_1)
	s_and_b32 s2, vcc_lo, s2
	s_and_saveexec_b32 s3, s2
	s_delay_alu instid0(SALU_CYCLE_1)
	s_xor_b32 s2, exec_lo, s3
; %bb.402:
	v_cmp_ne_u32_e32 vcc_lo, 0, v182
	v_cndmask_b32_e32 v182, 20, v182, vcc_lo
; %bb.403:
	s_and_not1_saveexec_b32 s3, s2
	s_cbranch_execz .LBB82_409
; %bb.404:
	v_cmp_gt_f64_e32 vcc_lo, 0, v[168:169]
	v_cmp_gt_f64_e64 s2, 0, v[170:171]
	v_xor_b32_e32 v177, 0x80000000, v169
	v_xor_b32_e32 v185, 0x80000000, v171
	s_delay_alu instid0(VALU_DEP_2) | instskip(NEXT) | instid1(VALU_DEP_2)
	v_cndmask_b32_e32 v186, v169, v177, vcc_lo
	v_cndmask_b32_e64 v188, v171, v185, s2
	v_cndmask_b32_e32 v185, v168, v168, vcc_lo
	v_cndmask_b32_e64 v187, v170, v170, s2
	s_mov_b32 s2, exec_lo
	s_delay_alu instid0(VALU_DEP_1)
	v_cmpx_ngt_f64_e32 v[185:186], v[187:188]
	s_xor_b32 s2, exec_lo, s2
	s_cbranch_execz .LBB82_406
; %bb.405:
	v_div_scale_f64 v[185:186], null, v[170:171], v[170:171], v[168:169]
	v_div_scale_f64 v[191:192], vcc_lo, v[168:169], v[170:171], v[168:169]
	s_delay_alu instid0(VALU_DEP_2) | instskip(SKIP_2) | instid1(VALU_DEP_1)
	v_rcp_f64_e32 v[187:188], v[185:186]
	s_waitcnt_depctr 0xfff
	v_fma_f64 v[189:190], -v[185:186], v[187:188], 1.0
	v_fma_f64 v[187:188], v[187:188], v[189:190], v[187:188]
	s_delay_alu instid0(VALU_DEP_1) | instskip(NEXT) | instid1(VALU_DEP_1)
	v_fma_f64 v[189:190], -v[185:186], v[187:188], 1.0
	v_fma_f64 v[187:188], v[187:188], v[189:190], v[187:188]
	s_delay_alu instid0(VALU_DEP_1) | instskip(NEXT) | instid1(VALU_DEP_1)
	v_mul_f64 v[189:190], v[191:192], v[187:188]
	v_fma_f64 v[185:186], -v[185:186], v[189:190], v[191:192]
	s_delay_alu instid0(VALU_DEP_1) | instskip(NEXT) | instid1(VALU_DEP_1)
	v_div_fmas_f64 v[185:186], v[185:186], v[187:188], v[189:190]
	v_div_fixup_f64 v[185:186], v[185:186], v[170:171], v[168:169]
	s_delay_alu instid0(VALU_DEP_1) | instskip(NEXT) | instid1(VALU_DEP_1)
	v_fma_f64 v[168:169], v[168:169], v[185:186], v[170:171]
	v_div_scale_f64 v[170:171], null, v[168:169], v[168:169], 1.0
	s_delay_alu instid0(VALU_DEP_1) | instskip(SKIP_2) | instid1(VALU_DEP_1)
	v_rcp_f64_e32 v[187:188], v[170:171]
	s_waitcnt_depctr 0xfff
	v_fma_f64 v[189:190], -v[170:171], v[187:188], 1.0
	v_fma_f64 v[187:188], v[187:188], v[189:190], v[187:188]
	s_delay_alu instid0(VALU_DEP_1) | instskip(NEXT) | instid1(VALU_DEP_1)
	v_fma_f64 v[189:190], -v[170:171], v[187:188], 1.0
	v_fma_f64 v[187:188], v[187:188], v[189:190], v[187:188]
	v_div_scale_f64 v[189:190], vcc_lo, 1.0, v[168:169], 1.0
	s_delay_alu instid0(VALU_DEP_1) | instskip(NEXT) | instid1(VALU_DEP_1)
	v_mul_f64 v[191:192], v[189:190], v[187:188]
	v_fma_f64 v[170:171], -v[170:171], v[191:192], v[189:190]
	s_delay_alu instid0(VALU_DEP_1) | instskip(NEXT) | instid1(VALU_DEP_1)
	v_div_fmas_f64 v[170:171], v[170:171], v[187:188], v[191:192]
	v_div_fixup_f64 v[170:171], v[170:171], v[168:169], 1.0
	s_delay_alu instid0(VALU_DEP_1)
	v_mul_f64 v[168:169], v[185:186], v[170:171]
	v_xor_b32_e32 v171, 0x80000000, v171
.LBB82_406:
	s_and_not1_saveexec_b32 s2, s2
	s_cbranch_execz .LBB82_408
; %bb.407:
	s_delay_alu instid0(VALU_DEP_1) | instskip(SKIP_1) | instid1(VALU_DEP_2)
	v_div_scale_f64 v[185:186], null, v[168:169], v[168:169], v[170:171]
	v_div_scale_f64 v[191:192], vcc_lo, v[170:171], v[168:169], v[170:171]
	v_rcp_f64_e32 v[187:188], v[185:186]
	s_waitcnt_depctr 0xfff
	v_fma_f64 v[189:190], -v[185:186], v[187:188], 1.0
	s_delay_alu instid0(VALU_DEP_1) | instskip(NEXT) | instid1(VALU_DEP_1)
	v_fma_f64 v[187:188], v[187:188], v[189:190], v[187:188]
	v_fma_f64 v[189:190], -v[185:186], v[187:188], 1.0
	s_delay_alu instid0(VALU_DEP_1) | instskip(NEXT) | instid1(VALU_DEP_1)
	v_fma_f64 v[187:188], v[187:188], v[189:190], v[187:188]
	v_mul_f64 v[189:190], v[191:192], v[187:188]
	s_delay_alu instid0(VALU_DEP_1) | instskip(NEXT) | instid1(VALU_DEP_1)
	v_fma_f64 v[185:186], -v[185:186], v[189:190], v[191:192]
	v_div_fmas_f64 v[185:186], v[185:186], v[187:188], v[189:190]
	s_delay_alu instid0(VALU_DEP_1) | instskip(NEXT) | instid1(VALU_DEP_1)
	v_div_fixup_f64 v[185:186], v[185:186], v[168:169], v[170:171]
	v_fma_f64 v[168:169], v[170:171], v[185:186], v[168:169]
	s_delay_alu instid0(VALU_DEP_1) | instskip(NEXT) | instid1(VALU_DEP_1)
	v_div_scale_f64 v[170:171], null, v[168:169], v[168:169], 1.0
	v_rcp_f64_e32 v[187:188], v[170:171]
	s_waitcnt_depctr 0xfff
	v_fma_f64 v[189:190], -v[170:171], v[187:188], 1.0
	s_delay_alu instid0(VALU_DEP_1) | instskip(NEXT) | instid1(VALU_DEP_1)
	v_fma_f64 v[187:188], v[187:188], v[189:190], v[187:188]
	v_fma_f64 v[189:190], -v[170:171], v[187:188], 1.0
	s_delay_alu instid0(VALU_DEP_1) | instskip(SKIP_1) | instid1(VALU_DEP_1)
	v_fma_f64 v[187:188], v[187:188], v[189:190], v[187:188]
	v_div_scale_f64 v[189:190], vcc_lo, 1.0, v[168:169], 1.0
	v_mul_f64 v[191:192], v[189:190], v[187:188]
	s_delay_alu instid0(VALU_DEP_1) | instskip(NEXT) | instid1(VALU_DEP_1)
	v_fma_f64 v[170:171], -v[170:171], v[191:192], v[189:190]
	v_div_fmas_f64 v[170:171], v[170:171], v[187:188], v[191:192]
	s_delay_alu instid0(VALU_DEP_1) | instskip(NEXT) | instid1(VALU_DEP_1)
	v_div_fixup_f64 v[168:169], v[170:171], v[168:169], 1.0
	v_mul_f64 v[170:171], v[185:186], -v[168:169]
.LBB82_408:
	s_or_b32 exec_lo, exec_lo, s2
.LBB82_409:
	s_delay_alu instid0(SALU_CYCLE_1) | instskip(NEXT) | instid1(SALU_CYCLE_1)
	s_or_b32 exec_lo, exec_lo, s3
	s_mov_b32 s2, exec_lo
	v_cmpx_ne_u32_e64 v184, v176
	s_xor_b32 s2, exec_lo, s2
	s_cbranch_execz .LBB82_415
; %bb.410:
	s_mov_b32 s3, exec_lo
	v_cmpx_eq_u32_e32 19, v184
	s_cbranch_execz .LBB82_414
; %bb.411:
	v_cmp_ne_u32_e32 vcc_lo, 19, v176
	s_xor_b32 s6, s4, -1
	s_delay_alu instid0(SALU_CYCLE_1) | instskip(NEXT) | instid1(SALU_CYCLE_1)
	s_and_b32 s7, s6, vcc_lo
	s_and_saveexec_b32 s6, s7
	s_cbranch_execz .LBB82_413
; %bb.412:
	v_ashrrev_i32_e32 v177, 31, v176
	s_delay_alu instid0(VALU_DEP_1) | instskip(NEXT) | instid1(VALU_DEP_1)
	v_lshlrev_b64 v[184:185], 2, v[176:177]
	v_add_co_u32 v184, vcc_lo, v174, v184
	s_delay_alu instid0(VALU_DEP_2)
	v_add_co_ci_u32_e32 v185, vcc_lo, v175, v185, vcc_lo
	s_clause 0x1
	flat_load_b32 v177, v[184:185]
	flat_load_b32 v181, v[174:175] offset:76
	s_waitcnt vmcnt(1) lgkmcnt(1)
	flat_store_b32 v[174:175], v177 offset:76
	s_waitcnt vmcnt(0) lgkmcnt(1)
	flat_store_b32 v[184:185], v181
.LBB82_413:
	s_or_b32 exec_lo, exec_lo, s6
	v_mov_b32_e32 v184, v176
	v_mov_b32_e32 v181, v176
.LBB82_414:
	s_or_b32 exec_lo, exec_lo, s3
.LBB82_415:
	s_and_not1_saveexec_b32 s2, s2
	s_cbranch_execz .LBB82_417
; %bb.416:
	v_mov_b32_e32 v184, 19
	ds_store_2addr_b64 v178, v[84:85], v[86:87] offset0:40 offset1:41
	ds_store_2addr_b64 v178, v[80:81], v[82:83] offset0:42 offset1:43
	;; [unrolled: 1-line block ×22, first 2 shown]
.LBB82_417:
	s_or_b32 exec_lo, exec_lo, s2
	s_delay_alu instid0(SALU_CYCLE_1)
	s_mov_b32 s2, exec_lo
	s_waitcnt lgkmcnt(0)
	s_waitcnt_vscnt null, 0x0
	s_barrier
	buffer_gl0_inv
	v_cmpx_lt_i32_e32 19, v184
	s_cbranch_execz .LBB82_419
; %bb.418:
	v_mul_f64 v[176:177], v[170:171], v[90:91]
	v_mul_f64 v[90:91], v[168:169], v[90:91]
	s_delay_alu instid0(VALU_DEP_2) | instskip(NEXT) | instid1(VALU_DEP_2)
	v_fma_f64 v[176:177], v[168:169], v[88:89], -v[176:177]
	v_fma_f64 v[90:91], v[170:171], v[88:89], v[90:91]
	ds_load_2addr_b64 v[168:171], v178 offset0:40 offset1:41
	s_waitcnt lgkmcnt(0)
	v_mul_f64 v[88:89], v[170:171], v[90:91]
	s_delay_alu instid0(VALU_DEP_1) | instskip(SKIP_1) | instid1(VALU_DEP_2)
	v_fma_f64 v[88:89], v[168:169], v[176:177], -v[88:89]
	v_mul_f64 v[168:169], v[168:169], v[90:91]
	v_add_f64 v[84:85], v[84:85], -v[88:89]
	s_delay_alu instid0(VALU_DEP_2) | instskip(NEXT) | instid1(VALU_DEP_1)
	v_fma_f64 v[168:169], v[170:171], v[176:177], v[168:169]
	v_add_f64 v[86:87], v[86:87], -v[168:169]
	ds_load_2addr_b64 v[168:171], v178 offset0:42 offset1:43
	s_waitcnt lgkmcnt(0)
	v_mul_f64 v[88:89], v[170:171], v[90:91]
	s_delay_alu instid0(VALU_DEP_1) | instskip(SKIP_1) | instid1(VALU_DEP_2)
	v_fma_f64 v[88:89], v[168:169], v[176:177], -v[88:89]
	v_mul_f64 v[168:169], v[168:169], v[90:91]
	v_add_f64 v[80:81], v[80:81], -v[88:89]
	s_delay_alu instid0(VALU_DEP_2) | instskip(NEXT) | instid1(VALU_DEP_1)
	v_fma_f64 v[168:169], v[170:171], v[176:177], v[168:169]
	v_add_f64 v[82:83], v[82:83], -v[168:169]
	;; [unrolled: 10-line block ×21, first 2 shown]
	ds_load_2addr_b64 v[168:171], v178 offset0:82 offset1:83
	s_waitcnt lgkmcnt(0)
	v_mul_f64 v[88:89], v[170:171], v[90:91]
	s_delay_alu instid0(VALU_DEP_1) | instskip(SKIP_1) | instid1(VALU_DEP_2)
	v_fma_f64 v[88:89], v[168:169], v[176:177], -v[88:89]
	v_mul_f64 v[168:169], v[168:169], v[90:91]
	v_add_f64 v[0:1], v[0:1], -v[88:89]
	s_delay_alu instid0(VALU_DEP_2) | instskip(SKIP_1) | instid1(VALU_DEP_2)
	v_fma_f64 v[168:169], v[170:171], v[176:177], v[168:169]
	v_dual_mov_b32 v88, v176 :: v_dual_mov_b32 v89, v177
	v_add_f64 v[2:3], v[2:3], -v[168:169]
.LBB82_419:
	s_or_b32 exec_lo, exec_lo, s2
	v_lshl_add_u32 v168, v184, 4, v178
	s_barrier
	buffer_gl0_inv
	v_mov_b32_e32 v176, 20
	ds_store_2addr_b64 v168, v[84:85], v[86:87] offset1:1
	s_waitcnt lgkmcnt(0)
	s_barrier
	buffer_gl0_inv
	ds_load_2addr_b64 v[168:171], v178 offset0:40 offset1:41
	s_cmp_lt_i32 s5, 22
	s_cbranch_scc1 .LBB82_422
; %bb.420:
	v_add3_u32 v177, v183, 0, 0x150
	v_mov_b32_e32 v176, 20
	s_mov_b32 s6, 21
	s_set_inst_prefetch_distance 0x1
	.p2align	6
.LBB82_421:                             ; =>This Inner Loop Header: Depth=1
	ds_load_2addr_b64 v[185:188], v177 offset1:1
	s_waitcnt lgkmcnt(1)
	v_cmp_gt_f64_e32 vcc_lo, 0, v[168:169]
	v_xor_b32_e32 v189, 0x80000000, v169
	v_cmp_gt_f64_e64 s2, 0, v[170:171]
	v_xor_b32_e32 v191, 0x80000000, v171
	v_add_nc_u32_e32 v177, 16, v177
	s_waitcnt lgkmcnt(0)
	v_cmp_gt_f64_e64 s3, 0, v[185:186]
	v_mov_b32_e32 v193, v185
	v_dual_mov_b32 v195, v187 :: v_dual_cndmask_b32 v190, v169, v189
	v_xor_b32_e32 v189, 0x80000000, v186
	v_cndmask_b32_e64 v192, v171, v191, s2
	v_xor_b32_e32 v191, 0x80000000, v188
	s_delay_alu instid0(VALU_DEP_3) | instskip(SKIP_2) | instid1(VALU_DEP_2)
	v_cndmask_b32_e64 v194, v186, v189, s3
	v_cmp_gt_f64_e64 s3, 0, v[187:188]
	v_cndmask_b32_e32 v189, v168, v168, vcc_lo
	v_cndmask_b32_e64 v196, v188, v191, s3
	v_cndmask_b32_e64 v191, v170, v170, s2
	s_delay_alu instid0(VALU_DEP_2) | instskip(NEXT) | instid1(VALU_DEP_2)
	v_add_f64 v[193:194], v[193:194], v[195:196]
	v_add_f64 v[189:190], v[189:190], v[191:192]
	s_delay_alu instid0(VALU_DEP_1) | instskip(SKIP_4) | instid1(SALU_CYCLE_1)
	v_cmp_lt_f64_e32 vcc_lo, v[189:190], v[193:194]
	v_dual_cndmask_b32 v170, v170, v187 :: v_dual_cndmask_b32 v169, v169, v186
	v_dual_cndmask_b32 v168, v168, v185 :: v_dual_cndmask_b32 v171, v171, v188
	v_cndmask_b32_e64 v176, v176, s6, vcc_lo
	s_add_i32 s6, s6, 1
	s_cmp_lg_u32 s5, s6
	s_cbranch_scc1 .LBB82_421
.LBB82_422:
	s_set_inst_prefetch_distance 0x2
	s_waitcnt lgkmcnt(0)
	v_cmp_eq_f64_e32 vcc_lo, 0, v[168:169]
	v_cmp_eq_f64_e64 s2, 0, v[170:171]
	s_delay_alu instid0(VALU_DEP_1) | instskip(NEXT) | instid1(SALU_CYCLE_1)
	s_and_b32 s2, vcc_lo, s2
	s_and_saveexec_b32 s3, s2
	s_delay_alu instid0(SALU_CYCLE_1)
	s_xor_b32 s2, exec_lo, s3
; %bb.423:
	v_cmp_ne_u32_e32 vcc_lo, 0, v182
	v_cndmask_b32_e32 v182, 21, v182, vcc_lo
; %bb.424:
	s_and_not1_saveexec_b32 s3, s2
	s_cbranch_execz .LBB82_430
; %bb.425:
	v_cmp_gt_f64_e32 vcc_lo, 0, v[168:169]
	v_cmp_gt_f64_e64 s2, 0, v[170:171]
	v_xor_b32_e32 v177, 0x80000000, v169
	v_xor_b32_e32 v185, 0x80000000, v171
	s_delay_alu instid0(VALU_DEP_2) | instskip(NEXT) | instid1(VALU_DEP_2)
	v_cndmask_b32_e32 v186, v169, v177, vcc_lo
	v_cndmask_b32_e64 v188, v171, v185, s2
	v_cndmask_b32_e32 v185, v168, v168, vcc_lo
	v_cndmask_b32_e64 v187, v170, v170, s2
	s_mov_b32 s2, exec_lo
	s_delay_alu instid0(VALU_DEP_1)
	v_cmpx_ngt_f64_e32 v[185:186], v[187:188]
	s_xor_b32 s2, exec_lo, s2
	s_cbranch_execz .LBB82_427
; %bb.426:
	v_div_scale_f64 v[185:186], null, v[170:171], v[170:171], v[168:169]
	v_div_scale_f64 v[191:192], vcc_lo, v[168:169], v[170:171], v[168:169]
	s_delay_alu instid0(VALU_DEP_2) | instskip(SKIP_2) | instid1(VALU_DEP_1)
	v_rcp_f64_e32 v[187:188], v[185:186]
	s_waitcnt_depctr 0xfff
	v_fma_f64 v[189:190], -v[185:186], v[187:188], 1.0
	v_fma_f64 v[187:188], v[187:188], v[189:190], v[187:188]
	s_delay_alu instid0(VALU_DEP_1) | instskip(NEXT) | instid1(VALU_DEP_1)
	v_fma_f64 v[189:190], -v[185:186], v[187:188], 1.0
	v_fma_f64 v[187:188], v[187:188], v[189:190], v[187:188]
	s_delay_alu instid0(VALU_DEP_1) | instskip(NEXT) | instid1(VALU_DEP_1)
	v_mul_f64 v[189:190], v[191:192], v[187:188]
	v_fma_f64 v[185:186], -v[185:186], v[189:190], v[191:192]
	s_delay_alu instid0(VALU_DEP_1) | instskip(NEXT) | instid1(VALU_DEP_1)
	v_div_fmas_f64 v[185:186], v[185:186], v[187:188], v[189:190]
	v_div_fixup_f64 v[185:186], v[185:186], v[170:171], v[168:169]
	s_delay_alu instid0(VALU_DEP_1) | instskip(NEXT) | instid1(VALU_DEP_1)
	v_fma_f64 v[168:169], v[168:169], v[185:186], v[170:171]
	v_div_scale_f64 v[170:171], null, v[168:169], v[168:169], 1.0
	s_delay_alu instid0(VALU_DEP_1) | instskip(SKIP_2) | instid1(VALU_DEP_1)
	v_rcp_f64_e32 v[187:188], v[170:171]
	s_waitcnt_depctr 0xfff
	v_fma_f64 v[189:190], -v[170:171], v[187:188], 1.0
	v_fma_f64 v[187:188], v[187:188], v[189:190], v[187:188]
	s_delay_alu instid0(VALU_DEP_1) | instskip(NEXT) | instid1(VALU_DEP_1)
	v_fma_f64 v[189:190], -v[170:171], v[187:188], 1.0
	v_fma_f64 v[187:188], v[187:188], v[189:190], v[187:188]
	v_div_scale_f64 v[189:190], vcc_lo, 1.0, v[168:169], 1.0
	s_delay_alu instid0(VALU_DEP_1) | instskip(NEXT) | instid1(VALU_DEP_1)
	v_mul_f64 v[191:192], v[189:190], v[187:188]
	v_fma_f64 v[170:171], -v[170:171], v[191:192], v[189:190]
	s_delay_alu instid0(VALU_DEP_1) | instskip(NEXT) | instid1(VALU_DEP_1)
	v_div_fmas_f64 v[170:171], v[170:171], v[187:188], v[191:192]
	v_div_fixup_f64 v[170:171], v[170:171], v[168:169], 1.0
	s_delay_alu instid0(VALU_DEP_1)
	v_mul_f64 v[168:169], v[185:186], v[170:171]
	v_xor_b32_e32 v171, 0x80000000, v171
.LBB82_427:
	s_and_not1_saveexec_b32 s2, s2
	s_cbranch_execz .LBB82_429
; %bb.428:
	s_delay_alu instid0(VALU_DEP_1) | instskip(SKIP_1) | instid1(VALU_DEP_2)
	v_div_scale_f64 v[185:186], null, v[168:169], v[168:169], v[170:171]
	v_div_scale_f64 v[191:192], vcc_lo, v[170:171], v[168:169], v[170:171]
	v_rcp_f64_e32 v[187:188], v[185:186]
	s_waitcnt_depctr 0xfff
	v_fma_f64 v[189:190], -v[185:186], v[187:188], 1.0
	s_delay_alu instid0(VALU_DEP_1) | instskip(NEXT) | instid1(VALU_DEP_1)
	v_fma_f64 v[187:188], v[187:188], v[189:190], v[187:188]
	v_fma_f64 v[189:190], -v[185:186], v[187:188], 1.0
	s_delay_alu instid0(VALU_DEP_1) | instskip(NEXT) | instid1(VALU_DEP_1)
	v_fma_f64 v[187:188], v[187:188], v[189:190], v[187:188]
	v_mul_f64 v[189:190], v[191:192], v[187:188]
	s_delay_alu instid0(VALU_DEP_1) | instskip(NEXT) | instid1(VALU_DEP_1)
	v_fma_f64 v[185:186], -v[185:186], v[189:190], v[191:192]
	v_div_fmas_f64 v[185:186], v[185:186], v[187:188], v[189:190]
	s_delay_alu instid0(VALU_DEP_1) | instskip(NEXT) | instid1(VALU_DEP_1)
	v_div_fixup_f64 v[185:186], v[185:186], v[168:169], v[170:171]
	v_fma_f64 v[168:169], v[170:171], v[185:186], v[168:169]
	s_delay_alu instid0(VALU_DEP_1) | instskip(NEXT) | instid1(VALU_DEP_1)
	v_div_scale_f64 v[170:171], null, v[168:169], v[168:169], 1.0
	v_rcp_f64_e32 v[187:188], v[170:171]
	s_waitcnt_depctr 0xfff
	v_fma_f64 v[189:190], -v[170:171], v[187:188], 1.0
	s_delay_alu instid0(VALU_DEP_1) | instskip(NEXT) | instid1(VALU_DEP_1)
	v_fma_f64 v[187:188], v[187:188], v[189:190], v[187:188]
	v_fma_f64 v[189:190], -v[170:171], v[187:188], 1.0
	s_delay_alu instid0(VALU_DEP_1) | instskip(SKIP_1) | instid1(VALU_DEP_1)
	v_fma_f64 v[187:188], v[187:188], v[189:190], v[187:188]
	v_div_scale_f64 v[189:190], vcc_lo, 1.0, v[168:169], 1.0
	v_mul_f64 v[191:192], v[189:190], v[187:188]
	s_delay_alu instid0(VALU_DEP_1) | instskip(NEXT) | instid1(VALU_DEP_1)
	v_fma_f64 v[170:171], -v[170:171], v[191:192], v[189:190]
	v_div_fmas_f64 v[170:171], v[170:171], v[187:188], v[191:192]
	s_delay_alu instid0(VALU_DEP_1) | instskip(NEXT) | instid1(VALU_DEP_1)
	v_div_fixup_f64 v[168:169], v[170:171], v[168:169], 1.0
	v_mul_f64 v[170:171], v[185:186], -v[168:169]
.LBB82_429:
	s_or_b32 exec_lo, exec_lo, s2
.LBB82_430:
	s_delay_alu instid0(SALU_CYCLE_1) | instskip(NEXT) | instid1(SALU_CYCLE_1)
	s_or_b32 exec_lo, exec_lo, s3
	s_mov_b32 s2, exec_lo
	v_cmpx_ne_u32_e64 v184, v176
	s_xor_b32 s2, exec_lo, s2
	s_cbranch_execz .LBB82_436
; %bb.431:
	s_mov_b32 s3, exec_lo
	v_cmpx_eq_u32_e32 20, v184
	s_cbranch_execz .LBB82_435
; %bb.432:
	v_cmp_ne_u32_e32 vcc_lo, 20, v176
	s_xor_b32 s6, s4, -1
	s_delay_alu instid0(SALU_CYCLE_1) | instskip(NEXT) | instid1(SALU_CYCLE_1)
	s_and_b32 s7, s6, vcc_lo
	s_and_saveexec_b32 s6, s7
	s_cbranch_execz .LBB82_434
; %bb.433:
	v_ashrrev_i32_e32 v177, 31, v176
	s_delay_alu instid0(VALU_DEP_1) | instskip(NEXT) | instid1(VALU_DEP_1)
	v_lshlrev_b64 v[184:185], 2, v[176:177]
	v_add_co_u32 v184, vcc_lo, v174, v184
	s_delay_alu instid0(VALU_DEP_2)
	v_add_co_ci_u32_e32 v185, vcc_lo, v175, v185, vcc_lo
	s_clause 0x1
	flat_load_b32 v177, v[184:185]
	flat_load_b32 v181, v[174:175] offset:80
	s_waitcnt vmcnt(1) lgkmcnt(1)
	flat_store_b32 v[174:175], v177 offset:80
	s_waitcnt vmcnt(0) lgkmcnt(1)
	flat_store_b32 v[184:185], v181
.LBB82_434:
	s_or_b32 exec_lo, exec_lo, s6
	v_mov_b32_e32 v184, v176
	v_mov_b32_e32 v181, v176
.LBB82_435:
	s_or_b32 exec_lo, exec_lo, s3
.LBB82_436:
	s_and_not1_saveexec_b32 s2, s2
	s_cbranch_execz .LBB82_438
; %bb.437:
	v_mov_b32_e32 v184, 20
	ds_store_2addr_b64 v178, v[80:81], v[82:83] offset0:42 offset1:43
	ds_store_2addr_b64 v178, v[76:77], v[78:79] offset0:44 offset1:45
	;; [unrolled: 1-line block ×21, first 2 shown]
.LBB82_438:
	s_or_b32 exec_lo, exec_lo, s2
	s_delay_alu instid0(SALU_CYCLE_1)
	s_mov_b32 s2, exec_lo
	s_waitcnt lgkmcnt(0)
	s_waitcnt_vscnt null, 0x0
	s_barrier
	buffer_gl0_inv
	v_cmpx_lt_i32_e32 20, v184
	s_cbranch_execz .LBB82_440
; %bb.439:
	v_mul_f64 v[176:177], v[170:171], v[86:87]
	v_mul_f64 v[86:87], v[168:169], v[86:87]
	s_delay_alu instid0(VALU_DEP_2) | instskip(NEXT) | instid1(VALU_DEP_2)
	v_fma_f64 v[176:177], v[168:169], v[84:85], -v[176:177]
	v_fma_f64 v[86:87], v[170:171], v[84:85], v[86:87]
	ds_load_2addr_b64 v[168:171], v178 offset0:42 offset1:43
	s_waitcnt lgkmcnt(0)
	v_mul_f64 v[84:85], v[170:171], v[86:87]
	s_delay_alu instid0(VALU_DEP_1) | instskip(SKIP_1) | instid1(VALU_DEP_2)
	v_fma_f64 v[84:85], v[168:169], v[176:177], -v[84:85]
	v_mul_f64 v[168:169], v[168:169], v[86:87]
	v_add_f64 v[80:81], v[80:81], -v[84:85]
	s_delay_alu instid0(VALU_DEP_2) | instskip(NEXT) | instid1(VALU_DEP_1)
	v_fma_f64 v[168:169], v[170:171], v[176:177], v[168:169]
	v_add_f64 v[82:83], v[82:83], -v[168:169]
	ds_load_2addr_b64 v[168:171], v178 offset0:44 offset1:45
	s_waitcnt lgkmcnt(0)
	v_mul_f64 v[84:85], v[170:171], v[86:87]
	s_delay_alu instid0(VALU_DEP_1) | instskip(SKIP_1) | instid1(VALU_DEP_2)
	v_fma_f64 v[84:85], v[168:169], v[176:177], -v[84:85]
	v_mul_f64 v[168:169], v[168:169], v[86:87]
	v_add_f64 v[76:77], v[76:77], -v[84:85]
	s_delay_alu instid0(VALU_DEP_2) | instskip(NEXT) | instid1(VALU_DEP_1)
	v_fma_f64 v[168:169], v[170:171], v[176:177], v[168:169]
	v_add_f64 v[78:79], v[78:79], -v[168:169]
	;; [unrolled: 10-line block ×20, first 2 shown]
	ds_load_2addr_b64 v[168:171], v178 offset0:82 offset1:83
	s_waitcnt lgkmcnt(0)
	v_mul_f64 v[84:85], v[170:171], v[86:87]
	s_delay_alu instid0(VALU_DEP_1) | instskip(SKIP_1) | instid1(VALU_DEP_2)
	v_fma_f64 v[84:85], v[168:169], v[176:177], -v[84:85]
	v_mul_f64 v[168:169], v[168:169], v[86:87]
	v_add_f64 v[0:1], v[0:1], -v[84:85]
	s_delay_alu instid0(VALU_DEP_2) | instskip(SKIP_1) | instid1(VALU_DEP_2)
	v_fma_f64 v[168:169], v[170:171], v[176:177], v[168:169]
	v_dual_mov_b32 v84, v176 :: v_dual_mov_b32 v85, v177
	v_add_f64 v[2:3], v[2:3], -v[168:169]
.LBB82_440:
	s_or_b32 exec_lo, exec_lo, s2
	v_lshl_add_u32 v168, v184, 4, v178
	s_barrier
	buffer_gl0_inv
	v_mov_b32_e32 v176, 21
	ds_store_2addr_b64 v168, v[80:81], v[82:83] offset1:1
	s_waitcnt lgkmcnt(0)
	s_barrier
	buffer_gl0_inv
	ds_load_2addr_b64 v[168:171], v178 offset0:42 offset1:43
	s_cmp_lt_i32 s5, 23
	s_cbranch_scc1 .LBB82_443
; %bb.441:
	v_add3_u32 v177, v183, 0, 0x160
	v_mov_b32_e32 v176, 21
	s_mov_b32 s6, 22
	s_set_inst_prefetch_distance 0x1
	.p2align	6
.LBB82_442:                             ; =>This Inner Loop Header: Depth=1
	ds_load_2addr_b64 v[185:188], v177 offset1:1
	s_waitcnt lgkmcnt(1)
	v_cmp_gt_f64_e32 vcc_lo, 0, v[168:169]
	v_xor_b32_e32 v189, 0x80000000, v169
	v_cmp_gt_f64_e64 s2, 0, v[170:171]
	v_xor_b32_e32 v191, 0x80000000, v171
	v_add_nc_u32_e32 v177, 16, v177
	s_waitcnt lgkmcnt(0)
	v_cmp_gt_f64_e64 s3, 0, v[185:186]
	v_mov_b32_e32 v193, v185
	v_dual_mov_b32 v195, v187 :: v_dual_cndmask_b32 v190, v169, v189
	v_xor_b32_e32 v189, 0x80000000, v186
	v_cndmask_b32_e64 v192, v171, v191, s2
	v_xor_b32_e32 v191, 0x80000000, v188
	s_delay_alu instid0(VALU_DEP_3) | instskip(SKIP_2) | instid1(VALU_DEP_2)
	v_cndmask_b32_e64 v194, v186, v189, s3
	v_cmp_gt_f64_e64 s3, 0, v[187:188]
	v_cndmask_b32_e32 v189, v168, v168, vcc_lo
	v_cndmask_b32_e64 v196, v188, v191, s3
	v_cndmask_b32_e64 v191, v170, v170, s2
	s_delay_alu instid0(VALU_DEP_2) | instskip(NEXT) | instid1(VALU_DEP_2)
	v_add_f64 v[193:194], v[193:194], v[195:196]
	v_add_f64 v[189:190], v[189:190], v[191:192]
	s_delay_alu instid0(VALU_DEP_1) | instskip(SKIP_4) | instid1(SALU_CYCLE_1)
	v_cmp_lt_f64_e32 vcc_lo, v[189:190], v[193:194]
	v_dual_cndmask_b32 v170, v170, v187 :: v_dual_cndmask_b32 v169, v169, v186
	v_dual_cndmask_b32 v168, v168, v185 :: v_dual_cndmask_b32 v171, v171, v188
	v_cndmask_b32_e64 v176, v176, s6, vcc_lo
	s_add_i32 s6, s6, 1
	s_cmp_lg_u32 s5, s6
	s_cbranch_scc1 .LBB82_442
.LBB82_443:
	s_set_inst_prefetch_distance 0x2
	s_waitcnt lgkmcnt(0)
	v_cmp_eq_f64_e32 vcc_lo, 0, v[168:169]
	v_cmp_eq_f64_e64 s2, 0, v[170:171]
	s_delay_alu instid0(VALU_DEP_1) | instskip(NEXT) | instid1(SALU_CYCLE_1)
	s_and_b32 s2, vcc_lo, s2
	s_and_saveexec_b32 s3, s2
	s_delay_alu instid0(SALU_CYCLE_1)
	s_xor_b32 s2, exec_lo, s3
; %bb.444:
	v_cmp_ne_u32_e32 vcc_lo, 0, v182
	v_cndmask_b32_e32 v182, 22, v182, vcc_lo
; %bb.445:
	s_and_not1_saveexec_b32 s3, s2
	s_cbranch_execz .LBB82_451
; %bb.446:
	v_cmp_gt_f64_e32 vcc_lo, 0, v[168:169]
	v_cmp_gt_f64_e64 s2, 0, v[170:171]
	v_xor_b32_e32 v177, 0x80000000, v169
	v_xor_b32_e32 v185, 0x80000000, v171
	s_delay_alu instid0(VALU_DEP_2) | instskip(NEXT) | instid1(VALU_DEP_2)
	v_cndmask_b32_e32 v186, v169, v177, vcc_lo
	v_cndmask_b32_e64 v188, v171, v185, s2
	v_cndmask_b32_e32 v185, v168, v168, vcc_lo
	v_cndmask_b32_e64 v187, v170, v170, s2
	s_mov_b32 s2, exec_lo
	s_delay_alu instid0(VALU_DEP_1)
	v_cmpx_ngt_f64_e32 v[185:186], v[187:188]
	s_xor_b32 s2, exec_lo, s2
	s_cbranch_execz .LBB82_448
; %bb.447:
	v_div_scale_f64 v[185:186], null, v[170:171], v[170:171], v[168:169]
	v_div_scale_f64 v[191:192], vcc_lo, v[168:169], v[170:171], v[168:169]
	s_delay_alu instid0(VALU_DEP_2) | instskip(SKIP_2) | instid1(VALU_DEP_1)
	v_rcp_f64_e32 v[187:188], v[185:186]
	s_waitcnt_depctr 0xfff
	v_fma_f64 v[189:190], -v[185:186], v[187:188], 1.0
	v_fma_f64 v[187:188], v[187:188], v[189:190], v[187:188]
	s_delay_alu instid0(VALU_DEP_1) | instskip(NEXT) | instid1(VALU_DEP_1)
	v_fma_f64 v[189:190], -v[185:186], v[187:188], 1.0
	v_fma_f64 v[187:188], v[187:188], v[189:190], v[187:188]
	s_delay_alu instid0(VALU_DEP_1) | instskip(NEXT) | instid1(VALU_DEP_1)
	v_mul_f64 v[189:190], v[191:192], v[187:188]
	v_fma_f64 v[185:186], -v[185:186], v[189:190], v[191:192]
	s_delay_alu instid0(VALU_DEP_1) | instskip(NEXT) | instid1(VALU_DEP_1)
	v_div_fmas_f64 v[185:186], v[185:186], v[187:188], v[189:190]
	v_div_fixup_f64 v[185:186], v[185:186], v[170:171], v[168:169]
	s_delay_alu instid0(VALU_DEP_1) | instskip(NEXT) | instid1(VALU_DEP_1)
	v_fma_f64 v[168:169], v[168:169], v[185:186], v[170:171]
	v_div_scale_f64 v[170:171], null, v[168:169], v[168:169], 1.0
	s_delay_alu instid0(VALU_DEP_1) | instskip(SKIP_2) | instid1(VALU_DEP_1)
	v_rcp_f64_e32 v[187:188], v[170:171]
	s_waitcnt_depctr 0xfff
	v_fma_f64 v[189:190], -v[170:171], v[187:188], 1.0
	v_fma_f64 v[187:188], v[187:188], v[189:190], v[187:188]
	s_delay_alu instid0(VALU_DEP_1) | instskip(NEXT) | instid1(VALU_DEP_1)
	v_fma_f64 v[189:190], -v[170:171], v[187:188], 1.0
	v_fma_f64 v[187:188], v[187:188], v[189:190], v[187:188]
	v_div_scale_f64 v[189:190], vcc_lo, 1.0, v[168:169], 1.0
	s_delay_alu instid0(VALU_DEP_1) | instskip(NEXT) | instid1(VALU_DEP_1)
	v_mul_f64 v[191:192], v[189:190], v[187:188]
	v_fma_f64 v[170:171], -v[170:171], v[191:192], v[189:190]
	s_delay_alu instid0(VALU_DEP_1) | instskip(NEXT) | instid1(VALU_DEP_1)
	v_div_fmas_f64 v[170:171], v[170:171], v[187:188], v[191:192]
	v_div_fixup_f64 v[170:171], v[170:171], v[168:169], 1.0
	s_delay_alu instid0(VALU_DEP_1)
	v_mul_f64 v[168:169], v[185:186], v[170:171]
	v_xor_b32_e32 v171, 0x80000000, v171
.LBB82_448:
	s_and_not1_saveexec_b32 s2, s2
	s_cbranch_execz .LBB82_450
; %bb.449:
	s_delay_alu instid0(VALU_DEP_1) | instskip(SKIP_1) | instid1(VALU_DEP_2)
	v_div_scale_f64 v[185:186], null, v[168:169], v[168:169], v[170:171]
	v_div_scale_f64 v[191:192], vcc_lo, v[170:171], v[168:169], v[170:171]
	v_rcp_f64_e32 v[187:188], v[185:186]
	s_waitcnt_depctr 0xfff
	v_fma_f64 v[189:190], -v[185:186], v[187:188], 1.0
	s_delay_alu instid0(VALU_DEP_1) | instskip(NEXT) | instid1(VALU_DEP_1)
	v_fma_f64 v[187:188], v[187:188], v[189:190], v[187:188]
	v_fma_f64 v[189:190], -v[185:186], v[187:188], 1.0
	s_delay_alu instid0(VALU_DEP_1) | instskip(NEXT) | instid1(VALU_DEP_1)
	v_fma_f64 v[187:188], v[187:188], v[189:190], v[187:188]
	v_mul_f64 v[189:190], v[191:192], v[187:188]
	s_delay_alu instid0(VALU_DEP_1) | instskip(NEXT) | instid1(VALU_DEP_1)
	v_fma_f64 v[185:186], -v[185:186], v[189:190], v[191:192]
	v_div_fmas_f64 v[185:186], v[185:186], v[187:188], v[189:190]
	s_delay_alu instid0(VALU_DEP_1) | instskip(NEXT) | instid1(VALU_DEP_1)
	v_div_fixup_f64 v[185:186], v[185:186], v[168:169], v[170:171]
	v_fma_f64 v[168:169], v[170:171], v[185:186], v[168:169]
	s_delay_alu instid0(VALU_DEP_1) | instskip(NEXT) | instid1(VALU_DEP_1)
	v_div_scale_f64 v[170:171], null, v[168:169], v[168:169], 1.0
	v_rcp_f64_e32 v[187:188], v[170:171]
	s_waitcnt_depctr 0xfff
	v_fma_f64 v[189:190], -v[170:171], v[187:188], 1.0
	s_delay_alu instid0(VALU_DEP_1) | instskip(NEXT) | instid1(VALU_DEP_1)
	v_fma_f64 v[187:188], v[187:188], v[189:190], v[187:188]
	v_fma_f64 v[189:190], -v[170:171], v[187:188], 1.0
	s_delay_alu instid0(VALU_DEP_1) | instskip(SKIP_1) | instid1(VALU_DEP_1)
	v_fma_f64 v[187:188], v[187:188], v[189:190], v[187:188]
	v_div_scale_f64 v[189:190], vcc_lo, 1.0, v[168:169], 1.0
	v_mul_f64 v[191:192], v[189:190], v[187:188]
	s_delay_alu instid0(VALU_DEP_1) | instskip(NEXT) | instid1(VALU_DEP_1)
	v_fma_f64 v[170:171], -v[170:171], v[191:192], v[189:190]
	v_div_fmas_f64 v[170:171], v[170:171], v[187:188], v[191:192]
	s_delay_alu instid0(VALU_DEP_1) | instskip(NEXT) | instid1(VALU_DEP_1)
	v_div_fixup_f64 v[168:169], v[170:171], v[168:169], 1.0
	v_mul_f64 v[170:171], v[185:186], -v[168:169]
.LBB82_450:
	s_or_b32 exec_lo, exec_lo, s2
.LBB82_451:
	s_delay_alu instid0(SALU_CYCLE_1) | instskip(NEXT) | instid1(SALU_CYCLE_1)
	s_or_b32 exec_lo, exec_lo, s3
	s_mov_b32 s2, exec_lo
	v_cmpx_ne_u32_e64 v184, v176
	s_xor_b32 s2, exec_lo, s2
	s_cbranch_execz .LBB82_457
; %bb.452:
	s_mov_b32 s3, exec_lo
	v_cmpx_eq_u32_e32 21, v184
	s_cbranch_execz .LBB82_456
; %bb.453:
	v_cmp_ne_u32_e32 vcc_lo, 21, v176
	s_xor_b32 s6, s4, -1
	s_delay_alu instid0(SALU_CYCLE_1) | instskip(NEXT) | instid1(SALU_CYCLE_1)
	s_and_b32 s7, s6, vcc_lo
	s_and_saveexec_b32 s6, s7
	s_cbranch_execz .LBB82_455
; %bb.454:
	v_ashrrev_i32_e32 v177, 31, v176
	s_delay_alu instid0(VALU_DEP_1) | instskip(NEXT) | instid1(VALU_DEP_1)
	v_lshlrev_b64 v[184:185], 2, v[176:177]
	v_add_co_u32 v184, vcc_lo, v174, v184
	s_delay_alu instid0(VALU_DEP_2)
	v_add_co_ci_u32_e32 v185, vcc_lo, v175, v185, vcc_lo
	s_clause 0x1
	flat_load_b32 v177, v[184:185]
	flat_load_b32 v181, v[174:175] offset:84
	s_waitcnt vmcnt(1) lgkmcnt(1)
	flat_store_b32 v[174:175], v177 offset:84
	s_waitcnt vmcnt(0) lgkmcnt(1)
	flat_store_b32 v[184:185], v181
.LBB82_455:
	s_or_b32 exec_lo, exec_lo, s6
	v_mov_b32_e32 v184, v176
	v_mov_b32_e32 v181, v176
.LBB82_456:
	s_or_b32 exec_lo, exec_lo, s3
.LBB82_457:
	s_and_not1_saveexec_b32 s2, s2
	s_cbranch_execz .LBB82_459
; %bb.458:
	v_mov_b32_e32 v184, 21
	ds_store_2addr_b64 v178, v[76:77], v[78:79] offset0:44 offset1:45
	ds_store_2addr_b64 v178, v[72:73], v[74:75] offset0:46 offset1:47
	;; [unrolled: 1-line block ×20, first 2 shown]
.LBB82_459:
	s_or_b32 exec_lo, exec_lo, s2
	s_delay_alu instid0(SALU_CYCLE_1)
	s_mov_b32 s2, exec_lo
	s_waitcnt lgkmcnt(0)
	s_waitcnt_vscnt null, 0x0
	s_barrier
	buffer_gl0_inv
	v_cmpx_lt_i32_e32 21, v184
	s_cbranch_execz .LBB82_461
; %bb.460:
	v_mul_f64 v[176:177], v[170:171], v[82:83]
	v_mul_f64 v[82:83], v[168:169], v[82:83]
	s_delay_alu instid0(VALU_DEP_2) | instskip(NEXT) | instid1(VALU_DEP_2)
	v_fma_f64 v[176:177], v[168:169], v[80:81], -v[176:177]
	v_fma_f64 v[82:83], v[170:171], v[80:81], v[82:83]
	ds_load_2addr_b64 v[168:171], v178 offset0:44 offset1:45
	s_waitcnt lgkmcnt(0)
	v_mul_f64 v[80:81], v[170:171], v[82:83]
	s_delay_alu instid0(VALU_DEP_1) | instskip(SKIP_1) | instid1(VALU_DEP_2)
	v_fma_f64 v[80:81], v[168:169], v[176:177], -v[80:81]
	v_mul_f64 v[168:169], v[168:169], v[82:83]
	v_add_f64 v[76:77], v[76:77], -v[80:81]
	s_delay_alu instid0(VALU_DEP_2) | instskip(NEXT) | instid1(VALU_DEP_1)
	v_fma_f64 v[168:169], v[170:171], v[176:177], v[168:169]
	v_add_f64 v[78:79], v[78:79], -v[168:169]
	ds_load_2addr_b64 v[168:171], v178 offset0:46 offset1:47
	s_waitcnt lgkmcnt(0)
	v_mul_f64 v[80:81], v[170:171], v[82:83]
	s_delay_alu instid0(VALU_DEP_1) | instskip(SKIP_1) | instid1(VALU_DEP_2)
	v_fma_f64 v[80:81], v[168:169], v[176:177], -v[80:81]
	v_mul_f64 v[168:169], v[168:169], v[82:83]
	v_add_f64 v[72:73], v[72:73], -v[80:81]
	s_delay_alu instid0(VALU_DEP_2) | instskip(NEXT) | instid1(VALU_DEP_1)
	v_fma_f64 v[168:169], v[170:171], v[176:177], v[168:169]
	v_add_f64 v[74:75], v[74:75], -v[168:169]
	;; [unrolled: 10-line block ×19, first 2 shown]
	ds_load_2addr_b64 v[168:171], v178 offset0:82 offset1:83
	s_waitcnt lgkmcnt(0)
	v_mul_f64 v[80:81], v[170:171], v[82:83]
	s_delay_alu instid0(VALU_DEP_1) | instskip(SKIP_1) | instid1(VALU_DEP_2)
	v_fma_f64 v[80:81], v[168:169], v[176:177], -v[80:81]
	v_mul_f64 v[168:169], v[168:169], v[82:83]
	v_add_f64 v[0:1], v[0:1], -v[80:81]
	s_delay_alu instid0(VALU_DEP_2) | instskip(SKIP_1) | instid1(VALU_DEP_2)
	v_fma_f64 v[168:169], v[170:171], v[176:177], v[168:169]
	v_dual_mov_b32 v80, v176 :: v_dual_mov_b32 v81, v177
	v_add_f64 v[2:3], v[2:3], -v[168:169]
.LBB82_461:
	s_or_b32 exec_lo, exec_lo, s2
	v_lshl_add_u32 v168, v184, 4, v178
	s_barrier
	buffer_gl0_inv
	v_mov_b32_e32 v176, 22
	ds_store_2addr_b64 v168, v[76:77], v[78:79] offset1:1
	s_waitcnt lgkmcnt(0)
	s_barrier
	buffer_gl0_inv
	ds_load_2addr_b64 v[168:171], v178 offset0:44 offset1:45
	s_cmp_lt_i32 s5, 24
	s_cbranch_scc1 .LBB82_464
; %bb.462:
	v_add3_u32 v177, v183, 0, 0x170
	v_mov_b32_e32 v176, 22
	s_mov_b32 s6, 23
	s_set_inst_prefetch_distance 0x1
	.p2align	6
.LBB82_463:                             ; =>This Inner Loop Header: Depth=1
	ds_load_2addr_b64 v[185:188], v177 offset1:1
	s_waitcnt lgkmcnt(1)
	v_cmp_gt_f64_e32 vcc_lo, 0, v[168:169]
	v_xor_b32_e32 v189, 0x80000000, v169
	v_cmp_gt_f64_e64 s2, 0, v[170:171]
	v_xor_b32_e32 v191, 0x80000000, v171
	v_add_nc_u32_e32 v177, 16, v177
	s_waitcnt lgkmcnt(0)
	v_cmp_gt_f64_e64 s3, 0, v[185:186]
	v_mov_b32_e32 v193, v185
	v_dual_mov_b32 v195, v187 :: v_dual_cndmask_b32 v190, v169, v189
	v_xor_b32_e32 v189, 0x80000000, v186
	v_cndmask_b32_e64 v192, v171, v191, s2
	v_xor_b32_e32 v191, 0x80000000, v188
	s_delay_alu instid0(VALU_DEP_3) | instskip(SKIP_2) | instid1(VALU_DEP_2)
	v_cndmask_b32_e64 v194, v186, v189, s3
	v_cmp_gt_f64_e64 s3, 0, v[187:188]
	v_cndmask_b32_e32 v189, v168, v168, vcc_lo
	v_cndmask_b32_e64 v196, v188, v191, s3
	v_cndmask_b32_e64 v191, v170, v170, s2
	s_delay_alu instid0(VALU_DEP_2) | instskip(NEXT) | instid1(VALU_DEP_2)
	v_add_f64 v[193:194], v[193:194], v[195:196]
	v_add_f64 v[189:190], v[189:190], v[191:192]
	s_delay_alu instid0(VALU_DEP_1) | instskip(SKIP_4) | instid1(SALU_CYCLE_1)
	v_cmp_lt_f64_e32 vcc_lo, v[189:190], v[193:194]
	v_dual_cndmask_b32 v170, v170, v187 :: v_dual_cndmask_b32 v169, v169, v186
	v_dual_cndmask_b32 v168, v168, v185 :: v_dual_cndmask_b32 v171, v171, v188
	v_cndmask_b32_e64 v176, v176, s6, vcc_lo
	s_add_i32 s6, s6, 1
	s_cmp_lg_u32 s5, s6
	s_cbranch_scc1 .LBB82_463
.LBB82_464:
	s_set_inst_prefetch_distance 0x2
	s_waitcnt lgkmcnt(0)
	v_cmp_eq_f64_e32 vcc_lo, 0, v[168:169]
	v_cmp_eq_f64_e64 s2, 0, v[170:171]
	s_delay_alu instid0(VALU_DEP_1) | instskip(NEXT) | instid1(SALU_CYCLE_1)
	s_and_b32 s2, vcc_lo, s2
	s_and_saveexec_b32 s3, s2
	s_delay_alu instid0(SALU_CYCLE_1)
	s_xor_b32 s2, exec_lo, s3
; %bb.465:
	v_cmp_ne_u32_e32 vcc_lo, 0, v182
	v_cndmask_b32_e32 v182, 23, v182, vcc_lo
; %bb.466:
	s_and_not1_saveexec_b32 s3, s2
	s_cbranch_execz .LBB82_472
; %bb.467:
	v_cmp_gt_f64_e32 vcc_lo, 0, v[168:169]
	v_cmp_gt_f64_e64 s2, 0, v[170:171]
	v_xor_b32_e32 v177, 0x80000000, v169
	v_xor_b32_e32 v185, 0x80000000, v171
	s_delay_alu instid0(VALU_DEP_2) | instskip(NEXT) | instid1(VALU_DEP_2)
	v_cndmask_b32_e32 v186, v169, v177, vcc_lo
	v_cndmask_b32_e64 v188, v171, v185, s2
	v_cndmask_b32_e32 v185, v168, v168, vcc_lo
	v_cndmask_b32_e64 v187, v170, v170, s2
	s_mov_b32 s2, exec_lo
	s_delay_alu instid0(VALU_DEP_1)
	v_cmpx_ngt_f64_e32 v[185:186], v[187:188]
	s_xor_b32 s2, exec_lo, s2
	s_cbranch_execz .LBB82_469
; %bb.468:
	v_div_scale_f64 v[185:186], null, v[170:171], v[170:171], v[168:169]
	v_div_scale_f64 v[191:192], vcc_lo, v[168:169], v[170:171], v[168:169]
	s_delay_alu instid0(VALU_DEP_2) | instskip(SKIP_2) | instid1(VALU_DEP_1)
	v_rcp_f64_e32 v[187:188], v[185:186]
	s_waitcnt_depctr 0xfff
	v_fma_f64 v[189:190], -v[185:186], v[187:188], 1.0
	v_fma_f64 v[187:188], v[187:188], v[189:190], v[187:188]
	s_delay_alu instid0(VALU_DEP_1) | instskip(NEXT) | instid1(VALU_DEP_1)
	v_fma_f64 v[189:190], -v[185:186], v[187:188], 1.0
	v_fma_f64 v[187:188], v[187:188], v[189:190], v[187:188]
	s_delay_alu instid0(VALU_DEP_1) | instskip(NEXT) | instid1(VALU_DEP_1)
	v_mul_f64 v[189:190], v[191:192], v[187:188]
	v_fma_f64 v[185:186], -v[185:186], v[189:190], v[191:192]
	s_delay_alu instid0(VALU_DEP_1) | instskip(NEXT) | instid1(VALU_DEP_1)
	v_div_fmas_f64 v[185:186], v[185:186], v[187:188], v[189:190]
	v_div_fixup_f64 v[185:186], v[185:186], v[170:171], v[168:169]
	s_delay_alu instid0(VALU_DEP_1) | instskip(NEXT) | instid1(VALU_DEP_1)
	v_fma_f64 v[168:169], v[168:169], v[185:186], v[170:171]
	v_div_scale_f64 v[170:171], null, v[168:169], v[168:169], 1.0
	s_delay_alu instid0(VALU_DEP_1) | instskip(SKIP_2) | instid1(VALU_DEP_1)
	v_rcp_f64_e32 v[187:188], v[170:171]
	s_waitcnt_depctr 0xfff
	v_fma_f64 v[189:190], -v[170:171], v[187:188], 1.0
	v_fma_f64 v[187:188], v[187:188], v[189:190], v[187:188]
	s_delay_alu instid0(VALU_DEP_1) | instskip(NEXT) | instid1(VALU_DEP_1)
	v_fma_f64 v[189:190], -v[170:171], v[187:188], 1.0
	v_fma_f64 v[187:188], v[187:188], v[189:190], v[187:188]
	v_div_scale_f64 v[189:190], vcc_lo, 1.0, v[168:169], 1.0
	s_delay_alu instid0(VALU_DEP_1) | instskip(NEXT) | instid1(VALU_DEP_1)
	v_mul_f64 v[191:192], v[189:190], v[187:188]
	v_fma_f64 v[170:171], -v[170:171], v[191:192], v[189:190]
	s_delay_alu instid0(VALU_DEP_1) | instskip(NEXT) | instid1(VALU_DEP_1)
	v_div_fmas_f64 v[170:171], v[170:171], v[187:188], v[191:192]
	v_div_fixup_f64 v[170:171], v[170:171], v[168:169], 1.0
	s_delay_alu instid0(VALU_DEP_1)
	v_mul_f64 v[168:169], v[185:186], v[170:171]
	v_xor_b32_e32 v171, 0x80000000, v171
.LBB82_469:
	s_and_not1_saveexec_b32 s2, s2
	s_cbranch_execz .LBB82_471
; %bb.470:
	s_delay_alu instid0(VALU_DEP_1) | instskip(SKIP_1) | instid1(VALU_DEP_2)
	v_div_scale_f64 v[185:186], null, v[168:169], v[168:169], v[170:171]
	v_div_scale_f64 v[191:192], vcc_lo, v[170:171], v[168:169], v[170:171]
	v_rcp_f64_e32 v[187:188], v[185:186]
	s_waitcnt_depctr 0xfff
	v_fma_f64 v[189:190], -v[185:186], v[187:188], 1.0
	s_delay_alu instid0(VALU_DEP_1) | instskip(NEXT) | instid1(VALU_DEP_1)
	v_fma_f64 v[187:188], v[187:188], v[189:190], v[187:188]
	v_fma_f64 v[189:190], -v[185:186], v[187:188], 1.0
	s_delay_alu instid0(VALU_DEP_1) | instskip(NEXT) | instid1(VALU_DEP_1)
	v_fma_f64 v[187:188], v[187:188], v[189:190], v[187:188]
	v_mul_f64 v[189:190], v[191:192], v[187:188]
	s_delay_alu instid0(VALU_DEP_1) | instskip(NEXT) | instid1(VALU_DEP_1)
	v_fma_f64 v[185:186], -v[185:186], v[189:190], v[191:192]
	v_div_fmas_f64 v[185:186], v[185:186], v[187:188], v[189:190]
	s_delay_alu instid0(VALU_DEP_1) | instskip(NEXT) | instid1(VALU_DEP_1)
	v_div_fixup_f64 v[185:186], v[185:186], v[168:169], v[170:171]
	v_fma_f64 v[168:169], v[170:171], v[185:186], v[168:169]
	s_delay_alu instid0(VALU_DEP_1) | instskip(NEXT) | instid1(VALU_DEP_1)
	v_div_scale_f64 v[170:171], null, v[168:169], v[168:169], 1.0
	v_rcp_f64_e32 v[187:188], v[170:171]
	s_waitcnt_depctr 0xfff
	v_fma_f64 v[189:190], -v[170:171], v[187:188], 1.0
	s_delay_alu instid0(VALU_DEP_1) | instskip(NEXT) | instid1(VALU_DEP_1)
	v_fma_f64 v[187:188], v[187:188], v[189:190], v[187:188]
	v_fma_f64 v[189:190], -v[170:171], v[187:188], 1.0
	s_delay_alu instid0(VALU_DEP_1) | instskip(SKIP_1) | instid1(VALU_DEP_1)
	v_fma_f64 v[187:188], v[187:188], v[189:190], v[187:188]
	v_div_scale_f64 v[189:190], vcc_lo, 1.0, v[168:169], 1.0
	v_mul_f64 v[191:192], v[189:190], v[187:188]
	s_delay_alu instid0(VALU_DEP_1) | instskip(NEXT) | instid1(VALU_DEP_1)
	v_fma_f64 v[170:171], -v[170:171], v[191:192], v[189:190]
	v_div_fmas_f64 v[170:171], v[170:171], v[187:188], v[191:192]
	s_delay_alu instid0(VALU_DEP_1) | instskip(NEXT) | instid1(VALU_DEP_1)
	v_div_fixup_f64 v[168:169], v[170:171], v[168:169], 1.0
	v_mul_f64 v[170:171], v[185:186], -v[168:169]
.LBB82_471:
	s_or_b32 exec_lo, exec_lo, s2
.LBB82_472:
	s_delay_alu instid0(SALU_CYCLE_1) | instskip(NEXT) | instid1(SALU_CYCLE_1)
	s_or_b32 exec_lo, exec_lo, s3
	s_mov_b32 s2, exec_lo
	v_cmpx_ne_u32_e64 v184, v176
	s_xor_b32 s2, exec_lo, s2
	s_cbranch_execz .LBB82_478
; %bb.473:
	s_mov_b32 s3, exec_lo
	v_cmpx_eq_u32_e32 22, v184
	s_cbranch_execz .LBB82_477
; %bb.474:
	v_cmp_ne_u32_e32 vcc_lo, 22, v176
	s_xor_b32 s6, s4, -1
	s_delay_alu instid0(SALU_CYCLE_1) | instskip(NEXT) | instid1(SALU_CYCLE_1)
	s_and_b32 s7, s6, vcc_lo
	s_and_saveexec_b32 s6, s7
	s_cbranch_execz .LBB82_476
; %bb.475:
	v_ashrrev_i32_e32 v177, 31, v176
	s_delay_alu instid0(VALU_DEP_1) | instskip(NEXT) | instid1(VALU_DEP_1)
	v_lshlrev_b64 v[184:185], 2, v[176:177]
	v_add_co_u32 v184, vcc_lo, v174, v184
	s_delay_alu instid0(VALU_DEP_2)
	v_add_co_ci_u32_e32 v185, vcc_lo, v175, v185, vcc_lo
	s_clause 0x1
	flat_load_b32 v177, v[184:185]
	flat_load_b32 v181, v[174:175] offset:88
	s_waitcnt vmcnt(1) lgkmcnt(1)
	flat_store_b32 v[174:175], v177 offset:88
	s_waitcnt vmcnt(0) lgkmcnt(1)
	flat_store_b32 v[184:185], v181
.LBB82_476:
	s_or_b32 exec_lo, exec_lo, s6
	v_mov_b32_e32 v184, v176
	v_mov_b32_e32 v181, v176
.LBB82_477:
	s_or_b32 exec_lo, exec_lo, s3
.LBB82_478:
	s_and_not1_saveexec_b32 s2, s2
	s_cbranch_execz .LBB82_480
; %bb.479:
	v_mov_b32_e32 v184, 22
	ds_store_2addr_b64 v178, v[72:73], v[74:75] offset0:46 offset1:47
	ds_store_2addr_b64 v178, v[68:69], v[70:71] offset0:48 offset1:49
	;; [unrolled: 1-line block ×19, first 2 shown]
.LBB82_480:
	s_or_b32 exec_lo, exec_lo, s2
	s_delay_alu instid0(SALU_CYCLE_1)
	s_mov_b32 s2, exec_lo
	s_waitcnt lgkmcnt(0)
	s_waitcnt_vscnt null, 0x0
	s_barrier
	buffer_gl0_inv
	v_cmpx_lt_i32_e32 22, v184
	s_cbranch_execz .LBB82_482
; %bb.481:
	v_mul_f64 v[176:177], v[170:171], v[78:79]
	v_mul_f64 v[78:79], v[168:169], v[78:79]
	s_delay_alu instid0(VALU_DEP_2) | instskip(NEXT) | instid1(VALU_DEP_2)
	v_fma_f64 v[176:177], v[168:169], v[76:77], -v[176:177]
	v_fma_f64 v[78:79], v[170:171], v[76:77], v[78:79]
	ds_load_2addr_b64 v[168:171], v178 offset0:46 offset1:47
	s_waitcnt lgkmcnt(0)
	v_mul_f64 v[76:77], v[170:171], v[78:79]
	s_delay_alu instid0(VALU_DEP_1) | instskip(SKIP_1) | instid1(VALU_DEP_2)
	v_fma_f64 v[76:77], v[168:169], v[176:177], -v[76:77]
	v_mul_f64 v[168:169], v[168:169], v[78:79]
	v_add_f64 v[72:73], v[72:73], -v[76:77]
	s_delay_alu instid0(VALU_DEP_2) | instskip(NEXT) | instid1(VALU_DEP_1)
	v_fma_f64 v[168:169], v[170:171], v[176:177], v[168:169]
	v_add_f64 v[74:75], v[74:75], -v[168:169]
	ds_load_2addr_b64 v[168:171], v178 offset0:48 offset1:49
	s_waitcnt lgkmcnt(0)
	v_mul_f64 v[76:77], v[170:171], v[78:79]
	s_delay_alu instid0(VALU_DEP_1) | instskip(SKIP_1) | instid1(VALU_DEP_2)
	v_fma_f64 v[76:77], v[168:169], v[176:177], -v[76:77]
	v_mul_f64 v[168:169], v[168:169], v[78:79]
	v_add_f64 v[68:69], v[68:69], -v[76:77]
	s_delay_alu instid0(VALU_DEP_2) | instskip(NEXT) | instid1(VALU_DEP_1)
	v_fma_f64 v[168:169], v[170:171], v[176:177], v[168:169]
	v_add_f64 v[70:71], v[70:71], -v[168:169]
	;; [unrolled: 10-line block ×18, first 2 shown]
	ds_load_2addr_b64 v[168:171], v178 offset0:82 offset1:83
	s_waitcnt lgkmcnt(0)
	v_mul_f64 v[76:77], v[170:171], v[78:79]
	s_delay_alu instid0(VALU_DEP_1) | instskip(SKIP_1) | instid1(VALU_DEP_2)
	v_fma_f64 v[76:77], v[168:169], v[176:177], -v[76:77]
	v_mul_f64 v[168:169], v[168:169], v[78:79]
	v_add_f64 v[0:1], v[0:1], -v[76:77]
	s_delay_alu instid0(VALU_DEP_2) | instskip(SKIP_1) | instid1(VALU_DEP_2)
	v_fma_f64 v[168:169], v[170:171], v[176:177], v[168:169]
	v_dual_mov_b32 v76, v176 :: v_dual_mov_b32 v77, v177
	v_add_f64 v[2:3], v[2:3], -v[168:169]
.LBB82_482:
	s_or_b32 exec_lo, exec_lo, s2
	v_lshl_add_u32 v168, v184, 4, v178
	s_barrier
	buffer_gl0_inv
	v_mov_b32_e32 v176, 23
	ds_store_2addr_b64 v168, v[72:73], v[74:75] offset1:1
	s_waitcnt lgkmcnt(0)
	s_barrier
	buffer_gl0_inv
	ds_load_2addr_b64 v[168:171], v178 offset0:46 offset1:47
	s_cmp_lt_i32 s5, 25
	s_cbranch_scc1 .LBB82_485
; %bb.483:
	v_add3_u32 v177, v183, 0, 0x180
	v_mov_b32_e32 v176, 23
	s_mov_b32 s6, 24
	s_set_inst_prefetch_distance 0x1
	.p2align	6
.LBB82_484:                             ; =>This Inner Loop Header: Depth=1
	ds_load_2addr_b64 v[185:188], v177 offset1:1
	s_waitcnt lgkmcnt(1)
	v_cmp_gt_f64_e32 vcc_lo, 0, v[168:169]
	v_xor_b32_e32 v189, 0x80000000, v169
	v_cmp_gt_f64_e64 s2, 0, v[170:171]
	v_xor_b32_e32 v191, 0x80000000, v171
	v_add_nc_u32_e32 v177, 16, v177
	s_waitcnt lgkmcnt(0)
	v_cmp_gt_f64_e64 s3, 0, v[185:186]
	v_mov_b32_e32 v193, v185
	v_dual_mov_b32 v195, v187 :: v_dual_cndmask_b32 v190, v169, v189
	v_xor_b32_e32 v189, 0x80000000, v186
	v_cndmask_b32_e64 v192, v171, v191, s2
	v_xor_b32_e32 v191, 0x80000000, v188
	s_delay_alu instid0(VALU_DEP_3) | instskip(SKIP_2) | instid1(VALU_DEP_2)
	v_cndmask_b32_e64 v194, v186, v189, s3
	v_cmp_gt_f64_e64 s3, 0, v[187:188]
	v_cndmask_b32_e32 v189, v168, v168, vcc_lo
	v_cndmask_b32_e64 v196, v188, v191, s3
	v_cndmask_b32_e64 v191, v170, v170, s2
	s_delay_alu instid0(VALU_DEP_2) | instskip(NEXT) | instid1(VALU_DEP_2)
	v_add_f64 v[193:194], v[193:194], v[195:196]
	v_add_f64 v[189:190], v[189:190], v[191:192]
	s_delay_alu instid0(VALU_DEP_1) | instskip(SKIP_4) | instid1(SALU_CYCLE_1)
	v_cmp_lt_f64_e32 vcc_lo, v[189:190], v[193:194]
	v_dual_cndmask_b32 v170, v170, v187 :: v_dual_cndmask_b32 v169, v169, v186
	v_dual_cndmask_b32 v168, v168, v185 :: v_dual_cndmask_b32 v171, v171, v188
	v_cndmask_b32_e64 v176, v176, s6, vcc_lo
	s_add_i32 s6, s6, 1
	s_cmp_lg_u32 s5, s6
	s_cbranch_scc1 .LBB82_484
.LBB82_485:
	s_set_inst_prefetch_distance 0x2
	s_waitcnt lgkmcnt(0)
	v_cmp_eq_f64_e32 vcc_lo, 0, v[168:169]
	v_cmp_eq_f64_e64 s2, 0, v[170:171]
	s_delay_alu instid0(VALU_DEP_1) | instskip(NEXT) | instid1(SALU_CYCLE_1)
	s_and_b32 s2, vcc_lo, s2
	s_and_saveexec_b32 s3, s2
	s_delay_alu instid0(SALU_CYCLE_1)
	s_xor_b32 s2, exec_lo, s3
; %bb.486:
	v_cmp_ne_u32_e32 vcc_lo, 0, v182
	v_cndmask_b32_e32 v182, 24, v182, vcc_lo
; %bb.487:
	s_and_not1_saveexec_b32 s3, s2
	s_cbranch_execz .LBB82_493
; %bb.488:
	v_cmp_gt_f64_e32 vcc_lo, 0, v[168:169]
	v_cmp_gt_f64_e64 s2, 0, v[170:171]
	v_xor_b32_e32 v177, 0x80000000, v169
	v_xor_b32_e32 v185, 0x80000000, v171
	s_delay_alu instid0(VALU_DEP_2) | instskip(NEXT) | instid1(VALU_DEP_2)
	v_cndmask_b32_e32 v186, v169, v177, vcc_lo
	v_cndmask_b32_e64 v188, v171, v185, s2
	v_cndmask_b32_e32 v185, v168, v168, vcc_lo
	v_cndmask_b32_e64 v187, v170, v170, s2
	s_mov_b32 s2, exec_lo
	s_delay_alu instid0(VALU_DEP_1)
	v_cmpx_ngt_f64_e32 v[185:186], v[187:188]
	s_xor_b32 s2, exec_lo, s2
	s_cbranch_execz .LBB82_490
; %bb.489:
	v_div_scale_f64 v[185:186], null, v[170:171], v[170:171], v[168:169]
	v_div_scale_f64 v[191:192], vcc_lo, v[168:169], v[170:171], v[168:169]
	s_delay_alu instid0(VALU_DEP_2) | instskip(SKIP_2) | instid1(VALU_DEP_1)
	v_rcp_f64_e32 v[187:188], v[185:186]
	s_waitcnt_depctr 0xfff
	v_fma_f64 v[189:190], -v[185:186], v[187:188], 1.0
	v_fma_f64 v[187:188], v[187:188], v[189:190], v[187:188]
	s_delay_alu instid0(VALU_DEP_1) | instskip(NEXT) | instid1(VALU_DEP_1)
	v_fma_f64 v[189:190], -v[185:186], v[187:188], 1.0
	v_fma_f64 v[187:188], v[187:188], v[189:190], v[187:188]
	s_delay_alu instid0(VALU_DEP_1) | instskip(NEXT) | instid1(VALU_DEP_1)
	v_mul_f64 v[189:190], v[191:192], v[187:188]
	v_fma_f64 v[185:186], -v[185:186], v[189:190], v[191:192]
	s_delay_alu instid0(VALU_DEP_1) | instskip(NEXT) | instid1(VALU_DEP_1)
	v_div_fmas_f64 v[185:186], v[185:186], v[187:188], v[189:190]
	v_div_fixup_f64 v[185:186], v[185:186], v[170:171], v[168:169]
	s_delay_alu instid0(VALU_DEP_1) | instskip(NEXT) | instid1(VALU_DEP_1)
	v_fma_f64 v[168:169], v[168:169], v[185:186], v[170:171]
	v_div_scale_f64 v[170:171], null, v[168:169], v[168:169], 1.0
	s_delay_alu instid0(VALU_DEP_1) | instskip(SKIP_2) | instid1(VALU_DEP_1)
	v_rcp_f64_e32 v[187:188], v[170:171]
	s_waitcnt_depctr 0xfff
	v_fma_f64 v[189:190], -v[170:171], v[187:188], 1.0
	v_fma_f64 v[187:188], v[187:188], v[189:190], v[187:188]
	s_delay_alu instid0(VALU_DEP_1) | instskip(NEXT) | instid1(VALU_DEP_1)
	v_fma_f64 v[189:190], -v[170:171], v[187:188], 1.0
	v_fma_f64 v[187:188], v[187:188], v[189:190], v[187:188]
	v_div_scale_f64 v[189:190], vcc_lo, 1.0, v[168:169], 1.0
	s_delay_alu instid0(VALU_DEP_1) | instskip(NEXT) | instid1(VALU_DEP_1)
	v_mul_f64 v[191:192], v[189:190], v[187:188]
	v_fma_f64 v[170:171], -v[170:171], v[191:192], v[189:190]
	s_delay_alu instid0(VALU_DEP_1) | instskip(NEXT) | instid1(VALU_DEP_1)
	v_div_fmas_f64 v[170:171], v[170:171], v[187:188], v[191:192]
	v_div_fixup_f64 v[170:171], v[170:171], v[168:169], 1.0
	s_delay_alu instid0(VALU_DEP_1)
	v_mul_f64 v[168:169], v[185:186], v[170:171]
	v_xor_b32_e32 v171, 0x80000000, v171
.LBB82_490:
	s_and_not1_saveexec_b32 s2, s2
	s_cbranch_execz .LBB82_492
; %bb.491:
	s_delay_alu instid0(VALU_DEP_1) | instskip(SKIP_1) | instid1(VALU_DEP_2)
	v_div_scale_f64 v[185:186], null, v[168:169], v[168:169], v[170:171]
	v_div_scale_f64 v[191:192], vcc_lo, v[170:171], v[168:169], v[170:171]
	v_rcp_f64_e32 v[187:188], v[185:186]
	s_waitcnt_depctr 0xfff
	v_fma_f64 v[189:190], -v[185:186], v[187:188], 1.0
	s_delay_alu instid0(VALU_DEP_1) | instskip(NEXT) | instid1(VALU_DEP_1)
	v_fma_f64 v[187:188], v[187:188], v[189:190], v[187:188]
	v_fma_f64 v[189:190], -v[185:186], v[187:188], 1.0
	s_delay_alu instid0(VALU_DEP_1) | instskip(NEXT) | instid1(VALU_DEP_1)
	v_fma_f64 v[187:188], v[187:188], v[189:190], v[187:188]
	v_mul_f64 v[189:190], v[191:192], v[187:188]
	s_delay_alu instid0(VALU_DEP_1) | instskip(NEXT) | instid1(VALU_DEP_1)
	v_fma_f64 v[185:186], -v[185:186], v[189:190], v[191:192]
	v_div_fmas_f64 v[185:186], v[185:186], v[187:188], v[189:190]
	s_delay_alu instid0(VALU_DEP_1) | instskip(NEXT) | instid1(VALU_DEP_1)
	v_div_fixup_f64 v[185:186], v[185:186], v[168:169], v[170:171]
	v_fma_f64 v[168:169], v[170:171], v[185:186], v[168:169]
	s_delay_alu instid0(VALU_DEP_1) | instskip(NEXT) | instid1(VALU_DEP_1)
	v_div_scale_f64 v[170:171], null, v[168:169], v[168:169], 1.0
	v_rcp_f64_e32 v[187:188], v[170:171]
	s_waitcnt_depctr 0xfff
	v_fma_f64 v[189:190], -v[170:171], v[187:188], 1.0
	s_delay_alu instid0(VALU_DEP_1) | instskip(NEXT) | instid1(VALU_DEP_1)
	v_fma_f64 v[187:188], v[187:188], v[189:190], v[187:188]
	v_fma_f64 v[189:190], -v[170:171], v[187:188], 1.0
	s_delay_alu instid0(VALU_DEP_1) | instskip(SKIP_1) | instid1(VALU_DEP_1)
	v_fma_f64 v[187:188], v[187:188], v[189:190], v[187:188]
	v_div_scale_f64 v[189:190], vcc_lo, 1.0, v[168:169], 1.0
	v_mul_f64 v[191:192], v[189:190], v[187:188]
	s_delay_alu instid0(VALU_DEP_1) | instskip(NEXT) | instid1(VALU_DEP_1)
	v_fma_f64 v[170:171], -v[170:171], v[191:192], v[189:190]
	v_div_fmas_f64 v[170:171], v[170:171], v[187:188], v[191:192]
	s_delay_alu instid0(VALU_DEP_1) | instskip(NEXT) | instid1(VALU_DEP_1)
	v_div_fixup_f64 v[168:169], v[170:171], v[168:169], 1.0
	v_mul_f64 v[170:171], v[185:186], -v[168:169]
.LBB82_492:
	s_or_b32 exec_lo, exec_lo, s2
.LBB82_493:
	s_delay_alu instid0(SALU_CYCLE_1) | instskip(NEXT) | instid1(SALU_CYCLE_1)
	s_or_b32 exec_lo, exec_lo, s3
	s_mov_b32 s2, exec_lo
	v_cmpx_ne_u32_e64 v184, v176
	s_xor_b32 s2, exec_lo, s2
	s_cbranch_execz .LBB82_499
; %bb.494:
	s_mov_b32 s3, exec_lo
	v_cmpx_eq_u32_e32 23, v184
	s_cbranch_execz .LBB82_498
; %bb.495:
	v_cmp_ne_u32_e32 vcc_lo, 23, v176
	s_xor_b32 s6, s4, -1
	s_delay_alu instid0(SALU_CYCLE_1) | instskip(NEXT) | instid1(SALU_CYCLE_1)
	s_and_b32 s7, s6, vcc_lo
	s_and_saveexec_b32 s6, s7
	s_cbranch_execz .LBB82_497
; %bb.496:
	v_ashrrev_i32_e32 v177, 31, v176
	s_delay_alu instid0(VALU_DEP_1) | instskip(NEXT) | instid1(VALU_DEP_1)
	v_lshlrev_b64 v[184:185], 2, v[176:177]
	v_add_co_u32 v184, vcc_lo, v174, v184
	s_delay_alu instid0(VALU_DEP_2)
	v_add_co_ci_u32_e32 v185, vcc_lo, v175, v185, vcc_lo
	s_clause 0x1
	flat_load_b32 v177, v[184:185]
	flat_load_b32 v181, v[174:175] offset:92
	s_waitcnt vmcnt(1) lgkmcnt(1)
	flat_store_b32 v[174:175], v177 offset:92
	s_waitcnt vmcnt(0) lgkmcnt(1)
	flat_store_b32 v[184:185], v181
.LBB82_497:
	s_or_b32 exec_lo, exec_lo, s6
	v_mov_b32_e32 v184, v176
	v_mov_b32_e32 v181, v176
.LBB82_498:
	s_or_b32 exec_lo, exec_lo, s3
.LBB82_499:
	s_and_not1_saveexec_b32 s2, s2
	s_cbranch_execz .LBB82_501
; %bb.500:
	v_mov_b32_e32 v184, 23
	ds_store_2addr_b64 v178, v[68:69], v[70:71] offset0:48 offset1:49
	ds_store_2addr_b64 v178, v[64:65], v[66:67] offset0:50 offset1:51
	;; [unrolled: 1-line block ×18, first 2 shown]
.LBB82_501:
	s_or_b32 exec_lo, exec_lo, s2
	s_delay_alu instid0(SALU_CYCLE_1)
	s_mov_b32 s2, exec_lo
	s_waitcnt lgkmcnt(0)
	s_waitcnt_vscnt null, 0x0
	s_barrier
	buffer_gl0_inv
	v_cmpx_lt_i32_e32 23, v184
	s_cbranch_execz .LBB82_503
; %bb.502:
	v_mul_f64 v[176:177], v[170:171], v[74:75]
	v_mul_f64 v[74:75], v[168:169], v[74:75]
	s_delay_alu instid0(VALU_DEP_2) | instskip(NEXT) | instid1(VALU_DEP_2)
	v_fma_f64 v[176:177], v[168:169], v[72:73], -v[176:177]
	v_fma_f64 v[74:75], v[170:171], v[72:73], v[74:75]
	ds_load_2addr_b64 v[168:171], v178 offset0:48 offset1:49
	s_waitcnt lgkmcnt(0)
	v_mul_f64 v[72:73], v[170:171], v[74:75]
	s_delay_alu instid0(VALU_DEP_1) | instskip(SKIP_1) | instid1(VALU_DEP_2)
	v_fma_f64 v[72:73], v[168:169], v[176:177], -v[72:73]
	v_mul_f64 v[168:169], v[168:169], v[74:75]
	v_add_f64 v[68:69], v[68:69], -v[72:73]
	s_delay_alu instid0(VALU_DEP_2) | instskip(NEXT) | instid1(VALU_DEP_1)
	v_fma_f64 v[168:169], v[170:171], v[176:177], v[168:169]
	v_add_f64 v[70:71], v[70:71], -v[168:169]
	ds_load_2addr_b64 v[168:171], v178 offset0:50 offset1:51
	s_waitcnt lgkmcnt(0)
	v_mul_f64 v[72:73], v[170:171], v[74:75]
	s_delay_alu instid0(VALU_DEP_1) | instskip(SKIP_1) | instid1(VALU_DEP_2)
	v_fma_f64 v[72:73], v[168:169], v[176:177], -v[72:73]
	v_mul_f64 v[168:169], v[168:169], v[74:75]
	v_add_f64 v[64:65], v[64:65], -v[72:73]
	s_delay_alu instid0(VALU_DEP_2) | instskip(NEXT) | instid1(VALU_DEP_1)
	v_fma_f64 v[168:169], v[170:171], v[176:177], v[168:169]
	v_add_f64 v[66:67], v[66:67], -v[168:169]
	;; [unrolled: 10-line block ×17, first 2 shown]
	ds_load_2addr_b64 v[168:171], v178 offset0:82 offset1:83
	s_waitcnt lgkmcnt(0)
	v_mul_f64 v[72:73], v[170:171], v[74:75]
	s_delay_alu instid0(VALU_DEP_1) | instskip(SKIP_1) | instid1(VALU_DEP_2)
	v_fma_f64 v[72:73], v[168:169], v[176:177], -v[72:73]
	v_mul_f64 v[168:169], v[168:169], v[74:75]
	v_add_f64 v[0:1], v[0:1], -v[72:73]
	s_delay_alu instid0(VALU_DEP_2) | instskip(SKIP_1) | instid1(VALU_DEP_2)
	v_fma_f64 v[168:169], v[170:171], v[176:177], v[168:169]
	v_dual_mov_b32 v72, v176 :: v_dual_mov_b32 v73, v177
	v_add_f64 v[2:3], v[2:3], -v[168:169]
.LBB82_503:
	s_or_b32 exec_lo, exec_lo, s2
	v_lshl_add_u32 v168, v184, 4, v178
	s_barrier
	buffer_gl0_inv
	v_mov_b32_e32 v176, 24
	ds_store_2addr_b64 v168, v[68:69], v[70:71] offset1:1
	s_waitcnt lgkmcnt(0)
	s_barrier
	buffer_gl0_inv
	ds_load_2addr_b64 v[168:171], v178 offset0:48 offset1:49
	s_cmp_lt_i32 s5, 26
	s_cbranch_scc1 .LBB82_506
; %bb.504:
	v_add3_u32 v177, v183, 0, 0x190
	v_mov_b32_e32 v176, 24
	s_mov_b32 s6, 25
	s_set_inst_prefetch_distance 0x1
	.p2align	6
.LBB82_505:                             ; =>This Inner Loop Header: Depth=1
	ds_load_2addr_b64 v[185:188], v177 offset1:1
	s_waitcnt lgkmcnt(1)
	v_cmp_gt_f64_e32 vcc_lo, 0, v[168:169]
	v_xor_b32_e32 v189, 0x80000000, v169
	v_cmp_gt_f64_e64 s2, 0, v[170:171]
	v_xor_b32_e32 v191, 0x80000000, v171
	v_add_nc_u32_e32 v177, 16, v177
	s_waitcnt lgkmcnt(0)
	v_cmp_gt_f64_e64 s3, 0, v[185:186]
	v_mov_b32_e32 v193, v185
	v_dual_mov_b32 v195, v187 :: v_dual_cndmask_b32 v190, v169, v189
	v_xor_b32_e32 v189, 0x80000000, v186
	v_cndmask_b32_e64 v192, v171, v191, s2
	v_xor_b32_e32 v191, 0x80000000, v188
	s_delay_alu instid0(VALU_DEP_3) | instskip(SKIP_2) | instid1(VALU_DEP_2)
	v_cndmask_b32_e64 v194, v186, v189, s3
	v_cmp_gt_f64_e64 s3, 0, v[187:188]
	v_cndmask_b32_e32 v189, v168, v168, vcc_lo
	v_cndmask_b32_e64 v196, v188, v191, s3
	v_cndmask_b32_e64 v191, v170, v170, s2
	s_delay_alu instid0(VALU_DEP_2) | instskip(NEXT) | instid1(VALU_DEP_2)
	v_add_f64 v[193:194], v[193:194], v[195:196]
	v_add_f64 v[189:190], v[189:190], v[191:192]
	s_delay_alu instid0(VALU_DEP_1) | instskip(SKIP_4) | instid1(SALU_CYCLE_1)
	v_cmp_lt_f64_e32 vcc_lo, v[189:190], v[193:194]
	v_dual_cndmask_b32 v170, v170, v187 :: v_dual_cndmask_b32 v169, v169, v186
	v_dual_cndmask_b32 v168, v168, v185 :: v_dual_cndmask_b32 v171, v171, v188
	v_cndmask_b32_e64 v176, v176, s6, vcc_lo
	s_add_i32 s6, s6, 1
	s_cmp_lg_u32 s5, s6
	s_cbranch_scc1 .LBB82_505
.LBB82_506:
	s_set_inst_prefetch_distance 0x2
	s_waitcnt lgkmcnt(0)
	v_cmp_eq_f64_e32 vcc_lo, 0, v[168:169]
	v_cmp_eq_f64_e64 s2, 0, v[170:171]
	s_delay_alu instid0(VALU_DEP_1) | instskip(NEXT) | instid1(SALU_CYCLE_1)
	s_and_b32 s2, vcc_lo, s2
	s_and_saveexec_b32 s3, s2
	s_delay_alu instid0(SALU_CYCLE_1)
	s_xor_b32 s2, exec_lo, s3
; %bb.507:
	v_cmp_ne_u32_e32 vcc_lo, 0, v182
	v_cndmask_b32_e32 v182, 25, v182, vcc_lo
; %bb.508:
	s_and_not1_saveexec_b32 s3, s2
	s_cbranch_execz .LBB82_514
; %bb.509:
	v_cmp_gt_f64_e32 vcc_lo, 0, v[168:169]
	v_cmp_gt_f64_e64 s2, 0, v[170:171]
	v_xor_b32_e32 v177, 0x80000000, v169
	v_xor_b32_e32 v185, 0x80000000, v171
	s_delay_alu instid0(VALU_DEP_2) | instskip(NEXT) | instid1(VALU_DEP_2)
	v_cndmask_b32_e32 v186, v169, v177, vcc_lo
	v_cndmask_b32_e64 v188, v171, v185, s2
	v_cndmask_b32_e32 v185, v168, v168, vcc_lo
	v_cndmask_b32_e64 v187, v170, v170, s2
	s_mov_b32 s2, exec_lo
	s_delay_alu instid0(VALU_DEP_1)
	v_cmpx_ngt_f64_e32 v[185:186], v[187:188]
	s_xor_b32 s2, exec_lo, s2
	s_cbranch_execz .LBB82_511
; %bb.510:
	v_div_scale_f64 v[185:186], null, v[170:171], v[170:171], v[168:169]
	v_div_scale_f64 v[191:192], vcc_lo, v[168:169], v[170:171], v[168:169]
	s_delay_alu instid0(VALU_DEP_2) | instskip(SKIP_2) | instid1(VALU_DEP_1)
	v_rcp_f64_e32 v[187:188], v[185:186]
	s_waitcnt_depctr 0xfff
	v_fma_f64 v[189:190], -v[185:186], v[187:188], 1.0
	v_fma_f64 v[187:188], v[187:188], v[189:190], v[187:188]
	s_delay_alu instid0(VALU_DEP_1) | instskip(NEXT) | instid1(VALU_DEP_1)
	v_fma_f64 v[189:190], -v[185:186], v[187:188], 1.0
	v_fma_f64 v[187:188], v[187:188], v[189:190], v[187:188]
	s_delay_alu instid0(VALU_DEP_1) | instskip(NEXT) | instid1(VALU_DEP_1)
	v_mul_f64 v[189:190], v[191:192], v[187:188]
	v_fma_f64 v[185:186], -v[185:186], v[189:190], v[191:192]
	s_delay_alu instid0(VALU_DEP_1) | instskip(NEXT) | instid1(VALU_DEP_1)
	v_div_fmas_f64 v[185:186], v[185:186], v[187:188], v[189:190]
	v_div_fixup_f64 v[185:186], v[185:186], v[170:171], v[168:169]
	s_delay_alu instid0(VALU_DEP_1) | instskip(NEXT) | instid1(VALU_DEP_1)
	v_fma_f64 v[168:169], v[168:169], v[185:186], v[170:171]
	v_div_scale_f64 v[170:171], null, v[168:169], v[168:169], 1.0
	s_delay_alu instid0(VALU_DEP_1) | instskip(SKIP_2) | instid1(VALU_DEP_1)
	v_rcp_f64_e32 v[187:188], v[170:171]
	s_waitcnt_depctr 0xfff
	v_fma_f64 v[189:190], -v[170:171], v[187:188], 1.0
	v_fma_f64 v[187:188], v[187:188], v[189:190], v[187:188]
	s_delay_alu instid0(VALU_DEP_1) | instskip(NEXT) | instid1(VALU_DEP_1)
	v_fma_f64 v[189:190], -v[170:171], v[187:188], 1.0
	v_fma_f64 v[187:188], v[187:188], v[189:190], v[187:188]
	v_div_scale_f64 v[189:190], vcc_lo, 1.0, v[168:169], 1.0
	s_delay_alu instid0(VALU_DEP_1) | instskip(NEXT) | instid1(VALU_DEP_1)
	v_mul_f64 v[191:192], v[189:190], v[187:188]
	v_fma_f64 v[170:171], -v[170:171], v[191:192], v[189:190]
	s_delay_alu instid0(VALU_DEP_1) | instskip(NEXT) | instid1(VALU_DEP_1)
	v_div_fmas_f64 v[170:171], v[170:171], v[187:188], v[191:192]
	v_div_fixup_f64 v[170:171], v[170:171], v[168:169], 1.0
	s_delay_alu instid0(VALU_DEP_1)
	v_mul_f64 v[168:169], v[185:186], v[170:171]
	v_xor_b32_e32 v171, 0x80000000, v171
.LBB82_511:
	s_and_not1_saveexec_b32 s2, s2
	s_cbranch_execz .LBB82_513
; %bb.512:
	s_delay_alu instid0(VALU_DEP_1) | instskip(SKIP_1) | instid1(VALU_DEP_2)
	v_div_scale_f64 v[185:186], null, v[168:169], v[168:169], v[170:171]
	v_div_scale_f64 v[191:192], vcc_lo, v[170:171], v[168:169], v[170:171]
	v_rcp_f64_e32 v[187:188], v[185:186]
	s_waitcnt_depctr 0xfff
	v_fma_f64 v[189:190], -v[185:186], v[187:188], 1.0
	s_delay_alu instid0(VALU_DEP_1) | instskip(NEXT) | instid1(VALU_DEP_1)
	v_fma_f64 v[187:188], v[187:188], v[189:190], v[187:188]
	v_fma_f64 v[189:190], -v[185:186], v[187:188], 1.0
	s_delay_alu instid0(VALU_DEP_1) | instskip(NEXT) | instid1(VALU_DEP_1)
	v_fma_f64 v[187:188], v[187:188], v[189:190], v[187:188]
	v_mul_f64 v[189:190], v[191:192], v[187:188]
	s_delay_alu instid0(VALU_DEP_1) | instskip(NEXT) | instid1(VALU_DEP_1)
	v_fma_f64 v[185:186], -v[185:186], v[189:190], v[191:192]
	v_div_fmas_f64 v[185:186], v[185:186], v[187:188], v[189:190]
	s_delay_alu instid0(VALU_DEP_1) | instskip(NEXT) | instid1(VALU_DEP_1)
	v_div_fixup_f64 v[185:186], v[185:186], v[168:169], v[170:171]
	v_fma_f64 v[168:169], v[170:171], v[185:186], v[168:169]
	s_delay_alu instid0(VALU_DEP_1) | instskip(NEXT) | instid1(VALU_DEP_1)
	v_div_scale_f64 v[170:171], null, v[168:169], v[168:169], 1.0
	v_rcp_f64_e32 v[187:188], v[170:171]
	s_waitcnt_depctr 0xfff
	v_fma_f64 v[189:190], -v[170:171], v[187:188], 1.0
	s_delay_alu instid0(VALU_DEP_1) | instskip(NEXT) | instid1(VALU_DEP_1)
	v_fma_f64 v[187:188], v[187:188], v[189:190], v[187:188]
	v_fma_f64 v[189:190], -v[170:171], v[187:188], 1.0
	s_delay_alu instid0(VALU_DEP_1) | instskip(SKIP_1) | instid1(VALU_DEP_1)
	v_fma_f64 v[187:188], v[187:188], v[189:190], v[187:188]
	v_div_scale_f64 v[189:190], vcc_lo, 1.0, v[168:169], 1.0
	v_mul_f64 v[191:192], v[189:190], v[187:188]
	s_delay_alu instid0(VALU_DEP_1) | instskip(NEXT) | instid1(VALU_DEP_1)
	v_fma_f64 v[170:171], -v[170:171], v[191:192], v[189:190]
	v_div_fmas_f64 v[170:171], v[170:171], v[187:188], v[191:192]
	s_delay_alu instid0(VALU_DEP_1) | instskip(NEXT) | instid1(VALU_DEP_1)
	v_div_fixup_f64 v[168:169], v[170:171], v[168:169], 1.0
	v_mul_f64 v[170:171], v[185:186], -v[168:169]
.LBB82_513:
	s_or_b32 exec_lo, exec_lo, s2
.LBB82_514:
	s_delay_alu instid0(SALU_CYCLE_1) | instskip(NEXT) | instid1(SALU_CYCLE_1)
	s_or_b32 exec_lo, exec_lo, s3
	s_mov_b32 s2, exec_lo
	v_cmpx_ne_u32_e64 v184, v176
	s_xor_b32 s2, exec_lo, s2
	s_cbranch_execz .LBB82_520
; %bb.515:
	s_mov_b32 s3, exec_lo
	v_cmpx_eq_u32_e32 24, v184
	s_cbranch_execz .LBB82_519
; %bb.516:
	v_cmp_ne_u32_e32 vcc_lo, 24, v176
	s_xor_b32 s6, s4, -1
	s_delay_alu instid0(SALU_CYCLE_1) | instskip(NEXT) | instid1(SALU_CYCLE_1)
	s_and_b32 s7, s6, vcc_lo
	s_and_saveexec_b32 s6, s7
	s_cbranch_execz .LBB82_518
; %bb.517:
	v_ashrrev_i32_e32 v177, 31, v176
	s_delay_alu instid0(VALU_DEP_1) | instskip(NEXT) | instid1(VALU_DEP_1)
	v_lshlrev_b64 v[184:185], 2, v[176:177]
	v_add_co_u32 v184, vcc_lo, v174, v184
	s_delay_alu instid0(VALU_DEP_2)
	v_add_co_ci_u32_e32 v185, vcc_lo, v175, v185, vcc_lo
	s_clause 0x1
	flat_load_b32 v177, v[184:185]
	flat_load_b32 v181, v[174:175] offset:96
	s_waitcnt vmcnt(1) lgkmcnt(1)
	flat_store_b32 v[174:175], v177 offset:96
	s_waitcnt vmcnt(0) lgkmcnt(1)
	flat_store_b32 v[184:185], v181
.LBB82_518:
	s_or_b32 exec_lo, exec_lo, s6
	v_mov_b32_e32 v184, v176
	v_mov_b32_e32 v181, v176
.LBB82_519:
	s_or_b32 exec_lo, exec_lo, s3
.LBB82_520:
	s_and_not1_saveexec_b32 s2, s2
	s_cbranch_execz .LBB82_522
; %bb.521:
	v_mov_b32_e32 v184, 24
	ds_store_2addr_b64 v178, v[64:65], v[66:67] offset0:50 offset1:51
	ds_store_2addr_b64 v178, v[60:61], v[62:63] offset0:52 offset1:53
	;; [unrolled: 1-line block ×17, first 2 shown]
.LBB82_522:
	s_or_b32 exec_lo, exec_lo, s2
	s_delay_alu instid0(SALU_CYCLE_1)
	s_mov_b32 s2, exec_lo
	s_waitcnt lgkmcnt(0)
	s_waitcnt_vscnt null, 0x0
	s_barrier
	buffer_gl0_inv
	v_cmpx_lt_i32_e32 24, v184
	s_cbranch_execz .LBB82_524
; %bb.523:
	v_mul_f64 v[176:177], v[170:171], v[70:71]
	v_mul_f64 v[70:71], v[168:169], v[70:71]
	s_delay_alu instid0(VALU_DEP_2) | instskip(NEXT) | instid1(VALU_DEP_2)
	v_fma_f64 v[176:177], v[168:169], v[68:69], -v[176:177]
	v_fma_f64 v[70:71], v[170:171], v[68:69], v[70:71]
	ds_load_2addr_b64 v[168:171], v178 offset0:50 offset1:51
	s_waitcnt lgkmcnt(0)
	v_mul_f64 v[68:69], v[170:171], v[70:71]
	s_delay_alu instid0(VALU_DEP_1) | instskip(SKIP_1) | instid1(VALU_DEP_2)
	v_fma_f64 v[68:69], v[168:169], v[176:177], -v[68:69]
	v_mul_f64 v[168:169], v[168:169], v[70:71]
	v_add_f64 v[64:65], v[64:65], -v[68:69]
	s_delay_alu instid0(VALU_DEP_2) | instskip(NEXT) | instid1(VALU_DEP_1)
	v_fma_f64 v[168:169], v[170:171], v[176:177], v[168:169]
	v_add_f64 v[66:67], v[66:67], -v[168:169]
	ds_load_2addr_b64 v[168:171], v178 offset0:52 offset1:53
	s_waitcnt lgkmcnt(0)
	v_mul_f64 v[68:69], v[170:171], v[70:71]
	s_delay_alu instid0(VALU_DEP_1) | instskip(SKIP_1) | instid1(VALU_DEP_2)
	v_fma_f64 v[68:69], v[168:169], v[176:177], -v[68:69]
	v_mul_f64 v[168:169], v[168:169], v[70:71]
	v_add_f64 v[60:61], v[60:61], -v[68:69]
	s_delay_alu instid0(VALU_DEP_2) | instskip(NEXT) | instid1(VALU_DEP_1)
	v_fma_f64 v[168:169], v[170:171], v[176:177], v[168:169]
	v_add_f64 v[62:63], v[62:63], -v[168:169]
	;; [unrolled: 10-line block ×16, first 2 shown]
	ds_load_2addr_b64 v[168:171], v178 offset0:82 offset1:83
	s_waitcnt lgkmcnt(0)
	v_mul_f64 v[68:69], v[170:171], v[70:71]
	s_delay_alu instid0(VALU_DEP_1) | instskip(SKIP_1) | instid1(VALU_DEP_2)
	v_fma_f64 v[68:69], v[168:169], v[176:177], -v[68:69]
	v_mul_f64 v[168:169], v[168:169], v[70:71]
	v_add_f64 v[0:1], v[0:1], -v[68:69]
	s_delay_alu instid0(VALU_DEP_2) | instskip(SKIP_1) | instid1(VALU_DEP_2)
	v_fma_f64 v[168:169], v[170:171], v[176:177], v[168:169]
	v_dual_mov_b32 v68, v176 :: v_dual_mov_b32 v69, v177
	v_add_f64 v[2:3], v[2:3], -v[168:169]
.LBB82_524:
	s_or_b32 exec_lo, exec_lo, s2
	v_lshl_add_u32 v168, v184, 4, v178
	s_barrier
	buffer_gl0_inv
	v_mov_b32_e32 v176, 25
	ds_store_2addr_b64 v168, v[64:65], v[66:67] offset1:1
	s_waitcnt lgkmcnt(0)
	s_barrier
	buffer_gl0_inv
	ds_load_2addr_b64 v[168:171], v178 offset0:50 offset1:51
	s_cmp_lt_i32 s5, 27
	s_cbranch_scc1 .LBB82_527
; %bb.525:
	v_add3_u32 v177, v183, 0, 0x1a0
	v_mov_b32_e32 v176, 25
	s_mov_b32 s6, 26
	s_set_inst_prefetch_distance 0x1
	.p2align	6
.LBB82_526:                             ; =>This Inner Loop Header: Depth=1
	ds_load_2addr_b64 v[185:188], v177 offset1:1
	s_waitcnt lgkmcnt(1)
	v_cmp_gt_f64_e32 vcc_lo, 0, v[168:169]
	v_xor_b32_e32 v189, 0x80000000, v169
	v_cmp_gt_f64_e64 s2, 0, v[170:171]
	v_xor_b32_e32 v191, 0x80000000, v171
	v_add_nc_u32_e32 v177, 16, v177
	s_waitcnt lgkmcnt(0)
	v_cmp_gt_f64_e64 s3, 0, v[185:186]
	v_mov_b32_e32 v193, v185
	v_dual_mov_b32 v195, v187 :: v_dual_cndmask_b32 v190, v169, v189
	v_xor_b32_e32 v189, 0x80000000, v186
	v_cndmask_b32_e64 v192, v171, v191, s2
	v_xor_b32_e32 v191, 0x80000000, v188
	s_delay_alu instid0(VALU_DEP_3) | instskip(SKIP_2) | instid1(VALU_DEP_2)
	v_cndmask_b32_e64 v194, v186, v189, s3
	v_cmp_gt_f64_e64 s3, 0, v[187:188]
	v_cndmask_b32_e32 v189, v168, v168, vcc_lo
	v_cndmask_b32_e64 v196, v188, v191, s3
	v_cndmask_b32_e64 v191, v170, v170, s2
	s_delay_alu instid0(VALU_DEP_2) | instskip(NEXT) | instid1(VALU_DEP_2)
	v_add_f64 v[193:194], v[193:194], v[195:196]
	v_add_f64 v[189:190], v[189:190], v[191:192]
	s_delay_alu instid0(VALU_DEP_1) | instskip(SKIP_4) | instid1(SALU_CYCLE_1)
	v_cmp_lt_f64_e32 vcc_lo, v[189:190], v[193:194]
	v_dual_cndmask_b32 v170, v170, v187 :: v_dual_cndmask_b32 v169, v169, v186
	v_dual_cndmask_b32 v168, v168, v185 :: v_dual_cndmask_b32 v171, v171, v188
	v_cndmask_b32_e64 v176, v176, s6, vcc_lo
	s_add_i32 s6, s6, 1
	s_cmp_lg_u32 s5, s6
	s_cbranch_scc1 .LBB82_526
.LBB82_527:
	s_set_inst_prefetch_distance 0x2
	s_waitcnt lgkmcnt(0)
	v_cmp_eq_f64_e32 vcc_lo, 0, v[168:169]
	v_cmp_eq_f64_e64 s2, 0, v[170:171]
	s_delay_alu instid0(VALU_DEP_1) | instskip(NEXT) | instid1(SALU_CYCLE_1)
	s_and_b32 s2, vcc_lo, s2
	s_and_saveexec_b32 s3, s2
	s_delay_alu instid0(SALU_CYCLE_1)
	s_xor_b32 s2, exec_lo, s3
; %bb.528:
	v_cmp_ne_u32_e32 vcc_lo, 0, v182
	v_cndmask_b32_e32 v182, 26, v182, vcc_lo
; %bb.529:
	s_and_not1_saveexec_b32 s3, s2
	s_cbranch_execz .LBB82_535
; %bb.530:
	v_cmp_gt_f64_e32 vcc_lo, 0, v[168:169]
	v_cmp_gt_f64_e64 s2, 0, v[170:171]
	v_xor_b32_e32 v177, 0x80000000, v169
	v_xor_b32_e32 v185, 0x80000000, v171
	s_delay_alu instid0(VALU_DEP_2) | instskip(NEXT) | instid1(VALU_DEP_2)
	v_cndmask_b32_e32 v186, v169, v177, vcc_lo
	v_cndmask_b32_e64 v188, v171, v185, s2
	v_cndmask_b32_e32 v185, v168, v168, vcc_lo
	v_cndmask_b32_e64 v187, v170, v170, s2
	s_mov_b32 s2, exec_lo
	s_delay_alu instid0(VALU_DEP_1)
	v_cmpx_ngt_f64_e32 v[185:186], v[187:188]
	s_xor_b32 s2, exec_lo, s2
	s_cbranch_execz .LBB82_532
; %bb.531:
	v_div_scale_f64 v[185:186], null, v[170:171], v[170:171], v[168:169]
	v_div_scale_f64 v[191:192], vcc_lo, v[168:169], v[170:171], v[168:169]
	s_delay_alu instid0(VALU_DEP_2) | instskip(SKIP_2) | instid1(VALU_DEP_1)
	v_rcp_f64_e32 v[187:188], v[185:186]
	s_waitcnt_depctr 0xfff
	v_fma_f64 v[189:190], -v[185:186], v[187:188], 1.0
	v_fma_f64 v[187:188], v[187:188], v[189:190], v[187:188]
	s_delay_alu instid0(VALU_DEP_1) | instskip(NEXT) | instid1(VALU_DEP_1)
	v_fma_f64 v[189:190], -v[185:186], v[187:188], 1.0
	v_fma_f64 v[187:188], v[187:188], v[189:190], v[187:188]
	s_delay_alu instid0(VALU_DEP_1) | instskip(NEXT) | instid1(VALU_DEP_1)
	v_mul_f64 v[189:190], v[191:192], v[187:188]
	v_fma_f64 v[185:186], -v[185:186], v[189:190], v[191:192]
	s_delay_alu instid0(VALU_DEP_1) | instskip(NEXT) | instid1(VALU_DEP_1)
	v_div_fmas_f64 v[185:186], v[185:186], v[187:188], v[189:190]
	v_div_fixup_f64 v[185:186], v[185:186], v[170:171], v[168:169]
	s_delay_alu instid0(VALU_DEP_1) | instskip(NEXT) | instid1(VALU_DEP_1)
	v_fma_f64 v[168:169], v[168:169], v[185:186], v[170:171]
	v_div_scale_f64 v[170:171], null, v[168:169], v[168:169], 1.0
	s_delay_alu instid0(VALU_DEP_1) | instskip(SKIP_2) | instid1(VALU_DEP_1)
	v_rcp_f64_e32 v[187:188], v[170:171]
	s_waitcnt_depctr 0xfff
	v_fma_f64 v[189:190], -v[170:171], v[187:188], 1.0
	v_fma_f64 v[187:188], v[187:188], v[189:190], v[187:188]
	s_delay_alu instid0(VALU_DEP_1) | instskip(NEXT) | instid1(VALU_DEP_1)
	v_fma_f64 v[189:190], -v[170:171], v[187:188], 1.0
	v_fma_f64 v[187:188], v[187:188], v[189:190], v[187:188]
	v_div_scale_f64 v[189:190], vcc_lo, 1.0, v[168:169], 1.0
	s_delay_alu instid0(VALU_DEP_1) | instskip(NEXT) | instid1(VALU_DEP_1)
	v_mul_f64 v[191:192], v[189:190], v[187:188]
	v_fma_f64 v[170:171], -v[170:171], v[191:192], v[189:190]
	s_delay_alu instid0(VALU_DEP_1) | instskip(NEXT) | instid1(VALU_DEP_1)
	v_div_fmas_f64 v[170:171], v[170:171], v[187:188], v[191:192]
	v_div_fixup_f64 v[170:171], v[170:171], v[168:169], 1.0
	s_delay_alu instid0(VALU_DEP_1)
	v_mul_f64 v[168:169], v[185:186], v[170:171]
	v_xor_b32_e32 v171, 0x80000000, v171
.LBB82_532:
	s_and_not1_saveexec_b32 s2, s2
	s_cbranch_execz .LBB82_534
; %bb.533:
	s_delay_alu instid0(VALU_DEP_1) | instskip(SKIP_1) | instid1(VALU_DEP_2)
	v_div_scale_f64 v[185:186], null, v[168:169], v[168:169], v[170:171]
	v_div_scale_f64 v[191:192], vcc_lo, v[170:171], v[168:169], v[170:171]
	v_rcp_f64_e32 v[187:188], v[185:186]
	s_waitcnt_depctr 0xfff
	v_fma_f64 v[189:190], -v[185:186], v[187:188], 1.0
	s_delay_alu instid0(VALU_DEP_1) | instskip(NEXT) | instid1(VALU_DEP_1)
	v_fma_f64 v[187:188], v[187:188], v[189:190], v[187:188]
	v_fma_f64 v[189:190], -v[185:186], v[187:188], 1.0
	s_delay_alu instid0(VALU_DEP_1) | instskip(NEXT) | instid1(VALU_DEP_1)
	v_fma_f64 v[187:188], v[187:188], v[189:190], v[187:188]
	v_mul_f64 v[189:190], v[191:192], v[187:188]
	s_delay_alu instid0(VALU_DEP_1) | instskip(NEXT) | instid1(VALU_DEP_1)
	v_fma_f64 v[185:186], -v[185:186], v[189:190], v[191:192]
	v_div_fmas_f64 v[185:186], v[185:186], v[187:188], v[189:190]
	s_delay_alu instid0(VALU_DEP_1) | instskip(NEXT) | instid1(VALU_DEP_1)
	v_div_fixup_f64 v[185:186], v[185:186], v[168:169], v[170:171]
	v_fma_f64 v[168:169], v[170:171], v[185:186], v[168:169]
	s_delay_alu instid0(VALU_DEP_1) | instskip(NEXT) | instid1(VALU_DEP_1)
	v_div_scale_f64 v[170:171], null, v[168:169], v[168:169], 1.0
	v_rcp_f64_e32 v[187:188], v[170:171]
	s_waitcnt_depctr 0xfff
	v_fma_f64 v[189:190], -v[170:171], v[187:188], 1.0
	s_delay_alu instid0(VALU_DEP_1) | instskip(NEXT) | instid1(VALU_DEP_1)
	v_fma_f64 v[187:188], v[187:188], v[189:190], v[187:188]
	v_fma_f64 v[189:190], -v[170:171], v[187:188], 1.0
	s_delay_alu instid0(VALU_DEP_1) | instskip(SKIP_1) | instid1(VALU_DEP_1)
	v_fma_f64 v[187:188], v[187:188], v[189:190], v[187:188]
	v_div_scale_f64 v[189:190], vcc_lo, 1.0, v[168:169], 1.0
	v_mul_f64 v[191:192], v[189:190], v[187:188]
	s_delay_alu instid0(VALU_DEP_1) | instskip(NEXT) | instid1(VALU_DEP_1)
	v_fma_f64 v[170:171], -v[170:171], v[191:192], v[189:190]
	v_div_fmas_f64 v[170:171], v[170:171], v[187:188], v[191:192]
	s_delay_alu instid0(VALU_DEP_1) | instskip(NEXT) | instid1(VALU_DEP_1)
	v_div_fixup_f64 v[168:169], v[170:171], v[168:169], 1.0
	v_mul_f64 v[170:171], v[185:186], -v[168:169]
.LBB82_534:
	s_or_b32 exec_lo, exec_lo, s2
.LBB82_535:
	s_delay_alu instid0(SALU_CYCLE_1) | instskip(NEXT) | instid1(SALU_CYCLE_1)
	s_or_b32 exec_lo, exec_lo, s3
	s_mov_b32 s2, exec_lo
	v_cmpx_ne_u32_e64 v184, v176
	s_xor_b32 s2, exec_lo, s2
	s_cbranch_execz .LBB82_541
; %bb.536:
	s_mov_b32 s3, exec_lo
	v_cmpx_eq_u32_e32 25, v184
	s_cbranch_execz .LBB82_540
; %bb.537:
	v_cmp_ne_u32_e32 vcc_lo, 25, v176
	s_xor_b32 s6, s4, -1
	s_delay_alu instid0(SALU_CYCLE_1) | instskip(NEXT) | instid1(SALU_CYCLE_1)
	s_and_b32 s7, s6, vcc_lo
	s_and_saveexec_b32 s6, s7
	s_cbranch_execz .LBB82_539
; %bb.538:
	v_ashrrev_i32_e32 v177, 31, v176
	s_delay_alu instid0(VALU_DEP_1) | instskip(NEXT) | instid1(VALU_DEP_1)
	v_lshlrev_b64 v[184:185], 2, v[176:177]
	v_add_co_u32 v184, vcc_lo, v174, v184
	s_delay_alu instid0(VALU_DEP_2)
	v_add_co_ci_u32_e32 v185, vcc_lo, v175, v185, vcc_lo
	s_clause 0x1
	flat_load_b32 v177, v[184:185]
	flat_load_b32 v181, v[174:175] offset:100
	s_waitcnt vmcnt(1) lgkmcnt(1)
	flat_store_b32 v[174:175], v177 offset:100
	s_waitcnt vmcnt(0) lgkmcnt(1)
	flat_store_b32 v[184:185], v181
.LBB82_539:
	s_or_b32 exec_lo, exec_lo, s6
	v_mov_b32_e32 v184, v176
	v_mov_b32_e32 v181, v176
.LBB82_540:
	s_or_b32 exec_lo, exec_lo, s3
.LBB82_541:
	s_and_not1_saveexec_b32 s2, s2
	s_cbranch_execz .LBB82_543
; %bb.542:
	v_mov_b32_e32 v184, 25
	ds_store_2addr_b64 v178, v[60:61], v[62:63] offset0:52 offset1:53
	ds_store_2addr_b64 v178, v[56:57], v[58:59] offset0:54 offset1:55
	;; [unrolled: 1-line block ×16, first 2 shown]
.LBB82_543:
	s_or_b32 exec_lo, exec_lo, s2
	s_delay_alu instid0(SALU_CYCLE_1)
	s_mov_b32 s2, exec_lo
	s_waitcnt lgkmcnt(0)
	s_waitcnt_vscnt null, 0x0
	s_barrier
	buffer_gl0_inv
	v_cmpx_lt_i32_e32 25, v184
	s_cbranch_execz .LBB82_545
; %bb.544:
	v_mul_f64 v[176:177], v[168:169], v[66:67]
	v_mul_f64 v[66:67], v[170:171], v[66:67]
	s_delay_alu instid0(VALU_DEP_2) | instskip(NEXT) | instid1(VALU_DEP_2)
	v_fma_f64 v[176:177], v[170:171], v[64:65], v[176:177]
	v_fma_f64 v[64:65], v[168:169], v[64:65], -v[66:67]
	ds_load_2addr_b64 v[168:171], v178 offset0:52 offset1:53
	s_waitcnt lgkmcnt(0)
	v_mul_f64 v[66:67], v[170:171], v[176:177]
	s_delay_alu instid0(VALU_DEP_1) | instskip(SKIP_1) | instid1(VALU_DEP_2)
	v_fma_f64 v[66:67], v[168:169], v[64:65], -v[66:67]
	v_mul_f64 v[168:169], v[168:169], v[176:177]
	v_add_f64 v[60:61], v[60:61], -v[66:67]
	s_delay_alu instid0(VALU_DEP_2) | instskip(NEXT) | instid1(VALU_DEP_1)
	v_fma_f64 v[168:169], v[170:171], v[64:65], v[168:169]
	v_add_f64 v[62:63], v[62:63], -v[168:169]
	ds_load_2addr_b64 v[168:171], v178 offset0:54 offset1:55
	s_waitcnt lgkmcnt(0)
	v_mul_f64 v[66:67], v[170:171], v[176:177]
	s_delay_alu instid0(VALU_DEP_1) | instskip(SKIP_1) | instid1(VALU_DEP_2)
	v_fma_f64 v[66:67], v[168:169], v[64:65], -v[66:67]
	v_mul_f64 v[168:169], v[168:169], v[176:177]
	v_add_f64 v[56:57], v[56:57], -v[66:67]
	s_delay_alu instid0(VALU_DEP_2) | instskip(NEXT) | instid1(VALU_DEP_1)
	v_fma_f64 v[168:169], v[170:171], v[64:65], v[168:169]
	v_add_f64 v[58:59], v[58:59], -v[168:169]
	;; [unrolled: 10-line block ×15, first 2 shown]
	ds_load_2addr_b64 v[168:171], v178 offset0:82 offset1:83
	s_waitcnt lgkmcnt(0)
	v_mul_f64 v[66:67], v[170:171], v[176:177]
	s_delay_alu instid0(VALU_DEP_1) | instskip(SKIP_1) | instid1(VALU_DEP_2)
	v_fma_f64 v[66:67], v[168:169], v[64:65], -v[66:67]
	v_mul_f64 v[168:169], v[168:169], v[176:177]
	v_add_f64 v[0:1], v[0:1], -v[66:67]
	s_delay_alu instid0(VALU_DEP_2) | instskip(SKIP_1) | instid1(VALU_DEP_2)
	v_fma_f64 v[168:169], v[170:171], v[64:65], v[168:169]
	v_dual_mov_b32 v66, v176 :: v_dual_mov_b32 v67, v177
	v_add_f64 v[2:3], v[2:3], -v[168:169]
.LBB82_545:
	s_or_b32 exec_lo, exec_lo, s2
	v_lshl_add_u32 v168, v184, 4, v178
	s_barrier
	buffer_gl0_inv
	v_mov_b32_e32 v176, 26
	ds_store_2addr_b64 v168, v[60:61], v[62:63] offset1:1
	s_waitcnt lgkmcnt(0)
	s_barrier
	buffer_gl0_inv
	ds_load_2addr_b64 v[168:171], v178 offset0:52 offset1:53
	s_cmp_lt_i32 s5, 28
	s_cbranch_scc1 .LBB82_548
; %bb.546:
	v_add3_u32 v177, v183, 0, 0x1b0
	v_mov_b32_e32 v176, 26
	s_mov_b32 s6, 27
	s_set_inst_prefetch_distance 0x1
	.p2align	6
.LBB82_547:                             ; =>This Inner Loop Header: Depth=1
	ds_load_2addr_b64 v[185:188], v177 offset1:1
	s_waitcnt lgkmcnt(1)
	v_cmp_gt_f64_e32 vcc_lo, 0, v[168:169]
	v_xor_b32_e32 v189, 0x80000000, v169
	v_cmp_gt_f64_e64 s2, 0, v[170:171]
	v_xor_b32_e32 v191, 0x80000000, v171
	v_add_nc_u32_e32 v177, 16, v177
	s_waitcnt lgkmcnt(0)
	v_cmp_gt_f64_e64 s3, 0, v[185:186]
	v_mov_b32_e32 v193, v185
	v_dual_mov_b32 v195, v187 :: v_dual_cndmask_b32 v190, v169, v189
	v_xor_b32_e32 v189, 0x80000000, v186
	v_cndmask_b32_e64 v192, v171, v191, s2
	v_xor_b32_e32 v191, 0x80000000, v188
	s_delay_alu instid0(VALU_DEP_3) | instskip(SKIP_2) | instid1(VALU_DEP_2)
	v_cndmask_b32_e64 v194, v186, v189, s3
	v_cmp_gt_f64_e64 s3, 0, v[187:188]
	v_cndmask_b32_e32 v189, v168, v168, vcc_lo
	v_cndmask_b32_e64 v196, v188, v191, s3
	v_cndmask_b32_e64 v191, v170, v170, s2
	s_delay_alu instid0(VALU_DEP_2) | instskip(NEXT) | instid1(VALU_DEP_2)
	v_add_f64 v[193:194], v[193:194], v[195:196]
	v_add_f64 v[189:190], v[189:190], v[191:192]
	s_delay_alu instid0(VALU_DEP_1) | instskip(SKIP_4) | instid1(SALU_CYCLE_1)
	v_cmp_lt_f64_e32 vcc_lo, v[189:190], v[193:194]
	v_dual_cndmask_b32 v170, v170, v187 :: v_dual_cndmask_b32 v169, v169, v186
	v_dual_cndmask_b32 v168, v168, v185 :: v_dual_cndmask_b32 v171, v171, v188
	v_cndmask_b32_e64 v176, v176, s6, vcc_lo
	s_add_i32 s6, s6, 1
	s_cmp_lg_u32 s5, s6
	s_cbranch_scc1 .LBB82_547
.LBB82_548:
	s_set_inst_prefetch_distance 0x2
	s_waitcnt lgkmcnt(0)
	v_cmp_eq_f64_e32 vcc_lo, 0, v[168:169]
	v_cmp_eq_f64_e64 s2, 0, v[170:171]
	s_delay_alu instid0(VALU_DEP_1) | instskip(NEXT) | instid1(SALU_CYCLE_1)
	s_and_b32 s2, vcc_lo, s2
	s_and_saveexec_b32 s3, s2
	s_delay_alu instid0(SALU_CYCLE_1)
	s_xor_b32 s2, exec_lo, s3
; %bb.549:
	v_cmp_ne_u32_e32 vcc_lo, 0, v182
	v_cndmask_b32_e32 v182, 27, v182, vcc_lo
; %bb.550:
	s_and_not1_saveexec_b32 s3, s2
	s_cbranch_execz .LBB82_556
; %bb.551:
	v_cmp_gt_f64_e32 vcc_lo, 0, v[168:169]
	v_cmp_gt_f64_e64 s2, 0, v[170:171]
	v_xor_b32_e32 v177, 0x80000000, v169
	v_xor_b32_e32 v185, 0x80000000, v171
	s_delay_alu instid0(VALU_DEP_2) | instskip(NEXT) | instid1(VALU_DEP_2)
	v_cndmask_b32_e32 v186, v169, v177, vcc_lo
	v_cndmask_b32_e64 v188, v171, v185, s2
	v_cndmask_b32_e32 v185, v168, v168, vcc_lo
	v_cndmask_b32_e64 v187, v170, v170, s2
	s_mov_b32 s2, exec_lo
	s_delay_alu instid0(VALU_DEP_1)
	v_cmpx_ngt_f64_e32 v[185:186], v[187:188]
	s_xor_b32 s2, exec_lo, s2
	s_cbranch_execz .LBB82_553
; %bb.552:
	v_div_scale_f64 v[185:186], null, v[170:171], v[170:171], v[168:169]
	v_div_scale_f64 v[191:192], vcc_lo, v[168:169], v[170:171], v[168:169]
	s_delay_alu instid0(VALU_DEP_2) | instskip(SKIP_2) | instid1(VALU_DEP_1)
	v_rcp_f64_e32 v[187:188], v[185:186]
	s_waitcnt_depctr 0xfff
	v_fma_f64 v[189:190], -v[185:186], v[187:188], 1.0
	v_fma_f64 v[187:188], v[187:188], v[189:190], v[187:188]
	s_delay_alu instid0(VALU_DEP_1) | instskip(NEXT) | instid1(VALU_DEP_1)
	v_fma_f64 v[189:190], -v[185:186], v[187:188], 1.0
	v_fma_f64 v[187:188], v[187:188], v[189:190], v[187:188]
	s_delay_alu instid0(VALU_DEP_1) | instskip(NEXT) | instid1(VALU_DEP_1)
	v_mul_f64 v[189:190], v[191:192], v[187:188]
	v_fma_f64 v[185:186], -v[185:186], v[189:190], v[191:192]
	s_delay_alu instid0(VALU_DEP_1) | instskip(NEXT) | instid1(VALU_DEP_1)
	v_div_fmas_f64 v[185:186], v[185:186], v[187:188], v[189:190]
	v_div_fixup_f64 v[185:186], v[185:186], v[170:171], v[168:169]
	s_delay_alu instid0(VALU_DEP_1) | instskip(NEXT) | instid1(VALU_DEP_1)
	v_fma_f64 v[168:169], v[168:169], v[185:186], v[170:171]
	v_div_scale_f64 v[170:171], null, v[168:169], v[168:169], 1.0
	s_delay_alu instid0(VALU_DEP_1) | instskip(SKIP_2) | instid1(VALU_DEP_1)
	v_rcp_f64_e32 v[187:188], v[170:171]
	s_waitcnt_depctr 0xfff
	v_fma_f64 v[189:190], -v[170:171], v[187:188], 1.0
	v_fma_f64 v[187:188], v[187:188], v[189:190], v[187:188]
	s_delay_alu instid0(VALU_DEP_1) | instskip(NEXT) | instid1(VALU_DEP_1)
	v_fma_f64 v[189:190], -v[170:171], v[187:188], 1.0
	v_fma_f64 v[187:188], v[187:188], v[189:190], v[187:188]
	v_div_scale_f64 v[189:190], vcc_lo, 1.0, v[168:169], 1.0
	s_delay_alu instid0(VALU_DEP_1) | instskip(NEXT) | instid1(VALU_DEP_1)
	v_mul_f64 v[191:192], v[189:190], v[187:188]
	v_fma_f64 v[170:171], -v[170:171], v[191:192], v[189:190]
	s_delay_alu instid0(VALU_DEP_1) | instskip(NEXT) | instid1(VALU_DEP_1)
	v_div_fmas_f64 v[170:171], v[170:171], v[187:188], v[191:192]
	v_div_fixup_f64 v[170:171], v[170:171], v[168:169], 1.0
	s_delay_alu instid0(VALU_DEP_1)
	v_mul_f64 v[168:169], v[185:186], v[170:171]
	v_xor_b32_e32 v171, 0x80000000, v171
.LBB82_553:
	s_and_not1_saveexec_b32 s2, s2
	s_cbranch_execz .LBB82_555
; %bb.554:
	s_delay_alu instid0(VALU_DEP_1) | instskip(SKIP_1) | instid1(VALU_DEP_2)
	v_div_scale_f64 v[185:186], null, v[168:169], v[168:169], v[170:171]
	v_div_scale_f64 v[191:192], vcc_lo, v[170:171], v[168:169], v[170:171]
	v_rcp_f64_e32 v[187:188], v[185:186]
	s_waitcnt_depctr 0xfff
	v_fma_f64 v[189:190], -v[185:186], v[187:188], 1.0
	s_delay_alu instid0(VALU_DEP_1) | instskip(NEXT) | instid1(VALU_DEP_1)
	v_fma_f64 v[187:188], v[187:188], v[189:190], v[187:188]
	v_fma_f64 v[189:190], -v[185:186], v[187:188], 1.0
	s_delay_alu instid0(VALU_DEP_1) | instskip(NEXT) | instid1(VALU_DEP_1)
	v_fma_f64 v[187:188], v[187:188], v[189:190], v[187:188]
	v_mul_f64 v[189:190], v[191:192], v[187:188]
	s_delay_alu instid0(VALU_DEP_1) | instskip(NEXT) | instid1(VALU_DEP_1)
	v_fma_f64 v[185:186], -v[185:186], v[189:190], v[191:192]
	v_div_fmas_f64 v[185:186], v[185:186], v[187:188], v[189:190]
	s_delay_alu instid0(VALU_DEP_1) | instskip(NEXT) | instid1(VALU_DEP_1)
	v_div_fixup_f64 v[185:186], v[185:186], v[168:169], v[170:171]
	v_fma_f64 v[168:169], v[170:171], v[185:186], v[168:169]
	s_delay_alu instid0(VALU_DEP_1) | instskip(NEXT) | instid1(VALU_DEP_1)
	v_div_scale_f64 v[170:171], null, v[168:169], v[168:169], 1.0
	v_rcp_f64_e32 v[187:188], v[170:171]
	s_waitcnt_depctr 0xfff
	v_fma_f64 v[189:190], -v[170:171], v[187:188], 1.0
	s_delay_alu instid0(VALU_DEP_1) | instskip(NEXT) | instid1(VALU_DEP_1)
	v_fma_f64 v[187:188], v[187:188], v[189:190], v[187:188]
	v_fma_f64 v[189:190], -v[170:171], v[187:188], 1.0
	s_delay_alu instid0(VALU_DEP_1) | instskip(SKIP_1) | instid1(VALU_DEP_1)
	v_fma_f64 v[187:188], v[187:188], v[189:190], v[187:188]
	v_div_scale_f64 v[189:190], vcc_lo, 1.0, v[168:169], 1.0
	v_mul_f64 v[191:192], v[189:190], v[187:188]
	s_delay_alu instid0(VALU_DEP_1) | instskip(NEXT) | instid1(VALU_DEP_1)
	v_fma_f64 v[170:171], -v[170:171], v[191:192], v[189:190]
	v_div_fmas_f64 v[170:171], v[170:171], v[187:188], v[191:192]
	s_delay_alu instid0(VALU_DEP_1) | instskip(NEXT) | instid1(VALU_DEP_1)
	v_div_fixup_f64 v[168:169], v[170:171], v[168:169], 1.0
	v_mul_f64 v[170:171], v[185:186], -v[168:169]
.LBB82_555:
	s_or_b32 exec_lo, exec_lo, s2
.LBB82_556:
	s_delay_alu instid0(SALU_CYCLE_1) | instskip(NEXT) | instid1(SALU_CYCLE_1)
	s_or_b32 exec_lo, exec_lo, s3
	s_mov_b32 s2, exec_lo
	v_cmpx_ne_u32_e64 v184, v176
	s_xor_b32 s2, exec_lo, s2
	s_cbranch_execz .LBB82_562
; %bb.557:
	s_mov_b32 s3, exec_lo
	v_cmpx_eq_u32_e32 26, v184
	s_cbranch_execz .LBB82_561
; %bb.558:
	v_cmp_ne_u32_e32 vcc_lo, 26, v176
	s_xor_b32 s6, s4, -1
	s_delay_alu instid0(SALU_CYCLE_1) | instskip(NEXT) | instid1(SALU_CYCLE_1)
	s_and_b32 s7, s6, vcc_lo
	s_and_saveexec_b32 s6, s7
	s_cbranch_execz .LBB82_560
; %bb.559:
	v_ashrrev_i32_e32 v177, 31, v176
	s_delay_alu instid0(VALU_DEP_1) | instskip(NEXT) | instid1(VALU_DEP_1)
	v_lshlrev_b64 v[184:185], 2, v[176:177]
	v_add_co_u32 v184, vcc_lo, v174, v184
	s_delay_alu instid0(VALU_DEP_2)
	v_add_co_ci_u32_e32 v185, vcc_lo, v175, v185, vcc_lo
	s_clause 0x1
	flat_load_b32 v177, v[184:185]
	flat_load_b32 v181, v[174:175] offset:104
	s_waitcnt vmcnt(1) lgkmcnt(1)
	flat_store_b32 v[174:175], v177 offset:104
	s_waitcnt vmcnt(0) lgkmcnt(1)
	flat_store_b32 v[184:185], v181
.LBB82_560:
	s_or_b32 exec_lo, exec_lo, s6
	v_mov_b32_e32 v184, v176
	v_mov_b32_e32 v181, v176
.LBB82_561:
	s_or_b32 exec_lo, exec_lo, s3
.LBB82_562:
	s_and_not1_saveexec_b32 s2, s2
	s_cbranch_execz .LBB82_564
; %bb.563:
	v_mov_b32_e32 v184, 26
	ds_store_2addr_b64 v178, v[56:57], v[58:59] offset0:54 offset1:55
	ds_store_2addr_b64 v178, v[52:53], v[54:55] offset0:56 offset1:57
	;; [unrolled: 1-line block ×15, first 2 shown]
.LBB82_564:
	s_or_b32 exec_lo, exec_lo, s2
	s_delay_alu instid0(SALU_CYCLE_1)
	s_mov_b32 s2, exec_lo
	s_waitcnt lgkmcnt(0)
	s_waitcnt_vscnt null, 0x0
	s_barrier
	buffer_gl0_inv
	v_cmpx_lt_i32_e32 26, v184
	s_cbranch_execz .LBB82_566
; %bb.565:
	v_mul_f64 v[176:177], v[168:169], v[62:63]
	v_mul_f64 v[62:63], v[170:171], v[62:63]
	s_delay_alu instid0(VALU_DEP_2) | instskip(NEXT) | instid1(VALU_DEP_2)
	v_fma_f64 v[176:177], v[170:171], v[60:61], v[176:177]
	v_fma_f64 v[60:61], v[168:169], v[60:61], -v[62:63]
	ds_load_2addr_b64 v[168:171], v178 offset0:54 offset1:55
	s_waitcnt lgkmcnt(0)
	v_mul_f64 v[62:63], v[170:171], v[176:177]
	s_delay_alu instid0(VALU_DEP_1) | instskip(SKIP_1) | instid1(VALU_DEP_2)
	v_fma_f64 v[62:63], v[168:169], v[60:61], -v[62:63]
	v_mul_f64 v[168:169], v[168:169], v[176:177]
	v_add_f64 v[56:57], v[56:57], -v[62:63]
	s_delay_alu instid0(VALU_DEP_2) | instskip(NEXT) | instid1(VALU_DEP_1)
	v_fma_f64 v[168:169], v[170:171], v[60:61], v[168:169]
	v_add_f64 v[58:59], v[58:59], -v[168:169]
	ds_load_2addr_b64 v[168:171], v178 offset0:56 offset1:57
	s_waitcnt lgkmcnt(0)
	v_mul_f64 v[62:63], v[170:171], v[176:177]
	s_delay_alu instid0(VALU_DEP_1) | instskip(SKIP_1) | instid1(VALU_DEP_2)
	v_fma_f64 v[62:63], v[168:169], v[60:61], -v[62:63]
	v_mul_f64 v[168:169], v[168:169], v[176:177]
	v_add_f64 v[52:53], v[52:53], -v[62:63]
	s_delay_alu instid0(VALU_DEP_2) | instskip(NEXT) | instid1(VALU_DEP_1)
	v_fma_f64 v[168:169], v[170:171], v[60:61], v[168:169]
	v_add_f64 v[54:55], v[54:55], -v[168:169]
	;; [unrolled: 10-line block ×14, first 2 shown]
	ds_load_2addr_b64 v[168:171], v178 offset0:82 offset1:83
	s_waitcnt lgkmcnt(0)
	v_mul_f64 v[62:63], v[170:171], v[176:177]
	s_delay_alu instid0(VALU_DEP_1) | instskip(SKIP_1) | instid1(VALU_DEP_2)
	v_fma_f64 v[62:63], v[168:169], v[60:61], -v[62:63]
	v_mul_f64 v[168:169], v[168:169], v[176:177]
	v_add_f64 v[0:1], v[0:1], -v[62:63]
	s_delay_alu instid0(VALU_DEP_2) | instskip(SKIP_1) | instid1(VALU_DEP_2)
	v_fma_f64 v[168:169], v[170:171], v[60:61], v[168:169]
	v_dual_mov_b32 v62, v176 :: v_dual_mov_b32 v63, v177
	v_add_f64 v[2:3], v[2:3], -v[168:169]
.LBB82_566:
	s_or_b32 exec_lo, exec_lo, s2
	v_lshl_add_u32 v168, v184, 4, v178
	s_barrier
	buffer_gl0_inv
	v_mov_b32_e32 v176, 27
	ds_store_2addr_b64 v168, v[56:57], v[58:59] offset1:1
	s_waitcnt lgkmcnt(0)
	s_barrier
	buffer_gl0_inv
	ds_load_2addr_b64 v[168:171], v178 offset0:54 offset1:55
	s_cmp_lt_i32 s5, 29
	s_cbranch_scc1 .LBB82_569
; %bb.567:
	v_add3_u32 v177, v183, 0, 0x1c0
	v_mov_b32_e32 v176, 27
	s_mov_b32 s6, 28
	s_set_inst_prefetch_distance 0x1
	.p2align	6
.LBB82_568:                             ; =>This Inner Loop Header: Depth=1
	ds_load_2addr_b64 v[185:188], v177 offset1:1
	s_waitcnt lgkmcnt(1)
	v_cmp_gt_f64_e32 vcc_lo, 0, v[168:169]
	v_xor_b32_e32 v189, 0x80000000, v169
	v_cmp_gt_f64_e64 s2, 0, v[170:171]
	v_xor_b32_e32 v191, 0x80000000, v171
	v_add_nc_u32_e32 v177, 16, v177
	s_waitcnt lgkmcnt(0)
	v_cmp_gt_f64_e64 s3, 0, v[185:186]
	v_mov_b32_e32 v193, v185
	v_dual_mov_b32 v195, v187 :: v_dual_cndmask_b32 v190, v169, v189
	v_xor_b32_e32 v189, 0x80000000, v186
	v_cndmask_b32_e64 v192, v171, v191, s2
	v_xor_b32_e32 v191, 0x80000000, v188
	s_delay_alu instid0(VALU_DEP_3) | instskip(SKIP_2) | instid1(VALU_DEP_2)
	v_cndmask_b32_e64 v194, v186, v189, s3
	v_cmp_gt_f64_e64 s3, 0, v[187:188]
	v_cndmask_b32_e32 v189, v168, v168, vcc_lo
	v_cndmask_b32_e64 v196, v188, v191, s3
	v_cndmask_b32_e64 v191, v170, v170, s2
	s_delay_alu instid0(VALU_DEP_2) | instskip(NEXT) | instid1(VALU_DEP_2)
	v_add_f64 v[193:194], v[193:194], v[195:196]
	v_add_f64 v[189:190], v[189:190], v[191:192]
	s_delay_alu instid0(VALU_DEP_1) | instskip(SKIP_4) | instid1(SALU_CYCLE_1)
	v_cmp_lt_f64_e32 vcc_lo, v[189:190], v[193:194]
	v_dual_cndmask_b32 v170, v170, v187 :: v_dual_cndmask_b32 v169, v169, v186
	v_dual_cndmask_b32 v168, v168, v185 :: v_dual_cndmask_b32 v171, v171, v188
	v_cndmask_b32_e64 v176, v176, s6, vcc_lo
	s_add_i32 s6, s6, 1
	s_cmp_lg_u32 s5, s6
	s_cbranch_scc1 .LBB82_568
.LBB82_569:
	s_set_inst_prefetch_distance 0x2
	s_waitcnt lgkmcnt(0)
	v_cmp_eq_f64_e32 vcc_lo, 0, v[168:169]
	v_cmp_eq_f64_e64 s2, 0, v[170:171]
	s_delay_alu instid0(VALU_DEP_1) | instskip(NEXT) | instid1(SALU_CYCLE_1)
	s_and_b32 s2, vcc_lo, s2
	s_and_saveexec_b32 s3, s2
	s_delay_alu instid0(SALU_CYCLE_1)
	s_xor_b32 s2, exec_lo, s3
; %bb.570:
	v_cmp_ne_u32_e32 vcc_lo, 0, v182
	v_cndmask_b32_e32 v182, 28, v182, vcc_lo
; %bb.571:
	s_and_not1_saveexec_b32 s3, s2
	s_cbranch_execz .LBB82_577
; %bb.572:
	v_cmp_gt_f64_e32 vcc_lo, 0, v[168:169]
	v_cmp_gt_f64_e64 s2, 0, v[170:171]
	v_xor_b32_e32 v177, 0x80000000, v169
	v_xor_b32_e32 v185, 0x80000000, v171
	s_delay_alu instid0(VALU_DEP_2) | instskip(NEXT) | instid1(VALU_DEP_2)
	v_cndmask_b32_e32 v186, v169, v177, vcc_lo
	v_cndmask_b32_e64 v188, v171, v185, s2
	v_cndmask_b32_e32 v185, v168, v168, vcc_lo
	v_cndmask_b32_e64 v187, v170, v170, s2
	s_mov_b32 s2, exec_lo
	s_delay_alu instid0(VALU_DEP_1)
	v_cmpx_ngt_f64_e32 v[185:186], v[187:188]
	s_xor_b32 s2, exec_lo, s2
	s_cbranch_execz .LBB82_574
; %bb.573:
	v_div_scale_f64 v[185:186], null, v[170:171], v[170:171], v[168:169]
	v_div_scale_f64 v[191:192], vcc_lo, v[168:169], v[170:171], v[168:169]
	s_delay_alu instid0(VALU_DEP_2) | instskip(SKIP_2) | instid1(VALU_DEP_1)
	v_rcp_f64_e32 v[187:188], v[185:186]
	s_waitcnt_depctr 0xfff
	v_fma_f64 v[189:190], -v[185:186], v[187:188], 1.0
	v_fma_f64 v[187:188], v[187:188], v[189:190], v[187:188]
	s_delay_alu instid0(VALU_DEP_1) | instskip(NEXT) | instid1(VALU_DEP_1)
	v_fma_f64 v[189:190], -v[185:186], v[187:188], 1.0
	v_fma_f64 v[187:188], v[187:188], v[189:190], v[187:188]
	s_delay_alu instid0(VALU_DEP_1) | instskip(NEXT) | instid1(VALU_DEP_1)
	v_mul_f64 v[189:190], v[191:192], v[187:188]
	v_fma_f64 v[185:186], -v[185:186], v[189:190], v[191:192]
	s_delay_alu instid0(VALU_DEP_1) | instskip(NEXT) | instid1(VALU_DEP_1)
	v_div_fmas_f64 v[185:186], v[185:186], v[187:188], v[189:190]
	v_div_fixup_f64 v[185:186], v[185:186], v[170:171], v[168:169]
	s_delay_alu instid0(VALU_DEP_1) | instskip(NEXT) | instid1(VALU_DEP_1)
	v_fma_f64 v[168:169], v[168:169], v[185:186], v[170:171]
	v_div_scale_f64 v[170:171], null, v[168:169], v[168:169], 1.0
	s_delay_alu instid0(VALU_DEP_1) | instskip(SKIP_2) | instid1(VALU_DEP_1)
	v_rcp_f64_e32 v[187:188], v[170:171]
	s_waitcnt_depctr 0xfff
	v_fma_f64 v[189:190], -v[170:171], v[187:188], 1.0
	v_fma_f64 v[187:188], v[187:188], v[189:190], v[187:188]
	s_delay_alu instid0(VALU_DEP_1) | instskip(NEXT) | instid1(VALU_DEP_1)
	v_fma_f64 v[189:190], -v[170:171], v[187:188], 1.0
	v_fma_f64 v[187:188], v[187:188], v[189:190], v[187:188]
	v_div_scale_f64 v[189:190], vcc_lo, 1.0, v[168:169], 1.0
	s_delay_alu instid0(VALU_DEP_1) | instskip(NEXT) | instid1(VALU_DEP_1)
	v_mul_f64 v[191:192], v[189:190], v[187:188]
	v_fma_f64 v[170:171], -v[170:171], v[191:192], v[189:190]
	s_delay_alu instid0(VALU_DEP_1) | instskip(NEXT) | instid1(VALU_DEP_1)
	v_div_fmas_f64 v[170:171], v[170:171], v[187:188], v[191:192]
	v_div_fixup_f64 v[170:171], v[170:171], v[168:169], 1.0
	s_delay_alu instid0(VALU_DEP_1)
	v_mul_f64 v[168:169], v[185:186], v[170:171]
	v_xor_b32_e32 v171, 0x80000000, v171
.LBB82_574:
	s_and_not1_saveexec_b32 s2, s2
	s_cbranch_execz .LBB82_576
; %bb.575:
	s_delay_alu instid0(VALU_DEP_1) | instskip(SKIP_1) | instid1(VALU_DEP_2)
	v_div_scale_f64 v[185:186], null, v[168:169], v[168:169], v[170:171]
	v_div_scale_f64 v[191:192], vcc_lo, v[170:171], v[168:169], v[170:171]
	v_rcp_f64_e32 v[187:188], v[185:186]
	s_waitcnt_depctr 0xfff
	v_fma_f64 v[189:190], -v[185:186], v[187:188], 1.0
	s_delay_alu instid0(VALU_DEP_1) | instskip(NEXT) | instid1(VALU_DEP_1)
	v_fma_f64 v[187:188], v[187:188], v[189:190], v[187:188]
	v_fma_f64 v[189:190], -v[185:186], v[187:188], 1.0
	s_delay_alu instid0(VALU_DEP_1) | instskip(NEXT) | instid1(VALU_DEP_1)
	v_fma_f64 v[187:188], v[187:188], v[189:190], v[187:188]
	v_mul_f64 v[189:190], v[191:192], v[187:188]
	s_delay_alu instid0(VALU_DEP_1) | instskip(NEXT) | instid1(VALU_DEP_1)
	v_fma_f64 v[185:186], -v[185:186], v[189:190], v[191:192]
	v_div_fmas_f64 v[185:186], v[185:186], v[187:188], v[189:190]
	s_delay_alu instid0(VALU_DEP_1) | instskip(NEXT) | instid1(VALU_DEP_1)
	v_div_fixup_f64 v[185:186], v[185:186], v[168:169], v[170:171]
	v_fma_f64 v[168:169], v[170:171], v[185:186], v[168:169]
	s_delay_alu instid0(VALU_DEP_1) | instskip(NEXT) | instid1(VALU_DEP_1)
	v_div_scale_f64 v[170:171], null, v[168:169], v[168:169], 1.0
	v_rcp_f64_e32 v[187:188], v[170:171]
	s_waitcnt_depctr 0xfff
	v_fma_f64 v[189:190], -v[170:171], v[187:188], 1.0
	s_delay_alu instid0(VALU_DEP_1) | instskip(NEXT) | instid1(VALU_DEP_1)
	v_fma_f64 v[187:188], v[187:188], v[189:190], v[187:188]
	v_fma_f64 v[189:190], -v[170:171], v[187:188], 1.0
	s_delay_alu instid0(VALU_DEP_1) | instskip(SKIP_1) | instid1(VALU_DEP_1)
	v_fma_f64 v[187:188], v[187:188], v[189:190], v[187:188]
	v_div_scale_f64 v[189:190], vcc_lo, 1.0, v[168:169], 1.0
	v_mul_f64 v[191:192], v[189:190], v[187:188]
	s_delay_alu instid0(VALU_DEP_1) | instskip(NEXT) | instid1(VALU_DEP_1)
	v_fma_f64 v[170:171], -v[170:171], v[191:192], v[189:190]
	v_div_fmas_f64 v[170:171], v[170:171], v[187:188], v[191:192]
	s_delay_alu instid0(VALU_DEP_1) | instskip(NEXT) | instid1(VALU_DEP_1)
	v_div_fixup_f64 v[168:169], v[170:171], v[168:169], 1.0
	v_mul_f64 v[170:171], v[185:186], -v[168:169]
.LBB82_576:
	s_or_b32 exec_lo, exec_lo, s2
.LBB82_577:
	s_delay_alu instid0(SALU_CYCLE_1) | instskip(NEXT) | instid1(SALU_CYCLE_1)
	s_or_b32 exec_lo, exec_lo, s3
	s_mov_b32 s2, exec_lo
	v_cmpx_ne_u32_e64 v184, v176
	s_xor_b32 s2, exec_lo, s2
	s_cbranch_execz .LBB82_583
; %bb.578:
	s_mov_b32 s3, exec_lo
	v_cmpx_eq_u32_e32 27, v184
	s_cbranch_execz .LBB82_582
; %bb.579:
	v_cmp_ne_u32_e32 vcc_lo, 27, v176
	s_xor_b32 s6, s4, -1
	s_delay_alu instid0(SALU_CYCLE_1) | instskip(NEXT) | instid1(SALU_CYCLE_1)
	s_and_b32 s7, s6, vcc_lo
	s_and_saveexec_b32 s6, s7
	s_cbranch_execz .LBB82_581
; %bb.580:
	v_ashrrev_i32_e32 v177, 31, v176
	s_delay_alu instid0(VALU_DEP_1) | instskip(NEXT) | instid1(VALU_DEP_1)
	v_lshlrev_b64 v[184:185], 2, v[176:177]
	v_add_co_u32 v184, vcc_lo, v174, v184
	s_delay_alu instid0(VALU_DEP_2)
	v_add_co_ci_u32_e32 v185, vcc_lo, v175, v185, vcc_lo
	s_clause 0x1
	flat_load_b32 v177, v[184:185]
	flat_load_b32 v181, v[174:175] offset:108
	s_waitcnt vmcnt(1) lgkmcnt(1)
	flat_store_b32 v[174:175], v177 offset:108
	s_waitcnt vmcnt(0) lgkmcnt(1)
	flat_store_b32 v[184:185], v181
.LBB82_581:
	s_or_b32 exec_lo, exec_lo, s6
	v_mov_b32_e32 v184, v176
	v_mov_b32_e32 v181, v176
.LBB82_582:
	s_or_b32 exec_lo, exec_lo, s3
.LBB82_583:
	s_and_not1_saveexec_b32 s2, s2
	s_cbranch_execz .LBB82_585
; %bb.584:
	v_mov_b32_e32 v184, 27
	ds_store_2addr_b64 v178, v[52:53], v[54:55] offset0:56 offset1:57
	ds_store_2addr_b64 v178, v[48:49], v[50:51] offset0:58 offset1:59
	;; [unrolled: 1-line block ×14, first 2 shown]
.LBB82_585:
	s_or_b32 exec_lo, exec_lo, s2
	s_delay_alu instid0(SALU_CYCLE_1)
	s_mov_b32 s2, exec_lo
	s_waitcnt lgkmcnt(0)
	s_waitcnt_vscnt null, 0x0
	s_barrier
	buffer_gl0_inv
	v_cmpx_lt_i32_e32 27, v184
	s_cbranch_execz .LBB82_587
; %bb.586:
	v_mul_f64 v[176:177], v[168:169], v[58:59]
	v_mul_f64 v[58:59], v[170:171], v[58:59]
	s_delay_alu instid0(VALU_DEP_2) | instskip(NEXT) | instid1(VALU_DEP_2)
	v_fma_f64 v[176:177], v[170:171], v[56:57], v[176:177]
	v_fma_f64 v[56:57], v[168:169], v[56:57], -v[58:59]
	ds_load_2addr_b64 v[168:171], v178 offset0:56 offset1:57
	s_waitcnt lgkmcnt(0)
	v_mul_f64 v[58:59], v[170:171], v[176:177]
	s_delay_alu instid0(VALU_DEP_1) | instskip(SKIP_1) | instid1(VALU_DEP_2)
	v_fma_f64 v[58:59], v[168:169], v[56:57], -v[58:59]
	v_mul_f64 v[168:169], v[168:169], v[176:177]
	v_add_f64 v[52:53], v[52:53], -v[58:59]
	s_delay_alu instid0(VALU_DEP_2) | instskip(NEXT) | instid1(VALU_DEP_1)
	v_fma_f64 v[168:169], v[170:171], v[56:57], v[168:169]
	v_add_f64 v[54:55], v[54:55], -v[168:169]
	ds_load_2addr_b64 v[168:171], v178 offset0:58 offset1:59
	s_waitcnt lgkmcnt(0)
	v_mul_f64 v[58:59], v[170:171], v[176:177]
	s_delay_alu instid0(VALU_DEP_1) | instskip(SKIP_1) | instid1(VALU_DEP_2)
	v_fma_f64 v[58:59], v[168:169], v[56:57], -v[58:59]
	v_mul_f64 v[168:169], v[168:169], v[176:177]
	v_add_f64 v[48:49], v[48:49], -v[58:59]
	s_delay_alu instid0(VALU_DEP_2) | instskip(NEXT) | instid1(VALU_DEP_1)
	v_fma_f64 v[168:169], v[170:171], v[56:57], v[168:169]
	v_add_f64 v[50:51], v[50:51], -v[168:169]
	;; [unrolled: 10-line block ×13, first 2 shown]
	ds_load_2addr_b64 v[168:171], v178 offset0:82 offset1:83
	s_waitcnt lgkmcnt(0)
	v_mul_f64 v[58:59], v[170:171], v[176:177]
	s_delay_alu instid0(VALU_DEP_1) | instskip(SKIP_1) | instid1(VALU_DEP_2)
	v_fma_f64 v[58:59], v[168:169], v[56:57], -v[58:59]
	v_mul_f64 v[168:169], v[168:169], v[176:177]
	v_add_f64 v[0:1], v[0:1], -v[58:59]
	s_delay_alu instid0(VALU_DEP_2) | instskip(SKIP_1) | instid1(VALU_DEP_2)
	v_fma_f64 v[168:169], v[170:171], v[56:57], v[168:169]
	v_dual_mov_b32 v58, v176 :: v_dual_mov_b32 v59, v177
	v_add_f64 v[2:3], v[2:3], -v[168:169]
.LBB82_587:
	s_or_b32 exec_lo, exec_lo, s2
	v_lshl_add_u32 v168, v184, 4, v178
	s_barrier
	buffer_gl0_inv
	v_mov_b32_e32 v176, 28
	ds_store_2addr_b64 v168, v[52:53], v[54:55] offset1:1
	s_waitcnt lgkmcnt(0)
	s_barrier
	buffer_gl0_inv
	ds_load_2addr_b64 v[168:171], v178 offset0:56 offset1:57
	s_cmp_lt_i32 s5, 30
	s_cbranch_scc1 .LBB82_590
; %bb.588:
	v_add3_u32 v177, v183, 0, 0x1d0
	v_mov_b32_e32 v176, 28
	s_mov_b32 s6, 29
	s_set_inst_prefetch_distance 0x1
	.p2align	6
.LBB82_589:                             ; =>This Inner Loop Header: Depth=1
	ds_load_2addr_b64 v[185:188], v177 offset1:1
	s_waitcnt lgkmcnt(1)
	v_cmp_gt_f64_e32 vcc_lo, 0, v[168:169]
	v_xor_b32_e32 v189, 0x80000000, v169
	v_cmp_gt_f64_e64 s2, 0, v[170:171]
	v_xor_b32_e32 v191, 0x80000000, v171
	v_add_nc_u32_e32 v177, 16, v177
	s_waitcnt lgkmcnt(0)
	v_cmp_gt_f64_e64 s3, 0, v[185:186]
	v_mov_b32_e32 v193, v185
	v_dual_mov_b32 v195, v187 :: v_dual_cndmask_b32 v190, v169, v189
	v_xor_b32_e32 v189, 0x80000000, v186
	v_cndmask_b32_e64 v192, v171, v191, s2
	v_xor_b32_e32 v191, 0x80000000, v188
	s_delay_alu instid0(VALU_DEP_3) | instskip(SKIP_2) | instid1(VALU_DEP_2)
	v_cndmask_b32_e64 v194, v186, v189, s3
	v_cmp_gt_f64_e64 s3, 0, v[187:188]
	v_cndmask_b32_e32 v189, v168, v168, vcc_lo
	v_cndmask_b32_e64 v196, v188, v191, s3
	v_cndmask_b32_e64 v191, v170, v170, s2
	s_delay_alu instid0(VALU_DEP_2) | instskip(NEXT) | instid1(VALU_DEP_2)
	v_add_f64 v[193:194], v[193:194], v[195:196]
	v_add_f64 v[189:190], v[189:190], v[191:192]
	s_delay_alu instid0(VALU_DEP_1) | instskip(SKIP_4) | instid1(SALU_CYCLE_1)
	v_cmp_lt_f64_e32 vcc_lo, v[189:190], v[193:194]
	v_dual_cndmask_b32 v170, v170, v187 :: v_dual_cndmask_b32 v169, v169, v186
	v_dual_cndmask_b32 v168, v168, v185 :: v_dual_cndmask_b32 v171, v171, v188
	v_cndmask_b32_e64 v176, v176, s6, vcc_lo
	s_add_i32 s6, s6, 1
	s_cmp_lg_u32 s5, s6
	s_cbranch_scc1 .LBB82_589
.LBB82_590:
	s_set_inst_prefetch_distance 0x2
	s_waitcnt lgkmcnt(0)
	v_cmp_eq_f64_e32 vcc_lo, 0, v[168:169]
	v_cmp_eq_f64_e64 s2, 0, v[170:171]
	s_delay_alu instid0(VALU_DEP_1) | instskip(NEXT) | instid1(SALU_CYCLE_1)
	s_and_b32 s2, vcc_lo, s2
	s_and_saveexec_b32 s3, s2
	s_delay_alu instid0(SALU_CYCLE_1)
	s_xor_b32 s2, exec_lo, s3
; %bb.591:
	v_cmp_ne_u32_e32 vcc_lo, 0, v182
	v_cndmask_b32_e32 v182, 29, v182, vcc_lo
; %bb.592:
	s_and_not1_saveexec_b32 s3, s2
	s_cbranch_execz .LBB82_598
; %bb.593:
	v_cmp_gt_f64_e32 vcc_lo, 0, v[168:169]
	v_cmp_gt_f64_e64 s2, 0, v[170:171]
	v_xor_b32_e32 v177, 0x80000000, v169
	v_xor_b32_e32 v185, 0x80000000, v171
	s_delay_alu instid0(VALU_DEP_2) | instskip(NEXT) | instid1(VALU_DEP_2)
	v_cndmask_b32_e32 v186, v169, v177, vcc_lo
	v_cndmask_b32_e64 v188, v171, v185, s2
	v_cndmask_b32_e32 v185, v168, v168, vcc_lo
	v_cndmask_b32_e64 v187, v170, v170, s2
	s_mov_b32 s2, exec_lo
	s_delay_alu instid0(VALU_DEP_1)
	v_cmpx_ngt_f64_e32 v[185:186], v[187:188]
	s_xor_b32 s2, exec_lo, s2
	s_cbranch_execz .LBB82_595
; %bb.594:
	v_div_scale_f64 v[185:186], null, v[170:171], v[170:171], v[168:169]
	v_div_scale_f64 v[191:192], vcc_lo, v[168:169], v[170:171], v[168:169]
	s_delay_alu instid0(VALU_DEP_2) | instskip(SKIP_2) | instid1(VALU_DEP_1)
	v_rcp_f64_e32 v[187:188], v[185:186]
	s_waitcnt_depctr 0xfff
	v_fma_f64 v[189:190], -v[185:186], v[187:188], 1.0
	v_fma_f64 v[187:188], v[187:188], v[189:190], v[187:188]
	s_delay_alu instid0(VALU_DEP_1) | instskip(NEXT) | instid1(VALU_DEP_1)
	v_fma_f64 v[189:190], -v[185:186], v[187:188], 1.0
	v_fma_f64 v[187:188], v[187:188], v[189:190], v[187:188]
	s_delay_alu instid0(VALU_DEP_1) | instskip(NEXT) | instid1(VALU_DEP_1)
	v_mul_f64 v[189:190], v[191:192], v[187:188]
	v_fma_f64 v[185:186], -v[185:186], v[189:190], v[191:192]
	s_delay_alu instid0(VALU_DEP_1) | instskip(NEXT) | instid1(VALU_DEP_1)
	v_div_fmas_f64 v[185:186], v[185:186], v[187:188], v[189:190]
	v_div_fixup_f64 v[185:186], v[185:186], v[170:171], v[168:169]
	s_delay_alu instid0(VALU_DEP_1) | instskip(NEXT) | instid1(VALU_DEP_1)
	v_fma_f64 v[168:169], v[168:169], v[185:186], v[170:171]
	v_div_scale_f64 v[170:171], null, v[168:169], v[168:169], 1.0
	s_delay_alu instid0(VALU_DEP_1) | instskip(SKIP_2) | instid1(VALU_DEP_1)
	v_rcp_f64_e32 v[187:188], v[170:171]
	s_waitcnt_depctr 0xfff
	v_fma_f64 v[189:190], -v[170:171], v[187:188], 1.0
	v_fma_f64 v[187:188], v[187:188], v[189:190], v[187:188]
	s_delay_alu instid0(VALU_DEP_1) | instskip(NEXT) | instid1(VALU_DEP_1)
	v_fma_f64 v[189:190], -v[170:171], v[187:188], 1.0
	v_fma_f64 v[187:188], v[187:188], v[189:190], v[187:188]
	v_div_scale_f64 v[189:190], vcc_lo, 1.0, v[168:169], 1.0
	s_delay_alu instid0(VALU_DEP_1) | instskip(NEXT) | instid1(VALU_DEP_1)
	v_mul_f64 v[191:192], v[189:190], v[187:188]
	v_fma_f64 v[170:171], -v[170:171], v[191:192], v[189:190]
	s_delay_alu instid0(VALU_DEP_1) | instskip(NEXT) | instid1(VALU_DEP_1)
	v_div_fmas_f64 v[170:171], v[170:171], v[187:188], v[191:192]
	v_div_fixup_f64 v[170:171], v[170:171], v[168:169], 1.0
	s_delay_alu instid0(VALU_DEP_1)
	v_mul_f64 v[168:169], v[185:186], v[170:171]
	v_xor_b32_e32 v171, 0x80000000, v171
.LBB82_595:
	s_and_not1_saveexec_b32 s2, s2
	s_cbranch_execz .LBB82_597
; %bb.596:
	s_delay_alu instid0(VALU_DEP_1) | instskip(SKIP_1) | instid1(VALU_DEP_2)
	v_div_scale_f64 v[185:186], null, v[168:169], v[168:169], v[170:171]
	v_div_scale_f64 v[191:192], vcc_lo, v[170:171], v[168:169], v[170:171]
	v_rcp_f64_e32 v[187:188], v[185:186]
	s_waitcnt_depctr 0xfff
	v_fma_f64 v[189:190], -v[185:186], v[187:188], 1.0
	s_delay_alu instid0(VALU_DEP_1) | instskip(NEXT) | instid1(VALU_DEP_1)
	v_fma_f64 v[187:188], v[187:188], v[189:190], v[187:188]
	v_fma_f64 v[189:190], -v[185:186], v[187:188], 1.0
	s_delay_alu instid0(VALU_DEP_1) | instskip(NEXT) | instid1(VALU_DEP_1)
	v_fma_f64 v[187:188], v[187:188], v[189:190], v[187:188]
	v_mul_f64 v[189:190], v[191:192], v[187:188]
	s_delay_alu instid0(VALU_DEP_1) | instskip(NEXT) | instid1(VALU_DEP_1)
	v_fma_f64 v[185:186], -v[185:186], v[189:190], v[191:192]
	v_div_fmas_f64 v[185:186], v[185:186], v[187:188], v[189:190]
	s_delay_alu instid0(VALU_DEP_1) | instskip(NEXT) | instid1(VALU_DEP_1)
	v_div_fixup_f64 v[185:186], v[185:186], v[168:169], v[170:171]
	v_fma_f64 v[168:169], v[170:171], v[185:186], v[168:169]
	s_delay_alu instid0(VALU_DEP_1) | instskip(NEXT) | instid1(VALU_DEP_1)
	v_div_scale_f64 v[170:171], null, v[168:169], v[168:169], 1.0
	v_rcp_f64_e32 v[187:188], v[170:171]
	s_waitcnt_depctr 0xfff
	v_fma_f64 v[189:190], -v[170:171], v[187:188], 1.0
	s_delay_alu instid0(VALU_DEP_1) | instskip(NEXT) | instid1(VALU_DEP_1)
	v_fma_f64 v[187:188], v[187:188], v[189:190], v[187:188]
	v_fma_f64 v[189:190], -v[170:171], v[187:188], 1.0
	s_delay_alu instid0(VALU_DEP_1) | instskip(SKIP_1) | instid1(VALU_DEP_1)
	v_fma_f64 v[187:188], v[187:188], v[189:190], v[187:188]
	v_div_scale_f64 v[189:190], vcc_lo, 1.0, v[168:169], 1.0
	v_mul_f64 v[191:192], v[189:190], v[187:188]
	s_delay_alu instid0(VALU_DEP_1) | instskip(NEXT) | instid1(VALU_DEP_1)
	v_fma_f64 v[170:171], -v[170:171], v[191:192], v[189:190]
	v_div_fmas_f64 v[170:171], v[170:171], v[187:188], v[191:192]
	s_delay_alu instid0(VALU_DEP_1) | instskip(NEXT) | instid1(VALU_DEP_1)
	v_div_fixup_f64 v[168:169], v[170:171], v[168:169], 1.0
	v_mul_f64 v[170:171], v[185:186], -v[168:169]
.LBB82_597:
	s_or_b32 exec_lo, exec_lo, s2
.LBB82_598:
	s_delay_alu instid0(SALU_CYCLE_1) | instskip(NEXT) | instid1(SALU_CYCLE_1)
	s_or_b32 exec_lo, exec_lo, s3
	s_mov_b32 s2, exec_lo
	v_cmpx_ne_u32_e64 v184, v176
	s_xor_b32 s2, exec_lo, s2
	s_cbranch_execz .LBB82_604
; %bb.599:
	s_mov_b32 s3, exec_lo
	v_cmpx_eq_u32_e32 28, v184
	s_cbranch_execz .LBB82_603
; %bb.600:
	v_cmp_ne_u32_e32 vcc_lo, 28, v176
	s_xor_b32 s6, s4, -1
	s_delay_alu instid0(SALU_CYCLE_1) | instskip(NEXT) | instid1(SALU_CYCLE_1)
	s_and_b32 s7, s6, vcc_lo
	s_and_saveexec_b32 s6, s7
	s_cbranch_execz .LBB82_602
; %bb.601:
	v_ashrrev_i32_e32 v177, 31, v176
	s_delay_alu instid0(VALU_DEP_1) | instskip(NEXT) | instid1(VALU_DEP_1)
	v_lshlrev_b64 v[184:185], 2, v[176:177]
	v_add_co_u32 v184, vcc_lo, v174, v184
	s_delay_alu instid0(VALU_DEP_2)
	v_add_co_ci_u32_e32 v185, vcc_lo, v175, v185, vcc_lo
	s_clause 0x1
	flat_load_b32 v177, v[184:185]
	flat_load_b32 v181, v[174:175] offset:112
	s_waitcnt vmcnt(1) lgkmcnt(1)
	flat_store_b32 v[174:175], v177 offset:112
	s_waitcnt vmcnt(0) lgkmcnt(1)
	flat_store_b32 v[184:185], v181
.LBB82_602:
	s_or_b32 exec_lo, exec_lo, s6
	v_mov_b32_e32 v184, v176
	v_mov_b32_e32 v181, v176
.LBB82_603:
	s_or_b32 exec_lo, exec_lo, s3
.LBB82_604:
	s_and_not1_saveexec_b32 s2, s2
	s_cbranch_execz .LBB82_606
; %bb.605:
	v_mov_b32_e32 v184, 28
	ds_store_2addr_b64 v178, v[48:49], v[50:51] offset0:58 offset1:59
	ds_store_2addr_b64 v178, v[44:45], v[46:47] offset0:60 offset1:61
	;; [unrolled: 1-line block ×13, first 2 shown]
.LBB82_606:
	s_or_b32 exec_lo, exec_lo, s2
	s_delay_alu instid0(SALU_CYCLE_1)
	s_mov_b32 s2, exec_lo
	s_waitcnt lgkmcnt(0)
	s_waitcnt_vscnt null, 0x0
	s_barrier
	buffer_gl0_inv
	v_cmpx_lt_i32_e32 28, v184
	s_cbranch_execz .LBB82_608
; %bb.607:
	v_mul_f64 v[176:177], v[168:169], v[54:55]
	v_mul_f64 v[54:55], v[170:171], v[54:55]
	s_delay_alu instid0(VALU_DEP_2) | instskip(NEXT) | instid1(VALU_DEP_2)
	v_fma_f64 v[176:177], v[170:171], v[52:53], v[176:177]
	v_fma_f64 v[52:53], v[168:169], v[52:53], -v[54:55]
	ds_load_2addr_b64 v[168:171], v178 offset0:58 offset1:59
	s_waitcnt lgkmcnt(0)
	v_mul_f64 v[54:55], v[170:171], v[176:177]
	s_delay_alu instid0(VALU_DEP_1) | instskip(SKIP_1) | instid1(VALU_DEP_2)
	v_fma_f64 v[54:55], v[168:169], v[52:53], -v[54:55]
	v_mul_f64 v[168:169], v[168:169], v[176:177]
	v_add_f64 v[48:49], v[48:49], -v[54:55]
	s_delay_alu instid0(VALU_DEP_2) | instskip(NEXT) | instid1(VALU_DEP_1)
	v_fma_f64 v[168:169], v[170:171], v[52:53], v[168:169]
	v_add_f64 v[50:51], v[50:51], -v[168:169]
	ds_load_2addr_b64 v[168:171], v178 offset0:60 offset1:61
	s_waitcnt lgkmcnt(0)
	v_mul_f64 v[54:55], v[170:171], v[176:177]
	s_delay_alu instid0(VALU_DEP_1) | instskip(SKIP_1) | instid1(VALU_DEP_2)
	v_fma_f64 v[54:55], v[168:169], v[52:53], -v[54:55]
	v_mul_f64 v[168:169], v[168:169], v[176:177]
	v_add_f64 v[44:45], v[44:45], -v[54:55]
	s_delay_alu instid0(VALU_DEP_2) | instskip(NEXT) | instid1(VALU_DEP_1)
	v_fma_f64 v[168:169], v[170:171], v[52:53], v[168:169]
	v_add_f64 v[46:47], v[46:47], -v[168:169]
	;; [unrolled: 10-line block ×12, first 2 shown]
	ds_load_2addr_b64 v[168:171], v178 offset0:82 offset1:83
	s_waitcnt lgkmcnt(0)
	v_mul_f64 v[54:55], v[170:171], v[176:177]
	s_delay_alu instid0(VALU_DEP_1) | instskip(SKIP_1) | instid1(VALU_DEP_2)
	v_fma_f64 v[54:55], v[168:169], v[52:53], -v[54:55]
	v_mul_f64 v[168:169], v[168:169], v[176:177]
	v_add_f64 v[0:1], v[0:1], -v[54:55]
	s_delay_alu instid0(VALU_DEP_2) | instskip(SKIP_1) | instid1(VALU_DEP_2)
	v_fma_f64 v[168:169], v[170:171], v[52:53], v[168:169]
	v_dual_mov_b32 v54, v176 :: v_dual_mov_b32 v55, v177
	v_add_f64 v[2:3], v[2:3], -v[168:169]
.LBB82_608:
	s_or_b32 exec_lo, exec_lo, s2
	v_lshl_add_u32 v168, v184, 4, v178
	s_barrier
	buffer_gl0_inv
	v_mov_b32_e32 v176, 29
	ds_store_2addr_b64 v168, v[48:49], v[50:51] offset1:1
	s_waitcnt lgkmcnt(0)
	s_barrier
	buffer_gl0_inv
	ds_load_2addr_b64 v[168:171], v178 offset0:58 offset1:59
	s_cmp_lt_i32 s5, 31
	s_cbranch_scc1 .LBB82_611
; %bb.609:
	v_add3_u32 v177, v183, 0, 0x1e0
	v_mov_b32_e32 v176, 29
	s_mov_b32 s6, 30
	s_set_inst_prefetch_distance 0x1
	.p2align	6
.LBB82_610:                             ; =>This Inner Loop Header: Depth=1
	ds_load_2addr_b64 v[185:188], v177 offset1:1
	s_waitcnt lgkmcnt(1)
	v_cmp_gt_f64_e32 vcc_lo, 0, v[168:169]
	v_xor_b32_e32 v189, 0x80000000, v169
	v_cmp_gt_f64_e64 s2, 0, v[170:171]
	v_xor_b32_e32 v191, 0x80000000, v171
	v_add_nc_u32_e32 v177, 16, v177
	s_waitcnt lgkmcnt(0)
	v_cmp_gt_f64_e64 s3, 0, v[185:186]
	v_mov_b32_e32 v193, v185
	v_dual_mov_b32 v195, v187 :: v_dual_cndmask_b32 v190, v169, v189
	v_xor_b32_e32 v189, 0x80000000, v186
	v_cndmask_b32_e64 v192, v171, v191, s2
	v_xor_b32_e32 v191, 0x80000000, v188
	s_delay_alu instid0(VALU_DEP_3) | instskip(SKIP_2) | instid1(VALU_DEP_2)
	v_cndmask_b32_e64 v194, v186, v189, s3
	v_cmp_gt_f64_e64 s3, 0, v[187:188]
	v_cndmask_b32_e32 v189, v168, v168, vcc_lo
	v_cndmask_b32_e64 v196, v188, v191, s3
	v_cndmask_b32_e64 v191, v170, v170, s2
	s_delay_alu instid0(VALU_DEP_2) | instskip(NEXT) | instid1(VALU_DEP_2)
	v_add_f64 v[193:194], v[193:194], v[195:196]
	v_add_f64 v[189:190], v[189:190], v[191:192]
	s_delay_alu instid0(VALU_DEP_1) | instskip(SKIP_4) | instid1(SALU_CYCLE_1)
	v_cmp_lt_f64_e32 vcc_lo, v[189:190], v[193:194]
	v_dual_cndmask_b32 v170, v170, v187 :: v_dual_cndmask_b32 v169, v169, v186
	v_dual_cndmask_b32 v168, v168, v185 :: v_dual_cndmask_b32 v171, v171, v188
	v_cndmask_b32_e64 v176, v176, s6, vcc_lo
	s_add_i32 s6, s6, 1
	s_cmp_lg_u32 s5, s6
	s_cbranch_scc1 .LBB82_610
.LBB82_611:
	s_set_inst_prefetch_distance 0x2
	s_waitcnt lgkmcnt(0)
	v_cmp_eq_f64_e32 vcc_lo, 0, v[168:169]
	v_cmp_eq_f64_e64 s2, 0, v[170:171]
	s_delay_alu instid0(VALU_DEP_1) | instskip(NEXT) | instid1(SALU_CYCLE_1)
	s_and_b32 s2, vcc_lo, s2
	s_and_saveexec_b32 s3, s2
	s_delay_alu instid0(SALU_CYCLE_1)
	s_xor_b32 s2, exec_lo, s3
; %bb.612:
	v_cmp_ne_u32_e32 vcc_lo, 0, v182
	v_cndmask_b32_e32 v182, 30, v182, vcc_lo
; %bb.613:
	s_and_not1_saveexec_b32 s3, s2
	s_cbranch_execz .LBB82_619
; %bb.614:
	v_cmp_gt_f64_e32 vcc_lo, 0, v[168:169]
	v_cmp_gt_f64_e64 s2, 0, v[170:171]
	v_xor_b32_e32 v177, 0x80000000, v169
	v_xor_b32_e32 v185, 0x80000000, v171
	s_delay_alu instid0(VALU_DEP_2) | instskip(NEXT) | instid1(VALU_DEP_2)
	v_cndmask_b32_e32 v186, v169, v177, vcc_lo
	v_cndmask_b32_e64 v188, v171, v185, s2
	v_cndmask_b32_e32 v185, v168, v168, vcc_lo
	v_cndmask_b32_e64 v187, v170, v170, s2
	s_mov_b32 s2, exec_lo
	s_delay_alu instid0(VALU_DEP_1)
	v_cmpx_ngt_f64_e32 v[185:186], v[187:188]
	s_xor_b32 s2, exec_lo, s2
	s_cbranch_execz .LBB82_616
; %bb.615:
	v_div_scale_f64 v[185:186], null, v[170:171], v[170:171], v[168:169]
	v_div_scale_f64 v[191:192], vcc_lo, v[168:169], v[170:171], v[168:169]
	s_delay_alu instid0(VALU_DEP_2) | instskip(SKIP_2) | instid1(VALU_DEP_1)
	v_rcp_f64_e32 v[187:188], v[185:186]
	s_waitcnt_depctr 0xfff
	v_fma_f64 v[189:190], -v[185:186], v[187:188], 1.0
	v_fma_f64 v[187:188], v[187:188], v[189:190], v[187:188]
	s_delay_alu instid0(VALU_DEP_1) | instskip(NEXT) | instid1(VALU_DEP_1)
	v_fma_f64 v[189:190], -v[185:186], v[187:188], 1.0
	v_fma_f64 v[187:188], v[187:188], v[189:190], v[187:188]
	s_delay_alu instid0(VALU_DEP_1) | instskip(NEXT) | instid1(VALU_DEP_1)
	v_mul_f64 v[189:190], v[191:192], v[187:188]
	v_fma_f64 v[185:186], -v[185:186], v[189:190], v[191:192]
	s_delay_alu instid0(VALU_DEP_1) | instskip(NEXT) | instid1(VALU_DEP_1)
	v_div_fmas_f64 v[185:186], v[185:186], v[187:188], v[189:190]
	v_div_fixup_f64 v[185:186], v[185:186], v[170:171], v[168:169]
	s_delay_alu instid0(VALU_DEP_1) | instskip(NEXT) | instid1(VALU_DEP_1)
	v_fma_f64 v[168:169], v[168:169], v[185:186], v[170:171]
	v_div_scale_f64 v[170:171], null, v[168:169], v[168:169], 1.0
	s_delay_alu instid0(VALU_DEP_1) | instskip(SKIP_2) | instid1(VALU_DEP_1)
	v_rcp_f64_e32 v[187:188], v[170:171]
	s_waitcnt_depctr 0xfff
	v_fma_f64 v[189:190], -v[170:171], v[187:188], 1.0
	v_fma_f64 v[187:188], v[187:188], v[189:190], v[187:188]
	s_delay_alu instid0(VALU_DEP_1) | instskip(NEXT) | instid1(VALU_DEP_1)
	v_fma_f64 v[189:190], -v[170:171], v[187:188], 1.0
	v_fma_f64 v[187:188], v[187:188], v[189:190], v[187:188]
	v_div_scale_f64 v[189:190], vcc_lo, 1.0, v[168:169], 1.0
	s_delay_alu instid0(VALU_DEP_1) | instskip(NEXT) | instid1(VALU_DEP_1)
	v_mul_f64 v[191:192], v[189:190], v[187:188]
	v_fma_f64 v[170:171], -v[170:171], v[191:192], v[189:190]
	s_delay_alu instid0(VALU_DEP_1) | instskip(NEXT) | instid1(VALU_DEP_1)
	v_div_fmas_f64 v[170:171], v[170:171], v[187:188], v[191:192]
	v_div_fixup_f64 v[170:171], v[170:171], v[168:169], 1.0
	s_delay_alu instid0(VALU_DEP_1)
	v_mul_f64 v[168:169], v[185:186], v[170:171]
	v_xor_b32_e32 v171, 0x80000000, v171
.LBB82_616:
	s_and_not1_saveexec_b32 s2, s2
	s_cbranch_execz .LBB82_618
; %bb.617:
	s_delay_alu instid0(VALU_DEP_1) | instskip(SKIP_1) | instid1(VALU_DEP_2)
	v_div_scale_f64 v[185:186], null, v[168:169], v[168:169], v[170:171]
	v_div_scale_f64 v[191:192], vcc_lo, v[170:171], v[168:169], v[170:171]
	v_rcp_f64_e32 v[187:188], v[185:186]
	s_waitcnt_depctr 0xfff
	v_fma_f64 v[189:190], -v[185:186], v[187:188], 1.0
	s_delay_alu instid0(VALU_DEP_1) | instskip(NEXT) | instid1(VALU_DEP_1)
	v_fma_f64 v[187:188], v[187:188], v[189:190], v[187:188]
	v_fma_f64 v[189:190], -v[185:186], v[187:188], 1.0
	s_delay_alu instid0(VALU_DEP_1) | instskip(NEXT) | instid1(VALU_DEP_1)
	v_fma_f64 v[187:188], v[187:188], v[189:190], v[187:188]
	v_mul_f64 v[189:190], v[191:192], v[187:188]
	s_delay_alu instid0(VALU_DEP_1) | instskip(NEXT) | instid1(VALU_DEP_1)
	v_fma_f64 v[185:186], -v[185:186], v[189:190], v[191:192]
	v_div_fmas_f64 v[185:186], v[185:186], v[187:188], v[189:190]
	s_delay_alu instid0(VALU_DEP_1) | instskip(NEXT) | instid1(VALU_DEP_1)
	v_div_fixup_f64 v[185:186], v[185:186], v[168:169], v[170:171]
	v_fma_f64 v[168:169], v[170:171], v[185:186], v[168:169]
	s_delay_alu instid0(VALU_DEP_1) | instskip(NEXT) | instid1(VALU_DEP_1)
	v_div_scale_f64 v[170:171], null, v[168:169], v[168:169], 1.0
	v_rcp_f64_e32 v[187:188], v[170:171]
	s_waitcnt_depctr 0xfff
	v_fma_f64 v[189:190], -v[170:171], v[187:188], 1.0
	s_delay_alu instid0(VALU_DEP_1) | instskip(NEXT) | instid1(VALU_DEP_1)
	v_fma_f64 v[187:188], v[187:188], v[189:190], v[187:188]
	v_fma_f64 v[189:190], -v[170:171], v[187:188], 1.0
	s_delay_alu instid0(VALU_DEP_1) | instskip(SKIP_1) | instid1(VALU_DEP_1)
	v_fma_f64 v[187:188], v[187:188], v[189:190], v[187:188]
	v_div_scale_f64 v[189:190], vcc_lo, 1.0, v[168:169], 1.0
	v_mul_f64 v[191:192], v[189:190], v[187:188]
	s_delay_alu instid0(VALU_DEP_1) | instskip(NEXT) | instid1(VALU_DEP_1)
	v_fma_f64 v[170:171], -v[170:171], v[191:192], v[189:190]
	v_div_fmas_f64 v[170:171], v[170:171], v[187:188], v[191:192]
	s_delay_alu instid0(VALU_DEP_1) | instskip(NEXT) | instid1(VALU_DEP_1)
	v_div_fixup_f64 v[168:169], v[170:171], v[168:169], 1.0
	v_mul_f64 v[170:171], v[185:186], -v[168:169]
.LBB82_618:
	s_or_b32 exec_lo, exec_lo, s2
.LBB82_619:
	s_delay_alu instid0(SALU_CYCLE_1) | instskip(NEXT) | instid1(SALU_CYCLE_1)
	s_or_b32 exec_lo, exec_lo, s3
	s_mov_b32 s2, exec_lo
	v_cmpx_ne_u32_e64 v184, v176
	s_xor_b32 s2, exec_lo, s2
	s_cbranch_execz .LBB82_625
; %bb.620:
	s_mov_b32 s3, exec_lo
	v_cmpx_eq_u32_e32 29, v184
	s_cbranch_execz .LBB82_624
; %bb.621:
	v_cmp_ne_u32_e32 vcc_lo, 29, v176
	s_xor_b32 s6, s4, -1
	s_delay_alu instid0(SALU_CYCLE_1) | instskip(NEXT) | instid1(SALU_CYCLE_1)
	s_and_b32 s7, s6, vcc_lo
	s_and_saveexec_b32 s6, s7
	s_cbranch_execz .LBB82_623
; %bb.622:
	v_ashrrev_i32_e32 v177, 31, v176
	s_delay_alu instid0(VALU_DEP_1) | instskip(NEXT) | instid1(VALU_DEP_1)
	v_lshlrev_b64 v[184:185], 2, v[176:177]
	v_add_co_u32 v184, vcc_lo, v174, v184
	s_delay_alu instid0(VALU_DEP_2)
	v_add_co_ci_u32_e32 v185, vcc_lo, v175, v185, vcc_lo
	s_clause 0x1
	flat_load_b32 v177, v[184:185]
	flat_load_b32 v181, v[174:175] offset:116
	s_waitcnt vmcnt(1) lgkmcnt(1)
	flat_store_b32 v[174:175], v177 offset:116
	s_waitcnt vmcnt(0) lgkmcnt(1)
	flat_store_b32 v[184:185], v181
.LBB82_623:
	s_or_b32 exec_lo, exec_lo, s6
	v_mov_b32_e32 v184, v176
	v_mov_b32_e32 v181, v176
.LBB82_624:
	s_or_b32 exec_lo, exec_lo, s3
.LBB82_625:
	s_and_not1_saveexec_b32 s2, s2
	s_cbranch_execz .LBB82_627
; %bb.626:
	v_mov_b32_e32 v184, 29
	ds_store_2addr_b64 v178, v[44:45], v[46:47] offset0:60 offset1:61
	ds_store_2addr_b64 v178, v[40:41], v[42:43] offset0:62 offset1:63
	;; [unrolled: 1-line block ×12, first 2 shown]
.LBB82_627:
	s_or_b32 exec_lo, exec_lo, s2
	s_delay_alu instid0(SALU_CYCLE_1)
	s_mov_b32 s2, exec_lo
	s_waitcnt lgkmcnt(0)
	s_waitcnt_vscnt null, 0x0
	s_barrier
	buffer_gl0_inv
	v_cmpx_lt_i32_e32 29, v184
	s_cbranch_execz .LBB82_629
; %bb.628:
	v_mul_f64 v[176:177], v[168:169], v[50:51]
	v_mul_f64 v[50:51], v[170:171], v[50:51]
	s_delay_alu instid0(VALU_DEP_2) | instskip(NEXT) | instid1(VALU_DEP_2)
	v_fma_f64 v[176:177], v[170:171], v[48:49], v[176:177]
	v_fma_f64 v[48:49], v[168:169], v[48:49], -v[50:51]
	ds_load_2addr_b64 v[168:171], v178 offset0:60 offset1:61
	s_waitcnt lgkmcnt(0)
	v_mul_f64 v[50:51], v[170:171], v[176:177]
	s_delay_alu instid0(VALU_DEP_1) | instskip(SKIP_1) | instid1(VALU_DEP_2)
	v_fma_f64 v[50:51], v[168:169], v[48:49], -v[50:51]
	v_mul_f64 v[168:169], v[168:169], v[176:177]
	v_add_f64 v[44:45], v[44:45], -v[50:51]
	s_delay_alu instid0(VALU_DEP_2) | instskip(NEXT) | instid1(VALU_DEP_1)
	v_fma_f64 v[168:169], v[170:171], v[48:49], v[168:169]
	v_add_f64 v[46:47], v[46:47], -v[168:169]
	ds_load_2addr_b64 v[168:171], v178 offset0:62 offset1:63
	s_waitcnt lgkmcnt(0)
	v_mul_f64 v[50:51], v[170:171], v[176:177]
	s_delay_alu instid0(VALU_DEP_1) | instskip(SKIP_1) | instid1(VALU_DEP_2)
	v_fma_f64 v[50:51], v[168:169], v[48:49], -v[50:51]
	v_mul_f64 v[168:169], v[168:169], v[176:177]
	v_add_f64 v[40:41], v[40:41], -v[50:51]
	s_delay_alu instid0(VALU_DEP_2) | instskip(NEXT) | instid1(VALU_DEP_1)
	v_fma_f64 v[168:169], v[170:171], v[48:49], v[168:169]
	v_add_f64 v[42:43], v[42:43], -v[168:169]
	;; [unrolled: 10-line block ×11, first 2 shown]
	ds_load_2addr_b64 v[168:171], v178 offset0:82 offset1:83
	s_waitcnt lgkmcnt(0)
	v_mul_f64 v[50:51], v[170:171], v[176:177]
	s_delay_alu instid0(VALU_DEP_1) | instskip(SKIP_1) | instid1(VALU_DEP_2)
	v_fma_f64 v[50:51], v[168:169], v[48:49], -v[50:51]
	v_mul_f64 v[168:169], v[168:169], v[176:177]
	v_add_f64 v[0:1], v[0:1], -v[50:51]
	s_delay_alu instid0(VALU_DEP_2) | instskip(SKIP_1) | instid1(VALU_DEP_2)
	v_fma_f64 v[168:169], v[170:171], v[48:49], v[168:169]
	v_dual_mov_b32 v50, v176 :: v_dual_mov_b32 v51, v177
	v_add_f64 v[2:3], v[2:3], -v[168:169]
.LBB82_629:
	s_or_b32 exec_lo, exec_lo, s2
	v_lshl_add_u32 v168, v184, 4, v178
	s_barrier
	buffer_gl0_inv
	v_mov_b32_e32 v176, 30
	ds_store_2addr_b64 v168, v[44:45], v[46:47] offset1:1
	s_waitcnt lgkmcnt(0)
	s_barrier
	buffer_gl0_inv
	ds_load_2addr_b64 v[168:171], v178 offset0:60 offset1:61
	s_cmp_lt_i32 s5, 32
	s_cbranch_scc1 .LBB82_632
; %bb.630:
	v_add3_u32 v177, v183, 0, 0x1f0
	v_mov_b32_e32 v176, 30
	s_mov_b32 s6, 31
	s_set_inst_prefetch_distance 0x1
	.p2align	6
.LBB82_631:                             ; =>This Inner Loop Header: Depth=1
	ds_load_2addr_b64 v[185:188], v177 offset1:1
	s_waitcnt lgkmcnt(1)
	v_cmp_gt_f64_e32 vcc_lo, 0, v[168:169]
	v_xor_b32_e32 v189, 0x80000000, v169
	v_cmp_gt_f64_e64 s2, 0, v[170:171]
	v_xor_b32_e32 v191, 0x80000000, v171
	v_add_nc_u32_e32 v177, 16, v177
	s_waitcnt lgkmcnt(0)
	v_cmp_gt_f64_e64 s3, 0, v[185:186]
	v_mov_b32_e32 v193, v185
	v_dual_mov_b32 v195, v187 :: v_dual_cndmask_b32 v190, v169, v189
	v_xor_b32_e32 v189, 0x80000000, v186
	v_cndmask_b32_e64 v192, v171, v191, s2
	v_xor_b32_e32 v191, 0x80000000, v188
	s_delay_alu instid0(VALU_DEP_3) | instskip(SKIP_2) | instid1(VALU_DEP_2)
	v_cndmask_b32_e64 v194, v186, v189, s3
	v_cmp_gt_f64_e64 s3, 0, v[187:188]
	v_cndmask_b32_e32 v189, v168, v168, vcc_lo
	v_cndmask_b32_e64 v196, v188, v191, s3
	v_cndmask_b32_e64 v191, v170, v170, s2
	s_delay_alu instid0(VALU_DEP_2) | instskip(NEXT) | instid1(VALU_DEP_2)
	v_add_f64 v[193:194], v[193:194], v[195:196]
	v_add_f64 v[189:190], v[189:190], v[191:192]
	s_delay_alu instid0(VALU_DEP_1) | instskip(SKIP_4) | instid1(SALU_CYCLE_1)
	v_cmp_lt_f64_e32 vcc_lo, v[189:190], v[193:194]
	v_dual_cndmask_b32 v170, v170, v187 :: v_dual_cndmask_b32 v169, v169, v186
	v_dual_cndmask_b32 v168, v168, v185 :: v_dual_cndmask_b32 v171, v171, v188
	v_cndmask_b32_e64 v176, v176, s6, vcc_lo
	s_add_i32 s6, s6, 1
	s_cmp_lg_u32 s5, s6
	s_cbranch_scc1 .LBB82_631
.LBB82_632:
	s_set_inst_prefetch_distance 0x2
	s_waitcnt lgkmcnt(0)
	v_cmp_eq_f64_e32 vcc_lo, 0, v[168:169]
	v_cmp_eq_f64_e64 s2, 0, v[170:171]
	s_delay_alu instid0(VALU_DEP_1) | instskip(NEXT) | instid1(SALU_CYCLE_1)
	s_and_b32 s2, vcc_lo, s2
	s_and_saveexec_b32 s3, s2
	s_delay_alu instid0(SALU_CYCLE_1)
	s_xor_b32 s2, exec_lo, s3
; %bb.633:
	v_cmp_ne_u32_e32 vcc_lo, 0, v182
	v_cndmask_b32_e32 v182, 31, v182, vcc_lo
; %bb.634:
	s_and_not1_saveexec_b32 s3, s2
	s_cbranch_execz .LBB82_640
; %bb.635:
	v_cmp_gt_f64_e32 vcc_lo, 0, v[168:169]
	v_cmp_gt_f64_e64 s2, 0, v[170:171]
	v_xor_b32_e32 v177, 0x80000000, v169
	v_xor_b32_e32 v185, 0x80000000, v171
	s_delay_alu instid0(VALU_DEP_2) | instskip(NEXT) | instid1(VALU_DEP_2)
	v_cndmask_b32_e32 v186, v169, v177, vcc_lo
	v_cndmask_b32_e64 v188, v171, v185, s2
	v_cndmask_b32_e32 v185, v168, v168, vcc_lo
	v_cndmask_b32_e64 v187, v170, v170, s2
	s_mov_b32 s2, exec_lo
	s_delay_alu instid0(VALU_DEP_1)
	v_cmpx_ngt_f64_e32 v[185:186], v[187:188]
	s_xor_b32 s2, exec_lo, s2
	s_cbranch_execz .LBB82_637
; %bb.636:
	v_div_scale_f64 v[185:186], null, v[170:171], v[170:171], v[168:169]
	v_div_scale_f64 v[191:192], vcc_lo, v[168:169], v[170:171], v[168:169]
	s_delay_alu instid0(VALU_DEP_2) | instskip(SKIP_2) | instid1(VALU_DEP_1)
	v_rcp_f64_e32 v[187:188], v[185:186]
	s_waitcnt_depctr 0xfff
	v_fma_f64 v[189:190], -v[185:186], v[187:188], 1.0
	v_fma_f64 v[187:188], v[187:188], v[189:190], v[187:188]
	s_delay_alu instid0(VALU_DEP_1) | instskip(NEXT) | instid1(VALU_DEP_1)
	v_fma_f64 v[189:190], -v[185:186], v[187:188], 1.0
	v_fma_f64 v[187:188], v[187:188], v[189:190], v[187:188]
	s_delay_alu instid0(VALU_DEP_1) | instskip(NEXT) | instid1(VALU_DEP_1)
	v_mul_f64 v[189:190], v[191:192], v[187:188]
	v_fma_f64 v[185:186], -v[185:186], v[189:190], v[191:192]
	s_delay_alu instid0(VALU_DEP_1) | instskip(NEXT) | instid1(VALU_DEP_1)
	v_div_fmas_f64 v[185:186], v[185:186], v[187:188], v[189:190]
	v_div_fixup_f64 v[185:186], v[185:186], v[170:171], v[168:169]
	s_delay_alu instid0(VALU_DEP_1) | instskip(NEXT) | instid1(VALU_DEP_1)
	v_fma_f64 v[168:169], v[168:169], v[185:186], v[170:171]
	v_div_scale_f64 v[170:171], null, v[168:169], v[168:169], 1.0
	s_delay_alu instid0(VALU_DEP_1) | instskip(SKIP_2) | instid1(VALU_DEP_1)
	v_rcp_f64_e32 v[187:188], v[170:171]
	s_waitcnt_depctr 0xfff
	v_fma_f64 v[189:190], -v[170:171], v[187:188], 1.0
	v_fma_f64 v[187:188], v[187:188], v[189:190], v[187:188]
	s_delay_alu instid0(VALU_DEP_1) | instskip(NEXT) | instid1(VALU_DEP_1)
	v_fma_f64 v[189:190], -v[170:171], v[187:188], 1.0
	v_fma_f64 v[187:188], v[187:188], v[189:190], v[187:188]
	v_div_scale_f64 v[189:190], vcc_lo, 1.0, v[168:169], 1.0
	s_delay_alu instid0(VALU_DEP_1) | instskip(NEXT) | instid1(VALU_DEP_1)
	v_mul_f64 v[191:192], v[189:190], v[187:188]
	v_fma_f64 v[170:171], -v[170:171], v[191:192], v[189:190]
	s_delay_alu instid0(VALU_DEP_1) | instskip(NEXT) | instid1(VALU_DEP_1)
	v_div_fmas_f64 v[170:171], v[170:171], v[187:188], v[191:192]
	v_div_fixup_f64 v[170:171], v[170:171], v[168:169], 1.0
	s_delay_alu instid0(VALU_DEP_1)
	v_mul_f64 v[168:169], v[185:186], v[170:171]
	v_xor_b32_e32 v171, 0x80000000, v171
.LBB82_637:
	s_and_not1_saveexec_b32 s2, s2
	s_cbranch_execz .LBB82_639
; %bb.638:
	s_delay_alu instid0(VALU_DEP_1) | instskip(SKIP_1) | instid1(VALU_DEP_2)
	v_div_scale_f64 v[185:186], null, v[168:169], v[168:169], v[170:171]
	v_div_scale_f64 v[191:192], vcc_lo, v[170:171], v[168:169], v[170:171]
	v_rcp_f64_e32 v[187:188], v[185:186]
	s_waitcnt_depctr 0xfff
	v_fma_f64 v[189:190], -v[185:186], v[187:188], 1.0
	s_delay_alu instid0(VALU_DEP_1) | instskip(NEXT) | instid1(VALU_DEP_1)
	v_fma_f64 v[187:188], v[187:188], v[189:190], v[187:188]
	v_fma_f64 v[189:190], -v[185:186], v[187:188], 1.0
	s_delay_alu instid0(VALU_DEP_1) | instskip(NEXT) | instid1(VALU_DEP_1)
	v_fma_f64 v[187:188], v[187:188], v[189:190], v[187:188]
	v_mul_f64 v[189:190], v[191:192], v[187:188]
	s_delay_alu instid0(VALU_DEP_1) | instskip(NEXT) | instid1(VALU_DEP_1)
	v_fma_f64 v[185:186], -v[185:186], v[189:190], v[191:192]
	v_div_fmas_f64 v[185:186], v[185:186], v[187:188], v[189:190]
	s_delay_alu instid0(VALU_DEP_1) | instskip(NEXT) | instid1(VALU_DEP_1)
	v_div_fixup_f64 v[185:186], v[185:186], v[168:169], v[170:171]
	v_fma_f64 v[168:169], v[170:171], v[185:186], v[168:169]
	s_delay_alu instid0(VALU_DEP_1) | instskip(NEXT) | instid1(VALU_DEP_1)
	v_div_scale_f64 v[170:171], null, v[168:169], v[168:169], 1.0
	v_rcp_f64_e32 v[187:188], v[170:171]
	s_waitcnt_depctr 0xfff
	v_fma_f64 v[189:190], -v[170:171], v[187:188], 1.0
	s_delay_alu instid0(VALU_DEP_1) | instskip(NEXT) | instid1(VALU_DEP_1)
	v_fma_f64 v[187:188], v[187:188], v[189:190], v[187:188]
	v_fma_f64 v[189:190], -v[170:171], v[187:188], 1.0
	s_delay_alu instid0(VALU_DEP_1) | instskip(SKIP_1) | instid1(VALU_DEP_1)
	v_fma_f64 v[187:188], v[187:188], v[189:190], v[187:188]
	v_div_scale_f64 v[189:190], vcc_lo, 1.0, v[168:169], 1.0
	v_mul_f64 v[191:192], v[189:190], v[187:188]
	s_delay_alu instid0(VALU_DEP_1) | instskip(NEXT) | instid1(VALU_DEP_1)
	v_fma_f64 v[170:171], -v[170:171], v[191:192], v[189:190]
	v_div_fmas_f64 v[170:171], v[170:171], v[187:188], v[191:192]
	s_delay_alu instid0(VALU_DEP_1) | instskip(NEXT) | instid1(VALU_DEP_1)
	v_div_fixup_f64 v[168:169], v[170:171], v[168:169], 1.0
	v_mul_f64 v[170:171], v[185:186], -v[168:169]
.LBB82_639:
	s_or_b32 exec_lo, exec_lo, s2
.LBB82_640:
	s_delay_alu instid0(SALU_CYCLE_1) | instskip(NEXT) | instid1(SALU_CYCLE_1)
	s_or_b32 exec_lo, exec_lo, s3
	s_mov_b32 s2, exec_lo
	v_cmpx_ne_u32_e64 v184, v176
	s_xor_b32 s2, exec_lo, s2
	s_cbranch_execz .LBB82_646
; %bb.641:
	s_mov_b32 s3, exec_lo
	v_cmpx_eq_u32_e32 30, v184
	s_cbranch_execz .LBB82_645
; %bb.642:
	v_cmp_ne_u32_e32 vcc_lo, 30, v176
	s_xor_b32 s6, s4, -1
	s_delay_alu instid0(SALU_CYCLE_1) | instskip(NEXT) | instid1(SALU_CYCLE_1)
	s_and_b32 s7, s6, vcc_lo
	s_and_saveexec_b32 s6, s7
	s_cbranch_execz .LBB82_644
; %bb.643:
	v_ashrrev_i32_e32 v177, 31, v176
	s_delay_alu instid0(VALU_DEP_1) | instskip(NEXT) | instid1(VALU_DEP_1)
	v_lshlrev_b64 v[184:185], 2, v[176:177]
	v_add_co_u32 v184, vcc_lo, v174, v184
	s_delay_alu instid0(VALU_DEP_2)
	v_add_co_ci_u32_e32 v185, vcc_lo, v175, v185, vcc_lo
	s_clause 0x1
	flat_load_b32 v177, v[184:185]
	flat_load_b32 v181, v[174:175] offset:120
	s_waitcnt vmcnt(1) lgkmcnt(1)
	flat_store_b32 v[174:175], v177 offset:120
	s_waitcnt vmcnt(0) lgkmcnt(1)
	flat_store_b32 v[184:185], v181
.LBB82_644:
	s_or_b32 exec_lo, exec_lo, s6
	v_mov_b32_e32 v184, v176
	v_mov_b32_e32 v181, v176
.LBB82_645:
	s_or_b32 exec_lo, exec_lo, s3
.LBB82_646:
	s_and_not1_saveexec_b32 s2, s2
	s_cbranch_execz .LBB82_648
; %bb.647:
	v_mov_b32_e32 v184, 30
	ds_store_2addr_b64 v178, v[40:41], v[42:43] offset0:62 offset1:63
	ds_store_2addr_b64 v178, v[36:37], v[38:39] offset0:64 offset1:65
	;; [unrolled: 1-line block ×11, first 2 shown]
.LBB82_648:
	s_or_b32 exec_lo, exec_lo, s2
	s_delay_alu instid0(SALU_CYCLE_1)
	s_mov_b32 s2, exec_lo
	s_waitcnt lgkmcnt(0)
	s_waitcnt_vscnt null, 0x0
	s_barrier
	buffer_gl0_inv
	v_cmpx_lt_i32_e32 30, v184
	s_cbranch_execz .LBB82_650
; %bb.649:
	v_mul_f64 v[176:177], v[168:169], v[46:47]
	v_mul_f64 v[46:47], v[170:171], v[46:47]
	s_delay_alu instid0(VALU_DEP_2) | instskip(NEXT) | instid1(VALU_DEP_2)
	v_fma_f64 v[176:177], v[170:171], v[44:45], v[176:177]
	v_fma_f64 v[44:45], v[168:169], v[44:45], -v[46:47]
	ds_load_2addr_b64 v[168:171], v178 offset0:62 offset1:63
	s_waitcnt lgkmcnt(0)
	v_mul_f64 v[46:47], v[170:171], v[176:177]
	s_delay_alu instid0(VALU_DEP_1) | instskip(SKIP_1) | instid1(VALU_DEP_2)
	v_fma_f64 v[46:47], v[168:169], v[44:45], -v[46:47]
	v_mul_f64 v[168:169], v[168:169], v[176:177]
	v_add_f64 v[40:41], v[40:41], -v[46:47]
	s_delay_alu instid0(VALU_DEP_2) | instskip(NEXT) | instid1(VALU_DEP_1)
	v_fma_f64 v[168:169], v[170:171], v[44:45], v[168:169]
	v_add_f64 v[42:43], v[42:43], -v[168:169]
	ds_load_2addr_b64 v[168:171], v178 offset0:64 offset1:65
	s_waitcnt lgkmcnt(0)
	v_mul_f64 v[46:47], v[170:171], v[176:177]
	s_delay_alu instid0(VALU_DEP_1) | instskip(SKIP_1) | instid1(VALU_DEP_2)
	v_fma_f64 v[46:47], v[168:169], v[44:45], -v[46:47]
	v_mul_f64 v[168:169], v[168:169], v[176:177]
	v_add_f64 v[36:37], v[36:37], -v[46:47]
	s_delay_alu instid0(VALU_DEP_2) | instskip(NEXT) | instid1(VALU_DEP_1)
	v_fma_f64 v[168:169], v[170:171], v[44:45], v[168:169]
	v_add_f64 v[38:39], v[38:39], -v[168:169]
	;; [unrolled: 10-line block ×10, first 2 shown]
	ds_load_2addr_b64 v[168:171], v178 offset0:82 offset1:83
	s_waitcnt lgkmcnt(0)
	v_mul_f64 v[46:47], v[170:171], v[176:177]
	s_delay_alu instid0(VALU_DEP_1) | instskip(SKIP_1) | instid1(VALU_DEP_2)
	v_fma_f64 v[46:47], v[168:169], v[44:45], -v[46:47]
	v_mul_f64 v[168:169], v[168:169], v[176:177]
	v_add_f64 v[0:1], v[0:1], -v[46:47]
	s_delay_alu instid0(VALU_DEP_2) | instskip(SKIP_1) | instid1(VALU_DEP_2)
	v_fma_f64 v[168:169], v[170:171], v[44:45], v[168:169]
	v_dual_mov_b32 v46, v176 :: v_dual_mov_b32 v47, v177
	v_add_f64 v[2:3], v[2:3], -v[168:169]
.LBB82_650:
	s_or_b32 exec_lo, exec_lo, s2
	v_lshl_add_u32 v168, v184, 4, v178
	s_barrier
	buffer_gl0_inv
	v_mov_b32_e32 v176, 31
	ds_store_2addr_b64 v168, v[40:41], v[42:43] offset1:1
	s_waitcnt lgkmcnt(0)
	s_barrier
	buffer_gl0_inv
	ds_load_2addr_b64 v[168:171], v178 offset0:62 offset1:63
	s_cmp_lt_i32 s5, 33
	s_cbranch_scc1 .LBB82_653
; %bb.651:
	v_add3_u32 v177, v183, 0, 0x200
	v_mov_b32_e32 v176, 31
	s_mov_b32 s6, 32
	s_set_inst_prefetch_distance 0x1
	.p2align	6
.LBB82_652:                             ; =>This Inner Loop Header: Depth=1
	ds_load_2addr_b64 v[185:188], v177 offset1:1
	s_waitcnt lgkmcnt(1)
	v_cmp_gt_f64_e32 vcc_lo, 0, v[168:169]
	v_xor_b32_e32 v189, 0x80000000, v169
	v_cmp_gt_f64_e64 s2, 0, v[170:171]
	v_xor_b32_e32 v191, 0x80000000, v171
	v_add_nc_u32_e32 v177, 16, v177
	s_waitcnt lgkmcnt(0)
	v_cmp_gt_f64_e64 s3, 0, v[185:186]
	v_mov_b32_e32 v193, v185
	v_dual_mov_b32 v195, v187 :: v_dual_cndmask_b32 v190, v169, v189
	v_xor_b32_e32 v189, 0x80000000, v186
	v_cndmask_b32_e64 v192, v171, v191, s2
	v_xor_b32_e32 v191, 0x80000000, v188
	s_delay_alu instid0(VALU_DEP_3) | instskip(SKIP_2) | instid1(VALU_DEP_2)
	v_cndmask_b32_e64 v194, v186, v189, s3
	v_cmp_gt_f64_e64 s3, 0, v[187:188]
	v_cndmask_b32_e32 v189, v168, v168, vcc_lo
	v_cndmask_b32_e64 v196, v188, v191, s3
	v_cndmask_b32_e64 v191, v170, v170, s2
	s_delay_alu instid0(VALU_DEP_2) | instskip(NEXT) | instid1(VALU_DEP_2)
	v_add_f64 v[193:194], v[193:194], v[195:196]
	v_add_f64 v[189:190], v[189:190], v[191:192]
	s_delay_alu instid0(VALU_DEP_1) | instskip(SKIP_4) | instid1(SALU_CYCLE_1)
	v_cmp_lt_f64_e32 vcc_lo, v[189:190], v[193:194]
	v_dual_cndmask_b32 v170, v170, v187 :: v_dual_cndmask_b32 v169, v169, v186
	v_dual_cndmask_b32 v168, v168, v185 :: v_dual_cndmask_b32 v171, v171, v188
	v_cndmask_b32_e64 v176, v176, s6, vcc_lo
	s_add_i32 s6, s6, 1
	s_cmp_lg_u32 s5, s6
	s_cbranch_scc1 .LBB82_652
.LBB82_653:
	s_set_inst_prefetch_distance 0x2
	s_waitcnt lgkmcnt(0)
	v_cmp_eq_f64_e32 vcc_lo, 0, v[168:169]
	v_cmp_eq_f64_e64 s2, 0, v[170:171]
	s_delay_alu instid0(VALU_DEP_1) | instskip(NEXT) | instid1(SALU_CYCLE_1)
	s_and_b32 s2, vcc_lo, s2
	s_and_saveexec_b32 s3, s2
	s_delay_alu instid0(SALU_CYCLE_1)
	s_xor_b32 s2, exec_lo, s3
; %bb.654:
	v_cmp_ne_u32_e32 vcc_lo, 0, v182
	v_cndmask_b32_e32 v182, 32, v182, vcc_lo
; %bb.655:
	s_and_not1_saveexec_b32 s3, s2
	s_cbranch_execz .LBB82_661
; %bb.656:
	v_cmp_gt_f64_e32 vcc_lo, 0, v[168:169]
	v_cmp_gt_f64_e64 s2, 0, v[170:171]
	v_xor_b32_e32 v177, 0x80000000, v169
	v_xor_b32_e32 v185, 0x80000000, v171
	s_delay_alu instid0(VALU_DEP_2) | instskip(NEXT) | instid1(VALU_DEP_2)
	v_cndmask_b32_e32 v186, v169, v177, vcc_lo
	v_cndmask_b32_e64 v188, v171, v185, s2
	v_cndmask_b32_e32 v185, v168, v168, vcc_lo
	v_cndmask_b32_e64 v187, v170, v170, s2
	s_mov_b32 s2, exec_lo
	s_delay_alu instid0(VALU_DEP_1)
	v_cmpx_ngt_f64_e32 v[185:186], v[187:188]
	s_xor_b32 s2, exec_lo, s2
	s_cbranch_execz .LBB82_658
; %bb.657:
	v_div_scale_f64 v[185:186], null, v[170:171], v[170:171], v[168:169]
	v_div_scale_f64 v[191:192], vcc_lo, v[168:169], v[170:171], v[168:169]
	s_delay_alu instid0(VALU_DEP_2) | instskip(SKIP_2) | instid1(VALU_DEP_1)
	v_rcp_f64_e32 v[187:188], v[185:186]
	s_waitcnt_depctr 0xfff
	v_fma_f64 v[189:190], -v[185:186], v[187:188], 1.0
	v_fma_f64 v[187:188], v[187:188], v[189:190], v[187:188]
	s_delay_alu instid0(VALU_DEP_1) | instskip(NEXT) | instid1(VALU_DEP_1)
	v_fma_f64 v[189:190], -v[185:186], v[187:188], 1.0
	v_fma_f64 v[187:188], v[187:188], v[189:190], v[187:188]
	s_delay_alu instid0(VALU_DEP_1) | instskip(NEXT) | instid1(VALU_DEP_1)
	v_mul_f64 v[189:190], v[191:192], v[187:188]
	v_fma_f64 v[185:186], -v[185:186], v[189:190], v[191:192]
	s_delay_alu instid0(VALU_DEP_1) | instskip(NEXT) | instid1(VALU_DEP_1)
	v_div_fmas_f64 v[185:186], v[185:186], v[187:188], v[189:190]
	v_div_fixup_f64 v[185:186], v[185:186], v[170:171], v[168:169]
	s_delay_alu instid0(VALU_DEP_1) | instskip(NEXT) | instid1(VALU_DEP_1)
	v_fma_f64 v[168:169], v[168:169], v[185:186], v[170:171]
	v_div_scale_f64 v[170:171], null, v[168:169], v[168:169], 1.0
	s_delay_alu instid0(VALU_DEP_1) | instskip(SKIP_2) | instid1(VALU_DEP_1)
	v_rcp_f64_e32 v[187:188], v[170:171]
	s_waitcnt_depctr 0xfff
	v_fma_f64 v[189:190], -v[170:171], v[187:188], 1.0
	v_fma_f64 v[187:188], v[187:188], v[189:190], v[187:188]
	s_delay_alu instid0(VALU_DEP_1) | instskip(NEXT) | instid1(VALU_DEP_1)
	v_fma_f64 v[189:190], -v[170:171], v[187:188], 1.0
	v_fma_f64 v[187:188], v[187:188], v[189:190], v[187:188]
	v_div_scale_f64 v[189:190], vcc_lo, 1.0, v[168:169], 1.0
	s_delay_alu instid0(VALU_DEP_1) | instskip(NEXT) | instid1(VALU_DEP_1)
	v_mul_f64 v[191:192], v[189:190], v[187:188]
	v_fma_f64 v[170:171], -v[170:171], v[191:192], v[189:190]
	s_delay_alu instid0(VALU_DEP_1) | instskip(NEXT) | instid1(VALU_DEP_1)
	v_div_fmas_f64 v[170:171], v[170:171], v[187:188], v[191:192]
	v_div_fixup_f64 v[170:171], v[170:171], v[168:169], 1.0
	s_delay_alu instid0(VALU_DEP_1)
	v_mul_f64 v[168:169], v[185:186], v[170:171]
	v_xor_b32_e32 v171, 0x80000000, v171
.LBB82_658:
	s_and_not1_saveexec_b32 s2, s2
	s_cbranch_execz .LBB82_660
; %bb.659:
	s_delay_alu instid0(VALU_DEP_1) | instskip(SKIP_1) | instid1(VALU_DEP_2)
	v_div_scale_f64 v[185:186], null, v[168:169], v[168:169], v[170:171]
	v_div_scale_f64 v[191:192], vcc_lo, v[170:171], v[168:169], v[170:171]
	v_rcp_f64_e32 v[187:188], v[185:186]
	s_waitcnt_depctr 0xfff
	v_fma_f64 v[189:190], -v[185:186], v[187:188], 1.0
	s_delay_alu instid0(VALU_DEP_1) | instskip(NEXT) | instid1(VALU_DEP_1)
	v_fma_f64 v[187:188], v[187:188], v[189:190], v[187:188]
	v_fma_f64 v[189:190], -v[185:186], v[187:188], 1.0
	s_delay_alu instid0(VALU_DEP_1) | instskip(NEXT) | instid1(VALU_DEP_1)
	v_fma_f64 v[187:188], v[187:188], v[189:190], v[187:188]
	v_mul_f64 v[189:190], v[191:192], v[187:188]
	s_delay_alu instid0(VALU_DEP_1) | instskip(NEXT) | instid1(VALU_DEP_1)
	v_fma_f64 v[185:186], -v[185:186], v[189:190], v[191:192]
	v_div_fmas_f64 v[185:186], v[185:186], v[187:188], v[189:190]
	s_delay_alu instid0(VALU_DEP_1) | instskip(NEXT) | instid1(VALU_DEP_1)
	v_div_fixup_f64 v[185:186], v[185:186], v[168:169], v[170:171]
	v_fma_f64 v[168:169], v[170:171], v[185:186], v[168:169]
	s_delay_alu instid0(VALU_DEP_1) | instskip(NEXT) | instid1(VALU_DEP_1)
	v_div_scale_f64 v[170:171], null, v[168:169], v[168:169], 1.0
	v_rcp_f64_e32 v[187:188], v[170:171]
	s_waitcnt_depctr 0xfff
	v_fma_f64 v[189:190], -v[170:171], v[187:188], 1.0
	s_delay_alu instid0(VALU_DEP_1) | instskip(NEXT) | instid1(VALU_DEP_1)
	v_fma_f64 v[187:188], v[187:188], v[189:190], v[187:188]
	v_fma_f64 v[189:190], -v[170:171], v[187:188], 1.0
	s_delay_alu instid0(VALU_DEP_1) | instskip(SKIP_1) | instid1(VALU_DEP_1)
	v_fma_f64 v[187:188], v[187:188], v[189:190], v[187:188]
	v_div_scale_f64 v[189:190], vcc_lo, 1.0, v[168:169], 1.0
	v_mul_f64 v[191:192], v[189:190], v[187:188]
	s_delay_alu instid0(VALU_DEP_1) | instskip(NEXT) | instid1(VALU_DEP_1)
	v_fma_f64 v[170:171], -v[170:171], v[191:192], v[189:190]
	v_div_fmas_f64 v[170:171], v[170:171], v[187:188], v[191:192]
	s_delay_alu instid0(VALU_DEP_1) | instskip(NEXT) | instid1(VALU_DEP_1)
	v_div_fixup_f64 v[168:169], v[170:171], v[168:169], 1.0
	v_mul_f64 v[170:171], v[185:186], -v[168:169]
.LBB82_660:
	s_or_b32 exec_lo, exec_lo, s2
.LBB82_661:
	s_delay_alu instid0(SALU_CYCLE_1) | instskip(NEXT) | instid1(SALU_CYCLE_1)
	s_or_b32 exec_lo, exec_lo, s3
	s_mov_b32 s2, exec_lo
	v_cmpx_ne_u32_e64 v184, v176
	s_xor_b32 s2, exec_lo, s2
	s_cbranch_execz .LBB82_667
; %bb.662:
	s_mov_b32 s3, exec_lo
	v_cmpx_eq_u32_e32 31, v184
	s_cbranch_execz .LBB82_666
; %bb.663:
	v_cmp_ne_u32_e32 vcc_lo, 31, v176
	s_xor_b32 s6, s4, -1
	s_delay_alu instid0(SALU_CYCLE_1) | instskip(NEXT) | instid1(SALU_CYCLE_1)
	s_and_b32 s7, s6, vcc_lo
	s_and_saveexec_b32 s6, s7
	s_cbranch_execz .LBB82_665
; %bb.664:
	v_ashrrev_i32_e32 v177, 31, v176
	s_delay_alu instid0(VALU_DEP_1) | instskip(NEXT) | instid1(VALU_DEP_1)
	v_lshlrev_b64 v[184:185], 2, v[176:177]
	v_add_co_u32 v184, vcc_lo, v174, v184
	s_delay_alu instid0(VALU_DEP_2)
	v_add_co_ci_u32_e32 v185, vcc_lo, v175, v185, vcc_lo
	s_clause 0x1
	flat_load_b32 v177, v[184:185]
	flat_load_b32 v181, v[174:175] offset:124
	s_waitcnt vmcnt(1) lgkmcnt(1)
	flat_store_b32 v[174:175], v177 offset:124
	s_waitcnt vmcnt(0) lgkmcnt(1)
	flat_store_b32 v[184:185], v181
.LBB82_665:
	s_or_b32 exec_lo, exec_lo, s6
	v_mov_b32_e32 v184, v176
	v_mov_b32_e32 v181, v176
.LBB82_666:
	s_or_b32 exec_lo, exec_lo, s3
.LBB82_667:
	s_and_not1_saveexec_b32 s2, s2
	s_cbranch_execz .LBB82_669
; %bb.668:
	v_mov_b32_e32 v184, 31
	ds_store_2addr_b64 v178, v[36:37], v[38:39] offset0:64 offset1:65
	ds_store_2addr_b64 v178, v[32:33], v[34:35] offset0:66 offset1:67
	;; [unrolled: 1-line block ×10, first 2 shown]
.LBB82_669:
	s_or_b32 exec_lo, exec_lo, s2
	s_delay_alu instid0(SALU_CYCLE_1)
	s_mov_b32 s2, exec_lo
	s_waitcnt lgkmcnt(0)
	s_waitcnt_vscnt null, 0x0
	s_barrier
	buffer_gl0_inv
	v_cmpx_lt_i32_e32 31, v184
	s_cbranch_execz .LBB82_671
; %bb.670:
	v_mul_f64 v[176:177], v[168:169], v[42:43]
	v_mul_f64 v[42:43], v[170:171], v[42:43]
	s_delay_alu instid0(VALU_DEP_2) | instskip(NEXT) | instid1(VALU_DEP_2)
	v_fma_f64 v[176:177], v[170:171], v[40:41], v[176:177]
	v_fma_f64 v[40:41], v[168:169], v[40:41], -v[42:43]
	ds_load_2addr_b64 v[168:171], v178 offset0:64 offset1:65
	s_waitcnt lgkmcnt(0)
	v_mul_f64 v[42:43], v[170:171], v[176:177]
	s_delay_alu instid0(VALU_DEP_1) | instskip(SKIP_1) | instid1(VALU_DEP_2)
	v_fma_f64 v[42:43], v[168:169], v[40:41], -v[42:43]
	v_mul_f64 v[168:169], v[168:169], v[176:177]
	v_add_f64 v[36:37], v[36:37], -v[42:43]
	s_delay_alu instid0(VALU_DEP_2) | instskip(NEXT) | instid1(VALU_DEP_1)
	v_fma_f64 v[168:169], v[170:171], v[40:41], v[168:169]
	v_add_f64 v[38:39], v[38:39], -v[168:169]
	ds_load_2addr_b64 v[168:171], v178 offset0:66 offset1:67
	s_waitcnt lgkmcnt(0)
	v_mul_f64 v[42:43], v[170:171], v[176:177]
	s_delay_alu instid0(VALU_DEP_1) | instskip(SKIP_1) | instid1(VALU_DEP_2)
	v_fma_f64 v[42:43], v[168:169], v[40:41], -v[42:43]
	v_mul_f64 v[168:169], v[168:169], v[176:177]
	v_add_f64 v[32:33], v[32:33], -v[42:43]
	s_delay_alu instid0(VALU_DEP_2) | instskip(NEXT) | instid1(VALU_DEP_1)
	v_fma_f64 v[168:169], v[170:171], v[40:41], v[168:169]
	v_add_f64 v[34:35], v[34:35], -v[168:169]
	;; [unrolled: 10-line block ×9, first 2 shown]
	ds_load_2addr_b64 v[168:171], v178 offset0:82 offset1:83
	s_waitcnt lgkmcnt(0)
	v_mul_f64 v[42:43], v[170:171], v[176:177]
	s_delay_alu instid0(VALU_DEP_1) | instskip(SKIP_1) | instid1(VALU_DEP_2)
	v_fma_f64 v[42:43], v[168:169], v[40:41], -v[42:43]
	v_mul_f64 v[168:169], v[168:169], v[176:177]
	v_add_f64 v[0:1], v[0:1], -v[42:43]
	s_delay_alu instid0(VALU_DEP_2) | instskip(SKIP_1) | instid1(VALU_DEP_2)
	v_fma_f64 v[168:169], v[170:171], v[40:41], v[168:169]
	v_dual_mov_b32 v42, v176 :: v_dual_mov_b32 v43, v177
	v_add_f64 v[2:3], v[2:3], -v[168:169]
.LBB82_671:
	s_or_b32 exec_lo, exec_lo, s2
	v_lshl_add_u32 v168, v184, 4, v178
	s_barrier
	buffer_gl0_inv
	v_mov_b32_e32 v176, 32
	ds_store_2addr_b64 v168, v[36:37], v[38:39] offset1:1
	s_waitcnt lgkmcnt(0)
	s_barrier
	buffer_gl0_inv
	ds_load_2addr_b64 v[168:171], v178 offset0:64 offset1:65
	s_cmp_lt_i32 s5, 34
	s_cbranch_scc1 .LBB82_674
; %bb.672:
	v_add3_u32 v177, v183, 0, 0x210
	v_mov_b32_e32 v176, 32
	s_mov_b32 s6, 33
	s_set_inst_prefetch_distance 0x1
	.p2align	6
.LBB82_673:                             ; =>This Inner Loop Header: Depth=1
	ds_load_2addr_b64 v[185:188], v177 offset1:1
	s_waitcnt lgkmcnt(1)
	v_cmp_gt_f64_e32 vcc_lo, 0, v[168:169]
	v_xor_b32_e32 v189, 0x80000000, v169
	v_cmp_gt_f64_e64 s2, 0, v[170:171]
	v_xor_b32_e32 v191, 0x80000000, v171
	v_add_nc_u32_e32 v177, 16, v177
	s_waitcnt lgkmcnt(0)
	v_cmp_gt_f64_e64 s3, 0, v[185:186]
	v_mov_b32_e32 v193, v185
	v_dual_mov_b32 v195, v187 :: v_dual_cndmask_b32 v190, v169, v189
	v_xor_b32_e32 v189, 0x80000000, v186
	v_cndmask_b32_e64 v192, v171, v191, s2
	v_xor_b32_e32 v191, 0x80000000, v188
	s_delay_alu instid0(VALU_DEP_3) | instskip(SKIP_2) | instid1(VALU_DEP_2)
	v_cndmask_b32_e64 v194, v186, v189, s3
	v_cmp_gt_f64_e64 s3, 0, v[187:188]
	v_cndmask_b32_e32 v189, v168, v168, vcc_lo
	v_cndmask_b32_e64 v196, v188, v191, s3
	v_cndmask_b32_e64 v191, v170, v170, s2
	s_delay_alu instid0(VALU_DEP_2) | instskip(NEXT) | instid1(VALU_DEP_2)
	v_add_f64 v[193:194], v[193:194], v[195:196]
	v_add_f64 v[189:190], v[189:190], v[191:192]
	s_delay_alu instid0(VALU_DEP_1) | instskip(SKIP_4) | instid1(SALU_CYCLE_1)
	v_cmp_lt_f64_e32 vcc_lo, v[189:190], v[193:194]
	v_dual_cndmask_b32 v170, v170, v187 :: v_dual_cndmask_b32 v169, v169, v186
	v_dual_cndmask_b32 v168, v168, v185 :: v_dual_cndmask_b32 v171, v171, v188
	v_cndmask_b32_e64 v176, v176, s6, vcc_lo
	s_add_i32 s6, s6, 1
	s_cmp_lg_u32 s5, s6
	s_cbranch_scc1 .LBB82_673
.LBB82_674:
	s_set_inst_prefetch_distance 0x2
	s_waitcnt lgkmcnt(0)
	v_cmp_eq_f64_e32 vcc_lo, 0, v[168:169]
	v_cmp_eq_f64_e64 s2, 0, v[170:171]
	s_delay_alu instid0(VALU_DEP_1) | instskip(NEXT) | instid1(SALU_CYCLE_1)
	s_and_b32 s2, vcc_lo, s2
	s_and_saveexec_b32 s3, s2
	s_delay_alu instid0(SALU_CYCLE_1)
	s_xor_b32 s2, exec_lo, s3
; %bb.675:
	v_cmp_ne_u32_e32 vcc_lo, 0, v182
	v_cndmask_b32_e32 v182, 33, v182, vcc_lo
; %bb.676:
	s_and_not1_saveexec_b32 s3, s2
	s_cbranch_execz .LBB82_682
; %bb.677:
	v_cmp_gt_f64_e32 vcc_lo, 0, v[168:169]
	v_cmp_gt_f64_e64 s2, 0, v[170:171]
	v_xor_b32_e32 v177, 0x80000000, v169
	v_xor_b32_e32 v185, 0x80000000, v171
	s_delay_alu instid0(VALU_DEP_2) | instskip(NEXT) | instid1(VALU_DEP_2)
	v_cndmask_b32_e32 v186, v169, v177, vcc_lo
	v_cndmask_b32_e64 v188, v171, v185, s2
	v_cndmask_b32_e32 v185, v168, v168, vcc_lo
	v_cndmask_b32_e64 v187, v170, v170, s2
	s_mov_b32 s2, exec_lo
	s_delay_alu instid0(VALU_DEP_1)
	v_cmpx_ngt_f64_e32 v[185:186], v[187:188]
	s_xor_b32 s2, exec_lo, s2
	s_cbranch_execz .LBB82_679
; %bb.678:
	v_div_scale_f64 v[185:186], null, v[170:171], v[170:171], v[168:169]
	v_div_scale_f64 v[191:192], vcc_lo, v[168:169], v[170:171], v[168:169]
	s_delay_alu instid0(VALU_DEP_2) | instskip(SKIP_2) | instid1(VALU_DEP_1)
	v_rcp_f64_e32 v[187:188], v[185:186]
	s_waitcnt_depctr 0xfff
	v_fma_f64 v[189:190], -v[185:186], v[187:188], 1.0
	v_fma_f64 v[187:188], v[187:188], v[189:190], v[187:188]
	s_delay_alu instid0(VALU_DEP_1) | instskip(NEXT) | instid1(VALU_DEP_1)
	v_fma_f64 v[189:190], -v[185:186], v[187:188], 1.0
	v_fma_f64 v[187:188], v[187:188], v[189:190], v[187:188]
	s_delay_alu instid0(VALU_DEP_1) | instskip(NEXT) | instid1(VALU_DEP_1)
	v_mul_f64 v[189:190], v[191:192], v[187:188]
	v_fma_f64 v[185:186], -v[185:186], v[189:190], v[191:192]
	s_delay_alu instid0(VALU_DEP_1) | instskip(NEXT) | instid1(VALU_DEP_1)
	v_div_fmas_f64 v[185:186], v[185:186], v[187:188], v[189:190]
	v_div_fixup_f64 v[185:186], v[185:186], v[170:171], v[168:169]
	s_delay_alu instid0(VALU_DEP_1) | instskip(NEXT) | instid1(VALU_DEP_1)
	v_fma_f64 v[168:169], v[168:169], v[185:186], v[170:171]
	v_div_scale_f64 v[170:171], null, v[168:169], v[168:169], 1.0
	s_delay_alu instid0(VALU_DEP_1) | instskip(SKIP_2) | instid1(VALU_DEP_1)
	v_rcp_f64_e32 v[187:188], v[170:171]
	s_waitcnt_depctr 0xfff
	v_fma_f64 v[189:190], -v[170:171], v[187:188], 1.0
	v_fma_f64 v[187:188], v[187:188], v[189:190], v[187:188]
	s_delay_alu instid0(VALU_DEP_1) | instskip(NEXT) | instid1(VALU_DEP_1)
	v_fma_f64 v[189:190], -v[170:171], v[187:188], 1.0
	v_fma_f64 v[187:188], v[187:188], v[189:190], v[187:188]
	v_div_scale_f64 v[189:190], vcc_lo, 1.0, v[168:169], 1.0
	s_delay_alu instid0(VALU_DEP_1) | instskip(NEXT) | instid1(VALU_DEP_1)
	v_mul_f64 v[191:192], v[189:190], v[187:188]
	v_fma_f64 v[170:171], -v[170:171], v[191:192], v[189:190]
	s_delay_alu instid0(VALU_DEP_1) | instskip(NEXT) | instid1(VALU_DEP_1)
	v_div_fmas_f64 v[170:171], v[170:171], v[187:188], v[191:192]
	v_div_fixup_f64 v[170:171], v[170:171], v[168:169], 1.0
	s_delay_alu instid0(VALU_DEP_1)
	v_mul_f64 v[168:169], v[185:186], v[170:171]
	v_xor_b32_e32 v171, 0x80000000, v171
.LBB82_679:
	s_and_not1_saveexec_b32 s2, s2
	s_cbranch_execz .LBB82_681
; %bb.680:
	s_delay_alu instid0(VALU_DEP_1) | instskip(SKIP_1) | instid1(VALU_DEP_2)
	v_div_scale_f64 v[185:186], null, v[168:169], v[168:169], v[170:171]
	v_div_scale_f64 v[191:192], vcc_lo, v[170:171], v[168:169], v[170:171]
	v_rcp_f64_e32 v[187:188], v[185:186]
	s_waitcnt_depctr 0xfff
	v_fma_f64 v[189:190], -v[185:186], v[187:188], 1.0
	s_delay_alu instid0(VALU_DEP_1) | instskip(NEXT) | instid1(VALU_DEP_1)
	v_fma_f64 v[187:188], v[187:188], v[189:190], v[187:188]
	v_fma_f64 v[189:190], -v[185:186], v[187:188], 1.0
	s_delay_alu instid0(VALU_DEP_1) | instskip(NEXT) | instid1(VALU_DEP_1)
	v_fma_f64 v[187:188], v[187:188], v[189:190], v[187:188]
	v_mul_f64 v[189:190], v[191:192], v[187:188]
	s_delay_alu instid0(VALU_DEP_1) | instskip(NEXT) | instid1(VALU_DEP_1)
	v_fma_f64 v[185:186], -v[185:186], v[189:190], v[191:192]
	v_div_fmas_f64 v[185:186], v[185:186], v[187:188], v[189:190]
	s_delay_alu instid0(VALU_DEP_1) | instskip(NEXT) | instid1(VALU_DEP_1)
	v_div_fixup_f64 v[185:186], v[185:186], v[168:169], v[170:171]
	v_fma_f64 v[168:169], v[170:171], v[185:186], v[168:169]
	s_delay_alu instid0(VALU_DEP_1) | instskip(NEXT) | instid1(VALU_DEP_1)
	v_div_scale_f64 v[170:171], null, v[168:169], v[168:169], 1.0
	v_rcp_f64_e32 v[187:188], v[170:171]
	s_waitcnt_depctr 0xfff
	v_fma_f64 v[189:190], -v[170:171], v[187:188], 1.0
	s_delay_alu instid0(VALU_DEP_1) | instskip(NEXT) | instid1(VALU_DEP_1)
	v_fma_f64 v[187:188], v[187:188], v[189:190], v[187:188]
	v_fma_f64 v[189:190], -v[170:171], v[187:188], 1.0
	s_delay_alu instid0(VALU_DEP_1) | instskip(SKIP_1) | instid1(VALU_DEP_1)
	v_fma_f64 v[187:188], v[187:188], v[189:190], v[187:188]
	v_div_scale_f64 v[189:190], vcc_lo, 1.0, v[168:169], 1.0
	v_mul_f64 v[191:192], v[189:190], v[187:188]
	s_delay_alu instid0(VALU_DEP_1) | instskip(NEXT) | instid1(VALU_DEP_1)
	v_fma_f64 v[170:171], -v[170:171], v[191:192], v[189:190]
	v_div_fmas_f64 v[170:171], v[170:171], v[187:188], v[191:192]
	s_delay_alu instid0(VALU_DEP_1) | instskip(NEXT) | instid1(VALU_DEP_1)
	v_div_fixup_f64 v[168:169], v[170:171], v[168:169], 1.0
	v_mul_f64 v[170:171], v[185:186], -v[168:169]
.LBB82_681:
	s_or_b32 exec_lo, exec_lo, s2
.LBB82_682:
	s_delay_alu instid0(SALU_CYCLE_1) | instskip(NEXT) | instid1(SALU_CYCLE_1)
	s_or_b32 exec_lo, exec_lo, s3
	s_mov_b32 s2, exec_lo
	v_cmpx_ne_u32_e64 v184, v176
	s_xor_b32 s2, exec_lo, s2
	s_cbranch_execz .LBB82_688
; %bb.683:
	s_mov_b32 s3, exec_lo
	v_cmpx_eq_u32_e32 32, v184
	s_cbranch_execz .LBB82_687
; %bb.684:
	v_cmp_ne_u32_e32 vcc_lo, 32, v176
	s_xor_b32 s6, s4, -1
	s_delay_alu instid0(SALU_CYCLE_1) | instskip(NEXT) | instid1(SALU_CYCLE_1)
	s_and_b32 s7, s6, vcc_lo
	s_and_saveexec_b32 s6, s7
	s_cbranch_execz .LBB82_686
; %bb.685:
	v_ashrrev_i32_e32 v177, 31, v176
	s_delay_alu instid0(VALU_DEP_1) | instskip(NEXT) | instid1(VALU_DEP_1)
	v_lshlrev_b64 v[184:185], 2, v[176:177]
	v_add_co_u32 v184, vcc_lo, v174, v184
	s_delay_alu instid0(VALU_DEP_2)
	v_add_co_ci_u32_e32 v185, vcc_lo, v175, v185, vcc_lo
	s_clause 0x1
	flat_load_b32 v177, v[184:185]
	flat_load_b32 v181, v[174:175] offset:128
	s_waitcnt vmcnt(1) lgkmcnt(1)
	flat_store_b32 v[174:175], v177 offset:128
	s_waitcnt vmcnt(0) lgkmcnt(1)
	flat_store_b32 v[184:185], v181
.LBB82_686:
	s_or_b32 exec_lo, exec_lo, s6
	v_mov_b32_e32 v184, v176
	v_mov_b32_e32 v181, v176
.LBB82_687:
	s_or_b32 exec_lo, exec_lo, s3
.LBB82_688:
	s_and_not1_saveexec_b32 s2, s2
	s_cbranch_execz .LBB82_690
; %bb.689:
	v_mov_b32_e32 v184, 32
	ds_store_2addr_b64 v178, v[32:33], v[34:35] offset0:66 offset1:67
	ds_store_2addr_b64 v178, v[28:29], v[30:31] offset0:68 offset1:69
	;; [unrolled: 1-line block ×9, first 2 shown]
.LBB82_690:
	s_or_b32 exec_lo, exec_lo, s2
	s_delay_alu instid0(SALU_CYCLE_1)
	s_mov_b32 s2, exec_lo
	s_waitcnt lgkmcnt(0)
	s_waitcnt_vscnt null, 0x0
	s_barrier
	buffer_gl0_inv
	v_cmpx_lt_i32_e32 32, v184
	s_cbranch_execz .LBB82_692
; %bb.691:
	v_mul_f64 v[176:177], v[168:169], v[38:39]
	v_mul_f64 v[38:39], v[170:171], v[38:39]
	ds_load_2addr_b64 v[185:188], v178 offset0:66 offset1:67
	ds_load_2addr_b64 v[189:192], v178 offset0:68 offset1:69
	ds_load_2addr_b64 v[193:196], v178 offset0:70 offset1:71
	ds_load_2addr_b64 v[197:200], v178 offset0:72 offset1:73
	ds_load_2addr_b64 v[201:204], v178 offset0:74 offset1:75
	ds_load_2addr_b64 v[205:208], v178 offset0:76 offset1:77
	ds_load_2addr_b64 v[209:212], v178 offset0:78 offset1:79
	ds_load_2addr_b64 v[213:216], v178 offset0:80 offset1:81
	ds_load_2addr_b64 v[217:220], v178 offset0:82 offset1:83
	v_fma_f64 v[170:171], v[170:171], v[36:37], v[176:177]
	v_fma_f64 v[36:37], v[168:169], v[36:37], -v[38:39]
	s_waitcnt lgkmcnt(8)
	s_delay_alu instid0(VALU_DEP_2)
	v_mul_f64 v[38:39], v[187:188], v[170:171]
	v_mul_f64 v[168:169], v[185:186], v[170:171]
	s_waitcnt lgkmcnt(7)
	v_mul_f64 v[176:177], v[191:192], v[170:171]
	v_mul_f64 v[221:222], v[189:190], v[170:171]
	s_waitcnt lgkmcnt(6)
	;; [unrolled: 3-line block ×8, first 2 shown]
	v_mul_f64 v[247:248], v[219:220], v[170:171]
	v_mul_f64 v[249:250], v[217:218], v[170:171]
	v_fma_f64 v[38:39], v[185:186], v[36:37], -v[38:39]
	v_fma_f64 v[168:169], v[187:188], v[36:37], v[168:169]
	v_fma_f64 v[176:177], v[189:190], v[36:37], -v[176:177]
	v_fma_f64 v[185:186], v[191:192], v[36:37], v[221:222]
	;; [unrolled: 2-line block ×9, first 2 shown]
	v_add_f64 v[32:33], v[32:33], -v[38:39]
	v_add_f64 v[34:35], v[34:35], -v[168:169]
	;; [unrolled: 1-line block ×18, first 2 shown]
	v_dual_mov_b32 v38, v170 :: v_dual_mov_b32 v39, v171
.LBB82_692:
	s_or_b32 exec_lo, exec_lo, s2
	v_lshl_add_u32 v168, v184, 4, v178
	s_barrier
	buffer_gl0_inv
	v_mov_b32_e32 v176, 33
	ds_store_2addr_b64 v168, v[32:33], v[34:35] offset1:1
	s_waitcnt lgkmcnt(0)
	s_barrier
	buffer_gl0_inv
	ds_load_2addr_b64 v[168:171], v178 offset0:66 offset1:67
	s_cmp_lt_i32 s5, 35
	s_cbranch_scc1 .LBB82_695
; %bb.693:
	v_add3_u32 v177, v183, 0, 0x220
	v_mov_b32_e32 v176, 33
	s_mov_b32 s6, 34
	s_set_inst_prefetch_distance 0x1
	.p2align	6
.LBB82_694:                             ; =>This Inner Loop Header: Depth=1
	ds_load_2addr_b64 v[185:188], v177 offset1:1
	s_waitcnt lgkmcnt(1)
	v_cmp_gt_f64_e32 vcc_lo, 0, v[168:169]
	v_xor_b32_e32 v189, 0x80000000, v169
	v_cmp_gt_f64_e64 s2, 0, v[170:171]
	v_xor_b32_e32 v191, 0x80000000, v171
	v_add_nc_u32_e32 v177, 16, v177
	s_waitcnt lgkmcnt(0)
	v_cmp_gt_f64_e64 s3, 0, v[185:186]
	v_mov_b32_e32 v193, v185
	v_dual_mov_b32 v195, v187 :: v_dual_cndmask_b32 v190, v169, v189
	v_xor_b32_e32 v189, 0x80000000, v186
	v_cndmask_b32_e64 v192, v171, v191, s2
	v_xor_b32_e32 v191, 0x80000000, v188
	s_delay_alu instid0(VALU_DEP_3) | instskip(SKIP_2) | instid1(VALU_DEP_2)
	v_cndmask_b32_e64 v194, v186, v189, s3
	v_cmp_gt_f64_e64 s3, 0, v[187:188]
	v_cndmask_b32_e32 v189, v168, v168, vcc_lo
	v_cndmask_b32_e64 v196, v188, v191, s3
	v_cndmask_b32_e64 v191, v170, v170, s2
	s_delay_alu instid0(VALU_DEP_2) | instskip(NEXT) | instid1(VALU_DEP_2)
	v_add_f64 v[193:194], v[193:194], v[195:196]
	v_add_f64 v[189:190], v[189:190], v[191:192]
	s_delay_alu instid0(VALU_DEP_1) | instskip(SKIP_4) | instid1(SALU_CYCLE_1)
	v_cmp_lt_f64_e32 vcc_lo, v[189:190], v[193:194]
	v_dual_cndmask_b32 v170, v170, v187 :: v_dual_cndmask_b32 v169, v169, v186
	v_dual_cndmask_b32 v168, v168, v185 :: v_dual_cndmask_b32 v171, v171, v188
	v_cndmask_b32_e64 v176, v176, s6, vcc_lo
	s_add_i32 s6, s6, 1
	s_cmp_lg_u32 s5, s6
	s_cbranch_scc1 .LBB82_694
.LBB82_695:
	s_set_inst_prefetch_distance 0x2
	s_waitcnt lgkmcnt(0)
	v_cmp_eq_f64_e32 vcc_lo, 0, v[168:169]
	v_cmp_eq_f64_e64 s2, 0, v[170:171]
	s_delay_alu instid0(VALU_DEP_1) | instskip(NEXT) | instid1(SALU_CYCLE_1)
	s_and_b32 s2, vcc_lo, s2
	s_and_saveexec_b32 s3, s2
	s_delay_alu instid0(SALU_CYCLE_1)
	s_xor_b32 s2, exec_lo, s3
; %bb.696:
	v_cmp_ne_u32_e32 vcc_lo, 0, v182
	v_cndmask_b32_e32 v182, 34, v182, vcc_lo
; %bb.697:
	s_and_not1_saveexec_b32 s3, s2
	s_cbranch_execz .LBB82_703
; %bb.698:
	v_cmp_gt_f64_e32 vcc_lo, 0, v[168:169]
	v_cmp_gt_f64_e64 s2, 0, v[170:171]
	v_xor_b32_e32 v177, 0x80000000, v169
	v_xor_b32_e32 v185, 0x80000000, v171
	s_delay_alu instid0(VALU_DEP_2) | instskip(NEXT) | instid1(VALU_DEP_2)
	v_cndmask_b32_e32 v186, v169, v177, vcc_lo
	v_cndmask_b32_e64 v188, v171, v185, s2
	v_cndmask_b32_e32 v185, v168, v168, vcc_lo
	v_cndmask_b32_e64 v187, v170, v170, s2
	s_mov_b32 s2, exec_lo
	s_delay_alu instid0(VALU_DEP_1)
	v_cmpx_ngt_f64_e32 v[185:186], v[187:188]
	s_xor_b32 s2, exec_lo, s2
	s_cbranch_execz .LBB82_700
; %bb.699:
	v_div_scale_f64 v[185:186], null, v[170:171], v[170:171], v[168:169]
	v_div_scale_f64 v[191:192], vcc_lo, v[168:169], v[170:171], v[168:169]
	s_delay_alu instid0(VALU_DEP_2) | instskip(SKIP_2) | instid1(VALU_DEP_1)
	v_rcp_f64_e32 v[187:188], v[185:186]
	s_waitcnt_depctr 0xfff
	v_fma_f64 v[189:190], -v[185:186], v[187:188], 1.0
	v_fma_f64 v[187:188], v[187:188], v[189:190], v[187:188]
	s_delay_alu instid0(VALU_DEP_1) | instskip(NEXT) | instid1(VALU_DEP_1)
	v_fma_f64 v[189:190], -v[185:186], v[187:188], 1.0
	v_fma_f64 v[187:188], v[187:188], v[189:190], v[187:188]
	s_delay_alu instid0(VALU_DEP_1) | instskip(NEXT) | instid1(VALU_DEP_1)
	v_mul_f64 v[189:190], v[191:192], v[187:188]
	v_fma_f64 v[185:186], -v[185:186], v[189:190], v[191:192]
	s_delay_alu instid0(VALU_DEP_1) | instskip(NEXT) | instid1(VALU_DEP_1)
	v_div_fmas_f64 v[185:186], v[185:186], v[187:188], v[189:190]
	v_div_fixup_f64 v[185:186], v[185:186], v[170:171], v[168:169]
	s_delay_alu instid0(VALU_DEP_1) | instskip(NEXT) | instid1(VALU_DEP_1)
	v_fma_f64 v[168:169], v[168:169], v[185:186], v[170:171]
	v_div_scale_f64 v[170:171], null, v[168:169], v[168:169], 1.0
	s_delay_alu instid0(VALU_DEP_1) | instskip(SKIP_2) | instid1(VALU_DEP_1)
	v_rcp_f64_e32 v[187:188], v[170:171]
	s_waitcnt_depctr 0xfff
	v_fma_f64 v[189:190], -v[170:171], v[187:188], 1.0
	v_fma_f64 v[187:188], v[187:188], v[189:190], v[187:188]
	s_delay_alu instid0(VALU_DEP_1) | instskip(NEXT) | instid1(VALU_DEP_1)
	v_fma_f64 v[189:190], -v[170:171], v[187:188], 1.0
	v_fma_f64 v[187:188], v[187:188], v[189:190], v[187:188]
	v_div_scale_f64 v[189:190], vcc_lo, 1.0, v[168:169], 1.0
	s_delay_alu instid0(VALU_DEP_1) | instskip(NEXT) | instid1(VALU_DEP_1)
	v_mul_f64 v[191:192], v[189:190], v[187:188]
	v_fma_f64 v[170:171], -v[170:171], v[191:192], v[189:190]
	s_delay_alu instid0(VALU_DEP_1) | instskip(NEXT) | instid1(VALU_DEP_1)
	v_div_fmas_f64 v[170:171], v[170:171], v[187:188], v[191:192]
	v_div_fixup_f64 v[170:171], v[170:171], v[168:169], 1.0
	s_delay_alu instid0(VALU_DEP_1)
	v_mul_f64 v[168:169], v[185:186], v[170:171]
	v_xor_b32_e32 v171, 0x80000000, v171
.LBB82_700:
	s_and_not1_saveexec_b32 s2, s2
	s_cbranch_execz .LBB82_702
; %bb.701:
	s_delay_alu instid0(VALU_DEP_1) | instskip(SKIP_1) | instid1(VALU_DEP_2)
	v_div_scale_f64 v[185:186], null, v[168:169], v[168:169], v[170:171]
	v_div_scale_f64 v[191:192], vcc_lo, v[170:171], v[168:169], v[170:171]
	v_rcp_f64_e32 v[187:188], v[185:186]
	s_waitcnt_depctr 0xfff
	v_fma_f64 v[189:190], -v[185:186], v[187:188], 1.0
	s_delay_alu instid0(VALU_DEP_1) | instskip(NEXT) | instid1(VALU_DEP_1)
	v_fma_f64 v[187:188], v[187:188], v[189:190], v[187:188]
	v_fma_f64 v[189:190], -v[185:186], v[187:188], 1.0
	s_delay_alu instid0(VALU_DEP_1) | instskip(NEXT) | instid1(VALU_DEP_1)
	v_fma_f64 v[187:188], v[187:188], v[189:190], v[187:188]
	v_mul_f64 v[189:190], v[191:192], v[187:188]
	s_delay_alu instid0(VALU_DEP_1) | instskip(NEXT) | instid1(VALU_DEP_1)
	v_fma_f64 v[185:186], -v[185:186], v[189:190], v[191:192]
	v_div_fmas_f64 v[185:186], v[185:186], v[187:188], v[189:190]
	s_delay_alu instid0(VALU_DEP_1) | instskip(NEXT) | instid1(VALU_DEP_1)
	v_div_fixup_f64 v[185:186], v[185:186], v[168:169], v[170:171]
	v_fma_f64 v[168:169], v[170:171], v[185:186], v[168:169]
	s_delay_alu instid0(VALU_DEP_1) | instskip(NEXT) | instid1(VALU_DEP_1)
	v_div_scale_f64 v[170:171], null, v[168:169], v[168:169], 1.0
	v_rcp_f64_e32 v[187:188], v[170:171]
	s_waitcnt_depctr 0xfff
	v_fma_f64 v[189:190], -v[170:171], v[187:188], 1.0
	s_delay_alu instid0(VALU_DEP_1) | instskip(NEXT) | instid1(VALU_DEP_1)
	v_fma_f64 v[187:188], v[187:188], v[189:190], v[187:188]
	v_fma_f64 v[189:190], -v[170:171], v[187:188], 1.0
	s_delay_alu instid0(VALU_DEP_1) | instskip(SKIP_1) | instid1(VALU_DEP_1)
	v_fma_f64 v[187:188], v[187:188], v[189:190], v[187:188]
	v_div_scale_f64 v[189:190], vcc_lo, 1.0, v[168:169], 1.0
	v_mul_f64 v[191:192], v[189:190], v[187:188]
	s_delay_alu instid0(VALU_DEP_1) | instskip(NEXT) | instid1(VALU_DEP_1)
	v_fma_f64 v[170:171], -v[170:171], v[191:192], v[189:190]
	v_div_fmas_f64 v[170:171], v[170:171], v[187:188], v[191:192]
	s_delay_alu instid0(VALU_DEP_1) | instskip(NEXT) | instid1(VALU_DEP_1)
	v_div_fixup_f64 v[168:169], v[170:171], v[168:169], 1.0
	v_mul_f64 v[170:171], v[185:186], -v[168:169]
.LBB82_702:
	s_or_b32 exec_lo, exec_lo, s2
.LBB82_703:
	s_delay_alu instid0(SALU_CYCLE_1) | instskip(NEXT) | instid1(SALU_CYCLE_1)
	s_or_b32 exec_lo, exec_lo, s3
	s_mov_b32 s2, exec_lo
	v_cmpx_ne_u32_e64 v184, v176
	s_xor_b32 s2, exec_lo, s2
	s_cbranch_execz .LBB82_709
; %bb.704:
	s_mov_b32 s3, exec_lo
	v_cmpx_eq_u32_e32 33, v184
	s_cbranch_execz .LBB82_708
; %bb.705:
	v_cmp_ne_u32_e32 vcc_lo, 33, v176
	s_xor_b32 s6, s4, -1
	s_delay_alu instid0(SALU_CYCLE_1) | instskip(NEXT) | instid1(SALU_CYCLE_1)
	s_and_b32 s7, s6, vcc_lo
	s_and_saveexec_b32 s6, s7
	s_cbranch_execz .LBB82_707
; %bb.706:
	v_ashrrev_i32_e32 v177, 31, v176
	s_delay_alu instid0(VALU_DEP_1) | instskip(NEXT) | instid1(VALU_DEP_1)
	v_lshlrev_b64 v[184:185], 2, v[176:177]
	v_add_co_u32 v184, vcc_lo, v174, v184
	s_delay_alu instid0(VALU_DEP_2)
	v_add_co_ci_u32_e32 v185, vcc_lo, v175, v185, vcc_lo
	s_clause 0x1
	flat_load_b32 v177, v[184:185]
	flat_load_b32 v181, v[174:175] offset:132
	s_waitcnt vmcnt(1) lgkmcnt(1)
	flat_store_b32 v[174:175], v177 offset:132
	s_waitcnt vmcnt(0) lgkmcnt(1)
	flat_store_b32 v[184:185], v181
.LBB82_707:
	s_or_b32 exec_lo, exec_lo, s6
	v_mov_b32_e32 v184, v176
	v_mov_b32_e32 v181, v176
.LBB82_708:
	s_or_b32 exec_lo, exec_lo, s3
.LBB82_709:
	s_and_not1_saveexec_b32 s2, s2
	s_cbranch_execz .LBB82_711
; %bb.710:
	v_mov_b32_e32 v184, 33
	ds_store_2addr_b64 v178, v[28:29], v[30:31] offset0:68 offset1:69
	ds_store_2addr_b64 v178, v[24:25], v[26:27] offset0:70 offset1:71
	;; [unrolled: 1-line block ×8, first 2 shown]
.LBB82_711:
	s_or_b32 exec_lo, exec_lo, s2
	s_delay_alu instid0(SALU_CYCLE_1)
	s_mov_b32 s2, exec_lo
	s_waitcnt lgkmcnt(0)
	s_waitcnt_vscnt null, 0x0
	s_barrier
	buffer_gl0_inv
	v_cmpx_lt_i32_e32 33, v184
	s_cbranch_execz .LBB82_713
; %bb.712:
	v_mul_f64 v[176:177], v[168:169], v[34:35]
	v_mul_f64 v[34:35], v[170:171], v[34:35]
	ds_load_2addr_b64 v[185:188], v178 offset0:68 offset1:69
	ds_load_2addr_b64 v[189:192], v178 offset0:70 offset1:71
	;; [unrolled: 1-line block ×8, first 2 shown]
	v_fma_f64 v[170:171], v[170:171], v[32:33], v[176:177]
	v_fma_f64 v[32:33], v[168:169], v[32:33], -v[34:35]
	s_waitcnt lgkmcnt(7)
	s_delay_alu instid0(VALU_DEP_2)
	v_mul_f64 v[34:35], v[187:188], v[170:171]
	v_mul_f64 v[168:169], v[185:186], v[170:171]
	s_waitcnt lgkmcnt(6)
	v_mul_f64 v[176:177], v[191:192], v[170:171]
	v_mul_f64 v[217:218], v[189:190], v[170:171]
	s_waitcnt lgkmcnt(5)
	;; [unrolled: 3-line block ×7, first 2 shown]
	v_mul_f64 v[239:240], v[215:216], v[170:171]
	v_mul_f64 v[241:242], v[213:214], v[170:171]
	v_fma_f64 v[34:35], v[185:186], v[32:33], -v[34:35]
	v_fma_f64 v[168:169], v[187:188], v[32:33], v[168:169]
	v_fma_f64 v[176:177], v[189:190], v[32:33], -v[176:177]
	v_fma_f64 v[185:186], v[191:192], v[32:33], v[217:218]
	;; [unrolled: 2-line block ×8, first 2 shown]
	v_add_f64 v[28:29], v[28:29], -v[34:35]
	v_add_f64 v[30:31], v[30:31], -v[168:169]
	v_add_f64 v[24:25], v[24:25], -v[176:177]
	v_add_f64 v[26:27], v[26:27], -v[185:186]
	v_add_f64 v[20:21], v[20:21], -v[187:188]
	v_add_f64 v[22:23], v[22:23], -v[189:190]
	v_add_f64 v[16:17], v[16:17], -v[191:192]
	v_add_f64 v[18:19], v[18:19], -v[193:194]
	v_add_f64 v[12:13], v[12:13], -v[195:196]
	v_add_f64 v[14:15], v[14:15], -v[197:198]
	v_add_f64 v[8:9], v[8:9], -v[199:200]
	v_add_f64 v[10:11], v[10:11], -v[201:202]
	v_add_f64 v[4:5], v[4:5], -v[203:204]
	v_add_f64 v[6:7], v[6:7], -v[205:206]
	v_add_f64 v[0:1], v[0:1], -v[207:208]
	v_add_f64 v[2:3], v[2:3], -v[209:210]
	v_dual_mov_b32 v34, v170 :: v_dual_mov_b32 v35, v171
.LBB82_713:
	s_or_b32 exec_lo, exec_lo, s2
	v_lshl_add_u32 v168, v184, 4, v178
	s_barrier
	buffer_gl0_inv
	v_mov_b32_e32 v176, 34
	ds_store_2addr_b64 v168, v[28:29], v[30:31] offset1:1
	s_waitcnt lgkmcnt(0)
	s_barrier
	buffer_gl0_inv
	ds_load_2addr_b64 v[168:171], v178 offset0:68 offset1:69
	s_cmp_lt_i32 s5, 36
	s_cbranch_scc1 .LBB82_716
; %bb.714:
	v_add3_u32 v177, v183, 0, 0x230
	v_mov_b32_e32 v176, 34
	s_mov_b32 s6, 35
	s_set_inst_prefetch_distance 0x1
	.p2align	6
.LBB82_715:                             ; =>This Inner Loop Header: Depth=1
	ds_load_2addr_b64 v[185:188], v177 offset1:1
	s_waitcnt lgkmcnt(1)
	v_cmp_gt_f64_e32 vcc_lo, 0, v[168:169]
	v_xor_b32_e32 v189, 0x80000000, v169
	v_cmp_gt_f64_e64 s2, 0, v[170:171]
	v_xor_b32_e32 v191, 0x80000000, v171
	v_add_nc_u32_e32 v177, 16, v177
	s_waitcnt lgkmcnt(0)
	v_cmp_gt_f64_e64 s3, 0, v[185:186]
	v_mov_b32_e32 v193, v185
	v_dual_mov_b32 v195, v187 :: v_dual_cndmask_b32 v190, v169, v189
	v_xor_b32_e32 v189, 0x80000000, v186
	v_cndmask_b32_e64 v192, v171, v191, s2
	v_xor_b32_e32 v191, 0x80000000, v188
	s_delay_alu instid0(VALU_DEP_3) | instskip(SKIP_2) | instid1(VALU_DEP_2)
	v_cndmask_b32_e64 v194, v186, v189, s3
	v_cmp_gt_f64_e64 s3, 0, v[187:188]
	v_cndmask_b32_e32 v189, v168, v168, vcc_lo
	v_cndmask_b32_e64 v196, v188, v191, s3
	v_cndmask_b32_e64 v191, v170, v170, s2
	s_delay_alu instid0(VALU_DEP_2) | instskip(NEXT) | instid1(VALU_DEP_2)
	v_add_f64 v[193:194], v[193:194], v[195:196]
	v_add_f64 v[189:190], v[189:190], v[191:192]
	s_delay_alu instid0(VALU_DEP_1) | instskip(SKIP_4) | instid1(SALU_CYCLE_1)
	v_cmp_lt_f64_e32 vcc_lo, v[189:190], v[193:194]
	v_dual_cndmask_b32 v170, v170, v187 :: v_dual_cndmask_b32 v169, v169, v186
	v_dual_cndmask_b32 v168, v168, v185 :: v_dual_cndmask_b32 v171, v171, v188
	v_cndmask_b32_e64 v176, v176, s6, vcc_lo
	s_add_i32 s6, s6, 1
	s_cmp_lg_u32 s5, s6
	s_cbranch_scc1 .LBB82_715
.LBB82_716:
	s_set_inst_prefetch_distance 0x2
	s_waitcnt lgkmcnt(0)
	v_cmp_eq_f64_e32 vcc_lo, 0, v[168:169]
	v_cmp_eq_f64_e64 s2, 0, v[170:171]
	s_delay_alu instid0(VALU_DEP_1) | instskip(NEXT) | instid1(SALU_CYCLE_1)
	s_and_b32 s2, vcc_lo, s2
	s_and_saveexec_b32 s3, s2
	s_delay_alu instid0(SALU_CYCLE_1)
	s_xor_b32 s2, exec_lo, s3
; %bb.717:
	v_cmp_ne_u32_e32 vcc_lo, 0, v182
	v_cndmask_b32_e32 v182, 35, v182, vcc_lo
; %bb.718:
	s_and_not1_saveexec_b32 s3, s2
	s_cbranch_execz .LBB82_724
; %bb.719:
	v_cmp_gt_f64_e32 vcc_lo, 0, v[168:169]
	v_cmp_gt_f64_e64 s2, 0, v[170:171]
	v_xor_b32_e32 v177, 0x80000000, v169
	v_xor_b32_e32 v185, 0x80000000, v171
	s_delay_alu instid0(VALU_DEP_2) | instskip(NEXT) | instid1(VALU_DEP_2)
	v_cndmask_b32_e32 v186, v169, v177, vcc_lo
	v_cndmask_b32_e64 v188, v171, v185, s2
	v_cndmask_b32_e32 v185, v168, v168, vcc_lo
	v_cndmask_b32_e64 v187, v170, v170, s2
	s_mov_b32 s2, exec_lo
	s_delay_alu instid0(VALU_DEP_1)
	v_cmpx_ngt_f64_e32 v[185:186], v[187:188]
	s_xor_b32 s2, exec_lo, s2
	s_cbranch_execz .LBB82_721
; %bb.720:
	v_div_scale_f64 v[185:186], null, v[170:171], v[170:171], v[168:169]
	v_div_scale_f64 v[191:192], vcc_lo, v[168:169], v[170:171], v[168:169]
	s_delay_alu instid0(VALU_DEP_2) | instskip(SKIP_2) | instid1(VALU_DEP_1)
	v_rcp_f64_e32 v[187:188], v[185:186]
	s_waitcnt_depctr 0xfff
	v_fma_f64 v[189:190], -v[185:186], v[187:188], 1.0
	v_fma_f64 v[187:188], v[187:188], v[189:190], v[187:188]
	s_delay_alu instid0(VALU_DEP_1) | instskip(NEXT) | instid1(VALU_DEP_1)
	v_fma_f64 v[189:190], -v[185:186], v[187:188], 1.0
	v_fma_f64 v[187:188], v[187:188], v[189:190], v[187:188]
	s_delay_alu instid0(VALU_DEP_1) | instskip(NEXT) | instid1(VALU_DEP_1)
	v_mul_f64 v[189:190], v[191:192], v[187:188]
	v_fma_f64 v[185:186], -v[185:186], v[189:190], v[191:192]
	s_delay_alu instid0(VALU_DEP_1) | instskip(NEXT) | instid1(VALU_DEP_1)
	v_div_fmas_f64 v[185:186], v[185:186], v[187:188], v[189:190]
	v_div_fixup_f64 v[185:186], v[185:186], v[170:171], v[168:169]
	s_delay_alu instid0(VALU_DEP_1) | instskip(NEXT) | instid1(VALU_DEP_1)
	v_fma_f64 v[168:169], v[168:169], v[185:186], v[170:171]
	v_div_scale_f64 v[170:171], null, v[168:169], v[168:169], 1.0
	s_delay_alu instid0(VALU_DEP_1) | instskip(SKIP_2) | instid1(VALU_DEP_1)
	v_rcp_f64_e32 v[187:188], v[170:171]
	s_waitcnt_depctr 0xfff
	v_fma_f64 v[189:190], -v[170:171], v[187:188], 1.0
	v_fma_f64 v[187:188], v[187:188], v[189:190], v[187:188]
	s_delay_alu instid0(VALU_DEP_1) | instskip(NEXT) | instid1(VALU_DEP_1)
	v_fma_f64 v[189:190], -v[170:171], v[187:188], 1.0
	v_fma_f64 v[187:188], v[187:188], v[189:190], v[187:188]
	v_div_scale_f64 v[189:190], vcc_lo, 1.0, v[168:169], 1.0
	s_delay_alu instid0(VALU_DEP_1) | instskip(NEXT) | instid1(VALU_DEP_1)
	v_mul_f64 v[191:192], v[189:190], v[187:188]
	v_fma_f64 v[170:171], -v[170:171], v[191:192], v[189:190]
	s_delay_alu instid0(VALU_DEP_1) | instskip(NEXT) | instid1(VALU_DEP_1)
	v_div_fmas_f64 v[170:171], v[170:171], v[187:188], v[191:192]
	v_div_fixup_f64 v[170:171], v[170:171], v[168:169], 1.0
	s_delay_alu instid0(VALU_DEP_1)
	v_mul_f64 v[168:169], v[185:186], v[170:171]
	v_xor_b32_e32 v171, 0x80000000, v171
.LBB82_721:
	s_and_not1_saveexec_b32 s2, s2
	s_cbranch_execz .LBB82_723
; %bb.722:
	s_delay_alu instid0(VALU_DEP_1) | instskip(SKIP_1) | instid1(VALU_DEP_2)
	v_div_scale_f64 v[185:186], null, v[168:169], v[168:169], v[170:171]
	v_div_scale_f64 v[191:192], vcc_lo, v[170:171], v[168:169], v[170:171]
	v_rcp_f64_e32 v[187:188], v[185:186]
	s_waitcnt_depctr 0xfff
	v_fma_f64 v[189:190], -v[185:186], v[187:188], 1.0
	s_delay_alu instid0(VALU_DEP_1) | instskip(NEXT) | instid1(VALU_DEP_1)
	v_fma_f64 v[187:188], v[187:188], v[189:190], v[187:188]
	v_fma_f64 v[189:190], -v[185:186], v[187:188], 1.0
	s_delay_alu instid0(VALU_DEP_1) | instskip(NEXT) | instid1(VALU_DEP_1)
	v_fma_f64 v[187:188], v[187:188], v[189:190], v[187:188]
	v_mul_f64 v[189:190], v[191:192], v[187:188]
	s_delay_alu instid0(VALU_DEP_1) | instskip(NEXT) | instid1(VALU_DEP_1)
	v_fma_f64 v[185:186], -v[185:186], v[189:190], v[191:192]
	v_div_fmas_f64 v[185:186], v[185:186], v[187:188], v[189:190]
	s_delay_alu instid0(VALU_DEP_1) | instskip(NEXT) | instid1(VALU_DEP_1)
	v_div_fixup_f64 v[185:186], v[185:186], v[168:169], v[170:171]
	v_fma_f64 v[168:169], v[170:171], v[185:186], v[168:169]
	s_delay_alu instid0(VALU_DEP_1) | instskip(NEXT) | instid1(VALU_DEP_1)
	v_div_scale_f64 v[170:171], null, v[168:169], v[168:169], 1.0
	v_rcp_f64_e32 v[187:188], v[170:171]
	s_waitcnt_depctr 0xfff
	v_fma_f64 v[189:190], -v[170:171], v[187:188], 1.0
	s_delay_alu instid0(VALU_DEP_1) | instskip(NEXT) | instid1(VALU_DEP_1)
	v_fma_f64 v[187:188], v[187:188], v[189:190], v[187:188]
	v_fma_f64 v[189:190], -v[170:171], v[187:188], 1.0
	s_delay_alu instid0(VALU_DEP_1) | instskip(SKIP_1) | instid1(VALU_DEP_1)
	v_fma_f64 v[187:188], v[187:188], v[189:190], v[187:188]
	v_div_scale_f64 v[189:190], vcc_lo, 1.0, v[168:169], 1.0
	v_mul_f64 v[191:192], v[189:190], v[187:188]
	s_delay_alu instid0(VALU_DEP_1) | instskip(NEXT) | instid1(VALU_DEP_1)
	v_fma_f64 v[170:171], -v[170:171], v[191:192], v[189:190]
	v_div_fmas_f64 v[170:171], v[170:171], v[187:188], v[191:192]
	s_delay_alu instid0(VALU_DEP_1) | instskip(NEXT) | instid1(VALU_DEP_1)
	v_div_fixup_f64 v[168:169], v[170:171], v[168:169], 1.0
	v_mul_f64 v[170:171], v[185:186], -v[168:169]
.LBB82_723:
	s_or_b32 exec_lo, exec_lo, s2
.LBB82_724:
	s_delay_alu instid0(SALU_CYCLE_1) | instskip(NEXT) | instid1(SALU_CYCLE_1)
	s_or_b32 exec_lo, exec_lo, s3
	s_mov_b32 s2, exec_lo
	v_cmpx_ne_u32_e64 v184, v176
	s_xor_b32 s2, exec_lo, s2
	s_cbranch_execz .LBB82_730
; %bb.725:
	s_mov_b32 s3, exec_lo
	v_cmpx_eq_u32_e32 34, v184
	s_cbranch_execz .LBB82_729
; %bb.726:
	v_cmp_ne_u32_e32 vcc_lo, 34, v176
	s_xor_b32 s6, s4, -1
	s_delay_alu instid0(SALU_CYCLE_1) | instskip(NEXT) | instid1(SALU_CYCLE_1)
	s_and_b32 s7, s6, vcc_lo
	s_and_saveexec_b32 s6, s7
	s_cbranch_execz .LBB82_728
; %bb.727:
	v_ashrrev_i32_e32 v177, 31, v176
	s_delay_alu instid0(VALU_DEP_1) | instskip(NEXT) | instid1(VALU_DEP_1)
	v_lshlrev_b64 v[184:185], 2, v[176:177]
	v_add_co_u32 v184, vcc_lo, v174, v184
	s_delay_alu instid0(VALU_DEP_2)
	v_add_co_ci_u32_e32 v185, vcc_lo, v175, v185, vcc_lo
	s_clause 0x1
	flat_load_b32 v177, v[184:185]
	flat_load_b32 v181, v[174:175] offset:136
	s_waitcnt vmcnt(1) lgkmcnt(1)
	flat_store_b32 v[174:175], v177 offset:136
	s_waitcnt vmcnt(0) lgkmcnt(1)
	flat_store_b32 v[184:185], v181
.LBB82_728:
	s_or_b32 exec_lo, exec_lo, s6
	v_mov_b32_e32 v184, v176
	v_mov_b32_e32 v181, v176
.LBB82_729:
	s_or_b32 exec_lo, exec_lo, s3
.LBB82_730:
	s_and_not1_saveexec_b32 s2, s2
	s_cbranch_execz .LBB82_732
; %bb.731:
	v_mov_b32_e32 v184, 34
	ds_store_2addr_b64 v178, v[24:25], v[26:27] offset0:70 offset1:71
	ds_store_2addr_b64 v178, v[20:21], v[22:23] offset0:72 offset1:73
	;; [unrolled: 1-line block ×7, first 2 shown]
.LBB82_732:
	s_or_b32 exec_lo, exec_lo, s2
	s_delay_alu instid0(SALU_CYCLE_1)
	s_mov_b32 s2, exec_lo
	s_waitcnt lgkmcnt(0)
	s_waitcnt_vscnt null, 0x0
	s_barrier
	buffer_gl0_inv
	v_cmpx_lt_i32_e32 34, v184
	s_cbranch_execz .LBB82_734
; %bb.733:
	v_mul_f64 v[176:177], v[168:169], v[30:31]
	v_mul_f64 v[30:31], v[170:171], v[30:31]
	ds_load_2addr_b64 v[185:188], v178 offset0:70 offset1:71
	ds_load_2addr_b64 v[189:192], v178 offset0:72 offset1:73
	;; [unrolled: 1-line block ×7, first 2 shown]
	v_fma_f64 v[170:171], v[170:171], v[28:29], v[176:177]
	v_fma_f64 v[28:29], v[168:169], v[28:29], -v[30:31]
	s_waitcnt lgkmcnt(6)
	s_delay_alu instid0(VALU_DEP_2)
	v_mul_f64 v[30:31], v[187:188], v[170:171]
	v_mul_f64 v[168:169], v[185:186], v[170:171]
	s_waitcnt lgkmcnt(5)
	v_mul_f64 v[176:177], v[191:192], v[170:171]
	v_mul_f64 v[213:214], v[189:190], v[170:171]
	s_waitcnt lgkmcnt(4)
	;; [unrolled: 3-line block ×6, first 2 shown]
	v_mul_f64 v[231:232], v[211:212], v[170:171]
	v_mul_f64 v[233:234], v[209:210], v[170:171]
	v_fma_f64 v[30:31], v[185:186], v[28:29], -v[30:31]
	v_fma_f64 v[168:169], v[187:188], v[28:29], v[168:169]
	v_fma_f64 v[176:177], v[189:190], v[28:29], -v[176:177]
	v_fma_f64 v[185:186], v[191:192], v[28:29], v[213:214]
	;; [unrolled: 2-line block ×7, first 2 shown]
	v_add_f64 v[24:25], v[24:25], -v[30:31]
	v_add_f64 v[26:27], v[26:27], -v[168:169]
	;; [unrolled: 1-line block ×14, first 2 shown]
	v_dual_mov_b32 v30, v170 :: v_dual_mov_b32 v31, v171
.LBB82_734:
	s_or_b32 exec_lo, exec_lo, s2
	v_lshl_add_u32 v168, v184, 4, v178
	s_barrier
	buffer_gl0_inv
	v_mov_b32_e32 v176, 35
	ds_store_2addr_b64 v168, v[24:25], v[26:27] offset1:1
	s_waitcnt lgkmcnt(0)
	s_barrier
	buffer_gl0_inv
	ds_load_2addr_b64 v[168:171], v178 offset0:70 offset1:71
	s_cmp_lt_i32 s5, 37
	s_cbranch_scc1 .LBB82_737
; %bb.735:
	v_add3_u32 v177, v183, 0, 0x240
	v_mov_b32_e32 v176, 35
	s_mov_b32 s6, 36
	s_set_inst_prefetch_distance 0x1
	.p2align	6
.LBB82_736:                             ; =>This Inner Loop Header: Depth=1
	ds_load_2addr_b64 v[185:188], v177 offset1:1
	s_waitcnt lgkmcnt(1)
	v_cmp_gt_f64_e32 vcc_lo, 0, v[168:169]
	v_xor_b32_e32 v189, 0x80000000, v169
	v_cmp_gt_f64_e64 s2, 0, v[170:171]
	v_xor_b32_e32 v191, 0x80000000, v171
	v_add_nc_u32_e32 v177, 16, v177
	s_waitcnt lgkmcnt(0)
	v_cmp_gt_f64_e64 s3, 0, v[185:186]
	v_mov_b32_e32 v193, v185
	v_dual_mov_b32 v195, v187 :: v_dual_cndmask_b32 v190, v169, v189
	v_xor_b32_e32 v189, 0x80000000, v186
	v_cndmask_b32_e64 v192, v171, v191, s2
	v_xor_b32_e32 v191, 0x80000000, v188
	s_delay_alu instid0(VALU_DEP_3) | instskip(SKIP_2) | instid1(VALU_DEP_2)
	v_cndmask_b32_e64 v194, v186, v189, s3
	v_cmp_gt_f64_e64 s3, 0, v[187:188]
	v_cndmask_b32_e32 v189, v168, v168, vcc_lo
	v_cndmask_b32_e64 v196, v188, v191, s3
	v_cndmask_b32_e64 v191, v170, v170, s2
	s_delay_alu instid0(VALU_DEP_2) | instskip(NEXT) | instid1(VALU_DEP_2)
	v_add_f64 v[193:194], v[193:194], v[195:196]
	v_add_f64 v[189:190], v[189:190], v[191:192]
	s_delay_alu instid0(VALU_DEP_1) | instskip(SKIP_4) | instid1(SALU_CYCLE_1)
	v_cmp_lt_f64_e32 vcc_lo, v[189:190], v[193:194]
	v_dual_cndmask_b32 v170, v170, v187 :: v_dual_cndmask_b32 v169, v169, v186
	v_dual_cndmask_b32 v168, v168, v185 :: v_dual_cndmask_b32 v171, v171, v188
	v_cndmask_b32_e64 v176, v176, s6, vcc_lo
	s_add_i32 s6, s6, 1
	s_cmp_lg_u32 s5, s6
	s_cbranch_scc1 .LBB82_736
.LBB82_737:
	s_set_inst_prefetch_distance 0x2
	s_waitcnt lgkmcnt(0)
	v_cmp_eq_f64_e32 vcc_lo, 0, v[168:169]
	v_cmp_eq_f64_e64 s2, 0, v[170:171]
	s_delay_alu instid0(VALU_DEP_1) | instskip(NEXT) | instid1(SALU_CYCLE_1)
	s_and_b32 s2, vcc_lo, s2
	s_and_saveexec_b32 s3, s2
	s_delay_alu instid0(SALU_CYCLE_1)
	s_xor_b32 s2, exec_lo, s3
; %bb.738:
	v_cmp_ne_u32_e32 vcc_lo, 0, v182
	v_cndmask_b32_e32 v182, 36, v182, vcc_lo
; %bb.739:
	s_and_not1_saveexec_b32 s3, s2
	s_cbranch_execz .LBB82_745
; %bb.740:
	v_cmp_gt_f64_e32 vcc_lo, 0, v[168:169]
	v_cmp_gt_f64_e64 s2, 0, v[170:171]
	v_xor_b32_e32 v177, 0x80000000, v169
	v_xor_b32_e32 v185, 0x80000000, v171
	s_delay_alu instid0(VALU_DEP_2) | instskip(NEXT) | instid1(VALU_DEP_2)
	v_cndmask_b32_e32 v186, v169, v177, vcc_lo
	v_cndmask_b32_e64 v188, v171, v185, s2
	v_cndmask_b32_e32 v185, v168, v168, vcc_lo
	v_cndmask_b32_e64 v187, v170, v170, s2
	s_mov_b32 s2, exec_lo
	s_delay_alu instid0(VALU_DEP_1)
	v_cmpx_ngt_f64_e32 v[185:186], v[187:188]
	s_xor_b32 s2, exec_lo, s2
	s_cbranch_execz .LBB82_742
; %bb.741:
	v_div_scale_f64 v[185:186], null, v[170:171], v[170:171], v[168:169]
	v_div_scale_f64 v[191:192], vcc_lo, v[168:169], v[170:171], v[168:169]
	s_delay_alu instid0(VALU_DEP_2) | instskip(SKIP_2) | instid1(VALU_DEP_1)
	v_rcp_f64_e32 v[187:188], v[185:186]
	s_waitcnt_depctr 0xfff
	v_fma_f64 v[189:190], -v[185:186], v[187:188], 1.0
	v_fma_f64 v[187:188], v[187:188], v[189:190], v[187:188]
	s_delay_alu instid0(VALU_DEP_1) | instskip(NEXT) | instid1(VALU_DEP_1)
	v_fma_f64 v[189:190], -v[185:186], v[187:188], 1.0
	v_fma_f64 v[187:188], v[187:188], v[189:190], v[187:188]
	s_delay_alu instid0(VALU_DEP_1) | instskip(NEXT) | instid1(VALU_DEP_1)
	v_mul_f64 v[189:190], v[191:192], v[187:188]
	v_fma_f64 v[185:186], -v[185:186], v[189:190], v[191:192]
	s_delay_alu instid0(VALU_DEP_1) | instskip(NEXT) | instid1(VALU_DEP_1)
	v_div_fmas_f64 v[185:186], v[185:186], v[187:188], v[189:190]
	v_div_fixup_f64 v[185:186], v[185:186], v[170:171], v[168:169]
	s_delay_alu instid0(VALU_DEP_1) | instskip(NEXT) | instid1(VALU_DEP_1)
	v_fma_f64 v[168:169], v[168:169], v[185:186], v[170:171]
	v_div_scale_f64 v[170:171], null, v[168:169], v[168:169], 1.0
	s_delay_alu instid0(VALU_DEP_1) | instskip(SKIP_2) | instid1(VALU_DEP_1)
	v_rcp_f64_e32 v[187:188], v[170:171]
	s_waitcnt_depctr 0xfff
	v_fma_f64 v[189:190], -v[170:171], v[187:188], 1.0
	v_fma_f64 v[187:188], v[187:188], v[189:190], v[187:188]
	s_delay_alu instid0(VALU_DEP_1) | instskip(NEXT) | instid1(VALU_DEP_1)
	v_fma_f64 v[189:190], -v[170:171], v[187:188], 1.0
	v_fma_f64 v[187:188], v[187:188], v[189:190], v[187:188]
	v_div_scale_f64 v[189:190], vcc_lo, 1.0, v[168:169], 1.0
	s_delay_alu instid0(VALU_DEP_1) | instskip(NEXT) | instid1(VALU_DEP_1)
	v_mul_f64 v[191:192], v[189:190], v[187:188]
	v_fma_f64 v[170:171], -v[170:171], v[191:192], v[189:190]
	s_delay_alu instid0(VALU_DEP_1) | instskip(NEXT) | instid1(VALU_DEP_1)
	v_div_fmas_f64 v[170:171], v[170:171], v[187:188], v[191:192]
	v_div_fixup_f64 v[170:171], v[170:171], v[168:169], 1.0
	s_delay_alu instid0(VALU_DEP_1)
	v_mul_f64 v[168:169], v[185:186], v[170:171]
	v_xor_b32_e32 v171, 0x80000000, v171
.LBB82_742:
	s_and_not1_saveexec_b32 s2, s2
	s_cbranch_execz .LBB82_744
; %bb.743:
	s_delay_alu instid0(VALU_DEP_1) | instskip(SKIP_1) | instid1(VALU_DEP_2)
	v_div_scale_f64 v[185:186], null, v[168:169], v[168:169], v[170:171]
	v_div_scale_f64 v[191:192], vcc_lo, v[170:171], v[168:169], v[170:171]
	v_rcp_f64_e32 v[187:188], v[185:186]
	s_waitcnt_depctr 0xfff
	v_fma_f64 v[189:190], -v[185:186], v[187:188], 1.0
	s_delay_alu instid0(VALU_DEP_1) | instskip(NEXT) | instid1(VALU_DEP_1)
	v_fma_f64 v[187:188], v[187:188], v[189:190], v[187:188]
	v_fma_f64 v[189:190], -v[185:186], v[187:188], 1.0
	s_delay_alu instid0(VALU_DEP_1) | instskip(NEXT) | instid1(VALU_DEP_1)
	v_fma_f64 v[187:188], v[187:188], v[189:190], v[187:188]
	v_mul_f64 v[189:190], v[191:192], v[187:188]
	s_delay_alu instid0(VALU_DEP_1) | instskip(NEXT) | instid1(VALU_DEP_1)
	v_fma_f64 v[185:186], -v[185:186], v[189:190], v[191:192]
	v_div_fmas_f64 v[185:186], v[185:186], v[187:188], v[189:190]
	s_delay_alu instid0(VALU_DEP_1) | instskip(NEXT) | instid1(VALU_DEP_1)
	v_div_fixup_f64 v[185:186], v[185:186], v[168:169], v[170:171]
	v_fma_f64 v[168:169], v[170:171], v[185:186], v[168:169]
	s_delay_alu instid0(VALU_DEP_1) | instskip(NEXT) | instid1(VALU_DEP_1)
	v_div_scale_f64 v[170:171], null, v[168:169], v[168:169], 1.0
	v_rcp_f64_e32 v[187:188], v[170:171]
	s_waitcnt_depctr 0xfff
	v_fma_f64 v[189:190], -v[170:171], v[187:188], 1.0
	s_delay_alu instid0(VALU_DEP_1) | instskip(NEXT) | instid1(VALU_DEP_1)
	v_fma_f64 v[187:188], v[187:188], v[189:190], v[187:188]
	v_fma_f64 v[189:190], -v[170:171], v[187:188], 1.0
	s_delay_alu instid0(VALU_DEP_1) | instskip(SKIP_1) | instid1(VALU_DEP_1)
	v_fma_f64 v[187:188], v[187:188], v[189:190], v[187:188]
	v_div_scale_f64 v[189:190], vcc_lo, 1.0, v[168:169], 1.0
	v_mul_f64 v[191:192], v[189:190], v[187:188]
	s_delay_alu instid0(VALU_DEP_1) | instskip(NEXT) | instid1(VALU_DEP_1)
	v_fma_f64 v[170:171], -v[170:171], v[191:192], v[189:190]
	v_div_fmas_f64 v[170:171], v[170:171], v[187:188], v[191:192]
	s_delay_alu instid0(VALU_DEP_1) | instskip(NEXT) | instid1(VALU_DEP_1)
	v_div_fixup_f64 v[168:169], v[170:171], v[168:169], 1.0
	v_mul_f64 v[170:171], v[185:186], -v[168:169]
.LBB82_744:
	s_or_b32 exec_lo, exec_lo, s2
.LBB82_745:
	s_delay_alu instid0(SALU_CYCLE_1) | instskip(NEXT) | instid1(SALU_CYCLE_1)
	s_or_b32 exec_lo, exec_lo, s3
	s_mov_b32 s2, exec_lo
	v_cmpx_ne_u32_e64 v184, v176
	s_xor_b32 s2, exec_lo, s2
	s_cbranch_execz .LBB82_751
; %bb.746:
	s_mov_b32 s3, exec_lo
	v_cmpx_eq_u32_e32 35, v184
	s_cbranch_execz .LBB82_750
; %bb.747:
	v_cmp_ne_u32_e32 vcc_lo, 35, v176
	s_xor_b32 s6, s4, -1
	s_delay_alu instid0(SALU_CYCLE_1) | instskip(NEXT) | instid1(SALU_CYCLE_1)
	s_and_b32 s7, s6, vcc_lo
	s_and_saveexec_b32 s6, s7
	s_cbranch_execz .LBB82_749
; %bb.748:
	v_ashrrev_i32_e32 v177, 31, v176
	s_delay_alu instid0(VALU_DEP_1) | instskip(NEXT) | instid1(VALU_DEP_1)
	v_lshlrev_b64 v[184:185], 2, v[176:177]
	v_add_co_u32 v184, vcc_lo, v174, v184
	s_delay_alu instid0(VALU_DEP_2)
	v_add_co_ci_u32_e32 v185, vcc_lo, v175, v185, vcc_lo
	s_clause 0x1
	flat_load_b32 v177, v[184:185]
	flat_load_b32 v181, v[174:175] offset:140
	s_waitcnt vmcnt(1) lgkmcnt(1)
	flat_store_b32 v[174:175], v177 offset:140
	s_waitcnt vmcnt(0) lgkmcnt(1)
	flat_store_b32 v[184:185], v181
.LBB82_749:
	s_or_b32 exec_lo, exec_lo, s6
	v_mov_b32_e32 v184, v176
	v_mov_b32_e32 v181, v176
.LBB82_750:
	s_or_b32 exec_lo, exec_lo, s3
.LBB82_751:
	s_and_not1_saveexec_b32 s2, s2
	s_cbranch_execz .LBB82_753
; %bb.752:
	v_mov_b32_e32 v184, 35
	ds_store_2addr_b64 v178, v[20:21], v[22:23] offset0:72 offset1:73
	ds_store_2addr_b64 v178, v[16:17], v[18:19] offset0:74 offset1:75
	;; [unrolled: 1-line block ×6, first 2 shown]
.LBB82_753:
	s_or_b32 exec_lo, exec_lo, s2
	s_delay_alu instid0(SALU_CYCLE_1)
	s_mov_b32 s2, exec_lo
	s_waitcnt lgkmcnt(0)
	s_waitcnt_vscnt null, 0x0
	s_barrier
	buffer_gl0_inv
	v_cmpx_lt_i32_e32 35, v184
	s_cbranch_execz .LBB82_755
; %bb.754:
	v_mul_f64 v[176:177], v[168:169], v[26:27]
	v_mul_f64 v[26:27], v[170:171], v[26:27]
	ds_load_2addr_b64 v[185:188], v178 offset0:72 offset1:73
	ds_load_2addr_b64 v[189:192], v178 offset0:74 offset1:75
	;; [unrolled: 1-line block ×6, first 2 shown]
	v_fma_f64 v[170:171], v[170:171], v[24:25], v[176:177]
	v_fma_f64 v[24:25], v[168:169], v[24:25], -v[26:27]
	s_waitcnt lgkmcnt(5)
	s_delay_alu instid0(VALU_DEP_2)
	v_mul_f64 v[26:27], v[187:188], v[170:171]
	v_mul_f64 v[168:169], v[185:186], v[170:171]
	s_waitcnt lgkmcnt(4)
	v_mul_f64 v[176:177], v[191:192], v[170:171]
	v_mul_f64 v[209:210], v[189:190], v[170:171]
	s_waitcnt lgkmcnt(3)
	;; [unrolled: 3-line block ×5, first 2 shown]
	v_mul_f64 v[223:224], v[207:208], v[170:171]
	v_mul_f64 v[225:226], v[205:206], v[170:171]
	v_fma_f64 v[26:27], v[185:186], v[24:25], -v[26:27]
	v_fma_f64 v[168:169], v[187:188], v[24:25], v[168:169]
	v_fma_f64 v[176:177], v[189:190], v[24:25], -v[176:177]
	v_fma_f64 v[185:186], v[191:192], v[24:25], v[209:210]
	;; [unrolled: 2-line block ×6, first 2 shown]
	v_add_f64 v[20:21], v[20:21], -v[26:27]
	v_add_f64 v[22:23], v[22:23], -v[168:169]
	;; [unrolled: 1-line block ×12, first 2 shown]
	v_dual_mov_b32 v26, v170 :: v_dual_mov_b32 v27, v171
.LBB82_755:
	s_or_b32 exec_lo, exec_lo, s2
	v_lshl_add_u32 v168, v184, 4, v178
	s_barrier
	buffer_gl0_inv
	v_mov_b32_e32 v176, 36
	ds_store_2addr_b64 v168, v[20:21], v[22:23] offset1:1
	s_waitcnt lgkmcnt(0)
	s_barrier
	buffer_gl0_inv
	ds_load_2addr_b64 v[168:171], v178 offset0:72 offset1:73
	s_cmp_lt_i32 s5, 38
	s_cbranch_scc1 .LBB82_758
; %bb.756:
	v_add3_u32 v177, v183, 0, 0x250
	v_mov_b32_e32 v176, 36
	s_mov_b32 s6, 37
	s_set_inst_prefetch_distance 0x1
	.p2align	6
.LBB82_757:                             ; =>This Inner Loop Header: Depth=1
	ds_load_2addr_b64 v[185:188], v177 offset1:1
	s_waitcnt lgkmcnt(1)
	v_cmp_gt_f64_e32 vcc_lo, 0, v[168:169]
	v_xor_b32_e32 v189, 0x80000000, v169
	v_cmp_gt_f64_e64 s2, 0, v[170:171]
	v_xor_b32_e32 v191, 0x80000000, v171
	v_add_nc_u32_e32 v177, 16, v177
	s_waitcnt lgkmcnt(0)
	v_cmp_gt_f64_e64 s3, 0, v[185:186]
	v_mov_b32_e32 v193, v185
	v_dual_mov_b32 v195, v187 :: v_dual_cndmask_b32 v190, v169, v189
	v_xor_b32_e32 v189, 0x80000000, v186
	v_cndmask_b32_e64 v192, v171, v191, s2
	v_xor_b32_e32 v191, 0x80000000, v188
	s_delay_alu instid0(VALU_DEP_3) | instskip(SKIP_2) | instid1(VALU_DEP_2)
	v_cndmask_b32_e64 v194, v186, v189, s3
	v_cmp_gt_f64_e64 s3, 0, v[187:188]
	v_cndmask_b32_e32 v189, v168, v168, vcc_lo
	v_cndmask_b32_e64 v196, v188, v191, s3
	v_cndmask_b32_e64 v191, v170, v170, s2
	s_delay_alu instid0(VALU_DEP_2) | instskip(NEXT) | instid1(VALU_DEP_2)
	v_add_f64 v[193:194], v[193:194], v[195:196]
	v_add_f64 v[189:190], v[189:190], v[191:192]
	s_delay_alu instid0(VALU_DEP_1) | instskip(SKIP_4) | instid1(SALU_CYCLE_1)
	v_cmp_lt_f64_e32 vcc_lo, v[189:190], v[193:194]
	v_dual_cndmask_b32 v170, v170, v187 :: v_dual_cndmask_b32 v169, v169, v186
	v_dual_cndmask_b32 v168, v168, v185 :: v_dual_cndmask_b32 v171, v171, v188
	v_cndmask_b32_e64 v176, v176, s6, vcc_lo
	s_add_i32 s6, s6, 1
	s_cmp_lg_u32 s5, s6
	s_cbranch_scc1 .LBB82_757
.LBB82_758:
	s_set_inst_prefetch_distance 0x2
	s_waitcnt lgkmcnt(0)
	v_cmp_eq_f64_e32 vcc_lo, 0, v[168:169]
	v_cmp_eq_f64_e64 s2, 0, v[170:171]
	s_delay_alu instid0(VALU_DEP_1) | instskip(NEXT) | instid1(SALU_CYCLE_1)
	s_and_b32 s2, vcc_lo, s2
	s_and_saveexec_b32 s3, s2
	s_delay_alu instid0(SALU_CYCLE_1)
	s_xor_b32 s2, exec_lo, s3
; %bb.759:
	v_cmp_ne_u32_e32 vcc_lo, 0, v182
	v_cndmask_b32_e32 v182, 37, v182, vcc_lo
; %bb.760:
	s_and_not1_saveexec_b32 s3, s2
	s_cbranch_execz .LBB82_766
; %bb.761:
	v_cmp_gt_f64_e32 vcc_lo, 0, v[168:169]
	v_cmp_gt_f64_e64 s2, 0, v[170:171]
	v_xor_b32_e32 v177, 0x80000000, v169
	v_xor_b32_e32 v185, 0x80000000, v171
	s_delay_alu instid0(VALU_DEP_2) | instskip(NEXT) | instid1(VALU_DEP_2)
	v_cndmask_b32_e32 v186, v169, v177, vcc_lo
	v_cndmask_b32_e64 v188, v171, v185, s2
	v_cndmask_b32_e32 v185, v168, v168, vcc_lo
	v_cndmask_b32_e64 v187, v170, v170, s2
	s_mov_b32 s2, exec_lo
	s_delay_alu instid0(VALU_DEP_1)
	v_cmpx_ngt_f64_e32 v[185:186], v[187:188]
	s_xor_b32 s2, exec_lo, s2
	s_cbranch_execz .LBB82_763
; %bb.762:
	v_div_scale_f64 v[185:186], null, v[170:171], v[170:171], v[168:169]
	v_div_scale_f64 v[191:192], vcc_lo, v[168:169], v[170:171], v[168:169]
	s_delay_alu instid0(VALU_DEP_2) | instskip(SKIP_2) | instid1(VALU_DEP_1)
	v_rcp_f64_e32 v[187:188], v[185:186]
	s_waitcnt_depctr 0xfff
	v_fma_f64 v[189:190], -v[185:186], v[187:188], 1.0
	v_fma_f64 v[187:188], v[187:188], v[189:190], v[187:188]
	s_delay_alu instid0(VALU_DEP_1) | instskip(NEXT) | instid1(VALU_DEP_1)
	v_fma_f64 v[189:190], -v[185:186], v[187:188], 1.0
	v_fma_f64 v[187:188], v[187:188], v[189:190], v[187:188]
	s_delay_alu instid0(VALU_DEP_1) | instskip(NEXT) | instid1(VALU_DEP_1)
	v_mul_f64 v[189:190], v[191:192], v[187:188]
	v_fma_f64 v[185:186], -v[185:186], v[189:190], v[191:192]
	s_delay_alu instid0(VALU_DEP_1) | instskip(NEXT) | instid1(VALU_DEP_1)
	v_div_fmas_f64 v[185:186], v[185:186], v[187:188], v[189:190]
	v_div_fixup_f64 v[185:186], v[185:186], v[170:171], v[168:169]
	s_delay_alu instid0(VALU_DEP_1) | instskip(NEXT) | instid1(VALU_DEP_1)
	v_fma_f64 v[168:169], v[168:169], v[185:186], v[170:171]
	v_div_scale_f64 v[170:171], null, v[168:169], v[168:169], 1.0
	s_delay_alu instid0(VALU_DEP_1) | instskip(SKIP_2) | instid1(VALU_DEP_1)
	v_rcp_f64_e32 v[187:188], v[170:171]
	s_waitcnt_depctr 0xfff
	v_fma_f64 v[189:190], -v[170:171], v[187:188], 1.0
	v_fma_f64 v[187:188], v[187:188], v[189:190], v[187:188]
	s_delay_alu instid0(VALU_DEP_1) | instskip(NEXT) | instid1(VALU_DEP_1)
	v_fma_f64 v[189:190], -v[170:171], v[187:188], 1.0
	v_fma_f64 v[187:188], v[187:188], v[189:190], v[187:188]
	v_div_scale_f64 v[189:190], vcc_lo, 1.0, v[168:169], 1.0
	s_delay_alu instid0(VALU_DEP_1) | instskip(NEXT) | instid1(VALU_DEP_1)
	v_mul_f64 v[191:192], v[189:190], v[187:188]
	v_fma_f64 v[170:171], -v[170:171], v[191:192], v[189:190]
	s_delay_alu instid0(VALU_DEP_1) | instskip(NEXT) | instid1(VALU_DEP_1)
	v_div_fmas_f64 v[170:171], v[170:171], v[187:188], v[191:192]
	v_div_fixup_f64 v[170:171], v[170:171], v[168:169], 1.0
	s_delay_alu instid0(VALU_DEP_1)
	v_mul_f64 v[168:169], v[185:186], v[170:171]
	v_xor_b32_e32 v171, 0x80000000, v171
.LBB82_763:
	s_and_not1_saveexec_b32 s2, s2
	s_cbranch_execz .LBB82_765
; %bb.764:
	s_delay_alu instid0(VALU_DEP_1) | instskip(SKIP_1) | instid1(VALU_DEP_2)
	v_div_scale_f64 v[185:186], null, v[168:169], v[168:169], v[170:171]
	v_div_scale_f64 v[191:192], vcc_lo, v[170:171], v[168:169], v[170:171]
	v_rcp_f64_e32 v[187:188], v[185:186]
	s_waitcnt_depctr 0xfff
	v_fma_f64 v[189:190], -v[185:186], v[187:188], 1.0
	s_delay_alu instid0(VALU_DEP_1) | instskip(NEXT) | instid1(VALU_DEP_1)
	v_fma_f64 v[187:188], v[187:188], v[189:190], v[187:188]
	v_fma_f64 v[189:190], -v[185:186], v[187:188], 1.0
	s_delay_alu instid0(VALU_DEP_1) | instskip(NEXT) | instid1(VALU_DEP_1)
	v_fma_f64 v[187:188], v[187:188], v[189:190], v[187:188]
	v_mul_f64 v[189:190], v[191:192], v[187:188]
	s_delay_alu instid0(VALU_DEP_1) | instskip(NEXT) | instid1(VALU_DEP_1)
	v_fma_f64 v[185:186], -v[185:186], v[189:190], v[191:192]
	v_div_fmas_f64 v[185:186], v[185:186], v[187:188], v[189:190]
	s_delay_alu instid0(VALU_DEP_1) | instskip(NEXT) | instid1(VALU_DEP_1)
	v_div_fixup_f64 v[185:186], v[185:186], v[168:169], v[170:171]
	v_fma_f64 v[168:169], v[170:171], v[185:186], v[168:169]
	s_delay_alu instid0(VALU_DEP_1) | instskip(NEXT) | instid1(VALU_DEP_1)
	v_div_scale_f64 v[170:171], null, v[168:169], v[168:169], 1.0
	v_rcp_f64_e32 v[187:188], v[170:171]
	s_waitcnt_depctr 0xfff
	v_fma_f64 v[189:190], -v[170:171], v[187:188], 1.0
	s_delay_alu instid0(VALU_DEP_1) | instskip(NEXT) | instid1(VALU_DEP_1)
	v_fma_f64 v[187:188], v[187:188], v[189:190], v[187:188]
	v_fma_f64 v[189:190], -v[170:171], v[187:188], 1.0
	s_delay_alu instid0(VALU_DEP_1) | instskip(SKIP_1) | instid1(VALU_DEP_1)
	v_fma_f64 v[187:188], v[187:188], v[189:190], v[187:188]
	v_div_scale_f64 v[189:190], vcc_lo, 1.0, v[168:169], 1.0
	v_mul_f64 v[191:192], v[189:190], v[187:188]
	s_delay_alu instid0(VALU_DEP_1) | instskip(NEXT) | instid1(VALU_DEP_1)
	v_fma_f64 v[170:171], -v[170:171], v[191:192], v[189:190]
	v_div_fmas_f64 v[170:171], v[170:171], v[187:188], v[191:192]
	s_delay_alu instid0(VALU_DEP_1) | instskip(NEXT) | instid1(VALU_DEP_1)
	v_div_fixup_f64 v[168:169], v[170:171], v[168:169], 1.0
	v_mul_f64 v[170:171], v[185:186], -v[168:169]
.LBB82_765:
	s_or_b32 exec_lo, exec_lo, s2
.LBB82_766:
	s_delay_alu instid0(SALU_CYCLE_1) | instskip(NEXT) | instid1(SALU_CYCLE_1)
	s_or_b32 exec_lo, exec_lo, s3
	s_mov_b32 s2, exec_lo
	v_cmpx_ne_u32_e64 v184, v176
	s_xor_b32 s2, exec_lo, s2
	s_cbranch_execz .LBB82_772
; %bb.767:
	s_mov_b32 s3, exec_lo
	v_cmpx_eq_u32_e32 36, v184
	s_cbranch_execz .LBB82_771
; %bb.768:
	v_cmp_ne_u32_e32 vcc_lo, 36, v176
	s_xor_b32 s6, s4, -1
	s_delay_alu instid0(SALU_CYCLE_1) | instskip(NEXT) | instid1(SALU_CYCLE_1)
	s_and_b32 s7, s6, vcc_lo
	s_and_saveexec_b32 s6, s7
	s_cbranch_execz .LBB82_770
; %bb.769:
	v_ashrrev_i32_e32 v177, 31, v176
	s_delay_alu instid0(VALU_DEP_1) | instskip(NEXT) | instid1(VALU_DEP_1)
	v_lshlrev_b64 v[184:185], 2, v[176:177]
	v_add_co_u32 v184, vcc_lo, v174, v184
	s_delay_alu instid0(VALU_DEP_2)
	v_add_co_ci_u32_e32 v185, vcc_lo, v175, v185, vcc_lo
	s_clause 0x1
	flat_load_b32 v177, v[184:185]
	flat_load_b32 v181, v[174:175] offset:144
	s_waitcnt vmcnt(1) lgkmcnt(1)
	flat_store_b32 v[174:175], v177 offset:144
	s_waitcnt vmcnt(0) lgkmcnt(1)
	flat_store_b32 v[184:185], v181
.LBB82_770:
	s_or_b32 exec_lo, exec_lo, s6
	v_mov_b32_e32 v184, v176
	v_mov_b32_e32 v181, v176
.LBB82_771:
	s_or_b32 exec_lo, exec_lo, s3
.LBB82_772:
	s_and_not1_saveexec_b32 s2, s2
	s_cbranch_execz .LBB82_774
; %bb.773:
	v_mov_b32_e32 v184, 36
	ds_store_2addr_b64 v178, v[16:17], v[18:19] offset0:74 offset1:75
	ds_store_2addr_b64 v178, v[12:13], v[14:15] offset0:76 offset1:77
	;; [unrolled: 1-line block ×5, first 2 shown]
.LBB82_774:
	s_or_b32 exec_lo, exec_lo, s2
	s_delay_alu instid0(SALU_CYCLE_1)
	s_mov_b32 s2, exec_lo
	s_waitcnt lgkmcnt(0)
	s_waitcnt_vscnt null, 0x0
	s_barrier
	buffer_gl0_inv
	v_cmpx_lt_i32_e32 36, v184
	s_cbranch_execz .LBB82_776
; %bb.775:
	v_mul_f64 v[176:177], v[168:169], v[22:23]
	v_mul_f64 v[22:23], v[170:171], v[22:23]
	ds_load_2addr_b64 v[185:188], v178 offset0:74 offset1:75
	ds_load_2addr_b64 v[189:192], v178 offset0:76 offset1:77
	;; [unrolled: 1-line block ×5, first 2 shown]
	v_fma_f64 v[170:171], v[170:171], v[20:21], v[176:177]
	v_fma_f64 v[20:21], v[168:169], v[20:21], -v[22:23]
	s_waitcnt lgkmcnt(4)
	s_delay_alu instid0(VALU_DEP_2)
	v_mul_f64 v[22:23], v[187:188], v[170:171]
	v_mul_f64 v[168:169], v[185:186], v[170:171]
	s_waitcnt lgkmcnt(3)
	v_mul_f64 v[176:177], v[191:192], v[170:171]
	v_mul_f64 v[205:206], v[189:190], v[170:171]
	s_waitcnt lgkmcnt(2)
	;; [unrolled: 3-line block ×4, first 2 shown]
	v_mul_f64 v[215:216], v[203:204], v[170:171]
	v_mul_f64 v[217:218], v[201:202], v[170:171]
	v_fma_f64 v[22:23], v[185:186], v[20:21], -v[22:23]
	v_fma_f64 v[168:169], v[187:188], v[20:21], v[168:169]
	v_fma_f64 v[176:177], v[189:190], v[20:21], -v[176:177]
	v_fma_f64 v[185:186], v[191:192], v[20:21], v[205:206]
	;; [unrolled: 2-line block ×5, first 2 shown]
	v_add_f64 v[16:17], v[16:17], -v[22:23]
	v_add_f64 v[18:19], v[18:19], -v[168:169]
	;; [unrolled: 1-line block ×10, first 2 shown]
	v_dual_mov_b32 v22, v170 :: v_dual_mov_b32 v23, v171
.LBB82_776:
	s_or_b32 exec_lo, exec_lo, s2
	v_lshl_add_u32 v168, v184, 4, v178
	s_barrier
	buffer_gl0_inv
	v_mov_b32_e32 v176, 37
	ds_store_2addr_b64 v168, v[16:17], v[18:19] offset1:1
	s_waitcnt lgkmcnt(0)
	s_barrier
	buffer_gl0_inv
	ds_load_2addr_b64 v[168:171], v178 offset0:74 offset1:75
	s_cmp_lt_i32 s5, 39
	s_cbranch_scc1 .LBB82_779
; %bb.777:
	v_add3_u32 v177, v183, 0, 0x260
	v_mov_b32_e32 v176, 37
	s_mov_b32 s6, 38
	s_set_inst_prefetch_distance 0x1
	.p2align	6
.LBB82_778:                             ; =>This Inner Loop Header: Depth=1
	ds_load_2addr_b64 v[185:188], v177 offset1:1
	s_waitcnt lgkmcnt(1)
	v_cmp_gt_f64_e32 vcc_lo, 0, v[168:169]
	v_xor_b32_e32 v189, 0x80000000, v169
	v_cmp_gt_f64_e64 s2, 0, v[170:171]
	v_xor_b32_e32 v191, 0x80000000, v171
	v_add_nc_u32_e32 v177, 16, v177
	s_waitcnt lgkmcnt(0)
	v_cmp_gt_f64_e64 s3, 0, v[185:186]
	v_mov_b32_e32 v193, v185
	v_dual_mov_b32 v195, v187 :: v_dual_cndmask_b32 v190, v169, v189
	v_xor_b32_e32 v189, 0x80000000, v186
	v_cndmask_b32_e64 v192, v171, v191, s2
	v_xor_b32_e32 v191, 0x80000000, v188
	s_delay_alu instid0(VALU_DEP_3) | instskip(SKIP_2) | instid1(VALU_DEP_2)
	v_cndmask_b32_e64 v194, v186, v189, s3
	v_cmp_gt_f64_e64 s3, 0, v[187:188]
	v_cndmask_b32_e32 v189, v168, v168, vcc_lo
	v_cndmask_b32_e64 v196, v188, v191, s3
	v_cndmask_b32_e64 v191, v170, v170, s2
	s_delay_alu instid0(VALU_DEP_2) | instskip(NEXT) | instid1(VALU_DEP_2)
	v_add_f64 v[193:194], v[193:194], v[195:196]
	v_add_f64 v[189:190], v[189:190], v[191:192]
	s_delay_alu instid0(VALU_DEP_1) | instskip(SKIP_4) | instid1(SALU_CYCLE_1)
	v_cmp_lt_f64_e32 vcc_lo, v[189:190], v[193:194]
	v_dual_cndmask_b32 v170, v170, v187 :: v_dual_cndmask_b32 v169, v169, v186
	v_dual_cndmask_b32 v168, v168, v185 :: v_dual_cndmask_b32 v171, v171, v188
	v_cndmask_b32_e64 v176, v176, s6, vcc_lo
	s_add_i32 s6, s6, 1
	s_cmp_lg_u32 s5, s6
	s_cbranch_scc1 .LBB82_778
.LBB82_779:
	s_set_inst_prefetch_distance 0x2
	s_waitcnt lgkmcnt(0)
	v_cmp_eq_f64_e32 vcc_lo, 0, v[168:169]
	v_cmp_eq_f64_e64 s2, 0, v[170:171]
	s_delay_alu instid0(VALU_DEP_1) | instskip(NEXT) | instid1(SALU_CYCLE_1)
	s_and_b32 s2, vcc_lo, s2
	s_and_saveexec_b32 s3, s2
	s_delay_alu instid0(SALU_CYCLE_1)
	s_xor_b32 s2, exec_lo, s3
; %bb.780:
	v_cmp_ne_u32_e32 vcc_lo, 0, v182
	v_cndmask_b32_e32 v182, 38, v182, vcc_lo
; %bb.781:
	s_and_not1_saveexec_b32 s3, s2
	s_cbranch_execz .LBB82_787
; %bb.782:
	v_cmp_gt_f64_e32 vcc_lo, 0, v[168:169]
	v_cmp_gt_f64_e64 s2, 0, v[170:171]
	v_xor_b32_e32 v177, 0x80000000, v169
	v_xor_b32_e32 v185, 0x80000000, v171
	s_delay_alu instid0(VALU_DEP_2) | instskip(NEXT) | instid1(VALU_DEP_2)
	v_cndmask_b32_e32 v186, v169, v177, vcc_lo
	v_cndmask_b32_e64 v188, v171, v185, s2
	v_cndmask_b32_e32 v185, v168, v168, vcc_lo
	v_cndmask_b32_e64 v187, v170, v170, s2
	s_mov_b32 s2, exec_lo
	s_delay_alu instid0(VALU_DEP_1)
	v_cmpx_ngt_f64_e32 v[185:186], v[187:188]
	s_xor_b32 s2, exec_lo, s2
	s_cbranch_execz .LBB82_784
; %bb.783:
	v_div_scale_f64 v[185:186], null, v[170:171], v[170:171], v[168:169]
	v_div_scale_f64 v[191:192], vcc_lo, v[168:169], v[170:171], v[168:169]
	s_delay_alu instid0(VALU_DEP_2) | instskip(SKIP_2) | instid1(VALU_DEP_1)
	v_rcp_f64_e32 v[187:188], v[185:186]
	s_waitcnt_depctr 0xfff
	v_fma_f64 v[189:190], -v[185:186], v[187:188], 1.0
	v_fma_f64 v[187:188], v[187:188], v[189:190], v[187:188]
	s_delay_alu instid0(VALU_DEP_1) | instskip(NEXT) | instid1(VALU_DEP_1)
	v_fma_f64 v[189:190], -v[185:186], v[187:188], 1.0
	v_fma_f64 v[187:188], v[187:188], v[189:190], v[187:188]
	s_delay_alu instid0(VALU_DEP_1) | instskip(NEXT) | instid1(VALU_DEP_1)
	v_mul_f64 v[189:190], v[191:192], v[187:188]
	v_fma_f64 v[185:186], -v[185:186], v[189:190], v[191:192]
	s_delay_alu instid0(VALU_DEP_1) | instskip(NEXT) | instid1(VALU_DEP_1)
	v_div_fmas_f64 v[185:186], v[185:186], v[187:188], v[189:190]
	v_div_fixup_f64 v[185:186], v[185:186], v[170:171], v[168:169]
	s_delay_alu instid0(VALU_DEP_1) | instskip(NEXT) | instid1(VALU_DEP_1)
	v_fma_f64 v[168:169], v[168:169], v[185:186], v[170:171]
	v_div_scale_f64 v[170:171], null, v[168:169], v[168:169], 1.0
	s_delay_alu instid0(VALU_DEP_1) | instskip(SKIP_2) | instid1(VALU_DEP_1)
	v_rcp_f64_e32 v[187:188], v[170:171]
	s_waitcnt_depctr 0xfff
	v_fma_f64 v[189:190], -v[170:171], v[187:188], 1.0
	v_fma_f64 v[187:188], v[187:188], v[189:190], v[187:188]
	s_delay_alu instid0(VALU_DEP_1) | instskip(NEXT) | instid1(VALU_DEP_1)
	v_fma_f64 v[189:190], -v[170:171], v[187:188], 1.0
	v_fma_f64 v[187:188], v[187:188], v[189:190], v[187:188]
	v_div_scale_f64 v[189:190], vcc_lo, 1.0, v[168:169], 1.0
	s_delay_alu instid0(VALU_DEP_1) | instskip(NEXT) | instid1(VALU_DEP_1)
	v_mul_f64 v[191:192], v[189:190], v[187:188]
	v_fma_f64 v[170:171], -v[170:171], v[191:192], v[189:190]
	s_delay_alu instid0(VALU_DEP_1) | instskip(NEXT) | instid1(VALU_DEP_1)
	v_div_fmas_f64 v[170:171], v[170:171], v[187:188], v[191:192]
	v_div_fixup_f64 v[170:171], v[170:171], v[168:169], 1.0
	s_delay_alu instid0(VALU_DEP_1)
	v_mul_f64 v[168:169], v[185:186], v[170:171]
	v_xor_b32_e32 v171, 0x80000000, v171
.LBB82_784:
	s_and_not1_saveexec_b32 s2, s2
	s_cbranch_execz .LBB82_786
; %bb.785:
	s_delay_alu instid0(VALU_DEP_1) | instskip(SKIP_1) | instid1(VALU_DEP_2)
	v_div_scale_f64 v[185:186], null, v[168:169], v[168:169], v[170:171]
	v_div_scale_f64 v[191:192], vcc_lo, v[170:171], v[168:169], v[170:171]
	v_rcp_f64_e32 v[187:188], v[185:186]
	s_waitcnt_depctr 0xfff
	v_fma_f64 v[189:190], -v[185:186], v[187:188], 1.0
	s_delay_alu instid0(VALU_DEP_1) | instskip(NEXT) | instid1(VALU_DEP_1)
	v_fma_f64 v[187:188], v[187:188], v[189:190], v[187:188]
	v_fma_f64 v[189:190], -v[185:186], v[187:188], 1.0
	s_delay_alu instid0(VALU_DEP_1) | instskip(NEXT) | instid1(VALU_DEP_1)
	v_fma_f64 v[187:188], v[187:188], v[189:190], v[187:188]
	v_mul_f64 v[189:190], v[191:192], v[187:188]
	s_delay_alu instid0(VALU_DEP_1) | instskip(NEXT) | instid1(VALU_DEP_1)
	v_fma_f64 v[185:186], -v[185:186], v[189:190], v[191:192]
	v_div_fmas_f64 v[185:186], v[185:186], v[187:188], v[189:190]
	s_delay_alu instid0(VALU_DEP_1) | instskip(NEXT) | instid1(VALU_DEP_1)
	v_div_fixup_f64 v[185:186], v[185:186], v[168:169], v[170:171]
	v_fma_f64 v[168:169], v[170:171], v[185:186], v[168:169]
	s_delay_alu instid0(VALU_DEP_1) | instskip(NEXT) | instid1(VALU_DEP_1)
	v_div_scale_f64 v[170:171], null, v[168:169], v[168:169], 1.0
	v_rcp_f64_e32 v[187:188], v[170:171]
	s_waitcnt_depctr 0xfff
	v_fma_f64 v[189:190], -v[170:171], v[187:188], 1.0
	s_delay_alu instid0(VALU_DEP_1) | instskip(NEXT) | instid1(VALU_DEP_1)
	v_fma_f64 v[187:188], v[187:188], v[189:190], v[187:188]
	v_fma_f64 v[189:190], -v[170:171], v[187:188], 1.0
	s_delay_alu instid0(VALU_DEP_1) | instskip(SKIP_1) | instid1(VALU_DEP_1)
	v_fma_f64 v[187:188], v[187:188], v[189:190], v[187:188]
	v_div_scale_f64 v[189:190], vcc_lo, 1.0, v[168:169], 1.0
	v_mul_f64 v[191:192], v[189:190], v[187:188]
	s_delay_alu instid0(VALU_DEP_1) | instskip(NEXT) | instid1(VALU_DEP_1)
	v_fma_f64 v[170:171], -v[170:171], v[191:192], v[189:190]
	v_div_fmas_f64 v[170:171], v[170:171], v[187:188], v[191:192]
	s_delay_alu instid0(VALU_DEP_1) | instskip(NEXT) | instid1(VALU_DEP_1)
	v_div_fixup_f64 v[168:169], v[170:171], v[168:169], 1.0
	v_mul_f64 v[170:171], v[185:186], -v[168:169]
.LBB82_786:
	s_or_b32 exec_lo, exec_lo, s2
.LBB82_787:
	s_delay_alu instid0(SALU_CYCLE_1) | instskip(NEXT) | instid1(SALU_CYCLE_1)
	s_or_b32 exec_lo, exec_lo, s3
	s_mov_b32 s2, exec_lo
	v_cmpx_ne_u32_e64 v184, v176
	s_xor_b32 s2, exec_lo, s2
	s_cbranch_execz .LBB82_793
; %bb.788:
	s_mov_b32 s3, exec_lo
	v_cmpx_eq_u32_e32 37, v184
	s_cbranch_execz .LBB82_792
; %bb.789:
	v_cmp_ne_u32_e32 vcc_lo, 37, v176
	s_xor_b32 s6, s4, -1
	s_delay_alu instid0(SALU_CYCLE_1) | instskip(NEXT) | instid1(SALU_CYCLE_1)
	s_and_b32 s7, s6, vcc_lo
	s_and_saveexec_b32 s6, s7
	s_cbranch_execz .LBB82_791
; %bb.790:
	v_ashrrev_i32_e32 v177, 31, v176
	s_delay_alu instid0(VALU_DEP_1) | instskip(NEXT) | instid1(VALU_DEP_1)
	v_lshlrev_b64 v[184:185], 2, v[176:177]
	v_add_co_u32 v184, vcc_lo, v174, v184
	s_delay_alu instid0(VALU_DEP_2)
	v_add_co_ci_u32_e32 v185, vcc_lo, v175, v185, vcc_lo
	s_clause 0x1
	flat_load_b32 v177, v[184:185]
	flat_load_b32 v181, v[174:175] offset:148
	s_waitcnt vmcnt(1) lgkmcnt(1)
	flat_store_b32 v[174:175], v177 offset:148
	s_waitcnt vmcnt(0) lgkmcnt(1)
	flat_store_b32 v[184:185], v181
.LBB82_791:
	s_or_b32 exec_lo, exec_lo, s6
	v_mov_b32_e32 v184, v176
	v_mov_b32_e32 v181, v176
.LBB82_792:
	s_or_b32 exec_lo, exec_lo, s3
.LBB82_793:
	s_and_not1_saveexec_b32 s2, s2
	s_cbranch_execz .LBB82_795
; %bb.794:
	v_mov_b32_e32 v184, 37
	ds_store_2addr_b64 v178, v[12:13], v[14:15] offset0:76 offset1:77
	ds_store_2addr_b64 v178, v[8:9], v[10:11] offset0:78 offset1:79
	;; [unrolled: 1-line block ×4, first 2 shown]
.LBB82_795:
	s_or_b32 exec_lo, exec_lo, s2
	s_delay_alu instid0(SALU_CYCLE_1)
	s_mov_b32 s2, exec_lo
	s_waitcnt lgkmcnt(0)
	s_waitcnt_vscnt null, 0x0
	s_barrier
	buffer_gl0_inv
	v_cmpx_lt_i32_e32 37, v184
	s_cbranch_execz .LBB82_797
; %bb.796:
	v_mul_f64 v[176:177], v[168:169], v[18:19]
	v_mul_f64 v[18:19], v[170:171], v[18:19]
	ds_load_2addr_b64 v[185:188], v178 offset0:76 offset1:77
	ds_load_2addr_b64 v[189:192], v178 offset0:78 offset1:79
	;; [unrolled: 1-line block ×4, first 2 shown]
	v_fma_f64 v[170:171], v[170:171], v[16:17], v[176:177]
	v_fma_f64 v[16:17], v[168:169], v[16:17], -v[18:19]
	s_waitcnt lgkmcnt(3)
	s_delay_alu instid0(VALU_DEP_2)
	v_mul_f64 v[18:19], v[187:188], v[170:171]
	v_mul_f64 v[168:169], v[185:186], v[170:171]
	s_waitcnt lgkmcnt(2)
	v_mul_f64 v[176:177], v[191:192], v[170:171]
	v_mul_f64 v[201:202], v[189:190], v[170:171]
	s_waitcnt lgkmcnt(1)
	;; [unrolled: 3-line block ×3, first 2 shown]
	v_mul_f64 v[207:208], v[199:200], v[170:171]
	v_mul_f64 v[209:210], v[197:198], v[170:171]
	v_fma_f64 v[18:19], v[185:186], v[16:17], -v[18:19]
	v_fma_f64 v[168:169], v[187:188], v[16:17], v[168:169]
	v_fma_f64 v[176:177], v[189:190], v[16:17], -v[176:177]
	v_fma_f64 v[185:186], v[191:192], v[16:17], v[201:202]
	;; [unrolled: 2-line block ×4, first 2 shown]
	v_add_f64 v[12:13], v[12:13], -v[18:19]
	v_add_f64 v[14:15], v[14:15], -v[168:169]
	;; [unrolled: 1-line block ×8, first 2 shown]
	v_dual_mov_b32 v18, v170 :: v_dual_mov_b32 v19, v171
.LBB82_797:
	s_or_b32 exec_lo, exec_lo, s2
	v_lshl_add_u32 v168, v184, 4, v178
	s_barrier
	buffer_gl0_inv
	v_mov_b32_e32 v176, 38
	ds_store_2addr_b64 v168, v[12:13], v[14:15] offset1:1
	s_waitcnt lgkmcnt(0)
	s_barrier
	buffer_gl0_inv
	ds_load_2addr_b64 v[168:171], v178 offset0:76 offset1:77
	s_cmp_lt_i32 s5, 40
	s_cbranch_scc1 .LBB82_800
; %bb.798:
	v_add3_u32 v177, v183, 0, 0x270
	v_mov_b32_e32 v176, 38
	s_mov_b32 s6, 39
	s_set_inst_prefetch_distance 0x1
	.p2align	6
.LBB82_799:                             ; =>This Inner Loop Header: Depth=1
	ds_load_2addr_b64 v[185:188], v177 offset1:1
	s_waitcnt lgkmcnt(1)
	v_cmp_gt_f64_e32 vcc_lo, 0, v[168:169]
	v_xor_b32_e32 v189, 0x80000000, v169
	v_cmp_gt_f64_e64 s2, 0, v[170:171]
	v_xor_b32_e32 v191, 0x80000000, v171
	v_add_nc_u32_e32 v177, 16, v177
	s_waitcnt lgkmcnt(0)
	v_cmp_gt_f64_e64 s3, 0, v[185:186]
	v_mov_b32_e32 v193, v185
	v_dual_mov_b32 v195, v187 :: v_dual_cndmask_b32 v190, v169, v189
	v_xor_b32_e32 v189, 0x80000000, v186
	v_cndmask_b32_e64 v192, v171, v191, s2
	v_xor_b32_e32 v191, 0x80000000, v188
	s_delay_alu instid0(VALU_DEP_3) | instskip(SKIP_2) | instid1(VALU_DEP_2)
	v_cndmask_b32_e64 v194, v186, v189, s3
	v_cmp_gt_f64_e64 s3, 0, v[187:188]
	v_cndmask_b32_e32 v189, v168, v168, vcc_lo
	v_cndmask_b32_e64 v196, v188, v191, s3
	v_cndmask_b32_e64 v191, v170, v170, s2
	s_delay_alu instid0(VALU_DEP_2) | instskip(NEXT) | instid1(VALU_DEP_2)
	v_add_f64 v[193:194], v[193:194], v[195:196]
	v_add_f64 v[189:190], v[189:190], v[191:192]
	s_delay_alu instid0(VALU_DEP_1) | instskip(SKIP_4) | instid1(SALU_CYCLE_1)
	v_cmp_lt_f64_e32 vcc_lo, v[189:190], v[193:194]
	v_dual_cndmask_b32 v170, v170, v187 :: v_dual_cndmask_b32 v169, v169, v186
	v_dual_cndmask_b32 v168, v168, v185 :: v_dual_cndmask_b32 v171, v171, v188
	v_cndmask_b32_e64 v176, v176, s6, vcc_lo
	s_add_i32 s6, s6, 1
	s_cmp_lg_u32 s5, s6
	s_cbranch_scc1 .LBB82_799
.LBB82_800:
	s_set_inst_prefetch_distance 0x2
	s_waitcnt lgkmcnt(0)
	v_cmp_eq_f64_e32 vcc_lo, 0, v[168:169]
	v_cmp_eq_f64_e64 s2, 0, v[170:171]
	s_delay_alu instid0(VALU_DEP_1) | instskip(NEXT) | instid1(SALU_CYCLE_1)
	s_and_b32 s2, vcc_lo, s2
	s_and_saveexec_b32 s3, s2
	s_delay_alu instid0(SALU_CYCLE_1)
	s_xor_b32 s2, exec_lo, s3
; %bb.801:
	v_cmp_ne_u32_e32 vcc_lo, 0, v182
	v_cndmask_b32_e32 v182, 39, v182, vcc_lo
; %bb.802:
	s_and_not1_saveexec_b32 s3, s2
	s_cbranch_execz .LBB82_808
; %bb.803:
	v_cmp_gt_f64_e32 vcc_lo, 0, v[168:169]
	v_cmp_gt_f64_e64 s2, 0, v[170:171]
	v_xor_b32_e32 v177, 0x80000000, v169
	v_xor_b32_e32 v185, 0x80000000, v171
	s_delay_alu instid0(VALU_DEP_2) | instskip(NEXT) | instid1(VALU_DEP_2)
	v_cndmask_b32_e32 v186, v169, v177, vcc_lo
	v_cndmask_b32_e64 v188, v171, v185, s2
	v_cndmask_b32_e32 v185, v168, v168, vcc_lo
	v_cndmask_b32_e64 v187, v170, v170, s2
	s_mov_b32 s2, exec_lo
	s_delay_alu instid0(VALU_DEP_1)
	v_cmpx_ngt_f64_e32 v[185:186], v[187:188]
	s_xor_b32 s2, exec_lo, s2
	s_cbranch_execz .LBB82_805
; %bb.804:
	v_div_scale_f64 v[185:186], null, v[170:171], v[170:171], v[168:169]
	v_div_scale_f64 v[191:192], vcc_lo, v[168:169], v[170:171], v[168:169]
	s_delay_alu instid0(VALU_DEP_2) | instskip(SKIP_2) | instid1(VALU_DEP_1)
	v_rcp_f64_e32 v[187:188], v[185:186]
	s_waitcnt_depctr 0xfff
	v_fma_f64 v[189:190], -v[185:186], v[187:188], 1.0
	v_fma_f64 v[187:188], v[187:188], v[189:190], v[187:188]
	s_delay_alu instid0(VALU_DEP_1) | instskip(NEXT) | instid1(VALU_DEP_1)
	v_fma_f64 v[189:190], -v[185:186], v[187:188], 1.0
	v_fma_f64 v[187:188], v[187:188], v[189:190], v[187:188]
	s_delay_alu instid0(VALU_DEP_1) | instskip(NEXT) | instid1(VALU_DEP_1)
	v_mul_f64 v[189:190], v[191:192], v[187:188]
	v_fma_f64 v[185:186], -v[185:186], v[189:190], v[191:192]
	s_delay_alu instid0(VALU_DEP_1) | instskip(NEXT) | instid1(VALU_DEP_1)
	v_div_fmas_f64 v[185:186], v[185:186], v[187:188], v[189:190]
	v_div_fixup_f64 v[185:186], v[185:186], v[170:171], v[168:169]
	s_delay_alu instid0(VALU_DEP_1) | instskip(NEXT) | instid1(VALU_DEP_1)
	v_fma_f64 v[168:169], v[168:169], v[185:186], v[170:171]
	v_div_scale_f64 v[170:171], null, v[168:169], v[168:169], 1.0
	s_delay_alu instid0(VALU_DEP_1) | instskip(SKIP_2) | instid1(VALU_DEP_1)
	v_rcp_f64_e32 v[187:188], v[170:171]
	s_waitcnt_depctr 0xfff
	v_fma_f64 v[189:190], -v[170:171], v[187:188], 1.0
	v_fma_f64 v[187:188], v[187:188], v[189:190], v[187:188]
	s_delay_alu instid0(VALU_DEP_1) | instskip(NEXT) | instid1(VALU_DEP_1)
	v_fma_f64 v[189:190], -v[170:171], v[187:188], 1.0
	v_fma_f64 v[187:188], v[187:188], v[189:190], v[187:188]
	v_div_scale_f64 v[189:190], vcc_lo, 1.0, v[168:169], 1.0
	s_delay_alu instid0(VALU_DEP_1) | instskip(NEXT) | instid1(VALU_DEP_1)
	v_mul_f64 v[191:192], v[189:190], v[187:188]
	v_fma_f64 v[170:171], -v[170:171], v[191:192], v[189:190]
	s_delay_alu instid0(VALU_DEP_1) | instskip(NEXT) | instid1(VALU_DEP_1)
	v_div_fmas_f64 v[170:171], v[170:171], v[187:188], v[191:192]
	v_div_fixup_f64 v[170:171], v[170:171], v[168:169], 1.0
	s_delay_alu instid0(VALU_DEP_1)
	v_mul_f64 v[168:169], v[185:186], v[170:171]
	v_xor_b32_e32 v171, 0x80000000, v171
.LBB82_805:
	s_and_not1_saveexec_b32 s2, s2
	s_cbranch_execz .LBB82_807
; %bb.806:
	s_delay_alu instid0(VALU_DEP_1) | instskip(SKIP_1) | instid1(VALU_DEP_2)
	v_div_scale_f64 v[185:186], null, v[168:169], v[168:169], v[170:171]
	v_div_scale_f64 v[191:192], vcc_lo, v[170:171], v[168:169], v[170:171]
	v_rcp_f64_e32 v[187:188], v[185:186]
	s_waitcnt_depctr 0xfff
	v_fma_f64 v[189:190], -v[185:186], v[187:188], 1.0
	s_delay_alu instid0(VALU_DEP_1) | instskip(NEXT) | instid1(VALU_DEP_1)
	v_fma_f64 v[187:188], v[187:188], v[189:190], v[187:188]
	v_fma_f64 v[189:190], -v[185:186], v[187:188], 1.0
	s_delay_alu instid0(VALU_DEP_1) | instskip(NEXT) | instid1(VALU_DEP_1)
	v_fma_f64 v[187:188], v[187:188], v[189:190], v[187:188]
	v_mul_f64 v[189:190], v[191:192], v[187:188]
	s_delay_alu instid0(VALU_DEP_1) | instskip(NEXT) | instid1(VALU_DEP_1)
	v_fma_f64 v[185:186], -v[185:186], v[189:190], v[191:192]
	v_div_fmas_f64 v[185:186], v[185:186], v[187:188], v[189:190]
	s_delay_alu instid0(VALU_DEP_1) | instskip(NEXT) | instid1(VALU_DEP_1)
	v_div_fixup_f64 v[185:186], v[185:186], v[168:169], v[170:171]
	v_fma_f64 v[168:169], v[170:171], v[185:186], v[168:169]
	s_delay_alu instid0(VALU_DEP_1) | instskip(NEXT) | instid1(VALU_DEP_1)
	v_div_scale_f64 v[170:171], null, v[168:169], v[168:169], 1.0
	v_rcp_f64_e32 v[187:188], v[170:171]
	s_waitcnt_depctr 0xfff
	v_fma_f64 v[189:190], -v[170:171], v[187:188], 1.0
	s_delay_alu instid0(VALU_DEP_1) | instskip(NEXT) | instid1(VALU_DEP_1)
	v_fma_f64 v[187:188], v[187:188], v[189:190], v[187:188]
	v_fma_f64 v[189:190], -v[170:171], v[187:188], 1.0
	s_delay_alu instid0(VALU_DEP_1) | instskip(SKIP_1) | instid1(VALU_DEP_1)
	v_fma_f64 v[187:188], v[187:188], v[189:190], v[187:188]
	v_div_scale_f64 v[189:190], vcc_lo, 1.0, v[168:169], 1.0
	v_mul_f64 v[191:192], v[189:190], v[187:188]
	s_delay_alu instid0(VALU_DEP_1) | instskip(NEXT) | instid1(VALU_DEP_1)
	v_fma_f64 v[170:171], -v[170:171], v[191:192], v[189:190]
	v_div_fmas_f64 v[170:171], v[170:171], v[187:188], v[191:192]
	s_delay_alu instid0(VALU_DEP_1) | instskip(NEXT) | instid1(VALU_DEP_1)
	v_div_fixup_f64 v[168:169], v[170:171], v[168:169], 1.0
	v_mul_f64 v[170:171], v[185:186], -v[168:169]
.LBB82_807:
	s_or_b32 exec_lo, exec_lo, s2
.LBB82_808:
	s_delay_alu instid0(SALU_CYCLE_1) | instskip(NEXT) | instid1(SALU_CYCLE_1)
	s_or_b32 exec_lo, exec_lo, s3
	s_mov_b32 s2, exec_lo
	v_cmpx_ne_u32_e64 v184, v176
	s_xor_b32 s2, exec_lo, s2
	s_cbranch_execz .LBB82_814
; %bb.809:
	s_mov_b32 s3, exec_lo
	v_cmpx_eq_u32_e32 38, v184
	s_cbranch_execz .LBB82_813
; %bb.810:
	v_cmp_ne_u32_e32 vcc_lo, 38, v176
	s_xor_b32 s6, s4, -1
	s_delay_alu instid0(SALU_CYCLE_1) | instskip(NEXT) | instid1(SALU_CYCLE_1)
	s_and_b32 s7, s6, vcc_lo
	s_and_saveexec_b32 s6, s7
	s_cbranch_execz .LBB82_812
; %bb.811:
	v_ashrrev_i32_e32 v177, 31, v176
	s_delay_alu instid0(VALU_DEP_1) | instskip(NEXT) | instid1(VALU_DEP_1)
	v_lshlrev_b64 v[184:185], 2, v[176:177]
	v_add_co_u32 v184, vcc_lo, v174, v184
	s_delay_alu instid0(VALU_DEP_2)
	v_add_co_ci_u32_e32 v185, vcc_lo, v175, v185, vcc_lo
	s_clause 0x1
	flat_load_b32 v177, v[184:185]
	flat_load_b32 v181, v[174:175] offset:152
	s_waitcnt vmcnt(1) lgkmcnt(1)
	flat_store_b32 v[174:175], v177 offset:152
	s_waitcnt vmcnt(0) lgkmcnt(1)
	flat_store_b32 v[184:185], v181
.LBB82_812:
	s_or_b32 exec_lo, exec_lo, s6
	v_mov_b32_e32 v184, v176
	v_mov_b32_e32 v181, v176
.LBB82_813:
	s_or_b32 exec_lo, exec_lo, s3
.LBB82_814:
	s_and_not1_saveexec_b32 s2, s2
	s_cbranch_execz .LBB82_816
; %bb.815:
	v_mov_b32_e32 v184, 38
	ds_store_2addr_b64 v178, v[8:9], v[10:11] offset0:78 offset1:79
	ds_store_2addr_b64 v178, v[4:5], v[6:7] offset0:80 offset1:81
	;; [unrolled: 1-line block ×3, first 2 shown]
.LBB82_816:
	s_or_b32 exec_lo, exec_lo, s2
	s_delay_alu instid0(SALU_CYCLE_1)
	s_mov_b32 s2, exec_lo
	s_waitcnt lgkmcnt(0)
	s_waitcnt_vscnt null, 0x0
	s_barrier
	buffer_gl0_inv
	v_cmpx_lt_i32_e32 38, v184
	s_cbranch_execz .LBB82_818
; %bb.817:
	v_mul_f64 v[176:177], v[168:169], v[14:15]
	v_mul_f64 v[14:15], v[170:171], v[14:15]
	ds_load_2addr_b64 v[185:188], v178 offset0:78 offset1:79
	ds_load_2addr_b64 v[189:192], v178 offset0:80 offset1:81
	;; [unrolled: 1-line block ×3, first 2 shown]
	v_fma_f64 v[170:171], v[170:171], v[12:13], v[176:177]
	v_fma_f64 v[12:13], v[168:169], v[12:13], -v[14:15]
	s_waitcnt lgkmcnt(2)
	s_delay_alu instid0(VALU_DEP_2)
	v_mul_f64 v[14:15], v[187:188], v[170:171]
	v_mul_f64 v[168:169], v[185:186], v[170:171]
	s_waitcnt lgkmcnt(1)
	v_mul_f64 v[176:177], v[191:192], v[170:171]
	v_mul_f64 v[197:198], v[189:190], v[170:171]
	s_waitcnt lgkmcnt(0)
	v_mul_f64 v[199:200], v[195:196], v[170:171]
	v_mul_f64 v[201:202], v[193:194], v[170:171]
	v_fma_f64 v[14:15], v[185:186], v[12:13], -v[14:15]
	v_fma_f64 v[168:169], v[187:188], v[12:13], v[168:169]
	v_fma_f64 v[176:177], v[189:190], v[12:13], -v[176:177]
	v_fma_f64 v[185:186], v[191:192], v[12:13], v[197:198]
	;; [unrolled: 2-line block ×3, first 2 shown]
	v_add_f64 v[8:9], v[8:9], -v[14:15]
	v_add_f64 v[10:11], v[10:11], -v[168:169]
	;; [unrolled: 1-line block ×6, first 2 shown]
	v_dual_mov_b32 v14, v170 :: v_dual_mov_b32 v15, v171
.LBB82_818:
	s_or_b32 exec_lo, exec_lo, s2
	v_lshl_add_u32 v168, v184, 4, v178
	s_barrier
	buffer_gl0_inv
	v_mov_b32_e32 v176, 39
	ds_store_2addr_b64 v168, v[8:9], v[10:11] offset1:1
	s_waitcnt lgkmcnt(0)
	s_barrier
	buffer_gl0_inv
	ds_load_2addr_b64 v[168:171], v178 offset0:78 offset1:79
	s_cmp_lt_i32 s5, 41
	s_cbranch_scc1 .LBB82_821
; %bb.819:
	v_add3_u32 v177, v183, 0, 0x280
	v_mov_b32_e32 v176, 39
	s_mov_b32 s6, 40
	s_set_inst_prefetch_distance 0x1
	.p2align	6
.LBB82_820:                             ; =>This Inner Loop Header: Depth=1
	ds_load_2addr_b64 v[185:188], v177 offset1:1
	s_waitcnt lgkmcnt(1)
	v_cmp_gt_f64_e32 vcc_lo, 0, v[168:169]
	v_xor_b32_e32 v189, 0x80000000, v169
	v_cmp_gt_f64_e64 s2, 0, v[170:171]
	v_xor_b32_e32 v191, 0x80000000, v171
	v_add_nc_u32_e32 v177, 16, v177
	s_waitcnt lgkmcnt(0)
	v_cmp_gt_f64_e64 s3, 0, v[185:186]
	v_mov_b32_e32 v193, v185
	v_dual_mov_b32 v195, v187 :: v_dual_cndmask_b32 v190, v169, v189
	v_xor_b32_e32 v189, 0x80000000, v186
	v_cndmask_b32_e64 v192, v171, v191, s2
	v_xor_b32_e32 v191, 0x80000000, v188
	s_delay_alu instid0(VALU_DEP_3) | instskip(SKIP_2) | instid1(VALU_DEP_2)
	v_cndmask_b32_e64 v194, v186, v189, s3
	v_cmp_gt_f64_e64 s3, 0, v[187:188]
	v_cndmask_b32_e32 v189, v168, v168, vcc_lo
	v_cndmask_b32_e64 v196, v188, v191, s3
	v_cndmask_b32_e64 v191, v170, v170, s2
	s_delay_alu instid0(VALU_DEP_2) | instskip(NEXT) | instid1(VALU_DEP_2)
	v_add_f64 v[193:194], v[193:194], v[195:196]
	v_add_f64 v[189:190], v[189:190], v[191:192]
	s_delay_alu instid0(VALU_DEP_1) | instskip(SKIP_4) | instid1(SALU_CYCLE_1)
	v_cmp_lt_f64_e32 vcc_lo, v[189:190], v[193:194]
	v_dual_cndmask_b32 v170, v170, v187 :: v_dual_cndmask_b32 v169, v169, v186
	v_dual_cndmask_b32 v168, v168, v185 :: v_dual_cndmask_b32 v171, v171, v188
	v_cndmask_b32_e64 v176, v176, s6, vcc_lo
	s_add_i32 s6, s6, 1
	s_cmp_lg_u32 s5, s6
	s_cbranch_scc1 .LBB82_820
.LBB82_821:
	s_set_inst_prefetch_distance 0x2
	s_waitcnt lgkmcnt(0)
	v_cmp_eq_f64_e32 vcc_lo, 0, v[168:169]
	v_cmp_eq_f64_e64 s2, 0, v[170:171]
	s_delay_alu instid0(VALU_DEP_1) | instskip(NEXT) | instid1(SALU_CYCLE_1)
	s_and_b32 s2, vcc_lo, s2
	s_and_saveexec_b32 s3, s2
	s_delay_alu instid0(SALU_CYCLE_1)
	s_xor_b32 s2, exec_lo, s3
; %bb.822:
	v_cmp_ne_u32_e32 vcc_lo, 0, v182
	v_cndmask_b32_e32 v182, 40, v182, vcc_lo
; %bb.823:
	s_and_not1_saveexec_b32 s3, s2
	s_cbranch_execz .LBB82_829
; %bb.824:
	v_cmp_gt_f64_e32 vcc_lo, 0, v[168:169]
	v_cmp_gt_f64_e64 s2, 0, v[170:171]
	v_xor_b32_e32 v177, 0x80000000, v169
	v_xor_b32_e32 v185, 0x80000000, v171
	s_delay_alu instid0(VALU_DEP_2) | instskip(NEXT) | instid1(VALU_DEP_2)
	v_cndmask_b32_e32 v186, v169, v177, vcc_lo
	v_cndmask_b32_e64 v188, v171, v185, s2
	v_cndmask_b32_e32 v185, v168, v168, vcc_lo
	v_cndmask_b32_e64 v187, v170, v170, s2
	s_mov_b32 s2, exec_lo
	s_delay_alu instid0(VALU_DEP_1)
	v_cmpx_ngt_f64_e32 v[185:186], v[187:188]
	s_xor_b32 s2, exec_lo, s2
	s_cbranch_execz .LBB82_826
; %bb.825:
	v_div_scale_f64 v[185:186], null, v[170:171], v[170:171], v[168:169]
	v_div_scale_f64 v[191:192], vcc_lo, v[168:169], v[170:171], v[168:169]
	s_delay_alu instid0(VALU_DEP_2) | instskip(SKIP_2) | instid1(VALU_DEP_1)
	v_rcp_f64_e32 v[187:188], v[185:186]
	s_waitcnt_depctr 0xfff
	v_fma_f64 v[189:190], -v[185:186], v[187:188], 1.0
	v_fma_f64 v[187:188], v[187:188], v[189:190], v[187:188]
	s_delay_alu instid0(VALU_DEP_1) | instskip(NEXT) | instid1(VALU_DEP_1)
	v_fma_f64 v[189:190], -v[185:186], v[187:188], 1.0
	v_fma_f64 v[187:188], v[187:188], v[189:190], v[187:188]
	s_delay_alu instid0(VALU_DEP_1) | instskip(NEXT) | instid1(VALU_DEP_1)
	v_mul_f64 v[189:190], v[191:192], v[187:188]
	v_fma_f64 v[185:186], -v[185:186], v[189:190], v[191:192]
	s_delay_alu instid0(VALU_DEP_1) | instskip(NEXT) | instid1(VALU_DEP_1)
	v_div_fmas_f64 v[185:186], v[185:186], v[187:188], v[189:190]
	v_div_fixup_f64 v[185:186], v[185:186], v[170:171], v[168:169]
	s_delay_alu instid0(VALU_DEP_1) | instskip(NEXT) | instid1(VALU_DEP_1)
	v_fma_f64 v[168:169], v[168:169], v[185:186], v[170:171]
	v_div_scale_f64 v[170:171], null, v[168:169], v[168:169], 1.0
	s_delay_alu instid0(VALU_DEP_1) | instskip(SKIP_2) | instid1(VALU_DEP_1)
	v_rcp_f64_e32 v[187:188], v[170:171]
	s_waitcnt_depctr 0xfff
	v_fma_f64 v[189:190], -v[170:171], v[187:188], 1.0
	v_fma_f64 v[187:188], v[187:188], v[189:190], v[187:188]
	s_delay_alu instid0(VALU_DEP_1) | instskip(NEXT) | instid1(VALU_DEP_1)
	v_fma_f64 v[189:190], -v[170:171], v[187:188], 1.0
	v_fma_f64 v[187:188], v[187:188], v[189:190], v[187:188]
	v_div_scale_f64 v[189:190], vcc_lo, 1.0, v[168:169], 1.0
	s_delay_alu instid0(VALU_DEP_1) | instskip(NEXT) | instid1(VALU_DEP_1)
	v_mul_f64 v[191:192], v[189:190], v[187:188]
	v_fma_f64 v[170:171], -v[170:171], v[191:192], v[189:190]
	s_delay_alu instid0(VALU_DEP_1) | instskip(NEXT) | instid1(VALU_DEP_1)
	v_div_fmas_f64 v[170:171], v[170:171], v[187:188], v[191:192]
	v_div_fixup_f64 v[170:171], v[170:171], v[168:169], 1.0
	s_delay_alu instid0(VALU_DEP_1)
	v_mul_f64 v[168:169], v[185:186], v[170:171]
	v_xor_b32_e32 v171, 0x80000000, v171
.LBB82_826:
	s_and_not1_saveexec_b32 s2, s2
	s_cbranch_execz .LBB82_828
; %bb.827:
	s_delay_alu instid0(VALU_DEP_1) | instskip(SKIP_1) | instid1(VALU_DEP_2)
	v_div_scale_f64 v[185:186], null, v[168:169], v[168:169], v[170:171]
	v_div_scale_f64 v[191:192], vcc_lo, v[170:171], v[168:169], v[170:171]
	v_rcp_f64_e32 v[187:188], v[185:186]
	s_waitcnt_depctr 0xfff
	v_fma_f64 v[189:190], -v[185:186], v[187:188], 1.0
	s_delay_alu instid0(VALU_DEP_1) | instskip(NEXT) | instid1(VALU_DEP_1)
	v_fma_f64 v[187:188], v[187:188], v[189:190], v[187:188]
	v_fma_f64 v[189:190], -v[185:186], v[187:188], 1.0
	s_delay_alu instid0(VALU_DEP_1) | instskip(NEXT) | instid1(VALU_DEP_1)
	v_fma_f64 v[187:188], v[187:188], v[189:190], v[187:188]
	v_mul_f64 v[189:190], v[191:192], v[187:188]
	s_delay_alu instid0(VALU_DEP_1) | instskip(NEXT) | instid1(VALU_DEP_1)
	v_fma_f64 v[185:186], -v[185:186], v[189:190], v[191:192]
	v_div_fmas_f64 v[185:186], v[185:186], v[187:188], v[189:190]
	s_delay_alu instid0(VALU_DEP_1) | instskip(NEXT) | instid1(VALU_DEP_1)
	v_div_fixup_f64 v[185:186], v[185:186], v[168:169], v[170:171]
	v_fma_f64 v[168:169], v[170:171], v[185:186], v[168:169]
	s_delay_alu instid0(VALU_DEP_1) | instskip(NEXT) | instid1(VALU_DEP_1)
	v_div_scale_f64 v[170:171], null, v[168:169], v[168:169], 1.0
	v_rcp_f64_e32 v[187:188], v[170:171]
	s_waitcnt_depctr 0xfff
	v_fma_f64 v[189:190], -v[170:171], v[187:188], 1.0
	s_delay_alu instid0(VALU_DEP_1) | instskip(NEXT) | instid1(VALU_DEP_1)
	v_fma_f64 v[187:188], v[187:188], v[189:190], v[187:188]
	v_fma_f64 v[189:190], -v[170:171], v[187:188], 1.0
	s_delay_alu instid0(VALU_DEP_1) | instskip(SKIP_1) | instid1(VALU_DEP_1)
	v_fma_f64 v[187:188], v[187:188], v[189:190], v[187:188]
	v_div_scale_f64 v[189:190], vcc_lo, 1.0, v[168:169], 1.0
	v_mul_f64 v[191:192], v[189:190], v[187:188]
	s_delay_alu instid0(VALU_DEP_1) | instskip(NEXT) | instid1(VALU_DEP_1)
	v_fma_f64 v[170:171], -v[170:171], v[191:192], v[189:190]
	v_div_fmas_f64 v[170:171], v[170:171], v[187:188], v[191:192]
	s_delay_alu instid0(VALU_DEP_1) | instskip(NEXT) | instid1(VALU_DEP_1)
	v_div_fixup_f64 v[168:169], v[170:171], v[168:169], 1.0
	v_mul_f64 v[170:171], v[185:186], -v[168:169]
.LBB82_828:
	s_or_b32 exec_lo, exec_lo, s2
.LBB82_829:
	s_delay_alu instid0(SALU_CYCLE_1) | instskip(NEXT) | instid1(SALU_CYCLE_1)
	s_or_b32 exec_lo, exec_lo, s3
	s_mov_b32 s2, exec_lo
	v_cmpx_ne_u32_e64 v184, v176
	s_xor_b32 s2, exec_lo, s2
	s_cbranch_execz .LBB82_835
; %bb.830:
	s_mov_b32 s3, exec_lo
	v_cmpx_eq_u32_e32 39, v184
	s_cbranch_execz .LBB82_834
; %bb.831:
	v_cmp_ne_u32_e32 vcc_lo, 39, v176
	s_xor_b32 s6, s4, -1
	s_delay_alu instid0(SALU_CYCLE_1) | instskip(NEXT) | instid1(SALU_CYCLE_1)
	s_and_b32 s7, s6, vcc_lo
	s_and_saveexec_b32 s6, s7
	s_cbranch_execz .LBB82_833
; %bb.832:
	v_ashrrev_i32_e32 v177, 31, v176
	s_delay_alu instid0(VALU_DEP_1) | instskip(NEXT) | instid1(VALU_DEP_1)
	v_lshlrev_b64 v[184:185], 2, v[176:177]
	v_add_co_u32 v184, vcc_lo, v174, v184
	s_delay_alu instid0(VALU_DEP_2)
	v_add_co_ci_u32_e32 v185, vcc_lo, v175, v185, vcc_lo
	s_clause 0x1
	flat_load_b32 v177, v[184:185]
	flat_load_b32 v181, v[174:175] offset:156
	s_waitcnt vmcnt(1) lgkmcnt(1)
	flat_store_b32 v[174:175], v177 offset:156
	s_waitcnt vmcnt(0) lgkmcnt(1)
	flat_store_b32 v[184:185], v181
.LBB82_833:
	s_or_b32 exec_lo, exec_lo, s6
	v_mov_b32_e32 v184, v176
	v_mov_b32_e32 v181, v176
.LBB82_834:
	s_or_b32 exec_lo, exec_lo, s3
.LBB82_835:
	s_and_not1_saveexec_b32 s2, s2
	s_cbranch_execz .LBB82_837
; %bb.836:
	v_mov_b32_e32 v184, 39
	ds_store_2addr_b64 v178, v[4:5], v[6:7] offset0:80 offset1:81
	ds_store_2addr_b64 v178, v[0:1], v[2:3] offset0:82 offset1:83
.LBB82_837:
	s_or_b32 exec_lo, exec_lo, s2
	s_delay_alu instid0(SALU_CYCLE_1)
	s_mov_b32 s2, exec_lo
	s_waitcnt lgkmcnt(0)
	s_waitcnt_vscnt null, 0x0
	s_barrier
	buffer_gl0_inv
	v_cmpx_lt_i32_e32 39, v184
	s_cbranch_execz .LBB82_839
; %bb.838:
	v_mul_f64 v[176:177], v[168:169], v[10:11]
	v_mul_f64 v[10:11], v[170:171], v[10:11]
	ds_load_2addr_b64 v[185:188], v178 offset0:80 offset1:81
	ds_load_2addr_b64 v[189:192], v178 offset0:82 offset1:83
	v_fma_f64 v[170:171], v[170:171], v[8:9], v[176:177]
	v_fma_f64 v[8:9], v[168:169], v[8:9], -v[10:11]
	s_waitcnt lgkmcnt(1)
	s_delay_alu instid0(VALU_DEP_2) | instskip(SKIP_4) | instid1(VALU_DEP_4)
	v_mul_f64 v[10:11], v[187:188], v[170:171]
	v_mul_f64 v[168:169], v[185:186], v[170:171]
	s_waitcnt lgkmcnt(0)
	v_mul_f64 v[176:177], v[191:192], v[170:171]
	v_mul_f64 v[193:194], v[189:190], v[170:171]
	v_fma_f64 v[10:11], v[185:186], v[8:9], -v[10:11]
	s_delay_alu instid0(VALU_DEP_4) | instskip(NEXT) | instid1(VALU_DEP_4)
	v_fma_f64 v[168:169], v[187:188], v[8:9], v[168:169]
	v_fma_f64 v[176:177], v[189:190], v[8:9], -v[176:177]
	s_delay_alu instid0(VALU_DEP_4) | instskip(NEXT) | instid1(VALU_DEP_4)
	v_fma_f64 v[185:186], v[191:192], v[8:9], v[193:194]
	v_add_f64 v[4:5], v[4:5], -v[10:11]
	s_delay_alu instid0(VALU_DEP_4) | instskip(NEXT) | instid1(VALU_DEP_4)
	v_add_f64 v[6:7], v[6:7], -v[168:169]
	v_add_f64 v[0:1], v[0:1], -v[176:177]
	s_delay_alu instid0(VALU_DEP_4)
	v_add_f64 v[2:3], v[2:3], -v[185:186]
	v_dual_mov_b32 v10, v170 :: v_dual_mov_b32 v11, v171
.LBB82_839:
	s_or_b32 exec_lo, exec_lo, s2
	v_lshl_add_u32 v168, v184, 4, v178
	s_barrier
	buffer_gl0_inv
	v_mov_b32_e32 v176, 40
	ds_store_2addr_b64 v168, v[4:5], v[6:7] offset1:1
	s_waitcnt lgkmcnt(0)
	s_barrier
	buffer_gl0_inv
	ds_load_2addr_b64 v[168:171], v178 offset0:80 offset1:81
	s_cmp_lt_i32 s5, 42
	s_cbranch_scc1 .LBB82_842
; %bb.840:
	v_add3_u32 v177, v183, 0, 0x290
	v_mov_b32_e32 v176, 40
	s_mov_b32 s6, 41
	s_set_inst_prefetch_distance 0x1
	.p2align	6
.LBB82_841:                             ; =>This Inner Loop Header: Depth=1
	ds_load_2addr_b64 v[185:188], v177 offset1:1
	s_waitcnt lgkmcnt(1)
	v_cmp_gt_f64_e32 vcc_lo, 0, v[168:169]
	v_xor_b32_e32 v189, 0x80000000, v169
	v_cmp_gt_f64_e64 s2, 0, v[170:171]
	v_xor_b32_e32 v191, 0x80000000, v171
	v_add_nc_u32_e32 v177, 16, v177
	s_waitcnt lgkmcnt(0)
	v_cmp_gt_f64_e64 s3, 0, v[185:186]
	v_mov_b32_e32 v193, v185
	v_dual_mov_b32 v195, v187 :: v_dual_cndmask_b32 v190, v169, v189
	v_xor_b32_e32 v189, 0x80000000, v186
	v_cndmask_b32_e64 v192, v171, v191, s2
	v_xor_b32_e32 v191, 0x80000000, v188
	s_delay_alu instid0(VALU_DEP_3) | instskip(SKIP_2) | instid1(VALU_DEP_2)
	v_cndmask_b32_e64 v194, v186, v189, s3
	v_cmp_gt_f64_e64 s3, 0, v[187:188]
	v_cndmask_b32_e32 v189, v168, v168, vcc_lo
	v_cndmask_b32_e64 v196, v188, v191, s3
	v_cndmask_b32_e64 v191, v170, v170, s2
	s_delay_alu instid0(VALU_DEP_2) | instskip(NEXT) | instid1(VALU_DEP_2)
	v_add_f64 v[193:194], v[193:194], v[195:196]
	v_add_f64 v[189:190], v[189:190], v[191:192]
	s_delay_alu instid0(VALU_DEP_1) | instskip(SKIP_4) | instid1(SALU_CYCLE_1)
	v_cmp_lt_f64_e32 vcc_lo, v[189:190], v[193:194]
	v_dual_cndmask_b32 v170, v170, v187 :: v_dual_cndmask_b32 v169, v169, v186
	v_dual_cndmask_b32 v168, v168, v185 :: v_dual_cndmask_b32 v171, v171, v188
	v_cndmask_b32_e64 v176, v176, s6, vcc_lo
	s_add_i32 s6, s6, 1
	s_cmp_lg_u32 s5, s6
	s_cbranch_scc1 .LBB82_841
.LBB82_842:
	s_set_inst_prefetch_distance 0x2
	s_waitcnt lgkmcnt(0)
	v_cmp_eq_f64_e32 vcc_lo, 0, v[168:169]
	v_cmp_eq_f64_e64 s2, 0, v[170:171]
	s_delay_alu instid0(VALU_DEP_1) | instskip(NEXT) | instid1(SALU_CYCLE_1)
	s_and_b32 s2, vcc_lo, s2
	s_and_saveexec_b32 s3, s2
	s_delay_alu instid0(SALU_CYCLE_1)
	s_xor_b32 s2, exec_lo, s3
; %bb.843:
	v_cmp_ne_u32_e32 vcc_lo, 0, v182
	v_cndmask_b32_e32 v182, 41, v182, vcc_lo
; %bb.844:
	s_and_not1_saveexec_b32 s3, s2
	s_cbranch_execz .LBB82_850
; %bb.845:
	v_cmp_gt_f64_e32 vcc_lo, 0, v[168:169]
	v_cmp_gt_f64_e64 s2, 0, v[170:171]
	v_xor_b32_e32 v177, 0x80000000, v169
	v_xor_b32_e32 v185, 0x80000000, v171
	s_delay_alu instid0(VALU_DEP_2) | instskip(NEXT) | instid1(VALU_DEP_2)
	v_cndmask_b32_e32 v186, v169, v177, vcc_lo
	v_cndmask_b32_e64 v188, v171, v185, s2
	v_cndmask_b32_e32 v185, v168, v168, vcc_lo
	v_cndmask_b32_e64 v187, v170, v170, s2
	s_mov_b32 s2, exec_lo
	s_delay_alu instid0(VALU_DEP_1)
	v_cmpx_ngt_f64_e32 v[185:186], v[187:188]
	s_xor_b32 s2, exec_lo, s2
	s_cbranch_execz .LBB82_847
; %bb.846:
	v_div_scale_f64 v[185:186], null, v[170:171], v[170:171], v[168:169]
	v_div_scale_f64 v[191:192], vcc_lo, v[168:169], v[170:171], v[168:169]
	s_delay_alu instid0(VALU_DEP_2) | instskip(SKIP_2) | instid1(VALU_DEP_1)
	v_rcp_f64_e32 v[187:188], v[185:186]
	s_waitcnt_depctr 0xfff
	v_fma_f64 v[189:190], -v[185:186], v[187:188], 1.0
	v_fma_f64 v[187:188], v[187:188], v[189:190], v[187:188]
	s_delay_alu instid0(VALU_DEP_1) | instskip(NEXT) | instid1(VALU_DEP_1)
	v_fma_f64 v[189:190], -v[185:186], v[187:188], 1.0
	v_fma_f64 v[187:188], v[187:188], v[189:190], v[187:188]
	s_delay_alu instid0(VALU_DEP_1) | instskip(NEXT) | instid1(VALU_DEP_1)
	v_mul_f64 v[189:190], v[191:192], v[187:188]
	v_fma_f64 v[185:186], -v[185:186], v[189:190], v[191:192]
	s_delay_alu instid0(VALU_DEP_1) | instskip(NEXT) | instid1(VALU_DEP_1)
	v_div_fmas_f64 v[185:186], v[185:186], v[187:188], v[189:190]
	v_div_fixup_f64 v[185:186], v[185:186], v[170:171], v[168:169]
	s_delay_alu instid0(VALU_DEP_1) | instskip(NEXT) | instid1(VALU_DEP_1)
	v_fma_f64 v[168:169], v[168:169], v[185:186], v[170:171]
	v_div_scale_f64 v[170:171], null, v[168:169], v[168:169], 1.0
	s_delay_alu instid0(VALU_DEP_1) | instskip(SKIP_2) | instid1(VALU_DEP_1)
	v_rcp_f64_e32 v[187:188], v[170:171]
	s_waitcnt_depctr 0xfff
	v_fma_f64 v[189:190], -v[170:171], v[187:188], 1.0
	v_fma_f64 v[187:188], v[187:188], v[189:190], v[187:188]
	s_delay_alu instid0(VALU_DEP_1) | instskip(NEXT) | instid1(VALU_DEP_1)
	v_fma_f64 v[189:190], -v[170:171], v[187:188], 1.0
	v_fma_f64 v[187:188], v[187:188], v[189:190], v[187:188]
	v_div_scale_f64 v[189:190], vcc_lo, 1.0, v[168:169], 1.0
	s_delay_alu instid0(VALU_DEP_1) | instskip(NEXT) | instid1(VALU_DEP_1)
	v_mul_f64 v[191:192], v[189:190], v[187:188]
	v_fma_f64 v[170:171], -v[170:171], v[191:192], v[189:190]
	s_delay_alu instid0(VALU_DEP_1) | instskip(NEXT) | instid1(VALU_DEP_1)
	v_div_fmas_f64 v[170:171], v[170:171], v[187:188], v[191:192]
	v_div_fixup_f64 v[170:171], v[170:171], v[168:169], 1.0
	s_delay_alu instid0(VALU_DEP_1)
	v_mul_f64 v[168:169], v[185:186], v[170:171]
	v_xor_b32_e32 v171, 0x80000000, v171
.LBB82_847:
	s_and_not1_saveexec_b32 s2, s2
	s_cbranch_execz .LBB82_849
; %bb.848:
	s_delay_alu instid0(VALU_DEP_1) | instskip(SKIP_1) | instid1(VALU_DEP_2)
	v_div_scale_f64 v[185:186], null, v[168:169], v[168:169], v[170:171]
	v_div_scale_f64 v[191:192], vcc_lo, v[170:171], v[168:169], v[170:171]
	v_rcp_f64_e32 v[187:188], v[185:186]
	s_waitcnt_depctr 0xfff
	v_fma_f64 v[189:190], -v[185:186], v[187:188], 1.0
	s_delay_alu instid0(VALU_DEP_1) | instskip(NEXT) | instid1(VALU_DEP_1)
	v_fma_f64 v[187:188], v[187:188], v[189:190], v[187:188]
	v_fma_f64 v[189:190], -v[185:186], v[187:188], 1.0
	s_delay_alu instid0(VALU_DEP_1) | instskip(NEXT) | instid1(VALU_DEP_1)
	v_fma_f64 v[187:188], v[187:188], v[189:190], v[187:188]
	v_mul_f64 v[189:190], v[191:192], v[187:188]
	s_delay_alu instid0(VALU_DEP_1) | instskip(NEXT) | instid1(VALU_DEP_1)
	v_fma_f64 v[185:186], -v[185:186], v[189:190], v[191:192]
	v_div_fmas_f64 v[185:186], v[185:186], v[187:188], v[189:190]
	s_delay_alu instid0(VALU_DEP_1) | instskip(NEXT) | instid1(VALU_DEP_1)
	v_div_fixup_f64 v[185:186], v[185:186], v[168:169], v[170:171]
	v_fma_f64 v[168:169], v[170:171], v[185:186], v[168:169]
	s_delay_alu instid0(VALU_DEP_1) | instskip(NEXT) | instid1(VALU_DEP_1)
	v_div_scale_f64 v[170:171], null, v[168:169], v[168:169], 1.0
	v_rcp_f64_e32 v[187:188], v[170:171]
	s_waitcnt_depctr 0xfff
	v_fma_f64 v[189:190], -v[170:171], v[187:188], 1.0
	s_delay_alu instid0(VALU_DEP_1) | instskip(NEXT) | instid1(VALU_DEP_1)
	v_fma_f64 v[187:188], v[187:188], v[189:190], v[187:188]
	v_fma_f64 v[189:190], -v[170:171], v[187:188], 1.0
	s_delay_alu instid0(VALU_DEP_1) | instskip(SKIP_1) | instid1(VALU_DEP_1)
	v_fma_f64 v[187:188], v[187:188], v[189:190], v[187:188]
	v_div_scale_f64 v[189:190], vcc_lo, 1.0, v[168:169], 1.0
	v_mul_f64 v[191:192], v[189:190], v[187:188]
	s_delay_alu instid0(VALU_DEP_1) | instskip(NEXT) | instid1(VALU_DEP_1)
	v_fma_f64 v[170:171], -v[170:171], v[191:192], v[189:190]
	v_div_fmas_f64 v[170:171], v[170:171], v[187:188], v[191:192]
	s_delay_alu instid0(VALU_DEP_1) | instskip(NEXT) | instid1(VALU_DEP_1)
	v_div_fixup_f64 v[168:169], v[170:171], v[168:169], 1.0
	v_mul_f64 v[170:171], v[185:186], -v[168:169]
.LBB82_849:
	s_or_b32 exec_lo, exec_lo, s2
.LBB82_850:
	s_delay_alu instid0(SALU_CYCLE_1) | instskip(NEXT) | instid1(SALU_CYCLE_1)
	s_or_b32 exec_lo, exec_lo, s3
	s_mov_b32 s2, exec_lo
	v_cmpx_ne_u32_e64 v184, v176
	s_xor_b32 s2, exec_lo, s2
	s_cbranch_execz .LBB82_856
; %bb.851:
	s_mov_b32 s3, exec_lo
	v_cmpx_eq_u32_e32 40, v184
	s_cbranch_execz .LBB82_855
; %bb.852:
	v_cmp_ne_u32_e32 vcc_lo, 40, v176
	s_xor_b32 s6, s4, -1
	s_delay_alu instid0(SALU_CYCLE_1) | instskip(NEXT) | instid1(SALU_CYCLE_1)
	s_and_b32 s7, s6, vcc_lo
	s_and_saveexec_b32 s6, s7
	s_cbranch_execz .LBB82_854
; %bb.853:
	v_ashrrev_i32_e32 v177, 31, v176
	s_delay_alu instid0(VALU_DEP_1) | instskip(NEXT) | instid1(VALU_DEP_1)
	v_lshlrev_b64 v[184:185], 2, v[176:177]
	v_add_co_u32 v184, vcc_lo, v174, v184
	s_delay_alu instid0(VALU_DEP_2)
	v_add_co_ci_u32_e32 v185, vcc_lo, v175, v185, vcc_lo
	s_clause 0x1
	flat_load_b32 v177, v[184:185]
	flat_load_b32 v181, v[174:175] offset:160
	s_waitcnt vmcnt(1) lgkmcnt(1)
	flat_store_b32 v[174:175], v177 offset:160
	s_waitcnt vmcnt(0) lgkmcnt(1)
	flat_store_b32 v[184:185], v181
.LBB82_854:
	s_or_b32 exec_lo, exec_lo, s6
	v_mov_b32_e32 v184, v176
	v_mov_b32_e32 v181, v176
.LBB82_855:
	s_or_b32 exec_lo, exec_lo, s3
.LBB82_856:
	s_and_not1_saveexec_b32 s2, s2
	s_cbranch_execz .LBB82_858
; %bb.857:
	v_mov_b32_e32 v184, 40
	ds_store_2addr_b64 v178, v[0:1], v[2:3] offset0:82 offset1:83
.LBB82_858:
	s_or_b32 exec_lo, exec_lo, s2
	s_delay_alu instid0(SALU_CYCLE_1)
	s_mov_b32 s2, exec_lo
	s_waitcnt lgkmcnt(0)
	s_waitcnt_vscnt null, 0x0
	s_barrier
	buffer_gl0_inv
	v_cmpx_lt_i32_e32 40, v184
	s_cbranch_execz .LBB82_860
; %bb.859:
	v_mul_f64 v[176:177], v[168:169], v[6:7]
	v_mul_f64 v[6:7], v[170:171], v[6:7]
	ds_load_2addr_b64 v[185:188], v178 offset0:82 offset1:83
	v_fma_f64 v[170:171], v[170:171], v[4:5], v[176:177]
	v_fma_f64 v[4:5], v[168:169], v[4:5], -v[6:7]
	s_waitcnt lgkmcnt(0)
	s_delay_alu instid0(VALU_DEP_2) | instskip(SKIP_1) | instid1(VALU_DEP_2)
	v_mul_f64 v[6:7], v[187:188], v[170:171]
	v_mul_f64 v[168:169], v[185:186], v[170:171]
	v_fma_f64 v[6:7], v[185:186], v[4:5], -v[6:7]
	s_delay_alu instid0(VALU_DEP_2) | instskip(NEXT) | instid1(VALU_DEP_2)
	v_fma_f64 v[168:169], v[187:188], v[4:5], v[168:169]
	v_add_f64 v[0:1], v[0:1], -v[6:7]
	s_delay_alu instid0(VALU_DEP_2)
	v_add_f64 v[2:3], v[2:3], -v[168:169]
	v_dual_mov_b32 v6, v170 :: v_dual_mov_b32 v7, v171
.LBB82_860:
	s_or_b32 exec_lo, exec_lo, s2
	v_lshl_add_u32 v168, v184, 4, v178
	s_barrier
	buffer_gl0_inv
	v_mov_b32_e32 v176, 41
	ds_store_2addr_b64 v168, v[0:1], v[2:3] offset1:1
	s_waitcnt lgkmcnt(0)
	s_barrier
	buffer_gl0_inv
	ds_load_2addr_b64 v[168:171], v178 offset0:82 offset1:83
	s_cmp_lt_i32 s5, 43
	s_cbranch_scc1 .LBB82_863
; %bb.861:
	v_add3_u32 v177, v183, 0, 0x2a0
	v_mov_b32_e32 v176, 41
	s_mov_b32 s6, 42
	s_set_inst_prefetch_distance 0x1
	.p2align	6
.LBB82_862:                             ; =>This Inner Loop Header: Depth=1
	ds_load_2addr_b64 v[185:188], v177 offset1:1
	s_waitcnt lgkmcnt(1)
	v_cmp_gt_f64_e32 vcc_lo, 0, v[168:169]
	v_xor_b32_e32 v178, 0x80000000, v169
	v_cmp_gt_f64_e64 s2, 0, v[170:171]
	v_xor_b32_e32 v183, 0x80000000, v171
	v_add_nc_u32_e32 v177, 16, v177
	s_waitcnt lgkmcnt(0)
	v_cmp_gt_f64_e64 s3, 0, v[185:186]
	v_mov_b32_e32 v193, v185
	v_dual_mov_b32 v195, v187 :: v_dual_cndmask_b32 v190, v169, v178
	v_xor_b32_e32 v178, 0x80000000, v186
	v_cndmask_b32_e64 v192, v171, v183, s2
	v_xor_b32_e32 v183, 0x80000000, v188
	v_cndmask_b32_e32 v189, v168, v168, vcc_lo
	v_cndmask_b32_e64 v191, v170, v170, s2
	s_delay_alu instid0(VALU_DEP_1) | instskip(SKIP_2) | instid1(VALU_DEP_1)
	v_add_f64 v[189:190], v[189:190], v[191:192]
	v_cndmask_b32_e64 v194, v186, v178, s3
	v_cmp_gt_f64_e64 s3, 0, v[187:188]
	v_cndmask_b32_e64 v196, v188, v183, s3
	s_delay_alu instid0(VALU_DEP_1) | instskip(NEXT) | instid1(VALU_DEP_1)
	v_add_f64 v[193:194], v[193:194], v[195:196]
	v_cmp_lt_f64_e32 vcc_lo, v[189:190], v[193:194]
	v_dual_cndmask_b32 v170, v170, v187 :: v_dual_cndmask_b32 v169, v169, v186
	v_dual_cndmask_b32 v168, v168, v185 :: v_dual_cndmask_b32 v171, v171, v188
	v_cndmask_b32_e64 v176, v176, s6, vcc_lo
	s_add_i32 s6, s6, 1
	s_delay_alu instid0(SALU_CYCLE_1)
	s_cmp_lg_u32 s5, s6
	s_cbranch_scc1 .LBB82_862
.LBB82_863:
	s_set_inst_prefetch_distance 0x2
	s_waitcnt lgkmcnt(0)
	v_cmp_eq_f64_e32 vcc_lo, 0, v[168:169]
	v_cmp_eq_f64_e64 s2, 0, v[170:171]
	s_delay_alu instid0(VALU_DEP_1) | instskip(NEXT) | instid1(SALU_CYCLE_1)
	s_and_b32 s2, vcc_lo, s2
	s_and_saveexec_b32 s3, s2
	s_delay_alu instid0(SALU_CYCLE_1)
	s_xor_b32 s2, exec_lo, s3
; %bb.864:
	v_cmp_ne_u32_e32 vcc_lo, 0, v182
	v_cndmask_b32_e32 v182, 42, v182, vcc_lo
; %bb.865:
	s_and_not1_saveexec_b32 s3, s2
	s_cbranch_execz .LBB82_871
; %bb.866:
	v_cmp_gt_f64_e32 vcc_lo, 0, v[168:169]
	v_cmp_gt_f64_e64 s2, 0, v[170:171]
	v_xor_b32_e32 v177, 0x80000000, v169
	v_xor_b32_e32 v183, 0x80000000, v171
	s_delay_alu instid0(VALU_DEP_2) | instskip(NEXT) | instid1(VALU_DEP_2)
	v_dual_cndmask_b32 v178, v169, v177 :: v_dual_cndmask_b32 v177, v168, v168
	v_cndmask_b32_e64 v186, v171, v183, s2
	v_cndmask_b32_e64 v185, v170, v170, s2
	s_mov_b32 s2, exec_lo
	s_delay_alu instid0(VALU_DEP_1)
	v_cmpx_ngt_f64_e32 v[177:178], v[185:186]
	s_xor_b32 s2, exec_lo, s2
	s_cbranch_execz .LBB82_868
; %bb.867:
	v_div_scale_f64 v[177:178], null, v[170:171], v[170:171], v[168:169]
	v_div_scale_f64 v[189:190], vcc_lo, v[168:169], v[170:171], v[168:169]
	s_delay_alu instid0(VALU_DEP_2) | instskip(SKIP_2) | instid1(VALU_DEP_1)
	v_rcp_f64_e32 v[185:186], v[177:178]
	s_waitcnt_depctr 0xfff
	v_fma_f64 v[187:188], -v[177:178], v[185:186], 1.0
	v_fma_f64 v[185:186], v[185:186], v[187:188], v[185:186]
	s_delay_alu instid0(VALU_DEP_1) | instskip(NEXT) | instid1(VALU_DEP_1)
	v_fma_f64 v[187:188], -v[177:178], v[185:186], 1.0
	v_fma_f64 v[185:186], v[185:186], v[187:188], v[185:186]
	s_delay_alu instid0(VALU_DEP_1) | instskip(NEXT) | instid1(VALU_DEP_1)
	v_mul_f64 v[187:188], v[189:190], v[185:186]
	v_fma_f64 v[177:178], -v[177:178], v[187:188], v[189:190]
	s_delay_alu instid0(VALU_DEP_1) | instskip(NEXT) | instid1(VALU_DEP_1)
	v_div_fmas_f64 v[177:178], v[177:178], v[185:186], v[187:188]
	v_div_fixup_f64 v[177:178], v[177:178], v[170:171], v[168:169]
	s_delay_alu instid0(VALU_DEP_1) | instskip(NEXT) | instid1(VALU_DEP_1)
	v_fma_f64 v[168:169], v[168:169], v[177:178], v[170:171]
	v_div_scale_f64 v[170:171], null, v[168:169], v[168:169], 1.0
	s_delay_alu instid0(VALU_DEP_1) | instskip(SKIP_2) | instid1(VALU_DEP_1)
	v_rcp_f64_e32 v[185:186], v[170:171]
	s_waitcnt_depctr 0xfff
	v_fma_f64 v[187:188], -v[170:171], v[185:186], 1.0
	v_fma_f64 v[185:186], v[185:186], v[187:188], v[185:186]
	s_delay_alu instid0(VALU_DEP_1) | instskip(NEXT) | instid1(VALU_DEP_1)
	v_fma_f64 v[187:188], -v[170:171], v[185:186], 1.0
	v_fma_f64 v[185:186], v[185:186], v[187:188], v[185:186]
	v_div_scale_f64 v[187:188], vcc_lo, 1.0, v[168:169], 1.0
	s_delay_alu instid0(VALU_DEP_1) | instskip(NEXT) | instid1(VALU_DEP_1)
	v_mul_f64 v[189:190], v[187:188], v[185:186]
	v_fma_f64 v[170:171], -v[170:171], v[189:190], v[187:188]
	s_delay_alu instid0(VALU_DEP_1) | instskip(NEXT) | instid1(VALU_DEP_1)
	v_div_fmas_f64 v[170:171], v[170:171], v[185:186], v[189:190]
	v_div_fixup_f64 v[170:171], v[170:171], v[168:169], 1.0
	s_delay_alu instid0(VALU_DEP_1)
	v_mul_f64 v[168:169], v[177:178], v[170:171]
	v_xor_b32_e32 v171, 0x80000000, v171
.LBB82_868:
	s_and_not1_saveexec_b32 s2, s2
	s_cbranch_execz .LBB82_870
; %bb.869:
	s_delay_alu instid0(VALU_DEP_1) | instskip(SKIP_1) | instid1(VALU_DEP_2)
	v_div_scale_f64 v[177:178], null, v[168:169], v[168:169], v[170:171]
	v_div_scale_f64 v[189:190], vcc_lo, v[170:171], v[168:169], v[170:171]
	v_rcp_f64_e32 v[185:186], v[177:178]
	s_waitcnt_depctr 0xfff
	v_fma_f64 v[187:188], -v[177:178], v[185:186], 1.0
	s_delay_alu instid0(VALU_DEP_1) | instskip(NEXT) | instid1(VALU_DEP_1)
	v_fma_f64 v[185:186], v[185:186], v[187:188], v[185:186]
	v_fma_f64 v[187:188], -v[177:178], v[185:186], 1.0
	s_delay_alu instid0(VALU_DEP_1) | instskip(NEXT) | instid1(VALU_DEP_1)
	v_fma_f64 v[185:186], v[185:186], v[187:188], v[185:186]
	v_mul_f64 v[187:188], v[189:190], v[185:186]
	s_delay_alu instid0(VALU_DEP_1) | instskip(NEXT) | instid1(VALU_DEP_1)
	v_fma_f64 v[177:178], -v[177:178], v[187:188], v[189:190]
	v_div_fmas_f64 v[177:178], v[177:178], v[185:186], v[187:188]
	s_delay_alu instid0(VALU_DEP_1) | instskip(NEXT) | instid1(VALU_DEP_1)
	v_div_fixup_f64 v[177:178], v[177:178], v[168:169], v[170:171]
	v_fma_f64 v[168:169], v[170:171], v[177:178], v[168:169]
	s_delay_alu instid0(VALU_DEP_1) | instskip(NEXT) | instid1(VALU_DEP_1)
	v_div_scale_f64 v[170:171], null, v[168:169], v[168:169], 1.0
	v_rcp_f64_e32 v[185:186], v[170:171]
	s_waitcnt_depctr 0xfff
	v_fma_f64 v[187:188], -v[170:171], v[185:186], 1.0
	s_delay_alu instid0(VALU_DEP_1) | instskip(NEXT) | instid1(VALU_DEP_1)
	v_fma_f64 v[185:186], v[185:186], v[187:188], v[185:186]
	v_fma_f64 v[187:188], -v[170:171], v[185:186], 1.0
	s_delay_alu instid0(VALU_DEP_1) | instskip(SKIP_1) | instid1(VALU_DEP_1)
	v_fma_f64 v[185:186], v[185:186], v[187:188], v[185:186]
	v_div_scale_f64 v[187:188], vcc_lo, 1.0, v[168:169], 1.0
	v_mul_f64 v[189:190], v[187:188], v[185:186]
	s_delay_alu instid0(VALU_DEP_1) | instskip(NEXT) | instid1(VALU_DEP_1)
	v_fma_f64 v[170:171], -v[170:171], v[189:190], v[187:188]
	v_div_fmas_f64 v[170:171], v[170:171], v[185:186], v[189:190]
	s_delay_alu instid0(VALU_DEP_1) | instskip(NEXT) | instid1(VALU_DEP_1)
	v_div_fixup_f64 v[168:169], v[170:171], v[168:169], 1.0
	v_mul_f64 v[170:171], v[177:178], -v[168:169]
.LBB82_870:
	s_or_b32 exec_lo, exec_lo, s2
.LBB82_871:
	s_delay_alu instid0(SALU_CYCLE_1)
	s_or_b32 exec_lo, exec_lo, s3
	v_mov_b32_e32 v177, 41
	s_mov_b32 s2, exec_lo
	v_cmpx_ne_u32_e64 v184, v176
	s_cbranch_execz .LBB82_877
; %bb.872:
	s_mov_b32 s3, exec_lo
	v_cmpx_eq_u32_e32 41, v184
	s_cbranch_execz .LBB82_876
; %bb.873:
	v_cmp_ne_u32_e32 vcc_lo, 41, v176
	s_xor_b32 s4, s4, -1
	s_delay_alu instid0(SALU_CYCLE_1) | instskip(NEXT) | instid1(SALU_CYCLE_1)
	s_and_b32 s5, s4, vcc_lo
	s_and_saveexec_b32 s4, s5
	s_cbranch_execz .LBB82_875
; %bb.874:
	v_ashrrev_i32_e32 v177, 31, v176
	s_delay_alu instid0(VALU_DEP_1) | instskip(NEXT) | instid1(VALU_DEP_1)
	v_lshlrev_b64 v[177:178], 2, v[176:177]
	v_add_co_u32 v177, vcc_lo, v174, v177
	s_delay_alu instid0(VALU_DEP_2)
	v_add_co_ci_u32_e32 v178, vcc_lo, v175, v178, vcc_lo
	s_clause 0x1
	flat_load_b32 v181, v[177:178]
	flat_load_b32 v183, v[174:175] offset:164
	s_waitcnt vmcnt(1) lgkmcnt(1)
	flat_store_b32 v[174:175], v181 offset:164
	s_waitcnt vmcnt(0) lgkmcnt(1)
	flat_store_b32 v[177:178], v183
.LBB82_875:
	s_or_b32 exec_lo, exec_lo, s4
	v_mov_b32_e32 v184, v176
	v_mov_b32_e32 v181, v176
.LBB82_876:
	s_or_b32 exec_lo, exec_lo, s3
	s_delay_alu instid0(VALU_DEP_2)
	v_mov_b32_e32 v177, v184
.LBB82_877:
	s_or_b32 exec_lo, exec_lo, s2
	s_delay_alu instid0(SALU_CYCLE_1)
	s_mov_b32 s2, exec_lo
	s_waitcnt lgkmcnt(0)
	s_waitcnt_vscnt null, 0x0
	s_barrier
	buffer_gl0_inv
	v_cmpx_lt_i32_e32 41, v177
; %bb.878:
	v_mul_f64 v[174:175], v[170:171], v[2:3]
	v_mul_f64 v[2:3], v[168:169], v[2:3]
	s_delay_alu instid0(VALU_DEP_2) | instskip(NEXT) | instid1(VALU_DEP_2)
	v_fma_f64 v[168:169], v[168:169], v[0:1], -v[174:175]
	v_fma_f64 v[2:3], v[170:171], v[0:1], v[2:3]
	s_delay_alu instid0(VALU_DEP_2)
	v_dual_mov_b32 v0, v168 :: v_dual_mov_b32 v1, v169
; %bb.879:
	s_or_b32 exec_lo, exec_lo, s2
	s_load_b256 s[0:7], s[0:1], 0x28
	v_ashrrev_i32_e32 v178, 31, v177
	s_mov_b32 s9, exec_lo
	s_waitcnt lgkmcnt(0)
	s_barrier
	buffer_gl0_inv
	v_cmpx_gt_i32_e32 42, v177
	s_cbranch_execz .LBB82_881
; %bb.880:
	v_mul_lo_u32 v170, v173, s4
	v_mul_lo_u32 v171, v172, s5
	v_mad_u64_u32 v[168:169], null, v172, s4, 0
	s_lshl_b64 s[2:3], s[2:3], 2
	s_delay_alu instid0(SALU_CYCLE_1) | instskip(SKIP_1) | instid1(VALU_DEP_1)
	s_add_u32 s0, s2, s0
	s_addc_u32 s1, s3, s1
	v_add3_u32 v169, v169, v171, v170
	v_lshlrev_b64 v[170:171], 2, v[177:178]
	s_delay_alu instid0(VALU_DEP_2) | instskip(NEXT) | instid1(VALU_DEP_1)
	v_lshlrev_b64 v[168:169], 2, v[168:169]
	v_add_co_u32 v168, vcc_lo, s0, v168
	s_delay_alu instid0(VALU_DEP_2) | instskip(NEXT) | instid1(VALU_DEP_2)
	v_add_co_ci_u32_e32 v169, vcc_lo, s1, v169, vcc_lo
	v_add_co_u32 v168, vcc_lo, v168, v170
	s_delay_alu instid0(VALU_DEP_2)
	v_add_co_ci_u32_e32 v169, vcc_lo, v169, v171, vcc_lo
	v_add3_u32 v170, v181, s13, 1
	global_store_b32 v[168:169], v170, off
.LBB82_881:
	s_or_b32 exec_lo, exec_lo, s9
	s_delay_alu instid0(SALU_CYCLE_1)
	s_mov_b32 s1, exec_lo
	v_cmpx_eq_u32_e32 0, v177
	s_cbranch_execz .LBB82_884
; %bb.882:
	v_lshlrev_b64 v[168:169], 2, v[172:173]
	v_cmp_lt_i32_e64 s0, 0, v182
	s_delay_alu instid0(VALU_DEP_2) | instskip(NEXT) | instid1(VALU_DEP_3)
	v_add_co_u32 v168, vcc_lo, s6, v168
	v_add_co_ci_u32_e32 v169, vcc_lo, s7, v169, vcc_lo
	global_load_b32 v170, v[168:169], off
	s_waitcnt vmcnt(0)
	v_cmp_eq_u32_e32 vcc_lo, 0, v170
	s_and_b32 s0, vcc_lo, s0
	s_delay_alu instid0(SALU_CYCLE_1)
	s_and_b32 exec_lo, exec_lo, s0
	s_cbranch_execz .LBB82_884
; %bb.883:
	v_add_nc_u32_e32 v170, s13, v182
	global_store_b32 v[168:169], v170, off
.LBB82_884:
	s_or_b32 exec_lo, exec_lo, s1
	v_add3_u32 v168, s8, s8, v177
	v_lshlrev_b64 v[170:171], 4, v[177:178]
	s_delay_alu instid0(VALU_DEP_2) | instskip(SKIP_1) | instid1(VALU_DEP_3)
	v_add_nc_u32_e32 v172, s8, v168
	v_ashrrev_i32_e32 v169, 31, v168
	v_add_co_u32 v170, vcc_lo, v179, v170
	s_delay_alu instid0(VALU_DEP_4) | instskip(NEXT) | instid1(VALU_DEP_4)
	v_add_co_ci_u32_e32 v171, vcc_lo, v180, v171, vcc_lo
	v_add_nc_u32_e32 v176, s8, v172
	s_delay_alu instid0(VALU_DEP_3) | instskip(SKIP_1) | instid1(VALU_DEP_4)
	v_add_co_u32 v174, vcc_lo, v170, s10
	v_ashrrev_i32_e32 v173, 31, v172
	v_add_co_ci_u32_e32 v175, vcc_lo, s11, v171, vcc_lo
	v_lshlrev_b64 v[168:169], 4, v[168:169]
	v_ashrrev_i32_e32 v177, 31, v176
	s_clause 0x1
	global_store_b128 v[170:171], v[160:163], off
	global_store_b128 v[174:175], v[164:167], off
	v_lshlrev_b64 v[160:161], 4, v[172:173]
	v_add_nc_u32_e32 v166, s8, v176
	v_add_co_u32 v162, vcc_lo, v179, v168
	v_lshlrev_b64 v[164:165], 4, v[176:177]
	v_add_co_ci_u32_e32 v163, vcc_lo, v180, v169, vcc_lo
	v_add_co_u32 v160, vcc_lo, v179, v160
	v_add_co_ci_u32_e32 v161, vcc_lo, v180, v161, vcc_lo
	s_delay_alu instid0(VALU_DEP_4)
	v_add_co_u32 v164, vcc_lo, v179, v164
	v_add_nc_u32_e32 v168, s8, v166
	v_add_co_ci_u32_e32 v165, vcc_lo, v180, v165, vcc_lo
	v_ashrrev_i32_e32 v167, 31, v166
	global_store_b128 v[162:163], v[156:159], off
	v_ashrrev_i32_e32 v169, 31, v168
	s_clause 0x1
	global_store_b128 v[160:161], v[152:155], off
	global_store_b128 v[164:165], v[148:151], off
	v_add_nc_u32_e32 v150, s8, v168
	v_lshlrev_b64 v[156:157], 4, v[166:167]
	v_lshlrev_b64 v[148:149], 4, v[168:169]
	s_delay_alu instid0(VALU_DEP_3) | instskip(SKIP_1) | instid1(VALU_DEP_4)
	v_add_nc_u32_e32 v154, s8, v150
	v_ashrrev_i32_e32 v151, 31, v150
	v_add_co_u32 v152, vcc_lo, v179, v156
	v_add_co_ci_u32_e32 v153, vcc_lo, v180, v157, vcc_lo
	s_delay_alu instid0(VALU_DEP_4)
	v_add_nc_u32_e32 v156, s8, v154
	v_add_co_u32 v148, vcc_lo, v179, v148
	v_ashrrev_i32_e32 v155, 31, v154
	v_add_co_ci_u32_e32 v149, vcc_lo, v180, v149, vcc_lo
	v_lshlrev_b64 v[150:151], 4, v[150:151]
	v_ashrrev_i32_e32 v157, 31, v156
	s_clause 0x1
	global_store_b128 v[152:153], v[144:147], off
	global_store_b128 v[148:149], v[140:143], off
	v_lshlrev_b64 v[140:141], 4, v[154:155]
	v_add_nc_u32_e32 v146, s8, v156
	v_add_co_u32 v142, vcc_lo, v179, v150
	v_lshlrev_b64 v[144:145], 4, v[156:157]
	v_add_co_ci_u32_e32 v143, vcc_lo, v180, v151, vcc_lo
	v_add_co_u32 v140, vcc_lo, v179, v140
	v_add_co_ci_u32_e32 v141, vcc_lo, v180, v141, vcc_lo
	s_delay_alu instid0(VALU_DEP_4)
	v_add_co_u32 v144, vcc_lo, v179, v144
	v_add_nc_u32_e32 v148, s8, v146
	v_add_co_ci_u32_e32 v145, vcc_lo, v180, v145, vcc_lo
	v_ashrrev_i32_e32 v147, 31, v146
	global_store_b128 v[142:143], v[136:139], off
	v_ashrrev_i32_e32 v149, 31, v148
	s_clause 0x1
	global_store_b128 v[140:141], v[132:135], off
	global_store_b128 v[144:145], v[128:131], off
	v_add_nc_u32_e32 v130, s8, v148
	v_lshlrev_b64 v[136:137], 4, v[146:147]
	v_lshlrev_b64 v[128:129], 4, v[148:149]
	s_delay_alu instid0(VALU_DEP_3) | instskip(SKIP_1) | instid1(VALU_DEP_4)
	v_add_nc_u32_e32 v134, s8, v130
	v_ashrrev_i32_e32 v131, 31, v130
	v_add_co_u32 v132, vcc_lo, v179, v136
	v_add_co_ci_u32_e32 v133, vcc_lo, v180, v137, vcc_lo
	s_delay_alu instid0(VALU_DEP_4)
	v_add_nc_u32_e32 v136, s8, v134
	;; [unrolled: 35-line block ×6, first 2 shown]
	v_add_co_u32 v48, vcc_lo, v179, v48
	v_ashrrev_i32_e32 v55, 31, v54
	v_add_co_ci_u32_e32 v49, vcc_lo, v180, v49, vcc_lo
	v_lshlrev_b64 v[50:51], 4, v[50:51]
	v_ashrrev_i32_e32 v57, 31, v56
	s_clause 0x1
	global_store_b128 v[52:53], v[44:47], off
	global_store_b128 v[48:49], v[40:43], off
	v_lshlrev_b64 v[40:41], 4, v[54:55]
	v_add_nc_u32_e32 v46, s8, v56
	v_add_co_u32 v42, vcc_lo, v179, v50
	v_lshlrev_b64 v[44:45], 4, v[56:57]
	v_add_co_ci_u32_e32 v43, vcc_lo, v180, v51, vcc_lo
	v_add_co_u32 v40, vcc_lo, v179, v40
	v_add_nc_u32_e32 v48, s8, v46
	v_add_co_ci_u32_e32 v41, vcc_lo, v180, v41, vcc_lo
	v_ashrrev_i32_e32 v47, 31, v46
	v_add_co_u32 v44, vcc_lo, v179, v44
	v_add_co_ci_u32_e32 v45, vcc_lo, v180, v45, vcc_lo
	v_ashrrev_i32_e32 v49, 31, v48
	global_store_b128 v[42:43], v[36:39], off
	v_lshlrev_b64 v[36:37], 4, v[46:47]
	s_clause 0x1
	global_store_b128 v[40:41], v[32:35], off
	global_store_b128 v[44:45], v[28:31], off
	v_add_nc_u32_e32 v30, s8, v48
	v_lshlrev_b64 v[28:29], 4, v[48:49]
	v_add_co_u32 v32, vcc_lo, v179, v36
	s_delay_alu instid0(VALU_DEP_3) | instskip(SKIP_1) | instid1(VALU_DEP_4)
	v_add_nc_u32_e32 v34, s8, v30
	v_add_co_ci_u32_e32 v33, vcc_lo, v180, v37, vcc_lo
	v_add_co_u32 v28, vcc_lo, v179, v28
	v_add_co_ci_u32_e32 v29, vcc_lo, v180, v29, vcc_lo
	s_delay_alu instid0(VALU_DEP_4)
	v_add_nc_u32_e32 v36, s8, v34
	v_ashrrev_i32_e32 v31, 31, v30
	s_clause 0x1
	global_store_b128 v[32:33], v[24:27], off
	global_store_b128 v[28:29], v[20:23], off
	v_ashrrev_i32_e32 v35, 31, v34
	v_add_nc_u32_e32 v22, s8, v36
	v_lshlrev_b64 v[24:25], 4, v[30:31]
	v_ashrrev_i32_e32 v37, 31, v36
	s_delay_alu instid0(VALU_DEP_4) | instskip(NEXT) | instid1(VALU_DEP_4)
	v_lshlrev_b64 v[20:21], 4, v[34:35]
	v_add_nc_u32_e32 v28, s8, v22
	v_ashrrev_i32_e32 v23, 31, v22
	v_add_co_u32 v24, vcc_lo, v179, v24
	v_lshlrev_b64 v[26:27], 4, v[36:37]
	s_delay_alu instid0(VALU_DEP_4)
	v_ashrrev_i32_e32 v29, 31, v28
	v_add_co_ci_u32_e32 v25, vcc_lo, v180, v25, vcc_lo
	v_add_co_u32 v20, vcc_lo, v179, v20
	v_lshlrev_b64 v[22:23], 4, v[22:23]
	v_add_co_ci_u32_e32 v21, vcc_lo, v180, v21, vcc_lo
	v_add_co_u32 v26, vcc_lo, v179, v26
	v_lshlrev_b64 v[28:29], 4, v[28:29]
	v_add_co_ci_u32_e32 v27, vcc_lo, v180, v27, vcc_lo
	v_add_co_u32 v22, vcc_lo, v179, v22
	v_add_co_ci_u32_e32 v23, vcc_lo, v180, v23, vcc_lo
	s_delay_alu instid0(VALU_DEP_4)
	v_add_co_u32 v28, vcc_lo, v179, v28
	v_add_co_ci_u32_e32 v29, vcc_lo, v180, v29, vcc_lo
	s_clause 0x4
	global_store_b128 v[24:25], v[16:19], off
	global_store_b128 v[20:21], v[12:15], off
	;; [unrolled: 1-line block ×5, first 2 shown]
.LBB82_885:
	s_nop 0
	s_sendmsg sendmsg(MSG_DEALLOC_VGPRS)
	s_endpgm
	.section	.rodata,"a",@progbits
	.p2align	6, 0x0
	.amdhsa_kernel _ZN9rocsolver6v33100L18getf2_small_kernelILi42E19rocblas_complex_numIdEiiPKPS3_EEvT1_T3_lS7_lPS7_llPT2_S7_S7_S9_l
		.amdhsa_group_segment_fixed_size 0
		.amdhsa_private_segment_fixed_size 0
		.amdhsa_kernarg_size 352
		.amdhsa_user_sgpr_count 14
		.amdhsa_user_sgpr_dispatch_ptr 0
		.amdhsa_user_sgpr_queue_ptr 0
		.amdhsa_user_sgpr_kernarg_segment_ptr 1
		.amdhsa_user_sgpr_dispatch_id 0
		.amdhsa_user_sgpr_private_segment_size 0
		.amdhsa_wavefront_size32 1
		.amdhsa_uses_dynamic_stack 0
		.amdhsa_enable_private_segment 0
		.amdhsa_system_sgpr_workgroup_id_x 1
		.amdhsa_system_sgpr_workgroup_id_y 1
		.amdhsa_system_sgpr_workgroup_id_z 0
		.amdhsa_system_sgpr_workgroup_info 0
		.amdhsa_system_vgpr_workitem_id 1
		.amdhsa_next_free_vgpr 251
		.amdhsa_next_free_sgpr 16
		.amdhsa_reserve_vcc 1
		.amdhsa_float_round_mode_32 0
		.amdhsa_float_round_mode_16_64 0
		.amdhsa_float_denorm_mode_32 3
		.amdhsa_float_denorm_mode_16_64 3
		.amdhsa_dx10_clamp 1
		.amdhsa_ieee_mode 1
		.amdhsa_fp16_overflow 0
		.amdhsa_workgroup_processor_mode 1
		.amdhsa_memory_ordered 1
		.amdhsa_forward_progress 0
		.amdhsa_shared_vgpr_count 0
		.amdhsa_exception_fp_ieee_invalid_op 0
		.amdhsa_exception_fp_denorm_src 0
		.amdhsa_exception_fp_ieee_div_zero 0
		.amdhsa_exception_fp_ieee_overflow 0
		.amdhsa_exception_fp_ieee_underflow 0
		.amdhsa_exception_fp_ieee_inexact 0
		.amdhsa_exception_int_div_zero 0
	.end_amdhsa_kernel
	.section	.text._ZN9rocsolver6v33100L18getf2_small_kernelILi42E19rocblas_complex_numIdEiiPKPS3_EEvT1_T3_lS7_lPS7_llPT2_S7_S7_S9_l,"axG",@progbits,_ZN9rocsolver6v33100L18getf2_small_kernelILi42E19rocblas_complex_numIdEiiPKPS3_EEvT1_T3_lS7_lPS7_llPT2_S7_S7_S9_l,comdat
.Lfunc_end82:
	.size	_ZN9rocsolver6v33100L18getf2_small_kernelILi42E19rocblas_complex_numIdEiiPKPS3_EEvT1_T3_lS7_lPS7_llPT2_S7_S7_S9_l, .Lfunc_end82-_ZN9rocsolver6v33100L18getf2_small_kernelILi42E19rocblas_complex_numIdEiiPKPS3_EEvT1_T3_lS7_lPS7_llPT2_S7_S7_S9_l
                                        ; -- End function
	.section	.AMDGPU.csdata,"",@progbits
; Kernel info:
; codeLenInByte = 117460
; NumSgprs: 18
; NumVgprs: 251
; ScratchSize: 0
; MemoryBound: 0
; FloatMode: 240
; IeeeMode: 1
; LDSByteSize: 0 bytes/workgroup (compile time only)
; SGPRBlocks: 2
; VGPRBlocks: 31
; NumSGPRsForWavesPerEU: 18
; NumVGPRsForWavesPerEU: 251
; Occupancy: 5
; WaveLimiterHint : 1
; COMPUTE_PGM_RSRC2:SCRATCH_EN: 0
; COMPUTE_PGM_RSRC2:USER_SGPR: 14
; COMPUTE_PGM_RSRC2:TRAP_HANDLER: 0
; COMPUTE_PGM_RSRC2:TGID_X_EN: 1
; COMPUTE_PGM_RSRC2:TGID_Y_EN: 1
; COMPUTE_PGM_RSRC2:TGID_Z_EN: 0
; COMPUTE_PGM_RSRC2:TIDIG_COMP_CNT: 1
	.section	.text._ZN9rocsolver6v33100L23getf2_npvt_small_kernelILi42E19rocblas_complex_numIdEiiPKPS3_EEvT1_T3_lS7_lPT2_S7_S7_,"axG",@progbits,_ZN9rocsolver6v33100L23getf2_npvt_small_kernelILi42E19rocblas_complex_numIdEiiPKPS3_EEvT1_T3_lS7_lPT2_S7_S7_,comdat
	.globl	_ZN9rocsolver6v33100L23getf2_npvt_small_kernelILi42E19rocblas_complex_numIdEiiPKPS3_EEvT1_T3_lS7_lPT2_S7_S7_ ; -- Begin function _ZN9rocsolver6v33100L23getf2_npvt_small_kernelILi42E19rocblas_complex_numIdEiiPKPS3_EEvT1_T3_lS7_lPT2_S7_S7_
	.p2align	8
	.type	_ZN9rocsolver6v33100L23getf2_npvt_small_kernelILi42E19rocblas_complex_numIdEiiPKPS3_EEvT1_T3_lS7_lPT2_S7_S7_,@function
_ZN9rocsolver6v33100L23getf2_npvt_small_kernelILi42E19rocblas_complex_numIdEiiPKPS3_EEvT1_T3_lS7_lPT2_S7_S7_: ; @_ZN9rocsolver6v33100L23getf2_npvt_small_kernelILi42E19rocblas_complex_numIdEiiPKPS3_EEvT1_T3_lS7_lPT2_S7_S7_
; %bb.0:
	s_clause 0x1
	s_load_b32 s2, s[0:1], 0x44
	s_load_b64 s[10:11], s[0:1], 0x30
	v_bfe_u32 v4, v0, 10, 10
	s_mov_b32 s3, exec_lo
	s_waitcnt lgkmcnt(0)
	s_lshr_b32 s2, s2, 16
	s_delay_alu instid0(VALU_DEP_1) | instid1(SALU_CYCLE_1)
	v_mad_u64_u32 v[2:3], null, s15, s2, v[4:5]
	s_delay_alu instid0(VALU_DEP_1)
	v_mov_b32_e32 v1, v2
	v_cmpx_gt_i32_e64 s10, v2
	s_cbranch_execz .LBB83_383
; %bb.1:
	s_clause 0x1
	s_load_b128 s[4:7], s[0:1], 0x8
	s_load_b32 s8, s[0:1], 0x18
	v_ashrrev_i32_e32 v2, 31, v1
	v_and_b32_e32 v250, 0x3ff, v0
	v_lshlrev_b32_e32 v6, 4, v4
	v_mad_u32_u24 v252, 0x2a0, v4, 0
	s_mulk_i32 s2, 0x2a0
	scratch_store_b64 off, v[1:2], off offset:736 ; 8-byte Folded Spill
	v_lshlrev_b64 v[1:2], 3, v[1:2]
	v_lshlrev_b32_e32 v0, 4, v250
	v_add3_u32 v251, 0, s2, v6
	v_cmp_ne_u32_e64 s3, 0, v250
	v_cmp_eq_u32_e64 s2, 0, v250
	s_waitcnt lgkmcnt(0)
	v_add_co_u32 v1, vcc_lo, s4, v1
	v_add_co_ci_u32_e32 v2, vcc_lo, s5, v2, vcc_lo
	v_add3_u32 v3, s8, s8, v250
	s_lshl_b64 s[4:5], s[6:7], 4
	s_ashr_i32 s9, s8, 31
	global_load_b64 v[1:2], v[1:2], off
	s_lshl_b64 s[6:7], s[8:9], 4
	v_add_nc_u32_e32 v5, s8, v3
	v_ashrrev_i32_e32 v4, 31, v3
	s_delay_alu instid0(VALU_DEP_2) | instskip(SKIP_1) | instid1(VALU_DEP_3)
	v_add_nc_u32_e32 v7, s8, v5
	v_ashrrev_i32_e32 v6, 31, v5
	v_lshlrev_b64 v[3:4], 4, v[3:4]
	s_delay_alu instid0(VALU_DEP_3) | instskip(SKIP_1) | instid1(VALU_DEP_4)
	v_add_nc_u32_e32 v9, s8, v7
	v_ashrrev_i32_e32 v8, 31, v7
	v_lshlrev_b64 v[5:6], 4, v[5:6]
	s_delay_alu instid0(VALU_DEP_3) | instskip(SKIP_1) | instid1(VALU_DEP_4)
	;; [unrolled: 4-line block ×5, first 2 shown]
	v_add_nc_u32_e32 v39, s8, v37
	v_ashrrev_i32_e32 v38, 31, v37
	v_lshlrev_b64 v[47:48], 4, v[30:31]
	s_delay_alu instid0(VALU_DEP_3) | instskip(NEXT) | instid1(VALU_DEP_3)
	v_add_nc_u32_e32 v34, s8, v39
	v_lshlrev_b64 v[49:50], 4, v[37:38]
	v_ashrrev_i32_e32 v40, 31, v39
	s_delay_alu instid0(VALU_DEP_3) | instskip(SKIP_1) | instid1(VALU_DEP_3)
	v_add_nc_u32_e32 v36, s8, v34
	v_ashrrev_i32_e32 v35, 31, v34
	v_lshlrev_b64 v[51:52], 4, v[39:40]
	s_delay_alu instid0(VALU_DEP_3) | instskip(SKIP_1) | instid1(VALU_DEP_4)
	v_add_nc_u32_e32 v32, s8, v36
	v_ashrrev_i32_e32 v37, 31, v36
	v_lshlrev_b64 v[34:35], 4, v[34:35]
	s_delay_alu instid0(VALU_DEP_3) | instskip(SKIP_1) | instid1(VALU_DEP_4)
	;; [unrolled: 4-line block ×6, first 2 shown]
	v_add_nc_u32_e32 v22, s8, v23
	v_ashrrev_i32_e32 v24, 31, v23
	v_lshlrev_b64 v[27:28], 4, v[27:28]
	s_delay_alu instid0(VALU_DEP_3) | instskip(NEXT) | instid1(VALU_DEP_3)
	v_add_nc_u32_e32 v18, s8, v22
	v_lshlrev_b64 v[59:60], 4, v[23:24]
	v_ashrrev_i32_e32 v23, 31, v22
	s_delay_alu instid0(VALU_DEP_3) | instskip(SKIP_1) | instid1(VALU_DEP_3)
	v_add_nc_u32_e32 v20, s8, v18
	v_ashrrev_i32_e32 v19, 31, v18
	v_lshlrev_b64 v[22:23], 4, v[22:23]
	s_delay_alu instid0(VALU_DEP_3) | instskip(SKIP_1) | instid1(VALU_DEP_4)
	v_add_nc_u32_e32 v16, s8, v20
	v_ashrrev_i32_e32 v21, 31, v20
	v_lshlrev_b64 v[18:19], 4, v[18:19]
	s_delay_alu instid0(VALU_DEP_3) | instskip(SKIP_1) | instid1(VALU_DEP_4)
	v_add_nc_u32_e32 v13, s8, v16
	v_ashrrev_i32_e32 v17, 31, v16
	v_lshlrev_b64 v[20:21], 4, v[20:21]
	s_delay_alu instid0(VALU_DEP_3) | instskip(NEXT) | instid1(VALU_DEP_3)
	v_add_nc_u32_e32 v15, s8, v13
	v_lshlrev_b64 v[65:66], 4, v[16:17]
	v_ashrrev_i32_e32 v14, 31, v13
	s_delay_alu instid0(VALU_DEP_3) | instskip(SKIP_1) | instid1(VALU_DEP_3)
	v_add_nc_u32_e32 v41, s8, v15
	v_ashrrev_i32_e32 v16, 31, v15
	v_lshlrev_b64 v[13:14], 4, v[13:14]
	s_delay_alu instid0(VALU_DEP_3) | instskip(SKIP_1) | instid1(VALU_DEP_4)
	v_add_nc_u32_e32 v43, s8, v41
	v_ashrrev_i32_e32 v42, 31, v41
	v_lshlrev_b64 v[15:16], 4, v[15:16]
	s_delay_alu instid0(VALU_DEP_3) | instskip(SKIP_1) | instid1(VALU_DEP_4)
	;; [unrolled: 16-line block ×3, first 2 shown]
	v_add_nc_u32_e32 v55, s8, v40
	v_ashrrev_i32_e32 v41, 31, v40
	v_lshlrev_b64 v[38:39], 4, v[38:39]
	s_delay_alu instid0(VALU_DEP_3) | instskip(SKIP_1) | instid1(VALU_DEP_4)
	v_add_nc_u32_e32 v57, s8, v55
	v_ashrrev_i32_e32 v56, 31, v55
	v_lshlrev_b64 v[40:41], 4, v[40:41]
	s_delay_alu instid0(VALU_DEP_3) | instskip(SKIP_1) | instid1(VALU_DEP_4)
	;; [unrolled: 4-line block ×12, first 2 shown]
	v_add_nc_u32_e32 v85, s8, v83
	v_ashrrev_i32_e32 v84, 31, v83
	v_lshlrev_b64 v[81:82], 4, v[81:82]
	s_delay_alu instid0(VALU_DEP_3) | instskip(NEXT) | instid1(VALU_DEP_3)
	v_ashrrev_i32_e32 v86, 31, v85
	v_lshlrev_b64 v[83:84], 4, v[83:84]
	s_waitcnt vmcnt(0)
	v_add_co_u32 v17, vcc_lo, v1, s4
	v_add_co_ci_u32_e32 v24, vcc_lo, s5, v2, vcc_lo
	v_lshlrev_b64 v[1:2], 4, v[85:86]
	s_delay_alu instid0(VALU_DEP_3) | instskip(NEXT) | instid1(VALU_DEP_3)
	v_add_co_u32 v160, vcc_lo, v17, v0
	v_add_co_ci_u32_e32 v161, vcc_lo, 0, v24, vcc_lo
	v_add_co_u32 v119, vcc_lo, v17, v3
	v_add_co_ci_u32_e32 v120, vcc_lo, v24, v4, vcc_lo
	;; [unrolled: 2-line block ×41, first 2 shown]
	s_clause 0x1
	scratch_store_b64 off, v[119:120], off offset:344
	scratch_store_b64 off, v[160:161], off offset:352
	global_load_b128 v[156:159], v[119:120], off
	scratch_store_b64 off, v[117:118], off offset:336 ; 8-byte Folded Spill
	s_clause 0x1
	global_load_b128 v[152:155], v[117:118], off
	global_load_b128 v[148:151], v[115:116], off
	s_clause 0x3
	scratch_store_b64 off, v[115:116], off offset:328
	scratch_store_b64 off, v[113:114], off offset:320
	scratch_store_b64 off, v[111:112], off offset:312
	scratch_store_b64 off, v[109:110], off offset:304
	s_clause 0x3
	global_load_b128 v[144:147], v[113:114], off
	global_load_b128 v[140:143], v[111:112], off
	global_load_b128 v[136:139], v[109:110], off
	global_load_b128 v[132:135], v[107:108], off
	s_clause 0x3
	scratch_store_b64 off, v[107:108], off offset:296
	scratch_store_b64 off, v[105:106], off offset:288
	scratch_store_b64 off, v[103:104], off offset:280
	scratch_store_b64 off, v[101:102], off offset:272
	s_clause 0x3
	global_load_b128 v[128:131], v[105:106], off
	global_load_b128 v[124:127], v[103:104], off
	;; [unrolled: 10-line block ×4, first 2 shown]
	global_load_b128 v[88:91], v[85:86], off
	s_clause 0x3
	scratch_store_b64 off, v[59:60], off offset:200
	scratch_store_b64 off, v[52:53], off offset:192
	;; [unrolled: 1-line block ×4, first 2 shown]
	s_clause 0x4
	global_load_b128 v[84:87], v[59:60], off
	global_load_b128 v[80:83], v[52:53], off
	;; [unrolled: 1-line block ×5, first 2 shown]
	s_clause 0x3
	scratch_store_b64 off, v[46:47], off offset:168
	scratch_store_b64 off, v[35:36], off offset:160
	scratch_store_b64 off, v[33:34], off offset:152
	scratch_store_b64 off, v[31:32], off offset:144
	s_clause 0x3
	global_load_b128 v[64:67], v[35:36], off
	global_load_b128 v[60:63], v[33:34], off
	global_load_b128 v[56:59], v[31:32], off
	global_load_b128 v[52:55], v[29:30], off
	s_clause 0x3
	scratch_store_b64 off, v[29:30], off offset:136
	scratch_store_b64 off, v[27:28], off offset:128
	scratch_store_b64 off, v[25:26], off offset:120
	scratch_store_b64 off, v[22:23], off offset:112
	s_clause 0x3
	global_load_b128 v[48:51], v[27:28], off
	global_load_b128 v[44:47], v[25:26], off
	global_load_b128 v[40:43], v[22:23], off
	global_load_b128 v[36:39], v[20:21], off
	;; [unrolled: 10-line block ×4, first 2 shown]
	v_add_co_u32 v162, vcc_lo, v160, s6
	v_add_co_ci_u32_e32 v163, vcc_lo, s7, v161, vcc_lo
	s_waitcnt vmcnt(0)
	s_clause 0x1
	scratch_store_b128 off, v[164:167], off offset:16
	scratch_store_b64 off, v[162:163], off offset:360
	global_load_b128 v[160:163], v[162:163], off
	s_waitcnt vmcnt(0)
	s_clause 0x1
	scratch_store_b128 off, v[160:163], off
	scratch_store_b64 off, v[3:4], off offset:40
	global_load_b128 v[4:7], v[3:4], off
	scratch_store_b64 off, v[0:1], off offset:32 ; 8-byte Folded Spill
	global_load_b128 v[0:3], v[0:1], off
	s_and_saveexec_b32 s5, s2
	s_cbranch_execz .LBB83_8
; %bb.2:
	scratch_load_b128 v[160:163], off, off offset:16 ; 16-byte Folded Reload
	s_waitcnt vmcnt(0)
	ds_store_2addr_b64 v251, v[160:161], v[162:163] offset1:1
	scratch_load_b128 v[160:163], off, off  ; 16-byte Folded Reload
	s_waitcnt vmcnt(0)
	ds_store_2addr_b64 v252, v[160:161], v[162:163] offset0:2 offset1:3
	ds_store_2addr_b64 v252, v[156:157], v[158:159] offset0:4 offset1:5
	;; [unrolled: 1-line block ×41, first 2 shown]
	ds_load_2addr_b64 v[168:171], v251 offset1:1
	s_waitcnt lgkmcnt(0)
	v_cmp_neq_f64_e32 vcc_lo, 0, v[168:169]
	v_cmp_neq_f64_e64 s4, 0, v[170:171]
	s_delay_alu instid0(VALU_DEP_1) | instskip(NEXT) | instid1(SALU_CYCLE_1)
	s_or_b32 s4, vcc_lo, s4
	s_and_b32 exec_lo, exec_lo, s4
	s_cbranch_execz .LBB83_8
; %bb.3:
	v_cmp_gt_f64_e32 vcc_lo, 0, v[168:169]
	v_cmp_gt_f64_e64 s4, 0, v[170:171]
	v_xor_b32_e32 v172, 0x80000000, v169
	v_xor_b32_e32 v174, 0x80000000, v171
                                        ; implicit-def: $vgpr176_vgpr177
	s_delay_alu instid0(VALU_DEP_2) | instskip(NEXT) | instid1(VALU_DEP_2)
	v_cndmask_b32_e32 v173, v169, v172, vcc_lo
	v_cndmask_b32_e64 v175, v171, v174, s4
	v_cndmask_b32_e32 v172, v168, v168, vcc_lo
	v_cndmask_b32_e64 v174, v170, v170, s4
	s_mov_b32 s4, exec_lo
	s_delay_alu instid0(VALU_DEP_1)
	v_cmpx_ngt_f64_e32 v[172:173], v[174:175]
	s_xor_b32 s4, exec_lo, s4
                                        ; implicit-def: $vgpr172_vgpr173_vgpr174_vgpr175
	s_cbranch_execz .LBB83_5
; %bb.4:
	v_div_scale_f64 v[172:173], null, v[170:171], v[170:171], v[168:169]
	v_div_scale_f64 v[178:179], vcc_lo, v[168:169], v[170:171], v[168:169]
	s_delay_alu instid0(VALU_DEP_2) | instskip(SKIP_2) | instid1(VALU_DEP_1)
	v_rcp_f64_e32 v[174:175], v[172:173]
	s_waitcnt_depctr 0xfff
	v_fma_f64 v[176:177], -v[172:173], v[174:175], 1.0
	v_fma_f64 v[174:175], v[174:175], v[176:177], v[174:175]
	s_delay_alu instid0(VALU_DEP_1) | instskip(NEXT) | instid1(VALU_DEP_1)
	v_fma_f64 v[176:177], -v[172:173], v[174:175], 1.0
	v_fma_f64 v[174:175], v[174:175], v[176:177], v[174:175]
	s_delay_alu instid0(VALU_DEP_1) | instskip(NEXT) | instid1(VALU_DEP_1)
	v_mul_f64 v[176:177], v[178:179], v[174:175]
	v_fma_f64 v[172:173], -v[172:173], v[176:177], v[178:179]
	s_delay_alu instid0(VALU_DEP_1) | instskip(NEXT) | instid1(VALU_DEP_1)
	v_div_fmas_f64 v[172:173], v[172:173], v[174:175], v[176:177]
	v_div_fixup_f64 v[172:173], v[172:173], v[170:171], v[168:169]
	s_delay_alu instid0(VALU_DEP_1) | instskip(NEXT) | instid1(VALU_DEP_1)
	v_fma_f64 v[168:169], v[168:169], v[172:173], v[170:171]
	v_div_scale_f64 v[170:171], null, v[168:169], v[168:169], 1.0
	s_delay_alu instid0(VALU_DEP_1) | instskip(SKIP_2) | instid1(VALU_DEP_1)
	v_rcp_f64_e32 v[174:175], v[170:171]
	s_waitcnt_depctr 0xfff
	v_fma_f64 v[176:177], -v[170:171], v[174:175], 1.0
	v_fma_f64 v[174:175], v[174:175], v[176:177], v[174:175]
	s_delay_alu instid0(VALU_DEP_1) | instskip(NEXT) | instid1(VALU_DEP_1)
	v_fma_f64 v[176:177], -v[170:171], v[174:175], 1.0
	v_fma_f64 v[174:175], v[174:175], v[176:177], v[174:175]
	v_div_scale_f64 v[176:177], vcc_lo, 1.0, v[168:169], 1.0
	s_delay_alu instid0(VALU_DEP_1) | instskip(NEXT) | instid1(VALU_DEP_1)
	v_mul_f64 v[178:179], v[176:177], v[174:175]
	v_fma_f64 v[170:171], -v[170:171], v[178:179], v[176:177]
	s_delay_alu instid0(VALU_DEP_1) | instskip(NEXT) | instid1(VALU_DEP_1)
	v_div_fmas_f64 v[170:171], v[170:171], v[174:175], v[178:179]
	v_div_fixup_f64 v[174:175], v[170:171], v[168:169], 1.0
                                        ; implicit-def: $vgpr168_vgpr169
	s_delay_alu instid0(VALU_DEP_1)
	v_mul_f64 v[176:177], v[172:173], v[174:175]
	v_xor_b32_e32 v175, 0x80000000, v175
.LBB83_5:
	s_and_not1_saveexec_b32 s4, s4
	s_cbranch_execz .LBB83_7
; %bb.6:
	v_div_scale_f64 v[172:173], null, v[168:169], v[168:169], v[170:171]
	v_div_scale_f64 v[178:179], vcc_lo, v[170:171], v[168:169], v[170:171]
	s_delay_alu instid0(VALU_DEP_2) | instskip(SKIP_2) | instid1(VALU_DEP_1)
	v_rcp_f64_e32 v[174:175], v[172:173]
	s_waitcnt_depctr 0xfff
	v_fma_f64 v[176:177], -v[172:173], v[174:175], 1.0
	v_fma_f64 v[174:175], v[174:175], v[176:177], v[174:175]
	s_delay_alu instid0(VALU_DEP_1) | instskip(NEXT) | instid1(VALU_DEP_1)
	v_fma_f64 v[176:177], -v[172:173], v[174:175], 1.0
	v_fma_f64 v[174:175], v[174:175], v[176:177], v[174:175]
	s_delay_alu instid0(VALU_DEP_1) | instskip(NEXT) | instid1(VALU_DEP_1)
	v_mul_f64 v[176:177], v[178:179], v[174:175]
	v_fma_f64 v[172:173], -v[172:173], v[176:177], v[178:179]
	s_delay_alu instid0(VALU_DEP_1) | instskip(NEXT) | instid1(VALU_DEP_1)
	v_div_fmas_f64 v[172:173], v[172:173], v[174:175], v[176:177]
	v_div_fixup_f64 v[172:173], v[172:173], v[168:169], v[170:171]
	s_delay_alu instid0(VALU_DEP_1) | instskip(NEXT) | instid1(VALU_DEP_1)
	v_fma_f64 v[168:169], v[170:171], v[172:173], v[168:169]
	v_div_scale_f64 v[170:171], null, v[168:169], v[168:169], 1.0
	s_delay_alu instid0(VALU_DEP_1) | instskip(SKIP_2) | instid1(VALU_DEP_1)
	v_rcp_f64_e32 v[174:175], v[170:171]
	s_waitcnt_depctr 0xfff
	v_fma_f64 v[176:177], -v[170:171], v[174:175], 1.0
	v_fma_f64 v[174:175], v[174:175], v[176:177], v[174:175]
	s_delay_alu instid0(VALU_DEP_1) | instskip(NEXT) | instid1(VALU_DEP_1)
	v_fma_f64 v[176:177], -v[170:171], v[174:175], 1.0
	v_fma_f64 v[174:175], v[174:175], v[176:177], v[174:175]
	v_div_scale_f64 v[176:177], vcc_lo, 1.0, v[168:169], 1.0
	s_delay_alu instid0(VALU_DEP_1) | instskip(NEXT) | instid1(VALU_DEP_1)
	v_mul_f64 v[178:179], v[176:177], v[174:175]
	v_fma_f64 v[170:171], -v[170:171], v[178:179], v[176:177]
	s_delay_alu instid0(VALU_DEP_1) | instskip(NEXT) | instid1(VALU_DEP_1)
	v_div_fmas_f64 v[170:171], v[170:171], v[174:175], v[178:179]
	v_div_fixup_f64 v[176:177], v[170:171], v[168:169], 1.0
	s_delay_alu instid0(VALU_DEP_1)
	v_mul_f64 v[174:175], v[172:173], -v[176:177]
.LBB83_7:
	s_or_b32 exec_lo, exec_lo, s4
	ds_store_2addr_b64 v251, v[176:177], v[174:175] offset1:1
.LBB83_8:
	s_or_b32 exec_lo, exec_lo, s5
	s_waitcnt vmcnt(0) lgkmcnt(0)
	s_waitcnt_vscnt null, 0x0
	s_barrier
	buffer_gl0_inv
	ds_load_2addr_b64 v[168:171], v251 offset1:1
	s_waitcnt lgkmcnt(0)
	scratch_store_b128 off, v[168:171], off offset:368 ; 16-byte Folded Spill
	s_and_saveexec_b32 s4, s3
	s_cbranch_execz .LBB83_10
; %bb.9:
	s_clause 0x2
	scratch_load_b128 v[170:173], off, off offset:368
	scratch_load_b128 v[164:167], off, off offset:16
	scratch_load_b128 v[160:163], off, off
	s_waitcnt vmcnt(1)
	v_mul_f64 v[168:169], v[172:173], v[166:167]
	v_mul_f64 v[166:167], v[170:171], v[166:167]
	s_delay_alu instid0(VALU_DEP_2) | instskip(NEXT) | instid1(VALU_DEP_2)
	v_fma_f64 v[168:169], v[170:171], v[164:165], -v[168:169]
	v_fma_f64 v[166:167], v[172:173], v[164:165], v[166:167]
	ds_load_2addr_b64 v[170:173], v252 offset0:2 offset1:3
	s_waitcnt lgkmcnt(0)
	v_mul_f64 v[164:165], v[172:173], v[166:167]
	s_delay_alu instid0(VALU_DEP_1) | instskip(SKIP_2) | instid1(VALU_DEP_2)
	v_fma_f64 v[164:165], v[170:171], v[168:169], -v[164:165]
	v_mul_f64 v[170:171], v[170:171], v[166:167]
	s_waitcnt vmcnt(0)
	v_add_f64 v[160:161], v[160:161], -v[164:165]
	s_delay_alu instid0(VALU_DEP_2) | instskip(NEXT) | instid1(VALU_DEP_1)
	v_fma_f64 v[170:171], v[172:173], v[168:169], v[170:171]
	v_add_f64 v[162:163], v[162:163], -v[170:171]
	ds_load_2addr_b64 v[170:173], v252 offset0:4 offset1:5
	s_waitcnt lgkmcnt(0)
	v_mul_f64 v[164:165], v[172:173], v[166:167]
	s_delay_alu instid0(VALU_DEP_1) | instskip(SKIP_1) | instid1(VALU_DEP_2)
	v_fma_f64 v[164:165], v[170:171], v[168:169], -v[164:165]
	v_mul_f64 v[170:171], v[170:171], v[166:167]
	v_add_f64 v[156:157], v[156:157], -v[164:165]
	s_delay_alu instid0(VALU_DEP_2) | instskip(NEXT) | instid1(VALU_DEP_1)
	v_fma_f64 v[170:171], v[172:173], v[168:169], v[170:171]
	v_add_f64 v[158:159], v[158:159], -v[170:171]
	ds_load_2addr_b64 v[170:173], v252 offset0:6 offset1:7
	s_waitcnt lgkmcnt(0)
	v_mul_f64 v[164:165], v[172:173], v[166:167]
	s_delay_alu instid0(VALU_DEP_1) | instskip(SKIP_1) | instid1(VALU_DEP_2)
	v_fma_f64 v[164:165], v[170:171], v[168:169], -v[164:165]
	v_mul_f64 v[170:171], v[170:171], v[166:167]
	;; [unrolled: 10-line block ×40, first 2 shown]
	v_add_f64 v[0:1], v[0:1], -v[164:165]
	s_delay_alu instid0(VALU_DEP_2)
	v_fma_f64 v[170:171], v[172:173], v[168:169], v[170:171]
	v_dual_mov_b32 v164, v168 :: v_dual_mov_b32 v165, v169
	s_clause 0x1
	scratch_store_b128 off, v[160:163], off
	scratch_store_b128 off, v[164:167], off offset:16
	v_add_f64 v[2:3], v[2:3], -v[170:171]
.LBB83_10:
	s_or_b32 exec_lo, exec_lo, s4
	s_delay_alu instid0(SALU_CYCLE_1)
	s_mov_b32 s4, exec_lo
	s_waitcnt_vscnt null, 0x0
	s_barrier
	buffer_gl0_inv
	v_cmpx_eq_u32_e32 1, v250
	s_cbranch_execz .LBB83_17
; %bb.11:
	scratch_load_b128 v[160:163], off, off  ; 16-byte Folded Reload
	s_waitcnt vmcnt(0)
	ds_store_2addr_b64 v251, v[160:161], v[162:163] offset1:1
	ds_store_2addr_b64 v252, v[156:157], v[158:159] offset0:4 offset1:5
	ds_store_2addr_b64 v252, v[152:153], v[154:155] offset0:6 offset1:7
	;; [unrolled: 1-line block ×40, first 2 shown]
	ds_load_2addr_b64 v[168:171], v251 offset1:1
	s_waitcnt lgkmcnt(0)
	v_cmp_neq_f64_e32 vcc_lo, 0, v[168:169]
	v_cmp_neq_f64_e64 s3, 0, v[170:171]
	s_delay_alu instid0(VALU_DEP_1) | instskip(NEXT) | instid1(SALU_CYCLE_1)
	s_or_b32 s3, vcc_lo, s3
	s_and_b32 exec_lo, exec_lo, s3
	s_cbranch_execz .LBB83_17
; %bb.12:
	v_cmp_gt_f64_e32 vcc_lo, 0, v[168:169]
	v_cmp_gt_f64_e64 s3, 0, v[170:171]
	v_xor_b32_e32 v172, 0x80000000, v169
	v_xor_b32_e32 v174, 0x80000000, v171
                                        ; implicit-def: $vgpr176_vgpr177
	s_delay_alu instid0(VALU_DEP_2) | instskip(NEXT) | instid1(VALU_DEP_2)
	v_cndmask_b32_e32 v173, v169, v172, vcc_lo
	v_cndmask_b32_e64 v175, v171, v174, s3
	v_cndmask_b32_e32 v172, v168, v168, vcc_lo
	v_cndmask_b32_e64 v174, v170, v170, s3
	s_mov_b32 s3, exec_lo
	s_delay_alu instid0(VALU_DEP_1)
	v_cmpx_ngt_f64_e32 v[172:173], v[174:175]
	s_xor_b32 s3, exec_lo, s3
                                        ; implicit-def: $vgpr172_vgpr173_vgpr174_vgpr175
	s_cbranch_execz .LBB83_14
; %bb.13:
	v_div_scale_f64 v[172:173], null, v[170:171], v[170:171], v[168:169]
	v_div_scale_f64 v[178:179], vcc_lo, v[168:169], v[170:171], v[168:169]
	s_delay_alu instid0(VALU_DEP_2) | instskip(SKIP_2) | instid1(VALU_DEP_1)
	v_rcp_f64_e32 v[174:175], v[172:173]
	s_waitcnt_depctr 0xfff
	v_fma_f64 v[176:177], -v[172:173], v[174:175], 1.0
	v_fma_f64 v[174:175], v[174:175], v[176:177], v[174:175]
	s_delay_alu instid0(VALU_DEP_1) | instskip(NEXT) | instid1(VALU_DEP_1)
	v_fma_f64 v[176:177], -v[172:173], v[174:175], 1.0
	v_fma_f64 v[174:175], v[174:175], v[176:177], v[174:175]
	s_delay_alu instid0(VALU_DEP_1) | instskip(NEXT) | instid1(VALU_DEP_1)
	v_mul_f64 v[176:177], v[178:179], v[174:175]
	v_fma_f64 v[172:173], -v[172:173], v[176:177], v[178:179]
	s_delay_alu instid0(VALU_DEP_1) | instskip(NEXT) | instid1(VALU_DEP_1)
	v_div_fmas_f64 v[172:173], v[172:173], v[174:175], v[176:177]
	v_div_fixup_f64 v[172:173], v[172:173], v[170:171], v[168:169]
	s_delay_alu instid0(VALU_DEP_1) | instskip(NEXT) | instid1(VALU_DEP_1)
	v_fma_f64 v[168:169], v[168:169], v[172:173], v[170:171]
	v_div_scale_f64 v[170:171], null, v[168:169], v[168:169], 1.0
	s_delay_alu instid0(VALU_DEP_1) | instskip(SKIP_2) | instid1(VALU_DEP_1)
	v_rcp_f64_e32 v[174:175], v[170:171]
	s_waitcnt_depctr 0xfff
	v_fma_f64 v[176:177], -v[170:171], v[174:175], 1.0
	v_fma_f64 v[174:175], v[174:175], v[176:177], v[174:175]
	s_delay_alu instid0(VALU_DEP_1) | instskip(NEXT) | instid1(VALU_DEP_1)
	v_fma_f64 v[176:177], -v[170:171], v[174:175], 1.0
	v_fma_f64 v[174:175], v[174:175], v[176:177], v[174:175]
	v_div_scale_f64 v[176:177], vcc_lo, 1.0, v[168:169], 1.0
	s_delay_alu instid0(VALU_DEP_1) | instskip(NEXT) | instid1(VALU_DEP_1)
	v_mul_f64 v[178:179], v[176:177], v[174:175]
	v_fma_f64 v[170:171], -v[170:171], v[178:179], v[176:177]
	s_delay_alu instid0(VALU_DEP_1) | instskip(NEXT) | instid1(VALU_DEP_1)
	v_div_fmas_f64 v[170:171], v[170:171], v[174:175], v[178:179]
	v_div_fixup_f64 v[174:175], v[170:171], v[168:169], 1.0
                                        ; implicit-def: $vgpr168_vgpr169
	s_delay_alu instid0(VALU_DEP_1)
	v_mul_f64 v[176:177], v[172:173], v[174:175]
	v_xor_b32_e32 v175, 0x80000000, v175
.LBB83_14:
	s_and_not1_saveexec_b32 s3, s3
	s_cbranch_execz .LBB83_16
; %bb.15:
	v_div_scale_f64 v[172:173], null, v[168:169], v[168:169], v[170:171]
	v_div_scale_f64 v[178:179], vcc_lo, v[170:171], v[168:169], v[170:171]
	s_delay_alu instid0(VALU_DEP_2) | instskip(SKIP_2) | instid1(VALU_DEP_1)
	v_rcp_f64_e32 v[174:175], v[172:173]
	s_waitcnt_depctr 0xfff
	v_fma_f64 v[176:177], -v[172:173], v[174:175], 1.0
	v_fma_f64 v[174:175], v[174:175], v[176:177], v[174:175]
	s_delay_alu instid0(VALU_DEP_1) | instskip(NEXT) | instid1(VALU_DEP_1)
	v_fma_f64 v[176:177], -v[172:173], v[174:175], 1.0
	v_fma_f64 v[174:175], v[174:175], v[176:177], v[174:175]
	s_delay_alu instid0(VALU_DEP_1) | instskip(NEXT) | instid1(VALU_DEP_1)
	v_mul_f64 v[176:177], v[178:179], v[174:175]
	v_fma_f64 v[172:173], -v[172:173], v[176:177], v[178:179]
	s_delay_alu instid0(VALU_DEP_1) | instskip(NEXT) | instid1(VALU_DEP_1)
	v_div_fmas_f64 v[172:173], v[172:173], v[174:175], v[176:177]
	v_div_fixup_f64 v[172:173], v[172:173], v[168:169], v[170:171]
	s_delay_alu instid0(VALU_DEP_1) | instskip(NEXT) | instid1(VALU_DEP_1)
	v_fma_f64 v[168:169], v[170:171], v[172:173], v[168:169]
	v_div_scale_f64 v[170:171], null, v[168:169], v[168:169], 1.0
	s_delay_alu instid0(VALU_DEP_1) | instskip(SKIP_2) | instid1(VALU_DEP_1)
	v_rcp_f64_e32 v[174:175], v[170:171]
	s_waitcnt_depctr 0xfff
	v_fma_f64 v[176:177], -v[170:171], v[174:175], 1.0
	v_fma_f64 v[174:175], v[174:175], v[176:177], v[174:175]
	s_delay_alu instid0(VALU_DEP_1) | instskip(NEXT) | instid1(VALU_DEP_1)
	v_fma_f64 v[176:177], -v[170:171], v[174:175], 1.0
	v_fma_f64 v[174:175], v[174:175], v[176:177], v[174:175]
	v_div_scale_f64 v[176:177], vcc_lo, 1.0, v[168:169], 1.0
	s_delay_alu instid0(VALU_DEP_1) | instskip(NEXT) | instid1(VALU_DEP_1)
	v_mul_f64 v[178:179], v[176:177], v[174:175]
	v_fma_f64 v[170:171], -v[170:171], v[178:179], v[176:177]
	s_delay_alu instid0(VALU_DEP_1) | instskip(NEXT) | instid1(VALU_DEP_1)
	v_div_fmas_f64 v[170:171], v[170:171], v[174:175], v[178:179]
	v_div_fixup_f64 v[176:177], v[170:171], v[168:169], 1.0
	s_delay_alu instid0(VALU_DEP_1)
	v_mul_f64 v[174:175], v[172:173], -v[176:177]
.LBB83_16:
	s_or_b32 exec_lo, exec_lo, s3
	ds_store_2addr_b64 v251, v[176:177], v[174:175] offset1:1
.LBB83_17:
	s_or_b32 exec_lo, exec_lo, s4
	s_waitcnt lgkmcnt(0)
	s_barrier
	buffer_gl0_inv
	ds_load_2addr_b64 v[168:171], v251 offset1:1
	s_mov_b32 s3, exec_lo
	s_waitcnt lgkmcnt(0)
	scratch_store_b128 off, v[168:171], off offset:384 ; 16-byte Folded Spill
	v_cmpx_lt_u32_e32 1, v250
	s_cbranch_execz .LBB83_19
; %bb.18:
	s_clause 0x1
	scratch_load_b128 v[170:173], off, off offset:384
	scratch_load_b128 v[160:163], off, off
	s_waitcnt vmcnt(0)
	v_mul_f64 v[168:169], v[172:173], v[162:163]
	v_mul_f64 v[162:163], v[170:171], v[162:163]
	s_delay_alu instid0(VALU_DEP_2) | instskip(NEXT) | instid1(VALU_DEP_2)
	v_fma_f64 v[168:169], v[170:171], v[160:161], -v[168:169]
	v_fma_f64 v[162:163], v[172:173], v[160:161], v[162:163]
	ds_load_2addr_b64 v[170:173], v252 offset0:4 offset1:5
	s_waitcnt lgkmcnt(0)
	v_mul_f64 v[160:161], v[172:173], v[162:163]
	s_delay_alu instid0(VALU_DEP_1) | instskip(SKIP_1) | instid1(VALU_DEP_2)
	v_fma_f64 v[160:161], v[170:171], v[168:169], -v[160:161]
	v_mul_f64 v[170:171], v[170:171], v[162:163]
	v_add_f64 v[156:157], v[156:157], -v[160:161]
	s_delay_alu instid0(VALU_DEP_2) | instskip(NEXT) | instid1(VALU_DEP_1)
	v_fma_f64 v[170:171], v[172:173], v[168:169], v[170:171]
	v_add_f64 v[158:159], v[158:159], -v[170:171]
	ds_load_2addr_b64 v[170:173], v252 offset0:6 offset1:7
	s_waitcnt lgkmcnt(0)
	v_mul_f64 v[160:161], v[172:173], v[162:163]
	s_delay_alu instid0(VALU_DEP_1) | instskip(SKIP_1) | instid1(VALU_DEP_2)
	v_fma_f64 v[160:161], v[170:171], v[168:169], -v[160:161]
	v_mul_f64 v[170:171], v[170:171], v[162:163]
	v_add_f64 v[152:153], v[152:153], -v[160:161]
	s_delay_alu instid0(VALU_DEP_2) | instskip(NEXT) | instid1(VALU_DEP_1)
	v_fma_f64 v[170:171], v[172:173], v[168:169], v[170:171]
	v_add_f64 v[154:155], v[154:155], -v[170:171]
	;; [unrolled: 10-line block ×39, first 2 shown]
	ds_load_2addr_b64 v[170:173], v252 offset0:82 offset1:83
	s_waitcnt lgkmcnt(0)
	v_mul_f64 v[160:161], v[172:173], v[162:163]
	s_delay_alu instid0(VALU_DEP_1) | instskip(SKIP_1) | instid1(VALU_DEP_2)
	v_fma_f64 v[160:161], v[170:171], v[168:169], -v[160:161]
	v_mul_f64 v[170:171], v[170:171], v[162:163]
	v_add_f64 v[0:1], v[0:1], -v[160:161]
	s_delay_alu instid0(VALU_DEP_2)
	v_fma_f64 v[170:171], v[172:173], v[168:169], v[170:171]
	v_dual_mov_b32 v160, v168 :: v_dual_mov_b32 v161, v169
	scratch_store_b128 off, v[160:163], off ; 16-byte Folded Spill
	v_add_f64 v[2:3], v[2:3], -v[170:171]
.LBB83_19:
	s_or_b32 exec_lo, exec_lo, s3
	s_delay_alu instid0(SALU_CYCLE_1)
	s_mov_b32 s4, exec_lo
	s_waitcnt_vscnt null, 0x0
	s_barrier
	buffer_gl0_inv
	v_cmpx_eq_u32_e32 2, v250
	s_cbranch_execz .LBB83_26
; %bb.20:
	ds_store_2addr_b64 v251, v[156:157], v[158:159] offset1:1
	ds_store_2addr_b64 v252, v[152:153], v[154:155] offset0:6 offset1:7
	ds_store_2addr_b64 v252, v[148:149], v[150:151] offset0:8 offset1:9
	;; [unrolled: 1-line block ×39, first 2 shown]
	ds_load_2addr_b64 v[168:171], v251 offset1:1
	s_waitcnt lgkmcnt(0)
	v_cmp_neq_f64_e32 vcc_lo, 0, v[168:169]
	v_cmp_neq_f64_e64 s3, 0, v[170:171]
	s_delay_alu instid0(VALU_DEP_1) | instskip(NEXT) | instid1(SALU_CYCLE_1)
	s_or_b32 s3, vcc_lo, s3
	s_and_b32 exec_lo, exec_lo, s3
	s_cbranch_execz .LBB83_26
; %bb.21:
	v_cmp_gt_f64_e32 vcc_lo, 0, v[168:169]
	v_xor_b32_e32 v172, 0x80000000, v169
	v_xor_b32_e32 v174, 0x80000000, v171
	s_mov_b32 s3, exec_lo
                                        ; implicit-def: $vgpr176_vgpr177
	s_delay_alu instid0(VALU_DEP_2) | instskip(SKIP_4) | instid1(VALU_DEP_1)
	v_cndmask_b32_e32 v173, v169, v172, vcc_lo
	v_cndmask_b32_e32 v172, v168, v168, vcc_lo
	v_cmp_gt_f64_e32 vcc_lo, 0, v[170:171]
	v_cndmask_b32_e32 v175, v171, v174, vcc_lo
	v_cndmask_b32_e32 v174, v170, v170, vcc_lo
	v_cmpx_ngt_f64_e32 v[172:173], v[174:175]
	s_xor_b32 s3, exec_lo, s3
                                        ; implicit-def: $vgpr172_vgpr173_vgpr174_vgpr175
	s_cbranch_execz .LBB83_23
; %bb.22:
	v_div_scale_f64 v[172:173], null, v[170:171], v[170:171], v[168:169]
	v_div_scale_f64 v[178:179], vcc_lo, v[168:169], v[170:171], v[168:169]
	s_delay_alu instid0(VALU_DEP_2) | instskip(SKIP_2) | instid1(VALU_DEP_1)
	v_rcp_f64_e32 v[174:175], v[172:173]
	s_waitcnt_depctr 0xfff
	v_fma_f64 v[176:177], -v[172:173], v[174:175], 1.0
	v_fma_f64 v[174:175], v[174:175], v[176:177], v[174:175]
	s_delay_alu instid0(VALU_DEP_1) | instskip(NEXT) | instid1(VALU_DEP_1)
	v_fma_f64 v[176:177], -v[172:173], v[174:175], 1.0
	v_fma_f64 v[174:175], v[174:175], v[176:177], v[174:175]
	s_delay_alu instid0(VALU_DEP_1) | instskip(NEXT) | instid1(VALU_DEP_1)
	v_mul_f64 v[176:177], v[178:179], v[174:175]
	v_fma_f64 v[172:173], -v[172:173], v[176:177], v[178:179]
	s_delay_alu instid0(VALU_DEP_1) | instskip(NEXT) | instid1(VALU_DEP_1)
	v_div_fmas_f64 v[172:173], v[172:173], v[174:175], v[176:177]
	v_div_fixup_f64 v[172:173], v[172:173], v[170:171], v[168:169]
	s_delay_alu instid0(VALU_DEP_1) | instskip(NEXT) | instid1(VALU_DEP_1)
	v_fma_f64 v[168:169], v[168:169], v[172:173], v[170:171]
	v_div_scale_f64 v[170:171], null, v[168:169], v[168:169], 1.0
	s_delay_alu instid0(VALU_DEP_1) | instskip(SKIP_2) | instid1(VALU_DEP_1)
	v_rcp_f64_e32 v[174:175], v[170:171]
	s_waitcnt_depctr 0xfff
	v_fma_f64 v[176:177], -v[170:171], v[174:175], 1.0
	v_fma_f64 v[174:175], v[174:175], v[176:177], v[174:175]
	s_delay_alu instid0(VALU_DEP_1) | instskip(NEXT) | instid1(VALU_DEP_1)
	v_fma_f64 v[176:177], -v[170:171], v[174:175], 1.0
	v_fma_f64 v[174:175], v[174:175], v[176:177], v[174:175]
	v_div_scale_f64 v[176:177], vcc_lo, 1.0, v[168:169], 1.0
	s_delay_alu instid0(VALU_DEP_1) | instskip(NEXT) | instid1(VALU_DEP_1)
	v_mul_f64 v[178:179], v[176:177], v[174:175]
	v_fma_f64 v[170:171], -v[170:171], v[178:179], v[176:177]
	s_delay_alu instid0(VALU_DEP_1) | instskip(NEXT) | instid1(VALU_DEP_1)
	v_div_fmas_f64 v[170:171], v[170:171], v[174:175], v[178:179]
	v_div_fixup_f64 v[174:175], v[170:171], v[168:169], 1.0
                                        ; implicit-def: $vgpr168_vgpr169
	s_delay_alu instid0(VALU_DEP_1)
	v_mul_f64 v[176:177], v[172:173], v[174:175]
	v_xor_b32_e32 v175, 0x80000000, v175
.LBB83_23:
	s_and_not1_saveexec_b32 s3, s3
	s_cbranch_execz .LBB83_25
; %bb.24:
	v_div_scale_f64 v[172:173], null, v[168:169], v[168:169], v[170:171]
	v_div_scale_f64 v[178:179], vcc_lo, v[170:171], v[168:169], v[170:171]
	s_delay_alu instid0(VALU_DEP_2) | instskip(SKIP_2) | instid1(VALU_DEP_1)
	v_rcp_f64_e32 v[174:175], v[172:173]
	s_waitcnt_depctr 0xfff
	v_fma_f64 v[176:177], -v[172:173], v[174:175], 1.0
	v_fma_f64 v[174:175], v[174:175], v[176:177], v[174:175]
	s_delay_alu instid0(VALU_DEP_1) | instskip(NEXT) | instid1(VALU_DEP_1)
	v_fma_f64 v[176:177], -v[172:173], v[174:175], 1.0
	v_fma_f64 v[174:175], v[174:175], v[176:177], v[174:175]
	s_delay_alu instid0(VALU_DEP_1) | instskip(NEXT) | instid1(VALU_DEP_1)
	v_mul_f64 v[176:177], v[178:179], v[174:175]
	v_fma_f64 v[172:173], -v[172:173], v[176:177], v[178:179]
	s_delay_alu instid0(VALU_DEP_1) | instskip(NEXT) | instid1(VALU_DEP_1)
	v_div_fmas_f64 v[172:173], v[172:173], v[174:175], v[176:177]
	v_div_fixup_f64 v[172:173], v[172:173], v[168:169], v[170:171]
	s_delay_alu instid0(VALU_DEP_1) | instskip(NEXT) | instid1(VALU_DEP_1)
	v_fma_f64 v[168:169], v[170:171], v[172:173], v[168:169]
	v_div_scale_f64 v[170:171], null, v[168:169], v[168:169], 1.0
	s_delay_alu instid0(VALU_DEP_1) | instskip(SKIP_2) | instid1(VALU_DEP_1)
	v_rcp_f64_e32 v[174:175], v[170:171]
	s_waitcnt_depctr 0xfff
	v_fma_f64 v[176:177], -v[170:171], v[174:175], 1.0
	v_fma_f64 v[174:175], v[174:175], v[176:177], v[174:175]
	s_delay_alu instid0(VALU_DEP_1) | instskip(NEXT) | instid1(VALU_DEP_1)
	v_fma_f64 v[176:177], -v[170:171], v[174:175], 1.0
	v_fma_f64 v[174:175], v[174:175], v[176:177], v[174:175]
	v_div_scale_f64 v[176:177], vcc_lo, 1.0, v[168:169], 1.0
	s_delay_alu instid0(VALU_DEP_1) | instskip(NEXT) | instid1(VALU_DEP_1)
	v_mul_f64 v[178:179], v[176:177], v[174:175]
	v_fma_f64 v[170:171], -v[170:171], v[178:179], v[176:177]
	s_delay_alu instid0(VALU_DEP_1) | instskip(NEXT) | instid1(VALU_DEP_1)
	v_div_fmas_f64 v[170:171], v[170:171], v[174:175], v[178:179]
	v_div_fixup_f64 v[176:177], v[170:171], v[168:169], 1.0
	s_delay_alu instid0(VALU_DEP_1)
	v_mul_f64 v[174:175], v[172:173], -v[176:177]
.LBB83_25:
	s_or_b32 exec_lo, exec_lo, s3
	ds_store_2addr_b64 v251, v[176:177], v[174:175] offset1:1
.LBB83_26:
	s_or_b32 exec_lo, exec_lo, s4
	s_waitcnt lgkmcnt(0)
	s_barrier
	buffer_gl0_inv
	ds_load_2addr_b64 v[168:171], v251 offset1:1
	s_mov_b32 s3, exec_lo
	s_waitcnt lgkmcnt(0)
	scratch_store_b128 off, v[168:171], off offset:400 ; 16-byte Folded Spill
	v_cmpx_lt_u32_e32 2, v250
	s_cbranch_execz .LBB83_28
; %bb.27:
	scratch_load_b128 v[170:173], off, off offset:400 ; 16-byte Folded Reload
	s_waitcnt vmcnt(0)
	v_mul_f64 v[168:169], v[172:173], v[158:159]
	v_mul_f64 v[158:159], v[170:171], v[158:159]
	s_delay_alu instid0(VALU_DEP_2) | instskip(NEXT) | instid1(VALU_DEP_2)
	v_fma_f64 v[168:169], v[170:171], v[156:157], -v[168:169]
	v_fma_f64 v[158:159], v[172:173], v[156:157], v[158:159]
	ds_load_2addr_b64 v[170:173], v252 offset0:6 offset1:7
	s_waitcnt lgkmcnt(0)
	v_mul_f64 v[156:157], v[172:173], v[158:159]
	s_delay_alu instid0(VALU_DEP_1) | instskip(SKIP_1) | instid1(VALU_DEP_2)
	v_fma_f64 v[156:157], v[170:171], v[168:169], -v[156:157]
	v_mul_f64 v[170:171], v[170:171], v[158:159]
	v_add_f64 v[152:153], v[152:153], -v[156:157]
	s_delay_alu instid0(VALU_DEP_2) | instskip(NEXT) | instid1(VALU_DEP_1)
	v_fma_f64 v[170:171], v[172:173], v[168:169], v[170:171]
	v_add_f64 v[154:155], v[154:155], -v[170:171]
	ds_load_2addr_b64 v[170:173], v252 offset0:8 offset1:9
	s_waitcnt lgkmcnt(0)
	v_mul_f64 v[156:157], v[172:173], v[158:159]
	s_delay_alu instid0(VALU_DEP_1) | instskip(SKIP_1) | instid1(VALU_DEP_2)
	v_fma_f64 v[156:157], v[170:171], v[168:169], -v[156:157]
	v_mul_f64 v[170:171], v[170:171], v[158:159]
	v_add_f64 v[148:149], v[148:149], -v[156:157]
	s_delay_alu instid0(VALU_DEP_2) | instskip(NEXT) | instid1(VALU_DEP_1)
	v_fma_f64 v[170:171], v[172:173], v[168:169], v[170:171]
	v_add_f64 v[150:151], v[150:151], -v[170:171]
	;; [unrolled: 10-line block ×38, first 2 shown]
	ds_load_2addr_b64 v[170:173], v252 offset0:82 offset1:83
	s_waitcnt lgkmcnt(0)
	v_mul_f64 v[156:157], v[172:173], v[158:159]
	s_delay_alu instid0(VALU_DEP_1) | instskip(SKIP_1) | instid1(VALU_DEP_2)
	v_fma_f64 v[156:157], v[170:171], v[168:169], -v[156:157]
	v_mul_f64 v[170:171], v[170:171], v[158:159]
	v_add_f64 v[0:1], v[0:1], -v[156:157]
	s_delay_alu instid0(VALU_DEP_2) | instskip(SKIP_1) | instid1(VALU_DEP_2)
	v_fma_f64 v[170:171], v[172:173], v[168:169], v[170:171]
	v_dual_mov_b32 v156, v168 :: v_dual_mov_b32 v157, v169
	v_add_f64 v[2:3], v[2:3], -v[170:171]
.LBB83_28:
	s_or_b32 exec_lo, exec_lo, s3
	s_delay_alu instid0(SALU_CYCLE_1)
	s_mov_b32 s4, exec_lo
	s_waitcnt_vscnt null, 0x0
	s_barrier
	buffer_gl0_inv
	v_cmpx_eq_u32_e32 3, v250
	s_cbranch_execz .LBB83_35
; %bb.29:
	ds_store_2addr_b64 v251, v[152:153], v[154:155] offset1:1
	ds_store_2addr_b64 v252, v[148:149], v[150:151] offset0:8 offset1:9
	ds_store_2addr_b64 v252, v[144:145], v[146:147] offset0:10 offset1:11
	;; [unrolled: 1-line block ×38, first 2 shown]
	ds_load_2addr_b64 v[168:171], v251 offset1:1
	s_waitcnt lgkmcnt(0)
	v_cmp_neq_f64_e32 vcc_lo, 0, v[168:169]
	v_cmp_neq_f64_e64 s3, 0, v[170:171]
	s_delay_alu instid0(VALU_DEP_1) | instskip(NEXT) | instid1(SALU_CYCLE_1)
	s_or_b32 s3, vcc_lo, s3
	s_and_b32 exec_lo, exec_lo, s3
	s_cbranch_execz .LBB83_35
; %bb.30:
	v_cmp_gt_f64_e32 vcc_lo, 0, v[168:169]
	v_xor_b32_e32 v172, 0x80000000, v169
	v_xor_b32_e32 v174, 0x80000000, v171
	s_mov_b32 s3, exec_lo
                                        ; implicit-def: $vgpr176_vgpr177
	s_delay_alu instid0(VALU_DEP_2) | instskip(SKIP_4) | instid1(VALU_DEP_1)
	v_cndmask_b32_e32 v173, v169, v172, vcc_lo
	v_cndmask_b32_e32 v172, v168, v168, vcc_lo
	v_cmp_gt_f64_e32 vcc_lo, 0, v[170:171]
	v_cndmask_b32_e32 v175, v171, v174, vcc_lo
	v_cndmask_b32_e32 v174, v170, v170, vcc_lo
	v_cmpx_ngt_f64_e32 v[172:173], v[174:175]
	s_xor_b32 s3, exec_lo, s3
                                        ; implicit-def: $vgpr172_vgpr173_vgpr174_vgpr175
	s_cbranch_execz .LBB83_32
; %bb.31:
	v_div_scale_f64 v[172:173], null, v[170:171], v[170:171], v[168:169]
	v_div_scale_f64 v[178:179], vcc_lo, v[168:169], v[170:171], v[168:169]
	s_delay_alu instid0(VALU_DEP_2) | instskip(SKIP_2) | instid1(VALU_DEP_1)
	v_rcp_f64_e32 v[174:175], v[172:173]
	s_waitcnt_depctr 0xfff
	v_fma_f64 v[176:177], -v[172:173], v[174:175], 1.0
	v_fma_f64 v[174:175], v[174:175], v[176:177], v[174:175]
	s_delay_alu instid0(VALU_DEP_1) | instskip(NEXT) | instid1(VALU_DEP_1)
	v_fma_f64 v[176:177], -v[172:173], v[174:175], 1.0
	v_fma_f64 v[174:175], v[174:175], v[176:177], v[174:175]
	s_delay_alu instid0(VALU_DEP_1) | instskip(NEXT) | instid1(VALU_DEP_1)
	v_mul_f64 v[176:177], v[178:179], v[174:175]
	v_fma_f64 v[172:173], -v[172:173], v[176:177], v[178:179]
	s_delay_alu instid0(VALU_DEP_1) | instskip(NEXT) | instid1(VALU_DEP_1)
	v_div_fmas_f64 v[172:173], v[172:173], v[174:175], v[176:177]
	v_div_fixup_f64 v[172:173], v[172:173], v[170:171], v[168:169]
	s_delay_alu instid0(VALU_DEP_1) | instskip(NEXT) | instid1(VALU_DEP_1)
	v_fma_f64 v[168:169], v[168:169], v[172:173], v[170:171]
	v_div_scale_f64 v[170:171], null, v[168:169], v[168:169], 1.0
	s_delay_alu instid0(VALU_DEP_1) | instskip(SKIP_2) | instid1(VALU_DEP_1)
	v_rcp_f64_e32 v[174:175], v[170:171]
	s_waitcnt_depctr 0xfff
	v_fma_f64 v[176:177], -v[170:171], v[174:175], 1.0
	v_fma_f64 v[174:175], v[174:175], v[176:177], v[174:175]
	s_delay_alu instid0(VALU_DEP_1) | instskip(NEXT) | instid1(VALU_DEP_1)
	v_fma_f64 v[176:177], -v[170:171], v[174:175], 1.0
	v_fma_f64 v[174:175], v[174:175], v[176:177], v[174:175]
	v_div_scale_f64 v[176:177], vcc_lo, 1.0, v[168:169], 1.0
	s_delay_alu instid0(VALU_DEP_1) | instskip(NEXT) | instid1(VALU_DEP_1)
	v_mul_f64 v[178:179], v[176:177], v[174:175]
	v_fma_f64 v[170:171], -v[170:171], v[178:179], v[176:177]
	s_delay_alu instid0(VALU_DEP_1) | instskip(NEXT) | instid1(VALU_DEP_1)
	v_div_fmas_f64 v[170:171], v[170:171], v[174:175], v[178:179]
	v_div_fixup_f64 v[174:175], v[170:171], v[168:169], 1.0
                                        ; implicit-def: $vgpr168_vgpr169
	s_delay_alu instid0(VALU_DEP_1)
	v_mul_f64 v[176:177], v[172:173], v[174:175]
	v_xor_b32_e32 v175, 0x80000000, v175
.LBB83_32:
	s_and_not1_saveexec_b32 s3, s3
	s_cbranch_execz .LBB83_34
; %bb.33:
	v_div_scale_f64 v[172:173], null, v[168:169], v[168:169], v[170:171]
	v_div_scale_f64 v[178:179], vcc_lo, v[170:171], v[168:169], v[170:171]
	s_delay_alu instid0(VALU_DEP_2) | instskip(SKIP_2) | instid1(VALU_DEP_1)
	v_rcp_f64_e32 v[174:175], v[172:173]
	s_waitcnt_depctr 0xfff
	v_fma_f64 v[176:177], -v[172:173], v[174:175], 1.0
	v_fma_f64 v[174:175], v[174:175], v[176:177], v[174:175]
	s_delay_alu instid0(VALU_DEP_1) | instskip(NEXT) | instid1(VALU_DEP_1)
	v_fma_f64 v[176:177], -v[172:173], v[174:175], 1.0
	v_fma_f64 v[174:175], v[174:175], v[176:177], v[174:175]
	s_delay_alu instid0(VALU_DEP_1) | instskip(NEXT) | instid1(VALU_DEP_1)
	v_mul_f64 v[176:177], v[178:179], v[174:175]
	v_fma_f64 v[172:173], -v[172:173], v[176:177], v[178:179]
	s_delay_alu instid0(VALU_DEP_1) | instskip(NEXT) | instid1(VALU_DEP_1)
	v_div_fmas_f64 v[172:173], v[172:173], v[174:175], v[176:177]
	v_div_fixup_f64 v[172:173], v[172:173], v[168:169], v[170:171]
	s_delay_alu instid0(VALU_DEP_1) | instskip(NEXT) | instid1(VALU_DEP_1)
	v_fma_f64 v[168:169], v[170:171], v[172:173], v[168:169]
	v_div_scale_f64 v[170:171], null, v[168:169], v[168:169], 1.0
	s_delay_alu instid0(VALU_DEP_1) | instskip(SKIP_2) | instid1(VALU_DEP_1)
	v_rcp_f64_e32 v[174:175], v[170:171]
	s_waitcnt_depctr 0xfff
	v_fma_f64 v[176:177], -v[170:171], v[174:175], 1.0
	v_fma_f64 v[174:175], v[174:175], v[176:177], v[174:175]
	s_delay_alu instid0(VALU_DEP_1) | instskip(NEXT) | instid1(VALU_DEP_1)
	v_fma_f64 v[176:177], -v[170:171], v[174:175], 1.0
	v_fma_f64 v[174:175], v[174:175], v[176:177], v[174:175]
	v_div_scale_f64 v[176:177], vcc_lo, 1.0, v[168:169], 1.0
	s_delay_alu instid0(VALU_DEP_1) | instskip(NEXT) | instid1(VALU_DEP_1)
	v_mul_f64 v[178:179], v[176:177], v[174:175]
	v_fma_f64 v[170:171], -v[170:171], v[178:179], v[176:177]
	s_delay_alu instid0(VALU_DEP_1) | instskip(NEXT) | instid1(VALU_DEP_1)
	v_div_fmas_f64 v[170:171], v[170:171], v[174:175], v[178:179]
	v_div_fixup_f64 v[176:177], v[170:171], v[168:169], 1.0
	s_delay_alu instid0(VALU_DEP_1)
	v_mul_f64 v[174:175], v[172:173], -v[176:177]
.LBB83_34:
	s_or_b32 exec_lo, exec_lo, s3
	ds_store_2addr_b64 v251, v[176:177], v[174:175] offset1:1
.LBB83_35:
	s_or_b32 exec_lo, exec_lo, s4
	s_waitcnt lgkmcnt(0)
	s_barrier
	buffer_gl0_inv
	ds_load_2addr_b64 v[168:171], v251 offset1:1
	s_mov_b32 s3, exec_lo
	s_waitcnt lgkmcnt(0)
	scratch_store_b128 off, v[168:171], off offset:416 ; 16-byte Folded Spill
	v_cmpx_lt_u32_e32 3, v250
	s_cbranch_execz .LBB83_37
; %bb.36:
	scratch_load_b128 v[170:173], off, off offset:416 ; 16-byte Folded Reload
	s_waitcnt vmcnt(0)
	v_mul_f64 v[168:169], v[172:173], v[154:155]
	v_mul_f64 v[154:155], v[170:171], v[154:155]
	s_delay_alu instid0(VALU_DEP_2) | instskip(NEXT) | instid1(VALU_DEP_2)
	v_fma_f64 v[168:169], v[170:171], v[152:153], -v[168:169]
	v_fma_f64 v[154:155], v[172:173], v[152:153], v[154:155]
	ds_load_2addr_b64 v[170:173], v252 offset0:8 offset1:9
	s_waitcnt lgkmcnt(0)
	v_mul_f64 v[152:153], v[172:173], v[154:155]
	s_delay_alu instid0(VALU_DEP_1) | instskip(SKIP_1) | instid1(VALU_DEP_2)
	v_fma_f64 v[152:153], v[170:171], v[168:169], -v[152:153]
	v_mul_f64 v[170:171], v[170:171], v[154:155]
	v_add_f64 v[148:149], v[148:149], -v[152:153]
	s_delay_alu instid0(VALU_DEP_2) | instskip(NEXT) | instid1(VALU_DEP_1)
	v_fma_f64 v[170:171], v[172:173], v[168:169], v[170:171]
	v_add_f64 v[150:151], v[150:151], -v[170:171]
	ds_load_2addr_b64 v[170:173], v252 offset0:10 offset1:11
	s_waitcnt lgkmcnt(0)
	v_mul_f64 v[152:153], v[172:173], v[154:155]
	s_delay_alu instid0(VALU_DEP_1) | instskip(SKIP_1) | instid1(VALU_DEP_2)
	v_fma_f64 v[152:153], v[170:171], v[168:169], -v[152:153]
	v_mul_f64 v[170:171], v[170:171], v[154:155]
	v_add_f64 v[144:145], v[144:145], -v[152:153]
	s_delay_alu instid0(VALU_DEP_2) | instskip(NEXT) | instid1(VALU_DEP_1)
	v_fma_f64 v[170:171], v[172:173], v[168:169], v[170:171]
	v_add_f64 v[146:147], v[146:147], -v[170:171]
	;; [unrolled: 10-line block ×37, first 2 shown]
	ds_load_2addr_b64 v[170:173], v252 offset0:82 offset1:83
	s_waitcnt lgkmcnt(0)
	v_mul_f64 v[152:153], v[172:173], v[154:155]
	s_delay_alu instid0(VALU_DEP_1) | instskip(SKIP_1) | instid1(VALU_DEP_2)
	v_fma_f64 v[152:153], v[170:171], v[168:169], -v[152:153]
	v_mul_f64 v[170:171], v[170:171], v[154:155]
	v_add_f64 v[0:1], v[0:1], -v[152:153]
	s_delay_alu instid0(VALU_DEP_2) | instskip(SKIP_1) | instid1(VALU_DEP_2)
	v_fma_f64 v[170:171], v[172:173], v[168:169], v[170:171]
	v_dual_mov_b32 v152, v168 :: v_dual_mov_b32 v153, v169
	v_add_f64 v[2:3], v[2:3], -v[170:171]
.LBB83_37:
	s_or_b32 exec_lo, exec_lo, s3
	s_delay_alu instid0(SALU_CYCLE_1)
	s_mov_b32 s4, exec_lo
	s_waitcnt_vscnt null, 0x0
	s_barrier
	buffer_gl0_inv
	v_cmpx_eq_u32_e32 4, v250
	s_cbranch_execz .LBB83_44
; %bb.38:
	ds_store_2addr_b64 v251, v[148:149], v[150:151] offset1:1
	ds_store_2addr_b64 v252, v[144:145], v[146:147] offset0:10 offset1:11
	ds_store_2addr_b64 v252, v[140:141], v[142:143] offset0:12 offset1:13
	;; [unrolled: 1-line block ×37, first 2 shown]
	ds_load_2addr_b64 v[168:171], v251 offset1:1
	s_waitcnt lgkmcnt(0)
	v_cmp_neq_f64_e32 vcc_lo, 0, v[168:169]
	v_cmp_neq_f64_e64 s3, 0, v[170:171]
	s_delay_alu instid0(VALU_DEP_1) | instskip(NEXT) | instid1(SALU_CYCLE_1)
	s_or_b32 s3, vcc_lo, s3
	s_and_b32 exec_lo, exec_lo, s3
	s_cbranch_execz .LBB83_44
; %bb.39:
	v_cmp_gt_f64_e32 vcc_lo, 0, v[168:169]
	v_xor_b32_e32 v172, 0x80000000, v169
	v_xor_b32_e32 v174, 0x80000000, v171
	s_mov_b32 s3, exec_lo
                                        ; implicit-def: $vgpr176_vgpr177
	s_delay_alu instid0(VALU_DEP_2) | instskip(SKIP_4) | instid1(VALU_DEP_1)
	v_cndmask_b32_e32 v173, v169, v172, vcc_lo
	v_cndmask_b32_e32 v172, v168, v168, vcc_lo
	v_cmp_gt_f64_e32 vcc_lo, 0, v[170:171]
	v_cndmask_b32_e32 v175, v171, v174, vcc_lo
	v_cndmask_b32_e32 v174, v170, v170, vcc_lo
	v_cmpx_ngt_f64_e32 v[172:173], v[174:175]
	s_xor_b32 s3, exec_lo, s3
                                        ; implicit-def: $vgpr172_vgpr173_vgpr174_vgpr175
	s_cbranch_execz .LBB83_41
; %bb.40:
	v_div_scale_f64 v[172:173], null, v[170:171], v[170:171], v[168:169]
	v_div_scale_f64 v[178:179], vcc_lo, v[168:169], v[170:171], v[168:169]
	s_delay_alu instid0(VALU_DEP_2) | instskip(SKIP_2) | instid1(VALU_DEP_1)
	v_rcp_f64_e32 v[174:175], v[172:173]
	s_waitcnt_depctr 0xfff
	v_fma_f64 v[176:177], -v[172:173], v[174:175], 1.0
	v_fma_f64 v[174:175], v[174:175], v[176:177], v[174:175]
	s_delay_alu instid0(VALU_DEP_1) | instskip(NEXT) | instid1(VALU_DEP_1)
	v_fma_f64 v[176:177], -v[172:173], v[174:175], 1.0
	v_fma_f64 v[174:175], v[174:175], v[176:177], v[174:175]
	s_delay_alu instid0(VALU_DEP_1) | instskip(NEXT) | instid1(VALU_DEP_1)
	v_mul_f64 v[176:177], v[178:179], v[174:175]
	v_fma_f64 v[172:173], -v[172:173], v[176:177], v[178:179]
	s_delay_alu instid0(VALU_DEP_1) | instskip(NEXT) | instid1(VALU_DEP_1)
	v_div_fmas_f64 v[172:173], v[172:173], v[174:175], v[176:177]
	v_div_fixup_f64 v[172:173], v[172:173], v[170:171], v[168:169]
	s_delay_alu instid0(VALU_DEP_1) | instskip(NEXT) | instid1(VALU_DEP_1)
	v_fma_f64 v[168:169], v[168:169], v[172:173], v[170:171]
	v_div_scale_f64 v[170:171], null, v[168:169], v[168:169], 1.0
	s_delay_alu instid0(VALU_DEP_1) | instskip(SKIP_2) | instid1(VALU_DEP_1)
	v_rcp_f64_e32 v[174:175], v[170:171]
	s_waitcnt_depctr 0xfff
	v_fma_f64 v[176:177], -v[170:171], v[174:175], 1.0
	v_fma_f64 v[174:175], v[174:175], v[176:177], v[174:175]
	s_delay_alu instid0(VALU_DEP_1) | instskip(NEXT) | instid1(VALU_DEP_1)
	v_fma_f64 v[176:177], -v[170:171], v[174:175], 1.0
	v_fma_f64 v[174:175], v[174:175], v[176:177], v[174:175]
	v_div_scale_f64 v[176:177], vcc_lo, 1.0, v[168:169], 1.0
	s_delay_alu instid0(VALU_DEP_1) | instskip(NEXT) | instid1(VALU_DEP_1)
	v_mul_f64 v[178:179], v[176:177], v[174:175]
	v_fma_f64 v[170:171], -v[170:171], v[178:179], v[176:177]
	s_delay_alu instid0(VALU_DEP_1) | instskip(NEXT) | instid1(VALU_DEP_1)
	v_div_fmas_f64 v[170:171], v[170:171], v[174:175], v[178:179]
	v_div_fixup_f64 v[174:175], v[170:171], v[168:169], 1.0
                                        ; implicit-def: $vgpr168_vgpr169
	s_delay_alu instid0(VALU_DEP_1)
	v_mul_f64 v[176:177], v[172:173], v[174:175]
	v_xor_b32_e32 v175, 0x80000000, v175
.LBB83_41:
	s_and_not1_saveexec_b32 s3, s3
	s_cbranch_execz .LBB83_43
; %bb.42:
	v_div_scale_f64 v[172:173], null, v[168:169], v[168:169], v[170:171]
	v_div_scale_f64 v[178:179], vcc_lo, v[170:171], v[168:169], v[170:171]
	s_delay_alu instid0(VALU_DEP_2) | instskip(SKIP_2) | instid1(VALU_DEP_1)
	v_rcp_f64_e32 v[174:175], v[172:173]
	s_waitcnt_depctr 0xfff
	v_fma_f64 v[176:177], -v[172:173], v[174:175], 1.0
	v_fma_f64 v[174:175], v[174:175], v[176:177], v[174:175]
	s_delay_alu instid0(VALU_DEP_1) | instskip(NEXT) | instid1(VALU_DEP_1)
	v_fma_f64 v[176:177], -v[172:173], v[174:175], 1.0
	v_fma_f64 v[174:175], v[174:175], v[176:177], v[174:175]
	s_delay_alu instid0(VALU_DEP_1) | instskip(NEXT) | instid1(VALU_DEP_1)
	v_mul_f64 v[176:177], v[178:179], v[174:175]
	v_fma_f64 v[172:173], -v[172:173], v[176:177], v[178:179]
	s_delay_alu instid0(VALU_DEP_1) | instskip(NEXT) | instid1(VALU_DEP_1)
	v_div_fmas_f64 v[172:173], v[172:173], v[174:175], v[176:177]
	v_div_fixup_f64 v[172:173], v[172:173], v[168:169], v[170:171]
	s_delay_alu instid0(VALU_DEP_1) | instskip(NEXT) | instid1(VALU_DEP_1)
	v_fma_f64 v[168:169], v[170:171], v[172:173], v[168:169]
	v_div_scale_f64 v[170:171], null, v[168:169], v[168:169], 1.0
	s_delay_alu instid0(VALU_DEP_1) | instskip(SKIP_2) | instid1(VALU_DEP_1)
	v_rcp_f64_e32 v[174:175], v[170:171]
	s_waitcnt_depctr 0xfff
	v_fma_f64 v[176:177], -v[170:171], v[174:175], 1.0
	v_fma_f64 v[174:175], v[174:175], v[176:177], v[174:175]
	s_delay_alu instid0(VALU_DEP_1) | instskip(NEXT) | instid1(VALU_DEP_1)
	v_fma_f64 v[176:177], -v[170:171], v[174:175], 1.0
	v_fma_f64 v[174:175], v[174:175], v[176:177], v[174:175]
	v_div_scale_f64 v[176:177], vcc_lo, 1.0, v[168:169], 1.0
	s_delay_alu instid0(VALU_DEP_1) | instskip(NEXT) | instid1(VALU_DEP_1)
	v_mul_f64 v[178:179], v[176:177], v[174:175]
	v_fma_f64 v[170:171], -v[170:171], v[178:179], v[176:177]
	s_delay_alu instid0(VALU_DEP_1) | instskip(NEXT) | instid1(VALU_DEP_1)
	v_div_fmas_f64 v[170:171], v[170:171], v[174:175], v[178:179]
	v_div_fixup_f64 v[176:177], v[170:171], v[168:169], 1.0
	s_delay_alu instid0(VALU_DEP_1)
	v_mul_f64 v[174:175], v[172:173], -v[176:177]
.LBB83_43:
	s_or_b32 exec_lo, exec_lo, s3
	ds_store_2addr_b64 v251, v[176:177], v[174:175] offset1:1
.LBB83_44:
	s_or_b32 exec_lo, exec_lo, s4
	s_waitcnt lgkmcnt(0)
	s_barrier
	buffer_gl0_inv
	ds_load_2addr_b64 v[168:171], v251 offset1:1
	s_mov_b32 s3, exec_lo
	s_waitcnt lgkmcnt(0)
	scratch_store_b128 off, v[168:171], off offset:432 ; 16-byte Folded Spill
	v_cmpx_lt_u32_e32 4, v250
	s_cbranch_execz .LBB83_46
; %bb.45:
	scratch_load_b128 v[170:173], off, off offset:432 ; 16-byte Folded Reload
	s_waitcnt vmcnt(0)
	v_mul_f64 v[168:169], v[172:173], v[150:151]
	v_mul_f64 v[150:151], v[170:171], v[150:151]
	s_delay_alu instid0(VALU_DEP_2) | instskip(NEXT) | instid1(VALU_DEP_2)
	v_fma_f64 v[168:169], v[170:171], v[148:149], -v[168:169]
	v_fma_f64 v[150:151], v[172:173], v[148:149], v[150:151]
	ds_load_2addr_b64 v[170:173], v252 offset0:10 offset1:11
	s_waitcnt lgkmcnt(0)
	v_mul_f64 v[148:149], v[172:173], v[150:151]
	s_delay_alu instid0(VALU_DEP_1) | instskip(SKIP_1) | instid1(VALU_DEP_2)
	v_fma_f64 v[148:149], v[170:171], v[168:169], -v[148:149]
	v_mul_f64 v[170:171], v[170:171], v[150:151]
	v_add_f64 v[144:145], v[144:145], -v[148:149]
	s_delay_alu instid0(VALU_DEP_2) | instskip(NEXT) | instid1(VALU_DEP_1)
	v_fma_f64 v[170:171], v[172:173], v[168:169], v[170:171]
	v_add_f64 v[146:147], v[146:147], -v[170:171]
	ds_load_2addr_b64 v[170:173], v252 offset0:12 offset1:13
	s_waitcnt lgkmcnt(0)
	v_mul_f64 v[148:149], v[172:173], v[150:151]
	s_delay_alu instid0(VALU_DEP_1) | instskip(SKIP_1) | instid1(VALU_DEP_2)
	v_fma_f64 v[148:149], v[170:171], v[168:169], -v[148:149]
	v_mul_f64 v[170:171], v[170:171], v[150:151]
	v_add_f64 v[140:141], v[140:141], -v[148:149]
	s_delay_alu instid0(VALU_DEP_2) | instskip(NEXT) | instid1(VALU_DEP_1)
	v_fma_f64 v[170:171], v[172:173], v[168:169], v[170:171]
	v_add_f64 v[142:143], v[142:143], -v[170:171]
	;; [unrolled: 10-line block ×36, first 2 shown]
	ds_load_2addr_b64 v[170:173], v252 offset0:82 offset1:83
	s_waitcnt lgkmcnt(0)
	v_mul_f64 v[148:149], v[172:173], v[150:151]
	s_delay_alu instid0(VALU_DEP_1) | instskip(SKIP_1) | instid1(VALU_DEP_2)
	v_fma_f64 v[148:149], v[170:171], v[168:169], -v[148:149]
	v_mul_f64 v[170:171], v[170:171], v[150:151]
	v_add_f64 v[0:1], v[0:1], -v[148:149]
	s_delay_alu instid0(VALU_DEP_2) | instskip(SKIP_1) | instid1(VALU_DEP_2)
	v_fma_f64 v[170:171], v[172:173], v[168:169], v[170:171]
	v_dual_mov_b32 v148, v168 :: v_dual_mov_b32 v149, v169
	v_add_f64 v[2:3], v[2:3], -v[170:171]
.LBB83_46:
	s_or_b32 exec_lo, exec_lo, s3
	s_delay_alu instid0(SALU_CYCLE_1)
	s_mov_b32 s4, exec_lo
	s_waitcnt_vscnt null, 0x0
	s_barrier
	buffer_gl0_inv
	v_cmpx_eq_u32_e32 5, v250
	s_cbranch_execz .LBB83_53
; %bb.47:
	ds_store_2addr_b64 v251, v[144:145], v[146:147] offset1:1
	ds_store_2addr_b64 v252, v[140:141], v[142:143] offset0:12 offset1:13
	ds_store_2addr_b64 v252, v[136:137], v[138:139] offset0:14 offset1:15
	;; [unrolled: 1-line block ×36, first 2 shown]
	ds_load_2addr_b64 v[168:171], v251 offset1:1
	s_waitcnt lgkmcnt(0)
	v_cmp_neq_f64_e32 vcc_lo, 0, v[168:169]
	v_cmp_neq_f64_e64 s3, 0, v[170:171]
	s_delay_alu instid0(VALU_DEP_1) | instskip(NEXT) | instid1(SALU_CYCLE_1)
	s_or_b32 s3, vcc_lo, s3
	s_and_b32 exec_lo, exec_lo, s3
	s_cbranch_execz .LBB83_53
; %bb.48:
	v_cmp_gt_f64_e32 vcc_lo, 0, v[168:169]
	v_xor_b32_e32 v172, 0x80000000, v169
	v_xor_b32_e32 v174, 0x80000000, v171
	s_mov_b32 s3, exec_lo
                                        ; implicit-def: $vgpr176_vgpr177
	s_delay_alu instid0(VALU_DEP_2) | instskip(SKIP_4) | instid1(VALU_DEP_1)
	v_cndmask_b32_e32 v173, v169, v172, vcc_lo
	v_cndmask_b32_e32 v172, v168, v168, vcc_lo
	v_cmp_gt_f64_e32 vcc_lo, 0, v[170:171]
	v_cndmask_b32_e32 v175, v171, v174, vcc_lo
	v_cndmask_b32_e32 v174, v170, v170, vcc_lo
	v_cmpx_ngt_f64_e32 v[172:173], v[174:175]
	s_xor_b32 s3, exec_lo, s3
                                        ; implicit-def: $vgpr172_vgpr173_vgpr174_vgpr175
	s_cbranch_execz .LBB83_50
; %bb.49:
	v_div_scale_f64 v[172:173], null, v[170:171], v[170:171], v[168:169]
	v_div_scale_f64 v[178:179], vcc_lo, v[168:169], v[170:171], v[168:169]
	s_delay_alu instid0(VALU_DEP_2) | instskip(SKIP_2) | instid1(VALU_DEP_1)
	v_rcp_f64_e32 v[174:175], v[172:173]
	s_waitcnt_depctr 0xfff
	v_fma_f64 v[176:177], -v[172:173], v[174:175], 1.0
	v_fma_f64 v[174:175], v[174:175], v[176:177], v[174:175]
	s_delay_alu instid0(VALU_DEP_1) | instskip(NEXT) | instid1(VALU_DEP_1)
	v_fma_f64 v[176:177], -v[172:173], v[174:175], 1.0
	v_fma_f64 v[174:175], v[174:175], v[176:177], v[174:175]
	s_delay_alu instid0(VALU_DEP_1) | instskip(NEXT) | instid1(VALU_DEP_1)
	v_mul_f64 v[176:177], v[178:179], v[174:175]
	v_fma_f64 v[172:173], -v[172:173], v[176:177], v[178:179]
	s_delay_alu instid0(VALU_DEP_1) | instskip(NEXT) | instid1(VALU_DEP_1)
	v_div_fmas_f64 v[172:173], v[172:173], v[174:175], v[176:177]
	v_div_fixup_f64 v[172:173], v[172:173], v[170:171], v[168:169]
	s_delay_alu instid0(VALU_DEP_1) | instskip(NEXT) | instid1(VALU_DEP_1)
	v_fma_f64 v[168:169], v[168:169], v[172:173], v[170:171]
	v_div_scale_f64 v[170:171], null, v[168:169], v[168:169], 1.0
	s_delay_alu instid0(VALU_DEP_1) | instskip(SKIP_2) | instid1(VALU_DEP_1)
	v_rcp_f64_e32 v[174:175], v[170:171]
	s_waitcnt_depctr 0xfff
	v_fma_f64 v[176:177], -v[170:171], v[174:175], 1.0
	v_fma_f64 v[174:175], v[174:175], v[176:177], v[174:175]
	s_delay_alu instid0(VALU_DEP_1) | instskip(NEXT) | instid1(VALU_DEP_1)
	v_fma_f64 v[176:177], -v[170:171], v[174:175], 1.0
	v_fma_f64 v[174:175], v[174:175], v[176:177], v[174:175]
	v_div_scale_f64 v[176:177], vcc_lo, 1.0, v[168:169], 1.0
	s_delay_alu instid0(VALU_DEP_1) | instskip(NEXT) | instid1(VALU_DEP_1)
	v_mul_f64 v[178:179], v[176:177], v[174:175]
	v_fma_f64 v[170:171], -v[170:171], v[178:179], v[176:177]
	s_delay_alu instid0(VALU_DEP_1) | instskip(NEXT) | instid1(VALU_DEP_1)
	v_div_fmas_f64 v[170:171], v[170:171], v[174:175], v[178:179]
	v_div_fixup_f64 v[174:175], v[170:171], v[168:169], 1.0
                                        ; implicit-def: $vgpr168_vgpr169
	s_delay_alu instid0(VALU_DEP_1)
	v_mul_f64 v[176:177], v[172:173], v[174:175]
	v_xor_b32_e32 v175, 0x80000000, v175
.LBB83_50:
	s_and_not1_saveexec_b32 s3, s3
	s_cbranch_execz .LBB83_52
; %bb.51:
	v_div_scale_f64 v[172:173], null, v[168:169], v[168:169], v[170:171]
	v_div_scale_f64 v[178:179], vcc_lo, v[170:171], v[168:169], v[170:171]
	s_delay_alu instid0(VALU_DEP_2) | instskip(SKIP_2) | instid1(VALU_DEP_1)
	v_rcp_f64_e32 v[174:175], v[172:173]
	s_waitcnt_depctr 0xfff
	v_fma_f64 v[176:177], -v[172:173], v[174:175], 1.0
	v_fma_f64 v[174:175], v[174:175], v[176:177], v[174:175]
	s_delay_alu instid0(VALU_DEP_1) | instskip(NEXT) | instid1(VALU_DEP_1)
	v_fma_f64 v[176:177], -v[172:173], v[174:175], 1.0
	v_fma_f64 v[174:175], v[174:175], v[176:177], v[174:175]
	s_delay_alu instid0(VALU_DEP_1) | instskip(NEXT) | instid1(VALU_DEP_1)
	v_mul_f64 v[176:177], v[178:179], v[174:175]
	v_fma_f64 v[172:173], -v[172:173], v[176:177], v[178:179]
	s_delay_alu instid0(VALU_DEP_1) | instskip(NEXT) | instid1(VALU_DEP_1)
	v_div_fmas_f64 v[172:173], v[172:173], v[174:175], v[176:177]
	v_div_fixup_f64 v[172:173], v[172:173], v[168:169], v[170:171]
	s_delay_alu instid0(VALU_DEP_1) | instskip(NEXT) | instid1(VALU_DEP_1)
	v_fma_f64 v[168:169], v[170:171], v[172:173], v[168:169]
	v_div_scale_f64 v[170:171], null, v[168:169], v[168:169], 1.0
	s_delay_alu instid0(VALU_DEP_1) | instskip(SKIP_2) | instid1(VALU_DEP_1)
	v_rcp_f64_e32 v[174:175], v[170:171]
	s_waitcnt_depctr 0xfff
	v_fma_f64 v[176:177], -v[170:171], v[174:175], 1.0
	v_fma_f64 v[174:175], v[174:175], v[176:177], v[174:175]
	s_delay_alu instid0(VALU_DEP_1) | instskip(NEXT) | instid1(VALU_DEP_1)
	v_fma_f64 v[176:177], -v[170:171], v[174:175], 1.0
	v_fma_f64 v[174:175], v[174:175], v[176:177], v[174:175]
	v_div_scale_f64 v[176:177], vcc_lo, 1.0, v[168:169], 1.0
	s_delay_alu instid0(VALU_DEP_1) | instskip(NEXT) | instid1(VALU_DEP_1)
	v_mul_f64 v[178:179], v[176:177], v[174:175]
	v_fma_f64 v[170:171], -v[170:171], v[178:179], v[176:177]
	s_delay_alu instid0(VALU_DEP_1) | instskip(NEXT) | instid1(VALU_DEP_1)
	v_div_fmas_f64 v[170:171], v[170:171], v[174:175], v[178:179]
	v_div_fixup_f64 v[176:177], v[170:171], v[168:169], 1.0
	s_delay_alu instid0(VALU_DEP_1)
	v_mul_f64 v[174:175], v[172:173], -v[176:177]
.LBB83_52:
	s_or_b32 exec_lo, exec_lo, s3
	ds_store_2addr_b64 v251, v[176:177], v[174:175] offset1:1
.LBB83_53:
	s_or_b32 exec_lo, exec_lo, s4
	s_waitcnt lgkmcnt(0)
	s_barrier
	buffer_gl0_inv
	ds_load_2addr_b64 v[168:171], v251 offset1:1
	s_mov_b32 s3, exec_lo
	s_waitcnt lgkmcnt(0)
	scratch_store_b128 off, v[168:171], off offset:448 ; 16-byte Folded Spill
	v_cmpx_lt_u32_e32 5, v250
	s_cbranch_execz .LBB83_55
; %bb.54:
	scratch_load_b128 v[170:173], off, off offset:448 ; 16-byte Folded Reload
	s_waitcnt vmcnt(0)
	v_mul_f64 v[168:169], v[172:173], v[146:147]
	v_mul_f64 v[146:147], v[170:171], v[146:147]
	s_delay_alu instid0(VALU_DEP_2) | instskip(NEXT) | instid1(VALU_DEP_2)
	v_fma_f64 v[168:169], v[170:171], v[144:145], -v[168:169]
	v_fma_f64 v[146:147], v[172:173], v[144:145], v[146:147]
	ds_load_2addr_b64 v[170:173], v252 offset0:12 offset1:13
	s_waitcnt lgkmcnt(0)
	v_mul_f64 v[144:145], v[172:173], v[146:147]
	s_delay_alu instid0(VALU_DEP_1) | instskip(SKIP_1) | instid1(VALU_DEP_2)
	v_fma_f64 v[144:145], v[170:171], v[168:169], -v[144:145]
	v_mul_f64 v[170:171], v[170:171], v[146:147]
	v_add_f64 v[140:141], v[140:141], -v[144:145]
	s_delay_alu instid0(VALU_DEP_2) | instskip(NEXT) | instid1(VALU_DEP_1)
	v_fma_f64 v[170:171], v[172:173], v[168:169], v[170:171]
	v_add_f64 v[142:143], v[142:143], -v[170:171]
	ds_load_2addr_b64 v[170:173], v252 offset0:14 offset1:15
	s_waitcnt lgkmcnt(0)
	v_mul_f64 v[144:145], v[172:173], v[146:147]
	s_delay_alu instid0(VALU_DEP_1) | instskip(SKIP_1) | instid1(VALU_DEP_2)
	v_fma_f64 v[144:145], v[170:171], v[168:169], -v[144:145]
	v_mul_f64 v[170:171], v[170:171], v[146:147]
	v_add_f64 v[136:137], v[136:137], -v[144:145]
	s_delay_alu instid0(VALU_DEP_2) | instskip(NEXT) | instid1(VALU_DEP_1)
	v_fma_f64 v[170:171], v[172:173], v[168:169], v[170:171]
	v_add_f64 v[138:139], v[138:139], -v[170:171]
	;; [unrolled: 10-line block ×35, first 2 shown]
	ds_load_2addr_b64 v[170:173], v252 offset0:82 offset1:83
	s_waitcnt lgkmcnt(0)
	v_mul_f64 v[144:145], v[172:173], v[146:147]
	s_delay_alu instid0(VALU_DEP_1) | instskip(SKIP_1) | instid1(VALU_DEP_2)
	v_fma_f64 v[144:145], v[170:171], v[168:169], -v[144:145]
	v_mul_f64 v[170:171], v[170:171], v[146:147]
	v_add_f64 v[0:1], v[0:1], -v[144:145]
	s_delay_alu instid0(VALU_DEP_2) | instskip(SKIP_1) | instid1(VALU_DEP_2)
	v_fma_f64 v[170:171], v[172:173], v[168:169], v[170:171]
	v_dual_mov_b32 v144, v168 :: v_dual_mov_b32 v145, v169
	v_add_f64 v[2:3], v[2:3], -v[170:171]
.LBB83_55:
	s_or_b32 exec_lo, exec_lo, s3
	s_delay_alu instid0(SALU_CYCLE_1)
	s_mov_b32 s4, exec_lo
	s_waitcnt_vscnt null, 0x0
	s_barrier
	buffer_gl0_inv
	v_cmpx_eq_u32_e32 6, v250
	s_cbranch_execz .LBB83_62
; %bb.56:
	ds_store_2addr_b64 v251, v[140:141], v[142:143] offset1:1
	ds_store_2addr_b64 v252, v[136:137], v[138:139] offset0:14 offset1:15
	ds_store_2addr_b64 v252, v[132:133], v[134:135] offset0:16 offset1:17
	;; [unrolled: 1-line block ×35, first 2 shown]
	ds_load_2addr_b64 v[168:171], v251 offset1:1
	s_waitcnt lgkmcnt(0)
	v_cmp_neq_f64_e32 vcc_lo, 0, v[168:169]
	v_cmp_neq_f64_e64 s3, 0, v[170:171]
	s_delay_alu instid0(VALU_DEP_1) | instskip(NEXT) | instid1(SALU_CYCLE_1)
	s_or_b32 s3, vcc_lo, s3
	s_and_b32 exec_lo, exec_lo, s3
	s_cbranch_execz .LBB83_62
; %bb.57:
	v_cmp_gt_f64_e32 vcc_lo, 0, v[168:169]
	v_xor_b32_e32 v172, 0x80000000, v169
	v_xor_b32_e32 v174, 0x80000000, v171
	s_mov_b32 s3, exec_lo
                                        ; implicit-def: $vgpr176_vgpr177
	s_delay_alu instid0(VALU_DEP_2) | instskip(SKIP_4) | instid1(VALU_DEP_1)
	v_cndmask_b32_e32 v173, v169, v172, vcc_lo
	v_cndmask_b32_e32 v172, v168, v168, vcc_lo
	v_cmp_gt_f64_e32 vcc_lo, 0, v[170:171]
	v_cndmask_b32_e32 v175, v171, v174, vcc_lo
	v_cndmask_b32_e32 v174, v170, v170, vcc_lo
	v_cmpx_ngt_f64_e32 v[172:173], v[174:175]
	s_xor_b32 s3, exec_lo, s3
                                        ; implicit-def: $vgpr172_vgpr173_vgpr174_vgpr175
	s_cbranch_execz .LBB83_59
; %bb.58:
	v_div_scale_f64 v[172:173], null, v[170:171], v[170:171], v[168:169]
	v_div_scale_f64 v[178:179], vcc_lo, v[168:169], v[170:171], v[168:169]
	s_delay_alu instid0(VALU_DEP_2) | instskip(SKIP_2) | instid1(VALU_DEP_1)
	v_rcp_f64_e32 v[174:175], v[172:173]
	s_waitcnt_depctr 0xfff
	v_fma_f64 v[176:177], -v[172:173], v[174:175], 1.0
	v_fma_f64 v[174:175], v[174:175], v[176:177], v[174:175]
	s_delay_alu instid0(VALU_DEP_1) | instskip(NEXT) | instid1(VALU_DEP_1)
	v_fma_f64 v[176:177], -v[172:173], v[174:175], 1.0
	v_fma_f64 v[174:175], v[174:175], v[176:177], v[174:175]
	s_delay_alu instid0(VALU_DEP_1) | instskip(NEXT) | instid1(VALU_DEP_1)
	v_mul_f64 v[176:177], v[178:179], v[174:175]
	v_fma_f64 v[172:173], -v[172:173], v[176:177], v[178:179]
	s_delay_alu instid0(VALU_DEP_1) | instskip(NEXT) | instid1(VALU_DEP_1)
	v_div_fmas_f64 v[172:173], v[172:173], v[174:175], v[176:177]
	v_div_fixup_f64 v[172:173], v[172:173], v[170:171], v[168:169]
	s_delay_alu instid0(VALU_DEP_1) | instskip(NEXT) | instid1(VALU_DEP_1)
	v_fma_f64 v[168:169], v[168:169], v[172:173], v[170:171]
	v_div_scale_f64 v[170:171], null, v[168:169], v[168:169], 1.0
	s_delay_alu instid0(VALU_DEP_1) | instskip(SKIP_2) | instid1(VALU_DEP_1)
	v_rcp_f64_e32 v[174:175], v[170:171]
	s_waitcnt_depctr 0xfff
	v_fma_f64 v[176:177], -v[170:171], v[174:175], 1.0
	v_fma_f64 v[174:175], v[174:175], v[176:177], v[174:175]
	s_delay_alu instid0(VALU_DEP_1) | instskip(NEXT) | instid1(VALU_DEP_1)
	v_fma_f64 v[176:177], -v[170:171], v[174:175], 1.0
	v_fma_f64 v[174:175], v[174:175], v[176:177], v[174:175]
	v_div_scale_f64 v[176:177], vcc_lo, 1.0, v[168:169], 1.0
	s_delay_alu instid0(VALU_DEP_1) | instskip(NEXT) | instid1(VALU_DEP_1)
	v_mul_f64 v[178:179], v[176:177], v[174:175]
	v_fma_f64 v[170:171], -v[170:171], v[178:179], v[176:177]
	s_delay_alu instid0(VALU_DEP_1) | instskip(NEXT) | instid1(VALU_DEP_1)
	v_div_fmas_f64 v[170:171], v[170:171], v[174:175], v[178:179]
	v_div_fixup_f64 v[174:175], v[170:171], v[168:169], 1.0
                                        ; implicit-def: $vgpr168_vgpr169
	s_delay_alu instid0(VALU_DEP_1)
	v_mul_f64 v[176:177], v[172:173], v[174:175]
	v_xor_b32_e32 v175, 0x80000000, v175
.LBB83_59:
	s_and_not1_saveexec_b32 s3, s3
	s_cbranch_execz .LBB83_61
; %bb.60:
	v_div_scale_f64 v[172:173], null, v[168:169], v[168:169], v[170:171]
	v_div_scale_f64 v[178:179], vcc_lo, v[170:171], v[168:169], v[170:171]
	s_delay_alu instid0(VALU_DEP_2) | instskip(SKIP_2) | instid1(VALU_DEP_1)
	v_rcp_f64_e32 v[174:175], v[172:173]
	s_waitcnt_depctr 0xfff
	v_fma_f64 v[176:177], -v[172:173], v[174:175], 1.0
	v_fma_f64 v[174:175], v[174:175], v[176:177], v[174:175]
	s_delay_alu instid0(VALU_DEP_1) | instskip(NEXT) | instid1(VALU_DEP_1)
	v_fma_f64 v[176:177], -v[172:173], v[174:175], 1.0
	v_fma_f64 v[174:175], v[174:175], v[176:177], v[174:175]
	s_delay_alu instid0(VALU_DEP_1) | instskip(NEXT) | instid1(VALU_DEP_1)
	v_mul_f64 v[176:177], v[178:179], v[174:175]
	v_fma_f64 v[172:173], -v[172:173], v[176:177], v[178:179]
	s_delay_alu instid0(VALU_DEP_1) | instskip(NEXT) | instid1(VALU_DEP_1)
	v_div_fmas_f64 v[172:173], v[172:173], v[174:175], v[176:177]
	v_div_fixup_f64 v[172:173], v[172:173], v[168:169], v[170:171]
	s_delay_alu instid0(VALU_DEP_1) | instskip(NEXT) | instid1(VALU_DEP_1)
	v_fma_f64 v[168:169], v[170:171], v[172:173], v[168:169]
	v_div_scale_f64 v[170:171], null, v[168:169], v[168:169], 1.0
	s_delay_alu instid0(VALU_DEP_1) | instskip(SKIP_2) | instid1(VALU_DEP_1)
	v_rcp_f64_e32 v[174:175], v[170:171]
	s_waitcnt_depctr 0xfff
	v_fma_f64 v[176:177], -v[170:171], v[174:175], 1.0
	v_fma_f64 v[174:175], v[174:175], v[176:177], v[174:175]
	s_delay_alu instid0(VALU_DEP_1) | instskip(NEXT) | instid1(VALU_DEP_1)
	v_fma_f64 v[176:177], -v[170:171], v[174:175], 1.0
	v_fma_f64 v[174:175], v[174:175], v[176:177], v[174:175]
	v_div_scale_f64 v[176:177], vcc_lo, 1.0, v[168:169], 1.0
	s_delay_alu instid0(VALU_DEP_1) | instskip(NEXT) | instid1(VALU_DEP_1)
	v_mul_f64 v[178:179], v[176:177], v[174:175]
	v_fma_f64 v[170:171], -v[170:171], v[178:179], v[176:177]
	s_delay_alu instid0(VALU_DEP_1) | instskip(NEXT) | instid1(VALU_DEP_1)
	v_div_fmas_f64 v[170:171], v[170:171], v[174:175], v[178:179]
	v_div_fixup_f64 v[176:177], v[170:171], v[168:169], 1.0
	s_delay_alu instid0(VALU_DEP_1)
	v_mul_f64 v[174:175], v[172:173], -v[176:177]
.LBB83_61:
	s_or_b32 exec_lo, exec_lo, s3
	ds_store_2addr_b64 v251, v[176:177], v[174:175] offset1:1
.LBB83_62:
	s_or_b32 exec_lo, exec_lo, s4
	s_waitcnt lgkmcnt(0)
	s_barrier
	buffer_gl0_inv
	ds_load_2addr_b64 v[168:171], v251 offset1:1
	s_mov_b32 s3, exec_lo
	s_waitcnt lgkmcnt(0)
	scratch_store_b128 off, v[168:171], off offset:464 ; 16-byte Folded Spill
	v_cmpx_lt_u32_e32 6, v250
	s_cbranch_execz .LBB83_64
; %bb.63:
	scratch_load_b128 v[170:173], off, off offset:464 ; 16-byte Folded Reload
	s_waitcnt vmcnt(0)
	v_mul_f64 v[168:169], v[172:173], v[142:143]
	v_mul_f64 v[142:143], v[170:171], v[142:143]
	s_delay_alu instid0(VALU_DEP_2) | instskip(NEXT) | instid1(VALU_DEP_2)
	v_fma_f64 v[168:169], v[170:171], v[140:141], -v[168:169]
	v_fma_f64 v[142:143], v[172:173], v[140:141], v[142:143]
	ds_load_2addr_b64 v[170:173], v252 offset0:14 offset1:15
	s_waitcnt lgkmcnt(0)
	v_mul_f64 v[140:141], v[172:173], v[142:143]
	s_delay_alu instid0(VALU_DEP_1) | instskip(SKIP_1) | instid1(VALU_DEP_2)
	v_fma_f64 v[140:141], v[170:171], v[168:169], -v[140:141]
	v_mul_f64 v[170:171], v[170:171], v[142:143]
	v_add_f64 v[136:137], v[136:137], -v[140:141]
	s_delay_alu instid0(VALU_DEP_2) | instskip(NEXT) | instid1(VALU_DEP_1)
	v_fma_f64 v[170:171], v[172:173], v[168:169], v[170:171]
	v_add_f64 v[138:139], v[138:139], -v[170:171]
	ds_load_2addr_b64 v[170:173], v252 offset0:16 offset1:17
	s_waitcnt lgkmcnt(0)
	v_mul_f64 v[140:141], v[172:173], v[142:143]
	s_delay_alu instid0(VALU_DEP_1) | instskip(SKIP_1) | instid1(VALU_DEP_2)
	v_fma_f64 v[140:141], v[170:171], v[168:169], -v[140:141]
	v_mul_f64 v[170:171], v[170:171], v[142:143]
	v_add_f64 v[132:133], v[132:133], -v[140:141]
	s_delay_alu instid0(VALU_DEP_2) | instskip(NEXT) | instid1(VALU_DEP_1)
	v_fma_f64 v[170:171], v[172:173], v[168:169], v[170:171]
	v_add_f64 v[134:135], v[134:135], -v[170:171]
	ds_load_2addr_b64 v[170:173], v252 offset0:18 offset1:19
	s_waitcnt lgkmcnt(0)
	v_mul_f64 v[140:141], v[172:173], v[142:143]
	s_delay_alu instid0(VALU_DEP_1) | instskip(SKIP_1) | instid1(VALU_DEP_2)
	v_fma_f64 v[140:141], v[170:171], v[168:169], -v[140:141]
	v_mul_f64 v[170:171], v[170:171], v[142:143]
	v_add_f64 v[128:129], v[128:129], -v[140:141]
	s_delay_alu instid0(VALU_DEP_2) | instskip(NEXT) | instid1(VALU_DEP_1)
	v_fma_f64 v[170:171], v[172:173], v[168:169], v[170:171]
	v_add_f64 v[130:131], v[130:131], -v[170:171]
	ds_load_2addr_b64 v[170:173], v252 offset0:20 offset1:21
	s_waitcnt lgkmcnt(0)
	v_mul_f64 v[140:141], v[172:173], v[142:143]
	s_delay_alu instid0(VALU_DEP_1) | instskip(SKIP_1) | instid1(VALU_DEP_2)
	v_fma_f64 v[140:141], v[170:171], v[168:169], -v[140:141]
	v_mul_f64 v[170:171], v[170:171], v[142:143]
	v_add_f64 v[124:125], v[124:125], -v[140:141]
	s_delay_alu instid0(VALU_DEP_2) | instskip(NEXT) | instid1(VALU_DEP_1)
	v_fma_f64 v[170:171], v[172:173], v[168:169], v[170:171]
	v_add_f64 v[126:127], v[126:127], -v[170:171]
	ds_load_2addr_b64 v[170:173], v252 offset0:22 offset1:23
	s_waitcnt lgkmcnt(0)
	v_mul_f64 v[140:141], v[172:173], v[142:143]
	s_delay_alu instid0(VALU_DEP_1) | instskip(SKIP_1) | instid1(VALU_DEP_2)
	v_fma_f64 v[140:141], v[170:171], v[168:169], -v[140:141]
	v_mul_f64 v[170:171], v[170:171], v[142:143]
	v_add_f64 v[120:121], v[120:121], -v[140:141]
	s_delay_alu instid0(VALU_DEP_2) | instskip(NEXT) | instid1(VALU_DEP_1)
	v_fma_f64 v[170:171], v[172:173], v[168:169], v[170:171]
	v_add_f64 v[122:123], v[122:123], -v[170:171]
	ds_load_2addr_b64 v[170:173], v252 offset0:24 offset1:25
	s_waitcnt lgkmcnt(0)
	v_mul_f64 v[140:141], v[172:173], v[142:143]
	s_delay_alu instid0(VALU_DEP_1) | instskip(SKIP_1) | instid1(VALU_DEP_2)
	v_fma_f64 v[140:141], v[170:171], v[168:169], -v[140:141]
	v_mul_f64 v[170:171], v[170:171], v[142:143]
	v_add_f64 v[116:117], v[116:117], -v[140:141]
	s_delay_alu instid0(VALU_DEP_2) | instskip(NEXT) | instid1(VALU_DEP_1)
	v_fma_f64 v[170:171], v[172:173], v[168:169], v[170:171]
	v_add_f64 v[118:119], v[118:119], -v[170:171]
	ds_load_2addr_b64 v[170:173], v252 offset0:26 offset1:27
	s_waitcnt lgkmcnt(0)
	v_mul_f64 v[140:141], v[172:173], v[142:143]
	s_delay_alu instid0(VALU_DEP_1) | instskip(SKIP_1) | instid1(VALU_DEP_2)
	v_fma_f64 v[140:141], v[170:171], v[168:169], -v[140:141]
	v_mul_f64 v[170:171], v[170:171], v[142:143]
	v_add_f64 v[112:113], v[112:113], -v[140:141]
	s_delay_alu instid0(VALU_DEP_2) | instskip(NEXT) | instid1(VALU_DEP_1)
	v_fma_f64 v[170:171], v[172:173], v[168:169], v[170:171]
	v_add_f64 v[114:115], v[114:115], -v[170:171]
	ds_load_2addr_b64 v[170:173], v252 offset0:28 offset1:29
	s_waitcnt lgkmcnt(0)
	v_mul_f64 v[140:141], v[172:173], v[142:143]
	s_delay_alu instid0(VALU_DEP_1) | instskip(SKIP_1) | instid1(VALU_DEP_2)
	v_fma_f64 v[140:141], v[170:171], v[168:169], -v[140:141]
	v_mul_f64 v[170:171], v[170:171], v[142:143]
	v_add_f64 v[108:109], v[108:109], -v[140:141]
	s_delay_alu instid0(VALU_DEP_2) | instskip(NEXT) | instid1(VALU_DEP_1)
	v_fma_f64 v[170:171], v[172:173], v[168:169], v[170:171]
	v_add_f64 v[110:111], v[110:111], -v[170:171]
	ds_load_2addr_b64 v[170:173], v252 offset0:30 offset1:31
	s_waitcnt lgkmcnt(0)
	v_mul_f64 v[140:141], v[172:173], v[142:143]
	s_delay_alu instid0(VALU_DEP_1) | instskip(SKIP_1) | instid1(VALU_DEP_2)
	v_fma_f64 v[140:141], v[170:171], v[168:169], -v[140:141]
	v_mul_f64 v[170:171], v[170:171], v[142:143]
	v_add_f64 v[104:105], v[104:105], -v[140:141]
	s_delay_alu instid0(VALU_DEP_2) | instskip(NEXT) | instid1(VALU_DEP_1)
	v_fma_f64 v[170:171], v[172:173], v[168:169], v[170:171]
	v_add_f64 v[106:107], v[106:107], -v[170:171]
	ds_load_2addr_b64 v[170:173], v252 offset0:32 offset1:33
	s_waitcnt lgkmcnt(0)
	v_mul_f64 v[140:141], v[172:173], v[142:143]
	s_delay_alu instid0(VALU_DEP_1) | instskip(SKIP_1) | instid1(VALU_DEP_2)
	v_fma_f64 v[140:141], v[170:171], v[168:169], -v[140:141]
	v_mul_f64 v[170:171], v[170:171], v[142:143]
	v_add_f64 v[100:101], v[100:101], -v[140:141]
	s_delay_alu instid0(VALU_DEP_2) | instskip(NEXT) | instid1(VALU_DEP_1)
	v_fma_f64 v[170:171], v[172:173], v[168:169], v[170:171]
	v_add_f64 v[102:103], v[102:103], -v[170:171]
	ds_load_2addr_b64 v[170:173], v252 offset0:34 offset1:35
	s_waitcnt lgkmcnt(0)
	v_mul_f64 v[140:141], v[172:173], v[142:143]
	s_delay_alu instid0(VALU_DEP_1) | instskip(SKIP_1) | instid1(VALU_DEP_2)
	v_fma_f64 v[140:141], v[170:171], v[168:169], -v[140:141]
	v_mul_f64 v[170:171], v[170:171], v[142:143]
	v_add_f64 v[96:97], v[96:97], -v[140:141]
	s_delay_alu instid0(VALU_DEP_2) | instskip(NEXT) | instid1(VALU_DEP_1)
	v_fma_f64 v[170:171], v[172:173], v[168:169], v[170:171]
	v_add_f64 v[98:99], v[98:99], -v[170:171]
	ds_load_2addr_b64 v[170:173], v252 offset0:36 offset1:37
	s_waitcnt lgkmcnt(0)
	v_mul_f64 v[140:141], v[172:173], v[142:143]
	s_delay_alu instid0(VALU_DEP_1) | instskip(SKIP_1) | instid1(VALU_DEP_2)
	v_fma_f64 v[140:141], v[170:171], v[168:169], -v[140:141]
	v_mul_f64 v[170:171], v[170:171], v[142:143]
	v_add_f64 v[92:93], v[92:93], -v[140:141]
	s_delay_alu instid0(VALU_DEP_2) | instskip(NEXT) | instid1(VALU_DEP_1)
	v_fma_f64 v[170:171], v[172:173], v[168:169], v[170:171]
	v_add_f64 v[94:95], v[94:95], -v[170:171]
	ds_load_2addr_b64 v[170:173], v252 offset0:38 offset1:39
	s_waitcnt lgkmcnt(0)
	v_mul_f64 v[140:141], v[172:173], v[142:143]
	s_delay_alu instid0(VALU_DEP_1) | instskip(SKIP_1) | instid1(VALU_DEP_2)
	v_fma_f64 v[140:141], v[170:171], v[168:169], -v[140:141]
	v_mul_f64 v[170:171], v[170:171], v[142:143]
	v_add_f64 v[88:89], v[88:89], -v[140:141]
	s_delay_alu instid0(VALU_DEP_2) | instskip(NEXT) | instid1(VALU_DEP_1)
	v_fma_f64 v[170:171], v[172:173], v[168:169], v[170:171]
	v_add_f64 v[90:91], v[90:91], -v[170:171]
	ds_load_2addr_b64 v[170:173], v252 offset0:40 offset1:41
	s_waitcnt lgkmcnt(0)
	v_mul_f64 v[140:141], v[172:173], v[142:143]
	s_delay_alu instid0(VALU_DEP_1) | instskip(SKIP_1) | instid1(VALU_DEP_2)
	v_fma_f64 v[140:141], v[170:171], v[168:169], -v[140:141]
	v_mul_f64 v[170:171], v[170:171], v[142:143]
	v_add_f64 v[84:85], v[84:85], -v[140:141]
	s_delay_alu instid0(VALU_DEP_2) | instskip(NEXT) | instid1(VALU_DEP_1)
	v_fma_f64 v[170:171], v[172:173], v[168:169], v[170:171]
	v_add_f64 v[86:87], v[86:87], -v[170:171]
	ds_load_2addr_b64 v[170:173], v252 offset0:42 offset1:43
	s_waitcnt lgkmcnt(0)
	v_mul_f64 v[140:141], v[172:173], v[142:143]
	s_delay_alu instid0(VALU_DEP_1) | instskip(SKIP_1) | instid1(VALU_DEP_2)
	v_fma_f64 v[140:141], v[170:171], v[168:169], -v[140:141]
	v_mul_f64 v[170:171], v[170:171], v[142:143]
	v_add_f64 v[80:81], v[80:81], -v[140:141]
	s_delay_alu instid0(VALU_DEP_2) | instskip(NEXT) | instid1(VALU_DEP_1)
	v_fma_f64 v[170:171], v[172:173], v[168:169], v[170:171]
	v_add_f64 v[82:83], v[82:83], -v[170:171]
	ds_load_2addr_b64 v[170:173], v252 offset0:44 offset1:45
	s_waitcnt lgkmcnt(0)
	v_mul_f64 v[140:141], v[172:173], v[142:143]
	s_delay_alu instid0(VALU_DEP_1) | instskip(SKIP_1) | instid1(VALU_DEP_2)
	v_fma_f64 v[140:141], v[170:171], v[168:169], -v[140:141]
	v_mul_f64 v[170:171], v[170:171], v[142:143]
	v_add_f64 v[76:77], v[76:77], -v[140:141]
	s_delay_alu instid0(VALU_DEP_2) | instskip(NEXT) | instid1(VALU_DEP_1)
	v_fma_f64 v[170:171], v[172:173], v[168:169], v[170:171]
	v_add_f64 v[78:79], v[78:79], -v[170:171]
	ds_load_2addr_b64 v[170:173], v252 offset0:46 offset1:47
	s_waitcnt lgkmcnt(0)
	v_mul_f64 v[140:141], v[172:173], v[142:143]
	s_delay_alu instid0(VALU_DEP_1) | instskip(SKIP_1) | instid1(VALU_DEP_2)
	v_fma_f64 v[140:141], v[170:171], v[168:169], -v[140:141]
	v_mul_f64 v[170:171], v[170:171], v[142:143]
	v_add_f64 v[72:73], v[72:73], -v[140:141]
	s_delay_alu instid0(VALU_DEP_2) | instskip(NEXT) | instid1(VALU_DEP_1)
	v_fma_f64 v[170:171], v[172:173], v[168:169], v[170:171]
	v_add_f64 v[74:75], v[74:75], -v[170:171]
	ds_load_2addr_b64 v[170:173], v252 offset0:48 offset1:49
	s_waitcnt lgkmcnt(0)
	v_mul_f64 v[140:141], v[172:173], v[142:143]
	s_delay_alu instid0(VALU_DEP_1) | instskip(SKIP_1) | instid1(VALU_DEP_2)
	v_fma_f64 v[140:141], v[170:171], v[168:169], -v[140:141]
	v_mul_f64 v[170:171], v[170:171], v[142:143]
	v_add_f64 v[68:69], v[68:69], -v[140:141]
	s_delay_alu instid0(VALU_DEP_2) | instskip(NEXT) | instid1(VALU_DEP_1)
	v_fma_f64 v[170:171], v[172:173], v[168:169], v[170:171]
	v_add_f64 v[70:71], v[70:71], -v[170:171]
	ds_load_2addr_b64 v[170:173], v252 offset0:50 offset1:51
	s_waitcnt lgkmcnt(0)
	v_mul_f64 v[140:141], v[172:173], v[142:143]
	s_delay_alu instid0(VALU_DEP_1) | instskip(SKIP_1) | instid1(VALU_DEP_2)
	v_fma_f64 v[140:141], v[170:171], v[168:169], -v[140:141]
	v_mul_f64 v[170:171], v[170:171], v[142:143]
	v_add_f64 v[64:65], v[64:65], -v[140:141]
	s_delay_alu instid0(VALU_DEP_2) | instskip(NEXT) | instid1(VALU_DEP_1)
	v_fma_f64 v[170:171], v[172:173], v[168:169], v[170:171]
	v_add_f64 v[66:67], v[66:67], -v[170:171]
	ds_load_2addr_b64 v[170:173], v252 offset0:52 offset1:53
	s_waitcnt lgkmcnt(0)
	v_mul_f64 v[140:141], v[172:173], v[142:143]
	s_delay_alu instid0(VALU_DEP_1) | instskip(SKIP_1) | instid1(VALU_DEP_2)
	v_fma_f64 v[140:141], v[170:171], v[168:169], -v[140:141]
	v_mul_f64 v[170:171], v[170:171], v[142:143]
	v_add_f64 v[60:61], v[60:61], -v[140:141]
	s_delay_alu instid0(VALU_DEP_2) | instskip(NEXT) | instid1(VALU_DEP_1)
	v_fma_f64 v[170:171], v[172:173], v[168:169], v[170:171]
	v_add_f64 v[62:63], v[62:63], -v[170:171]
	ds_load_2addr_b64 v[170:173], v252 offset0:54 offset1:55
	s_waitcnt lgkmcnt(0)
	v_mul_f64 v[140:141], v[172:173], v[142:143]
	s_delay_alu instid0(VALU_DEP_1) | instskip(SKIP_1) | instid1(VALU_DEP_2)
	v_fma_f64 v[140:141], v[170:171], v[168:169], -v[140:141]
	v_mul_f64 v[170:171], v[170:171], v[142:143]
	v_add_f64 v[56:57], v[56:57], -v[140:141]
	s_delay_alu instid0(VALU_DEP_2) | instskip(NEXT) | instid1(VALU_DEP_1)
	v_fma_f64 v[170:171], v[172:173], v[168:169], v[170:171]
	v_add_f64 v[58:59], v[58:59], -v[170:171]
	ds_load_2addr_b64 v[170:173], v252 offset0:56 offset1:57
	s_waitcnt lgkmcnt(0)
	v_mul_f64 v[140:141], v[172:173], v[142:143]
	s_delay_alu instid0(VALU_DEP_1) | instskip(SKIP_1) | instid1(VALU_DEP_2)
	v_fma_f64 v[140:141], v[170:171], v[168:169], -v[140:141]
	v_mul_f64 v[170:171], v[170:171], v[142:143]
	v_add_f64 v[52:53], v[52:53], -v[140:141]
	s_delay_alu instid0(VALU_DEP_2) | instskip(NEXT) | instid1(VALU_DEP_1)
	v_fma_f64 v[170:171], v[172:173], v[168:169], v[170:171]
	v_add_f64 v[54:55], v[54:55], -v[170:171]
	ds_load_2addr_b64 v[170:173], v252 offset0:58 offset1:59
	s_waitcnt lgkmcnt(0)
	v_mul_f64 v[140:141], v[172:173], v[142:143]
	s_delay_alu instid0(VALU_DEP_1) | instskip(SKIP_1) | instid1(VALU_DEP_2)
	v_fma_f64 v[140:141], v[170:171], v[168:169], -v[140:141]
	v_mul_f64 v[170:171], v[170:171], v[142:143]
	v_add_f64 v[48:49], v[48:49], -v[140:141]
	s_delay_alu instid0(VALU_DEP_2) | instskip(NEXT) | instid1(VALU_DEP_1)
	v_fma_f64 v[170:171], v[172:173], v[168:169], v[170:171]
	v_add_f64 v[50:51], v[50:51], -v[170:171]
	ds_load_2addr_b64 v[170:173], v252 offset0:60 offset1:61
	s_waitcnt lgkmcnt(0)
	v_mul_f64 v[140:141], v[172:173], v[142:143]
	s_delay_alu instid0(VALU_DEP_1) | instskip(SKIP_1) | instid1(VALU_DEP_2)
	v_fma_f64 v[140:141], v[170:171], v[168:169], -v[140:141]
	v_mul_f64 v[170:171], v[170:171], v[142:143]
	v_add_f64 v[44:45], v[44:45], -v[140:141]
	s_delay_alu instid0(VALU_DEP_2) | instskip(NEXT) | instid1(VALU_DEP_1)
	v_fma_f64 v[170:171], v[172:173], v[168:169], v[170:171]
	v_add_f64 v[46:47], v[46:47], -v[170:171]
	ds_load_2addr_b64 v[170:173], v252 offset0:62 offset1:63
	s_waitcnt lgkmcnt(0)
	v_mul_f64 v[140:141], v[172:173], v[142:143]
	s_delay_alu instid0(VALU_DEP_1) | instskip(SKIP_1) | instid1(VALU_DEP_2)
	v_fma_f64 v[140:141], v[170:171], v[168:169], -v[140:141]
	v_mul_f64 v[170:171], v[170:171], v[142:143]
	v_add_f64 v[40:41], v[40:41], -v[140:141]
	s_delay_alu instid0(VALU_DEP_2) | instskip(NEXT) | instid1(VALU_DEP_1)
	v_fma_f64 v[170:171], v[172:173], v[168:169], v[170:171]
	v_add_f64 v[42:43], v[42:43], -v[170:171]
	ds_load_2addr_b64 v[170:173], v252 offset0:64 offset1:65
	s_waitcnt lgkmcnt(0)
	v_mul_f64 v[140:141], v[172:173], v[142:143]
	s_delay_alu instid0(VALU_DEP_1) | instskip(SKIP_1) | instid1(VALU_DEP_2)
	v_fma_f64 v[140:141], v[170:171], v[168:169], -v[140:141]
	v_mul_f64 v[170:171], v[170:171], v[142:143]
	v_add_f64 v[36:37], v[36:37], -v[140:141]
	s_delay_alu instid0(VALU_DEP_2) | instskip(NEXT) | instid1(VALU_DEP_1)
	v_fma_f64 v[170:171], v[172:173], v[168:169], v[170:171]
	v_add_f64 v[38:39], v[38:39], -v[170:171]
	ds_load_2addr_b64 v[170:173], v252 offset0:66 offset1:67
	s_waitcnt lgkmcnt(0)
	v_mul_f64 v[140:141], v[172:173], v[142:143]
	s_delay_alu instid0(VALU_DEP_1) | instskip(SKIP_1) | instid1(VALU_DEP_2)
	v_fma_f64 v[140:141], v[170:171], v[168:169], -v[140:141]
	v_mul_f64 v[170:171], v[170:171], v[142:143]
	v_add_f64 v[32:33], v[32:33], -v[140:141]
	s_delay_alu instid0(VALU_DEP_2) | instskip(NEXT) | instid1(VALU_DEP_1)
	v_fma_f64 v[170:171], v[172:173], v[168:169], v[170:171]
	v_add_f64 v[34:35], v[34:35], -v[170:171]
	ds_load_2addr_b64 v[170:173], v252 offset0:68 offset1:69
	s_waitcnt lgkmcnt(0)
	v_mul_f64 v[140:141], v[172:173], v[142:143]
	s_delay_alu instid0(VALU_DEP_1) | instskip(SKIP_1) | instid1(VALU_DEP_2)
	v_fma_f64 v[140:141], v[170:171], v[168:169], -v[140:141]
	v_mul_f64 v[170:171], v[170:171], v[142:143]
	v_add_f64 v[28:29], v[28:29], -v[140:141]
	s_delay_alu instid0(VALU_DEP_2) | instskip(NEXT) | instid1(VALU_DEP_1)
	v_fma_f64 v[170:171], v[172:173], v[168:169], v[170:171]
	v_add_f64 v[30:31], v[30:31], -v[170:171]
	ds_load_2addr_b64 v[170:173], v252 offset0:70 offset1:71
	s_waitcnt lgkmcnt(0)
	v_mul_f64 v[140:141], v[172:173], v[142:143]
	s_delay_alu instid0(VALU_DEP_1) | instskip(SKIP_1) | instid1(VALU_DEP_2)
	v_fma_f64 v[140:141], v[170:171], v[168:169], -v[140:141]
	v_mul_f64 v[170:171], v[170:171], v[142:143]
	v_add_f64 v[24:25], v[24:25], -v[140:141]
	s_delay_alu instid0(VALU_DEP_2) | instskip(NEXT) | instid1(VALU_DEP_1)
	v_fma_f64 v[170:171], v[172:173], v[168:169], v[170:171]
	v_add_f64 v[26:27], v[26:27], -v[170:171]
	ds_load_2addr_b64 v[170:173], v252 offset0:72 offset1:73
	s_waitcnt lgkmcnt(0)
	v_mul_f64 v[140:141], v[172:173], v[142:143]
	s_delay_alu instid0(VALU_DEP_1) | instskip(SKIP_1) | instid1(VALU_DEP_2)
	v_fma_f64 v[140:141], v[170:171], v[168:169], -v[140:141]
	v_mul_f64 v[170:171], v[170:171], v[142:143]
	v_add_f64 v[20:21], v[20:21], -v[140:141]
	s_delay_alu instid0(VALU_DEP_2) | instskip(NEXT) | instid1(VALU_DEP_1)
	v_fma_f64 v[170:171], v[172:173], v[168:169], v[170:171]
	v_add_f64 v[22:23], v[22:23], -v[170:171]
	ds_load_2addr_b64 v[170:173], v252 offset0:74 offset1:75
	s_waitcnt lgkmcnt(0)
	v_mul_f64 v[140:141], v[172:173], v[142:143]
	s_delay_alu instid0(VALU_DEP_1) | instskip(SKIP_1) | instid1(VALU_DEP_2)
	v_fma_f64 v[140:141], v[170:171], v[168:169], -v[140:141]
	v_mul_f64 v[170:171], v[170:171], v[142:143]
	v_add_f64 v[16:17], v[16:17], -v[140:141]
	s_delay_alu instid0(VALU_DEP_2) | instskip(NEXT) | instid1(VALU_DEP_1)
	v_fma_f64 v[170:171], v[172:173], v[168:169], v[170:171]
	v_add_f64 v[18:19], v[18:19], -v[170:171]
	ds_load_2addr_b64 v[170:173], v252 offset0:76 offset1:77
	s_waitcnt lgkmcnt(0)
	v_mul_f64 v[140:141], v[172:173], v[142:143]
	s_delay_alu instid0(VALU_DEP_1) | instskip(SKIP_1) | instid1(VALU_DEP_2)
	v_fma_f64 v[140:141], v[170:171], v[168:169], -v[140:141]
	v_mul_f64 v[170:171], v[170:171], v[142:143]
	v_add_f64 v[12:13], v[12:13], -v[140:141]
	s_delay_alu instid0(VALU_DEP_2) | instskip(NEXT) | instid1(VALU_DEP_1)
	v_fma_f64 v[170:171], v[172:173], v[168:169], v[170:171]
	v_add_f64 v[14:15], v[14:15], -v[170:171]
	ds_load_2addr_b64 v[170:173], v252 offset0:78 offset1:79
	s_waitcnt lgkmcnt(0)
	v_mul_f64 v[140:141], v[172:173], v[142:143]
	s_delay_alu instid0(VALU_DEP_1) | instskip(SKIP_1) | instid1(VALU_DEP_2)
	v_fma_f64 v[140:141], v[170:171], v[168:169], -v[140:141]
	v_mul_f64 v[170:171], v[170:171], v[142:143]
	v_add_f64 v[8:9], v[8:9], -v[140:141]
	s_delay_alu instid0(VALU_DEP_2) | instskip(NEXT) | instid1(VALU_DEP_1)
	v_fma_f64 v[170:171], v[172:173], v[168:169], v[170:171]
	v_add_f64 v[10:11], v[10:11], -v[170:171]
	ds_load_2addr_b64 v[170:173], v252 offset0:80 offset1:81
	s_waitcnt lgkmcnt(0)
	v_mul_f64 v[140:141], v[172:173], v[142:143]
	s_delay_alu instid0(VALU_DEP_1) | instskip(SKIP_1) | instid1(VALU_DEP_2)
	v_fma_f64 v[140:141], v[170:171], v[168:169], -v[140:141]
	v_mul_f64 v[170:171], v[170:171], v[142:143]
	v_add_f64 v[4:5], v[4:5], -v[140:141]
	s_delay_alu instid0(VALU_DEP_2) | instskip(NEXT) | instid1(VALU_DEP_1)
	v_fma_f64 v[170:171], v[172:173], v[168:169], v[170:171]
	v_add_f64 v[6:7], v[6:7], -v[170:171]
	ds_load_2addr_b64 v[170:173], v252 offset0:82 offset1:83
	s_waitcnt lgkmcnt(0)
	v_mul_f64 v[140:141], v[172:173], v[142:143]
	s_delay_alu instid0(VALU_DEP_1) | instskip(SKIP_1) | instid1(VALU_DEP_2)
	v_fma_f64 v[140:141], v[170:171], v[168:169], -v[140:141]
	v_mul_f64 v[170:171], v[170:171], v[142:143]
	v_add_f64 v[0:1], v[0:1], -v[140:141]
	s_delay_alu instid0(VALU_DEP_2) | instskip(SKIP_1) | instid1(VALU_DEP_2)
	v_fma_f64 v[170:171], v[172:173], v[168:169], v[170:171]
	v_dual_mov_b32 v140, v168 :: v_dual_mov_b32 v141, v169
	v_add_f64 v[2:3], v[2:3], -v[170:171]
.LBB83_64:
	s_or_b32 exec_lo, exec_lo, s3
	s_delay_alu instid0(SALU_CYCLE_1)
	s_mov_b32 s4, exec_lo
	s_waitcnt_vscnt null, 0x0
	s_barrier
	buffer_gl0_inv
	v_cmpx_eq_u32_e32 7, v250
	s_cbranch_execz .LBB83_71
; %bb.65:
	ds_store_2addr_b64 v251, v[136:137], v[138:139] offset1:1
	ds_store_2addr_b64 v252, v[132:133], v[134:135] offset0:16 offset1:17
	ds_store_2addr_b64 v252, v[128:129], v[130:131] offset0:18 offset1:19
	;; [unrolled: 1-line block ×34, first 2 shown]
	ds_load_2addr_b64 v[168:171], v251 offset1:1
	s_waitcnt lgkmcnt(0)
	v_cmp_neq_f64_e32 vcc_lo, 0, v[168:169]
	v_cmp_neq_f64_e64 s3, 0, v[170:171]
	s_delay_alu instid0(VALU_DEP_1) | instskip(NEXT) | instid1(SALU_CYCLE_1)
	s_or_b32 s3, vcc_lo, s3
	s_and_b32 exec_lo, exec_lo, s3
	s_cbranch_execz .LBB83_71
; %bb.66:
	v_cmp_gt_f64_e32 vcc_lo, 0, v[168:169]
	v_xor_b32_e32 v172, 0x80000000, v169
	v_xor_b32_e32 v174, 0x80000000, v171
	s_mov_b32 s3, exec_lo
                                        ; implicit-def: $vgpr176_vgpr177
	s_delay_alu instid0(VALU_DEP_2) | instskip(SKIP_4) | instid1(VALU_DEP_1)
	v_cndmask_b32_e32 v173, v169, v172, vcc_lo
	v_cndmask_b32_e32 v172, v168, v168, vcc_lo
	v_cmp_gt_f64_e32 vcc_lo, 0, v[170:171]
	v_cndmask_b32_e32 v175, v171, v174, vcc_lo
	v_cndmask_b32_e32 v174, v170, v170, vcc_lo
	v_cmpx_ngt_f64_e32 v[172:173], v[174:175]
	s_xor_b32 s3, exec_lo, s3
                                        ; implicit-def: $vgpr172_vgpr173_vgpr174_vgpr175
	s_cbranch_execz .LBB83_68
; %bb.67:
	v_div_scale_f64 v[172:173], null, v[170:171], v[170:171], v[168:169]
	v_div_scale_f64 v[178:179], vcc_lo, v[168:169], v[170:171], v[168:169]
	s_delay_alu instid0(VALU_DEP_2) | instskip(SKIP_2) | instid1(VALU_DEP_1)
	v_rcp_f64_e32 v[174:175], v[172:173]
	s_waitcnt_depctr 0xfff
	v_fma_f64 v[176:177], -v[172:173], v[174:175], 1.0
	v_fma_f64 v[174:175], v[174:175], v[176:177], v[174:175]
	s_delay_alu instid0(VALU_DEP_1) | instskip(NEXT) | instid1(VALU_DEP_1)
	v_fma_f64 v[176:177], -v[172:173], v[174:175], 1.0
	v_fma_f64 v[174:175], v[174:175], v[176:177], v[174:175]
	s_delay_alu instid0(VALU_DEP_1) | instskip(NEXT) | instid1(VALU_DEP_1)
	v_mul_f64 v[176:177], v[178:179], v[174:175]
	v_fma_f64 v[172:173], -v[172:173], v[176:177], v[178:179]
	s_delay_alu instid0(VALU_DEP_1) | instskip(NEXT) | instid1(VALU_DEP_1)
	v_div_fmas_f64 v[172:173], v[172:173], v[174:175], v[176:177]
	v_div_fixup_f64 v[172:173], v[172:173], v[170:171], v[168:169]
	s_delay_alu instid0(VALU_DEP_1) | instskip(NEXT) | instid1(VALU_DEP_1)
	v_fma_f64 v[168:169], v[168:169], v[172:173], v[170:171]
	v_div_scale_f64 v[170:171], null, v[168:169], v[168:169], 1.0
	s_delay_alu instid0(VALU_DEP_1) | instskip(SKIP_2) | instid1(VALU_DEP_1)
	v_rcp_f64_e32 v[174:175], v[170:171]
	s_waitcnt_depctr 0xfff
	v_fma_f64 v[176:177], -v[170:171], v[174:175], 1.0
	v_fma_f64 v[174:175], v[174:175], v[176:177], v[174:175]
	s_delay_alu instid0(VALU_DEP_1) | instskip(NEXT) | instid1(VALU_DEP_1)
	v_fma_f64 v[176:177], -v[170:171], v[174:175], 1.0
	v_fma_f64 v[174:175], v[174:175], v[176:177], v[174:175]
	v_div_scale_f64 v[176:177], vcc_lo, 1.0, v[168:169], 1.0
	s_delay_alu instid0(VALU_DEP_1) | instskip(NEXT) | instid1(VALU_DEP_1)
	v_mul_f64 v[178:179], v[176:177], v[174:175]
	v_fma_f64 v[170:171], -v[170:171], v[178:179], v[176:177]
	s_delay_alu instid0(VALU_DEP_1) | instskip(NEXT) | instid1(VALU_DEP_1)
	v_div_fmas_f64 v[170:171], v[170:171], v[174:175], v[178:179]
	v_div_fixup_f64 v[174:175], v[170:171], v[168:169], 1.0
                                        ; implicit-def: $vgpr168_vgpr169
	s_delay_alu instid0(VALU_DEP_1)
	v_mul_f64 v[176:177], v[172:173], v[174:175]
	v_xor_b32_e32 v175, 0x80000000, v175
.LBB83_68:
	s_and_not1_saveexec_b32 s3, s3
	s_cbranch_execz .LBB83_70
; %bb.69:
	v_div_scale_f64 v[172:173], null, v[168:169], v[168:169], v[170:171]
	v_div_scale_f64 v[178:179], vcc_lo, v[170:171], v[168:169], v[170:171]
	s_delay_alu instid0(VALU_DEP_2) | instskip(SKIP_2) | instid1(VALU_DEP_1)
	v_rcp_f64_e32 v[174:175], v[172:173]
	s_waitcnt_depctr 0xfff
	v_fma_f64 v[176:177], -v[172:173], v[174:175], 1.0
	v_fma_f64 v[174:175], v[174:175], v[176:177], v[174:175]
	s_delay_alu instid0(VALU_DEP_1) | instskip(NEXT) | instid1(VALU_DEP_1)
	v_fma_f64 v[176:177], -v[172:173], v[174:175], 1.0
	v_fma_f64 v[174:175], v[174:175], v[176:177], v[174:175]
	s_delay_alu instid0(VALU_DEP_1) | instskip(NEXT) | instid1(VALU_DEP_1)
	v_mul_f64 v[176:177], v[178:179], v[174:175]
	v_fma_f64 v[172:173], -v[172:173], v[176:177], v[178:179]
	s_delay_alu instid0(VALU_DEP_1) | instskip(NEXT) | instid1(VALU_DEP_1)
	v_div_fmas_f64 v[172:173], v[172:173], v[174:175], v[176:177]
	v_div_fixup_f64 v[172:173], v[172:173], v[168:169], v[170:171]
	s_delay_alu instid0(VALU_DEP_1) | instskip(NEXT) | instid1(VALU_DEP_1)
	v_fma_f64 v[168:169], v[170:171], v[172:173], v[168:169]
	v_div_scale_f64 v[170:171], null, v[168:169], v[168:169], 1.0
	s_delay_alu instid0(VALU_DEP_1) | instskip(SKIP_2) | instid1(VALU_DEP_1)
	v_rcp_f64_e32 v[174:175], v[170:171]
	s_waitcnt_depctr 0xfff
	v_fma_f64 v[176:177], -v[170:171], v[174:175], 1.0
	v_fma_f64 v[174:175], v[174:175], v[176:177], v[174:175]
	s_delay_alu instid0(VALU_DEP_1) | instskip(NEXT) | instid1(VALU_DEP_1)
	v_fma_f64 v[176:177], -v[170:171], v[174:175], 1.0
	v_fma_f64 v[174:175], v[174:175], v[176:177], v[174:175]
	v_div_scale_f64 v[176:177], vcc_lo, 1.0, v[168:169], 1.0
	s_delay_alu instid0(VALU_DEP_1) | instskip(NEXT) | instid1(VALU_DEP_1)
	v_mul_f64 v[178:179], v[176:177], v[174:175]
	v_fma_f64 v[170:171], -v[170:171], v[178:179], v[176:177]
	s_delay_alu instid0(VALU_DEP_1) | instskip(NEXT) | instid1(VALU_DEP_1)
	v_div_fmas_f64 v[170:171], v[170:171], v[174:175], v[178:179]
	v_div_fixup_f64 v[176:177], v[170:171], v[168:169], 1.0
	s_delay_alu instid0(VALU_DEP_1)
	v_mul_f64 v[174:175], v[172:173], -v[176:177]
.LBB83_70:
	s_or_b32 exec_lo, exec_lo, s3
	ds_store_2addr_b64 v251, v[176:177], v[174:175] offset1:1
.LBB83_71:
	s_or_b32 exec_lo, exec_lo, s4
	s_waitcnt lgkmcnt(0)
	s_barrier
	buffer_gl0_inv
	ds_load_2addr_b64 v[168:171], v251 offset1:1
	s_mov_b32 s3, exec_lo
	s_waitcnt lgkmcnt(0)
	scratch_store_b128 off, v[168:171], off offset:480 ; 16-byte Folded Spill
	v_cmpx_lt_u32_e32 7, v250
	s_cbranch_execz .LBB83_73
; %bb.72:
	scratch_load_b128 v[170:173], off, off offset:480 ; 16-byte Folded Reload
	s_waitcnt vmcnt(0)
	v_mul_f64 v[168:169], v[172:173], v[138:139]
	v_mul_f64 v[138:139], v[170:171], v[138:139]
	s_delay_alu instid0(VALU_DEP_2) | instskip(NEXT) | instid1(VALU_DEP_2)
	v_fma_f64 v[168:169], v[170:171], v[136:137], -v[168:169]
	v_fma_f64 v[138:139], v[172:173], v[136:137], v[138:139]
	ds_load_2addr_b64 v[170:173], v252 offset0:16 offset1:17
	s_waitcnt lgkmcnt(0)
	v_mul_f64 v[136:137], v[172:173], v[138:139]
	s_delay_alu instid0(VALU_DEP_1) | instskip(SKIP_1) | instid1(VALU_DEP_2)
	v_fma_f64 v[136:137], v[170:171], v[168:169], -v[136:137]
	v_mul_f64 v[170:171], v[170:171], v[138:139]
	v_add_f64 v[132:133], v[132:133], -v[136:137]
	s_delay_alu instid0(VALU_DEP_2) | instskip(NEXT) | instid1(VALU_DEP_1)
	v_fma_f64 v[170:171], v[172:173], v[168:169], v[170:171]
	v_add_f64 v[134:135], v[134:135], -v[170:171]
	ds_load_2addr_b64 v[170:173], v252 offset0:18 offset1:19
	s_waitcnt lgkmcnt(0)
	v_mul_f64 v[136:137], v[172:173], v[138:139]
	s_delay_alu instid0(VALU_DEP_1) | instskip(SKIP_1) | instid1(VALU_DEP_2)
	v_fma_f64 v[136:137], v[170:171], v[168:169], -v[136:137]
	v_mul_f64 v[170:171], v[170:171], v[138:139]
	v_add_f64 v[128:129], v[128:129], -v[136:137]
	s_delay_alu instid0(VALU_DEP_2) | instskip(NEXT) | instid1(VALU_DEP_1)
	v_fma_f64 v[170:171], v[172:173], v[168:169], v[170:171]
	v_add_f64 v[130:131], v[130:131], -v[170:171]
	;; [unrolled: 10-line block ×33, first 2 shown]
	ds_load_2addr_b64 v[170:173], v252 offset0:82 offset1:83
	s_waitcnt lgkmcnt(0)
	v_mul_f64 v[136:137], v[172:173], v[138:139]
	s_delay_alu instid0(VALU_DEP_1) | instskip(SKIP_1) | instid1(VALU_DEP_2)
	v_fma_f64 v[136:137], v[170:171], v[168:169], -v[136:137]
	v_mul_f64 v[170:171], v[170:171], v[138:139]
	v_add_f64 v[0:1], v[0:1], -v[136:137]
	s_delay_alu instid0(VALU_DEP_2) | instskip(SKIP_1) | instid1(VALU_DEP_2)
	v_fma_f64 v[170:171], v[172:173], v[168:169], v[170:171]
	v_dual_mov_b32 v136, v168 :: v_dual_mov_b32 v137, v169
	v_add_f64 v[2:3], v[2:3], -v[170:171]
.LBB83_73:
	s_or_b32 exec_lo, exec_lo, s3
	s_delay_alu instid0(SALU_CYCLE_1)
	s_mov_b32 s4, exec_lo
	s_waitcnt_vscnt null, 0x0
	s_barrier
	buffer_gl0_inv
	v_cmpx_eq_u32_e32 8, v250
	s_cbranch_execz .LBB83_80
; %bb.74:
	ds_store_2addr_b64 v251, v[132:133], v[134:135] offset1:1
	ds_store_2addr_b64 v252, v[128:129], v[130:131] offset0:18 offset1:19
	ds_store_2addr_b64 v252, v[124:125], v[126:127] offset0:20 offset1:21
	;; [unrolled: 1-line block ×33, first 2 shown]
	ds_load_2addr_b64 v[168:171], v251 offset1:1
	s_waitcnt lgkmcnt(0)
	v_cmp_neq_f64_e32 vcc_lo, 0, v[168:169]
	v_cmp_neq_f64_e64 s3, 0, v[170:171]
	s_delay_alu instid0(VALU_DEP_1) | instskip(NEXT) | instid1(SALU_CYCLE_1)
	s_or_b32 s3, vcc_lo, s3
	s_and_b32 exec_lo, exec_lo, s3
	s_cbranch_execz .LBB83_80
; %bb.75:
	v_cmp_gt_f64_e32 vcc_lo, 0, v[168:169]
	v_xor_b32_e32 v172, 0x80000000, v169
	v_xor_b32_e32 v174, 0x80000000, v171
	s_mov_b32 s3, exec_lo
                                        ; implicit-def: $vgpr176_vgpr177
	s_delay_alu instid0(VALU_DEP_2) | instskip(SKIP_4) | instid1(VALU_DEP_1)
	v_cndmask_b32_e32 v173, v169, v172, vcc_lo
	v_cndmask_b32_e32 v172, v168, v168, vcc_lo
	v_cmp_gt_f64_e32 vcc_lo, 0, v[170:171]
	v_cndmask_b32_e32 v175, v171, v174, vcc_lo
	v_cndmask_b32_e32 v174, v170, v170, vcc_lo
	v_cmpx_ngt_f64_e32 v[172:173], v[174:175]
	s_xor_b32 s3, exec_lo, s3
                                        ; implicit-def: $vgpr172_vgpr173_vgpr174_vgpr175
	s_cbranch_execz .LBB83_77
; %bb.76:
	v_div_scale_f64 v[172:173], null, v[170:171], v[170:171], v[168:169]
	v_div_scale_f64 v[178:179], vcc_lo, v[168:169], v[170:171], v[168:169]
	s_delay_alu instid0(VALU_DEP_2) | instskip(SKIP_2) | instid1(VALU_DEP_1)
	v_rcp_f64_e32 v[174:175], v[172:173]
	s_waitcnt_depctr 0xfff
	v_fma_f64 v[176:177], -v[172:173], v[174:175], 1.0
	v_fma_f64 v[174:175], v[174:175], v[176:177], v[174:175]
	s_delay_alu instid0(VALU_DEP_1) | instskip(NEXT) | instid1(VALU_DEP_1)
	v_fma_f64 v[176:177], -v[172:173], v[174:175], 1.0
	v_fma_f64 v[174:175], v[174:175], v[176:177], v[174:175]
	s_delay_alu instid0(VALU_DEP_1) | instskip(NEXT) | instid1(VALU_DEP_1)
	v_mul_f64 v[176:177], v[178:179], v[174:175]
	v_fma_f64 v[172:173], -v[172:173], v[176:177], v[178:179]
	s_delay_alu instid0(VALU_DEP_1) | instskip(NEXT) | instid1(VALU_DEP_1)
	v_div_fmas_f64 v[172:173], v[172:173], v[174:175], v[176:177]
	v_div_fixup_f64 v[172:173], v[172:173], v[170:171], v[168:169]
	s_delay_alu instid0(VALU_DEP_1) | instskip(NEXT) | instid1(VALU_DEP_1)
	v_fma_f64 v[168:169], v[168:169], v[172:173], v[170:171]
	v_div_scale_f64 v[170:171], null, v[168:169], v[168:169], 1.0
	s_delay_alu instid0(VALU_DEP_1) | instskip(SKIP_2) | instid1(VALU_DEP_1)
	v_rcp_f64_e32 v[174:175], v[170:171]
	s_waitcnt_depctr 0xfff
	v_fma_f64 v[176:177], -v[170:171], v[174:175], 1.0
	v_fma_f64 v[174:175], v[174:175], v[176:177], v[174:175]
	s_delay_alu instid0(VALU_DEP_1) | instskip(NEXT) | instid1(VALU_DEP_1)
	v_fma_f64 v[176:177], -v[170:171], v[174:175], 1.0
	v_fma_f64 v[174:175], v[174:175], v[176:177], v[174:175]
	v_div_scale_f64 v[176:177], vcc_lo, 1.0, v[168:169], 1.0
	s_delay_alu instid0(VALU_DEP_1) | instskip(NEXT) | instid1(VALU_DEP_1)
	v_mul_f64 v[178:179], v[176:177], v[174:175]
	v_fma_f64 v[170:171], -v[170:171], v[178:179], v[176:177]
	s_delay_alu instid0(VALU_DEP_1) | instskip(NEXT) | instid1(VALU_DEP_1)
	v_div_fmas_f64 v[170:171], v[170:171], v[174:175], v[178:179]
	v_div_fixup_f64 v[174:175], v[170:171], v[168:169], 1.0
                                        ; implicit-def: $vgpr168_vgpr169
	s_delay_alu instid0(VALU_DEP_1)
	v_mul_f64 v[176:177], v[172:173], v[174:175]
	v_xor_b32_e32 v175, 0x80000000, v175
.LBB83_77:
	s_and_not1_saveexec_b32 s3, s3
	s_cbranch_execz .LBB83_79
; %bb.78:
	v_div_scale_f64 v[172:173], null, v[168:169], v[168:169], v[170:171]
	v_div_scale_f64 v[178:179], vcc_lo, v[170:171], v[168:169], v[170:171]
	s_delay_alu instid0(VALU_DEP_2) | instskip(SKIP_2) | instid1(VALU_DEP_1)
	v_rcp_f64_e32 v[174:175], v[172:173]
	s_waitcnt_depctr 0xfff
	v_fma_f64 v[176:177], -v[172:173], v[174:175], 1.0
	v_fma_f64 v[174:175], v[174:175], v[176:177], v[174:175]
	s_delay_alu instid0(VALU_DEP_1) | instskip(NEXT) | instid1(VALU_DEP_1)
	v_fma_f64 v[176:177], -v[172:173], v[174:175], 1.0
	v_fma_f64 v[174:175], v[174:175], v[176:177], v[174:175]
	s_delay_alu instid0(VALU_DEP_1) | instskip(NEXT) | instid1(VALU_DEP_1)
	v_mul_f64 v[176:177], v[178:179], v[174:175]
	v_fma_f64 v[172:173], -v[172:173], v[176:177], v[178:179]
	s_delay_alu instid0(VALU_DEP_1) | instskip(NEXT) | instid1(VALU_DEP_1)
	v_div_fmas_f64 v[172:173], v[172:173], v[174:175], v[176:177]
	v_div_fixup_f64 v[172:173], v[172:173], v[168:169], v[170:171]
	s_delay_alu instid0(VALU_DEP_1) | instskip(NEXT) | instid1(VALU_DEP_1)
	v_fma_f64 v[168:169], v[170:171], v[172:173], v[168:169]
	v_div_scale_f64 v[170:171], null, v[168:169], v[168:169], 1.0
	s_delay_alu instid0(VALU_DEP_1) | instskip(SKIP_2) | instid1(VALU_DEP_1)
	v_rcp_f64_e32 v[174:175], v[170:171]
	s_waitcnt_depctr 0xfff
	v_fma_f64 v[176:177], -v[170:171], v[174:175], 1.0
	v_fma_f64 v[174:175], v[174:175], v[176:177], v[174:175]
	s_delay_alu instid0(VALU_DEP_1) | instskip(NEXT) | instid1(VALU_DEP_1)
	v_fma_f64 v[176:177], -v[170:171], v[174:175], 1.0
	v_fma_f64 v[174:175], v[174:175], v[176:177], v[174:175]
	v_div_scale_f64 v[176:177], vcc_lo, 1.0, v[168:169], 1.0
	s_delay_alu instid0(VALU_DEP_1) | instskip(NEXT) | instid1(VALU_DEP_1)
	v_mul_f64 v[178:179], v[176:177], v[174:175]
	v_fma_f64 v[170:171], -v[170:171], v[178:179], v[176:177]
	s_delay_alu instid0(VALU_DEP_1) | instskip(NEXT) | instid1(VALU_DEP_1)
	v_div_fmas_f64 v[170:171], v[170:171], v[174:175], v[178:179]
	v_div_fixup_f64 v[176:177], v[170:171], v[168:169], 1.0
	s_delay_alu instid0(VALU_DEP_1)
	v_mul_f64 v[174:175], v[172:173], -v[176:177]
.LBB83_79:
	s_or_b32 exec_lo, exec_lo, s3
	ds_store_2addr_b64 v251, v[176:177], v[174:175] offset1:1
.LBB83_80:
	s_or_b32 exec_lo, exec_lo, s4
	s_waitcnt lgkmcnt(0)
	s_barrier
	buffer_gl0_inv
	ds_load_2addr_b64 v[168:171], v251 offset1:1
	s_mov_b32 s3, exec_lo
	s_waitcnt lgkmcnt(0)
	scratch_store_b128 off, v[168:171], off offset:496 ; 16-byte Folded Spill
	v_cmpx_lt_u32_e32 8, v250
	s_cbranch_execz .LBB83_82
; %bb.81:
	scratch_load_b128 v[170:173], off, off offset:496 ; 16-byte Folded Reload
	s_waitcnt vmcnt(0)
	v_mul_f64 v[168:169], v[172:173], v[134:135]
	v_mul_f64 v[134:135], v[170:171], v[134:135]
	s_delay_alu instid0(VALU_DEP_2) | instskip(NEXT) | instid1(VALU_DEP_2)
	v_fma_f64 v[168:169], v[170:171], v[132:133], -v[168:169]
	v_fma_f64 v[134:135], v[172:173], v[132:133], v[134:135]
	ds_load_2addr_b64 v[170:173], v252 offset0:18 offset1:19
	s_waitcnt lgkmcnt(0)
	v_mul_f64 v[132:133], v[172:173], v[134:135]
	s_delay_alu instid0(VALU_DEP_1) | instskip(SKIP_1) | instid1(VALU_DEP_2)
	v_fma_f64 v[132:133], v[170:171], v[168:169], -v[132:133]
	v_mul_f64 v[170:171], v[170:171], v[134:135]
	v_add_f64 v[128:129], v[128:129], -v[132:133]
	s_delay_alu instid0(VALU_DEP_2) | instskip(NEXT) | instid1(VALU_DEP_1)
	v_fma_f64 v[170:171], v[172:173], v[168:169], v[170:171]
	v_add_f64 v[130:131], v[130:131], -v[170:171]
	ds_load_2addr_b64 v[170:173], v252 offset0:20 offset1:21
	s_waitcnt lgkmcnt(0)
	v_mul_f64 v[132:133], v[172:173], v[134:135]
	s_delay_alu instid0(VALU_DEP_1) | instskip(SKIP_1) | instid1(VALU_DEP_2)
	v_fma_f64 v[132:133], v[170:171], v[168:169], -v[132:133]
	v_mul_f64 v[170:171], v[170:171], v[134:135]
	v_add_f64 v[124:125], v[124:125], -v[132:133]
	s_delay_alu instid0(VALU_DEP_2) | instskip(NEXT) | instid1(VALU_DEP_1)
	v_fma_f64 v[170:171], v[172:173], v[168:169], v[170:171]
	v_add_f64 v[126:127], v[126:127], -v[170:171]
	;; [unrolled: 10-line block ×32, first 2 shown]
	ds_load_2addr_b64 v[170:173], v252 offset0:82 offset1:83
	s_waitcnt lgkmcnt(0)
	v_mul_f64 v[132:133], v[172:173], v[134:135]
	s_delay_alu instid0(VALU_DEP_1) | instskip(SKIP_1) | instid1(VALU_DEP_2)
	v_fma_f64 v[132:133], v[170:171], v[168:169], -v[132:133]
	v_mul_f64 v[170:171], v[170:171], v[134:135]
	v_add_f64 v[0:1], v[0:1], -v[132:133]
	s_delay_alu instid0(VALU_DEP_2) | instskip(SKIP_1) | instid1(VALU_DEP_2)
	v_fma_f64 v[170:171], v[172:173], v[168:169], v[170:171]
	v_dual_mov_b32 v132, v168 :: v_dual_mov_b32 v133, v169
	v_add_f64 v[2:3], v[2:3], -v[170:171]
.LBB83_82:
	s_or_b32 exec_lo, exec_lo, s3
	s_delay_alu instid0(SALU_CYCLE_1)
	s_mov_b32 s4, exec_lo
	s_waitcnt_vscnt null, 0x0
	s_barrier
	buffer_gl0_inv
	v_cmpx_eq_u32_e32 9, v250
	s_cbranch_execz .LBB83_89
; %bb.83:
	ds_store_2addr_b64 v251, v[128:129], v[130:131] offset1:1
	ds_store_2addr_b64 v252, v[124:125], v[126:127] offset0:20 offset1:21
	ds_store_2addr_b64 v252, v[120:121], v[122:123] offset0:22 offset1:23
	;; [unrolled: 1-line block ×32, first 2 shown]
	ds_load_2addr_b64 v[168:171], v251 offset1:1
	s_waitcnt lgkmcnt(0)
	v_cmp_neq_f64_e32 vcc_lo, 0, v[168:169]
	v_cmp_neq_f64_e64 s3, 0, v[170:171]
	s_delay_alu instid0(VALU_DEP_1) | instskip(NEXT) | instid1(SALU_CYCLE_1)
	s_or_b32 s3, vcc_lo, s3
	s_and_b32 exec_lo, exec_lo, s3
	s_cbranch_execz .LBB83_89
; %bb.84:
	v_cmp_gt_f64_e32 vcc_lo, 0, v[168:169]
	v_xor_b32_e32 v172, 0x80000000, v169
	v_xor_b32_e32 v174, 0x80000000, v171
	s_mov_b32 s3, exec_lo
                                        ; implicit-def: $vgpr176_vgpr177
	s_delay_alu instid0(VALU_DEP_2) | instskip(SKIP_4) | instid1(VALU_DEP_1)
	v_cndmask_b32_e32 v173, v169, v172, vcc_lo
	v_cndmask_b32_e32 v172, v168, v168, vcc_lo
	v_cmp_gt_f64_e32 vcc_lo, 0, v[170:171]
	v_cndmask_b32_e32 v175, v171, v174, vcc_lo
	v_cndmask_b32_e32 v174, v170, v170, vcc_lo
	v_cmpx_ngt_f64_e32 v[172:173], v[174:175]
	s_xor_b32 s3, exec_lo, s3
                                        ; implicit-def: $vgpr172_vgpr173_vgpr174_vgpr175
	s_cbranch_execz .LBB83_86
; %bb.85:
	v_div_scale_f64 v[172:173], null, v[170:171], v[170:171], v[168:169]
	v_div_scale_f64 v[178:179], vcc_lo, v[168:169], v[170:171], v[168:169]
	s_delay_alu instid0(VALU_DEP_2) | instskip(SKIP_2) | instid1(VALU_DEP_1)
	v_rcp_f64_e32 v[174:175], v[172:173]
	s_waitcnt_depctr 0xfff
	v_fma_f64 v[176:177], -v[172:173], v[174:175], 1.0
	v_fma_f64 v[174:175], v[174:175], v[176:177], v[174:175]
	s_delay_alu instid0(VALU_DEP_1) | instskip(NEXT) | instid1(VALU_DEP_1)
	v_fma_f64 v[176:177], -v[172:173], v[174:175], 1.0
	v_fma_f64 v[174:175], v[174:175], v[176:177], v[174:175]
	s_delay_alu instid0(VALU_DEP_1) | instskip(NEXT) | instid1(VALU_DEP_1)
	v_mul_f64 v[176:177], v[178:179], v[174:175]
	v_fma_f64 v[172:173], -v[172:173], v[176:177], v[178:179]
	s_delay_alu instid0(VALU_DEP_1) | instskip(NEXT) | instid1(VALU_DEP_1)
	v_div_fmas_f64 v[172:173], v[172:173], v[174:175], v[176:177]
	v_div_fixup_f64 v[172:173], v[172:173], v[170:171], v[168:169]
	s_delay_alu instid0(VALU_DEP_1) | instskip(NEXT) | instid1(VALU_DEP_1)
	v_fma_f64 v[168:169], v[168:169], v[172:173], v[170:171]
	v_div_scale_f64 v[170:171], null, v[168:169], v[168:169], 1.0
	s_delay_alu instid0(VALU_DEP_1) | instskip(SKIP_2) | instid1(VALU_DEP_1)
	v_rcp_f64_e32 v[174:175], v[170:171]
	s_waitcnt_depctr 0xfff
	v_fma_f64 v[176:177], -v[170:171], v[174:175], 1.0
	v_fma_f64 v[174:175], v[174:175], v[176:177], v[174:175]
	s_delay_alu instid0(VALU_DEP_1) | instskip(NEXT) | instid1(VALU_DEP_1)
	v_fma_f64 v[176:177], -v[170:171], v[174:175], 1.0
	v_fma_f64 v[174:175], v[174:175], v[176:177], v[174:175]
	v_div_scale_f64 v[176:177], vcc_lo, 1.0, v[168:169], 1.0
	s_delay_alu instid0(VALU_DEP_1) | instskip(NEXT) | instid1(VALU_DEP_1)
	v_mul_f64 v[178:179], v[176:177], v[174:175]
	v_fma_f64 v[170:171], -v[170:171], v[178:179], v[176:177]
	s_delay_alu instid0(VALU_DEP_1) | instskip(NEXT) | instid1(VALU_DEP_1)
	v_div_fmas_f64 v[170:171], v[170:171], v[174:175], v[178:179]
	v_div_fixup_f64 v[174:175], v[170:171], v[168:169], 1.0
                                        ; implicit-def: $vgpr168_vgpr169
	s_delay_alu instid0(VALU_DEP_1)
	v_mul_f64 v[176:177], v[172:173], v[174:175]
	v_xor_b32_e32 v175, 0x80000000, v175
.LBB83_86:
	s_and_not1_saveexec_b32 s3, s3
	s_cbranch_execz .LBB83_88
; %bb.87:
	v_div_scale_f64 v[172:173], null, v[168:169], v[168:169], v[170:171]
	v_div_scale_f64 v[178:179], vcc_lo, v[170:171], v[168:169], v[170:171]
	s_delay_alu instid0(VALU_DEP_2) | instskip(SKIP_2) | instid1(VALU_DEP_1)
	v_rcp_f64_e32 v[174:175], v[172:173]
	s_waitcnt_depctr 0xfff
	v_fma_f64 v[176:177], -v[172:173], v[174:175], 1.0
	v_fma_f64 v[174:175], v[174:175], v[176:177], v[174:175]
	s_delay_alu instid0(VALU_DEP_1) | instskip(NEXT) | instid1(VALU_DEP_1)
	v_fma_f64 v[176:177], -v[172:173], v[174:175], 1.0
	v_fma_f64 v[174:175], v[174:175], v[176:177], v[174:175]
	s_delay_alu instid0(VALU_DEP_1) | instskip(NEXT) | instid1(VALU_DEP_1)
	v_mul_f64 v[176:177], v[178:179], v[174:175]
	v_fma_f64 v[172:173], -v[172:173], v[176:177], v[178:179]
	s_delay_alu instid0(VALU_DEP_1) | instskip(NEXT) | instid1(VALU_DEP_1)
	v_div_fmas_f64 v[172:173], v[172:173], v[174:175], v[176:177]
	v_div_fixup_f64 v[172:173], v[172:173], v[168:169], v[170:171]
	s_delay_alu instid0(VALU_DEP_1) | instskip(NEXT) | instid1(VALU_DEP_1)
	v_fma_f64 v[168:169], v[170:171], v[172:173], v[168:169]
	v_div_scale_f64 v[170:171], null, v[168:169], v[168:169], 1.0
	s_delay_alu instid0(VALU_DEP_1) | instskip(SKIP_2) | instid1(VALU_DEP_1)
	v_rcp_f64_e32 v[174:175], v[170:171]
	s_waitcnt_depctr 0xfff
	v_fma_f64 v[176:177], -v[170:171], v[174:175], 1.0
	v_fma_f64 v[174:175], v[174:175], v[176:177], v[174:175]
	s_delay_alu instid0(VALU_DEP_1) | instskip(NEXT) | instid1(VALU_DEP_1)
	v_fma_f64 v[176:177], -v[170:171], v[174:175], 1.0
	v_fma_f64 v[174:175], v[174:175], v[176:177], v[174:175]
	v_div_scale_f64 v[176:177], vcc_lo, 1.0, v[168:169], 1.0
	s_delay_alu instid0(VALU_DEP_1) | instskip(NEXT) | instid1(VALU_DEP_1)
	v_mul_f64 v[178:179], v[176:177], v[174:175]
	v_fma_f64 v[170:171], -v[170:171], v[178:179], v[176:177]
	s_delay_alu instid0(VALU_DEP_1) | instskip(NEXT) | instid1(VALU_DEP_1)
	v_div_fmas_f64 v[170:171], v[170:171], v[174:175], v[178:179]
	v_div_fixup_f64 v[176:177], v[170:171], v[168:169], 1.0
	s_delay_alu instid0(VALU_DEP_1)
	v_mul_f64 v[174:175], v[172:173], -v[176:177]
.LBB83_88:
	s_or_b32 exec_lo, exec_lo, s3
	ds_store_2addr_b64 v251, v[176:177], v[174:175] offset1:1
.LBB83_89:
	s_or_b32 exec_lo, exec_lo, s4
	s_waitcnt lgkmcnt(0)
	s_barrier
	buffer_gl0_inv
	ds_load_2addr_b64 v[168:171], v251 offset1:1
	s_mov_b32 s3, exec_lo
	s_waitcnt lgkmcnt(0)
	scratch_store_b128 off, v[168:171], off offset:512 ; 16-byte Folded Spill
	v_cmpx_lt_u32_e32 9, v250
	s_cbranch_execz .LBB83_91
; %bb.90:
	scratch_load_b128 v[170:173], off, off offset:512 ; 16-byte Folded Reload
	s_waitcnt vmcnt(0)
	v_mul_f64 v[168:169], v[172:173], v[130:131]
	v_mul_f64 v[130:131], v[170:171], v[130:131]
	s_delay_alu instid0(VALU_DEP_2) | instskip(NEXT) | instid1(VALU_DEP_2)
	v_fma_f64 v[168:169], v[170:171], v[128:129], -v[168:169]
	v_fma_f64 v[130:131], v[172:173], v[128:129], v[130:131]
	ds_load_2addr_b64 v[170:173], v252 offset0:20 offset1:21
	s_waitcnt lgkmcnt(0)
	v_mul_f64 v[128:129], v[172:173], v[130:131]
	s_delay_alu instid0(VALU_DEP_1) | instskip(SKIP_1) | instid1(VALU_DEP_2)
	v_fma_f64 v[128:129], v[170:171], v[168:169], -v[128:129]
	v_mul_f64 v[170:171], v[170:171], v[130:131]
	v_add_f64 v[124:125], v[124:125], -v[128:129]
	s_delay_alu instid0(VALU_DEP_2) | instskip(NEXT) | instid1(VALU_DEP_1)
	v_fma_f64 v[170:171], v[172:173], v[168:169], v[170:171]
	v_add_f64 v[126:127], v[126:127], -v[170:171]
	ds_load_2addr_b64 v[170:173], v252 offset0:22 offset1:23
	s_waitcnt lgkmcnt(0)
	v_mul_f64 v[128:129], v[172:173], v[130:131]
	s_delay_alu instid0(VALU_DEP_1) | instskip(SKIP_1) | instid1(VALU_DEP_2)
	v_fma_f64 v[128:129], v[170:171], v[168:169], -v[128:129]
	v_mul_f64 v[170:171], v[170:171], v[130:131]
	v_add_f64 v[120:121], v[120:121], -v[128:129]
	s_delay_alu instid0(VALU_DEP_2) | instskip(NEXT) | instid1(VALU_DEP_1)
	v_fma_f64 v[170:171], v[172:173], v[168:169], v[170:171]
	v_add_f64 v[122:123], v[122:123], -v[170:171]
	ds_load_2addr_b64 v[170:173], v252 offset0:24 offset1:25
	s_waitcnt lgkmcnt(0)
	v_mul_f64 v[128:129], v[172:173], v[130:131]
	s_delay_alu instid0(VALU_DEP_1) | instskip(SKIP_1) | instid1(VALU_DEP_2)
	v_fma_f64 v[128:129], v[170:171], v[168:169], -v[128:129]
	v_mul_f64 v[170:171], v[170:171], v[130:131]
	v_add_f64 v[116:117], v[116:117], -v[128:129]
	s_delay_alu instid0(VALU_DEP_2) | instskip(NEXT) | instid1(VALU_DEP_1)
	v_fma_f64 v[170:171], v[172:173], v[168:169], v[170:171]
	v_add_f64 v[118:119], v[118:119], -v[170:171]
	ds_load_2addr_b64 v[170:173], v252 offset0:26 offset1:27
	s_waitcnt lgkmcnt(0)
	v_mul_f64 v[128:129], v[172:173], v[130:131]
	s_delay_alu instid0(VALU_DEP_1) | instskip(SKIP_1) | instid1(VALU_DEP_2)
	v_fma_f64 v[128:129], v[170:171], v[168:169], -v[128:129]
	v_mul_f64 v[170:171], v[170:171], v[130:131]
	v_add_f64 v[112:113], v[112:113], -v[128:129]
	s_delay_alu instid0(VALU_DEP_2) | instskip(NEXT) | instid1(VALU_DEP_1)
	v_fma_f64 v[170:171], v[172:173], v[168:169], v[170:171]
	v_add_f64 v[114:115], v[114:115], -v[170:171]
	ds_load_2addr_b64 v[170:173], v252 offset0:28 offset1:29
	s_waitcnt lgkmcnt(0)
	v_mul_f64 v[128:129], v[172:173], v[130:131]
	s_delay_alu instid0(VALU_DEP_1) | instskip(SKIP_1) | instid1(VALU_DEP_2)
	v_fma_f64 v[128:129], v[170:171], v[168:169], -v[128:129]
	v_mul_f64 v[170:171], v[170:171], v[130:131]
	v_add_f64 v[108:109], v[108:109], -v[128:129]
	s_delay_alu instid0(VALU_DEP_2) | instskip(NEXT) | instid1(VALU_DEP_1)
	v_fma_f64 v[170:171], v[172:173], v[168:169], v[170:171]
	v_add_f64 v[110:111], v[110:111], -v[170:171]
	ds_load_2addr_b64 v[170:173], v252 offset0:30 offset1:31
	s_waitcnt lgkmcnt(0)
	v_mul_f64 v[128:129], v[172:173], v[130:131]
	s_delay_alu instid0(VALU_DEP_1) | instskip(SKIP_1) | instid1(VALU_DEP_2)
	v_fma_f64 v[128:129], v[170:171], v[168:169], -v[128:129]
	v_mul_f64 v[170:171], v[170:171], v[130:131]
	v_add_f64 v[104:105], v[104:105], -v[128:129]
	s_delay_alu instid0(VALU_DEP_2) | instskip(NEXT) | instid1(VALU_DEP_1)
	v_fma_f64 v[170:171], v[172:173], v[168:169], v[170:171]
	v_add_f64 v[106:107], v[106:107], -v[170:171]
	ds_load_2addr_b64 v[170:173], v252 offset0:32 offset1:33
	s_waitcnt lgkmcnt(0)
	v_mul_f64 v[128:129], v[172:173], v[130:131]
	s_delay_alu instid0(VALU_DEP_1) | instskip(SKIP_1) | instid1(VALU_DEP_2)
	v_fma_f64 v[128:129], v[170:171], v[168:169], -v[128:129]
	v_mul_f64 v[170:171], v[170:171], v[130:131]
	v_add_f64 v[100:101], v[100:101], -v[128:129]
	s_delay_alu instid0(VALU_DEP_2) | instskip(NEXT) | instid1(VALU_DEP_1)
	v_fma_f64 v[170:171], v[172:173], v[168:169], v[170:171]
	v_add_f64 v[102:103], v[102:103], -v[170:171]
	ds_load_2addr_b64 v[170:173], v252 offset0:34 offset1:35
	s_waitcnt lgkmcnt(0)
	v_mul_f64 v[128:129], v[172:173], v[130:131]
	s_delay_alu instid0(VALU_DEP_1) | instskip(SKIP_1) | instid1(VALU_DEP_2)
	v_fma_f64 v[128:129], v[170:171], v[168:169], -v[128:129]
	v_mul_f64 v[170:171], v[170:171], v[130:131]
	v_add_f64 v[96:97], v[96:97], -v[128:129]
	s_delay_alu instid0(VALU_DEP_2) | instskip(NEXT) | instid1(VALU_DEP_1)
	v_fma_f64 v[170:171], v[172:173], v[168:169], v[170:171]
	v_add_f64 v[98:99], v[98:99], -v[170:171]
	ds_load_2addr_b64 v[170:173], v252 offset0:36 offset1:37
	s_waitcnt lgkmcnt(0)
	v_mul_f64 v[128:129], v[172:173], v[130:131]
	s_delay_alu instid0(VALU_DEP_1) | instskip(SKIP_1) | instid1(VALU_DEP_2)
	v_fma_f64 v[128:129], v[170:171], v[168:169], -v[128:129]
	v_mul_f64 v[170:171], v[170:171], v[130:131]
	v_add_f64 v[92:93], v[92:93], -v[128:129]
	s_delay_alu instid0(VALU_DEP_2) | instskip(NEXT) | instid1(VALU_DEP_1)
	v_fma_f64 v[170:171], v[172:173], v[168:169], v[170:171]
	v_add_f64 v[94:95], v[94:95], -v[170:171]
	ds_load_2addr_b64 v[170:173], v252 offset0:38 offset1:39
	s_waitcnt lgkmcnt(0)
	v_mul_f64 v[128:129], v[172:173], v[130:131]
	s_delay_alu instid0(VALU_DEP_1) | instskip(SKIP_1) | instid1(VALU_DEP_2)
	v_fma_f64 v[128:129], v[170:171], v[168:169], -v[128:129]
	v_mul_f64 v[170:171], v[170:171], v[130:131]
	v_add_f64 v[88:89], v[88:89], -v[128:129]
	s_delay_alu instid0(VALU_DEP_2) | instskip(NEXT) | instid1(VALU_DEP_1)
	v_fma_f64 v[170:171], v[172:173], v[168:169], v[170:171]
	v_add_f64 v[90:91], v[90:91], -v[170:171]
	ds_load_2addr_b64 v[170:173], v252 offset0:40 offset1:41
	s_waitcnt lgkmcnt(0)
	v_mul_f64 v[128:129], v[172:173], v[130:131]
	s_delay_alu instid0(VALU_DEP_1) | instskip(SKIP_1) | instid1(VALU_DEP_2)
	v_fma_f64 v[128:129], v[170:171], v[168:169], -v[128:129]
	v_mul_f64 v[170:171], v[170:171], v[130:131]
	v_add_f64 v[84:85], v[84:85], -v[128:129]
	s_delay_alu instid0(VALU_DEP_2) | instskip(NEXT) | instid1(VALU_DEP_1)
	v_fma_f64 v[170:171], v[172:173], v[168:169], v[170:171]
	v_add_f64 v[86:87], v[86:87], -v[170:171]
	ds_load_2addr_b64 v[170:173], v252 offset0:42 offset1:43
	s_waitcnt lgkmcnt(0)
	v_mul_f64 v[128:129], v[172:173], v[130:131]
	s_delay_alu instid0(VALU_DEP_1) | instskip(SKIP_1) | instid1(VALU_DEP_2)
	v_fma_f64 v[128:129], v[170:171], v[168:169], -v[128:129]
	v_mul_f64 v[170:171], v[170:171], v[130:131]
	v_add_f64 v[80:81], v[80:81], -v[128:129]
	s_delay_alu instid0(VALU_DEP_2) | instskip(NEXT) | instid1(VALU_DEP_1)
	v_fma_f64 v[170:171], v[172:173], v[168:169], v[170:171]
	v_add_f64 v[82:83], v[82:83], -v[170:171]
	ds_load_2addr_b64 v[170:173], v252 offset0:44 offset1:45
	s_waitcnt lgkmcnt(0)
	v_mul_f64 v[128:129], v[172:173], v[130:131]
	s_delay_alu instid0(VALU_DEP_1) | instskip(SKIP_1) | instid1(VALU_DEP_2)
	v_fma_f64 v[128:129], v[170:171], v[168:169], -v[128:129]
	v_mul_f64 v[170:171], v[170:171], v[130:131]
	v_add_f64 v[76:77], v[76:77], -v[128:129]
	s_delay_alu instid0(VALU_DEP_2) | instskip(NEXT) | instid1(VALU_DEP_1)
	v_fma_f64 v[170:171], v[172:173], v[168:169], v[170:171]
	v_add_f64 v[78:79], v[78:79], -v[170:171]
	ds_load_2addr_b64 v[170:173], v252 offset0:46 offset1:47
	s_waitcnt lgkmcnt(0)
	v_mul_f64 v[128:129], v[172:173], v[130:131]
	s_delay_alu instid0(VALU_DEP_1) | instskip(SKIP_1) | instid1(VALU_DEP_2)
	v_fma_f64 v[128:129], v[170:171], v[168:169], -v[128:129]
	v_mul_f64 v[170:171], v[170:171], v[130:131]
	v_add_f64 v[72:73], v[72:73], -v[128:129]
	s_delay_alu instid0(VALU_DEP_2) | instskip(NEXT) | instid1(VALU_DEP_1)
	v_fma_f64 v[170:171], v[172:173], v[168:169], v[170:171]
	v_add_f64 v[74:75], v[74:75], -v[170:171]
	ds_load_2addr_b64 v[170:173], v252 offset0:48 offset1:49
	s_waitcnt lgkmcnt(0)
	v_mul_f64 v[128:129], v[172:173], v[130:131]
	s_delay_alu instid0(VALU_DEP_1) | instskip(SKIP_1) | instid1(VALU_DEP_2)
	v_fma_f64 v[128:129], v[170:171], v[168:169], -v[128:129]
	v_mul_f64 v[170:171], v[170:171], v[130:131]
	v_add_f64 v[68:69], v[68:69], -v[128:129]
	s_delay_alu instid0(VALU_DEP_2) | instskip(NEXT) | instid1(VALU_DEP_1)
	v_fma_f64 v[170:171], v[172:173], v[168:169], v[170:171]
	v_add_f64 v[70:71], v[70:71], -v[170:171]
	ds_load_2addr_b64 v[170:173], v252 offset0:50 offset1:51
	s_waitcnt lgkmcnt(0)
	v_mul_f64 v[128:129], v[172:173], v[130:131]
	s_delay_alu instid0(VALU_DEP_1) | instskip(SKIP_1) | instid1(VALU_DEP_2)
	v_fma_f64 v[128:129], v[170:171], v[168:169], -v[128:129]
	v_mul_f64 v[170:171], v[170:171], v[130:131]
	v_add_f64 v[64:65], v[64:65], -v[128:129]
	s_delay_alu instid0(VALU_DEP_2) | instskip(NEXT) | instid1(VALU_DEP_1)
	v_fma_f64 v[170:171], v[172:173], v[168:169], v[170:171]
	v_add_f64 v[66:67], v[66:67], -v[170:171]
	ds_load_2addr_b64 v[170:173], v252 offset0:52 offset1:53
	s_waitcnt lgkmcnt(0)
	v_mul_f64 v[128:129], v[172:173], v[130:131]
	s_delay_alu instid0(VALU_DEP_1) | instskip(SKIP_1) | instid1(VALU_DEP_2)
	v_fma_f64 v[128:129], v[170:171], v[168:169], -v[128:129]
	v_mul_f64 v[170:171], v[170:171], v[130:131]
	v_add_f64 v[60:61], v[60:61], -v[128:129]
	s_delay_alu instid0(VALU_DEP_2) | instskip(NEXT) | instid1(VALU_DEP_1)
	v_fma_f64 v[170:171], v[172:173], v[168:169], v[170:171]
	v_add_f64 v[62:63], v[62:63], -v[170:171]
	ds_load_2addr_b64 v[170:173], v252 offset0:54 offset1:55
	s_waitcnt lgkmcnt(0)
	v_mul_f64 v[128:129], v[172:173], v[130:131]
	s_delay_alu instid0(VALU_DEP_1) | instskip(SKIP_1) | instid1(VALU_DEP_2)
	v_fma_f64 v[128:129], v[170:171], v[168:169], -v[128:129]
	v_mul_f64 v[170:171], v[170:171], v[130:131]
	v_add_f64 v[56:57], v[56:57], -v[128:129]
	s_delay_alu instid0(VALU_DEP_2) | instskip(NEXT) | instid1(VALU_DEP_1)
	v_fma_f64 v[170:171], v[172:173], v[168:169], v[170:171]
	v_add_f64 v[58:59], v[58:59], -v[170:171]
	ds_load_2addr_b64 v[170:173], v252 offset0:56 offset1:57
	s_waitcnt lgkmcnt(0)
	v_mul_f64 v[128:129], v[172:173], v[130:131]
	s_delay_alu instid0(VALU_DEP_1) | instskip(SKIP_1) | instid1(VALU_DEP_2)
	v_fma_f64 v[128:129], v[170:171], v[168:169], -v[128:129]
	v_mul_f64 v[170:171], v[170:171], v[130:131]
	v_add_f64 v[52:53], v[52:53], -v[128:129]
	s_delay_alu instid0(VALU_DEP_2) | instskip(NEXT) | instid1(VALU_DEP_1)
	v_fma_f64 v[170:171], v[172:173], v[168:169], v[170:171]
	v_add_f64 v[54:55], v[54:55], -v[170:171]
	ds_load_2addr_b64 v[170:173], v252 offset0:58 offset1:59
	s_waitcnt lgkmcnt(0)
	v_mul_f64 v[128:129], v[172:173], v[130:131]
	s_delay_alu instid0(VALU_DEP_1) | instskip(SKIP_1) | instid1(VALU_DEP_2)
	v_fma_f64 v[128:129], v[170:171], v[168:169], -v[128:129]
	v_mul_f64 v[170:171], v[170:171], v[130:131]
	v_add_f64 v[48:49], v[48:49], -v[128:129]
	s_delay_alu instid0(VALU_DEP_2) | instskip(NEXT) | instid1(VALU_DEP_1)
	v_fma_f64 v[170:171], v[172:173], v[168:169], v[170:171]
	v_add_f64 v[50:51], v[50:51], -v[170:171]
	ds_load_2addr_b64 v[170:173], v252 offset0:60 offset1:61
	s_waitcnt lgkmcnt(0)
	v_mul_f64 v[128:129], v[172:173], v[130:131]
	s_delay_alu instid0(VALU_DEP_1) | instskip(SKIP_1) | instid1(VALU_DEP_2)
	v_fma_f64 v[128:129], v[170:171], v[168:169], -v[128:129]
	v_mul_f64 v[170:171], v[170:171], v[130:131]
	v_add_f64 v[44:45], v[44:45], -v[128:129]
	s_delay_alu instid0(VALU_DEP_2) | instskip(NEXT) | instid1(VALU_DEP_1)
	v_fma_f64 v[170:171], v[172:173], v[168:169], v[170:171]
	v_add_f64 v[46:47], v[46:47], -v[170:171]
	ds_load_2addr_b64 v[170:173], v252 offset0:62 offset1:63
	s_waitcnt lgkmcnt(0)
	v_mul_f64 v[128:129], v[172:173], v[130:131]
	s_delay_alu instid0(VALU_DEP_1) | instskip(SKIP_1) | instid1(VALU_DEP_2)
	v_fma_f64 v[128:129], v[170:171], v[168:169], -v[128:129]
	v_mul_f64 v[170:171], v[170:171], v[130:131]
	v_add_f64 v[40:41], v[40:41], -v[128:129]
	s_delay_alu instid0(VALU_DEP_2) | instskip(NEXT) | instid1(VALU_DEP_1)
	v_fma_f64 v[170:171], v[172:173], v[168:169], v[170:171]
	v_add_f64 v[42:43], v[42:43], -v[170:171]
	ds_load_2addr_b64 v[170:173], v252 offset0:64 offset1:65
	s_waitcnt lgkmcnt(0)
	v_mul_f64 v[128:129], v[172:173], v[130:131]
	s_delay_alu instid0(VALU_DEP_1) | instskip(SKIP_1) | instid1(VALU_DEP_2)
	v_fma_f64 v[128:129], v[170:171], v[168:169], -v[128:129]
	v_mul_f64 v[170:171], v[170:171], v[130:131]
	v_add_f64 v[36:37], v[36:37], -v[128:129]
	s_delay_alu instid0(VALU_DEP_2) | instskip(NEXT) | instid1(VALU_DEP_1)
	v_fma_f64 v[170:171], v[172:173], v[168:169], v[170:171]
	v_add_f64 v[38:39], v[38:39], -v[170:171]
	ds_load_2addr_b64 v[170:173], v252 offset0:66 offset1:67
	s_waitcnt lgkmcnt(0)
	v_mul_f64 v[128:129], v[172:173], v[130:131]
	s_delay_alu instid0(VALU_DEP_1) | instskip(SKIP_1) | instid1(VALU_DEP_2)
	v_fma_f64 v[128:129], v[170:171], v[168:169], -v[128:129]
	v_mul_f64 v[170:171], v[170:171], v[130:131]
	v_add_f64 v[32:33], v[32:33], -v[128:129]
	s_delay_alu instid0(VALU_DEP_2) | instskip(NEXT) | instid1(VALU_DEP_1)
	v_fma_f64 v[170:171], v[172:173], v[168:169], v[170:171]
	v_add_f64 v[34:35], v[34:35], -v[170:171]
	ds_load_2addr_b64 v[170:173], v252 offset0:68 offset1:69
	s_waitcnt lgkmcnt(0)
	v_mul_f64 v[128:129], v[172:173], v[130:131]
	s_delay_alu instid0(VALU_DEP_1) | instskip(SKIP_1) | instid1(VALU_DEP_2)
	v_fma_f64 v[128:129], v[170:171], v[168:169], -v[128:129]
	v_mul_f64 v[170:171], v[170:171], v[130:131]
	v_add_f64 v[28:29], v[28:29], -v[128:129]
	s_delay_alu instid0(VALU_DEP_2) | instskip(NEXT) | instid1(VALU_DEP_1)
	v_fma_f64 v[170:171], v[172:173], v[168:169], v[170:171]
	v_add_f64 v[30:31], v[30:31], -v[170:171]
	ds_load_2addr_b64 v[170:173], v252 offset0:70 offset1:71
	s_waitcnt lgkmcnt(0)
	v_mul_f64 v[128:129], v[172:173], v[130:131]
	s_delay_alu instid0(VALU_DEP_1) | instskip(SKIP_1) | instid1(VALU_DEP_2)
	v_fma_f64 v[128:129], v[170:171], v[168:169], -v[128:129]
	v_mul_f64 v[170:171], v[170:171], v[130:131]
	v_add_f64 v[24:25], v[24:25], -v[128:129]
	s_delay_alu instid0(VALU_DEP_2) | instskip(NEXT) | instid1(VALU_DEP_1)
	v_fma_f64 v[170:171], v[172:173], v[168:169], v[170:171]
	v_add_f64 v[26:27], v[26:27], -v[170:171]
	ds_load_2addr_b64 v[170:173], v252 offset0:72 offset1:73
	s_waitcnt lgkmcnt(0)
	v_mul_f64 v[128:129], v[172:173], v[130:131]
	s_delay_alu instid0(VALU_DEP_1) | instskip(SKIP_1) | instid1(VALU_DEP_2)
	v_fma_f64 v[128:129], v[170:171], v[168:169], -v[128:129]
	v_mul_f64 v[170:171], v[170:171], v[130:131]
	v_add_f64 v[20:21], v[20:21], -v[128:129]
	s_delay_alu instid0(VALU_DEP_2) | instskip(NEXT) | instid1(VALU_DEP_1)
	v_fma_f64 v[170:171], v[172:173], v[168:169], v[170:171]
	v_add_f64 v[22:23], v[22:23], -v[170:171]
	ds_load_2addr_b64 v[170:173], v252 offset0:74 offset1:75
	s_waitcnt lgkmcnt(0)
	v_mul_f64 v[128:129], v[172:173], v[130:131]
	s_delay_alu instid0(VALU_DEP_1) | instskip(SKIP_1) | instid1(VALU_DEP_2)
	v_fma_f64 v[128:129], v[170:171], v[168:169], -v[128:129]
	v_mul_f64 v[170:171], v[170:171], v[130:131]
	v_add_f64 v[16:17], v[16:17], -v[128:129]
	s_delay_alu instid0(VALU_DEP_2) | instskip(NEXT) | instid1(VALU_DEP_1)
	v_fma_f64 v[170:171], v[172:173], v[168:169], v[170:171]
	v_add_f64 v[18:19], v[18:19], -v[170:171]
	ds_load_2addr_b64 v[170:173], v252 offset0:76 offset1:77
	s_waitcnt lgkmcnt(0)
	v_mul_f64 v[128:129], v[172:173], v[130:131]
	s_delay_alu instid0(VALU_DEP_1) | instskip(SKIP_1) | instid1(VALU_DEP_2)
	v_fma_f64 v[128:129], v[170:171], v[168:169], -v[128:129]
	v_mul_f64 v[170:171], v[170:171], v[130:131]
	v_add_f64 v[12:13], v[12:13], -v[128:129]
	s_delay_alu instid0(VALU_DEP_2) | instskip(NEXT) | instid1(VALU_DEP_1)
	v_fma_f64 v[170:171], v[172:173], v[168:169], v[170:171]
	v_add_f64 v[14:15], v[14:15], -v[170:171]
	ds_load_2addr_b64 v[170:173], v252 offset0:78 offset1:79
	s_waitcnt lgkmcnt(0)
	v_mul_f64 v[128:129], v[172:173], v[130:131]
	s_delay_alu instid0(VALU_DEP_1) | instskip(SKIP_1) | instid1(VALU_DEP_2)
	v_fma_f64 v[128:129], v[170:171], v[168:169], -v[128:129]
	v_mul_f64 v[170:171], v[170:171], v[130:131]
	v_add_f64 v[8:9], v[8:9], -v[128:129]
	s_delay_alu instid0(VALU_DEP_2) | instskip(NEXT) | instid1(VALU_DEP_1)
	v_fma_f64 v[170:171], v[172:173], v[168:169], v[170:171]
	v_add_f64 v[10:11], v[10:11], -v[170:171]
	ds_load_2addr_b64 v[170:173], v252 offset0:80 offset1:81
	s_waitcnt lgkmcnt(0)
	v_mul_f64 v[128:129], v[172:173], v[130:131]
	s_delay_alu instid0(VALU_DEP_1) | instskip(SKIP_1) | instid1(VALU_DEP_2)
	v_fma_f64 v[128:129], v[170:171], v[168:169], -v[128:129]
	v_mul_f64 v[170:171], v[170:171], v[130:131]
	v_add_f64 v[4:5], v[4:5], -v[128:129]
	s_delay_alu instid0(VALU_DEP_2) | instskip(NEXT) | instid1(VALU_DEP_1)
	v_fma_f64 v[170:171], v[172:173], v[168:169], v[170:171]
	v_add_f64 v[6:7], v[6:7], -v[170:171]
	ds_load_2addr_b64 v[170:173], v252 offset0:82 offset1:83
	s_waitcnt lgkmcnt(0)
	v_mul_f64 v[128:129], v[172:173], v[130:131]
	s_delay_alu instid0(VALU_DEP_1) | instskip(SKIP_1) | instid1(VALU_DEP_2)
	v_fma_f64 v[128:129], v[170:171], v[168:169], -v[128:129]
	v_mul_f64 v[170:171], v[170:171], v[130:131]
	v_add_f64 v[0:1], v[0:1], -v[128:129]
	s_delay_alu instid0(VALU_DEP_2) | instskip(SKIP_1) | instid1(VALU_DEP_2)
	v_fma_f64 v[170:171], v[172:173], v[168:169], v[170:171]
	v_dual_mov_b32 v128, v168 :: v_dual_mov_b32 v129, v169
	v_add_f64 v[2:3], v[2:3], -v[170:171]
.LBB83_91:
	s_or_b32 exec_lo, exec_lo, s3
	s_delay_alu instid0(SALU_CYCLE_1)
	s_mov_b32 s4, exec_lo
	s_waitcnt_vscnt null, 0x0
	s_barrier
	buffer_gl0_inv
	v_cmpx_eq_u32_e32 10, v250
	s_cbranch_execz .LBB83_98
; %bb.92:
	ds_store_2addr_b64 v251, v[124:125], v[126:127] offset1:1
	ds_store_2addr_b64 v252, v[120:121], v[122:123] offset0:22 offset1:23
	ds_store_2addr_b64 v252, v[116:117], v[118:119] offset0:24 offset1:25
	;; [unrolled: 1-line block ×31, first 2 shown]
	ds_load_2addr_b64 v[168:171], v251 offset1:1
	s_waitcnt lgkmcnt(0)
	v_cmp_neq_f64_e32 vcc_lo, 0, v[168:169]
	v_cmp_neq_f64_e64 s3, 0, v[170:171]
	s_delay_alu instid0(VALU_DEP_1) | instskip(NEXT) | instid1(SALU_CYCLE_1)
	s_or_b32 s3, vcc_lo, s3
	s_and_b32 exec_lo, exec_lo, s3
	s_cbranch_execz .LBB83_98
; %bb.93:
	v_cmp_gt_f64_e32 vcc_lo, 0, v[168:169]
	v_xor_b32_e32 v172, 0x80000000, v169
	v_xor_b32_e32 v174, 0x80000000, v171
	s_mov_b32 s3, exec_lo
                                        ; implicit-def: $vgpr176_vgpr177
	s_delay_alu instid0(VALU_DEP_2) | instskip(SKIP_4) | instid1(VALU_DEP_1)
	v_cndmask_b32_e32 v173, v169, v172, vcc_lo
	v_cndmask_b32_e32 v172, v168, v168, vcc_lo
	v_cmp_gt_f64_e32 vcc_lo, 0, v[170:171]
	v_cndmask_b32_e32 v175, v171, v174, vcc_lo
	v_cndmask_b32_e32 v174, v170, v170, vcc_lo
	v_cmpx_ngt_f64_e32 v[172:173], v[174:175]
	s_xor_b32 s3, exec_lo, s3
                                        ; implicit-def: $vgpr172_vgpr173_vgpr174_vgpr175
	s_cbranch_execz .LBB83_95
; %bb.94:
	v_div_scale_f64 v[172:173], null, v[170:171], v[170:171], v[168:169]
	v_div_scale_f64 v[178:179], vcc_lo, v[168:169], v[170:171], v[168:169]
	s_delay_alu instid0(VALU_DEP_2) | instskip(SKIP_2) | instid1(VALU_DEP_1)
	v_rcp_f64_e32 v[174:175], v[172:173]
	s_waitcnt_depctr 0xfff
	v_fma_f64 v[176:177], -v[172:173], v[174:175], 1.0
	v_fma_f64 v[174:175], v[174:175], v[176:177], v[174:175]
	s_delay_alu instid0(VALU_DEP_1) | instskip(NEXT) | instid1(VALU_DEP_1)
	v_fma_f64 v[176:177], -v[172:173], v[174:175], 1.0
	v_fma_f64 v[174:175], v[174:175], v[176:177], v[174:175]
	s_delay_alu instid0(VALU_DEP_1) | instskip(NEXT) | instid1(VALU_DEP_1)
	v_mul_f64 v[176:177], v[178:179], v[174:175]
	v_fma_f64 v[172:173], -v[172:173], v[176:177], v[178:179]
	s_delay_alu instid0(VALU_DEP_1) | instskip(NEXT) | instid1(VALU_DEP_1)
	v_div_fmas_f64 v[172:173], v[172:173], v[174:175], v[176:177]
	v_div_fixup_f64 v[172:173], v[172:173], v[170:171], v[168:169]
	s_delay_alu instid0(VALU_DEP_1) | instskip(NEXT) | instid1(VALU_DEP_1)
	v_fma_f64 v[168:169], v[168:169], v[172:173], v[170:171]
	v_div_scale_f64 v[170:171], null, v[168:169], v[168:169], 1.0
	s_delay_alu instid0(VALU_DEP_1) | instskip(SKIP_2) | instid1(VALU_DEP_1)
	v_rcp_f64_e32 v[174:175], v[170:171]
	s_waitcnt_depctr 0xfff
	v_fma_f64 v[176:177], -v[170:171], v[174:175], 1.0
	v_fma_f64 v[174:175], v[174:175], v[176:177], v[174:175]
	s_delay_alu instid0(VALU_DEP_1) | instskip(NEXT) | instid1(VALU_DEP_1)
	v_fma_f64 v[176:177], -v[170:171], v[174:175], 1.0
	v_fma_f64 v[174:175], v[174:175], v[176:177], v[174:175]
	v_div_scale_f64 v[176:177], vcc_lo, 1.0, v[168:169], 1.0
	s_delay_alu instid0(VALU_DEP_1) | instskip(NEXT) | instid1(VALU_DEP_1)
	v_mul_f64 v[178:179], v[176:177], v[174:175]
	v_fma_f64 v[170:171], -v[170:171], v[178:179], v[176:177]
	s_delay_alu instid0(VALU_DEP_1) | instskip(NEXT) | instid1(VALU_DEP_1)
	v_div_fmas_f64 v[170:171], v[170:171], v[174:175], v[178:179]
	v_div_fixup_f64 v[174:175], v[170:171], v[168:169], 1.0
                                        ; implicit-def: $vgpr168_vgpr169
	s_delay_alu instid0(VALU_DEP_1)
	v_mul_f64 v[176:177], v[172:173], v[174:175]
	v_xor_b32_e32 v175, 0x80000000, v175
.LBB83_95:
	s_and_not1_saveexec_b32 s3, s3
	s_cbranch_execz .LBB83_97
; %bb.96:
	v_div_scale_f64 v[172:173], null, v[168:169], v[168:169], v[170:171]
	v_div_scale_f64 v[178:179], vcc_lo, v[170:171], v[168:169], v[170:171]
	s_delay_alu instid0(VALU_DEP_2) | instskip(SKIP_2) | instid1(VALU_DEP_1)
	v_rcp_f64_e32 v[174:175], v[172:173]
	s_waitcnt_depctr 0xfff
	v_fma_f64 v[176:177], -v[172:173], v[174:175], 1.0
	v_fma_f64 v[174:175], v[174:175], v[176:177], v[174:175]
	s_delay_alu instid0(VALU_DEP_1) | instskip(NEXT) | instid1(VALU_DEP_1)
	v_fma_f64 v[176:177], -v[172:173], v[174:175], 1.0
	v_fma_f64 v[174:175], v[174:175], v[176:177], v[174:175]
	s_delay_alu instid0(VALU_DEP_1) | instskip(NEXT) | instid1(VALU_DEP_1)
	v_mul_f64 v[176:177], v[178:179], v[174:175]
	v_fma_f64 v[172:173], -v[172:173], v[176:177], v[178:179]
	s_delay_alu instid0(VALU_DEP_1) | instskip(NEXT) | instid1(VALU_DEP_1)
	v_div_fmas_f64 v[172:173], v[172:173], v[174:175], v[176:177]
	v_div_fixup_f64 v[172:173], v[172:173], v[168:169], v[170:171]
	s_delay_alu instid0(VALU_DEP_1) | instskip(NEXT) | instid1(VALU_DEP_1)
	v_fma_f64 v[168:169], v[170:171], v[172:173], v[168:169]
	v_div_scale_f64 v[170:171], null, v[168:169], v[168:169], 1.0
	s_delay_alu instid0(VALU_DEP_1) | instskip(SKIP_2) | instid1(VALU_DEP_1)
	v_rcp_f64_e32 v[174:175], v[170:171]
	s_waitcnt_depctr 0xfff
	v_fma_f64 v[176:177], -v[170:171], v[174:175], 1.0
	v_fma_f64 v[174:175], v[174:175], v[176:177], v[174:175]
	s_delay_alu instid0(VALU_DEP_1) | instskip(NEXT) | instid1(VALU_DEP_1)
	v_fma_f64 v[176:177], -v[170:171], v[174:175], 1.0
	v_fma_f64 v[174:175], v[174:175], v[176:177], v[174:175]
	v_div_scale_f64 v[176:177], vcc_lo, 1.0, v[168:169], 1.0
	s_delay_alu instid0(VALU_DEP_1) | instskip(NEXT) | instid1(VALU_DEP_1)
	v_mul_f64 v[178:179], v[176:177], v[174:175]
	v_fma_f64 v[170:171], -v[170:171], v[178:179], v[176:177]
	s_delay_alu instid0(VALU_DEP_1) | instskip(NEXT) | instid1(VALU_DEP_1)
	v_div_fmas_f64 v[170:171], v[170:171], v[174:175], v[178:179]
	v_div_fixup_f64 v[176:177], v[170:171], v[168:169], 1.0
	s_delay_alu instid0(VALU_DEP_1)
	v_mul_f64 v[174:175], v[172:173], -v[176:177]
.LBB83_97:
	s_or_b32 exec_lo, exec_lo, s3
	ds_store_2addr_b64 v251, v[176:177], v[174:175] offset1:1
.LBB83_98:
	s_or_b32 exec_lo, exec_lo, s4
	s_waitcnt lgkmcnt(0)
	s_barrier
	buffer_gl0_inv
	ds_load_2addr_b64 v[168:171], v251 offset1:1
	s_mov_b32 s3, exec_lo
	s_waitcnt lgkmcnt(0)
	scratch_store_b128 off, v[168:171], off offset:528 ; 16-byte Folded Spill
	v_cmpx_lt_u32_e32 10, v250
	s_cbranch_execz .LBB83_100
; %bb.99:
	scratch_load_b128 v[170:173], off, off offset:528 ; 16-byte Folded Reload
	s_waitcnt vmcnt(0)
	v_mul_f64 v[168:169], v[172:173], v[126:127]
	v_mul_f64 v[126:127], v[170:171], v[126:127]
	s_delay_alu instid0(VALU_DEP_2) | instskip(NEXT) | instid1(VALU_DEP_2)
	v_fma_f64 v[168:169], v[170:171], v[124:125], -v[168:169]
	v_fma_f64 v[126:127], v[172:173], v[124:125], v[126:127]
	ds_load_2addr_b64 v[170:173], v252 offset0:22 offset1:23
	s_waitcnt lgkmcnt(0)
	v_mul_f64 v[124:125], v[172:173], v[126:127]
	s_delay_alu instid0(VALU_DEP_1) | instskip(SKIP_1) | instid1(VALU_DEP_2)
	v_fma_f64 v[124:125], v[170:171], v[168:169], -v[124:125]
	v_mul_f64 v[170:171], v[170:171], v[126:127]
	v_add_f64 v[120:121], v[120:121], -v[124:125]
	s_delay_alu instid0(VALU_DEP_2) | instskip(NEXT) | instid1(VALU_DEP_1)
	v_fma_f64 v[170:171], v[172:173], v[168:169], v[170:171]
	v_add_f64 v[122:123], v[122:123], -v[170:171]
	ds_load_2addr_b64 v[170:173], v252 offset0:24 offset1:25
	s_waitcnt lgkmcnt(0)
	v_mul_f64 v[124:125], v[172:173], v[126:127]
	s_delay_alu instid0(VALU_DEP_1) | instskip(SKIP_1) | instid1(VALU_DEP_2)
	v_fma_f64 v[124:125], v[170:171], v[168:169], -v[124:125]
	v_mul_f64 v[170:171], v[170:171], v[126:127]
	v_add_f64 v[116:117], v[116:117], -v[124:125]
	s_delay_alu instid0(VALU_DEP_2) | instskip(NEXT) | instid1(VALU_DEP_1)
	v_fma_f64 v[170:171], v[172:173], v[168:169], v[170:171]
	v_add_f64 v[118:119], v[118:119], -v[170:171]
	;; [unrolled: 10-line block ×30, first 2 shown]
	ds_load_2addr_b64 v[170:173], v252 offset0:82 offset1:83
	s_waitcnt lgkmcnt(0)
	v_mul_f64 v[124:125], v[172:173], v[126:127]
	s_delay_alu instid0(VALU_DEP_1) | instskip(SKIP_1) | instid1(VALU_DEP_2)
	v_fma_f64 v[124:125], v[170:171], v[168:169], -v[124:125]
	v_mul_f64 v[170:171], v[170:171], v[126:127]
	v_add_f64 v[0:1], v[0:1], -v[124:125]
	s_delay_alu instid0(VALU_DEP_2) | instskip(SKIP_1) | instid1(VALU_DEP_2)
	v_fma_f64 v[170:171], v[172:173], v[168:169], v[170:171]
	v_dual_mov_b32 v124, v168 :: v_dual_mov_b32 v125, v169
	v_add_f64 v[2:3], v[2:3], -v[170:171]
.LBB83_100:
	s_or_b32 exec_lo, exec_lo, s3
	s_delay_alu instid0(SALU_CYCLE_1)
	s_mov_b32 s4, exec_lo
	s_waitcnt_vscnt null, 0x0
	s_barrier
	buffer_gl0_inv
	v_cmpx_eq_u32_e32 11, v250
	s_cbranch_execz .LBB83_107
; %bb.101:
	ds_store_2addr_b64 v251, v[120:121], v[122:123] offset1:1
	ds_store_2addr_b64 v252, v[116:117], v[118:119] offset0:24 offset1:25
	ds_store_2addr_b64 v252, v[112:113], v[114:115] offset0:26 offset1:27
	;; [unrolled: 1-line block ×30, first 2 shown]
	ds_load_2addr_b64 v[168:171], v251 offset1:1
	s_waitcnt lgkmcnt(0)
	v_cmp_neq_f64_e32 vcc_lo, 0, v[168:169]
	v_cmp_neq_f64_e64 s3, 0, v[170:171]
	s_delay_alu instid0(VALU_DEP_1) | instskip(NEXT) | instid1(SALU_CYCLE_1)
	s_or_b32 s3, vcc_lo, s3
	s_and_b32 exec_lo, exec_lo, s3
	s_cbranch_execz .LBB83_107
; %bb.102:
	v_cmp_gt_f64_e32 vcc_lo, 0, v[168:169]
	v_xor_b32_e32 v172, 0x80000000, v169
	v_xor_b32_e32 v174, 0x80000000, v171
	s_mov_b32 s3, exec_lo
                                        ; implicit-def: $vgpr176_vgpr177
	s_delay_alu instid0(VALU_DEP_2) | instskip(SKIP_4) | instid1(VALU_DEP_1)
	v_cndmask_b32_e32 v173, v169, v172, vcc_lo
	v_cndmask_b32_e32 v172, v168, v168, vcc_lo
	v_cmp_gt_f64_e32 vcc_lo, 0, v[170:171]
	v_cndmask_b32_e32 v175, v171, v174, vcc_lo
	v_cndmask_b32_e32 v174, v170, v170, vcc_lo
	v_cmpx_ngt_f64_e32 v[172:173], v[174:175]
	s_xor_b32 s3, exec_lo, s3
                                        ; implicit-def: $vgpr172_vgpr173_vgpr174_vgpr175
	s_cbranch_execz .LBB83_104
; %bb.103:
	v_div_scale_f64 v[172:173], null, v[170:171], v[170:171], v[168:169]
	v_div_scale_f64 v[178:179], vcc_lo, v[168:169], v[170:171], v[168:169]
	s_delay_alu instid0(VALU_DEP_2) | instskip(SKIP_2) | instid1(VALU_DEP_1)
	v_rcp_f64_e32 v[174:175], v[172:173]
	s_waitcnt_depctr 0xfff
	v_fma_f64 v[176:177], -v[172:173], v[174:175], 1.0
	v_fma_f64 v[174:175], v[174:175], v[176:177], v[174:175]
	s_delay_alu instid0(VALU_DEP_1) | instskip(NEXT) | instid1(VALU_DEP_1)
	v_fma_f64 v[176:177], -v[172:173], v[174:175], 1.0
	v_fma_f64 v[174:175], v[174:175], v[176:177], v[174:175]
	s_delay_alu instid0(VALU_DEP_1) | instskip(NEXT) | instid1(VALU_DEP_1)
	v_mul_f64 v[176:177], v[178:179], v[174:175]
	v_fma_f64 v[172:173], -v[172:173], v[176:177], v[178:179]
	s_delay_alu instid0(VALU_DEP_1) | instskip(NEXT) | instid1(VALU_DEP_1)
	v_div_fmas_f64 v[172:173], v[172:173], v[174:175], v[176:177]
	v_div_fixup_f64 v[172:173], v[172:173], v[170:171], v[168:169]
	s_delay_alu instid0(VALU_DEP_1) | instskip(NEXT) | instid1(VALU_DEP_1)
	v_fma_f64 v[168:169], v[168:169], v[172:173], v[170:171]
	v_div_scale_f64 v[170:171], null, v[168:169], v[168:169], 1.0
	s_delay_alu instid0(VALU_DEP_1) | instskip(SKIP_2) | instid1(VALU_DEP_1)
	v_rcp_f64_e32 v[174:175], v[170:171]
	s_waitcnt_depctr 0xfff
	v_fma_f64 v[176:177], -v[170:171], v[174:175], 1.0
	v_fma_f64 v[174:175], v[174:175], v[176:177], v[174:175]
	s_delay_alu instid0(VALU_DEP_1) | instskip(NEXT) | instid1(VALU_DEP_1)
	v_fma_f64 v[176:177], -v[170:171], v[174:175], 1.0
	v_fma_f64 v[174:175], v[174:175], v[176:177], v[174:175]
	v_div_scale_f64 v[176:177], vcc_lo, 1.0, v[168:169], 1.0
	s_delay_alu instid0(VALU_DEP_1) | instskip(NEXT) | instid1(VALU_DEP_1)
	v_mul_f64 v[178:179], v[176:177], v[174:175]
	v_fma_f64 v[170:171], -v[170:171], v[178:179], v[176:177]
	s_delay_alu instid0(VALU_DEP_1) | instskip(NEXT) | instid1(VALU_DEP_1)
	v_div_fmas_f64 v[170:171], v[170:171], v[174:175], v[178:179]
	v_div_fixup_f64 v[174:175], v[170:171], v[168:169], 1.0
                                        ; implicit-def: $vgpr168_vgpr169
	s_delay_alu instid0(VALU_DEP_1)
	v_mul_f64 v[176:177], v[172:173], v[174:175]
	v_xor_b32_e32 v175, 0x80000000, v175
.LBB83_104:
	s_and_not1_saveexec_b32 s3, s3
	s_cbranch_execz .LBB83_106
; %bb.105:
	v_div_scale_f64 v[172:173], null, v[168:169], v[168:169], v[170:171]
	v_div_scale_f64 v[178:179], vcc_lo, v[170:171], v[168:169], v[170:171]
	s_delay_alu instid0(VALU_DEP_2) | instskip(SKIP_2) | instid1(VALU_DEP_1)
	v_rcp_f64_e32 v[174:175], v[172:173]
	s_waitcnt_depctr 0xfff
	v_fma_f64 v[176:177], -v[172:173], v[174:175], 1.0
	v_fma_f64 v[174:175], v[174:175], v[176:177], v[174:175]
	s_delay_alu instid0(VALU_DEP_1) | instskip(NEXT) | instid1(VALU_DEP_1)
	v_fma_f64 v[176:177], -v[172:173], v[174:175], 1.0
	v_fma_f64 v[174:175], v[174:175], v[176:177], v[174:175]
	s_delay_alu instid0(VALU_DEP_1) | instskip(NEXT) | instid1(VALU_DEP_1)
	v_mul_f64 v[176:177], v[178:179], v[174:175]
	v_fma_f64 v[172:173], -v[172:173], v[176:177], v[178:179]
	s_delay_alu instid0(VALU_DEP_1) | instskip(NEXT) | instid1(VALU_DEP_1)
	v_div_fmas_f64 v[172:173], v[172:173], v[174:175], v[176:177]
	v_div_fixup_f64 v[172:173], v[172:173], v[168:169], v[170:171]
	s_delay_alu instid0(VALU_DEP_1) | instskip(NEXT) | instid1(VALU_DEP_1)
	v_fma_f64 v[168:169], v[170:171], v[172:173], v[168:169]
	v_div_scale_f64 v[170:171], null, v[168:169], v[168:169], 1.0
	s_delay_alu instid0(VALU_DEP_1) | instskip(SKIP_2) | instid1(VALU_DEP_1)
	v_rcp_f64_e32 v[174:175], v[170:171]
	s_waitcnt_depctr 0xfff
	v_fma_f64 v[176:177], -v[170:171], v[174:175], 1.0
	v_fma_f64 v[174:175], v[174:175], v[176:177], v[174:175]
	s_delay_alu instid0(VALU_DEP_1) | instskip(NEXT) | instid1(VALU_DEP_1)
	v_fma_f64 v[176:177], -v[170:171], v[174:175], 1.0
	v_fma_f64 v[174:175], v[174:175], v[176:177], v[174:175]
	v_div_scale_f64 v[176:177], vcc_lo, 1.0, v[168:169], 1.0
	s_delay_alu instid0(VALU_DEP_1) | instskip(NEXT) | instid1(VALU_DEP_1)
	v_mul_f64 v[178:179], v[176:177], v[174:175]
	v_fma_f64 v[170:171], -v[170:171], v[178:179], v[176:177]
	s_delay_alu instid0(VALU_DEP_1) | instskip(NEXT) | instid1(VALU_DEP_1)
	v_div_fmas_f64 v[170:171], v[170:171], v[174:175], v[178:179]
	v_div_fixup_f64 v[176:177], v[170:171], v[168:169], 1.0
	s_delay_alu instid0(VALU_DEP_1)
	v_mul_f64 v[174:175], v[172:173], -v[176:177]
.LBB83_106:
	s_or_b32 exec_lo, exec_lo, s3
	ds_store_2addr_b64 v251, v[176:177], v[174:175] offset1:1
.LBB83_107:
	s_or_b32 exec_lo, exec_lo, s4
	s_waitcnt lgkmcnt(0)
	s_barrier
	buffer_gl0_inv
	ds_load_2addr_b64 v[168:171], v251 offset1:1
	s_mov_b32 s3, exec_lo
	s_waitcnt lgkmcnt(0)
	scratch_store_b128 off, v[168:171], off offset:544 ; 16-byte Folded Spill
	v_cmpx_lt_u32_e32 11, v250
	s_cbranch_execz .LBB83_109
; %bb.108:
	scratch_load_b128 v[170:173], off, off offset:544 ; 16-byte Folded Reload
	s_waitcnt vmcnt(0)
	v_mul_f64 v[168:169], v[172:173], v[122:123]
	v_mul_f64 v[122:123], v[170:171], v[122:123]
	s_delay_alu instid0(VALU_DEP_2) | instskip(NEXT) | instid1(VALU_DEP_2)
	v_fma_f64 v[168:169], v[170:171], v[120:121], -v[168:169]
	v_fma_f64 v[122:123], v[172:173], v[120:121], v[122:123]
	ds_load_2addr_b64 v[170:173], v252 offset0:24 offset1:25
	s_waitcnt lgkmcnt(0)
	v_mul_f64 v[120:121], v[172:173], v[122:123]
	s_delay_alu instid0(VALU_DEP_1) | instskip(SKIP_1) | instid1(VALU_DEP_2)
	v_fma_f64 v[120:121], v[170:171], v[168:169], -v[120:121]
	v_mul_f64 v[170:171], v[170:171], v[122:123]
	v_add_f64 v[116:117], v[116:117], -v[120:121]
	s_delay_alu instid0(VALU_DEP_2) | instskip(NEXT) | instid1(VALU_DEP_1)
	v_fma_f64 v[170:171], v[172:173], v[168:169], v[170:171]
	v_add_f64 v[118:119], v[118:119], -v[170:171]
	ds_load_2addr_b64 v[170:173], v252 offset0:26 offset1:27
	s_waitcnt lgkmcnt(0)
	v_mul_f64 v[120:121], v[172:173], v[122:123]
	s_delay_alu instid0(VALU_DEP_1) | instskip(SKIP_1) | instid1(VALU_DEP_2)
	v_fma_f64 v[120:121], v[170:171], v[168:169], -v[120:121]
	v_mul_f64 v[170:171], v[170:171], v[122:123]
	v_add_f64 v[112:113], v[112:113], -v[120:121]
	s_delay_alu instid0(VALU_DEP_2) | instskip(NEXT) | instid1(VALU_DEP_1)
	v_fma_f64 v[170:171], v[172:173], v[168:169], v[170:171]
	v_add_f64 v[114:115], v[114:115], -v[170:171]
	;; [unrolled: 10-line block ×29, first 2 shown]
	ds_load_2addr_b64 v[170:173], v252 offset0:82 offset1:83
	s_waitcnt lgkmcnt(0)
	v_mul_f64 v[120:121], v[172:173], v[122:123]
	s_delay_alu instid0(VALU_DEP_1) | instskip(SKIP_1) | instid1(VALU_DEP_2)
	v_fma_f64 v[120:121], v[170:171], v[168:169], -v[120:121]
	v_mul_f64 v[170:171], v[170:171], v[122:123]
	v_add_f64 v[0:1], v[0:1], -v[120:121]
	s_delay_alu instid0(VALU_DEP_2) | instskip(SKIP_1) | instid1(VALU_DEP_2)
	v_fma_f64 v[170:171], v[172:173], v[168:169], v[170:171]
	v_dual_mov_b32 v120, v168 :: v_dual_mov_b32 v121, v169
	v_add_f64 v[2:3], v[2:3], -v[170:171]
.LBB83_109:
	s_or_b32 exec_lo, exec_lo, s3
	s_delay_alu instid0(SALU_CYCLE_1)
	s_mov_b32 s4, exec_lo
	s_waitcnt_vscnt null, 0x0
	s_barrier
	buffer_gl0_inv
	v_cmpx_eq_u32_e32 12, v250
	s_cbranch_execz .LBB83_116
; %bb.110:
	ds_store_2addr_b64 v251, v[116:117], v[118:119] offset1:1
	ds_store_2addr_b64 v252, v[112:113], v[114:115] offset0:26 offset1:27
	ds_store_2addr_b64 v252, v[108:109], v[110:111] offset0:28 offset1:29
	;; [unrolled: 1-line block ×29, first 2 shown]
	ds_load_2addr_b64 v[168:171], v251 offset1:1
	s_waitcnt lgkmcnt(0)
	v_cmp_neq_f64_e32 vcc_lo, 0, v[168:169]
	v_cmp_neq_f64_e64 s3, 0, v[170:171]
	s_delay_alu instid0(VALU_DEP_1) | instskip(NEXT) | instid1(SALU_CYCLE_1)
	s_or_b32 s3, vcc_lo, s3
	s_and_b32 exec_lo, exec_lo, s3
	s_cbranch_execz .LBB83_116
; %bb.111:
	v_cmp_gt_f64_e32 vcc_lo, 0, v[168:169]
	v_xor_b32_e32 v172, 0x80000000, v169
	v_xor_b32_e32 v174, 0x80000000, v171
	s_mov_b32 s3, exec_lo
                                        ; implicit-def: $vgpr176_vgpr177
	s_delay_alu instid0(VALU_DEP_2) | instskip(SKIP_4) | instid1(VALU_DEP_1)
	v_cndmask_b32_e32 v173, v169, v172, vcc_lo
	v_cndmask_b32_e32 v172, v168, v168, vcc_lo
	v_cmp_gt_f64_e32 vcc_lo, 0, v[170:171]
	v_cndmask_b32_e32 v175, v171, v174, vcc_lo
	v_cndmask_b32_e32 v174, v170, v170, vcc_lo
	v_cmpx_ngt_f64_e32 v[172:173], v[174:175]
	s_xor_b32 s3, exec_lo, s3
                                        ; implicit-def: $vgpr172_vgpr173_vgpr174_vgpr175
	s_cbranch_execz .LBB83_113
; %bb.112:
	v_div_scale_f64 v[172:173], null, v[170:171], v[170:171], v[168:169]
	v_div_scale_f64 v[178:179], vcc_lo, v[168:169], v[170:171], v[168:169]
	s_delay_alu instid0(VALU_DEP_2) | instskip(SKIP_2) | instid1(VALU_DEP_1)
	v_rcp_f64_e32 v[174:175], v[172:173]
	s_waitcnt_depctr 0xfff
	v_fma_f64 v[176:177], -v[172:173], v[174:175], 1.0
	v_fma_f64 v[174:175], v[174:175], v[176:177], v[174:175]
	s_delay_alu instid0(VALU_DEP_1) | instskip(NEXT) | instid1(VALU_DEP_1)
	v_fma_f64 v[176:177], -v[172:173], v[174:175], 1.0
	v_fma_f64 v[174:175], v[174:175], v[176:177], v[174:175]
	s_delay_alu instid0(VALU_DEP_1) | instskip(NEXT) | instid1(VALU_DEP_1)
	v_mul_f64 v[176:177], v[178:179], v[174:175]
	v_fma_f64 v[172:173], -v[172:173], v[176:177], v[178:179]
	s_delay_alu instid0(VALU_DEP_1) | instskip(NEXT) | instid1(VALU_DEP_1)
	v_div_fmas_f64 v[172:173], v[172:173], v[174:175], v[176:177]
	v_div_fixup_f64 v[172:173], v[172:173], v[170:171], v[168:169]
	s_delay_alu instid0(VALU_DEP_1) | instskip(NEXT) | instid1(VALU_DEP_1)
	v_fma_f64 v[168:169], v[168:169], v[172:173], v[170:171]
	v_div_scale_f64 v[170:171], null, v[168:169], v[168:169], 1.0
	s_delay_alu instid0(VALU_DEP_1) | instskip(SKIP_2) | instid1(VALU_DEP_1)
	v_rcp_f64_e32 v[174:175], v[170:171]
	s_waitcnt_depctr 0xfff
	v_fma_f64 v[176:177], -v[170:171], v[174:175], 1.0
	v_fma_f64 v[174:175], v[174:175], v[176:177], v[174:175]
	s_delay_alu instid0(VALU_DEP_1) | instskip(NEXT) | instid1(VALU_DEP_1)
	v_fma_f64 v[176:177], -v[170:171], v[174:175], 1.0
	v_fma_f64 v[174:175], v[174:175], v[176:177], v[174:175]
	v_div_scale_f64 v[176:177], vcc_lo, 1.0, v[168:169], 1.0
	s_delay_alu instid0(VALU_DEP_1) | instskip(NEXT) | instid1(VALU_DEP_1)
	v_mul_f64 v[178:179], v[176:177], v[174:175]
	v_fma_f64 v[170:171], -v[170:171], v[178:179], v[176:177]
	s_delay_alu instid0(VALU_DEP_1) | instskip(NEXT) | instid1(VALU_DEP_1)
	v_div_fmas_f64 v[170:171], v[170:171], v[174:175], v[178:179]
	v_div_fixup_f64 v[174:175], v[170:171], v[168:169], 1.0
                                        ; implicit-def: $vgpr168_vgpr169
	s_delay_alu instid0(VALU_DEP_1)
	v_mul_f64 v[176:177], v[172:173], v[174:175]
	v_xor_b32_e32 v175, 0x80000000, v175
.LBB83_113:
	s_and_not1_saveexec_b32 s3, s3
	s_cbranch_execz .LBB83_115
; %bb.114:
	v_div_scale_f64 v[172:173], null, v[168:169], v[168:169], v[170:171]
	v_div_scale_f64 v[178:179], vcc_lo, v[170:171], v[168:169], v[170:171]
	s_delay_alu instid0(VALU_DEP_2) | instskip(SKIP_2) | instid1(VALU_DEP_1)
	v_rcp_f64_e32 v[174:175], v[172:173]
	s_waitcnt_depctr 0xfff
	v_fma_f64 v[176:177], -v[172:173], v[174:175], 1.0
	v_fma_f64 v[174:175], v[174:175], v[176:177], v[174:175]
	s_delay_alu instid0(VALU_DEP_1) | instskip(NEXT) | instid1(VALU_DEP_1)
	v_fma_f64 v[176:177], -v[172:173], v[174:175], 1.0
	v_fma_f64 v[174:175], v[174:175], v[176:177], v[174:175]
	s_delay_alu instid0(VALU_DEP_1) | instskip(NEXT) | instid1(VALU_DEP_1)
	v_mul_f64 v[176:177], v[178:179], v[174:175]
	v_fma_f64 v[172:173], -v[172:173], v[176:177], v[178:179]
	s_delay_alu instid0(VALU_DEP_1) | instskip(NEXT) | instid1(VALU_DEP_1)
	v_div_fmas_f64 v[172:173], v[172:173], v[174:175], v[176:177]
	v_div_fixup_f64 v[172:173], v[172:173], v[168:169], v[170:171]
	s_delay_alu instid0(VALU_DEP_1) | instskip(NEXT) | instid1(VALU_DEP_1)
	v_fma_f64 v[168:169], v[170:171], v[172:173], v[168:169]
	v_div_scale_f64 v[170:171], null, v[168:169], v[168:169], 1.0
	s_delay_alu instid0(VALU_DEP_1) | instskip(SKIP_2) | instid1(VALU_DEP_1)
	v_rcp_f64_e32 v[174:175], v[170:171]
	s_waitcnt_depctr 0xfff
	v_fma_f64 v[176:177], -v[170:171], v[174:175], 1.0
	v_fma_f64 v[174:175], v[174:175], v[176:177], v[174:175]
	s_delay_alu instid0(VALU_DEP_1) | instskip(NEXT) | instid1(VALU_DEP_1)
	v_fma_f64 v[176:177], -v[170:171], v[174:175], 1.0
	v_fma_f64 v[174:175], v[174:175], v[176:177], v[174:175]
	v_div_scale_f64 v[176:177], vcc_lo, 1.0, v[168:169], 1.0
	s_delay_alu instid0(VALU_DEP_1) | instskip(NEXT) | instid1(VALU_DEP_1)
	v_mul_f64 v[178:179], v[176:177], v[174:175]
	v_fma_f64 v[170:171], -v[170:171], v[178:179], v[176:177]
	s_delay_alu instid0(VALU_DEP_1) | instskip(NEXT) | instid1(VALU_DEP_1)
	v_div_fmas_f64 v[170:171], v[170:171], v[174:175], v[178:179]
	v_div_fixup_f64 v[176:177], v[170:171], v[168:169], 1.0
	s_delay_alu instid0(VALU_DEP_1)
	v_mul_f64 v[174:175], v[172:173], -v[176:177]
.LBB83_115:
	s_or_b32 exec_lo, exec_lo, s3
	ds_store_2addr_b64 v251, v[176:177], v[174:175] offset1:1
.LBB83_116:
	s_or_b32 exec_lo, exec_lo, s4
	s_waitcnt lgkmcnt(0)
	s_barrier
	buffer_gl0_inv
	ds_load_2addr_b64 v[168:171], v251 offset1:1
	s_mov_b32 s3, exec_lo
	s_waitcnt lgkmcnt(0)
	scratch_store_b128 off, v[168:171], off offset:560 ; 16-byte Folded Spill
	v_cmpx_lt_u32_e32 12, v250
	s_cbranch_execz .LBB83_118
; %bb.117:
	scratch_load_b128 v[170:173], off, off offset:560 ; 16-byte Folded Reload
	s_waitcnt vmcnt(0)
	v_mul_f64 v[168:169], v[172:173], v[118:119]
	v_mul_f64 v[118:119], v[170:171], v[118:119]
	s_delay_alu instid0(VALU_DEP_2) | instskip(NEXT) | instid1(VALU_DEP_2)
	v_fma_f64 v[168:169], v[170:171], v[116:117], -v[168:169]
	v_fma_f64 v[118:119], v[172:173], v[116:117], v[118:119]
	ds_load_2addr_b64 v[170:173], v252 offset0:26 offset1:27
	s_waitcnt lgkmcnt(0)
	v_mul_f64 v[116:117], v[172:173], v[118:119]
	s_delay_alu instid0(VALU_DEP_1) | instskip(SKIP_1) | instid1(VALU_DEP_2)
	v_fma_f64 v[116:117], v[170:171], v[168:169], -v[116:117]
	v_mul_f64 v[170:171], v[170:171], v[118:119]
	v_add_f64 v[112:113], v[112:113], -v[116:117]
	s_delay_alu instid0(VALU_DEP_2) | instskip(NEXT) | instid1(VALU_DEP_1)
	v_fma_f64 v[170:171], v[172:173], v[168:169], v[170:171]
	v_add_f64 v[114:115], v[114:115], -v[170:171]
	ds_load_2addr_b64 v[170:173], v252 offset0:28 offset1:29
	s_waitcnt lgkmcnt(0)
	v_mul_f64 v[116:117], v[172:173], v[118:119]
	s_delay_alu instid0(VALU_DEP_1) | instskip(SKIP_1) | instid1(VALU_DEP_2)
	v_fma_f64 v[116:117], v[170:171], v[168:169], -v[116:117]
	v_mul_f64 v[170:171], v[170:171], v[118:119]
	v_add_f64 v[108:109], v[108:109], -v[116:117]
	s_delay_alu instid0(VALU_DEP_2) | instskip(NEXT) | instid1(VALU_DEP_1)
	v_fma_f64 v[170:171], v[172:173], v[168:169], v[170:171]
	v_add_f64 v[110:111], v[110:111], -v[170:171]
	;; [unrolled: 10-line block ×28, first 2 shown]
	ds_load_2addr_b64 v[170:173], v252 offset0:82 offset1:83
	s_waitcnt lgkmcnt(0)
	v_mul_f64 v[116:117], v[172:173], v[118:119]
	s_delay_alu instid0(VALU_DEP_1) | instskip(SKIP_1) | instid1(VALU_DEP_2)
	v_fma_f64 v[116:117], v[170:171], v[168:169], -v[116:117]
	v_mul_f64 v[170:171], v[170:171], v[118:119]
	v_add_f64 v[0:1], v[0:1], -v[116:117]
	s_delay_alu instid0(VALU_DEP_2) | instskip(SKIP_1) | instid1(VALU_DEP_2)
	v_fma_f64 v[170:171], v[172:173], v[168:169], v[170:171]
	v_dual_mov_b32 v116, v168 :: v_dual_mov_b32 v117, v169
	v_add_f64 v[2:3], v[2:3], -v[170:171]
.LBB83_118:
	s_or_b32 exec_lo, exec_lo, s3
	s_delay_alu instid0(SALU_CYCLE_1)
	s_mov_b32 s4, exec_lo
	s_waitcnt_vscnt null, 0x0
	s_barrier
	buffer_gl0_inv
	v_cmpx_eq_u32_e32 13, v250
	s_cbranch_execz .LBB83_125
; %bb.119:
	ds_store_2addr_b64 v251, v[112:113], v[114:115] offset1:1
	ds_store_2addr_b64 v252, v[108:109], v[110:111] offset0:28 offset1:29
	ds_store_2addr_b64 v252, v[104:105], v[106:107] offset0:30 offset1:31
	;; [unrolled: 1-line block ×28, first 2 shown]
	ds_load_2addr_b64 v[168:171], v251 offset1:1
	s_waitcnt lgkmcnt(0)
	v_cmp_neq_f64_e32 vcc_lo, 0, v[168:169]
	v_cmp_neq_f64_e64 s3, 0, v[170:171]
	s_delay_alu instid0(VALU_DEP_1) | instskip(NEXT) | instid1(SALU_CYCLE_1)
	s_or_b32 s3, vcc_lo, s3
	s_and_b32 exec_lo, exec_lo, s3
	s_cbranch_execz .LBB83_125
; %bb.120:
	v_cmp_gt_f64_e32 vcc_lo, 0, v[168:169]
	v_xor_b32_e32 v172, 0x80000000, v169
	v_xor_b32_e32 v174, 0x80000000, v171
	s_mov_b32 s3, exec_lo
                                        ; implicit-def: $vgpr176_vgpr177
	s_delay_alu instid0(VALU_DEP_2) | instskip(SKIP_4) | instid1(VALU_DEP_1)
	v_cndmask_b32_e32 v173, v169, v172, vcc_lo
	v_cndmask_b32_e32 v172, v168, v168, vcc_lo
	v_cmp_gt_f64_e32 vcc_lo, 0, v[170:171]
	v_cndmask_b32_e32 v175, v171, v174, vcc_lo
	v_cndmask_b32_e32 v174, v170, v170, vcc_lo
	v_cmpx_ngt_f64_e32 v[172:173], v[174:175]
	s_xor_b32 s3, exec_lo, s3
                                        ; implicit-def: $vgpr172_vgpr173_vgpr174_vgpr175
	s_cbranch_execz .LBB83_122
; %bb.121:
	v_div_scale_f64 v[172:173], null, v[170:171], v[170:171], v[168:169]
	v_div_scale_f64 v[178:179], vcc_lo, v[168:169], v[170:171], v[168:169]
	s_delay_alu instid0(VALU_DEP_2) | instskip(SKIP_2) | instid1(VALU_DEP_1)
	v_rcp_f64_e32 v[174:175], v[172:173]
	s_waitcnt_depctr 0xfff
	v_fma_f64 v[176:177], -v[172:173], v[174:175], 1.0
	v_fma_f64 v[174:175], v[174:175], v[176:177], v[174:175]
	s_delay_alu instid0(VALU_DEP_1) | instskip(NEXT) | instid1(VALU_DEP_1)
	v_fma_f64 v[176:177], -v[172:173], v[174:175], 1.0
	v_fma_f64 v[174:175], v[174:175], v[176:177], v[174:175]
	s_delay_alu instid0(VALU_DEP_1) | instskip(NEXT) | instid1(VALU_DEP_1)
	v_mul_f64 v[176:177], v[178:179], v[174:175]
	v_fma_f64 v[172:173], -v[172:173], v[176:177], v[178:179]
	s_delay_alu instid0(VALU_DEP_1) | instskip(NEXT) | instid1(VALU_DEP_1)
	v_div_fmas_f64 v[172:173], v[172:173], v[174:175], v[176:177]
	v_div_fixup_f64 v[172:173], v[172:173], v[170:171], v[168:169]
	s_delay_alu instid0(VALU_DEP_1) | instskip(NEXT) | instid1(VALU_DEP_1)
	v_fma_f64 v[168:169], v[168:169], v[172:173], v[170:171]
	v_div_scale_f64 v[170:171], null, v[168:169], v[168:169], 1.0
	s_delay_alu instid0(VALU_DEP_1) | instskip(SKIP_2) | instid1(VALU_DEP_1)
	v_rcp_f64_e32 v[174:175], v[170:171]
	s_waitcnt_depctr 0xfff
	v_fma_f64 v[176:177], -v[170:171], v[174:175], 1.0
	v_fma_f64 v[174:175], v[174:175], v[176:177], v[174:175]
	s_delay_alu instid0(VALU_DEP_1) | instskip(NEXT) | instid1(VALU_DEP_1)
	v_fma_f64 v[176:177], -v[170:171], v[174:175], 1.0
	v_fma_f64 v[174:175], v[174:175], v[176:177], v[174:175]
	v_div_scale_f64 v[176:177], vcc_lo, 1.0, v[168:169], 1.0
	s_delay_alu instid0(VALU_DEP_1) | instskip(NEXT) | instid1(VALU_DEP_1)
	v_mul_f64 v[178:179], v[176:177], v[174:175]
	v_fma_f64 v[170:171], -v[170:171], v[178:179], v[176:177]
	s_delay_alu instid0(VALU_DEP_1) | instskip(NEXT) | instid1(VALU_DEP_1)
	v_div_fmas_f64 v[170:171], v[170:171], v[174:175], v[178:179]
	v_div_fixup_f64 v[174:175], v[170:171], v[168:169], 1.0
                                        ; implicit-def: $vgpr168_vgpr169
	s_delay_alu instid0(VALU_DEP_1)
	v_mul_f64 v[176:177], v[172:173], v[174:175]
	v_xor_b32_e32 v175, 0x80000000, v175
.LBB83_122:
	s_and_not1_saveexec_b32 s3, s3
	s_cbranch_execz .LBB83_124
; %bb.123:
	v_div_scale_f64 v[172:173], null, v[168:169], v[168:169], v[170:171]
	v_div_scale_f64 v[178:179], vcc_lo, v[170:171], v[168:169], v[170:171]
	s_delay_alu instid0(VALU_DEP_2) | instskip(SKIP_2) | instid1(VALU_DEP_1)
	v_rcp_f64_e32 v[174:175], v[172:173]
	s_waitcnt_depctr 0xfff
	v_fma_f64 v[176:177], -v[172:173], v[174:175], 1.0
	v_fma_f64 v[174:175], v[174:175], v[176:177], v[174:175]
	s_delay_alu instid0(VALU_DEP_1) | instskip(NEXT) | instid1(VALU_DEP_1)
	v_fma_f64 v[176:177], -v[172:173], v[174:175], 1.0
	v_fma_f64 v[174:175], v[174:175], v[176:177], v[174:175]
	s_delay_alu instid0(VALU_DEP_1) | instskip(NEXT) | instid1(VALU_DEP_1)
	v_mul_f64 v[176:177], v[178:179], v[174:175]
	v_fma_f64 v[172:173], -v[172:173], v[176:177], v[178:179]
	s_delay_alu instid0(VALU_DEP_1) | instskip(NEXT) | instid1(VALU_DEP_1)
	v_div_fmas_f64 v[172:173], v[172:173], v[174:175], v[176:177]
	v_div_fixup_f64 v[172:173], v[172:173], v[168:169], v[170:171]
	s_delay_alu instid0(VALU_DEP_1) | instskip(NEXT) | instid1(VALU_DEP_1)
	v_fma_f64 v[168:169], v[170:171], v[172:173], v[168:169]
	v_div_scale_f64 v[170:171], null, v[168:169], v[168:169], 1.0
	s_delay_alu instid0(VALU_DEP_1) | instskip(SKIP_2) | instid1(VALU_DEP_1)
	v_rcp_f64_e32 v[174:175], v[170:171]
	s_waitcnt_depctr 0xfff
	v_fma_f64 v[176:177], -v[170:171], v[174:175], 1.0
	v_fma_f64 v[174:175], v[174:175], v[176:177], v[174:175]
	s_delay_alu instid0(VALU_DEP_1) | instskip(NEXT) | instid1(VALU_DEP_1)
	v_fma_f64 v[176:177], -v[170:171], v[174:175], 1.0
	v_fma_f64 v[174:175], v[174:175], v[176:177], v[174:175]
	v_div_scale_f64 v[176:177], vcc_lo, 1.0, v[168:169], 1.0
	s_delay_alu instid0(VALU_DEP_1) | instskip(NEXT) | instid1(VALU_DEP_1)
	v_mul_f64 v[178:179], v[176:177], v[174:175]
	v_fma_f64 v[170:171], -v[170:171], v[178:179], v[176:177]
	s_delay_alu instid0(VALU_DEP_1) | instskip(NEXT) | instid1(VALU_DEP_1)
	v_div_fmas_f64 v[170:171], v[170:171], v[174:175], v[178:179]
	v_div_fixup_f64 v[176:177], v[170:171], v[168:169], 1.0
	s_delay_alu instid0(VALU_DEP_1)
	v_mul_f64 v[174:175], v[172:173], -v[176:177]
.LBB83_124:
	s_or_b32 exec_lo, exec_lo, s3
	ds_store_2addr_b64 v251, v[176:177], v[174:175] offset1:1
.LBB83_125:
	s_or_b32 exec_lo, exec_lo, s4
	s_waitcnt lgkmcnt(0)
	s_barrier
	buffer_gl0_inv
	ds_load_2addr_b64 v[168:171], v251 offset1:1
	s_mov_b32 s3, exec_lo
	s_waitcnt lgkmcnt(0)
	scratch_store_b128 off, v[168:171], off offset:576 ; 16-byte Folded Spill
	v_cmpx_lt_u32_e32 13, v250
	s_cbranch_execz .LBB83_127
; %bb.126:
	scratch_load_b128 v[170:173], off, off offset:576 ; 16-byte Folded Reload
	s_waitcnt vmcnt(0)
	v_mul_f64 v[168:169], v[172:173], v[114:115]
	v_mul_f64 v[114:115], v[170:171], v[114:115]
	s_delay_alu instid0(VALU_DEP_2) | instskip(NEXT) | instid1(VALU_DEP_2)
	v_fma_f64 v[168:169], v[170:171], v[112:113], -v[168:169]
	v_fma_f64 v[114:115], v[172:173], v[112:113], v[114:115]
	ds_load_2addr_b64 v[170:173], v252 offset0:28 offset1:29
	s_waitcnt lgkmcnt(0)
	v_mul_f64 v[112:113], v[172:173], v[114:115]
	s_delay_alu instid0(VALU_DEP_1) | instskip(SKIP_1) | instid1(VALU_DEP_2)
	v_fma_f64 v[112:113], v[170:171], v[168:169], -v[112:113]
	v_mul_f64 v[170:171], v[170:171], v[114:115]
	v_add_f64 v[108:109], v[108:109], -v[112:113]
	s_delay_alu instid0(VALU_DEP_2) | instskip(NEXT) | instid1(VALU_DEP_1)
	v_fma_f64 v[170:171], v[172:173], v[168:169], v[170:171]
	v_add_f64 v[110:111], v[110:111], -v[170:171]
	ds_load_2addr_b64 v[170:173], v252 offset0:30 offset1:31
	s_waitcnt lgkmcnt(0)
	v_mul_f64 v[112:113], v[172:173], v[114:115]
	s_delay_alu instid0(VALU_DEP_1) | instskip(SKIP_1) | instid1(VALU_DEP_2)
	v_fma_f64 v[112:113], v[170:171], v[168:169], -v[112:113]
	v_mul_f64 v[170:171], v[170:171], v[114:115]
	v_add_f64 v[104:105], v[104:105], -v[112:113]
	s_delay_alu instid0(VALU_DEP_2) | instskip(NEXT) | instid1(VALU_DEP_1)
	v_fma_f64 v[170:171], v[172:173], v[168:169], v[170:171]
	v_add_f64 v[106:107], v[106:107], -v[170:171]
	ds_load_2addr_b64 v[170:173], v252 offset0:32 offset1:33
	s_waitcnt lgkmcnt(0)
	v_mul_f64 v[112:113], v[172:173], v[114:115]
	s_delay_alu instid0(VALU_DEP_1) | instskip(SKIP_1) | instid1(VALU_DEP_2)
	v_fma_f64 v[112:113], v[170:171], v[168:169], -v[112:113]
	v_mul_f64 v[170:171], v[170:171], v[114:115]
	v_add_f64 v[100:101], v[100:101], -v[112:113]
	s_delay_alu instid0(VALU_DEP_2) | instskip(NEXT) | instid1(VALU_DEP_1)
	v_fma_f64 v[170:171], v[172:173], v[168:169], v[170:171]
	v_add_f64 v[102:103], v[102:103], -v[170:171]
	ds_load_2addr_b64 v[170:173], v252 offset0:34 offset1:35
	s_waitcnt lgkmcnt(0)
	v_mul_f64 v[112:113], v[172:173], v[114:115]
	s_delay_alu instid0(VALU_DEP_1) | instskip(SKIP_1) | instid1(VALU_DEP_2)
	v_fma_f64 v[112:113], v[170:171], v[168:169], -v[112:113]
	v_mul_f64 v[170:171], v[170:171], v[114:115]
	v_add_f64 v[96:97], v[96:97], -v[112:113]
	s_delay_alu instid0(VALU_DEP_2) | instskip(NEXT) | instid1(VALU_DEP_1)
	v_fma_f64 v[170:171], v[172:173], v[168:169], v[170:171]
	v_add_f64 v[98:99], v[98:99], -v[170:171]
	ds_load_2addr_b64 v[170:173], v252 offset0:36 offset1:37
	s_waitcnt lgkmcnt(0)
	v_mul_f64 v[112:113], v[172:173], v[114:115]
	s_delay_alu instid0(VALU_DEP_1) | instskip(SKIP_1) | instid1(VALU_DEP_2)
	v_fma_f64 v[112:113], v[170:171], v[168:169], -v[112:113]
	v_mul_f64 v[170:171], v[170:171], v[114:115]
	v_add_f64 v[92:93], v[92:93], -v[112:113]
	s_delay_alu instid0(VALU_DEP_2) | instskip(NEXT) | instid1(VALU_DEP_1)
	v_fma_f64 v[170:171], v[172:173], v[168:169], v[170:171]
	v_add_f64 v[94:95], v[94:95], -v[170:171]
	ds_load_2addr_b64 v[170:173], v252 offset0:38 offset1:39
	s_waitcnt lgkmcnt(0)
	v_mul_f64 v[112:113], v[172:173], v[114:115]
	s_delay_alu instid0(VALU_DEP_1) | instskip(SKIP_1) | instid1(VALU_DEP_2)
	v_fma_f64 v[112:113], v[170:171], v[168:169], -v[112:113]
	v_mul_f64 v[170:171], v[170:171], v[114:115]
	v_add_f64 v[88:89], v[88:89], -v[112:113]
	s_delay_alu instid0(VALU_DEP_2) | instskip(NEXT) | instid1(VALU_DEP_1)
	v_fma_f64 v[170:171], v[172:173], v[168:169], v[170:171]
	v_add_f64 v[90:91], v[90:91], -v[170:171]
	ds_load_2addr_b64 v[170:173], v252 offset0:40 offset1:41
	s_waitcnt lgkmcnt(0)
	v_mul_f64 v[112:113], v[172:173], v[114:115]
	s_delay_alu instid0(VALU_DEP_1) | instskip(SKIP_1) | instid1(VALU_DEP_2)
	v_fma_f64 v[112:113], v[170:171], v[168:169], -v[112:113]
	v_mul_f64 v[170:171], v[170:171], v[114:115]
	v_add_f64 v[84:85], v[84:85], -v[112:113]
	s_delay_alu instid0(VALU_DEP_2) | instskip(NEXT) | instid1(VALU_DEP_1)
	v_fma_f64 v[170:171], v[172:173], v[168:169], v[170:171]
	v_add_f64 v[86:87], v[86:87], -v[170:171]
	ds_load_2addr_b64 v[170:173], v252 offset0:42 offset1:43
	s_waitcnt lgkmcnt(0)
	v_mul_f64 v[112:113], v[172:173], v[114:115]
	s_delay_alu instid0(VALU_DEP_1) | instskip(SKIP_1) | instid1(VALU_DEP_2)
	v_fma_f64 v[112:113], v[170:171], v[168:169], -v[112:113]
	v_mul_f64 v[170:171], v[170:171], v[114:115]
	v_add_f64 v[80:81], v[80:81], -v[112:113]
	s_delay_alu instid0(VALU_DEP_2) | instskip(NEXT) | instid1(VALU_DEP_1)
	v_fma_f64 v[170:171], v[172:173], v[168:169], v[170:171]
	v_add_f64 v[82:83], v[82:83], -v[170:171]
	ds_load_2addr_b64 v[170:173], v252 offset0:44 offset1:45
	s_waitcnt lgkmcnt(0)
	v_mul_f64 v[112:113], v[172:173], v[114:115]
	s_delay_alu instid0(VALU_DEP_1) | instskip(SKIP_1) | instid1(VALU_DEP_2)
	v_fma_f64 v[112:113], v[170:171], v[168:169], -v[112:113]
	v_mul_f64 v[170:171], v[170:171], v[114:115]
	v_add_f64 v[76:77], v[76:77], -v[112:113]
	s_delay_alu instid0(VALU_DEP_2) | instskip(NEXT) | instid1(VALU_DEP_1)
	v_fma_f64 v[170:171], v[172:173], v[168:169], v[170:171]
	v_add_f64 v[78:79], v[78:79], -v[170:171]
	ds_load_2addr_b64 v[170:173], v252 offset0:46 offset1:47
	s_waitcnt lgkmcnt(0)
	v_mul_f64 v[112:113], v[172:173], v[114:115]
	s_delay_alu instid0(VALU_DEP_1) | instskip(SKIP_1) | instid1(VALU_DEP_2)
	v_fma_f64 v[112:113], v[170:171], v[168:169], -v[112:113]
	v_mul_f64 v[170:171], v[170:171], v[114:115]
	v_add_f64 v[72:73], v[72:73], -v[112:113]
	s_delay_alu instid0(VALU_DEP_2) | instskip(NEXT) | instid1(VALU_DEP_1)
	v_fma_f64 v[170:171], v[172:173], v[168:169], v[170:171]
	v_add_f64 v[74:75], v[74:75], -v[170:171]
	ds_load_2addr_b64 v[170:173], v252 offset0:48 offset1:49
	s_waitcnt lgkmcnt(0)
	v_mul_f64 v[112:113], v[172:173], v[114:115]
	s_delay_alu instid0(VALU_DEP_1) | instskip(SKIP_1) | instid1(VALU_DEP_2)
	v_fma_f64 v[112:113], v[170:171], v[168:169], -v[112:113]
	v_mul_f64 v[170:171], v[170:171], v[114:115]
	v_add_f64 v[68:69], v[68:69], -v[112:113]
	s_delay_alu instid0(VALU_DEP_2) | instskip(NEXT) | instid1(VALU_DEP_1)
	v_fma_f64 v[170:171], v[172:173], v[168:169], v[170:171]
	v_add_f64 v[70:71], v[70:71], -v[170:171]
	ds_load_2addr_b64 v[170:173], v252 offset0:50 offset1:51
	s_waitcnt lgkmcnt(0)
	v_mul_f64 v[112:113], v[172:173], v[114:115]
	s_delay_alu instid0(VALU_DEP_1) | instskip(SKIP_1) | instid1(VALU_DEP_2)
	v_fma_f64 v[112:113], v[170:171], v[168:169], -v[112:113]
	v_mul_f64 v[170:171], v[170:171], v[114:115]
	v_add_f64 v[64:65], v[64:65], -v[112:113]
	s_delay_alu instid0(VALU_DEP_2) | instskip(NEXT) | instid1(VALU_DEP_1)
	v_fma_f64 v[170:171], v[172:173], v[168:169], v[170:171]
	v_add_f64 v[66:67], v[66:67], -v[170:171]
	ds_load_2addr_b64 v[170:173], v252 offset0:52 offset1:53
	s_waitcnt lgkmcnt(0)
	v_mul_f64 v[112:113], v[172:173], v[114:115]
	s_delay_alu instid0(VALU_DEP_1) | instskip(SKIP_1) | instid1(VALU_DEP_2)
	v_fma_f64 v[112:113], v[170:171], v[168:169], -v[112:113]
	v_mul_f64 v[170:171], v[170:171], v[114:115]
	v_add_f64 v[60:61], v[60:61], -v[112:113]
	s_delay_alu instid0(VALU_DEP_2) | instskip(NEXT) | instid1(VALU_DEP_1)
	v_fma_f64 v[170:171], v[172:173], v[168:169], v[170:171]
	v_add_f64 v[62:63], v[62:63], -v[170:171]
	ds_load_2addr_b64 v[170:173], v252 offset0:54 offset1:55
	s_waitcnt lgkmcnt(0)
	v_mul_f64 v[112:113], v[172:173], v[114:115]
	s_delay_alu instid0(VALU_DEP_1) | instskip(SKIP_1) | instid1(VALU_DEP_2)
	v_fma_f64 v[112:113], v[170:171], v[168:169], -v[112:113]
	v_mul_f64 v[170:171], v[170:171], v[114:115]
	v_add_f64 v[56:57], v[56:57], -v[112:113]
	s_delay_alu instid0(VALU_DEP_2) | instskip(NEXT) | instid1(VALU_DEP_1)
	v_fma_f64 v[170:171], v[172:173], v[168:169], v[170:171]
	v_add_f64 v[58:59], v[58:59], -v[170:171]
	ds_load_2addr_b64 v[170:173], v252 offset0:56 offset1:57
	s_waitcnt lgkmcnt(0)
	v_mul_f64 v[112:113], v[172:173], v[114:115]
	s_delay_alu instid0(VALU_DEP_1) | instskip(SKIP_1) | instid1(VALU_DEP_2)
	v_fma_f64 v[112:113], v[170:171], v[168:169], -v[112:113]
	v_mul_f64 v[170:171], v[170:171], v[114:115]
	v_add_f64 v[52:53], v[52:53], -v[112:113]
	s_delay_alu instid0(VALU_DEP_2) | instskip(NEXT) | instid1(VALU_DEP_1)
	v_fma_f64 v[170:171], v[172:173], v[168:169], v[170:171]
	v_add_f64 v[54:55], v[54:55], -v[170:171]
	ds_load_2addr_b64 v[170:173], v252 offset0:58 offset1:59
	s_waitcnt lgkmcnt(0)
	v_mul_f64 v[112:113], v[172:173], v[114:115]
	s_delay_alu instid0(VALU_DEP_1) | instskip(SKIP_1) | instid1(VALU_DEP_2)
	v_fma_f64 v[112:113], v[170:171], v[168:169], -v[112:113]
	v_mul_f64 v[170:171], v[170:171], v[114:115]
	v_add_f64 v[48:49], v[48:49], -v[112:113]
	s_delay_alu instid0(VALU_DEP_2) | instskip(NEXT) | instid1(VALU_DEP_1)
	v_fma_f64 v[170:171], v[172:173], v[168:169], v[170:171]
	v_add_f64 v[50:51], v[50:51], -v[170:171]
	ds_load_2addr_b64 v[170:173], v252 offset0:60 offset1:61
	s_waitcnt lgkmcnt(0)
	v_mul_f64 v[112:113], v[172:173], v[114:115]
	s_delay_alu instid0(VALU_DEP_1) | instskip(SKIP_1) | instid1(VALU_DEP_2)
	v_fma_f64 v[112:113], v[170:171], v[168:169], -v[112:113]
	v_mul_f64 v[170:171], v[170:171], v[114:115]
	v_add_f64 v[44:45], v[44:45], -v[112:113]
	s_delay_alu instid0(VALU_DEP_2) | instskip(NEXT) | instid1(VALU_DEP_1)
	v_fma_f64 v[170:171], v[172:173], v[168:169], v[170:171]
	v_add_f64 v[46:47], v[46:47], -v[170:171]
	ds_load_2addr_b64 v[170:173], v252 offset0:62 offset1:63
	s_waitcnt lgkmcnt(0)
	v_mul_f64 v[112:113], v[172:173], v[114:115]
	s_delay_alu instid0(VALU_DEP_1) | instskip(SKIP_1) | instid1(VALU_DEP_2)
	v_fma_f64 v[112:113], v[170:171], v[168:169], -v[112:113]
	v_mul_f64 v[170:171], v[170:171], v[114:115]
	v_add_f64 v[40:41], v[40:41], -v[112:113]
	s_delay_alu instid0(VALU_DEP_2) | instskip(NEXT) | instid1(VALU_DEP_1)
	v_fma_f64 v[170:171], v[172:173], v[168:169], v[170:171]
	v_add_f64 v[42:43], v[42:43], -v[170:171]
	ds_load_2addr_b64 v[170:173], v252 offset0:64 offset1:65
	s_waitcnt lgkmcnt(0)
	v_mul_f64 v[112:113], v[172:173], v[114:115]
	s_delay_alu instid0(VALU_DEP_1) | instskip(SKIP_1) | instid1(VALU_DEP_2)
	v_fma_f64 v[112:113], v[170:171], v[168:169], -v[112:113]
	v_mul_f64 v[170:171], v[170:171], v[114:115]
	v_add_f64 v[36:37], v[36:37], -v[112:113]
	s_delay_alu instid0(VALU_DEP_2) | instskip(NEXT) | instid1(VALU_DEP_1)
	v_fma_f64 v[170:171], v[172:173], v[168:169], v[170:171]
	v_add_f64 v[38:39], v[38:39], -v[170:171]
	ds_load_2addr_b64 v[170:173], v252 offset0:66 offset1:67
	s_waitcnt lgkmcnt(0)
	v_mul_f64 v[112:113], v[172:173], v[114:115]
	s_delay_alu instid0(VALU_DEP_1) | instskip(SKIP_1) | instid1(VALU_DEP_2)
	v_fma_f64 v[112:113], v[170:171], v[168:169], -v[112:113]
	v_mul_f64 v[170:171], v[170:171], v[114:115]
	v_add_f64 v[32:33], v[32:33], -v[112:113]
	s_delay_alu instid0(VALU_DEP_2) | instskip(NEXT) | instid1(VALU_DEP_1)
	v_fma_f64 v[170:171], v[172:173], v[168:169], v[170:171]
	v_add_f64 v[34:35], v[34:35], -v[170:171]
	ds_load_2addr_b64 v[170:173], v252 offset0:68 offset1:69
	s_waitcnt lgkmcnt(0)
	v_mul_f64 v[112:113], v[172:173], v[114:115]
	s_delay_alu instid0(VALU_DEP_1) | instskip(SKIP_1) | instid1(VALU_DEP_2)
	v_fma_f64 v[112:113], v[170:171], v[168:169], -v[112:113]
	v_mul_f64 v[170:171], v[170:171], v[114:115]
	v_add_f64 v[28:29], v[28:29], -v[112:113]
	s_delay_alu instid0(VALU_DEP_2) | instskip(NEXT) | instid1(VALU_DEP_1)
	v_fma_f64 v[170:171], v[172:173], v[168:169], v[170:171]
	v_add_f64 v[30:31], v[30:31], -v[170:171]
	ds_load_2addr_b64 v[170:173], v252 offset0:70 offset1:71
	s_waitcnt lgkmcnt(0)
	v_mul_f64 v[112:113], v[172:173], v[114:115]
	s_delay_alu instid0(VALU_DEP_1) | instskip(SKIP_1) | instid1(VALU_DEP_2)
	v_fma_f64 v[112:113], v[170:171], v[168:169], -v[112:113]
	v_mul_f64 v[170:171], v[170:171], v[114:115]
	v_add_f64 v[24:25], v[24:25], -v[112:113]
	s_delay_alu instid0(VALU_DEP_2) | instskip(NEXT) | instid1(VALU_DEP_1)
	v_fma_f64 v[170:171], v[172:173], v[168:169], v[170:171]
	v_add_f64 v[26:27], v[26:27], -v[170:171]
	ds_load_2addr_b64 v[170:173], v252 offset0:72 offset1:73
	s_waitcnt lgkmcnt(0)
	v_mul_f64 v[112:113], v[172:173], v[114:115]
	s_delay_alu instid0(VALU_DEP_1) | instskip(SKIP_1) | instid1(VALU_DEP_2)
	v_fma_f64 v[112:113], v[170:171], v[168:169], -v[112:113]
	v_mul_f64 v[170:171], v[170:171], v[114:115]
	v_add_f64 v[20:21], v[20:21], -v[112:113]
	s_delay_alu instid0(VALU_DEP_2) | instskip(NEXT) | instid1(VALU_DEP_1)
	v_fma_f64 v[170:171], v[172:173], v[168:169], v[170:171]
	v_add_f64 v[22:23], v[22:23], -v[170:171]
	ds_load_2addr_b64 v[170:173], v252 offset0:74 offset1:75
	s_waitcnt lgkmcnt(0)
	v_mul_f64 v[112:113], v[172:173], v[114:115]
	s_delay_alu instid0(VALU_DEP_1) | instskip(SKIP_1) | instid1(VALU_DEP_2)
	v_fma_f64 v[112:113], v[170:171], v[168:169], -v[112:113]
	v_mul_f64 v[170:171], v[170:171], v[114:115]
	v_add_f64 v[16:17], v[16:17], -v[112:113]
	s_delay_alu instid0(VALU_DEP_2) | instskip(NEXT) | instid1(VALU_DEP_1)
	v_fma_f64 v[170:171], v[172:173], v[168:169], v[170:171]
	v_add_f64 v[18:19], v[18:19], -v[170:171]
	ds_load_2addr_b64 v[170:173], v252 offset0:76 offset1:77
	s_waitcnt lgkmcnt(0)
	v_mul_f64 v[112:113], v[172:173], v[114:115]
	s_delay_alu instid0(VALU_DEP_1) | instskip(SKIP_1) | instid1(VALU_DEP_2)
	v_fma_f64 v[112:113], v[170:171], v[168:169], -v[112:113]
	v_mul_f64 v[170:171], v[170:171], v[114:115]
	v_add_f64 v[12:13], v[12:13], -v[112:113]
	s_delay_alu instid0(VALU_DEP_2) | instskip(NEXT) | instid1(VALU_DEP_1)
	v_fma_f64 v[170:171], v[172:173], v[168:169], v[170:171]
	v_add_f64 v[14:15], v[14:15], -v[170:171]
	ds_load_2addr_b64 v[170:173], v252 offset0:78 offset1:79
	s_waitcnt lgkmcnt(0)
	v_mul_f64 v[112:113], v[172:173], v[114:115]
	s_delay_alu instid0(VALU_DEP_1) | instskip(SKIP_1) | instid1(VALU_DEP_2)
	v_fma_f64 v[112:113], v[170:171], v[168:169], -v[112:113]
	v_mul_f64 v[170:171], v[170:171], v[114:115]
	v_add_f64 v[8:9], v[8:9], -v[112:113]
	s_delay_alu instid0(VALU_DEP_2) | instskip(NEXT) | instid1(VALU_DEP_1)
	v_fma_f64 v[170:171], v[172:173], v[168:169], v[170:171]
	v_add_f64 v[10:11], v[10:11], -v[170:171]
	ds_load_2addr_b64 v[170:173], v252 offset0:80 offset1:81
	s_waitcnt lgkmcnt(0)
	v_mul_f64 v[112:113], v[172:173], v[114:115]
	s_delay_alu instid0(VALU_DEP_1) | instskip(SKIP_1) | instid1(VALU_DEP_2)
	v_fma_f64 v[112:113], v[170:171], v[168:169], -v[112:113]
	v_mul_f64 v[170:171], v[170:171], v[114:115]
	v_add_f64 v[4:5], v[4:5], -v[112:113]
	s_delay_alu instid0(VALU_DEP_2) | instskip(NEXT) | instid1(VALU_DEP_1)
	v_fma_f64 v[170:171], v[172:173], v[168:169], v[170:171]
	v_add_f64 v[6:7], v[6:7], -v[170:171]
	ds_load_2addr_b64 v[170:173], v252 offset0:82 offset1:83
	s_waitcnt lgkmcnt(0)
	v_mul_f64 v[112:113], v[172:173], v[114:115]
	s_delay_alu instid0(VALU_DEP_1) | instskip(SKIP_1) | instid1(VALU_DEP_2)
	v_fma_f64 v[112:113], v[170:171], v[168:169], -v[112:113]
	v_mul_f64 v[170:171], v[170:171], v[114:115]
	v_add_f64 v[0:1], v[0:1], -v[112:113]
	s_delay_alu instid0(VALU_DEP_2) | instskip(SKIP_1) | instid1(VALU_DEP_2)
	v_fma_f64 v[170:171], v[172:173], v[168:169], v[170:171]
	v_dual_mov_b32 v112, v168 :: v_dual_mov_b32 v113, v169
	v_add_f64 v[2:3], v[2:3], -v[170:171]
.LBB83_127:
	s_or_b32 exec_lo, exec_lo, s3
	s_delay_alu instid0(SALU_CYCLE_1)
	s_mov_b32 s4, exec_lo
	s_waitcnt_vscnt null, 0x0
	s_barrier
	buffer_gl0_inv
	v_cmpx_eq_u32_e32 14, v250
	s_cbranch_execz .LBB83_134
; %bb.128:
	ds_store_2addr_b64 v251, v[108:109], v[110:111] offset1:1
	ds_store_2addr_b64 v252, v[104:105], v[106:107] offset0:30 offset1:31
	ds_store_2addr_b64 v252, v[100:101], v[102:103] offset0:32 offset1:33
	;; [unrolled: 1-line block ×27, first 2 shown]
	ds_load_2addr_b64 v[168:171], v251 offset1:1
	s_waitcnt lgkmcnt(0)
	v_cmp_neq_f64_e32 vcc_lo, 0, v[168:169]
	v_cmp_neq_f64_e64 s3, 0, v[170:171]
	s_delay_alu instid0(VALU_DEP_1) | instskip(NEXT) | instid1(SALU_CYCLE_1)
	s_or_b32 s3, vcc_lo, s3
	s_and_b32 exec_lo, exec_lo, s3
	s_cbranch_execz .LBB83_134
; %bb.129:
	v_cmp_gt_f64_e32 vcc_lo, 0, v[168:169]
	v_xor_b32_e32 v172, 0x80000000, v169
	v_xor_b32_e32 v174, 0x80000000, v171
	s_mov_b32 s3, exec_lo
                                        ; implicit-def: $vgpr176_vgpr177
	s_delay_alu instid0(VALU_DEP_2) | instskip(SKIP_4) | instid1(VALU_DEP_1)
	v_cndmask_b32_e32 v173, v169, v172, vcc_lo
	v_cndmask_b32_e32 v172, v168, v168, vcc_lo
	v_cmp_gt_f64_e32 vcc_lo, 0, v[170:171]
	v_cndmask_b32_e32 v175, v171, v174, vcc_lo
	v_cndmask_b32_e32 v174, v170, v170, vcc_lo
	v_cmpx_ngt_f64_e32 v[172:173], v[174:175]
	s_xor_b32 s3, exec_lo, s3
                                        ; implicit-def: $vgpr172_vgpr173_vgpr174_vgpr175
	s_cbranch_execz .LBB83_131
; %bb.130:
	v_div_scale_f64 v[172:173], null, v[170:171], v[170:171], v[168:169]
	v_div_scale_f64 v[178:179], vcc_lo, v[168:169], v[170:171], v[168:169]
	s_delay_alu instid0(VALU_DEP_2) | instskip(SKIP_2) | instid1(VALU_DEP_1)
	v_rcp_f64_e32 v[174:175], v[172:173]
	s_waitcnt_depctr 0xfff
	v_fma_f64 v[176:177], -v[172:173], v[174:175], 1.0
	v_fma_f64 v[174:175], v[174:175], v[176:177], v[174:175]
	s_delay_alu instid0(VALU_DEP_1) | instskip(NEXT) | instid1(VALU_DEP_1)
	v_fma_f64 v[176:177], -v[172:173], v[174:175], 1.0
	v_fma_f64 v[174:175], v[174:175], v[176:177], v[174:175]
	s_delay_alu instid0(VALU_DEP_1) | instskip(NEXT) | instid1(VALU_DEP_1)
	v_mul_f64 v[176:177], v[178:179], v[174:175]
	v_fma_f64 v[172:173], -v[172:173], v[176:177], v[178:179]
	s_delay_alu instid0(VALU_DEP_1) | instskip(NEXT) | instid1(VALU_DEP_1)
	v_div_fmas_f64 v[172:173], v[172:173], v[174:175], v[176:177]
	v_div_fixup_f64 v[172:173], v[172:173], v[170:171], v[168:169]
	s_delay_alu instid0(VALU_DEP_1) | instskip(NEXT) | instid1(VALU_DEP_1)
	v_fma_f64 v[168:169], v[168:169], v[172:173], v[170:171]
	v_div_scale_f64 v[170:171], null, v[168:169], v[168:169], 1.0
	s_delay_alu instid0(VALU_DEP_1) | instskip(SKIP_2) | instid1(VALU_DEP_1)
	v_rcp_f64_e32 v[174:175], v[170:171]
	s_waitcnt_depctr 0xfff
	v_fma_f64 v[176:177], -v[170:171], v[174:175], 1.0
	v_fma_f64 v[174:175], v[174:175], v[176:177], v[174:175]
	s_delay_alu instid0(VALU_DEP_1) | instskip(NEXT) | instid1(VALU_DEP_1)
	v_fma_f64 v[176:177], -v[170:171], v[174:175], 1.0
	v_fma_f64 v[174:175], v[174:175], v[176:177], v[174:175]
	v_div_scale_f64 v[176:177], vcc_lo, 1.0, v[168:169], 1.0
	s_delay_alu instid0(VALU_DEP_1) | instskip(NEXT) | instid1(VALU_DEP_1)
	v_mul_f64 v[178:179], v[176:177], v[174:175]
	v_fma_f64 v[170:171], -v[170:171], v[178:179], v[176:177]
	s_delay_alu instid0(VALU_DEP_1) | instskip(NEXT) | instid1(VALU_DEP_1)
	v_div_fmas_f64 v[170:171], v[170:171], v[174:175], v[178:179]
	v_div_fixup_f64 v[174:175], v[170:171], v[168:169], 1.0
                                        ; implicit-def: $vgpr168_vgpr169
	s_delay_alu instid0(VALU_DEP_1)
	v_mul_f64 v[176:177], v[172:173], v[174:175]
	v_xor_b32_e32 v175, 0x80000000, v175
.LBB83_131:
	s_and_not1_saveexec_b32 s3, s3
	s_cbranch_execz .LBB83_133
; %bb.132:
	v_div_scale_f64 v[172:173], null, v[168:169], v[168:169], v[170:171]
	v_div_scale_f64 v[178:179], vcc_lo, v[170:171], v[168:169], v[170:171]
	s_delay_alu instid0(VALU_DEP_2) | instskip(SKIP_2) | instid1(VALU_DEP_1)
	v_rcp_f64_e32 v[174:175], v[172:173]
	s_waitcnt_depctr 0xfff
	v_fma_f64 v[176:177], -v[172:173], v[174:175], 1.0
	v_fma_f64 v[174:175], v[174:175], v[176:177], v[174:175]
	s_delay_alu instid0(VALU_DEP_1) | instskip(NEXT) | instid1(VALU_DEP_1)
	v_fma_f64 v[176:177], -v[172:173], v[174:175], 1.0
	v_fma_f64 v[174:175], v[174:175], v[176:177], v[174:175]
	s_delay_alu instid0(VALU_DEP_1) | instskip(NEXT) | instid1(VALU_DEP_1)
	v_mul_f64 v[176:177], v[178:179], v[174:175]
	v_fma_f64 v[172:173], -v[172:173], v[176:177], v[178:179]
	s_delay_alu instid0(VALU_DEP_1) | instskip(NEXT) | instid1(VALU_DEP_1)
	v_div_fmas_f64 v[172:173], v[172:173], v[174:175], v[176:177]
	v_div_fixup_f64 v[172:173], v[172:173], v[168:169], v[170:171]
	s_delay_alu instid0(VALU_DEP_1) | instskip(NEXT) | instid1(VALU_DEP_1)
	v_fma_f64 v[168:169], v[170:171], v[172:173], v[168:169]
	v_div_scale_f64 v[170:171], null, v[168:169], v[168:169], 1.0
	s_delay_alu instid0(VALU_DEP_1) | instskip(SKIP_2) | instid1(VALU_DEP_1)
	v_rcp_f64_e32 v[174:175], v[170:171]
	s_waitcnt_depctr 0xfff
	v_fma_f64 v[176:177], -v[170:171], v[174:175], 1.0
	v_fma_f64 v[174:175], v[174:175], v[176:177], v[174:175]
	s_delay_alu instid0(VALU_DEP_1) | instskip(NEXT) | instid1(VALU_DEP_1)
	v_fma_f64 v[176:177], -v[170:171], v[174:175], 1.0
	v_fma_f64 v[174:175], v[174:175], v[176:177], v[174:175]
	v_div_scale_f64 v[176:177], vcc_lo, 1.0, v[168:169], 1.0
	s_delay_alu instid0(VALU_DEP_1) | instskip(NEXT) | instid1(VALU_DEP_1)
	v_mul_f64 v[178:179], v[176:177], v[174:175]
	v_fma_f64 v[170:171], -v[170:171], v[178:179], v[176:177]
	s_delay_alu instid0(VALU_DEP_1) | instskip(NEXT) | instid1(VALU_DEP_1)
	v_div_fmas_f64 v[170:171], v[170:171], v[174:175], v[178:179]
	v_div_fixup_f64 v[176:177], v[170:171], v[168:169], 1.0
	s_delay_alu instid0(VALU_DEP_1)
	v_mul_f64 v[174:175], v[172:173], -v[176:177]
.LBB83_133:
	s_or_b32 exec_lo, exec_lo, s3
	ds_store_2addr_b64 v251, v[176:177], v[174:175] offset1:1
.LBB83_134:
	s_or_b32 exec_lo, exec_lo, s4
	s_waitcnt lgkmcnt(0)
	s_barrier
	buffer_gl0_inv
	ds_load_2addr_b64 v[168:171], v251 offset1:1
	s_mov_b32 s3, exec_lo
	s_waitcnt lgkmcnt(0)
	scratch_store_b128 off, v[168:171], off offset:592 ; 16-byte Folded Spill
	v_cmpx_lt_u32_e32 14, v250
	s_cbranch_execz .LBB83_136
; %bb.135:
	scratch_load_b128 v[170:173], off, off offset:592 ; 16-byte Folded Reload
	s_waitcnt vmcnt(0)
	v_mul_f64 v[168:169], v[172:173], v[110:111]
	v_mul_f64 v[110:111], v[170:171], v[110:111]
	s_delay_alu instid0(VALU_DEP_2) | instskip(NEXT) | instid1(VALU_DEP_2)
	v_fma_f64 v[168:169], v[170:171], v[108:109], -v[168:169]
	v_fma_f64 v[110:111], v[172:173], v[108:109], v[110:111]
	ds_load_2addr_b64 v[170:173], v252 offset0:30 offset1:31
	s_waitcnt lgkmcnt(0)
	v_mul_f64 v[108:109], v[172:173], v[110:111]
	s_delay_alu instid0(VALU_DEP_1) | instskip(SKIP_1) | instid1(VALU_DEP_2)
	v_fma_f64 v[108:109], v[170:171], v[168:169], -v[108:109]
	v_mul_f64 v[170:171], v[170:171], v[110:111]
	v_add_f64 v[104:105], v[104:105], -v[108:109]
	s_delay_alu instid0(VALU_DEP_2) | instskip(NEXT) | instid1(VALU_DEP_1)
	v_fma_f64 v[170:171], v[172:173], v[168:169], v[170:171]
	v_add_f64 v[106:107], v[106:107], -v[170:171]
	ds_load_2addr_b64 v[170:173], v252 offset0:32 offset1:33
	s_waitcnt lgkmcnt(0)
	v_mul_f64 v[108:109], v[172:173], v[110:111]
	s_delay_alu instid0(VALU_DEP_1) | instskip(SKIP_1) | instid1(VALU_DEP_2)
	v_fma_f64 v[108:109], v[170:171], v[168:169], -v[108:109]
	v_mul_f64 v[170:171], v[170:171], v[110:111]
	v_add_f64 v[100:101], v[100:101], -v[108:109]
	s_delay_alu instid0(VALU_DEP_2) | instskip(NEXT) | instid1(VALU_DEP_1)
	v_fma_f64 v[170:171], v[172:173], v[168:169], v[170:171]
	v_add_f64 v[102:103], v[102:103], -v[170:171]
	;; [unrolled: 10-line block ×26, first 2 shown]
	ds_load_2addr_b64 v[170:173], v252 offset0:82 offset1:83
	s_waitcnt lgkmcnt(0)
	v_mul_f64 v[108:109], v[172:173], v[110:111]
	s_delay_alu instid0(VALU_DEP_1) | instskip(SKIP_1) | instid1(VALU_DEP_2)
	v_fma_f64 v[108:109], v[170:171], v[168:169], -v[108:109]
	v_mul_f64 v[170:171], v[170:171], v[110:111]
	v_add_f64 v[0:1], v[0:1], -v[108:109]
	s_delay_alu instid0(VALU_DEP_2) | instskip(SKIP_1) | instid1(VALU_DEP_2)
	v_fma_f64 v[170:171], v[172:173], v[168:169], v[170:171]
	v_dual_mov_b32 v108, v168 :: v_dual_mov_b32 v109, v169
	v_add_f64 v[2:3], v[2:3], -v[170:171]
.LBB83_136:
	s_or_b32 exec_lo, exec_lo, s3
	s_delay_alu instid0(SALU_CYCLE_1)
	s_mov_b32 s4, exec_lo
	s_waitcnt_vscnt null, 0x0
	s_barrier
	buffer_gl0_inv
	v_cmpx_eq_u32_e32 15, v250
	s_cbranch_execz .LBB83_143
; %bb.137:
	ds_store_2addr_b64 v251, v[104:105], v[106:107] offset1:1
	ds_store_2addr_b64 v252, v[100:101], v[102:103] offset0:32 offset1:33
	ds_store_2addr_b64 v252, v[96:97], v[98:99] offset0:34 offset1:35
	;; [unrolled: 1-line block ×26, first 2 shown]
	ds_load_2addr_b64 v[168:171], v251 offset1:1
	s_waitcnt lgkmcnt(0)
	v_cmp_neq_f64_e32 vcc_lo, 0, v[168:169]
	v_cmp_neq_f64_e64 s3, 0, v[170:171]
	s_delay_alu instid0(VALU_DEP_1) | instskip(NEXT) | instid1(SALU_CYCLE_1)
	s_or_b32 s3, vcc_lo, s3
	s_and_b32 exec_lo, exec_lo, s3
	s_cbranch_execz .LBB83_143
; %bb.138:
	v_cmp_gt_f64_e32 vcc_lo, 0, v[168:169]
	v_xor_b32_e32 v172, 0x80000000, v169
	v_xor_b32_e32 v174, 0x80000000, v171
	s_mov_b32 s3, exec_lo
                                        ; implicit-def: $vgpr176_vgpr177
	s_delay_alu instid0(VALU_DEP_2) | instskip(SKIP_4) | instid1(VALU_DEP_1)
	v_cndmask_b32_e32 v173, v169, v172, vcc_lo
	v_cndmask_b32_e32 v172, v168, v168, vcc_lo
	v_cmp_gt_f64_e32 vcc_lo, 0, v[170:171]
	v_cndmask_b32_e32 v175, v171, v174, vcc_lo
	v_cndmask_b32_e32 v174, v170, v170, vcc_lo
	v_cmpx_ngt_f64_e32 v[172:173], v[174:175]
	s_xor_b32 s3, exec_lo, s3
                                        ; implicit-def: $vgpr172_vgpr173_vgpr174_vgpr175
	s_cbranch_execz .LBB83_140
; %bb.139:
	v_div_scale_f64 v[172:173], null, v[170:171], v[170:171], v[168:169]
	v_div_scale_f64 v[178:179], vcc_lo, v[168:169], v[170:171], v[168:169]
	s_delay_alu instid0(VALU_DEP_2) | instskip(SKIP_2) | instid1(VALU_DEP_1)
	v_rcp_f64_e32 v[174:175], v[172:173]
	s_waitcnt_depctr 0xfff
	v_fma_f64 v[176:177], -v[172:173], v[174:175], 1.0
	v_fma_f64 v[174:175], v[174:175], v[176:177], v[174:175]
	s_delay_alu instid0(VALU_DEP_1) | instskip(NEXT) | instid1(VALU_DEP_1)
	v_fma_f64 v[176:177], -v[172:173], v[174:175], 1.0
	v_fma_f64 v[174:175], v[174:175], v[176:177], v[174:175]
	s_delay_alu instid0(VALU_DEP_1) | instskip(NEXT) | instid1(VALU_DEP_1)
	v_mul_f64 v[176:177], v[178:179], v[174:175]
	v_fma_f64 v[172:173], -v[172:173], v[176:177], v[178:179]
	s_delay_alu instid0(VALU_DEP_1) | instskip(NEXT) | instid1(VALU_DEP_1)
	v_div_fmas_f64 v[172:173], v[172:173], v[174:175], v[176:177]
	v_div_fixup_f64 v[172:173], v[172:173], v[170:171], v[168:169]
	s_delay_alu instid0(VALU_DEP_1) | instskip(NEXT) | instid1(VALU_DEP_1)
	v_fma_f64 v[168:169], v[168:169], v[172:173], v[170:171]
	v_div_scale_f64 v[170:171], null, v[168:169], v[168:169], 1.0
	s_delay_alu instid0(VALU_DEP_1) | instskip(SKIP_2) | instid1(VALU_DEP_1)
	v_rcp_f64_e32 v[174:175], v[170:171]
	s_waitcnt_depctr 0xfff
	v_fma_f64 v[176:177], -v[170:171], v[174:175], 1.0
	v_fma_f64 v[174:175], v[174:175], v[176:177], v[174:175]
	s_delay_alu instid0(VALU_DEP_1) | instskip(NEXT) | instid1(VALU_DEP_1)
	v_fma_f64 v[176:177], -v[170:171], v[174:175], 1.0
	v_fma_f64 v[174:175], v[174:175], v[176:177], v[174:175]
	v_div_scale_f64 v[176:177], vcc_lo, 1.0, v[168:169], 1.0
	s_delay_alu instid0(VALU_DEP_1) | instskip(NEXT) | instid1(VALU_DEP_1)
	v_mul_f64 v[178:179], v[176:177], v[174:175]
	v_fma_f64 v[170:171], -v[170:171], v[178:179], v[176:177]
	s_delay_alu instid0(VALU_DEP_1) | instskip(NEXT) | instid1(VALU_DEP_1)
	v_div_fmas_f64 v[170:171], v[170:171], v[174:175], v[178:179]
	v_div_fixup_f64 v[174:175], v[170:171], v[168:169], 1.0
                                        ; implicit-def: $vgpr168_vgpr169
	s_delay_alu instid0(VALU_DEP_1)
	v_mul_f64 v[176:177], v[172:173], v[174:175]
	v_xor_b32_e32 v175, 0x80000000, v175
.LBB83_140:
	s_and_not1_saveexec_b32 s3, s3
	s_cbranch_execz .LBB83_142
; %bb.141:
	v_div_scale_f64 v[172:173], null, v[168:169], v[168:169], v[170:171]
	v_div_scale_f64 v[178:179], vcc_lo, v[170:171], v[168:169], v[170:171]
	s_delay_alu instid0(VALU_DEP_2) | instskip(SKIP_2) | instid1(VALU_DEP_1)
	v_rcp_f64_e32 v[174:175], v[172:173]
	s_waitcnt_depctr 0xfff
	v_fma_f64 v[176:177], -v[172:173], v[174:175], 1.0
	v_fma_f64 v[174:175], v[174:175], v[176:177], v[174:175]
	s_delay_alu instid0(VALU_DEP_1) | instskip(NEXT) | instid1(VALU_DEP_1)
	v_fma_f64 v[176:177], -v[172:173], v[174:175], 1.0
	v_fma_f64 v[174:175], v[174:175], v[176:177], v[174:175]
	s_delay_alu instid0(VALU_DEP_1) | instskip(NEXT) | instid1(VALU_DEP_1)
	v_mul_f64 v[176:177], v[178:179], v[174:175]
	v_fma_f64 v[172:173], -v[172:173], v[176:177], v[178:179]
	s_delay_alu instid0(VALU_DEP_1) | instskip(NEXT) | instid1(VALU_DEP_1)
	v_div_fmas_f64 v[172:173], v[172:173], v[174:175], v[176:177]
	v_div_fixup_f64 v[172:173], v[172:173], v[168:169], v[170:171]
	s_delay_alu instid0(VALU_DEP_1) | instskip(NEXT) | instid1(VALU_DEP_1)
	v_fma_f64 v[168:169], v[170:171], v[172:173], v[168:169]
	v_div_scale_f64 v[170:171], null, v[168:169], v[168:169], 1.0
	s_delay_alu instid0(VALU_DEP_1) | instskip(SKIP_2) | instid1(VALU_DEP_1)
	v_rcp_f64_e32 v[174:175], v[170:171]
	s_waitcnt_depctr 0xfff
	v_fma_f64 v[176:177], -v[170:171], v[174:175], 1.0
	v_fma_f64 v[174:175], v[174:175], v[176:177], v[174:175]
	s_delay_alu instid0(VALU_DEP_1) | instskip(NEXT) | instid1(VALU_DEP_1)
	v_fma_f64 v[176:177], -v[170:171], v[174:175], 1.0
	v_fma_f64 v[174:175], v[174:175], v[176:177], v[174:175]
	v_div_scale_f64 v[176:177], vcc_lo, 1.0, v[168:169], 1.0
	s_delay_alu instid0(VALU_DEP_1) | instskip(NEXT) | instid1(VALU_DEP_1)
	v_mul_f64 v[178:179], v[176:177], v[174:175]
	v_fma_f64 v[170:171], -v[170:171], v[178:179], v[176:177]
	s_delay_alu instid0(VALU_DEP_1) | instskip(NEXT) | instid1(VALU_DEP_1)
	v_div_fmas_f64 v[170:171], v[170:171], v[174:175], v[178:179]
	v_div_fixup_f64 v[176:177], v[170:171], v[168:169], 1.0
	s_delay_alu instid0(VALU_DEP_1)
	v_mul_f64 v[174:175], v[172:173], -v[176:177]
.LBB83_142:
	s_or_b32 exec_lo, exec_lo, s3
	ds_store_2addr_b64 v251, v[176:177], v[174:175] offset1:1
.LBB83_143:
	s_or_b32 exec_lo, exec_lo, s4
	s_waitcnt lgkmcnt(0)
	s_barrier
	buffer_gl0_inv
	ds_load_2addr_b64 v[168:171], v251 offset1:1
	s_mov_b32 s3, exec_lo
	s_waitcnt lgkmcnt(0)
	scratch_store_b128 off, v[168:171], off offset:608 ; 16-byte Folded Spill
	v_cmpx_lt_u32_e32 15, v250
	s_cbranch_execz .LBB83_145
; %bb.144:
	scratch_load_b128 v[170:173], off, off offset:608 ; 16-byte Folded Reload
	s_waitcnt vmcnt(0)
	v_mul_f64 v[168:169], v[172:173], v[106:107]
	v_mul_f64 v[106:107], v[170:171], v[106:107]
	s_delay_alu instid0(VALU_DEP_2) | instskip(NEXT) | instid1(VALU_DEP_2)
	v_fma_f64 v[168:169], v[170:171], v[104:105], -v[168:169]
	v_fma_f64 v[106:107], v[172:173], v[104:105], v[106:107]
	ds_load_2addr_b64 v[170:173], v252 offset0:32 offset1:33
	s_waitcnt lgkmcnt(0)
	v_mul_f64 v[104:105], v[172:173], v[106:107]
	s_delay_alu instid0(VALU_DEP_1) | instskip(SKIP_1) | instid1(VALU_DEP_2)
	v_fma_f64 v[104:105], v[170:171], v[168:169], -v[104:105]
	v_mul_f64 v[170:171], v[170:171], v[106:107]
	v_add_f64 v[100:101], v[100:101], -v[104:105]
	s_delay_alu instid0(VALU_DEP_2) | instskip(NEXT) | instid1(VALU_DEP_1)
	v_fma_f64 v[170:171], v[172:173], v[168:169], v[170:171]
	v_add_f64 v[102:103], v[102:103], -v[170:171]
	ds_load_2addr_b64 v[170:173], v252 offset0:34 offset1:35
	s_waitcnt lgkmcnt(0)
	v_mul_f64 v[104:105], v[172:173], v[106:107]
	s_delay_alu instid0(VALU_DEP_1) | instskip(SKIP_1) | instid1(VALU_DEP_2)
	v_fma_f64 v[104:105], v[170:171], v[168:169], -v[104:105]
	v_mul_f64 v[170:171], v[170:171], v[106:107]
	v_add_f64 v[96:97], v[96:97], -v[104:105]
	s_delay_alu instid0(VALU_DEP_2) | instskip(NEXT) | instid1(VALU_DEP_1)
	v_fma_f64 v[170:171], v[172:173], v[168:169], v[170:171]
	v_add_f64 v[98:99], v[98:99], -v[170:171]
	;; [unrolled: 10-line block ×25, first 2 shown]
	ds_load_2addr_b64 v[170:173], v252 offset0:82 offset1:83
	s_waitcnt lgkmcnt(0)
	v_mul_f64 v[104:105], v[172:173], v[106:107]
	s_delay_alu instid0(VALU_DEP_1) | instskip(SKIP_1) | instid1(VALU_DEP_2)
	v_fma_f64 v[104:105], v[170:171], v[168:169], -v[104:105]
	v_mul_f64 v[170:171], v[170:171], v[106:107]
	v_add_f64 v[0:1], v[0:1], -v[104:105]
	s_delay_alu instid0(VALU_DEP_2) | instskip(SKIP_1) | instid1(VALU_DEP_2)
	v_fma_f64 v[170:171], v[172:173], v[168:169], v[170:171]
	v_dual_mov_b32 v104, v168 :: v_dual_mov_b32 v105, v169
	v_add_f64 v[2:3], v[2:3], -v[170:171]
.LBB83_145:
	s_or_b32 exec_lo, exec_lo, s3
	s_delay_alu instid0(SALU_CYCLE_1)
	s_mov_b32 s4, exec_lo
	s_waitcnt_vscnt null, 0x0
	s_barrier
	buffer_gl0_inv
	v_cmpx_eq_u32_e32 16, v250
	s_cbranch_execz .LBB83_152
; %bb.146:
	ds_store_2addr_b64 v251, v[100:101], v[102:103] offset1:1
	ds_store_2addr_b64 v252, v[96:97], v[98:99] offset0:34 offset1:35
	ds_store_2addr_b64 v252, v[92:93], v[94:95] offset0:36 offset1:37
	;; [unrolled: 1-line block ×25, first 2 shown]
	ds_load_2addr_b64 v[168:171], v251 offset1:1
	s_waitcnt lgkmcnt(0)
	v_cmp_neq_f64_e32 vcc_lo, 0, v[168:169]
	v_cmp_neq_f64_e64 s3, 0, v[170:171]
	s_delay_alu instid0(VALU_DEP_1) | instskip(NEXT) | instid1(SALU_CYCLE_1)
	s_or_b32 s3, vcc_lo, s3
	s_and_b32 exec_lo, exec_lo, s3
	s_cbranch_execz .LBB83_152
; %bb.147:
	v_cmp_gt_f64_e32 vcc_lo, 0, v[168:169]
	v_xor_b32_e32 v172, 0x80000000, v169
	v_xor_b32_e32 v174, 0x80000000, v171
	s_mov_b32 s3, exec_lo
                                        ; implicit-def: $vgpr176_vgpr177
	s_delay_alu instid0(VALU_DEP_2) | instskip(SKIP_4) | instid1(VALU_DEP_1)
	v_cndmask_b32_e32 v173, v169, v172, vcc_lo
	v_cndmask_b32_e32 v172, v168, v168, vcc_lo
	v_cmp_gt_f64_e32 vcc_lo, 0, v[170:171]
	v_cndmask_b32_e32 v175, v171, v174, vcc_lo
	v_cndmask_b32_e32 v174, v170, v170, vcc_lo
	v_cmpx_ngt_f64_e32 v[172:173], v[174:175]
	s_xor_b32 s3, exec_lo, s3
                                        ; implicit-def: $vgpr172_vgpr173_vgpr174_vgpr175
	s_cbranch_execz .LBB83_149
; %bb.148:
	v_div_scale_f64 v[172:173], null, v[170:171], v[170:171], v[168:169]
	v_div_scale_f64 v[178:179], vcc_lo, v[168:169], v[170:171], v[168:169]
	s_delay_alu instid0(VALU_DEP_2) | instskip(SKIP_2) | instid1(VALU_DEP_1)
	v_rcp_f64_e32 v[174:175], v[172:173]
	s_waitcnt_depctr 0xfff
	v_fma_f64 v[176:177], -v[172:173], v[174:175], 1.0
	v_fma_f64 v[174:175], v[174:175], v[176:177], v[174:175]
	s_delay_alu instid0(VALU_DEP_1) | instskip(NEXT) | instid1(VALU_DEP_1)
	v_fma_f64 v[176:177], -v[172:173], v[174:175], 1.0
	v_fma_f64 v[174:175], v[174:175], v[176:177], v[174:175]
	s_delay_alu instid0(VALU_DEP_1) | instskip(NEXT) | instid1(VALU_DEP_1)
	v_mul_f64 v[176:177], v[178:179], v[174:175]
	v_fma_f64 v[172:173], -v[172:173], v[176:177], v[178:179]
	s_delay_alu instid0(VALU_DEP_1) | instskip(NEXT) | instid1(VALU_DEP_1)
	v_div_fmas_f64 v[172:173], v[172:173], v[174:175], v[176:177]
	v_div_fixup_f64 v[172:173], v[172:173], v[170:171], v[168:169]
	s_delay_alu instid0(VALU_DEP_1) | instskip(NEXT) | instid1(VALU_DEP_1)
	v_fma_f64 v[168:169], v[168:169], v[172:173], v[170:171]
	v_div_scale_f64 v[170:171], null, v[168:169], v[168:169], 1.0
	s_delay_alu instid0(VALU_DEP_1) | instskip(SKIP_2) | instid1(VALU_DEP_1)
	v_rcp_f64_e32 v[174:175], v[170:171]
	s_waitcnt_depctr 0xfff
	v_fma_f64 v[176:177], -v[170:171], v[174:175], 1.0
	v_fma_f64 v[174:175], v[174:175], v[176:177], v[174:175]
	s_delay_alu instid0(VALU_DEP_1) | instskip(NEXT) | instid1(VALU_DEP_1)
	v_fma_f64 v[176:177], -v[170:171], v[174:175], 1.0
	v_fma_f64 v[174:175], v[174:175], v[176:177], v[174:175]
	v_div_scale_f64 v[176:177], vcc_lo, 1.0, v[168:169], 1.0
	s_delay_alu instid0(VALU_DEP_1) | instskip(NEXT) | instid1(VALU_DEP_1)
	v_mul_f64 v[178:179], v[176:177], v[174:175]
	v_fma_f64 v[170:171], -v[170:171], v[178:179], v[176:177]
	s_delay_alu instid0(VALU_DEP_1) | instskip(NEXT) | instid1(VALU_DEP_1)
	v_div_fmas_f64 v[170:171], v[170:171], v[174:175], v[178:179]
	v_div_fixup_f64 v[174:175], v[170:171], v[168:169], 1.0
                                        ; implicit-def: $vgpr168_vgpr169
	s_delay_alu instid0(VALU_DEP_1)
	v_mul_f64 v[176:177], v[172:173], v[174:175]
	v_xor_b32_e32 v175, 0x80000000, v175
.LBB83_149:
	s_and_not1_saveexec_b32 s3, s3
	s_cbranch_execz .LBB83_151
; %bb.150:
	v_div_scale_f64 v[172:173], null, v[168:169], v[168:169], v[170:171]
	v_div_scale_f64 v[178:179], vcc_lo, v[170:171], v[168:169], v[170:171]
	s_delay_alu instid0(VALU_DEP_2) | instskip(SKIP_2) | instid1(VALU_DEP_1)
	v_rcp_f64_e32 v[174:175], v[172:173]
	s_waitcnt_depctr 0xfff
	v_fma_f64 v[176:177], -v[172:173], v[174:175], 1.0
	v_fma_f64 v[174:175], v[174:175], v[176:177], v[174:175]
	s_delay_alu instid0(VALU_DEP_1) | instskip(NEXT) | instid1(VALU_DEP_1)
	v_fma_f64 v[176:177], -v[172:173], v[174:175], 1.0
	v_fma_f64 v[174:175], v[174:175], v[176:177], v[174:175]
	s_delay_alu instid0(VALU_DEP_1) | instskip(NEXT) | instid1(VALU_DEP_1)
	v_mul_f64 v[176:177], v[178:179], v[174:175]
	v_fma_f64 v[172:173], -v[172:173], v[176:177], v[178:179]
	s_delay_alu instid0(VALU_DEP_1) | instskip(NEXT) | instid1(VALU_DEP_1)
	v_div_fmas_f64 v[172:173], v[172:173], v[174:175], v[176:177]
	v_div_fixup_f64 v[172:173], v[172:173], v[168:169], v[170:171]
	s_delay_alu instid0(VALU_DEP_1) | instskip(NEXT) | instid1(VALU_DEP_1)
	v_fma_f64 v[168:169], v[170:171], v[172:173], v[168:169]
	v_div_scale_f64 v[170:171], null, v[168:169], v[168:169], 1.0
	s_delay_alu instid0(VALU_DEP_1) | instskip(SKIP_2) | instid1(VALU_DEP_1)
	v_rcp_f64_e32 v[174:175], v[170:171]
	s_waitcnt_depctr 0xfff
	v_fma_f64 v[176:177], -v[170:171], v[174:175], 1.0
	v_fma_f64 v[174:175], v[174:175], v[176:177], v[174:175]
	s_delay_alu instid0(VALU_DEP_1) | instskip(NEXT) | instid1(VALU_DEP_1)
	v_fma_f64 v[176:177], -v[170:171], v[174:175], 1.0
	v_fma_f64 v[174:175], v[174:175], v[176:177], v[174:175]
	v_div_scale_f64 v[176:177], vcc_lo, 1.0, v[168:169], 1.0
	s_delay_alu instid0(VALU_DEP_1) | instskip(NEXT) | instid1(VALU_DEP_1)
	v_mul_f64 v[178:179], v[176:177], v[174:175]
	v_fma_f64 v[170:171], -v[170:171], v[178:179], v[176:177]
	s_delay_alu instid0(VALU_DEP_1) | instskip(NEXT) | instid1(VALU_DEP_1)
	v_div_fmas_f64 v[170:171], v[170:171], v[174:175], v[178:179]
	v_div_fixup_f64 v[176:177], v[170:171], v[168:169], 1.0
	s_delay_alu instid0(VALU_DEP_1)
	v_mul_f64 v[174:175], v[172:173], -v[176:177]
.LBB83_151:
	s_or_b32 exec_lo, exec_lo, s3
	ds_store_2addr_b64 v251, v[176:177], v[174:175] offset1:1
.LBB83_152:
	s_or_b32 exec_lo, exec_lo, s4
	s_waitcnt lgkmcnt(0)
	s_barrier
	buffer_gl0_inv
	ds_load_2addr_b64 v[168:171], v251 offset1:1
	s_mov_b32 s3, exec_lo
	s_waitcnt lgkmcnt(0)
	scratch_store_b128 off, v[168:171], off offset:624 ; 16-byte Folded Spill
	v_cmpx_lt_u32_e32 16, v250
	s_cbranch_execz .LBB83_154
; %bb.153:
	scratch_load_b128 v[170:173], off, off offset:624 ; 16-byte Folded Reload
	s_waitcnt vmcnt(0)
	v_mul_f64 v[168:169], v[172:173], v[102:103]
	v_mul_f64 v[102:103], v[170:171], v[102:103]
	s_delay_alu instid0(VALU_DEP_2) | instskip(NEXT) | instid1(VALU_DEP_2)
	v_fma_f64 v[168:169], v[170:171], v[100:101], -v[168:169]
	v_fma_f64 v[102:103], v[172:173], v[100:101], v[102:103]
	ds_load_2addr_b64 v[170:173], v252 offset0:34 offset1:35
	s_waitcnt lgkmcnt(0)
	v_mul_f64 v[100:101], v[172:173], v[102:103]
	s_delay_alu instid0(VALU_DEP_1) | instskip(SKIP_1) | instid1(VALU_DEP_2)
	v_fma_f64 v[100:101], v[170:171], v[168:169], -v[100:101]
	v_mul_f64 v[170:171], v[170:171], v[102:103]
	v_add_f64 v[96:97], v[96:97], -v[100:101]
	s_delay_alu instid0(VALU_DEP_2) | instskip(NEXT) | instid1(VALU_DEP_1)
	v_fma_f64 v[170:171], v[172:173], v[168:169], v[170:171]
	v_add_f64 v[98:99], v[98:99], -v[170:171]
	ds_load_2addr_b64 v[170:173], v252 offset0:36 offset1:37
	s_waitcnt lgkmcnt(0)
	v_mul_f64 v[100:101], v[172:173], v[102:103]
	s_delay_alu instid0(VALU_DEP_1) | instskip(SKIP_1) | instid1(VALU_DEP_2)
	v_fma_f64 v[100:101], v[170:171], v[168:169], -v[100:101]
	v_mul_f64 v[170:171], v[170:171], v[102:103]
	v_add_f64 v[92:93], v[92:93], -v[100:101]
	s_delay_alu instid0(VALU_DEP_2) | instskip(NEXT) | instid1(VALU_DEP_1)
	v_fma_f64 v[170:171], v[172:173], v[168:169], v[170:171]
	v_add_f64 v[94:95], v[94:95], -v[170:171]
	;; [unrolled: 10-line block ×24, first 2 shown]
	ds_load_2addr_b64 v[170:173], v252 offset0:82 offset1:83
	s_waitcnt lgkmcnt(0)
	v_mul_f64 v[100:101], v[172:173], v[102:103]
	s_delay_alu instid0(VALU_DEP_1) | instskip(SKIP_1) | instid1(VALU_DEP_2)
	v_fma_f64 v[100:101], v[170:171], v[168:169], -v[100:101]
	v_mul_f64 v[170:171], v[170:171], v[102:103]
	v_add_f64 v[0:1], v[0:1], -v[100:101]
	s_delay_alu instid0(VALU_DEP_2) | instskip(SKIP_1) | instid1(VALU_DEP_2)
	v_fma_f64 v[170:171], v[172:173], v[168:169], v[170:171]
	v_dual_mov_b32 v100, v168 :: v_dual_mov_b32 v101, v169
	v_add_f64 v[2:3], v[2:3], -v[170:171]
.LBB83_154:
	s_or_b32 exec_lo, exec_lo, s3
	s_delay_alu instid0(SALU_CYCLE_1)
	s_mov_b32 s4, exec_lo
	s_waitcnt_vscnt null, 0x0
	s_barrier
	buffer_gl0_inv
	v_cmpx_eq_u32_e32 17, v250
	s_cbranch_execz .LBB83_161
; %bb.155:
	ds_store_2addr_b64 v251, v[96:97], v[98:99] offset1:1
	ds_store_2addr_b64 v252, v[92:93], v[94:95] offset0:36 offset1:37
	ds_store_2addr_b64 v252, v[88:89], v[90:91] offset0:38 offset1:39
	;; [unrolled: 1-line block ×24, first 2 shown]
	ds_load_2addr_b64 v[168:171], v251 offset1:1
	s_waitcnt lgkmcnt(0)
	v_cmp_neq_f64_e32 vcc_lo, 0, v[168:169]
	v_cmp_neq_f64_e64 s3, 0, v[170:171]
	s_delay_alu instid0(VALU_DEP_1) | instskip(NEXT) | instid1(SALU_CYCLE_1)
	s_or_b32 s3, vcc_lo, s3
	s_and_b32 exec_lo, exec_lo, s3
	s_cbranch_execz .LBB83_161
; %bb.156:
	v_cmp_gt_f64_e32 vcc_lo, 0, v[168:169]
	v_xor_b32_e32 v172, 0x80000000, v169
	v_xor_b32_e32 v174, 0x80000000, v171
	s_mov_b32 s3, exec_lo
                                        ; implicit-def: $vgpr176_vgpr177
	s_delay_alu instid0(VALU_DEP_2) | instskip(SKIP_4) | instid1(VALU_DEP_1)
	v_cndmask_b32_e32 v173, v169, v172, vcc_lo
	v_cndmask_b32_e32 v172, v168, v168, vcc_lo
	v_cmp_gt_f64_e32 vcc_lo, 0, v[170:171]
	v_cndmask_b32_e32 v175, v171, v174, vcc_lo
	v_cndmask_b32_e32 v174, v170, v170, vcc_lo
	v_cmpx_ngt_f64_e32 v[172:173], v[174:175]
	s_xor_b32 s3, exec_lo, s3
                                        ; implicit-def: $vgpr172_vgpr173_vgpr174_vgpr175
	s_cbranch_execz .LBB83_158
; %bb.157:
	v_div_scale_f64 v[172:173], null, v[170:171], v[170:171], v[168:169]
	v_div_scale_f64 v[178:179], vcc_lo, v[168:169], v[170:171], v[168:169]
	s_delay_alu instid0(VALU_DEP_2) | instskip(SKIP_2) | instid1(VALU_DEP_1)
	v_rcp_f64_e32 v[174:175], v[172:173]
	s_waitcnt_depctr 0xfff
	v_fma_f64 v[176:177], -v[172:173], v[174:175], 1.0
	v_fma_f64 v[174:175], v[174:175], v[176:177], v[174:175]
	s_delay_alu instid0(VALU_DEP_1) | instskip(NEXT) | instid1(VALU_DEP_1)
	v_fma_f64 v[176:177], -v[172:173], v[174:175], 1.0
	v_fma_f64 v[174:175], v[174:175], v[176:177], v[174:175]
	s_delay_alu instid0(VALU_DEP_1) | instskip(NEXT) | instid1(VALU_DEP_1)
	v_mul_f64 v[176:177], v[178:179], v[174:175]
	v_fma_f64 v[172:173], -v[172:173], v[176:177], v[178:179]
	s_delay_alu instid0(VALU_DEP_1) | instskip(NEXT) | instid1(VALU_DEP_1)
	v_div_fmas_f64 v[172:173], v[172:173], v[174:175], v[176:177]
	v_div_fixup_f64 v[172:173], v[172:173], v[170:171], v[168:169]
	s_delay_alu instid0(VALU_DEP_1) | instskip(NEXT) | instid1(VALU_DEP_1)
	v_fma_f64 v[168:169], v[168:169], v[172:173], v[170:171]
	v_div_scale_f64 v[170:171], null, v[168:169], v[168:169], 1.0
	s_delay_alu instid0(VALU_DEP_1) | instskip(SKIP_2) | instid1(VALU_DEP_1)
	v_rcp_f64_e32 v[174:175], v[170:171]
	s_waitcnt_depctr 0xfff
	v_fma_f64 v[176:177], -v[170:171], v[174:175], 1.0
	v_fma_f64 v[174:175], v[174:175], v[176:177], v[174:175]
	s_delay_alu instid0(VALU_DEP_1) | instskip(NEXT) | instid1(VALU_DEP_1)
	v_fma_f64 v[176:177], -v[170:171], v[174:175], 1.0
	v_fma_f64 v[174:175], v[174:175], v[176:177], v[174:175]
	v_div_scale_f64 v[176:177], vcc_lo, 1.0, v[168:169], 1.0
	s_delay_alu instid0(VALU_DEP_1) | instskip(NEXT) | instid1(VALU_DEP_1)
	v_mul_f64 v[178:179], v[176:177], v[174:175]
	v_fma_f64 v[170:171], -v[170:171], v[178:179], v[176:177]
	s_delay_alu instid0(VALU_DEP_1) | instskip(NEXT) | instid1(VALU_DEP_1)
	v_div_fmas_f64 v[170:171], v[170:171], v[174:175], v[178:179]
	v_div_fixup_f64 v[174:175], v[170:171], v[168:169], 1.0
                                        ; implicit-def: $vgpr168_vgpr169
	s_delay_alu instid0(VALU_DEP_1)
	v_mul_f64 v[176:177], v[172:173], v[174:175]
	v_xor_b32_e32 v175, 0x80000000, v175
.LBB83_158:
	s_and_not1_saveexec_b32 s3, s3
	s_cbranch_execz .LBB83_160
; %bb.159:
	v_div_scale_f64 v[172:173], null, v[168:169], v[168:169], v[170:171]
	v_div_scale_f64 v[178:179], vcc_lo, v[170:171], v[168:169], v[170:171]
	s_delay_alu instid0(VALU_DEP_2) | instskip(SKIP_2) | instid1(VALU_DEP_1)
	v_rcp_f64_e32 v[174:175], v[172:173]
	s_waitcnt_depctr 0xfff
	v_fma_f64 v[176:177], -v[172:173], v[174:175], 1.0
	v_fma_f64 v[174:175], v[174:175], v[176:177], v[174:175]
	s_delay_alu instid0(VALU_DEP_1) | instskip(NEXT) | instid1(VALU_DEP_1)
	v_fma_f64 v[176:177], -v[172:173], v[174:175], 1.0
	v_fma_f64 v[174:175], v[174:175], v[176:177], v[174:175]
	s_delay_alu instid0(VALU_DEP_1) | instskip(NEXT) | instid1(VALU_DEP_1)
	v_mul_f64 v[176:177], v[178:179], v[174:175]
	v_fma_f64 v[172:173], -v[172:173], v[176:177], v[178:179]
	s_delay_alu instid0(VALU_DEP_1) | instskip(NEXT) | instid1(VALU_DEP_1)
	v_div_fmas_f64 v[172:173], v[172:173], v[174:175], v[176:177]
	v_div_fixup_f64 v[172:173], v[172:173], v[168:169], v[170:171]
	s_delay_alu instid0(VALU_DEP_1) | instskip(NEXT) | instid1(VALU_DEP_1)
	v_fma_f64 v[168:169], v[170:171], v[172:173], v[168:169]
	v_div_scale_f64 v[170:171], null, v[168:169], v[168:169], 1.0
	s_delay_alu instid0(VALU_DEP_1) | instskip(SKIP_2) | instid1(VALU_DEP_1)
	v_rcp_f64_e32 v[174:175], v[170:171]
	s_waitcnt_depctr 0xfff
	v_fma_f64 v[176:177], -v[170:171], v[174:175], 1.0
	v_fma_f64 v[174:175], v[174:175], v[176:177], v[174:175]
	s_delay_alu instid0(VALU_DEP_1) | instskip(NEXT) | instid1(VALU_DEP_1)
	v_fma_f64 v[176:177], -v[170:171], v[174:175], 1.0
	v_fma_f64 v[174:175], v[174:175], v[176:177], v[174:175]
	v_div_scale_f64 v[176:177], vcc_lo, 1.0, v[168:169], 1.0
	s_delay_alu instid0(VALU_DEP_1) | instskip(NEXT) | instid1(VALU_DEP_1)
	v_mul_f64 v[178:179], v[176:177], v[174:175]
	v_fma_f64 v[170:171], -v[170:171], v[178:179], v[176:177]
	s_delay_alu instid0(VALU_DEP_1) | instskip(NEXT) | instid1(VALU_DEP_1)
	v_div_fmas_f64 v[170:171], v[170:171], v[174:175], v[178:179]
	v_div_fixup_f64 v[176:177], v[170:171], v[168:169], 1.0
	s_delay_alu instid0(VALU_DEP_1)
	v_mul_f64 v[174:175], v[172:173], -v[176:177]
.LBB83_160:
	s_or_b32 exec_lo, exec_lo, s3
	ds_store_2addr_b64 v251, v[176:177], v[174:175] offset1:1
.LBB83_161:
	s_or_b32 exec_lo, exec_lo, s4
	s_waitcnt lgkmcnt(0)
	s_barrier
	buffer_gl0_inv
	ds_load_2addr_b64 v[168:171], v251 offset1:1
	s_mov_b32 s3, exec_lo
	s_waitcnt lgkmcnt(0)
	scratch_store_b128 off, v[168:171], off offset:640 ; 16-byte Folded Spill
	v_cmpx_lt_u32_e32 17, v250
	s_cbranch_execz .LBB83_163
; %bb.162:
	scratch_load_b128 v[170:173], off, off offset:640 ; 16-byte Folded Reload
	s_waitcnt vmcnt(0)
	v_mul_f64 v[168:169], v[172:173], v[98:99]
	v_mul_f64 v[98:99], v[170:171], v[98:99]
	s_delay_alu instid0(VALU_DEP_2) | instskip(NEXT) | instid1(VALU_DEP_2)
	v_fma_f64 v[168:169], v[170:171], v[96:97], -v[168:169]
	v_fma_f64 v[98:99], v[172:173], v[96:97], v[98:99]
	ds_load_2addr_b64 v[170:173], v252 offset0:36 offset1:37
	s_waitcnt lgkmcnt(0)
	v_mul_f64 v[96:97], v[172:173], v[98:99]
	s_delay_alu instid0(VALU_DEP_1) | instskip(SKIP_1) | instid1(VALU_DEP_2)
	v_fma_f64 v[96:97], v[170:171], v[168:169], -v[96:97]
	v_mul_f64 v[170:171], v[170:171], v[98:99]
	v_add_f64 v[92:93], v[92:93], -v[96:97]
	s_delay_alu instid0(VALU_DEP_2) | instskip(NEXT) | instid1(VALU_DEP_1)
	v_fma_f64 v[170:171], v[172:173], v[168:169], v[170:171]
	v_add_f64 v[94:95], v[94:95], -v[170:171]
	ds_load_2addr_b64 v[170:173], v252 offset0:38 offset1:39
	s_waitcnt lgkmcnt(0)
	v_mul_f64 v[96:97], v[172:173], v[98:99]
	s_delay_alu instid0(VALU_DEP_1) | instskip(SKIP_1) | instid1(VALU_DEP_2)
	v_fma_f64 v[96:97], v[170:171], v[168:169], -v[96:97]
	v_mul_f64 v[170:171], v[170:171], v[98:99]
	v_add_f64 v[88:89], v[88:89], -v[96:97]
	s_delay_alu instid0(VALU_DEP_2) | instskip(NEXT) | instid1(VALU_DEP_1)
	v_fma_f64 v[170:171], v[172:173], v[168:169], v[170:171]
	v_add_f64 v[90:91], v[90:91], -v[170:171]
	;; [unrolled: 10-line block ×23, first 2 shown]
	ds_load_2addr_b64 v[170:173], v252 offset0:82 offset1:83
	s_waitcnt lgkmcnt(0)
	v_mul_f64 v[96:97], v[172:173], v[98:99]
	s_delay_alu instid0(VALU_DEP_1) | instskip(SKIP_1) | instid1(VALU_DEP_2)
	v_fma_f64 v[96:97], v[170:171], v[168:169], -v[96:97]
	v_mul_f64 v[170:171], v[170:171], v[98:99]
	v_add_f64 v[0:1], v[0:1], -v[96:97]
	s_delay_alu instid0(VALU_DEP_2) | instskip(SKIP_1) | instid1(VALU_DEP_2)
	v_fma_f64 v[170:171], v[172:173], v[168:169], v[170:171]
	v_dual_mov_b32 v96, v168 :: v_dual_mov_b32 v97, v169
	v_add_f64 v[2:3], v[2:3], -v[170:171]
.LBB83_163:
	s_or_b32 exec_lo, exec_lo, s3
	s_delay_alu instid0(SALU_CYCLE_1)
	s_mov_b32 s4, exec_lo
	s_waitcnt_vscnt null, 0x0
	s_barrier
	buffer_gl0_inv
	v_cmpx_eq_u32_e32 18, v250
	s_cbranch_execz .LBB83_170
; %bb.164:
	ds_store_2addr_b64 v251, v[92:93], v[94:95] offset1:1
	ds_store_2addr_b64 v252, v[88:89], v[90:91] offset0:38 offset1:39
	ds_store_2addr_b64 v252, v[84:85], v[86:87] offset0:40 offset1:41
	;; [unrolled: 1-line block ×23, first 2 shown]
	ds_load_2addr_b64 v[168:171], v251 offset1:1
	s_waitcnt lgkmcnt(0)
	v_cmp_neq_f64_e32 vcc_lo, 0, v[168:169]
	v_cmp_neq_f64_e64 s3, 0, v[170:171]
	s_delay_alu instid0(VALU_DEP_1) | instskip(NEXT) | instid1(SALU_CYCLE_1)
	s_or_b32 s3, vcc_lo, s3
	s_and_b32 exec_lo, exec_lo, s3
	s_cbranch_execz .LBB83_170
; %bb.165:
	v_cmp_gt_f64_e32 vcc_lo, 0, v[168:169]
	v_xor_b32_e32 v172, 0x80000000, v169
	v_xor_b32_e32 v174, 0x80000000, v171
	s_mov_b32 s3, exec_lo
                                        ; implicit-def: $vgpr176_vgpr177
	s_delay_alu instid0(VALU_DEP_2) | instskip(SKIP_4) | instid1(VALU_DEP_1)
	v_cndmask_b32_e32 v173, v169, v172, vcc_lo
	v_cndmask_b32_e32 v172, v168, v168, vcc_lo
	v_cmp_gt_f64_e32 vcc_lo, 0, v[170:171]
	v_cndmask_b32_e32 v175, v171, v174, vcc_lo
	v_cndmask_b32_e32 v174, v170, v170, vcc_lo
	v_cmpx_ngt_f64_e32 v[172:173], v[174:175]
	s_xor_b32 s3, exec_lo, s3
                                        ; implicit-def: $vgpr172_vgpr173_vgpr174_vgpr175
	s_cbranch_execz .LBB83_167
; %bb.166:
	v_div_scale_f64 v[172:173], null, v[170:171], v[170:171], v[168:169]
	v_div_scale_f64 v[178:179], vcc_lo, v[168:169], v[170:171], v[168:169]
	s_delay_alu instid0(VALU_DEP_2) | instskip(SKIP_2) | instid1(VALU_DEP_1)
	v_rcp_f64_e32 v[174:175], v[172:173]
	s_waitcnt_depctr 0xfff
	v_fma_f64 v[176:177], -v[172:173], v[174:175], 1.0
	v_fma_f64 v[174:175], v[174:175], v[176:177], v[174:175]
	s_delay_alu instid0(VALU_DEP_1) | instskip(NEXT) | instid1(VALU_DEP_1)
	v_fma_f64 v[176:177], -v[172:173], v[174:175], 1.0
	v_fma_f64 v[174:175], v[174:175], v[176:177], v[174:175]
	s_delay_alu instid0(VALU_DEP_1) | instskip(NEXT) | instid1(VALU_DEP_1)
	v_mul_f64 v[176:177], v[178:179], v[174:175]
	v_fma_f64 v[172:173], -v[172:173], v[176:177], v[178:179]
	s_delay_alu instid0(VALU_DEP_1) | instskip(NEXT) | instid1(VALU_DEP_1)
	v_div_fmas_f64 v[172:173], v[172:173], v[174:175], v[176:177]
	v_div_fixup_f64 v[172:173], v[172:173], v[170:171], v[168:169]
	s_delay_alu instid0(VALU_DEP_1) | instskip(NEXT) | instid1(VALU_DEP_1)
	v_fma_f64 v[168:169], v[168:169], v[172:173], v[170:171]
	v_div_scale_f64 v[170:171], null, v[168:169], v[168:169], 1.0
	s_delay_alu instid0(VALU_DEP_1) | instskip(SKIP_2) | instid1(VALU_DEP_1)
	v_rcp_f64_e32 v[174:175], v[170:171]
	s_waitcnt_depctr 0xfff
	v_fma_f64 v[176:177], -v[170:171], v[174:175], 1.0
	v_fma_f64 v[174:175], v[174:175], v[176:177], v[174:175]
	s_delay_alu instid0(VALU_DEP_1) | instskip(NEXT) | instid1(VALU_DEP_1)
	v_fma_f64 v[176:177], -v[170:171], v[174:175], 1.0
	v_fma_f64 v[174:175], v[174:175], v[176:177], v[174:175]
	v_div_scale_f64 v[176:177], vcc_lo, 1.0, v[168:169], 1.0
	s_delay_alu instid0(VALU_DEP_1) | instskip(NEXT) | instid1(VALU_DEP_1)
	v_mul_f64 v[178:179], v[176:177], v[174:175]
	v_fma_f64 v[170:171], -v[170:171], v[178:179], v[176:177]
	s_delay_alu instid0(VALU_DEP_1) | instskip(NEXT) | instid1(VALU_DEP_1)
	v_div_fmas_f64 v[170:171], v[170:171], v[174:175], v[178:179]
	v_div_fixup_f64 v[174:175], v[170:171], v[168:169], 1.0
                                        ; implicit-def: $vgpr168_vgpr169
	s_delay_alu instid0(VALU_DEP_1)
	v_mul_f64 v[176:177], v[172:173], v[174:175]
	v_xor_b32_e32 v175, 0x80000000, v175
.LBB83_167:
	s_and_not1_saveexec_b32 s3, s3
	s_cbranch_execz .LBB83_169
; %bb.168:
	v_div_scale_f64 v[172:173], null, v[168:169], v[168:169], v[170:171]
	v_div_scale_f64 v[178:179], vcc_lo, v[170:171], v[168:169], v[170:171]
	s_delay_alu instid0(VALU_DEP_2) | instskip(SKIP_2) | instid1(VALU_DEP_1)
	v_rcp_f64_e32 v[174:175], v[172:173]
	s_waitcnt_depctr 0xfff
	v_fma_f64 v[176:177], -v[172:173], v[174:175], 1.0
	v_fma_f64 v[174:175], v[174:175], v[176:177], v[174:175]
	s_delay_alu instid0(VALU_DEP_1) | instskip(NEXT) | instid1(VALU_DEP_1)
	v_fma_f64 v[176:177], -v[172:173], v[174:175], 1.0
	v_fma_f64 v[174:175], v[174:175], v[176:177], v[174:175]
	s_delay_alu instid0(VALU_DEP_1) | instskip(NEXT) | instid1(VALU_DEP_1)
	v_mul_f64 v[176:177], v[178:179], v[174:175]
	v_fma_f64 v[172:173], -v[172:173], v[176:177], v[178:179]
	s_delay_alu instid0(VALU_DEP_1) | instskip(NEXT) | instid1(VALU_DEP_1)
	v_div_fmas_f64 v[172:173], v[172:173], v[174:175], v[176:177]
	v_div_fixup_f64 v[172:173], v[172:173], v[168:169], v[170:171]
	s_delay_alu instid0(VALU_DEP_1) | instskip(NEXT) | instid1(VALU_DEP_1)
	v_fma_f64 v[168:169], v[170:171], v[172:173], v[168:169]
	v_div_scale_f64 v[170:171], null, v[168:169], v[168:169], 1.0
	s_delay_alu instid0(VALU_DEP_1) | instskip(SKIP_2) | instid1(VALU_DEP_1)
	v_rcp_f64_e32 v[174:175], v[170:171]
	s_waitcnt_depctr 0xfff
	v_fma_f64 v[176:177], -v[170:171], v[174:175], 1.0
	v_fma_f64 v[174:175], v[174:175], v[176:177], v[174:175]
	s_delay_alu instid0(VALU_DEP_1) | instskip(NEXT) | instid1(VALU_DEP_1)
	v_fma_f64 v[176:177], -v[170:171], v[174:175], 1.0
	v_fma_f64 v[174:175], v[174:175], v[176:177], v[174:175]
	v_div_scale_f64 v[176:177], vcc_lo, 1.0, v[168:169], 1.0
	s_delay_alu instid0(VALU_DEP_1) | instskip(NEXT) | instid1(VALU_DEP_1)
	v_mul_f64 v[178:179], v[176:177], v[174:175]
	v_fma_f64 v[170:171], -v[170:171], v[178:179], v[176:177]
	s_delay_alu instid0(VALU_DEP_1) | instskip(NEXT) | instid1(VALU_DEP_1)
	v_div_fmas_f64 v[170:171], v[170:171], v[174:175], v[178:179]
	v_div_fixup_f64 v[176:177], v[170:171], v[168:169], 1.0
	s_delay_alu instid0(VALU_DEP_1)
	v_mul_f64 v[174:175], v[172:173], -v[176:177]
.LBB83_169:
	s_or_b32 exec_lo, exec_lo, s3
	ds_store_2addr_b64 v251, v[176:177], v[174:175] offset1:1
.LBB83_170:
	s_or_b32 exec_lo, exec_lo, s4
	s_waitcnt lgkmcnt(0)
	s_barrier
	buffer_gl0_inv
	ds_load_2addr_b64 v[168:171], v251 offset1:1
	s_mov_b32 s3, exec_lo
	s_waitcnt lgkmcnt(0)
	scratch_store_b128 off, v[168:171], off offset:656 ; 16-byte Folded Spill
	v_cmpx_lt_u32_e32 18, v250
	s_cbranch_execz .LBB83_172
; %bb.171:
	scratch_load_b128 v[170:173], off, off offset:656 ; 16-byte Folded Reload
	s_waitcnt vmcnt(0)
	v_mul_f64 v[168:169], v[172:173], v[94:95]
	v_mul_f64 v[94:95], v[170:171], v[94:95]
	s_delay_alu instid0(VALU_DEP_2) | instskip(NEXT) | instid1(VALU_DEP_2)
	v_fma_f64 v[168:169], v[170:171], v[92:93], -v[168:169]
	v_fma_f64 v[94:95], v[172:173], v[92:93], v[94:95]
	ds_load_2addr_b64 v[170:173], v252 offset0:38 offset1:39
	s_waitcnt lgkmcnt(0)
	v_mul_f64 v[92:93], v[172:173], v[94:95]
	s_delay_alu instid0(VALU_DEP_1) | instskip(SKIP_1) | instid1(VALU_DEP_2)
	v_fma_f64 v[92:93], v[170:171], v[168:169], -v[92:93]
	v_mul_f64 v[170:171], v[170:171], v[94:95]
	v_add_f64 v[88:89], v[88:89], -v[92:93]
	s_delay_alu instid0(VALU_DEP_2) | instskip(NEXT) | instid1(VALU_DEP_1)
	v_fma_f64 v[170:171], v[172:173], v[168:169], v[170:171]
	v_add_f64 v[90:91], v[90:91], -v[170:171]
	ds_load_2addr_b64 v[170:173], v252 offset0:40 offset1:41
	s_waitcnt lgkmcnt(0)
	v_mul_f64 v[92:93], v[172:173], v[94:95]
	s_delay_alu instid0(VALU_DEP_1) | instskip(SKIP_1) | instid1(VALU_DEP_2)
	v_fma_f64 v[92:93], v[170:171], v[168:169], -v[92:93]
	v_mul_f64 v[170:171], v[170:171], v[94:95]
	v_add_f64 v[84:85], v[84:85], -v[92:93]
	s_delay_alu instid0(VALU_DEP_2) | instskip(NEXT) | instid1(VALU_DEP_1)
	v_fma_f64 v[170:171], v[172:173], v[168:169], v[170:171]
	v_add_f64 v[86:87], v[86:87], -v[170:171]
	ds_load_2addr_b64 v[170:173], v252 offset0:42 offset1:43
	s_waitcnt lgkmcnt(0)
	v_mul_f64 v[92:93], v[172:173], v[94:95]
	s_delay_alu instid0(VALU_DEP_1) | instskip(SKIP_1) | instid1(VALU_DEP_2)
	v_fma_f64 v[92:93], v[170:171], v[168:169], -v[92:93]
	v_mul_f64 v[170:171], v[170:171], v[94:95]
	v_add_f64 v[80:81], v[80:81], -v[92:93]
	s_delay_alu instid0(VALU_DEP_2) | instskip(NEXT) | instid1(VALU_DEP_1)
	v_fma_f64 v[170:171], v[172:173], v[168:169], v[170:171]
	v_add_f64 v[82:83], v[82:83], -v[170:171]
	ds_load_2addr_b64 v[170:173], v252 offset0:44 offset1:45
	s_waitcnt lgkmcnt(0)
	v_mul_f64 v[92:93], v[172:173], v[94:95]
	s_delay_alu instid0(VALU_DEP_1) | instskip(SKIP_1) | instid1(VALU_DEP_2)
	v_fma_f64 v[92:93], v[170:171], v[168:169], -v[92:93]
	v_mul_f64 v[170:171], v[170:171], v[94:95]
	v_add_f64 v[76:77], v[76:77], -v[92:93]
	s_delay_alu instid0(VALU_DEP_2) | instskip(NEXT) | instid1(VALU_DEP_1)
	v_fma_f64 v[170:171], v[172:173], v[168:169], v[170:171]
	v_add_f64 v[78:79], v[78:79], -v[170:171]
	ds_load_2addr_b64 v[170:173], v252 offset0:46 offset1:47
	s_waitcnt lgkmcnt(0)
	v_mul_f64 v[92:93], v[172:173], v[94:95]
	s_delay_alu instid0(VALU_DEP_1) | instskip(SKIP_1) | instid1(VALU_DEP_2)
	v_fma_f64 v[92:93], v[170:171], v[168:169], -v[92:93]
	v_mul_f64 v[170:171], v[170:171], v[94:95]
	v_add_f64 v[72:73], v[72:73], -v[92:93]
	s_delay_alu instid0(VALU_DEP_2) | instskip(NEXT) | instid1(VALU_DEP_1)
	v_fma_f64 v[170:171], v[172:173], v[168:169], v[170:171]
	v_add_f64 v[74:75], v[74:75], -v[170:171]
	ds_load_2addr_b64 v[170:173], v252 offset0:48 offset1:49
	s_waitcnt lgkmcnt(0)
	v_mul_f64 v[92:93], v[172:173], v[94:95]
	s_delay_alu instid0(VALU_DEP_1) | instskip(SKIP_1) | instid1(VALU_DEP_2)
	v_fma_f64 v[92:93], v[170:171], v[168:169], -v[92:93]
	v_mul_f64 v[170:171], v[170:171], v[94:95]
	v_add_f64 v[68:69], v[68:69], -v[92:93]
	s_delay_alu instid0(VALU_DEP_2) | instskip(NEXT) | instid1(VALU_DEP_1)
	v_fma_f64 v[170:171], v[172:173], v[168:169], v[170:171]
	v_add_f64 v[70:71], v[70:71], -v[170:171]
	ds_load_2addr_b64 v[170:173], v252 offset0:50 offset1:51
	s_waitcnt lgkmcnt(0)
	v_mul_f64 v[92:93], v[172:173], v[94:95]
	s_delay_alu instid0(VALU_DEP_1) | instskip(SKIP_1) | instid1(VALU_DEP_2)
	v_fma_f64 v[92:93], v[170:171], v[168:169], -v[92:93]
	v_mul_f64 v[170:171], v[170:171], v[94:95]
	v_add_f64 v[64:65], v[64:65], -v[92:93]
	s_delay_alu instid0(VALU_DEP_2) | instskip(NEXT) | instid1(VALU_DEP_1)
	v_fma_f64 v[170:171], v[172:173], v[168:169], v[170:171]
	v_add_f64 v[66:67], v[66:67], -v[170:171]
	ds_load_2addr_b64 v[170:173], v252 offset0:52 offset1:53
	s_waitcnt lgkmcnt(0)
	v_mul_f64 v[92:93], v[172:173], v[94:95]
	s_delay_alu instid0(VALU_DEP_1) | instskip(SKIP_1) | instid1(VALU_DEP_2)
	v_fma_f64 v[92:93], v[170:171], v[168:169], -v[92:93]
	v_mul_f64 v[170:171], v[170:171], v[94:95]
	v_add_f64 v[60:61], v[60:61], -v[92:93]
	s_delay_alu instid0(VALU_DEP_2) | instskip(NEXT) | instid1(VALU_DEP_1)
	v_fma_f64 v[170:171], v[172:173], v[168:169], v[170:171]
	v_add_f64 v[62:63], v[62:63], -v[170:171]
	ds_load_2addr_b64 v[170:173], v252 offset0:54 offset1:55
	s_waitcnt lgkmcnt(0)
	v_mul_f64 v[92:93], v[172:173], v[94:95]
	s_delay_alu instid0(VALU_DEP_1) | instskip(SKIP_1) | instid1(VALU_DEP_2)
	v_fma_f64 v[92:93], v[170:171], v[168:169], -v[92:93]
	v_mul_f64 v[170:171], v[170:171], v[94:95]
	v_add_f64 v[56:57], v[56:57], -v[92:93]
	s_delay_alu instid0(VALU_DEP_2) | instskip(NEXT) | instid1(VALU_DEP_1)
	v_fma_f64 v[170:171], v[172:173], v[168:169], v[170:171]
	v_add_f64 v[58:59], v[58:59], -v[170:171]
	ds_load_2addr_b64 v[170:173], v252 offset0:56 offset1:57
	s_waitcnt lgkmcnt(0)
	v_mul_f64 v[92:93], v[172:173], v[94:95]
	s_delay_alu instid0(VALU_DEP_1) | instskip(SKIP_1) | instid1(VALU_DEP_2)
	v_fma_f64 v[92:93], v[170:171], v[168:169], -v[92:93]
	v_mul_f64 v[170:171], v[170:171], v[94:95]
	v_add_f64 v[52:53], v[52:53], -v[92:93]
	s_delay_alu instid0(VALU_DEP_2) | instskip(NEXT) | instid1(VALU_DEP_1)
	v_fma_f64 v[170:171], v[172:173], v[168:169], v[170:171]
	v_add_f64 v[54:55], v[54:55], -v[170:171]
	ds_load_2addr_b64 v[170:173], v252 offset0:58 offset1:59
	s_waitcnt lgkmcnt(0)
	v_mul_f64 v[92:93], v[172:173], v[94:95]
	s_delay_alu instid0(VALU_DEP_1) | instskip(SKIP_1) | instid1(VALU_DEP_2)
	v_fma_f64 v[92:93], v[170:171], v[168:169], -v[92:93]
	v_mul_f64 v[170:171], v[170:171], v[94:95]
	v_add_f64 v[48:49], v[48:49], -v[92:93]
	s_delay_alu instid0(VALU_DEP_2) | instskip(NEXT) | instid1(VALU_DEP_1)
	v_fma_f64 v[170:171], v[172:173], v[168:169], v[170:171]
	v_add_f64 v[50:51], v[50:51], -v[170:171]
	ds_load_2addr_b64 v[170:173], v252 offset0:60 offset1:61
	s_waitcnt lgkmcnt(0)
	v_mul_f64 v[92:93], v[172:173], v[94:95]
	s_delay_alu instid0(VALU_DEP_1) | instskip(SKIP_1) | instid1(VALU_DEP_2)
	v_fma_f64 v[92:93], v[170:171], v[168:169], -v[92:93]
	v_mul_f64 v[170:171], v[170:171], v[94:95]
	v_add_f64 v[44:45], v[44:45], -v[92:93]
	s_delay_alu instid0(VALU_DEP_2) | instskip(NEXT) | instid1(VALU_DEP_1)
	v_fma_f64 v[170:171], v[172:173], v[168:169], v[170:171]
	v_add_f64 v[46:47], v[46:47], -v[170:171]
	ds_load_2addr_b64 v[170:173], v252 offset0:62 offset1:63
	s_waitcnt lgkmcnt(0)
	v_mul_f64 v[92:93], v[172:173], v[94:95]
	s_delay_alu instid0(VALU_DEP_1) | instskip(SKIP_1) | instid1(VALU_DEP_2)
	v_fma_f64 v[92:93], v[170:171], v[168:169], -v[92:93]
	v_mul_f64 v[170:171], v[170:171], v[94:95]
	v_add_f64 v[40:41], v[40:41], -v[92:93]
	s_delay_alu instid0(VALU_DEP_2) | instskip(NEXT) | instid1(VALU_DEP_1)
	v_fma_f64 v[170:171], v[172:173], v[168:169], v[170:171]
	v_add_f64 v[42:43], v[42:43], -v[170:171]
	ds_load_2addr_b64 v[170:173], v252 offset0:64 offset1:65
	s_waitcnt lgkmcnt(0)
	v_mul_f64 v[92:93], v[172:173], v[94:95]
	s_delay_alu instid0(VALU_DEP_1) | instskip(SKIP_1) | instid1(VALU_DEP_2)
	v_fma_f64 v[92:93], v[170:171], v[168:169], -v[92:93]
	v_mul_f64 v[170:171], v[170:171], v[94:95]
	v_add_f64 v[36:37], v[36:37], -v[92:93]
	s_delay_alu instid0(VALU_DEP_2) | instskip(NEXT) | instid1(VALU_DEP_1)
	v_fma_f64 v[170:171], v[172:173], v[168:169], v[170:171]
	v_add_f64 v[38:39], v[38:39], -v[170:171]
	ds_load_2addr_b64 v[170:173], v252 offset0:66 offset1:67
	s_waitcnt lgkmcnt(0)
	v_mul_f64 v[92:93], v[172:173], v[94:95]
	s_delay_alu instid0(VALU_DEP_1) | instskip(SKIP_1) | instid1(VALU_DEP_2)
	v_fma_f64 v[92:93], v[170:171], v[168:169], -v[92:93]
	v_mul_f64 v[170:171], v[170:171], v[94:95]
	v_add_f64 v[32:33], v[32:33], -v[92:93]
	s_delay_alu instid0(VALU_DEP_2) | instskip(NEXT) | instid1(VALU_DEP_1)
	v_fma_f64 v[170:171], v[172:173], v[168:169], v[170:171]
	v_add_f64 v[34:35], v[34:35], -v[170:171]
	ds_load_2addr_b64 v[170:173], v252 offset0:68 offset1:69
	s_waitcnt lgkmcnt(0)
	v_mul_f64 v[92:93], v[172:173], v[94:95]
	s_delay_alu instid0(VALU_DEP_1) | instskip(SKIP_1) | instid1(VALU_DEP_2)
	v_fma_f64 v[92:93], v[170:171], v[168:169], -v[92:93]
	v_mul_f64 v[170:171], v[170:171], v[94:95]
	v_add_f64 v[28:29], v[28:29], -v[92:93]
	s_delay_alu instid0(VALU_DEP_2) | instskip(NEXT) | instid1(VALU_DEP_1)
	v_fma_f64 v[170:171], v[172:173], v[168:169], v[170:171]
	v_add_f64 v[30:31], v[30:31], -v[170:171]
	ds_load_2addr_b64 v[170:173], v252 offset0:70 offset1:71
	s_waitcnt lgkmcnt(0)
	v_mul_f64 v[92:93], v[172:173], v[94:95]
	s_delay_alu instid0(VALU_DEP_1) | instskip(SKIP_1) | instid1(VALU_DEP_2)
	v_fma_f64 v[92:93], v[170:171], v[168:169], -v[92:93]
	v_mul_f64 v[170:171], v[170:171], v[94:95]
	v_add_f64 v[24:25], v[24:25], -v[92:93]
	s_delay_alu instid0(VALU_DEP_2) | instskip(NEXT) | instid1(VALU_DEP_1)
	v_fma_f64 v[170:171], v[172:173], v[168:169], v[170:171]
	v_add_f64 v[26:27], v[26:27], -v[170:171]
	ds_load_2addr_b64 v[170:173], v252 offset0:72 offset1:73
	s_waitcnt lgkmcnt(0)
	v_mul_f64 v[92:93], v[172:173], v[94:95]
	s_delay_alu instid0(VALU_DEP_1) | instskip(SKIP_1) | instid1(VALU_DEP_2)
	v_fma_f64 v[92:93], v[170:171], v[168:169], -v[92:93]
	v_mul_f64 v[170:171], v[170:171], v[94:95]
	v_add_f64 v[20:21], v[20:21], -v[92:93]
	s_delay_alu instid0(VALU_DEP_2) | instskip(NEXT) | instid1(VALU_DEP_1)
	v_fma_f64 v[170:171], v[172:173], v[168:169], v[170:171]
	v_add_f64 v[22:23], v[22:23], -v[170:171]
	ds_load_2addr_b64 v[170:173], v252 offset0:74 offset1:75
	s_waitcnt lgkmcnt(0)
	v_mul_f64 v[92:93], v[172:173], v[94:95]
	s_delay_alu instid0(VALU_DEP_1) | instskip(SKIP_1) | instid1(VALU_DEP_2)
	v_fma_f64 v[92:93], v[170:171], v[168:169], -v[92:93]
	v_mul_f64 v[170:171], v[170:171], v[94:95]
	v_add_f64 v[16:17], v[16:17], -v[92:93]
	s_delay_alu instid0(VALU_DEP_2) | instskip(NEXT) | instid1(VALU_DEP_1)
	v_fma_f64 v[170:171], v[172:173], v[168:169], v[170:171]
	v_add_f64 v[18:19], v[18:19], -v[170:171]
	ds_load_2addr_b64 v[170:173], v252 offset0:76 offset1:77
	s_waitcnt lgkmcnt(0)
	v_mul_f64 v[92:93], v[172:173], v[94:95]
	s_delay_alu instid0(VALU_DEP_1) | instskip(SKIP_1) | instid1(VALU_DEP_2)
	v_fma_f64 v[92:93], v[170:171], v[168:169], -v[92:93]
	v_mul_f64 v[170:171], v[170:171], v[94:95]
	v_add_f64 v[12:13], v[12:13], -v[92:93]
	s_delay_alu instid0(VALU_DEP_2) | instskip(NEXT) | instid1(VALU_DEP_1)
	v_fma_f64 v[170:171], v[172:173], v[168:169], v[170:171]
	v_add_f64 v[14:15], v[14:15], -v[170:171]
	ds_load_2addr_b64 v[170:173], v252 offset0:78 offset1:79
	s_waitcnt lgkmcnt(0)
	v_mul_f64 v[92:93], v[172:173], v[94:95]
	s_delay_alu instid0(VALU_DEP_1) | instskip(SKIP_1) | instid1(VALU_DEP_2)
	v_fma_f64 v[92:93], v[170:171], v[168:169], -v[92:93]
	v_mul_f64 v[170:171], v[170:171], v[94:95]
	v_add_f64 v[8:9], v[8:9], -v[92:93]
	s_delay_alu instid0(VALU_DEP_2) | instskip(NEXT) | instid1(VALU_DEP_1)
	v_fma_f64 v[170:171], v[172:173], v[168:169], v[170:171]
	v_add_f64 v[10:11], v[10:11], -v[170:171]
	ds_load_2addr_b64 v[170:173], v252 offset0:80 offset1:81
	s_waitcnt lgkmcnt(0)
	v_mul_f64 v[92:93], v[172:173], v[94:95]
	s_delay_alu instid0(VALU_DEP_1) | instskip(SKIP_1) | instid1(VALU_DEP_2)
	v_fma_f64 v[92:93], v[170:171], v[168:169], -v[92:93]
	v_mul_f64 v[170:171], v[170:171], v[94:95]
	v_add_f64 v[4:5], v[4:5], -v[92:93]
	s_delay_alu instid0(VALU_DEP_2) | instskip(NEXT) | instid1(VALU_DEP_1)
	v_fma_f64 v[170:171], v[172:173], v[168:169], v[170:171]
	v_add_f64 v[6:7], v[6:7], -v[170:171]
	ds_load_2addr_b64 v[170:173], v252 offset0:82 offset1:83
	s_waitcnt lgkmcnt(0)
	v_mul_f64 v[92:93], v[172:173], v[94:95]
	s_delay_alu instid0(VALU_DEP_1) | instskip(SKIP_1) | instid1(VALU_DEP_2)
	v_fma_f64 v[92:93], v[170:171], v[168:169], -v[92:93]
	v_mul_f64 v[170:171], v[170:171], v[94:95]
	v_add_f64 v[0:1], v[0:1], -v[92:93]
	s_delay_alu instid0(VALU_DEP_2) | instskip(SKIP_1) | instid1(VALU_DEP_2)
	v_fma_f64 v[170:171], v[172:173], v[168:169], v[170:171]
	v_dual_mov_b32 v92, v168 :: v_dual_mov_b32 v93, v169
	v_add_f64 v[2:3], v[2:3], -v[170:171]
.LBB83_172:
	s_or_b32 exec_lo, exec_lo, s3
	s_delay_alu instid0(SALU_CYCLE_1)
	s_mov_b32 s4, exec_lo
	s_waitcnt_vscnt null, 0x0
	s_barrier
	buffer_gl0_inv
	v_cmpx_eq_u32_e32 19, v250
	s_cbranch_execz .LBB83_179
; %bb.173:
	ds_store_2addr_b64 v251, v[88:89], v[90:91] offset1:1
	ds_store_2addr_b64 v252, v[84:85], v[86:87] offset0:40 offset1:41
	ds_store_2addr_b64 v252, v[80:81], v[82:83] offset0:42 offset1:43
	;; [unrolled: 1-line block ×22, first 2 shown]
	ds_load_2addr_b64 v[168:171], v251 offset1:1
	s_waitcnt lgkmcnt(0)
	v_cmp_neq_f64_e32 vcc_lo, 0, v[168:169]
	v_cmp_neq_f64_e64 s3, 0, v[170:171]
	s_delay_alu instid0(VALU_DEP_1) | instskip(NEXT) | instid1(SALU_CYCLE_1)
	s_or_b32 s3, vcc_lo, s3
	s_and_b32 exec_lo, exec_lo, s3
	s_cbranch_execz .LBB83_179
; %bb.174:
	v_cmp_gt_f64_e32 vcc_lo, 0, v[168:169]
	v_xor_b32_e32 v172, 0x80000000, v169
	v_xor_b32_e32 v174, 0x80000000, v171
	s_mov_b32 s3, exec_lo
                                        ; implicit-def: $vgpr176_vgpr177
	s_delay_alu instid0(VALU_DEP_2) | instskip(SKIP_4) | instid1(VALU_DEP_1)
	v_cndmask_b32_e32 v173, v169, v172, vcc_lo
	v_cndmask_b32_e32 v172, v168, v168, vcc_lo
	v_cmp_gt_f64_e32 vcc_lo, 0, v[170:171]
	v_cndmask_b32_e32 v175, v171, v174, vcc_lo
	v_cndmask_b32_e32 v174, v170, v170, vcc_lo
	v_cmpx_ngt_f64_e32 v[172:173], v[174:175]
	s_xor_b32 s3, exec_lo, s3
                                        ; implicit-def: $vgpr172_vgpr173_vgpr174_vgpr175
	s_cbranch_execz .LBB83_176
; %bb.175:
	v_div_scale_f64 v[172:173], null, v[170:171], v[170:171], v[168:169]
	v_div_scale_f64 v[178:179], vcc_lo, v[168:169], v[170:171], v[168:169]
	s_delay_alu instid0(VALU_DEP_2) | instskip(SKIP_2) | instid1(VALU_DEP_1)
	v_rcp_f64_e32 v[174:175], v[172:173]
	s_waitcnt_depctr 0xfff
	v_fma_f64 v[176:177], -v[172:173], v[174:175], 1.0
	v_fma_f64 v[174:175], v[174:175], v[176:177], v[174:175]
	s_delay_alu instid0(VALU_DEP_1) | instskip(NEXT) | instid1(VALU_DEP_1)
	v_fma_f64 v[176:177], -v[172:173], v[174:175], 1.0
	v_fma_f64 v[174:175], v[174:175], v[176:177], v[174:175]
	s_delay_alu instid0(VALU_DEP_1) | instskip(NEXT) | instid1(VALU_DEP_1)
	v_mul_f64 v[176:177], v[178:179], v[174:175]
	v_fma_f64 v[172:173], -v[172:173], v[176:177], v[178:179]
	s_delay_alu instid0(VALU_DEP_1) | instskip(NEXT) | instid1(VALU_DEP_1)
	v_div_fmas_f64 v[172:173], v[172:173], v[174:175], v[176:177]
	v_div_fixup_f64 v[172:173], v[172:173], v[170:171], v[168:169]
	s_delay_alu instid0(VALU_DEP_1) | instskip(NEXT) | instid1(VALU_DEP_1)
	v_fma_f64 v[168:169], v[168:169], v[172:173], v[170:171]
	v_div_scale_f64 v[170:171], null, v[168:169], v[168:169], 1.0
	s_delay_alu instid0(VALU_DEP_1) | instskip(SKIP_2) | instid1(VALU_DEP_1)
	v_rcp_f64_e32 v[174:175], v[170:171]
	s_waitcnt_depctr 0xfff
	v_fma_f64 v[176:177], -v[170:171], v[174:175], 1.0
	v_fma_f64 v[174:175], v[174:175], v[176:177], v[174:175]
	s_delay_alu instid0(VALU_DEP_1) | instskip(NEXT) | instid1(VALU_DEP_1)
	v_fma_f64 v[176:177], -v[170:171], v[174:175], 1.0
	v_fma_f64 v[174:175], v[174:175], v[176:177], v[174:175]
	v_div_scale_f64 v[176:177], vcc_lo, 1.0, v[168:169], 1.0
	s_delay_alu instid0(VALU_DEP_1) | instskip(NEXT) | instid1(VALU_DEP_1)
	v_mul_f64 v[178:179], v[176:177], v[174:175]
	v_fma_f64 v[170:171], -v[170:171], v[178:179], v[176:177]
	s_delay_alu instid0(VALU_DEP_1) | instskip(NEXT) | instid1(VALU_DEP_1)
	v_div_fmas_f64 v[170:171], v[170:171], v[174:175], v[178:179]
	v_div_fixup_f64 v[174:175], v[170:171], v[168:169], 1.0
                                        ; implicit-def: $vgpr168_vgpr169
	s_delay_alu instid0(VALU_DEP_1)
	v_mul_f64 v[176:177], v[172:173], v[174:175]
	v_xor_b32_e32 v175, 0x80000000, v175
.LBB83_176:
	s_and_not1_saveexec_b32 s3, s3
	s_cbranch_execz .LBB83_178
; %bb.177:
	v_div_scale_f64 v[172:173], null, v[168:169], v[168:169], v[170:171]
	v_div_scale_f64 v[178:179], vcc_lo, v[170:171], v[168:169], v[170:171]
	s_delay_alu instid0(VALU_DEP_2) | instskip(SKIP_2) | instid1(VALU_DEP_1)
	v_rcp_f64_e32 v[174:175], v[172:173]
	s_waitcnt_depctr 0xfff
	v_fma_f64 v[176:177], -v[172:173], v[174:175], 1.0
	v_fma_f64 v[174:175], v[174:175], v[176:177], v[174:175]
	s_delay_alu instid0(VALU_DEP_1) | instskip(NEXT) | instid1(VALU_DEP_1)
	v_fma_f64 v[176:177], -v[172:173], v[174:175], 1.0
	v_fma_f64 v[174:175], v[174:175], v[176:177], v[174:175]
	s_delay_alu instid0(VALU_DEP_1) | instskip(NEXT) | instid1(VALU_DEP_1)
	v_mul_f64 v[176:177], v[178:179], v[174:175]
	v_fma_f64 v[172:173], -v[172:173], v[176:177], v[178:179]
	s_delay_alu instid0(VALU_DEP_1) | instskip(NEXT) | instid1(VALU_DEP_1)
	v_div_fmas_f64 v[172:173], v[172:173], v[174:175], v[176:177]
	v_div_fixup_f64 v[172:173], v[172:173], v[168:169], v[170:171]
	s_delay_alu instid0(VALU_DEP_1) | instskip(NEXT) | instid1(VALU_DEP_1)
	v_fma_f64 v[168:169], v[170:171], v[172:173], v[168:169]
	v_div_scale_f64 v[170:171], null, v[168:169], v[168:169], 1.0
	s_delay_alu instid0(VALU_DEP_1) | instskip(SKIP_2) | instid1(VALU_DEP_1)
	v_rcp_f64_e32 v[174:175], v[170:171]
	s_waitcnt_depctr 0xfff
	v_fma_f64 v[176:177], -v[170:171], v[174:175], 1.0
	v_fma_f64 v[174:175], v[174:175], v[176:177], v[174:175]
	s_delay_alu instid0(VALU_DEP_1) | instskip(NEXT) | instid1(VALU_DEP_1)
	v_fma_f64 v[176:177], -v[170:171], v[174:175], 1.0
	v_fma_f64 v[174:175], v[174:175], v[176:177], v[174:175]
	v_div_scale_f64 v[176:177], vcc_lo, 1.0, v[168:169], 1.0
	s_delay_alu instid0(VALU_DEP_1) | instskip(NEXT) | instid1(VALU_DEP_1)
	v_mul_f64 v[178:179], v[176:177], v[174:175]
	v_fma_f64 v[170:171], -v[170:171], v[178:179], v[176:177]
	s_delay_alu instid0(VALU_DEP_1) | instskip(NEXT) | instid1(VALU_DEP_1)
	v_div_fmas_f64 v[170:171], v[170:171], v[174:175], v[178:179]
	v_div_fixup_f64 v[176:177], v[170:171], v[168:169], 1.0
	s_delay_alu instid0(VALU_DEP_1)
	v_mul_f64 v[174:175], v[172:173], -v[176:177]
.LBB83_178:
	s_or_b32 exec_lo, exec_lo, s3
	ds_store_2addr_b64 v251, v[176:177], v[174:175] offset1:1
.LBB83_179:
	s_or_b32 exec_lo, exec_lo, s4
	s_waitcnt lgkmcnt(0)
	s_barrier
	buffer_gl0_inv
	ds_load_2addr_b64 v[168:171], v251 offset1:1
	s_mov_b32 s3, exec_lo
	s_waitcnt lgkmcnt(0)
	scratch_store_b128 off, v[168:171], off offset:672 ; 16-byte Folded Spill
	v_cmpx_lt_u32_e32 19, v250
	s_cbranch_execz .LBB83_181
; %bb.180:
	scratch_load_b128 v[170:173], off, off offset:672 ; 16-byte Folded Reload
	s_waitcnt vmcnt(0)
	v_mul_f64 v[168:169], v[172:173], v[90:91]
	v_mul_f64 v[90:91], v[170:171], v[90:91]
	s_delay_alu instid0(VALU_DEP_2) | instskip(NEXT) | instid1(VALU_DEP_2)
	v_fma_f64 v[168:169], v[170:171], v[88:89], -v[168:169]
	v_fma_f64 v[90:91], v[172:173], v[88:89], v[90:91]
	ds_load_2addr_b64 v[170:173], v252 offset0:40 offset1:41
	s_waitcnt lgkmcnt(0)
	v_mul_f64 v[88:89], v[172:173], v[90:91]
	s_delay_alu instid0(VALU_DEP_1) | instskip(SKIP_1) | instid1(VALU_DEP_2)
	v_fma_f64 v[88:89], v[170:171], v[168:169], -v[88:89]
	v_mul_f64 v[170:171], v[170:171], v[90:91]
	v_add_f64 v[84:85], v[84:85], -v[88:89]
	s_delay_alu instid0(VALU_DEP_2) | instskip(NEXT) | instid1(VALU_DEP_1)
	v_fma_f64 v[170:171], v[172:173], v[168:169], v[170:171]
	v_add_f64 v[86:87], v[86:87], -v[170:171]
	ds_load_2addr_b64 v[170:173], v252 offset0:42 offset1:43
	s_waitcnt lgkmcnt(0)
	v_mul_f64 v[88:89], v[172:173], v[90:91]
	s_delay_alu instid0(VALU_DEP_1) | instskip(SKIP_1) | instid1(VALU_DEP_2)
	v_fma_f64 v[88:89], v[170:171], v[168:169], -v[88:89]
	v_mul_f64 v[170:171], v[170:171], v[90:91]
	v_add_f64 v[80:81], v[80:81], -v[88:89]
	s_delay_alu instid0(VALU_DEP_2) | instskip(NEXT) | instid1(VALU_DEP_1)
	v_fma_f64 v[170:171], v[172:173], v[168:169], v[170:171]
	v_add_f64 v[82:83], v[82:83], -v[170:171]
	;; [unrolled: 10-line block ×21, first 2 shown]
	ds_load_2addr_b64 v[170:173], v252 offset0:82 offset1:83
	s_waitcnt lgkmcnt(0)
	v_mul_f64 v[88:89], v[172:173], v[90:91]
	s_delay_alu instid0(VALU_DEP_1) | instskip(SKIP_1) | instid1(VALU_DEP_2)
	v_fma_f64 v[88:89], v[170:171], v[168:169], -v[88:89]
	v_mul_f64 v[170:171], v[170:171], v[90:91]
	v_add_f64 v[0:1], v[0:1], -v[88:89]
	s_delay_alu instid0(VALU_DEP_2) | instskip(SKIP_1) | instid1(VALU_DEP_2)
	v_fma_f64 v[170:171], v[172:173], v[168:169], v[170:171]
	v_dual_mov_b32 v88, v168 :: v_dual_mov_b32 v89, v169
	v_add_f64 v[2:3], v[2:3], -v[170:171]
.LBB83_181:
	s_or_b32 exec_lo, exec_lo, s3
	s_delay_alu instid0(SALU_CYCLE_1)
	s_mov_b32 s4, exec_lo
	s_waitcnt_vscnt null, 0x0
	s_barrier
	buffer_gl0_inv
	v_cmpx_eq_u32_e32 20, v250
	s_cbranch_execz .LBB83_188
; %bb.182:
	ds_store_2addr_b64 v251, v[84:85], v[86:87] offset1:1
	ds_store_2addr_b64 v252, v[80:81], v[82:83] offset0:42 offset1:43
	ds_store_2addr_b64 v252, v[76:77], v[78:79] offset0:44 offset1:45
	;; [unrolled: 1-line block ×21, first 2 shown]
	ds_load_2addr_b64 v[168:171], v251 offset1:1
	s_waitcnt lgkmcnt(0)
	v_cmp_neq_f64_e32 vcc_lo, 0, v[168:169]
	v_cmp_neq_f64_e64 s3, 0, v[170:171]
	s_delay_alu instid0(VALU_DEP_1) | instskip(NEXT) | instid1(SALU_CYCLE_1)
	s_or_b32 s3, vcc_lo, s3
	s_and_b32 exec_lo, exec_lo, s3
	s_cbranch_execz .LBB83_188
; %bb.183:
	v_cmp_gt_f64_e32 vcc_lo, 0, v[168:169]
	v_xor_b32_e32 v172, 0x80000000, v169
	v_xor_b32_e32 v174, 0x80000000, v171
	s_mov_b32 s3, exec_lo
                                        ; implicit-def: $vgpr176_vgpr177
	s_delay_alu instid0(VALU_DEP_2) | instskip(SKIP_4) | instid1(VALU_DEP_1)
	v_cndmask_b32_e32 v173, v169, v172, vcc_lo
	v_cndmask_b32_e32 v172, v168, v168, vcc_lo
	v_cmp_gt_f64_e32 vcc_lo, 0, v[170:171]
	v_cndmask_b32_e32 v175, v171, v174, vcc_lo
	v_cndmask_b32_e32 v174, v170, v170, vcc_lo
	v_cmpx_ngt_f64_e32 v[172:173], v[174:175]
	s_xor_b32 s3, exec_lo, s3
                                        ; implicit-def: $vgpr172_vgpr173_vgpr174_vgpr175
	s_cbranch_execz .LBB83_185
; %bb.184:
	v_div_scale_f64 v[172:173], null, v[170:171], v[170:171], v[168:169]
	v_div_scale_f64 v[178:179], vcc_lo, v[168:169], v[170:171], v[168:169]
	s_delay_alu instid0(VALU_DEP_2) | instskip(SKIP_2) | instid1(VALU_DEP_1)
	v_rcp_f64_e32 v[174:175], v[172:173]
	s_waitcnt_depctr 0xfff
	v_fma_f64 v[176:177], -v[172:173], v[174:175], 1.0
	v_fma_f64 v[174:175], v[174:175], v[176:177], v[174:175]
	s_delay_alu instid0(VALU_DEP_1) | instskip(NEXT) | instid1(VALU_DEP_1)
	v_fma_f64 v[176:177], -v[172:173], v[174:175], 1.0
	v_fma_f64 v[174:175], v[174:175], v[176:177], v[174:175]
	s_delay_alu instid0(VALU_DEP_1) | instskip(NEXT) | instid1(VALU_DEP_1)
	v_mul_f64 v[176:177], v[178:179], v[174:175]
	v_fma_f64 v[172:173], -v[172:173], v[176:177], v[178:179]
	s_delay_alu instid0(VALU_DEP_1) | instskip(NEXT) | instid1(VALU_DEP_1)
	v_div_fmas_f64 v[172:173], v[172:173], v[174:175], v[176:177]
	v_div_fixup_f64 v[172:173], v[172:173], v[170:171], v[168:169]
	s_delay_alu instid0(VALU_DEP_1) | instskip(NEXT) | instid1(VALU_DEP_1)
	v_fma_f64 v[168:169], v[168:169], v[172:173], v[170:171]
	v_div_scale_f64 v[170:171], null, v[168:169], v[168:169], 1.0
	s_delay_alu instid0(VALU_DEP_1) | instskip(SKIP_2) | instid1(VALU_DEP_1)
	v_rcp_f64_e32 v[174:175], v[170:171]
	s_waitcnt_depctr 0xfff
	v_fma_f64 v[176:177], -v[170:171], v[174:175], 1.0
	v_fma_f64 v[174:175], v[174:175], v[176:177], v[174:175]
	s_delay_alu instid0(VALU_DEP_1) | instskip(NEXT) | instid1(VALU_DEP_1)
	v_fma_f64 v[176:177], -v[170:171], v[174:175], 1.0
	v_fma_f64 v[174:175], v[174:175], v[176:177], v[174:175]
	v_div_scale_f64 v[176:177], vcc_lo, 1.0, v[168:169], 1.0
	s_delay_alu instid0(VALU_DEP_1) | instskip(NEXT) | instid1(VALU_DEP_1)
	v_mul_f64 v[178:179], v[176:177], v[174:175]
	v_fma_f64 v[170:171], -v[170:171], v[178:179], v[176:177]
	s_delay_alu instid0(VALU_DEP_1) | instskip(NEXT) | instid1(VALU_DEP_1)
	v_div_fmas_f64 v[170:171], v[170:171], v[174:175], v[178:179]
	v_div_fixup_f64 v[174:175], v[170:171], v[168:169], 1.0
                                        ; implicit-def: $vgpr168_vgpr169
	s_delay_alu instid0(VALU_DEP_1)
	v_mul_f64 v[176:177], v[172:173], v[174:175]
	v_xor_b32_e32 v175, 0x80000000, v175
.LBB83_185:
	s_and_not1_saveexec_b32 s3, s3
	s_cbranch_execz .LBB83_187
; %bb.186:
	v_div_scale_f64 v[172:173], null, v[168:169], v[168:169], v[170:171]
	v_div_scale_f64 v[178:179], vcc_lo, v[170:171], v[168:169], v[170:171]
	s_delay_alu instid0(VALU_DEP_2) | instskip(SKIP_2) | instid1(VALU_DEP_1)
	v_rcp_f64_e32 v[174:175], v[172:173]
	s_waitcnt_depctr 0xfff
	v_fma_f64 v[176:177], -v[172:173], v[174:175], 1.0
	v_fma_f64 v[174:175], v[174:175], v[176:177], v[174:175]
	s_delay_alu instid0(VALU_DEP_1) | instskip(NEXT) | instid1(VALU_DEP_1)
	v_fma_f64 v[176:177], -v[172:173], v[174:175], 1.0
	v_fma_f64 v[174:175], v[174:175], v[176:177], v[174:175]
	s_delay_alu instid0(VALU_DEP_1) | instskip(NEXT) | instid1(VALU_DEP_1)
	v_mul_f64 v[176:177], v[178:179], v[174:175]
	v_fma_f64 v[172:173], -v[172:173], v[176:177], v[178:179]
	s_delay_alu instid0(VALU_DEP_1) | instskip(NEXT) | instid1(VALU_DEP_1)
	v_div_fmas_f64 v[172:173], v[172:173], v[174:175], v[176:177]
	v_div_fixup_f64 v[172:173], v[172:173], v[168:169], v[170:171]
	s_delay_alu instid0(VALU_DEP_1) | instskip(NEXT) | instid1(VALU_DEP_1)
	v_fma_f64 v[168:169], v[170:171], v[172:173], v[168:169]
	v_div_scale_f64 v[170:171], null, v[168:169], v[168:169], 1.0
	s_delay_alu instid0(VALU_DEP_1) | instskip(SKIP_2) | instid1(VALU_DEP_1)
	v_rcp_f64_e32 v[174:175], v[170:171]
	s_waitcnt_depctr 0xfff
	v_fma_f64 v[176:177], -v[170:171], v[174:175], 1.0
	v_fma_f64 v[174:175], v[174:175], v[176:177], v[174:175]
	s_delay_alu instid0(VALU_DEP_1) | instskip(NEXT) | instid1(VALU_DEP_1)
	v_fma_f64 v[176:177], -v[170:171], v[174:175], 1.0
	v_fma_f64 v[174:175], v[174:175], v[176:177], v[174:175]
	v_div_scale_f64 v[176:177], vcc_lo, 1.0, v[168:169], 1.0
	s_delay_alu instid0(VALU_DEP_1) | instskip(NEXT) | instid1(VALU_DEP_1)
	v_mul_f64 v[178:179], v[176:177], v[174:175]
	v_fma_f64 v[170:171], -v[170:171], v[178:179], v[176:177]
	s_delay_alu instid0(VALU_DEP_1) | instskip(NEXT) | instid1(VALU_DEP_1)
	v_div_fmas_f64 v[170:171], v[170:171], v[174:175], v[178:179]
	v_div_fixup_f64 v[176:177], v[170:171], v[168:169], 1.0
	s_delay_alu instid0(VALU_DEP_1)
	v_mul_f64 v[174:175], v[172:173], -v[176:177]
.LBB83_187:
	s_or_b32 exec_lo, exec_lo, s3
	ds_store_2addr_b64 v251, v[176:177], v[174:175] offset1:1
.LBB83_188:
	s_or_b32 exec_lo, exec_lo, s4
	s_waitcnt lgkmcnt(0)
	s_barrier
	buffer_gl0_inv
	ds_load_2addr_b64 v[168:171], v251 offset1:1
	s_mov_b32 s3, exec_lo
	s_waitcnt lgkmcnt(0)
	scratch_store_b128 off, v[168:171], off offset:688 ; 16-byte Folded Spill
	v_cmpx_lt_u32_e32 20, v250
	s_cbranch_execz .LBB83_190
; %bb.189:
	scratch_load_b128 v[170:173], off, off offset:688 ; 16-byte Folded Reload
	s_waitcnt vmcnt(0)
	v_mul_f64 v[168:169], v[172:173], v[86:87]
	v_mul_f64 v[86:87], v[170:171], v[86:87]
	s_delay_alu instid0(VALU_DEP_2) | instskip(NEXT) | instid1(VALU_DEP_2)
	v_fma_f64 v[168:169], v[170:171], v[84:85], -v[168:169]
	v_fma_f64 v[86:87], v[172:173], v[84:85], v[86:87]
	ds_load_2addr_b64 v[170:173], v252 offset0:42 offset1:43
	s_waitcnt lgkmcnt(0)
	v_mul_f64 v[84:85], v[172:173], v[86:87]
	s_delay_alu instid0(VALU_DEP_1) | instskip(SKIP_1) | instid1(VALU_DEP_2)
	v_fma_f64 v[84:85], v[170:171], v[168:169], -v[84:85]
	v_mul_f64 v[170:171], v[170:171], v[86:87]
	v_add_f64 v[80:81], v[80:81], -v[84:85]
	s_delay_alu instid0(VALU_DEP_2) | instskip(NEXT) | instid1(VALU_DEP_1)
	v_fma_f64 v[170:171], v[172:173], v[168:169], v[170:171]
	v_add_f64 v[82:83], v[82:83], -v[170:171]
	ds_load_2addr_b64 v[170:173], v252 offset0:44 offset1:45
	s_waitcnt lgkmcnt(0)
	v_mul_f64 v[84:85], v[172:173], v[86:87]
	s_delay_alu instid0(VALU_DEP_1) | instskip(SKIP_1) | instid1(VALU_DEP_2)
	v_fma_f64 v[84:85], v[170:171], v[168:169], -v[84:85]
	v_mul_f64 v[170:171], v[170:171], v[86:87]
	v_add_f64 v[76:77], v[76:77], -v[84:85]
	s_delay_alu instid0(VALU_DEP_2) | instskip(NEXT) | instid1(VALU_DEP_1)
	v_fma_f64 v[170:171], v[172:173], v[168:169], v[170:171]
	v_add_f64 v[78:79], v[78:79], -v[170:171]
	;; [unrolled: 10-line block ×20, first 2 shown]
	ds_load_2addr_b64 v[170:173], v252 offset0:82 offset1:83
	s_waitcnt lgkmcnt(0)
	v_mul_f64 v[84:85], v[172:173], v[86:87]
	s_delay_alu instid0(VALU_DEP_1) | instskip(SKIP_1) | instid1(VALU_DEP_2)
	v_fma_f64 v[84:85], v[170:171], v[168:169], -v[84:85]
	v_mul_f64 v[170:171], v[170:171], v[86:87]
	v_add_f64 v[0:1], v[0:1], -v[84:85]
	s_delay_alu instid0(VALU_DEP_2) | instskip(SKIP_1) | instid1(VALU_DEP_2)
	v_fma_f64 v[170:171], v[172:173], v[168:169], v[170:171]
	v_dual_mov_b32 v84, v168 :: v_dual_mov_b32 v85, v169
	v_add_f64 v[2:3], v[2:3], -v[170:171]
.LBB83_190:
	s_or_b32 exec_lo, exec_lo, s3
	s_delay_alu instid0(SALU_CYCLE_1)
	s_mov_b32 s4, exec_lo
	s_waitcnt_vscnt null, 0x0
	s_barrier
	buffer_gl0_inv
	v_cmpx_eq_u32_e32 21, v250
	s_cbranch_execz .LBB83_197
; %bb.191:
	ds_store_2addr_b64 v251, v[80:81], v[82:83] offset1:1
	ds_store_2addr_b64 v252, v[76:77], v[78:79] offset0:44 offset1:45
	ds_store_2addr_b64 v252, v[72:73], v[74:75] offset0:46 offset1:47
	;; [unrolled: 1-line block ×20, first 2 shown]
	ds_load_2addr_b64 v[168:171], v251 offset1:1
	s_waitcnt lgkmcnt(0)
	v_cmp_neq_f64_e32 vcc_lo, 0, v[168:169]
	v_cmp_neq_f64_e64 s3, 0, v[170:171]
	s_delay_alu instid0(VALU_DEP_1) | instskip(NEXT) | instid1(SALU_CYCLE_1)
	s_or_b32 s3, vcc_lo, s3
	s_and_b32 exec_lo, exec_lo, s3
	s_cbranch_execz .LBB83_197
; %bb.192:
	v_cmp_gt_f64_e32 vcc_lo, 0, v[168:169]
	v_xor_b32_e32 v172, 0x80000000, v169
	v_xor_b32_e32 v174, 0x80000000, v171
	s_mov_b32 s3, exec_lo
                                        ; implicit-def: $vgpr176_vgpr177
	s_delay_alu instid0(VALU_DEP_2) | instskip(SKIP_4) | instid1(VALU_DEP_1)
	v_cndmask_b32_e32 v173, v169, v172, vcc_lo
	v_cndmask_b32_e32 v172, v168, v168, vcc_lo
	v_cmp_gt_f64_e32 vcc_lo, 0, v[170:171]
	v_cndmask_b32_e32 v175, v171, v174, vcc_lo
	v_cndmask_b32_e32 v174, v170, v170, vcc_lo
	v_cmpx_ngt_f64_e32 v[172:173], v[174:175]
	s_xor_b32 s3, exec_lo, s3
                                        ; implicit-def: $vgpr172_vgpr173_vgpr174_vgpr175
	s_cbranch_execz .LBB83_194
; %bb.193:
	v_div_scale_f64 v[172:173], null, v[170:171], v[170:171], v[168:169]
	v_div_scale_f64 v[178:179], vcc_lo, v[168:169], v[170:171], v[168:169]
	s_delay_alu instid0(VALU_DEP_2) | instskip(SKIP_2) | instid1(VALU_DEP_1)
	v_rcp_f64_e32 v[174:175], v[172:173]
	s_waitcnt_depctr 0xfff
	v_fma_f64 v[176:177], -v[172:173], v[174:175], 1.0
	v_fma_f64 v[174:175], v[174:175], v[176:177], v[174:175]
	s_delay_alu instid0(VALU_DEP_1) | instskip(NEXT) | instid1(VALU_DEP_1)
	v_fma_f64 v[176:177], -v[172:173], v[174:175], 1.0
	v_fma_f64 v[174:175], v[174:175], v[176:177], v[174:175]
	s_delay_alu instid0(VALU_DEP_1) | instskip(NEXT) | instid1(VALU_DEP_1)
	v_mul_f64 v[176:177], v[178:179], v[174:175]
	v_fma_f64 v[172:173], -v[172:173], v[176:177], v[178:179]
	s_delay_alu instid0(VALU_DEP_1) | instskip(NEXT) | instid1(VALU_DEP_1)
	v_div_fmas_f64 v[172:173], v[172:173], v[174:175], v[176:177]
	v_div_fixup_f64 v[172:173], v[172:173], v[170:171], v[168:169]
	s_delay_alu instid0(VALU_DEP_1) | instskip(NEXT) | instid1(VALU_DEP_1)
	v_fma_f64 v[168:169], v[168:169], v[172:173], v[170:171]
	v_div_scale_f64 v[170:171], null, v[168:169], v[168:169], 1.0
	s_delay_alu instid0(VALU_DEP_1) | instskip(SKIP_2) | instid1(VALU_DEP_1)
	v_rcp_f64_e32 v[174:175], v[170:171]
	s_waitcnt_depctr 0xfff
	v_fma_f64 v[176:177], -v[170:171], v[174:175], 1.0
	v_fma_f64 v[174:175], v[174:175], v[176:177], v[174:175]
	s_delay_alu instid0(VALU_DEP_1) | instskip(NEXT) | instid1(VALU_DEP_1)
	v_fma_f64 v[176:177], -v[170:171], v[174:175], 1.0
	v_fma_f64 v[174:175], v[174:175], v[176:177], v[174:175]
	v_div_scale_f64 v[176:177], vcc_lo, 1.0, v[168:169], 1.0
	s_delay_alu instid0(VALU_DEP_1) | instskip(NEXT) | instid1(VALU_DEP_1)
	v_mul_f64 v[178:179], v[176:177], v[174:175]
	v_fma_f64 v[170:171], -v[170:171], v[178:179], v[176:177]
	s_delay_alu instid0(VALU_DEP_1) | instskip(NEXT) | instid1(VALU_DEP_1)
	v_div_fmas_f64 v[170:171], v[170:171], v[174:175], v[178:179]
	v_div_fixup_f64 v[174:175], v[170:171], v[168:169], 1.0
                                        ; implicit-def: $vgpr168_vgpr169
	s_delay_alu instid0(VALU_DEP_1)
	v_mul_f64 v[176:177], v[172:173], v[174:175]
	v_xor_b32_e32 v175, 0x80000000, v175
.LBB83_194:
	s_and_not1_saveexec_b32 s3, s3
	s_cbranch_execz .LBB83_196
; %bb.195:
	v_div_scale_f64 v[172:173], null, v[168:169], v[168:169], v[170:171]
	v_div_scale_f64 v[178:179], vcc_lo, v[170:171], v[168:169], v[170:171]
	s_delay_alu instid0(VALU_DEP_2) | instskip(SKIP_2) | instid1(VALU_DEP_1)
	v_rcp_f64_e32 v[174:175], v[172:173]
	s_waitcnt_depctr 0xfff
	v_fma_f64 v[176:177], -v[172:173], v[174:175], 1.0
	v_fma_f64 v[174:175], v[174:175], v[176:177], v[174:175]
	s_delay_alu instid0(VALU_DEP_1) | instskip(NEXT) | instid1(VALU_DEP_1)
	v_fma_f64 v[176:177], -v[172:173], v[174:175], 1.0
	v_fma_f64 v[174:175], v[174:175], v[176:177], v[174:175]
	s_delay_alu instid0(VALU_DEP_1) | instskip(NEXT) | instid1(VALU_DEP_1)
	v_mul_f64 v[176:177], v[178:179], v[174:175]
	v_fma_f64 v[172:173], -v[172:173], v[176:177], v[178:179]
	s_delay_alu instid0(VALU_DEP_1) | instskip(NEXT) | instid1(VALU_DEP_1)
	v_div_fmas_f64 v[172:173], v[172:173], v[174:175], v[176:177]
	v_div_fixup_f64 v[172:173], v[172:173], v[168:169], v[170:171]
	s_delay_alu instid0(VALU_DEP_1) | instskip(NEXT) | instid1(VALU_DEP_1)
	v_fma_f64 v[168:169], v[170:171], v[172:173], v[168:169]
	v_div_scale_f64 v[170:171], null, v[168:169], v[168:169], 1.0
	s_delay_alu instid0(VALU_DEP_1) | instskip(SKIP_2) | instid1(VALU_DEP_1)
	v_rcp_f64_e32 v[174:175], v[170:171]
	s_waitcnt_depctr 0xfff
	v_fma_f64 v[176:177], -v[170:171], v[174:175], 1.0
	v_fma_f64 v[174:175], v[174:175], v[176:177], v[174:175]
	s_delay_alu instid0(VALU_DEP_1) | instskip(NEXT) | instid1(VALU_DEP_1)
	v_fma_f64 v[176:177], -v[170:171], v[174:175], 1.0
	v_fma_f64 v[174:175], v[174:175], v[176:177], v[174:175]
	v_div_scale_f64 v[176:177], vcc_lo, 1.0, v[168:169], 1.0
	s_delay_alu instid0(VALU_DEP_1) | instskip(NEXT) | instid1(VALU_DEP_1)
	v_mul_f64 v[178:179], v[176:177], v[174:175]
	v_fma_f64 v[170:171], -v[170:171], v[178:179], v[176:177]
	s_delay_alu instid0(VALU_DEP_1) | instskip(NEXT) | instid1(VALU_DEP_1)
	v_div_fmas_f64 v[170:171], v[170:171], v[174:175], v[178:179]
	v_div_fixup_f64 v[176:177], v[170:171], v[168:169], 1.0
	s_delay_alu instid0(VALU_DEP_1)
	v_mul_f64 v[174:175], v[172:173], -v[176:177]
.LBB83_196:
	s_or_b32 exec_lo, exec_lo, s3
	ds_store_2addr_b64 v251, v[176:177], v[174:175] offset1:1
.LBB83_197:
	s_or_b32 exec_lo, exec_lo, s4
	s_waitcnt lgkmcnt(0)
	s_barrier
	buffer_gl0_inv
	ds_load_2addr_b64 v[168:171], v251 offset1:1
	s_mov_b32 s3, exec_lo
	s_waitcnt lgkmcnt(0)
	scratch_store_b128 off, v[168:171], off offset:704 ; 16-byte Folded Spill
	v_cmpx_lt_u32_e32 21, v250
	s_cbranch_execz .LBB83_199
; %bb.198:
	scratch_load_b128 v[170:173], off, off offset:704 ; 16-byte Folded Reload
	s_waitcnt vmcnt(0)
	v_mul_f64 v[168:169], v[172:173], v[82:83]
	v_mul_f64 v[82:83], v[170:171], v[82:83]
	s_delay_alu instid0(VALU_DEP_2) | instskip(NEXT) | instid1(VALU_DEP_2)
	v_fma_f64 v[168:169], v[170:171], v[80:81], -v[168:169]
	v_fma_f64 v[82:83], v[172:173], v[80:81], v[82:83]
	ds_load_2addr_b64 v[170:173], v252 offset0:44 offset1:45
	s_waitcnt lgkmcnt(0)
	v_mul_f64 v[80:81], v[172:173], v[82:83]
	s_delay_alu instid0(VALU_DEP_1) | instskip(SKIP_1) | instid1(VALU_DEP_2)
	v_fma_f64 v[80:81], v[170:171], v[168:169], -v[80:81]
	v_mul_f64 v[170:171], v[170:171], v[82:83]
	v_add_f64 v[76:77], v[76:77], -v[80:81]
	s_delay_alu instid0(VALU_DEP_2) | instskip(NEXT) | instid1(VALU_DEP_1)
	v_fma_f64 v[170:171], v[172:173], v[168:169], v[170:171]
	v_add_f64 v[78:79], v[78:79], -v[170:171]
	ds_load_2addr_b64 v[170:173], v252 offset0:46 offset1:47
	s_waitcnt lgkmcnt(0)
	v_mul_f64 v[80:81], v[172:173], v[82:83]
	s_delay_alu instid0(VALU_DEP_1) | instskip(SKIP_1) | instid1(VALU_DEP_2)
	v_fma_f64 v[80:81], v[170:171], v[168:169], -v[80:81]
	v_mul_f64 v[170:171], v[170:171], v[82:83]
	v_add_f64 v[72:73], v[72:73], -v[80:81]
	s_delay_alu instid0(VALU_DEP_2) | instskip(NEXT) | instid1(VALU_DEP_1)
	v_fma_f64 v[170:171], v[172:173], v[168:169], v[170:171]
	v_add_f64 v[74:75], v[74:75], -v[170:171]
	;; [unrolled: 10-line block ×19, first 2 shown]
	ds_load_2addr_b64 v[170:173], v252 offset0:82 offset1:83
	s_waitcnt lgkmcnt(0)
	v_mul_f64 v[80:81], v[172:173], v[82:83]
	s_delay_alu instid0(VALU_DEP_1) | instskip(SKIP_1) | instid1(VALU_DEP_2)
	v_fma_f64 v[80:81], v[170:171], v[168:169], -v[80:81]
	v_mul_f64 v[170:171], v[170:171], v[82:83]
	v_add_f64 v[0:1], v[0:1], -v[80:81]
	s_delay_alu instid0(VALU_DEP_2) | instskip(SKIP_1) | instid1(VALU_DEP_2)
	v_fma_f64 v[170:171], v[172:173], v[168:169], v[170:171]
	v_dual_mov_b32 v80, v168 :: v_dual_mov_b32 v81, v169
	v_add_f64 v[2:3], v[2:3], -v[170:171]
.LBB83_199:
	s_or_b32 exec_lo, exec_lo, s3
	s_delay_alu instid0(SALU_CYCLE_1)
	s_mov_b32 s4, exec_lo
	s_waitcnt_vscnt null, 0x0
	s_barrier
	buffer_gl0_inv
	v_cmpx_eq_u32_e32 22, v250
	s_cbranch_execz .LBB83_206
; %bb.200:
	ds_store_2addr_b64 v251, v[76:77], v[78:79] offset1:1
	ds_store_2addr_b64 v252, v[72:73], v[74:75] offset0:46 offset1:47
	ds_store_2addr_b64 v252, v[68:69], v[70:71] offset0:48 offset1:49
	;; [unrolled: 1-line block ×19, first 2 shown]
	ds_load_2addr_b64 v[168:171], v251 offset1:1
	s_waitcnt lgkmcnt(0)
	v_cmp_neq_f64_e32 vcc_lo, 0, v[168:169]
	v_cmp_neq_f64_e64 s3, 0, v[170:171]
	s_delay_alu instid0(VALU_DEP_1) | instskip(NEXT) | instid1(SALU_CYCLE_1)
	s_or_b32 s3, vcc_lo, s3
	s_and_b32 exec_lo, exec_lo, s3
	s_cbranch_execz .LBB83_206
; %bb.201:
	v_cmp_gt_f64_e32 vcc_lo, 0, v[168:169]
	v_xor_b32_e32 v172, 0x80000000, v169
	v_xor_b32_e32 v174, 0x80000000, v171
	s_mov_b32 s3, exec_lo
                                        ; implicit-def: $vgpr176_vgpr177
	s_delay_alu instid0(VALU_DEP_2) | instskip(SKIP_4) | instid1(VALU_DEP_1)
	v_cndmask_b32_e32 v173, v169, v172, vcc_lo
	v_cndmask_b32_e32 v172, v168, v168, vcc_lo
	v_cmp_gt_f64_e32 vcc_lo, 0, v[170:171]
	v_cndmask_b32_e32 v175, v171, v174, vcc_lo
	v_cndmask_b32_e32 v174, v170, v170, vcc_lo
	v_cmpx_ngt_f64_e32 v[172:173], v[174:175]
	s_xor_b32 s3, exec_lo, s3
                                        ; implicit-def: $vgpr172_vgpr173_vgpr174_vgpr175
	s_cbranch_execz .LBB83_203
; %bb.202:
	v_div_scale_f64 v[172:173], null, v[170:171], v[170:171], v[168:169]
	v_div_scale_f64 v[178:179], vcc_lo, v[168:169], v[170:171], v[168:169]
	s_delay_alu instid0(VALU_DEP_2) | instskip(SKIP_2) | instid1(VALU_DEP_1)
	v_rcp_f64_e32 v[174:175], v[172:173]
	s_waitcnt_depctr 0xfff
	v_fma_f64 v[176:177], -v[172:173], v[174:175], 1.0
	v_fma_f64 v[174:175], v[174:175], v[176:177], v[174:175]
	s_delay_alu instid0(VALU_DEP_1) | instskip(NEXT) | instid1(VALU_DEP_1)
	v_fma_f64 v[176:177], -v[172:173], v[174:175], 1.0
	v_fma_f64 v[174:175], v[174:175], v[176:177], v[174:175]
	s_delay_alu instid0(VALU_DEP_1) | instskip(NEXT) | instid1(VALU_DEP_1)
	v_mul_f64 v[176:177], v[178:179], v[174:175]
	v_fma_f64 v[172:173], -v[172:173], v[176:177], v[178:179]
	s_delay_alu instid0(VALU_DEP_1) | instskip(NEXT) | instid1(VALU_DEP_1)
	v_div_fmas_f64 v[172:173], v[172:173], v[174:175], v[176:177]
	v_div_fixup_f64 v[172:173], v[172:173], v[170:171], v[168:169]
	s_delay_alu instid0(VALU_DEP_1) | instskip(NEXT) | instid1(VALU_DEP_1)
	v_fma_f64 v[168:169], v[168:169], v[172:173], v[170:171]
	v_div_scale_f64 v[170:171], null, v[168:169], v[168:169], 1.0
	s_delay_alu instid0(VALU_DEP_1) | instskip(SKIP_2) | instid1(VALU_DEP_1)
	v_rcp_f64_e32 v[174:175], v[170:171]
	s_waitcnt_depctr 0xfff
	v_fma_f64 v[176:177], -v[170:171], v[174:175], 1.0
	v_fma_f64 v[174:175], v[174:175], v[176:177], v[174:175]
	s_delay_alu instid0(VALU_DEP_1) | instskip(NEXT) | instid1(VALU_DEP_1)
	v_fma_f64 v[176:177], -v[170:171], v[174:175], 1.0
	v_fma_f64 v[174:175], v[174:175], v[176:177], v[174:175]
	v_div_scale_f64 v[176:177], vcc_lo, 1.0, v[168:169], 1.0
	s_delay_alu instid0(VALU_DEP_1) | instskip(NEXT) | instid1(VALU_DEP_1)
	v_mul_f64 v[178:179], v[176:177], v[174:175]
	v_fma_f64 v[170:171], -v[170:171], v[178:179], v[176:177]
	s_delay_alu instid0(VALU_DEP_1) | instskip(NEXT) | instid1(VALU_DEP_1)
	v_div_fmas_f64 v[170:171], v[170:171], v[174:175], v[178:179]
	v_div_fixup_f64 v[174:175], v[170:171], v[168:169], 1.0
                                        ; implicit-def: $vgpr168_vgpr169
	s_delay_alu instid0(VALU_DEP_1)
	v_mul_f64 v[176:177], v[172:173], v[174:175]
	v_xor_b32_e32 v175, 0x80000000, v175
.LBB83_203:
	s_and_not1_saveexec_b32 s3, s3
	s_cbranch_execz .LBB83_205
; %bb.204:
	v_div_scale_f64 v[172:173], null, v[168:169], v[168:169], v[170:171]
	v_div_scale_f64 v[178:179], vcc_lo, v[170:171], v[168:169], v[170:171]
	s_delay_alu instid0(VALU_DEP_2) | instskip(SKIP_2) | instid1(VALU_DEP_1)
	v_rcp_f64_e32 v[174:175], v[172:173]
	s_waitcnt_depctr 0xfff
	v_fma_f64 v[176:177], -v[172:173], v[174:175], 1.0
	v_fma_f64 v[174:175], v[174:175], v[176:177], v[174:175]
	s_delay_alu instid0(VALU_DEP_1) | instskip(NEXT) | instid1(VALU_DEP_1)
	v_fma_f64 v[176:177], -v[172:173], v[174:175], 1.0
	v_fma_f64 v[174:175], v[174:175], v[176:177], v[174:175]
	s_delay_alu instid0(VALU_DEP_1) | instskip(NEXT) | instid1(VALU_DEP_1)
	v_mul_f64 v[176:177], v[178:179], v[174:175]
	v_fma_f64 v[172:173], -v[172:173], v[176:177], v[178:179]
	s_delay_alu instid0(VALU_DEP_1) | instskip(NEXT) | instid1(VALU_DEP_1)
	v_div_fmas_f64 v[172:173], v[172:173], v[174:175], v[176:177]
	v_div_fixup_f64 v[172:173], v[172:173], v[168:169], v[170:171]
	s_delay_alu instid0(VALU_DEP_1) | instskip(NEXT) | instid1(VALU_DEP_1)
	v_fma_f64 v[168:169], v[170:171], v[172:173], v[168:169]
	v_div_scale_f64 v[170:171], null, v[168:169], v[168:169], 1.0
	s_delay_alu instid0(VALU_DEP_1) | instskip(SKIP_2) | instid1(VALU_DEP_1)
	v_rcp_f64_e32 v[174:175], v[170:171]
	s_waitcnt_depctr 0xfff
	v_fma_f64 v[176:177], -v[170:171], v[174:175], 1.0
	v_fma_f64 v[174:175], v[174:175], v[176:177], v[174:175]
	s_delay_alu instid0(VALU_DEP_1) | instskip(NEXT) | instid1(VALU_DEP_1)
	v_fma_f64 v[176:177], -v[170:171], v[174:175], 1.0
	v_fma_f64 v[174:175], v[174:175], v[176:177], v[174:175]
	v_div_scale_f64 v[176:177], vcc_lo, 1.0, v[168:169], 1.0
	s_delay_alu instid0(VALU_DEP_1) | instskip(NEXT) | instid1(VALU_DEP_1)
	v_mul_f64 v[178:179], v[176:177], v[174:175]
	v_fma_f64 v[170:171], -v[170:171], v[178:179], v[176:177]
	s_delay_alu instid0(VALU_DEP_1) | instskip(NEXT) | instid1(VALU_DEP_1)
	v_div_fmas_f64 v[170:171], v[170:171], v[174:175], v[178:179]
	v_div_fixup_f64 v[176:177], v[170:171], v[168:169], 1.0
	s_delay_alu instid0(VALU_DEP_1)
	v_mul_f64 v[174:175], v[172:173], -v[176:177]
.LBB83_205:
	s_or_b32 exec_lo, exec_lo, s3
	ds_store_2addr_b64 v251, v[176:177], v[174:175] offset1:1
.LBB83_206:
	s_or_b32 exec_lo, exec_lo, s4
	s_waitcnt lgkmcnt(0)
	s_barrier
	buffer_gl0_inv
	ds_load_2addr_b64 v[168:171], v251 offset1:1
	s_mov_b32 s3, exec_lo
	s_waitcnt lgkmcnt(0)
	scratch_store_b128 off, v[168:171], off offset:720 ; 16-byte Folded Spill
	v_cmpx_lt_u32_e32 22, v250
	s_cbranch_execz .LBB83_208
; %bb.207:
	scratch_load_b128 v[168:171], off, off offset:720 ; 16-byte Folded Reload
	ds_load_2addr_b64 v[174:177], v252 offset0:46 offset1:47
	s_waitcnt vmcnt(0)
	v_mul_f64 v[172:173], v[170:171], v[78:79]
	v_mul_f64 v[78:79], v[168:169], v[78:79]
	s_delay_alu instid0(VALU_DEP_2) | instskip(NEXT) | instid1(VALU_DEP_2)
	v_fma_f64 v[172:173], v[168:169], v[76:77], -v[172:173]
	v_fma_f64 v[78:79], v[170:171], v[76:77], v[78:79]
	s_waitcnt lgkmcnt(0)
	s_delay_alu instid0(VALU_DEP_1) | instskip(NEXT) | instid1(VALU_DEP_1)
	v_mul_f64 v[76:77], v[176:177], v[78:79]
	v_fma_f64 v[76:77], v[174:175], v[172:173], -v[76:77]
	v_mul_f64 v[174:175], v[174:175], v[78:79]
	s_delay_alu instid0(VALU_DEP_2) | instskip(NEXT) | instid1(VALU_DEP_2)
	v_add_f64 v[72:73], v[72:73], -v[76:77]
	v_fma_f64 v[174:175], v[176:177], v[172:173], v[174:175]
	s_delay_alu instid0(VALU_DEP_1) | instskip(SKIP_3) | instid1(VALU_DEP_1)
	v_add_f64 v[74:75], v[74:75], -v[174:175]
	ds_load_2addr_b64 v[174:177], v252 offset0:48 offset1:49
	s_waitcnt lgkmcnt(0)
	v_mul_f64 v[76:77], v[176:177], v[78:79]
	v_fma_f64 v[76:77], v[174:175], v[172:173], -v[76:77]
	v_mul_f64 v[174:175], v[174:175], v[78:79]
	s_delay_alu instid0(VALU_DEP_2) | instskip(NEXT) | instid1(VALU_DEP_2)
	v_add_f64 v[68:69], v[68:69], -v[76:77]
	v_fma_f64 v[174:175], v[176:177], v[172:173], v[174:175]
	s_delay_alu instid0(VALU_DEP_1) | instskip(SKIP_3) | instid1(VALU_DEP_1)
	v_add_f64 v[70:71], v[70:71], -v[174:175]
	ds_load_2addr_b64 v[174:177], v252 offset0:50 offset1:51
	s_waitcnt lgkmcnt(0)
	;; [unrolled: 10-line block ×18, first 2 shown]
	v_mul_f64 v[76:77], v[176:177], v[78:79]
	v_fma_f64 v[76:77], v[174:175], v[172:173], -v[76:77]
	v_mul_f64 v[174:175], v[174:175], v[78:79]
	s_delay_alu instid0(VALU_DEP_2) | instskip(NEXT) | instid1(VALU_DEP_2)
	v_add_f64 v[0:1], v[0:1], -v[76:77]
	v_fma_f64 v[174:175], v[176:177], v[172:173], v[174:175]
	v_dual_mov_b32 v76, v172 :: v_dual_mov_b32 v77, v173
	s_delay_alu instid0(VALU_DEP_2)
	v_add_f64 v[2:3], v[2:3], -v[174:175]
.LBB83_208:
	s_or_b32 exec_lo, exec_lo, s3
	s_delay_alu instid0(SALU_CYCLE_1)
	s_mov_b32 s4, exec_lo
	s_waitcnt_vscnt null, 0x0
	s_barrier
	buffer_gl0_inv
	v_cmpx_eq_u32_e32 23, v250
	s_cbranch_execz .LBB83_215
; %bb.209:
	ds_store_2addr_b64 v251, v[72:73], v[74:75] offset1:1
	ds_store_2addr_b64 v252, v[68:69], v[70:71] offset0:48 offset1:49
	ds_store_2addr_b64 v252, v[64:65], v[66:67] offset0:50 offset1:51
	;; [unrolled: 1-line block ×18, first 2 shown]
	ds_load_2addr_b64 v[172:175], v251 offset1:1
	s_waitcnt lgkmcnt(0)
	v_cmp_neq_f64_e32 vcc_lo, 0, v[172:173]
	v_cmp_neq_f64_e64 s3, 0, v[174:175]
	s_delay_alu instid0(VALU_DEP_1) | instskip(NEXT) | instid1(SALU_CYCLE_1)
	s_or_b32 s3, vcc_lo, s3
	s_and_b32 exec_lo, exec_lo, s3
	s_cbranch_execz .LBB83_215
; %bb.210:
	v_cmp_gt_f64_e32 vcc_lo, 0, v[172:173]
	v_xor_b32_e32 v168, 0x80000000, v173
	s_mov_b32 s3, exec_lo
                                        ; implicit-def: $vgpr180_vgpr181
	s_delay_alu instid0(VALU_DEP_1) | instskip(SKIP_3) | instid1(VALU_DEP_1)
	v_cndmask_b32_e32 v177, v173, v168, vcc_lo
	v_cndmask_b32_e32 v176, v172, v172, vcc_lo
	v_cmp_gt_f64_e32 vcc_lo, 0, v[174:175]
	v_xor_b32_e32 v168, 0x80000000, v175
	v_dual_cndmask_b32 v178, v174, v174 :: v_dual_cndmask_b32 v179, v175, v168
	s_delay_alu instid0(VALU_DEP_1)
	v_cmpx_ngt_f64_e32 v[176:177], v[178:179]
	s_xor_b32 s3, exec_lo, s3
                                        ; implicit-def: $vgpr176_vgpr177_vgpr178_vgpr179
	s_cbranch_execz .LBB83_212
; %bb.211:
	v_div_scale_f64 v[176:177], null, v[174:175], v[174:175], v[172:173]
	v_div_scale_f64 v[182:183], vcc_lo, v[172:173], v[174:175], v[172:173]
	s_delay_alu instid0(VALU_DEP_2) | instskip(SKIP_2) | instid1(VALU_DEP_1)
	v_rcp_f64_e32 v[178:179], v[176:177]
	s_waitcnt_depctr 0xfff
	v_fma_f64 v[180:181], -v[176:177], v[178:179], 1.0
	v_fma_f64 v[178:179], v[178:179], v[180:181], v[178:179]
	s_delay_alu instid0(VALU_DEP_1) | instskip(NEXT) | instid1(VALU_DEP_1)
	v_fma_f64 v[180:181], -v[176:177], v[178:179], 1.0
	v_fma_f64 v[178:179], v[178:179], v[180:181], v[178:179]
	s_delay_alu instid0(VALU_DEP_1) | instskip(NEXT) | instid1(VALU_DEP_1)
	v_mul_f64 v[180:181], v[182:183], v[178:179]
	v_fma_f64 v[176:177], -v[176:177], v[180:181], v[182:183]
	s_delay_alu instid0(VALU_DEP_1) | instskip(NEXT) | instid1(VALU_DEP_1)
	v_div_fmas_f64 v[176:177], v[176:177], v[178:179], v[180:181]
	v_div_fixup_f64 v[176:177], v[176:177], v[174:175], v[172:173]
	s_delay_alu instid0(VALU_DEP_1) | instskip(NEXT) | instid1(VALU_DEP_1)
	v_fma_f64 v[172:173], v[172:173], v[176:177], v[174:175]
	v_div_scale_f64 v[174:175], null, v[172:173], v[172:173], 1.0
	s_delay_alu instid0(VALU_DEP_1) | instskip(SKIP_2) | instid1(VALU_DEP_1)
	v_rcp_f64_e32 v[178:179], v[174:175]
	s_waitcnt_depctr 0xfff
	v_fma_f64 v[180:181], -v[174:175], v[178:179], 1.0
	v_fma_f64 v[178:179], v[178:179], v[180:181], v[178:179]
	s_delay_alu instid0(VALU_DEP_1) | instskip(NEXT) | instid1(VALU_DEP_1)
	v_fma_f64 v[180:181], -v[174:175], v[178:179], 1.0
	v_fma_f64 v[178:179], v[178:179], v[180:181], v[178:179]
	v_div_scale_f64 v[180:181], vcc_lo, 1.0, v[172:173], 1.0
	s_delay_alu instid0(VALU_DEP_1) | instskip(NEXT) | instid1(VALU_DEP_1)
	v_mul_f64 v[182:183], v[180:181], v[178:179]
	v_fma_f64 v[174:175], -v[174:175], v[182:183], v[180:181]
	s_delay_alu instid0(VALU_DEP_1) | instskip(NEXT) | instid1(VALU_DEP_1)
	v_div_fmas_f64 v[174:175], v[174:175], v[178:179], v[182:183]
	v_div_fixup_f64 v[178:179], v[174:175], v[172:173], 1.0
                                        ; implicit-def: $vgpr172_vgpr173
	s_delay_alu instid0(VALU_DEP_1)
	v_mul_f64 v[180:181], v[176:177], v[178:179]
	v_xor_b32_e32 v179, 0x80000000, v179
.LBB83_212:
	s_and_not1_saveexec_b32 s3, s3
	s_cbranch_execz .LBB83_214
; %bb.213:
	v_div_scale_f64 v[176:177], null, v[172:173], v[172:173], v[174:175]
	v_div_scale_f64 v[182:183], vcc_lo, v[174:175], v[172:173], v[174:175]
	s_delay_alu instid0(VALU_DEP_2) | instskip(SKIP_2) | instid1(VALU_DEP_1)
	v_rcp_f64_e32 v[178:179], v[176:177]
	s_waitcnt_depctr 0xfff
	v_fma_f64 v[180:181], -v[176:177], v[178:179], 1.0
	v_fma_f64 v[178:179], v[178:179], v[180:181], v[178:179]
	s_delay_alu instid0(VALU_DEP_1) | instskip(NEXT) | instid1(VALU_DEP_1)
	v_fma_f64 v[180:181], -v[176:177], v[178:179], 1.0
	v_fma_f64 v[178:179], v[178:179], v[180:181], v[178:179]
	s_delay_alu instid0(VALU_DEP_1) | instskip(NEXT) | instid1(VALU_DEP_1)
	v_mul_f64 v[180:181], v[182:183], v[178:179]
	v_fma_f64 v[176:177], -v[176:177], v[180:181], v[182:183]
	s_delay_alu instid0(VALU_DEP_1) | instskip(NEXT) | instid1(VALU_DEP_1)
	v_div_fmas_f64 v[176:177], v[176:177], v[178:179], v[180:181]
	v_div_fixup_f64 v[176:177], v[176:177], v[172:173], v[174:175]
	s_delay_alu instid0(VALU_DEP_1) | instskip(NEXT) | instid1(VALU_DEP_1)
	v_fma_f64 v[172:173], v[174:175], v[176:177], v[172:173]
	v_div_scale_f64 v[174:175], null, v[172:173], v[172:173], 1.0
	s_delay_alu instid0(VALU_DEP_1) | instskip(SKIP_2) | instid1(VALU_DEP_1)
	v_rcp_f64_e32 v[178:179], v[174:175]
	s_waitcnt_depctr 0xfff
	v_fma_f64 v[180:181], -v[174:175], v[178:179], 1.0
	v_fma_f64 v[178:179], v[178:179], v[180:181], v[178:179]
	s_delay_alu instid0(VALU_DEP_1) | instskip(NEXT) | instid1(VALU_DEP_1)
	v_fma_f64 v[180:181], -v[174:175], v[178:179], 1.0
	v_fma_f64 v[178:179], v[178:179], v[180:181], v[178:179]
	v_div_scale_f64 v[180:181], vcc_lo, 1.0, v[172:173], 1.0
	s_delay_alu instid0(VALU_DEP_1) | instskip(NEXT) | instid1(VALU_DEP_1)
	v_mul_f64 v[182:183], v[180:181], v[178:179]
	v_fma_f64 v[174:175], -v[174:175], v[182:183], v[180:181]
	s_delay_alu instid0(VALU_DEP_1) | instskip(NEXT) | instid1(VALU_DEP_1)
	v_div_fmas_f64 v[174:175], v[174:175], v[178:179], v[182:183]
	v_div_fixup_f64 v[180:181], v[174:175], v[172:173], 1.0
	s_delay_alu instid0(VALU_DEP_1)
	v_mul_f64 v[178:179], v[176:177], -v[180:181]
.LBB83_214:
	s_or_b32 exec_lo, exec_lo, s3
	ds_store_2addr_b64 v251, v[180:181], v[178:179] offset1:1
.LBB83_215:
	s_or_b32 exec_lo, exec_lo, s4
	s_waitcnt lgkmcnt(0)
	s_barrier
	buffer_gl0_inv
	ds_load_2addr_b64 v[172:175], v251 offset1:1
	s_mov_b32 s3, exec_lo
	v_cmpx_lt_u32_e32 23, v250
	s_cbranch_execz .LBB83_217
; %bb.216:
	s_waitcnt lgkmcnt(0)
	v_mul_f64 v[176:177], v[174:175], v[74:75]
	v_mul_f64 v[74:75], v[172:173], v[74:75]
	ds_load_2addr_b64 v[178:181], v252 offset0:48 offset1:49
	v_fma_f64 v[176:177], v[172:173], v[72:73], -v[176:177]
	v_fma_f64 v[74:75], v[174:175], v[72:73], v[74:75]
	s_waitcnt lgkmcnt(0)
	s_delay_alu instid0(VALU_DEP_1) | instskip(NEXT) | instid1(VALU_DEP_1)
	v_mul_f64 v[72:73], v[180:181], v[74:75]
	v_fma_f64 v[72:73], v[178:179], v[176:177], -v[72:73]
	v_mul_f64 v[178:179], v[178:179], v[74:75]
	s_delay_alu instid0(VALU_DEP_2) | instskip(NEXT) | instid1(VALU_DEP_2)
	v_add_f64 v[68:69], v[68:69], -v[72:73]
	v_fma_f64 v[178:179], v[180:181], v[176:177], v[178:179]
	s_delay_alu instid0(VALU_DEP_1) | instskip(SKIP_3) | instid1(VALU_DEP_1)
	v_add_f64 v[70:71], v[70:71], -v[178:179]
	ds_load_2addr_b64 v[178:181], v252 offset0:50 offset1:51
	s_waitcnt lgkmcnt(0)
	v_mul_f64 v[72:73], v[180:181], v[74:75]
	v_fma_f64 v[72:73], v[178:179], v[176:177], -v[72:73]
	v_mul_f64 v[178:179], v[178:179], v[74:75]
	s_delay_alu instid0(VALU_DEP_2) | instskip(NEXT) | instid1(VALU_DEP_2)
	v_add_f64 v[64:65], v[64:65], -v[72:73]
	v_fma_f64 v[178:179], v[180:181], v[176:177], v[178:179]
	s_delay_alu instid0(VALU_DEP_1) | instskip(SKIP_3) | instid1(VALU_DEP_1)
	v_add_f64 v[66:67], v[66:67], -v[178:179]
	ds_load_2addr_b64 v[178:181], v252 offset0:52 offset1:53
	s_waitcnt lgkmcnt(0)
	v_mul_f64 v[72:73], v[180:181], v[74:75]
	v_fma_f64 v[72:73], v[178:179], v[176:177], -v[72:73]
	v_mul_f64 v[178:179], v[178:179], v[74:75]
	s_delay_alu instid0(VALU_DEP_2) | instskip(NEXT) | instid1(VALU_DEP_2)
	v_add_f64 v[60:61], v[60:61], -v[72:73]
	v_fma_f64 v[178:179], v[180:181], v[176:177], v[178:179]
	s_delay_alu instid0(VALU_DEP_1) | instskip(SKIP_3) | instid1(VALU_DEP_1)
	v_add_f64 v[62:63], v[62:63], -v[178:179]
	ds_load_2addr_b64 v[178:181], v252 offset0:54 offset1:55
	s_waitcnt lgkmcnt(0)
	v_mul_f64 v[72:73], v[180:181], v[74:75]
	v_fma_f64 v[72:73], v[178:179], v[176:177], -v[72:73]
	v_mul_f64 v[178:179], v[178:179], v[74:75]
	s_delay_alu instid0(VALU_DEP_2) | instskip(NEXT) | instid1(VALU_DEP_2)
	v_add_f64 v[56:57], v[56:57], -v[72:73]
	v_fma_f64 v[178:179], v[180:181], v[176:177], v[178:179]
	s_delay_alu instid0(VALU_DEP_1) | instskip(SKIP_3) | instid1(VALU_DEP_1)
	v_add_f64 v[58:59], v[58:59], -v[178:179]
	ds_load_2addr_b64 v[178:181], v252 offset0:56 offset1:57
	s_waitcnt lgkmcnt(0)
	v_mul_f64 v[72:73], v[180:181], v[74:75]
	v_fma_f64 v[72:73], v[178:179], v[176:177], -v[72:73]
	v_mul_f64 v[178:179], v[178:179], v[74:75]
	s_delay_alu instid0(VALU_DEP_2) | instskip(NEXT) | instid1(VALU_DEP_2)
	v_add_f64 v[52:53], v[52:53], -v[72:73]
	v_fma_f64 v[178:179], v[180:181], v[176:177], v[178:179]
	s_delay_alu instid0(VALU_DEP_1) | instskip(SKIP_3) | instid1(VALU_DEP_1)
	v_add_f64 v[54:55], v[54:55], -v[178:179]
	ds_load_2addr_b64 v[178:181], v252 offset0:58 offset1:59
	s_waitcnt lgkmcnt(0)
	v_mul_f64 v[72:73], v[180:181], v[74:75]
	v_fma_f64 v[72:73], v[178:179], v[176:177], -v[72:73]
	v_mul_f64 v[178:179], v[178:179], v[74:75]
	s_delay_alu instid0(VALU_DEP_2) | instskip(NEXT) | instid1(VALU_DEP_2)
	v_add_f64 v[48:49], v[48:49], -v[72:73]
	v_fma_f64 v[178:179], v[180:181], v[176:177], v[178:179]
	s_delay_alu instid0(VALU_DEP_1) | instskip(SKIP_3) | instid1(VALU_DEP_1)
	v_add_f64 v[50:51], v[50:51], -v[178:179]
	ds_load_2addr_b64 v[178:181], v252 offset0:60 offset1:61
	s_waitcnt lgkmcnt(0)
	v_mul_f64 v[72:73], v[180:181], v[74:75]
	v_fma_f64 v[72:73], v[178:179], v[176:177], -v[72:73]
	v_mul_f64 v[178:179], v[178:179], v[74:75]
	s_delay_alu instid0(VALU_DEP_2) | instskip(NEXT) | instid1(VALU_DEP_2)
	v_add_f64 v[44:45], v[44:45], -v[72:73]
	v_fma_f64 v[178:179], v[180:181], v[176:177], v[178:179]
	s_delay_alu instid0(VALU_DEP_1) | instskip(SKIP_3) | instid1(VALU_DEP_1)
	v_add_f64 v[46:47], v[46:47], -v[178:179]
	ds_load_2addr_b64 v[178:181], v252 offset0:62 offset1:63
	s_waitcnt lgkmcnt(0)
	v_mul_f64 v[72:73], v[180:181], v[74:75]
	v_fma_f64 v[72:73], v[178:179], v[176:177], -v[72:73]
	v_mul_f64 v[178:179], v[178:179], v[74:75]
	s_delay_alu instid0(VALU_DEP_2) | instskip(NEXT) | instid1(VALU_DEP_2)
	v_add_f64 v[40:41], v[40:41], -v[72:73]
	v_fma_f64 v[178:179], v[180:181], v[176:177], v[178:179]
	s_delay_alu instid0(VALU_DEP_1) | instskip(SKIP_3) | instid1(VALU_DEP_1)
	v_add_f64 v[42:43], v[42:43], -v[178:179]
	ds_load_2addr_b64 v[178:181], v252 offset0:64 offset1:65
	s_waitcnt lgkmcnt(0)
	v_mul_f64 v[72:73], v[180:181], v[74:75]
	v_fma_f64 v[72:73], v[178:179], v[176:177], -v[72:73]
	v_mul_f64 v[178:179], v[178:179], v[74:75]
	s_delay_alu instid0(VALU_DEP_2) | instskip(NEXT) | instid1(VALU_DEP_2)
	v_add_f64 v[36:37], v[36:37], -v[72:73]
	v_fma_f64 v[178:179], v[180:181], v[176:177], v[178:179]
	s_delay_alu instid0(VALU_DEP_1) | instskip(SKIP_3) | instid1(VALU_DEP_1)
	v_add_f64 v[38:39], v[38:39], -v[178:179]
	ds_load_2addr_b64 v[178:181], v252 offset0:66 offset1:67
	s_waitcnt lgkmcnt(0)
	v_mul_f64 v[72:73], v[180:181], v[74:75]
	v_fma_f64 v[72:73], v[178:179], v[176:177], -v[72:73]
	v_mul_f64 v[178:179], v[178:179], v[74:75]
	s_delay_alu instid0(VALU_DEP_2) | instskip(NEXT) | instid1(VALU_DEP_2)
	v_add_f64 v[32:33], v[32:33], -v[72:73]
	v_fma_f64 v[178:179], v[180:181], v[176:177], v[178:179]
	s_delay_alu instid0(VALU_DEP_1) | instskip(SKIP_3) | instid1(VALU_DEP_1)
	v_add_f64 v[34:35], v[34:35], -v[178:179]
	ds_load_2addr_b64 v[178:181], v252 offset0:68 offset1:69
	s_waitcnt lgkmcnt(0)
	v_mul_f64 v[72:73], v[180:181], v[74:75]
	v_fma_f64 v[72:73], v[178:179], v[176:177], -v[72:73]
	v_mul_f64 v[178:179], v[178:179], v[74:75]
	s_delay_alu instid0(VALU_DEP_2) | instskip(NEXT) | instid1(VALU_DEP_2)
	v_add_f64 v[28:29], v[28:29], -v[72:73]
	v_fma_f64 v[178:179], v[180:181], v[176:177], v[178:179]
	s_delay_alu instid0(VALU_DEP_1) | instskip(SKIP_3) | instid1(VALU_DEP_1)
	v_add_f64 v[30:31], v[30:31], -v[178:179]
	ds_load_2addr_b64 v[178:181], v252 offset0:70 offset1:71
	s_waitcnt lgkmcnt(0)
	v_mul_f64 v[72:73], v[180:181], v[74:75]
	v_fma_f64 v[72:73], v[178:179], v[176:177], -v[72:73]
	v_mul_f64 v[178:179], v[178:179], v[74:75]
	s_delay_alu instid0(VALU_DEP_2) | instskip(NEXT) | instid1(VALU_DEP_2)
	v_add_f64 v[24:25], v[24:25], -v[72:73]
	v_fma_f64 v[178:179], v[180:181], v[176:177], v[178:179]
	s_delay_alu instid0(VALU_DEP_1) | instskip(SKIP_3) | instid1(VALU_DEP_1)
	v_add_f64 v[26:27], v[26:27], -v[178:179]
	ds_load_2addr_b64 v[178:181], v252 offset0:72 offset1:73
	s_waitcnt lgkmcnt(0)
	v_mul_f64 v[72:73], v[180:181], v[74:75]
	v_fma_f64 v[72:73], v[178:179], v[176:177], -v[72:73]
	v_mul_f64 v[178:179], v[178:179], v[74:75]
	s_delay_alu instid0(VALU_DEP_2) | instskip(NEXT) | instid1(VALU_DEP_2)
	v_add_f64 v[20:21], v[20:21], -v[72:73]
	v_fma_f64 v[178:179], v[180:181], v[176:177], v[178:179]
	s_delay_alu instid0(VALU_DEP_1) | instskip(SKIP_3) | instid1(VALU_DEP_1)
	v_add_f64 v[22:23], v[22:23], -v[178:179]
	ds_load_2addr_b64 v[178:181], v252 offset0:74 offset1:75
	s_waitcnt lgkmcnt(0)
	v_mul_f64 v[72:73], v[180:181], v[74:75]
	v_fma_f64 v[72:73], v[178:179], v[176:177], -v[72:73]
	v_mul_f64 v[178:179], v[178:179], v[74:75]
	s_delay_alu instid0(VALU_DEP_2) | instskip(NEXT) | instid1(VALU_DEP_2)
	v_add_f64 v[16:17], v[16:17], -v[72:73]
	v_fma_f64 v[178:179], v[180:181], v[176:177], v[178:179]
	s_delay_alu instid0(VALU_DEP_1) | instskip(SKIP_3) | instid1(VALU_DEP_1)
	v_add_f64 v[18:19], v[18:19], -v[178:179]
	ds_load_2addr_b64 v[178:181], v252 offset0:76 offset1:77
	s_waitcnt lgkmcnt(0)
	v_mul_f64 v[72:73], v[180:181], v[74:75]
	v_fma_f64 v[72:73], v[178:179], v[176:177], -v[72:73]
	v_mul_f64 v[178:179], v[178:179], v[74:75]
	s_delay_alu instid0(VALU_DEP_2) | instskip(NEXT) | instid1(VALU_DEP_2)
	v_add_f64 v[12:13], v[12:13], -v[72:73]
	v_fma_f64 v[178:179], v[180:181], v[176:177], v[178:179]
	s_delay_alu instid0(VALU_DEP_1) | instskip(SKIP_3) | instid1(VALU_DEP_1)
	v_add_f64 v[14:15], v[14:15], -v[178:179]
	ds_load_2addr_b64 v[178:181], v252 offset0:78 offset1:79
	s_waitcnt lgkmcnt(0)
	v_mul_f64 v[72:73], v[180:181], v[74:75]
	v_fma_f64 v[72:73], v[178:179], v[176:177], -v[72:73]
	v_mul_f64 v[178:179], v[178:179], v[74:75]
	s_delay_alu instid0(VALU_DEP_2) | instskip(NEXT) | instid1(VALU_DEP_2)
	v_add_f64 v[8:9], v[8:9], -v[72:73]
	v_fma_f64 v[178:179], v[180:181], v[176:177], v[178:179]
	s_delay_alu instid0(VALU_DEP_1) | instskip(SKIP_3) | instid1(VALU_DEP_1)
	v_add_f64 v[10:11], v[10:11], -v[178:179]
	ds_load_2addr_b64 v[178:181], v252 offset0:80 offset1:81
	s_waitcnt lgkmcnt(0)
	v_mul_f64 v[72:73], v[180:181], v[74:75]
	v_fma_f64 v[72:73], v[178:179], v[176:177], -v[72:73]
	v_mul_f64 v[178:179], v[178:179], v[74:75]
	s_delay_alu instid0(VALU_DEP_2) | instskip(NEXT) | instid1(VALU_DEP_2)
	v_add_f64 v[4:5], v[4:5], -v[72:73]
	v_fma_f64 v[178:179], v[180:181], v[176:177], v[178:179]
	s_delay_alu instid0(VALU_DEP_1) | instskip(SKIP_3) | instid1(VALU_DEP_1)
	v_add_f64 v[6:7], v[6:7], -v[178:179]
	ds_load_2addr_b64 v[178:181], v252 offset0:82 offset1:83
	s_waitcnt lgkmcnt(0)
	v_mul_f64 v[72:73], v[180:181], v[74:75]
	v_fma_f64 v[72:73], v[178:179], v[176:177], -v[72:73]
	v_mul_f64 v[178:179], v[178:179], v[74:75]
	s_delay_alu instid0(VALU_DEP_2) | instskip(NEXT) | instid1(VALU_DEP_2)
	v_add_f64 v[0:1], v[0:1], -v[72:73]
	v_fma_f64 v[178:179], v[180:181], v[176:177], v[178:179]
	v_dual_mov_b32 v72, v176 :: v_dual_mov_b32 v73, v177
	s_delay_alu instid0(VALU_DEP_2)
	v_add_f64 v[2:3], v[2:3], -v[178:179]
.LBB83_217:
	s_or_b32 exec_lo, exec_lo, s3
	s_delay_alu instid0(SALU_CYCLE_1)
	s_mov_b32 s4, exec_lo
	s_waitcnt lgkmcnt(0)
	s_barrier
	buffer_gl0_inv
	v_cmpx_eq_u32_e32 24, v250
	s_cbranch_execz .LBB83_224
; %bb.218:
	ds_store_2addr_b64 v251, v[68:69], v[70:71] offset1:1
	ds_store_2addr_b64 v252, v[64:65], v[66:67] offset0:50 offset1:51
	ds_store_2addr_b64 v252, v[60:61], v[62:63] offset0:52 offset1:53
	;; [unrolled: 1-line block ×17, first 2 shown]
	ds_load_2addr_b64 v[176:179], v251 offset1:1
	s_waitcnt lgkmcnt(0)
	v_cmp_neq_f64_e32 vcc_lo, 0, v[176:177]
	v_cmp_neq_f64_e64 s3, 0, v[178:179]
	s_delay_alu instid0(VALU_DEP_1) | instskip(NEXT) | instid1(SALU_CYCLE_1)
	s_or_b32 s3, vcc_lo, s3
	s_and_b32 exec_lo, exec_lo, s3
	s_cbranch_execz .LBB83_224
; %bb.219:
	v_cmp_gt_f64_e32 vcc_lo, 0, v[176:177]
	v_xor_b32_e32 v168, 0x80000000, v177
	s_mov_b32 s3, exec_lo
                                        ; implicit-def: $vgpr184_vgpr185
	s_delay_alu instid0(VALU_DEP_1) | instskip(SKIP_3) | instid1(VALU_DEP_1)
	v_cndmask_b32_e32 v181, v177, v168, vcc_lo
	v_cndmask_b32_e32 v180, v176, v176, vcc_lo
	v_cmp_gt_f64_e32 vcc_lo, 0, v[178:179]
	v_xor_b32_e32 v168, 0x80000000, v179
	v_dual_cndmask_b32 v182, v178, v178 :: v_dual_cndmask_b32 v183, v179, v168
	s_delay_alu instid0(VALU_DEP_1)
	v_cmpx_ngt_f64_e32 v[180:181], v[182:183]
	s_xor_b32 s3, exec_lo, s3
                                        ; implicit-def: $vgpr180_vgpr181_vgpr182_vgpr183
	s_cbranch_execz .LBB83_221
; %bb.220:
	v_div_scale_f64 v[180:181], null, v[178:179], v[178:179], v[176:177]
	v_div_scale_f64 v[186:187], vcc_lo, v[176:177], v[178:179], v[176:177]
	s_delay_alu instid0(VALU_DEP_2) | instskip(SKIP_2) | instid1(VALU_DEP_1)
	v_rcp_f64_e32 v[182:183], v[180:181]
	s_waitcnt_depctr 0xfff
	v_fma_f64 v[184:185], -v[180:181], v[182:183], 1.0
	v_fma_f64 v[182:183], v[182:183], v[184:185], v[182:183]
	s_delay_alu instid0(VALU_DEP_1) | instskip(NEXT) | instid1(VALU_DEP_1)
	v_fma_f64 v[184:185], -v[180:181], v[182:183], 1.0
	v_fma_f64 v[182:183], v[182:183], v[184:185], v[182:183]
	s_delay_alu instid0(VALU_DEP_1) | instskip(NEXT) | instid1(VALU_DEP_1)
	v_mul_f64 v[184:185], v[186:187], v[182:183]
	v_fma_f64 v[180:181], -v[180:181], v[184:185], v[186:187]
	s_delay_alu instid0(VALU_DEP_1) | instskip(NEXT) | instid1(VALU_DEP_1)
	v_div_fmas_f64 v[180:181], v[180:181], v[182:183], v[184:185]
	v_div_fixup_f64 v[180:181], v[180:181], v[178:179], v[176:177]
	s_delay_alu instid0(VALU_DEP_1) | instskip(NEXT) | instid1(VALU_DEP_1)
	v_fma_f64 v[176:177], v[176:177], v[180:181], v[178:179]
	v_div_scale_f64 v[178:179], null, v[176:177], v[176:177], 1.0
	s_delay_alu instid0(VALU_DEP_1) | instskip(SKIP_2) | instid1(VALU_DEP_1)
	v_rcp_f64_e32 v[182:183], v[178:179]
	s_waitcnt_depctr 0xfff
	v_fma_f64 v[184:185], -v[178:179], v[182:183], 1.0
	v_fma_f64 v[182:183], v[182:183], v[184:185], v[182:183]
	s_delay_alu instid0(VALU_DEP_1) | instskip(NEXT) | instid1(VALU_DEP_1)
	v_fma_f64 v[184:185], -v[178:179], v[182:183], 1.0
	v_fma_f64 v[182:183], v[182:183], v[184:185], v[182:183]
	v_div_scale_f64 v[184:185], vcc_lo, 1.0, v[176:177], 1.0
	s_delay_alu instid0(VALU_DEP_1) | instskip(NEXT) | instid1(VALU_DEP_1)
	v_mul_f64 v[186:187], v[184:185], v[182:183]
	v_fma_f64 v[178:179], -v[178:179], v[186:187], v[184:185]
	s_delay_alu instid0(VALU_DEP_1) | instskip(NEXT) | instid1(VALU_DEP_1)
	v_div_fmas_f64 v[178:179], v[178:179], v[182:183], v[186:187]
	v_div_fixup_f64 v[182:183], v[178:179], v[176:177], 1.0
                                        ; implicit-def: $vgpr176_vgpr177
	s_delay_alu instid0(VALU_DEP_1)
	v_mul_f64 v[184:185], v[180:181], v[182:183]
	v_xor_b32_e32 v183, 0x80000000, v183
.LBB83_221:
	s_and_not1_saveexec_b32 s3, s3
	s_cbranch_execz .LBB83_223
; %bb.222:
	v_div_scale_f64 v[180:181], null, v[176:177], v[176:177], v[178:179]
	v_div_scale_f64 v[186:187], vcc_lo, v[178:179], v[176:177], v[178:179]
	s_delay_alu instid0(VALU_DEP_2) | instskip(SKIP_2) | instid1(VALU_DEP_1)
	v_rcp_f64_e32 v[182:183], v[180:181]
	s_waitcnt_depctr 0xfff
	v_fma_f64 v[184:185], -v[180:181], v[182:183], 1.0
	v_fma_f64 v[182:183], v[182:183], v[184:185], v[182:183]
	s_delay_alu instid0(VALU_DEP_1) | instskip(NEXT) | instid1(VALU_DEP_1)
	v_fma_f64 v[184:185], -v[180:181], v[182:183], 1.0
	v_fma_f64 v[182:183], v[182:183], v[184:185], v[182:183]
	s_delay_alu instid0(VALU_DEP_1) | instskip(NEXT) | instid1(VALU_DEP_1)
	v_mul_f64 v[184:185], v[186:187], v[182:183]
	v_fma_f64 v[180:181], -v[180:181], v[184:185], v[186:187]
	s_delay_alu instid0(VALU_DEP_1) | instskip(NEXT) | instid1(VALU_DEP_1)
	v_div_fmas_f64 v[180:181], v[180:181], v[182:183], v[184:185]
	v_div_fixup_f64 v[180:181], v[180:181], v[176:177], v[178:179]
	s_delay_alu instid0(VALU_DEP_1) | instskip(NEXT) | instid1(VALU_DEP_1)
	v_fma_f64 v[176:177], v[178:179], v[180:181], v[176:177]
	v_div_scale_f64 v[178:179], null, v[176:177], v[176:177], 1.0
	s_delay_alu instid0(VALU_DEP_1) | instskip(SKIP_2) | instid1(VALU_DEP_1)
	v_rcp_f64_e32 v[182:183], v[178:179]
	s_waitcnt_depctr 0xfff
	v_fma_f64 v[184:185], -v[178:179], v[182:183], 1.0
	v_fma_f64 v[182:183], v[182:183], v[184:185], v[182:183]
	s_delay_alu instid0(VALU_DEP_1) | instskip(NEXT) | instid1(VALU_DEP_1)
	v_fma_f64 v[184:185], -v[178:179], v[182:183], 1.0
	v_fma_f64 v[182:183], v[182:183], v[184:185], v[182:183]
	v_div_scale_f64 v[184:185], vcc_lo, 1.0, v[176:177], 1.0
	s_delay_alu instid0(VALU_DEP_1) | instskip(NEXT) | instid1(VALU_DEP_1)
	v_mul_f64 v[186:187], v[184:185], v[182:183]
	v_fma_f64 v[178:179], -v[178:179], v[186:187], v[184:185]
	s_delay_alu instid0(VALU_DEP_1) | instskip(NEXT) | instid1(VALU_DEP_1)
	v_div_fmas_f64 v[178:179], v[178:179], v[182:183], v[186:187]
	v_div_fixup_f64 v[184:185], v[178:179], v[176:177], 1.0
	s_delay_alu instid0(VALU_DEP_1)
	v_mul_f64 v[182:183], v[180:181], -v[184:185]
.LBB83_223:
	s_or_b32 exec_lo, exec_lo, s3
	ds_store_2addr_b64 v251, v[184:185], v[182:183] offset1:1
.LBB83_224:
	s_or_b32 exec_lo, exec_lo, s4
	s_waitcnt lgkmcnt(0)
	s_barrier
	buffer_gl0_inv
	ds_load_2addr_b64 v[176:179], v251 offset1:1
	s_mov_b32 s3, exec_lo
	v_cmpx_lt_u32_e32 24, v250
	s_cbranch_execz .LBB83_226
; %bb.225:
	s_waitcnt lgkmcnt(0)
	v_mul_f64 v[180:181], v[178:179], v[70:71]
	v_mul_f64 v[70:71], v[176:177], v[70:71]
	ds_load_2addr_b64 v[182:185], v252 offset0:50 offset1:51
	v_fma_f64 v[180:181], v[176:177], v[68:69], -v[180:181]
	v_fma_f64 v[70:71], v[178:179], v[68:69], v[70:71]
	s_waitcnt lgkmcnt(0)
	s_delay_alu instid0(VALU_DEP_1) | instskip(NEXT) | instid1(VALU_DEP_1)
	v_mul_f64 v[68:69], v[184:185], v[70:71]
	v_fma_f64 v[68:69], v[182:183], v[180:181], -v[68:69]
	v_mul_f64 v[182:183], v[182:183], v[70:71]
	s_delay_alu instid0(VALU_DEP_2) | instskip(NEXT) | instid1(VALU_DEP_2)
	v_add_f64 v[64:65], v[64:65], -v[68:69]
	v_fma_f64 v[182:183], v[184:185], v[180:181], v[182:183]
	s_delay_alu instid0(VALU_DEP_1) | instskip(SKIP_3) | instid1(VALU_DEP_1)
	v_add_f64 v[66:67], v[66:67], -v[182:183]
	ds_load_2addr_b64 v[182:185], v252 offset0:52 offset1:53
	s_waitcnt lgkmcnt(0)
	v_mul_f64 v[68:69], v[184:185], v[70:71]
	v_fma_f64 v[68:69], v[182:183], v[180:181], -v[68:69]
	v_mul_f64 v[182:183], v[182:183], v[70:71]
	s_delay_alu instid0(VALU_DEP_2) | instskip(NEXT) | instid1(VALU_DEP_2)
	v_add_f64 v[60:61], v[60:61], -v[68:69]
	v_fma_f64 v[182:183], v[184:185], v[180:181], v[182:183]
	s_delay_alu instid0(VALU_DEP_1) | instskip(SKIP_3) | instid1(VALU_DEP_1)
	v_add_f64 v[62:63], v[62:63], -v[182:183]
	ds_load_2addr_b64 v[182:185], v252 offset0:54 offset1:55
	s_waitcnt lgkmcnt(0)
	;; [unrolled: 10-line block ×16, first 2 shown]
	v_mul_f64 v[68:69], v[184:185], v[70:71]
	v_fma_f64 v[68:69], v[182:183], v[180:181], -v[68:69]
	v_mul_f64 v[182:183], v[182:183], v[70:71]
	s_delay_alu instid0(VALU_DEP_2) | instskip(NEXT) | instid1(VALU_DEP_2)
	v_add_f64 v[0:1], v[0:1], -v[68:69]
	v_fma_f64 v[182:183], v[184:185], v[180:181], v[182:183]
	v_dual_mov_b32 v68, v180 :: v_dual_mov_b32 v69, v181
	s_delay_alu instid0(VALU_DEP_2)
	v_add_f64 v[2:3], v[2:3], -v[182:183]
.LBB83_226:
	s_or_b32 exec_lo, exec_lo, s3
	s_delay_alu instid0(SALU_CYCLE_1)
	s_mov_b32 s4, exec_lo
	s_waitcnt lgkmcnt(0)
	s_barrier
	buffer_gl0_inv
	v_cmpx_eq_u32_e32 25, v250
	s_cbranch_execz .LBB83_233
; %bb.227:
	ds_store_2addr_b64 v251, v[64:65], v[66:67] offset1:1
	ds_store_2addr_b64 v252, v[60:61], v[62:63] offset0:52 offset1:53
	ds_store_2addr_b64 v252, v[56:57], v[58:59] offset0:54 offset1:55
	;; [unrolled: 1-line block ×16, first 2 shown]
	ds_load_2addr_b64 v[180:183], v251 offset1:1
	s_waitcnt lgkmcnt(0)
	v_cmp_neq_f64_e32 vcc_lo, 0, v[180:181]
	v_cmp_neq_f64_e64 s3, 0, v[182:183]
	s_delay_alu instid0(VALU_DEP_1) | instskip(NEXT) | instid1(SALU_CYCLE_1)
	s_or_b32 s3, vcc_lo, s3
	s_and_b32 exec_lo, exec_lo, s3
	s_cbranch_execz .LBB83_233
; %bb.228:
	v_cmp_gt_f64_e32 vcc_lo, 0, v[180:181]
	v_xor_b32_e32 v168, 0x80000000, v181
	s_mov_b32 s3, exec_lo
                                        ; implicit-def: $vgpr188_vgpr189
	s_delay_alu instid0(VALU_DEP_1) | instskip(SKIP_3) | instid1(VALU_DEP_1)
	v_cndmask_b32_e32 v185, v181, v168, vcc_lo
	v_cndmask_b32_e32 v184, v180, v180, vcc_lo
	v_cmp_gt_f64_e32 vcc_lo, 0, v[182:183]
	v_xor_b32_e32 v168, 0x80000000, v183
	v_dual_cndmask_b32 v186, v182, v182 :: v_dual_cndmask_b32 v187, v183, v168
	s_delay_alu instid0(VALU_DEP_1)
	v_cmpx_ngt_f64_e32 v[184:185], v[186:187]
	s_xor_b32 s3, exec_lo, s3
                                        ; implicit-def: $vgpr184_vgpr185_vgpr186_vgpr187
	s_cbranch_execz .LBB83_230
; %bb.229:
	v_div_scale_f64 v[184:185], null, v[182:183], v[182:183], v[180:181]
	v_div_scale_f64 v[190:191], vcc_lo, v[180:181], v[182:183], v[180:181]
	s_delay_alu instid0(VALU_DEP_2) | instskip(SKIP_2) | instid1(VALU_DEP_1)
	v_rcp_f64_e32 v[186:187], v[184:185]
	s_waitcnt_depctr 0xfff
	v_fma_f64 v[188:189], -v[184:185], v[186:187], 1.0
	v_fma_f64 v[186:187], v[186:187], v[188:189], v[186:187]
	s_delay_alu instid0(VALU_DEP_1) | instskip(NEXT) | instid1(VALU_DEP_1)
	v_fma_f64 v[188:189], -v[184:185], v[186:187], 1.0
	v_fma_f64 v[186:187], v[186:187], v[188:189], v[186:187]
	s_delay_alu instid0(VALU_DEP_1) | instskip(NEXT) | instid1(VALU_DEP_1)
	v_mul_f64 v[188:189], v[190:191], v[186:187]
	v_fma_f64 v[184:185], -v[184:185], v[188:189], v[190:191]
	s_delay_alu instid0(VALU_DEP_1) | instskip(NEXT) | instid1(VALU_DEP_1)
	v_div_fmas_f64 v[184:185], v[184:185], v[186:187], v[188:189]
	v_div_fixup_f64 v[184:185], v[184:185], v[182:183], v[180:181]
	s_delay_alu instid0(VALU_DEP_1) | instskip(NEXT) | instid1(VALU_DEP_1)
	v_fma_f64 v[180:181], v[180:181], v[184:185], v[182:183]
	v_div_scale_f64 v[182:183], null, v[180:181], v[180:181], 1.0
	s_delay_alu instid0(VALU_DEP_1) | instskip(SKIP_2) | instid1(VALU_DEP_1)
	v_rcp_f64_e32 v[186:187], v[182:183]
	s_waitcnt_depctr 0xfff
	v_fma_f64 v[188:189], -v[182:183], v[186:187], 1.0
	v_fma_f64 v[186:187], v[186:187], v[188:189], v[186:187]
	s_delay_alu instid0(VALU_DEP_1) | instskip(NEXT) | instid1(VALU_DEP_1)
	v_fma_f64 v[188:189], -v[182:183], v[186:187], 1.0
	v_fma_f64 v[186:187], v[186:187], v[188:189], v[186:187]
	v_div_scale_f64 v[188:189], vcc_lo, 1.0, v[180:181], 1.0
	s_delay_alu instid0(VALU_DEP_1) | instskip(NEXT) | instid1(VALU_DEP_1)
	v_mul_f64 v[190:191], v[188:189], v[186:187]
	v_fma_f64 v[182:183], -v[182:183], v[190:191], v[188:189]
	s_delay_alu instid0(VALU_DEP_1) | instskip(NEXT) | instid1(VALU_DEP_1)
	v_div_fmas_f64 v[182:183], v[182:183], v[186:187], v[190:191]
	v_div_fixup_f64 v[186:187], v[182:183], v[180:181], 1.0
                                        ; implicit-def: $vgpr180_vgpr181
	s_delay_alu instid0(VALU_DEP_1)
	v_mul_f64 v[188:189], v[184:185], v[186:187]
	v_xor_b32_e32 v187, 0x80000000, v187
.LBB83_230:
	s_and_not1_saveexec_b32 s3, s3
	s_cbranch_execz .LBB83_232
; %bb.231:
	v_div_scale_f64 v[184:185], null, v[180:181], v[180:181], v[182:183]
	v_div_scale_f64 v[190:191], vcc_lo, v[182:183], v[180:181], v[182:183]
	s_delay_alu instid0(VALU_DEP_2) | instskip(SKIP_2) | instid1(VALU_DEP_1)
	v_rcp_f64_e32 v[186:187], v[184:185]
	s_waitcnt_depctr 0xfff
	v_fma_f64 v[188:189], -v[184:185], v[186:187], 1.0
	v_fma_f64 v[186:187], v[186:187], v[188:189], v[186:187]
	s_delay_alu instid0(VALU_DEP_1) | instskip(NEXT) | instid1(VALU_DEP_1)
	v_fma_f64 v[188:189], -v[184:185], v[186:187], 1.0
	v_fma_f64 v[186:187], v[186:187], v[188:189], v[186:187]
	s_delay_alu instid0(VALU_DEP_1) | instskip(NEXT) | instid1(VALU_DEP_1)
	v_mul_f64 v[188:189], v[190:191], v[186:187]
	v_fma_f64 v[184:185], -v[184:185], v[188:189], v[190:191]
	s_delay_alu instid0(VALU_DEP_1) | instskip(NEXT) | instid1(VALU_DEP_1)
	v_div_fmas_f64 v[184:185], v[184:185], v[186:187], v[188:189]
	v_div_fixup_f64 v[184:185], v[184:185], v[180:181], v[182:183]
	s_delay_alu instid0(VALU_DEP_1) | instskip(NEXT) | instid1(VALU_DEP_1)
	v_fma_f64 v[180:181], v[182:183], v[184:185], v[180:181]
	v_div_scale_f64 v[182:183], null, v[180:181], v[180:181], 1.0
	s_delay_alu instid0(VALU_DEP_1) | instskip(SKIP_2) | instid1(VALU_DEP_1)
	v_rcp_f64_e32 v[186:187], v[182:183]
	s_waitcnt_depctr 0xfff
	v_fma_f64 v[188:189], -v[182:183], v[186:187], 1.0
	v_fma_f64 v[186:187], v[186:187], v[188:189], v[186:187]
	s_delay_alu instid0(VALU_DEP_1) | instskip(NEXT) | instid1(VALU_DEP_1)
	v_fma_f64 v[188:189], -v[182:183], v[186:187], 1.0
	v_fma_f64 v[186:187], v[186:187], v[188:189], v[186:187]
	v_div_scale_f64 v[188:189], vcc_lo, 1.0, v[180:181], 1.0
	s_delay_alu instid0(VALU_DEP_1) | instskip(NEXT) | instid1(VALU_DEP_1)
	v_mul_f64 v[190:191], v[188:189], v[186:187]
	v_fma_f64 v[182:183], -v[182:183], v[190:191], v[188:189]
	s_delay_alu instid0(VALU_DEP_1) | instskip(NEXT) | instid1(VALU_DEP_1)
	v_div_fmas_f64 v[182:183], v[182:183], v[186:187], v[190:191]
	v_div_fixup_f64 v[188:189], v[182:183], v[180:181], 1.0
	s_delay_alu instid0(VALU_DEP_1)
	v_mul_f64 v[186:187], v[184:185], -v[188:189]
.LBB83_232:
	s_or_b32 exec_lo, exec_lo, s3
	ds_store_2addr_b64 v251, v[188:189], v[186:187] offset1:1
.LBB83_233:
	s_or_b32 exec_lo, exec_lo, s4
	s_waitcnt lgkmcnt(0)
	s_barrier
	buffer_gl0_inv
	ds_load_2addr_b64 v[180:183], v251 offset1:1
	s_mov_b32 s3, exec_lo
	v_cmpx_lt_u32_e32 25, v250
	s_cbranch_execz .LBB83_235
; %bb.234:
	s_waitcnt lgkmcnt(0)
	v_mul_f64 v[184:185], v[180:181], v[66:67]
	v_mul_f64 v[66:67], v[182:183], v[66:67]
	ds_load_2addr_b64 v[186:189], v252 offset0:52 offset1:53
	v_fma_f64 v[184:185], v[182:183], v[64:65], v[184:185]
	v_fma_f64 v[64:65], v[180:181], v[64:65], -v[66:67]
	s_waitcnt lgkmcnt(0)
	s_delay_alu instid0(VALU_DEP_2) | instskip(NEXT) | instid1(VALU_DEP_1)
	v_mul_f64 v[66:67], v[188:189], v[184:185]
	v_fma_f64 v[66:67], v[186:187], v[64:65], -v[66:67]
	v_mul_f64 v[186:187], v[186:187], v[184:185]
	s_delay_alu instid0(VALU_DEP_2) | instskip(NEXT) | instid1(VALU_DEP_2)
	v_add_f64 v[60:61], v[60:61], -v[66:67]
	v_fma_f64 v[186:187], v[188:189], v[64:65], v[186:187]
	s_delay_alu instid0(VALU_DEP_1) | instskip(SKIP_3) | instid1(VALU_DEP_1)
	v_add_f64 v[62:63], v[62:63], -v[186:187]
	ds_load_2addr_b64 v[186:189], v252 offset0:54 offset1:55
	s_waitcnt lgkmcnt(0)
	v_mul_f64 v[66:67], v[188:189], v[184:185]
	v_fma_f64 v[66:67], v[186:187], v[64:65], -v[66:67]
	v_mul_f64 v[186:187], v[186:187], v[184:185]
	s_delay_alu instid0(VALU_DEP_2) | instskip(NEXT) | instid1(VALU_DEP_2)
	v_add_f64 v[56:57], v[56:57], -v[66:67]
	v_fma_f64 v[186:187], v[188:189], v[64:65], v[186:187]
	s_delay_alu instid0(VALU_DEP_1) | instskip(SKIP_3) | instid1(VALU_DEP_1)
	v_add_f64 v[58:59], v[58:59], -v[186:187]
	ds_load_2addr_b64 v[186:189], v252 offset0:56 offset1:57
	s_waitcnt lgkmcnt(0)
	v_mul_f64 v[66:67], v[188:189], v[184:185]
	v_fma_f64 v[66:67], v[186:187], v[64:65], -v[66:67]
	v_mul_f64 v[186:187], v[186:187], v[184:185]
	s_delay_alu instid0(VALU_DEP_2) | instskip(NEXT) | instid1(VALU_DEP_2)
	v_add_f64 v[52:53], v[52:53], -v[66:67]
	v_fma_f64 v[186:187], v[188:189], v[64:65], v[186:187]
	s_delay_alu instid0(VALU_DEP_1) | instskip(SKIP_3) | instid1(VALU_DEP_1)
	v_add_f64 v[54:55], v[54:55], -v[186:187]
	ds_load_2addr_b64 v[186:189], v252 offset0:58 offset1:59
	s_waitcnt lgkmcnt(0)
	v_mul_f64 v[66:67], v[188:189], v[184:185]
	v_fma_f64 v[66:67], v[186:187], v[64:65], -v[66:67]
	v_mul_f64 v[186:187], v[186:187], v[184:185]
	s_delay_alu instid0(VALU_DEP_2) | instskip(NEXT) | instid1(VALU_DEP_2)
	v_add_f64 v[48:49], v[48:49], -v[66:67]
	v_fma_f64 v[186:187], v[188:189], v[64:65], v[186:187]
	s_delay_alu instid0(VALU_DEP_1) | instskip(SKIP_3) | instid1(VALU_DEP_1)
	v_add_f64 v[50:51], v[50:51], -v[186:187]
	ds_load_2addr_b64 v[186:189], v252 offset0:60 offset1:61
	s_waitcnt lgkmcnt(0)
	v_mul_f64 v[66:67], v[188:189], v[184:185]
	v_fma_f64 v[66:67], v[186:187], v[64:65], -v[66:67]
	v_mul_f64 v[186:187], v[186:187], v[184:185]
	s_delay_alu instid0(VALU_DEP_2) | instskip(NEXT) | instid1(VALU_DEP_2)
	v_add_f64 v[44:45], v[44:45], -v[66:67]
	v_fma_f64 v[186:187], v[188:189], v[64:65], v[186:187]
	s_delay_alu instid0(VALU_DEP_1) | instskip(SKIP_3) | instid1(VALU_DEP_1)
	v_add_f64 v[46:47], v[46:47], -v[186:187]
	ds_load_2addr_b64 v[186:189], v252 offset0:62 offset1:63
	s_waitcnt lgkmcnt(0)
	v_mul_f64 v[66:67], v[188:189], v[184:185]
	v_fma_f64 v[66:67], v[186:187], v[64:65], -v[66:67]
	v_mul_f64 v[186:187], v[186:187], v[184:185]
	s_delay_alu instid0(VALU_DEP_2) | instskip(NEXT) | instid1(VALU_DEP_2)
	v_add_f64 v[40:41], v[40:41], -v[66:67]
	v_fma_f64 v[186:187], v[188:189], v[64:65], v[186:187]
	s_delay_alu instid0(VALU_DEP_1) | instskip(SKIP_3) | instid1(VALU_DEP_1)
	v_add_f64 v[42:43], v[42:43], -v[186:187]
	ds_load_2addr_b64 v[186:189], v252 offset0:64 offset1:65
	s_waitcnt lgkmcnt(0)
	v_mul_f64 v[66:67], v[188:189], v[184:185]
	v_fma_f64 v[66:67], v[186:187], v[64:65], -v[66:67]
	v_mul_f64 v[186:187], v[186:187], v[184:185]
	s_delay_alu instid0(VALU_DEP_2) | instskip(NEXT) | instid1(VALU_DEP_2)
	v_add_f64 v[36:37], v[36:37], -v[66:67]
	v_fma_f64 v[186:187], v[188:189], v[64:65], v[186:187]
	s_delay_alu instid0(VALU_DEP_1) | instskip(SKIP_3) | instid1(VALU_DEP_1)
	v_add_f64 v[38:39], v[38:39], -v[186:187]
	ds_load_2addr_b64 v[186:189], v252 offset0:66 offset1:67
	s_waitcnt lgkmcnt(0)
	v_mul_f64 v[66:67], v[188:189], v[184:185]
	v_fma_f64 v[66:67], v[186:187], v[64:65], -v[66:67]
	v_mul_f64 v[186:187], v[186:187], v[184:185]
	s_delay_alu instid0(VALU_DEP_2) | instskip(NEXT) | instid1(VALU_DEP_2)
	v_add_f64 v[32:33], v[32:33], -v[66:67]
	v_fma_f64 v[186:187], v[188:189], v[64:65], v[186:187]
	s_delay_alu instid0(VALU_DEP_1) | instskip(SKIP_3) | instid1(VALU_DEP_1)
	v_add_f64 v[34:35], v[34:35], -v[186:187]
	ds_load_2addr_b64 v[186:189], v252 offset0:68 offset1:69
	s_waitcnt lgkmcnt(0)
	v_mul_f64 v[66:67], v[188:189], v[184:185]
	v_fma_f64 v[66:67], v[186:187], v[64:65], -v[66:67]
	v_mul_f64 v[186:187], v[186:187], v[184:185]
	s_delay_alu instid0(VALU_DEP_2) | instskip(NEXT) | instid1(VALU_DEP_2)
	v_add_f64 v[28:29], v[28:29], -v[66:67]
	v_fma_f64 v[186:187], v[188:189], v[64:65], v[186:187]
	s_delay_alu instid0(VALU_DEP_1) | instskip(SKIP_3) | instid1(VALU_DEP_1)
	v_add_f64 v[30:31], v[30:31], -v[186:187]
	ds_load_2addr_b64 v[186:189], v252 offset0:70 offset1:71
	s_waitcnt lgkmcnt(0)
	v_mul_f64 v[66:67], v[188:189], v[184:185]
	v_fma_f64 v[66:67], v[186:187], v[64:65], -v[66:67]
	v_mul_f64 v[186:187], v[186:187], v[184:185]
	s_delay_alu instid0(VALU_DEP_2) | instskip(NEXT) | instid1(VALU_DEP_2)
	v_add_f64 v[24:25], v[24:25], -v[66:67]
	v_fma_f64 v[186:187], v[188:189], v[64:65], v[186:187]
	s_delay_alu instid0(VALU_DEP_1) | instskip(SKIP_3) | instid1(VALU_DEP_1)
	v_add_f64 v[26:27], v[26:27], -v[186:187]
	ds_load_2addr_b64 v[186:189], v252 offset0:72 offset1:73
	s_waitcnt lgkmcnt(0)
	v_mul_f64 v[66:67], v[188:189], v[184:185]
	v_fma_f64 v[66:67], v[186:187], v[64:65], -v[66:67]
	v_mul_f64 v[186:187], v[186:187], v[184:185]
	s_delay_alu instid0(VALU_DEP_2) | instskip(NEXT) | instid1(VALU_DEP_2)
	v_add_f64 v[20:21], v[20:21], -v[66:67]
	v_fma_f64 v[186:187], v[188:189], v[64:65], v[186:187]
	s_delay_alu instid0(VALU_DEP_1) | instskip(SKIP_3) | instid1(VALU_DEP_1)
	v_add_f64 v[22:23], v[22:23], -v[186:187]
	ds_load_2addr_b64 v[186:189], v252 offset0:74 offset1:75
	s_waitcnt lgkmcnt(0)
	v_mul_f64 v[66:67], v[188:189], v[184:185]
	v_fma_f64 v[66:67], v[186:187], v[64:65], -v[66:67]
	v_mul_f64 v[186:187], v[186:187], v[184:185]
	s_delay_alu instid0(VALU_DEP_2) | instskip(NEXT) | instid1(VALU_DEP_2)
	v_add_f64 v[16:17], v[16:17], -v[66:67]
	v_fma_f64 v[186:187], v[188:189], v[64:65], v[186:187]
	s_delay_alu instid0(VALU_DEP_1) | instskip(SKIP_3) | instid1(VALU_DEP_1)
	v_add_f64 v[18:19], v[18:19], -v[186:187]
	ds_load_2addr_b64 v[186:189], v252 offset0:76 offset1:77
	s_waitcnt lgkmcnt(0)
	v_mul_f64 v[66:67], v[188:189], v[184:185]
	v_fma_f64 v[66:67], v[186:187], v[64:65], -v[66:67]
	v_mul_f64 v[186:187], v[186:187], v[184:185]
	s_delay_alu instid0(VALU_DEP_2) | instskip(NEXT) | instid1(VALU_DEP_2)
	v_add_f64 v[12:13], v[12:13], -v[66:67]
	v_fma_f64 v[186:187], v[188:189], v[64:65], v[186:187]
	s_delay_alu instid0(VALU_DEP_1) | instskip(SKIP_3) | instid1(VALU_DEP_1)
	v_add_f64 v[14:15], v[14:15], -v[186:187]
	ds_load_2addr_b64 v[186:189], v252 offset0:78 offset1:79
	s_waitcnt lgkmcnt(0)
	v_mul_f64 v[66:67], v[188:189], v[184:185]
	v_fma_f64 v[66:67], v[186:187], v[64:65], -v[66:67]
	v_mul_f64 v[186:187], v[186:187], v[184:185]
	s_delay_alu instid0(VALU_DEP_2) | instskip(NEXT) | instid1(VALU_DEP_2)
	v_add_f64 v[8:9], v[8:9], -v[66:67]
	v_fma_f64 v[186:187], v[188:189], v[64:65], v[186:187]
	s_delay_alu instid0(VALU_DEP_1) | instskip(SKIP_3) | instid1(VALU_DEP_1)
	v_add_f64 v[10:11], v[10:11], -v[186:187]
	ds_load_2addr_b64 v[186:189], v252 offset0:80 offset1:81
	s_waitcnt lgkmcnt(0)
	v_mul_f64 v[66:67], v[188:189], v[184:185]
	v_fma_f64 v[66:67], v[186:187], v[64:65], -v[66:67]
	v_mul_f64 v[186:187], v[186:187], v[184:185]
	s_delay_alu instid0(VALU_DEP_2) | instskip(NEXT) | instid1(VALU_DEP_2)
	v_add_f64 v[4:5], v[4:5], -v[66:67]
	v_fma_f64 v[186:187], v[188:189], v[64:65], v[186:187]
	s_delay_alu instid0(VALU_DEP_1) | instskip(SKIP_3) | instid1(VALU_DEP_1)
	v_add_f64 v[6:7], v[6:7], -v[186:187]
	ds_load_2addr_b64 v[186:189], v252 offset0:82 offset1:83
	s_waitcnt lgkmcnt(0)
	v_mul_f64 v[66:67], v[188:189], v[184:185]
	v_fma_f64 v[66:67], v[186:187], v[64:65], -v[66:67]
	v_mul_f64 v[186:187], v[186:187], v[184:185]
	s_delay_alu instid0(VALU_DEP_2) | instskip(NEXT) | instid1(VALU_DEP_2)
	v_add_f64 v[0:1], v[0:1], -v[66:67]
	v_fma_f64 v[186:187], v[188:189], v[64:65], v[186:187]
	v_dual_mov_b32 v66, v184 :: v_dual_mov_b32 v67, v185
	s_delay_alu instid0(VALU_DEP_2)
	v_add_f64 v[2:3], v[2:3], -v[186:187]
.LBB83_235:
	s_or_b32 exec_lo, exec_lo, s3
	s_delay_alu instid0(SALU_CYCLE_1)
	s_mov_b32 s4, exec_lo
	s_waitcnt lgkmcnt(0)
	s_barrier
	buffer_gl0_inv
	v_cmpx_eq_u32_e32 26, v250
	s_cbranch_execz .LBB83_242
; %bb.236:
	ds_store_2addr_b64 v251, v[60:61], v[62:63] offset1:1
	ds_store_2addr_b64 v252, v[56:57], v[58:59] offset0:54 offset1:55
	ds_store_2addr_b64 v252, v[52:53], v[54:55] offset0:56 offset1:57
	;; [unrolled: 1-line block ×15, first 2 shown]
	ds_load_2addr_b64 v[184:187], v251 offset1:1
	s_waitcnt lgkmcnt(0)
	v_cmp_neq_f64_e32 vcc_lo, 0, v[184:185]
	v_cmp_neq_f64_e64 s3, 0, v[186:187]
	s_delay_alu instid0(VALU_DEP_1) | instskip(NEXT) | instid1(SALU_CYCLE_1)
	s_or_b32 s3, vcc_lo, s3
	s_and_b32 exec_lo, exec_lo, s3
	s_cbranch_execz .LBB83_242
; %bb.237:
	v_cmp_gt_f64_e32 vcc_lo, 0, v[184:185]
	v_xor_b32_e32 v168, 0x80000000, v185
	s_mov_b32 s3, exec_lo
                                        ; implicit-def: $vgpr192_vgpr193
	s_delay_alu instid0(VALU_DEP_1) | instskip(SKIP_3) | instid1(VALU_DEP_1)
	v_cndmask_b32_e32 v189, v185, v168, vcc_lo
	v_cndmask_b32_e32 v188, v184, v184, vcc_lo
	v_cmp_gt_f64_e32 vcc_lo, 0, v[186:187]
	v_xor_b32_e32 v168, 0x80000000, v187
	v_dual_cndmask_b32 v190, v186, v186 :: v_dual_cndmask_b32 v191, v187, v168
	s_delay_alu instid0(VALU_DEP_1)
	v_cmpx_ngt_f64_e32 v[188:189], v[190:191]
	s_xor_b32 s3, exec_lo, s3
                                        ; implicit-def: $vgpr188_vgpr189_vgpr190_vgpr191
	s_cbranch_execz .LBB83_239
; %bb.238:
	v_div_scale_f64 v[188:189], null, v[186:187], v[186:187], v[184:185]
	v_div_scale_f64 v[194:195], vcc_lo, v[184:185], v[186:187], v[184:185]
	s_delay_alu instid0(VALU_DEP_2) | instskip(SKIP_2) | instid1(VALU_DEP_1)
	v_rcp_f64_e32 v[190:191], v[188:189]
	s_waitcnt_depctr 0xfff
	v_fma_f64 v[192:193], -v[188:189], v[190:191], 1.0
	v_fma_f64 v[190:191], v[190:191], v[192:193], v[190:191]
	s_delay_alu instid0(VALU_DEP_1) | instskip(NEXT) | instid1(VALU_DEP_1)
	v_fma_f64 v[192:193], -v[188:189], v[190:191], 1.0
	v_fma_f64 v[190:191], v[190:191], v[192:193], v[190:191]
	s_delay_alu instid0(VALU_DEP_1) | instskip(NEXT) | instid1(VALU_DEP_1)
	v_mul_f64 v[192:193], v[194:195], v[190:191]
	v_fma_f64 v[188:189], -v[188:189], v[192:193], v[194:195]
	s_delay_alu instid0(VALU_DEP_1) | instskip(NEXT) | instid1(VALU_DEP_1)
	v_div_fmas_f64 v[188:189], v[188:189], v[190:191], v[192:193]
	v_div_fixup_f64 v[188:189], v[188:189], v[186:187], v[184:185]
	s_delay_alu instid0(VALU_DEP_1) | instskip(NEXT) | instid1(VALU_DEP_1)
	v_fma_f64 v[184:185], v[184:185], v[188:189], v[186:187]
	v_div_scale_f64 v[186:187], null, v[184:185], v[184:185], 1.0
	s_delay_alu instid0(VALU_DEP_1) | instskip(SKIP_2) | instid1(VALU_DEP_1)
	v_rcp_f64_e32 v[190:191], v[186:187]
	s_waitcnt_depctr 0xfff
	v_fma_f64 v[192:193], -v[186:187], v[190:191], 1.0
	v_fma_f64 v[190:191], v[190:191], v[192:193], v[190:191]
	s_delay_alu instid0(VALU_DEP_1) | instskip(NEXT) | instid1(VALU_DEP_1)
	v_fma_f64 v[192:193], -v[186:187], v[190:191], 1.0
	v_fma_f64 v[190:191], v[190:191], v[192:193], v[190:191]
	v_div_scale_f64 v[192:193], vcc_lo, 1.0, v[184:185], 1.0
	s_delay_alu instid0(VALU_DEP_1) | instskip(NEXT) | instid1(VALU_DEP_1)
	v_mul_f64 v[194:195], v[192:193], v[190:191]
	v_fma_f64 v[186:187], -v[186:187], v[194:195], v[192:193]
	s_delay_alu instid0(VALU_DEP_1) | instskip(NEXT) | instid1(VALU_DEP_1)
	v_div_fmas_f64 v[186:187], v[186:187], v[190:191], v[194:195]
	v_div_fixup_f64 v[190:191], v[186:187], v[184:185], 1.0
                                        ; implicit-def: $vgpr184_vgpr185
	s_delay_alu instid0(VALU_DEP_1)
	v_mul_f64 v[192:193], v[188:189], v[190:191]
	v_xor_b32_e32 v191, 0x80000000, v191
.LBB83_239:
	s_and_not1_saveexec_b32 s3, s3
	s_cbranch_execz .LBB83_241
; %bb.240:
	v_div_scale_f64 v[188:189], null, v[184:185], v[184:185], v[186:187]
	v_div_scale_f64 v[194:195], vcc_lo, v[186:187], v[184:185], v[186:187]
	s_delay_alu instid0(VALU_DEP_2) | instskip(SKIP_2) | instid1(VALU_DEP_1)
	v_rcp_f64_e32 v[190:191], v[188:189]
	s_waitcnt_depctr 0xfff
	v_fma_f64 v[192:193], -v[188:189], v[190:191], 1.0
	v_fma_f64 v[190:191], v[190:191], v[192:193], v[190:191]
	s_delay_alu instid0(VALU_DEP_1) | instskip(NEXT) | instid1(VALU_DEP_1)
	v_fma_f64 v[192:193], -v[188:189], v[190:191], 1.0
	v_fma_f64 v[190:191], v[190:191], v[192:193], v[190:191]
	s_delay_alu instid0(VALU_DEP_1) | instskip(NEXT) | instid1(VALU_DEP_1)
	v_mul_f64 v[192:193], v[194:195], v[190:191]
	v_fma_f64 v[188:189], -v[188:189], v[192:193], v[194:195]
	s_delay_alu instid0(VALU_DEP_1) | instskip(NEXT) | instid1(VALU_DEP_1)
	v_div_fmas_f64 v[188:189], v[188:189], v[190:191], v[192:193]
	v_div_fixup_f64 v[188:189], v[188:189], v[184:185], v[186:187]
	s_delay_alu instid0(VALU_DEP_1) | instskip(NEXT) | instid1(VALU_DEP_1)
	v_fma_f64 v[184:185], v[186:187], v[188:189], v[184:185]
	v_div_scale_f64 v[186:187], null, v[184:185], v[184:185], 1.0
	s_delay_alu instid0(VALU_DEP_1) | instskip(SKIP_2) | instid1(VALU_DEP_1)
	v_rcp_f64_e32 v[190:191], v[186:187]
	s_waitcnt_depctr 0xfff
	v_fma_f64 v[192:193], -v[186:187], v[190:191], 1.0
	v_fma_f64 v[190:191], v[190:191], v[192:193], v[190:191]
	s_delay_alu instid0(VALU_DEP_1) | instskip(NEXT) | instid1(VALU_DEP_1)
	v_fma_f64 v[192:193], -v[186:187], v[190:191], 1.0
	v_fma_f64 v[190:191], v[190:191], v[192:193], v[190:191]
	v_div_scale_f64 v[192:193], vcc_lo, 1.0, v[184:185], 1.0
	s_delay_alu instid0(VALU_DEP_1) | instskip(NEXT) | instid1(VALU_DEP_1)
	v_mul_f64 v[194:195], v[192:193], v[190:191]
	v_fma_f64 v[186:187], -v[186:187], v[194:195], v[192:193]
	s_delay_alu instid0(VALU_DEP_1) | instskip(NEXT) | instid1(VALU_DEP_1)
	v_div_fmas_f64 v[186:187], v[186:187], v[190:191], v[194:195]
	v_div_fixup_f64 v[192:193], v[186:187], v[184:185], 1.0
	s_delay_alu instid0(VALU_DEP_1)
	v_mul_f64 v[190:191], v[188:189], -v[192:193]
.LBB83_241:
	s_or_b32 exec_lo, exec_lo, s3
	ds_store_2addr_b64 v251, v[192:193], v[190:191] offset1:1
.LBB83_242:
	s_or_b32 exec_lo, exec_lo, s4
	s_waitcnt lgkmcnt(0)
	s_barrier
	buffer_gl0_inv
	ds_load_2addr_b64 v[184:187], v251 offset1:1
	s_mov_b32 s3, exec_lo
	v_cmpx_lt_u32_e32 26, v250
	s_cbranch_execz .LBB83_244
; %bb.243:
	s_waitcnt lgkmcnt(0)
	v_mul_f64 v[188:189], v[184:185], v[62:63]
	v_mul_f64 v[62:63], v[186:187], v[62:63]
	ds_load_2addr_b64 v[190:193], v252 offset0:54 offset1:55
	v_fma_f64 v[188:189], v[186:187], v[60:61], v[188:189]
	v_fma_f64 v[60:61], v[184:185], v[60:61], -v[62:63]
	s_waitcnt lgkmcnt(0)
	s_delay_alu instid0(VALU_DEP_2) | instskip(NEXT) | instid1(VALU_DEP_1)
	v_mul_f64 v[62:63], v[192:193], v[188:189]
	v_fma_f64 v[62:63], v[190:191], v[60:61], -v[62:63]
	v_mul_f64 v[190:191], v[190:191], v[188:189]
	s_delay_alu instid0(VALU_DEP_2) | instskip(NEXT) | instid1(VALU_DEP_2)
	v_add_f64 v[56:57], v[56:57], -v[62:63]
	v_fma_f64 v[190:191], v[192:193], v[60:61], v[190:191]
	s_delay_alu instid0(VALU_DEP_1) | instskip(SKIP_3) | instid1(VALU_DEP_1)
	v_add_f64 v[58:59], v[58:59], -v[190:191]
	ds_load_2addr_b64 v[190:193], v252 offset0:56 offset1:57
	s_waitcnt lgkmcnt(0)
	v_mul_f64 v[62:63], v[192:193], v[188:189]
	v_fma_f64 v[62:63], v[190:191], v[60:61], -v[62:63]
	v_mul_f64 v[190:191], v[190:191], v[188:189]
	s_delay_alu instid0(VALU_DEP_2) | instskip(NEXT) | instid1(VALU_DEP_2)
	v_add_f64 v[52:53], v[52:53], -v[62:63]
	v_fma_f64 v[190:191], v[192:193], v[60:61], v[190:191]
	s_delay_alu instid0(VALU_DEP_1) | instskip(SKIP_3) | instid1(VALU_DEP_1)
	v_add_f64 v[54:55], v[54:55], -v[190:191]
	ds_load_2addr_b64 v[190:193], v252 offset0:58 offset1:59
	s_waitcnt lgkmcnt(0)
	;; [unrolled: 10-line block ×14, first 2 shown]
	v_mul_f64 v[62:63], v[192:193], v[188:189]
	v_fma_f64 v[62:63], v[190:191], v[60:61], -v[62:63]
	v_mul_f64 v[190:191], v[190:191], v[188:189]
	s_delay_alu instid0(VALU_DEP_2) | instskip(NEXT) | instid1(VALU_DEP_2)
	v_add_f64 v[0:1], v[0:1], -v[62:63]
	v_fma_f64 v[190:191], v[192:193], v[60:61], v[190:191]
	v_dual_mov_b32 v62, v188 :: v_dual_mov_b32 v63, v189
	s_delay_alu instid0(VALU_DEP_2)
	v_add_f64 v[2:3], v[2:3], -v[190:191]
.LBB83_244:
	s_or_b32 exec_lo, exec_lo, s3
	s_delay_alu instid0(SALU_CYCLE_1)
	s_mov_b32 s4, exec_lo
	s_waitcnt lgkmcnt(0)
	s_barrier
	buffer_gl0_inv
	v_cmpx_eq_u32_e32 27, v250
	s_cbranch_execz .LBB83_251
; %bb.245:
	ds_store_2addr_b64 v251, v[56:57], v[58:59] offset1:1
	ds_store_2addr_b64 v252, v[52:53], v[54:55] offset0:56 offset1:57
	ds_store_2addr_b64 v252, v[48:49], v[50:51] offset0:58 offset1:59
	;; [unrolled: 1-line block ×14, first 2 shown]
	ds_load_2addr_b64 v[188:191], v251 offset1:1
	s_waitcnt lgkmcnt(0)
	v_cmp_neq_f64_e32 vcc_lo, 0, v[188:189]
	v_cmp_neq_f64_e64 s3, 0, v[190:191]
	s_delay_alu instid0(VALU_DEP_1) | instskip(NEXT) | instid1(SALU_CYCLE_1)
	s_or_b32 s3, vcc_lo, s3
	s_and_b32 exec_lo, exec_lo, s3
	s_cbranch_execz .LBB83_251
; %bb.246:
	v_cmp_gt_f64_e32 vcc_lo, 0, v[188:189]
	v_xor_b32_e32 v168, 0x80000000, v189
	s_mov_b32 s3, exec_lo
                                        ; implicit-def: $vgpr196_vgpr197
	s_delay_alu instid0(VALU_DEP_1) | instskip(SKIP_3) | instid1(VALU_DEP_1)
	v_cndmask_b32_e32 v193, v189, v168, vcc_lo
	v_cndmask_b32_e32 v192, v188, v188, vcc_lo
	v_cmp_gt_f64_e32 vcc_lo, 0, v[190:191]
	v_xor_b32_e32 v168, 0x80000000, v191
	v_dual_cndmask_b32 v194, v190, v190 :: v_dual_cndmask_b32 v195, v191, v168
	s_delay_alu instid0(VALU_DEP_1)
	v_cmpx_ngt_f64_e32 v[192:193], v[194:195]
	s_xor_b32 s3, exec_lo, s3
                                        ; implicit-def: $vgpr192_vgpr193_vgpr194_vgpr195
	s_cbranch_execz .LBB83_248
; %bb.247:
	v_div_scale_f64 v[192:193], null, v[190:191], v[190:191], v[188:189]
	v_div_scale_f64 v[198:199], vcc_lo, v[188:189], v[190:191], v[188:189]
	s_delay_alu instid0(VALU_DEP_2) | instskip(SKIP_2) | instid1(VALU_DEP_1)
	v_rcp_f64_e32 v[194:195], v[192:193]
	s_waitcnt_depctr 0xfff
	v_fma_f64 v[196:197], -v[192:193], v[194:195], 1.0
	v_fma_f64 v[194:195], v[194:195], v[196:197], v[194:195]
	s_delay_alu instid0(VALU_DEP_1) | instskip(NEXT) | instid1(VALU_DEP_1)
	v_fma_f64 v[196:197], -v[192:193], v[194:195], 1.0
	v_fma_f64 v[194:195], v[194:195], v[196:197], v[194:195]
	s_delay_alu instid0(VALU_DEP_1) | instskip(NEXT) | instid1(VALU_DEP_1)
	v_mul_f64 v[196:197], v[198:199], v[194:195]
	v_fma_f64 v[192:193], -v[192:193], v[196:197], v[198:199]
	s_delay_alu instid0(VALU_DEP_1) | instskip(NEXT) | instid1(VALU_DEP_1)
	v_div_fmas_f64 v[192:193], v[192:193], v[194:195], v[196:197]
	v_div_fixup_f64 v[192:193], v[192:193], v[190:191], v[188:189]
	s_delay_alu instid0(VALU_DEP_1) | instskip(NEXT) | instid1(VALU_DEP_1)
	v_fma_f64 v[188:189], v[188:189], v[192:193], v[190:191]
	v_div_scale_f64 v[190:191], null, v[188:189], v[188:189], 1.0
	s_delay_alu instid0(VALU_DEP_1) | instskip(SKIP_2) | instid1(VALU_DEP_1)
	v_rcp_f64_e32 v[194:195], v[190:191]
	s_waitcnt_depctr 0xfff
	v_fma_f64 v[196:197], -v[190:191], v[194:195], 1.0
	v_fma_f64 v[194:195], v[194:195], v[196:197], v[194:195]
	s_delay_alu instid0(VALU_DEP_1) | instskip(NEXT) | instid1(VALU_DEP_1)
	v_fma_f64 v[196:197], -v[190:191], v[194:195], 1.0
	v_fma_f64 v[194:195], v[194:195], v[196:197], v[194:195]
	v_div_scale_f64 v[196:197], vcc_lo, 1.0, v[188:189], 1.0
	s_delay_alu instid0(VALU_DEP_1) | instskip(NEXT) | instid1(VALU_DEP_1)
	v_mul_f64 v[198:199], v[196:197], v[194:195]
	v_fma_f64 v[190:191], -v[190:191], v[198:199], v[196:197]
	s_delay_alu instid0(VALU_DEP_1) | instskip(NEXT) | instid1(VALU_DEP_1)
	v_div_fmas_f64 v[190:191], v[190:191], v[194:195], v[198:199]
	v_div_fixup_f64 v[194:195], v[190:191], v[188:189], 1.0
                                        ; implicit-def: $vgpr188_vgpr189
	s_delay_alu instid0(VALU_DEP_1)
	v_mul_f64 v[196:197], v[192:193], v[194:195]
	v_xor_b32_e32 v195, 0x80000000, v195
.LBB83_248:
	s_and_not1_saveexec_b32 s3, s3
	s_cbranch_execz .LBB83_250
; %bb.249:
	v_div_scale_f64 v[192:193], null, v[188:189], v[188:189], v[190:191]
	v_div_scale_f64 v[198:199], vcc_lo, v[190:191], v[188:189], v[190:191]
	s_delay_alu instid0(VALU_DEP_2) | instskip(SKIP_2) | instid1(VALU_DEP_1)
	v_rcp_f64_e32 v[194:195], v[192:193]
	s_waitcnt_depctr 0xfff
	v_fma_f64 v[196:197], -v[192:193], v[194:195], 1.0
	v_fma_f64 v[194:195], v[194:195], v[196:197], v[194:195]
	s_delay_alu instid0(VALU_DEP_1) | instskip(NEXT) | instid1(VALU_DEP_1)
	v_fma_f64 v[196:197], -v[192:193], v[194:195], 1.0
	v_fma_f64 v[194:195], v[194:195], v[196:197], v[194:195]
	s_delay_alu instid0(VALU_DEP_1) | instskip(NEXT) | instid1(VALU_DEP_1)
	v_mul_f64 v[196:197], v[198:199], v[194:195]
	v_fma_f64 v[192:193], -v[192:193], v[196:197], v[198:199]
	s_delay_alu instid0(VALU_DEP_1) | instskip(NEXT) | instid1(VALU_DEP_1)
	v_div_fmas_f64 v[192:193], v[192:193], v[194:195], v[196:197]
	v_div_fixup_f64 v[192:193], v[192:193], v[188:189], v[190:191]
	s_delay_alu instid0(VALU_DEP_1) | instskip(NEXT) | instid1(VALU_DEP_1)
	v_fma_f64 v[188:189], v[190:191], v[192:193], v[188:189]
	v_div_scale_f64 v[190:191], null, v[188:189], v[188:189], 1.0
	s_delay_alu instid0(VALU_DEP_1) | instskip(SKIP_2) | instid1(VALU_DEP_1)
	v_rcp_f64_e32 v[194:195], v[190:191]
	s_waitcnt_depctr 0xfff
	v_fma_f64 v[196:197], -v[190:191], v[194:195], 1.0
	v_fma_f64 v[194:195], v[194:195], v[196:197], v[194:195]
	s_delay_alu instid0(VALU_DEP_1) | instskip(NEXT) | instid1(VALU_DEP_1)
	v_fma_f64 v[196:197], -v[190:191], v[194:195], 1.0
	v_fma_f64 v[194:195], v[194:195], v[196:197], v[194:195]
	v_div_scale_f64 v[196:197], vcc_lo, 1.0, v[188:189], 1.0
	s_delay_alu instid0(VALU_DEP_1) | instskip(NEXT) | instid1(VALU_DEP_1)
	v_mul_f64 v[198:199], v[196:197], v[194:195]
	v_fma_f64 v[190:191], -v[190:191], v[198:199], v[196:197]
	s_delay_alu instid0(VALU_DEP_1) | instskip(NEXT) | instid1(VALU_DEP_1)
	v_div_fmas_f64 v[190:191], v[190:191], v[194:195], v[198:199]
	v_div_fixup_f64 v[196:197], v[190:191], v[188:189], 1.0
	s_delay_alu instid0(VALU_DEP_1)
	v_mul_f64 v[194:195], v[192:193], -v[196:197]
.LBB83_250:
	s_or_b32 exec_lo, exec_lo, s3
	ds_store_2addr_b64 v251, v[196:197], v[194:195] offset1:1
.LBB83_251:
	s_or_b32 exec_lo, exec_lo, s4
	s_waitcnt lgkmcnt(0)
	s_barrier
	buffer_gl0_inv
	ds_load_2addr_b64 v[188:191], v251 offset1:1
	s_mov_b32 s3, exec_lo
	v_cmpx_lt_u32_e32 27, v250
	s_cbranch_execz .LBB83_253
; %bb.252:
	s_waitcnt lgkmcnt(0)
	v_mul_f64 v[192:193], v[188:189], v[58:59]
	v_mul_f64 v[58:59], v[190:191], v[58:59]
	ds_load_2addr_b64 v[194:197], v252 offset0:56 offset1:57
	v_fma_f64 v[192:193], v[190:191], v[56:57], v[192:193]
	v_fma_f64 v[56:57], v[188:189], v[56:57], -v[58:59]
	s_waitcnt lgkmcnt(0)
	s_delay_alu instid0(VALU_DEP_2) | instskip(NEXT) | instid1(VALU_DEP_1)
	v_mul_f64 v[58:59], v[196:197], v[192:193]
	v_fma_f64 v[58:59], v[194:195], v[56:57], -v[58:59]
	v_mul_f64 v[194:195], v[194:195], v[192:193]
	s_delay_alu instid0(VALU_DEP_2) | instskip(NEXT) | instid1(VALU_DEP_2)
	v_add_f64 v[52:53], v[52:53], -v[58:59]
	v_fma_f64 v[194:195], v[196:197], v[56:57], v[194:195]
	s_delay_alu instid0(VALU_DEP_1) | instskip(SKIP_3) | instid1(VALU_DEP_1)
	v_add_f64 v[54:55], v[54:55], -v[194:195]
	ds_load_2addr_b64 v[194:197], v252 offset0:58 offset1:59
	s_waitcnt lgkmcnt(0)
	v_mul_f64 v[58:59], v[196:197], v[192:193]
	v_fma_f64 v[58:59], v[194:195], v[56:57], -v[58:59]
	v_mul_f64 v[194:195], v[194:195], v[192:193]
	s_delay_alu instid0(VALU_DEP_2) | instskip(NEXT) | instid1(VALU_DEP_2)
	v_add_f64 v[48:49], v[48:49], -v[58:59]
	v_fma_f64 v[194:195], v[196:197], v[56:57], v[194:195]
	s_delay_alu instid0(VALU_DEP_1) | instskip(SKIP_3) | instid1(VALU_DEP_1)
	v_add_f64 v[50:51], v[50:51], -v[194:195]
	ds_load_2addr_b64 v[194:197], v252 offset0:60 offset1:61
	s_waitcnt lgkmcnt(0)
	v_mul_f64 v[58:59], v[196:197], v[192:193]
	v_fma_f64 v[58:59], v[194:195], v[56:57], -v[58:59]
	v_mul_f64 v[194:195], v[194:195], v[192:193]
	s_delay_alu instid0(VALU_DEP_2) | instskip(NEXT) | instid1(VALU_DEP_2)
	v_add_f64 v[44:45], v[44:45], -v[58:59]
	v_fma_f64 v[194:195], v[196:197], v[56:57], v[194:195]
	s_delay_alu instid0(VALU_DEP_1) | instskip(SKIP_3) | instid1(VALU_DEP_1)
	v_add_f64 v[46:47], v[46:47], -v[194:195]
	ds_load_2addr_b64 v[194:197], v252 offset0:62 offset1:63
	s_waitcnt lgkmcnt(0)
	v_mul_f64 v[58:59], v[196:197], v[192:193]
	v_fma_f64 v[58:59], v[194:195], v[56:57], -v[58:59]
	v_mul_f64 v[194:195], v[194:195], v[192:193]
	s_delay_alu instid0(VALU_DEP_2) | instskip(NEXT) | instid1(VALU_DEP_2)
	v_add_f64 v[40:41], v[40:41], -v[58:59]
	v_fma_f64 v[194:195], v[196:197], v[56:57], v[194:195]
	s_delay_alu instid0(VALU_DEP_1) | instskip(SKIP_3) | instid1(VALU_DEP_1)
	v_add_f64 v[42:43], v[42:43], -v[194:195]
	ds_load_2addr_b64 v[194:197], v252 offset0:64 offset1:65
	s_waitcnt lgkmcnt(0)
	v_mul_f64 v[58:59], v[196:197], v[192:193]
	v_fma_f64 v[58:59], v[194:195], v[56:57], -v[58:59]
	v_mul_f64 v[194:195], v[194:195], v[192:193]
	s_delay_alu instid0(VALU_DEP_2) | instskip(NEXT) | instid1(VALU_DEP_2)
	v_add_f64 v[36:37], v[36:37], -v[58:59]
	v_fma_f64 v[194:195], v[196:197], v[56:57], v[194:195]
	s_delay_alu instid0(VALU_DEP_1) | instskip(SKIP_3) | instid1(VALU_DEP_1)
	v_add_f64 v[38:39], v[38:39], -v[194:195]
	ds_load_2addr_b64 v[194:197], v252 offset0:66 offset1:67
	s_waitcnt lgkmcnt(0)
	v_mul_f64 v[58:59], v[196:197], v[192:193]
	v_fma_f64 v[58:59], v[194:195], v[56:57], -v[58:59]
	v_mul_f64 v[194:195], v[194:195], v[192:193]
	s_delay_alu instid0(VALU_DEP_2) | instskip(NEXT) | instid1(VALU_DEP_2)
	v_add_f64 v[32:33], v[32:33], -v[58:59]
	v_fma_f64 v[194:195], v[196:197], v[56:57], v[194:195]
	s_delay_alu instid0(VALU_DEP_1) | instskip(SKIP_3) | instid1(VALU_DEP_1)
	v_add_f64 v[34:35], v[34:35], -v[194:195]
	ds_load_2addr_b64 v[194:197], v252 offset0:68 offset1:69
	s_waitcnt lgkmcnt(0)
	v_mul_f64 v[58:59], v[196:197], v[192:193]
	v_fma_f64 v[58:59], v[194:195], v[56:57], -v[58:59]
	v_mul_f64 v[194:195], v[194:195], v[192:193]
	s_delay_alu instid0(VALU_DEP_2) | instskip(NEXT) | instid1(VALU_DEP_2)
	v_add_f64 v[28:29], v[28:29], -v[58:59]
	v_fma_f64 v[194:195], v[196:197], v[56:57], v[194:195]
	s_delay_alu instid0(VALU_DEP_1) | instskip(SKIP_3) | instid1(VALU_DEP_1)
	v_add_f64 v[30:31], v[30:31], -v[194:195]
	ds_load_2addr_b64 v[194:197], v252 offset0:70 offset1:71
	s_waitcnt lgkmcnt(0)
	v_mul_f64 v[58:59], v[196:197], v[192:193]
	v_fma_f64 v[58:59], v[194:195], v[56:57], -v[58:59]
	v_mul_f64 v[194:195], v[194:195], v[192:193]
	s_delay_alu instid0(VALU_DEP_2) | instskip(NEXT) | instid1(VALU_DEP_2)
	v_add_f64 v[24:25], v[24:25], -v[58:59]
	v_fma_f64 v[194:195], v[196:197], v[56:57], v[194:195]
	s_delay_alu instid0(VALU_DEP_1) | instskip(SKIP_3) | instid1(VALU_DEP_1)
	v_add_f64 v[26:27], v[26:27], -v[194:195]
	ds_load_2addr_b64 v[194:197], v252 offset0:72 offset1:73
	s_waitcnt lgkmcnt(0)
	v_mul_f64 v[58:59], v[196:197], v[192:193]
	v_fma_f64 v[58:59], v[194:195], v[56:57], -v[58:59]
	v_mul_f64 v[194:195], v[194:195], v[192:193]
	s_delay_alu instid0(VALU_DEP_2) | instskip(NEXT) | instid1(VALU_DEP_2)
	v_add_f64 v[20:21], v[20:21], -v[58:59]
	v_fma_f64 v[194:195], v[196:197], v[56:57], v[194:195]
	s_delay_alu instid0(VALU_DEP_1) | instskip(SKIP_3) | instid1(VALU_DEP_1)
	v_add_f64 v[22:23], v[22:23], -v[194:195]
	ds_load_2addr_b64 v[194:197], v252 offset0:74 offset1:75
	s_waitcnt lgkmcnt(0)
	v_mul_f64 v[58:59], v[196:197], v[192:193]
	v_fma_f64 v[58:59], v[194:195], v[56:57], -v[58:59]
	v_mul_f64 v[194:195], v[194:195], v[192:193]
	s_delay_alu instid0(VALU_DEP_2) | instskip(NEXT) | instid1(VALU_DEP_2)
	v_add_f64 v[16:17], v[16:17], -v[58:59]
	v_fma_f64 v[194:195], v[196:197], v[56:57], v[194:195]
	s_delay_alu instid0(VALU_DEP_1) | instskip(SKIP_3) | instid1(VALU_DEP_1)
	v_add_f64 v[18:19], v[18:19], -v[194:195]
	ds_load_2addr_b64 v[194:197], v252 offset0:76 offset1:77
	s_waitcnt lgkmcnt(0)
	v_mul_f64 v[58:59], v[196:197], v[192:193]
	v_fma_f64 v[58:59], v[194:195], v[56:57], -v[58:59]
	v_mul_f64 v[194:195], v[194:195], v[192:193]
	s_delay_alu instid0(VALU_DEP_2) | instskip(NEXT) | instid1(VALU_DEP_2)
	v_add_f64 v[12:13], v[12:13], -v[58:59]
	v_fma_f64 v[194:195], v[196:197], v[56:57], v[194:195]
	s_delay_alu instid0(VALU_DEP_1) | instskip(SKIP_3) | instid1(VALU_DEP_1)
	v_add_f64 v[14:15], v[14:15], -v[194:195]
	ds_load_2addr_b64 v[194:197], v252 offset0:78 offset1:79
	s_waitcnt lgkmcnt(0)
	v_mul_f64 v[58:59], v[196:197], v[192:193]
	v_fma_f64 v[58:59], v[194:195], v[56:57], -v[58:59]
	v_mul_f64 v[194:195], v[194:195], v[192:193]
	s_delay_alu instid0(VALU_DEP_2) | instskip(NEXT) | instid1(VALU_DEP_2)
	v_add_f64 v[8:9], v[8:9], -v[58:59]
	v_fma_f64 v[194:195], v[196:197], v[56:57], v[194:195]
	s_delay_alu instid0(VALU_DEP_1) | instskip(SKIP_3) | instid1(VALU_DEP_1)
	v_add_f64 v[10:11], v[10:11], -v[194:195]
	ds_load_2addr_b64 v[194:197], v252 offset0:80 offset1:81
	s_waitcnt lgkmcnt(0)
	v_mul_f64 v[58:59], v[196:197], v[192:193]
	v_fma_f64 v[58:59], v[194:195], v[56:57], -v[58:59]
	v_mul_f64 v[194:195], v[194:195], v[192:193]
	s_delay_alu instid0(VALU_DEP_2) | instskip(NEXT) | instid1(VALU_DEP_2)
	v_add_f64 v[4:5], v[4:5], -v[58:59]
	v_fma_f64 v[194:195], v[196:197], v[56:57], v[194:195]
	s_delay_alu instid0(VALU_DEP_1) | instskip(SKIP_3) | instid1(VALU_DEP_1)
	v_add_f64 v[6:7], v[6:7], -v[194:195]
	ds_load_2addr_b64 v[194:197], v252 offset0:82 offset1:83
	s_waitcnt lgkmcnt(0)
	v_mul_f64 v[58:59], v[196:197], v[192:193]
	v_fma_f64 v[58:59], v[194:195], v[56:57], -v[58:59]
	v_mul_f64 v[194:195], v[194:195], v[192:193]
	s_delay_alu instid0(VALU_DEP_2) | instskip(NEXT) | instid1(VALU_DEP_2)
	v_add_f64 v[0:1], v[0:1], -v[58:59]
	v_fma_f64 v[194:195], v[196:197], v[56:57], v[194:195]
	v_dual_mov_b32 v58, v192 :: v_dual_mov_b32 v59, v193
	s_delay_alu instid0(VALU_DEP_2)
	v_add_f64 v[2:3], v[2:3], -v[194:195]
.LBB83_253:
	s_or_b32 exec_lo, exec_lo, s3
	s_delay_alu instid0(SALU_CYCLE_1)
	s_mov_b32 s4, exec_lo
	s_waitcnt lgkmcnt(0)
	s_barrier
	buffer_gl0_inv
	v_cmpx_eq_u32_e32 28, v250
	s_cbranch_execz .LBB83_260
; %bb.254:
	ds_store_2addr_b64 v251, v[52:53], v[54:55] offset1:1
	ds_store_2addr_b64 v252, v[48:49], v[50:51] offset0:58 offset1:59
	ds_store_2addr_b64 v252, v[44:45], v[46:47] offset0:60 offset1:61
	;; [unrolled: 1-line block ×13, first 2 shown]
	ds_load_2addr_b64 v[192:195], v251 offset1:1
	s_waitcnt lgkmcnt(0)
	v_cmp_neq_f64_e32 vcc_lo, 0, v[192:193]
	v_cmp_neq_f64_e64 s3, 0, v[194:195]
	s_delay_alu instid0(VALU_DEP_1) | instskip(NEXT) | instid1(SALU_CYCLE_1)
	s_or_b32 s3, vcc_lo, s3
	s_and_b32 exec_lo, exec_lo, s3
	s_cbranch_execz .LBB83_260
; %bb.255:
	v_cmp_gt_f64_e32 vcc_lo, 0, v[192:193]
	v_xor_b32_e32 v168, 0x80000000, v193
	s_mov_b32 s3, exec_lo
                                        ; implicit-def: $vgpr200_vgpr201
	s_delay_alu instid0(VALU_DEP_1) | instskip(SKIP_3) | instid1(VALU_DEP_1)
	v_cndmask_b32_e32 v197, v193, v168, vcc_lo
	v_cndmask_b32_e32 v196, v192, v192, vcc_lo
	v_cmp_gt_f64_e32 vcc_lo, 0, v[194:195]
	v_xor_b32_e32 v168, 0x80000000, v195
	v_dual_cndmask_b32 v198, v194, v194 :: v_dual_cndmask_b32 v199, v195, v168
	s_delay_alu instid0(VALU_DEP_1)
	v_cmpx_ngt_f64_e32 v[196:197], v[198:199]
	s_xor_b32 s3, exec_lo, s3
                                        ; implicit-def: $vgpr196_vgpr197_vgpr198_vgpr199
	s_cbranch_execz .LBB83_257
; %bb.256:
	v_div_scale_f64 v[196:197], null, v[194:195], v[194:195], v[192:193]
	v_div_scale_f64 v[202:203], vcc_lo, v[192:193], v[194:195], v[192:193]
	s_delay_alu instid0(VALU_DEP_2) | instskip(SKIP_2) | instid1(VALU_DEP_1)
	v_rcp_f64_e32 v[198:199], v[196:197]
	s_waitcnt_depctr 0xfff
	v_fma_f64 v[200:201], -v[196:197], v[198:199], 1.0
	v_fma_f64 v[198:199], v[198:199], v[200:201], v[198:199]
	s_delay_alu instid0(VALU_DEP_1) | instskip(NEXT) | instid1(VALU_DEP_1)
	v_fma_f64 v[200:201], -v[196:197], v[198:199], 1.0
	v_fma_f64 v[198:199], v[198:199], v[200:201], v[198:199]
	s_delay_alu instid0(VALU_DEP_1) | instskip(NEXT) | instid1(VALU_DEP_1)
	v_mul_f64 v[200:201], v[202:203], v[198:199]
	v_fma_f64 v[196:197], -v[196:197], v[200:201], v[202:203]
	s_delay_alu instid0(VALU_DEP_1) | instskip(NEXT) | instid1(VALU_DEP_1)
	v_div_fmas_f64 v[196:197], v[196:197], v[198:199], v[200:201]
	v_div_fixup_f64 v[196:197], v[196:197], v[194:195], v[192:193]
	s_delay_alu instid0(VALU_DEP_1) | instskip(NEXT) | instid1(VALU_DEP_1)
	v_fma_f64 v[192:193], v[192:193], v[196:197], v[194:195]
	v_div_scale_f64 v[194:195], null, v[192:193], v[192:193], 1.0
	s_delay_alu instid0(VALU_DEP_1) | instskip(SKIP_2) | instid1(VALU_DEP_1)
	v_rcp_f64_e32 v[198:199], v[194:195]
	s_waitcnt_depctr 0xfff
	v_fma_f64 v[200:201], -v[194:195], v[198:199], 1.0
	v_fma_f64 v[198:199], v[198:199], v[200:201], v[198:199]
	s_delay_alu instid0(VALU_DEP_1) | instskip(NEXT) | instid1(VALU_DEP_1)
	v_fma_f64 v[200:201], -v[194:195], v[198:199], 1.0
	v_fma_f64 v[198:199], v[198:199], v[200:201], v[198:199]
	v_div_scale_f64 v[200:201], vcc_lo, 1.0, v[192:193], 1.0
	s_delay_alu instid0(VALU_DEP_1) | instskip(NEXT) | instid1(VALU_DEP_1)
	v_mul_f64 v[202:203], v[200:201], v[198:199]
	v_fma_f64 v[194:195], -v[194:195], v[202:203], v[200:201]
	s_delay_alu instid0(VALU_DEP_1) | instskip(NEXT) | instid1(VALU_DEP_1)
	v_div_fmas_f64 v[194:195], v[194:195], v[198:199], v[202:203]
	v_div_fixup_f64 v[198:199], v[194:195], v[192:193], 1.0
                                        ; implicit-def: $vgpr192_vgpr193
	s_delay_alu instid0(VALU_DEP_1)
	v_mul_f64 v[200:201], v[196:197], v[198:199]
	v_xor_b32_e32 v199, 0x80000000, v199
.LBB83_257:
	s_and_not1_saveexec_b32 s3, s3
	s_cbranch_execz .LBB83_259
; %bb.258:
	v_div_scale_f64 v[196:197], null, v[192:193], v[192:193], v[194:195]
	v_div_scale_f64 v[202:203], vcc_lo, v[194:195], v[192:193], v[194:195]
	s_delay_alu instid0(VALU_DEP_2) | instskip(SKIP_2) | instid1(VALU_DEP_1)
	v_rcp_f64_e32 v[198:199], v[196:197]
	s_waitcnt_depctr 0xfff
	v_fma_f64 v[200:201], -v[196:197], v[198:199], 1.0
	v_fma_f64 v[198:199], v[198:199], v[200:201], v[198:199]
	s_delay_alu instid0(VALU_DEP_1) | instskip(NEXT) | instid1(VALU_DEP_1)
	v_fma_f64 v[200:201], -v[196:197], v[198:199], 1.0
	v_fma_f64 v[198:199], v[198:199], v[200:201], v[198:199]
	s_delay_alu instid0(VALU_DEP_1) | instskip(NEXT) | instid1(VALU_DEP_1)
	v_mul_f64 v[200:201], v[202:203], v[198:199]
	v_fma_f64 v[196:197], -v[196:197], v[200:201], v[202:203]
	s_delay_alu instid0(VALU_DEP_1) | instskip(NEXT) | instid1(VALU_DEP_1)
	v_div_fmas_f64 v[196:197], v[196:197], v[198:199], v[200:201]
	v_div_fixup_f64 v[196:197], v[196:197], v[192:193], v[194:195]
	s_delay_alu instid0(VALU_DEP_1) | instskip(NEXT) | instid1(VALU_DEP_1)
	v_fma_f64 v[192:193], v[194:195], v[196:197], v[192:193]
	v_div_scale_f64 v[194:195], null, v[192:193], v[192:193], 1.0
	s_delay_alu instid0(VALU_DEP_1) | instskip(SKIP_2) | instid1(VALU_DEP_1)
	v_rcp_f64_e32 v[198:199], v[194:195]
	s_waitcnt_depctr 0xfff
	v_fma_f64 v[200:201], -v[194:195], v[198:199], 1.0
	v_fma_f64 v[198:199], v[198:199], v[200:201], v[198:199]
	s_delay_alu instid0(VALU_DEP_1) | instskip(NEXT) | instid1(VALU_DEP_1)
	v_fma_f64 v[200:201], -v[194:195], v[198:199], 1.0
	v_fma_f64 v[198:199], v[198:199], v[200:201], v[198:199]
	v_div_scale_f64 v[200:201], vcc_lo, 1.0, v[192:193], 1.0
	s_delay_alu instid0(VALU_DEP_1) | instskip(NEXT) | instid1(VALU_DEP_1)
	v_mul_f64 v[202:203], v[200:201], v[198:199]
	v_fma_f64 v[194:195], -v[194:195], v[202:203], v[200:201]
	s_delay_alu instid0(VALU_DEP_1) | instskip(NEXT) | instid1(VALU_DEP_1)
	v_div_fmas_f64 v[194:195], v[194:195], v[198:199], v[202:203]
	v_div_fixup_f64 v[200:201], v[194:195], v[192:193], 1.0
	s_delay_alu instid0(VALU_DEP_1)
	v_mul_f64 v[198:199], v[196:197], -v[200:201]
.LBB83_259:
	s_or_b32 exec_lo, exec_lo, s3
	ds_store_2addr_b64 v251, v[200:201], v[198:199] offset1:1
.LBB83_260:
	s_or_b32 exec_lo, exec_lo, s4
	s_waitcnt lgkmcnt(0)
	s_barrier
	buffer_gl0_inv
	ds_load_2addr_b64 v[192:195], v251 offset1:1
	s_mov_b32 s3, exec_lo
	v_cmpx_lt_u32_e32 28, v250
	s_cbranch_execz .LBB83_262
; %bb.261:
	s_waitcnt lgkmcnt(0)
	v_mul_f64 v[196:197], v[192:193], v[54:55]
	v_mul_f64 v[54:55], v[194:195], v[54:55]
	ds_load_2addr_b64 v[198:201], v252 offset0:58 offset1:59
	v_fma_f64 v[196:197], v[194:195], v[52:53], v[196:197]
	v_fma_f64 v[52:53], v[192:193], v[52:53], -v[54:55]
	s_waitcnt lgkmcnt(0)
	s_delay_alu instid0(VALU_DEP_2) | instskip(NEXT) | instid1(VALU_DEP_1)
	v_mul_f64 v[54:55], v[200:201], v[196:197]
	v_fma_f64 v[54:55], v[198:199], v[52:53], -v[54:55]
	v_mul_f64 v[198:199], v[198:199], v[196:197]
	s_delay_alu instid0(VALU_DEP_2) | instskip(NEXT) | instid1(VALU_DEP_2)
	v_add_f64 v[48:49], v[48:49], -v[54:55]
	v_fma_f64 v[198:199], v[200:201], v[52:53], v[198:199]
	s_delay_alu instid0(VALU_DEP_1) | instskip(SKIP_3) | instid1(VALU_DEP_1)
	v_add_f64 v[50:51], v[50:51], -v[198:199]
	ds_load_2addr_b64 v[198:201], v252 offset0:60 offset1:61
	s_waitcnt lgkmcnt(0)
	v_mul_f64 v[54:55], v[200:201], v[196:197]
	v_fma_f64 v[54:55], v[198:199], v[52:53], -v[54:55]
	v_mul_f64 v[198:199], v[198:199], v[196:197]
	s_delay_alu instid0(VALU_DEP_2) | instskip(NEXT) | instid1(VALU_DEP_2)
	v_add_f64 v[44:45], v[44:45], -v[54:55]
	v_fma_f64 v[198:199], v[200:201], v[52:53], v[198:199]
	s_delay_alu instid0(VALU_DEP_1) | instskip(SKIP_3) | instid1(VALU_DEP_1)
	v_add_f64 v[46:47], v[46:47], -v[198:199]
	ds_load_2addr_b64 v[198:201], v252 offset0:62 offset1:63
	s_waitcnt lgkmcnt(0)
	;; [unrolled: 10-line block ×12, first 2 shown]
	v_mul_f64 v[54:55], v[200:201], v[196:197]
	v_fma_f64 v[54:55], v[198:199], v[52:53], -v[54:55]
	v_mul_f64 v[198:199], v[198:199], v[196:197]
	s_delay_alu instid0(VALU_DEP_2) | instskip(NEXT) | instid1(VALU_DEP_2)
	v_add_f64 v[0:1], v[0:1], -v[54:55]
	v_fma_f64 v[198:199], v[200:201], v[52:53], v[198:199]
	v_dual_mov_b32 v54, v196 :: v_dual_mov_b32 v55, v197
	s_delay_alu instid0(VALU_DEP_2)
	v_add_f64 v[2:3], v[2:3], -v[198:199]
.LBB83_262:
	s_or_b32 exec_lo, exec_lo, s3
	s_delay_alu instid0(SALU_CYCLE_1)
	s_mov_b32 s4, exec_lo
	s_waitcnt lgkmcnt(0)
	s_barrier
	buffer_gl0_inv
	v_cmpx_eq_u32_e32 29, v250
	s_cbranch_execz .LBB83_269
; %bb.263:
	ds_store_2addr_b64 v251, v[48:49], v[50:51] offset1:1
	ds_store_2addr_b64 v252, v[44:45], v[46:47] offset0:60 offset1:61
	ds_store_2addr_b64 v252, v[40:41], v[42:43] offset0:62 offset1:63
	;; [unrolled: 1-line block ×12, first 2 shown]
	ds_load_2addr_b64 v[196:199], v251 offset1:1
	s_waitcnt lgkmcnt(0)
	v_cmp_neq_f64_e32 vcc_lo, 0, v[196:197]
	v_cmp_neq_f64_e64 s3, 0, v[198:199]
	s_delay_alu instid0(VALU_DEP_1) | instskip(NEXT) | instid1(SALU_CYCLE_1)
	s_or_b32 s3, vcc_lo, s3
	s_and_b32 exec_lo, exec_lo, s3
	s_cbranch_execz .LBB83_269
; %bb.264:
	v_cmp_gt_f64_e32 vcc_lo, 0, v[196:197]
	v_xor_b32_e32 v168, 0x80000000, v197
	s_mov_b32 s3, exec_lo
                                        ; implicit-def: $vgpr204_vgpr205
	s_delay_alu instid0(VALU_DEP_1) | instskip(SKIP_3) | instid1(VALU_DEP_1)
	v_cndmask_b32_e32 v201, v197, v168, vcc_lo
	v_cndmask_b32_e32 v200, v196, v196, vcc_lo
	v_cmp_gt_f64_e32 vcc_lo, 0, v[198:199]
	v_xor_b32_e32 v168, 0x80000000, v199
	v_dual_cndmask_b32 v202, v198, v198 :: v_dual_cndmask_b32 v203, v199, v168
	s_delay_alu instid0(VALU_DEP_1)
	v_cmpx_ngt_f64_e32 v[200:201], v[202:203]
	s_xor_b32 s3, exec_lo, s3
                                        ; implicit-def: $vgpr200_vgpr201_vgpr202_vgpr203
	s_cbranch_execz .LBB83_266
; %bb.265:
	v_div_scale_f64 v[200:201], null, v[198:199], v[198:199], v[196:197]
	v_div_scale_f64 v[206:207], vcc_lo, v[196:197], v[198:199], v[196:197]
	s_delay_alu instid0(VALU_DEP_2) | instskip(SKIP_2) | instid1(VALU_DEP_1)
	v_rcp_f64_e32 v[202:203], v[200:201]
	s_waitcnt_depctr 0xfff
	v_fma_f64 v[204:205], -v[200:201], v[202:203], 1.0
	v_fma_f64 v[202:203], v[202:203], v[204:205], v[202:203]
	s_delay_alu instid0(VALU_DEP_1) | instskip(NEXT) | instid1(VALU_DEP_1)
	v_fma_f64 v[204:205], -v[200:201], v[202:203], 1.0
	v_fma_f64 v[202:203], v[202:203], v[204:205], v[202:203]
	s_delay_alu instid0(VALU_DEP_1) | instskip(NEXT) | instid1(VALU_DEP_1)
	v_mul_f64 v[204:205], v[206:207], v[202:203]
	v_fma_f64 v[200:201], -v[200:201], v[204:205], v[206:207]
	s_delay_alu instid0(VALU_DEP_1) | instskip(NEXT) | instid1(VALU_DEP_1)
	v_div_fmas_f64 v[200:201], v[200:201], v[202:203], v[204:205]
	v_div_fixup_f64 v[200:201], v[200:201], v[198:199], v[196:197]
	s_delay_alu instid0(VALU_DEP_1) | instskip(NEXT) | instid1(VALU_DEP_1)
	v_fma_f64 v[196:197], v[196:197], v[200:201], v[198:199]
	v_div_scale_f64 v[198:199], null, v[196:197], v[196:197], 1.0
	s_delay_alu instid0(VALU_DEP_1) | instskip(SKIP_2) | instid1(VALU_DEP_1)
	v_rcp_f64_e32 v[202:203], v[198:199]
	s_waitcnt_depctr 0xfff
	v_fma_f64 v[204:205], -v[198:199], v[202:203], 1.0
	v_fma_f64 v[202:203], v[202:203], v[204:205], v[202:203]
	s_delay_alu instid0(VALU_DEP_1) | instskip(NEXT) | instid1(VALU_DEP_1)
	v_fma_f64 v[204:205], -v[198:199], v[202:203], 1.0
	v_fma_f64 v[202:203], v[202:203], v[204:205], v[202:203]
	v_div_scale_f64 v[204:205], vcc_lo, 1.0, v[196:197], 1.0
	s_delay_alu instid0(VALU_DEP_1) | instskip(NEXT) | instid1(VALU_DEP_1)
	v_mul_f64 v[206:207], v[204:205], v[202:203]
	v_fma_f64 v[198:199], -v[198:199], v[206:207], v[204:205]
	s_delay_alu instid0(VALU_DEP_1) | instskip(NEXT) | instid1(VALU_DEP_1)
	v_div_fmas_f64 v[198:199], v[198:199], v[202:203], v[206:207]
	v_div_fixup_f64 v[202:203], v[198:199], v[196:197], 1.0
                                        ; implicit-def: $vgpr196_vgpr197
	s_delay_alu instid0(VALU_DEP_1)
	v_mul_f64 v[204:205], v[200:201], v[202:203]
	v_xor_b32_e32 v203, 0x80000000, v203
.LBB83_266:
	s_and_not1_saveexec_b32 s3, s3
	s_cbranch_execz .LBB83_268
; %bb.267:
	v_div_scale_f64 v[200:201], null, v[196:197], v[196:197], v[198:199]
	v_div_scale_f64 v[206:207], vcc_lo, v[198:199], v[196:197], v[198:199]
	s_delay_alu instid0(VALU_DEP_2) | instskip(SKIP_2) | instid1(VALU_DEP_1)
	v_rcp_f64_e32 v[202:203], v[200:201]
	s_waitcnt_depctr 0xfff
	v_fma_f64 v[204:205], -v[200:201], v[202:203], 1.0
	v_fma_f64 v[202:203], v[202:203], v[204:205], v[202:203]
	s_delay_alu instid0(VALU_DEP_1) | instskip(NEXT) | instid1(VALU_DEP_1)
	v_fma_f64 v[204:205], -v[200:201], v[202:203], 1.0
	v_fma_f64 v[202:203], v[202:203], v[204:205], v[202:203]
	s_delay_alu instid0(VALU_DEP_1) | instskip(NEXT) | instid1(VALU_DEP_1)
	v_mul_f64 v[204:205], v[206:207], v[202:203]
	v_fma_f64 v[200:201], -v[200:201], v[204:205], v[206:207]
	s_delay_alu instid0(VALU_DEP_1) | instskip(NEXT) | instid1(VALU_DEP_1)
	v_div_fmas_f64 v[200:201], v[200:201], v[202:203], v[204:205]
	v_div_fixup_f64 v[200:201], v[200:201], v[196:197], v[198:199]
	s_delay_alu instid0(VALU_DEP_1) | instskip(NEXT) | instid1(VALU_DEP_1)
	v_fma_f64 v[196:197], v[198:199], v[200:201], v[196:197]
	v_div_scale_f64 v[198:199], null, v[196:197], v[196:197], 1.0
	s_delay_alu instid0(VALU_DEP_1) | instskip(SKIP_2) | instid1(VALU_DEP_1)
	v_rcp_f64_e32 v[202:203], v[198:199]
	s_waitcnt_depctr 0xfff
	v_fma_f64 v[204:205], -v[198:199], v[202:203], 1.0
	v_fma_f64 v[202:203], v[202:203], v[204:205], v[202:203]
	s_delay_alu instid0(VALU_DEP_1) | instskip(NEXT) | instid1(VALU_DEP_1)
	v_fma_f64 v[204:205], -v[198:199], v[202:203], 1.0
	v_fma_f64 v[202:203], v[202:203], v[204:205], v[202:203]
	v_div_scale_f64 v[204:205], vcc_lo, 1.0, v[196:197], 1.0
	s_delay_alu instid0(VALU_DEP_1) | instskip(NEXT) | instid1(VALU_DEP_1)
	v_mul_f64 v[206:207], v[204:205], v[202:203]
	v_fma_f64 v[198:199], -v[198:199], v[206:207], v[204:205]
	s_delay_alu instid0(VALU_DEP_1) | instskip(NEXT) | instid1(VALU_DEP_1)
	v_div_fmas_f64 v[198:199], v[198:199], v[202:203], v[206:207]
	v_div_fixup_f64 v[204:205], v[198:199], v[196:197], 1.0
	s_delay_alu instid0(VALU_DEP_1)
	v_mul_f64 v[202:203], v[200:201], -v[204:205]
.LBB83_268:
	s_or_b32 exec_lo, exec_lo, s3
	ds_store_2addr_b64 v251, v[204:205], v[202:203] offset1:1
.LBB83_269:
	s_or_b32 exec_lo, exec_lo, s4
	s_waitcnt lgkmcnt(0)
	s_barrier
	buffer_gl0_inv
	ds_load_2addr_b64 v[196:199], v251 offset1:1
	s_mov_b32 s3, exec_lo
	v_cmpx_lt_u32_e32 29, v250
	s_cbranch_execz .LBB83_271
; %bb.270:
	s_waitcnt lgkmcnt(0)
	v_mul_f64 v[200:201], v[196:197], v[50:51]
	v_mul_f64 v[50:51], v[198:199], v[50:51]
	s_delay_alu instid0(VALU_DEP_2) | instskip(SKIP_4) | instid1(VALU_DEP_1)
	v_fma_f64 v[204:205], v[198:199], v[48:49], v[200:201]
	ds_load_2addr_b64 v[200:203], v252 offset0:60 offset1:61
	v_fma_f64 v[48:49], v[196:197], v[48:49], -v[50:51]
	s_waitcnt lgkmcnt(0)
	v_mul_f64 v[50:51], v[202:203], v[204:205]
	v_fma_f64 v[50:51], v[200:201], v[48:49], -v[50:51]
	v_mul_f64 v[200:201], v[200:201], v[204:205]
	s_delay_alu instid0(VALU_DEP_2) | instskip(NEXT) | instid1(VALU_DEP_2)
	v_add_f64 v[44:45], v[44:45], -v[50:51]
	v_fma_f64 v[200:201], v[202:203], v[48:49], v[200:201]
	s_delay_alu instid0(VALU_DEP_1) | instskip(SKIP_3) | instid1(VALU_DEP_1)
	v_add_f64 v[46:47], v[46:47], -v[200:201]
	ds_load_2addr_b64 v[200:203], v252 offset0:62 offset1:63
	s_waitcnt lgkmcnt(0)
	v_mul_f64 v[50:51], v[202:203], v[204:205]
	v_fma_f64 v[50:51], v[200:201], v[48:49], -v[50:51]
	v_mul_f64 v[200:201], v[200:201], v[204:205]
	s_delay_alu instid0(VALU_DEP_2) | instskip(NEXT) | instid1(VALU_DEP_2)
	v_add_f64 v[40:41], v[40:41], -v[50:51]
	v_fma_f64 v[200:201], v[202:203], v[48:49], v[200:201]
	s_delay_alu instid0(VALU_DEP_1) | instskip(SKIP_3) | instid1(VALU_DEP_1)
	v_add_f64 v[42:43], v[42:43], -v[200:201]
	ds_load_2addr_b64 v[200:203], v252 offset0:64 offset1:65
	s_waitcnt lgkmcnt(0)
	v_mul_f64 v[50:51], v[202:203], v[204:205]
	v_fma_f64 v[50:51], v[200:201], v[48:49], -v[50:51]
	v_mul_f64 v[200:201], v[200:201], v[204:205]
	s_delay_alu instid0(VALU_DEP_2) | instskip(NEXT) | instid1(VALU_DEP_2)
	v_add_f64 v[36:37], v[36:37], -v[50:51]
	v_fma_f64 v[200:201], v[202:203], v[48:49], v[200:201]
	s_delay_alu instid0(VALU_DEP_1) | instskip(SKIP_3) | instid1(VALU_DEP_1)
	v_add_f64 v[38:39], v[38:39], -v[200:201]
	ds_load_2addr_b64 v[200:203], v252 offset0:66 offset1:67
	s_waitcnt lgkmcnt(0)
	v_mul_f64 v[50:51], v[202:203], v[204:205]
	v_fma_f64 v[50:51], v[200:201], v[48:49], -v[50:51]
	v_mul_f64 v[200:201], v[200:201], v[204:205]
	s_delay_alu instid0(VALU_DEP_2) | instskip(NEXT) | instid1(VALU_DEP_2)
	v_add_f64 v[32:33], v[32:33], -v[50:51]
	v_fma_f64 v[200:201], v[202:203], v[48:49], v[200:201]
	s_delay_alu instid0(VALU_DEP_1) | instskip(SKIP_3) | instid1(VALU_DEP_1)
	v_add_f64 v[34:35], v[34:35], -v[200:201]
	ds_load_2addr_b64 v[200:203], v252 offset0:68 offset1:69
	s_waitcnt lgkmcnt(0)
	v_mul_f64 v[50:51], v[202:203], v[204:205]
	v_fma_f64 v[50:51], v[200:201], v[48:49], -v[50:51]
	v_mul_f64 v[200:201], v[200:201], v[204:205]
	s_delay_alu instid0(VALU_DEP_2) | instskip(NEXT) | instid1(VALU_DEP_2)
	v_add_f64 v[28:29], v[28:29], -v[50:51]
	v_fma_f64 v[200:201], v[202:203], v[48:49], v[200:201]
	s_delay_alu instid0(VALU_DEP_1) | instskip(SKIP_3) | instid1(VALU_DEP_1)
	v_add_f64 v[30:31], v[30:31], -v[200:201]
	ds_load_2addr_b64 v[200:203], v252 offset0:70 offset1:71
	s_waitcnt lgkmcnt(0)
	v_mul_f64 v[50:51], v[202:203], v[204:205]
	v_fma_f64 v[50:51], v[200:201], v[48:49], -v[50:51]
	v_mul_f64 v[200:201], v[200:201], v[204:205]
	s_delay_alu instid0(VALU_DEP_2) | instskip(NEXT) | instid1(VALU_DEP_2)
	v_add_f64 v[24:25], v[24:25], -v[50:51]
	v_fma_f64 v[200:201], v[202:203], v[48:49], v[200:201]
	s_delay_alu instid0(VALU_DEP_1) | instskip(SKIP_3) | instid1(VALU_DEP_1)
	v_add_f64 v[26:27], v[26:27], -v[200:201]
	ds_load_2addr_b64 v[200:203], v252 offset0:72 offset1:73
	s_waitcnt lgkmcnt(0)
	v_mul_f64 v[50:51], v[202:203], v[204:205]
	v_fma_f64 v[50:51], v[200:201], v[48:49], -v[50:51]
	v_mul_f64 v[200:201], v[200:201], v[204:205]
	s_delay_alu instid0(VALU_DEP_2) | instskip(NEXT) | instid1(VALU_DEP_2)
	v_add_f64 v[20:21], v[20:21], -v[50:51]
	v_fma_f64 v[200:201], v[202:203], v[48:49], v[200:201]
	s_delay_alu instid0(VALU_DEP_1) | instskip(SKIP_3) | instid1(VALU_DEP_1)
	v_add_f64 v[22:23], v[22:23], -v[200:201]
	ds_load_2addr_b64 v[200:203], v252 offset0:74 offset1:75
	s_waitcnt lgkmcnt(0)
	v_mul_f64 v[50:51], v[202:203], v[204:205]
	v_fma_f64 v[50:51], v[200:201], v[48:49], -v[50:51]
	v_mul_f64 v[200:201], v[200:201], v[204:205]
	s_delay_alu instid0(VALU_DEP_2) | instskip(NEXT) | instid1(VALU_DEP_2)
	v_add_f64 v[16:17], v[16:17], -v[50:51]
	v_fma_f64 v[200:201], v[202:203], v[48:49], v[200:201]
	s_delay_alu instid0(VALU_DEP_1) | instskip(SKIP_3) | instid1(VALU_DEP_1)
	v_add_f64 v[18:19], v[18:19], -v[200:201]
	ds_load_2addr_b64 v[200:203], v252 offset0:76 offset1:77
	s_waitcnt lgkmcnt(0)
	v_mul_f64 v[50:51], v[202:203], v[204:205]
	v_fma_f64 v[50:51], v[200:201], v[48:49], -v[50:51]
	v_mul_f64 v[200:201], v[200:201], v[204:205]
	s_delay_alu instid0(VALU_DEP_2) | instskip(NEXT) | instid1(VALU_DEP_2)
	v_add_f64 v[12:13], v[12:13], -v[50:51]
	v_fma_f64 v[200:201], v[202:203], v[48:49], v[200:201]
	s_delay_alu instid0(VALU_DEP_1) | instskip(SKIP_3) | instid1(VALU_DEP_1)
	v_add_f64 v[14:15], v[14:15], -v[200:201]
	ds_load_2addr_b64 v[200:203], v252 offset0:78 offset1:79
	s_waitcnt lgkmcnt(0)
	v_mul_f64 v[50:51], v[202:203], v[204:205]
	v_fma_f64 v[50:51], v[200:201], v[48:49], -v[50:51]
	v_mul_f64 v[200:201], v[200:201], v[204:205]
	s_delay_alu instid0(VALU_DEP_2) | instskip(NEXT) | instid1(VALU_DEP_2)
	v_add_f64 v[8:9], v[8:9], -v[50:51]
	v_fma_f64 v[200:201], v[202:203], v[48:49], v[200:201]
	s_delay_alu instid0(VALU_DEP_1) | instskip(SKIP_3) | instid1(VALU_DEP_1)
	v_add_f64 v[10:11], v[10:11], -v[200:201]
	ds_load_2addr_b64 v[200:203], v252 offset0:80 offset1:81
	s_waitcnt lgkmcnt(0)
	v_mul_f64 v[50:51], v[202:203], v[204:205]
	v_fma_f64 v[50:51], v[200:201], v[48:49], -v[50:51]
	v_mul_f64 v[200:201], v[200:201], v[204:205]
	s_delay_alu instid0(VALU_DEP_2) | instskip(NEXT) | instid1(VALU_DEP_2)
	v_add_f64 v[4:5], v[4:5], -v[50:51]
	v_fma_f64 v[200:201], v[202:203], v[48:49], v[200:201]
	s_delay_alu instid0(VALU_DEP_1) | instskip(SKIP_3) | instid1(VALU_DEP_1)
	v_add_f64 v[6:7], v[6:7], -v[200:201]
	ds_load_2addr_b64 v[200:203], v252 offset0:82 offset1:83
	s_waitcnt lgkmcnt(0)
	v_mul_f64 v[50:51], v[202:203], v[204:205]
	v_fma_f64 v[50:51], v[200:201], v[48:49], -v[50:51]
	v_mul_f64 v[200:201], v[200:201], v[204:205]
	s_delay_alu instid0(VALU_DEP_2) | instskip(NEXT) | instid1(VALU_DEP_2)
	v_add_f64 v[0:1], v[0:1], -v[50:51]
	v_fma_f64 v[200:201], v[202:203], v[48:49], v[200:201]
	v_dual_mov_b32 v50, v204 :: v_dual_mov_b32 v51, v205
	s_delay_alu instid0(VALU_DEP_2)
	v_add_f64 v[2:3], v[2:3], -v[200:201]
.LBB83_271:
	s_or_b32 exec_lo, exec_lo, s3
	s_delay_alu instid0(SALU_CYCLE_1)
	s_mov_b32 s4, exec_lo
	s_waitcnt lgkmcnt(0)
	s_barrier
	buffer_gl0_inv
	v_cmpx_eq_u32_e32 30, v250
	s_cbranch_execz .LBB83_278
; %bb.272:
	ds_store_2addr_b64 v251, v[44:45], v[46:47] offset1:1
	ds_store_2addr_b64 v252, v[40:41], v[42:43] offset0:62 offset1:63
	ds_store_2addr_b64 v252, v[36:37], v[38:39] offset0:64 offset1:65
	;; [unrolled: 1-line block ×11, first 2 shown]
	ds_load_2addr_b64 v[200:203], v251 offset1:1
	s_waitcnt lgkmcnt(0)
	v_cmp_neq_f64_e32 vcc_lo, 0, v[200:201]
	v_cmp_neq_f64_e64 s3, 0, v[202:203]
	s_delay_alu instid0(VALU_DEP_1) | instskip(NEXT) | instid1(SALU_CYCLE_1)
	s_or_b32 s3, vcc_lo, s3
	s_and_b32 exec_lo, exec_lo, s3
	s_cbranch_execz .LBB83_278
; %bb.273:
	v_cmp_gt_f64_e32 vcc_lo, 0, v[200:201]
	v_xor_b32_e32 v168, 0x80000000, v201
	s_mov_b32 s3, exec_lo
                                        ; implicit-def: $vgpr208_vgpr209
	s_delay_alu instid0(VALU_DEP_1) | instskip(SKIP_3) | instid1(VALU_DEP_1)
	v_cndmask_b32_e32 v205, v201, v168, vcc_lo
	v_cndmask_b32_e32 v204, v200, v200, vcc_lo
	v_cmp_gt_f64_e32 vcc_lo, 0, v[202:203]
	v_xor_b32_e32 v168, 0x80000000, v203
	v_dual_cndmask_b32 v206, v202, v202 :: v_dual_cndmask_b32 v207, v203, v168
	s_delay_alu instid0(VALU_DEP_1)
	v_cmpx_ngt_f64_e32 v[204:205], v[206:207]
	s_xor_b32 s3, exec_lo, s3
                                        ; implicit-def: $vgpr204_vgpr205_vgpr206_vgpr207
	s_cbranch_execz .LBB83_275
; %bb.274:
	v_div_scale_f64 v[204:205], null, v[202:203], v[202:203], v[200:201]
	v_div_scale_f64 v[210:211], vcc_lo, v[200:201], v[202:203], v[200:201]
	s_delay_alu instid0(VALU_DEP_2) | instskip(SKIP_2) | instid1(VALU_DEP_1)
	v_rcp_f64_e32 v[206:207], v[204:205]
	s_waitcnt_depctr 0xfff
	v_fma_f64 v[208:209], -v[204:205], v[206:207], 1.0
	v_fma_f64 v[206:207], v[206:207], v[208:209], v[206:207]
	s_delay_alu instid0(VALU_DEP_1) | instskip(NEXT) | instid1(VALU_DEP_1)
	v_fma_f64 v[208:209], -v[204:205], v[206:207], 1.0
	v_fma_f64 v[206:207], v[206:207], v[208:209], v[206:207]
	s_delay_alu instid0(VALU_DEP_1) | instskip(NEXT) | instid1(VALU_DEP_1)
	v_mul_f64 v[208:209], v[210:211], v[206:207]
	v_fma_f64 v[204:205], -v[204:205], v[208:209], v[210:211]
	s_delay_alu instid0(VALU_DEP_1) | instskip(NEXT) | instid1(VALU_DEP_1)
	v_div_fmas_f64 v[204:205], v[204:205], v[206:207], v[208:209]
	v_div_fixup_f64 v[204:205], v[204:205], v[202:203], v[200:201]
	s_delay_alu instid0(VALU_DEP_1) | instskip(NEXT) | instid1(VALU_DEP_1)
	v_fma_f64 v[200:201], v[200:201], v[204:205], v[202:203]
	v_div_scale_f64 v[202:203], null, v[200:201], v[200:201], 1.0
	s_delay_alu instid0(VALU_DEP_1) | instskip(SKIP_2) | instid1(VALU_DEP_1)
	v_rcp_f64_e32 v[206:207], v[202:203]
	s_waitcnt_depctr 0xfff
	v_fma_f64 v[208:209], -v[202:203], v[206:207], 1.0
	v_fma_f64 v[206:207], v[206:207], v[208:209], v[206:207]
	s_delay_alu instid0(VALU_DEP_1) | instskip(NEXT) | instid1(VALU_DEP_1)
	v_fma_f64 v[208:209], -v[202:203], v[206:207], 1.0
	v_fma_f64 v[206:207], v[206:207], v[208:209], v[206:207]
	v_div_scale_f64 v[208:209], vcc_lo, 1.0, v[200:201], 1.0
	s_delay_alu instid0(VALU_DEP_1) | instskip(NEXT) | instid1(VALU_DEP_1)
	v_mul_f64 v[210:211], v[208:209], v[206:207]
	v_fma_f64 v[202:203], -v[202:203], v[210:211], v[208:209]
	s_delay_alu instid0(VALU_DEP_1) | instskip(NEXT) | instid1(VALU_DEP_1)
	v_div_fmas_f64 v[202:203], v[202:203], v[206:207], v[210:211]
	v_div_fixup_f64 v[206:207], v[202:203], v[200:201], 1.0
                                        ; implicit-def: $vgpr200_vgpr201
	s_delay_alu instid0(VALU_DEP_1)
	v_mul_f64 v[208:209], v[204:205], v[206:207]
	v_xor_b32_e32 v207, 0x80000000, v207
.LBB83_275:
	s_and_not1_saveexec_b32 s3, s3
	s_cbranch_execz .LBB83_277
; %bb.276:
	v_div_scale_f64 v[204:205], null, v[200:201], v[200:201], v[202:203]
	v_div_scale_f64 v[210:211], vcc_lo, v[202:203], v[200:201], v[202:203]
	s_delay_alu instid0(VALU_DEP_2) | instskip(SKIP_2) | instid1(VALU_DEP_1)
	v_rcp_f64_e32 v[206:207], v[204:205]
	s_waitcnt_depctr 0xfff
	v_fma_f64 v[208:209], -v[204:205], v[206:207], 1.0
	v_fma_f64 v[206:207], v[206:207], v[208:209], v[206:207]
	s_delay_alu instid0(VALU_DEP_1) | instskip(NEXT) | instid1(VALU_DEP_1)
	v_fma_f64 v[208:209], -v[204:205], v[206:207], 1.0
	v_fma_f64 v[206:207], v[206:207], v[208:209], v[206:207]
	s_delay_alu instid0(VALU_DEP_1) | instskip(NEXT) | instid1(VALU_DEP_1)
	v_mul_f64 v[208:209], v[210:211], v[206:207]
	v_fma_f64 v[204:205], -v[204:205], v[208:209], v[210:211]
	s_delay_alu instid0(VALU_DEP_1) | instskip(NEXT) | instid1(VALU_DEP_1)
	v_div_fmas_f64 v[204:205], v[204:205], v[206:207], v[208:209]
	v_div_fixup_f64 v[204:205], v[204:205], v[200:201], v[202:203]
	s_delay_alu instid0(VALU_DEP_1) | instskip(NEXT) | instid1(VALU_DEP_1)
	v_fma_f64 v[200:201], v[202:203], v[204:205], v[200:201]
	v_div_scale_f64 v[202:203], null, v[200:201], v[200:201], 1.0
	s_delay_alu instid0(VALU_DEP_1) | instskip(SKIP_2) | instid1(VALU_DEP_1)
	v_rcp_f64_e32 v[206:207], v[202:203]
	s_waitcnt_depctr 0xfff
	v_fma_f64 v[208:209], -v[202:203], v[206:207], 1.0
	v_fma_f64 v[206:207], v[206:207], v[208:209], v[206:207]
	s_delay_alu instid0(VALU_DEP_1) | instskip(NEXT) | instid1(VALU_DEP_1)
	v_fma_f64 v[208:209], -v[202:203], v[206:207], 1.0
	v_fma_f64 v[206:207], v[206:207], v[208:209], v[206:207]
	v_div_scale_f64 v[208:209], vcc_lo, 1.0, v[200:201], 1.0
	s_delay_alu instid0(VALU_DEP_1) | instskip(NEXT) | instid1(VALU_DEP_1)
	v_mul_f64 v[210:211], v[208:209], v[206:207]
	v_fma_f64 v[202:203], -v[202:203], v[210:211], v[208:209]
	s_delay_alu instid0(VALU_DEP_1) | instskip(NEXT) | instid1(VALU_DEP_1)
	v_div_fmas_f64 v[202:203], v[202:203], v[206:207], v[210:211]
	v_div_fixup_f64 v[208:209], v[202:203], v[200:201], 1.0
	s_delay_alu instid0(VALU_DEP_1)
	v_mul_f64 v[206:207], v[204:205], -v[208:209]
.LBB83_277:
	s_or_b32 exec_lo, exec_lo, s3
	ds_store_2addr_b64 v251, v[208:209], v[206:207] offset1:1
.LBB83_278:
	s_or_b32 exec_lo, exec_lo, s4
	s_waitcnt lgkmcnt(0)
	s_barrier
	buffer_gl0_inv
	ds_load_2addr_b64 v[200:203], v251 offset1:1
	s_mov_b32 s3, exec_lo
	v_cmpx_lt_u32_e32 30, v250
	s_cbranch_execz .LBB83_280
; %bb.279:
	s_waitcnt lgkmcnt(0)
	v_mul_f64 v[204:205], v[200:201], v[46:47]
	v_mul_f64 v[46:47], v[202:203], v[46:47]
	s_delay_alu instid0(VALU_DEP_2) | instskip(SKIP_4) | instid1(VALU_DEP_1)
	v_fma_f64 v[208:209], v[202:203], v[44:45], v[204:205]
	ds_load_2addr_b64 v[204:207], v252 offset0:62 offset1:63
	v_fma_f64 v[44:45], v[200:201], v[44:45], -v[46:47]
	s_waitcnt lgkmcnt(0)
	v_mul_f64 v[46:47], v[206:207], v[208:209]
	v_fma_f64 v[46:47], v[204:205], v[44:45], -v[46:47]
	v_mul_f64 v[204:205], v[204:205], v[208:209]
	s_delay_alu instid0(VALU_DEP_2) | instskip(NEXT) | instid1(VALU_DEP_2)
	v_add_f64 v[40:41], v[40:41], -v[46:47]
	v_fma_f64 v[204:205], v[206:207], v[44:45], v[204:205]
	s_delay_alu instid0(VALU_DEP_1) | instskip(SKIP_3) | instid1(VALU_DEP_1)
	v_add_f64 v[42:43], v[42:43], -v[204:205]
	ds_load_2addr_b64 v[204:207], v252 offset0:64 offset1:65
	s_waitcnt lgkmcnt(0)
	v_mul_f64 v[46:47], v[206:207], v[208:209]
	v_fma_f64 v[46:47], v[204:205], v[44:45], -v[46:47]
	v_mul_f64 v[204:205], v[204:205], v[208:209]
	s_delay_alu instid0(VALU_DEP_2) | instskip(NEXT) | instid1(VALU_DEP_2)
	v_add_f64 v[36:37], v[36:37], -v[46:47]
	v_fma_f64 v[204:205], v[206:207], v[44:45], v[204:205]
	s_delay_alu instid0(VALU_DEP_1) | instskip(SKIP_3) | instid1(VALU_DEP_1)
	v_add_f64 v[38:39], v[38:39], -v[204:205]
	ds_load_2addr_b64 v[204:207], v252 offset0:66 offset1:67
	;; [unrolled: 10-line block ×10, first 2 shown]
	s_waitcnt lgkmcnt(0)
	v_mul_f64 v[46:47], v[206:207], v[208:209]
	v_fma_f64 v[46:47], v[204:205], v[44:45], -v[46:47]
	v_mul_f64 v[204:205], v[204:205], v[208:209]
	s_delay_alu instid0(VALU_DEP_2) | instskip(NEXT) | instid1(VALU_DEP_2)
	v_add_f64 v[0:1], v[0:1], -v[46:47]
	v_fma_f64 v[204:205], v[206:207], v[44:45], v[204:205]
	v_dual_mov_b32 v46, v208 :: v_dual_mov_b32 v47, v209
	s_delay_alu instid0(VALU_DEP_2)
	v_add_f64 v[2:3], v[2:3], -v[204:205]
.LBB83_280:
	s_or_b32 exec_lo, exec_lo, s3
	s_delay_alu instid0(SALU_CYCLE_1)
	s_mov_b32 s4, exec_lo
	s_waitcnt lgkmcnt(0)
	s_barrier
	buffer_gl0_inv
	v_cmpx_eq_u32_e32 31, v250
	s_cbranch_execz .LBB83_287
; %bb.281:
	ds_store_2addr_b64 v251, v[40:41], v[42:43] offset1:1
	ds_store_2addr_b64 v252, v[36:37], v[38:39] offset0:64 offset1:65
	ds_store_2addr_b64 v252, v[32:33], v[34:35] offset0:66 offset1:67
	;; [unrolled: 1-line block ×10, first 2 shown]
	ds_load_2addr_b64 v[204:207], v251 offset1:1
	s_waitcnt lgkmcnt(0)
	v_cmp_neq_f64_e32 vcc_lo, 0, v[204:205]
	v_cmp_neq_f64_e64 s3, 0, v[206:207]
	s_delay_alu instid0(VALU_DEP_1) | instskip(NEXT) | instid1(SALU_CYCLE_1)
	s_or_b32 s3, vcc_lo, s3
	s_and_b32 exec_lo, exec_lo, s3
	s_cbranch_execz .LBB83_287
; %bb.282:
	v_cmp_gt_f64_e32 vcc_lo, 0, v[204:205]
	v_xor_b32_e32 v168, 0x80000000, v205
	s_mov_b32 s3, exec_lo
                                        ; implicit-def: $vgpr212_vgpr213
	s_delay_alu instid0(VALU_DEP_1) | instskip(SKIP_3) | instid1(VALU_DEP_1)
	v_cndmask_b32_e32 v209, v205, v168, vcc_lo
	v_cndmask_b32_e32 v208, v204, v204, vcc_lo
	v_cmp_gt_f64_e32 vcc_lo, 0, v[206:207]
	v_xor_b32_e32 v168, 0x80000000, v207
	v_dual_cndmask_b32 v210, v206, v206 :: v_dual_cndmask_b32 v211, v207, v168
	s_delay_alu instid0(VALU_DEP_1)
	v_cmpx_ngt_f64_e32 v[208:209], v[210:211]
	s_xor_b32 s3, exec_lo, s3
                                        ; implicit-def: $vgpr208_vgpr209_vgpr210_vgpr211
	s_cbranch_execz .LBB83_284
; %bb.283:
	v_div_scale_f64 v[208:209], null, v[206:207], v[206:207], v[204:205]
	v_div_scale_f64 v[214:215], vcc_lo, v[204:205], v[206:207], v[204:205]
	s_delay_alu instid0(VALU_DEP_2) | instskip(SKIP_2) | instid1(VALU_DEP_1)
	v_rcp_f64_e32 v[210:211], v[208:209]
	s_waitcnt_depctr 0xfff
	v_fma_f64 v[212:213], -v[208:209], v[210:211], 1.0
	v_fma_f64 v[210:211], v[210:211], v[212:213], v[210:211]
	s_delay_alu instid0(VALU_DEP_1) | instskip(NEXT) | instid1(VALU_DEP_1)
	v_fma_f64 v[212:213], -v[208:209], v[210:211], 1.0
	v_fma_f64 v[210:211], v[210:211], v[212:213], v[210:211]
	s_delay_alu instid0(VALU_DEP_1) | instskip(NEXT) | instid1(VALU_DEP_1)
	v_mul_f64 v[212:213], v[214:215], v[210:211]
	v_fma_f64 v[208:209], -v[208:209], v[212:213], v[214:215]
	s_delay_alu instid0(VALU_DEP_1) | instskip(NEXT) | instid1(VALU_DEP_1)
	v_div_fmas_f64 v[208:209], v[208:209], v[210:211], v[212:213]
	v_div_fixup_f64 v[208:209], v[208:209], v[206:207], v[204:205]
	s_delay_alu instid0(VALU_DEP_1) | instskip(NEXT) | instid1(VALU_DEP_1)
	v_fma_f64 v[204:205], v[204:205], v[208:209], v[206:207]
	v_div_scale_f64 v[206:207], null, v[204:205], v[204:205], 1.0
	s_delay_alu instid0(VALU_DEP_1) | instskip(SKIP_2) | instid1(VALU_DEP_1)
	v_rcp_f64_e32 v[210:211], v[206:207]
	s_waitcnt_depctr 0xfff
	v_fma_f64 v[212:213], -v[206:207], v[210:211], 1.0
	v_fma_f64 v[210:211], v[210:211], v[212:213], v[210:211]
	s_delay_alu instid0(VALU_DEP_1) | instskip(NEXT) | instid1(VALU_DEP_1)
	v_fma_f64 v[212:213], -v[206:207], v[210:211], 1.0
	v_fma_f64 v[210:211], v[210:211], v[212:213], v[210:211]
	v_div_scale_f64 v[212:213], vcc_lo, 1.0, v[204:205], 1.0
	s_delay_alu instid0(VALU_DEP_1) | instskip(NEXT) | instid1(VALU_DEP_1)
	v_mul_f64 v[214:215], v[212:213], v[210:211]
	v_fma_f64 v[206:207], -v[206:207], v[214:215], v[212:213]
	s_delay_alu instid0(VALU_DEP_1) | instskip(NEXT) | instid1(VALU_DEP_1)
	v_div_fmas_f64 v[206:207], v[206:207], v[210:211], v[214:215]
	v_div_fixup_f64 v[210:211], v[206:207], v[204:205], 1.0
                                        ; implicit-def: $vgpr204_vgpr205
	s_delay_alu instid0(VALU_DEP_1)
	v_mul_f64 v[212:213], v[208:209], v[210:211]
	v_xor_b32_e32 v211, 0x80000000, v211
.LBB83_284:
	s_and_not1_saveexec_b32 s3, s3
	s_cbranch_execz .LBB83_286
; %bb.285:
	v_div_scale_f64 v[208:209], null, v[204:205], v[204:205], v[206:207]
	v_div_scale_f64 v[214:215], vcc_lo, v[206:207], v[204:205], v[206:207]
	s_delay_alu instid0(VALU_DEP_2) | instskip(SKIP_2) | instid1(VALU_DEP_1)
	v_rcp_f64_e32 v[210:211], v[208:209]
	s_waitcnt_depctr 0xfff
	v_fma_f64 v[212:213], -v[208:209], v[210:211], 1.0
	v_fma_f64 v[210:211], v[210:211], v[212:213], v[210:211]
	s_delay_alu instid0(VALU_DEP_1) | instskip(NEXT) | instid1(VALU_DEP_1)
	v_fma_f64 v[212:213], -v[208:209], v[210:211], 1.0
	v_fma_f64 v[210:211], v[210:211], v[212:213], v[210:211]
	s_delay_alu instid0(VALU_DEP_1) | instskip(NEXT) | instid1(VALU_DEP_1)
	v_mul_f64 v[212:213], v[214:215], v[210:211]
	v_fma_f64 v[208:209], -v[208:209], v[212:213], v[214:215]
	s_delay_alu instid0(VALU_DEP_1) | instskip(NEXT) | instid1(VALU_DEP_1)
	v_div_fmas_f64 v[208:209], v[208:209], v[210:211], v[212:213]
	v_div_fixup_f64 v[208:209], v[208:209], v[204:205], v[206:207]
	s_delay_alu instid0(VALU_DEP_1) | instskip(NEXT) | instid1(VALU_DEP_1)
	v_fma_f64 v[204:205], v[206:207], v[208:209], v[204:205]
	v_div_scale_f64 v[206:207], null, v[204:205], v[204:205], 1.0
	s_delay_alu instid0(VALU_DEP_1) | instskip(SKIP_2) | instid1(VALU_DEP_1)
	v_rcp_f64_e32 v[210:211], v[206:207]
	s_waitcnt_depctr 0xfff
	v_fma_f64 v[212:213], -v[206:207], v[210:211], 1.0
	v_fma_f64 v[210:211], v[210:211], v[212:213], v[210:211]
	s_delay_alu instid0(VALU_DEP_1) | instskip(NEXT) | instid1(VALU_DEP_1)
	v_fma_f64 v[212:213], -v[206:207], v[210:211], 1.0
	v_fma_f64 v[210:211], v[210:211], v[212:213], v[210:211]
	v_div_scale_f64 v[212:213], vcc_lo, 1.0, v[204:205], 1.0
	s_delay_alu instid0(VALU_DEP_1) | instskip(NEXT) | instid1(VALU_DEP_1)
	v_mul_f64 v[214:215], v[212:213], v[210:211]
	v_fma_f64 v[206:207], -v[206:207], v[214:215], v[212:213]
	s_delay_alu instid0(VALU_DEP_1) | instskip(NEXT) | instid1(VALU_DEP_1)
	v_div_fmas_f64 v[206:207], v[206:207], v[210:211], v[214:215]
	v_div_fixup_f64 v[212:213], v[206:207], v[204:205], 1.0
	s_delay_alu instid0(VALU_DEP_1)
	v_mul_f64 v[210:211], v[208:209], -v[212:213]
.LBB83_286:
	s_or_b32 exec_lo, exec_lo, s3
	ds_store_2addr_b64 v251, v[212:213], v[210:211] offset1:1
.LBB83_287:
	s_or_b32 exec_lo, exec_lo, s4
	s_waitcnt lgkmcnt(0)
	s_barrier
	buffer_gl0_inv
	ds_load_2addr_b64 v[204:207], v251 offset1:1
	s_mov_b32 s3, exec_lo
	v_cmpx_lt_u32_e32 31, v250
	s_cbranch_execz .LBB83_289
; %bb.288:
	s_waitcnt lgkmcnt(0)
	v_mul_f64 v[208:209], v[204:205], v[42:43]
	v_mul_f64 v[42:43], v[206:207], v[42:43]
	s_delay_alu instid0(VALU_DEP_2) | instskip(SKIP_4) | instid1(VALU_DEP_1)
	v_fma_f64 v[212:213], v[206:207], v[40:41], v[208:209]
	ds_load_2addr_b64 v[208:211], v252 offset0:64 offset1:65
	v_fma_f64 v[40:41], v[204:205], v[40:41], -v[42:43]
	s_waitcnt lgkmcnt(0)
	v_mul_f64 v[42:43], v[210:211], v[212:213]
	v_fma_f64 v[42:43], v[208:209], v[40:41], -v[42:43]
	v_mul_f64 v[208:209], v[208:209], v[212:213]
	s_delay_alu instid0(VALU_DEP_2) | instskip(NEXT) | instid1(VALU_DEP_2)
	v_add_f64 v[36:37], v[36:37], -v[42:43]
	v_fma_f64 v[208:209], v[210:211], v[40:41], v[208:209]
	s_delay_alu instid0(VALU_DEP_1) | instskip(SKIP_3) | instid1(VALU_DEP_1)
	v_add_f64 v[38:39], v[38:39], -v[208:209]
	ds_load_2addr_b64 v[208:211], v252 offset0:66 offset1:67
	s_waitcnt lgkmcnt(0)
	v_mul_f64 v[42:43], v[210:211], v[212:213]
	v_fma_f64 v[42:43], v[208:209], v[40:41], -v[42:43]
	v_mul_f64 v[208:209], v[208:209], v[212:213]
	s_delay_alu instid0(VALU_DEP_2) | instskip(NEXT) | instid1(VALU_DEP_2)
	v_add_f64 v[32:33], v[32:33], -v[42:43]
	v_fma_f64 v[208:209], v[210:211], v[40:41], v[208:209]
	s_delay_alu instid0(VALU_DEP_1) | instskip(SKIP_3) | instid1(VALU_DEP_1)
	v_add_f64 v[34:35], v[34:35], -v[208:209]
	ds_load_2addr_b64 v[208:211], v252 offset0:68 offset1:69
	;; [unrolled: 10-line block ×9, first 2 shown]
	s_waitcnt lgkmcnt(0)
	v_mul_f64 v[42:43], v[210:211], v[212:213]
	v_fma_f64 v[42:43], v[208:209], v[40:41], -v[42:43]
	v_mul_f64 v[208:209], v[208:209], v[212:213]
	s_delay_alu instid0(VALU_DEP_2) | instskip(NEXT) | instid1(VALU_DEP_2)
	v_add_f64 v[0:1], v[0:1], -v[42:43]
	v_fma_f64 v[208:209], v[210:211], v[40:41], v[208:209]
	v_dual_mov_b32 v42, v212 :: v_dual_mov_b32 v43, v213
	s_delay_alu instid0(VALU_DEP_2)
	v_add_f64 v[2:3], v[2:3], -v[208:209]
.LBB83_289:
	s_or_b32 exec_lo, exec_lo, s3
	s_delay_alu instid0(SALU_CYCLE_1)
	s_mov_b32 s4, exec_lo
	s_waitcnt lgkmcnt(0)
	s_barrier
	buffer_gl0_inv
	v_cmpx_eq_u32_e32 32, v250
	s_cbranch_execz .LBB83_296
; %bb.290:
	ds_store_2addr_b64 v251, v[36:37], v[38:39] offset1:1
	ds_store_2addr_b64 v252, v[32:33], v[34:35] offset0:66 offset1:67
	ds_store_2addr_b64 v252, v[28:29], v[30:31] offset0:68 offset1:69
	;; [unrolled: 1-line block ×9, first 2 shown]
	ds_load_2addr_b64 v[208:211], v251 offset1:1
	s_waitcnt lgkmcnt(0)
	v_cmp_neq_f64_e32 vcc_lo, 0, v[208:209]
	v_cmp_neq_f64_e64 s3, 0, v[210:211]
	s_delay_alu instid0(VALU_DEP_1) | instskip(NEXT) | instid1(SALU_CYCLE_1)
	s_or_b32 s3, vcc_lo, s3
	s_and_b32 exec_lo, exec_lo, s3
	s_cbranch_execz .LBB83_296
; %bb.291:
	v_cmp_gt_f64_e32 vcc_lo, 0, v[208:209]
	v_xor_b32_e32 v168, 0x80000000, v209
	s_mov_b32 s3, exec_lo
                                        ; implicit-def: $vgpr216_vgpr217
	s_delay_alu instid0(VALU_DEP_1) | instskip(SKIP_3) | instid1(VALU_DEP_1)
	v_cndmask_b32_e32 v213, v209, v168, vcc_lo
	v_cndmask_b32_e32 v212, v208, v208, vcc_lo
	v_cmp_gt_f64_e32 vcc_lo, 0, v[210:211]
	v_xor_b32_e32 v168, 0x80000000, v211
	v_dual_cndmask_b32 v214, v210, v210 :: v_dual_cndmask_b32 v215, v211, v168
	s_delay_alu instid0(VALU_DEP_1)
	v_cmpx_ngt_f64_e32 v[212:213], v[214:215]
	s_xor_b32 s3, exec_lo, s3
                                        ; implicit-def: $vgpr212_vgpr213_vgpr214_vgpr215
	s_cbranch_execz .LBB83_293
; %bb.292:
	v_div_scale_f64 v[212:213], null, v[210:211], v[210:211], v[208:209]
	v_div_scale_f64 v[218:219], vcc_lo, v[208:209], v[210:211], v[208:209]
	s_delay_alu instid0(VALU_DEP_2) | instskip(SKIP_2) | instid1(VALU_DEP_1)
	v_rcp_f64_e32 v[214:215], v[212:213]
	s_waitcnt_depctr 0xfff
	v_fma_f64 v[216:217], -v[212:213], v[214:215], 1.0
	v_fma_f64 v[214:215], v[214:215], v[216:217], v[214:215]
	s_delay_alu instid0(VALU_DEP_1) | instskip(NEXT) | instid1(VALU_DEP_1)
	v_fma_f64 v[216:217], -v[212:213], v[214:215], 1.0
	v_fma_f64 v[214:215], v[214:215], v[216:217], v[214:215]
	s_delay_alu instid0(VALU_DEP_1) | instskip(NEXT) | instid1(VALU_DEP_1)
	v_mul_f64 v[216:217], v[218:219], v[214:215]
	v_fma_f64 v[212:213], -v[212:213], v[216:217], v[218:219]
	s_delay_alu instid0(VALU_DEP_1) | instskip(NEXT) | instid1(VALU_DEP_1)
	v_div_fmas_f64 v[212:213], v[212:213], v[214:215], v[216:217]
	v_div_fixup_f64 v[212:213], v[212:213], v[210:211], v[208:209]
	s_delay_alu instid0(VALU_DEP_1) | instskip(NEXT) | instid1(VALU_DEP_1)
	v_fma_f64 v[208:209], v[208:209], v[212:213], v[210:211]
	v_div_scale_f64 v[210:211], null, v[208:209], v[208:209], 1.0
	s_delay_alu instid0(VALU_DEP_1) | instskip(SKIP_2) | instid1(VALU_DEP_1)
	v_rcp_f64_e32 v[214:215], v[210:211]
	s_waitcnt_depctr 0xfff
	v_fma_f64 v[216:217], -v[210:211], v[214:215], 1.0
	v_fma_f64 v[214:215], v[214:215], v[216:217], v[214:215]
	s_delay_alu instid0(VALU_DEP_1) | instskip(NEXT) | instid1(VALU_DEP_1)
	v_fma_f64 v[216:217], -v[210:211], v[214:215], 1.0
	v_fma_f64 v[214:215], v[214:215], v[216:217], v[214:215]
	v_div_scale_f64 v[216:217], vcc_lo, 1.0, v[208:209], 1.0
	s_delay_alu instid0(VALU_DEP_1) | instskip(NEXT) | instid1(VALU_DEP_1)
	v_mul_f64 v[218:219], v[216:217], v[214:215]
	v_fma_f64 v[210:211], -v[210:211], v[218:219], v[216:217]
	s_delay_alu instid0(VALU_DEP_1) | instskip(NEXT) | instid1(VALU_DEP_1)
	v_div_fmas_f64 v[210:211], v[210:211], v[214:215], v[218:219]
	v_div_fixup_f64 v[214:215], v[210:211], v[208:209], 1.0
                                        ; implicit-def: $vgpr208_vgpr209
	s_delay_alu instid0(VALU_DEP_1)
	v_mul_f64 v[216:217], v[212:213], v[214:215]
	v_xor_b32_e32 v215, 0x80000000, v215
.LBB83_293:
	s_and_not1_saveexec_b32 s3, s3
	s_cbranch_execz .LBB83_295
; %bb.294:
	v_div_scale_f64 v[212:213], null, v[208:209], v[208:209], v[210:211]
	v_div_scale_f64 v[218:219], vcc_lo, v[210:211], v[208:209], v[210:211]
	s_delay_alu instid0(VALU_DEP_2) | instskip(SKIP_2) | instid1(VALU_DEP_1)
	v_rcp_f64_e32 v[214:215], v[212:213]
	s_waitcnt_depctr 0xfff
	v_fma_f64 v[216:217], -v[212:213], v[214:215], 1.0
	v_fma_f64 v[214:215], v[214:215], v[216:217], v[214:215]
	s_delay_alu instid0(VALU_DEP_1) | instskip(NEXT) | instid1(VALU_DEP_1)
	v_fma_f64 v[216:217], -v[212:213], v[214:215], 1.0
	v_fma_f64 v[214:215], v[214:215], v[216:217], v[214:215]
	s_delay_alu instid0(VALU_DEP_1) | instskip(NEXT) | instid1(VALU_DEP_1)
	v_mul_f64 v[216:217], v[218:219], v[214:215]
	v_fma_f64 v[212:213], -v[212:213], v[216:217], v[218:219]
	s_delay_alu instid0(VALU_DEP_1) | instskip(NEXT) | instid1(VALU_DEP_1)
	v_div_fmas_f64 v[212:213], v[212:213], v[214:215], v[216:217]
	v_div_fixup_f64 v[212:213], v[212:213], v[208:209], v[210:211]
	s_delay_alu instid0(VALU_DEP_1) | instskip(NEXT) | instid1(VALU_DEP_1)
	v_fma_f64 v[208:209], v[210:211], v[212:213], v[208:209]
	v_div_scale_f64 v[210:211], null, v[208:209], v[208:209], 1.0
	s_delay_alu instid0(VALU_DEP_1) | instskip(SKIP_2) | instid1(VALU_DEP_1)
	v_rcp_f64_e32 v[214:215], v[210:211]
	s_waitcnt_depctr 0xfff
	v_fma_f64 v[216:217], -v[210:211], v[214:215], 1.0
	v_fma_f64 v[214:215], v[214:215], v[216:217], v[214:215]
	s_delay_alu instid0(VALU_DEP_1) | instskip(NEXT) | instid1(VALU_DEP_1)
	v_fma_f64 v[216:217], -v[210:211], v[214:215], 1.0
	v_fma_f64 v[214:215], v[214:215], v[216:217], v[214:215]
	v_div_scale_f64 v[216:217], vcc_lo, 1.0, v[208:209], 1.0
	s_delay_alu instid0(VALU_DEP_1) | instskip(NEXT) | instid1(VALU_DEP_1)
	v_mul_f64 v[218:219], v[216:217], v[214:215]
	v_fma_f64 v[210:211], -v[210:211], v[218:219], v[216:217]
	s_delay_alu instid0(VALU_DEP_1) | instskip(NEXT) | instid1(VALU_DEP_1)
	v_div_fmas_f64 v[210:211], v[210:211], v[214:215], v[218:219]
	v_div_fixup_f64 v[216:217], v[210:211], v[208:209], 1.0
	s_delay_alu instid0(VALU_DEP_1)
	v_mul_f64 v[214:215], v[212:213], -v[216:217]
.LBB83_295:
	s_or_b32 exec_lo, exec_lo, s3
	ds_store_2addr_b64 v251, v[216:217], v[214:215] offset1:1
.LBB83_296:
	s_or_b32 exec_lo, exec_lo, s4
	s_waitcnt lgkmcnt(0)
	s_barrier
	buffer_gl0_inv
	ds_load_2addr_b64 v[164:167], v251 offset1:1
	s_mov_b32 s3, exec_lo
	v_cmpx_lt_u32_e32 32, v250
	s_cbranch_execz .LBB83_298
; %bb.297:
	s_waitcnt lgkmcnt(0)
	v_mul_f64 v[212:213], v[164:165], v[38:39]
	v_mul_f64 v[38:39], v[166:167], v[38:39]
	s_delay_alu instid0(VALU_DEP_2) | instskip(SKIP_4) | instid1(VALU_DEP_1)
	v_fma_f64 v[216:217], v[166:167], v[36:37], v[212:213]
	ds_load_2addr_b64 v[212:215], v252 offset0:66 offset1:67
	v_fma_f64 v[36:37], v[164:165], v[36:37], -v[38:39]
	s_waitcnt lgkmcnt(0)
	v_mul_f64 v[38:39], v[214:215], v[216:217]
	v_fma_f64 v[38:39], v[212:213], v[36:37], -v[38:39]
	v_mul_f64 v[212:213], v[212:213], v[216:217]
	s_delay_alu instid0(VALU_DEP_2) | instskip(NEXT) | instid1(VALU_DEP_2)
	v_add_f64 v[32:33], v[32:33], -v[38:39]
	v_fma_f64 v[212:213], v[214:215], v[36:37], v[212:213]
	s_delay_alu instid0(VALU_DEP_1) | instskip(SKIP_3) | instid1(VALU_DEP_1)
	v_add_f64 v[34:35], v[34:35], -v[212:213]
	ds_load_2addr_b64 v[212:215], v252 offset0:68 offset1:69
	s_waitcnt lgkmcnt(0)
	v_mul_f64 v[38:39], v[214:215], v[216:217]
	v_fma_f64 v[38:39], v[212:213], v[36:37], -v[38:39]
	v_mul_f64 v[212:213], v[212:213], v[216:217]
	s_delay_alu instid0(VALU_DEP_2) | instskip(NEXT) | instid1(VALU_DEP_2)
	v_add_f64 v[28:29], v[28:29], -v[38:39]
	v_fma_f64 v[212:213], v[214:215], v[36:37], v[212:213]
	s_delay_alu instid0(VALU_DEP_1) | instskip(SKIP_3) | instid1(VALU_DEP_1)
	v_add_f64 v[30:31], v[30:31], -v[212:213]
	ds_load_2addr_b64 v[212:215], v252 offset0:70 offset1:71
	;; [unrolled: 10-line block ×8, first 2 shown]
	s_waitcnt lgkmcnt(0)
	v_mul_f64 v[38:39], v[214:215], v[216:217]
	v_fma_f64 v[38:39], v[212:213], v[36:37], -v[38:39]
	v_mul_f64 v[212:213], v[212:213], v[216:217]
	s_delay_alu instid0(VALU_DEP_2) | instskip(NEXT) | instid1(VALU_DEP_2)
	v_add_f64 v[0:1], v[0:1], -v[38:39]
	v_fma_f64 v[212:213], v[214:215], v[36:37], v[212:213]
	v_dual_mov_b32 v38, v216 :: v_dual_mov_b32 v39, v217
	s_delay_alu instid0(VALU_DEP_2)
	v_add_f64 v[2:3], v[2:3], -v[212:213]
.LBB83_298:
	s_or_b32 exec_lo, exec_lo, s3
	s_delay_alu instid0(SALU_CYCLE_1)
	s_mov_b32 s4, exec_lo
	s_waitcnt lgkmcnt(0)
	s_barrier
	buffer_gl0_inv
	v_cmpx_eq_u32_e32 33, v250
	s_cbranch_execz .LBB83_305
; %bb.299:
	ds_store_2addr_b64 v251, v[32:33], v[34:35] offset1:1
	ds_store_2addr_b64 v252, v[28:29], v[30:31] offset0:68 offset1:69
	ds_store_2addr_b64 v252, v[24:25], v[26:27] offset0:70 offset1:71
	;; [unrolled: 1-line block ×8, first 2 shown]
	ds_load_2addr_b64 v[212:215], v251 offset1:1
	s_waitcnt lgkmcnt(0)
	v_cmp_neq_f64_e32 vcc_lo, 0, v[212:213]
	v_cmp_neq_f64_e64 s3, 0, v[214:215]
	s_delay_alu instid0(VALU_DEP_1) | instskip(NEXT) | instid1(SALU_CYCLE_1)
	s_or_b32 s3, vcc_lo, s3
	s_and_b32 exec_lo, exec_lo, s3
	s_cbranch_execz .LBB83_305
; %bb.300:
	v_cmp_gt_f64_e32 vcc_lo, 0, v[212:213]
	v_xor_b32_e32 v168, 0x80000000, v213
	s_mov_b32 s3, exec_lo
                                        ; implicit-def: $vgpr220_vgpr221
	s_delay_alu instid0(VALU_DEP_1) | instskip(SKIP_3) | instid1(VALU_DEP_1)
	v_cndmask_b32_e32 v217, v213, v168, vcc_lo
	v_cndmask_b32_e32 v216, v212, v212, vcc_lo
	v_cmp_gt_f64_e32 vcc_lo, 0, v[214:215]
	v_xor_b32_e32 v168, 0x80000000, v215
	v_dual_cndmask_b32 v218, v214, v214 :: v_dual_cndmask_b32 v219, v215, v168
	s_delay_alu instid0(VALU_DEP_1)
	v_cmpx_ngt_f64_e32 v[216:217], v[218:219]
	s_xor_b32 s3, exec_lo, s3
                                        ; implicit-def: $vgpr216_vgpr217_vgpr218_vgpr219
	s_cbranch_execz .LBB83_302
; %bb.301:
	v_div_scale_f64 v[216:217], null, v[214:215], v[214:215], v[212:213]
	v_div_scale_f64 v[222:223], vcc_lo, v[212:213], v[214:215], v[212:213]
	s_delay_alu instid0(VALU_DEP_2) | instskip(SKIP_2) | instid1(VALU_DEP_1)
	v_rcp_f64_e32 v[218:219], v[216:217]
	s_waitcnt_depctr 0xfff
	v_fma_f64 v[220:221], -v[216:217], v[218:219], 1.0
	v_fma_f64 v[218:219], v[218:219], v[220:221], v[218:219]
	s_delay_alu instid0(VALU_DEP_1) | instskip(NEXT) | instid1(VALU_DEP_1)
	v_fma_f64 v[220:221], -v[216:217], v[218:219], 1.0
	v_fma_f64 v[218:219], v[218:219], v[220:221], v[218:219]
	s_delay_alu instid0(VALU_DEP_1) | instskip(NEXT) | instid1(VALU_DEP_1)
	v_mul_f64 v[220:221], v[222:223], v[218:219]
	v_fma_f64 v[216:217], -v[216:217], v[220:221], v[222:223]
	s_delay_alu instid0(VALU_DEP_1) | instskip(NEXT) | instid1(VALU_DEP_1)
	v_div_fmas_f64 v[216:217], v[216:217], v[218:219], v[220:221]
	v_div_fixup_f64 v[216:217], v[216:217], v[214:215], v[212:213]
	s_delay_alu instid0(VALU_DEP_1) | instskip(NEXT) | instid1(VALU_DEP_1)
	v_fma_f64 v[212:213], v[212:213], v[216:217], v[214:215]
	v_div_scale_f64 v[214:215], null, v[212:213], v[212:213], 1.0
	s_delay_alu instid0(VALU_DEP_1) | instskip(SKIP_2) | instid1(VALU_DEP_1)
	v_rcp_f64_e32 v[218:219], v[214:215]
	s_waitcnt_depctr 0xfff
	v_fma_f64 v[220:221], -v[214:215], v[218:219], 1.0
	v_fma_f64 v[218:219], v[218:219], v[220:221], v[218:219]
	s_delay_alu instid0(VALU_DEP_1) | instskip(NEXT) | instid1(VALU_DEP_1)
	v_fma_f64 v[220:221], -v[214:215], v[218:219], 1.0
	v_fma_f64 v[218:219], v[218:219], v[220:221], v[218:219]
	v_div_scale_f64 v[220:221], vcc_lo, 1.0, v[212:213], 1.0
	s_delay_alu instid0(VALU_DEP_1) | instskip(NEXT) | instid1(VALU_DEP_1)
	v_mul_f64 v[222:223], v[220:221], v[218:219]
	v_fma_f64 v[214:215], -v[214:215], v[222:223], v[220:221]
	s_delay_alu instid0(VALU_DEP_1) | instskip(NEXT) | instid1(VALU_DEP_1)
	v_div_fmas_f64 v[214:215], v[214:215], v[218:219], v[222:223]
	v_div_fixup_f64 v[218:219], v[214:215], v[212:213], 1.0
                                        ; implicit-def: $vgpr212_vgpr213
	s_delay_alu instid0(VALU_DEP_1)
	v_mul_f64 v[220:221], v[216:217], v[218:219]
	v_xor_b32_e32 v219, 0x80000000, v219
.LBB83_302:
	s_and_not1_saveexec_b32 s3, s3
	s_cbranch_execz .LBB83_304
; %bb.303:
	v_div_scale_f64 v[216:217], null, v[212:213], v[212:213], v[214:215]
	v_div_scale_f64 v[222:223], vcc_lo, v[214:215], v[212:213], v[214:215]
	s_delay_alu instid0(VALU_DEP_2) | instskip(SKIP_2) | instid1(VALU_DEP_1)
	v_rcp_f64_e32 v[218:219], v[216:217]
	s_waitcnt_depctr 0xfff
	v_fma_f64 v[220:221], -v[216:217], v[218:219], 1.0
	v_fma_f64 v[218:219], v[218:219], v[220:221], v[218:219]
	s_delay_alu instid0(VALU_DEP_1) | instskip(NEXT) | instid1(VALU_DEP_1)
	v_fma_f64 v[220:221], -v[216:217], v[218:219], 1.0
	v_fma_f64 v[218:219], v[218:219], v[220:221], v[218:219]
	s_delay_alu instid0(VALU_DEP_1) | instskip(NEXT) | instid1(VALU_DEP_1)
	v_mul_f64 v[220:221], v[222:223], v[218:219]
	v_fma_f64 v[216:217], -v[216:217], v[220:221], v[222:223]
	s_delay_alu instid0(VALU_DEP_1) | instskip(NEXT) | instid1(VALU_DEP_1)
	v_div_fmas_f64 v[216:217], v[216:217], v[218:219], v[220:221]
	v_div_fixup_f64 v[216:217], v[216:217], v[212:213], v[214:215]
	s_delay_alu instid0(VALU_DEP_1) | instskip(NEXT) | instid1(VALU_DEP_1)
	v_fma_f64 v[212:213], v[214:215], v[216:217], v[212:213]
	v_div_scale_f64 v[214:215], null, v[212:213], v[212:213], 1.0
	s_delay_alu instid0(VALU_DEP_1) | instskip(SKIP_2) | instid1(VALU_DEP_1)
	v_rcp_f64_e32 v[218:219], v[214:215]
	s_waitcnt_depctr 0xfff
	v_fma_f64 v[220:221], -v[214:215], v[218:219], 1.0
	v_fma_f64 v[218:219], v[218:219], v[220:221], v[218:219]
	s_delay_alu instid0(VALU_DEP_1) | instskip(NEXT) | instid1(VALU_DEP_1)
	v_fma_f64 v[220:221], -v[214:215], v[218:219], 1.0
	v_fma_f64 v[218:219], v[218:219], v[220:221], v[218:219]
	v_div_scale_f64 v[220:221], vcc_lo, 1.0, v[212:213], 1.0
	s_delay_alu instid0(VALU_DEP_1) | instskip(NEXT) | instid1(VALU_DEP_1)
	v_mul_f64 v[222:223], v[220:221], v[218:219]
	v_fma_f64 v[214:215], -v[214:215], v[222:223], v[220:221]
	s_delay_alu instid0(VALU_DEP_1) | instskip(NEXT) | instid1(VALU_DEP_1)
	v_div_fmas_f64 v[214:215], v[214:215], v[218:219], v[222:223]
	v_div_fixup_f64 v[220:221], v[214:215], v[212:213], 1.0
	s_delay_alu instid0(VALU_DEP_1)
	v_mul_f64 v[218:219], v[216:217], -v[220:221]
.LBB83_304:
	s_or_b32 exec_lo, exec_lo, s3
	ds_store_2addr_b64 v251, v[220:221], v[218:219] offset1:1
.LBB83_305:
	s_or_b32 exec_lo, exec_lo, s4
	s_waitcnt lgkmcnt(0)
	s_barrier
	buffer_gl0_inv
	ds_load_2addr_b64 v[160:163], v251 offset1:1
	s_mov_b32 s3, exec_lo
	v_cmpx_lt_u32_e32 33, v250
	s_cbranch_execz .LBB83_307
; %bb.306:
	s_waitcnt lgkmcnt(0)
	v_mul_f64 v[216:217], v[160:161], v[34:35]
	v_mul_f64 v[34:35], v[162:163], v[34:35]
	s_delay_alu instid0(VALU_DEP_2) | instskip(SKIP_4) | instid1(VALU_DEP_1)
	v_fma_f64 v[220:221], v[162:163], v[32:33], v[216:217]
	ds_load_2addr_b64 v[216:219], v252 offset0:68 offset1:69
	v_fma_f64 v[32:33], v[160:161], v[32:33], -v[34:35]
	s_waitcnt lgkmcnt(0)
	v_mul_f64 v[34:35], v[218:219], v[220:221]
	v_fma_f64 v[34:35], v[216:217], v[32:33], -v[34:35]
	v_mul_f64 v[216:217], v[216:217], v[220:221]
	s_delay_alu instid0(VALU_DEP_2) | instskip(NEXT) | instid1(VALU_DEP_2)
	v_add_f64 v[28:29], v[28:29], -v[34:35]
	v_fma_f64 v[216:217], v[218:219], v[32:33], v[216:217]
	s_delay_alu instid0(VALU_DEP_1) | instskip(SKIP_3) | instid1(VALU_DEP_1)
	v_add_f64 v[30:31], v[30:31], -v[216:217]
	ds_load_2addr_b64 v[216:219], v252 offset0:70 offset1:71
	s_waitcnt lgkmcnt(0)
	v_mul_f64 v[34:35], v[218:219], v[220:221]
	v_fma_f64 v[34:35], v[216:217], v[32:33], -v[34:35]
	v_mul_f64 v[216:217], v[216:217], v[220:221]
	s_delay_alu instid0(VALU_DEP_2) | instskip(NEXT) | instid1(VALU_DEP_2)
	v_add_f64 v[24:25], v[24:25], -v[34:35]
	v_fma_f64 v[216:217], v[218:219], v[32:33], v[216:217]
	s_delay_alu instid0(VALU_DEP_1) | instskip(SKIP_3) | instid1(VALU_DEP_1)
	v_add_f64 v[26:27], v[26:27], -v[216:217]
	ds_load_2addr_b64 v[216:219], v252 offset0:72 offset1:73
	;; [unrolled: 10-line block ×7, first 2 shown]
	s_waitcnt lgkmcnt(0)
	v_mul_f64 v[34:35], v[218:219], v[220:221]
	v_fma_f64 v[34:35], v[216:217], v[32:33], -v[34:35]
	v_mul_f64 v[216:217], v[216:217], v[220:221]
	s_delay_alu instid0(VALU_DEP_2) | instskip(NEXT) | instid1(VALU_DEP_2)
	v_add_f64 v[0:1], v[0:1], -v[34:35]
	v_fma_f64 v[216:217], v[218:219], v[32:33], v[216:217]
	v_dual_mov_b32 v34, v220 :: v_dual_mov_b32 v35, v221
	s_delay_alu instid0(VALU_DEP_2)
	v_add_f64 v[2:3], v[2:3], -v[216:217]
.LBB83_307:
	s_or_b32 exec_lo, exec_lo, s3
	s_delay_alu instid0(SALU_CYCLE_1)
	s_mov_b32 s4, exec_lo
	s_waitcnt lgkmcnt(0)
	s_barrier
	buffer_gl0_inv
	v_cmpx_eq_u32_e32 34, v250
	s_cbranch_execz .LBB83_314
; %bb.308:
	ds_store_2addr_b64 v251, v[28:29], v[30:31] offset1:1
	ds_store_2addr_b64 v252, v[24:25], v[26:27] offset0:70 offset1:71
	ds_store_2addr_b64 v252, v[20:21], v[22:23] offset0:72 offset1:73
	;; [unrolled: 1-line block ×7, first 2 shown]
	ds_load_2addr_b64 v[216:219], v251 offset1:1
	s_waitcnt lgkmcnt(0)
	v_cmp_neq_f64_e32 vcc_lo, 0, v[216:217]
	v_cmp_neq_f64_e64 s3, 0, v[218:219]
	s_delay_alu instid0(VALU_DEP_1) | instskip(NEXT) | instid1(SALU_CYCLE_1)
	s_or_b32 s3, vcc_lo, s3
	s_and_b32 exec_lo, exec_lo, s3
	s_cbranch_execz .LBB83_314
; %bb.309:
	v_cmp_gt_f64_e32 vcc_lo, 0, v[216:217]
	v_xor_b32_e32 v168, 0x80000000, v217
	s_mov_b32 s3, exec_lo
                                        ; implicit-def: $vgpr224_vgpr225
	s_delay_alu instid0(VALU_DEP_1) | instskip(SKIP_3) | instid1(VALU_DEP_1)
	v_cndmask_b32_e32 v221, v217, v168, vcc_lo
	v_cndmask_b32_e32 v220, v216, v216, vcc_lo
	v_cmp_gt_f64_e32 vcc_lo, 0, v[218:219]
	v_xor_b32_e32 v168, 0x80000000, v219
	v_dual_cndmask_b32 v222, v218, v218 :: v_dual_cndmask_b32 v223, v219, v168
	s_delay_alu instid0(VALU_DEP_1)
	v_cmpx_ngt_f64_e32 v[220:221], v[222:223]
	s_xor_b32 s3, exec_lo, s3
                                        ; implicit-def: $vgpr220_vgpr221_vgpr222_vgpr223
	s_cbranch_execz .LBB83_311
; %bb.310:
	v_div_scale_f64 v[220:221], null, v[218:219], v[218:219], v[216:217]
	v_div_scale_f64 v[226:227], vcc_lo, v[216:217], v[218:219], v[216:217]
	s_delay_alu instid0(VALU_DEP_2) | instskip(SKIP_2) | instid1(VALU_DEP_1)
	v_rcp_f64_e32 v[222:223], v[220:221]
	s_waitcnt_depctr 0xfff
	v_fma_f64 v[224:225], -v[220:221], v[222:223], 1.0
	v_fma_f64 v[222:223], v[222:223], v[224:225], v[222:223]
	s_delay_alu instid0(VALU_DEP_1) | instskip(NEXT) | instid1(VALU_DEP_1)
	v_fma_f64 v[224:225], -v[220:221], v[222:223], 1.0
	v_fma_f64 v[222:223], v[222:223], v[224:225], v[222:223]
	s_delay_alu instid0(VALU_DEP_1) | instskip(NEXT) | instid1(VALU_DEP_1)
	v_mul_f64 v[224:225], v[226:227], v[222:223]
	v_fma_f64 v[220:221], -v[220:221], v[224:225], v[226:227]
	s_delay_alu instid0(VALU_DEP_1) | instskip(NEXT) | instid1(VALU_DEP_1)
	v_div_fmas_f64 v[220:221], v[220:221], v[222:223], v[224:225]
	v_div_fixup_f64 v[220:221], v[220:221], v[218:219], v[216:217]
	s_delay_alu instid0(VALU_DEP_1) | instskip(NEXT) | instid1(VALU_DEP_1)
	v_fma_f64 v[216:217], v[216:217], v[220:221], v[218:219]
	v_div_scale_f64 v[218:219], null, v[216:217], v[216:217], 1.0
	s_delay_alu instid0(VALU_DEP_1) | instskip(SKIP_2) | instid1(VALU_DEP_1)
	v_rcp_f64_e32 v[222:223], v[218:219]
	s_waitcnt_depctr 0xfff
	v_fma_f64 v[224:225], -v[218:219], v[222:223], 1.0
	v_fma_f64 v[222:223], v[222:223], v[224:225], v[222:223]
	s_delay_alu instid0(VALU_DEP_1) | instskip(NEXT) | instid1(VALU_DEP_1)
	v_fma_f64 v[224:225], -v[218:219], v[222:223], 1.0
	v_fma_f64 v[222:223], v[222:223], v[224:225], v[222:223]
	v_div_scale_f64 v[224:225], vcc_lo, 1.0, v[216:217], 1.0
	s_delay_alu instid0(VALU_DEP_1) | instskip(NEXT) | instid1(VALU_DEP_1)
	v_mul_f64 v[226:227], v[224:225], v[222:223]
	v_fma_f64 v[218:219], -v[218:219], v[226:227], v[224:225]
	s_delay_alu instid0(VALU_DEP_1) | instskip(NEXT) | instid1(VALU_DEP_1)
	v_div_fmas_f64 v[218:219], v[218:219], v[222:223], v[226:227]
	v_div_fixup_f64 v[222:223], v[218:219], v[216:217], 1.0
                                        ; implicit-def: $vgpr216_vgpr217
	s_delay_alu instid0(VALU_DEP_1)
	v_mul_f64 v[224:225], v[220:221], v[222:223]
	v_xor_b32_e32 v223, 0x80000000, v223
.LBB83_311:
	s_and_not1_saveexec_b32 s3, s3
	s_cbranch_execz .LBB83_313
; %bb.312:
	v_div_scale_f64 v[220:221], null, v[216:217], v[216:217], v[218:219]
	v_div_scale_f64 v[226:227], vcc_lo, v[218:219], v[216:217], v[218:219]
	s_delay_alu instid0(VALU_DEP_2) | instskip(SKIP_2) | instid1(VALU_DEP_1)
	v_rcp_f64_e32 v[222:223], v[220:221]
	s_waitcnt_depctr 0xfff
	v_fma_f64 v[224:225], -v[220:221], v[222:223], 1.0
	v_fma_f64 v[222:223], v[222:223], v[224:225], v[222:223]
	s_delay_alu instid0(VALU_DEP_1) | instskip(NEXT) | instid1(VALU_DEP_1)
	v_fma_f64 v[224:225], -v[220:221], v[222:223], 1.0
	v_fma_f64 v[222:223], v[222:223], v[224:225], v[222:223]
	s_delay_alu instid0(VALU_DEP_1) | instskip(NEXT) | instid1(VALU_DEP_1)
	v_mul_f64 v[224:225], v[226:227], v[222:223]
	v_fma_f64 v[220:221], -v[220:221], v[224:225], v[226:227]
	s_delay_alu instid0(VALU_DEP_1) | instskip(NEXT) | instid1(VALU_DEP_1)
	v_div_fmas_f64 v[220:221], v[220:221], v[222:223], v[224:225]
	v_div_fixup_f64 v[220:221], v[220:221], v[216:217], v[218:219]
	s_delay_alu instid0(VALU_DEP_1) | instskip(NEXT) | instid1(VALU_DEP_1)
	v_fma_f64 v[216:217], v[218:219], v[220:221], v[216:217]
	v_div_scale_f64 v[218:219], null, v[216:217], v[216:217], 1.0
	s_delay_alu instid0(VALU_DEP_1) | instskip(SKIP_2) | instid1(VALU_DEP_1)
	v_rcp_f64_e32 v[222:223], v[218:219]
	s_waitcnt_depctr 0xfff
	v_fma_f64 v[224:225], -v[218:219], v[222:223], 1.0
	v_fma_f64 v[222:223], v[222:223], v[224:225], v[222:223]
	s_delay_alu instid0(VALU_DEP_1) | instskip(NEXT) | instid1(VALU_DEP_1)
	v_fma_f64 v[224:225], -v[218:219], v[222:223], 1.0
	v_fma_f64 v[222:223], v[222:223], v[224:225], v[222:223]
	v_div_scale_f64 v[224:225], vcc_lo, 1.0, v[216:217], 1.0
	s_delay_alu instid0(VALU_DEP_1) | instskip(NEXT) | instid1(VALU_DEP_1)
	v_mul_f64 v[226:227], v[224:225], v[222:223]
	v_fma_f64 v[218:219], -v[218:219], v[226:227], v[224:225]
	s_delay_alu instid0(VALU_DEP_1) | instskip(NEXT) | instid1(VALU_DEP_1)
	v_div_fmas_f64 v[218:219], v[218:219], v[222:223], v[226:227]
	v_div_fixup_f64 v[224:225], v[218:219], v[216:217], 1.0
	s_delay_alu instid0(VALU_DEP_1)
	v_mul_f64 v[222:223], v[220:221], -v[224:225]
.LBB83_313:
	s_or_b32 exec_lo, exec_lo, s3
	ds_store_2addr_b64 v251, v[224:225], v[222:223] offset1:1
.LBB83_314:
	s_or_b32 exec_lo, exec_lo, s4
	s_waitcnt lgkmcnt(0)
	s_barrier
	buffer_gl0_inv
	ds_load_2addr_b64 v[216:219], v251 offset1:1
	s_mov_b32 s3, exec_lo
	v_cmpx_lt_u32_e32 34, v250
	s_cbranch_execz .LBB83_316
; %bb.315:
	s_waitcnt lgkmcnt(0)
	v_mul_f64 v[220:221], v[216:217], v[30:31]
	v_mul_f64 v[30:31], v[218:219], v[30:31]
	s_delay_alu instid0(VALU_DEP_2) | instskip(SKIP_4) | instid1(VALU_DEP_1)
	v_fma_f64 v[224:225], v[218:219], v[28:29], v[220:221]
	ds_load_2addr_b64 v[220:223], v252 offset0:70 offset1:71
	v_fma_f64 v[28:29], v[216:217], v[28:29], -v[30:31]
	s_waitcnt lgkmcnt(0)
	v_mul_f64 v[30:31], v[222:223], v[224:225]
	v_fma_f64 v[30:31], v[220:221], v[28:29], -v[30:31]
	v_mul_f64 v[220:221], v[220:221], v[224:225]
	s_delay_alu instid0(VALU_DEP_2) | instskip(NEXT) | instid1(VALU_DEP_2)
	v_add_f64 v[24:25], v[24:25], -v[30:31]
	v_fma_f64 v[220:221], v[222:223], v[28:29], v[220:221]
	s_delay_alu instid0(VALU_DEP_1) | instskip(SKIP_3) | instid1(VALU_DEP_1)
	v_add_f64 v[26:27], v[26:27], -v[220:221]
	ds_load_2addr_b64 v[220:223], v252 offset0:72 offset1:73
	s_waitcnt lgkmcnt(0)
	v_mul_f64 v[30:31], v[222:223], v[224:225]
	v_fma_f64 v[30:31], v[220:221], v[28:29], -v[30:31]
	v_mul_f64 v[220:221], v[220:221], v[224:225]
	s_delay_alu instid0(VALU_DEP_2) | instskip(NEXT) | instid1(VALU_DEP_2)
	v_add_f64 v[20:21], v[20:21], -v[30:31]
	v_fma_f64 v[220:221], v[222:223], v[28:29], v[220:221]
	s_delay_alu instid0(VALU_DEP_1) | instskip(SKIP_3) | instid1(VALU_DEP_1)
	v_add_f64 v[22:23], v[22:23], -v[220:221]
	ds_load_2addr_b64 v[220:223], v252 offset0:74 offset1:75
	;; [unrolled: 10-line block ×6, first 2 shown]
	s_waitcnt lgkmcnt(0)
	v_mul_f64 v[30:31], v[222:223], v[224:225]
	v_fma_f64 v[30:31], v[220:221], v[28:29], -v[30:31]
	v_mul_f64 v[220:221], v[220:221], v[224:225]
	s_delay_alu instid0(VALU_DEP_2) | instskip(NEXT) | instid1(VALU_DEP_2)
	v_add_f64 v[0:1], v[0:1], -v[30:31]
	v_fma_f64 v[220:221], v[222:223], v[28:29], v[220:221]
	v_dual_mov_b32 v30, v224 :: v_dual_mov_b32 v31, v225
	s_delay_alu instid0(VALU_DEP_2)
	v_add_f64 v[2:3], v[2:3], -v[220:221]
.LBB83_316:
	s_or_b32 exec_lo, exec_lo, s3
	s_delay_alu instid0(SALU_CYCLE_1)
	s_mov_b32 s4, exec_lo
	s_waitcnt lgkmcnt(0)
	s_barrier
	buffer_gl0_inv
	v_cmpx_eq_u32_e32 35, v250
	s_cbranch_execz .LBB83_323
; %bb.317:
	ds_store_2addr_b64 v251, v[24:25], v[26:27] offset1:1
	ds_store_2addr_b64 v252, v[20:21], v[22:23] offset0:72 offset1:73
	ds_store_2addr_b64 v252, v[16:17], v[18:19] offset0:74 offset1:75
	;; [unrolled: 1-line block ×6, first 2 shown]
	ds_load_2addr_b64 v[220:223], v251 offset1:1
	s_waitcnt lgkmcnt(0)
	v_cmp_neq_f64_e32 vcc_lo, 0, v[220:221]
	v_cmp_neq_f64_e64 s3, 0, v[222:223]
	s_delay_alu instid0(VALU_DEP_1) | instskip(NEXT) | instid1(SALU_CYCLE_1)
	s_or_b32 s3, vcc_lo, s3
	s_and_b32 exec_lo, exec_lo, s3
	s_cbranch_execz .LBB83_323
; %bb.318:
	v_cmp_gt_f64_e32 vcc_lo, 0, v[220:221]
	v_xor_b32_e32 v168, 0x80000000, v221
	s_mov_b32 s3, exec_lo
                                        ; implicit-def: $vgpr228_vgpr229
	s_delay_alu instid0(VALU_DEP_1) | instskip(SKIP_3) | instid1(VALU_DEP_1)
	v_cndmask_b32_e32 v225, v221, v168, vcc_lo
	v_cndmask_b32_e32 v224, v220, v220, vcc_lo
	v_cmp_gt_f64_e32 vcc_lo, 0, v[222:223]
	v_xor_b32_e32 v168, 0x80000000, v223
	v_dual_cndmask_b32 v226, v222, v222 :: v_dual_cndmask_b32 v227, v223, v168
	s_delay_alu instid0(VALU_DEP_1)
	v_cmpx_ngt_f64_e32 v[224:225], v[226:227]
	s_xor_b32 s3, exec_lo, s3
                                        ; implicit-def: $vgpr224_vgpr225_vgpr226_vgpr227
	s_cbranch_execz .LBB83_320
; %bb.319:
	v_div_scale_f64 v[224:225], null, v[222:223], v[222:223], v[220:221]
	v_div_scale_f64 v[230:231], vcc_lo, v[220:221], v[222:223], v[220:221]
	s_delay_alu instid0(VALU_DEP_2) | instskip(SKIP_2) | instid1(VALU_DEP_1)
	v_rcp_f64_e32 v[226:227], v[224:225]
	s_waitcnt_depctr 0xfff
	v_fma_f64 v[228:229], -v[224:225], v[226:227], 1.0
	v_fma_f64 v[226:227], v[226:227], v[228:229], v[226:227]
	s_delay_alu instid0(VALU_DEP_1) | instskip(NEXT) | instid1(VALU_DEP_1)
	v_fma_f64 v[228:229], -v[224:225], v[226:227], 1.0
	v_fma_f64 v[226:227], v[226:227], v[228:229], v[226:227]
	s_delay_alu instid0(VALU_DEP_1) | instskip(NEXT) | instid1(VALU_DEP_1)
	v_mul_f64 v[228:229], v[230:231], v[226:227]
	v_fma_f64 v[224:225], -v[224:225], v[228:229], v[230:231]
	s_delay_alu instid0(VALU_DEP_1) | instskip(NEXT) | instid1(VALU_DEP_1)
	v_div_fmas_f64 v[224:225], v[224:225], v[226:227], v[228:229]
	v_div_fixup_f64 v[224:225], v[224:225], v[222:223], v[220:221]
	s_delay_alu instid0(VALU_DEP_1) | instskip(NEXT) | instid1(VALU_DEP_1)
	v_fma_f64 v[220:221], v[220:221], v[224:225], v[222:223]
	v_div_scale_f64 v[222:223], null, v[220:221], v[220:221], 1.0
	s_delay_alu instid0(VALU_DEP_1) | instskip(SKIP_2) | instid1(VALU_DEP_1)
	v_rcp_f64_e32 v[226:227], v[222:223]
	s_waitcnt_depctr 0xfff
	v_fma_f64 v[228:229], -v[222:223], v[226:227], 1.0
	v_fma_f64 v[226:227], v[226:227], v[228:229], v[226:227]
	s_delay_alu instid0(VALU_DEP_1) | instskip(NEXT) | instid1(VALU_DEP_1)
	v_fma_f64 v[228:229], -v[222:223], v[226:227], 1.0
	v_fma_f64 v[226:227], v[226:227], v[228:229], v[226:227]
	v_div_scale_f64 v[228:229], vcc_lo, 1.0, v[220:221], 1.0
	s_delay_alu instid0(VALU_DEP_1) | instskip(NEXT) | instid1(VALU_DEP_1)
	v_mul_f64 v[230:231], v[228:229], v[226:227]
	v_fma_f64 v[222:223], -v[222:223], v[230:231], v[228:229]
	s_delay_alu instid0(VALU_DEP_1) | instskip(NEXT) | instid1(VALU_DEP_1)
	v_div_fmas_f64 v[222:223], v[222:223], v[226:227], v[230:231]
	v_div_fixup_f64 v[226:227], v[222:223], v[220:221], 1.0
                                        ; implicit-def: $vgpr220_vgpr221
	s_delay_alu instid0(VALU_DEP_1)
	v_mul_f64 v[228:229], v[224:225], v[226:227]
	v_xor_b32_e32 v227, 0x80000000, v227
.LBB83_320:
	s_and_not1_saveexec_b32 s3, s3
	s_cbranch_execz .LBB83_322
; %bb.321:
	v_div_scale_f64 v[224:225], null, v[220:221], v[220:221], v[222:223]
	v_div_scale_f64 v[230:231], vcc_lo, v[222:223], v[220:221], v[222:223]
	s_delay_alu instid0(VALU_DEP_2) | instskip(SKIP_2) | instid1(VALU_DEP_1)
	v_rcp_f64_e32 v[226:227], v[224:225]
	s_waitcnt_depctr 0xfff
	v_fma_f64 v[228:229], -v[224:225], v[226:227], 1.0
	v_fma_f64 v[226:227], v[226:227], v[228:229], v[226:227]
	s_delay_alu instid0(VALU_DEP_1) | instskip(NEXT) | instid1(VALU_DEP_1)
	v_fma_f64 v[228:229], -v[224:225], v[226:227], 1.0
	v_fma_f64 v[226:227], v[226:227], v[228:229], v[226:227]
	s_delay_alu instid0(VALU_DEP_1) | instskip(NEXT) | instid1(VALU_DEP_1)
	v_mul_f64 v[228:229], v[230:231], v[226:227]
	v_fma_f64 v[224:225], -v[224:225], v[228:229], v[230:231]
	s_delay_alu instid0(VALU_DEP_1) | instskip(NEXT) | instid1(VALU_DEP_1)
	v_div_fmas_f64 v[224:225], v[224:225], v[226:227], v[228:229]
	v_div_fixup_f64 v[224:225], v[224:225], v[220:221], v[222:223]
	s_delay_alu instid0(VALU_DEP_1) | instskip(NEXT) | instid1(VALU_DEP_1)
	v_fma_f64 v[220:221], v[222:223], v[224:225], v[220:221]
	v_div_scale_f64 v[222:223], null, v[220:221], v[220:221], 1.0
	s_delay_alu instid0(VALU_DEP_1) | instskip(SKIP_2) | instid1(VALU_DEP_1)
	v_rcp_f64_e32 v[226:227], v[222:223]
	s_waitcnt_depctr 0xfff
	v_fma_f64 v[228:229], -v[222:223], v[226:227], 1.0
	v_fma_f64 v[226:227], v[226:227], v[228:229], v[226:227]
	s_delay_alu instid0(VALU_DEP_1) | instskip(NEXT) | instid1(VALU_DEP_1)
	v_fma_f64 v[228:229], -v[222:223], v[226:227], 1.0
	v_fma_f64 v[226:227], v[226:227], v[228:229], v[226:227]
	v_div_scale_f64 v[228:229], vcc_lo, 1.0, v[220:221], 1.0
	s_delay_alu instid0(VALU_DEP_1) | instskip(NEXT) | instid1(VALU_DEP_1)
	v_mul_f64 v[230:231], v[228:229], v[226:227]
	v_fma_f64 v[222:223], -v[222:223], v[230:231], v[228:229]
	s_delay_alu instid0(VALU_DEP_1) | instskip(NEXT) | instid1(VALU_DEP_1)
	v_div_fmas_f64 v[222:223], v[222:223], v[226:227], v[230:231]
	v_div_fixup_f64 v[228:229], v[222:223], v[220:221], 1.0
	s_delay_alu instid0(VALU_DEP_1)
	v_mul_f64 v[226:227], v[224:225], -v[228:229]
.LBB83_322:
	s_or_b32 exec_lo, exec_lo, s3
	ds_store_2addr_b64 v251, v[228:229], v[226:227] offset1:1
.LBB83_323:
	s_or_b32 exec_lo, exec_lo, s4
	s_waitcnt lgkmcnt(0)
	s_barrier
	buffer_gl0_inv
	ds_load_2addr_b64 v[220:223], v251 offset1:1
	s_mov_b32 s3, exec_lo
	v_cmpx_lt_u32_e32 35, v250
	s_cbranch_execz .LBB83_325
; %bb.324:
	s_waitcnt lgkmcnt(0)
	v_mul_f64 v[224:225], v[220:221], v[26:27]
	v_mul_f64 v[26:27], v[222:223], v[26:27]
	s_delay_alu instid0(VALU_DEP_2) | instskip(SKIP_4) | instid1(VALU_DEP_1)
	v_fma_f64 v[228:229], v[222:223], v[24:25], v[224:225]
	ds_load_2addr_b64 v[224:227], v252 offset0:72 offset1:73
	v_fma_f64 v[24:25], v[220:221], v[24:25], -v[26:27]
	s_waitcnt lgkmcnt(0)
	v_mul_f64 v[26:27], v[226:227], v[228:229]
	v_fma_f64 v[26:27], v[224:225], v[24:25], -v[26:27]
	v_mul_f64 v[224:225], v[224:225], v[228:229]
	s_delay_alu instid0(VALU_DEP_2) | instskip(NEXT) | instid1(VALU_DEP_2)
	v_add_f64 v[20:21], v[20:21], -v[26:27]
	v_fma_f64 v[224:225], v[226:227], v[24:25], v[224:225]
	s_delay_alu instid0(VALU_DEP_1) | instskip(SKIP_3) | instid1(VALU_DEP_1)
	v_add_f64 v[22:23], v[22:23], -v[224:225]
	ds_load_2addr_b64 v[224:227], v252 offset0:74 offset1:75
	s_waitcnt lgkmcnt(0)
	v_mul_f64 v[26:27], v[226:227], v[228:229]
	v_fma_f64 v[26:27], v[224:225], v[24:25], -v[26:27]
	v_mul_f64 v[224:225], v[224:225], v[228:229]
	s_delay_alu instid0(VALU_DEP_2) | instskip(NEXT) | instid1(VALU_DEP_2)
	v_add_f64 v[16:17], v[16:17], -v[26:27]
	v_fma_f64 v[224:225], v[226:227], v[24:25], v[224:225]
	s_delay_alu instid0(VALU_DEP_1) | instskip(SKIP_3) | instid1(VALU_DEP_1)
	v_add_f64 v[18:19], v[18:19], -v[224:225]
	ds_load_2addr_b64 v[224:227], v252 offset0:76 offset1:77
	;; [unrolled: 10-line block ×5, first 2 shown]
	s_waitcnt lgkmcnt(0)
	v_mul_f64 v[26:27], v[226:227], v[228:229]
	v_fma_f64 v[26:27], v[224:225], v[24:25], -v[26:27]
	v_mul_f64 v[224:225], v[224:225], v[228:229]
	s_delay_alu instid0(VALU_DEP_2) | instskip(NEXT) | instid1(VALU_DEP_2)
	v_add_f64 v[0:1], v[0:1], -v[26:27]
	v_fma_f64 v[224:225], v[226:227], v[24:25], v[224:225]
	v_dual_mov_b32 v26, v228 :: v_dual_mov_b32 v27, v229
	s_delay_alu instid0(VALU_DEP_2)
	v_add_f64 v[2:3], v[2:3], -v[224:225]
.LBB83_325:
	s_or_b32 exec_lo, exec_lo, s3
	s_delay_alu instid0(SALU_CYCLE_1)
	s_mov_b32 s4, exec_lo
	s_waitcnt lgkmcnt(0)
	s_barrier
	buffer_gl0_inv
	v_cmpx_eq_u32_e32 36, v250
	s_cbranch_execz .LBB83_332
; %bb.326:
	ds_store_2addr_b64 v251, v[20:21], v[22:23] offset1:1
	ds_store_2addr_b64 v252, v[16:17], v[18:19] offset0:74 offset1:75
	ds_store_2addr_b64 v252, v[12:13], v[14:15] offset0:76 offset1:77
	;; [unrolled: 1-line block ×5, first 2 shown]
	ds_load_2addr_b64 v[224:227], v251 offset1:1
	s_waitcnt lgkmcnt(0)
	v_cmp_neq_f64_e32 vcc_lo, 0, v[224:225]
	v_cmp_neq_f64_e64 s3, 0, v[226:227]
	s_delay_alu instid0(VALU_DEP_1) | instskip(NEXT) | instid1(SALU_CYCLE_1)
	s_or_b32 s3, vcc_lo, s3
	s_and_b32 exec_lo, exec_lo, s3
	s_cbranch_execz .LBB83_332
; %bb.327:
	v_cmp_gt_f64_e32 vcc_lo, 0, v[224:225]
	v_xor_b32_e32 v168, 0x80000000, v225
	s_mov_b32 s3, exec_lo
                                        ; implicit-def: $vgpr232_vgpr233
	s_delay_alu instid0(VALU_DEP_1) | instskip(SKIP_3) | instid1(VALU_DEP_1)
	v_cndmask_b32_e32 v229, v225, v168, vcc_lo
	v_cndmask_b32_e32 v228, v224, v224, vcc_lo
	v_cmp_gt_f64_e32 vcc_lo, 0, v[226:227]
	v_xor_b32_e32 v168, 0x80000000, v227
	v_dual_cndmask_b32 v230, v226, v226 :: v_dual_cndmask_b32 v231, v227, v168
	s_delay_alu instid0(VALU_DEP_1)
	v_cmpx_ngt_f64_e32 v[228:229], v[230:231]
	s_xor_b32 s3, exec_lo, s3
                                        ; implicit-def: $vgpr228_vgpr229_vgpr230_vgpr231
	s_cbranch_execz .LBB83_329
; %bb.328:
	v_div_scale_f64 v[228:229], null, v[226:227], v[226:227], v[224:225]
	v_div_scale_f64 v[234:235], vcc_lo, v[224:225], v[226:227], v[224:225]
	s_delay_alu instid0(VALU_DEP_2) | instskip(SKIP_2) | instid1(VALU_DEP_1)
	v_rcp_f64_e32 v[230:231], v[228:229]
	s_waitcnt_depctr 0xfff
	v_fma_f64 v[232:233], -v[228:229], v[230:231], 1.0
	v_fma_f64 v[230:231], v[230:231], v[232:233], v[230:231]
	s_delay_alu instid0(VALU_DEP_1) | instskip(NEXT) | instid1(VALU_DEP_1)
	v_fma_f64 v[232:233], -v[228:229], v[230:231], 1.0
	v_fma_f64 v[230:231], v[230:231], v[232:233], v[230:231]
	s_delay_alu instid0(VALU_DEP_1) | instskip(NEXT) | instid1(VALU_DEP_1)
	v_mul_f64 v[232:233], v[234:235], v[230:231]
	v_fma_f64 v[228:229], -v[228:229], v[232:233], v[234:235]
	s_delay_alu instid0(VALU_DEP_1) | instskip(NEXT) | instid1(VALU_DEP_1)
	v_div_fmas_f64 v[228:229], v[228:229], v[230:231], v[232:233]
	v_div_fixup_f64 v[228:229], v[228:229], v[226:227], v[224:225]
	s_delay_alu instid0(VALU_DEP_1) | instskip(NEXT) | instid1(VALU_DEP_1)
	v_fma_f64 v[224:225], v[224:225], v[228:229], v[226:227]
	v_div_scale_f64 v[226:227], null, v[224:225], v[224:225], 1.0
	s_delay_alu instid0(VALU_DEP_1) | instskip(SKIP_2) | instid1(VALU_DEP_1)
	v_rcp_f64_e32 v[230:231], v[226:227]
	s_waitcnt_depctr 0xfff
	v_fma_f64 v[232:233], -v[226:227], v[230:231], 1.0
	v_fma_f64 v[230:231], v[230:231], v[232:233], v[230:231]
	s_delay_alu instid0(VALU_DEP_1) | instskip(NEXT) | instid1(VALU_DEP_1)
	v_fma_f64 v[232:233], -v[226:227], v[230:231], 1.0
	v_fma_f64 v[230:231], v[230:231], v[232:233], v[230:231]
	v_div_scale_f64 v[232:233], vcc_lo, 1.0, v[224:225], 1.0
	s_delay_alu instid0(VALU_DEP_1) | instskip(NEXT) | instid1(VALU_DEP_1)
	v_mul_f64 v[234:235], v[232:233], v[230:231]
	v_fma_f64 v[226:227], -v[226:227], v[234:235], v[232:233]
	s_delay_alu instid0(VALU_DEP_1) | instskip(NEXT) | instid1(VALU_DEP_1)
	v_div_fmas_f64 v[226:227], v[226:227], v[230:231], v[234:235]
	v_div_fixup_f64 v[230:231], v[226:227], v[224:225], 1.0
                                        ; implicit-def: $vgpr224_vgpr225
	s_delay_alu instid0(VALU_DEP_1)
	v_mul_f64 v[232:233], v[228:229], v[230:231]
	v_xor_b32_e32 v231, 0x80000000, v231
.LBB83_329:
	s_and_not1_saveexec_b32 s3, s3
	s_cbranch_execz .LBB83_331
; %bb.330:
	v_div_scale_f64 v[228:229], null, v[224:225], v[224:225], v[226:227]
	v_div_scale_f64 v[234:235], vcc_lo, v[226:227], v[224:225], v[226:227]
	s_delay_alu instid0(VALU_DEP_2) | instskip(SKIP_2) | instid1(VALU_DEP_1)
	v_rcp_f64_e32 v[230:231], v[228:229]
	s_waitcnt_depctr 0xfff
	v_fma_f64 v[232:233], -v[228:229], v[230:231], 1.0
	v_fma_f64 v[230:231], v[230:231], v[232:233], v[230:231]
	s_delay_alu instid0(VALU_DEP_1) | instskip(NEXT) | instid1(VALU_DEP_1)
	v_fma_f64 v[232:233], -v[228:229], v[230:231], 1.0
	v_fma_f64 v[230:231], v[230:231], v[232:233], v[230:231]
	s_delay_alu instid0(VALU_DEP_1) | instskip(NEXT) | instid1(VALU_DEP_1)
	v_mul_f64 v[232:233], v[234:235], v[230:231]
	v_fma_f64 v[228:229], -v[228:229], v[232:233], v[234:235]
	s_delay_alu instid0(VALU_DEP_1) | instskip(NEXT) | instid1(VALU_DEP_1)
	v_div_fmas_f64 v[228:229], v[228:229], v[230:231], v[232:233]
	v_div_fixup_f64 v[228:229], v[228:229], v[224:225], v[226:227]
	s_delay_alu instid0(VALU_DEP_1) | instskip(NEXT) | instid1(VALU_DEP_1)
	v_fma_f64 v[224:225], v[226:227], v[228:229], v[224:225]
	v_div_scale_f64 v[226:227], null, v[224:225], v[224:225], 1.0
	s_delay_alu instid0(VALU_DEP_1) | instskip(SKIP_2) | instid1(VALU_DEP_1)
	v_rcp_f64_e32 v[230:231], v[226:227]
	s_waitcnt_depctr 0xfff
	v_fma_f64 v[232:233], -v[226:227], v[230:231], 1.0
	v_fma_f64 v[230:231], v[230:231], v[232:233], v[230:231]
	s_delay_alu instid0(VALU_DEP_1) | instskip(NEXT) | instid1(VALU_DEP_1)
	v_fma_f64 v[232:233], -v[226:227], v[230:231], 1.0
	v_fma_f64 v[230:231], v[230:231], v[232:233], v[230:231]
	v_div_scale_f64 v[232:233], vcc_lo, 1.0, v[224:225], 1.0
	s_delay_alu instid0(VALU_DEP_1) | instskip(NEXT) | instid1(VALU_DEP_1)
	v_mul_f64 v[234:235], v[232:233], v[230:231]
	v_fma_f64 v[226:227], -v[226:227], v[234:235], v[232:233]
	s_delay_alu instid0(VALU_DEP_1) | instskip(NEXT) | instid1(VALU_DEP_1)
	v_div_fmas_f64 v[226:227], v[226:227], v[230:231], v[234:235]
	v_div_fixup_f64 v[232:233], v[226:227], v[224:225], 1.0
	s_delay_alu instid0(VALU_DEP_1)
	v_mul_f64 v[230:231], v[228:229], -v[232:233]
.LBB83_331:
	s_or_b32 exec_lo, exec_lo, s3
	ds_store_2addr_b64 v251, v[232:233], v[230:231] offset1:1
.LBB83_332:
	s_or_b32 exec_lo, exec_lo, s4
	s_waitcnt lgkmcnt(0)
	s_barrier
	buffer_gl0_inv
	ds_load_2addr_b64 v[224:227], v251 offset1:1
	s_mov_b32 s3, exec_lo
	v_cmpx_lt_u32_e32 36, v250
	s_cbranch_execz .LBB83_334
; %bb.333:
	s_waitcnt lgkmcnt(0)
	v_mul_f64 v[228:229], v[224:225], v[22:23]
	v_mul_f64 v[22:23], v[226:227], v[22:23]
	s_delay_alu instid0(VALU_DEP_2) | instskip(SKIP_4) | instid1(VALU_DEP_1)
	v_fma_f64 v[232:233], v[226:227], v[20:21], v[228:229]
	ds_load_2addr_b64 v[228:231], v252 offset0:74 offset1:75
	v_fma_f64 v[20:21], v[224:225], v[20:21], -v[22:23]
	s_waitcnt lgkmcnt(0)
	v_mul_f64 v[22:23], v[230:231], v[232:233]
	v_fma_f64 v[22:23], v[228:229], v[20:21], -v[22:23]
	v_mul_f64 v[228:229], v[228:229], v[232:233]
	s_delay_alu instid0(VALU_DEP_2) | instskip(NEXT) | instid1(VALU_DEP_2)
	v_add_f64 v[16:17], v[16:17], -v[22:23]
	v_fma_f64 v[228:229], v[230:231], v[20:21], v[228:229]
	s_delay_alu instid0(VALU_DEP_1) | instskip(SKIP_3) | instid1(VALU_DEP_1)
	v_add_f64 v[18:19], v[18:19], -v[228:229]
	ds_load_2addr_b64 v[228:231], v252 offset0:76 offset1:77
	s_waitcnt lgkmcnt(0)
	v_mul_f64 v[22:23], v[230:231], v[232:233]
	v_fma_f64 v[22:23], v[228:229], v[20:21], -v[22:23]
	v_mul_f64 v[228:229], v[228:229], v[232:233]
	s_delay_alu instid0(VALU_DEP_2) | instskip(NEXT) | instid1(VALU_DEP_2)
	v_add_f64 v[12:13], v[12:13], -v[22:23]
	v_fma_f64 v[228:229], v[230:231], v[20:21], v[228:229]
	s_delay_alu instid0(VALU_DEP_1) | instskip(SKIP_3) | instid1(VALU_DEP_1)
	v_add_f64 v[14:15], v[14:15], -v[228:229]
	ds_load_2addr_b64 v[228:231], v252 offset0:78 offset1:79
	;; [unrolled: 10-line block ×4, first 2 shown]
	s_waitcnt lgkmcnt(0)
	v_mul_f64 v[22:23], v[230:231], v[232:233]
	v_fma_f64 v[22:23], v[228:229], v[20:21], -v[22:23]
	v_mul_f64 v[228:229], v[228:229], v[232:233]
	s_delay_alu instid0(VALU_DEP_2) | instskip(NEXT) | instid1(VALU_DEP_2)
	v_add_f64 v[0:1], v[0:1], -v[22:23]
	v_fma_f64 v[228:229], v[230:231], v[20:21], v[228:229]
	v_dual_mov_b32 v22, v232 :: v_dual_mov_b32 v23, v233
	s_delay_alu instid0(VALU_DEP_2)
	v_add_f64 v[2:3], v[2:3], -v[228:229]
.LBB83_334:
	s_or_b32 exec_lo, exec_lo, s3
	s_delay_alu instid0(SALU_CYCLE_1)
	s_mov_b32 s4, exec_lo
	s_waitcnt lgkmcnt(0)
	s_barrier
	buffer_gl0_inv
	v_cmpx_eq_u32_e32 37, v250
	s_cbranch_execz .LBB83_341
; %bb.335:
	ds_store_2addr_b64 v251, v[16:17], v[18:19] offset1:1
	ds_store_2addr_b64 v252, v[12:13], v[14:15] offset0:76 offset1:77
	ds_store_2addr_b64 v252, v[8:9], v[10:11] offset0:78 offset1:79
	;; [unrolled: 1-line block ×4, first 2 shown]
	ds_load_2addr_b64 v[228:231], v251 offset1:1
	s_waitcnt lgkmcnt(0)
	v_cmp_neq_f64_e32 vcc_lo, 0, v[228:229]
	v_cmp_neq_f64_e64 s3, 0, v[230:231]
	s_delay_alu instid0(VALU_DEP_1) | instskip(NEXT) | instid1(SALU_CYCLE_1)
	s_or_b32 s3, vcc_lo, s3
	s_and_b32 exec_lo, exec_lo, s3
	s_cbranch_execz .LBB83_341
; %bb.336:
	v_cmp_gt_f64_e32 vcc_lo, 0, v[228:229]
	v_xor_b32_e32 v168, 0x80000000, v229
	s_mov_b32 s3, exec_lo
                                        ; implicit-def: $vgpr236_vgpr237
	s_delay_alu instid0(VALU_DEP_1) | instskip(SKIP_3) | instid1(VALU_DEP_1)
	v_cndmask_b32_e32 v233, v229, v168, vcc_lo
	v_cndmask_b32_e32 v232, v228, v228, vcc_lo
	v_cmp_gt_f64_e32 vcc_lo, 0, v[230:231]
	v_xor_b32_e32 v168, 0x80000000, v231
	v_dual_cndmask_b32 v234, v230, v230 :: v_dual_cndmask_b32 v235, v231, v168
	s_delay_alu instid0(VALU_DEP_1)
	v_cmpx_ngt_f64_e32 v[232:233], v[234:235]
	s_xor_b32 s3, exec_lo, s3
                                        ; implicit-def: $vgpr232_vgpr233_vgpr234_vgpr235
	s_cbranch_execz .LBB83_338
; %bb.337:
	v_div_scale_f64 v[232:233], null, v[230:231], v[230:231], v[228:229]
	v_div_scale_f64 v[238:239], vcc_lo, v[228:229], v[230:231], v[228:229]
	s_delay_alu instid0(VALU_DEP_2) | instskip(SKIP_2) | instid1(VALU_DEP_1)
	v_rcp_f64_e32 v[234:235], v[232:233]
	s_waitcnt_depctr 0xfff
	v_fma_f64 v[236:237], -v[232:233], v[234:235], 1.0
	v_fma_f64 v[234:235], v[234:235], v[236:237], v[234:235]
	s_delay_alu instid0(VALU_DEP_1) | instskip(NEXT) | instid1(VALU_DEP_1)
	v_fma_f64 v[236:237], -v[232:233], v[234:235], 1.0
	v_fma_f64 v[234:235], v[234:235], v[236:237], v[234:235]
	s_delay_alu instid0(VALU_DEP_1) | instskip(NEXT) | instid1(VALU_DEP_1)
	v_mul_f64 v[236:237], v[238:239], v[234:235]
	v_fma_f64 v[232:233], -v[232:233], v[236:237], v[238:239]
	s_delay_alu instid0(VALU_DEP_1) | instskip(NEXT) | instid1(VALU_DEP_1)
	v_div_fmas_f64 v[232:233], v[232:233], v[234:235], v[236:237]
	v_div_fixup_f64 v[232:233], v[232:233], v[230:231], v[228:229]
	s_delay_alu instid0(VALU_DEP_1) | instskip(NEXT) | instid1(VALU_DEP_1)
	v_fma_f64 v[228:229], v[228:229], v[232:233], v[230:231]
	v_div_scale_f64 v[230:231], null, v[228:229], v[228:229], 1.0
	s_delay_alu instid0(VALU_DEP_1) | instskip(SKIP_2) | instid1(VALU_DEP_1)
	v_rcp_f64_e32 v[234:235], v[230:231]
	s_waitcnt_depctr 0xfff
	v_fma_f64 v[236:237], -v[230:231], v[234:235], 1.0
	v_fma_f64 v[234:235], v[234:235], v[236:237], v[234:235]
	s_delay_alu instid0(VALU_DEP_1) | instskip(NEXT) | instid1(VALU_DEP_1)
	v_fma_f64 v[236:237], -v[230:231], v[234:235], 1.0
	v_fma_f64 v[234:235], v[234:235], v[236:237], v[234:235]
	v_div_scale_f64 v[236:237], vcc_lo, 1.0, v[228:229], 1.0
	s_delay_alu instid0(VALU_DEP_1) | instskip(NEXT) | instid1(VALU_DEP_1)
	v_mul_f64 v[238:239], v[236:237], v[234:235]
	v_fma_f64 v[230:231], -v[230:231], v[238:239], v[236:237]
	s_delay_alu instid0(VALU_DEP_1) | instskip(NEXT) | instid1(VALU_DEP_1)
	v_div_fmas_f64 v[230:231], v[230:231], v[234:235], v[238:239]
	v_div_fixup_f64 v[234:235], v[230:231], v[228:229], 1.0
                                        ; implicit-def: $vgpr228_vgpr229
	s_delay_alu instid0(VALU_DEP_1)
	v_mul_f64 v[236:237], v[232:233], v[234:235]
	v_xor_b32_e32 v235, 0x80000000, v235
.LBB83_338:
	s_and_not1_saveexec_b32 s3, s3
	s_cbranch_execz .LBB83_340
; %bb.339:
	v_div_scale_f64 v[232:233], null, v[228:229], v[228:229], v[230:231]
	v_div_scale_f64 v[238:239], vcc_lo, v[230:231], v[228:229], v[230:231]
	s_delay_alu instid0(VALU_DEP_2) | instskip(SKIP_2) | instid1(VALU_DEP_1)
	v_rcp_f64_e32 v[234:235], v[232:233]
	s_waitcnt_depctr 0xfff
	v_fma_f64 v[236:237], -v[232:233], v[234:235], 1.0
	v_fma_f64 v[234:235], v[234:235], v[236:237], v[234:235]
	s_delay_alu instid0(VALU_DEP_1) | instskip(NEXT) | instid1(VALU_DEP_1)
	v_fma_f64 v[236:237], -v[232:233], v[234:235], 1.0
	v_fma_f64 v[234:235], v[234:235], v[236:237], v[234:235]
	s_delay_alu instid0(VALU_DEP_1) | instskip(NEXT) | instid1(VALU_DEP_1)
	v_mul_f64 v[236:237], v[238:239], v[234:235]
	v_fma_f64 v[232:233], -v[232:233], v[236:237], v[238:239]
	s_delay_alu instid0(VALU_DEP_1) | instskip(NEXT) | instid1(VALU_DEP_1)
	v_div_fmas_f64 v[232:233], v[232:233], v[234:235], v[236:237]
	v_div_fixup_f64 v[232:233], v[232:233], v[228:229], v[230:231]
	s_delay_alu instid0(VALU_DEP_1) | instskip(NEXT) | instid1(VALU_DEP_1)
	v_fma_f64 v[228:229], v[230:231], v[232:233], v[228:229]
	v_div_scale_f64 v[230:231], null, v[228:229], v[228:229], 1.0
	s_delay_alu instid0(VALU_DEP_1) | instskip(SKIP_2) | instid1(VALU_DEP_1)
	v_rcp_f64_e32 v[234:235], v[230:231]
	s_waitcnt_depctr 0xfff
	v_fma_f64 v[236:237], -v[230:231], v[234:235], 1.0
	v_fma_f64 v[234:235], v[234:235], v[236:237], v[234:235]
	s_delay_alu instid0(VALU_DEP_1) | instskip(NEXT) | instid1(VALU_DEP_1)
	v_fma_f64 v[236:237], -v[230:231], v[234:235], 1.0
	v_fma_f64 v[234:235], v[234:235], v[236:237], v[234:235]
	v_div_scale_f64 v[236:237], vcc_lo, 1.0, v[228:229], 1.0
	s_delay_alu instid0(VALU_DEP_1) | instskip(NEXT) | instid1(VALU_DEP_1)
	v_mul_f64 v[238:239], v[236:237], v[234:235]
	v_fma_f64 v[230:231], -v[230:231], v[238:239], v[236:237]
	s_delay_alu instid0(VALU_DEP_1) | instskip(NEXT) | instid1(VALU_DEP_1)
	v_div_fmas_f64 v[230:231], v[230:231], v[234:235], v[238:239]
	v_div_fixup_f64 v[236:237], v[230:231], v[228:229], 1.0
	s_delay_alu instid0(VALU_DEP_1)
	v_mul_f64 v[234:235], v[232:233], -v[236:237]
.LBB83_340:
	s_or_b32 exec_lo, exec_lo, s3
	ds_store_2addr_b64 v251, v[236:237], v[234:235] offset1:1
.LBB83_341:
	s_or_b32 exec_lo, exec_lo, s4
	s_waitcnt lgkmcnt(0)
	s_barrier
	buffer_gl0_inv
	ds_load_2addr_b64 v[228:231], v251 offset1:1
	s_mov_b32 s3, exec_lo
	v_cmpx_lt_u32_e32 37, v250
	s_cbranch_execz .LBB83_343
; %bb.342:
	s_waitcnt lgkmcnt(0)
	v_mul_f64 v[232:233], v[228:229], v[18:19]
	v_mul_f64 v[18:19], v[230:231], v[18:19]
	s_delay_alu instid0(VALU_DEP_2) | instskip(SKIP_4) | instid1(VALU_DEP_1)
	v_fma_f64 v[236:237], v[230:231], v[16:17], v[232:233]
	ds_load_2addr_b64 v[232:235], v252 offset0:76 offset1:77
	v_fma_f64 v[16:17], v[228:229], v[16:17], -v[18:19]
	s_waitcnt lgkmcnt(0)
	v_mul_f64 v[18:19], v[234:235], v[236:237]
	v_fma_f64 v[18:19], v[232:233], v[16:17], -v[18:19]
	v_mul_f64 v[232:233], v[232:233], v[236:237]
	s_delay_alu instid0(VALU_DEP_2) | instskip(NEXT) | instid1(VALU_DEP_2)
	v_add_f64 v[12:13], v[12:13], -v[18:19]
	v_fma_f64 v[232:233], v[234:235], v[16:17], v[232:233]
	s_delay_alu instid0(VALU_DEP_1) | instskip(SKIP_3) | instid1(VALU_DEP_1)
	v_add_f64 v[14:15], v[14:15], -v[232:233]
	ds_load_2addr_b64 v[232:235], v252 offset0:78 offset1:79
	s_waitcnt lgkmcnt(0)
	v_mul_f64 v[18:19], v[234:235], v[236:237]
	v_fma_f64 v[18:19], v[232:233], v[16:17], -v[18:19]
	v_mul_f64 v[232:233], v[232:233], v[236:237]
	s_delay_alu instid0(VALU_DEP_2) | instskip(NEXT) | instid1(VALU_DEP_2)
	v_add_f64 v[8:9], v[8:9], -v[18:19]
	v_fma_f64 v[232:233], v[234:235], v[16:17], v[232:233]
	s_delay_alu instid0(VALU_DEP_1) | instskip(SKIP_3) | instid1(VALU_DEP_1)
	v_add_f64 v[10:11], v[10:11], -v[232:233]
	ds_load_2addr_b64 v[232:235], v252 offset0:80 offset1:81
	;; [unrolled: 10-line block ×3, first 2 shown]
	s_waitcnt lgkmcnt(0)
	v_mul_f64 v[18:19], v[234:235], v[236:237]
	v_fma_f64 v[18:19], v[232:233], v[16:17], -v[18:19]
	v_mul_f64 v[232:233], v[232:233], v[236:237]
	s_delay_alu instid0(VALU_DEP_2) | instskip(NEXT) | instid1(VALU_DEP_2)
	v_add_f64 v[0:1], v[0:1], -v[18:19]
	v_fma_f64 v[232:233], v[234:235], v[16:17], v[232:233]
	v_dual_mov_b32 v18, v236 :: v_dual_mov_b32 v19, v237
	s_delay_alu instid0(VALU_DEP_2)
	v_add_f64 v[2:3], v[2:3], -v[232:233]
.LBB83_343:
	s_or_b32 exec_lo, exec_lo, s3
	s_delay_alu instid0(SALU_CYCLE_1)
	s_mov_b32 s4, exec_lo
	s_waitcnt lgkmcnt(0)
	s_barrier
	buffer_gl0_inv
	v_cmpx_eq_u32_e32 38, v250
	s_cbranch_execz .LBB83_350
; %bb.344:
	ds_store_2addr_b64 v251, v[12:13], v[14:15] offset1:1
	ds_store_2addr_b64 v252, v[8:9], v[10:11] offset0:78 offset1:79
	ds_store_2addr_b64 v252, v[4:5], v[6:7] offset0:80 offset1:81
	;; [unrolled: 1-line block ×3, first 2 shown]
	ds_load_2addr_b64 v[232:235], v251 offset1:1
	s_waitcnt lgkmcnt(0)
	v_cmp_neq_f64_e32 vcc_lo, 0, v[232:233]
	v_cmp_neq_f64_e64 s3, 0, v[234:235]
	s_delay_alu instid0(VALU_DEP_1) | instskip(NEXT) | instid1(SALU_CYCLE_1)
	s_or_b32 s3, vcc_lo, s3
	s_and_b32 exec_lo, exec_lo, s3
	s_cbranch_execz .LBB83_350
; %bb.345:
	v_cmp_gt_f64_e32 vcc_lo, 0, v[232:233]
	v_xor_b32_e32 v168, 0x80000000, v233
	s_mov_b32 s3, exec_lo
                                        ; implicit-def: $vgpr240_vgpr241
	s_delay_alu instid0(VALU_DEP_1) | instskip(SKIP_3) | instid1(VALU_DEP_1)
	v_cndmask_b32_e32 v237, v233, v168, vcc_lo
	v_cndmask_b32_e32 v236, v232, v232, vcc_lo
	v_cmp_gt_f64_e32 vcc_lo, 0, v[234:235]
	v_xor_b32_e32 v168, 0x80000000, v235
	v_dual_cndmask_b32 v238, v234, v234 :: v_dual_cndmask_b32 v239, v235, v168
	s_delay_alu instid0(VALU_DEP_1)
	v_cmpx_ngt_f64_e32 v[236:237], v[238:239]
	s_xor_b32 s3, exec_lo, s3
                                        ; implicit-def: $vgpr236_vgpr237_vgpr238_vgpr239
	s_cbranch_execz .LBB83_347
; %bb.346:
	v_div_scale_f64 v[236:237], null, v[234:235], v[234:235], v[232:233]
	v_div_scale_f64 v[242:243], vcc_lo, v[232:233], v[234:235], v[232:233]
	s_delay_alu instid0(VALU_DEP_2) | instskip(SKIP_2) | instid1(VALU_DEP_1)
	v_rcp_f64_e32 v[238:239], v[236:237]
	s_waitcnt_depctr 0xfff
	v_fma_f64 v[240:241], -v[236:237], v[238:239], 1.0
	v_fma_f64 v[238:239], v[238:239], v[240:241], v[238:239]
	s_delay_alu instid0(VALU_DEP_1) | instskip(NEXT) | instid1(VALU_DEP_1)
	v_fma_f64 v[240:241], -v[236:237], v[238:239], 1.0
	v_fma_f64 v[238:239], v[238:239], v[240:241], v[238:239]
	s_delay_alu instid0(VALU_DEP_1) | instskip(NEXT) | instid1(VALU_DEP_1)
	v_mul_f64 v[240:241], v[242:243], v[238:239]
	v_fma_f64 v[236:237], -v[236:237], v[240:241], v[242:243]
	s_delay_alu instid0(VALU_DEP_1) | instskip(NEXT) | instid1(VALU_DEP_1)
	v_div_fmas_f64 v[236:237], v[236:237], v[238:239], v[240:241]
	v_div_fixup_f64 v[236:237], v[236:237], v[234:235], v[232:233]
	s_delay_alu instid0(VALU_DEP_1) | instskip(NEXT) | instid1(VALU_DEP_1)
	v_fma_f64 v[232:233], v[232:233], v[236:237], v[234:235]
	v_div_scale_f64 v[234:235], null, v[232:233], v[232:233], 1.0
	s_delay_alu instid0(VALU_DEP_1) | instskip(SKIP_2) | instid1(VALU_DEP_1)
	v_rcp_f64_e32 v[238:239], v[234:235]
	s_waitcnt_depctr 0xfff
	v_fma_f64 v[240:241], -v[234:235], v[238:239], 1.0
	v_fma_f64 v[238:239], v[238:239], v[240:241], v[238:239]
	s_delay_alu instid0(VALU_DEP_1) | instskip(NEXT) | instid1(VALU_DEP_1)
	v_fma_f64 v[240:241], -v[234:235], v[238:239], 1.0
	v_fma_f64 v[238:239], v[238:239], v[240:241], v[238:239]
	v_div_scale_f64 v[240:241], vcc_lo, 1.0, v[232:233], 1.0
	s_delay_alu instid0(VALU_DEP_1) | instskip(NEXT) | instid1(VALU_DEP_1)
	v_mul_f64 v[242:243], v[240:241], v[238:239]
	v_fma_f64 v[234:235], -v[234:235], v[242:243], v[240:241]
	s_delay_alu instid0(VALU_DEP_1) | instskip(NEXT) | instid1(VALU_DEP_1)
	v_div_fmas_f64 v[234:235], v[234:235], v[238:239], v[242:243]
	v_div_fixup_f64 v[238:239], v[234:235], v[232:233], 1.0
                                        ; implicit-def: $vgpr232_vgpr233
	s_delay_alu instid0(VALU_DEP_1)
	v_mul_f64 v[240:241], v[236:237], v[238:239]
	v_xor_b32_e32 v239, 0x80000000, v239
.LBB83_347:
	s_and_not1_saveexec_b32 s3, s3
	s_cbranch_execz .LBB83_349
; %bb.348:
	v_div_scale_f64 v[236:237], null, v[232:233], v[232:233], v[234:235]
	v_div_scale_f64 v[242:243], vcc_lo, v[234:235], v[232:233], v[234:235]
	s_delay_alu instid0(VALU_DEP_2) | instskip(SKIP_2) | instid1(VALU_DEP_1)
	v_rcp_f64_e32 v[238:239], v[236:237]
	s_waitcnt_depctr 0xfff
	v_fma_f64 v[240:241], -v[236:237], v[238:239], 1.0
	v_fma_f64 v[238:239], v[238:239], v[240:241], v[238:239]
	s_delay_alu instid0(VALU_DEP_1) | instskip(NEXT) | instid1(VALU_DEP_1)
	v_fma_f64 v[240:241], -v[236:237], v[238:239], 1.0
	v_fma_f64 v[238:239], v[238:239], v[240:241], v[238:239]
	s_delay_alu instid0(VALU_DEP_1) | instskip(NEXT) | instid1(VALU_DEP_1)
	v_mul_f64 v[240:241], v[242:243], v[238:239]
	v_fma_f64 v[236:237], -v[236:237], v[240:241], v[242:243]
	s_delay_alu instid0(VALU_DEP_1) | instskip(NEXT) | instid1(VALU_DEP_1)
	v_div_fmas_f64 v[236:237], v[236:237], v[238:239], v[240:241]
	v_div_fixup_f64 v[236:237], v[236:237], v[232:233], v[234:235]
	s_delay_alu instid0(VALU_DEP_1) | instskip(NEXT) | instid1(VALU_DEP_1)
	v_fma_f64 v[232:233], v[234:235], v[236:237], v[232:233]
	v_div_scale_f64 v[234:235], null, v[232:233], v[232:233], 1.0
	s_delay_alu instid0(VALU_DEP_1) | instskip(SKIP_2) | instid1(VALU_DEP_1)
	v_rcp_f64_e32 v[238:239], v[234:235]
	s_waitcnt_depctr 0xfff
	v_fma_f64 v[240:241], -v[234:235], v[238:239], 1.0
	v_fma_f64 v[238:239], v[238:239], v[240:241], v[238:239]
	s_delay_alu instid0(VALU_DEP_1) | instskip(NEXT) | instid1(VALU_DEP_1)
	v_fma_f64 v[240:241], -v[234:235], v[238:239], 1.0
	v_fma_f64 v[238:239], v[238:239], v[240:241], v[238:239]
	v_div_scale_f64 v[240:241], vcc_lo, 1.0, v[232:233], 1.0
	s_delay_alu instid0(VALU_DEP_1) | instskip(NEXT) | instid1(VALU_DEP_1)
	v_mul_f64 v[242:243], v[240:241], v[238:239]
	v_fma_f64 v[234:235], -v[234:235], v[242:243], v[240:241]
	s_delay_alu instid0(VALU_DEP_1) | instskip(NEXT) | instid1(VALU_DEP_1)
	v_div_fmas_f64 v[234:235], v[234:235], v[238:239], v[242:243]
	v_div_fixup_f64 v[240:241], v[234:235], v[232:233], 1.0
	s_delay_alu instid0(VALU_DEP_1)
	v_mul_f64 v[238:239], v[236:237], -v[240:241]
.LBB83_349:
	s_or_b32 exec_lo, exec_lo, s3
	ds_store_2addr_b64 v251, v[240:241], v[238:239] offset1:1
.LBB83_350:
	s_or_b32 exec_lo, exec_lo, s4
	s_waitcnt lgkmcnt(0)
	s_barrier
	buffer_gl0_inv
	ds_load_2addr_b64 v[232:235], v251 offset1:1
	s_mov_b32 s3, exec_lo
	v_cmpx_lt_u32_e32 38, v250
	s_cbranch_execz .LBB83_352
; %bb.351:
	s_waitcnt lgkmcnt(0)
	v_mul_f64 v[236:237], v[232:233], v[14:15]
	v_mul_f64 v[14:15], v[234:235], v[14:15]
	s_delay_alu instid0(VALU_DEP_2) | instskip(SKIP_4) | instid1(VALU_DEP_1)
	v_fma_f64 v[240:241], v[234:235], v[12:13], v[236:237]
	ds_load_2addr_b64 v[236:239], v252 offset0:78 offset1:79
	v_fma_f64 v[12:13], v[232:233], v[12:13], -v[14:15]
	s_waitcnt lgkmcnt(0)
	v_mul_f64 v[14:15], v[238:239], v[240:241]
	v_fma_f64 v[14:15], v[236:237], v[12:13], -v[14:15]
	v_mul_f64 v[236:237], v[236:237], v[240:241]
	s_delay_alu instid0(VALU_DEP_2) | instskip(NEXT) | instid1(VALU_DEP_2)
	v_add_f64 v[8:9], v[8:9], -v[14:15]
	v_fma_f64 v[236:237], v[238:239], v[12:13], v[236:237]
	s_delay_alu instid0(VALU_DEP_1) | instskip(SKIP_3) | instid1(VALU_DEP_1)
	v_add_f64 v[10:11], v[10:11], -v[236:237]
	ds_load_2addr_b64 v[236:239], v252 offset0:80 offset1:81
	s_waitcnt lgkmcnt(0)
	v_mul_f64 v[14:15], v[238:239], v[240:241]
	v_fma_f64 v[14:15], v[236:237], v[12:13], -v[14:15]
	v_mul_f64 v[236:237], v[236:237], v[240:241]
	s_delay_alu instid0(VALU_DEP_2) | instskip(NEXT) | instid1(VALU_DEP_2)
	v_add_f64 v[4:5], v[4:5], -v[14:15]
	v_fma_f64 v[236:237], v[238:239], v[12:13], v[236:237]
	s_delay_alu instid0(VALU_DEP_1) | instskip(SKIP_3) | instid1(VALU_DEP_1)
	v_add_f64 v[6:7], v[6:7], -v[236:237]
	ds_load_2addr_b64 v[236:239], v252 offset0:82 offset1:83
	s_waitcnt lgkmcnt(0)
	v_mul_f64 v[14:15], v[238:239], v[240:241]
	v_fma_f64 v[14:15], v[236:237], v[12:13], -v[14:15]
	v_mul_f64 v[236:237], v[236:237], v[240:241]
	s_delay_alu instid0(VALU_DEP_2) | instskip(NEXT) | instid1(VALU_DEP_2)
	v_add_f64 v[0:1], v[0:1], -v[14:15]
	v_fma_f64 v[236:237], v[238:239], v[12:13], v[236:237]
	v_dual_mov_b32 v14, v240 :: v_dual_mov_b32 v15, v241
	s_delay_alu instid0(VALU_DEP_2)
	v_add_f64 v[2:3], v[2:3], -v[236:237]
.LBB83_352:
	s_or_b32 exec_lo, exec_lo, s3
	s_delay_alu instid0(SALU_CYCLE_1)
	s_mov_b32 s4, exec_lo
	s_waitcnt lgkmcnt(0)
	s_barrier
	buffer_gl0_inv
	v_cmpx_eq_u32_e32 39, v250
	s_cbranch_execz .LBB83_359
; %bb.353:
	ds_store_2addr_b64 v251, v[8:9], v[10:11] offset1:1
	ds_store_2addr_b64 v252, v[4:5], v[6:7] offset0:80 offset1:81
	ds_store_2addr_b64 v252, v[0:1], v[2:3] offset0:82 offset1:83
	ds_load_2addr_b64 v[236:239], v251 offset1:1
	s_waitcnt lgkmcnt(0)
	v_cmp_neq_f64_e32 vcc_lo, 0, v[236:237]
	v_cmp_neq_f64_e64 s3, 0, v[238:239]
	s_delay_alu instid0(VALU_DEP_1) | instskip(NEXT) | instid1(SALU_CYCLE_1)
	s_or_b32 s3, vcc_lo, s3
	s_and_b32 exec_lo, exec_lo, s3
	s_cbranch_execz .LBB83_359
; %bb.354:
	v_cmp_gt_f64_e32 vcc_lo, 0, v[236:237]
	v_xor_b32_e32 v168, 0x80000000, v237
	s_mov_b32 s3, exec_lo
                                        ; implicit-def: $vgpr244_vgpr245
	s_delay_alu instid0(VALU_DEP_1) | instskip(SKIP_3) | instid1(VALU_DEP_1)
	v_cndmask_b32_e32 v241, v237, v168, vcc_lo
	v_cndmask_b32_e32 v240, v236, v236, vcc_lo
	v_cmp_gt_f64_e32 vcc_lo, 0, v[238:239]
	v_xor_b32_e32 v168, 0x80000000, v239
	v_dual_cndmask_b32 v242, v238, v238 :: v_dual_cndmask_b32 v243, v239, v168
	s_delay_alu instid0(VALU_DEP_1)
	v_cmpx_ngt_f64_e32 v[240:241], v[242:243]
	s_xor_b32 s3, exec_lo, s3
                                        ; implicit-def: $vgpr240_vgpr241_vgpr242_vgpr243
	s_cbranch_execz .LBB83_356
; %bb.355:
	v_div_scale_f64 v[240:241], null, v[238:239], v[238:239], v[236:237]
	v_div_scale_f64 v[246:247], vcc_lo, v[236:237], v[238:239], v[236:237]
	s_delay_alu instid0(VALU_DEP_2) | instskip(SKIP_2) | instid1(VALU_DEP_1)
	v_rcp_f64_e32 v[242:243], v[240:241]
	s_waitcnt_depctr 0xfff
	v_fma_f64 v[244:245], -v[240:241], v[242:243], 1.0
	v_fma_f64 v[242:243], v[242:243], v[244:245], v[242:243]
	s_delay_alu instid0(VALU_DEP_1) | instskip(NEXT) | instid1(VALU_DEP_1)
	v_fma_f64 v[244:245], -v[240:241], v[242:243], 1.0
	v_fma_f64 v[242:243], v[242:243], v[244:245], v[242:243]
	s_delay_alu instid0(VALU_DEP_1) | instskip(NEXT) | instid1(VALU_DEP_1)
	v_mul_f64 v[244:245], v[246:247], v[242:243]
	v_fma_f64 v[240:241], -v[240:241], v[244:245], v[246:247]
	s_delay_alu instid0(VALU_DEP_1) | instskip(NEXT) | instid1(VALU_DEP_1)
	v_div_fmas_f64 v[240:241], v[240:241], v[242:243], v[244:245]
	v_div_fixup_f64 v[240:241], v[240:241], v[238:239], v[236:237]
	s_delay_alu instid0(VALU_DEP_1) | instskip(NEXT) | instid1(VALU_DEP_1)
	v_fma_f64 v[236:237], v[236:237], v[240:241], v[238:239]
	v_div_scale_f64 v[238:239], null, v[236:237], v[236:237], 1.0
	s_delay_alu instid0(VALU_DEP_1) | instskip(SKIP_2) | instid1(VALU_DEP_1)
	v_rcp_f64_e32 v[242:243], v[238:239]
	s_waitcnt_depctr 0xfff
	v_fma_f64 v[244:245], -v[238:239], v[242:243], 1.0
	v_fma_f64 v[242:243], v[242:243], v[244:245], v[242:243]
	s_delay_alu instid0(VALU_DEP_1) | instskip(NEXT) | instid1(VALU_DEP_1)
	v_fma_f64 v[244:245], -v[238:239], v[242:243], 1.0
	v_fma_f64 v[242:243], v[242:243], v[244:245], v[242:243]
	v_div_scale_f64 v[244:245], vcc_lo, 1.0, v[236:237], 1.0
	s_delay_alu instid0(VALU_DEP_1) | instskip(NEXT) | instid1(VALU_DEP_1)
	v_mul_f64 v[246:247], v[244:245], v[242:243]
	v_fma_f64 v[238:239], -v[238:239], v[246:247], v[244:245]
	s_delay_alu instid0(VALU_DEP_1) | instskip(NEXT) | instid1(VALU_DEP_1)
	v_div_fmas_f64 v[238:239], v[238:239], v[242:243], v[246:247]
	v_div_fixup_f64 v[242:243], v[238:239], v[236:237], 1.0
                                        ; implicit-def: $vgpr236_vgpr237
	s_delay_alu instid0(VALU_DEP_1)
	v_mul_f64 v[244:245], v[240:241], v[242:243]
	v_xor_b32_e32 v243, 0x80000000, v243
.LBB83_356:
	s_and_not1_saveexec_b32 s3, s3
	s_cbranch_execz .LBB83_358
; %bb.357:
	v_div_scale_f64 v[240:241], null, v[236:237], v[236:237], v[238:239]
	v_div_scale_f64 v[246:247], vcc_lo, v[238:239], v[236:237], v[238:239]
	s_delay_alu instid0(VALU_DEP_2) | instskip(SKIP_2) | instid1(VALU_DEP_1)
	v_rcp_f64_e32 v[242:243], v[240:241]
	s_waitcnt_depctr 0xfff
	v_fma_f64 v[244:245], -v[240:241], v[242:243], 1.0
	v_fma_f64 v[242:243], v[242:243], v[244:245], v[242:243]
	s_delay_alu instid0(VALU_DEP_1) | instskip(NEXT) | instid1(VALU_DEP_1)
	v_fma_f64 v[244:245], -v[240:241], v[242:243], 1.0
	v_fma_f64 v[242:243], v[242:243], v[244:245], v[242:243]
	s_delay_alu instid0(VALU_DEP_1) | instskip(NEXT) | instid1(VALU_DEP_1)
	v_mul_f64 v[244:245], v[246:247], v[242:243]
	v_fma_f64 v[240:241], -v[240:241], v[244:245], v[246:247]
	s_delay_alu instid0(VALU_DEP_1) | instskip(NEXT) | instid1(VALU_DEP_1)
	v_div_fmas_f64 v[240:241], v[240:241], v[242:243], v[244:245]
	v_div_fixup_f64 v[240:241], v[240:241], v[236:237], v[238:239]
	s_delay_alu instid0(VALU_DEP_1) | instskip(NEXT) | instid1(VALU_DEP_1)
	v_fma_f64 v[236:237], v[238:239], v[240:241], v[236:237]
	v_div_scale_f64 v[238:239], null, v[236:237], v[236:237], 1.0
	s_delay_alu instid0(VALU_DEP_1) | instskip(SKIP_2) | instid1(VALU_DEP_1)
	v_rcp_f64_e32 v[242:243], v[238:239]
	s_waitcnt_depctr 0xfff
	v_fma_f64 v[244:245], -v[238:239], v[242:243], 1.0
	v_fma_f64 v[242:243], v[242:243], v[244:245], v[242:243]
	s_delay_alu instid0(VALU_DEP_1) | instskip(NEXT) | instid1(VALU_DEP_1)
	v_fma_f64 v[244:245], -v[238:239], v[242:243], 1.0
	v_fma_f64 v[242:243], v[242:243], v[244:245], v[242:243]
	v_div_scale_f64 v[244:245], vcc_lo, 1.0, v[236:237], 1.0
	s_delay_alu instid0(VALU_DEP_1) | instskip(NEXT) | instid1(VALU_DEP_1)
	v_mul_f64 v[246:247], v[244:245], v[242:243]
	v_fma_f64 v[238:239], -v[238:239], v[246:247], v[244:245]
	s_delay_alu instid0(VALU_DEP_1) | instskip(NEXT) | instid1(VALU_DEP_1)
	v_div_fmas_f64 v[238:239], v[238:239], v[242:243], v[246:247]
	v_div_fixup_f64 v[244:245], v[238:239], v[236:237], 1.0
	s_delay_alu instid0(VALU_DEP_1)
	v_mul_f64 v[242:243], v[240:241], -v[244:245]
.LBB83_358:
	s_or_b32 exec_lo, exec_lo, s3
	ds_store_2addr_b64 v251, v[244:245], v[242:243] offset1:1
.LBB83_359:
	s_or_b32 exec_lo, exec_lo, s4
	s_waitcnt lgkmcnt(0)
	s_barrier
	buffer_gl0_inv
	ds_load_2addr_b64 v[236:239], v251 offset1:1
	s_mov_b32 s3, exec_lo
	v_cmpx_lt_u32_e32 39, v250
	s_cbranch_execz .LBB83_361
; %bb.360:
	s_waitcnt lgkmcnt(0)
	v_mul_f64 v[240:241], v[236:237], v[10:11]
	v_mul_f64 v[10:11], v[238:239], v[10:11]
	s_delay_alu instid0(VALU_DEP_2) | instskip(SKIP_4) | instid1(VALU_DEP_1)
	v_fma_f64 v[244:245], v[238:239], v[8:9], v[240:241]
	ds_load_2addr_b64 v[240:243], v252 offset0:80 offset1:81
	v_fma_f64 v[8:9], v[236:237], v[8:9], -v[10:11]
	s_waitcnt lgkmcnt(0)
	v_mul_f64 v[10:11], v[242:243], v[244:245]
	v_fma_f64 v[10:11], v[240:241], v[8:9], -v[10:11]
	v_mul_f64 v[240:241], v[240:241], v[244:245]
	s_delay_alu instid0(VALU_DEP_2) | instskip(NEXT) | instid1(VALU_DEP_2)
	v_add_f64 v[4:5], v[4:5], -v[10:11]
	v_fma_f64 v[240:241], v[242:243], v[8:9], v[240:241]
	s_delay_alu instid0(VALU_DEP_1) | instskip(SKIP_3) | instid1(VALU_DEP_1)
	v_add_f64 v[6:7], v[6:7], -v[240:241]
	ds_load_2addr_b64 v[240:243], v252 offset0:82 offset1:83
	s_waitcnt lgkmcnt(0)
	v_mul_f64 v[10:11], v[242:243], v[244:245]
	v_fma_f64 v[10:11], v[240:241], v[8:9], -v[10:11]
	v_mul_f64 v[240:241], v[240:241], v[244:245]
	s_delay_alu instid0(VALU_DEP_2) | instskip(NEXT) | instid1(VALU_DEP_2)
	v_add_f64 v[0:1], v[0:1], -v[10:11]
	v_fma_f64 v[240:241], v[242:243], v[8:9], v[240:241]
	v_dual_mov_b32 v10, v244 :: v_dual_mov_b32 v11, v245
	s_delay_alu instid0(VALU_DEP_2)
	v_add_f64 v[2:3], v[2:3], -v[240:241]
.LBB83_361:
	s_or_b32 exec_lo, exec_lo, s3
	s_delay_alu instid0(SALU_CYCLE_1)
	s_mov_b32 s4, exec_lo
	s_waitcnt lgkmcnt(0)
	s_barrier
	buffer_gl0_inv
	v_cmpx_eq_u32_e32 40, v250
	s_cbranch_execz .LBB83_368
; %bb.362:
	ds_store_2addr_b64 v251, v[4:5], v[6:7] offset1:1
	ds_store_2addr_b64 v252, v[0:1], v[2:3] offset0:82 offset1:83
	ds_load_2addr_b64 v[240:243], v251 offset1:1
	s_waitcnt lgkmcnt(0)
	v_cmp_neq_f64_e32 vcc_lo, 0, v[240:241]
	v_cmp_neq_f64_e64 s3, 0, v[242:243]
	s_delay_alu instid0(VALU_DEP_1) | instskip(NEXT) | instid1(SALU_CYCLE_1)
	s_or_b32 s3, vcc_lo, s3
	s_and_b32 exec_lo, exec_lo, s3
	s_cbranch_execz .LBB83_368
; %bb.363:
	v_cmp_gt_f64_e32 vcc_lo, 0, v[240:241]
	v_xor_b32_e32 v168, 0x80000000, v241
	s_mov_b32 s3, exec_lo
                                        ; implicit-def: $vgpr248_vgpr249
	s_delay_alu instid0(VALU_DEP_1) | instskip(SKIP_3) | instid1(VALU_DEP_1)
	v_cndmask_b32_e32 v245, v241, v168, vcc_lo
	v_cndmask_b32_e32 v244, v240, v240, vcc_lo
	v_cmp_gt_f64_e32 vcc_lo, 0, v[242:243]
	v_xor_b32_e32 v168, 0x80000000, v243
	v_dual_cndmask_b32 v246, v242, v242 :: v_dual_cndmask_b32 v247, v243, v168
	s_delay_alu instid0(VALU_DEP_1)
	v_cmpx_ngt_f64_e32 v[244:245], v[246:247]
	s_xor_b32 s3, exec_lo, s3
                                        ; implicit-def: $vgpr244_vgpr245_vgpr246_vgpr247
	s_cbranch_execz .LBB83_365
; %bb.364:
	v_div_scale_f64 v[244:245], null, v[242:243], v[242:243], v[240:241]
	v_div_scale_f64 v[253:254], vcc_lo, v[240:241], v[242:243], v[240:241]
	s_delay_alu instid0(VALU_DEP_2) | instskip(SKIP_2) | instid1(VALU_DEP_1)
	v_rcp_f64_e32 v[246:247], v[244:245]
	s_waitcnt_depctr 0xfff
	v_fma_f64 v[248:249], -v[244:245], v[246:247], 1.0
	v_fma_f64 v[246:247], v[246:247], v[248:249], v[246:247]
	s_delay_alu instid0(VALU_DEP_1) | instskip(NEXT) | instid1(VALU_DEP_1)
	v_fma_f64 v[248:249], -v[244:245], v[246:247], 1.0
	v_fma_f64 v[246:247], v[246:247], v[248:249], v[246:247]
	s_delay_alu instid0(VALU_DEP_1) | instskip(NEXT) | instid1(VALU_DEP_1)
	v_mul_f64 v[248:249], v[253:254], v[246:247]
	v_fma_f64 v[244:245], -v[244:245], v[248:249], v[253:254]
	s_delay_alu instid0(VALU_DEP_1) | instskip(NEXT) | instid1(VALU_DEP_1)
	v_div_fmas_f64 v[244:245], v[244:245], v[246:247], v[248:249]
	v_div_fixup_f64 v[244:245], v[244:245], v[242:243], v[240:241]
	s_delay_alu instid0(VALU_DEP_1) | instskip(NEXT) | instid1(VALU_DEP_1)
	v_fma_f64 v[240:241], v[240:241], v[244:245], v[242:243]
	v_div_scale_f64 v[242:243], null, v[240:241], v[240:241], 1.0
	s_delay_alu instid0(VALU_DEP_1) | instskip(SKIP_2) | instid1(VALU_DEP_1)
	v_rcp_f64_e32 v[246:247], v[242:243]
	s_waitcnt_depctr 0xfff
	v_fma_f64 v[248:249], -v[242:243], v[246:247], 1.0
	v_fma_f64 v[246:247], v[246:247], v[248:249], v[246:247]
	s_delay_alu instid0(VALU_DEP_1) | instskip(NEXT) | instid1(VALU_DEP_1)
	v_fma_f64 v[248:249], -v[242:243], v[246:247], 1.0
	v_fma_f64 v[246:247], v[246:247], v[248:249], v[246:247]
	v_div_scale_f64 v[248:249], vcc_lo, 1.0, v[240:241], 1.0
	s_delay_alu instid0(VALU_DEP_1) | instskip(NEXT) | instid1(VALU_DEP_1)
	v_mul_f64 v[253:254], v[248:249], v[246:247]
	v_fma_f64 v[242:243], -v[242:243], v[253:254], v[248:249]
	s_delay_alu instid0(VALU_DEP_1) | instskip(NEXT) | instid1(VALU_DEP_1)
	v_div_fmas_f64 v[242:243], v[242:243], v[246:247], v[253:254]
	v_div_fixup_f64 v[246:247], v[242:243], v[240:241], 1.0
                                        ; implicit-def: $vgpr240_vgpr241
	s_delay_alu instid0(VALU_DEP_1)
	v_mul_f64 v[248:249], v[244:245], v[246:247]
	v_xor_b32_e32 v247, 0x80000000, v247
.LBB83_365:
	s_and_not1_saveexec_b32 s3, s3
	s_cbranch_execz .LBB83_367
; %bb.366:
	v_div_scale_f64 v[244:245], null, v[240:241], v[240:241], v[242:243]
	v_div_scale_f64 v[253:254], vcc_lo, v[242:243], v[240:241], v[242:243]
	s_delay_alu instid0(VALU_DEP_2) | instskip(SKIP_2) | instid1(VALU_DEP_1)
	v_rcp_f64_e32 v[246:247], v[244:245]
	s_waitcnt_depctr 0xfff
	v_fma_f64 v[248:249], -v[244:245], v[246:247], 1.0
	v_fma_f64 v[246:247], v[246:247], v[248:249], v[246:247]
	s_delay_alu instid0(VALU_DEP_1) | instskip(NEXT) | instid1(VALU_DEP_1)
	v_fma_f64 v[248:249], -v[244:245], v[246:247], 1.0
	v_fma_f64 v[246:247], v[246:247], v[248:249], v[246:247]
	s_delay_alu instid0(VALU_DEP_1) | instskip(NEXT) | instid1(VALU_DEP_1)
	v_mul_f64 v[248:249], v[253:254], v[246:247]
	v_fma_f64 v[244:245], -v[244:245], v[248:249], v[253:254]
	s_delay_alu instid0(VALU_DEP_1) | instskip(NEXT) | instid1(VALU_DEP_1)
	v_div_fmas_f64 v[244:245], v[244:245], v[246:247], v[248:249]
	v_div_fixup_f64 v[244:245], v[244:245], v[240:241], v[242:243]
	s_delay_alu instid0(VALU_DEP_1) | instskip(NEXT) | instid1(VALU_DEP_1)
	v_fma_f64 v[240:241], v[242:243], v[244:245], v[240:241]
	v_div_scale_f64 v[242:243], null, v[240:241], v[240:241], 1.0
	s_delay_alu instid0(VALU_DEP_1) | instskip(SKIP_2) | instid1(VALU_DEP_1)
	v_rcp_f64_e32 v[246:247], v[242:243]
	s_waitcnt_depctr 0xfff
	v_fma_f64 v[248:249], -v[242:243], v[246:247], 1.0
	v_fma_f64 v[246:247], v[246:247], v[248:249], v[246:247]
	s_delay_alu instid0(VALU_DEP_1) | instskip(NEXT) | instid1(VALU_DEP_1)
	v_fma_f64 v[248:249], -v[242:243], v[246:247], 1.0
	v_fma_f64 v[246:247], v[246:247], v[248:249], v[246:247]
	v_div_scale_f64 v[248:249], vcc_lo, 1.0, v[240:241], 1.0
	s_delay_alu instid0(VALU_DEP_1) | instskip(NEXT) | instid1(VALU_DEP_1)
	v_mul_f64 v[253:254], v[248:249], v[246:247]
	v_fma_f64 v[242:243], -v[242:243], v[253:254], v[248:249]
	s_delay_alu instid0(VALU_DEP_1) | instskip(NEXT) | instid1(VALU_DEP_1)
	v_div_fmas_f64 v[242:243], v[242:243], v[246:247], v[253:254]
	v_div_fixup_f64 v[248:249], v[242:243], v[240:241], 1.0
	s_delay_alu instid0(VALU_DEP_1)
	v_mul_f64 v[246:247], v[244:245], -v[248:249]
.LBB83_367:
	s_or_b32 exec_lo, exec_lo, s3
	ds_store_2addr_b64 v251, v[248:249], v[246:247] offset1:1
.LBB83_368:
	s_or_b32 exec_lo, exec_lo, s4
	s_waitcnt lgkmcnt(0)
	s_barrier
	buffer_gl0_inv
	ds_load_2addr_b64 v[240:243], v251 offset1:1
	s_mov_b32 s3, exec_lo
	v_cmpx_lt_u32_e32 40, v250
	s_cbranch_execz .LBB83_370
; %bb.369:
	s_waitcnt lgkmcnt(0)
	v_mul_f64 v[244:245], v[240:241], v[6:7]
	v_mul_f64 v[6:7], v[242:243], v[6:7]
	s_delay_alu instid0(VALU_DEP_2) | instskip(SKIP_4) | instid1(VALU_DEP_1)
	v_fma_f64 v[248:249], v[242:243], v[4:5], v[244:245]
	ds_load_2addr_b64 v[244:247], v252 offset0:82 offset1:83
	v_fma_f64 v[4:5], v[240:241], v[4:5], -v[6:7]
	s_waitcnt lgkmcnt(0)
	v_mul_f64 v[6:7], v[246:247], v[248:249]
	v_fma_f64 v[6:7], v[244:245], v[4:5], -v[6:7]
	v_mul_f64 v[244:245], v[244:245], v[248:249]
	s_delay_alu instid0(VALU_DEP_2) | instskip(NEXT) | instid1(VALU_DEP_2)
	v_add_f64 v[0:1], v[0:1], -v[6:7]
	v_fma_f64 v[244:245], v[246:247], v[4:5], v[244:245]
	v_dual_mov_b32 v6, v248 :: v_dual_mov_b32 v7, v249
	s_delay_alu instid0(VALU_DEP_2)
	v_add_f64 v[2:3], v[2:3], -v[244:245]
.LBB83_370:
	s_or_b32 exec_lo, exec_lo, s3
	s_delay_alu instid0(SALU_CYCLE_1)
	s_mov_b32 s4, exec_lo
	s_waitcnt lgkmcnt(0)
	s_barrier
	buffer_gl0_inv
	v_cmpx_eq_u32_e32 41, v250
	s_cbranch_execz .LBB83_377
; %bb.371:
	v_cmp_neq_f64_e32 vcc_lo, 0, v[0:1]
	v_cmp_neq_f64_e64 s3, 0, v[2:3]
	ds_store_2addr_b64 v251, v[0:1], v[2:3] offset1:1
	s_or_b32 s3, vcc_lo, s3
	s_delay_alu instid0(SALU_CYCLE_1)
	s_and_b32 exec_lo, exec_lo, s3
	s_cbranch_execz .LBB83_377
; %bb.372:
	v_cmp_gt_f64_e32 vcc_lo, 0, v[0:1]
	v_xor_b32_e32 v168, 0x80000000, v1
	s_mov_b32 s3, exec_lo
                                        ; implicit-def: $vgpr248_vgpr249
	s_delay_alu instid0(VALU_DEP_1) | instskip(SKIP_3) | instid1(VALU_DEP_1)
	v_cndmask_b32_e32 v245, v1, v168, vcc_lo
	v_cndmask_b32_e32 v244, v0, v0, vcc_lo
	v_cmp_gt_f64_e32 vcc_lo, 0, v[2:3]
	v_xor_b32_e32 v168, 0x80000000, v3
	v_dual_cndmask_b32 v246, v2, v2 :: v_dual_cndmask_b32 v247, v3, v168
	s_delay_alu instid0(VALU_DEP_1)
	v_cmpx_ngt_f64_e32 v[244:245], v[246:247]
	s_xor_b32 s3, exec_lo, s3
                                        ; implicit-def: $vgpr244_vgpr245_vgpr246_vgpr247
	s_cbranch_execz .LBB83_374
; %bb.373:
	v_div_scale_f64 v[244:245], null, v[2:3], v[2:3], v[0:1]
	v_div_scale_f64 v[252:253], vcc_lo, v[0:1], v[2:3], v[0:1]
	v_mov_b32_e32 v209, v207
	v_dual_mov_b32 v208, v206 :: v_dual_mov_b32 v207, v205
	v_dual_mov_b32 v206, v204 :: v_dual_mov_b32 v205, v203
	;; [unrolled: 1-line block ×16, first 2 shown]
	v_mov_b32_e32 v176, v174
	v_rcp_f64_e32 v[246:247], v[244:245]
	v_mov_b32_e32 v175, v173
	v_mov_b32_e32 v174, v172
	s_delay_alu instid0(VALU_DEP_1) | instskip(NEXT) | instid1(VALU_DEP_3)
	v_mov_b32_e32 v172, v174
	v_dual_mov_b32 v173, v175 :: v_dual_mov_b32 v174, v176
	v_dual_mov_b32 v175, v177 :: v_dual_mov_b32 v176, v178
	;; [unrolled: 1-line block ×16, first 2 shown]
	s_delay_alu instid0(TRANS32_DEP_1) | instskip(SKIP_2) | instid1(VALU_DEP_3)
	v_fma_f64 v[248:249], -v[244:245], v[246:247], 1.0
	v_dual_mov_b32 v205, v207 :: v_dual_mov_b32 v206, v208
	v_mov_b32_e32 v207, v209
	v_fma_f64 v[246:247], v[246:247], v[248:249], v[246:247]
	s_delay_alu instid0(VALU_DEP_1) | instskip(NEXT) | instid1(VALU_DEP_1)
	v_fma_f64 v[248:249], -v[244:245], v[246:247], 1.0
	v_fma_f64 v[246:247], v[246:247], v[248:249], v[246:247]
	s_delay_alu instid0(VALU_DEP_1) | instskip(NEXT) | instid1(VALU_DEP_1)
	v_mul_f64 v[248:249], v[252:253], v[246:247]
	v_fma_f64 v[244:245], -v[244:245], v[248:249], v[252:253]
	s_delay_alu instid0(VALU_DEP_1) | instskip(NEXT) | instid1(VALU_DEP_1)
	v_div_fmas_f64 v[244:245], v[244:245], v[246:247], v[248:249]
	v_div_fixup_f64 v[244:245], v[244:245], v[2:3], v[0:1]
	s_delay_alu instid0(VALU_DEP_1) | instskip(NEXT) | instid1(VALU_DEP_1)
	v_fma_f64 v[246:247], v[0:1], v[244:245], v[2:3]
	v_div_scale_f64 v[248:249], null, v[246:247], v[246:247], 1.0
	s_delay_alu instid0(VALU_DEP_1) | instskip(SKIP_2) | instid1(VALU_DEP_1)
	v_rcp_f64_e32 v[252:253], v[248:249]
	s_waitcnt_depctr 0xfff
	v_fma_f64 v[254:255], -v[248:249], v[252:253], 1.0
	v_fma_f64 v[252:253], v[252:253], v[254:255], v[252:253]
	s_delay_alu instid0(VALU_DEP_1) | instskip(NEXT) | instid1(VALU_DEP_1)
	v_fma_f64 v[254:255], -v[248:249], v[252:253], 1.0
	v_fma_f64 v[252:253], v[252:253], v[254:255], v[252:253]
	v_div_scale_f64 v[254:255], vcc_lo, 1.0, v[246:247], 1.0
	s_delay_alu instid0(VALU_DEP_1) | instskip(NEXT) | instid1(VALU_DEP_1)
	v_mul_f64 v[168:169], v[254:255], v[252:253]
	v_fma_f64 v[170:171], -v[248:249], v[168:169], v[254:255]
	s_delay_alu instid0(VALU_DEP_1) | instskip(NEXT) | instid1(VALU_DEP_1)
	v_div_fmas_f64 v[168:169], v[170:171], v[252:253], v[168:169]
	v_div_fixup_f64 v[246:247], v[168:169], v[246:247], 1.0
	s_delay_alu instid0(VALU_DEP_1)
	v_mul_f64 v[248:249], v[244:245], v[246:247]
	v_xor_b32_e32 v247, 0x80000000, v247
.LBB83_374:
	s_and_not1_saveexec_b32 s3, s3
	s_cbranch_execz .LBB83_376
; %bb.375:
	v_div_scale_f64 v[168:169], null, v[0:1], v[0:1], v[2:3]
	v_div_scale_f64 v[246:247], vcc_lo, v[2:3], v[0:1], v[2:3]
	s_delay_alu instid0(VALU_DEP_2) | instskip(SKIP_2) | instid1(VALU_DEP_1)
	v_rcp_f64_e32 v[170:171], v[168:169]
	s_waitcnt_depctr 0xfff
	v_fma_f64 v[244:245], -v[168:169], v[170:171], 1.0
	v_fma_f64 v[170:171], v[170:171], v[244:245], v[170:171]
	s_delay_alu instid0(VALU_DEP_1) | instskip(NEXT) | instid1(VALU_DEP_1)
	v_fma_f64 v[244:245], -v[168:169], v[170:171], 1.0
	v_fma_f64 v[170:171], v[170:171], v[244:245], v[170:171]
	s_delay_alu instid0(VALU_DEP_1) | instskip(NEXT) | instid1(VALU_DEP_1)
	v_mul_f64 v[244:245], v[246:247], v[170:171]
	v_fma_f64 v[168:169], -v[168:169], v[244:245], v[246:247]
	s_delay_alu instid0(VALU_DEP_1) | instskip(NEXT) | instid1(VALU_DEP_1)
	v_div_fmas_f64 v[168:169], v[168:169], v[170:171], v[244:245]
	v_div_fixup_f64 v[168:169], v[168:169], v[0:1], v[2:3]
	s_delay_alu instid0(VALU_DEP_1) | instskip(NEXT) | instid1(VALU_DEP_1)
	v_fma_f64 v[170:171], v[2:3], v[168:169], v[0:1]
	v_div_scale_f64 v[244:245], null, v[170:171], v[170:171], 1.0
	s_delay_alu instid0(VALU_DEP_1) | instskip(SKIP_2) | instid1(VALU_DEP_1)
	v_rcp_f64_e32 v[246:247], v[244:245]
	s_waitcnt_depctr 0xfff
	v_fma_f64 v[248:249], -v[244:245], v[246:247], 1.0
	v_fma_f64 v[246:247], v[246:247], v[248:249], v[246:247]
	s_delay_alu instid0(VALU_DEP_1) | instskip(NEXT) | instid1(VALU_DEP_1)
	v_fma_f64 v[248:249], -v[244:245], v[246:247], 1.0
	v_fma_f64 v[246:247], v[246:247], v[248:249], v[246:247]
	v_div_scale_f64 v[248:249], vcc_lo, 1.0, v[170:171], 1.0
	s_delay_alu instid0(VALU_DEP_1) | instskip(NEXT) | instid1(VALU_DEP_1)
	v_mul_f64 v[252:253], v[248:249], v[246:247]
	v_fma_f64 v[244:245], -v[244:245], v[252:253], v[248:249]
	s_delay_alu instid0(VALU_DEP_1) | instskip(NEXT) | instid1(VALU_DEP_1)
	v_div_fmas_f64 v[244:245], v[244:245], v[246:247], v[252:253]
	v_div_fixup_f64 v[248:249], v[244:245], v[170:171], 1.0
	s_delay_alu instid0(VALU_DEP_1)
	v_mul_f64 v[246:247], v[168:169], -v[248:249]
.LBB83_376:
	s_or_b32 exec_lo, exec_lo, s3
	ds_store_2addr_b64 v251, v[248:249], v[246:247] offset1:1
.LBB83_377:
	s_or_b32 exec_lo, exec_lo, s4
	s_waitcnt lgkmcnt(0)
	s_barrier
	buffer_gl0_inv
	ds_load_2addr_b64 v[244:247], v251 offset1:1
	s_mov_b32 s3, exec_lo
	v_cmpx_lt_u32_e32 41, v250
	s_cbranch_execz .LBB83_379
; %bb.378:
	s_waitcnt lgkmcnt(0)
	v_mul_f64 v[168:169], v[246:247], v[2:3]
	v_mul_f64 v[2:3], v[244:245], v[2:3]
	s_delay_alu instid0(VALU_DEP_2) | instskip(NEXT) | instid1(VALU_DEP_2)
	v_fma_f64 v[168:169], v[244:245], v[0:1], -v[168:169]
	v_fma_f64 v[2:3], v[246:247], v[0:1], v[2:3]
	s_delay_alu instid0(VALU_DEP_2)
	v_dual_mov_b32 v0, v168 :: v_dual_mov_b32 v1, v169
.LBB83_379:
	s_or_b32 exec_lo, exec_lo, s3
	s_waitcnt lgkmcnt(0)
	s_barrier
	buffer_gl0_inv
	s_and_saveexec_b32 s12, s2
	s_cbranch_execz .LBB83_382
; %bb.380:
	scratch_load_b128 v[168:171], off, off offset:368 ; 16-byte Folded Reload
	v_dual_mov_b32 v254, v187 :: v_dual_mov_b32 v251, v184
	v_mov_b32_e32 v252, v185
	s_load_b64 s[14:15], s[0:1], 0x28
	v_dual_mov_b32 v253, v186 :: v_dual_mov_b32 v186, v183
	v_dual_mov_b32 v185, v182 :: v_dual_mov_b32 v184, v181
	;; [unrolled: 1-line block ×6, first 2 shown]
	v_mov_b32_e32 v175, v172
	s_waitcnt vmcnt(0)
	v_cmp_eq_f64_e32 vcc_lo, 0, v[168:169]
	v_cmp_eq_f64_e64 s2, 0, v[170:171]
	scratch_load_b128 v[168:171], off, off offset:384 ; 16-byte Folded Reload
	s_and_b32 s2, vcc_lo, s2
	s_waitcnt vmcnt(0)
	v_cmp_neq_f64_e64 s3, 0, v[168:169]
	v_cmp_neq_f64_e64 s4, 0, v[170:171]
	scratch_load_b128 v[168:171], off, off offset:400 ; 16-byte Folded Reload
	s_or_b32 s3, s3, s4
	s_delay_alu instid0(SALU_CYCLE_1)
	s_or_b32 vcc_lo, s3, s2
	s_waitcnt vmcnt(0)
	v_cmp_eq_f64_e64 s5, 0, v[168:169]
	v_cmp_eq_f64_e64 s6, 0, v[170:171]
	scratch_load_b128 v[168:171], off, off offset:416 ; 16-byte Folded Reload
	s_and_b32 s4, s5, s6
	s_waitcnt vmcnt(0)
	v_cmp_eq_f64_e64 s7, 0, v[168:169]
	v_cmp_eq_f64_e64 s8, 0, v[170:171]
	scratch_load_b128 v[168:171], off, off offset:432 ; 16-byte Folded Reload
	s_and_b32 s6, s7, s8
	s_waitcnt vmcnt(0)
	v_cmp_eq_f64_e64 s9, 0, v[168:169]
	v_cndmask_b32_e64 v168, 0, 1, s2
	v_cmp_eq_f64_e64 s10, 0, v[170:171]
	scratch_load_b128 v[169:172], off, off offset:448 ; 16-byte Folded Reload
	v_cndmask_b32_e32 v168, 2, v168, vcc_lo
	s_delay_alu instid0(VALU_DEP_1) | instskip(NEXT) | instid1(VALU_DEP_1)
	v_cmp_eq_u32_e64 s3, 0, v168
	s_and_b32 s3, s4, s3
	s_delay_alu instid0(SALU_CYCLE_1) | instskip(NEXT) | instid1(VALU_DEP_1)
	v_cndmask_b32_e64 v168, v168, 3, s3
	v_cmp_eq_u32_e64 s5, 0, v168
	s_delay_alu instid0(VALU_DEP_1) | instskip(NEXT) | instid1(SALU_CYCLE_1)
	s_and_b32 s5, s6, s5
	v_cndmask_b32_e64 v168, v168, 4, s5
	s_delay_alu instid0(VALU_DEP_1)
	v_cmp_eq_u32_e64 s7, 0, v168
	s_and_b32 s8, s9, s10
	s_delay_alu instid0(VALU_DEP_1) | instid1(SALU_CYCLE_1)
	s_and_b32 s7, s8, s7
	s_delay_alu instid0(SALU_CYCLE_1) | instskip(NEXT) | instid1(VALU_DEP_1)
	v_cndmask_b32_e64 v168, v168, 5, s7
	v_cmp_eq_u32_e64 s9, 0, v168
	s_waitcnt vmcnt(0)
	v_cmp_eq_f64_e32 vcc_lo, 0, v[169:170]
	v_cmp_eq_f64_e64 s2, 0, v[171:172]
	scratch_load_b128 v[169:172], off, off offset:464 ; 16-byte Folded Reload
	s_and_b32 s2, vcc_lo, s2
	s_delay_alu instid0(SALU_CYCLE_1) | instskip(NEXT) | instid1(SALU_CYCLE_1)
	s_and_b32 s2, s2, s9
	v_cndmask_b32_e64 v168, v168, 6, s2
	s_delay_alu instid0(VALU_DEP_1)
	v_cmp_eq_u32_e64 s9, 0, v168
	s_waitcnt vmcnt(0)
	v_cmp_eq_f64_e64 s3, 0, v[169:170]
	v_cmp_eq_f64_e64 s4, 0, v[171:172]
	scratch_load_b128 v[169:172], off, off offset:480 ; 16-byte Folded Reload
	s_and_b32 s3, s3, s4
	s_delay_alu instid0(SALU_CYCLE_1) | instskip(NEXT) | instid1(SALU_CYCLE_1)
	s_and_b32 s3, s3, s9
	v_cndmask_b32_e64 v168, v168, 7, s3
	s_delay_alu instid0(VALU_DEP_1)
	v_cmp_eq_u32_e64 s9, 0, v168
	s_waitcnt vmcnt(0)
	v_cmp_eq_f64_e64 s5, 0, v[169:170]
	v_cmp_eq_f64_e64 s6, 0, v[171:172]
	scratch_load_b128 v[169:172], off, off offset:496 ; 16-byte Folded Reload
	s_and_b32 s5, s5, s6
	s_delay_alu instid0(SALU_CYCLE_1) | instskip(NEXT) | instid1(SALU_CYCLE_1)
	s_and_b32 s5, s5, s9
	v_cndmask_b32_e64 v168, v168, 8, s5
	s_delay_alu instid0(VALU_DEP_1)
	v_cmp_eq_u32_e64 s9, 0, v168
	s_waitcnt vmcnt(0)
	v_cmp_eq_f64_e64 s7, 0, v[169:170]
	v_cmp_eq_f64_e64 s8, 0, v[171:172]
	scratch_load_b128 v[169:172], off, off offset:512 ; 16-byte Folded Reload
	s_and_b32 s8, s7, s8
	s_delay_alu instid0(SALU_CYCLE_1) | instskip(SKIP_2) | instid1(VALU_DEP_1)
	s_and_b32 s8, s8, s9
	v_cmp_eq_f64_e64 s9, 0, v[177:178]
	v_cndmask_b32_e64 v168, v168, 9, s8
	v_cmp_eq_u32_e64 s8, 0, v168
	s_waitcnt vmcnt(0)
	v_cmp_eq_f64_e32 vcc_lo, 0, v[169:170]
	v_cmp_eq_f64_e64 s2, 0, v[171:172]
	scratch_load_b128 v[169:172], off, off offset:528 ; 16-byte Folded Reload
	s_and_b32 s2, vcc_lo, s2
	s_delay_alu instid0(SALU_CYCLE_1) | instskip(NEXT) | instid1(SALU_CYCLE_1)
	s_and_b32 s2, s2, s8
	v_cndmask_b32_e64 v168, v168, 10, s2
	s_delay_alu instid0(VALU_DEP_1)
	v_cmp_eq_u32_e32 vcc_lo, 0, v168
	s_waitcnt vmcnt(0)
	v_cmp_eq_f64_e64 s3, 0, v[169:170]
	v_cmp_eq_f64_e64 s4, 0, v[171:172]
	scratch_load_b128 v[169:172], off, off offset:544 ; 16-byte Folded Reload
	s_and_b32 s3, s3, s4
	s_delay_alu instid0(SALU_CYCLE_1) | instskip(NEXT) | instid1(SALU_CYCLE_1)
	s_and_b32 s0, s3, vcc_lo
	v_cndmask_b32_e64 v168, v168, 11, s0
	s_delay_alu instid0(VALU_DEP_1)
	v_cmp_eq_u32_e64 s1, 0, v168
	s_waitcnt vmcnt(0)
	v_cmp_eq_f64_e64 s5, 0, v[169:170]
	v_cmp_eq_f64_e64 s6, 0, v[171:172]
	scratch_load_b128 v[169:172], off, off offset:560 ; 16-byte Folded Reload
	s_and_b32 s3, s5, s6
	s_delay_alu instid0(SALU_CYCLE_1)
	s_and_b32 s1, s3, s1
	s_waitcnt vmcnt(0)
	v_cmp_eq_f64_e64 s10, 0, v[169:170]
	v_cmp_eq_f64_e64 s7, 0, v[171:172]
	scratch_load_b128 v[169:172], off, off offset:576 ; 16-byte Folded Reload
	s_and_b32 s6, s10, s7
	s_waitcnt vmcnt(0)
	v_cmp_eq_f64_e64 s2, 0, v[169:170]
	v_cmp_eq_f64_e64 s8, 0, v[171:172]
	scratch_load_b128 v[169:172], off, off offset:592 ; 16-byte Folded Reload
	s_and_b32 s2, s2, s8
	s_waitcnt vmcnt(0)
	v_cmp_eq_f64_e32 vcc_lo, 0, v[169:170]
	v_cndmask_b32_e64 v170, v168, 12, s1
	scratch_load_b64 v[168:169], off, off offset:736 ; 8-byte Folded Reload
	v_cmp_eq_f64_e64 s0, 0, v[171:172]
	scratch_load_b128 v[171:174], off, off offset:608 ; 16-byte Folded Reload
	v_cmp_eq_u32_e64 s4, 0, v170
	s_delay_alu instid0(VALU_DEP_1)
	s_and_b32 s4, s6, s4
	s_and_b32 s0, vcc_lo, s0
	s_waitcnt vmcnt(1)
	v_lshlrev_b64 v[168:169], 2, v[168:169]
	s_waitcnt vmcnt(0)
	v_cmp_eq_f64_e64 s1, 0, v[171:172]
	v_cmp_eq_f64_e64 s3, 0, v[173:174]
	s_waitcnt lgkmcnt(0)
	s_delay_alu instid0(VALU_DEP_3) | instskip(NEXT) | instid1(VALU_DEP_1)
	v_add_co_u32 v248, s5, s14, v168
	v_add_co_ci_u32_e64 v249, s5, s15, v169, s5
	v_cndmask_b32_e64 v168, v170, 13, s4
	scratch_load_b128 v[169:172], off, off offset:624 ; 16-byte Folded Reload
	global_load_b32 v250, v[248:249], off
	v_cmp_eq_u32_e64 s6, 0, v168
	s_delay_alu instid0(VALU_DEP_1) | instskip(NEXT) | instid1(SALU_CYCLE_1)
	s_and_b32 s2, s2, s6
	v_cndmask_b32_e64 v168, v168, 14, s2
	s_delay_alu instid0(VALU_DEP_1) | instskip(NEXT) | instid1(VALU_DEP_1)
	v_cmp_eq_u32_e64 s7, 0, v168
	s_and_b32 s0, s0, s7
	s_delay_alu instid0(SALU_CYCLE_1) | instskip(NEXT) | instid1(VALU_DEP_1)
	v_cndmask_b32_e64 v168, v168, 15, s0
	v_cmp_eq_u32_e64 s7, 0, v168
	s_and_b32 s1, s1, s3
	s_delay_alu instid0(VALU_DEP_1) | instid1(SALU_CYCLE_1)
	s_and_b32 s1, s1, s7
	s_delay_alu instid0(SALU_CYCLE_1) | instskip(NEXT) | instid1(VALU_DEP_1)
	v_cndmask_b32_e64 v168, v168, 16, s1
	v_cmp_eq_u32_e64 s7, 0, v168
	s_waitcnt vmcnt(1)
	v_cmp_eq_f64_e64 s4, 0, v[169:170]
	v_cmp_eq_f64_e64 s5, 0, v[171:172]
	scratch_load_b128 v[169:172], off, off offset:640 ; 16-byte Folded Reload
	s_and_b32 s4, s4, s5
	s_delay_alu instid0(SALU_CYCLE_1) | instskip(NEXT) | instid1(SALU_CYCLE_1)
	s_and_b32 s4, s4, s7
	v_cndmask_b32_e64 v168, v168, 17, s4
	s_delay_alu instid0(VALU_DEP_1)
	v_cmp_eq_u32_e64 s7, 0, v168
	s_waitcnt vmcnt(0)
	v_cmp_eq_f64_e64 s2, 0, v[169:170]
	v_cmp_eq_f64_e64 s6, 0, v[171:172]
	scratch_load_b128 v[169:172], off, off offset:656 ; 16-byte Folded Reload
	s_and_b32 s2, s2, s6
	s_delay_alu instid0(SALU_CYCLE_1) | instskip(NEXT) | instid1(SALU_CYCLE_1)
	s_and_b32 s2, s2, s7
	v_cndmask_b32_e64 v168, v168, 18, s2
	s_delay_alu instid0(VALU_DEP_1)
	v_cmp_eq_u32_e64 s7, 0, v168
	s_waitcnt vmcnt(0)
	v_cmp_eq_f64_e32 vcc_lo, 0, v[169:170]
	v_cmp_eq_f64_e64 s0, 0, v[171:172]
	scratch_load_b128 v[169:172], off, off offset:672 ; 16-byte Folded Reload
	s_and_b32 s0, vcc_lo, s0
	s_delay_alu instid0(SALU_CYCLE_1) | instskip(NEXT) | instid1(SALU_CYCLE_1)
	s_and_b32 s0, s0, s7
	v_cndmask_b32_e64 v168, v168, 19, s0
	s_delay_alu instid0(VALU_DEP_1)
	v_cmp_eq_u32_e32 vcc_lo, 0, v168
	s_waitcnt vmcnt(0)
	v_cmp_eq_f64_e64 s1, 0, v[169:170]
	v_cmp_eq_f64_e64 s3, 0, v[171:172]
	scratch_load_b128 v[169:172], off, off offset:688 ; 16-byte Folded Reload
	s_and_b32 s0, s1, s3
	v_cmp_eq_f64_e64 s3, 0, v[175:176]
	s_and_b32 s0, s0, vcc_lo
	s_delay_alu instid0(SALU_CYCLE_1) | instskip(NEXT) | instid1(VALU_DEP_1)
	v_cndmask_b32_e64 v168, v168, 20, s0
	v_cmp_eq_u32_e32 vcc_lo, 0, v168
	s_delay_alu instid0(VALU_DEP_3)
	s_and_b32 s3, s3, s9
	s_waitcnt vmcnt(0)
	v_cmp_eq_f64_e64 s4, 0, v[169:170]
	v_cmp_eq_f64_e64 s5, 0, v[171:172]
	scratch_load_b128 v[169:172], off, off offset:704 ; 16-byte Folded Reload
	s_and_b32 s0, s4, s5
	s_delay_alu instid0(SALU_CYCLE_1) | instskip(SKIP_3) | instid1(VALU_DEP_2)
	s_and_b32 s0, s0, vcc_lo
	v_cmp_eq_f64_e32 vcc_lo, 0, v[179:180]
	v_cndmask_b32_e64 v168, v168, 21, s0
	v_cmp_eq_f64_e64 s0, 0, v[181:182]
	v_cmp_eq_u32_e64 s1, 0, v168
	s_delay_alu instid0(VALU_DEP_2)
	s_and_b32 s0, vcc_lo, s0
	v_cmp_eq_f64_e32 vcc_lo, 0, v[192:193]
	s_waitcnt vmcnt(0)
	v_cmp_eq_f64_e64 s2, 0, v[169:170]
	v_cmp_eq_f64_e64 s6, 0, v[171:172]
	scratch_load_b128 v[169:172], off, off offset:720 ; 16-byte Folded Reload
	s_and_b32 s2, s2, s6
	s_delay_alu instid0(SALU_CYCLE_1) | instskip(SKIP_3) | instid1(VALU_DEP_2)
	s_and_b32 s1, s2, s1
	v_cmp_eq_f64_e64 s2, 0, v[185:186]
	v_cndmask_b32_e64 v168, v168, 22, s1
	v_cmp_eq_f64_e64 s1, 0, v[183:184]
	v_cmp_eq_u32_e64 s4, 0, v168
	s_delay_alu instid0(VALU_DEP_2) | instskip(SKIP_4) | instid1(VALU_DEP_1)
	s_and_b32 s1, s1, s2
	v_cmp_eq_f64_e64 s2, 0, v[198:199]
	s_waitcnt vmcnt(0)
	v_cmp_eq_f64_e64 s7, 0, v[169:170]
	v_cmp_eq_f64_e64 s8, 0, v[171:172]
	s_and_b32 s5, s7, s8
	s_delay_alu instid0(SALU_CYCLE_1) | instskip(SKIP_3) | instid1(VALU_DEP_2)
	s_and_b32 s4, s5, s4
	v_cmp_eq_f64_e64 s5, 0, v[253:254]
	v_cndmask_b32_e64 v168, v168, 23, s4
	v_cmp_eq_f64_e64 s4, 0, v[251:252]
	v_cmp_eq_u32_e64 s6, 0, v168
	s_delay_alu instid0(VALU_DEP_1) | instskip(SKIP_3) | instid1(VALU_DEP_2)
	s_and_b32 s3, s3, s6
	v_cmp_eq_f64_e64 s6, 0, v[190:191]
	v_cndmask_b32_e64 v168, v168, 24, s3
	v_cmp_eq_f64_e64 s3, 0, v[188:189]
	v_cmp_eq_u32_e64 s7, 0, v168
	s_delay_alu instid0(VALU_DEP_1) | instskip(NEXT) | instid1(SALU_CYCLE_1)
	s_and_b32 s0, s0, s7
	v_cndmask_b32_e64 v168, v168, 25, s0
	v_cmp_eq_f64_e64 s0, 0, v[194:195]
	s_delay_alu instid0(VALU_DEP_2) | instskip(NEXT) | instid1(VALU_DEP_1)
	v_cmp_eq_u32_e64 s7, 0, v168
	s_and_b32 s1, s1, s7
	s_delay_alu instid0(SALU_CYCLE_1) | instskip(SKIP_3) | instid1(VALU_DEP_3)
	v_cndmask_b32_e64 v168, v168, 26, s1
	v_cmp_eq_f64_e64 s1, 0, v[196:197]
	s_and_b32 s4, s4, s5
	v_cmp_eq_f64_e64 s5, 0, v[202:203]
	v_cmp_eq_u32_e64 s7, 0, v168
	s_delay_alu instid0(VALU_DEP_1) | instskip(NEXT) | instid1(SALU_CYCLE_1)
	s_and_b32 s4, s4, s7
	v_cndmask_b32_e64 v168, v168, 27, s4
	v_cmp_eq_f64_e64 s4, 0, v[200:201]
	s_and_b32 s3, s3, s6
	v_cmp_eq_f64_e64 s6, 0, v[206:207]
	s_delay_alu instid0(VALU_DEP_3) | instskip(NEXT) | instid1(VALU_DEP_1)
	v_cmp_eq_u32_e64 s7, 0, v168
	s_and_b32 s3, s3, s7
	s_delay_alu instid0(SALU_CYCLE_1) | instskip(SKIP_3) | instid1(VALU_DEP_3)
	v_cndmask_b32_e64 v168, v168, 28, s3
	v_cmp_eq_f64_e64 s3, 0, v[204:205]
	s_and_b32 s0, vcc_lo, s0
	v_cmp_eq_f64_e32 vcc_lo, 0, v[164:165]
	v_cmp_eq_u32_e64 s7, 0, v168
	s_delay_alu instid0(VALU_DEP_1) | instskip(NEXT) | instid1(SALU_CYCLE_1)
	s_and_b32 s0, s0, s7
	v_cndmask_b32_e64 v168, v168, 29, s0
	v_cmp_eq_f64_e64 s0, 0, v[166:167]
	s_and_b32 s1, s1, s2
	v_cmp_eq_f64_e64 s2, 0, v[162:163]
	s_delay_alu instid0(VALU_DEP_3) | instskip(NEXT) | instid1(VALU_DEP_1)
	v_cmp_eq_u32_e64 s7, 0, v168
	s_and_b32 s1, s1, s7
	s_delay_alu instid0(SALU_CYCLE_1) | instskip(SKIP_3) | instid1(VALU_DEP_3)
	v_cndmask_b32_e64 v168, v168, 30, s1
	v_cmp_eq_f64_e64 s1, 0, v[160:161]
	s_and_b32 s4, s4, s5
	v_cmp_eq_f64_e64 s5, 0, v[218:219]
	v_cmp_eq_u32_e64 s7, 0, v168
	s_delay_alu instid0(VALU_DEP_1) | instskip(NEXT) | instid1(SALU_CYCLE_1)
	s_and_b32 s4, s4, s7
	v_cndmask_b32_e64 v168, v168, 31, s4
	v_cmp_eq_f64_e64 s4, 0, v[216:217]
	s_and_b32 s3, s3, s6
	v_cmp_eq_f64_e64 s6, 0, v[222:223]
	s_delay_alu instid0(VALU_DEP_3) | instskip(NEXT) | instid1(VALU_DEP_1)
	v_cmp_eq_u32_e64 s7, 0, v168
	s_and_b32 s3, s3, s7
	s_delay_alu instid0(SALU_CYCLE_1) | instskip(SKIP_3) | instid1(VALU_DEP_3)
	v_cndmask_b32_e64 v168, v168, 32, s3
	v_cmp_eq_f64_e64 s3, 0, v[220:221]
	s_and_b32 s0, vcc_lo, s0
	v_cmp_eq_f64_e32 vcc_lo, 0, v[224:225]
	v_cmp_eq_u32_e64 s7, 0, v168
	s_delay_alu instid0(VALU_DEP_1) | instskip(NEXT) | instid1(SALU_CYCLE_1)
	s_and_b32 s0, s0, s7
	v_cndmask_b32_e64 v168, v168, 33, s0
	v_cmp_eq_f64_e64 s0, 0, v[226:227]
	s_and_b32 s1, s1, s2
	v_cmp_eq_f64_e64 s2, 0, v[230:231]
	s_delay_alu instid0(VALU_DEP_3) | instskip(NEXT) | instid1(VALU_DEP_1)
	;; [unrolled: 30-line block ×3, first 2 shown]
	v_cmp_eq_u32_e64 s7, 0, v168
	s_and_b32 s1, s1, s7
	s_delay_alu instid0(SALU_CYCLE_1) | instskip(SKIP_2) | instid1(VALU_DEP_2)
	v_cndmask_b32_e64 v168, v168, 38, s1
	v_cmp_eq_f64_e64 s1, 0, v[244:245]
	s_and_b32 s4, s4, s5
	v_cmp_eq_u32_e64 s7, 0, v168
	s_delay_alu instid0(VALU_DEP_1) | instskip(NEXT) | instid1(SALU_CYCLE_1)
	s_and_b32 s4, s4, s7
	v_cndmask_b32_e64 v168, v168, 39, s4
	s_and_b32 s3, s3, s6
	s_delay_alu instid0(VALU_DEP_1) | instskip(NEXT) | instid1(VALU_DEP_1)
	v_cmp_eq_u32_e64 s4, 0, v168
	s_and_b32 s3, s3, s4
	s_delay_alu instid0(SALU_CYCLE_1) | instskip(SKIP_1) | instid1(VALU_DEP_1)
	v_cndmask_b32_e64 v168, v168, 40, s3
	s_and_b32 s0, vcc_lo, s0
	v_cmp_eq_u32_e64 s3, 0, v168
	s_delay_alu instid0(VALU_DEP_1) | instskip(NEXT) | instid1(SALU_CYCLE_1)
	s_and_b32 s0, s0, s3
	v_cndmask_b32_e64 v168, v168, 41, s0
	s_and_b32 s0, s1, s2
	s_delay_alu instid0(VALU_DEP_1) | instskip(SKIP_3) | instid1(VALU_DEP_1)
	v_cmp_eq_u32_e32 vcc_lo, 0, v168
	s_and_b32 s0, s0, vcc_lo
	v_cmp_eq_u32_e32 vcc_lo, 0, v250
	v_cndmask_b32_e64 v168, v168, 42, s0
	v_cmp_ne_u32_e64 s0, 0, v168
	s_delay_alu instid0(VALU_DEP_1) | instskip(NEXT) | instid1(SALU_CYCLE_1)
	s_and_b32 s0, vcc_lo, s0
	s_and_b32 exec_lo, exec_lo, s0
	s_cbranch_execz .LBB83_382
; %bb.381:
	v_add_nc_u32_e32 v168, s11, v168
	global_store_b32 v[248:249], v168, off
.LBB83_382:
	s_or_b32 exec_lo, exec_lo, s12
	s_clause 0x1
	scratch_load_b64 v[168:169], off, off offset:352
	scratch_load_b128 v[160:163], off, off offset:16
	s_waitcnt vmcnt(0)
	global_store_b128 v[168:169], v[160:163], off
	s_clause 0x1
	scratch_load_b64 v[164:165], off, off offset:360
	scratch_load_b128 v[160:163], off, off
	s_waitcnt vmcnt(0)
	global_store_b128 v[164:165], v[160:163], off
	scratch_load_b64 v[160:161], off, off offset:344 ; 8-byte Folded Reload
	s_waitcnt vmcnt(0)
	global_store_b128 v[160:161], v[156:159], off
	scratch_load_b64 v[156:157], off, off offset:336 ; 8-byte Folded Reload
	;; [unrolled: 3-line block ×40, first 2 shown]
	s_waitcnt vmcnt(0)
	global_store_b128 v[4:5], v[0:3], off
.LBB83_383:
	s_nop 0
	s_sendmsg sendmsg(MSG_DEALLOC_VGPRS)
	s_endpgm
	.section	.rodata,"a",@progbits
	.p2align	6, 0x0
	.amdhsa_kernel _ZN9rocsolver6v33100L23getf2_npvt_small_kernelILi42E19rocblas_complex_numIdEiiPKPS3_EEvT1_T3_lS7_lPT2_S7_S7_
		.amdhsa_group_segment_fixed_size 0
		.amdhsa_private_segment_fixed_size 748
		.amdhsa_kernarg_size 312
		.amdhsa_user_sgpr_count 14
		.amdhsa_user_sgpr_dispatch_ptr 0
		.amdhsa_user_sgpr_queue_ptr 0
		.amdhsa_user_sgpr_kernarg_segment_ptr 1
		.amdhsa_user_sgpr_dispatch_id 0
		.amdhsa_user_sgpr_private_segment_size 0
		.amdhsa_wavefront_size32 1
		.amdhsa_uses_dynamic_stack 0
		.amdhsa_enable_private_segment 1
		.amdhsa_system_sgpr_workgroup_id_x 1
		.amdhsa_system_sgpr_workgroup_id_y 1
		.amdhsa_system_sgpr_workgroup_id_z 0
		.amdhsa_system_sgpr_workgroup_info 0
		.amdhsa_system_vgpr_workitem_id 1
		.amdhsa_next_free_vgpr 256
		.amdhsa_next_free_sgpr 16
		.amdhsa_reserve_vcc 1
		.amdhsa_float_round_mode_32 0
		.amdhsa_float_round_mode_16_64 0
		.amdhsa_float_denorm_mode_32 3
		.amdhsa_float_denorm_mode_16_64 3
		.amdhsa_dx10_clamp 1
		.amdhsa_ieee_mode 1
		.amdhsa_fp16_overflow 0
		.amdhsa_workgroup_processor_mode 1
		.amdhsa_memory_ordered 1
		.amdhsa_forward_progress 0
		.amdhsa_shared_vgpr_count 0
		.amdhsa_exception_fp_ieee_invalid_op 0
		.amdhsa_exception_fp_denorm_src 0
		.amdhsa_exception_fp_ieee_div_zero 0
		.amdhsa_exception_fp_ieee_overflow 0
		.amdhsa_exception_fp_ieee_underflow 0
		.amdhsa_exception_fp_ieee_inexact 0
		.amdhsa_exception_int_div_zero 0
	.end_amdhsa_kernel
	.section	.text._ZN9rocsolver6v33100L23getf2_npvt_small_kernelILi42E19rocblas_complex_numIdEiiPKPS3_EEvT1_T3_lS7_lPT2_S7_S7_,"axG",@progbits,_ZN9rocsolver6v33100L23getf2_npvt_small_kernelILi42E19rocblas_complex_numIdEiiPKPS3_EEvT1_T3_lS7_lPT2_S7_S7_,comdat
.Lfunc_end83:
	.size	_ZN9rocsolver6v33100L23getf2_npvt_small_kernelILi42E19rocblas_complex_numIdEiiPKPS3_EEvT1_T3_lS7_lPT2_S7_S7_, .Lfunc_end83-_ZN9rocsolver6v33100L23getf2_npvt_small_kernelILi42E19rocblas_complex_numIdEiiPKPS3_EEvT1_T3_lS7_lPT2_S7_S7_
                                        ; -- End function
	.section	.AMDGPU.csdata,"",@progbits
; Kernel info:
; codeLenInByte = 102288
; NumSgprs: 18
; NumVgprs: 256
; ScratchSize: 748
; MemoryBound: 1
; FloatMode: 240
; IeeeMode: 1
; LDSByteSize: 0 bytes/workgroup (compile time only)
; SGPRBlocks: 2
; VGPRBlocks: 31
; NumSGPRsForWavesPerEU: 18
; NumVGPRsForWavesPerEU: 256
; Occupancy: 5
; WaveLimiterHint : 1
; COMPUTE_PGM_RSRC2:SCRATCH_EN: 1
; COMPUTE_PGM_RSRC2:USER_SGPR: 14
; COMPUTE_PGM_RSRC2:TRAP_HANDLER: 0
; COMPUTE_PGM_RSRC2:TGID_X_EN: 1
; COMPUTE_PGM_RSRC2:TGID_Y_EN: 1
; COMPUTE_PGM_RSRC2:TGID_Z_EN: 0
; COMPUTE_PGM_RSRC2:TIDIG_COMP_CNT: 1
	.section	.text._ZN9rocsolver6v33100L18getf2_small_kernelILi43E19rocblas_complex_numIdEiiPKPS3_EEvT1_T3_lS7_lPS7_llPT2_S7_S7_S9_l,"axG",@progbits,_ZN9rocsolver6v33100L18getf2_small_kernelILi43E19rocblas_complex_numIdEiiPKPS3_EEvT1_T3_lS7_lPS7_llPT2_S7_S7_S9_l,comdat
	.globl	_ZN9rocsolver6v33100L18getf2_small_kernelILi43E19rocblas_complex_numIdEiiPKPS3_EEvT1_T3_lS7_lPS7_llPT2_S7_S7_S9_l ; -- Begin function _ZN9rocsolver6v33100L18getf2_small_kernelILi43E19rocblas_complex_numIdEiiPKPS3_EEvT1_T3_lS7_lPS7_llPT2_S7_S7_S9_l
	.p2align	8
	.type	_ZN9rocsolver6v33100L18getf2_small_kernelILi43E19rocblas_complex_numIdEiiPKPS3_EEvT1_T3_lS7_lPS7_llPT2_S7_S7_S9_l,@function
_ZN9rocsolver6v33100L18getf2_small_kernelILi43E19rocblas_complex_numIdEiiPKPS3_EEvT1_T3_lS7_lPS7_llPT2_S7_S7_S9_l: ; @_ZN9rocsolver6v33100L18getf2_small_kernelILi43E19rocblas_complex_numIdEiiPKPS3_EEvT1_T3_lS7_lPS7_llPT2_S7_S7_S9_l
; %bb.0:
	s_clause 0x1
	s_load_b32 s2, s[0:1], 0x6c
	s_load_b64 s[12:13], s[0:1], 0x48
	v_bfe_u32 v172, v0, 10, 10
	s_waitcnt lgkmcnt(0)
	s_lshr_b32 s2, s2, 16
	s_delay_alu instid0(VALU_DEP_1) | instid1(SALU_CYCLE_1)
	v_mad_u64_u32 v[176:177], null, s15, s2, v[172:173]
	s_mov_b32 s2, exec_lo
	s_delay_alu instid0(VALU_DEP_1)
	v_cmpx_gt_i32_e64 s12, v176
	s_cbranch_execz .LBB84_906
; %bb.1:
	s_clause 0x1
	s_load_b128 s[4:7], s[0:1], 0x8
	s_load_b128 s[8:11], s[0:1], 0x50
	v_ashrrev_i32_e32 v177, 31, v176
	v_mov_b32_e32 v178, 0
	v_mov_b32_e32 v179, 0
	s_delay_alu instid0(VALU_DEP_3) | instskip(SKIP_1) | instid1(VALU_DEP_1)
	v_lshlrev_b64 v[1:2], 3, v[176:177]
	s_waitcnt lgkmcnt(0)
	v_add_co_u32 v1, vcc_lo, s4, v1
	s_delay_alu instid0(VALU_DEP_2)
	v_add_co_ci_u32_e32 v2, vcc_lo, s5, v2, vcc_lo
	s_cmp_eq_u64 s[8:9], 0
	s_cselect_b32 s4, -1, 0
	global_load_b64 v[1:2], v[1:2], off
	s_and_b32 vcc_lo, exec_lo, s4
	s_cbranch_vccnz .LBB84_3
; %bb.2:
	v_mul_lo_u32 v5, v177, s10
	v_mul_lo_u32 v6, v176, s11
	v_mad_u64_u32 v[3:4], null, v176, s10, 0
	s_delay_alu instid0(VALU_DEP_1) | instskip(NEXT) | instid1(VALU_DEP_1)
	v_add3_u32 v4, v4, v6, v5
	v_lshlrev_b64 v[3:4], 2, v[3:4]
	s_delay_alu instid0(VALU_DEP_1) | instskip(NEXT) | instid1(VALU_DEP_2)
	v_add_co_u32 v178, vcc_lo, s8, v3
	v_add_co_ci_u32_e32 v179, vcc_lo, s9, v4, vcc_lo
.LBB84_3:
	s_clause 0x1
	s_load_b32 s8, s[0:1], 0x18
	s_load_b32 s5, s[0:1], 0x0
	v_and_b32_e32 v187, 0x3ff, v0
	s_lshl_b64 s[2:3], s[6:7], 4
	s_waitcnt vmcnt(0)
	v_add_co_u32 v183, vcc_lo, v1, s2
	v_add_co_ci_u32_e32 v184, vcc_lo, s3, v2, vcc_lo
	v_lshlrev_b32_e32 v173, 4, v187
	s_delay_alu instid0(VALU_DEP_1) | instskip(NEXT) | instid1(VALU_DEP_3)
	v_add_co_u32 v0, vcc_lo, v183, v173
	v_add_co_ci_u32_e32 v1, vcc_lo, 0, v184, vcc_lo
	s_waitcnt lgkmcnt(0)
	v_add3_u32 v3, s8, s8, v187
	s_ashr_i32 s9, s8, 31
	s_max_i32 s2, s5, 43
	s_lshl_b64 s[10:11], s[8:9], 4
	s_cmp_lt_i32 s5, 2
	v_add_nc_u32_e32 v5, s8, v3
	v_ashrrev_i32_e32 v4, 31, v3
	s_delay_alu instid0(VALU_DEP_2) | instskip(SKIP_1) | instid1(VALU_DEP_3)
	v_ashrrev_i32_e32 v6, 31, v5
	v_add_nc_u32_e32 v2, s8, v5
	v_lshlrev_b64 v[7:8], 4, v[3:4]
	s_delay_alu instid0(VALU_DEP_3) | instskip(NEXT) | instid1(VALU_DEP_3)
	v_lshlrev_b64 v[4:5], 4, v[5:6]
	v_add_nc_u32_e32 v6, s8, v2
	v_ashrrev_i32_e32 v3, 31, v2
	s_delay_alu instid0(VALU_DEP_4) | instskip(SKIP_1) | instid1(VALU_DEP_4)
	v_add_co_u32 v9, vcc_lo, v183, v7
	v_add_co_ci_u32_e32 v10, vcc_lo, v184, v8, vcc_lo
	v_add_nc_u32_e32 v11, s8, v6
	v_ashrrev_i32_e32 v7, 31, v6
	v_lshlrev_b64 v[2:3], 4, v[2:3]
	v_add_co_u32 v4, vcc_lo, v183, v4
	s_delay_alu instid0(VALU_DEP_4) | instskip(SKIP_3) | instid1(VALU_DEP_4)
	v_add_nc_u32_e32 v13, s8, v11
	v_ashrrev_i32_e32 v12, 31, v11
	v_lshlrev_b64 v[6:7], 4, v[6:7]
	v_add_co_ci_u32_e32 v5, vcc_lo, v184, v5, vcc_lo
	v_add_nc_u32_e32 v15, s8, v13
	v_ashrrev_i32_e32 v14, 31, v13
	v_add_co_u32 v2, vcc_lo, v183, v2
	v_lshlrev_b64 v[11:12], 4, v[11:12]
	s_delay_alu instid0(VALU_DEP_4) | instskip(SKIP_3) | instid1(VALU_DEP_4)
	v_add_nc_u32_e32 v17, s8, v15
	v_ashrrev_i32_e32 v16, 31, v15
	v_add_co_ci_u32_e32 v3, vcc_lo, v184, v3, vcc_lo
	v_add_co_u32 v6, vcc_lo, v183, v6
	v_add_nc_u32_e32 v19, s8, v17
	v_lshlrev_b64 v[13:14], 4, v[13:14]
	v_ashrrev_i32_e32 v18, 31, v17
	v_add_co_ci_u32_e32 v7, vcc_lo, v184, v7, vcc_lo
	s_delay_alu instid0(VALU_DEP_4) | instskip(SKIP_3) | instid1(VALU_DEP_4)
	v_add_nc_u32_e32 v21, s8, v19
	v_add_co_u32 v11, vcc_lo, v183, v11
	v_lshlrev_b64 v[15:16], 4, v[15:16]
	v_ashrrev_i32_e32 v20, 31, v19
	v_add_nc_u32_e32 v23, s8, v21
	v_add_co_ci_u32_e32 v12, vcc_lo, v184, v12, vcc_lo
	v_add_co_u32 v13, vcc_lo, v183, v13
	s_delay_alu instid0(VALU_DEP_3) | instskip(SKIP_3) | instid1(VALU_DEP_4)
	v_add_nc_u32_e32 v25, s8, v23
	v_lshlrev_b64 v[17:18], 4, v[17:18]
	v_ashrrev_i32_e32 v22, 31, v21
	v_add_co_ci_u32_e32 v14, vcc_lo, v184, v14, vcc_lo
	v_add_nc_u32_e32 v27, s8, v25
	v_add_co_u32 v15, vcc_lo, v183, v15
	v_lshlrev_b64 v[19:20], 4, v[19:20]
	v_ashrrev_i32_e32 v24, 31, v23
	s_delay_alu instid0(VALU_DEP_4) | instskip(SKIP_2) | instid1(VALU_DEP_3)
	v_add_nc_u32_e32 v29, s8, v27
	v_add_co_ci_u32_e32 v16, vcc_lo, v184, v16, vcc_lo
	v_add_co_u32 v17, vcc_lo, v183, v17
	v_add_nc_u32_e32 v31, s8, v29
	v_lshlrev_b64 v[21:22], 4, v[21:22]
	v_ashrrev_i32_e32 v26, 31, v25
	v_add_co_ci_u32_e32 v18, vcc_lo, v184, v18, vcc_lo
	s_delay_alu instid0(VALU_DEP_4) | instskip(SKIP_3) | instid1(VALU_DEP_4)
	v_add_nc_u32_e32 v33, s8, v31
	v_add_co_u32 v19, vcc_lo, v183, v19
	v_lshlrev_b64 v[23:24], 4, v[23:24]
	v_ashrrev_i32_e32 v28, 31, v27
	v_add_nc_u32_e32 v35, s8, v33
	v_add_co_ci_u32_e32 v20, vcc_lo, v184, v20, vcc_lo
	v_add_co_u32 v21, vcc_lo, v183, v21
	s_delay_alu instid0(VALU_DEP_3) | instskip(SKIP_3) | instid1(VALU_DEP_4)
	v_add_nc_u32_e32 v37, s8, v35
	v_lshlrev_b64 v[25:26], 4, v[25:26]
	v_ashrrev_i32_e32 v30, 31, v29
	v_add_co_ci_u32_e32 v22, vcc_lo, v184, v22, vcc_lo
	v_add_nc_u32_e32 v39, s8, v37
	v_add_co_u32 v23, vcc_lo, v183, v23
	v_lshlrev_b64 v[27:28], 4, v[27:28]
	v_ashrrev_i32_e32 v32, 31, v31
	s_delay_alu instid0(VALU_DEP_4) | instskip(SKIP_2) | instid1(VALU_DEP_3)
	v_add_nc_u32_e32 v41, s8, v39
	v_add_co_ci_u32_e32 v24, vcc_lo, v184, v24, vcc_lo
	v_add_co_u32 v25, vcc_lo, v183, v25
	v_add_nc_u32_e32 v43, s8, v41
	v_lshlrev_b64 v[29:30], 4, v[29:30]
	v_ashrrev_i32_e32 v34, 31, v33
	v_add_co_ci_u32_e32 v26, vcc_lo, v184, v26, vcc_lo
	s_delay_alu instid0(VALU_DEP_4)
	v_add_nc_u32_e32 v45, s8, v43
	v_add_co_u32 v27, vcc_lo, v183, v27
	v_lshlrev_b64 v[31:32], 4, v[31:32]
	v_ashrrev_i32_e32 v36, 31, v35
	v_add_co_ci_u32_e32 v28, vcc_lo, v184, v28, vcc_lo
	v_add_nc_u32_e32 v47, s8, v45
	v_add_co_u32 v29, vcc_lo, v183, v29
	v_lshlrev_b64 v[33:34], 4, v[33:34]
	v_ashrrev_i32_e32 v38, 31, v37
	v_add_co_ci_u32_e32 v30, vcc_lo, v184, v30, vcc_lo
	v_add_co_u32 v31, vcc_lo, v183, v31
	v_lshlrev_b64 v[35:36], 4, v[35:36]
	v_ashrrev_i32_e32 v40, 31, v39
	v_add_nc_u32_e32 v49, s8, v47
	v_add_co_ci_u32_e32 v32, vcc_lo, v184, v32, vcc_lo
	v_add_co_u32 v33, vcc_lo, v183, v33
	v_lshlrev_b64 v[37:38], 4, v[37:38]
	v_ashrrev_i32_e32 v42, 31, v41
	v_add_co_ci_u32_e32 v34, vcc_lo, v184, v34, vcc_lo
	v_add_co_u32 v35, vcc_lo, v183, v35
	v_lshlrev_b64 v[39:40], 4, v[39:40]
	v_add_nc_u32_e32 v51, s8, v49
	v_ashrrev_i32_e32 v44, 31, v43
	v_add_co_ci_u32_e32 v36, vcc_lo, v184, v36, vcc_lo
	v_add_co_u32 v37, vcc_lo, v183, v37
	v_lshlrev_b64 v[41:42], 4, v[41:42]
	v_ashrrev_i32_e32 v46, 31, v45
	v_add_co_ci_u32_e32 v38, vcc_lo, v184, v38, vcc_lo
	v_add_nc_u32_e32 v53, s8, v51
	v_add_co_u32 v39, vcc_lo, v183, v39
	v_lshlrev_b64 v[43:44], 4, v[43:44]
	v_ashrrev_i32_e32 v48, 31, v47
	v_add_co_ci_u32_e32 v40, vcc_lo, v184, v40, vcc_lo
	v_add_co_u32 v41, vcc_lo, v183, v41
	v_lshlrev_b64 v[45:46], 4, v[45:46]
	v_ashrrev_i32_e32 v50, 31, v49
	v_add_nc_u32_e32 v55, s8, v53
	v_add_co_ci_u32_e32 v42, vcc_lo, v184, v42, vcc_lo
	v_add_co_u32 v43, vcc_lo, v183, v43
	v_lshlrev_b64 v[47:48], 4, v[47:48]
	v_ashrrev_i32_e32 v52, 31, v51
	v_add_co_ci_u32_e32 v44, vcc_lo, v184, v44, vcc_lo
	v_add_co_u32 v45, vcc_lo, v183, v45
	v_lshlrev_b64 v[49:50], 4, v[49:50]
	v_add_nc_u32_e32 v57, s8, v55
	v_ashrrev_i32_e32 v54, 31, v53
	v_add_co_ci_u32_e32 v46, vcc_lo, v184, v46, vcc_lo
	v_add_co_u32 v47, vcc_lo, v183, v47
	v_lshlrev_b64 v[51:52], 4, v[51:52]
	v_ashrrev_i32_e32 v56, 31, v55
	v_add_co_ci_u32_e32 v48, vcc_lo, v184, v48, vcc_lo
	v_add_nc_u32_e32 v59, s8, v57
	v_add_co_u32 v49, vcc_lo, v183, v49
	v_lshlrev_b64 v[53:54], 4, v[53:54]
	v_ashrrev_i32_e32 v58, 31, v57
	v_add_co_ci_u32_e32 v50, vcc_lo, v184, v50, vcc_lo
	v_add_co_u32 v51, vcc_lo, v183, v51
	v_lshlrev_b64 v[55:56], 4, v[55:56]
	v_add_nc_u32_e32 v61, s8, v59
	v_add_co_ci_u32_e32 v52, vcc_lo, v184, v52, vcc_lo
	v_add_co_u32 v53, vcc_lo, v183, v53
	v_lshlrev_b64 v[57:58], 4, v[57:58]
	v_ashrrev_i32_e32 v60, 31, v59
	v_add_co_ci_u32_e32 v54, vcc_lo, v184, v54, vcc_lo
	v_add_co_u32 v55, vcc_lo, v183, v55
	v_ashrrev_i32_e32 v62, 31, v61
	v_add_nc_u32_e32 v63, s8, v61
	v_add_co_ci_u32_e32 v56, vcc_lo, v184, v56, vcc_lo
	v_lshlrev_b64 v[59:60], 4, v[59:60]
	v_add_co_u32 v174, vcc_lo, v183, v57
	v_add_co_ci_u32_e32 v175, vcc_lo, v184, v58, vcc_lo
	v_lshlrev_b64 v[57:58], 4, v[61:62]
	v_ashrrev_i32_e32 v64, 31, v63
	v_add_nc_u32_e32 v61, s8, v63
	v_add_co_u32 v180, vcc_lo, v183, v59
	v_add_co_ci_u32_e32 v181, vcc_lo, v184, v60, vcc_lo
	s_delay_alu instid0(VALU_DEP_4) | instskip(NEXT) | instid1(VALU_DEP_4)
	v_lshlrev_b64 v[59:60], 4, v[63:64]
	v_ashrrev_i32_e32 v62, 31, v61
	v_add_nc_u32_e32 v63, s8, v61
	v_add_co_u32 v185, vcc_lo, v183, v57
	v_add_co_ci_u32_e32 v186, vcc_lo, v184, v58, vcc_lo
	s_delay_alu instid0(VALU_DEP_4) | instskip(NEXT) | instid1(VALU_DEP_4)
	;; [unrolled: 6-line block ×8, first 2 shown]
	v_lshlrev_b64 v[57:58], 4, v[61:62]
	v_add_nc_u32_e32 v61, s8, v63
	v_ashrrev_i32_e32 v64, 31, v63
	v_add_co_u32 v200, vcc_lo, v183, v59
	v_add_co_ci_u32_e32 v201, vcc_lo, v184, v60, vcc_lo
	s_delay_alu instid0(VALU_DEP_4) | instskip(NEXT) | instid1(VALU_DEP_4)
	v_ashrrev_i32_e32 v62, 31, v61
	v_lshlrev_b64 v[59:60], 4, v[63:64]
	v_add_nc_u32_e32 v63, s8, v61
	v_add_co_u32 v202, vcc_lo, v183, v57
	v_add_co_ci_u32_e32 v203, vcc_lo, v184, v58, vcc_lo
	v_lshlrev_b64 v[57:58], 4, v[61:62]
	s_delay_alu instid0(VALU_DEP_4) | instskip(SKIP_2) | instid1(VALU_DEP_4)
	v_ashrrev_i32_e32 v64, 31, v63
	v_add_co_u32 v204, vcc_lo, v183, v59
	v_add_co_ci_u32_e32 v205, vcc_lo, v184, v60, vcc_lo
	v_add_co_u32 v206, vcc_lo, v183, v57
	s_delay_alu instid0(VALU_DEP_4) | instskip(SKIP_3) | instid1(VALU_DEP_4)
	v_lshlrev_b64 v[59:60], 4, v[63:64]
	v_add_co_ci_u32_e32 v207, vcc_lo, v184, v58, vcc_lo
	v_add_co_u32 v57, vcc_lo, v0, s10
	v_add_co_ci_u32_e32 v58, vcc_lo, s11, v1, vcc_lo
	v_add_co_u32 v208, vcc_lo, v183, v59
	v_add_co_ci_u32_e32 v209, vcc_lo, v184, v60, vcc_lo
	s_clause 0x1f
	global_load_b128 v[168:171], v[0:1], off
	global_load_b128 v[160:163], v[57:58], off
	;; [unrolled: 1-line block ×32, first 2 shown]
	s_clause 0xa
	global_load_b128 v[40:43], v[188:189], off
	global_load_b128 v[36:39], v[190:191], off
	;; [unrolled: 1-line block ×11, first 2 shown]
	v_mul_lo_u32 v180, s2, v172
	s_delay_alu instid0(VALU_DEP_1) | instskip(SKIP_2) | instid1(VALU_DEP_3)
	v_lshl_add_u32 v182, v180, 4, 0
	v_lshlrev_b32_e32 v186, 4, v180
	v_mov_b32_e32 v180, 0
	v_add_nc_u32_e32 v172, v182, v173
	s_waitcnt vmcnt(42)
	ds_store_2addr_b64 v172, v[168:169], v[170:171] offset1:1
	s_waitcnt vmcnt(0) lgkmcnt(0)
	s_barrier
	buffer_gl0_inv
	ds_load_2addr_b64 v[172:175], v182 offset1:1
	s_cbranch_scc1 .LBB84_6
; %bb.4:
	v_add3_u32 v181, v186, 0, 16
	v_mov_b32_e32 v180, 0
	s_mov_b32 s6, 1
	s_set_inst_prefetch_distance 0x1
	.p2align	6
.LBB84_5:                               ; =>This Inner Loop Header: Depth=1
	ds_load_2addr_b64 v[188:191], v181 offset1:1
	s_waitcnt lgkmcnt(1)
	v_cmp_gt_f64_e32 vcc_lo, 0, v[172:173]
	v_xor_b32_e32 v185, 0x80000000, v173
	v_cmp_gt_f64_e64 s2, 0, v[174:175]
	v_xor_b32_e32 v192, 0x80000000, v175
	v_add_nc_u32_e32 v181, 16, v181
	s_waitcnt lgkmcnt(0)
	v_cmp_gt_f64_e64 s3, 0, v[188:189]
	v_mov_b32_e32 v196, v188
	v_dual_mov_b32 v198, v190 :: v_dual_cndmask_b32 v193, v173, v185
	v_xor_b32_e32 v185, 0x80000000, v189
	v_cndmask_b32_e64 v195, v175, v192, s2
	v_xor_b32_e32 v192, 0x80000000, v191
	v_cndmask_b32_e64 v194, v174, v174, s2
	s_delay_alu instid0(VALU_DEP_4) | instskip(SKIP_1) | instid1(VALU_DEP_1)
	v_cndmask_b32_e64 v197, v189, v185, s3
	v_cmp_gt_f64_e64 s3, 0, v[190:191]
	v_cndmask_b32_e64 v199, v191, v192, s3
	v_cndmask_b32_e32 v192, v172, v172, vcc_lo
	s_delay_alu instid0(VALU_DEP_2) | instskip(NEXT) | instid1(VALU_DEP_2)
	v_add_f64 v[196:197], v[196:197], v[198:199]
	v_add_f64 v[192:193], v[192:193], v[194:195]
	s_delay_alu instid0(VALU_DEP_1)
	v_cmp_lt_f64_e32 vcc_lo, v[192:193], v[196:197]
	v_cndmask_b32_e32 v175, v175, v191, vcc_lo
	v_dual_cndmask_b32 v173, v173, v189 :: v_dual_cndmask_b32 v172, v172, v188
	v_cndmask_b32_e32 v174, v174, v190, vcc_lo
	v_cndmask_b32_e64 v180, v180, s6, vcc_lo
	s_add_i32 s6, s6, 1
	s_delay_alu instid0(SALU_CYCLE_1)
	s_cmp_eq_u32 s5, s6
	s_cbranch_scc0 .LBB84_5
.LBB84_6:
	s_set_inst_prefetch_distance 0x2
	s_waitcnt lgkmcnt(0)
	v_cmp_neq_f64_e32 vcc_lo, 0, v[172:173]
	v_cmp_neq_f64_e64 s2, 0, v[174:175]
	v_mov_b32_e32 v185, 1
	v_mov_b32_e32 v189, 1
	s_delay_alu instid0(VALU_DEP_3) | instskip(NEXT) | instid1(SALU_CYCLE_1)
	s_or_b32 s2, vcc_lo, s2
	s_and_saveexec_b32 s3, s2
	s_cbranch_execz .LBB84_12
; %bb.7:
	v_cmp_gt_f64_e32 vcc_lo, 0, v[172:173]
	v_cmp_gt_f64_e64 s2, 0, v[174:175]
	v_xor_b32_e32 v181, 0x80000000, v173
	v_xor_b32_e32 v185, 0x80000000, v175
                                        ; implicit-def: $sgpr6
                                        ; implicit-def: $sgpr7
	s_delay_alu instid0(VALU_DEP_2) | instskip(NEXT) | instid1(VALU_DEP_2)
	v_dual_cndmask_b32 v189, v173, v181 :: v_dual_cndmask_b32 v188, v172, v172
	v_cndmask_b32_e64 v191, v175, v185, s2
	v_cndmask_b32_e64 v190, v174, v174, s2
	s_mov_b32 s2, exec_lo
	s_delay_alu instid0(VALU_DEP_1)
	v_cmpx_ngt_f64_e32 v[188:189], v[190:191]
	s_xor_b32 s2, exec_lo, s2
	s_cbranch_execz .LBB84_9
; %bb.8:
	v_div_scale_f64 v[188:189], null, v[174:175], v[174:175], v[172:173]
	v_div_scale_f64 v[194:195], vcc_lo, v[172:173], v[174:175], v[172:173]
	s_mov_b32 s7, 2
	s_mov_b32 s6, 0
	s_delay_alu instid0(VALU_DEP_2) | instskip(SKIP_2) | instid1(VALU_DEP_1)
	v_rcp_f64_e32 v[190:191], v[188:189]
	s_waitcnt_depctr 0xfff
	v_fma_f64 v[192:193], -v[188:189], v[190:191], 1.0
	v_fma_f64 v[190:191], v[190:191], v[192:193], v[190:191]
	s_delay_alu instid0(VALU_DEP_1) | instskip(NEXT) | instid1(VALU_DEP_1)
	v_fma_f64 v[192:193], -v[188:189], v[190:191], 1.0
	v_fma_f64 v[190:191], v[190:191], v[192:193], v[190:191]
	s_delay_alu instid0(VALU_DEP_1) | instskip(NEXT) | instid1(VALU_DEP_1)
	v_mul_f64 v[192:193], v[194:195], v[190:191]
	v_fma_f64 v[188:189], -v[188:189], v[192:193], v[194:195]
	s_delay_alu instid0(VALU_DEP_1) | instskip(NEXT) | instid1(VALU_DEP_1)
	v_div_fmas_f64 v[188:189], v[188:189], v[190:191], v[192:193]
	v_div_fixup_f64 v[188:189], v[188:189], v[174:175], v[172:173]
	s_delay_alu instid0(VALU_DEP_1) | instskip(NEXT) | instid1(VALU_DEP_1)
	v_fma_f64 v[172:173], v[172:173], v[188:189], v[174:175]
	v_div_scale_f64 v[174:175], null, v[172:173], v[172:173], 1.0
	s_delay_alu instid0(VALU_DEP_1) | instskip(SKIP_2) | instid1(VALU_DEP_1)
	v_rcp_f64_e32 v[190:191], v[174:175]
	s_waitcnt_depctr 0xfff
	v_fma_f64 v[192:193], -v[174:175], v[190:191], 1.0
	v_fma_f64 v[190:191], v[190:191], v[192:193], v[190:191]
	s_delay_alu instid0(VALU_DEP_1) | instskip(NEXT) | instid1(VALU_DEP_1)
	v_fma_f64 v[192:193], -v[174:175], v[190:191], 1.0
	v_fma_f64 v[190:191], v[190:191], v[192:193], v[190:191]
	v_div_scale_f64 v[192:193], vcc_lo, 1.0, v[172:173], 1.0
	s_delay_alu instid0(VALU_DEP_1) | instskip(NEXT) | instid1(VALU_DEP_1)
	v_mul_f64 v[194:195], v[192:193], v[190:191]
	v_fma_f64 v[174:175], -v[174:175], v[194:195], v[192:193]
	s_delay_alu instid0(VALU_DEP_1) | instskip(NEXT) | instid1(VALU_DEP_1)
	v_div_fmas_f64 v[174:175], v[174:175], v[190:191], v[194:195]
	v_div_fixup_f64 v[174:175], v[174:175], v[172:173], 1.0
	s_delay_alu instid0(VALU_DEP_1)
	v_mul_f64 v[172:173], v[188:189], v[174:175]
	v_xor_b32_e32 v175, 0x80000000, v175
.LBB84_9:
	s_or_saveexec_b32 s2, s2
	v_mov_b32_e32 v189, s6
	v_mov_b32_e32 v185, s7
	s_xor_b32 exec_lo, exec_lo, s2
	s_cbranch_execz .LBB84_11
; %bb.10:
	s_delay_alu instid0(VALU_DEP_4) | instskip(SKIP_2) | instid1(VALU_DEP_3)
	v_div_scale_f64 v[188:189], null, v[172:173], v[172:173], v[174:175]
	v_div_scale_f64 v[194:195], vcc_lo, v[174:175], v[172:173], v[174:175]
	v_mov_b32_e32 v185, 2
	v_rcp_f64_e32 v[190:191], v[188:189]
	s_waitcnt_depctr 0xfff
	v_fma_f64 v[192:193], -v[188:189], v[190:191], 1.0
	s_delay_alu instid0(VALU_DEP_1) | instskip(NEXT) | instid1(VALU_DEP_1)
	v_fma_f64 v[190:191], v[190:191], v[192:193], v[190:191]
	v_fma_f64 v[192:193], -v[188:189], v[190:191], 1.0
	s_delay_alu instid0(VALU_DEP_1) | instskip(NEXT) | instid1(VALU_DEP_1)
	v_fma_f64 v[190:191], v[190:191], v[192:193], v[190:191]
	v_mul_f64 v[192:193], v[194:195], v[190:191]
	s_delay_alu instid0(VALU_DEP_1) | instskip(NEXT) | instid1(VALU_DEP_1)
	v_fma_f64 v[188:189], -v[188:189], v[192:193], v[194:195]
	v_div_fmas_f64 v[188:189], v[188:189], v[190:191], v[192:193]
	s_delay_alu instid0(VALU_DEP_1) | instskip(NEXT) | instid1(VALU_DEP_1)
	v_div_fixup_f64 v[188:189], v[188:189], v[172:173], v[174:175]
	v_fma_f64 v[172:173], v[174:175], v[188:189], v[172:173]
	s_delay_alu instid0(VALU_DEP_1) | instskip(NEXT) | instid1(VALU_DEP_1)
	v_div_scale_f64 v[174:175], null, v[172:173], v[172:173], 1.0
	v_rcp_f64_e32 v[190:191], v[174:175]
	s_waitcnt_depctr 0xfff
	v_fma_f64 v[192:193], -v[174:175], v[190:191], 1.0
	s_delay_alu instid0(VALU_DEP_1) | instskip(NEXT) | instid1(VALU_DEP_1)
	v_fma_f64 v[190:191], v[190:191], v[192:193], v[190:191]
	v_fma_f64 v[192:193], -v[174:175], v[190:191], 1.0
	s_delay_alu instid0(VALU_DEP_1) | instskip(SKIP_1) | instid1(VALU_DEP_1)
	v_fma_f64 v[190:191], v[190:191], v[192:193], v[190:191]
	v_div_scale_f64 v[192:193], vcc_lo, 1.0, v[172:173], 1.0
	v_mul_f64 v[194:195], v[192:193], v[190:191]
	s_delay_alu instid0(VALU_DEP_1) | instskip(NEXT) | instid1(VALU_DEP_1)
	v_fma_f64 v[174:175], -v[174:175], v[194:195], v[192:193]
	v_div_fmas_f64 v[174:175], v[174:175], v[190:191], v[194:195]
	s_delay_alu instid0(VALU_DEP_1) | instskip(NEXT) | instid1(VALU_DEP_1)
	v_div_fixup_f64 v[172:173], v[174:175], v[172:173], 1.0
	v_mul_f64 v[174:175], v[188:189], -v[172:173]
	v_mov_b32_e32 v189, 0
.LBB84_11:
	s_or_b32 exec_lo, exec_lo, s2
.LBB84_12:
	s_delay_alu instid0(SALU_CYCLE_1) | instskip(NEXT) | instid1(SALU_CYCLE_1)
	s_or_b32 exec_lo, exec_lo, s3
	s_mov_b32 s2, exec_lo
	v_cmpx_ne_u32_e64 v187, v180
	s_xor_b32 s2, exec_lo, s2
	s_cbranch_execz .LBB84_18
; %bb.13:
	s_mov_b32 s3, exec_lo
	v_cmpx_eq_u32_e32 0, v187
	s_cbranch_execz .LBB84_17
; %bb.14:
	v_cmp_ne_u32_e32 vcc_lo, 0, v180
	s_xor_b32 s6, s4, -1
	s_delay_alu instid0(SALU_CYCLE_1) | instskip(NEXT) | instid1(SALU_CYCLE_1)
	s_and_b32 s7, s6, vcc_lo
	s_and_saveexec_b32 s6, s7
	s_cbranch_execz .LBB84_16
; %bb.15:
	v_ashrrev_i32_e32 v181, 31, v180
	s_delay_alu instid0(VALU_DEP_1) | instskip(NEXT) | instid1(VALU_DEP_1)
	v_lshlrev_b64 v[187:188], 2, v[180:181]
	v_add_co_u32 v187, vcc_lo, v178, v187
	s_delay_alu instid0(VALU_DEP_2)
	v_add_co_ci_u32_e32 v188, vcc_lo, v179, v188, vcc_lo
	s_clause 0x1
	flat_load_b32 v181, v[187:188]
	flat_load_b32 v190, v[178:179]
	s_waitcnt vmcnt(1) lgkmcnt(1)
	flat_store_b32 v[178:179], v181
	s_waitcnt vmcnt(0) lgkmcnt(1)
	flat_store_b32 v[187:188], v190
.LBB84_16:
	s_or_b32 exec_lo, exec_lo, s6
	v_mov_b32_e32 v187, v180
.LBB84_17:
	s_or_b32 exec_lo, exec_lo, s3
.LBB84_18:
	s_or_saveexec_b32 s2, s2
	s_delay_alu instid0(VALU_DEP_1)
	v_mov_b32_e32 v188, v187
	s_xor_b32 exec_lo, exec_lo, s2
	s_cbranch_execz .LBB84_20
; %bb.19:
	v_mov_b32_e32 v188, 0
	ds_store_2addr_b64 v182, v[160:161], v[162:163] offset0:2 offset1:3
	ds_store_2addr_b64 v182, v[164:165], v[166:167] offset0:4 offset1:5
	;; [unrolled: 1-line block ×42, first 2 shown]
.LBB84_20:
	s_or_b32 exec_lo, exec_lo, s2
	s_delay_alu instid0(SALU_CYCLE_1)
	s_mov_b32 s2, exec_lo
	s_waitcnt lgkmcnt(0)
	s_waitcnt_vscnt null, 0x0
	s_barrier
	buffer_gl0_inv
	v_cmpx_lt_i32_e32 0, v188
	s_cbranch_execz .LBB84_22
; %bb.21:
	v_mul_f64 v[180:181], v[174:175], v[170:171]
	v_mul_f64 v[170:171], v[172:173], v[170:171]
	s_delay_alu instid0(VALU_DEP_2) | instskip(NEXT) | instid1(VALU_DEP_2)
	v_fma_f64 v[180:181], v[172:173], v[168:169], -v[180:181]
	v_fma_f64 v[170:171], v[174:175], v[168:169], v[170:171]
	ds_load_2addr_b64 v[172:175], v182 offset0:2 offset1:3
	s_waitcnt lgkmcnt(0)
	v_mul_f64 v[168:169], v[174:175], v[170:171]
	s_delay_alu instid0(VALU_DEP_1) | instskip(SKIP_1) | instid1(VALU_DEP_2)
	v_fma_f64 v[168:169], v[172:173], v[180:181], -v[168:169]
	v_mul_f64 v[172:173], v[172:173], v[170:171]
	v_add_f64 v[160:161], v[160:161], -v[168:169]
	s_delay_alu instid0(VALU_DEP_2) | instskip(NEXT) | instid1(VALU_DEP_1)
	v_fma_f64 v[172:173], v[174:175], v[180:181], v[172:173]
	v_add_f64 v[162:163], v[162:163], -v[172:173]
	ds_load_2addr_b64 v[172:175], v182 offset0:4 offset1:5
	s_waitcnt lgkmcnt(0)
	v_mul_f64 v[168:169], v[174:175], v[170:171]
	s_delay_alu instid0(VALU_DEP_1) | instskip(SKIP_1) | instid1(VALU_DEP_2)
	v_fma_f64 v[168:169], v[172:173], v[180:181], -v[168:169]
	v_mul_f64 v[172:173], v[172:173], v[170:171]
	v_add_f64 v[164:165], v[164:165], -v[168:169]
	s_delay_alu instid0(VALU_DEP_2) | instskip(NEXT) | instid1(VALU_DEP_1)
	v_fma_f64 v[172:173], v[174:175], v[180:181], v[172:173]
	v_add_f64 v[166:167], v[166:167], -v[172:173]
	;; [unrolled: 10-line block ×41, first 2 shown]
	ds_load_2addr_b64 v[172:175], v182 offset0:84 offset1:85
	s_waitcnt lgkmcnt(0)
	v_mul_f64 v[168:169], v[174:175], v[170:171]
	s_delay_alu instid0(VALU_DEP_1) | instskip(SKIP_1) | instid1(VALU_DEP_2)
	v_fma_f64 v[168:169], v[172:173], v[180:181], -v[168:169]
	v_mul_f64 v[172:173], v[172:173], v[170:171]
	v_add_f64 v[0:1], v[0:1], -v[168:169]
	s_delay_alu instid0(VALU_DEP_2) | instskip(SKIP_1) | instid1(VALU_DEP_2)
	v_fma_f64 v[172:173], v[174:175], v[180:181], v[172:173]
	v_dual_mov_b32 v168, v180 :: v_dual_mov_b32 v169, v181
	v_add_f64 v[2:3], v[2:3], -v[172:173]
.LBB84_22:
	s_or_b32 exec_lo, exec_lo, s2
	v_lshl_add_u32 v172, v188, 4, v182
	s_barrier
	buffer_gl0_inv
	v_mov_b32_e32 v180, 1
	ds_store_2addr_b64 v172, v[160:161], v[162:163] offset1:1
	s_waitcnt lgkmcnt(0)
	s_barrier
	buffer_gl0_inv
	ds_load_2addr_b64 v[172:175], v182 offset0:2 offset1:3
	s_cmp_lt_i32 s5, 3
	s_cbranch_scc1 .LBB84_25
; %bb.23:
	v_add3_u32 v181, v186, 0, 32
	v_mov_b32_e32 v180, 1
	s_mov_b32 s6, 2
	s_set_inst_prefetch_distance 0x1
	.p2align	6
.LBB84_24:                              ; =>This Inner Loop Header: Depth=1
	ds_load_2addr_b64 v[190:193], v181 offset1:1
	s_waitcnt lgkmcnt(1)
	v_cmp_gt_f64_e32 vcc_lo, 0, v[172:173]
	v_xor_b32_e32 v194, 0x80000000, v173
	v_cmp_gt_f64_e64 s2, 0, v[174:175]
	v_xor_b32_e32 v196, 0x80000000, v175
	v_add_nc_u32_e32 v181, 16, v181
	s_waitcnt lgkmcnt(0)
	v_cmp_gt_f64_e64 s3, 0, v[190:191]
	v_mov_b32_e32 v198, v190
	v_dual_mov_b32 v200, v192 :: v_dual_cndmask_b32 v195, v173, v194
	v_xor_b32_e32 v194, 0x80000000, v191
	v_cndmask_b32_e64 v197, v175, v196, s2
	v_xor_b32_e32 v196, 0x80000000, v193
	s_delay_alu instid0(VALU_DEP_3) | instskip(SKIP_2) | instid1(VALU_DEP_2)
	v_cndmask_b32_e64 v199, v191, v194, s3
	v_cmp_gt_f64_e64 s3, 0, v[192:193]
	v_cndmask_b32_e32 v194, v172, v172, vcc_lo
	v_cndmask_b32_e64 v201, v193, v196, s3
	v_cndmask_b32_e64 v196, v174, v174, s2
	s_delay_alu instid0(VALU_DEP_2) | instskip(NEXT) | instid1(VALU_DEP_2)
	v_add_f64 v[198:199], v[198:199], v[200:201]
	v_add_f64 v[194:195], v[194:195], v[196:197]
	s_delay_alu instid0(VALU_DEP_1)
	v_cmp_lt_f64_e32 vcc_lo, v[194:195], v[198:199]
	v_cndmask_b32_e32 v175, v175, v193, vcc_lo
	v_dual_cndmask_b32 v173, v173, v191 :: v_dual_cndmask_b32 v172, v172, v190
	v_cndmask_b32_e32 v174, v174, v192, vcc_lo
	v_cndmask_b32_e64 v180, v180, s6, vcc_lo
	s_add_i32 s6, s6, 1
	s_delay_alu instid0(SALU_CYCLE_1)
	s_cmp_lg_u32 s5, s6
	s_cbranch_scc1 .LBB84_24
.LBB84_25:
	s_set_inst_prefetch_distance 0x2
	s_waitcnt lgkmcnt(0)
	v_cmp_neq_f64_e32 vcc_lo, 0, v[172:173]
	v_cmp_neq_f64_e64 s2, 0, v[174:175]
	s_delay_alu instid0(VALU_DEP_1) | instskip(NEXT) | instid1(SALU_CYCLE_1)
	s_or_b32 s2, vcc_lo, s2
	s_and_saveexec_b32 s3, s2
	s_cbranch_execz .LBB84_31
; %bb.26:
	v_cmp_gt_f64_e32 vcc_lo, 0, v[172:173]
	v_cmp_gt_f64_e64 s2, 0, v[174:175]
	v_xor_b32_e32 v181, 0x80000000, v173
	v_xor_b32_e32 v185, 0x80000000, v175
	s_delay_alu instid0(VALU_DEP_2) | instskip(NEXT) | instid1(VALU_DEP_2)
	v_dual_cndmask_b32 v191, v173, v181 :: v_dual_cndmask_b32 v190, v172, v172
	v_cndmask_b32_e64 v193, v175, v185, s2
	v_cndmask_b32_e64 v192, v174, v174, s2
	s_mov_b32 s2, exec_lo
	s_delay_alu instid0(VALU_DEP_1)
	v_cmpx_ngt_f64_e32 v[190:191], v[192:193]
	s_xor_b32 s2, exec_lo, s2
	s_cbranch_execz .LBB84_28
; %bb.27:
	v_div_scale_f64 v[190:191], null, v[174:175], v[174:175], v[172:173]
	v_div_scale_f64 v[196:197], vcc_lo, v[172:173], v[174:175], v[172:173]
	s_delay_alu instid0(VALU_DEP_2) | instskip(SKIP_2) | instid1(VALU_DEP_1)
	v_rcp_f64_e32 v[192:193], v[190:191]
	s_waitcnt_depctr 0xfff
	v_fma_f64 v[194:195], -v[190:191], v[192:193], 1.0
	v_fma_f64 v[192:193], v[192:193], v[194:195], v[192:193]
	s_delay_alu instid0(VALU_DEP_1) | instskip(NEXT) | instid1(VALU_DEP_1)
	v_fma_f64 v[194:195], -v[190:191], v[192:193], 1.0
	v_fma_f64 v[192:193], v[192:193], v[194:195], v[192:193]
	s_delay_alu instid0(VALU_DEP_1) | instskip(NEXT) | instid1(VALU_DEP_1)
	v_mul_f64 v[194:195], v[196:197], v[192:193]
	v_fma_f64 v[190:191], -v[190:191], v[194:195], v[196:197]
	s_delay_alu instid0(VALU_DEP_1) | instskip(NEXT) | instid1(VALU_DEP_1)
	v_div_fmas_f64 v[190:191], v[190:191], v[192:193], v[194:195]
	v_div_fixup_f64 v[190:191], v[190:191], v[174:175], v[172:173]
	s_delay_alu instid0(VALU_DEP_1) | instskip(NEXT) | instid1(VALU_DEP_1)
	v_fma_f64 v[172:173], v[172:173], v[190:191], v[174:175]
	v_div_scale_f64 v[174:175], null, v[172:173], v[172:173], 1.0
	s_delay_alu instid0(VALU_DEP_1) | instskip(SKIP_2) | instid1(VALU_DEP_1)
	v_rcp_f64_e32 v[192:193], v[174:175]
	s_waitcnt_depctr 0xfff
	v_fma_f64 v[194:195], -v[174:175], v[192:193], 1.0
	v_fma_f64 v[192:193], v[192:193], v[194:195], v[192:193]
	s_delay_alu instid0(VALU_DEP_1) | instskip(NEXT) | instid1(VALU_DEP_1)
	v_fma_f64 v[194:195], -v[174:175], v[192:193], 1.0
	v_fma_f64 v[192:193], v[192:193], v[194:195], v[192:193]
	v_div_scale_f64 v[194:195], vcc_lo, 1.0, v[172:173], 1.0
	s_delay_alu instid0(VALU_DEP_1) | instskip(NEXT) | instid1(VALU_DEP_1)
	v_mul_f64 v[196:197], v[194:195], v[192:193]
	v_fma_f64 v[174:175], -v[174:175], v[196:197], v[194:195]
	s_delay_alu instid0(VALU_DEP_1) | instskip(NEXT) | instid1(VALU_DEP_1)
	v_div_fmas_f64 v[174:175], v[174:175], v[192:193], v[196:197]
	v_div_fixup_f64 v[174:175], v[174:175], v[172:173], 1.0
	s_delay_alu instid0(VALU_DEP_1)
	v_mul_f64 v[172:173], v[190:191], v[174:175]
	v_xor_b32_e32 v175, 0x80000000, v175
.LBB84_28:
	s_and_not1_saveexec_b32 s2, s2
	s_cbranch_execz .LBB84_30
; %bb.29:
	s_delay_alu instid0(VALU_DEP_1) | instskip(SKIP_1) | instid1(VALU_DEP_2)
	v_div_scale_f64 v[190:191], null, v[172:173], v[172:173], v[174:175]
	v_div_scale_f64 v[196:197], vcc_lo, v[174:175], v[172:173], v[174:175]
	v_rcp_f64_e32 v[192:193], v[190:191]
	s_waitcnt_depctr 0xfff
	v_fma_f64 v[194:195], -v[190:191], v[192:193], 1.0
	s_delay_alu instid0(VALU_DEP_1) | instskip(NEXT) | instid1(VALU_DEP_1)
	v_fma_f64 v[192:193], v[192:193], v[194:195], v[192:193]
	v_fma_f64 v[194:195], -v[190:191], v[192:193], 1.0
	s_delay_alu instid0(VALU_DEP_1) | instskip(NEXT) | instid1(VALU_DEP_1)
	v_fma_f64 v[192:193], v[192:193], v[194:195], v[192:193]
	v_mul_f64 v[194:195], v[196:197], v[192:193]
	s_delay_alu instid0(VALU_DEP_1) | instskip(NEXT) | instid1(VALU_DEP_1)
	v_fma_f64 v[190:191], -v[190:191], v[194:195], v[196:197]
	v_div_fmas_f64 v[190:191], v[190:191], v[192:193], v[194:195]
	s_delay_alu instid0(VALU_DEP_1) | instskip(NEXT) | instid1(VALU_DEP_1)
	v_div_fixup_f64 v[190:191], v[190:191], v[172:173], v[174:175]
	v_fma_f64 v[172:173], v[174:175], v[190:191], v[172:173]
	s_delay_alu instid0(VALU_DEP_1) | instskip(NEXT) | instid1(VALU_DEP_1)
	v_div_scale_f64 v[174:175], null, v[172:173], v[172:173], 1.0
	v_rcp_f64_e32 v[192:193], v[174:175]
	s_waitcnt_depctr 0xfff
	v_fma_f64 v[194:195], -v[174:175], v[192:193], 1.0
	s_delay_alu instid0(VALU_DEP_1) | instskip(NEXT) | instid1(VALU_DEP_1)
	v_fma_f64 v[192:193], v[192:193], v[194:195], v[192:193]
	v_fma_f64 v[194:195], -v[174:175], v[192:193], 1.0
	s_delay_alu instid0(VALU_DEP_1) | instskip(SKIP_1) | instid1(VALU_DEP_1)
	v_fma_f64 v[192:193], v[192:193], v[194:195], v[192:193]
	v_div_scale_f64 v[194:195], vcc_lo, 1.0, v[172:173], 1.0
	v_mul_f64 v[196:197], v[194:195], v[192:193]
	s_delay_alu instid0(VALU_DEP_1) | instskip(NEXT) | instid1(VALU_DEP_1)
	v_fma_f64 v[174:175], -v[174:175], v[196:197], v[194:195]
	v_div_fmas_f64 v[174:175], v[174:175], v[192:193], v[196:197]
	s_delay_alu instid0(VALU_DEP_1) | instskip(NEXT) | instid1(VALU_DEP_1)
	v_div_fixup_f64 v[172:173], v[174:175], v[172:173], 1.0
	v_mul_f64 v[174:175], v[190:191], -v[172:173]
.LBB84_30:
	s_or_b32 exec_lo, exec_lo, s2
	v_mov_b32_e32 v185, v189
.LBB84_31:
	s_or_b32 exec_lo, exec_lo, s3
	s_delay_alu instid0(SALU_CYCLE_1)
	s_mov_b32 s2, exec_lo
	v_cmpx_ne_u32_e64 v188, v180
	s_xor_b32 s2, exec_lo, s2
	s_cbranch_execz .LBB84_37
; %bb.32:
	s_mov_b32 s3, exec_lo
	v_cmpx_eq_u32_e32 1, v188
	s_cbranch_execz .LBB84_36
; %bb.33:
	v_cmp_ne_u32_e32 vcc_lo, 1, v180
	s_xor_b32 s6, s4, -1
	s_delay_alu instid0(SALU_CYCLE_1) | instskip(NEXT) | instid1(SALU_CYCLE_1)
	s_and_b32 s7, s6, vcc_lo
	s_and_saveexec_b32 s6, s7
	s_cbranch_execz .LBB84_35
; %bb.34:
	v_ashrrev_i32_e32 v181, 31, v180
	s_delay_alu instid0(VALU_DEP_1) | instskip(NEXT) | instid1(VALU_DEP_1)
	v_lshlrev_b64 v[187:188], 2, v[180:181]
	v_add_co_u32 v187, vcc_lo, v178, v187
	s_delay_alu instid0(VALU_DEP_2)
	v_add_co_ci_u32_e32 v188, vcc_lo, v179, v188, vcc_lo
	s_clause 0x1
	flat_load_b32 v181, v[187:188]
	flat_load_b32 v189, v[178:179] offset:4
	s_waitcnt vmcnt(1) lgkmcnt(1)
	flat_store_b32 v[178:179], v181 offset:4
	s_waitcnt vmcnt(0) lgkmcnt(1)
	flat_store_b32 v[187:188], v189
.LBB84_35:
	s_or_b32 exec_lo, exec_lo, s6
	v_mov_b32_e32 v188, v180
	v_mov_b32_e32 v187, v180
.LBB84_36:
	s_or_b32 exec_lo, exec_lo, s3
.LBB84_37:
	s_and_not1_saveexec_b32 s2, s2
	s_cbranch_execz .LBB84_39
; %bb.38:
	v_mov_b32_e32 v188, 1
	ds_store_2addr_b64 v182, v[164:165], v[166:167] offset0:4 offset1:5
	ds_store_2addr_b64 v182, v[156:157], v[158:159] offset0:6 offset1:7
	;; [unrolled: 1-line block ×41, first 2 shown]
.LBB84_39:
	s_or_b32 exec_lo, exec_lo, s2
	s_delay_alu instid0(SALU_CYCLE_1)
	s_mov_b32 s2, exec_lo
	s_waitcnt lgkmcnt(0)
	s_waitcnt_vscnt null, 0x0
	s_barrier
	buffer_gl0_inv
	v_cmpx_lt_i32_e32 1, v188
	s_cbranch_execz .LBB84_41
; %bb.40:
	v_mul_f64 v[180:181], v[174:175], v[162:163]
	v_mul_f64 v[162:163], v[172:173], v[162:163]
	s_delay_alu instid0(VALU_DEP_2) | instskip(NEXT) | instid1(VALU_DEP_2)
	v_fma_f64 v[180:181], v[172:173], v[160:161], -v[180:181]
	v_fma_f64 v[162:163], v[174:175], v[160:161], v[162:163]
	ds_load_2addr_b64 v[172:175], v182 offset0:4 offset1:5
	s_waitcnt lgkmcnt(0)
	v_mul_f64 v[160:161], v[174:175], v[162:163]
	s_delay_alu instid0(VALU_DEP_1) | instskip(SKIP_1) | instid1(VALU_DEP_2)
	v_fma_f64 v[160:161], v[172:173], v[180:181], -v[160:161]
	v_mul_f64 v[172:173], v[172:173], v[162:163]
	v_add_f64 v[164:165], v[164:165], -v[160:161]
	s_delay_alu instid0(VALU_DEP_2) | instskip(NEXT) | instid1(VALU_DEP_1)
	v_fma_f64 v[172:173], v[174:175], v[180:181], v[172:173]
	v_add_f64 v[166:167], v[166:167], -v[172:173]
	ds_load_2addr_b64 v[172:175], v182 offset0:6 offset1:7
	s_waitcnt lgkmcnt(0)
	v_mul_f64 v[160:161], v[174:175], v[162:163]
	s_delay_alu instid0(VALU_DEP_1) | instskip(SKIP_1) | instid1(VALU_DEP_2)
	v_fma_f64 v[160:161], v[172:173], v[180:181], -v[160:161]
	v_mul_f64 v[172:173], v[172:173], v[162:163]
	v_add_f64 v[156:157], v[156:157], -v[160:161]
	s_delay_alu instid0(VALU_DEP_2) | instskip(NEXT) | instid1(VALU_DEP_1)
	v_fma_f64 v[172:173], v[174:175], v[180:181], v[172:173]
	v_add_f64 v[158:159], v[158:159], -v[172:173]
	;; [unrolled: 10-line block ×40, first 2 shown]
	ds_load_2addr_b64 v[172:175], v182 offset0:84 offset1:85
	s_waitcnt lgkmcnt(0)
	v_mul_f64 v[160:161], v[174:175], v[162:163]
	s_delay_alu instid0(VALU_DEP_1) | instskip(SKIP_1) | instid1(VALU_DEP_2)
	v_fma_f64 v[160:161], v[172:173], v[180:181], -v[160:161]
	v_mul_f64 v[172:173], v[172:173], v[162:163]
	v_add_f64 v[0:1], v[0:1], -v[160:161]
	s_delay_alu instid0(VALU_DEP_2) | instskip(SKIP_1) | instid1(VALU_DEP_2)
	v_fma_f64 v[172:173], v[174:175], v[180:181], v[172:173]
	v_dual_mov_b32 v160, v180 :: v_dual_mov_b32 v161, v181
	v_add_f64 v[2:3], v[2:3], -v[172:173]
.LBB84_41:
	s_or_b32 exec_lo, exec_lo, s2
	v_lshl_add_u32 v172, v188, 4, v182
	s_barrier
	buffer_gl0_inv
	v_mov_b32_e32 v180, 2
	ds_store_2addr_b64 v172, v[164:165], v[166:167] offset1:1
	s_waitcnt lgkmcnt(0)
	s_barrier
	buffer_gl0_inv
	ds_load_2addr_b64 v[172:175], v182 offset0:4 offset1:5
	s_cmp_lt_i32 s5, 4
	s_cbranch_scc1 .LBB84_44
; %bb.42:
	v_add3_u32 v181, v186, 0, 48
	v_mov_b32_e32 v180, 2
	s_mov_b32 s6, 3
	s_set_inst_prefetch_distance 0x1
	.p2align	6
.LBB84_43:                              ; =>This Inner Loop Header: Depth=1
	ds_load_2addr_b64 v[189:192], v181 offset1:1
	s_waitcnt lgkmcnt(1)
	v_cmp_gt_f64_e32 vcc_lo, 0, v[172:173]
	v_xor_b32_e32 v193, 0x80000000, v173
	v_cmp_gt_f64_e64 s2, 0, v[174:175]
	v_xor_b32_e32 v195, 0x80000000, v175
	v_add_nc_u32_e32 v181, 16, v181
	s_waitcnt lgkmcnt(0)
	v_cmp_gt_f64_e64 s3, 0, v[189:190]
	v_mov_b32_e32 v197, v189
	v_dual_mov_b32 v199, v191 :: v_dual_cndmask_b32 v194, v173, v193
	v_xor_b32_e32 v193, 0x80000000, v190
	v_cndmask_b32_e64 v196, v175, v195, s2
	v_xor_b32_e32 v195, 0x80000000, v192
	s_delay_alu instid0(VALU_DEP_3) | instskip(SKIP_2) | instid1(VALU_DEP_2)
	v_cndmask_b32_e64 v198, v190, v193, s3
	v_cmp_gt_f64_e64 s3, 0, v[191:192]
	v_cndmask_b32_e32 v193, v172, v172, vcc_lo
	v_cndmask_b32_e64 v200, v192, v195, s3
	v_cndmask_b32_e64 v195, v174, v174, s2
	s_delay_alu instid0(VALU_DEP_2) | instskip(NEXT) | instid1(VALU_DEP_2)
	v_add_f64 v[197:198], v[197:198], v[199:200]
	v_add_f64 v[193:194], v[193:194], v[195:196]
	s_delay_alu instid0(VALU_DEP_1) | instskip(SKIP_4) | instid1(SALU_CYCLE_1)
	v_cmp_lt_f64_e32 vcc_lo, v[193:194], v[197:198]
	v_dual_cndmask_b32 v174, v174, v191 :: v_dual_cndmask_b32 v173, v173, v190
	v_dual_cndmask_b32 v172, v172, v189 :: v_dual_cndmask_b32 v175, v175, v192
	v_cndmask_b32_e64 v180, v180, s6, vcc_lo
	s_add_i32 s6, s6, 1
	s_cmp_lg_u32 s5, s6
	s_cbranch_scc1 .LBB84_43
.LBB84_44:
	s_set_inst_prefetch_distance 0x2
	s_waitcnt lgkmcnt(0)
	v_cmp_eq_f64_e32 vcc_lo, 0, v[172:173]
	v_cmp_eq_f64_e64 s2, 0, v[174:175]
	s_delay_alu instid0(VALU_DEP_1) | instskip(NEXT) | instid1(SALU_CYCLE_1)
	s_and_b32 s2, vcc_lo, s2
	s_and_saveexec_b32 s3, s2
	s_delay_alu instid0(SALU_CYCLE_1)
	s_xor_b32 s2, exec_lo, s3
; %bb.45:
	v_cmp_ne_u32_e32 vcc_lo, 0, v185
	v_cndmask_b32_e32 v185, 3, v185, vcc_lo
; %bb.46:
	s_and_not1_saveexec_b32 s3, s2
	s_cbranch_execz .LBB84_52
; %bb.47:
	v_cmp_gt_f64_e32 vcc_lo, 0, v[172:173]
	v_cmp_gt_f64_e64 s2, 0, v[174:175]
	v_xor_b32_e32 v181, 0x80000000, v173
	v_xor_b32_e32 v189, 0x80000000, v175
	s_delay_alu instid0(VALU_DEP_2) | instskip(NEXT) | instid1(VALU_DEP_2)
	v_cndmask_b32_e32 v190, v173, v181, vcc_lo
	v_cndmask_b32_e64 v192, v175, v189, s2
	v_cndmask_b32_e32 v189, v172, v172, vcc_lo
	v_cndmask_b32_e64 v191, v174, v174, s2
	s_mov_b32 s2, exec_lo
	s_delay_alu instid0(VALU_DEP_1)
	v_cmpx_ngt_f64_e32 v[189:190], v[191:192]
	s_xor_b32 s2, exec_lo, s2
	s_cbranch_execz .LBB84_49
; %bb.48:
	v_div_scale_f64 v[189:190], null, v[174:175], v[174:175], v[172:173]
	v_div_scale_f64 v[195:196], vcc_lo, v[172:173], v[174:175], v[172:173]
	s_delay_alu instid0(VALU_DEP_2) | instskip(SKIP_2) | instid1(VALU_DEP_1)
	v_rcp_f64_e32 v[191:192], v[189:190]
	s_waitcnt_depctr 0xfff
	v_fma_f64 v[193:194], -v[189:190], v[191:192], 1.0
	v_fma_f64 v[191:192], v[191:192], v[193:194], v[191:192]
	s_delay_alu instid0(VALU_DEP_1) | instskip(NEXT) | instid1(VALU_DEP_1)
	v_fma_f64 v[193:194], -v[189:190], v[191:192], 1.0
	v_fma_f64 v[191:192], v[191:192], v[193:194], v[191:192]
	s_delay_alu instid0(VALU_DEP_1) | instskip(NEXT) | instid1(VALU_DEP_1)
	v_mul_f64 v[193:194], v[195:196], v[191:192]
	v_fma_f64 v[189:190], -v[189:190], v[193:194], v[195:196]
	s_delay_alu instid0(VALU_DEP_1) | instskip(NEXT) | instid1(VALU_DEP_1)
	v_div_fmas_f64 v[189:190], v[189:190], v[191:192], v[193:194]
	v_div_fixup_f64 v[189:190], v[189:190], v[174:175], v[172:173]
	s_delay_alu instid0(VALU_DEP_1) | instskip(NEXT) | instid1(VALU_DEP_1)
	v_fma_f64 v[172:173], v[172:173], v[189:190], v[174:175]
	v_div_scale_f64 v[174:175], null, v[172:173], v[172:173], 1.0
	s_delay_alu instid0(VALU_DEP_1) | instskip(SKIP_2) | instid1(VALU_DEP_1)
	v_rcp_f64_e32 v[191:192], v[174:175]
	s_waitcnt_depctr 0xfff
	v_fma_f64 v[193:194], -v[174:175], v[191:192], 1.0
	v_fma_f64 v[191:192], v[191:192], v[193:194], v[191:192]
	s_delay_alu instid0(VALU_DEP_1) | instskip(NEXT) | instid1(VALU_DEP_1)
	v_fma_f64 v[193:194], -v[174:175], v[191:192], 1.0
	v_fma_f64 v[191:192], v[191:192], v[193:194], v[191:192]
	v_div_scale_f64 v[193:194], vcc_lo, 1.0, v[172:173], 1.0
	s_delay_alu instid0(VALU_DEP_1) | instskip(NEXT) | instid1(VALU_DEP_1)
	v_mul_f64 v[195:196], v[193:194], v[191:192]
	v_fma_f64 v[174:175], -v[174:175], v[195:196], v[193:194]
	s_delay_alu instid0(VALU_DEP_1) | instskip(NEXT) | instid1(VALU_DEP_1)
	v_div_fmas_f64 v[174:175], v[174:175], v[191:192], v[195:196]
	v_div_fixup_f64 v[174:175], v[174:175], v[172:173], 1.0
	s_delay_alu instid0(VALU_DEP_1)
	v_mul_f64 v[172:173], v[189:190], v[174:175]
	v_xor_b32_e32 v175, 0x80000000, v175
.LBB84_49:
	s_and_not1_saveexec_b32 s2, s2
	s_cbranch_execz .LBB84_51
; %bb.50:
	s_delay_alu instid0(VALU_DEP_1) | instskip(SKIP_1) | instid1(VALU_DEP_2)
	v_div_scale_f64 v[189:190], null, v[172:173], v[172:173], v[174:175]
	v_div_scale_f64 v[195:196], vcc_lo, v[174:175], v[172:173], v[174:175]
	v_rcp_f64_e32 v[191:192], v[189:190]
	s_waitcnt_depctr 0xfff
	v_fma_f64 v[193:194], -v[189:190], v[191:192], 1.0
	s_delay_alu instid0(VALU_DEP_1) | instskip(NEXT) | instid1(VALU_DEP_1)
	v_fma_f64 v[191:192], v[191:192], v[193:194], v[191:192]
	v_fma_f64 v[193:194], -v[189:190], v[191:192], 1.0
	s_delay_alu instid0(VALU_DEP_1) | instskip(NEXT) | instid1(VALU_DEP_1)
	v_fma_f64 v[191:192], v[191:192], v[193:194], v[191:192]
	v_mul_f64 v[193:194], v[195:196], v[191:192]
	s_delay_alu instid0(VALU_DEP_1) | instskip(NEXT) | instid1(VALU_DEP_1)
	v_fma_f64 v[189:190], -v[189:190], v[193:194], v[195:196]
	v_div_fmas_f64 v[189:190], v[189:190], v[191:192], v[193:194]
	s_delay_alu instid0(VALU_DEP_1) | instskip(NEXT) | instid1(VALU_DEP_1)
	v_div_fixup_f64 v[189:190], v[189:190], v[172:173], v[174:175]
	v_fma_f64 v[172:173], v[174:175], v[189:190], v[172:173]
	s_delay_alu instid0(VALU_DEP_1) | instskip(NEXT) | instid1(VALU_DEP_1)
	v_div_scale_f64 v[174:175], null, v[172:173], v[172:173], 1.0
	v_rcp_f64_e32 v[191:192], v[174:175]
	s_waitcnt_depctr 0xfff
	v_fma_f64 v[193:194], -v[174:175], v[191:192], 1.0
	s_delay_alu instid0(VALU_DEP_1) | instskip(NEXT) | instid1(VALU_DEP_1)
	v_fma_f64 v[191:192], v[191:192], v[193:194], v[191:192]
	v_fma_f64 v[193:194], -v[174:175], v[191:192], 1.0
	s_delay_alu instid0(VALU_DEP_1) | instskip(SKIP_1) | instid1(VALU_DEP_1)
	v_fma_f64 v[191:192], v[191:192], v[193:194], v[191:192]
	v_div_scale_f64 v[193:194], vcc_lo, 1.0, v[172:173], 1.0
	v_mul_f64 v[195:196], v[193:194], v[191:192]
	s_delay_alu instid0(VALU_DEP_1) | instskip(NEXT) | instid1(VALU_DEP_1)
	v_fma_f64 v[174:175], -v[174:175], v[195:196], v[193:194]
	v_div_fmas_f64 v[174:175], v[174:175], v[191:192], v[195:196]
	s_delay_alu instid0(VALU_DEP_1) | instskip(NEXT) | instid1(VALU_DEP_1)
	v_div_fixup_f64 v[172:173], v[174:175], v[172:173], 1.0
	v_mul_f64 v[174:175], v[189:190], -v[172:173]
.LBB84_51:
	s_or_b32 exec_lo, exec_lo, s2
.LBB84_52:
	s_delay_alu instid0(SALU_CYCLE_1) | instskip(NEXT) | instid1(SALU_CYCLE_1)
	s_or_b32 exec_lo, exec_lo, s3
	s_mov_b32 s2, exec_lo
	v_cmpx_ne_u32_e64 v188, v180
	s_xor_b32 s2, exec_lo, s2
	s_cbranch_execz .LBB84_58
; %bb.53:
	s_mov_b32 s3, exec_lo
	v_cmpx_eq_u32_e32 2, v188
	s_cbranch_execz .LBB84_57
; %bb.54:
	v_cmp_ne_u32_e32 vcc_lo, 2, v180
	s_xor_b32 s6, s4, -1
	s_delay_alu instid0(SALU_CYCLE_1) | instskip(NEXT) | instid1(SALU_CYCLE_1)
	s_and_b32 s7, s6, vcc_lo
	s_and_saveexec_b32 s6, s7
	s_cbranch_execz .LBB84_56
; %bb.55:
	v_ashrrev_i32_e32 v181, 31, v180
	s_delay_alu instid0(VALU_DEP_1) | instskip(NEXT) | instid1(VALU_DEP_1)
	v_lshlrev_b64 v[187:188], 2, v[180:181]
	v_add_co_u32 v187, vcc_lo, v178, v187
	s_delay_alu instid0(VALU_DEP_2)
	v_add_co_ci_u32_e32 v188, vcc_lo, v179, v188, vcc_lo
	s_clause 0x1
	flat_load_b32 v181, v[187:188]
	flat_load_b32 v189, v[178:179] offset:8
	s_waitcnt vmcnt(1) lgkmcnt(1)
	flat_store_b32 v[178:179], v181 offset:8
	s_waitcnt vmcnt(0) lgkmcnt(1)
	flat_store_b32 v[187:188], v189
.LBB84_56:
	s_or_b32 exec_lo, exec_lo, s6
	v_mov_b32_e32 v188, v180
	v_mov_b32_e32 v187, v180
.LBB84_57:
	s_or_b32 exec_lo, exec_lo, s3
.LBB84_58:
	s_and_not1_saveexec_b32 s2, s2
	s_cbranch_execz .LBB84_60
; %bb.59:
	v_mov_b32_e32 v188, 2
	ds_store_2addr_b64 v182, v[156:157], v[158:159] offset0:6 offset1:7
	ds_store_2addr_b64 v182, v[152:153], v[154:155] offset0:8 offset1:9
	;; [unrolled: 1-line block ×40, first 2 shown]
.LBB84_60:
	s_or_b32 exec_lo, exec_lo, s2
	s_delay_alu instid0(SALU_CYCLE_1)
	s_mov_b32 s2, exec_lo
	s_waitcnt lgkmcnt(0)
	s_waitcnt_vscnt null, 0x0
	s_barrier
	buffer_gl0_inv
	v_cmpx_lt_i32_e32 2, v188
	s_cbranch_execz .LBB84_62
; %bb.61:
	v_mul_f64 v[180:181], v[174:175], v[166:167]
	v_mul_f64 v[166:167], v[172:173], v[166:167]
	s_delay_alu instid0(VALU_DEP_2) | instskip(NEXT) | instid1(VALU_DEP_2)
	v_fma_f64 v[180:181], v[172:173], v[164:165], -v[180:181]
	v_fma_f64 v[166:167], v[174:175], v[164:165], v[166:167]
	ds_load_2addr_b64 v[172:175], v182 offset0:6 offset1:7
	s_waitcnt lgkmcnt(0)
	v_mul_f64 v[164:165], v[174:175], v[166:167]
	s_delay_alu instid0(VALU_DEP_1) | instskip(SKIP_1) | instid1(VALU_DEP_2)
	v_fma_f64 v[164:165], v[172:173], v[180:181], -v[164:165]
	v_mul_f64 v[172:173], v[172:173], v[166:167]
	v_add_f64 v[156:157], v[156:157], -v[164:165]
	s_delay_alu instid0(VALU_DEP_2) | instskip(NEXT) | instid1(VALU_DEP_1)
	v_fma_f64 v[172:173], v[174:175], v[180:181], v[172:173]
	v_add_f64 v[158:159], v[158:159], -v[172:173]
	ds_load_2addr_b64 v[172:175], v182 offset0:8 offset1:9
	s_waitcnt lgkmcnt(0)
	v_mul_f64 v[164:165], v[174:175], v[166:167]
	s_delay_alu instid0(VALU_DEP_1) | instskip(SKIP_1) | instid1(VALU_DEP_2)
	v_fma_f64 v[164:165], v[172:173], v[180:181], -v[164:165]
	v_mul_f64 v[172:173], v[172:173], v[166:167]
	v_add_f64 v[152:153], v[152:153], -v[164:165]
	s_delay_alu instid0(VALU_DEP_2) | instskip(NEXT) | instid1(VALU_DEP_1)
	v_fma_f64 v[172:173], v[174:175], v[180:181], v[172:173]
	v_add_f64 v[154:155], v[154:155], -v[172:173]
	;; [unrolled: 10-line block ×39, first 2 shown]
	ds_load_2addr_b64 v[172:175], v182 offset0:84 offset1:85
	s_waitcnt lgkmcnt(0)
	v_mul_f64 v[164:165], v[174:175], v[166:167]
	s_delay_alu instid0(VALU_DEP_1) | instskip(SKIP_1) | instid1(VALU_DEP_2)
	v_fma_f64 v[164:165], v[172:173], v[180:181], -v[164:165]
	v_mul_f64 v[172:173], v[172:173], v[166:167]
	v_add_f64 v[0:1], v[0:1], -v[164:165]
	s_delay_alu instid0(VALU_DEP_2) | instskip(SKIP_1) | instid1(VALU_DEP_2)
	v_fma_f64 v[172:173], v[174:175], v[180:181], v[172:173]
	v_dual_mov_b32 v164, v180 :: v_dual_mov_b32 v165, v181
	v_add_f64 v[2:3], v[2:3], -v[172:173]
.LBB84_62:
	s_or_b32 exec_lo, exec_lo, s2
	v_lshl_add_u32 v172, v188, 4, v182
	s_barrier
	buffer_gl0_inv
	v_mov_b32_e32 v180, 3
	ds_store_2addr_b64 v172, v[156:157], v[158:159] offset1:1
	s_waitcnt lgkmcnt(0)
	s_barrier
	buffer_gl0_inv
	ds_load_2addr_b64 v[172:175], v182 offset0:6 offset1:7
	s_cmp_lt_i32 s5, 5
	s_mov_b32 s6, 4
	s_cbranch_scc1 .LBB84_65
; %bb.63:
	v_add3_u32 v181, v186, 0, 64
	v_mov_b32_e32 v180, 3
	s_set_inst_prefetch_distance 0x1
	.p2align	6
.LBB84_64:                              ; =>This Inner Loop Header: Depth=1
	ds_load_2addr_b64 v[189:192], v181 offset1:1
	s_waitcnt lgkmcnt(1)
	v_cmp_gt_f64_e32 vcc_lo, 0, v[172:173]
	v_xor_b32_e32 v193, 0x80000000, v173
	v_cmp_gt_f64_e64 s2, 0, v[174:175]
	v_xor_b32_e32 v195, 0x80000000, v175
	v_add_nc_u32_e32 v181, 16, v181
	s_waitcnt lgkmcnt(0)
	v_cmp_gt_f64_e64 s3, 0, v[189:190]
	v_mov_b32_e32 v197, v189
	v_dual_mov_b32 v199, v191 :: v_dual_cndmask_b32 v194, v173, v193
	v_xor_b32_e32 v193, 0x80000000, v190
	v_cndmask_b32_e64 v196, v175, v195, s2
	v_xor_b32_e32 v195, 0x80000000, v192
	s_delay_alu instid0(VALU_DEP_3) | instskip(SKIP_2) | instid1(VALU_DEP_2)
	v_cndmask_b32_e64 v198, v190, v193, s3
	v_cmp_gt_f64_e64 s3, 0, v[191:192]
	v_cndmask_b32_e32 v193, v172, v172, vcc_lo
	v_cndmask_b32_e64 v200, v192, v195, s3
	v_cndmask_b32_e64 v195, v174, v174, s2
	s_delay_alu instid0(VALU_DEP_2) | instskip(NEXT) | instid1(VALU_DEP_2)
	v_add_f64 v[197:198], v[197:198], v[199:200]
	v_add_f64 v[193:194], v[193:194], v[195:196]
	s_delay_alu instid0(VALU_DEP_1) | instskip(SKIP_4) | instid1(SALU_CYCLE_1)
	v_cmp_lt_f64_e32 vcc_lo, v[193:194], v[197:198]
	v_dual_cndmask_b32 v174, v174, v191 :: v_dual_cndmask_b32 v173, v173, v190
	v_dual_cndmask_b32 v172, v172, v189 :: v_dual_cndmask_b32 v175, v175, v192
	v_cndmask_b32_e64 v180, v180, s6, vcc_lo
	s_add_i32 s6, s6, 1
	s_cmp_lg_u32 s5, s6
	s_cbranch_scc1 .LBB84_64
.LBB84_65:
	s_set_inst_prefetch_distance 0x2
	s_waitcnt lgkmcnt(0)
	v_cmp_eq_f64_e32 vcc_lo, 0, v[172:173]
	v_cmp_eq_f64_e64 s2, 0, v[174:175]
	s_delay_alu instid0(VALU_DEP_1) | instskip(NEXT) | instid1(SALU_CYCLE_1)
	s_and_b32 s2, vcc_lo, s2
	s_and_saveexec_b32 s3, s2
	s_delay_alu instid0(SALU_CYCLE_1)
	s_xor_b32 s2, exec_lo, s3
; %bb.66:
	v_cmp_ne_u32_e32 vcc_lo, 0, v185
	v_cndmask_b32_e32 v185, 4, v185, vcc_lo
; %bb.67:
	s_and_not1_saveexec_b32 s3, s2
	s_cbranch_execz .LBB84_73
; %bb.68:
	v_cmp_gt_f64_e32 vcc_lo, 0, v[172:173]
	v_cmp_gt_f64_e64 s2, 0, v[174:175]
	v_xor_b32_e32 v181, 0x80000000, v173
	v_xor_b32_e32 v189, 0x80000000, v175
	s_delay_alu instid0(VALU_DEP_2) | instskip(NEXT) | instid1(VALU_DEP_2)
	v_cndmask_b32_e32 v190, v173, v181, vcc_lo
	v_cndmask_b32_e64 v192, v175, v189, s2
	v_cndmask_b32_e32 v189, v172, v172, vcc_lo
	v_cndmask_b32_e64 v191, v174, v174, s2
	s_mov_b32 s2, exec_lo
	s_delay_alu instid0(VALU_DEP_1)
	v_cmpx_ngt_f64_e32 v[189:190], v[191:192]
	s_xor_b32 s2, exec_lo, s2
	s_cbranch_execz .LBB84_70
; %bb.69:
	v_div_scale_f64 v[189:190], null, v[174:175], v[174:175], v[172:173]
	v_div_scale_f64 v[195:196], vcc_lo, v[172:173], v[174:175], v[172:173]
	s_delay_alu instid0(VALU_DEP_2) | instskip(SKIP_2) | instid1(VALU_DEP_1)
	v_rcp_f64_e32 v[191:192], v[189:190]
	s_waitcnt_depctr 0xfff
	v_fma_f64 v[193:194], -v[189:190], v[191:192], 1.0
	v_fma_f64 v[191:192], v[191:192], v[193:194], v[191:192]
	s_delay_alu instid0(VALU_DEP_1) | instskip(NEXT) | instid1(VALU_DEP_1)
	v_fma_f64 v[193:194], -v[189:190], v[191:192], 1.0
	v_fma_f64 v[191:192], v[191:192], v[193:194], v[191:192]
	s_delay_alu instid0(VALU_DEP_1) | instskip(NEXT) | instid1(VALU_DEP_1)
	v_mul_f64 v[193:194], v[195:196], v[191:192]
	v_fma_f64 v[189:190], -v[189:190], v[193:194], v[195:196]
	s_delay_alu instid0(VALU_DEP_1) | instskip(NEXT) | instid1(VALU_DEP_1)
	v_div_fmas_f64 v[189:190], v[189:190], v[191:192], v[193:194]
	v_div_fixup_f64 v[189:190], v[189:190], v[174:175], v[172:173]
	s_delay_alu instid0(VALU_DEP_1) | instskip(NEXT) | instid1(VALU_DEP_1)
	v_fma_f64 v[172:173], v[172:173], v[189:190], v[174:175]
	v_div_scale_f64 v[174:175], null, v[172:173], v[172:173], 1.0
	s_delay_alu instid0(VALU_DEP_1) | instskip(SKIP_2) | instid1(VALU_DEP_1)
	v_rcp_f64_e32 v[191:192], v[174:175]
	s_waitcnt_depctr 0xfff
	v_fma_f64 v[193:194], -v[174:175], v[191:192], 1.0
	v_fma_f64 v[191:192], v[191:192], v[193:194], v[191:192]
	s_delay_alu instid0(VALU_DEP_1) | instskip(NEXT) | instid1(VALU_DEP_1)
	v_fma_f64 v[193:194], -v[174:175], v[191:192], 1.0
	v_fma_f64 v[191:192], v[191:192], v[193:194], v[191:192]
	v_div_scale_f64 v[193:194], vcc_lo, 1.0, v[172:173], 1.0
	s_delay_alu instid0(VALU_DEP_1) | instskip(NEXT) | instid1(VALU_DEP_1)
	v_mul_f64 v[195:196], v[193:194], v[191:192]
	v_fma_f64 v[174:175], -v[174:175], v[195:196], v[193:194]
	s_delay_alu instid0(VALU_DEP_1) | instskip(NEXT) | instid1(VALU_DEP_1)
	v_div_fmas_f64 v[174:175], v[174:175], v[191:192], v[195:196]
	v_div_fixup_f64 v[174:175], v[174:175], v[172:173], 1.0
	s_delay_alu instid0(VALU_DEP_1)
	v_mul_f64 v[172:173], v[189:190], v[174:175]
	v_xor_b32_e32 v175, 0x80000000, v175
.LBB84_70:
	s_and_not1_saveexec_b32 s2, s2
	s_cbranch_execz .LBB84_72
; %bb.71:
	s_delay_alu instid0(VALU_DEP_1) | instskip(SKIP_1) | instid1(VALU_DEP_2)
	v_div_scale_f64 v[189:190], null, v[172:173], v[172:173], v[174:175]
	v_div_scale_f64 v[195:196], vcc_lo, v[174:175], v[172:173], v[174:175]
	v_rcp_f64_e32 v[191:192], v[189:190]
	s_waitcnt_depctr 0xfff
	v_fma_f64 v[193:194], -v[189:190], v[191:192], 1.0
	s_delay_alu instid0(VALU_DEP_1) | instskip(NEXT) | instid1(VALU_DEP_1)
	v_fma_f64 v[191:192], v[191:192], v[193:194], v[191:192]
	v_fma_f64 v[193:194], -v[189:190], v[191:192], 1.0
	s_delay_alu instid0(VALU_DEP_1) | instskip(NEXT) | instid1(VALU_DEP_1)
	v_fma_f64 v[191:192], v[191:192], v[193:194], v[191:192]
	v_mul_f64 v[193:194], v[195:196], v[191:192]
	s_delay_alu instid0(VALU_DEP_1) | instskip(NEXT) | instid1(VALU_DEP_1)
	v_fma_f64 v[189:190], -v[189:190], v[193:194], v[195:196]
	v_div_fmas_f64 v[189:190], v[189:190], v[191:192], v[193:194]
	s_delay_alu instid0(VALU_DEP_1) | instskip(NEXT) | instid1(VALU_DEP_1)
	v_div_fixup_f64 v[189:190], v[189:190], v[172:173], v[174:175]
	v_fma_f64 v[172:173], v[174:175], v[189:190], v[172:173]
	s_delay_alu instid0(VALU_DEP_1) | instskip(NEXT) | instid1(VALU_DEP_1)
	v_div_scale_f64 v[174:175], null, v[172:173], v[172:173], 1.0
	v_rcp_f64_e32 v[191:192], v[174:175]
	s_waitcnt_depctr 0xfff
	v_fma_f64 v[193:194], -v[174:175], v[191:192], 1.0
	s_delay_alu instid0(VALU_DEP_1) | instskip(NEXT) | instid1(VALU_DEP_1)
	v_fma_f64 v[191:192], v[191:192], v[193:194], v[191:192]
	v_fma_f64 v[193:194], -v[174:175], v[191:192], 1.0
	s_delay_alu instid0(VALU_DEP_1) | instskip(SKIP_1) | instid1(VALU_DEP_1)
	v_fma_f64 v[191:192], v[191:192], v[193:194], v[191:192]
	v_div_scale_f64 v[193:194], vcc_lo, 1.0, v[172:173], 1.0
	v_mul_f64 v[195:196], v[193:194], v[191:192]
	s_delay_alu instid0(VALU_DEP_1) | instskip(NEXT) | instid1(VALU_DEP_1)
	v_fma_f64 v[174:175], -v[174:175], v[195:196], v[193:194]
	v_div_fmas_f64 v[174:175], v[174:175], v[191:192], v[195:196]
	s_delay_alu instid0(VALU_DEP_1) | instskip(NEXT) | instid1(VALU_DEP_1)
	v_div_fixup_f64 v[172:173], v[174:175], v[172:173], 1.0
	v_mul_f64 v[174:175], v[189:190], -v[172:173]
.LBB84_72:
	s_or_b32 exec_lo, exec_lo, s2
.LBB84_73:
	s_delay_alu instid0(SALU_CYCLE_1) | instskip(NEXT) | instid1(SALU_CYCLE_1)
	s_or_b32 exec_lo, exec_lo, s3
	s_mov_b32 s2, exec_lo
	v_cmpx_ne_u32_e64 v188, v180
	s_xor_b32 s2, exec_lo, s2
	s_cbranch_execz .LBB84_79
; %bb.74:
	s_mov_b32 s3, exec_lo
	v_cmpx_eq_u32_e32 3, v188
	s_cbranch_execz .LBB84_78
; %bb.75:
	v_cmp_ne_u32_e32 vcc_lo, 3, v180
	s_xor_b32 s6, s4, -1
	s_delay_alu instid0(SALU_CYCLE_1) | instskip(NEXT) | instid1(SALU_CYCLE_1)
	s_and_b32 s7, s6, vcc_lo
	s_and_saveexec_b32 s6, s7
	s_cbranch_execz .LBB84_77
; %bb.76:
	v_ashrrev_i32_e32 v181, 31, v180
	s_delay_alu instid0(VALU_DEP_1) | instskip(NEXT) | instid1(VALU_DEP_1)
	v_lshlrev_b64 v[187:188], 2, v[180:181]
	v_add_co_u32 v187, vcc_lo, v178, v187
	s_delay_alu instid0(VALU_DEP_2)
	v_add_co_ci_u32_e32 v188, vcc_lo, v179, v188, vcc_lo
	s_clause 0x1
	flat_load_b32 v181, v[187:188]
	flat_load_b32 v189, v[178:179] offset:12
	s_waitcnt vmcnt(1) lgkmcnt(1)
	flat_store_b32 v[178:179], v181 offset:12
	s_waitcnt vmcnt(0) lgkmcnt(1)
	flat_store_b32 v[187:188], v189
.LBB84_77:
	s_or_b32 exec_lo, exec_lo, s6
	v_mov_b32_e32 v188, v180
	v_mov_b32_e32 v187, v180
.LBB84_78:
	s_or_b32 exec_lo, exec_lo, s3
.LBB84_79:
	s_and_not1_saveexec_b32 s2, s2
	s_cbranch_execz .LBB84_81
; %bb.80:
	v_mov_b32_e32 v188, 3
	ds_store_2addr_b64 v182, v[152:153], v[154:155] offset0:8 offset1:9
	ds_store_2addr_b64 v182, v[148:149], v[150:151] offset0:10 offset1:11
	;; [unrolled: 1-line block ×39, first 2 shown]
.LBB84_81:
	s_or_b32 exec_lo, exec_lo, s2
	s_delay_alu instid0(SALU_CYCLE_1)
	s_mov_b32 s2, exec_lo
	s_waitcnt lgkmcnt(0)
	s_waitcnt_vscnt null, 0x0
	s_barrier
	buffer_gl0_inv
	v_cmpx_lt_i32_e32 3, v188
	s_cbranch_execz .LBB84_83
; %bb.82:
	v_mul_f64 v[180:181], v[174:175], v[158:159]
	v_mul_f64 v[158:159], v[172:173], v[158:159]
	s_delay_alu instid0(VALU_DEP_2) | instskip(NEXT) | instid1(VALU_DEP_2)
	v_fma_f64 v[180:181], v[172:173], v[156:157], -v[180:181]
	v_fma_f64 v[158:159], v[174:175], v[156:157], v[158:159]
	ds_load_2addr_b64 v[172:175], v182 offset0:8 offset1:9
	s_waitcnt lgkmcnt(0)
	v_mul_f64 v[156:157], v[174:175], v[158:159]
	s_delay_alu instid0(VALU_DEP_1) | instskip(SKIP_1) | instid1(VALU_DEP_2)
	v_fma_f64 v[156:157], v[172:173], v[180:181], -v[156:157]
	v_mul_f64 v[172:173], v[172:173], v[158:159]
	v_add_f64 v[152:153], v[152:153], -v[156:157]
	s_delay_alu instid0(VALU_DEP_2) | instskip(NEXT) | instid1(VALU_DEP_1)
	v_fma_f64 v[172:173], v[174:175], v[180:181], v[172:173]
	v_add_f64 v[154:155], v[154:155], -v[172:173]
	ds_load_2addr_b64 v[172:175], v182 offset0:10 offset1:11
	s_waitcnt lgkmcnt(0)
	v_mul_f64 v[156:157], v[174:175], v[158:159]
	s_delay_alu instid0(VALU_DEP_1) | instskip(SKIP_1) | instid1(VALU_DEP_2)
	v_fma_f64 v[156:157], v[172:173], v[180:181], -v[156:157]
	v_mul_f64 v[172:173], v[172:173], v[158:159]
	v_add_f64 v[148:149], v[148:149], -v[156:157]
	s_delay_alu instid0(VALU_DEP_2) | instskip(NEXT) | instid1(VALU_DEP_1)
	v_fma_f64 v[172:173], v[174:175], v[180:181], v[172:173]
	v_add_f64 v[150:151], v[150:151], -v[172:173]
	;; [unrolled: 10-line block ×38, first 2 shown]
	ds_load_2addr_b64 v[172:175], v182 offset0:84 offset1:85
	s_waitcnt lgkmcnt(0)
	v_mul_f64 v[156:157], v[174:175], v[158:159]
	s_delay_alu instid0(VALU_DEP_1) | instskip(SKIP_1) | instid1(VALU_DEP_2)
	v_fma_f64 v[156:157], v[172:173], v[180:181], -v[156:157]
	v_mul_f64 v[172:173], v[172:173], v[158:159]
	v_add_f64 v[0:1], v[0:1], -v[156:157]
	s_delay_alu instid0(VALU_DEP_2) | instskip(SKIP_1) | instid1(VALU_DEP_2)
	v_fma_f64 v[172:173], v[174:175], v[180:181], v[172:173]
	v_dual_mov_b32 v156, v180 :: v_dual_mov_b32 v157, v181
	v_add_f64 v[2:3], v[2:3], -v[172:173]
.LBB84_83:
	s_or_b32 exec_lo, exec_lo, s2
	v_lshl_add_u32 v172, v188, 4, v182
	s_barrier
	buffer_gl0_inv
	v_mov_b32_e32 v180, 4
	ds_store_2addr_b64 v172, v[152:153], v[154:155] offset1:1
	s_waitcnt lgkmcnt(0)
	s_barrier
	buffer_gl0_inv
	ds_load_2addr_b64 v[172:175], v182 offset0:8 offset1:9
	s_cmp_lt_i32 s5, 6
	s_cbranch_scc1 .LBB84_86
; %bb.84:
	v_add3_u32 v181, v186, 0, 0x50
	v_mov_b32_e32 v180, 4
	s_mov_b32 s6, 5
	s_set_inst_prefetch_distance 0x1
	.p2align	6
.LBB84_85:                              ; =>This Inner Loop Header: Depth=1
	ds_load_2addr_b64 v[189:192], v181 offset1:1
	s_waitcnt lgkmcnt(1)
	v_cmp_gt_f64_e32 vcc_lo, 0, v[172:173]
	v_xor_b32_e32 v193, 0x80000000, v173
	v_cmp_gt_f64_e64 s2, 0, v[174:175]
	v_xor_b32_e32 v195, 0x80000000, v175
	v_add_nc_u32_e32 v181, 16, v181
	s_waitcnt lgkmcnt(0)
	v_cmp_gt_f64_e64 s3, 0, v[189:190]
	v_mov_b32_e32 v197, v189
	v_dual_mov_b32 v199, v191 :: v_dual_cndmask_b32 v194, v173, v193
	v_xor_b32_e32 v193, 0x80000000, v190
	v_cndmask_b32_e64 v196, v175, v195, s2
	v_xor_b32_e32 v195, 0x80000000, v192
	s_delay_alu instid0(VALU_DEP_3) | instskip(SKIP_2) | instid1(VALU_DEP_2)
	v_cndmask_b32_e64 v198, v190, v193, s3
	v_cmp_gt_f64_e64 s3, 0, v[191:192]
	v_cndmask_b32_e32 v193, v172, v172, vcc_lo
	v_cndmask_b32_e64 v200, v192, v195, s3
	v_cndmask_b32_e64 v195, v174, v174, s2
	s_delay_alu instid0(VALU_DEP_2) | instskip(NEXT) | instid1(VALU_DEP_2)
	v_add_f64 v[197:198], v[197:198], v[199:200]
	v_add_f64 v[193:194], v[193:194], v[195:196]
	s_delay_alu instid0(VALU_DEP_1) | instskip(SKIP_4) | instid1(SALU_CYCLE_1)
	v_cmp_lt_f64_e32 vcc_lo, v[193:194], v[197:198]
	v_dual_cndmask_b32 v174, v174, v191 :: v_dual_cndmask_b32 v173, v173, v190
	v_dual_cndmask_b32 v172, v172, v189 :: v_dual_cndmask_b32 v175, v175, v192
	v_cndmask_b32_e64 v180, v180, s6, vcc_lo
	s_add_i32 s6, s6, 1
	s_cmp_lg_u32 s5, s6
	s_cbranch_scc1 .LBB84_85
.LBB84_86:
	s_set_inst_prefetch_distance 0x2
	s_waitcnt lgkmcnt(0)
	v_cmp_eq_f64_e32 vcc_lo, 0, v[172:173]
	v_cmp_eq_f64_e64 s2, 0, v[174:175]
	s_delay_alu instid0(VALU_DEP_1) | instskip(NEXT) | instid1(SALU_CYCLE_1)
	s_and_b32 s2, vcc_lo, s2
	s_and_saveexec_b32 s3, s2
	s_delay_alu instid0(SALU_CYCLE_1)
	s_xor_b32 s2, exec_lo, s3
; %bb.87:
	v_cmp_ne_u32_e32 vcc_lo, 0, v185
	v_cndmask_b32_e32 v185, 5, v185, vcc_lo
; %bb.88:
	s_and_not1_saveexec_b32 s3, s2
	s_cbranch_execz .LBB84_94
; %bb.89:
	v_cmp_gt_f64_e32 vcc_lo, 0, v[172:173]
	v_cmp_gt_f64_e64 s2, 0, v[174:175]
	v_xor_b32_e32 v181, 0x80000000, v173
	v_xor_b32_e32 v189, 0x80000000, v175
	s_delay_alu instid0(VALU_DEP_2) | instskip(NEXT) | instid1(VALU_DEP_2)
	v_cndmask_b32_e32 v190, v173, v181, vcc_lo
	v_cndmask_b32_e64 v192, v175, v189, s2
	v_cndmask_b32_e32 v189, v172, v172, vcc_lo
	v_cndmask_b32_e64 v191, v174, v174, s2
	s_mov_b32 s2, exec_lo
	s_delay_alu instid0(VALU_DEP_1)
	v_cmpx_ngt_f64_e32 v[189:190], v[191:192]
	s_xor_b32 s2, exec_lo, s2
	s_cbranch_execz .LBB84_91
; %bb.90:
	v_div_scale_f64 v[189:190], null, v[174:175], v[174:175], v[172:173]
	v_div_scale_f64 v[195:196], vcc_lo, v[172:173], v[174:175], v[172:173]
	s_delay_alu instid0(VALU_DEP_2) | instskip(SKIP_2) | instid1(VALU_DEP_1)
	v_rcp_f64_e32 v[191:192], v[189:190]
	s_waitcnt_depctr 0xfff
	v_fma_f64 v[193:194], -v[189:190], v[191:192], 1.0
	v_fma_f64 v[191:192], v[191:192], v[193:194], v[191:192]
	s_delay_alu instid0(VALU_DEP_1) | instskip(NEXT) | instid1(VALU_DEP_1)
	v_fma_f64 v[193:194], -v[189:190], v[191:192], 1.0
	v_fma_f64 v[191:192], v[191:192], v[193:194], v[191:192]
	s_delay_alu instid0(VALU_DEP_1) | instskip(NEXT) | instid1(VALU_DEP_1)
	v_mul_f64 v[193:194], v[195:196], v[191:192]
	v_fma_f64 v[189:190], -v[189:190], v[193:194], v[195:196]
	s_delay_alu instid0(VALU_DEP_1) | instskip(NEXT) | instid1(VALU_DEP_1)
	v_div_fmas_f64 v[189:190], v[189:190], v[191:192], v[193:194]
	v_div_fixup_f64 v[189:190], v[189:190], v[174:175], v[172:173]
	s_delay_alu instid0(VALU_DEP_1) | instskip(NEXT) | instid1(VALU_DEP_1)
	v_fma_f64 v[172:173], v[172:173], v[189:190], v[174:175]
	v_div_scale_f64 v[174:175], null, v[172:173], v[172:173], 1.0
	s_delay_alu instid0(VALU_DEP_1) | instskip(SKIP_2) | instid1(VALU_DEP_1)
	v_rcp_f64_e32 v[191:192], v[174:175]
	s_waitcnt_depctr 0xfff
	v_fma_f64 v[193:194], -v[174:175], v[191:192], 1.0
	v_fma_f64 v[191:192], v[191:192], v[193:194], v[191:192]
	s_delay_alu instid0(VALU_DEP_1) | instskip(NEXT) | instid1(VALU_DEP_1)
	v_fma_f64 v[193:194], -v[174:175], v[191:192], 1.0
	v_fma_f64 v[191:192], v[191:192], v[193:194], v[191:192]
	v_div_scale_f64 v[193:194], vcc_lo, 1.0, v[172:173], 1.0
	s_delay_alu instid0(VALU_DEP_1) | instskip(NEXT) | instid1(VALU_DEP_1)
	v_mul_f64 v[195:196], v[193:194], v[191:192]
	v_fma_f64 v[174:175], -v[174:175], v[195:196], v[193:194]
	s_delay_alu instid0(VALU_DEP_1) | instskip(NEXT) | instid1(VALU_DEP_1)
	v_div_fmas_f64 v[174:175], v[174:175], v[191:192], v[195:196]
	v_div_fixup_f64 v[174:175], v[174:175], v[172:173], 1.0
	s_delay_alu instid0(VALU_DEP_1)
	v_mul_f64 v[172:173], v[189:190], v[174:175]
	v_xor_b32_e32 v175, 0x80000000, v175
.LBB84_91:
	s_and_not1_saveexec_b32 s2, s2
	s_cbranch_execz .LBB84_93
; %bb.92:
	s_delay_alu instid0(VALU_DEP_1) | instskip(SKIP_1) | instid1(VALU_DEP_2)
	v_div_scale_f64 v[189:190], null, v[172:173], v[172:173], v[174:175]
	v_div_scale_f64 v[195:196], vcc_lo, v[174:175], v[172:173], v[174:175]
	v_rcp_f64_e32 v[191:192], v[189:190]
	s_waitcnt_depctr 0xfff
	v_fma_f64 v[193:194], -v[189:190], v[191:192], 1.0
	s_delay_alu instid0(VALU_DEP_1) | instskip(NEXT) | instid1(VALU_DEP_1)
	v_fma_f64 v[191:192], v[191:192], v[193:194], v[191:192]
	v_fma_f64 v[193:194], -v[189:190], v[191:192], 1.0
	s_delay_alu instid0(VALU_DEP_1) | instskip(NEXT) | instid1(VALU_DEP_1)
	v_fma_f64 v[191:192], v[191:192], v[193:194], v[191:192]
	v_mul_f64 v[193:194], v[195:196], v[191:192]
	s_delay_alu instid0(VALU_DEP_1) | instskip(NEXT) | instid1(VALU_DEP_1)
	v_fma_f64 v[189:190], -v[189:190], v[193:194], v[195:196]
	v_div_fmas_f64 v[189:190], v[189:190], v[191:192], v[193:194]
	s_delay_alu instid0(VALU_DEP_1) | instskip(NEXT) | instid1(VALU_DEP_1)
	v_div_fixup_f64 v[189:190], v[189:190], v[172:173], v[174:175]
	v_fma_f64 v[172:173], v[174:175], v[189:190], v[172:173]
	s_delay_alu instid0(VALU_DEP_1) | instskip(NEXT) | instid1(VALU_DEP_1)
	v_div_scale_f64 v[174:175], null, v[172:173], v[172:173], 1.0
	v_rcp_f64_e32 v[191:192], v[174:175]
	s_waitcnt_depctr 0xfff
	v_fma_f64 v[193:194], -v[174:175], v[191:192], 1.0
	s_delay_alu instid0(VALU_DEP_1) | instskip(NEXT) | instid1(VALU_DEP_1)
	v_fma_f64 v[191:192], v[191:192], v[193:194], v[191:192]
	v_fma_f64 v[193:194], -v[174:175], v[191:192], 1.0
	s_delay_alu instid0(VALU_DEP_1) | instskip(SKIP_1) | instid1(VALU_DEP_1)
	v_fma_f64 v[191:192], v[191:192], v[193:194], v[191:192]
	v_div_scale_f64 v[193:194], vcc_lo, 1.0, v[172:173], 1.0
	v_mul_f64 v[195:196], v[193:194], v[191:192]
	s_delay_alu instid0(VALU_DEP_1) | instskip(NEXT) | instid1(VALU_DEP_1)
	v_fma_f64 v[174:175], -v[174:175], v[195:196], v[193:194]
	v_div_fmas_f64 v[174:175], v[174:175], v[191:192], v[195:196]
	s_delay_alu instid0(VALU_DEP_1) | instskip(NEXT) | instid1(VALU_DEP_1)
	v_div_fixup_f64 v[172:173], v[174:175], v[172:173], 1.0
	v_mul_f64 v[174:175], v[189:190], -v[172:173]
.LBB84_93:
	s_or_b32 exec_lo, exec_lo, s2
.LBB84_94:
	s_delay_alu instid0(SALU_CYCLE_1) | instskip(NEXT) | instid1(SALU_CYCLE_1)
	s_or_b32 exec_lo, exec_lo, s3
	s_mov_b32 s2, exec_lo
	v_cmpx_ne_u32_e64 v188, v180
	s_xor_b32 s2, exec_lo, s2
	s_cbranch_execz .LBB84_100
; %bb.95:
	s_mov_b32 s3, exec_lo
	v_cmpx_eq_u32_e32 4, v188
	s_cbranch_execz .LBB84_99
; %bb.96:
	v_cmp_ne_u32_e32 vcc_lo, 4, v180
	s_xor_b32 s6, s4, -1
	s_delay_alu instid0(SALU_CYCLE_1) | instskip(NEXT) | instid1(SALU_CYCLE_1)
	s_and_b32 s7, s6, vcc_lo
	s_and_saveexec_b32 s6, s7
	s_cbranch_execz .LBB84_98
; %bb.97:
	v_ashrrev_i32_e32 v181, 31, v180
	s_delay_alu instid0(VALU_DEP_1) | instskip(NEXT) | instid1(VALU_DEP_1)
	v_lshlrev_b64 v[187:188], 2, v[180:181]
	v_add_co_u32 v187, vcc_lo, v178, v187
	s_delay_alu instid0(VALU_DEP_2)
	v_add_co_ci_u32_e32 v188, vcc_lo, v179, v188, vcc_lo
	s_clause 0x1
	flat_load_b32 v181, v[187:188]
	flat_load_b32 v189, v[178:179] offset:16
	s_waitcnt vmcnt(1) lgkmcnt(1)
	flat_store_b32 v[178:179], v181 offset:16
	s_waitcnt vmcnt(0) lgkmcnt(1)
	flat_store_b32 v[187:188], v189
.LBB84_98:
	s_or_b32 exec_lo, exec_lo, s6
	v_mov_b32_e32 v188, v180
	v_mov_b32_e32 v187, v180
.LBB84_99:
	s_or_b32 exec_lo, exec_lo, s3
.LBB84_100:
	s_and_not1_saveexec_b32 s2, s2
	s_cbranch_execz .LBB84_102
; %bb.101:
	v_mov_b32_e32 v188, 4
	ds_store_2addr_b64 v182, v[148:149], v[150:151] offset0:10 offset1:11
	ds_store_2addr_b64 v182, v[144:145], v[146:147] offset0:12 offset1:13
	;; [unrolled: 1-line block ×38, first 2 shown]
.LBB84_102:
	s_or_b32 exec_lo, exec_lo, s2
	s_delay_alu instid0(SALU_CYCLE_1)
	s_mov_b32 s2, exec_lo
	s_waitcnt lgkmcnt(0)
	s_waitcnt_vscnt null, 0x0
	s_barrier
	buffer_gl0_inv
	v_cmpx_lt_i32_e32 4, v188
	s_cbranch_execz .LBB84_104
; %bb.103:
	v_mul_f64 v[180:181], v[174:175], v[154:155]
	v_mul_f64 v[154:155], v[172:173], v[154:155]
	s_delay_alu instid0(VALU_DEP_2) | instskip(NEXT) | instid1(VALU_DEP_2)
	v_fma_f64 v[180:181], v[172:173], v[152:153], -v[180:181]
	v_fma_f64 v[154:155], v[174:175], v[152:153], v[154:155]
	ds_load_2addr_b64 v[172:175], v182 offset0:10 offset1:11
	s_waitcnt lgkmcnt(0)
	v_mul_f64 v[152:153], v[174:175], v[154:155]
	s_delay_alu instid0(VALU_DEP_1) | instskip(SKIP_1) | instid1(VALU_DEP_2)
	v_fma_f64 v[152:153], v[172:173], v[180:181], -v[152:153]
	v_mul_f64 v[172:173], v[172:173], v[154:155]
	v_add_f64 v[148:149], v[148:149], -v[152:153]
	s_delay_alu instid0(VALU_DEP_2) | instskip(NEXT) | instid1(VALU_DEP_1)
	v_fma_f64 v[172:173], v[174:175], v[180:181], v[172:173]
	v_add_f64 v[150:151], v[150:151], -v[172:173]
	ds_load_2addr_b64 v[172:175], v182 offset0:12 offset1:13
	s_waitcnt lgkmcnt(0)
	v_mul_f64 v[152:153], v[174:175], v[154:155]
	s_delay_alu instid0(VALU_DEP_1) | instskip(SKIP_1) | instid1(VALU_DEP_2)
	v_fma_f64 v[152:153], v[172:173], v[180:181], -v[152:153]
	v_mul_f64 v[172:173], v[172:173], v[154:155]
	v_add_f64 v[144:145], v[144:145], -v[152:153]
	s_delay_alu instid0(VALU_DEP_2) | instskip(NEXT) | instid1(VALU_DEP_1)
	v_fma_f64 v[172:173], v[174:175], v[180:181], v[172:173]
	v_add_f64 v[146:147], v[146:147], -v[172:173]
	ds_load_2addr_b64 v[172:175], v182 offset0:14 offset1:15
	s_waitcnt lgkmcnt(0)
	v_mul_f64 v[152:153], v[174:175], v[154:155]
	s_delay_alu instid0(VALU_DEP_1) | instskip(SKIP_1) | instid1(VALU_DEP_2)
	v_fma_f64 v[152:153], v[172:173], v[180:181], -v[152:153]
	v_mul_f64 v[172:173], v[172:173], v[154:155]
	v_add_f64 v[140:141], v[140:141], -v[152:153]
	s_delay_alu instid0(VALU_DEP_2) | instskip(NEXT) | instid1(VALU_DEP_1)
	v_fma_f64 v[172:173], v[174:175], v[180:181], v[172:173]
	v_add_f64 v[142:143], v[142:143], -v[172:173]
	ds_load_2addr_b64 v[172:175], v182 offset0:16 offset1:17
	s_waitcnt lgkmcnt(0)
	v_mul_f64 v[152:153], v[174:175], v[154:155]
	s_delay_alu instid0(VALU_DEP_1) | instskip(SKIP_1) | instid1(VALU_DEP_2)
	v_fma_f64 v[152:153], v[172:173], v[180:181], -v[152:153]
	v_mul_f64 v[172:173], v[172:173], v[154:155]
	v_add_f64 v[136:137], v[136:137], -v[152:153]
	s_delay_alu instid0(VALU_DEP_2) | instskip(NEXT) | instid1(VALU_DEP_1)
	v_fma_f64 v[172:173], v[174:175], v[180:181], v[172:173]
	v_add_f64 v[138:139], v[138:139], -v[172:173]
	ds_load_2addr_b64 v[172:175], v182 offset0:18 offset1:19
	s_waitcnt lgkmcnt(0)
	v_mul_f64 v[152:153], v[174:175], v[154:155]
	s_delay_alu instid0(VALU_DEP_1) | instskip(SKIP_1) | instid1(VALU_DEP_2)
	v_fma_f64 v[152:153], v[172:173], v[180:181], -v[152:153]
	v_mul_f64 v[172:173], v[172:173], v[154:155]
	v_add_f64 v[132:133], v[132:133], -v[152:153]
	s_delay_alu instid0(VALU_DEP_2) | instskip(NEXT) | instid1(VALU_DEP_1)
	v_fma_f64 v[172:173], v[174:175], v[180:181], v[172:173]
	v_add_f64 v[134:135], v[134:135], -v[172:173]
	ds_load_2addr_b64 v[172:175], v182 offset0:20 offset1:21
	s_waitcnt lgkmcnt(0)
	v_mul_f64 v[152:153], v[174:175], v[154:155]
	s_delay_alu instid0(VALU_DEP_1) | instskip(SKIP_1) | instid1(VALU_DEP_2)
	v_fma_f64 v[152:153], v[172:173], v[180:181], -v[152:153]
	v_mul_f64 v[172:173], v[172:173], v[154:155]
	v_add_f64 v[128:129], v[128:129], -v[152:153]
	s_delay_alu instid0(VALU_DEP_2) | instskip(NEXT) | instid1(VALU_DEP_1)
	v_fma_f64 v[172:173], v[174:175], v[180:181], v[172:173]
	v_add_f64 v[130:131], v[130:131], -v[172:173]
	ds_load_2addr_b64 v[172:175], v182 offset0:22 offset1:23
	s_waitcnt lgkmcnt(0)
	v_mul_f64 v[152:153], v[174:175], v[154:155]
	s_delay_alu instid0(VALU_DEP_1) | instskip(SKIP_1) | instid1(VALU_DEP_2)
	v_fma_f64 v[152:153], v[172:173], v[180:181], -v[152:153]
	v_mul_f64 v[172:173], v[172:173], v[154:155]
	v_add_f64 v[124:125], v[124:125], -v[152:153]
	s_delay_alu instid0(VALU_DEP_2) | instskip(NEXT) | instid1(VALU_DEP_1)
	v_fma_f64 v[172:173], v[174:175], v[180:181], v[172:173]
	v_add_f64 v[126:127], v[126:127], -v[172:173]
	ds_load_2addr_b64 v[172:175], v182 offset0:24 offset1:25
	s_waitcnt lgkmcnt(0)
	v_mul_f64 v[152:153], v[174:175], v[154:155]
	s_delay_alu instid0(VALU_DEP_1) | instskip(SKIP_1) | instid1(VALU_DEP_2)
	v_fma_f64 v[152:153], v[172:173], v[180:181], -v[152:153]
	v_mul_f64 v[172:173], v[172:173], v[154:155]
	v_add_f64 v[120:121], v[120:121], -v[152:153]
	s_delay_alu instid0(VALU_DEP_2) | instskip(NEXT) | instid1(VALU_DEP_1)
	v_fma_f64 v[172:173], v[174:175], v[180:181], v[172:173]
	v_add_f64 v[122:123], v[122:123], -v[172:173]
	ds_load_2addr_b64 v[172:175], v182 offset0:26 offset1:27
	s_waitcnt lgkmcnt(0)
	v_mul_f64 v[152:153], v[174:175], v[154:155]
	s_delay_alu instid0(VALU_DEP_1) | instskip(SKIP_1) | instid1(VALU_DEP_2)
	v_fma_f64 v[152:153], v[172:173], v[180:181], -v[152:153]
	v_mul_f64 v[172:173], v[172:173], v[154:155]
	v_add_f64 v[116:117], v[116:117], -v[152:153]
	s_delay_alu instid0(VALU_DEP_2) | instskip(NEXT) | instid1(VALU_DEP_1)
	v_fma_f64 v[172:173], v[174:175], v[180:181], v[172:173]
	v_add_f64 v[118:119], v[118:119], -v[172:173]
	ds_load_2addr_b64 v[172:175], v182 offset0:28 offset1:29
	s_waitcnt lgkmcnt(0)
	v_mul_f64 v[152:153], v[174:175], v[154:155]
	s_delay_alu instid0(VALU_DEP_1) | instskip(SKIP_1) | instid1(VALU_DEP_2)
	v_fma_f64 v[152:153], v[172:173], v[180:181], -v[152:153]
	v_mul_f64 v[172:173], v[172:173], v[154:155]
	v_add_f64 v[112:113], v[112:113], -v[152:153]
	s_delay_alu instid0(VALU_DEP_2) | instskip(NEXT) | instid1(VALU_DEP_1)
	v_fma_f64 v[172:173], v[174:175], v[180:181], v[172:173]
	v_add_f64 v[114:115], v[114:115], -v[172:173]
	ds_load_2addr_b64 v[172:175], v182 offset0:30 offset1:31
	s_waitcnt lgkmcnt(0)
	v_mul_f64 v[152:153], v[174:175], v[154:155]
	s_delay_alu instid0(VALU_DEP_1) | instskip(SKIP_1) | instid1(VALU_DEP_2)
	v_fma_f64 v[152:153], v[172:173], v[180:181], -v[152:153]
	v_mul_f64 v[172:173], v[172:173], v[154:155]
	v_add_f64 v[108:109], v[108:109], -v[152:153]
	s_delay_alu instid0(VALU_DEP_2) | instskip(NEXT) | instid1(VALU_DEP_1)
	v_fma_f64 v[172:173], v[174:175], v[180:181], v[172:173]
	v_add_f64 v[110:111], v[110:111], -v[172:173]
	ds_load_2addr_b64 v[172:175], v182 offset0:32 offset1:33
	s_waitcnt lgkmcnt(0)
	v_mul_f64 v[152:153], v[174:175], v[154:155]
	s_delay_alu instid0(VALU_DEP_1) | instskip(SKIP_1) | instid1(VALU_DEP_2)
	v_fma_f64 v[152:153], v[172:173], v[180:181], -v[152:153]
	v_mul_f64 v[172:173], v[172:173], v[154:155]
	v_add_f64 v[104:105], v[104:105], -v[152:153]
	s_delay_alu instid0(VALU_DEP_2) | instskip(NEXT) | instid1(VALU_DEP_1)
	v_fma_f64 v[172:173], v[174:175], v[180:181], v[172:173]
	v_add_f64 v[106:107], v[106:107], -v[172:173]
	ds_load_2addr_b64 v[172:175], v182 offset0:34 offset1:35
	s_waitcnt lgkmcnt(0)
	v_mul_f64 v[152:153], v[174:175], v[154:155]
	s_delay_alu instid0(VALU_DEP_1) | instskip(SKIP_1) | instid1(VALU_DEP_2)
	v_fma_f64 v[152:153], v[172:173], v[180:181], -v[152:153]
	v_mul_f64 v[172:173], v[172:173], v[154:155]
	v_add_f64 v[100:101], v[100:101], -v[152:153]
	s_delay_alu instid0(VALU_DEP_2) | instskip(NEXT) | instid1(VALU_DEP_1)
	v_fma_f64 v[172:173], v[174:175], v[180:181], v[172:173]
	v_add_f64 v[102:103], v[102:103], -v[172:173]
	ds_load_2addr_b64 v[172:175], v182 offset0:36 offset1:37
	s_waitcnt lgkmcnt(0)
	v_mul_f64 v[152:153], v[174:175], v[154:155]
	s_delay_alu instid0(VALU_DEP_1) | instskip(SKIP_1) | instid1(VALU_DEP_2)
	v_fma_f64 v[152:153], v[172:173], v[180:181], -v[152:153]
	v_mul_f64 v[172:173], v[172:173], v[154:155]
	v_add_f64 v[96:97], v[96:97], -v[152:153]
	s_delay_alu instid0(VALU_DEP_2) | instskip(NEXT) | instid1(VALU_DEP_1)
	v_fma_f64 v[172:173], v[174:175], v[180:181], v[172:173]
	v_add_f64 v[98:99], v[98:99], -v[172:173]
	ds_load_2addr_b64 v[172:175], v182 offset0:38 offset1:39
	s_waitcnt lgkmcnt(0)
	v_mul_f64 v[152:153], v[174:175], v[154:155]
	s_delay_alu instid0(VALU_DEP_1) | instskip(SKIP_1) | instid1(VALU_DEP_2)
	v_fma_f64 v[152:153], v[172:173], v[180:181], -v[152:153]
	v_mul_f64 v[172:173], v[172:173], v[154:155]
	v_add_f64 v[92:93], v[92:93], -v[152:153]
	s_delay_alu instid0(VALU_DEP_2) | instskip(NEXT) | instid1(VALU_DEP_1)
	v_fma_f64 v[172:173], v[174:175], v[180:181], v[172:173]
	v_add_f64 v[94:95], v[94:95], -v[172:173]
	ds_load_2addr_b64 v[172:175], v182 offset0:40 offset1:41
	s_waitcnt lgkmcnt(0)
	v_mul_f64 v[152:153], v[174:175], v[154:155]
	s_delay_alu instid0(VALU_DEP_1) | instskip(SKIP_1) | instid1(VALU_DEP_2)
	v_fma_f64 v[152:153], v[172:173], v[180:181], -v[152:153]
	v_mul_f64 v[172:173], v[172:173], v[154:155]
	v_add_f64 v[88:89], v[88:89], -v[152:153]
	s_delay_alu instid0(VALU_DEP_2) | instskip(NEXT) | instid1(VALU_DEP_1)
	v_fma_f64 v[172:173], v[174:175], v[180:181], v[172:173]
	v_add_f64 v[90:91], v[90:91], -v[172:173]
	ds_load_2addr_b64 v[172:175], v182 offset0:42 offset1:43
	s_waitcnt lgkmcnt(0)
	v_mul_f64 v[152:153], v[174:175], v[154:155]
	s_delay_alu instid0(VALU_DEP_1) | instskip(SKIP_1) | instid1(VALU_DEP_2)
	v_fma_f64 v[152:153], v[172:173], v[180:181], -v[152:153]
	v_mul_f64 v[172:173], v[172:173], v[154:155]
	v_add_f64 v[84:85], v[84:85], -v[152:153]
	s_delay_alu instid0(VALU_DEP_2) | instskip(NEXT) | instid1(VALU_DEP_1)
	v_fma_f64 v[172:173], v[174:175], v[180:181], v[172:173]
	v_add_f64 v[86:87], v[86:87], -v[172:173]
	ds_load_2addr_b64 v[172:175], v182 offset0:44 offset1:45
	s_waitcnt lgkmcnt(0)
	v_mul_f64 v[152:153], v[174:175], v[154:155]
	s_delay_alu instid0(VALU_DEP_1) | instskip(SKIP_1) | instid1(VALU_DEP_2)
	v_fma_f64 v[152:153], v[172:173], v[180:181], -v[152:153]
	v_mul_f64 v[172:173], v[172:173], v[154:155]
	v_add_f64 v[80:81], v[80:81], -v[152:153]
	s_delay_alu instid0(VALU_DEP_2) | instskip(NEXT) | instid1(VALU_DEP_1)
	v_fma_f64 v[172:173], v[174:175], v[180:181], v[172:173]
	v_add_f64 v[82:83], v[82:83], -v[172:173]
	ds_load_2addr_b64 v[172:175], v182 offset0:46 offset1:47
	s_waitcnt lgkmcnt(0)
	v_mul_f64 v[152:153], v[174:175], v[154:155]
	s_delay_alu instid0(VALU_DEP_1) | instskip(SKIP_1) | instid1(VALU_DEP_2)
	v_fma_f64 v[152:153], v[172:173], v[180:181], -v[152:153]
	v_mul_f64 v[172:173], v[172:173], v[154:155]
	v_add_f64 v[76:77], v[76:77], -v[152:153]
	s_delay_alu instid0(VALU_DEP_2) | instskip(NEXT) | instid1(VALU_DEP_1)
	v_fma_f64 v[172:173], v[174:175], v[180:181], v[172:173]
	v_add_f64 v[78:79], v[78:79], -v[172:173]
	ds_load_2addr_b64 v[172:175], v182 offset0:48 offset1:49
	s_waitcnt lgkmcnt(0)
	v_mul_f64 v[152:153], v[174:175], v[154:155]
	s_delay_alu instid0(VALU_DEP_1) | instskip(SKIP_1) | instid1(VALU_DEP_2)
	v_fma_f64 v[152:153], v[172:173], v[180:181], -v[152:153]
	v_mul_f64 v[172:173], v[172:173], v[154:155]
	v_add_f64 v[72:73], v[72:73], -v[152:153]
	s_delay_alu instid0(VALU_DEP_2) | instskip(NEXT) | instid1(VALU_DEP_1)
	v_fma_f64 v[172:173], v[174:175], v[180:181], v[172:173]
	v_add_f64 v[74:75], v[74:75], -v[172:173]
	ds_load_2addr_b64 v[172:175], v182 offset0:50 offset1:51
	s_waitcnt lgkmcnt(0)
	v_mul_f64 v[152:153], v[174:175], v[154:155]
	s_delay_alu instid0(VALU_DEP_1) | instskip(SKIP_1) | instid1(VALU_DEP_2)
	v_fma_f64 v[152:153], v[172:173], v[180:181], -v[152:153]
	v_mul_f64 v[172:173], v[172:173], v[154:155]
	v_add_f64 v[68:69], v[68:69], -v[152:153]
	s_delay_alu instid0(VALU_DEP_2) | instskip(NEXT) | instid1(VALU_DEP_1)
	v_fma_f64 v[172:173], v[174:175], v[180:181], v[172:173]
	v_add_f64 v[70:71], v[70:71], -v[172:173]
	ds_load_2addr_b64 v[172:175], v182 offset0:52 offset1:53
	s_waitcnt lgkmcnt(0)
	v_mul_f64 v[152:153], v[174:175], v[154:155]
	s_delay_alu instid0(VALU_DEP_1) | instskip(SKIP_1) | instid1(VALU_DEP_2)
	v_fma_f64 v[152:153], v[172:173], v[180:181], -v[152:153]
	v_mul_f64 v[172:173], v[172:173], v[154:155]
	v_add_f64 v[64:65], v[64:65], -v[152:153]
	s_delay_alu instid0(VALU_DEP_2) | instskip(NEXT) | instid1(VALU_DEP_1)
	v_fma_f64 v[172:173], v[174:175], v[180:181], v[172:173]
	v_add_f64 v[66:67], v[66:67], -v[172:173]
	ds_load_2addr_b64 v[172:175], v182 offset0:54 offset1:55
	s_waitcnt lgkmcnt(0)
	v_mul_f64 v[152:153], v[174:175], v[154:155]
	s_delay_alu instid0(VALU_DEP_1) | instskip(SKIP_1) | instid1(VALU_DEP_2)
	v_fma_f64 v[152:153], v[172:173], v[180:181], -v[152:153]
	v_mul_f64 v[172:173], v[172:173], v[154:155]
	v_add_f64 v[60:61], v[60:61], -v[152:153]
	s_delay_alu instid0(VALU_DEP_2) | instskip(NEXT) | instid1(VALU_DEP_1)
	v_fma_f64 v[172:173], v[174:175], v[180:181], v[172:173]
	v_add_f64 v[62:63], v[62:63], -v[172:173]
	ds_load_2addr_b64 v[172:175], v182 offset0:56 offset1:57
	s_waitcnt lgkmcnt(0)
	v_mul_f64 v[152:153], v[174:175], v[154:155]
	s_delay_alu instid0(VALU_DEP_1) | instskip(SKIP_1) | instid1(VALU_DEP_2)
	v_fma_f64 v[152:153], v[172:173], v[180:181], -v[152:153]
	v_mul_f64 v[172:173], v[172:173], v[154:155]
	v_add_f64 v[56:57], v[56:57], -v[152:153]
	s_delay_alu instid0(VALU_DEP_2) | instskip(NEXT) | instid1(VALU_DEP_1)
	v_fma_f64 v[172:173], v[174:175], v[180:181], v[172:173]
	v_add_f64 v[58:59], v[58:59], -v[172:173]
	ds_load_2addr_b64 v[172:175], v182 offset0:58 offset1:59
	s_waitcnt lgkmcnt(0)
	v_mul_f64 v[152:153], v[174:175], v[154:155]
	s_delay_alu instid0(VALU_DEP_1) | instskip(SKIP_1) | instid1(VALU_DEP_2)
	v_fma_f64 v[152:153], v[172:173], v[180:181], -v[152:153]
	v_mul_f64 v[172:173], v[172:173], v[154:155]
	v_add_f64 v[52:53], v[52:53], -v[152:153]
	s_delay_alu instid0(VALU_DEP_2) | instskip(NEXT) | instid1(VALU_DEP_1)
	v_fma_f64 v[172:173], v[174:175], v[180:181], v[172:173]
	v_add_f64 v[54:55], v[54:55], -v[172:173]
	ds_load_2addr_b64 v[172:175], v182 offset0:60 offset1:61
	s_waitcnt lgkmcnt(0)
	v_mul_f64 v[152:153], v[174:175], v[154:155]
	s_delay_alu instid0(VALU_DEP_1) | instskip(SKIP_1) | instid1(VALU_DEP_2)
	v_fma_f64 v[152:153], v[172:173], v[180:181], -v[152:153]
	v_mul_f64 v[172:173], v[172:173], v[154:155]
	v_add_f64 v[48:49], v[48:49], -v[152:153]
	s_delay_alu instid0(VALU_DEP_2) | instskip(NEXT) | instid1(VALU_DEP_1)
	v_fma_f64 v[172:173], v[174:175], v[180:181], v[172:173]
	v_add_f64 v[50:51], v[50:51], -v[172:173]
	ds_load_2addr_b64 v[172:175], v182 offset0:62 offset1:63
	s_waitcnt lgkmcnt(0)
	v_mul_f64 v[152:153], v[174:175], v[154:155]
	s_delay_alu instid0(VALU_DEP_1) | instskip(SKIP_1) | instid1(VALU_DEP_2)
	v_fma_f64 v[152:153], v[172:173], v[180:181], -v[152:153]
	v_mul_f64 v[172:173], v[172:173], v[154:155]
	v_add_f64 v[44:45], v[44:45], -v[152:153]
	s_delay_alu instid0(VALU_DEP_2) | instskip(NEXT) | instid1(VALU_DEP_1)
	v_fma_f64 v[172:173], v[174:175], v[180:181], v[172:173]
	v_add_f64 v[46:47], v[46:47], -v[172:173]
	ds_load_2addr_b64 v[172:175], v182 offset0:64 offset1:65
	s_waitcnt lgkmcnt(0)
	v_mul_f64 v[152:153], v[174:175], v[154:155]
	s_delay_alu instid0(VALU_DEP_1) | instskip(SKIP_1) | instid1(VALU_DEP_2)
	v_fma_f64 v[152:153], v[172:173], v[180:181], -v[152:153]
	v_mul_f64 v[172:173], v[172:173], v[154:155]
	v_add_f64 v[40:41], v[40:41], -v[152:153]
	s_delay_alu instid0(VALU_DEP_2) | instskip(NEXT) | instid1(VALU_DEP_1)
	v_fma_f64 v[172:173], v[174:175], v[180:181], v[172:173]
	v_add_f64 v[42:43], v[42:43], -v[172:173]
	ds_load_2addr_b64 v[172:175], v182 offset0:66 offset1:67
	s_waitcnt lgkmcnt(0)
	v_mul_f64 v[152:153], v[174:175], v[154:155]
	s_delay_alu instid0(VALU_DEP_1) | instskip(SKIP_1) | instid1(VALU_DEP_2)
	v_fma_f64 v[152:153], v[172:173], v[180:181], -v[152:153]
	v_mul_f64 v[172:173], v[172:173], v[154:155]
	v_add_f64 v[36:37], v[36:37], -v[152:153]
	s_delay_alu instid0(VALU_DEP_2) | instskip(NEXT) | instid1(VALU_DEP_1)
	v_fma_f64 v[172:173], v[174:175], v[180:181], v[172:173]
	v_add_f64 v[38:39], v[38:39], -v[172:173]
	ds_load_2addr_b64 v[172:175], v182 offset0:68 offset1:69
	s_waitcnt lgkmcnt(0)
	v_mul_f64 v[152:153], v[174:175], v[154:155]
	s_delay_alu instid0(VALU_DEP_1) | instskip(SKIP_1) | instid1(VALU_DEP_2)
	v_fma_f64 v[152:153], v[172:173], v[180:181], -v[152:153]
	v_mul_f64 v[172:173], v[172:173], v[154:155]
	v_add_f64 v[32:33], v[32:33], -v[152:153]
	s_delay_alu instid0(VALU_DEP_2) | instskip(NEXT) | instid1(VALU_DEP_1)
	v_fma_f64 v[172:173], v[174:175], v[180:181], v[172:173]
	v_add_f64 v[34:35], v[34:35], -v[172:173]
	ds_load_2addr_b64 v[172:175], v182 offset0:70 offset1:71
	s_waitcnt lgkmcnt(0)
	v_mul_f64 v[152:153], v[174:175], v[154:155]
	s_delay_alu instid0(VALU_DEP_1) | instskip(SKIP_1) | instid1(VALU_DEP_2)
	v_fma_f64 v[152:153], v[172:173], v[180:181], -v[152:153]
	v_mul_f64 v[172:173], v[172:173], v[154:155]
	v_add_f64 v[28:29], v[28:29], -v[152:153]
	s_delay_alu instid0(VALU_DEP_2) | instskip(NEXT) | instid1(VALU_DEP_1)
	v_fma_f64 v[172:173], v[174:175], v[180:181], v[172:173]
	v_add_f64 v[30:31], v[30:31], -v[172:173]
	ds_load_2addr_b64 v[172:175], v182 offset0:72 offset1:73
	s_waitcnt lgkmcnt(0)
	v_mul_f64 v[152:153], v[174:175], v[154:155]
	s_delay_alu instid0(VALU_DEP_1) | instskip(SKIP_1) | instid1(VALU_DEP_2)
	v_fma_f64 v[152:153], v[172:173], v[180:181], -v[152:153]
	v_mul_f64 v[172:173], v[172:173], v[154:155]
	v_add_f64 v[24:25], v[24:25], -v[152:153]
	s_delay_alu instid0(VALU_DEP_2) | instskip(NEXT) | instid1(VALU_DEP_1)
	v_fma_f64 v[172:173], v[174:175], v[180:181], v[172:173]
	v_add_f64 v[26:27], v[26:27], -v[172:173]
	ds_load_2addr_b64 v[172:175], v182 offset0:74 offset1:75
	s_waitcnt lgkmcnt(0)
	v_mul_f64 v[152:153], v[174:175], v[154:155]
	s_delay_alu instid0(VALU_DEP_1) | instskip(SKIP_1) | instid1(VALU_DEP_2)
	v_fma_f64 v[152:153], v[172:173], v[180:181], -v[152:153]
	v_mul_f64 v[172:173], v[172:173], v[154:155]
	v_add_f64 v[20:21], v[20:21], -v[152:153]
	s_delay_alu instid0(VALU_DEP_2) | instskip(NEXT) | instid1(VALU_DEP_1)
	v_fma_f64 v[172:173], v[174:175], v[180:181], v[172:173]
	v_add_f64 v[22:23], v[22:23], -v[172:173]
	ds_load_2addr_b64 v[172:175], v182 offset0:76 offset1:77
	s_waitcnt lgkmcnt(0)
	v_mul_f64 v[152:153], v[174:175], v[154:155]
	s_delay_alu instid0(VALU_DEP_1) | instskip(SKIP_1) | instid1(VALU_DEP_2)
	v_fma_f64 v[152:153], v[172:173], v[180:181], -v[152:153]
	v_mul_f64 v[172:173], v[172:173], v[154:155]
	v_add_f64 v[16:17], v[16:17], -v[152:153]
	s_delay_alu instid0(VALU_DEP_2) | instskip(NEXT) | instid1(VALU_DEP_1)
	v_fma_f64 v[172:173], v[174:175], v[180:181], v[172:173]
	v_add_f64 v[18:19], v[18:19], -v[172:173]
	ds_load_2addr_b64 v[172:175], v182 offset0:78 offset1:79
	s_waitcnt lgkmcnt(0)
	v_mul_f64 v[152:153], v[174:175], v[154:155]
	s_delay_alu instid0(VALU_DEP_1) | instskip(SKIP_1) | instid1(VALU_DEP_2)
	v_fma_f64 v[152:153], v[172:173], v[180:181], -v[152:153]
	v_mul_f64 v[172:173], v[172:173], v[154:155]
	v_add_f64 v[12:13], v[12:13], -v[152:153]
	s_delay_alu instid0(VALU_DEP_2) | instskip(NEXT) | instid1(VALU_DEP_1)
	v_fma_f64 v[172:173], v[174:175], v[180:181], v[172:173]
	v_add_f64 v[14:15], v[14:15], -v[172:173]
	ds_load_2addr_b64 v[172:175], v182 offset0:80 offset1:81
	s_waitcnt lgkmcnt(0)
	v_mul_f64 v[152:153], v[174:175], v[154:155]
	s_delay_alu instid0(VALU_DEP_1) | instskip(SKIP_1) | instid1(VALU_DEP_2)
	v_fma_f64 v[152:153], v[172:173], v[180:181], -v[152:153]
	v_mul_f64 v[172:173], v[172:173], v[154:155]
	v_add_f64 v[8:9], v[8:9], -v[152:153]
	s_delay_alu instid0(VALU_DEP_2) | instskip(NEXT) | instid1(VALU_DEP_1)
	v_fma_f64 v[172:173], v[174:175], v[180:181], v[172:173]
	v_add_f64 v[10:11], v[10:11], -v[172:173]
	ds_load_2addr_b64 v[172:175], v182 offset0:82 offset1:83
	s_waitcnt lgkmcnt(0)
	v_mul_f64 v[152:153], v[174:175], v[154:155]
	s_delay_alu instid0(VALU_DEP_1) | instskip(SKIP_1) | instid1(VALU_DEP_2)
	v_fma_f64 v[152:153], v[172:173], v[180:181], -v[152:153]
	v_mul_f64 v[172:173], v[172:173], v[154:155]
	v_add_f64 v[4:5], v[4:5], -v[152:153]
	s_delay_alu instid0(VALU_DEP_2) | instskip(NEXT) | instid1(VALU_DEP_1)
	v_fma_f64 v[172:173], v[174:175], v[180:181], v[172:173]
	v_add_f64 v[6:7], v[6:7], -v[172:173]
	ds_load_2addr_b64 v[172:175], v182 offset0:84 offset1:85
	s_waitcnt lgkmcnt(0)
	v_mul_f64 v[152:153], v[174:175], v[154:155]
	s_delay_alu instid0(VALU_DEP_1) | instskip(SKIP_1) | instid1(VALU_DEP_2)
	v_fma_f64 v[152:153], v[172:173], v[180:181], -v[152:153]
	v_mul_f64 v[172:173], v[172:173], v[154:155]
	v_add_f64 v[0:1], v[0:1], -v[152:153]
	s_delay_alu instid0(VALU_DEP_2) | instskip(SKIP_1) | instid1(VALU_DEP_2)
	v_fma_f64 v[172:173], v[174:175], v[180:181], v[172:173]
	v_dual_mov_b32 v152, v180 :: v_dual_mov_b32 v153, v181
	v_add_f64 v[2:3], v[2:3], -v[172:173]
.LBB84_104:
	s_or_b32 exec_lo, exec_lo, s2
	v_lshl_add_u32 v172, v188, 4, v182
	s_barrier
	buffer_gl0_inv
	v_mov_b32_e32 v180, 5
	ds_store_2addr_b64 v172, v[148:149], v[150:151] offset1:1
	s_waitcnt lgkmcnt(0)
	s_barrier
	buffer_gl0_inv
	ds_load_2addr_b64 v[172:175], v182 offset0:10 offset1:11
	s_cmp_lt_i32 s5, 7
	s_cbranch_scc1 .LBB84_107
; %bb.105:
	v_add3_u32 v181, v186, 0, 0x60
	v_mov_b32_e32 v180, 5
	s_mov_b32 s6, 6
	s_set_inst_prefetch_distance 0x1
	.p2align	6
.LBB84_106:                             ; =>This Inner Loop Header: Depth=1
	ds_load_2addr_b64 v[189:192], v181 offset1:1
	s_waitcnt lgkmcnt(1)
	v_cmp_gt_f64_e32 vcc_lo, 0, v[172:173]
	v_xor_b32_e32 v193, 0x80000000, v173
	v_cmp_gt_f64_e64 s2, 0, v[174:175]
	v_xor_b32_e32 v195, 0x80000000, v175
	v_add_nc_u32_e32 v181, 16, v181
	s_waitcnt lgkmcnt(0)
	v_cmp_gt_f64_e64 s3, 0, v[189:190]
	v_mov_b32_e32 v197, v189
	v_dual_mov_b32 v199, v191 :: v_dual_cndmask_b32 v194, v173, v193
	v_xor_b32_e32 v193, 0x80000000, v190
	v_cndmask_b32_e64 v196, v175, v195, s2
	v_xor_b32_e32 v195, 0x80000000, v192
	s_delay_alu instid0(VALU_DEP_3) | instskip(SKIP_2) | instid1(VALU_DEP_2)
	v_cndmask_b32_e64 v198, v190, v193, s3
	v_cmp_gt_f64_e64 s3, 0, v[191:192]
	v_cndmask_b32_e32 v193, v172, v172, vcc_lo
	v_cndmask_b32_e64 v200, v192, v195, s3
	v_cndmask_b32_e64 v195, v174, v174, s2
	s_delay_alu instid0(VALU_DEP_2) | instskip(NEXT) | instid1(VALU_DEP_2)
	v_add_f64 v[197:198], v[197:198], v[199:200]
	v_add_f64 v[193:194], v[193:194], v[195:196]
	s_delay_alu instid0(VALU_DEP_1) | instskip(SKIP_4) | instid1(SALU_CYCLE_1)
	v_cmp_lt_f64_e32 vcc_lo, v[193:194], v[197:198]
	v_dual_cndmask_b32 v174, v174, v191 :: v_dual_cndmask_b32 v173, v173, v190
	v_dual_cndmask_b32 v172, v172, v189 :: v_dual_cndmask_b32 v175, v175, v192
	v_cndmask_b32_e64 v180, v180, s6, vcc_lo
	s_add_i32 s6, s6, 1
	s_cmp_lg_u32 s5, s6
	s_cbranch_scc1 .LBB84_106
.LBB84_107:
	s_set_inst_prefetch_distance 0x2
	s_waitcnt lgkmcnt(0)
	v_cmp_eq_f64_e32 vcc_lo, 0, v[172:173]
	v_cmp_eq_f64_e64 s2, 0, v[174:175]
	s_delay_alu instid0(VALU_DEP_1) | instskip(NEXT) | instid1(SALU_CYCLE_1)
	s_and_b32 s2, vcc_lo, s2
	s_and_saveexec_b32 s3, s2
	s_delay_alu instid0(SALU_CYCLE_1)
	s_xor_b32 s2, exec_lo, s3
; %bb.108:
	v_cmp_ne_u32_e32 vcc_lo, 0, v185
	v_cndmask_b32_e32 v185, 6, v185, vcc_lo
; %bb.109:
	s_and_not1_saveexec_b32 s3, s2
	s_cbranch_execz .LBB84_115
; %bb.110:
	v_cmp_gt_f64_e32 vcc_lo, 0, v[172:173]
	v_cmp_gt_f64_e64 s2, 0, v[174:175]
	v_xor_b32_e32 v181, 0x80000000, v173
	v_xor_b32_e32 v189, 0x80000000, v175
	s_delay_alu instid0(VALU_DEP_2) | instskip(NEXT) | instid1(VALU_DEP_2)
	v_cndmask_b32_e32 v190, v173, v181, vcc_lo
	v_cndmask_b32_e64 v192, v175, v189, s2
	v_cndmask_b32_e32 v189, v172, v172, vcc_lo
	v_cndmask_b32_e64 v191, v174, v174, s2
	s_mov_b32 s2, exec_lo
	s_delay_alu instid0(VALU_DEP_1)
	v_cmpx_ngt_f64_e32 v[189:190], v[191:192]
	s_xor_b32 s2, exec_lo, s2
	s_cbranch_execz .LBB84_112
; %bb.111:
	v_div_scale_f64 v[189:190], null, v[174:175], v[174:175], v[172:173]
	v_div_scale_f64 v[195:196], vcc_lo, v[172:173], v[174:175], v[172:173]
	s_delay_alu instid0(VALU_DEP_2) | instskip(SKIP_2) | instid1(VALU_DEP_1)
	v_rcp_f64_e32 v[191:192], v[189:190]
	s_waitcnt_depctr 0xfff
	v_fma_f64 v[193:194], -v[189:190], v[191:192], 1.0
	v_fma_f64 v[191:192], v[191:192], v[193:194], v[191:192]
	s_delay_alu instid0(VALU_DEP_1) | instskip(NEXT) | instid1(VALU_DEP_1)
	v_fma_f64 v[193:194], -v[189:190], v[191:192], 1.0
	v_fma_f64 v[191:192], v[191:192], v[193:194], v[191:192]
	s_delay_alu instid0(VALU_DEP_1) | instskip(NEXT) | instid1(VALU_DEP_1)
	v_mul_f64 v[193:194], v[195:196], v[191:192]
	v_fma_f64 v[189:190], -v[189:190], v[193:194], v[195:196]
	s_delay_alu instid0(VALU_DEP_1) | instskip(NEXT) | instid1(VALU_DEP_1)
	v_div_fmas_f64 v[189:190], v[189:190], v[191:192], v[193:194]
	v_div_fixup_f64 v[189:190], v[189:190], v[174:175], v[172:173]
	s_delay_alu instid0(VALU_DEP_1) | instskip(NEXT) | instid1(VALU_DEP_1)
	v_fma_f64 v[172:173], v[172:173], v[189:190], v[174:175]
	v_div_scale_f64 v[174:175], null, v[172:173], v[172:173], 1.0
	s_delay_alu instid0(VALU_DEP_1) | instskip(SKIP_2) | instid1(VALU_DEP_1)
	v_rcp_f64_e32 v[191:192], v[174:175]
	s_waitcnt_depctr 0xfff
	v_fma_f64 v[193:194], -v[174:175], v[191:192], 1.0
	v_fma_f64 v[191:192], v[191:192], v[193:194], v[191:192]
	s_delay_alu instid0(VALU_DEP_1) | instskip(NEXT) | instid1(VALU_DEP_1)
	v_fma_f64 v[193:194], -v[174:175], v[191:192], 1.0
	v_fma_f64 v[191:192], v[191:192], v[193:194], v[191:192]
	v_div_scale_f64 v[193:194], vcc_lo, 1.0, v[172:173], 1.0
	s_delay_alu instid0(VALU_DEP_1) | instskip(NEXT) | instid1(VALU_DEP_1)
	v_mul_f64 v[195:196], v[193:194], v[191:192]
	v_fma_f64 v[174:175], -v[174:175], v[195:196], v[193:194]
	s_delay_alu instid0(VALU_DEP_1) | instskip(NEXT) | instid1(VALU_DEP_1)
	v_div_fmas_f64 v[174:175], v[174:175], v[191:192], v[195:196]
	v_div_fixup_f64 v[174:175], v[174:175], v[172:173], 1.0
	s_delay_alu instid0(VALU_DEP_1)
	v_mul_f64 v[172:173], v[189:190], v[174:175]
	v_xor_b32_e32 v175, 0x80000000, v175
.LBB84_112:
	s_and_not1_saveexec_b32 s2, s2
	s_cbranch_execz .LBB84_114
; %bb.113:
	s_delay_alu instid0(VALU_DEP_1) | instskip(SKIP_1) | instid1(VALU_DEP_2)
	v_div_scale_f64 v[189:190], null, v[172:173], v[172:173], v[174:175]
	v_div_scale_f64 v[195:196], vcc_lo, v[174:175], v[172:173], v[174:175]
	v_rcp_f64_e32 v[191:192], v[189:190]
	s_waitcnt_depctr 0xfff
	v_fma_f64 v[193:194], -v[189:190], v[191:192], 1.0
	s_delay_alu instid0(VALU_DEP_1) | instskip(NEXT) | instid1(VALU_DEP_1)
	v_fma_f64 v[191:192], v[191:192], v[193:194], v[191:192]
	v_fma_f64 v[193:194], -v[189:190], v[191:192], 1.0
	s_delay_alu instid0(VALU_DEP_1) | instskip(NEXT) | instid1(VALU_DEP_1)
	v_fma_f64 v[191:192], v[191:192], v[193:194], v[191:192]
	v_mul_f64 v[193:194], v[195:196], v[191:192]
	s_delay_alu instid0(VALU_DEP_1) | instskip(NEXT) | instid1(VALU_DEP_1)
	v_fma_f64 v[189:190], -v[189:190], v[193:194], v[195:196]
	v_div_fmas_f64 v[189:190], v[189:190], v[191:192], v[193:194]
	s_delay_alu instid0(VALU_DEP_1) | instskip(NEXT) | instid1(VALU_DEP_1)
	v_div_fixup_f64 v[189:190], v[189:190], v[172:173], v[174:175]
	v_fma_f64 v[172:173], v[174:175], v[189:190], v[172:173]
	s_delay_alu instid0(VALU_DEP_1) | instskip(NEXT) | instid1(VALU_DEP_1)
	v_div_scale_f64 v[174:175], null, v[172:173], v[172:173], 1.0
	v_rcp_f64_e32 v[191:192], v[174:175]
	s_waitcnt_depctr 0xfff
	v_fma_f64 v[193:194], -v[174:175], v[191:192], 1.0
	s_delay_alu instid0(VALU_DEP_1) | instskip(NEXT) | instid1(VALU_DEP_1)
	v_fma_f64 v[191:192], v[191:192], v[193:194], v[191:192]
	v_fma_f64 v[193:194], -v[174:175], v[191:192], 1.0
	s_delay_alu instid0(VALU_DEP_1) | instskip(SKIP_1) | instid1(VALU_DEP_1)
	v_fma_f64 v[191:192], v[191:192], v[193:194], v[191:192]
	v_div_scale_f64 v[193:194], vcc_lo, 1.0, v[172:173], 1.0
	v_mul_f64 v[195:196], v[193:194], v[191:192]
	s_delay_alu instid0(VALU_DEP_1) | instskip(NEXT) | instid1(VALU_DEP_1)
	v_fma_f64 v[174:175], -v[174:175], v[195:196], v[193:194]
	v_div_fmas_f64 v[174:175], v[174:175], v[191:192], v[195:196]
	s_delay_alu instid0(VALU_DEP_1) | instskip(NEXT) | instid1(VALU_DEP_1)
	v_div_fixup_f64 v[172:173], v[174:175], v[172:173], 1.0
	v_mul_f64 v[174:175], v[189:190], -v[172:173]
.LBB84_114:
	s_or_b32 exec_lo, exec_lo, s2
.LBB84_115:
	s_delay_alu instid0(SALU_CYCLE_1) | instskip(NEXT) | instid1(SALU_CYCLE_1)
	s_or_b32 exec_lo, exec_lo, s3
	s_mov_b32 s2, exec_lo
	v_cmpx_ne_u32_e64 v188, v180
	s_xor_b32 s2, exec_lo, s2
	s_cbranch_execz .LBB84_121
; %bb.116:
	s_mov_b32 s3, exec_lo
	v_cmpx_eq_u32_e32 5, v188
	s_cbranch_execz .LBB84_120
; %bb.117:
	v_cmp_ne_u32_e32 vcc_lo, 5, v180
	s_xor_b32 s6, s4, -1
	s_delay_alu instid0(SALU_CYCLE_1) | instskip(NEXT) | instid1(SALU_CYCLE_1)
	s_and_b32 s7, s6, vcc_lo
	s_and_saveexec_b32 s6, s7
	s_cbranch_execz .LBB84_119
; %bb.118:
	v_ashrrev_i32_e32 v181, 31, v180
	s_delay_alu instid0(VALU_DEP_1) | instskip(NEXT) | instid1(VALU_DEP_1)
	v_lshlrev_b64 v[187:188], 2, v[180:181]
	v_add_co_u32 v187, vcc_lo, v178, v187
	s_delay_alu instid0(VALU_DEP_2)
	v_add_co_ci_u32_e32 v188, vcc_lo, v179, v188, vcc_lo
	s_clause 0x1
	flat_load_b32 v181, v[187:188]
	flat_load_b32 v189, v[178:179] offset:20
	s_waitcnt vmcnt(1) lgkmcnt(1)
	flat_store_b32 v[178:179], v181 offset:20
	s_waitcnt vmcnt(0) lgkmcnt(1)
	flat_store_b32 v[187:188], v189
.LBB84_119:
	s_or_b32 exec_lo, exec_lo, s6
	v_mov_b32_e32 v188, v180
	v_mov_b32_e32 v187, v180
.LBB84_120:
	s_or_b32 exec_lo, exec_lo, s3
.LBB84_121:
	s_and_not1_saveexec_b32 s2, s2
	s_cbranch_execz .LBB84_123
; %bb.122:
	v_mov_b32_e32 v188, 5
	ds_store_2addr_b64 v182, v[144:145], v[146:147] offset0:12 offset1:13
	ds_store_2addr_b64 v182, v[140:141], v[142:143] offset0:14 offset1:15
	;; [unrolled: 1-line block ×37, first 2 shown]
.LBB84_123:
	s_or_b32 exec_lo, exec_lo, s2
	s_delay_alu instid0(SALU_CYCLE_1)
	s_mov_b32 s2, exec_lo
	s_waitcnt lgkmcnt(0)
	s_waitcnt_vscnt null, 0x0
	s_barrier
	buffer_gl0_inv
	v_cmpx_lt_i32_e32 5, v188
	s_cbranch_execz .LBB84_125
; %bb.124:
	v_mul_f64 v[180:181], v[174:175], v[150:151]
	v_mul_f64 v[150:151], v[172:173], v[150:151]
	s_delay_alu instid0(VALU_DEP_2) | instskip(NEXT) | instid1(VALU_DEP_2)
	v_fma_f64 v[180:181], v[172:173], v[148:149], -v[180:181]
	v_fma_f64 v[150:151], v[174:175], v[148:149], v[150:151]
	ds_load_2addr_b64 v[172:175], v182 offset0:12 offset1:13
	s_waitcnt lgkmcnt(0)
	v_mul_f64 v[148:149], v[174:175], v[150:151]
	s_delay_alu instid0(VALU_DEP_1) | instskip(SKIP_1) | instid1(VALU_DEP_2)
	v_fma_f64 v[148:149], v[172:173], v[180:181], -v[148:149]
	v_mul_f64 v[172:173], v[172:173], v[150:151]
	v_add_f64 v[144:145], v[144:145], -v[148:149]
	s_delay_alu instid0(VALU_DEP_2) | instskip(NEXT) | instid1(VALU_DEP_1)
	v_fma_f64 v[172:173], v[174:175], v[180:181], v[172:173]
	v_add_f64 v[146:147], v[146:147], -v[172:173]
	ds_load_2addr_b64 v[172:175], v182 offset0:14 offset1:15
	s_waitcnt lgkmcnt(0)
	v_mul_f64 v[148:149], v[174:175], v[150:151]
	s_delay_alu instid0(VALU_DEP_1) | instskip(SKIP_1) | instid1(VALU_DEP_2)
	v_fma_f64 v[148:149], v[172:173], v[180:181], -v[148:149]
	v_mul_f64 v[172:173], v[172:173], v[150:151]
	v_add_f64 v[140:141], v[140:141], -v[148:149]
	s_delay_alu instid0(VALU_DEP_2) | instskip(NEXT) | instid1(VALU_DEP_1)
	v_fma_f64 v[172:173], v[174:175], v[180:181], v[172:173]
	v_add_f64 v[142:143], v[142:143], -v[172:173]
	;; [unrolled: 10-line block ×36, first 2 shown]
	ds_load_2addr_b64 v[172:175], v182 offset0:84 offset1:85
	s_waitcnt lgkmcnt(0)
	v_mul_f64 v[148:149], v[174:175], v[150:151]
	s_delay_alu instid0(VALU_DEP_1) | instskip(SKIP_1) | instid1(VALU_DEP_2)
	v_fma_f64 v[148:149], v[172:173], v[180:181], -v[148:149]
	v_mul_f64 v[172:173], v[172:173], v[150:151]
	v_add_f64 v[0:1], v[0:1], -v[148:149]
	s_delay_alu instid0(VALU_DEP_2) | instskip(SKIP_1) | instid1(VALU_DEP_2)
	v_fma_f64 v[172:173], v[174:175], v[180:181], v[172:173]
	v_dual_mov_b32 v148, v180 :: v_dual_mov_b32 v149, v181
	v_add_f64 v[2:3], v[2:3], -v[172:173]
.LBB84_125:
	s_or_b32 exec_lo, exec_lo, s2
	v_lshl_add_u32 v172, v188, 4, v182
	s_barrier
	buffer_gl0_inv
	v_mov_b32_e32 v180, 6
	ds_store_2addr_b64 v172, v[144:145], v[146:147] offset1:1
	s_waitcnt lgkmcnt(0)
	s_barrier
	buffer_gl0_inv
	ds_load_2addr_b64 v[172:175], v182 offset0:12 offset1:13
	s_cmp_lt_i32 s5, 8
	s_cbranch_scc1 .LBB84_128
; %bb.126:
	v_add3_u32 v181, v186, 0, 0x70
	v_mov_b32_e32 v180, 6
	s_mov_b32 s6, 7
	s_set_inst_prefetch_distance 0x1
	.p2align	6
.LBB84_127:                             ; =>This Inner Loop Header: Depth=1
	ds_load_2addr_b64 v[189:192], v181 offset1:1
	s_waitcnt lgkmcnt(1)
	v_cmp_gt_f64_e32 vcc_lo, 0, v[172:173]
	v_xor_b32_e32 v193, 0x80000000, v173
	v_cmp_gt_f64_e64 s2, 0, v[174:175]
	v_xor_b32_e32 v195, 0x80000000, v175
	v_add_nc_u32_e32 v181, 16, v181
	s_waitcnt lgkmcnt(0)
	v_cmp_gt_f64_e64 s3, 0, v[189:190]
	v_mov_b32_e32 v197, v189
	v_dual_mov_b32 v199, v191 :: v_dual_cndmask_b32 v194, v173, v193
	v_xor_b32_e32 v193, 0x80000000, v190
	v_cndmask_b32_e64 v196, v175, v195, s2
	v_xor_b32_e32 v195, 0x80000000, v192
	s_delay_alu instid0(VALU_DEP_3) | instskip(SKIP_2) | instid1(VALU_DEP_2)
	v_cndmask_b32_e64 v198, v190, v193, s3
	v_cmp_gt_f64_e64 s3, 0, v[191:192]
	v_cndmask_b32_e32 v193, v172, v172, vcc_lo
	v_cndmask_b32_e64 v200, v192, v195, s3
	v_cndmask_b32_e64 v195, v174, v174, s2
	s_delay_alu instid0(VALU_DEP_2) | instskip(NEXT) | instid1(VALU_DEP_2)
	v_add_f64 v[197:198], v[197:198], v[199:200]
	v_add_f64 v[193:194], v[193:194], v[195:196]
	s_delay_alu instid0(VALU_DEP_1) | instskip(SKIP_4) | instid1(SALU_CYCLE_1)
	v_cmp_lt_f64_e32 vcc_lo, v[193:194], v[197:198]
	v_dual_cndmask_b32 v174, v174, v191 :: v_dual_cndmask_b32 v173, v173, v190
	v_dual_cndmask_b32 v172, v172, v189 :: v_dual_cndmask_b32 v175, v175, v192
	v_cndmask_b32_e64 v180, v180, s6, vcc_lo
	s_add_i32 s6, s6, 1
	s_cmp_lg_u32 s5, s6
	s_cbranch_scc1 .LBB84_127
.LBB84_128:
	s_set_inst_prefetch_distance 0x2
	s_waitcnt lgkmcnt(0)
	v_cmp_eq_f64_e32 vcc_lo, 0, v[172:173]
	v_cmp_eq_f64_e64 s2, 0, v[174:175]
	s_delay_alu instid0(VALU_DEP_1) | instskip(NEXT) | instid1(SALU_CYCLE_1)
	s_and_b32 s2, vcc_lo, s2
	s_and_saveexec_b32 s3, s2
	s_delay_alu instid0(SALU_CYCLE_1)
	s_xor_b32 s2, exec_lo, s3
; %bb.129:
	v_cmp_ne_u32_e32 vcc_lo, 0, v185
	v_cndmask_b32_e32 v185, 7, v185, vcc_lo
; %bb.130:
	s_and_not1_saveexec_b32 s3, s2
	s_cbranch_execz .LBB84_136
; %bb.131:
	v_cmp_gt_f64_e32 vcc_lo, 0, v[172:173]
	v_cmp_gt_f64_e64 s2, 0, v[174:175]
	v_xor_b32_e32 v181, 0x80000000, v173
	v_xor_b32_e32 v189, 0x80000000, v175
	s_delay_alu instid0(VALU_DEP_2) | instskip(NEXT) | instid1(VALU_DEP_2)
	v_cndmask_b32_e32 v190, v173, v181, vcc_lo
	v_cndmask_b32_e64 v192, v175, v189, s2
	v_cndmask_b32_e32 v189, v172, v172, vcc_lo
	v_cndmask_b32_e64 v191, v174, v174, s2
	s_mov_b32 s2, exec_lo
	s_delay_alu instid0(VALU_DEP_1)
	v_cmpx_ngt_f64_e32 v[189:190], v[191:192]
	s_xor_b32 s2, exec_lo, s2
	s_cbranch_execz .LBB84_133
; %bb.132:
	v_div_scale_f64 v[189:190], null, v[174:175], v[174:175], v[172:173]
	v_div_scale_f64 v[195:196], vcc_lo, v[172:173], v[174:175], v[172:173]
	s_delay_alu instid0(VALU_DEP_2) | instskip(SKIP_2) | instid1(VALU_DEP_1)
	v_rcp_f64_e32 v[191:192], v[189:190]
	s_waitcnt_depctr 0xfff
	v_fma_f64 v[193:194], -v[189:190], v[191:192], 1.0
	v_fma_f64 v[191:192], v[191:192], v[193:194], v[191:192]
	s_delay_alu instid0(VALU_DEP_1) | instskip(NEXT) | instid1(VALU_DEP_1)
	v_fma_f64 v[193:194], -v[189:190], v[191:192], 1.0
	v_fma_f64 v[191:192], v[191:192], v[193:194], v[191:192]
	s_delay_alu instid0(VALU_DEP_1) | instskip(NEXT) | instid1(VALU_DEP_1)
	v_mul_f64 v[193:194], v[195:196], v[191:192]
	v_fma_f64 v[189:190], -v[189:190], v[193:194], v[195:196]
	s_delay_alu instid0(VALU_DEP_1) | instskip(NEXT) | instid1(VALU_DEP_1)
	v_div_fmas_f64 v[189:190], v[189:190], v[191:192], v[193:194]
	v_div_fixup_f64 v[189:190], v[189:190], v[174:175], v[172:173]
	s_delay_alu instid0(VALU_DEP_1) | instskip(NEXT) | instid1(VALU_DEP_1)
	v_fma_f64 v[172:173], v[172:173], v[189:190], v[174:175]
	v_div_scale_f64 v[174:175], null, v[172:173], v[172:173], 1.0
	s_delay_alu instid0(VALU_DEP_1) | instskip(SKIP_2) | instid1(VALU_DEP_1)
	v_rcp_f64_e32 v[191:192], v[174:175]
	s_waitcnt_depctr 0xfff
	v_fma_f64 v[193:194], -v[174:175], v[191:192], 1.0
	v_fma_f64 v[191:192], v[191:192], v[193:194], v[191:192]
	s_delay_alu instid0(VALU_DEP_1) | instskip(NEXT) | instid1(VALU_DEP_1)
	v_fma_f64 v[193:194], -v[174:175], v[191:192], 1.0
	v_fma_f64 v[191:192], v[191:192], v[193:194], v[191:192]
	v_div_scale_f64 v[193:194], vcc_lo, 1.0, v[172:173], 1.0
	s_delay_alu instid0(VALU_DEP_1) | instskip(NEXT) | instid1(VALU_DEP_1)
	v_mul_f64 v[195:196], v[193:194], v[191:192]
	v_fma_f64 v[174:175], -v[174:175], v[195:196], v[193:194]
	s_delay_alu instid0(VALU_DEP_1) | instskip(NEXT) | instid1(VALU_DEP_1)
	v_div_fmas_f64 v[174:175], v[174:175], v[191:192], v[195:196]
	v_div_fixup_f64 v[174:175], v[174:175], v[172:173], 1.0
	s_delay_alu instid0(VALU_DEP_1)
	v_mul_f64 v[172:173], v[189:190], v[174:175]
	v_xor_b32_e32 v175, 0x80000000, v175
.LBB84_133:
	s_and_not1_saveexec_b32 s2, s2
	s_cbranch_execz .LBB84_135
; %bb.134:
	s_delay_alu instid0(VALU_DEP_1) | instskip(SKIP_1) | instid1(VALU_DEP_2)
	v_div_scale_f64 v[189:190], null, v[172:173], v[172:173], v[174:175]
	v_div_scale_f64 v[195:196], vcc_lo, v[174:175], v[172:173], v[174:175]
	v_rcp_f64_e32 v[191:192], v[189:190]
	s_waitcnt_depctr 0xfff
	v_fma_f64 v[193:194], -v[189:190], v[191:192], 1.0
	s_delay_alu instid0(VALU_DEP_1) | instskip(NEXT) | instid1(VALU_DEP_1)
	v_fma_f64 v[191:192], v[191:192], v[193:194], v[191:192]
	v_fma_f64 v[193:194], -v[189:190], v[191:192], 1.0
	s_delay_alu instid0(VALU_DEP_1) | instskip(NEXT) | instid1(VALU_DEP_1)
	v_fma_f64 v[191:192], v[191:192], v[193:194], v[191:192]
	v_mul_f64 v[193:194], v[195:196], v[191:192]
	s_delay_alu instid0(VALU_DEP_1) | instskip(NEXT) | instid1(VALU_DEP_1)
	v_fma_f64 v[189:190], -v[189:190], v[193:194], v[195:196]
	v_div_fmas_f64 v[189:190], v[189:190], v[191:192], v[193:194]
	s_delay_alu instid0(VALU_DEP_1) | instskip(NEXT) | instid1(VALU_DEP_1)
	v_div_fixup_f64 v[189:190], v[189:190], v[172:173], v[174:175]
	v_fma_f64 v[172:173], v[174:175], v[189:190], v[172:173]
	s_delay_alu instid0(VALU_DEP_1) | instskip(NEXT) | instid1(VALU_DEP_1)
	v_div_scale_f64 v[174:175], null, v[172:173], v[172:173], 1.0
	v_rcp_f64_e32 v[191:192], v[174:175]
	s_waitcnt_depctr 0xfff
	v_fma_f64 v[193:194], -v[174:175], v[191:192], 1.0
	s_delay_alu instid0(VALU_DEP_1) | instskip(NEXT) | instid1(VALU_DEP_1)
	v_fma_f64 v[191:192], v[191:192], v[193:194], v[191:192]
	v_fma_f64 v[193:194], -v[174:175], v[191:192], 1.0
	s_delay_alu instid0(VALU_DEP_1) | instskip(SKIP_1) | instid1(VALU_DEP_1)
	v_fma_f64 v[191:192], v[191:192], v[193:194], v[191:192]
	v_div_scale_f64 v[193:194], vcc_lo, 1.0, v[172:173], 1.0
	v_mul_f64 v[195:196], v[193:194], v[191:192]
	s_delay_alu instid0(VALU_DEP_1) | instskip(NEXT) | instid1(VALU_DEP_1)
	v_fma_f64 v[174:175], -v[174:175], v[195:196], v[193:194]
	v_div_fmas_f64 v[174:175], v[174:175], v[191:192], v[195:196]
	s_delay_alu instid0(VALU_DEP_1) | instskip(NEXT) | instid1(VALU_DEP_1)
	v_div_fixup_f64 v[172:173], v[174:175], v[172:173], 1.0
	v_mul_f64 v[174:175], v[189:190], -v[172:173]
.LBB84_135:
	s_or_b32 exec_lo, exec_lo, s2
.LBB84_136:
	s_delay_alu instid0(SALU_CYCLE_1) | instskip(NEXT) | instid1(SALU_CYCLE_1)
	s_or_b32 exec_lo, exec_lo, s3
	s_mov_b32 s2, exec_lo
	v_cmpx_ne_u32_e64 v188, v180
	s_xor_b32 s2, exec_lo, s2
	s_cbranch_execz .LBB84_142
; %bb.137:
	s_mov_b32 s3, exec_lo
	v_cmpx_eq_u32_e32 6, v188
	s_cbranch_execz .LBB84_141
; %bb.138:
	v_cmp_ne_u32_e32 vcc_lo, 6, v180
	s_xor_b32 s6, s4, -1
	s_delay_alu instid0(SALU_CYCLE_1) | instskip(NEXT) | instid1(SALU_CYCLE_1)
	s_and_b32 s7, s6, vcc_lo
	s_and_saveexec_b32 s6, s7
	s_cbranch_execz .LBB84_140
; %bb.139:
	v_ashrrev_i32_e32 v181, 31, v180
	s_delay_alu instid0(VALU_DEP_1) | instskip(NEXT) | instid1(VALU_DEP_1)
	v_lshlrev_b64 v[187:188], 2, v[180:181]
	v_add_co_u32 v187, vcc_lo, v178, v187
	s_delay_alu instid0(VALU_DEP_2)
	v_add_co_ci_u32_e32 v188, vcc_lo, v179, v188, vcc_lo
	s_clause 0x1
	flat_load_b32 v181, v[187:188]
	flat_load_b32 v189, v[178:179] offset:24
	s_waitcnt vmcnt(1) lgkmcnt(1)
	flat_store_b32 v[178:179], v181 offset:24
	s_waitcnt vmcnt(0) lgkmcnt(1)
	flat_store_b32 v[187:188], v189
.LBB84_140:
	s_or_b32 exec_lo, exec_lo, s6
	v_mov_b32_e32 v188, v180
	v_mov_b32_e32 v187, v180
.LBB84_141:
	s_or_b32 exec_lo, exec_lo, s3
.LBB84_142:
	s_and_not1_saveexec_b32 s2, s2
	s_cbranch_execz .LBB84_144
; %bb.143:
	v_mov_b32_e32 v188, 6
	ds_store_2addr_b64 v182, v[140:141], v[142:143] offset0:14 offset1:15
	ds_store_2addr_b64 v182, v[136:137], v[138:139] offset0:16 offset1:17
	;; [unrolled: 1-line block ×36, first 2 shown]
.LBB84_144:
	s_or_b32 exec_lo, exec_lo, s2
	s_delay_alu instid0(SALU_CYCLE_1)
	s_mov_b32 s2, exec_lo
	s_waitcnt lgkmcnt(0)
	s_waitcnt_vscnt null, 0x0
	s_barrier
	buffer_gl0_inv
	v_cmpx_lt_i32_e32 6, v188
	s_cbranch_execz .LBB84_146
; %bb.145:
	v_mul_f64 v[180:181], v[174:175], v[146:147]
	v_mul_f64 v[146:147], v[172:173], v[146:147]
	s_delay_alu instid0(VALU_DEP_2) | instskip(NEXT) | instid1(VALU_DEP_2)
	v_fma_f64 v[180:181], v[172:173], v[144:145], -v[180:181]
	v_fma_f64 v[146:147], v[174:175], v[144:145], v[146:147]
	ds_load_2addr_b64 v[172:175], v182 offset0:14 offset1:15
	s_waitcnt lgkmcnt(0)
	v_mul_f64 v[144:145], v[174:175], v[146:147]
	s_delay_alu instid0(VALU_DEP_1) | instskip(SKIP_1) | instid1(VALU_DEP_2)
	v_fma_f64 v[144:145], v[172:173], v[180:181], -v[144:145]
	v_mul_f64 v[172:173], v[172:173], v[146:147]
	v_add_f64 v[140:141], v[140:141], -v[144:145]
	s_delay_alu instid0(VALU_DEP_2) | instskip(NEXT) | instid1(VALU_DEP_1)
	v_fma_f64 v[172:173], v[174:175], v[180:181], v[172:173]
	v_add_f64 v[142:143], v[142:143], -v[172:173]
	ds_load_2addr_b64 v[172:175], v182 offset0:16 offset1:17
	s_waitcnt lgkmcnt(0)
	v_mul_f64 v[144:145], v[174:175], v[146:147]
	s_delay_alu instid0(VALU_DEP_1) | instskip(SKIP_1) | instid1(VALU_DEP_2)
	v_fma_f64 v[144:145], v[172:173], v[180:181], -v[144:145]
	v_mul_f64 v[172:173], v[172:173], v[146:147]
	v_add_f64 v[136:137], v[136:137], -v[144:145]
	s_delay_alu instid0(VALU_DEP_2) | instskip(NEXT) | instid1(VALU_DEP_1)
	v_fma_f64 v[172:173], v[174:175], v[180:181], v[172:173]
	v_add_f64 v[138:139], v[138:139], -v[172:173]
	;; [unrolled: 10-line block ×35, first 2 shown]
	ds_load_2addr_b64 v[172:175], v182 offset0:84 offset1:85
	s_waitcnt lgkmcnt(0)
	v_mul_f64 v[144:145], v[174:175], v[146:147]
	s_delay_alu instid0(VALU_DEP_1) | instskip(SKIP_1) | instid1(VALU_DEP_2)
	v_fma_f64 v[144:145], v[172:173], v[180:181], -v[144:145]
	v_mul_f64 v[172:173], v[172:173], v[146:147]
	v_add_f64 v[0:1], v[0:1], -v[144:145]
	s_delay_alu instid0(VALU_DEP_2) | instskip(SKIP_1) | instid1(VALU_DEP_2)
	v_fma_f64 v[172:173], v[174:175], v[180:181], v[172:173]
	v_dual_mov_b32 v144, v180 :: v_dual_mov_b32 v145, v181
	v_add_f64 v[2:3], v[2:3], -v[172:173]
.LBB84_146:
	s_or_b32 exec_lo, exec_lo, s2
	v_lshl_add_u32 v172, v188, 4, v182
	s_barrier
	buffer_gl0_inv
	v_mov_b32_e32 v180, 7
	ds_store_2addr_b64 v172, v[140:141], v[142:143] offset1:1
	s_waitcnt lgkmcnt(0)
	s_barrier
	buffer_gl0_inv
	ds_load_2addr_b64 v[172:175], v182 offset0:14 offset1:15
	s_cmp_lt_i32 s5, 9
	s_cbranch_scc1 .LBB84_149
; %bb.147:
	v_add3_u32 v181, v186, 0, 0x80
	v_mov_b32_e32 v180, 7
	s_mov_b32 s6, 8
	s_set_inst_prefetch_distance 0x1
	.p2align	6
.LBB84_148:                             ; =>This Inner Loop Header: Depth=1
	ds_load_2addr_b64 v[189:192], v181 offset1:1
	s_waitcnt lgkmcnt(1)
	v_cmp_gt_f64_e32 vcc_lo, 0, v[172:173]
	v_xor_b32_e32 v193, 0x80000000, v173
	v_cmp_gt_f64_e64 s2, 0, v[174:175]
	v_xor_b32_e32 v195, 0x80000000, v175
	v_add_nc_u32_e32 v181, 16, v181
	s_waitcnt lgkmcnt(0)
	v_cmp_gt_f64_e64 s3, 0, v[189:190]
	v_mov_b32_e32 v197, v189
	v_dual_mov_b32 v199, v191 :: v_dual_cndmask_b32 v194, v173, v193
	v_xor_b32_e32 v193, 0x80000000, v190
	v_cndmask_b32_e64 v196, v175, v195, s2
	v_xor_b32_e32 v195, 0x80000000, v192
	s_delay_alu instid0(VALU_DEP_3) | instskip(SKIP_2) | instid1(VALU_DEP_2)
	v_cndmask_b32_e64 v198, v190, v193, s3
	v_cmp_gt_f64_e64 s3, 0, v[191:192]
	v_cndmask_b32_e32 v193, v172, v172, vcc_lo
	v_cndmask_b32_e64 v200, v192, v195, s3
	v_cndmask_b32_e64 v195, v174, v174, s2
	s_delay_alu instid0(VALU_DEP_2) | instskip(NEXT) | instid1(VALU_DEP_2)
	v_add_f64 v[197:198], v[197:198], v[199:200]
	v_add_f64 v[193:194], v[193:194], v[195:196]
	s_delay_alu instid0(VALU_DEP_1) | instskip(SKIP_4) | instid1(SALU_CYCLE_1)
	v_cmp_lt_f64_e32 vcc_lo, v[193:194], v[197:198]
	v_dual_cndmask_b32 v174, v174, v191 :: v_dual_cndmask_b32 v173, v173, v190
	v_dual_cndmask_b32 v172, v172, v189 :: v_dual_cndmask_b32 v175, v175, v192
	v_cndmask_b32_e64 v180, v180, s6, vcc_lo
	s_add_i32 s6, s6, 1
	s_cmp_lg_u32 s5, s6
	s_cbranch_scc1 .LBB84_148
.LBB84_149:
	s_set_inst_prefetch_distance 0x2
	s_waitcnt lgkmcnt(0)
	v_cmp_eq_f64_e32 vcc_lo, 0, v[172:173]
	v_cmp_eq_f64_e64 s2, 0, v[174:175]
	s_delay_alu instid0(VALU_DEP_1) | instskip(NEXT) | instid1(SALU_CYCLE_1)
	s_and_b32 s2, vcc_lo, s2
	s_and_saveexec_b32 s3, s2
	s_delay_alu instid0(SALU_CYCLE_1)
	s_xor_b32 s2, exec_lo, s3
; %bb.150:
	v_cmp_ne_u32_e32 vcc_lo, 0, v185
	v_cndmask_b32_e32 v185, 8, v185, vcc_lo
; %bb.151:
	s_and_not1_saveexec_b32 s3, s2
	s_cbranch_execz .LBB84_157
; %bb.152:
	v_cmp_gt_f64_e32 vcc_lo, 0, v[172:173]
	v_cmp_gt_f64_e64 s2, 0, v[174:175]
	v_xor_b32_e32 v181, 0x80000000, v173
	v_xor_b32_e32 v189, 0x80000000, v175
	s_delay_alu instid0(VALU_DEP_2) | instskip(NEXT) | instid1(VALU_DEP_2)
	v_cndmask_b32_e32 v190, v173, v181, vcc_lo
	v_cndmask_b32_e64 v192, v175, v189, s2
	v_cndmask_b32_e32 v189, v172, v172, vcc_lo
	v_cndmask_b32_e64 v191, v174, v174, s2
	s_mov_b32 s2, exec_lo
	s_delay_alu instid0(VALU_DEP_1)
	v_cmpx_ngt_f64_e32 v[189:190], v[191:192]
	s_xor_b32 s2, exec_lo, s2
	s_cbranch_execz .LBB84_154
; %bb.153:
	v_div_scale_f64 v[189:190], null, v[174:175], v[174:175], v[172:173]
	v_div_scale_f64 v[195:196], vcc_lo, v[172:173], v[174:175], v[172:173]
	s_delay_alu instid0(VALU_DEP_2) | instskip(SKIP_2) | instid1(VALU_DEP_1)
	v_rcp_f64_e32 v[191:192], v[189:190]
	s_waitcnt_depctr 0xfff
	v_fma_f64 v[193:194], -v[189:190], v[191:192], 1.0
	v_fma_f64 v[191:192], v[191:192], v[193:194], v[191:192]
	s_delay_alu instid0(VALU_DEP_1) | instskip(NEXT) | instid1(VALU_DEP_1)
	v_fma_f64 v[193:194], -v[189:190], v[191:192], 1.0
	v_fma_f64 v[191:192], v[191:192], v[193:194], v[191:192]
	s_delay_alu instid0(VALU_DEP_1) | instskip(NEXT) | instid1(VALU_DEP_1)
	v_mul_f64 v[193:194], v[195:196], v[191:192]
	v_fma_f64 v[189:190], -v[189:190], v[193:194], v[195:196]
	s_delay_alu instid0(VALU_DEP_1) | instskip(NEXT) | instid1(VALU_DEP_1)
	v_div_fmas_f64 v[189:190], v[189:190], v[191:192], v[193:194]
	v_div_fixup_f64 v[189:190], v[189:190], v[174:175], v[172:173]
	s_delay_alu instid0(VALU_DEP_1) | instskip(NEXT) | instid1(VALU_DEP_1)
	v_fma_f64 v[172:173], v[172:173], v[189:190], v[174:175]
	v_div_scale_f64 v[174:175], null, v[172:173], v[172:173], 1.0
	s_delay_alu instid0(VALU_DEP_1) | instskip(SKIP_2) | instid1(VALU_DEP_1)
	v_rcp_f64_e32 v[191:192], v[174:175]
	s_waitcnt_depctr 0xfff
	v_fma_f64 v[193:194], -v[174:175], v[191:192], 1.0
	v_fma_f64 v[191:192], v[191:192], v[193:194], v[191:192]
	s_delay_alu instid0(VALU_DEP_1) | instskip(NEXT) | instid1(VALU_DEP_1)
	v_fma_f64 v[193:194], -v[174:175], v[191:192], 1.0
	v_fma_f64 v[191:192], v[191:192], v[193:194], v[191:192]
	v_div_scale_f64 v[193:194], vcc_lo, 1.0, v[172:173], 1.0
	s_delay_alu instid0(VALU_DEP_1) | instskip(NEXT) | instid1(VALU_DEP_1)
	v_mul_f64 v[195:196], v[193:194], v[191:192]
	v_fma_f64 v[174:175], -v[174:175], v[195:196], v[193:194]
	s_delay_alu instid0(VALU_DEP_1) | instskip(NEXT) | instid1(VALU_DEP_1)
	v_div_fmas_f64 v[174:175], v[174:175], v[191:192], v[195:196]
	v_div_fixup_f64 v[174:175], v[174:175], v[172:173], 1.0
	s_delay_alu instid0(VALU_DEP_1)
	v_mul_f64 v[172:173], v[189:190], v[174:175]
	v_xor_b32_e32 v175, 0x80000000, v175
.LBB84_154:
	s_and_not1_saveexec_b32 s2, s2
	s_cbranch_execz .LBB84_156
; %bb.155:
	s_delay_alu instid0(VALU_DEP_1) | instskip(SKIP_1) | instid1(VALU_DEP_2)
	v_div_scale_f64 v[189:190], null, v[172:173], v[172:173], v[174:175]
	v_div_scale_f64 v[195:196], vcc_lo, v[174:175], v[172:173], v[174:175]
	v_rcp_f64_e32 v[191:192], v[189:190]
	s_waitcnt_depctr 0xfff
	v_fma_f64 v[193:194], -v[189:190], v[191:192], 1.0
	s_delay_alu instid0(VALU_DEP_1) | instskip(NEXT) | instid1(VALU_DEP_1)
	v_fma_f64 v[191:192], v[191:192], v[193:194], v[191:192]
	v_fma_f64 v[193:194], -v[189:190], v[191:192], 1.0
	s_delay_alu instid0(VALU_DEP_1) | instskip(NEXT) | instid1(VALU_DEP_1)
	v_fma_f64 v[191:192], v[191:192], v[193:194], v[191:192]
	v_mul_f64 v[193:194], v[195:196], v[191:192]
	s_delay_alu instid0(VALU_DEP_1) | instskip(NEXT) | instid1(VALU_DEP_1)
	v_fma_f64 v[189:190], -v[189:190], v[193:194], v[195:196]
	v_div_fmas_f64 v[189:190], v[189:190], v[191:192], v[193:194]
	s_delay_alu instid0(VALU_DEP_1) | instskip(NEXT) | instid1(VALU_DEP_1)
	v_div_fixup_f64 v[189:190], v[189:190], v[172:173], v[174:175]
	v_fma_f64 v[172:173], v[174:175], v[189:190], v[172:173]
	s_delay_alu instid0(VALU_DEP_1) | instskip(NEXT) | instid1(VALU_DEP_1)
	v_div_scale_f64 v[174:175], null, v[172:173], v[172:173], 1.0
	v_rcp_f64_e32 v[191:192], v[174:175]
	s_waitcnt_depctr 0xfff
	v_fma_f64 v[193:194], -v[174:175], v[191:192], 1.0
	s_delay_alu instid0(VALU_DEP_1) | instskip(NEXT) | instid1(VALU_DEP_1)
	v_fma_f64 v[191:192], v[191:192], v[193:194], v[191:192]
	v_fma_f64 v[193:194], -v[174:175], v[191:192], 1.0
	s_delay_alu instid0(VALU_DEP_1) | instskip(SKIP_1) | instid1(VALU_DEP_1)
	v_fma_f64 v[191:192], v[191:192], v[193:194], v[191:192]
	v_div_scale_f64 v[193:194], vcc_lo, 1.0, v[172:173], 1.0
	v_mul_f64 v[195:196], v[193:194], v[191:192]
	s_delay_alu instid0(VALU_DEP_1) | instskip(NEXT) | instid1(VALU_DEP_1)
	v_fma_f64 v[174:175], -v[174:175], v[195:196], v[193:194]
	v_div_fmas_f64 v[174:175], v[174:175], v[191:192], v[195:196]
	s_delay_alu instid0(VALU_DEP_1) | instskip(NEXT) | instid1(VALU_DEP_1)
	v_div_fixup_f64 v[172:173], v[174:175], v[172:173], 1.0
	v_mul_f64 v[174:175], v[189:190], -v[172:173]
.LBB84_156:
	s_or_b32 exec_lo, exec_lo, s2
.LBB84_157:
	s_delay_alu instid0(SALU_CYCLE_1) | instskip(NEXT) | instid1(SALU_CYCLE_1)
	s_or_b32 exec_lo, exec_lo, s3
	s_mov_b32 s2, exec_lo
	v_cmpx_ne_u32_e64 v188, v180
	s_xor_b32 s2, exec_lo, s2
	s_cbranch_execz .LBB84_163
; %bb.158:
	s_mov_b32 s3, exec_lo
	v_cmpx_eq_u32_e32 7, v188
	s_cbranch_execz .LBB84_162
; %bb.159:
	v_cmp_ne_u32_e32 vcc_lo, 7, v180
	s_xor_b32 s6, s4, -1
	s_delay_alu instid0(SALU_CYCLE_1) | instskip(NEXT) | instid1(SALU_CYCLE_1)
	s_and_b32 s7, s6, vcc_lo
	s_and_saveexec_b32 s6, s7
	s_cbranch_execz .LBB84_161
; %bb.160:
	v_ashrrev_i32_e32 v181, 31, v180
	s_delay_alu instid0(VALU_DEP_1) | instskip(NEXT) | instid1(VALU_DEP_1)
	v_lshlrev_b64 v[187:188], 2, v[180:181]
	v_add_co_u32 v187, vcc_lo, v178, v187
	s_delay_alu instid0(VALU_DEP_2)
	v_add_co_ci_u32_e32 v188, vcc_lo, v179, v188, vcc_lo
	s_clause 0x1
	flat_load_b32 v181, v[187:188]
	flat_load_b32 v189, v[178:179] offset:28
	s_waitcnt vmcnt(1) lgkmcnt(1)
	flat_store_b32 v[178:179], v181 offset:28
	s_waitcnt vmcnt(0) lgkmcnt(1)
	flat_store_b32 v[187:188], v189
.LBB84_161:
	s_or_b32 exec_lo, exec_lo, s6
	v_mov_b32_e32 v188, v180
	v_mov_b32_e32 v187, v180
.LBB84_162:
	s_or_b32 exec_lo, exec_lo, s3
.LBB84_163:
	s_and_not1_saveexec_b32 s2, s2
	s_cbranch_execz .LBB84_165
; %bb.164:
	v_mov_b32_e32 v188, 7
	ds_store_2addr_b64 v182, v[136:137], v[138:139] offset0:16 offset1:17
	ds_store_2addr_b64 v182, v[132:133], v[134:135] offset0:18 offset1:19
	;; [unrolled: 1-line block ×35, first 2 shown]
.LBB84_165:
	s_or_b32 exec_lo, exec_lo, s2
	s_delay_alu instid0(SALU_CYCLE_1)
	s_mov_b32 s2, exec_lo
	s_waitcnt lgkmcnt(0)
	s_waitcnt_vscnt null, 0x0
	s_barrier
	buffer_gl0_inv
	v_cmpx_lt_i32_e32 7, v188
	s_cbranch_execz .LBB84_167
; %bb.166:
	v_mul_f64 v[180:181], v[174:175], v[142:143]
	v_mul_f64 v[142:143], v[172:173], v[142:143]
	s_delay_alu instid0(VALU_DEP_2) | instskip(NEXT) | instid1(VALU_DEP_2)
	v_fma_f64 v[180:181], v[172:173], v[140:141], -v[180:181]
	v_fma_f64 v[142:143], v[174:175], v[140:141], v[142:143]
	ds_load_2addr_b64 v[172:175], v182 offset0:16 offset1:17
	s_waitcnt lgkmcnt(0)
	v_mul_f64 v[140:141], v[174:175], v[142:143]
	s_delay_alu instid0(VALU_DEP_1) | instskip(SKIP_1) | instid1(VALU_DEP_2)
	v_fma_f64 v[140:141], v[172:173], v[180:181], -v[140:141]
	v_mul_f64 v[172:173], v[172:173], v[142:143]
	v_add_f64 v[136:137], v[136:137], -v[140:141]
	s_delay_alu instid0(VALU_DEP_2) | instskip(NEXT) | instid1(VALU_DEP_1)
	v_fma_f64 v[172:173], v[174:175], v[180:181], v[172:173]
	v_add_f64 v[138:139], v[138:139], -v[172:173]
	ds_load_2addr_b64 v[172:175], v182 offset0:18 offset1:19
	s_waitcnt lgkmcnt(0)
	v_mul_f64 v[140:141], v[174:175], v[142:143]
	s_delay_alu instid0(VALU_DEP_1) | instskip(SKIP_1) | instid1(VALU_DEP_2)
	v_fma_f64 v[140:141], v[172:173], v[180:181], -v[140:141]
	v_mul_f64 v[172:173], v[172:173], v[142:143]
	v_add_f64 v[132:133], v[132:133], -v[140:141]
	s_delay_alu instid0(VALU_DEP_2) | instskip(NEXT) | instid1(VALU_DEP_1)
	v_fma_f64 v[172:173], v[174:175], v[180:181], v[172:173]
	v_add_f64 v[134:135], v[134:135], -v[172:173]
	;; [unrolled: 10-line block ×34, first 2 shown]
	ds_load_2addr_b64 v[172:175], v182 offset0:84 offset1:85
	s_waitcnt lgkmcnt(0)
	v_mul_f64 v[140:141], v[174:175], v[142:143]
	s_delay_alu instid0(VALU_DEP_1) | instskip(SKIP_1) | instid1(VALU_DEP_2)
	v_fma_f64 v[140:141], v[172:173], v[180:181], -v[140:141]
	v_mul_f64 v[172:173], v[172:173], v[142:143]
	v_add_f64 v[0:1], v[0:1], -v[140:141]
	s_delay_alu instid0(VALU_DEP_2) | instskip(SKIP_1) | instid1(VALU_DEP_2)
	v_fma_f64 v[172:173], v[174:175], v[180:181], v[172:173]
	v_dual_mov_b32 v140, v180 :: v_dual_mov_b32 v141, v181
	v_add_f64 v[2:3], v[2:3], -v[172:173]
.LBB84_167:
	s_or_b32 exec_lo, exec_lo, s2
	v_lshl_add_u32 v172, v188, 4, v182
	s_barrier
	buffer_gl0_inv
	v_mov_b32_e32 v180, 8
	ds_store_2addr_b64 v172, v[136:137], v[138:139] offset1:1
	s_waitcnt lgkmcnt(0)
	s_barrier
	buffer_gl0_inv
	ds_load_2addr_b64 v[172:175], v182 offset0:16 offset1:17
	s_cmp_lt_i32 s5, 10
	s_cbranch_scc1 .LBB84_170
; %bb.168:
	v_add3_u32 v181, v186, 0, 0x90
	v_mov_b32_e32 v180, 8
	s_mov_b32 s6, 9
	s_set_inst_prefetch_distance 0x1
	.p2align	6
.LBB84_169:                             ; =>This Inner Loop Header: Depth=1
	ds_load_2addr_b64 v[189:192], v181 offset1:1
	s_waitcnt lgkmcnt(1)
	v_cmp_gt_f64_e32 vcc_lo, 0, v[172:173]
	v_xor_b32_e32 v193, 0x80000000, v173
	v_cmp_gt_f64_e64 s2, 0, v[174:175]
	v_xor_b32_e32 v195, 0x80000000, v175
	v_add_nc_u32_e32 v181, 16, v181
	s_waitcnt lgkmcnt(0)
	v_cmp_gt_f64_e64 s3, 0, v[189:190]
	v_mov_b32_e32 v197, v189
	v_dual_mov_b32 v199, v191 :: v_dual_cndmask_b32 v194, v173, v193
	v_xor_b32_e32 v193, 0x80000000, v190
	v_cndmask_b32_e64 v196, v175, v195, s2
	v_xor_b32_e32 v195, 0x80000000, v192
	s_delay_alu instid0(VALU_DEP_3) | instskip(SKIP_2) | instid1(VALU_DEP_2)
	v_cndmask_b32_e64 v198, v190, v193, s3
	v_cmp_gt_f64_e64 s3, 0, v[191:192]
	v_cndmask_b32_e32 v193, v172, v172, vcc_lo
	v_cndmask_b32_e64 v200, v192, v195, s3
	v_cndmask_b32_e64 v195, v174, v174, s2
	s_delay_alu instid0(VALU_DEP_2) | instskip(NEXT) | instid1(VALU_DEP_2)
	v_add_f64 v[197:198], v[197:198], v[199:200]
	v_add_f64 v[193:194], v[193:194], v[195:196]
	s_delay_alu instid0(VALU_DEP_1) | instskip(SKIP_4) | instid1(SALU_CYCLE_1)
	v_cmp_lt_f64_e32 vcc_lo, v[193:194], v[197:198]
	v_dual_cndmask_b32 v174, v174, v191 :: v_dual_cndmask_b32 v173, v173, v190
	v_dual_cndmask_b32 v172, v172, v189 :: v_dual_cndmask_b32 v175, v175, v192
	v_cndmask_b32_e64 v180, v180, s6, vcc_lo
	s_add_i32 s6, s6, 1
	s_cmp_lg_u32 s5, s6
	s_cbranch_scc1 .LBB84_169
.LBB84_170:
	s_set_inst_prefetch_distance 0x2
	s_waitcnt lgkmcnt(0)
	v_cmp_eq_f64_e32 vcc_lo, 0, v[172:173]
	v_cmp_eq_f64_e64 s2, 0, v[174:175]
	s_delay_alu instid0(VALU_DEP_1) | instskip(NEXT) | instid1(SALU_CYCLE_1)
	s_and_b32 s2, vcc_lo, s2
	s_and_saveexec_b32 s3, s2
	s_delay_alu instid0(SALU_CYCLE_1)
	s_xor_b32 s2, exec_lo, s3
; %bb.171:
	v_cmp_ne_u32_e32 vcc_lo, 0, v185
	v_cndmask_b32_e32 v185, 9, v185, vcc_lo
; %bb.172:
	s_and_not1_saveexec_b32 s3, s2
	s_cbranch_execz .LBB84_178
; %bb.173:
	v_cmp_gt_f64_e32 vcc_lo, 0, v[172:173]
	v_cmp_gt_f64_e64 s2, 0, v[174:175]
	v_xor_b32_e32 v181, 0x80000000, v173
	v_xor_b32_e32 v189, 0x80000000, v175
	s_delay_alu instid0(VALU_DEP_2) | instskip(NEXT) | instid1(VALU_DEP_2)
	v_cndmask_b32_e32 v190, v173, v181, vcc_lo
	v_cndmask_b32_e64 v192, v175, v189, s2
	v_cndmask_b32_e32 v189, v172, v172, vcc_lo
	v_cndmask_b32_e64 v191, v174, v174, s2
	s_mov_b32 s2, exec_lo
	s_delay_alu instid0(VALU_DEP_1)
	v_cmpx_ngt_f64_e32 v[189:190], v[191:192]
	s_xor_b32 s2, exec_lo, s2
	s_cbranch_execz .LBB84_175
; %bb.174:
	v_div_scale_f64 v[189:190], null, v[174:175], v[174:175], v[172:173]
	v_div_scale_f64 v[195:196], vcc_lo, v[172:173], v[174:175], v[172:173]
	s_delay_alu instid0(VALU_DEP_2) | instskip(SKIP_2) | instid1(VALU_DEP_1)
	v_rcp_f64_e32 v[191:192], v[189:190]
	s_waitcnt_depctr 0xfff
	v_fma_f64 v[193:194], -v[189:190], v[191:192], 1.0
	v_fma_f64 v[191:192], v[191:192], v[193:194], v[191:192]
	s_delay_alu instid0(VALU_DEP_1) | instskip(NEXT) | instid1(VALU_DEP_1)
	v_fma_f64 v[193:194], -v[189:190], v[191:192], 1.0
	v_fma_f64 v[191:192], v[191:192], v[193:194], v[191:192]
	s_delay_alu instid0(VALU_DEP_1) | instskip(NEXT) | instid1(VALU_DEP_1)
	v_mul_f64 v[193:194], v[195:196], v[191:192]
	v_fma_f64 v[189:190], -v[189:190], v[193:194], v[195:196]
	s_delay_alu instid0(VALU_DEP_1) | instskip(NEXT) | instid1(VALU_DEP_1)
	v_div_fmas_f64 v[189:190], v[189:190], v[191:192], v[193:194]
	v_div_fixup_f64 v[189:190], v[189:190], v[174:175], v[172:173]
	s_delay_alu instid0(VALU_DEP_1) | instskip(NEXT) | instid1(VALU_DEP_1)
	v_fma_f64 v[172:173], v[172:173], v[189:190], v[174:175]
	v_div_scale_f64 v[174:175], null, v[172:173], v[172:173], 1.0
	s_delay_alu instid0(VALU_DEP_1) | instskip(SKIP_2) | instid1(VALU_DEP_1)
	v_rcp_f64_e32 v[191:192], v[174:175]
	s_waitcnt_depctr 0xfff
	v_fma_f64 v[193:194], -v[174:175], v[191:192], 1.0
	v_fma_f64 v[191:192], v[191:192], v[193:194], v[191:192]
	s_delay_alu instid0(VALU_DEP_1) | instskip(NEXT) | instid1(VALU_DEP_1)
	v_fma_f64 v[193:194], -v[174:175], v[191:192], 1.0
	v_fma_f64 v[191:192], v[191:192], v[193:194], v[191:192]
	v_div_scale_f64 v[193:194], vcc_lo, 1.0, v[172:173], 1.0
	s_delay_alu instid0(VALU_DEP_1) | instskip(NEXT) | instid1(VALU_DEP_1)
	v_mul_f64 v[195:196], v[193:194], v[191:192]
	v_fma_f64 v[174:175], -v[174:175], v[195:196], v[193:194]
	s_delay_alu instid0(VALU_DEP_1) | instskip(NEXT) | instid1(VALU_DEP_1)
	v_div_fmas_f64 v[174:175], v[174:175], v[191:192], v[195:196]
	v_div_fixup_f64 v[174:175], v[174:175], v[172:173], 1.0
	s_delay_alu instid0(VALU_DEP_1)
	v_mul_f64 v[172:173], v[189:190], v[174:175]
	v_xor_b32_e32 v175, 0x80000000, v175
.LBB84_175:
	s_and_not1_saveexec_b32 s2, s2
	s_cbranch_execz .LBB84_177
; %bb.176:
	s_delay_alu instid0(VALU_DEP_1) | instskip(SKIP_1) | instid1(VALU_DEP_2)
	v_div_scale_f64 v[189:190], null, v[172:173], v[172:173], v[174:175]
	v_div_scale_f64 v[195:196], vcc_lo, v[174:175], v[172:173], v[174:175]
	v_rcp_f64_e32 v[191:192], v[189:190]
	s_waitcnt_depctr 0xfff
	v_fma_f64 v[193:194], -v[189:190], v[191:192], 1.0
	s_delay_alu instid0(VALU_DEP_1) | instskip(NEXT) | instid1(VALU_DEP_1)
	v_fma_f64 v[191:192], v[191:192], v[193:194], v[191:192]
	v_fma_f64 v[193:194], -v[189:190], v[191:192], 1.0
	s_delay_alu instid0(VALU_DEP_1) | instskip(NEXT) | instid1(VALU_DEP_1)
	v_fma_f64 v[191:192], v[191:192], v[193:194], v[191:192]
	v_mul_f64 v[193:194], v[195:196], v[191:192]
	s_delay_alu instid0(VALU_DEP_1) | instskip(NEXT) | instid1(VALU_DEP_1)
	v_fma_f64 v[189:190], -v[189:190], v[193:194], v[195:196]
	v_div_fmas_f64 v[189:190], v[189:190], v[191:192], v[193:194]
	s_delay_alu instid0(VALU_DEP_1) | instskip(NEXT) | instid1(VALU_DEP_1)
	v_div_fixup_f64 v[189:190], v[189:190], v[172:173], v[174:175]
	v_fma_f64 v[172:173], v[174:175], v[189:190], v[172:173]
	s_delay_alu instid0(VALU_DEP_1) | instskip(NEXT) | instid1(VALU_DEP_1)
	v_div_scale_f64 v[174:175], null, v[172:173], v[172:173], 1.0
	v_rcp_f64_e32 v[191:192], v[174:175]
	s_waitcnt_depctr 0xfff
	v_fma_f64 v[193:194], -v[174:175], v[191:192], 1.0
	s_delay_alu instid0(VALU_DEP_1) | instskip(NEXT) | instid1(VALU_DEP_1)
	v_fma_f64 v[191:192], v[191:192], v[193:194], v[191:192]
	v_fma_f64 v[193:194], -v[174:175], v[191:192], 1.0
	s_delay_alu instid0(VALU_DEP_1) | instskip(SKIP_1) | instid1(VALU_DEP_1)
	v_fma_f64 v[191:192], v[191:192], v[193:194], v[191:192]
	v_div_scale_f64 v[193:194], vcc_lo, 1.0, v[172:173], 1.0
	v_mul_f64 v[195:196], v[193:194], v[191:192]
	s_delay_alu instid0(VALU_DEP_1) | instskip(NEXT) | instid1(VALU_DEP_1)
	v_fma_f64 v[174:175], -v[174:175], v[195:196], v[193:194]
	v_div_fmas_f64 v[174:175], v[174:175], v[191:192], v[195:196]
	s_delay_alu instid0(VALU_DEP_1) | instskip(NEXT) | instid1(VALU_DEP_1)
	v_div_fixup_f64 v[172:173], v[174:175], v[172:173], 1.0
	v_mul_f64 v[174:175], v[189:190], -v[172:173]
.LBB84_177:
	s_or_b32 exec_lo, exec_lo, s2
.LBB84_178:
	s_delay_alu instid0(SALU_CYCLE_1) | instskip(NEXT) | instid1(SALU_CYCLE_1)
	s_or_b32 exec_lo, exec_lo, s3
	s_mov_b32 s2, exec_lo
	v_cmpx_ne_u32_e64 v188, v180
	s_xor_b32 s2, exec_lo, s2
	s_cbranch_execz .LBB84_184
; %bb.179:
	s_mov_b32 s3, exec_lo
	v_cmpx_eq_u32_e32 8, v188
	s_cbranch_execz .LBB84_183
; %bb.180:
	v_cmp_ne_u32_e32 vcc_lo, 8, v180
	s_xor_b32 s6, s4, -1
	s_delay_alu instid0(SALU_CYCLE_1) | instskip(NEXT) | instid1(SALU_CYCLE_1)
	s_and_b32 s7, s6, vcc_lo
	s_and_saveexec_b32 s6, s7
	s_cbranch_execz .LBB84_182
; %bb.181:
	v_ashrrev_i32_e32 v181, 31, v180
	s_delay_alu instid0(VALU_DEP_1) | instskip(NEXT) | instid1(VALU_DEP_1)
	v_lshlrev_b64 v[187:188], 2, v[180:181]
	v_add_co_u32 v187, vcc_lo, v178, v187
	s_delay_alu instid0(VALU_DEP_2)
	v_add_co_ci_u32_e32 v188, vcc_lo, v179, v188, vcc_lo
	s_clause 0x1
	flat_load_b32 v181, v[187:188]
	flat_load_b32 v189, v[178:179] offset:32
	s_waitcnt vmcnt(1) lgkmcnt(1)
	flat_store_b32 v[178:179], v181 offset:32
	s_waitcnt vmcnt(0) lgkmcnt(1)
	flat_store_b32 v[187:188], v189
.LBB84_182:
	s_or_b32 exec_lo, exec_lo, s6
	v_mov_b32_e32 v188, v180
	v_mov_b32_e32 v187, v180
.LBB84_183:
	s_or_b32 exec_lo, exec_lo, s3
.LBB84_184:
	s_and_not1_saveexec_b32 s2, s2
	s_cbranch_execz .LBB84_186
; %bb.185:
	v_mov_b32_e32 v188, 8
	ds_store_2addr_b64 v182, v[132:133], v[134:135] offset0:18 offset1:19
	ds_store_2addr_b64 v182, v[128:129], v[130:131] offset0:20 offset1:21
	ds_store_2addr_b64 v182, v[124:125], v[126:127] offset0:22 offset1:23
	ds_store_2addr_b64 v182, v[120:121], v[122:123] offset0:24 offset1:25
	ds_store_2addr_b64 v182, v[116:117], v[118:119] offset0:26 offset1:27
	ds_store_2addr_b64 v182, v[112:113], v[114:115] offset0:28 offset1:29
	ds_store_2addr_b64 v182, v[108:109], v[110:111] offset0:30 offset1:31
	ds_store_2addr_b64 v182, v[104:105], v[106:107] offset0:32 offset1:33
	ds_store_2addr_b64 v182, v[100:101], v[102:103] offset0:34 offset1:35
	ds_store_2addr_b64 v182, v[96:97], v[98:99] offset0:36 offset1:37
	ds_store_2addr_b64 v182, v[92:93], v[94:95] offset0:38 offset1:39
	ds_store_2addr_b64 v182, v[88:89], v[90:91] offset0:40 offset1:41
	ds_store_2addr_b64 v182, v[84:85], v[86:87] offset0:42 offset1:43
	ds_store_2addr_b64 v182, v[80:81], v[82:83] offset0:44 offset1:45
	ds_store_2addr_b64 v182, v[76:77], v[78:79] offset0:46 offset1:47
	ds_store_2addr_b64 v182, v[72:73], v[74:75] offset0:48 offset1:49
	ds_store_2addr_b64 v182, v[68:69], v[70:71] offset0:50 offset1:51
	ds_store_2addr_b64 v182, v[64:65], v[66:67] offset0:52 offset1:53
	ds_store_2addr_b64 v182, v[60:61], v[62:63] offset0:54 offset1:55
	ds_store_2addr_b64 v182, v[56:57], v[58:59] offset0:56 offset1:57
	ds_store_2addr_b64 v182, v[52:53], v[54:55] offset0:58 offset1:59
	ds_store_2addr_b64 v182, v[48:49], v[50:51] offset0:60 offset1:61
	ds_store_2addr_b64 v182, v[44:45], v[46:47] offset0:62 offset1:63
	ds_store_2addr_b64 v182, v[40:41], v[42:43] offset0:64 offset1:65
	ds_store_2addr_b64 v182, v[36:37], v[38:39] offset0:66 offset1:67
	ds_store_2addr_b64 v182, v[32:33], v[34:35] offset0:68 offset1:69
	ds_store_2addr_b64 v182, v[28:29], v[30:31] offset0:70 offset1:71
	ds_store_2addr_b64 v182, v[24:25], v[26:27] offset0:72 offset1:73
	ds_store_2addr_b64 v182, v[20:21], v[22:23] offset0:74 offset1:75
	ds_store_2addr_b64 v182, v[16:17], v[18:19] offset0:76 offset1:77
	ds_store_2addr_b64 v182, v[12:13], v[14:15] offset0:78 offset1:79
	ds_store_2addr_b64 v182, v[8:9], v[10:11] offset0:80 offset1:81
	ds_store_2addr_b64 v182, v[4:5], v[6:7] offset0:82 offset1:83
	ds_store_2addr_b64 v182, v[0:1], v[2:3] offset0:84 offset1:85
.LBB84_186:
	s_or_b32 exec_lo, exec_lo, s2
	s_delay_alu instid0(SALU_CYCLE_1)
	s_mov_b32 s2, exec_lo
	s_waitcnt lgkmcnt(0)
	s_waitcnt_vscnt null, 0x0
	s_barrier
	buffer_gl0_inv
	v_cmpx_lt_i32_e32 8, v188
	s_cbranch_execz .LBB84_188
; %bb.187:
	v_mul_f64 v[180:181], v[174:175], v[138:139]
	v_mul_f64 v[138:139], v[172:173], v[138:139]
	s_delay_alu instid0(VALU_DEP_2) | instskip(NEXT) | instid1(VALU_DEP_2)
	v_fma_f64 v[180:181], v[172:173], v[136:137], -v[180:181]
	v_fma_f64 v[138:139], v[174:175], v[136:137], v[138:139]
	ds_load_2addr_b64 v[172:175], v182 offset0:18 offset1:19
	s_waitcnt lgkmcnt(0)
	v_mul_f64 v[136:137], v[174:175], v[138:139]
	s_delay_alu instid0(VALU_DEP_1) | instskip(SKIP_1) | instid1(VALU_DEP_2)
	v_fma_f64 v[136:137], v[172:173], v[180:181], -v[136:137]
	v_mul_f64 v[172:173], v[172:173], v[138:139]
	v_add_f64 v[132:133], v[132:133], -v[136:137]
	s_delay_alu instid0(VALU_DEP_2) | instskip(NEXT) | instid1(VALU_DEP_1)
	v_fma_f64 v[172:173], v[174:175], v[180:181], v[172:173]
	v_add_f64 v[134:135], v[134:135], -v[172:173]
	ds_load_2addr_b64 v[172:175], v182 offset0:20 offset1:21
	s_waitcnt lgkmcnt(0)
	v_mul_f64 v[136:137], v[174:175], v[138:139]
	s_delay_alu instid0(VALU_DEP_1) | instskip(SKIP_1) | instid1(VALU_DEP_2)
	v_fma_f64 v[136:137], v[172:173], v[180:181], -v[136:137]
	v_mul_f64 v[172:173], v[172:173], v[138:139]
	v_add_f64 v[128:129], v[128:129], -v[136:137]
	s_delay_alu instid0(VALU_DEP_2) | instskip(NEXT) | instid1(VALU_DEP_1)
	v_fma_f64 v[172:173], v[174:175], v[180:181], v[172:173]
	v_add_f64 v[130:131], v[130:131], -v[172:173]
	;; [unrolled: 10-line block ×33, first 2 shown]
	ds_load_2addr_b64 v[172:175], v182 offset0:84 offset1:85
	s_waitcnt lgkmcnt(0)
	v_mul_f64 v[136:137], v[174:175], v[138:139]
	s_delay_alu instid0(VALU_DEP_1) | instskip(SKIP_1) | instid1(VALU_DEP_2)
	v_fma_f64 v[136:137], v[172:173], v[180:181], -v[136:137]
	v_mul_f64 v[172:173], v[172:173], v[138:139]
	v_add_f64 v[0:1], v[0:1], -v[136:137]
	s_delay_alu instid0(VALU_DEP_2) | instskip(SKIP_1) | instid1(VALU_DEP_2)
	v_fma_f64 v[172:173], v[174:175], v[180:181], v[172:173]
	v_dual_mov_b32 v136, v180 :: v_dual_mov_b32 v137, v181
	v_add_f64 v[2:3], v[2:3], -v[172:173]
.LBB84_188:
	s_or_b32 exec_lo, exec_lo, s2
	v_lshl_add_u32 v172, v188, 4, v182
	s_barrier
	buffer_gl0_inv
	v_mov_b32_e32 v180, 9
	ds_store_2addr_b64 v172, v[132:133], v[134:135] offset1:1
	s_waitcnt lgkmcnt(0)
	s_barrier
	buffer_gl0_inv
	ds_load_2addr_b64 v[172:175], v182 offset0:18 offset1:19
	s_cmp_lt_i32 s5, 11
	s_cbranch_scc1 .LBB84_191
; %bb.189:
	v_add3_u32 v181, v186, 0, 0xa0
	v_mov_b32_e32 v180, 9
	s_mov_b32 s6, 10
	s_set_inst_prefetch_distance 0x1
	.p2align	6
.LBB84_190:                             ; =>This Inner Loop Header: Depth=1
	ds_load_2addr_b64 v[189:192], v181 offset1:1
	s_waitcnt lgkmcnt(1)
	v_cmp_gt_f64_e32 vcc_lo, 0, v[172:173]
	v_xor_b32_e32 v193, 0x80000000, v173
	v_cmp_gt_f64_e64 s2, 0, v[174:175]
	v_xor_b32_e32 v195, 0x80000000, v175
	v_add_nc_u32_e32 v181, 16, v181
	s_waitcnt lgkmcnt(0)
	v_cmp_gt_f64_e64 s3, 0, v[189:190]
	v_mov_b32_e32 v197, v189
	v_dual_mov_b32 v199, v191 :: v_dual_cndmask_b32 v194, v173, v193
	v_xor_b32_e32 v193, 0x80000000, v190
	v_cndmask_b32_e64 v196, v175, v195, s2
	v_xor_b32_e32 v195, 0x80000000, v192
	s_delay_alu instid0(VALU_DEP_3) | instskip(SKIP_2) | instid1(VALU_DEP_2)
	v_cndmask_b32_e64 v198, v190, v193, s3
	v_cmp_gt_f64_e64 s3, 0, v[191:192]
	v_cndmask_b32_e32 v193, v172, v172, vcc_lo
	v_cndmask_b32_e64 v200, v192, v195, s3
	v_cndmask_b32_e64 v195, v174, v174, s2
	s_delay_alu instid0(VALU_DEP_2) | instskip(NEXT) | instid1(VALU_DEP_2)
	v_add_f64 v[197:198], v[197:198], v[199:200]
	v_add_f64 v[193:194], v[193:194], v[195:196]
	s_delay_alu instid0(VALU_DEP_1) | instskip(SKIP_4) | instid1(SALU_CYCLE_1)
	v_cmp_lt_f64_e32 vcc_lo, v[193:194], v[197:198]
	v_dual_cndmask_b32 v174, v174, v191 :: v_dual_cndmask_b32 v173, v173, v190
	v_dual_cndmask_b32 v172, v172, v189 :: v_dual_cndmask_b32 v175, v175, v192
	v_cndmask_b32_e64 v180, v180, s6, vcc_lo
	s_add_i32 s6, s6, 1
	s_cmp_lg_u32 s5, s6
	s_cbranch_scc1 .LBB84_190
.LBB84_191:
	s_set_inst_prefetch_distance 0x2
	s_waitcnt lgkmcnt(0)
	v_cmp_eq_f64_e32 vcc_lo, 0, v[172:173]
	v_cmp_eq_f64_e64 s2, 0, v[174:175]
	s_delay_alu instid0(VALU_DEP_1) | instskip(NEXT) | instid1(SALU_CYCLE_1)
	s_and_b32 s2, vcc_lo, s2
	s_and_saveexec_b32 s3, s2
	s_delay_alu instid0(SALU_CYCLE_1)
	s_xor_b32 s2, exec_lo, s3
; %bb.192:
	v_cmp_ne_u32_e32 vcc_lo, 0, v185
	v_cndmask_b32_e32 v185, 10, v185, vcc_lo
; %bb.193:
	s_and_not1_saveexec_b32 s3, s2
	s_cbranch_execz .LBB84_199
; %bb.194:
	v_cmp_gt_f64_e32 vcc_lo, 0, v[172:173]
	v_cmp_gt_f64_e64 s2, 0, v[174:175]
	v_xor_b32_e32 v181, 0x80000000, v173
	v_xor_b32_e32 v189, 0x80000000, v175
	s_delay_alu instid0(VALU_DEP_2) | instskip(NEXT) | instid1(VALU_DEP_2)
	v_cndmask_b32_e32 v190, v173, v181, vcc_lo
	v_cndmask_b32_e64 v192, v175, v189, s2
	v_cndmask_b32_e32 v189, v172, v172, vcc_lo
	v_cndmask_b32_e64 v191, v174, v174, s2
	s_mov_b32 s2, exec_lo
	s_delay_alu instid0(VALU_DEP_1)
	v_cmpx_ngt_f64_e32 v[189:190], v[191:192]
	s_xor_b32 s2, exec_lo, s2
	s_cbranch_execz .LBB84_196
; %bb.195:
	v_div_scale_f64 v[189:190], null, v[174:175], v[174:175], v[172:173]
	v_div_scale_f64 v[195:196], vcc_lo, v[172:173], v[174:175], v[172:173]
	s_delay_alu instid0(VALU_DEP_2) | instskip(SKIP_2) | instid1(VALU_DEP_1)
	v_rcp_f64_e32 v[191:192], v[189:190]
	s_waitcnt_depctr 0xfff
	v_fma_f64 v[193:194], -v[189:190], v[191:192], 1.0
	v_fma_f64 v[191:192], v[191:192], v[193:194], v[191:192]
	s_delay_alu instid0(VALU_DEP_1) | instskip(NEXT) | instid1(VALU_DEP_1)
	v_fma_f64 v[193:194], -v[189:190], v[191:192], 1.0
	v_fma_f64 v[191:192], v[191:192], v[193:194], v[191:192]
	s_delay_alu instid0(VALU_DEP_1) | instskip(NEXT) | instid1(VALU_DEP_1)
	v_mul_f64 v[193:194], v[195:196], v[191:192]
	v_fma_f64 v[189:190], -v[189:190], v[193:194], v[195:196]
	s_delay_alu instid0(VALU_DEP_1) | instskip(NEXT) | instid1(VALU_DEP_1)
	v_div_fmas_f64 v[189:190], v[189:190], v[191:192], v[193:194]
	v_div_fixup_f64 v[189:190], v[189:190], v[174:175], v[172:173]
	s_delay_alu instid0(VALU_DEP_1) | instskip(NEXT) | instid1(VALU_DEP_1)
	v_fma_f64 v[172:173], v[172:173], v[189:190], v[174:175]
	v_div_scale_f64 v[174:175], null, v[172:173], v[172:173], 1.0
	s_delay_alu instid0(VALU_DEP_1) | instskip(SKIP_2) | instid1(VALU_DEP_1)
	v_rcp_f64_e32 v[191:192], v[174:175]
	s_waitcnt_depctr 0xfff
	v_fma_f64 v[193:194], -v[174:175], v[191:192], 1.0
	v_fma_f64 v[191:192], v[191:192], v[193:194], v[191:192]
	s_delay_alu instid0(VALU_DEP_1) | instskip(NEXT) | instid1(VALU_DEP_1)
	v_fma_f64 v[193:194], -v[174:175], v[191:192], 1.0
	v_fma_f64 v[191:192], v[191:192], v[193:194], v[191:192]
	v_div_scale_f64 v[193:194], vcc_lo, 1.0, v[172:173], 1.0
	s_delay_alu instid0(VALU_DEP_1) | instskip(NEXT) | instid1(VALU_DEP_1)
	v_mul_f64 v[195:196], v[193:194], v[191:192]
	v_fma_f64 v[174:175], -v[174:175], v[195:196], v[193:194]
	s_delay_alu instid0(VALU_DEP_1) | instskip(NEXT) | instid1(VALU_DEP_1)
	v_div_fmas_f64 v[174:175], v[174:175], v[191:192], v[195:196]
	v_div_fixup_f64 v[174:175], v[174:175], v[172:173], 1.0
	s_delay_alu instid0(VALU_DEP_1)
	v_mul_f64 v[172:173], v[189:190], v[174:175]
	v_xor_b32_e32 v175, 0x80000000, v175
.LBB84_196:
	s_and_not1_saveexec_b32 s2, s2
	s_cbranch_execz .LBB84_198
; %bb.197:
	s_delay_alu instid0(VALU_DEP_1) | instskip(SKIP_1) | instid1(VALU_DEP_2)
	v_div_scale_f64 v[189:190], null, v[172:173], v[172:173], v[174:175]
	v_div_scale_f64 v[195:196], vcc_lo, v[174:175], v[172:173], v[174:175]
	v_rcp_f64_e32 v[191:192], v[189:190]
	s_waitcnt_depctr 0xfff
	v_fma_f64 v[193:194], -v[189:190], v[191:192], 1.0
	s_delay_alu instid0(VALU_DEP_1) | instskip(NEXT) | instid1(VALU_DEP_1)
	v_fma_f64 v[191:192], v[191:192], v[193:194], v[191:192]
	v_fma_f64 v[193:194], -v[189:190], v[191:192], 1.0
	s_delay_alu instid0(VALU_DEP_1) | instskip(NEXT) | instid1(VALU_DEP_1)
	v_fma_f64 v[191:192], v[191:192], v[193:194], v[191:192]
	v_mul_f64 v[193:194], v[195:196], v[191:192]
	s_delay_alu instid0(VALU_DEP_1) | instskip(NEXT) | instid1(VALU_DEP_1)
	v_fma_f64 v[189:190], -v[189:190], v[193:194], v[195:196]
	v_div_fmas_f64 v[189:190], v[189:190], v[191:192], v[193:194]
	s_delay_alu instid0(VALU_DEP_1) | instskip(NEXT) | instid1(VALU_DEP_1)
	v_div_fixup_f64 v[189:190], v[189:190], v[172:173], v[174:175]
	v_fma_f64 v[172:173], v[174:175], v[189:190], v[172:173]
	s_delay_alu instid0(VALU_DEP_1) | instskip(NEXT) | instid1(VALU_DEP_1)
	v_div_scale_f64 v[174:175], null, v[172:173], v[172:173], 1.0
	v_rcp_f64_e32 v[191:192], v[174:175]
	s_waitcnt_depctr 0xfff
	v_fma_f64 v[193:194], -v[174:175], v[191:192], 1.0
	s_delay_alu instid0(VALU_DEP_1) | instskip(NEXT) | instid1(VALU_DEP_1)
	v_fma_f64 v[191:192], v[191:192], v[193:194], v[191:192]
	v_fma_f64 v[193:194], -v[174:175], v[191:192], 1.0
	s_delay_alu instid0(VALU_DEP_1) | instskip(SKIP_1) | instid1(VALU_DEP_1)
	v_fma_f64 v[191:192], v[191:192], v[193:194], v[191:192]
	v_div_scale_f64 v[193:194], vcc_lo, 1.0, v[172:173], 1.0
	v_mul_f64 v[195:196], v[193:194], v[191:192]
	s_delay_alu instid0(VALU_DEP_1) | instskip(NEXT) | instid1(VALU_DEP_1)
	v_fma_f64 v[174:175], -v[174:175], v[195:196], v[193:194]
	v_div_fmas_f64 v[174:175], v[174:175], v[191:192], v[195:196]
	s_delay_alu instid0(VALU_DEP_1) | instskip(NEXT) | instid1(VALU_DEP_1)
	v_div_fixup_f64 v[172:173], v[174:175], v[172:173], 1.0
	v_mul_f64 v[174:175], v[189:190], -v[172:173]
.LBB84_198:
	s_or_b32 exec_lo, exec_lo, s2
.LBB84_199:
	s_delay_alu instid0(SALU_CYCLE_1) | instskip(NEXT) | instid1(SALU_CYCLE_1)
	s_or_b32 exec_lo, exec_lo, s3
	s_mov_b32 s2, exec_lo
	v_cmpx_ne_u32_e64 v188, v180
	s_xor_b32 s2, exec_lo, s2
	s_cbranch_execz .LBB84_205
; %bb.200:
	s_mov_b32 s3, exec_lo
	v_cmpx_eq_u32_e32 9, v188
	s_cbranch_execz .LBB84_204
; %bb.201:
	v_cmp_ne_u32_e32 vcc_lo, 9, v180
	s_xor_b32 s6, s4, -1
	s_delay_alu instid0(SALU_CYCLE_1) | instskip(NEXT) | instid1(SALU_CYCLE_1)
	s_and_b32 s7, s6, vcc_lo
	s_and_saveexec_b32 s6, s7
	s_cbranch_execz .LBB84_203
; %bb.202:
	v_ashrrev_i32_e32 v181, 31, v180
	s_delay_alu instid0(VALU_DEP_1) | instskip(NEXT) | instid1(VALU_DEP_1)
	v_lshlrev_b64 v[187:188], 2, v[180:181]
	v_add_co_u32 v187, vcc_lo, v178, v187
	s_delay_alu instid0(VALU_DEP_2)
	v_add_co_ci_u32_e32 v188, vcc_lo, v179, v188, vcc_lo
	s_clause 0x1
	flat_load_b32 v181, v[187:188]
	flat_load_b32 v189, v[178:179] offset:36
	s_waitcnt vmcnt(1) lgkmcnt(1)
	flat_store_b32 v[178:179], v181 offset:36
	s_waitcnt vmcnt(0) lgkmcnt(1)
	flat_store_b32 v[187:188], v189
.LBB84_203:
	s_or_b32 exec_lo, exec_lo, s6
	v_mov_b32_e32 v188, v180
	v_mov_b32_e32 v187, v180
.LBB84_204:
	s_or_b32 exec_lo, exec_lo, s3
.LBB84_205:
	s_and_not1_saveexec_b32 s2, s2
	s_cbranch_execz .LBB84_207
; %bb.206:
	v_mov_b32_e32 v188, 9
	ds_store_2addr_b64 v182, v[128:129], v[130:131] offset0:20 offset1:21
	ds_store_2addr_b64 v182, v[124:125], v[126:127] offset0:22 offset1:23
	;; [unrolled: 1-line block ×33, first 2 shown]
.LBB84_207:
	s_or_b32 exec_lo, exec_lo, s2
	s_delay_alu instid0(SALU_CYCLE_1)
	s_mov_b32 s2, exec_lo
	s_waitcnt lgkmcnt(0)
	s_waitcnt_vscnt null, 0x0
	s_barrier
	buffer_gl0_inv
	v_cmpx_lt_i32_e32 9, v188
	s_cbranch_execz .LBB84_209
; %bb.208:
	v_mul_f64 v[180:181], v[174:175], v[134:135]
	v_mul_f64 v[134:135], v[172:173], v[134:135]
	s_delay_alu instid0(VALU_DEP_2) | instskip(NEXT) | instid1(VALU_DEP_2)
	v_fma_f64 v[180:181], v[172:173], v[132:133], -v[180:181]
	v_fma_f64 v[134:135], v[174:175], v[132:133], v[134:135]
	ds_load_2addr_b64 v[172:175], v182 offset0:20 offset1:21
	s_waitcnt lgkmcnt(0)
	v_mul_f64 v[132:133], v[174:175], v[134:135]
	s_delay_alu instid0(VALU_DEP_1) | instskip(SKIP_1) | instid1(VALU_DEP_2)
	v_fma_f64 v[132:133], v[172:173], v[180:181], -v[132:133]
	v_mul_f64 v[172:173], v[172:173], v[134:135]
	v_add_f64 v[128:129], v[128:129], -v[132:133]
	s_delay_alu instid0(VALU_DEP_2) | instskip(NEXT) | instid1(VALU_DEP_1)
	v_fma_f64 v[172:173], v[174:175], v[180:181], v[172:173]
	v_add_f64 v[130:131], v[130:131], -v[172:173]
	ds_load_2addr_b64 v[172:175], v182 offset0:22 offset1:23
	s_waitcnt lgkmcnt(0)
	v_mul_f64 v[132:133], v[174:175], v[134:135]
	s_delay_alu instid0(VALU_DEP_1) | instskip(SKIP_1) | instid1(VALU_DEP_2)
	v_fma_f64 v[132:133], v[172:173], v[180:181], -v[132:133]
	v_mul_f64 v[172:173], v[172:173], v[134:135]
	v_add_f64 v[124:125], v[124:125], -v[132:133]
	s_delay_alu instid0(VALU_DEP_2) | instskip(NEXT) | instid1(VALU_DEP_1)
	v_fma_f64 v[172:173], v[174:175], v[180:181], v[172:173]
	v_add_f64 v[126:127], v[126:127], -v[172:173]
	;; [unrolled: 10-line block ×32, first 2 shown]
	ds_load_2addr_b64 v[172:175], v182 offset0:84 offset1:85
	s_waitcnt lgkmcnt(0)
	v_mul_f64 v[132:133], v[174:175], v[134:135]
	s_delay_alu instid0(VALU_DEP_1) | instskip(SKIP_1) | instid1(VALU_DEP_2)
	v_fma_f64 v[132:133], v[172:173], v[180:181], -v[132:133]
	v_mul_f64 v[172:173], v[172:173], v[134:135]
	v_add_f64 v[0:1], v[0:1], -v[132:133]
	s_delay_alu instid0(VALU_DEP_2) | instskip(SKIP_1) | instid1(VALU_DEP_2)
	v_fma_f64 v[172:173], v[174:175], v[180:181], v[172:173]
	v_dual_mov_b32 v132, v180 :: v_dual_mov_b32 v133, v181
	v_add_f64 v[2:3], v[2:3], -v[172:173]
.LBB84_209:
	s_or_b32 exec_lo, exec_lo, s2
	v_lshl_add_u32 v172, v188, 4, v182
	s_barrier
	buffer_gl0_inv
	v_mov_b32_e32 v180, 10
	ds_store_2addr_b64 v172, v[128:129], v[130:131] offset1:1
	s_waitcnt lgkmcnt(0)
	s_barrier
	buffer_gl0_inv
	ds_load_2addr_b64 v[172:175], v182 offset0:20 offset1:21
	s_cmp_lt_i32 s5, 12
	s_cbranch_scc1 .LBB84_212
; %bb.210:
	v_add3_u32 v181, v186, 0, 0xb0
	v_mov_b32_e32 v180, 10
	s_mov_b32 s6, 11
	s_set_inst_prefetch_distance 0x1
	.p2align	6
.LBB84_211:                             ; =>This Inner Loop Header: Depth=1
	ds_load_2addr_b64 v[189:192], v181 offset1:1
	s_waitcnt lgkmcnt(1)
	v_cmp_gt_f64_e32 vcc_lo, 0, v[172:173]
	v_xor_b32_e32 v193, 0x80000000, v173
	v_cmp_gt_f64_e64 s2, 0, v[174:175]
	v_xor_b32_e32 v195, 0x80000000, v175
	v_add_nc_u32_e32 v181, 16, v181
	s_waitcnt lgkmcnt(0)
	v_cmp_gt_f64_e64 s3, 0, v[189:190]
	v_mov_b32_e32 v197, v189
	v_dual_mov_b32 v199, v191 :: v_dual_cndmask_b32 v194, v173, v193
	v_xor_b32_e32 v193, 0x80000000, v190
	v_cndmask_b32_e64 v196, v175, v195, s2
	v_xor_b32_e32 v195, 0x80000000, v192
	s_delay_alu instid0(VALU_DEP_3) | instskip(SKIP_2) | instid1(VALU_DEP_2)
	v_cndmask_b32_e64 v198, v190, v193, s3
	v_cmp_gt_f64_e64 s3, 0, v[191:192]
	v_cndmask_b32_e32 v193, v172, v172, vcc_lo
	v_cndmask_b32_e64 v200, v192, v195, s3
	v_cndmask_b32_e64 v195, v174, v174, s2
	s_delay_alu instid0(VALU_DEP_2) | instskip(NEXT) | instid1(VALU_DEP_2)
	v_add_f64 v[197:198], v[197:198], v[199:200]
	v_add_f64 v[193:194], v[193:194], v[195:196]
	s_delay_alu instid0(VALU_DEP_1) | instskip(SKIP_4) | instid1(SALU_CYCLE_1)
	v_cmp_lt_f64_e32 vcc_lo, v[193:194], v[197:198]
	v_dual_cndmask_b32 v174, v174, v191 :: v_dual_cndmask_b32 v173, v173, v190
	v_dual_cndmask_b32 v172, v172, v189 :: v_dual_cndmask_b32 v175, v175, v192
	v_cndmask_b32_e64 v180, v180, s6, vcc_lo
	s_add_i32 s6, s6, 1
	s_cmp_lg_u32 s5, s6
	s_cbranch_scc1 .LBB84_211
.LBB84_212:
	s_set_inst_prefetch_distance 0x2
	s_waitcnt lgkmcnt(0)
	v_cmp_eq_f64_e32 vcc_lo, 0, v[172:173]
	v_cmp_eq_f64_e64 s2, 0, v[174:175]
	s_delay_alu instid0(VALU_DEP_1) | instskip(NEXT) | instid1(SALU_CYCLE_1)
	s_and_b32 s2, vcc_lo, s2
	s_and_saveexec_b32 s3, s2
	s_delay_alu instid0(SALU_CYCLE_1)
	s_xor_b32 s2, exec_lo, s3
; %bb.213:
	v_cmp_ne_u32_e32 vcc_lo, 0, v185
	v_cndmask_b32_e32 v185, 11, v185, vcc_lo
; %bb.214:
	s_and_not1_saveexec_b32 s3, s2
	s_cbranch_execz .LBB84_220
; %bb.215:
	v_cmp_gt_f64_e32 vcc_lo, 0, v[172:173]
	v_cmp_gt_f64_e64 s2, 0, v[174:175]
	v_xor_b32_e32 v181, 0x80000000, v173
	v_xor_b32_e32 v189, 0x80000000, v175
	s_delay_alu instid0(VALU_DEP_2) | instskip(NEXT) | instid1(VALU_DEP_2)
	v_cndmask_b32_e32 v190, v173, v181, vcc_lo
	v_cndmask_b32_e64 v192, v175, v189, s2
	v_cndmask_b32_e32 v189, v172, v172, vcc_lo
	v_cndmask_b32_e64 v191, v174, v174, s2
	s_mov_b32 s2, exec_lo
	s_delay_alu instid0(VALU_DEP_1)
	v_cmpx_ngt_f64_e32 v[189:190], v[191:192]
	s_xor_b32 s2, exec_lo, s2
	s_cbranch_execz .LBB84_217
; %bb.216:
	v_div_scale_f64 v[189:190], null, v[174:175], v[174:175], v[172:173]
	v_div_scale_f64 v[195:196], vcc_lo, v[172:173], v[174:175], v[172:173]
	s_delay_alu instid0(VALU_DEP_2) | instskip(SKIP_2) | instid1(VALU_DEP_1)
	v_rcp_f64_e32 v[191:192], v[189:190]
	s_waitcnt_depctr 0xfff
	v_fma_f64 v[193:194], -v[189:190], v[191:192], 1.0
	v_fma_f64 v[191:192], v[191:192], v[193:194], v[191:192]
	s_delay_alu instid0(VALU_DEP_1) | instskip(NEXT) | instid1(VALU_DEP_1)
	v_fma_f64 v[193:194], -v[189:190], v[191:192], 1.0
	v_fma_f64 v[191:192], v[191:192], v[193:194], v[191:192]
	s_delay_alu instid0(VALU_DEP_1) | instskip(NEXT) | instid1(VALU_DEP_1)
	v_mul_f64 v[193:194], v[195:196], v[191:192]
	v_fma_f64 v[189:190], -v[189:190], v[193:194], v[195:196]
	s_delay_alu instid0(VALU_DEP_1) | instskip(NEXT) | instid1(VALU_DEP_1)
	v_div_fmas_f64 v[189:190], v[189:190], v[191:192], v[193:194]
	v_div_fixup_f64 v[189:190], v[189:190], v[174:175], v[172:173]
	s_delay_alu instid0(VALU_DEP_1) | instskip(NEXT) | instid1(VALU_DEP_1)
	v_fma_f64 v[172:173], v[172:173], v[189:190], v[174:175]
	v_div_scale_f64 v[174:175], null, v[172:173], v[172:173], 1.0
	s_delay_alu instid0(VALU_DEP_1) | instskip(SKIP_2) | instid1(VALU_DEP_1)
	v_rcp_f64_e32 v[191:192], v[174:175]
	s_waitcnt_depctr 0xfff
	v_fma_f64 v[193:194], -v[174:175], v[191:192], 1.0
	v_fma_f64 v[191:192], v[191:192], v[193:194], v[191:192]
	s_delay_alu instid0(VALU_DEP_1) | instskip(NEXT) | instid1(VALU_DEP_1)
	v_fma_f64 v[193:194], -v[174:175], v[191:192], 1.0
	v_fma_f64 v[191:192], v[191:192], v[193:194], v[191:192]
	v_div_scale_f64 v[193:194], vcc_lo, 1.0, v[172:173], 1.0
	s_delay_alu instid0(VALU_DEP_1) | instskip(NEXT) | instid1(VALU_DEP_1)
	v_mul_f64 v[195:196], v[193:194], v[191:192]
	v_fma_f64 v[174:175], -v[174:175], v[195:196], v[193:194]
	s_delay_alu instid0(VALU_DEP_1) | instskip(NEXT) | instid1(VALU_DEP_1)
	v_div_fmas_f64 v[174:175], v[174:175], v[191:192], v[195:196]
	v_div_fixup_f64 v[174:175], v[174:175], v[172:173], 1.0
	s_delay_alu instid0(VALU_DEP_1)
	v_mul_f64 v[172:173], v[189:190], v[174:175]
	v_xor_b32_e32 v175, 0x80000000, v175
.LBB84_217:
	s_and_not1_saveexec_b32 s2, s2
	s_cbranch_execz .LBB84_219
; %bb.218:
	s_delay_alu instid0(VALU_DEP_1) | instskip(SKIP_1) | instid1(VALU_DEP_2)
	v_div_scale_f64 v[189:190], null, v[172:173], v[172:173], v[174:175]
	v_div_scale_f64 v[195:196], vcc_lo, v[174:175], v[172:173], v[174:175]
	v_rcp_f64_e32 v[191:192], v[189:190]
	s_waitcnt_depctr 0xfff
	v_fma_f64 v[193:194], -v[189:190], v[191:192], 1.0
	s_delay_alu instid0(VALU_DEP_1) | instskip(NEXT) | instid1(VALU_DEP_1)
	v_fma_f64 v[191:192], v[191:192], v[193:194], v[191:192]
	v_fma_f64 v[193:194], -v[189:190], v[191:192], 1.0
	s_delay_alu instid0(VALU_DEP_1) | instskip(NEXT) | instid1(VALU_DEP_1)
	v_fma_f64 v[191:192], v[191:192], v[193:194], v[191:192]
	v_mul_f64 v[193:194], v[195:196], v[191:192]
	s_delay_alu instid0(VALU_DEP_1) | instskip(NEXT) | instid1(VALU_DEP_1)
	v_fma_f64 v[189:190], -v[189:190], v[193:194], v[195:196]
	v_div_fmas_f64 v[189:190], v[189:190], v[191:192], v[193:194]
	s_delay_alu instid0(VALU_DEP_1) | instskip(NEXT) | instid1(VALU_DEP_1)
	v_div_fixup_f64 v[189:190], v[189:190], v[172:173], v[174:175]
	v_fma_f64 v[172:173], v[174:175], v[189:190], v[172:173]
	s_delay_alu instid0(VALU_DEP_1) | instskip(NEXT) | instid1(VALU_DEP_1)
	v_div_scale_f64 v[174:175], null, v[172:173], v[172:173], 1.0
	v_rcp_f64_e32 v[191:192], v[174:175]
	s_waitcnt_depctr 0xfff
	v_fma_f64 v[193:194], -v[174:175], v[191:192], 1.0
	s_delay_alu instid0(VALU_DEP_1) | instskip(NEXT) | instid1(VALU_DEP_1)
	v_fma_f64 v[191:192], v[191:192], v[193:194], v[191:192]
	v_fma_f64 v[193:194], -v[174:175], v[191:192], 1.0
	s_delay_alu instid0(VALU_DEP_1) | instskip(SKIP_1) | instid1(VALU_DEP_1)
	v_fma_f64 v[191:192], v[191:192], v[193:194], v[191:192]
	v_div_scale_f64 v[193:194], vcc_lo, 1.0, v[172:173], 1.0
	v_mul_f64 v[195:196], v[193:194], v[191:192]
	s_delay_alu instid0(VALU_DEP_1) | instskip(NEXT) | instid1(VALU_DEP_1)
	v_fma_f64 v[174:175], -v[174:175], v[195:196], v[193:194]
	v_div_fmas_f64 v[174:175], v[174:175], v[191:192], v[195:196]
	s_delay_alu instid0(VALU_DEP_1) | instskip(NEXT) | instid1(VALU_DEP_1)
	v_div_fixup_f64 v[172:173], v[174:175], v[172:173], 1.0
	v_mul_f64 v[174:175], v[189:190], -v[172:173]
.LBB84_219:
	s_or_b32 exec_lo, exec_lo, s2
.LBB84_220:
	s_delay_alu instid0(SALU_CYCLE_1) | instskip(NEXT) | instid1(SALU_CYCLE_1)
	s_or_b32 exec_lo, exec_lo, s3
	s_mov_b32 s2, exec_lo
	v_cmpx_ne_u32_e64 v188, v180
	s_xor_b32 s2, exec_lo, s2
	s_cbranch_execz .LBB84_226
; %bb.221:
	s_mov_b32 s3, exec_lo
	v_cmpx_eq_u32_e32 10, v188
	s_cbranch_execz .LBB84_225
; %bb.222:
	v_cmp_ne_u32_e32 vcc_lo, 10, v180
	s_xor_b32 s6, s4, -1
	s_delay_alu instid0(SALU_CYCLE_1) | instskip(NEXT) | instid1(SALU_CYCLE_1)
	s_and_b32 s7, s6, vcc_lo
	s_and_saveexec_b32 s6, s7
	s_cbranch_execz .LBB84_224
; %bb.223:
	v_ashrrev_i32_e32 v181, 31, v180
	s_delay_alu instid0(VALU_DEP_1) | instskip(NEXT) | instid1(VALU_DEP_1)
	v_lshlrev_b64 v[187:188], 2, v[180:181]
	v_add_co_u32 v187, vcc_lo, v178, v187
	s_delay_alu instid0(VALU_DEP_2)
	v_add_co_ci_u32_e32 v188, vcc_lo, v179, v188, vcc_lo
	s_clause 0x1
	flat_load_b32 v181, v[187:188]
	flat_load_b32 v189, v[178:179] offset:40
	s_waitcnt vmcnt(1) lgkmcnt(1)
	flat_store_b32 v[178:179], v181 offset:40
	s_waitcnt vmcnt(0) lgkmcnt(1)
	flat_store_b32 v[187:188], v189
.LBB84_224:
	s_or_b32 exec_lo, exec_lo, s6
	v_mov_b32_e32 v188, v180
	v_mov_b32_e32 v187, v180
.LBB84_225:
	s_or_b32 exec_lo, exec_lo, s3
.LBB84_226:
	s_and_not1_saveexec_b32 s2, s2
	s_cbranch_execz .LBB84_228
; %bb.227:
	v_mov_b32_e32 v188, 10
	ds_store_2addr_b64 v182, v[124:125], v[126:127] offset0:22 offset1:23
	ds_store_2addr_b64 v182, v[120:121], v[122:123] offset0:24 offset1:25
	;; [unrolled: 1-line block ×32, first 2 shown]
.LBB84_228:
	s_or_b32 exec_lo, exec_lo, s2
	s_delay_alu instid0(SALU_CYCLE_1)
	s_mov_b32 s2, exec_lo
	s_waitcnt lgkmcnt(0)
	s_waitcnt_vscnt null, 0x0
	s_barrier
	buffer_gl0_inv
	v_cmpx_lt_i32_e32 10, v188
	s_cbranch_execz .LBB84_230
; %bb.229:
	v_mul_f64 v[180:181], v[174:175], v[130:131]
	v_mul_f64 v[130:131], v[172:173], v[130:131]
	s_delay_alu instid0(VALU_DEP_2) | instskip(NEXT) | instid1(VALU_DEP_2)
	v_fma_f64 v[180:181], v[172:173], v[128:129], -v[180:181]
	v_fma_f64 v[130:131], v[174:175], v[128:129], v[130:131]
	ds_load_2addr_b64 v[172:175], v182 offset0:22 offset1:23
	s_waitcnt lgkmcnt(0)
	v_mul_f64 v[128:129], v[174:175], v[130:131]
	s_delay_alu instid0(VALU_DEP_1) | instskip(SKIP_1) | instid1(VALU_DEP_2)
	v_fma_f64 v[128:129], v[172:173], v[180:181], -v[128:129]
	v_mul_f64 v[172:173], v[172:173], v[130:131]
	v_add_f64 v[124:125], v[124:125], -v[128:129]
	s_delay_alu instid0(VALU_DEP_2) | instskip(NEXT) | instid1(VALU_DEP_1)
	v_fma_f64 v[172:173], v[174:175], v[180:181], v[172:173]
	v_add_f64 v[126:127], v[126:127], -v[172:173]
	ds_load_2addr_b64 v[172:175], v182 offset0:24 offset1:25
	s_waitcnt lgkmcnt(0)
	v_mul_f64 v[128:129], v[174:175], v[130:131]
	s_delay_alu instid0(VALU_DEP_1) | instskip(SKIP_1) | instid1(VALU_DEP_2)
	v_fma_f64 v[128:129], v[172:173], v[180:181], -v[128:129]
	v_mul_f64 v[172:173], v[172:173], v[130:131]
	v_add_f64 v[120:121], v[120:121], -v[128:129]
	s_delay_alu instid0(VALU_DEP_2) | instskip(NEXT) | instid1(VALU_DEP_1)
	v_fma_f64 v[172:173], v[174:175], v[180:181], v[172:173]
	v_add_f64 v[122:123], v[122:123], -v[172:173]
	;; [unrolled: 10-line block ×31, first 2 shown]
	ds_load_2addr_b64 v[172:175], v182 offset0:84 offset1:85
	s_waitcnt lgkmcnt(0)
	v_mul_f64 v[128:129], v[174:175], v[130:131]
	s_delay_alu instid0(VALU_DEP_1) | instskip(SKIP_1) | instid1(VALU_DEP_2)
	v_fma_f64 v[128:129], v[172:173], v[180:181], -v[128:129]
	v_mul_f64 v[172:173], v[172:173], v[130:131]
	v_add_f64 v[0:1], v[0:1], -v[128:129]
	s_delay_alu instid0(VALU_DEP_2) | instskip(SKIP_1) | instid1(VALU_DEP_2)
	v_fma_f64 v[172:173], v[174:175], v[180:181], v[172:173]
	v_dual_mov_b32 v128, v180 :: v_dual_mov_b32 v129, v181
	v_add_f64 v[2:3], v[2:3], -v[172:173]
.LBB84_230:
	s_or_b32 exec_lo, exec_lo, s2
	v_lshl_add_u32 v172, v188, 4, v182
	s_barrier
	buffer_gl0_inv
	v_mov_b32_e32 v180, 11
	ds_store_2addr_b64 v172, v[124:125], v[126:127] offset1:1
	s_waitcnt lgkmcnt(0)
	s_barrier
	buffer_gl0_inv
	ds_load_2addr_b64 v[172:175], v182 offset0:22 offset1:23
	s_cmp_lt_i32 s5, 13
	s_cbranch_scc1 .LBB84_233
; %bb.231:
	v_add3_u32 v181, v186, 0, 0xc0
	v_mov_b32_e32 v180, 11
	s_mov_b32 s6, 12
	s_set_inst_prefetch_distance 0x1
	.p2align	6
.LBB84_232:                             ; =>This Inner Loop Header: Depth=1
	ds_load_2addr_b64 v[189:192], v181 offset1:1
	s_waitcnt lgkmcnt(1)
	v_cmp_gt_f64_e32 vcc_lo, 0, v[172:173]
	v_xor_b32_e32 v193, 0x80000000, v173
	v_cmp_gt_f64_e64 s2, 0, v[174:175]
	v_xor_b32_e32 v195, 0x80000000, v175
	v_add_nc_u32_e32 v181, 16, v181
	s_waitcnt lgkmcnt(0)
	v_cmp_gt_f64_e64 s3, 0, v[189:190]
	v_mov_b32_e32 v197, v189
	v_dual_mov_b32 v199, v191 :: v_dual_cndmask_b32 v194, v173, v193
	v_xor_b32_e32 v193, 0x80000000, v190
	v_cndmask_b32_e64 v196, v175, v195, s2
	v_xor_b32_e32 v195, 0x80000000, v192
	s_delay_alu instid0(VALU_DEP_3) | instskip(SKIP_2) | instid1(VALU_DEP_2)
	v_cndmask_b32_e64 v198, v190, v193, s3
	v_cmp_gt_f64_e64 s3, 0, v[191:192]
	v_cndmask_b32_e32 v193, v172, v172, vcc_lo
	v_cndmask_b32_e64 v200, v192, v195, s3
	v_cndmask_b32_e64 v195, v174, v174, s2
	s_delay_alu instid0(VALU_DEP_2) | instskip(NEXT) | instid1(VALU_DEP_2)
	v_add_f64 v[197:198], v[197:198], v[199:200]
	v_add_f64 v[193:194], v[193:194], v[195:196]
	s_delay_alu instid0(VALU_DEP_1) | instskip(SKIP_4) | instid1(SALU_CYCLE_1)
	v_cmp_lt_f64_e32 vcc_lo, v[193:194], v[197:198]
	v_dual_cndmask_b32 v174, v174, v191 :: v_dual_cndmask_b32 v173, v173, v190
	v_dual_cndmask_b32 v172, v172, v189 :: v_dual_cndmask_b32 v175, v175, v192
	v_cndmask_b32_e64 v180, v180, s6, vcc_lo
	s_add_i32 s6, s6, 1
	s_cmp_lg_u32 s5, s6
	s_cbranch_scc1 .LBB84_232
.LBB84_233:
	s_set_inst_prefetch_distance 0x2
	s_waitcnt lgkmcnt(0)
	v_cmp_eq_f64_e32 vcc_lo, 0, v[172:173]
	v_cmp_eq_f64_e64 s2, 0, v[174:175]
	s_delay_alu instid0(VALU_DEP_1) | instskip(NEXT) | instid1(SALU_CYCLE_1)
	s_and_b32 s2, vcc_lo, s2
	s_and_saveexec_b32 s3, s2
	s_delay_alu instid0(SALU_CYCLE_1)
	s_xor_b32 s2, exec_lo, s3
; %bb.234:
	v_cmp_ne_u32_e32 vcc_lo, 0, v185
	v_cndmask_b32_e32 v185, 12, v185, vcc_lo
; %bb.235:
	s_and_not1_saveexec_b32 s3, s2
	s_cbranch_execz .LBB84_241
; %bb.236:
	v_cmp_gt_f64_e32 vcc_lo, 0, v[172:173]
	v_cmp_gt_f64_e64 s2, 0, v[174:175]
	v_xor_b32_e32 v181, 0x80000000, v173
	v_xor_b32_e32 v189, 0x80000000, v175
	s_delay_alu instid0(VALU_DEP_2) | instskip(NEXT) | instid1(VALU_DEP_2)
	v_cndmask_b32_e32 v190, v173, v181, vcc_lo
	v_cndmask_b32_e64 v192, v175, v189, s2
	v_cndmask_b32_e32 v189, v172, v172, vcc_lo
	v_cndmask_b32_e64 v191, v174, v174, s2
	s_mov_b32 s2, exec_lo
	s_delay_alu instid0(VALU_DEP_1)
	v_cmpx_ngt_f64_e32 v[189:190], v[191:192]
	s_xor_b32 s2, exec_lo, s2
	s_cbranch_execz .LBB84_238
; %bb.237:
	v_div_scale_f64 v[189:190], null, v[174:175], v[174:175], v[172:173]
	v_div_scale_f64 v[195:196], vcc_lo, v[172:173], v[174:175], v[172:173]
	s_delay_alu instid0(VALU_DEP_2) | instskip(SKIP_2) | instid1(VALU_DEP_1)
	v_rcp_f64_e32 v[191:192], v[189:190]
	s_waitcnt_depctr 0xfff
	v_fma_f64 v[193:194], -v[189:190], v[191:192], 1.0
	v_fma_f64 v[191:192], v[191:192], v[193:194], v[191:192]
	s_delay_alu instid0(VALU_DEP_1) | instskip(NEXT) | instid1(VALU_DEP_1)
	v_fma_f64 v[193:194], -v[189:190], v[191:192], 1.0
	v_fma_f64 v[191:192], v[191:192], v[193:194], v[191:192]
	s_delay_alu instid0(VALU_DEP_1) | instskip(NEXT) | instid1(VALU_DEP_1)
	v_mul_f64 v[193:194], v[195:196], v[191:192]
	v_fma_f64 v[189:190], -v[189:190], v[193:194], v[195:196]
	s_delay_alu instid0(VALU_DEP_1) | instskip(NEXT) | instid1(VALU_DEP_1)
	v_div_fmas_f64 v[189:190], v[189:190], v[191:192], v[193:194]
	v_div_fixup_f64 v[189:190], v[189:190], v[174:175], v[172:173]
	s_delay_alu instid0(VALU_DEP_1) | instskip(NEXT) | instid1(VALU_DEP_1)
	v_fma_f64 v[172:173], v[172:173], v[189:190], v[174:175]
	v_div_scale_f64 v[174:175], null, v[172:173], v[172:173], 1.0
	s_delay_alu instid0(VALU_DEP_1) | instskip(SKIP_2) | instid1(VALU_DEP_1)
	v_rcp_f64_e32 v[191:192], v[174:175]
	s_waitcnt_depctr 0xfff
	v_fma_f64 v[193:194], -v[174:175], v[191:192], 1.0
	v_fma_f64 v[191:192], v[191:192], v[193:194], v[191:192]
	s_delay_alu instid0(VALU_DEP_1) | instskip(NEXT) | instid1(VALU_DEP_1)
	v_fma_f64 v[193:194], -v[174:175], v[191:192], 1.0
	v_fma_f64 v[191:192], v[191:192], v[193:194], v[191:192]
	v_div_scale_f64 v[193:194], vcc_lo, 1.0, v[172:173], 1.0
	s_delay_alu instid0(VALU_DEP_1) | instskip(NEXT) | instid1(VALU_DEP_1)
	v_mul_f64 v[195:196], v[193:194], v[191:192]
	v_fma_f64 v[174:175], -v[174:175], v[195:196], v[193:194]
	s_delay_alu instid0(VALU_DEP_1) | instskip(NEXT) | instid1(VALU_DEP_1)
	v_div_fmas_f64 v[174:175], v[174:175], v[191:192], v[195:196]
	v_div_fixup_f64 v[174:175], v[174:175], v[172:173], 1.0
	s_delay_alu instid0(VALU_DEP_1)
	v_mul_f64 v[172:173], v[189:190], v[174:175]
	v_xor_b32_e32 v175, 0x80000000, v175
.LBB84_238:
	s_and_not1_saveexec_b32 s2, s2
	s_cbranch_execz .LBB84_240
; %bb.239:
	s_delay_alu instid0(VALU_DEP_1) | instskip(SKIP_1) | instid1(VALU_DEP_2)
	v_div_scale_f64 v[189:190], null, v[172:173], v[172:173], v[174:175]
	v_div_scale_f64 v[195:196], vcc_lo, v[174:175], v[172:173], v[174:175]
	v_rcp_f64_e32 v[191:192], v[189:190]
	s_waitcnt_depctr 0xfff
	v_fma_f64 v[193:194], -v[189:190], v[191:192], 1.0
	s_delay_alu instid0(VALU_DEP_1) | instskip(NEXT) | instid1(VALU_DEP_1)
	v_fma_f64 v[191:192], v[191:192], v[193:194], v[191:192]
	v_fma_f64 v[193:194], -v[189:190], v[191:192], 1.0
	s_delay_alu instid0(VALU_DEP_1) | instskip(NEXT) | instid1(VALU_DEP_1)
	v_fma_f64 v[191:192], v[191:192], v[193:194], v[191:192]
	v_mul_f64 v[193:194], v[195:196], v[191:192]
	s_delay_alu instid0(VALU_DEP_1) | instskip(NEXT) | instid1(VALU_DEP_1)
	v_fma_f64 v[189:190], -v[189:190], v[193:194], v[195:196]
	v_div_fmas_f64 v[189:190], v[189:190], v[191:192], v[193:194]
	s_delay_alu instid0(VALU_DEP_1) | instskip(NEXT) | instid1(VALU_DEP_1)
	v_div_fixup_f64 v[189:190], v[189:190], v[172:173], v[174:175]
	v_fma_f64 v[172:173], v[174:175], v[189:190], v[172:173]
	s_delay_alu instid0(VALU_DEP_1) | instskip(NEXT) | instid1(VALU_DEP_1)
	v_div_scale_f64 v[174:175], null, v[172:173], v[172:173], 1.0
	v_rcp_f64_e32 v[191:192], v[174:175]
	s_waitcnt_depctr 0xfff
	v_fma_f64 v[193:194], -v[174:175], v[191:192], 1.0
	s_delay_alu instid0(VALU_DEP_1) | instskip(NEXT) | instid1(VALU_DEP_1)
	v_fma_f64 v[191:192], v[191:192], v[193:194], v[191:192]
	v_fma_f64 v[193:194], -v[174:175], v[191:192], 1.0
	s_delay_alu instid0(VALU_DEP_1) | instskip(SKIP_1) | instid1(VALU_DEP_1)
	v_fma_f64 v[191:192], v[191:192], v[193:194], v[191:192]
	v_div_scale_f64 v[193:194], vcc_lo, 1.0, v[172:173], 1.0
	v_mul_f64 v[195:196], v[193:194], v[191:192]
	s_delay_alu instid0(VALU_DEP_1) | instskip(NEXT) | instid1(VALU_DEP_1)
	v_fma_f64 v[174:175], -v[174:175], v[195:196], v[193:194]
	v_div_fmas_f64 v[174:175], v[174:175], v[191:192], v[195:196]
	s_delay_alu instid0(VALU_DEP_1) | instskip(NEXT) | instid1(VALU_DEP_1)
	v_div_fixup_f64 v[172:173], v[174:175], v[172:173], 1.0
	v_mul_f64 v[174:175], v[189:190], -v[172:173]
.LBB84_240:
	s_or_b32 exec_lo, exec_lo, s2
.LBB84_241:
	s_delay_alu instid0(SALU_CYCLE_1) | instskip(NEXT) | instid1(SALU_CYCLE_1)
	s_or_b32 exec_lo, exec_lo, s3
	s_mov_b32 s2, exec_lo
	v_cmpx_ne_u32_e64 v188, v180
	s_xor_b32 s2, exec_lo, s2
	s_cbranch_execz .LBB84_247
; %bb.242:
	s_mov_b32 s3, exec_lo
	v_cmpx_eq_u32_e32 11, v188
	s_cbranch_execz .LBB84_246
; %bb.243:
	v_cmp_ne_u32_e32 vcc_lo, 11, v180
	s_xor_b32 s6, s4, -1
	s_delay_alu instid0(SALU_CYCLE_1) | instskip(NEXT) | instid1(SALU_CYCLE_1)
	s_and_b32 s7, s6, vcc_lo
	s_and_saveexec_b32 s6, s7
	s_cbranch_execz .LBB84_245
; %bb.244:
	v_ashrrev_i32_e32 v181, 31, v180
	s_delay_alu instid0(VALU_DEP_1) | instskip(NEXT) | instid1(VALU_DEP_1)
	v_lshlrev_b64 v[187:188], 2, v[180:181]
	v_add_co_u32 v187, vcc_lo, v178, v187
	s_delay_alu instid0(VALU_DEP_2)
	v_add_co_ci_u32_e32 v188, vcc_lo, v179, v188, vcc_lo
	s_clause 0x1
	flat_load_b32 v181, v[187:188]
	flat_load_b32 v189, v[178:179] offset:44
	s_waitcnt vmcnt(1) lgkmcnt(1)
	flat_store_b32 v[178:179], v181 offset:44
	s_waitcnt vmcnt(0) lgkmcnt(1)
	flat_store_b32 v[187:188], v189
.LBB84_245:
	s_or_b32 exec_lo, exec_lo, s6
	v_mov_b32_e32 v188, v180
	v_mov_b32_e32 v187, v180
.LBB84_246:
	s_or_b32 exec_lo, exec_lo, s3
.LBB84_247:
	s_and_not1_saveexec_b32 s2, s2
	s_cbranch_execz .LBB84_249
; %bb.248:
	v_mov_b32_e32 v188, 11
	ds_store_2addr_b64 v182, v[120:121], v[122:123] offset0:24 offset1:25
	ds_store_2addr_b64 v182, v[116:117], v[118:119] offset0:26 offset1:27
	;; [unrolled: 1-line block ×31, first 2 shown]
.LBB84_249:
	s_or_b32 exec_lo, exec_lo, s2
	s_delay_alu instid0(SALU_CYCLE_1)
	s_mov_b32 s2, exec_lo
	s_waitcnt lgkmcnt(0)
	s_waitcnt_vscnt null, 0x0
	s_barrier
	buffer_gl0_inv
	v_cmpx_lt_i32_e32 11, v188
	s_cbranch_execz .LBB84_251
; %bb.250:
	v_mul_f64 v[180:181], v[174:175], v[126:127]
	v_mul_f64 v[126:127], v[172:173], v[126:127]
	s_delay_alu instid0(VALU_DEP_2) | instskip(NEXT) | instid1(VALU_DEP_2)
	v_fma_f64 v[180:181], v[172:173], v[124:125], -v[180:181]
	v_fma_f64 v[126:127], v[174:175], v[124:125], v[126:127]
	ds_load_2addr_b64 v[172:175], v182 offset0:24 offset1:25
	s_waitcnt lgkmcnt(0)
	v_mul_f64 v[124:125], v[174:175], v[126:127]
	s_delay_alu instid0(VALU_DEP_1) | instskip(SKIP_1) | instid1(VALU_DEP_2)
	v_fma_f64 v[124:125], v[172:173], v[180:181], -v[124:125]
	v_mul_f64 v[172:173], v[172:173], v[126:127]
	v_add_f64 v[120:121], v[120:121], -v[124:125]
	s_delay_alu instid0(VALU_DEP_2) | instskip(NEXT) | instid1(VALU_DEP_1)
	v_fma_f64 v[172:173], v[174:175], v[180:181], v[172:173]
	v_add_f64 v[122:123], v[122:123], -v[172:173]
	ds_load_2addr_b64 v[172:175], v182 offset0:26 offset1:27
	s_waitcnt lgkmcnt(0)
	v_mul_f64 v[124:125], v[174:175], v[126:127]
	s_delay_alu instid0(VALU_DEP_1) | instskip(SKIP_1) | instid1(VALU_DEP_2)
	v_fma_f64 v[124:125], v[172:173], v[180:181], -v[124:125]
	v_mul_f64 v[172:173], v[172:173], v[126:127]
	v_add_f64 v[116:117], v[116:117], -v[124:125]
	s_delay_alu instid0(VALU_DEP_2) | instskip(NEXT) | instid1(VALU_DEP_1)
	v_fma_f64 v[172:173], v[174:175], v[180:181], v[172:173]
	v_add_f64 v[118:119], v[118:119], -v[172:173]
	;; [unrolled: 10-line block ×30, first 2 shown]
	ds_load_2addr_b64 v[172:175], v182 offset0:84 offset1:85
	s_waitcnt lgkmcnt(0)
	v_mul_f64 v[124:125], v[174:175], v[126:127]
	s_delay_alu instid0(VALU_DEP_1) | instskip(SKIP_1) | instid1(VALU_DEP_2)
	v_fma_f64 v[124:125], v[172:173], v[180:181], -v[124:125]
	v_mul_f64 v[172:173], v[172:173], v[126:127]
	v_add_f64 v[0:1], v[0:1], -v[124:125]
	s_delay_alu instid0(VALU_DEP_2) | instskip(SKIP_1) | instid1(VALU_DEP_2)
	v_fma_f64 v[172:173], v[174:175], v[180:181], v[172:173]
	v_dual_mov_b32 v124, v180 :: v_dual_mov_b32 v125, v181
	v_add_f64 v[2:3], v[2:3], -v[172:173]
.LBB84_251:
	s_or_b32 exec_lo, exec_lo, s2
	v_lshl_add_u32 v172, v188, 4, v182
	s_barrier
	buffer_gl0_inv
	v_mov_b32_e32 v180, 12
	ds_store_2addr_b64 v172, v[120:121], v[122:123] offset1:1
	s_waitcnt lgkmcnt(0)
	s_barrier
	buffer_gl0_inv
	ds_load_2addr_b64 v[172:175], v182 offset0:24 offset1:25
	s_cmp_lt_i32 s5, 14
	s_cbranch_scc1 .LBB84_254
; %bb.252:
	v_add3_u32 v181, v186, 0, 0xd0
	v_mov_b32_e32 v180, 12
	s_mov_b32 s6, 13
	s_set_inst_prefetch_distance 0x1
	.p2align	6
.LBB84_253:                             ; =>This Inner Loop Header: Depth=1
	ds_load_2addr_b64 v[189:192], v181 offset1:1
	s_waitcnt lgkmcnt(1)
	v_cmp_gt_f64_e32 vcc_lo, 0, v[172:173]
	v_xor_b32_e32 v193, 0x80000000, v173
	v_cmp_gt_f64_e64 s2, 0, v[174:175]
	v_xor_b32_e32 v195, 0x80000000, v175
	v_add_nc_u32_e32 v181, 16, v181
	s_waitcnt lgkmcnt(0)
	v_cmp_gt_f64_e64 s3, 0, v[189:190]
	v_mov_b32_e32 v197, v189
	v_dual_mov_b32 v199, v191 :: v_dual_cndmask_b32 v194, v173, v193
	v_xor_b32_e32 v193, 0x80000000, v190
	v_cndmask_b32_e64 v196, v175, v195, s2
	v_xor_b32_e32 v195, 0x80000000, v192
	s_delay_alu instid0(VALU_DEP_3) | instskip(SKIP_2) | instid1(VALU_DEP_2)
	v_cndmask_b32_e64 v198, v190, v193, s3
	v_cmp_gt_f64_e64 s3, 0, v[191:192]
	v_cndmask_b32_e32 v193, v172, v172, vcc_lo
	v_cndmask_b32_e64 v200, v192, v195, s3
	v_cndmask_b32_e64 v195, v174, v174, s2
	s_delay_alu instid0(VALU_DEP_2) | instskip(NEXT) | instid1(VALU_DEP_2)
	v_add_f64 v[197:198], v[197:198], v[199:200]
	v_add_f64 v[193:194], v[193:194], v[195:196]
	s_delay_alu instid0(VALU_DEP_1) | instskip(SKIP_4) | instid1(SALU_CYCLE_1)
	v_cmp_lt_f64_e32 vcc_lo, v[193:194], v[197:198]
	v_dual_cndmask_b32 v174, v174, v191 :: v_dual_cndmask_b32 v173, v173, v190
	v_dual_cndmask_b32 v172, v172, v189 :: v_dual_cndmask_b32 v175, v175, v192
	v_cndmask_b32_e64 v180, v180, s6, vcc_lo
	s_add_i32 s6, s6, 1
	s_cmp_lg_u32 s5, s6
	s_cbranch_scc1 .LBB84_253
.LBB84_254:
	s_set_inst_prefetch_distance 0x2
	s_waitcnt lgkmcnt(0)
	v_cmp_eq_f64_e32 vcc_lo, 0, v[172:173]
	v_cmp_eq_f64_e64 s2, 0, v[174:175]
	s_delay_alu instid0(VALU_DEP_1) | instskip(NEXT) | instid1(SALU_CYCLE_1)
	s_and_b32 s2, vcc_lo, s2
	s_and_saveexec_b32 s3, s2
	s_delay_alu instid0(SALU_CYCLE_1)
	s_xor_b32 s2, exec_lo, s3
; %bb.255:
	v_cmp_ne_u32_e32 vcc_lo, 0, v185
	v_cndmask_b32_e32 v185, 13, v185, vcc_lo
; %bb.256:
	s_and_not1_saveexec_b32 s3, s2
	s_cbranch_execz .LBB84_262
; %bb.257:
	v_cmp_gt_f64_e32 vcc_lo, 0, v[172:173]
	v_cmp_gt_f64_e64 s2, 0, v[174:175]
	v_xor_b32_e32 v181, 0x80000000, v173
	v_xor_b32_e32 v189, 0x80000000, v175
	s_delay_alu instid0(VALU_DEP_2) | instskip(NEXT) | instid1(VALU_DEP_2)
	v_cndmask_b32_e32 v190, v173, v181, vcc_lo
	v_cndmask_b32_e64 v192, v175, v189, s2
	v_cndmask_b32_e32 v189, v172, v172, vcc_lo
	v_cndmask_b32_e64 v191, v174, v174, s2
	s_mov_b32 s2, exec_lo
	s_delay_alu instid0(VALU_DEP_1)
	v_cmpx_ngt_f64_e32 v[189:190], v[191:192]
	s_xor_b32 s2, exec_lo, s2
	s_cbranch_execz .LBB84_259
; %bb.258:
	v_div_scale_f64 v[189:190], null, v[174:175], v[174:175], v[172:173]
	v_div_scale_f64 v[195:196], vcc_lo, v[172:173], v[174:175], v[172:173]
	s_delay_alu instid0(VALU_DEP_2) | instskip(SKIP_2) | instid1(VALU_DEP_1)
	v_rcp_f64_e32 v[191:192], v[189:190]
	s_waitcnt_depctr 0xfff
	v_fma_f64 v[193:194], -v[189:190], v[191:192], 1.0
	v_fma_f64 v[191:192], v[191:192], v[193:194], v[191:192]
	s_delay_alu instid0(VALU_DEP_1) | instskip(NEXT) | instid1(VALU_DEP_1)
	v_fma_f64 v[193:194], -v[189:190], v[191:192], 1.0
	v_fma_f64 v[191:192], v[191:192], v[193:194], v[191:192]
	s_delay_alu instid0(VALU_DEP_1) | instskip(NEXT) | instid1(VALU_DEP_1)
	v_mul_f64 v[193:194], v[195:196], v[191:192]
	v_fma_f64 v[189:190], -v[189:190], v[193:194], v[195:196]
	s_delay_alu instid0(VALU_DEP_1) | instskip(NEXT) | instid1(VALU_DEP_1)
	v_div_fmas_f64 v[189:190], v[189:190], v[191:192], v[193:194]
	v_div_fixup_f64 v[189:190], v[189:190], v[174:175], v[172:173]
	s_delay_alu instid0(VALU_DEP_1) | instskip(NEXT) | instid1(VALU_DEP_1)
	v_fma_f64 v[172:173], v[172:173], v[189:190], v[174:175]
	v_div_scale_f64 v[174:175], null, v[172:173], v[172:173], 1.0
	s_delay_alu instid0(VALU_DEP_1) | instskip(SKIP_2) | instid1(VALU_DEP_1)
	v_rcp_f64_e32 v[191:192], v[174:175]
	s_waitcnt_depctr 0xfff
	v_fma_f64 v[193:194], -v[174:175], v[191:192], 1.0
	v_fma_f64 v[191:192], v[191:192], v[193:194], v[191:192]
	s_delay_alu instid0(VALU_DEP_1) | instskip(NEXT) | instid1(VALU_DEP_1)
	v_fma_f64 v[193:194], -v[174:175], v[191:192], 1.0
	v_fma_f64 v[191:192], v[191:192], v[193:194], v[191:192]
	v_div_scale_f64 v[193:194], vcc_lo, 1.0, v[172:173], 1.0
	s_delay_alu instid0(VALU_DEP_1) | instskip(NEXT) | instid1(VALU_DEP_1)
	v_mul_f64 v[195:196], v[193:194], v[191:192]
	v_fma_f64 v[174:175], -v[174:175], v[195:196], v[193:194]
	s_delay_alu instid0(VALU_DEP_1) | instskip(NEXT) | instid1(VALU_DEP_1)
	v_div_fmas_f64 v[174:175], v[174:175], v[191:192], v[195:196]
	v_div_fixup_f64 v[174:175], v[174:175], v[172:173], 1.0
	s_delay_alu instid0(VALU_DEP_1)
	v_mul_f64 v[172:173], v[189:190], v[174:175]
	v_xor_b32_e32 v175, 0x80000000, v175
.LBB84_259:
	s_and_not1_saveexec_b32 s2, s2
	s_cbranch_execz .LBB84_261
; %bb.260:
	s_delay_alu instid0(VALU_DEP_1) | instskip(SKIP_1) | instid1(VALU_DEP_2)
	v_div_scale_f64 v[189:190], null, v[172:173], v[172:173], v[174:175]
	v_div_scale_f64 v[195:196], vcc_lo, v[174:175], v[172:173], v[174:175]
	v_rcp_f64_e32 v[191:192], v[189:190]
	s_waitcnt_depctr 0xfff
	v_fma_f64 v[193:194], -v[189:190], v[191:192], 1.0
	s_delay_alu instid0(VALU_DEP_1) | instskip(NEXT) | instid1(VALU_DEP_1)
	v_fma_f64 v[191:192], v[191:192], v[193:194], v[191:192]
	v_fma_f64 v[193:194], -v[189:190], v[191:192], 1.0
	s_delay_alu instid0(VALU_DEP_1) | instskip(NEXT) | instid1(VALU_DEP_1)
	v_fma_f64 v[191:192], v[191:192], v[193:194], v[191:192]
	v_mul_f64 v[193:194], v[195:196], v[191:192]
	s_delay_alu instid0(VALU_DEP_1) | instskip(NEXT) | instid1(VALU_DEP_1)
	v_fma_f64 v[189:190], -v[189:190], v[193:194], v[195:196]
	v_div_fmas_f64 v[189:190], v[189:190], v[191:192], v[193:194]
	s_delay_alu instid0(VALU_DEP_1) | instskip(NEXT) | instid1(VALU_DEP_1)
	v_div_fixup_f64 v[189:190], v[189:190], v[172:173], v[174:175]
	v_fma_f64 v[172:173], v[174:175], v[189:190], v[172:173]
	s_delay_alu instid0(VALU_DEP_1) | instskip(NEXT) | instid1(VALU_DEP_1)
	v_div_scale_f64 v[174:175], null, v[172:173], v[172:173], 1.0
	v_rcp_f64_e32 v[191:192], v[174:175]
	s_waitcnt_depctr 0xfff
	v_fma_f64 v[193:194], -v[174:175], v[191:192], 1.0
	s_delay_alu instid0(VALU_DEP_1) | instskip(NEXT) | instid1(VALU_DEP_1)
	v_fma_f64 v[191:192], v[191:192], v[193:194], v[191:192]
	v_fma_f64 v[193:194], -v[174:175], v[191:192], 1.0
	s_delay_alu instid0(VALU_DEP_1) | instskip(SKIP_1) | instid1(VALU_DEP_1)
	v_fma_f64 v[191:192], v[191:192], v[193:194], v[191:192]
	v_div_scale_f64 v[193:194], vcc_lo, 1.0, v[172:173], 1.0
	v_mul_f64 v[195:196], v[193:194], v[191:192]
	s_delay_alu instid0(VALU_DEP_1) | instskip(NEXT) | instid1(VALU_DEP_1)
	v_fma_f64 v[174:175], -v[174:175], v[195:196], v[193:194]
	v_div_fmas_f64 v[174:175], v[174:175], v[191:192], v[195:196]
	s_delay_alu instid0(VALU_DEP_1) | instskip(NEXT) | instid1(VALU_DEP_1)
	v_div_fixup_f64 v[172:173], v[174:175], v[172:173], 1.0
	v_mul_f64 v[174:175], v[189:190], -v[172:173]
.LBB84_261:
	s_or_b32 exec_lo, exec_lo, s2
.LBB84_262:
	s_delay_alu instid0(SALU_CYCLE_1) | instskip(NEXT) | instid1(SALU_CYCLE_1)
	s_or_b32 exec_lo, exec_lo, s3
	s_mov_b32 s2, exec_lo
	v_cmpx_ne_u32_e64 v188, v180
	s_xor_b32 s2, exec_lo, s2
	s_cbranch_execz .LBB84_268
; %bb.263:
	s_mov_b32 s3, exec_lo
	v_cmpx_eq_u32_e32 12, v188
	s_cbranch_execz .LBB84_267
; %bb.264:
	v_cmp_ne_u32_e32 vcc_lo, 12, v180
	s_xor_b32 s6, s4, -1
	s_delay_alu instid0(SALU_CYCLE_1) | instskip(NEXT) | instid1(SALU_CYCLE_1)
	s_and_b32 s7, s6, vcc_lo
	s_and_saveexec_b32 s6, s7
	s_cbranch_execz .LBB84_266
; %bb.265:
	v_ashrrev_i32_e32 v181, 31, v180
	s_delay_alu instid0(VALU_DEP_1) | instskip(NEXT) | instid1(VALU_DEP_1)
	v_lshlrev_b64 v[187:188], 2, v[180:181]
	v_add_co_u32 v187, vcc_lo, v178, v187
	s_delay_alu instid0(VALU_DEP_2)
	v_add_co_ci_u32_e32 v188, vcc_lo, v179, v188, vcc_lo
	s_clause 0x1
	flat_load_b32 v181, v[187:188]
	flat_load_b32 v189, v[178:179] offset:48
	s_waitcnt vmcnt(1) lgkmcnt(1)
	flat_store_b32 v[178:179], v181 offset:48
	s_waitcnt vmcnt(0) lgkmcnt(1)
	flat_store_b32 v[187:188], v189
.LBB84_266:
	s_or_b32 exec_lo, exec_lo, s6
	v_mov_b32_e32 v188, v180
	v_mov_b32_e32 v187, v180
.LBB84_267:
	s_or_b32 exec_lo, exec_lo, s3
.LBB84_268:
	s_and_not1_saveexec_b32 s2, s2
	s_cbranch_execz .LBB84_270
; %bb.269:
	v_mov_b32_e32 v188, 12
	ds_store_2addr_b64 v182, v[116:117], v[118:119] offset0:26 offset1:27
	ds_store_2addr_b64 v182, v[112:113], v[114:115] offset0:28 offset1:29
	;; [unrolled: 1-line block ×30, first 2 shown]
.LBB84_270:
	s_or_b32 exec_lo, exec_lo, s2
	s_delay_alu instid0(SALU_CYCLE_1)
	s_mov_b32 s2, exec_lo
	s_waitcnt lgkmcnt(0)
	s_waitcnt_vscnt null, 0x0
	s_barrier
	buffer_gl0_inv
	v_cmpx_lt_i32_e32 12, v188
	s_cbranch_execz .LBB84_272
; %bb.271:
	v_mul_f64 v[180:181], v[174:175], v[122:123]
	v_mul_f64 v[122:123], v[172:173], v[122:123]
	s_delay_alu instid0(VALU_DEP_2) | instskip(NEXT) | instid1(VALU_DEP_2)
	v_fma_f64 v[180:181], v[172:173], v[120:121], -v[180:181]
	v_fma_f64 v[122:123], v[174:175], v[120:121], v[122:123]
	ds_load_2addr_b64 v[172:175], v182 offset0:26 offset1:27
	s_waitcnt lgkmcnt(0)
	v_mul_f64 v[120:121], v[174:175], v[122:123]
	s_delay_alu instid0(VALU_DEP_1) | instskip(SKIP_1) | instid1(VALU_DEP_2)
	v_fma_f64 v[120:121], v[172:173], v[180:181], -v[120:121]
	v_mul_f64 v[172:173], v[172:173], v[122:123]
	v_add_f64 v[116:117], v[116:117], -v[120:121]
	s_delay_alu instid0(VALU_DEP_2) | instskip(NEXT) | instid1(VALU_DEP_1)
	v_fma_f64 v[172:173], v[174:175], v[180:181], v[172:173]
	v_add_f64 v[118:119], v[118:119], -v[172:173]
	ds_load_2addr_b64 v[172:175], v182 offset0:28 offset1:29
	s_waitcnt lgkmcnt(0)
	v_mul_f64 v[120:121], v[174:175], v[122:123]
	s_delay_alu instid0(VALU_DEP_1) | instskip(SKIP_1) | instid1(VALU_DEP_2)
	v_fma_f64 v[120:121], v[172:173], v[180:181], -v[120:121]
	v_mul_f64 v[172:173], v[172:173], v[122:123]
	v_add_f64 v[112:113], v[112:113], -v[120:121]
	s_delay_alu instid0(VALU_DEP_2) | instskip(NEXT) | instid1(VALU_DEP_1)
	v_fma_f64 v[172:173], v[174:175], v[180:181], v[172:173]
	v_add_f64 v[114:115], v[114:115], -v[172:173]
	ds_load_2addr_b64 v[172:175], v182 offset0:30 offset1:31
	s_waitcnt lgkmcnt(0)
	v_mul_f64 v[120:121], v[174:175], v[122:123]
	s_delay_alu instid0(VALU_DEP_1) | instskip(SKIP_1) | instid1(VALU_DEP_2)
	v_fma_f64 v[120:121], v[172:173], v[180:181], -v[120:121]
	v_mul_f64 v[172:173], v[172:173], v[122:123]
	v_add_f64 v[108:109], v[108:109], -v[120:121]
	s_delay_alu instid0(VALU_DEP_2) | instskip(NEXT) | instid1(VALU_DEP_1)
	v_fma_f64 v[172:173], v[174:175], v[180:181], v[172:173]
	v_add_f64 v[110:111], v[110:111], -v[172:173]
	ds_load_2addr_b64 v[172:175], v182 offset0:32 offset1:33
	s_waitcnt lgkmcnt(0)
	v_mul_f64 v[120:121], v[174:175], v[122:123]
	s_delay_alu instid0(VALU_DEP_1) | instskip(SKIP_1) | instid1(VALU_DEP_2)
	v_fma_f64 v[120:121], v[172:173], v[180:181], -v[120:121]
	v_mul_f64 v[172:173], v[172:173], v[122:123]
	v_add_f64 v[104:105], v[104:105], -v[120:121]
	s_delay_alu instid0(VALU_DEP_2) | instskip(NEXT) | instid1(VALU_DEP_1)
	v_fma_f64 v[172:173], v[174:175], v[180:181], v[172:173]
	v_add_f64 v[106:107], v[106:107], -v[172:173]
	ds_load_2addr_b64 v[172:175], v182 offset0:34 offset1:35
	s_waitcnt lgkmcnt(0)
	v_mul_f64 v[120:121], v[174:175], v[122:123]
	s_delay_alu instid0(VALU_DEP_1) | instskip(SKIP_1) | instid1(VALU_DEP_2)
	v_fma_f64 v[120:121], v[172:173], v[180:181], -v[120:121]
	v_mul_f64 v[172:173], v[172:173], v[122:123]
	v_add_f64 v[100:101], v[100:101], -v[120:121]
	s_delay_alu instid0(VALU_DEP_2) | instskip(NEXT) | instid1(VALU_DEP_1)
	v_fma_f64 v[172:173], v[174:175], v[180:181], v[172:173]
	v_add_f64 v[102:103], v[102:103], -v[172:173]
	ds_load_2addr_b64 v[172:175], v182 offset0:36 offset1:37
	s_waitcnt lgkmcnt(0)
	v_mul_f64 v[120:121], v[174:175], v[122:123]
	s_delay_alu instid0(VALU_DEP_1) | instskip(SKIP_1) | instid1(VALU_DEP_2)
	v_fma_f64 v[120:121], v[172:173], v[180:181], -v[120:121]
	v_mul_f64 v[172:173], v[172:173], v[122:123]
	v_add_f64 v[96:97], v[96:97], -v[120:121]
	s_delay_alu instid0(VALU_DEP_2) | instskip(NEXT) | instid1(VALU_DEP_1)
	v_fma_f64 v[172:173], v[174:175], v[180:181], v[172:173]
	v_add_f64 v[98:99], v[98:99], -v[172:173]
	ds_load_2addr_b64 v[172:175], v182 offset0:38 offset1:39
	s_waitcnt lgkmcnt(0)
	v_mul_f64 v[120:121], v[174:175], v[122:123]
	s_delay_alu instid0(VALU_DEP_1) | instskip(SKIP_1) | instid1(VALU_DEP_2)
	v_fma_f64 v[120:121], v[172:173], v[180:181], -v[120:121]
	v_mul_f64 v[172:173], v[172:173], v[122:123]
	v_add_f64 v[92:93], v[92:93], -v[120:121]
	s_delay_alu instid0(VALU_DEP_2) | instskip(NEXT) | instid1(VALU_DEP_1)
	v_fma_f64 v[172:173], v[174:175], v[180:181], v[172:173]
	v_add_f64 v[94:95], v[94:95], -v[172:173]
	ds_load_2addr_b64 v[172:175], v182 offset0:40 offset1:41
	s_waitcnt lgkmcnt(0)
	v_mul_f64 v[120:121], v[174:175], v[122:123]
	s_delay_alu instid0(VALU_DEP_1) | instskip(SKIP_1) | instid1(VALU_DEP_2)
	v_fma_f64 v[120:121], v[172:173], v[180:181], -v[120:121]
	v_mul_f64 v[172:173], v[172:173], v[122:123]
	v_add_f64 v[88:89], v[88:89], -v[120:121]
	s_delay_alu instid0(VALU_DEP_2) | instskip(NEXT) | instid1(VALU_DEP_1)
	v_fma_f64 v[172:173], v[174:175], v[180:181], v[172:173]
	v_add_f64 v[90:91], v[90:91], -v[172:173]
	ds_load_2addr_b64 v[172:175], v182 offset0:42 offset1:43
	s_waitcnt lgkmcnt(0)
	v_mul_f64 v[120:121], v[174:175], v[122:123]
	s_delay_alu instid0(VALU_DEP_1) | instskip(SKIP_1) | instid1(VALU_DEP_2)
	v_fma_f64 v[120:121], v[172:173], v[180:181], -v[120:121]
	v_mul_f64 v[172:173], v[172:173], v[122:123]
	v_add_f64 v[84:85], v[84:85], -v[120:121]
	s_delay_alu instid0(VALU_DEP_2) | instskip(NEXT) | instid1(VALU_DEP_1)
	v_fma_f64 v[172:173], v[174:175], v[180:181], v[172:173]
	v_add_f64 v[86:87], v[86:87], -v[172:173]
	ds_load_2addr_b64 v[172:175], v182 offset0:44 offset1:45
	s_waitcnt lgkmcnt(0)
	v_mul_f64 v[120:121], v[174:175], v[122:123]
	s_delay_alu instid0(VALU_DEP_1) | instskip(SKIP_1) | instid1(VALU_DEP_2)
	v_fma_f64 v[120:121], v[172:173], v[180:181], -v[120:121]
	v_mul_f64 v[172:173], v[172:173], v[122:123]
	v_add_f64 v[80:81], v[80:81], -v[120:121]
	s_delay_alu instid0(VALU_DEP_2) | instskip(NEXT) | instid1(VALU_DEP_1)
	v_fma_f64 v[172:173], v[174:175], v[180:181], v[172:173]
	v_add_f64 v[82:83], v[82:83], -v[172:173]
	ds_load_2addr_b64 v[172:175], v182 offset0:46 offset1:47
	s_waitcnt lgkmcnt(0)
	v_mul_f64 v[120:121], v[174:175], v[122:123]
	s_delay_alu instid0(VALU_DEP_1) | instskip(SKIP_1) | instid1(VALU_DEP_2)
	v_fma_f64 v[120:121], v[172:173], v[180:181], -v[120:121]
	v_mul_f64 v[172:173], v[172:173], v[122:123]
	v_add_f64 v[76:77], v[76:77], -v[120:121]
	s_delay_alu instid0(VALU_DEP_2) | instskip(NEXT) | instid1(VALU_DEP_1)
	v_fma_f64 v[172:173], v[174:175], v[180:181], v[172:173]
	v_add_f64 v[78:79], v[78:79], -v[172:173]
	ds_load_2addr_b64 v[172:175], v182 offset0:48 offset1:49
	s_waitcnt lgkmcnt(0)
	v_mul_f64 v[120:121], v[174:175], v[122:123]
	s_delay_alu instid0(VALU_DEP_1) | instskip(SKIP_1) | instid1(VALU_DEP_2)
	v_fma_f64 v[120:121], v[172:173], v[180:181], -v[120:121]
	v_mul_f64 v[172:173], v[172:173], v[122:123]
	v_add_f64 v[72:73], v[72:73], -v[120:121]
	s_delay_alu instid0(VALU_DEP_2) | instskip(NEXT) | instid1(VALU_DEP_1)
	v_fma_f64 v[172:173], v[174:175], v[180:181], v[172:173]
	v_add_f64 v[74:75], v[74:75], -v[172:173]
	ds_load_2addr_b64 v[172:175], v182 offset0:50 offset1:51
	s_waitcnt lgkmcnt(0)
	v_mul_f64 v[120:121], v[174:175], v[122:123]
	s_delay_alu instid0(VALU_DEP_1) | instskip(SKIP_1) | instid1(VALU_DEP_2)
	v_fma_f64 v[120:121], v[172:173], v[180:181], -v[120:121]
	v_mul_f64 v[172:173], v[172:173], v[122:123]
	v_add_f64 v[68:69], v[68:69], -v[120:121]
	s_delay_alu instid0(VALU_DEP_2) | instskip(NEXT) | instid1(VALU_DEP_1)
	v_fma_f64 v[172:173], v[174:175], v[180:181], v[172:173]
	v_add_f64 v[70:71], v[70:71], -v[172:173]
	ds_load_2addr_b64 v[172:175], v182 offset0:52 offset1:53
	s_waitcnt lgkmcnt(0)
	v_mul_f64 v[120:121], v[174:175], v[122:123]
	s_delay_alu instid0(VALU_DEP_1) | instskip(SKIP_1) | instid1(VALU_DEP_2)
	v_fma_f64 v[120:121], v[172:173], v[180:181], -v[120:121]
	v_mul_f64 v[172:173], v[172:173], v[122:123]
	v_add_f64 v[64:65], v[64:65], -v[120:121]
	s_delay_alu instid0(VALU_DEP_2) | instskip(NEXT) | instid1(VALU_DEP_1)
	v_fma_f64 v[172:173], v[174:175], v[180:181], v[172:173]
	v_add_f64 v[66:67], v[66:67], -v[172:173]
	ds_load_2addr_b64 v[172:175], v182 offset0:54 offset1:55
	s_waitcnt lgkmcnt(0)
	v_mul_f64 v[120:121], v[174:175], v[122:123]
	s_delay_alu instid0(VALU_DEP_1) | instskip(SKIP_1) | instid1(VALU_DEP_2)
	v_fma_f64 v[120:121], v[172:173], v[180:181], -v[120:121]
	v_mul_f64 v[172:173], v[172:173], v[122:123]
	v_add_f64 v[60:61], v[60:61], -v[120:121]
	s_delay_alu instid0(VALU_DEP_2) | instskip(NEXT) | instid1(VALU_DEP_1)
	v_fma_f64 v[172:173], v[174:175], v[180:181], v[172:173]
	v_add_f64 v[62:63], v[62:63], -v[172:173]
	ds_load_2addr_b64 v[172:175], v182 offset0:56 offset1:57
	s_waitcnt lgkmcnt(0)
	v_mul_f64 v[120:121], v[174:175], v[122:123]
	s_delay_alu instid0(VALU_DEP_1) | instskip(SKIP_1) | instid1(VALU_DEP_2)
	v_fma_f64 v[120:121], v[172:173], v[180:181], -v[120:121]
	v_mul_f64 v[172:173], v[172:173], v[122:123]
	v_add_f64 v[56:57], v[56:57], -v[120:121]
	s_delay_alu instid0(VALU_DEP_2) | instskip(NEXT) | instid1(VALU_DEP_1)
	v_fma_f64 v[172:173], v[174:175], v[180:181], v[172:173]
	v_add_f64 v[58:59], v[58:59], -v[172:173]
	ds_load_2addr_b64 v[172:175], v182 offset0:58 offset1:59
	s_waitcnt lgkmcnt(0)
	v_mul_f64 v[120:121], v[174:175], v[122:123]
	s_delay_alu instid0(VALU_DEP_1) | instskip(SKIP_1) | instid1(VALU_DEP_2)
	v_fma_f64 v[120:121], v[172:173], v[180:181], -v[120:121]
	v_mul_f64 v[172:173], v[172:173], v[122:123]
	v_add_f64 v[52:53], v[52:53], -v[120:121]
	s_delay_alu instid0(VALU_DEP_2) | instskip(NEXT) | instid1(VALU_DEP_1)
	v_fma_f64 v[172:173], v[174:175], v[180:181], v[172:173]
	v_add_f64 v[54:55], v[54:55], -v[172:173]
	ds_load_2addr_b64 v[172:175], v182 offset0:60 offset1:61
	s_waitcnt lgkmcnt(0)
	v_mul_f64 v[120:121], v[174:175], v[122:123]
	s_delay_alu instid0(VALU_DEP_1) | instskip(SKIP_1) | instid1(VALU_DEP_2)
	v_fma_f64 v[120:121], v[172:173], v[180:181], -v[120:121]
	v_mul_f64 v[172:173], v[172:173], v[122:123]
	v_add_f64 v[48:49], v[48:49], -v[120:121]
	s_delay_alu instid0(VALU_DEP_2) | instskip(NEXT) | instid1(VALU_DEP_1)
	v_fma_f64 v[172:173], v[174:175], v[180:181], v[172:173]
	v_add_f64 v[50:51], v[50:51], -v[172:173]
	ds_load_2addr_b64 v[172:175], v182 offset0:62 offset1:63
	s_waitcnt lgkmcnt(0)
	v_mul_f64 v[120:121], v[174:175], v[122:123]
	s_delay_alu instid0(VALU_DEP_1) | instskip(SKIP_1) | instid1(VALU_DEP_2)
	v_fma_f64 v[120:121], v[172:173], v[180:181], -v[120:121]
	v_mul_f64 v[172:173], v[172:173], v[122:123]
	v_add_f64 v[44:45], v[44:45], -v[120:121]
	s_delay_alu instid0(VALU_DEP_2) | instskip(NEXT) | instid1(VALU_DEP_1)
	v_fma_f64 v[172:173], v[174:175], v[180:181], v[172:173]
	v_add_f64 v[46:47], v[46:47], -v[172:173]
	ds_load_2addr_b64 v[172:175], v182 offset0:64 offset1:65
	s_waitcnt lgkmcnt(0)
	v_mul_f64 v[120:121], v[174:175], v[122:123]
	s_delay_alu instid0(VALU_DEP_1) | instskip(SKIP_1) | instid1(VALU_DEP_2)
	v_fma_f64 v[120:121], v[172:173], v[180:181], -v[120:121]
	v_mul_f64 v[172:173], v[172:173], v[122:123]
	v_add_f64 v[40:41], v[40:41], -v[120:121]
	s_delay_alu instid0(VALU_DEP_2) | instskip(NEXT) | instid1(VALU_DEP_1)
	v_fma_f64 v[172:173], v[174:175], v[180:181], v[172:173]
	v_add_f64 v[42:43], v[42:43], -v[172:173]
	ds_load_2addr_b64 v[172:175], v182 offset0:66 offset1:67
	s_waitcnt lgkmcnt(0)
	v_mul_f64 v[120:121], v[174:175], v[122:123]
	s_delay_alu instid0(VALU_DEP_1) | instskip(SKIP_1) | instid1(VALU_DEP_2)
	v_fma_f64 v[120:121], v[172:173], v[180:181], -v[120:121]
	v_mul_f64 v[172:173], v[172:173], v[122:123]
	v_add_f64 v[36:37], v[36:37], -v[120:121]
	s_delay_alu instid0(VALU_DEP_2) | instskip(NEXT) | instid1(VALU_DEP_1)
	v_fma_f64 v[172:173], v[174:175], v[180:181], v[172:173]
	v_add_f64 v[38:39], v[38:39], -v[172:173]
	ds_load_2addr_b64 v[172:175], v182 offset0:68 offset1:69
	s_waitcnt lgkmcnt(0)
	v_mul_f64 v[120:121], v[174:175], v[122:123]
	s_delay_alu instid0(VALU_DEP_1) | instskip(SKIP_1) | instid1(VALU_DEP_2)
	v_fma_f64 v[120:121], v[172:173], v[180:181], -v[120:121]
	v_mul_f64 v[172:173], v[172:173], v[122:123]
	v_add_f64 v[32:33], v[32:33], -v[120:121]
	s_delay_alu instid0(VALU_DEP_2) | instskip(NEXT) | instid1(VALU_DEP_1)
	v_fma_f64 v[172:173], v[174:175], v[180:181], v[172:173]
	v_add_f64 v[34:35], v[34:35], -v[172:173]
	ds_load_2addr_b64 v[172:175], v182 offset0:70 offset1:71
	s_waitcnt lgkmcnt(0)
	v_mul_f64 v[120:121], v[174:175], v[122:123]
	s_delay_alu instid0(VALU_DEP_1) | instskip(SKIP_1) | instid1(VALU_DEP_2)
	v_fma_f64 v[120:121], v[172:173], v[180:181], -v[120:121]
	v_mul_f64 v[172:173], v[172:173], v[122:123]
	v_add_f64 v[28:29], v[28:29], -v[120:121]
	s_delay_alu instid0(VALU_DEP_2) | instskip(NEXT) | instid1(VALU_DEP_1)
	v_fma_f64 v[172:173], v[174:175], v[180:181], v[172:173]
	v_add_f64 v[30:31], v[30:31], -v[172:173]
	ds_load_2addr_b64 v[172:175], v182 offset0:72 offset1:73
	s_waitcnt lgkmcnt(0)
	v_mul_f64 v[120:121], v[174:175], v[122:123]
	s_delay_alu instid0(VALU_DEP_1) | instskip(SKIP_1) | instid1(VALU_DEP_2)
	v_fma_f64 v[120:121], v[172:173], v[180:181], -v[120:121]
	v_mul_f64 v[172:173], v[172:173], v[122:123]
	v_add_f64 v[24:25], v[24:25], -v[120:121]
	s_delay_alu instid0(VALU_DEP_2) | instskip(NEXT) | instid1(VALU_DEP_1)
	v_fma_f64 v[172:173], v[174:175], v[180:181], v[172:173]
	v_add_f64 v[26:27], v[26:27], -v[172:173]
	ds_load_2addr_b64 v[172:175], v182 offset0:74 offset1:75
	s_waitcnt lgkmcnt(0)
	v_mul_f64 v[120:121], v[174:175], v[122:123]
	s_delay_alu instid0(VALU_DEP_1) | instskip(SKIP_1) | instid1(VALU_DEP_2)
	v_fma_f64 v[120:121], v[172:173], v[180:181], -v[120:121]
	v_mul_f64 v[172:173], v[172:173], v[122:123]
	v_add_f64 v[20:21], v[20:21], -v[120:121]
	s_delay_alu instid0(VALU_DEP_2) | instskip(NEXT) | instid1(VALU_DEP_1)
	v_fma_f64 v[172:173], v[174:175], v[180:181], v[172:173]
	v_add_f64 v[22:23], v[22:23], -v[172:173]
	ds_load_2addr_b64 v[172:175], v182 offset0:76 offset1:77
	s_waitcnt lgkmcnt(0)
	v_mul_f64 v[120:121], v[174:175], v[122:123]
	s_delay_alu instid0(VALU_DEP_1) | instskip(SKIP_1) | instid1(VALU_DEP_2)
	v_fma_f64 v[120:121], v[172:173], v[180:181], -v[120:121]
	v_mul_f64 v[172:173], v[172:173], v[122:123]
	v_add_f64 v[16:17], v[16:17], -v[120:121]
	s_delay_alu instid0(VALU_DEP_2) | instskip(NEXT) | instid1(VALU_DEP_1)
	v_fma_f64 v[172:173], v[174:175], v[180:181], v[172:173]
	v_add_f64 v[18:19], v[18:19], -v[172:173]
	ds_load_2addr_b64 v[172:175], v182 offset0:78 offset1:79
	s_waitcnt lgkmcnt(0)
	v_mul_f64 v[120:121], v[174:175], v[122:123]
	s_delay_alu instid0(VALU_DEP_1) | instskip(SKIP_1) | instid1(VALU_DEP_2)
	v_fma_f64 v[120:121], v[172:173], v[180:181], -v[120:121]
	v_mul_f64 v[172:173], v[172:173], v[122:123]
	v_add_f64 v[12:13], v[12:13], -v[120:121]
	s_delay_alu instid0(VALU_DEP_2) | instskip(NEXT) | instid1(VALU_DEP_1)
	v_fma_f64 v[172:173], v[174:175], v[180:181], v[172:173]
	v_add_f64 v[14:15], v[14:15], -v[172:173]
	ds_load_2addr_b64 v[172:175], v182 offset0:80 offset1:81
	s_waitcnt lgkmcnt(0)
	v_mul_f64 v[120:121], v[174:175], v[122:123]
	s_delay_alu instid0(VALU_DEP_1) | instskip(SKIP_1) | instid1(VALU_DEP_2)
	v_fma_f64 v[120:121], v[172:173], v[180:181], -v[120:121]
	v_mul_f64 v[172:173], v[172:173], v[122:123]
	v_add_f64 v[8:9], v[8:9], -v[120:121]
	s_delay_alu instid0(VALU_DEP_2) | instskip(NEXT) | instid1(VALU_DEP_1)
	v_fma_f64 v[172:173], v[174:175], v[180:181], v[172:173]
	v_add_f64 v[10:11], v[10:11], -v[172:173]
	ds_load_2addr_b64 v[172:175], v182 offset0:82 offset1:83
	s_waitcnt lgkmcnt(0)
	v_mul_f64 v[120:121], v[174:175], v[122:123]
	s_delay_alu instid0(VALU_DEP_1) | instskip(SKIP_1) | instid1(VALU_DEP_2)
	v_fma_f64 v[120:121], v[172:173], v[180:181], -v[120:121]
	v_mul_f64 v[172:173], v[172:173], v[122:123]
	v_add_f64 v[4:5], v[4:5], -v[120:121]
	s_delay_alu instid0(VALU_DEP_2) | instskip(NEXT) | instid1(VALU_DEP_1)
	v_fma_f64 v[172:173], v[174:175], v[180:181], v[172:173]
	v_add_f64 v[6:7], v[6:7], -v[172:173]
	ds_load_2addr_b64 v[172:175], v182 offset0:84 offset1:85
	s_waitcnt lgkmcnt(0)
	v_mul_f64 v[120:121], v[174:175], v[122:123]
	s_delay_alu instid0(VALU_DEP_1) | instskip(SKIP_1) | instid1(VALU_DEP_2)
	v_fma_f64 v[120:121], v[172:173], v[180:181], -v[120:121]
	v_mul_f64 v[172:173], v[172:173], v[122:123]
	v_add_f64 v[0:1], v[0:1], -v[120:121]
	s_delay_alu instid0(VALU_DEP_2) | instskip(SKIP_1) | instid1(VALU_DEP_2)
	v_fma_f64 v[172:173], v[174:175], v[180:181], v[172:173]
	v_dual_mov_b32 v120, v180 :: v_dual_mov_b32 v121, v181
	v_add_f64 v[2:3], v[2:3], -v[172:173]
.LBB84_272:
	s_or_b32 exec_lo, exec_lo, s2
	v_lshl_add_u32 v172, v188, 4, v182
	s_barrier
	buffer_gl0_inv
	v_mov_b32_e32 v180, 13
	ds_store_2addr_b64 v172, v[116:117], v[118:119] offset1:1
	s_waitcnt lgkmcnt(0)
	s_barrier
	buffer_gl0_inv
	ds_load_2addr_b64 v[172:175], v182 offset0:26 offset1:27
	s_cmp_lt_i32 s5, 15
	s_cbranch_scc1 .LBB84_275
; %bb.273:
	v_add3_u32 v181, v186, 0, 0xe0
	v_mov_b32_e32 v180, 13
	s_mov_b32 s6, 14
	s_set_inst_prefetch_distance 0x1
	.p2align	6
.LBB84_274:                             ; =>This Inner Loop Header: Depth=1
	ds_load_2addr_b64 v[189:192], v181 offset1:1
	s_waitcnt lgkmcnt(1)
	v_cmp_gt_f64_e32 vcc_lo, 0, v[172:173]
	v_xor_b32_e32 v193, 0x80000000, v173
	v_cmp_gt_f64_e64 s2, 0, v[174:175]
	v_xor_b32_e32 v195, 0x80000000, v175
	v_add_nc_u32_e32 v181, 16, v181
	s_waitcnt lgkmcnt(0)
	v_cmp_gt_f64_e64 s3, 0, v[189:190]
	v_mov_b32_e32 v197, v189
	v_dual_mov_b32 v199, v191 :: v_dual_cndmask_b32 v194, v173, v193
	v_xor_b32_e32 v193, 0x80000000, v190
	v_cndmask_b32_e64 v196, v175, v195, s2
	v_xor_b32_e32 v195, 0x80000000, v192
	s_delay_alu instid0(VALU_DEP_3) | instskip(SKIP_2) | instid1(VALU_DEP_2)
	v_cndmask_b32_e64 v198, v190, v193, s3
	v_cmp_gt_f64_e64 s3, 0, v[191:192]
	v_cndmask_b32_e32 v193, v172, v172, vcc_lo
	v_cndmask_b32_e64 v200, v192, v195, s3
	v_cndmask_b32_e64 v195, v174, v174, s2
	s_delay_alu instid0(VALU_DEP_2) | instskip(NEXT) | instid1(VALU_DEP_2)
	v_add_f64 v[197:198], v[197:198], v[199:200]
	v_add_f64 v[193:194], v[193:194], v[195:196]
	s_delay_alu instid0(VALU_DEP_1) | instskip(SKIP_4) | instid1(SALU_CYCLE_1)
	v_cmp_lt_f64_e32 vcc_lo, v[193:194], v[197:198]
	v_dual_cndmask_b32 v174, v174, v191 :: v_dual_cndmask_b32 v173, v173, v190
	v_dual_cndmask_b32 v172, v172, v189 :: v_dual_cndmask_b32 v175, v175, v192
	v_cndmask_b32_e64 v180, v180, s6, vcc_lo
	s_add_i32 s6, s6, 1
	s_cmp_lg_u32 s5, s6
	s_cbranch_scc1 .LBB84_274
.LBB84_275:
	s_set_inst_prefetch_distance 0x2
	s_waitcnt lgkmcnt(0)
	v_cmp_eq_f64_e32 vcc_lo, 0, v[172:173]
	v_cmp_eq_f64_e64 s2, 0, v[174:175]
	s_delay_alu instid0(VALU_DEP_1) | instskip(NEXT) | instid1(SALU_CYCLE_1)
	s_and_b32 s2, vcc_lo, s2
	s_and_saveexec_b32 s3, s2
	s_delay_alu instid0(SALU_CYCLE_1)
	s_xor_b32 s2, exec_lo, s3
; %bb.276:
	v_cmp_ne_u32_e32 vcc_lo, 0, v185
	v_cndmask_b32_e32 v185, 14, v185, vcc_lo
; %bb.277:
	s_and_not1_saveexec_b32 s3, s2
	s_cbranch_execz .LBB84_283
; %bb.278:
	v_cmp_gt_f64_e32 vcc_lo, 0, v[172:173]
	v_cmp_gt_f64_e64 s2, 0, v[174:175]
	v_xor_b32_e32 v181, 0x80000000, v173
	v_xor_b32_e32 v189, 0x80000000, v175
	s_delay_alu instid0(VALU_DEP_2) | instskip(NEXT) | instid1(VALU_DEP_2)
	v_cndmask_b32_e32 v190, v173, v181, vcc_lo
	v_cndmask_b32_e64 v192, v175, v189, s2
	v_cndmask_b32_e32 v189, v172, v172, vcc_lo
	v_cndmask_b32_e64 v191, v174, v174, s2
	s_mov_b32 s2, exec_lo
	s_delay_alu instid0(VALU_DEP_1)
	v_cmpx_ngt_f64_e32 v[189:190], v[191:192]
	s_xor_b32 s2, exec_lo, s2
	s_cbranch_execz .LBB84_280
; %bb.279:
	v_div_scale_f64 v[189:190], null, v[174:175], v[174:175], v[172:173]
	v_div_scale_f64 v[195:196], vcc_lo, v[172:173], v[174:175], v[172:173]
	s_delay_alu instid0(VALU_DEP_2) | instskip(SKIP_2) | instid1(VALU_DEP_1)
	v_rcp_f64_e32 v[191:192], v[189:190]
	s_waitcnt_depctr 0xfff
	v_fma_f64 v[193:194], -v[189:190], v[191:192], 1.0
	v_fma_f64 v[191:192], v[191:192], v[193:194], v[191:192]
	s_delay_alu instid0(VALU_DEP_1) | instskip(NEXT) | instid1(VALU_DEP_1)
	v_fma_f64 v[193:194], -v[189:190], v[191:192], 1.0
	v_fma_f64 v[191:192], v[191:192], v[193:194], v[191:192]
	s_delay_alu instid0(VALU_DEP_1) | instskip(NEXT) | instid1(VALU_DEP_1)
	v_mul_f64 v[193:194], v[195:196], v[191:192]
	v_fma_f64 v[189:190], -v[189:190], v[193:194], v[195:196]
	s_delay_alu instid0(VALU_DEP_1) | instskip(NEXT) | instid1(VALU_DEP_1)
	v_div_fmas_f64 v[189:190], v[189:190], v[191:192], v[193:194]
	v_div_fixup_f64 v[189:190], v[189:190], v[174:175], v[172:173]
	s_delay_alu instid0(VALU_DEP_1) | instskip(NEXT) | instid1(VALU_DEP_1)
	v_fma_f64 v[172:173], v[172:173], v[189:190], v[174:175]
	v_div_scale_f64 v[174:175], null, v[172:173], v[172:173], 1.0
	s_delay_alu instid0(VALU_DEP_1) | instskip(SKIP_2) | instid1(VALU_DEP_1)
	v_rcp_f64_e32 v[191:192], v[174:175]
	s_waitcnt_depctr 0xfff
	v_fma_f64 v[193:194], -v[174:175], v[191:192], 1.0
	v_fma_f64 v[191:192], v[191:192], v[193:194], v[191:192]
	s_delay_alu instid0(VALU_DEP_1) | instskip(NEXT) | instid1(VALU_DEP_1)
	v_fma_f64 v[193:194], -v[174:175], v[191:192], 1.0
	v_fma_f64 v[191:192], v[191:192], v[193:194], v[191:192]
	v_div_scale_f64 v[193:194], vcc_lo, 1.0, v[172:173], 1.0
	s_delay_alu instid0(VALU_DEP_1) | instskip(NEXT) | instid1(VALU_DEP_1)
	v_mul_f64 v[195:196], v[193:194], v[191:192]
	v_fma_f64 v[174:175], -v[174:175], v[195:196], v[193:194]
	s_delay_alu instid0(VALU_DEP_1) | instskip(NEXT) | instid1(VALU_DEP_1)
	v_div_fmas_f64 v[174:175], v[174:175], v[191:192], v[195:196]
	v_div_fixup_f64 v[174:175], v[174:175], v[172:173], 1.0
	s_delay_alu instid0(VALU_DEP_1)
	v_mul_f64 v[172:173], v[189:190], v[174:175]
	v_xor_b32_e32 v175, 0x80000000, v175
.LBB84_280:
	s_and_not1_saveexec_b32 s2, s2
	s_cbranch_execz .LBB84_282
; %bb.281:
	s_delay_alu instid0(VALU_DEP_1) | instskip(SKIP_1) | instid1(VALU_DEP_2)
	v_div_scale_f64 v[189:190], null, v[172:173], v[172:173], v[174:175]
	v_div_scale_f64 v[195:196], vcc_lo, v[174:175], v[172:173], v[174:175]
	v_rcp_f64_e32 v[191:192], v[189:190]
	s_waitcnt_depctr 0xfff
	v_fma_f64 v[193:194], -v[189:190], v[191:192], 1.0
	s_delay_alu instid0(VALU_DEP_1) | instskip(NEXT) | instid1(VALU_DEP_1)
	v_fma_f64 v[191:192], v[191:192], v[193:194], v[191:192]
	v_fma_f64 v[193:194], -v[189:190], v[191:192], 1.0
	s_delay_alu instid0(VALU_DEP_1) | instskip(NEXT) | instid1(VALU_DEP_1)
	v_fma_f64 v[191:192], v[191:192], v[193:194], v[191:192]
	v_mul_f64 v[193:194], v[195:196], v[191:192]
	s_delay_alu instid0(VALU_DEP_1) | instskip(NEXT) | instid1(VALU_DEP_1)
	v_fma_f64 v[189:190], -v[189:190], v[193:194], v[195:196]
	v_div_fmas_f64 v[189:190], v[189:190], v[191:192], v[193:194]
	s_delay_alu instid0(VALU_DEP_1) | instskip(NEXT) | instid1(VALU_DEP_1)
	v_div_fixup_f64 v[189:190], v[189:190], v[172:173], v[174:175]
	v_fma_f64 v[172:173], v[174:175], v[189:190], v[172:173]
	s_delay_alu instid0(VALU_DEP_1) | instskip(NEXT) | instid1(VALU_DEP_1)
	v_div_scale_f64 v[174:175], null, v[172:173], v[172:173], 1.0
	v_rcp_f64_e32 v[191:192], v[174:175]
	s_waitcnt_depctr 0xfff
	v_fma_f64 v[193:194], -v[174:175], v[191:192], 1.0
	s_delay_alu instid0(VALU_DEP_1) | instskip(NEXT) | instid1(VALU_DEP_1)
	v_fma_f64 v[191:192], v[191:192], v[193:194], v[191:192]
	v_fma_f64 v[193:194], -v[174:175], v[191:192], 1.0
	s_delay_alu instid0(VALU_DEP_1) | instskip(SKIP_1) | instid1(VALU_DEP_1)
	v_fma_f64 v[191:192], v[191:192], v[193:194], v[191:192]
	v_div_scale_f64 v[193:194], vcc_lo, 1.0, v[172:173], 1.0
	v_mul_f64 v[195:196], v[193:194], v[191:192]
	s_delay_alu instid0(VALU_DEP_1) | instskip(NEXT) | instid1(VALU_DEP_1)
	v_fma_f64 v[174:175], -v[174:175], v[195:196], v[193:194]
	v_div_fmas_f64 v[174:175], v[174:175], v[191:192], v[195:196]
	s_delay_alu instid0(VALU_DEP_1) | instskip(NEXT) | instid1(VALU_DEP_1)
	v_div_fixup_f64 v[172:173], v[174:175], v[172:173], 1.0
	v_mul_f64 v[174:175], v[189:190], -v[172:173]
.LBB84_282:
	s_or_b32 exec_lo, exec_lo, s2
.LBB84_283:
	s_delay_alu instid0(SALU_CYCLE_1) | instskip(NEXT) | instid1(SALU_CYCLE_1)
	s_or_b32 exec_lo, exec_lo, s3
	s_mov_b32 s2, exec_lo
	v_cmpx_ne_u32_e64 v188, v180
	s_xor_b32 s2, exec_lo, s2
	s_cbranch_execz .LBB84_289
; %bb.284:
	s_mov_b32 s3, exec_lo
	v_cmpx_eq_u32_e32 13, v188
	s_cbranch_execz .LBB84_288
; %bb.285:
	v_cmp_ne_u32_e32 vcc_lo, 13, v180
	s_xor_b32 s6, s4, -1
	s_delay_alu instid0(SALU_CYCLE_1) | instskip(NEXT) | instid1(SALU_CYCLE_1)
	s_and_b32 s7, s6, vcc_lo
	s_and_saveexec_b32 s6, s7
	s_cbranch_execz .LBB84_287
; %bb.286:
	v_ashrrev_i32_e32 v181, 31, v180
	s_delay_alu instid0(VALU_DEP_1) | instskip(NEXT) | instid1(VALU_DEP_1)
	v_lshlrev_b64 v[187:188], 2, v[180:181]
	v_add_co_u32 v187, vcc_lo, v178, v187
	s_delay_alu instid0(VALU_DEP_2)
	v_add_co_ci_u32_e32 v188, vcc_lo, v179, v188, vcc_lo
	s_clause 0x1
	flat_load_b32 v181, v[187:188]
	flat_load_b32 v189, v[178:179] offset:52
	s_waitcnt vmcnt(1) lgkmcnt(1)
	flat_store_b32 v[178:179], v181 offset:52
	s_waitcnt vmcnt(0) lgkmcnt(1)
	flat_store_b32 v[187:188], v189
.LBB84_287:
	s_or_b32 exec_lo, exec_lo, s6
	v_mov_b32_e32 v188, v180
	v_mov_b32_e32 v187, v180
.LBB84_288:
	s_or_b32 exec_lo, exec_lo, s3
.LBB84_289:
	s_and_not1_saveexec_b32 s2, s2
	s_cbranch_execz .LBB84_291
; %bb.290:
	v_mov_b32_e32 v188, 13
	ds_store_2addr_b64 v182, v[112:113], v[114:115] offset0:28 offset1:29
	ds_store_2addr_b64 v182, v[108:109], v[110:111] offset0:30 offset1:31
	;; [unrolled: 1-line block ×29, first 2 shown]
.LBB84_291:
	s_or_b32 exec_lo, exec_lo, s2
	s_delay_alu instid0(SALU_CYCLE_1)
	s_mov_b32 s2, exec_lo
	s_waitcnt lgkmcnt(0)
	s_waitcnt_vscnt null, 0x0
	s_barrier
	buffer_gl0_inv
	v_cmpx_lt_i32_e32 13, v188
	s_cbranch_execz .LBB84_293
; %bb.292:
	v_mul_f64 v[180:181], v[174:175], v[118:119]
	v_mul_f64 v[118:119], v[172:173], v[118:119]
	s_delay_alu instid0(VALU_DEP_2) | instskip(NEXT) | instid1(VALU_DEP_2)
	v_fma_f64 v[180:181], v[172:173], v[116:117], -v[180:181]
	v_fma_f64 v[118:119], v[174:175], v[116:117], v[118:119]
	ds_load_2addr_b64 v[172:175], v182 offset0:28 offset1:29
	s_waitcnt lgkmcnt(0)
	v_mul_f64 v[116:117], v[174:175], v[118:119]
	s_delay_alu instid0(VALU_DEP_1) | instskip(SKIP_1) | instid1(VALU_DEP_2)
	v_fma_f64 v[116:117], v[172:173], v[180:181], -v[116:117]
	v_mul_f64 v[172:173], v[172:173], v[118:119]
	v_add_f64 v[112:113], v[112:113], -v[116:117]
	s_delay_alu instid0(VALU_DEP_2) | instskip(NEXT) | instid1(VALU_DEP_1)
	v_fma_f64 v[172:173], v[174:175], v[180:181], v[172:173]
	v_add_f64 v[114:115], v[114:115], -v[172:173]
	ds_load_2addr_b64 v[172:175], v182 offset0:30 offset1:31
	s_waitcnt lgkmcnt(0)
	v_mul_f64 v[116:117], v[174:175], v[118:119]
	s_delay_alu instid0(VALU_DEP_1) | instskip(SKIP_1) | instid1(VALU_DEP_2)
	v_fma_f64 v[116:117], v[172:173], v[180:181], -v[116:117]
	v_mul_f64 v[172:173], v[172:173], v[118:119]
	v_add_f64 v[108:109], v[108:109], -v[116:117]
	s_delay_alu instid0(VALU_DEP_2) | instskip(NEXT) | instid1(VALU_DEP_1)
	v_fma_f64 v[172:173], v[174:175], v[180:181], v[172:173]
	v_add_f64 v[110:111], v[110:111], -v[172:173]
	;; [unrolled: 10-line block ×28, first 2 shown]
	ds_load_2addr_b64 v[172:175], v182 offset0:84 offset1:85
	s_waitcnt lgkmcnt(0)
	v_mul_f64 v[116:117], v[174:175], v[118:119]
	s_delay_alu instid0(VALU_DEP_1) | instskip(SKIP_1) | instid1(VALU_DEP_2)
	v_fma_f64 v[116:117], v[172:173], v[180:181], -v[116:117]
	v_mul_f64 v[172:173], v[172:173], v[118:119]
	v_add_f64 v[0:1], v[0:1], -v[116:117]
	s_delay_alu instid0(VALU_DEP_2) | instskip(SKIP_1) | instid1(VALU_DEP_2)
	v_fma_f64 v[172:173], v[174:175], v[180:181], v[172:173]
	v_dual_mov_b32 v116, v180 :: v_dual_mov_b32 v117, v181
	v_add_f64 v[2:3], v[2:3], -v[172:173]
.LBB84_293:
	s_or_b32 exec_lo, exec_lo, s2
	v_lshl_add_u32 v172, v188, 4, v182
	s_barrier
	buffer_gl0_inv
	v_mov_b32_e32 v180, 14
	ds_store_2addr_b64 v172, v[112:113], v[114:115] offset1:1
	s_waitcnt lgkmcnt(0)
	s_barrier
	buffer_gl0_inv
	ds_load_2addr_b64 v[172:175], v182 offset0:28 offset1:29
	s_cmp_lt_i32 s5, 16
	s_cbranch_scc1 .LBB84_296
; %bb.294:
	v_add3_u32 v181, v186, 0, 0xf0
	v_mov_b32_e32 v180, 14
	s_mov_b32 s6, 15
	s_set_inst_prefetch_distance 0x1
	.p2align	6
.LBB84_295:                             ; =>This Inner Loop Header: Depth=1
	ds_load_2addr_b64 v[189:192], v181 offset1:1
	s_waitcnt lgkmcnt(1)
	v_cmp_gt_f64_e32 vcc_lo, 0, v[172:173]
	v_xor_b32_e32 v193, 0x80000000, v173
	v_cmp_gt_f64_e64 s2, 0, v[174:175]
	v_xor_b32_e32 v195, 0x80000000, v175
	v_add_nc_u32_e32 v181, 16, v181
	s_waitcnt lgkmcnt(0)
	v_cmp_gt_f64_e64 s3, 0, v[189:190]
	v_mov_b32_e32 v197, v189
	v_dual_mov_b32 v199, v191 :: v_dual_cndmask_b32 v194, v173, v193
	v_xor_b32_e32 v193, 0x80000000, v190
	v_cndmask_b32_e64 v196, v175, v195, s2
	v_xor_b32_e32 v195, 0x80000000, v192
	s_delay_alu instid0(VALU_DEP_3) | instskip(SKIP_2) | instid1(VALU_DEP_2)
	v_cndmask_b32_e64 v198, v190, v193, s3
	v_cmp_gt_f64_e64 s3, 0, v[191:192]
	v_cndmask_b32_e32 v193, v172, v172, vcc_lo
	v_cndmask_b32_e64 v200, v192, v195, s3
	v_cndmask_b32_e64 v195, v174, v174, s2
	s_delay_alu instid0(VALU_DEP_2) | instskip(NEXT) | instid1(VALU_DEP_2)
	v_add_f64 v[197:198], v[197:198], v[199:200]
	v_add_f64 v[193:194], v[193:194], v[195:196]
	s_delay_alu instid0(VALU_DEP_1) | instskip(SKIP_4) | instid1(SALU_CYCLE_1)
	v_cmp_lt_f64_e32 vcc_lo, v[193:194], v[197:198]
	v_dual_cndmask_b32 v174, v174, v191 :: v_dual_cndmask_b32 v173, v173, v190
	v_dual_cndmask_b32 v172, v172, v189 :: v_dual_cndmask_b32 v175, v175, v192
	v_cndmask_b32_e64 v180, v180, s6, vcc_lo
	s_add_i32 s6, s6, 1
	s_cmp_lg_u32 s5, s6
	s_cbranch_scc1 .LBB84_295
.LBB84_296:
	s_set_inst_prefetch_distance 0x2
	s_waitcnt lgkmcnt(0)
	v_cmp_eq_f64_e32 vcc_lo, 0, v[172:173]
	v_cmp_eq_f64_e64 s2, 0, v[174:175]
	s_delay_alu instid0(VALU_DEP_1) | instskip(NEXT) | instid1(SALU_CYCLE_1)
	s_and_b32 s2, vcc_lo, s2
	s_and_saveexec_b32 s3, s2
	s_delay_alu instid0(SALU_CYCLE_1)
	s_xor_b32 s2, exec_lo, s3
; %bb.297:
	v_cmp_ne_u32_e32 vcc_lo, 0, v185
	v_cndmask_b32_e32 v185, 15, v185, vcc_lo
; %bb.298:
	s_and_not1_saveexec_b32 s3, s2
	s_cbranch_execz .LBB84_304
; %bb.299:
	v_cmp_gt_f64_e32 vcc_lo, 0, v[172:173]
	v_cmp_gt_f64_e64 s2, 0, v[174:175]
	v_xor_b32_e32 v181, 0x80000000, v173
	v_xor_b32_e32 v189, 0x80000000, v175
	s_delay_alu instid0(VALU_DEP_2) | instskip(NEXT) | instid1(VALU_DEP_2)
	v_cndmask_b32_e32 v190, v173, v181, vcc_lo
	v_cndmask_b32_e64 v192, v175, v189, s2
	v_cndmask_b32_e32 v189, v172, v172, vcc_lo
	v_cndmask_b32_e64 v191, v174, v174, s2
	s_mov_b32 s2, exec_lo
	s_delay_alu instid0(VALU_DEP_1)
	v_cmpx_ngt_f64_e32 v[189:190], v[191:192]
	s_xor_b32 s2, exec_lo, s2
	s_cbranch_execz .LBB84_301
; %bb.300:
	v_div_scale_f64 v[189:190], null, v[174:175], v[174:175], v[172:173]
	v_div_scale_f64 v[195:196], vcc_lo, v[172:173], v[174:175], v[172:173]
	s_delay_alu instid0(VALU_DEP_2) | instskip(SKIP_2) | instid1(VALU_DEP_1)
	v_rcp_f64_e32 v[191:192], v[189:190]
	s_waitcnt_depctr 0xfff
	v_fma_f64 v[193:194], -v[189:190], v[191:192], 1.0
	v_fma_f64 v[191:192], v[191:192], v[193:194], v[191:192]
	s_delay_alu instid0(VALU_DEP_1) | instskip(NEXT) | instid1(VALU_DEP_1)
	v_fma_f64 v[193:194], -v[189:190], v[191:192], 1.0
	v_fma_f64 v[191:192], v[191:192], v[193:194], v[191:192]
	s_delay_alu instid0(VALU_DEP_1) | instskip(NEXT) | instid1(VALU_DEP_1)
	v_mul_f64 v[193:194], v[195:196], v[191:192]
	v_fma_f64 v[189:190], -v[189:190], v[193:194], v[195:196]
	s_delay_alu instid0(VALU_DEP_1) | instskip(NEXT) | instid1(VALU_DEP_1)
	v_div_fmas_f64 v[189:190], v[189:190], v[191:192], v[193:194]
	v_div_fixup_f64 v[189:190], v[189:190], v[174:175], v[172:173]
	s_delay_alu instid0(VALU_DEP_1) | instskip(NEXT) | instid1(VALU_DEP_1)
	v_fma_f64 v[172:173], v[172:173], v[189:190], v[174:175]
	v_div_scale_f64 v[174:175], null, v[172:173], v[172:173], 1.0
	s_delay_alu instid0(VALU_DEP_1) | instskip(SKIP_2) | instid1(VALU_DEP_1)
	v_rcp_f64_e32 v[191:192], v[174:175]
	s_waitcnt_depctr 0xfff
	v_fma_f64 v[193:194], -v[174:175], v[191:192], 1.0
	v_fma_f64 v[191:192], v[191:192], v[193:194], v[191:192]
	s_delay_alu instid0(VALU_DEP_1) | instskip(NEXT) | instid1(VALU_DEP_1)
	v_fma_f64 v[193:194], -v[174:175], v[191:192], 1.0
	v_fma_f64 v[191:192], v[191:192], v[193:194], v[191:192]
	v_div_scale_f64 v[193:194], vcc_lo, 1.0, v[172:173], 1.0
	s_delay_alu instid0(VALU_DEP_1) | instskip(NEXT) | instid1(VALU_DEP_1)
	v_mul_f64 v[195:196], v[193:194], v[191:192]
	v_fma_f64 v[174:175], -v[174:175], v[195:196], v[193:194]
	s_delay_alu instid0(VALU_DEP_1) | instskip(NEXT) | instid1(VALU_DEP_1)
	v_div_fmas_f64 v[174:175], v[174:175], v[191:192], v[195:196]
	v_div_fixup_f64 v[174:175], v[174:175], v[172:173], 1.0
	s_delay_alu instid0(VALU_DEP_1)
	v_mul_f64 v[172:173], v[189:190], v[174:175]
	v_xor_b32_e32 v175, 0x80000000, v175
.LBB84_301:
	s_and_not1_saveexec_b32 s2, s2
	s_cbranch_execz .LBB84_303
; %bb.302:
	s_delay_alu instid0(VALU_DEP_1) | instskip(SKIP_1) | instid1(VALU_DEP_2)
	v_div_scale_f64 v[189:190], null, v[172:173], v[172:173], v[174:175]
	v_div_scale_f64 v[195:196], vcc_lo, v[174:175], v[172:173], v[174:175]
	v_rcp_f64_e32 v[191:192], v[189:190]
	s_waitcnt_depctr 0xfff
	v_fma_f64 v[193:194], -v[189:190], v[191:192], 1.0
	s_delay_alu instid0(VALU_DEP_1) | instskip(NEXT) | instid1(VALU_DEP_1)
	v_fma_f64 v[191:192], v[191:192], v[193:194], v[191:192]
	v_fma_f64 v[193:194], -v[189:190], v[191:192], 1.0
	s_delay_alu instid0(VALU_DEP_1) | instskip(NEXT) | instid1(VALU_DEP_1)
	v_fma_f64 v[191:192], v[191:192], v[193:194], v[191:192]
	v_mul_f64 v[193:194], v[195:196], v[191:192]
	s_delay_alu instid0(VALU_DEP_1) | instskip(NEXT) | instid1(VALU_DEP_1)
	v_fma_f64 v[189:190], -v[189:190], v[193:194], v[195:196]
	v_div_fmas_f64 v[189:190], v[189:190], v[191:192], v[193:194]
	s_delay_alu instid0(VALU_DEP_1) | instskip(NEXT) | instid1(VALU_DEP_1)
	v_div_fixup_f64 v[189:190], v[189:190], v[172:173], v[174:175]
	v_fma_f64 v[172:173], v[174:175], v[189:190], v[172:173]
	s_delay_alu instid0(VALU_DEP_1) | instskip(NEXT) | instid1(VALU_DEP_1)
	v_div_scale_f64 v[174:175], null, v[172:173], v[172:173], 1.0
	v_rcp_f64_e32 v[191:192], v[174:175]
	s_waitcnt_depctr 0xfff
	v_fma_f64 v[193:194], -v[174:175], v[191:192], 1.0
	s_delay_alu instid0(VALU_DEP_1) | instskip(NEXT) | instid1(VALU_DEP_1)
	v_fma_f64 v[191:192], v[191:192], v[193:194], v[191:192]
	v_fma_f64 v[193:194], -v[174:175], v[191:192], 1.0
	s_delay_alu instid0(VALU_DEP_1) | instskip(SKIP_1) | instid1(VALU_DEP_1)
	v_fma_f64 v[191:192], v[191:192], v[193:194], v[191:192]
	v_div_scale_f64 v[193:194], vcc_lo, 1.0, v[172:173], 1.0
	v_mul_f64 v[195:196], v[193:194], v[191:192]
	s_delay_alu instid0(VALU_DEP_1) | instskip(NEXT) | instid1(VALU_DEP_1)
	v_fma_f64 v[174:175], -v[174:175], v[195:196], v[193:194]
	v_div_fmas_f64 v[174:175], v[174:175], v[191:192], v[195:196]
	s_delay_alu instid0(VALU_DEP_1) | instskip(NEXT) | instid1(VALU_DEP_1)
	v_div_fixup_f64 v[172:173], v[174:175], v[172:173], 1.0
	v_mul_f64 v[174:175], v[189:190], -v[172:173]
.LBB84_303:
	s_or_b32 exec_lo, exec_lo, s2
.LBB84_304:
	s_delay_alu instid0(SALU_CYCLE_1) | instskip(NEXT) | instid1(SALU_CYCLE_1)
	s_or_b32 exec_lo, exec_lo, s3
	s_mov_b32 s2, exec_lo
	v_cmpx_ne_u32_e64 v188, v180
	s_xor_b32 s2, exec_lo, s2
	s_cbranch_execz .LBB84_310
; %bb.305:
	s_mov_b32 s3, exec_lo
	v_cmpx_eq_u32_e32 14, v188
	s_cbranch_execz .LBB84_309
; %bb.306:
	v_cmp_ne_u32_e32 vcc_lo, 14, v180
	s_xor_b32 s6, s4, -1
	s_delay_alu instid0(SALU_CYCLE_1) | instskip(NEXT) | instid1(SALU_CYCLE_1)
	s_and_b32 s7, s6, vcc_lo
	s_and_saveexec_b32 s6, s7
	s_cbranch_execz .LBB84_308
; %bb.307:
	v_ashrrev_i32_e32 v181, 31, v180
	s_delay_alu instid0(VALU_DEP_1) | instskip(NEXT) | instid1(VALU_DEP_1)
	v_lshlrev_b64 v[187:188], 2, v[180:181]
	v_add_co_u32 v187, vcc_lo, v178, v187
	s_delay_alu instid0(VALU_DEP_2)
	v_add_co_ci_u32_e32 v188, vcc_lo, v179, v188, vcc_lo
	s_clause 0x1
	flat_load_b32 v181, v[187:188]
	flat_load_b32 v189, v[178:179] offset:56
	s_waitcnt vmcnt(1) lgkmcnt(1)
	flat_store_b32 v[178:179], v181 offset:56
	s_waitcnt vmcnt(0) lgkmcnt(1)
	flat_store_b32 v[187:188], v189
.LBB84_308:
	s_or_b32 exec_lo, exec_lo, s6
	v_mov_b32_e32 v188, v180
	v_mov_b32_e32 v187, v180
.LBB84_309:
	s_or_b32 exec_lo, exec_lo, s3
.LBB84_310:
	s_and_not1_saveexec_b32 s2, s2
	s_cbranch_execz .LBB84_312
; %bb.311:
	v_mov_b32_e32 v188, 14
	ds_store_2addr_b64 v182, v[108:109], v[110:111] offset0:30 offset1:31
	ds_store_2addr_b64 v182, v[104:105], v[106:107] offset0:32 offset1:33
	;; [unrolled: 1-line block ×28, first 2 shown]
.LBB84_312:
	s_or_b32 exec_lo, exec_lo, s2
	s_delay_alu instid0(SALU_CYCLE_1)
	s_mov_b32 s2, exec_lo
	s_waitcnt lgkmcnt(0)
	s_waitcnt_vscnt null, 0x0
	s_barrier
	buffer_gl0_inv
	v_cmpx_lt_i32_e32 14, v188
	s_cbranch_execz .LBB84_314
; %bb.313:
	v_mul_f64 v[180:181], v[174:175], v[114:115]
	v_mul_f64 v[114:115], v[172:173], v[114:115]
	s_delay_alu instid0(VALU_DEP_2) | instskip(NEXT) | instid1(VALU_DEP_2)
	v_fma_f64 v[180:181], v[172:173], v[112:113], -v[180:181]
	v_fma_f64 v[114:115], v[174:175], v[112:113], v[114:115]
	ds_load_2addr_b64 v[172:175], v182 offset0:30 offset1:31
	s_waitcnt lgkmcnt(0)
	v_mul_f64 v[112:113], v[174:175], v[114:115]
	s_delay_alu instid0(VALU_DEP_1) | instskip(SKIP_1) | instid1(VALU_DEP_2)
	v_fma_f64 v[112:113], v[172:173], v[180:181], -v[112:113]
	v_mul_f64 v[172:173], v[172:173], v[114:115]
	v_add_f64 v[108:109], v[108:109], -v[112:113]
	s_delay_alu instid0(VALU_DEP_2) | instskip(NEXT) | instid1(VALU_DEP_1)
	v_fma_f64 v[172:173], v[174:175], v[180:181], v[172:173]
	v_add_f64 v[110:111], v[110:111], -v[172:173]
	ds_load_2addr_b64 v[172:175], v182 offset0:32 offset1:33
	s_waitcnt lgkmcnt(0)
	v_mul_f64 v[112:113], v[174:175], v[114:115]
	s_delay_alu instid0(VALU_DEP_1) | instskip(SKIP_1) | instid1(VALU_DEP_2)
	v_fma_f64 v[112:113], v[172:173], v[180:181], -v[112:113]
	v_mul_f64 v[172:173], v[172:173], v[114:115]
	v_add_f64 v[104:105], v[104:105], -v[112:113]
	s_delay_alu instid0(VALU_DEP_2) | instskip(NEXT) | instid1(VALU_DEP_1)
	v_fma_f64 v[172:173], v[174:175], v[180:181], v[172:173]
	v_add_f64 v[106:107], v[106:107], -v[172:173]
	;; [unrolled: 10-line block ×27, first 2 shown]
	ds_load_2addr_b64 v[172:175], v182 offset0:84 offset1:85
	s_waitcnt lgkmcnt(0)
	v_mul_f64 v[112:113], v[174:175], v[114:115]
	s_delay_alu instid0(VALU_DEP_1) | instskip(SKIP_1) | instid1(VALU_DEP_2)
	v_fma_f64 v[112:113], v[172:173], v[180:181], -v[112:113]
	v_mul_f64 v[172:173], v[172:173], v[114:115]
	v_add_f64 v[0:1], v[0:1], -v[112:113]
	s_delay_alu instid0(VALU_DEP_2) | instskip(SKIP_1) | instid1(VALU_DEP_2)
	v_fma_f64 v[172:173], v[174:175], v[180:181], v[172:173]
	v_dual_mov_b32 v112, v180 :: v_dual_mov_b32 v113, v181
	v_add_f64 v[2:3], v[2:3], -v[172:173]
.LBB84_314:
	s_or_b32 exec_lo, exec_lo, s2
	v_lshl_add_u32 v172, v188, 4, v182
	s_barrier
	buffer_gl0_inv
	v_mov_b32_e32 v180, 15
	ds_store_2addr_b64 v172, v[108:109], v[110:111] offset1:1
	s_waitcnt lgkmcnt(0)
	s_barrier
	buffer_gl0_inv
	ds_load_2addr_b64 v[172:175], v182 offset0:30 offset1:31
	s_cmp_lt_i32 s5, 17
	s_cbranch_scc1 .LBB84_317
; %bb.315:
	v_add3_u32 v181, v186, 0, 0x100
	v_mov_b32_e32 v180, 15
	s_mov_b32 s6, 16
	s_set_inst_prefetch_distance 0x1
	.p2align	6
.LBB84_316:                             ; =>This Inner Loop Header: Depth=1
	ds_load_2addr_b64 v[189:192], v181 offset1:1
	s_waitcnt lgkmcnt(1)
	v_cmp_gt_f64_e32 vcc_lo, 0, v[172:173]
	v_xor_b32_e32 v193, 0x80000000, v173
	v_cmp_gt_f64_e64 s2, 0, v[174:175]
	v_xor_b32_e32 v195, 0x80000000, v175
	v_add_nc_u32_e32 v181, 16, v181
	s_waitcnt lgkmcnt(0)
	v_cmp_gt_f64_e64 s3, 0, v[189:190]
	v_mov_b32_e32 v197, v189
	v_dual_mov_b32 v199, v191 :: v_dual_cndmask_b32 v194, v173, v193
	v_xor_b32_e32 v193, 0x80000000, v190
	v_cndmask_b32_e64 v196, v175, v195, s2
	v_xor_b32_e32 v195, 0x80000000, v192
	s_delay_alu instid0(VALU_DEP_3) | instskip(SKIP_2) | instid1(VALU_DEP_2)
	v_cndmask_b32_e64 v198, v190, v193, s3
	v_cmp_gt_f64_e64 s3, 0, v[191:192]
	v_cndmask_b32_e32 v193, v172, v172, vcc_lo
	v_cndmask_b32_e64 v200, v192, v195, s3
	v_cndmask_b32_e64 v195, v174, v174, s2
	s_delay_alu instid0(VALU_DEP_2) | instskip(NEXT) | instid1(VALU_DEP_2)
	v_add_f64 v[197:198], v[197:198], v[199:200]
	v_add_f64 v[193:194], v[193:194], v[195:196]
	s_delay_alu instid0(VALU_DEP_1) | instskip(SKIP_4) | instid1(SALU_CYCLE_1)
	v_cmp_lt_f64_e32 vcc_lo, v[193:194], v[197:198]
	v_dual_cndmask_b32 v174, v174, v191 :: v_dual_cndmask_b32 v173, v173, v190
	v_dual_cndmask_b32 v172, v172, v189 :: v_dual_cndmask_b32 v175, v175, v192
	v_cndmask_b32_e64 v180, v180, s6, vcc_lo
	s_add_i32 s6, s6, 1
	s_cmp_lg_u32 s5, s6
	s_cbranch_scc1 .LBB84_316
.LBB84_317:
	s_set_inst_prefetch_distance 0x2
	s_waitcnt lgkmcnt(0)
	v_cmp_eq_f64_e32 vcc_lo, 0, v[172:173]
	v_cmp_eq_f64_e64 s2, 0, v[174:175]
	s_delay_alu instid0(VALU_DEP_1) | instskip(NEXT) | instid1(SALU_CYCLE_1)
	s_and_b32 s2, vcc_lo, s2
	s_and_saveexec_b32 s3, s2
	s_delay_alu instid0(SALU_CYCLE_1)
	s_xor_b32 s2, exec_lo, s3
; %bb.318:
	v_cmp_ne_u32_e32 vcc_lo, 0, v185
	v_cndmask_b32_e32 v185, 16, v185, vcc_lo
; %bb.319:
	s_and_not1_saveexec_b32 s3, s2
	s_cbranch_execz .LBB84_325
; %bb.320:
	v_cmp_gt_f64_e32 vcc_lo, 0, v[172:173]
	v_cmp_gt_f64_e64 s2, 0, v[174:175]
	v_xor_b32_e32 v181, 0x80000000, v173
	v_xor_b32_e32 v189, 0x80000000, v175
	s_delay_alu instid0(VALU_DEP_2) | instskip(NEXT) | instid1(VALU_DEP_2)
	v_cndmask_b32_e32 v190, v173, v181, vcc_lo
	v_cndmask_b32_e64 v192, v175, v189, s2
	v_cndmask_b32_e32 v189, v172, v172, vcc_lo
	v_cndmask_b32_e64 v191, v174, v174, s2
	s_mov_b32 s2, exec_lo
	s_delay_alu instid0(VALU_DEP_1)
	v_cmpx_ngt_f64_e32 v[189:190], v[191:192]
	s_xor_b32 s2, exec_lo, s2
	s_cbranch_execz .LBB84_322
; %bb.321:
	v_div_scale_f64 v[189:190], null, v[174:175], v[174:175], v[172:173]
	v_div_scale_f64 v[195:196], vcc_lo, v[172:173], v[174:175], v[172:173]
	s_delay_alu instid0(VALU_DEP_2) | instskip(SKIP_2) | instid1(VALU_DEP_1)
	v_rcp_f64_e32 v[191:192], v[189:190]
	s_waitcnt_depctr 0xfff
	v_fma_f64 v[193:194], -v[189:190], v[191:192], 1.0
	v_fma_f64 v[191:192], v[191:192], v[193:194], v[191:192]
	s_delay_alu instid0(VALU_DEP_1) | instskip(NEXT) | instid1(VALU_DEP_1)
	v_fma_f64 v[193:194], -v[189:190], v[191:192], 1.0
	v_fma_f64 v[191:192], v[191:192], v[193:194], v[191:192]
	s_delay_alu instid0(VALU_DEP_1) | instskip(NEXT) | instid1(VALU_DEP_1)
	v_mul_f64 v[193:194], v[195:196], v[191:192]
	v_fma_f64 v[189:190], -v[189:190], v[193:194], v[195:196]
	s_delay_alu instid0(VALU_DEP_1) | instskip(NEXT) | instid1(VALU_DEP_1)
	v_div_fmas_f64 v[189:190], v[189:190], v[191:192], v[193:194]
	v_div_fixup_f64 v[189:190], v[189:190], v[174:175], v[172:173]
	s_delay_alu instid0(VALU_DEP_1) | instskip(NEXT) | instid1(VALU_DEP_1)
	v_fma_f64 v[172:173], v[172:173], v[189:190], v[174:175]
	v_div_scale_f64 v[174:175], null, v[172:173], v[172:173], 1.0
	s_delay_alu instid0(VALU_DEP_1) | instskip(SKIP_2) | instid1(VALU_DEP_1)
	v_rcp_f64_e32 v[191:192], v[174:175]
	s_waitcnt_depctr 0xfff
	v_fma_f64 v[193:194], -v[174:175], v[191:192], 1.0
	v_fma_f64 v[191:192], v[191:192], v[193:194], v[191:192]
	s_delay_alu instid0(VALU_DEP_1) | instskip(NEXT) | instid1(VALU_DEP_1)
	v_fma_f64 v[193:194], -v[174:175], v[191:192], 1.0
	v_fma_f64 v[191:192], v[191:192], v[193:194], v[191:192]
	v_div_scale_f64 v[193:194], vcc_lo, 1.0, v[172:173], 1.0
	s_delay_alu instid0(VALU_DEP_1) | instskip(NEXT) | instid1(VALU_DEP_1)
	v_mul_f64 v[195:196], v[193:194], v[191:192]
	v_fma_f64 v[174:175], -v[174:175], v[195:196], v[193:194]
	s_delay_alu instid0(VALU_DEP_1) | instskip(NEXT) | instid1(VALU_DEP_1)
	v_div_fmas_f64 v[174:175], v[174:175], v[191:192], v[195:196]
	v_div_fixup_f64 v[174:175], v[174:175], v[172:173], 1.0
	s_delay_alu instid0(VALU_DEP_1)
	v_mul_f64 v[172:173], v[189:190], v[174:175]
	v_xor_b32_e32 v175, 0x80000000, v175
.LBB84_322:
	s_and_not1_saveexec_b32 s2, s2
	s_cbranch_execz .LBB84_324
; %bb.323:
	s_delay_alu instid0(VALU_DEP_1) | instskip(SKIP_1) | instid1(VALU_DEP_2)
	v_div_scale_f64 v[189:190], null, v[172:173], v[172:173], v[174:175]
	v_div_scale_f64 v[195:196], vcc_lo, v[174:175], v[172:173], v[174:175]
	v_rcp_f64_e32 v[191:192], v[189:190]
	s_waitcnt_depctr 0xfff
	v_fma_f64 v[193:194], -v[189:190], v[191:192], 1.0
	s_delay_alu instid0(VALU_DEP_1) | instskip(NEXT) | instid1(VALU_DEP_1)
	v_fma_f64 v[191:192], v[191:192], v[193:194], v[191:192]
	v_fma_f64 v[193:194], -v[189:190], v[191:192], 1.0
	s_delay_alu instid0(VALU_DEP_1) | instskip(NEXT) | instid1(VALU_DEP_1)
	v_fma_f64 v[191:192], v[191:192], v[193:194], v[191:192]
	v_mul_f64 v[193:194], v[195:196], v[191:192]
	s_delay_alu instid0(VALU_DEP_1) | instskip(NEXT) | instid1(VALU_DEP_1)
	v_fma_f64 v[189:190], -v[189:190], v[193:194], v[195:196]
	v_div_fmas_f64 v[189:190], v[189:190], v[191:192], v[193:194]
	s_delay_alu instid0(VALU_DEP_1) | instskip(NEXT) | instid1(VALU_DEP_1)
	v_div_fixup_f64 v[189:190], v[189:190], v[172:173], v[174:175]
	v_fma_f64 v[172:173], v[174:175], v[189:190], v[172:173]
	s_delay_alu instid0(VALU_DEP_1) | instskip(NEXT) | instid1(VALU_DEP_1)
	v_div_scale_f64 v[174:175], null, v[172:173], v[172:173], 1.0
	v_rcp_f64_e32 v[191:192], v[174:175]
	s_waitcnt_depctr 0xfff
	v_fma_f64 v[193:194], -v[174:175], v[191:192], 1.0
	s_delay_alu instid0(VALU_DEP_1) | instskip(NEXT) | instid1(VALU_DEP_1)
	v_fma_f64 v[191:192], v[191:192], v[193:194], v[191:192]
	v_fma_f64 v[193:194], -v[174:175], v[191:192], 1.0
	s_delay_alu instid0(VALU_DEP_1) | instskip(SKIP_1) | instid1(VALU_DEP_1)
	v_fma_f64 v[191:192], v[191:192], v[193:194], v[191:192]
	v_div_scale_f64 v[193:194], vcc_lo, 1.0, v[172:173], 1.0
	v_mul_f64 v[195:196], v[193:194], v[191:192]
	s_delay_alu instid0(VALU_DEP_1) | instskip(NEXT) | instid1(VALU_DEP_1)
	v_fma_f64 v[174:175], -v[174:175], v[195:196], v[193:194]
	v_div_fmas_f64 v[174:175], v[174:175], v[191:192], v[195:196]
	s_delay_alu instid0(VALU_DEP_1) | instskip(NEXT) | instid1(VALU_DEP_1)
	v_div_fixup_f64 v[172:173], v[174:175], v[172:173], 1.0
	v_mul_f64 v[174:175], v[189:190], -v[172:173]
.LBB84_324:
	s_or_b32 exec_lo, exec_lo, s2
.LBB84_325:
	s_delay_alu instid0(SALU_CYCLE_1) | instskip(NEXT) | instid1(SALU_CYCLE_1)
	s_or_b32 exec_lo, exec_lo, s3
	s_mov_b32 s2, exec_lo
	v_cmpx_ne_u32_e64 v188, v180
	s_xor_b32 s2, exec_lo, s2
	s_cbranch_execz .LBB84_331
; %bb.326:
	s_mov_b32 s3, exec_lo
	v_cmpx_eq_u32_e32 15, v188
	s_cbranch_execz .LBB84_330
; %bb.327:
	v_cmp_ne_u32_e32 vcc_lo, 15, v180
	s_xor_b32 s6, s4, -1
	s_delay_alu instid0(SALU_CYCLE_1) | instskip(NEXT) | instid1(SALU_CYCLE_1)
	s_and_b32 s7, s6, vcc_lo
	s_and_saveexec_b32 s6, s7
	s_cbranch_execz .LBB84_329
; %bb.328:
	v_ashrrev_i32_e32 v181, 31, v180
	s_delay_alu instid0(VALU_DEP_1) | instskip(NEXT) | instid1(VALU_DEP_1)
	v_lshlrev_b64 v[187:188], 2, v[180:181]
	v_add_co_u32 v187, vcc_lo, v178, v187
	s_delay_alu instid0(VALU_DEP_2)
	v_add_co_ci_u32_e32 v188, vcc_lo, v179, v188, vcc_lo
	s_clause 0x1
	flat_load_b32 v181, v[187:188]
	flat_load_b32 v189, v[178:179] offset:60
	s_waitcnt vmcnt(1) lgkmcnt(1)
	flat_store_b32 v[178:179], v181 offset:60
	s_waitcnt vmcnt(0) lgkmcnt(1)
	flat_store_b32 v[187:188], v189
.LBB84_329:
	s_or_b32 exec_lo, exec_lo, s6
	v_mov_b32_e32 v188, v180
	v_mov_b32_e32 v187, v180
.LBB84_330:
	s_or_b32 exec_lo, exec_lo, s3
.LBB84_331:
	s_and_not1_saveexec_b32 s2, s2
	s_cbranch_execz .LBB84_333
; %bb.332:
	v_mov_b32_e32 v188, 15
	ds_store_2addr_b64 v182, v[104:105], v[106:107] offset0:32 offset1:33
	ds_store_2addr_b64 v182, v[100:101], v[102:103] offset0:34 offset1:35
	;; [unrolled: 1-line block ×27, first 2 shown]
.LBB84_333:
	s_or_b32 exec_lo, exec_lo, s2
	s_delay_alu instid0(SALU_CYCLE_1)
	s_mov_b32 s2, exec_lo
	s_waitcnt lgkmcnt(0)
	s_waitcnt_vscnt null, 0x0
	s_barrier
	buffer_gl0_inv
	v_cmpx_lt_i32_e32 15, v188
	s_cbranch_execz .LBB84_335
; %bb.334:
	v_mul_f64 v[180:181], v[174:175], v[110:111]
	v_mul_f64 v[110:111], v[172:173], v[110:111]
	s_delay_alu instid0(VALU_DEP_2) | instskip(NEXT) | instid1(VALU_DEP_2)
	v_fma_f64 v[180:181], v[172:173], v[108:109], -v[180:181]
	v_fma_f64 v[110:111], v[174:175], v[108:109], v[110:111]
	ds_load_2addr_b64 v[172:175], v182 offset0:32 offset1:33
	s_waitcnt lgkmcnt(0)
	v_mul_f64 v[108:109], v[174:175], v[110:111]
	s_delay_alu instid0(VALU_DEP_1) | instskip(SKIP_1) | instid1(VALU_DEP_2)
	v_fma_f64 v[108:109], v[172:173], v[180:181], -v[108:109]
	v_mul_f64 v[172:173], v[172:173], v[110:111]
	v_add_f64 v[104:105], v[104:105], -v[108:109]
	s_delay_alu instid0(VALU_DEP_2) | instskip(NEXT) | instid1(VALU_DEP_1)
	v_fma_f64 v[172:173], v[174:175], v[180:181], v[172:173]
	v_add_f64 v[106:107], v[106:107], -v[172:173]
	ds_load_2addr_b64 v[172:175], v182 offset0:34 offset1:35
	s_waitcnt lgkmcnt(0)
	v_mul_f64 v[108:109], v[174:175], v[110:111]
	s_delay_alu instid0(VALU_DEP_1) | instskip(SKIP_1) | instid1(VALU_DEP_2)
	v_fma_f64 v[108:109], v[172:173], v[180:181], -v[108:109]
	v_mul_f64 v[172:173], v[172:173], v[110:111]
	v_add_f64 v[100:101], v[100:101], -v[108:109]
	s_delay_alu instid0(VALU_DEP_2) | instskip(NEXT) | instid1(VALU_DEP_1)
	v_fma_f64 v[172:173], v[174:175], v[180:181], v[172:173]
	v_add_f64 v[102:103], v[102:103], -v[172:173]
	;; [unrolled: 10-line block ×26, first 2 shown]
	ds_load_2addr_b64 v[172:175], v182 offset0:84 offset1:85
	s_waitcnt lgkmcnt(0)
	v_mul_f64 v[108:109], v[174:175], v[110:111]
	s_delay_alu instid0(VALU_DEP_1) | instskip(SKIP_1) | instid1(VALU_DEP_2)
	v_fma_f64 v[108:109], v[172:173], v[180:181], -v[108:109]
	v_mul_f64 v[172:173], v[172:173], v[110:111]
	v_add_f64 v[0:1], v[0:1], -v[108:109]
	s_delay_alu instid0(VALU_DEP_2) | instskip(SKIP_1) | instid1(VALU_DEP_2)
	v_fma_f64 v[172:173], v[174:175], v[180:181], v[172:173]
	v_dual_mov_b32 v108, v180 :: v_dual_mov_b32 v109, v181
	v_add_f64 v[2:3], v[2:3], -v[172:173]
.LBB84_335:
	s_or_b32 exec_lo, exec_lo, s2
	v_lshl_add_u32 v172, v188, 4, v182
	s_barrier
	buffer_gl0_inv
	v_mov_b32_e32 v180, 16
	ds_store_2addr_b64 v172, v[104:105], v[106:107] offset1:1
	s_waitcnt lgkmcnt(0)
	s_barrier
	buffer_gl0_inv
	ds_load_2addr_b64 v[172:175], v182 offset0:32 offset1:33
	s_cmp_lt_i32 s5, 18
	s_cbranch_scc1 .LBB84_338
; %bb.336:
	v_add3_u32 v181, v186, 0, 0x110
	v_mov_b32_e32 v180, 16
	s_mov_b32 s6, 17
	s_set_inst_prefetch_distance 0x1
	.p2align	6
.LBB84_337:                             ; =>This Inner Loop Header: Depth=1
	ds_load_2addr_b64 v[189:192], v181 offset1:1
	s_waitcnt lgkmcnt(1)
	v_cmp_gt_f64_e32 vcc_lo, 0, v[172:173]
	v_xor_b32_e32 v193, 0x80000000, v173
	v_cmp_gt_f64_e64 s2, 0, v[174:175]
	v_xor_b32_e32 v195, 0x80000000, v175
	v_add_nc_u32_e32 v181, 16, v181
	s_waitcnt lgkmcnt(0)
	v_cmp_gt_f64_e64 s3, 0, v[189:190]
	v_mov_b32_e32 v197, v189
	v_dual_mov_b32 v199, v191 :: v_dual_cndmask_b32 v194, v173, v193
	v_xor_b32_e32 v193, 0x80000000, v190
	v_cndmask_b32_e64 v196, v175, v195, s2
	v_xor_b32_e32 v195, 0x80000000, v192
	s_delay_alu instid0(VALU_DEP_3) | instskip(SKIP_2) | instid1(VALU_DEP_2)
	v_cndmask_b32_e64 v198, v190, v193, s3
	v_cmp_gt_f64_e64 s3, 0, v[191:192]
	v_cndmask_b32_e32 v193, v172, v172, vcc_lo
	v_cndmask_b32_e64 v200, v192, v195, s3
	v_cndmask_b32_e64 v195, v174, v174, s2
	s_delay_alu instid0(VALU_DEP_2) | instskip(NEXT) | instid1(VALU_DEP_2)
	v_add_f64 v[197:198], v[197:198], v[199:200]
	v_add_f64 v[193:194], v[193:194], v[195:196]
	s_delay_alu instid0(VALU_DEP_1) | instskip(SKIP_4) | instid1(SALU_CYCLE_1)
	v_cmp_lt_f64_e32 vcc_lo, v[193:194], v[197:198]
	v_dual_cndmask_b32 v174, v174, v191 :: v_dual_cndmask_b32 v173, v173, v190
	v_dual_cndmask_b32 v172, v172, v189 :: v_dual_cndmask_b32 v175, v175, v192
	v_cndmask_b32_e64 v180, v180, s6, vcc_lo
	s_add_i32 s6, s6, 1
	s_cmp_lg_u32 s5, s6
	s_cbranch_scc1 .LBB84_337
.LBB84_338:
	s_set_inst_prefetch_distance 0x2
	s_waitcnt lgkmcnt(0)
	v_cmp_eq_f64_e32 vcc_lo, 0, v[172:173]
	v_cmp_eq_f64_e64 s2, 0, v[174:175]
	s_delay_alu instid0(VALU_DEP_1) | instskip(NEXT) | instid1(SALU_CYCLE_1)
	s_and_b32 s2, vcc_lo, s2
	s_and_saveexec_b32 s3, s2
	s_delay_alu instid0(SALU_CYCLE_1)
	s_xor_b32 s2, exec_lo, s3
; %bb.339:
	v_cmp_ne_u32_e32 vcc_lo, 0, v185
	v_cndmask_b32_e32 v185, 17, v185, vcc_lo
; %bb.340:
	s_and_not1_saveexec_b32 s3, s2
	s_cbranch_execz .LBB84_346
; %bb.341:
	v_cmp_gt_f64_e32 vcc_lo, 0, v[172:173]
	v_cmp_gt_f64_e64 s2, 0, v[174:175]
	v_xor_b32_e32 v181, 0x80000000, v173
	v_xor_b32_e32 v189, 0x80000000, v175
	s_delay_alu instid0(VALU_DEP_2) | instskip(NEXT) | instid1(VALU_DEP_2)
	v_cndmask_b32_e32 v190, v173, v181, vcc_lo
	v_cndmask_b32_e64 v192, v175, v189, s2
	v_cndmask_b32_e32 v189, v172, v172, vcc_lo
	v_cndmask_b32_e64 v191, v174, v174, s2
	s_mov_b32 s2, exec_lo
	s_delay_alu instid0(VALU_DEP_1)
	v_cmpx_ngt_f64_e32 v[189:190], v[191:192]
	s_xor_b32 s2, exec_lo, s2
	s_cbranch_execz .LBB84_343
; %bb.342:
	v_div_scale_f64 v[189:190], null, v[174:175], v[174:175], v[172:173]
	v_div_scale_f64 v[195:196], vcc_lo, v[172:173], v[174:175], v[172:173]
	s_delay_alu instid0(VALU_DEP_2) | instskip(SKIP_2) | instid1(VALU_DEP_1)
	v_rcp_f64_e32 v[191:192], v[189:190]
	s_waitcnt_depctr 0xfff
	v_fma_f64 v[193:194], -v[189:190], v[191:192], 1.0
	v_fma_f64 v[191:192], v[191:192], v[193:194], v[191:192]
	s_delay_alu instid0(VALU_DEP_1) | instskip(NEXT) | instid1(VALU_DEP_1)
	v_fma_f64 v[193:194], -v[189:190], v[191:192], 1.0
	v_fma_f64 v[191:192], v[191:192], v[193:194], v[191:192]
	s_delay_alu instid0(VALU_DEP_1) | instskip(NEXT) | instid1(VALU_DEP_1)
	v_mul_f64 v[193:194], v[195:196], v[191:192]
	v_fma_f64 v[189:190], -v[189:190], v[193:194], v[195:196]
	s_delay_alu instid0(VALU_DEP_1) | instskip(NEXT) | instid1(VALU_DEP_1)
	v_div_fmas_f64 v[189:190], v[189:190], v[191:192], v[193:194]
	v_div_fixup_f64 v[189:190], v[189:190], v[174:175], v[172:173]
	s_delay_alu instid0(VALU_DEP_1) | instskip(NEXT) | instid1(VALU_DEP_1)
	v_fma_f64 v[172:173], v[172:173], v[189:190], v[174:175]
	v_div_scale_f64 v[174:175], null, v[172:173], v[172:173], 1.0
	s_delay_alu instid0(VALU_DEP_1) | instskip(SKIP_2) | instid1(VALU_DEP_1)
	v_rcp_f64_e32 v[191:192], v[174:175]
	s_waitcnt_depctr 0xfff
	v_fma_f64 v[193:194], -v[174:175], v[191:192], 1.0
	v_fma_f64 v[191:192], v[191:192], v[193:194], v[191:192]
	s_delay_alu instid0(VALU_DEP_1) | instskip(NEXT) | instid1(VALU_DEP_1)
	v_fma_f64 v[193:194], -v[174:175], v[191:192], 1.0
	v_fma_f64 v[191:192], v[191:192], v[193:194], v[191:192]
	v_div_scale_f64 v[193:194], vcc_lo, 1.0, v[172:173], 1.0
	s_delay_alu instid0(VALU_DEP_1) | instskip(NEXT) | instid1(VALU_DEP_1)
	v_mul_f64 v[195:196], v[193:194], v[191:192]
	v_fma_f64 v[174:175], -v[174:175], v[195:196], v[193:194]
	s_delay_alu instid0(VALU_DEP_1) | instskip(NEXT) | instid1(VALU_DEP_1)
	v_div_fmas_f64 v[174:175], v[174:175], v[191:192], v[195:196]
	v_div_fixup_f64 v[174:175], v[174:175], v[172:173], 1.0
	s_delay_alu instid0(VALU_DEP_1)
	v_mul_f64 v[172:173], v[189:190], v[174:175]
	v_xor_b32_e32 v175, 0x80000000, v175
.LBB84_343:
	s_and_not1_saveexec_b32 s2, s2
	s_cbranch_execz .LBB84_345
; %bb.344:
	s_delay_alu instid0(VALU_DEP_1) | instskip(SKIP_1) | instid1(VALU_DEP_2)
	v_div_scale_f64 v[189:190], null, v[172:173], v[172:173], v[174:175]
	v_div_scale_f64 v[195:196], vcc_lo, v[174:175], v[172:173], v[174:175]
	v_rcp_f64_e32 v[191:192], v[189:190]
	s_waitcnt_depctr 0xfff
	v_fma_f64 v[193:194], -v[189:190], v[191:192], 1.0
	s_delay_alu instid0(VALU_DEP_1) | instskip(NEXT) | instid1(VALU_DEP_1)
	v_fma_f64 v[191:192], v[191:192], v[193:194], v[191:192]
	v_fma_f64 v[193:194], -v[189:190], v[191:192], 1.0
	s_delay_alu instid0(VALU_DEP_1) | instskip(NEXT) | instid1(VALU_DEP_1)
	v_fma_f64 v[191:192], v[191:192], v[193:194], v[191:192]
	v_mul_f64 v[193:194], v[195:196], v[191:192]
	s_delay_alu instid0(VALU_DEP_1) | instskip(NEXT) | instid1(VALU_DEP_1)
	v_fma_f64 v[189:190], -v[189:190], v[193:194], v[195:196]
	v_div_fmas_f64 v[189:190], v[189:190], v[191:192], v[193:194]
	s_delay_alu instid0(VALU_DEP_1) | instskip(NEXT) | instid1(VALU_DEP_1)
	v_div_fixup_f64 v[189:190], v[189:190], v[172:173], v[174:175]
	v_fma_f64 v[172:173], v[174:175], v[189:190], v[172:173]
	s_delay_alu instid0(VALU_DEP_1) | instskip(NEXT) | instid1(VALU_DEP_1)
	v_div_scale_f64 v[174:175], null, v[172:173], v[172:173], 1.0
	v_rcp_f64_e32 v[191:192], v[174:175]
	s_waitcnt_depctr 0xfff
	v_fma_f64 v[193:194], -v[174:175], v[191:192], 1.0
	s_delay_alu instid0(VALU_DEP_1) | instskip(NEXT) | instid1(VALU_DEP_1)
	v_fma_f64 v[191:192], v[191:192], v[193:194], v[191:192]
	v_fma_f64 v[193:194], -v[174:175], v[191:192], 1.0
	s_delay_alu instid0(VALU_DEP_1) | instskip(SKIP_1) | instid1(VALU_DEP_1)
	v_fma_f64 v[191:192], v[191:192], v[193:194], v[191:192]
	v_div_scale_f64 v[193:194], vcc_lo, 1.0, v[172:173], 1.0
	v_mul_f64 v[195:196], v[193:194], v[191:192]
	s_delay_alu instid0(VALU_DEP_1) | instskip(NEXT) | instid1(VALU_DEP_1)
	v_fma_f64 v[174:175], -v[174:175], v[195:196], v[193:194]
	v_div_fmas_f64 v[174:175], v[174:175], v[191:192], v[195:196]
	s_delay_alu instid0(VALU_DEP_1) | instskip(NEXT) | instid1(VALU_DEP_1)
	v_div_fixup_f64 v[172:173], v[174:175], v[172:173], 1.0
	v_mul_f64 v[174:175], v[189:190], -v[172:173]
.LBB84_345:
	s_or_b32 exec_lo, exec_lo, s2
.LBB84_346:
	s_delay_alu instid0(SALU_CYCLE_1) | instskip(NEXT) | instid1(SALU_CYCLE_1)
	s_or_b32 exec_lo, exec_lo, s3
	s_mov_b32 s2, exec_lo
	v_cmpx_ne_u32_e64 v188, v180
	s_xor_b32 s2, exec_lo, s2
	s_cbranch_execz .LBB84_352
; %bb.347:
	s_mov_b32 s3, exec_lo
	v_cmpx_eq_u32_e32 16, v188
	s_cbranch_execz .LBB84_351
; %bb.348:
	v_cmp_ne_u32_e32 vcc_lo, 16, v180
	s_xor_b32 s6, s4, -1
	s_delay_alu instid0(SALU_CYCLE_1) | instskip(NEXT) | instid1(SALU_CYCLE_1)
	s_and_b32 s7, s6, vcc_lo
	s_and_saveexec_b32 s6, s7
	s_cbranch_execz .LBB84_350
; %bb.349:
	v_ashrrev_i32_e32 v181, 31, v180
	s_delay_alu instid0(VALU_DEP_1) | instskip(NEXT) | instid1(VALU_DEP_1)
	v_lshlrev_b64 v[187:188], 2, v[180:181]
	v_add_co_u32 v187, vcc_lo, v178, v187
	s_delay_alu instid0(VALU_DEP_2)
	v_add_co_ci_u32_e32 v188, vcc_lo, v179, v188, vcc_lo
	s_clause 0x1
	flat_load_b32 v181, v[187:188]
	flat_load_b32 v189, v[178:179] offset:64
	s_waitcnt vmcnt(1) lgkmcnt(1)
	flat_store_b32 v[178:179], v181 offset:64
	s_waitcnt vmcnt(0) lgkmcnt(1)
	flat_store_b32 v[187:188], v189
.LBB84_350:
	s_or_b32 exec_lo, exec_lo, s6
	v_mov_b32_e32 v188, v180
	v_mov_b32_e32 v187, v180
.LBB84_351:
	s_or_b32 exec_lo, exec_lo, s3
.LBB84_352:
	s_and_not1_saveexec_b32 s2, s2
	s_cbranch_execz .LBB84_354
; %bb.353:
	v_mov_b32_e32 v188, 16
	ds_store_2addr_b64 v182, v[100:101], v[102:103] offset0:34 offset1:35
	ds_store_2addr_b64 v182, v[96:97], v[98:99] offset0:36 offset1:37
	;; [unrolled: 1-line block ×26, first 2 shown]
.LBB84_354:
	s_or_b32 exec_lo, exec_lo, s2
	s_delay_alu instid0(SALU_CYCLE_1)
	s_mov_b32 s2, exec_lo
	s_waitcnt lgkmcnt(0)
	s_waitcnt_vscnt null, 0x0
	s_barrier
	buffer_gl0_inv
	v_cmpx_lt_i32_e32 16, v188
	s_cbranch_execz .LBB84_356
; %bb.355:
	v_mul_f64 v[180:181], v[174:175], v[106:107]
	v_mul_f64 v[106:107], v[172:173], v[106:107]
	s_delay_alu instid0(VALU_DEP_2) | instskip(NEXT) | instid1(VALU_DEP_2)
	v_fma_f64 v[180:181], v[172:173], v[104:105], -v[180:181]
	v_fma_f64 v[106:107], v[174:175], v[104:105], v[106:107]
	ds_load_2addr_b64 v[172:175], v182 offset0:34 offset1:35
	s_waitcnt lgkmcnt(0)
	v_mul_f64 v[104:105], v[174:175], v[106:107]
	s_delay_alu instid0(VALU_DEP_1) | instskip(SKIP_1) | instid1(VALU_DEP_2)
	v_fma_f64 v[104:105], v[172:173], v[180:181], -v[104:105]
	v_mul_f64 v[172:173], v[172:173], v[106:107]
	v_add_f64 v[100:101], v[100:101], -v[104:105]
	s_delay_alu instid0(VALU_DEP_2) | instskip(NEXT) | instid1(VALU_DEP_1)
	v_fma_f64 v[172:173], v[174:175], v[180:181], v[172:173]
	v_add_f64 v[102:103], v[102:103], -v[172:173]
	ds_load_2addr_b64 v[172:175], v182 offset0:36 offset1:37
	s_waitcnt lgkmcnt(0)
	v_mul_f64 v[104:105], v[174:175], v[106:107]
	s_delay_alu instid0(VALU_DEP_1) | instskip(SKIP_1) | instid1(VALU_DEP_2)
	v_fma_f64 v[104:105], v[172:173], v[180:181], -v[104:105]
	v_mul_f64 v[172:173], v[172:173], v[106:107]
	v_add_f64 v[96:97], v[96:97], -v[104:105]
	s_delay_alu instid0(VALU_DEP_2) | instskip(NEXT) | instid1(VALU_DEP_1)
	v_fma_f64 v[172:173], v[174:175], v[180:181], v[172:173]
	v_add_f64 v[98:99], v[98:99], -v[172:173]
	;; [unrolled: 10-line block ×25, first 2 shown]
	ds_load_2addr_b64 v[172:175], v182 offset0:84 offset1:85
	s_waitcnt lgkmcnt(0)
	v_mul_f64 v[104:105], v[174:175], v[106:107]
	s_delay_alu instid0(VALU_DEP_1) | instskip(SKIP_1) | instid1(VALU_DEP_2)
	v_fma_f64 v[104:105], v[172:173], v[180:181], -v[104:105]
	v_mul_f64 v[172:173], v[172:173], v[106:107]
	v_add_f64 v[0:1], v[0:1], -v[104:105]
	s_delay_alu instid0(VALU_DEP_2) | instskip(SKIP_1) | instid1(VALU_DEP_2)
	v_fma_f64 v[172:173], v[174:175], v[180:181], v[172:173]
	v_dual_mov_b32 v104, v180 :: v_dual_mov_b32 v105, v181
	v_add_f64 v[2:3], v[2:3], -v[172:173]
.LBB84_356:
	s_or_b32 exec_lo, exec_lo, s2
	v_lshl_add_u32 v172, v188, 4, v182
	s_barrier
	buffer_gl0_inv
	v_mov_b32_e32 v180, 17
	ds_store_2addr_b64 v172, v[100:101], v[102:103] offset1:1
	s_waitcnt lgkmcnt(0)
	s_barrier
	buffer_gl0_inv
	ds_load_2addr_b64 v[172:175], v182 offset0:34 offset1:35
	s_cmp_lt_i32 s5, 19
	s_cbranch_scc1 .LBB84_359
; %bb.357:
	v_add3_u32 v181, v186, 0, 0x120
	v_mov_b32_e32 v180, 17
	s_mov_b32 s6, 18
	s_set_inst_prefetch_distance 0x1
	.p2align	6
.LBB84_358:                             ; =>This Inner Loop Header: Depth=1
	ds_load_2addr_b64 v[189:192], v181 offset1:1
	s_waitcnt lgkmcnt(1)
	v_cmp_gt_f64_e32 vcc_lo, 0, v[172:173]
	v_xor_b32_e32 v193, 0x80000000, v173
	v_cmp_gt_f64_e64 s2, 0, v[174:175]
	v_xor_b32_e32 v195, 0x80000000, v175
	v_add_nc_u32_e32 v181, 16, v181
	s_waitcnt lgkmcnt(0)
	v_cmp_gt_f64_e64 s3, 0, v[189:190]
	v_mov_b32_e32 v197, v189
	v_dual_mov_b32 v199, v191 :: v_dual_cndmask_b32 v194, v173, v193
	v_xor_b32_e32 v193, 0x80000000, v190
	v_cndmask_b32_e64 v196, v175, v195, s2
	v_xor_b32_e32 v195, 0x80000000, v192
	s_delay_alu instid0(VALU_DEP_3) | instskip(SKIP_2) | instid1(VALU_DEP_2)
	v_cndmask_b32_e64 v198, v190, v193, s3
	v_cmp_gt_f64_e64 s3, 0, v[191:192]
	v_cndmask_b32_e32 v193, v172, v172, vcc_lo
	v_cndmask_b32_e64 v200, v192, v195, s3
	v_cndmask_b32_e64 v195, v174, v174, s2
	s_delay_alu instid0(VALU_DEP_2) | instskip(NEXT) | instid1(VALU_DEP_2)
	v_add_f64 v[197:198], v[197:198], v[199:200]
	v_add_f64 v[193:194], v[193:194], v[195:196]
	s_delay_alu instid0(VALU_DEP_1) | instskip(SKIP_4) | instid1(SALU_CYCLE_1)
	v_cmp_lt_f64_e32 vcc_lo, v[193:194], v[197:198]
	v_dual_cndmask_b32 v174, v174, v191 :: v_dual_cndmask_b32 v173, v173, v190
	v_dual_cndmask_b32 v172, v172, v189 :: v_dual_cndmask_b32 v175, v175, v192
	v_cndmask_b32_e64 v180, v180, s6, vcc_lo
	s_add_i32 s6, s6, 1
	s_cmp_lg_u32 s5, s6
	s_cbranch_scc1 .LBB84_358
.LBB84_359:
	s_set_inst_prefetch_distance 0x2
	s_waitcnt lgkmcnt(0)
	v_cmp_eq_f64_e32 vcc_lo, 0, v[172:173]
	v_cmp_eq_f64_e64 s2, 0, v[174:175]
	s_delay_alu instid0(VALU_DEP_1) | instskip(NEXT) | instid1(SALU_CYCLE_1)
	s_and_b32 s2, vcc_lo, s2
	s_and_saveexec_b32 s3, s2
	s_delay_alu instid0(SALU_CYCLE_1)
	s_xor_b32 s2, exec_lo, s3
; %bb.360:
	v_cmp_ne_u32_e32 vcc_lo, 0, v185
	v_cndmask_b32_e32 v185, 18, v185, vcc_lo
; %bb.361:
	s_and_not1_saveexec_b32 s3, s2
	s_cbranch_execz .LBB84_367
; %bb.362:
	v_cmp_gt_f64_e32 vcc_lo, 0, v[172:173]
	v_cmp_gt_f64_e64 s2, 0, v[174:175]
	v_xor_b32_e32 v181, 0x80000000, v173
	v_xor_b32_e32 v189, 0x80000000, v175
	s_delay_alu instid0(VALU_DEP_2) | instskip(NEXT) | instid1(VALU_DEP_2)
	v_cndmask_b32_e32 v190, v173, v181, vcc_lo
	v_cndmask_b32_e64 v192, v175, v189, s2
	v_cndmask_b32_e32 v189, v172, v172, vcc_lo
	v_cndmask_b32_e64 v191, v174, v174, s2
	s_mov_b32 s2, exec_lo
	s_delay_alu instid0(VALU_DEP_1)
	v_cmpx_ngt_f64_e32 v[189:190], v[191:192]
	s_xor_b32 s2, exec_lo, s2
	s_cbranch_execz .LBB84_364
; %bb.363:
	v_div_scale_f64 v[189:190], null, v[174:175], v[174:175], v[172:173]
	v_div_scale_f64 v[195:196], vcc_lo, v[172:173], v[174:175], v[172:173]
	s_delay_alu instid0(VALU_DEP_2) | instskip(SKIP_2) | instid1(VALU_DEP_1)
	v_rcp_f64_e32 v[191:192], v[189:190]
	s_waitcnt_depctr 0xfff
	v_fma_f64 v[193:194], -v[189:190], v[191:192], 1.0
	v_fma_f64 v[191:192], v[191:192], v[193:194], v[191:192]
	s_delay_alu instid0(VALU_DEP_1) | instskip(NEXT) | instid1(VALU_DEP_1)
	v_fma_f64 v[193:194], -v[189:190], v[191:192], 1.0
	v_fma_f64 v[191:192], v[191:192], v[193:194], v[191:192]
	s_delay_alu instid0(VALU_DEP_1) | instskip(NEXT) | instid1(VALU_DEP_1)
	v_mul_f64 v[193:194], v[195:196], v[191:192]
	v_fma_f64 v[189:190], -v[189:190], v[193:194], v[195:196]
	s_delay_alu instid0(VALU_DEP_1) | instskip(NEXT) | instid1(VALU_DEP_1)
	v_div_fmas_f64 v[189:190], v[189:190], v[191:192], v[193:194]
	v_div_fixup_f64 v[189:190], v[189:190], v[174:175], v[172:173]
	s_delay_alu instid0(VALU_DEP_1) | instskip(NEXT) | instid1(VALU_DEP_1)
	v_fma_f64 v[172:173], v[172:173], v[189:190], v[174:175]
	v_div_scale_f64 v[174:175], null, v[172:173], v[172:173], 1.0
	s_delay_alu instid0(VALU_DEP_1) | instskip(SKIP_2) | instid1(VALU_DEP_1)
	v_rcp_f64_e32 v[191:192], v[174:175]
	s_waitcnt_depctr 0xfff
	v_fma_f64 v[193:194], -v[174:175], v[191:192], 1.0
	v_fma_f64 v[191:192], v[191:192], v[193:194], v[191:192]
	s_delay_alu instid0(VALU_DEP_1) | instskip(NEXT) | instid1(VALU_DEP_1)
	v_fma_f64 v[193:194], -v[174:175], v[191:192], 1.0
	v_fma_f64 v[191:192], v[191:192], v[193:194], v[191:192]
	v_div_scale_f64 v[193:194], vcc_lo, 1.0, v[172:173], 1.0
	s_delay_alu instid0(VALU_DEP_1) | instskip(NEXT) | instid1(VALU_DEP_1)
	v_mul_f64 v[195:196], v[193:194], v[191:192]
	v_fma_f64 v[174:175], -v[174:175], v[195:196], v[193:194]
	s_delay_alu instid0(VALU_DEP_1) | instskip(NEXT) | instid1(VALU_DEP_1)
	v_div_fmas_f64 v[174:175], v[174:175], v[191:192], v[195:196]
	v_div_fixup_f64 v[174:175], v[174:175], v[172:173], 1.0
	s_delay_alu instid0(VALU_DEP_1)
	v_mul_f64 v[172:173], v[189:190], v[174:175]
	v_xor_b32_e32 v175, 0x80000000, v175
.LBB84_364:
	s_and_not1_saveexec_b32 s2, s2
	s_cbranch_execz .LBB84_366
; %bb.365:
	s_delay_alu instid0(VALU_DEP_1) | instskip(SKIP_1) | instid1(VALU_DEP_2)
	v_div_scale_f64 v[189:190], null, v[172:173], v[172:173], v[174:175]
	v_div_scale_f64 v[195:196], vcc_lo, v[174:175], v[172:173], v[174:175]
	v_rcp_f64_e32 v[191:192], v[189:190]
	s_waitcnt_depctr 0xfff
	v_fma_f64 v[193:194], -v[189:190], v[191:192], 1.0
	s_delay_alu instid0(VALU_DEP_1) | instskip(NEXT) | instid1(VALU_DEP_1)
	v_fma_f64 v[191:192], v[191:192], v[193:194], v[191:192]
	v_fma_f64 v[193:194], -v[189:190], v[191:192], 1.0
	s_delay_alu instid0(VALU_DEP_1) | instskip(NEXT) | instid1(VALU_DEP_1)
	v_fma_f64 v[191:192], v[191:192], v[193:194], v[191:192]
	v_mul_f64 v[193:194], v[195:196], v[191:192]
	s_delay_alu instid0(VALU_DEP_1) | instskip(NEXT) | instid1(VALU_DEP_1)
	v_fma_f64 v[189:190], -v[189:190], v[193:194], v[195:196]
	v_div_fmas_f64 v[189:190], v[189:190], v[191:192], v[193:194]
	s_delay_alu instid0(VALU_DEP_1) | instskip(NEXT) | instid1(VALU_DEP_1)
	v_div_fixup_f64 v[189:190], v[189:190], v[172:173], v[174:175]
	v_fma_f64 v[172:173], v[174:175], v[189:190], v[172:173]
	s_delay_alu instid0(VALU_DEP_1) | instskip(NEXT) | instid1(VALU_DEP_1)
	v_div_scale_f64 v[174:175], null, v[172:173], v[172:173], 1.0
	v_rcp_f64_e32 v[191:192], v[174:175]
	s_waitcnt_depctr 0xfff
	v_fma_f64 v[193:194], -v[174:175], v[191:192], 1.0
	s_delay_alu instid0(VALU_DEP_1) | instskip(NEXT) | instid1(VALU_DEP_1)
	v_fma_f64 v[191:192], v[191:192], v[193:194], v[191:192]
	v_fma_f64 v[193:194], -v[174:175], v[191:192], 1.0
	s_delay_alu instid0(VALU_DEP_1) | instskip(SKIP_1) | instid1(VALU_DEP_1)
	v_fma_f64 v[191:192], v[191:192], v[193:194], v[191:192]
	v_div_scale_f64 v[193:194], vcc_lo, 1.0, v[172:173], 1.0
	v_mul_f64 v[195:196], v[193:194], v[191:192]
	s_delay_alu instid0(VALU_DEP_1) | instskip(NEXT) | instid1(VALU_DEP_1)
	v_fma_f64 v[174:175], -v[174:175], v[195:196], v[193:194]
	v_div_fmas_f64 v[174:175], v[174:175], v[191:192], v[195:196]
	s_delay_alu instid0(VALU_DEP_1) | instskip(NEXT) | instid1(VALU_DEP_1)
	v_div_fixup_f64 v[172:173], v[174:175], v[172:173], 1.0
	v_mul_f64 v[174:175], v[189:190], -v[172:173]
.LBB84_366:
	s_or_b32 exec_lo, exec_lo, s2
.LBB84_367:
	s_delay_alu instid0(SALU_CYCLE_1) | instskip(NEXT) | instid1(SALU_CYCLE_1)
	s_or_b32 exec_lo, exec_lo, s3
	s_mov_b32 s2, exec_lo
	v_cmpx_ne_u32_e64 v188, v180
	s_xor_b32 s2, exec_lo, s2
	s_cbranch_execz .LBB84_373
; %bb.368:
	s_mov_b32 s3, exec_lo
	v_cmpx_eq_u32_e32 17, v188
	s_cbranch_execz .LBB84_372
; %bb.369:
	v_cmp_ne_u32_e32 vcc_lo, 17, v180
	s_xor_b32 s6, s4, -1
	s_delay_alu instid0(SALU_CYCLE_1) | instskip(NEXT) | instid1(SALU_CYCLE_1)
	s_and_b32 s7, s6, vcc_lo
	s_and_saveexec_b32 s6, s7
	s_cbranch_execz .LBB84_371
; %bb.370:
	v_ashrrev_i32_e32 v181, 31, v180
	s_delay_alu instid0(VALU_DEP_1) | instskip(NEXT) | instid1(VALU_DEP_1)
	v_lshlrev_b64 v[187:188], 2, v[180:181]
	v_add_co_u32 v187, vcc_lo, v178, v187
	s_delay_alu instid0(VALU_DEP_2)
	v_add_co_ci_u32_e32 v188, vcc_lo, v179, v188, vcc_lo
	s_clause 0x1
	flat_load_b32 v181, v[187:188]
	flat_load_b32 v189, v[178:179] offset:68
	s_waitcnt vmcnt(1) lgkmcnt(1)
	flat_store_b32 v[178:179], v181 offset:68
	s_waitcnt vmcnt(0) lgkmcnt(1)
	flat_store_b32 v[187:188], v189
.LBB84_371:
	s_or_b32 exec_lo, exec_lo, s6
	v_mov_b32_e32 v188, v180
	v_mov_b32_e32 v187, v180
.LBB84_372:
	s_or_b32 exec_lo, exec_lo, s3
.LBB84_373:
	s_and_not1_saveexec_b32 s2, s2
	s_cbranch_execz .LBB84_375
; %bb.374:
	v_mov_b32_e32 v188, 17
	ds_store_2addr_b64 v182, v[96:97], v[98:99] offset0:36 offset1:37
	ds_store_2addr_b64 v182, v[92:93], v[94:95] offset0:38 offset1:39
	;; [unrolled: 1-line block ×25, first 2 shown]
.LBB84_375:
	s_or_b32 exec_lo, exec_lo, s2
	s_delay_alu instid0(SALU_CYCLE_1)
	s_mov_b32 s2, exec_lo
	s_waitcnt lgkmcnt(0)
	s_waitcnt_vscnt null, 0x0
	s_barrier
	buffer_gl0_inv
	v_cmpx_lt_i32_e32 17, v188
	s_cbranch_execz .LBB84_377
; %bb.376:
	v_mul_f64 v[180:181], v[174:175], v[102:103]
	v_mul_f64 v[102:103], v[172:173], v[102:103]
	s_delay_alu instid0(VALU_DEP_2) | instskip(NEXT) | instid1(VALU_DEP_2)
	v_fma_f64 v[180:181], v[172:173], v[100:101], -v[180:181]
	v_fma_f64 v[102:103], v[174:175], v[100:101], v[102:103]
	ds_load_2addr_b64 v[172:175], v182 offset0:36 offset1:37
	s_waitcnt lgkmcnt(0)
	v_mul_f64 v[100:101], v[174:175], v[102:103]
	s_delay_alu instid0(VALU_DEP_1) | instskip(SKIP_1) | instid1(VALU_DEP_2)
	v_fma_f64 v[100:101], v[172:173], v[180:181], -v[100:101]
	v_mul_f64 v[172:173], v[172:173], v[102:103]
	v_add_f64 v[96:97], v[96:97], -v[100:101]
	s_delay_alu instid0(VALU_DEP_2) | instskip(NEXT) | instid1(VALU_DEP_1)
	v_fma_f64 v[172:173], v[174:175], v[180:181], v[172:173]
	v_add_f64 v[98:99], v[98:99], -v[172:173]
	ds_load_2addr_b64 v[172:175], v182 offset0:38 offset1:39
	s_waitcnt lgkmcnt(0)
	v_mul_f64 v[100:101], v[174:175], v[102:103]
	s_delay_alu instid0(VALU_DEP_1) | instskip(SKIP_1) | instid1(VALU_DEP_2)
	v_fma_f64 v[100:101], v[172:173], v[180:181], -v[100:101]
	v_mul_f64 v[172:173], v[172:173], v[102:103]
	v_add_f64 v[92:93], v[92:93], -v[100:101]
	s_delay_alu instid0(VALU_DEP_2) | instskip(NEXT) | instid1(VALU_DEP_1)
	v_fma_f64 v[172:173], v[174:175], v[180:181], v[172:173]
	v_add_f64 v[94:95], v[94:95], -v[172:173]
	;; [unrolled: 10-line block ×24, first 2 shown]
	ds_load_2addr_b64 v[172:175], v182 offset0:84 offset1:85
	s_waitcnt lgkmcnt(0)
	v_mul_f64 v[100:101], v[174:175], v[102:103]
	s_delay_alu instid0(VALU_DEP_1) | instskip(SKIP_1) | instid1(VALU_DEP_2)
	v_fma_f64 v[100:101], v[172:173], v[180:181], -v[100:101]
	v_mul_f64 v[172:173], v[172:173], v[102:103]
	v_add_f64 v[0:1], v[0:1], -v[100:101]
	s_delay_alu instid0(VALU_DEP_2) | instskip(SKIP_1) | instid1(VALU_DEP_2)
	v_fma_f64 v[172:173], v[174:175], v[180:181], v[172:173]
	v_dual_mov_b32 v100, v180 :: v_dual_mov_b32 v101, v181
	v_add_f64 v[2:3], v[2:3], -v[172:173]
.LBB84_377:
	s_or_b32 exec_lo, exec_lo, s2
	v_lshl_add_u32 v172, v188, 4, v182
	s_barrier
	buffer_gl0_inv
	v_mov_b32_e32 v180, 18
	ds_store_2addr_b64 v172, v[96:97], v[98:99] offset1:1
	s_waitcnt lgkmcnt(0)
	s_barrier
	buffer_gl0_inv
	ds_load_2addr_b64 v[172:175], v182 offset0:36 offset1:37
	s_cmp_lt_i32 s5, 20
	s_cbranch_scc1 .LBB84_380
; %bb.378:
	v_add3_u32 v181, v186, 0, 0x130
	v_mov_b32_e32 v180, 18
	s_mov_b32 s6, 19
	s_set_inst_prefetch_distance 0x1
	.p2align	6
.LBB84_379:                             ; =>This Inner Loop Header: Depth=1
	ds_load_2addr_b64 v[189:192], v181 offset1:1
	s_waitcnt lgkmcnt(1)
	v_cmp_gt_f64_e32 vcc_lo, 0, v[172:173]
	v_xor_b32_e32 v193, 0x80000000, v173
	v_cmp_gt_f64_e64 s2, 0, v[174:175]
	v_xor_b32_e32 v195, 0x80000000, v175
	v_add_nc_u32_e32 v181, 16, v181
	s_waitcnt lgkmcnt(0)
	v_cmp_gt_f64_e64 s3, 0, v[189:190]
	v_mov_b32_e32 v197, v189
	v_dual_mov_b32 v199, v191 :: v_dual_cndmask_b32 v194, v173, v193
	v_xor_b32_e32 v193, 0x80000000, v190
	v_cndmask_b32_e64 v196, v175, v195, s2
	v_xor_b32_e32 v195, 0x80000000, v192
	s_delay_alu instid0(VALU_DEP_3) | instskip(SKIP_2) | instid1(VALU_DEP_2)
	v_cndmask_b32_e64 v198, v190, v193, s3
	v_cmp_gt_f64_e64 s3, 0, v[191:192]
	v_cndmask_b32_e32 v193, v172, v172, vcc_lo
	v_cndmask_b32_e64 v200, v192, v195, s3
	v_cndmask_b32_e64 v195, v174, v174, s2
	s_delay_alu instid0(VALU_DEP_2) | instskip(NEXT) | instid1(VALU_DEP_2)
	v_add_f64 v[197:198], v[197:198], v[199:200]
	v_add_f64 v[193:194], v[193:194], v[195:196]
	s_delay_alu instid0(VALU_DEP_1) | instskip(SKIP_4) | instid1(SALU_CYCLE_1)
	v_cmp_lt_f64_e32 vcc_lo, v[193:194], v[197:198]
	v_dual_cndmask_b32 v174, v174, v191 :: v_dual_cndmask_b32 v173, v173, v190
	v_dual_cndmask_b32 v172, v172, v189 :: v_dual_cndmask_b32 v175, v175, v192
	v_cndmask_b32_e64 v180, v180, s6, vcc_lo
	s_add_i32 s6, s6, 1
	s_cmp_lg_u32 s5, s6
	s_cbranch_scc1 .LBB84_379
.LBB84_380:
	s_set_inst_prefetch_distance 0x2
	s_waitcnt lgkmcnt(0)
	v_cmp_eq_f64_e32 vcc_lo, 0, v[172:173]
	v_cmp_eq_f64_e64 s2, 0, v[174:175]
	s_delay_alu instid0(VALU_DEP_1) | instskip(NEXT) | instid1(SALU_CYCLE_1)
	s_and_b32 s2, vcc_lo, s2
	s_and_saveexec_b32 s3, s2
	s_delay_alu instid0(SALU_CYCLE_1)
	s_xor_b32 s2, exec_lo, s3
; %bb.381:
	v_cmp_ne_u32_e32 vcc_lo, 0, v185
	v_cndmask_b32_e32 v185, 19, v185, vcc_lo
; %bb.382:
	s_and_not1_saveexec_b32 s3, s2
	s_cbranch_execz .LBB84_388
; %bb.383:
	v_cmp_gt_f64_e32 vcc_lo, 0, v[172:173]
	v_cmp_gt_f64_e64 s2, 0, v[174:175]
	v_xor_b32_e32 v181, 0x80000000, v173
	v_xor_b32_e32 v189, 0x80000000, v175
	s_delay_alu instid0(VALU_DEP_2) | instskip(NEXT) | instid1(VALU_DEP_2)
	v_cndmask_b32_e32 v190, v173, v181, vcc_lo
	v_cndmask_b32_e64 v192, v175, v189, s2
	v_cndmask_b32_e32 v189, v172, v172, vcc_lo
	v_cndmask_b32_e64 v191, v174, v174, s2
	s_mov_b32 s2, exec_lo
	s_delay_alu instid0(VALU_DEP_1)
	v_cmpx_ngt_f64_e32 v[189:190], v[191:192]
	s_xor_b32 s2, exec_lo, s2
	s_cbranch_execz .LBB84_385
; %bb.384:
	v_div_scale_f64 v[189:190], null, v[174:175], v[174:175], v[172:173]
	v_div_scale_f64 v[195:196], vcc_lo, v[172:173], v[174:175], v[172:173]
	s_delay_alu instid0(VALU_DEP_2) | instskip(SKIP_2) | instid1(VALU_DEP_1)
	v_rcp_f64_e32 v[191:192], v[189:190]
	s_waitcnt_depctr 0xfff
	v_fma_f64 v[193:194], -v[189:190], v[191:192], 1.0
	v_fma_f64 v[191:192], v[191:192], v[193:194], v[191:192]
	s_delay_alu instid0(VALU_DEP_1) | instskip(NEXT) | instid1(VALU_DEP_1)
	v_fma_f64 v[193:194], -v[189:190], v[191:192], 1.0
	v_fma_f64 v[191:192], v[191:192], v[193:194], v[191:192]
	s_delay_alu instid0(VALU_DEP_1) | instskip(NEXT) | instid1(VALU_DEP_1)
	v_mul_f64 v[193:194], v[195:196], v[191:192]
	v_fma_f64 v[189:190], -v[189:190], v[193:194], v[195:196]
	s_delay_alu instid0(VALU_DEP_1) | instskip(NEXT) | instid1(VALU_DEP_1)
	v_div_fmas_f64 v[189:190], v[189:190], v[191:192], v[193:194]
	v_div_fixup_f64 v[189:190], v[189:190], v[174:175], v[172:173]
	s_delay_alu instid0(VALU_DEP_1) | instskip(NEXT) | instid1(VALU_DEP_1)
	v_fma_f64 v[172:173], v[172:173], v[189:190], v[174:175]
	v_div_scale_f64 v[174:175], null, v[172:173], v[172:173], 1.0
	s_delay_alu instid0(VALU_DEP_1) | instskip(SKIP_2) | instid1(VALU_DEP_1)
	v_rcp_f64_e32 v[191:192], v[174:175]
	s_waitcnt_depctr 0xfff
	v_fma_f64 v[193:194], -v[174:175], v[191:192], 1.0
	v_fma_f64 v[191:192], v[191:192], v[193:194], v[191:192]
	s_delay_alu instid0(VALU_DEP_1) | instskip(NEXT) | instid1(VALU_DEP_1)
	v_fma_f64 v[193:194], -v[174:175], v[191:192], 1.0
	v_fma_f64 v[191:192], v[191:192], v[193:194], v[191:192]
	v_div_scale_f64 v[193:194], vcc_lo, 1.0, v[172:173], 1.0
	s_delay_alu instid0(VALU_DEP_1) | instskip(NEXT) | instid1(VALU_DEP_1)
	v_mul_f64 v[195:196], v[193:194], v[191:192]
	v_fma_f64 v[174:175], -v[174:175], v[195:196], v[193:194]
	s_delay_alu instid0(VALU_DEP_1) | instskip(NEXT) | instid1(VALU_DEP_1)
	v_div_fmas_f64 v[174:175], v[174:175], v[191:192], v[195:196]
	v_div_fixup_f64 v[174:175], v[174:175], v[172:173], 1.0
	s_delay_alu instid0(VALU_DEP_1)
	v_mul_f64 v[172:173], v[189:190], v[174:175]
	v_xor_b32_e32 v175, 0x80000000, v175
.LBB84_385:
	s_and_not1_saveexec_b32 s2, s2
	s_cbranch_execz .LBB84_387
; %bb.386:
	s_delay_alu instid0(VALU_DEP_1) | instskip(SKIP_1) | instid1(VALU_DEP_2)
	v_div_scale_f64 v[189:190], null, v[172:173], v[172:173], v[174:175]
	v_div_scale_f64 v[195:196], vcc_lo, v[174:175], v[172:173], v[174:175]
	v_rcp_f64_e32 v[191:192], v[189:190]
	s_waitcnt_depctr 0xfff
	v_fma_f64 v[193:194], -v[189:190], v[191:192], 1.0
	s_delay_alu instid0(VALU_DEP_1) | instskip(NEXT) | instid1(VALU_DEP_1)
	v_fma_f64 v[191:192], v[191:192], v[193:194], v[191:192]
	v_fma_f64 v[193:194], -v[189:190], v[191:192], 1.0
	s_delay_alu instid0(VALU_DEP_1) | instskip(NEXT) | instid1(VALU_DEP_1)
	v_fma_f64 v[191:192], v[191:192], v[193:194], v[191:192]
	v_mul_f64 v[193:194], v[195:196], v[191:192]
	s_delay_alu instid0(VALU_DEP_1) | instskip(NEXT) | instid1(VALU_DEP_1)
	v_fma_f64 v[189:190], -v[189:190], v[193:194], v[195:196]
	v_div_fmas_f64 v[189:190], v[189:190], v[191:192], v[193:194]
	s_delay_alu instid0(VALU_DEP_1) | instskip(NEXT) | instid1(VALU_DEP_1)
	v_div_fixup_f64 v[189:190], v[189:190], v[172:173], v[174:175]
	v_fma_f64 v[172:173], v[174:175], v[189:190], v[172:173]
	s_delay_alu instid0(VALU_DEP_1) | instskip(NEXT) | instid1(VALU_DEP_1)
	v_div_scale_f64 v[174:175], null, v[172:173], v[172:173], 1.0
	v_rcp_f64_e32 v[191:192], v[174:175]
	s_waitcnt_depctr 0xfff
	v_fma_f64 v[193:194], -v[174:175], v[191:192], 1.0
	s_delay_alu instid0(VALU_DEP_1) | instskip(NEXT) | instid1(VALU_DEP_1)
	v_fma_f64 v[191:192], v[191:192], v[193:194], v[191:192]
	v_fma_f64 v[193:194], -v[174:175], v[191:192], 1.0
	s_delay_alu instid0(VALU_DEP_1) | instskip(SKIP_1) | instid1(VALU_DEP_1)
	v_fma_f64 v[191:192], v[191:192], v[193:194], v[191:192]
	v_div_scale_f64 v[193:194], vcc_lo, 1.0, v[172:173], 1.0
	v_mul_f64 v[195:196], v[193:194], v[191:192]
	s_delay_alu instid0(VALU_DEP_1) | instskip(NEXT) | instid1(VALU_DEP_1)
	v_fma_f64 v[174:175], -v[174:175], v[195:196], v[193:194]
	v_div_fmas_f64 v[174:175], v[174:175], v[191:192], v[195:196]
	s_delay_alu instid0(VALU_DEP_1) | instskip(NEXT) | instid1(VALU_DEP_1)
	v_div_fixup_f64 v[172:173], v[174:175], v[172:173], 1.0
	v_mul_f64 v[174:175], v[189:190], -v[172:173]
.LBB84_387:
	s_or_b32 exec_lo, exec_lo, s2
.LBB84_388:
	s_delay_alu instid0(SALU_CYCLE_1) | instskip(NEXT) | instid1(SALU_CYCLE_1)
	s_or_b32 exec_lo, exec_lo, s3
	s_mov_b32 s2, exec_lo
	v_cmpx_ne_u32_e64 v188, v180
	s_xor_b32 s2, exec_lo, s2
	s_cbranch_execz .LBB84_394
; %bb.389:
	s_mov_b32 s3, exec_lo
	v_cmpx_eq_u32_e32 18, v188
	s_cbranch_execz .LBB84_393
; %bb.390:
	v_cmp_ne_u32_e32 vcc_lo, 18, v180
	s_xor_b32 s6, s4, -1
	s_delay_alu instid0(SALU_CYCLE_1) | instskip(NEXT) | instid1(SALU_CYCLE_1)
	s_and_b32 s7, s6, vcc_lo
	s_and_saveexec_b32 s6, s7
	s_cbranch_execz .LBB84_392
; %bb.391:
	v_ashrrev_i32_e32 v181, 31, v180
	s_delay_alu instid0(VALU_DEP_1) | instskip(NEXT) | instid1(VALU_DEP_1)
	v_lshlrev_b64 v[187:188], 2, v[180:181]
	v_add_co_u32 v187, vcc_lo, v178, v187
	s_delay_alu instid0(VALU_DEP_2)
	v_add_co_ci_u32_e32 v188, vcc_lo, v179, v188, vcc_lo
	s_clause 0x1
	flat_load_b32 v181, v[187:188]
	flat_load_b32 v189, v[178:179] offset:72
	s_waitcnt vmcnt(1) lgkmcnt(1)
	flat_store_b32 v[178:179], v181 offset:72
	s_waitcnt vmcnt(0) lgkmcnt(1)
	flat_store_b32 v[187:188], v189
.LBB84_392:
	s_or_b32 exec_lo, exec_lo, s6
	v_mov_b32_e32 v188, v180
	v_mov_b32_e32 v187, v180
.LBB84_393:
	s_or_b32 exec_lo, exec_lo, s3
.LBB84_394:
	s_and_not1_saveexec_b32 s2, s2
	s_cbranch_execz .LBB84_396
; %bb.395:
	v_mov_b32_e32 v188, 18
	ds_store_2addr_b64 v182, v[92:93], v[94:95] offset0:38 offset1:39
	ds_store_2addr_b64 v182, v[88:89], v[90:91] offset0:40 offset1:41
	;; [unrolled: 1-line block ×24, first 2 shown]
.LBB84_396:
	s_or_b32 exec_lo, exec_lo, s2
	s_delay_alu instid0(SALU_CYCLE_1)
	s_mov_b32 s2, exec_lo
	s_waitcnt lgkmcnt(0)
	s_waitcnt_vscnt null, 0x0
	s_barrier
	buffer_gl0_inv
	v_cmpx_lt_i32_e32 18, v188
	s_cbranch_execz .LBB84_398
; %bb.397:
	v_mul_f64 v[180:181], v[174:175], v[98:99]
	v_mul_f64 v[98:99], v[172:173], v[98:99]
	s_delay_alu instid0(VALU_DEP_2) | instskip(NEXT) | instid1(VALU_DEP_2)
	v_fma_f64 v[180:181], v[172:173], v[96:97], -v[180:181]
	v_fma_f64 v[98:99], v[174:175], v[96:97], v[98:99]
	ds_load_2addr_b64 v[172:175], v182 offset0:38 offset1:39
	s_waitcnt lgkmcnt(0)
	v_mul_f64 v[96:97], v[174:175], v[98:99]
	s_delay_alu instid0(VALU_DEP_1) | instskip(SKIP_1) | instid1(VALU_DEP_2)
	v_fma_f64 v[96:97], v[172:173], v[180:181], -v[96:97]
	v_mul_f64 v[172:173], v[172:173], v[98:99]
	v_add_f64 v[92:93], v[92:93], -v[96:97]
	s_delay_alu instid0(VALU_DEP_2) | instskip(NEXT) | instid1(VALU_DEP_1)
	v_fma_f64 v[172:173], v[174:175], v[180:181], v[172:173]
	v_add_f64 v[94:95], v[94:95], -v[172:173]
	ds_load_2addr_b64 v[172:175], v182 offset0:40 offset1:41
	s_waitcnt lgkmcnt(0)
	v_mul_f64 v[96:97], v[174:175], v[98:99]
	s_delay_alu instid0(VALU_DEP_1) | instskip(SKIP_1) | instid1(VALU_DEP_2)
	v_fma_f64 v[96:97], v[172:173], v[180:181], -v[96:97]
	v_mul_f64 v[172:173], v[172:173], v[98:99]
	v_add_f64 v[88:89], v[88:89], -v[96:97]
	s_delay_alu instid0(VALU_DEP_2) | instskip(NEXT) | instid1(VALU_DEP_1)
	v_fma_f64 v[172:173], v[174:175], v[180:181], v[172:173]
	v_add_f64 v[90:91], v[90:91], -v[172:173]
	;; [unrolled: 10-line block ×23, first 2 shown]
	ds_load_2addr_b64 v[172:175], v182 offset0:84 offset1:85
	s_waitcnt lgkmcnt(0)
	v_mul_f64 v[96:97], v[174:175], v[98:99]
	s_delay_alu instid0(VALU_DEP_1) | instskip(SKIP_1) | instid1(VALU_DEP_2)
	v_fma_f64 v[96:97], v[172:173], v[180:181], -v[96:97]
	v_mul_f64 v[172:173], v[172:173], v[98:99]
	v_add_f64 v[0:1], v[0:1], -v[96:97]
	s_delay_alu instid0(VALU_DEP_2) | instskip(SKIP_1) | instid1(VALU_DEP_2)
	v_fma_f64 v[172:173], v[174:175], v[180:181], v[172:173]
	v_dual_mov_b32 v96, v180 :: v_dual_mov_b32 v97, v181
	v_add_f64 v[2:3], v[2:3], -v[172:173]
.LBB84_398:
	s_or_b32 exec_lo, exec_lo, s2
	v_lshl_add_u32 v172, v188, 4, v182
	s_barrier
	buffer_gl0_inv
	v_mov_b32_e32 v180, 19
	ds_store_2addr_b64 v172, v[92:93], v[94:95] offset1:1
	s_waitcnt lgkmcnt(0)
	s_barrier
	buffer_gl0_inv
	ds_load_2addr_b64 v[172:175], v182 offset0:38 offset1:39
	s_cmp_lt_i32 s5, 21
	s_cbranch_scc1 .LBB84_401
; %bb.399:
	v_add3_u32 v181, v186, 0, 0x140
	v_mov_b32_e32 v180, 19
	s_mov_b32 s6, 20
	s_set_inst_prefetch_distance 0x1
	.p2align	6
.LBB84_400:                             ; =>This Inner Loop Header: Depth=1
	ds_load_2addr_b64 v[189:192], v181 offset1:1
	s_waitcnt lgkmcnt(1)
	v_cmp_gt_f64_e32 vcc_lo, 0, v[172:173]
	v_xor_b32_e32 v193, 0x80000000, v173
	v_cmp_gt_f64_e64 s2, 0, v[174:175]
	v_xor_b32_e32 v195, 0x80000000, v175
	v_add_nc_u32_e32 v181, 16, v181
	s_waitcnt lgkmcnt(0)
	v_cmp_gt_f64_e64 s3, 0, v[189:190]
	v_mov_b32_e32 v197, v189
	v_dual_mov_b32 v199, v191 :: v_dual_cndmask_b32 v194, v173, v193
	v_xor_b32_e32 v193, 0x80000000, v190
	v_cndmask_b32_e64 v196, v175, v195, s2
	v_xor_b32_e32 v195, 0x80000000, v192
	s_delay_alu instid0(VALU_DEP_3) | instskip(SKIP_2) | instid1(VALU_DEP_2)
	v_cndmask_b32_e64 v198, v190, v193, s3
	v_cmp_gt_f64_e64 s3, 0, v[191:192]
	v_cndmask_b32_e32 v193, v172, v172, vcc_lo
	v_cndmask_b32_e64 v200, v192, v195, s3
	v_cndmask_b32_e64 v195, v174, v174, s2
	s_delay_alu instid0(VALU_DEP_2) | instskip(NEXT) | instid1(VALU_DEP_2)
	v_add_f64 v[197:198], v[197:198], v[199:200]
	v_add_f64 v[193:194], v[193:194], v[195:196]
	s_delay_alu instid0(VALU_DEP_1) | instskip(SKIP_4) | instid1(SALU_CYCLE_1)
	v_cmp_lt_f64_e32 vcc_lo, v[193:194], v[197:198]
	v_dual_cndmask_b32 v174, v174, v191 :: v_dual_cndmask_b32 v173, v173, v190
	v_dual_cndmask_b32 v172, v172, v189 :: v_dual_cndmask_b32 v175, v175, v192
	v_cndmask_b32_e64 v180, v180, s6, vcc_lo
	s_add_i32 s6, s6, 1
	s_cmp_lg_u32 s5, s6
	s_cbranch_scc1 .LBB84_400
.LBB84_401:
	s_set_inst_prefetch_distance 0x2
	s_waitcnt lgkmcnt(0)
	v_cmp_eq_f64_e32 vcc_lo, 0, v[172:173]
	v_cmp_eq_f64_e64 s2, 0, v[174:175]
	s_delay_alu instid0(VALU_DEP_1) | instskip(NEXT) | instid1(SALU_CYCLE_1)
	s_and_b32 s2, vcc_lo, s2
	s_and_saveexec_b32 s3, s2
	s_delay_alu instid0(SALU_CYCLE_1)
	s_xor_b32 s2, exec_lo, s3
; %bb.402:
	v_cmp_ne_u32_e32 vcc_lo, 0, v185
	v_cndmask_b32_e32 v185, 20, v185, vcc_lo
; %bb.403:
	s_and_not1_saveexec_b32 s3, s2
	s_cbranch_execz .LBB84_409
; %bb.404:
	v_cmp_gt_f64_e32 vcc_lo, 0, v[172:173]
	v_cmp_gt_f64_e64 s2, 0, v[174:175]
	v_xor_b32_e32 v181, 0x80000000, v173
	v_xor_b32_e32 v189, 0x80000000, v175
	s_delay_alu instid0(VALU_DEP_2) | instskip(NEXT) | instid1(VALU_DEP_2)
	v_cndmask_b32_e32 v190, v173, v181, vcc_lo
	v_cndmask_b32_e64 v192, v175, v189, s2
	v_cndmask_b32_e32 v189, v172, v172, vcc_lo
	v_cndmask_b32_e64 v191, v174, v174, s2
	s_mov_b32 s2, exec_lo
	s_delay_alu instid0(VALU_DEP_1)
	v_cmpx_ngt_f64_e32 v[189:190], v[191:192]
	s_xor_b32 s2, exec_lo, s2
	s_cbranch_execz .LBB84_406
; %bb.405:
	v_div_scale_f64 v[189:190], null, v[174:175], v[174:175], v[172:173]
	v_div_scale_f64 v[195:196], vcc_lo, v[172:173], v[174:175], v[172:173]
	s_delay_alu instid0(VALU_DEP_2) | instskip(SKIP_2) | instid1(VALU_DEP_1)
	v_rcp_f64_e32 v[191:192], v[189:190]
	s_waitcnt_depctr 0xfff
	v_fma_f64 v[193:194], -v[189:190], v[191:192], 1.0
	v_fma_f64 v[191:192], v[191:192], v[193:194], v[191:192]
	s_delay_alu instid0(VALU_DEP_1) | instskip(NEXT) | instid1(VALU_DEP_1)
	v_fma_f64 v[193:194], -v[189:190], v[191:192], 1.0
	v_fma_f64 v[191:192], v[191:192], v[193:194], v[191:192]
	s_delay_alu instid0(VALU_DEP_1) | instskip(NEXT) | instid1(VALU_DEP_1)
	v_mul_f64 v[193:194], v[195:196], v[191:192]
	v_fma_f64 v[189:190], -v[189:190], v[193:194], v[195:196]
	s_delay_alu instid0(VALU_DEP_1) | instskip(NEXT) | instid1(VALU_DEP_1)
	v_div_fmas_f64 v[189:190], v[189:190], v[191:192], v[193:194]
	v_div_fixup_f64 v[189:190], v[189:190], v[174:175], v[172:173]
	s_delay_alu instid0(VALU_DEP_1) | instskip(NEXT) | instid1(VALU_DEP_1)
	v_fma_f64 v[172:173], v[172:173], v[189:190], v[174:175]
	v_div_scale_f64 v[174:175], null, v[172:173], v[172:173], 1.0
	s_delay_alu instid0(VALU_DEP_1) | instskip(SKIP_2) | instid1(VALU_DEP_1)
	v_rcp_f64_e32 v[191:192], v[174:175]
	s_waitcnt_depctr 0xfff
	v_fma_f64 v[193:194], -v[174:175], v[191:192], 1.0
	v_fma_f64 v[191:192], v[191:192], v[193:194], v[191:192]
	s_delay_alu instid0(VALU_DEP_1) | instskip(NEXT) | instid1(VALU_DEP_1)
	v_fma_f64 v[193:194], -v[174:175], v[191:192], 1.0
	v_fma_f64 v[191:192], v[191:192], v[193:194], v[191:192]
	v_div_scale_f64 v[193:194], vcc_lo, 1.0, v[172:173], 1.0
	s_delay_alu instid0(VALU_DEP_1) | instskip(NEXT) | instid1(VALU_DEP_1)
	v_mul_f64 v[195:196], v[193:194], v[191:192]
	v_fma_f64 v[174:175], -v[174:175], v[195:196], v[193:194]
	s_delay_alu instid0(VALU_DEP_1) | instskip(NEXT) | instid1(VALU_DEP_1)
	v_div_fmas_f64 v[174:175], v[174:175], v[191:192], v[195:196]
	v_div_fixup_f64 v[174:175], v[174:175], v[172:173], 1.0
	s_delay_alu instid0(VALU_DEP_1)
	v_mul_f64 v[172:173], v[189:190], v[174:175]
	v_xor_b32_e32 v175, 0x80000000, v175
.LBB84_406:
	s_and_not1_saveexec_b32 s2, s2
	s_cbranch_execz .LBB84_408
; %bb.407:
	s_delay_alu instid0(VALU_DEP_1) | instskip(SKIP_1) | instid1(VALU_DEP_2)
	v_div_scale_f64 v[189:190], null, v[172:173], v[172:173], v[174:175]
	v_div_scale_f64 v[195:196], vcc_lo, v[174:175], v[172:173], v[174:175]
	v_rcp_f64_e32 v[191:192], v[189:190]
	s_waitcnt_depctr 0xfff
	v_fma_f64 v[193:194], -v[189:190], v[191:192], 1.0
	s_delay_alu instid0(VALU_DEP_1) | instskip(NEXT) | instid1(VALU_DEP_1)
	v_fma_f64 v[191:192], v[191:192], v[193:194], v[191:192]
	v_fma_f64 v[193:194], -v[189:190], v[191:192], 1.0
	s_delay_alu instid0(VALU_DEP_1) | instskip(NEXT) | instid1(VALU_DEP_1)
	v_fma_f64 v[191:192], v[191:192], v[193:194], v[191:192]
	v_mul_f64 v[193:194], v[195:196], v[191:192]
	s_delay_alu instid0(VALU_DEP_1) | instskip(NEXT) | instid1(VALU_DEP_1)
	v_fma_f64 v[189:190], -v[189:190], v[193:194], v[195:196]
	v_div_fmas_f64 v[189:190], v[189:190], v[191:192], v[193:194]
	s_delay_alu instid0(VALU_DEP_1) | instskip(NEXT) | instid1(VALU_DEP_1)
	v_div_fixup_f64 v[189:190], v[189:190], v[172:173], v[174:175]
	v_fma_f64 v[172:173], v[174:175], v[189:190], v[172:173]
	s_delay_alu instid0(VALU_DEP_1) | instskip(NEXT) | instid1(VALU_DEP_1)
	v_div_scale_f64 v[174:175], null, v[172:173], v[172:173], 1.0
	v_rcp_f64_e32 v[191:192], v[174:175]
	s_waitcnt_depctr 0xfff
	v_fma_f64 v[193:194], -v[174:175], v[191:192], 1.0
	s_delay_alu instid0(VALU_DEP_1) | instskip(NEXT) | instid1(VALU_DEP_1)
	v_fma_f64 v[191:192], v[191:192], v[193:194], v[191:192]
	v_fma_f64 v[193:194], -v[174:175], v[191:192], 1.0
	s_delay_alu instid0(VALU_DEP_1) | instskip(SKIP_1) | instid1(VALU_DEP_1)
	v_fma_f64 v[191:192], v[191:192], v[193:194], v[191:192]
	v_div_scale_f64 v[193:194], vcc_lo, 1.0, v[172:173], 1.0
	v_mul_f64 v[195:196], v[193:194], v[191:192]
	s_delay_alu instid0(VALU_DEP_1) | instskip(NEXT) | instid1(VALU_DEP_1)
	v_fma_f64 v[174:175], -v[174:175], v[195:196], v[193:194]
	v_div_fmas_f64 v[174:175], v[174:175], v[191:192], v[195:196]
	s_delay_alu instid0(VALU_DEP_1) | instskip(NEXT) | instid1(VALU_DEP_1)
	v_div_fixup_f64 v[172:173], v[174:175], v[172:173], 1.0
	v_mul_f64 v[174:175], v[189:190], -v[172:173]
.LBB84_408:
	s_or_b32 exec_lo, exec_lo, s2
.LBB84_409:
	s_delay_alu instid0(SALU_CYCLE_1) | instskip(NEXT) | instid1(SALU_CYCLE_1)
	s_or_b32 exec_lo, exec_lo, s3
	s_mov_b32 s2, exec_lo
	v_cmpx_ne_u32_e64 v188, v180
	s_xor_b32 s2, exec_lo, s2
	s_cbranch_execz .LBB84_415
; %bb.410:
	s_mov_b32 s3, exec_lo
	v_cmpx_eq_u32_e32 19, v188
	s_cbranch_execz .LBB84_414
; %bb.411:
	v_cmp_ne_u32_e32 vcc_lo, 19, v180
	s_xor_b32 s6, s4, -1
	s_delay_alu instid0(SALU_CYCLE_1) | instskip(NEXT) | instid1(SALU_CYCLE_1)
	s_and_b32 s7, s6, vcc_lo
	s_and_saveexec_b32 s6, s7
	s_cbranch_execz .LBB84_413
; %bb.412:
	v_ashrrev_i32_e32 v181, 31, v180
	s_delay_alu instid0(VALU_DEP_1) | instskip(NEXT) | instid1(VALU_DEP_1)
	v_lshlrev_b64 v[187:188], 2, v[180:181]
	v_add_co_u32 v187, vcc_lo, v178, v187
	s_delay_alu instid0(VALU_DEP_2)
	v_add_co_ci_u32_e32 v188, vcc_lo, v179, v188, vcc_lo
	s_clause 0x1
	flat_load_b32 v181, v[187:188]
	flat_load_b32 v189, v[178:179] offset:76
	s_waitcnt vmcnt(1) lgkmcnt(1)
	flat_store_b32 v[178:179], v181 offset:76
	s_waitcnt vmcnt(0) lgkmcnt(1)
	flat_store_b32 v[187:188], v189
.LBB84_413:
	s_or_b32 exec_lo, exec_lo, s6
	v_mov_b32_e32 v188, v180
	v_mov_b32_e32 v187, v180
.LBB84_414:
	s_or_b32 exec_lo, exec_lo, s3
.LBB84_415:
	s_and_not1_saveexec_b32 s2, s2
	s_cbranch_execz .LBB84_417
; %bb.416:
	v_mov_b32_e32 v188, 19
	ds_store_2addr_b64 v182, v[88:89], v[90:91] offset0:40 offset1:41
	ds_store_2addr_b64 v182, v[84:85], v[86:87] offset0:42 offset1:43
	;; [unrolled: 1-line block ×23, first 2 shown]
.LBB84_417:
	s_or_b32 exec_lo, exec_lo, s2
	s_delay_alu instid0(SALU_CYCLE_1)
	s_mov_b32 s2, exec_lo
	s_waitcnt lgkmcnt(0)
	s_waitcnt_vscnt null, 0x0
	s_barrier
	buffer_gl0_inv
	v_cmpx_lt_i32_e32 19, v188
	s_cbranch_execz .LBB84_419
; %bb.418:
	v_mul_f64 v[180:181], v[174:175], v[94:95]
	v_mul_f64 v[94:95], v[172:173], v[94:95]
	s_delay_alu instid0(VALU_DEP_2) | instskip(NEXT) | instid1(VALU_DEP_2)
	v_fma_f64 v[180:181], v[172:173], v[92:93], -v[180:181]
	v_fma_f64 v[94:95], v[174:175], v[92:93], v[94:95]
	ds_load_2addr_b64 v[172:175], v182 offset0:40 offset1:41
	s_waitcnt lgkmcnt(0)
	v_mul_f64 v[92:93], v[174:175], v[94:95]
	s_delay_alu instid0(VALU_DEP_1) | instskip(SKIP_1) | instid1(VALU_DEP_2)
	v_fma_f64 v[92:93], v[172:173], v[180:181], -v[92:93]
	v_mul_f64 v[172:173], v[172:173], v[94:95]
	v_add_f64 v[88:89], v[88:89], -v[92:93]
	s_delay_alu instid0(VALU_DEP_2) | instskip(NEXT) | instid1(VALU_DEP_1)
	v_fma_f64 v[172:173], v[174:175], v[180:181], v[172:173]
	v_add_f64 v[90:91], v[90:91], -v[172:173]
	ds_load_2addr_b64 v[172:175], v182 offset0:42 offset1:43
	s_waitcnt lgkmcnt(0)
	v_mul_f64 v[92:93], v[174:175], v[94:95]
	s_delay_alu instid0(VALU_DEP_1) | instskip(SKIP_1) | instid1(VALU_DEP_2)
	v_fma_f64 v[92:93], v[172:173], v[180:181], -v[92:93]
	v_mul_f64 v[172:173], v[172:173], v[94:95]
	v_add_f64 v[84:85], v[84:85], -v[92:93]
	s_delay_alu instid0(VALU_DEP_2) | instskip(NEXT) | instid1(VALU_DEP_1)
	v_fma_f64 v[172:173], v[174:175], v[180:181], v[172:173]
	v_add_f64 v[86:87], v[86:87], -v[172:173]
	;; [unrolled: 10-line block ×22, first 2 shown]
	ds_load_2addr_b64 v[172:175], v182 offset0:84 offset1:85
	s_waitcnt lgkmcnt(0)
	v_mul_f64 v[92:93], v[174:175], v[94:95]
	s_delay_alu instid0(VALU_DEP_1) | instskip(SKIP_1) | instid1(VALU_DEP_2)
	v_fma_f64 v[92:93], v[172:173], v[180:181], -v[92:93]
	v_mul_f64 v[172:173], v[172:173], v[94:95]
	v_add_f64 v[0:1], v[0:1], -v[92:93]
	s_delay_alu instid0(VALU_DEP_2) | instskip(SKIP_1) | instid1(VALU_DEP_2)
	v_fma_f64 v[172:173], v[174:175], v[180:181], v[172:173]
	v_dual_mov_b32 v92, v180 :: v_dual_mov_b32 v93, v181
	v_add_f64 v[2:3], v[2:3], -v[172:173]
.LBB84_419:
	s_or_b32 exec_lo, exec_lo, s2
	v_lshl_add_u32 v172, v188, 4, v182
	s_barrier
	buffer_gl0_inv
	v_mov_b32_e32 v180, 20
	ds_store_2addr_b64 v172, v[88:89], v[90:91] offset1:1
	s_waitcnt lgkmcnt(0)
	s_barrier
	buffer_gl0_inv
	ds_load_2addr_b64 v[172:175], v182 offset0:40 offset1:41
	s_cmp_lt_i32 s5, 22
	s_cbranch_scc1 .LBB84_422
; %bb.420:
	v_add3_u32 v181, v186, 0, 0x150
	v_mov_b32_e32 v180, 20
	s_mov_b32 s6, 21
	s_set_inst_prefetch_distance 0x1
	.p2align	6
.LBB84_421:                             ; =>This Inner Loop Header: Depth=1
	ds_load_2addr_b64 v[189:192], v181 offset1:1
	s_waitcnt lgkmcnt(1)
	v_cmp_gt_f64_e32 vcc_lo, 0, v[172:173]
	v_xor_b32_e32 v193, 0x80000000, v173
	v_cmp_gt_f64_e64 s2, 0, v[174:175]
	v_xor_b32_e32 v195, 0x80000000, v175
	v_add_nc_u32_e32 v181, 16, v181
	s_waitcnt lgkmcnt(0)
	v_cmp_gt_f64_e64 s3, 0, v[189:190]
	v_mov_b32_e32 v197, v189
	v_dual_mov_b32 v199, v191 :: v_dual_cndmask_b32 v194, v173, v193
	v_xor_b32_e32 v193, 0x80000000, v190
	v_cndmask_b32_e64 v196, v175, v195, s2
	v_xor_b32_e32 v195, 0x80000000, v192
	s_delay_alu instid0(VALU_DEP_3) | instskip(SKIP_2) | instid1(VALU_DEP_2)
	v_cndmask_b32_e64 v198, v190, v193, s3
	v_cmp_gt_f64_e64 s3, 0, v[191:192]
	v_cndmask_b32_e32 v193, v172, v172, vcc_lo
	v_cndmask_b32_e64 v200, v192, v195, s3
	v_cndmask_b32_e64 v195, v174, v174, s2
	s_delay_alu instid0(VALU_DEP_2) | instskip(NEXT) | instid1(VALU_DEP_2)
	v_add_f64 v[197:198], v[197:198], v[199:200]
	v_add_f64 v[193:194], v[193:194], v[195:196]
	s_delay_alu instid0(VALU_DEP_1) | instskip(SKIP_4) | instid1(SALU_CYCLE_1)
	v_cmp_lt_f64_e32 vcc_lo, v[193:194], v[197:198]
	v_dual_cndmask_b32 v174, v174, v191 :: v_dual_cndmask_b32 v173, v173, v190
	v_dual_cndmask_b32 v172, v172, v189 :: v_dual_cndmask_b32 v175, v175, v192
	v_cndmask_b32_e64 v180, v180, s6, vcc_lo
	s_add_i32 s6, s6, 1
	s_cmp_lg_u32 s5, s6
	s_cbranch_scc1 .LBB84_421
.LBB84_422:
	s_set_inst_prefetch_distance 0x2
	s_waitcnt lgkmcnt(0)
	v_cmp_eq_f64_e32 vcc_lo, 0, v[172:173]
	v_cmp_eq_f64_e64 s2, 0, v[174:175]
	s_delay_alu instid0(VALU_DEP_1) | instskip(NEXT) | instid1(SALU_CYCLE_1)
	s_and_b32 s2, vcc_lo, s2
	s_and_saveexec_b32 s3, s2
	s_delay_alu instid0(SALU_CYCLE_1)
	s_xor_b32 s2, exec_lo, s3
; %bb.423:
	v_cmp_ne_u32_e32 vcc_lo, 0, v185
	v_cndmask_b32_e32 v185, 21, v185, vcc_lo
; %bb.424:
	s_and_not1_saveexec_b32 s3, s2
	s_cbranch_execz .LBB84_430
; %bb.425:
	v_cmp_gt_f64_e32 vcc_lo, 0, v[172:173]
	v_cmp_gt_f64_e64 s2, 0, v[174:175]
	v_xor_b32_e32 v181, 0x80000000, v173
	v_xor_b32_e32 v189, 0x80000000, v175
	s_delay_alu instid0(VALU_DEP_2) | instskip(NEXT) | instid1(VALU_DEP_2)
	v_cndmask_b32_e32 v190, v173, v181, vcc_lo
	v_cndmask_b32_e64 v192, v175, v189, s2
	v_cndmask_b32_e32 v189, v172, v172, vcc_lo
	v_cndmask_b32_e64 v191, v174, v174, s2
	s_mov_b32 s2, exec_lo
	s_delay_alu instid0(VALU_DEP_1)
	v_cmpx_ngt_f64_e32 v[189:190], v[191:192]
	s_xor_b32 s2, exec_lo, s2
	s_cbranch_execz .LBB84_427
; %bb.426:
	v_div_scale_f64 v[189:190], null, v[174:175], v[174:175], v[172:173]
	v_div_scale_f64 v[195:196], vcc_lo, v[172:173], v[174:175], v[172:173]
	s_delay_alu instid0(VALU_DEP_2) | instskip(SKIP_2) | instid1(VALU_DEP_1)
	v_rcp_f64_e32 v[191:192], v[189:190]
	s_waitcnt_depctr 0xfff
	v_fma_f64 v[193:194], -v[189:190], v[191:192], 1.0
	v_fma_f64 v[191:192], v[191:192], v[193:194], v[191:192]
	s_delay_alu instid0(VALU_DEP_1) | instskip(NEXT) | instid1(VALU_DEP_1)
	v_fma_f64 v[193:194], -v[189:190], v[191:192], 1.0
	v_fma_f64 v[191:192], v[191:192], v[193:194], v[191:192]
	s_delay_alu instid0(VALU_DEP_1) | instskip(NEXT) | instid1(VALU_DEP_1)
	v_mul_f64 v[193:194], v[195:196], v[191:192]
	v_fma_f64 v[189:190], -v[189:190], v[193:194], v[195:196]
	s_delay_alu instid0(VALU_DEP_1) | instskip(NEXT) | instid1(VALU_DEP_1)
	v_div_fmas_f64 v[189:190], v[189:190], v[191:192], v[193:194]
	v_div_fixup_f64 v[189:190], v[189:190], v[174:175], v[172:173]
	s_delay_alu instid0(VALU_DEP_1) | instskip(NEXT) | instid1(VALU_DEP_1)
	v_fma_f64 v[172:173], v[172:173], v[189:190], v[174:175]
	v_div_scale_f64 v[174:175], null, v[172:173], v[172:173], 1.0
	s_delay_alu instid0(VALU_DEP_1) | instskip(SKIP_2) | instid1(VALU_DEP_1)
	v_rcp_f64_e32 v[191:192], v[174:175]
	s_waitcnt_depctr 0xfff
	v_fma_f64 v[193:194], -v[174:175], v[191:192], 1.0
	v_fma_f64 v[191:192], v[191:192], v[193:194], v[191:192]
	s_delay_alu instid0(VALU_DEP_1) | instskip(NEXT) | instid1(VALU_DEP_1)
	v_fma_f64 v[193:194], -v[174:175], v[191:192], 1.0
	v_fma_f64 v[191:192], v[191:192], v[193:194], v[191:192]
	v_div_scale_f64 v[193:194], vcc_lo, 1.0, v[172:173], 1.0
	s_delay_alu instid0(VALU_DEP_1) | instskip(NEXT) | instid1(VALU_DEP_1)
	v_mul_f64 v[195:196], v[193:194], v[191:192]
	v_fma_f64 v[174:175], -v[174:175], v[195:196], v[193:194]
	s_delay_alu instid0(VALU_DEP_1) | instskip(NEXT) | instid1(VALU_DEP_1)
	v_div_fmas_f64 v[174:175], v[174:175], v[191:192], v[195:196]
	v_div_fixup_f64 v[174:175], v[174:175], v[172:173], 1.0
	s_delay_alu instid0(VALU_DEP_1)
	v_mul_f64 v[172:173], v[189:190], v[174:175]
	v_xor_b32_e32 v175, 0x80000000, v175
.LBB84_427:
	s_and_not1_saveexec_b32 s2, s2
	s_cbranch_execz .LBB84_429
; %bb.428:
	s_delay_alu instid0(VALU_DEP_1) | instskip(SKIP_1) | instid1(VALU_DEP_2)
	v_div_scale_f64 v[189:190], null, v[172:173], v[172:173], v[174:175]
	v_div_scale_f64 v[195:196], vcc_lo, v[174:175], v[172:173], v[174:175]
	v_rcp_f64_e32 v[191:192], v[189:190]
	s_waitcnt_depctr 0xfff
	v_fma_f64 v[193:194], -v[189:190], v[191:192], 1.0
	s_delay_alu instid0(VALU_DEP_1) | instskip(NEXT) | instid1(VALU_DEP_1)
	v_fma_f64 v[191:192], v[191:192], v[193:194], v[191:192]
	v_fma_f64 v[193:194], -v[189:190], v[191:192], 1.0
	s_delay_alu instid0(VALU_DEP_1) | instskip(NEXT) | instid1(VALU_DEP_1)
	v_fma_f64 v[191:192], v[191:192], v[193:194], v[191:192]
	v_mul_f64 v[193:194], v[195:196], v[191:192]
	s_delay_alu instid0(VALU_DEP_1) | instskip(NEXT) | instid1(VALU_DEP_1)
	v_fma_f64 v[189:190], -v[189:190], v[193:194], v[195:196]
	v_div_fmas_f64 v[189:190], v[189:190], v[191:192], v[193:194]
	s_delay_alu instid0(VALU_DEP_1) | instskip(NEXT) | instid1(VALU_DEP_1)
	v_div_fixup_f64 v[189:190], v[189:190], v[172:173], v[174:175]
	v_fma_f64 v[172:173], v[174:175], v[189:190], v[172:173]
	s_delay_alu instid0(VALU_DEP_1) | instskip(NEXT) | instid1(VALU_DEP_1)
	v_div_scale_f64 v[174:175], null, v[172:173], v[172:173], 1.0
	v_rcp_f64_e32 v[191:192], v[174:175]
	s_waitcnt_depctr 0xfff
	v_fma_f64 v[193:194], -v[174:175], v[191:192], 1.0
	s_delay_alu instid0(VALU_DEP_1) | instskip(NEXT) | instid1(VALU_DEP_1)
	v_fma_f64 v[191:192], v[191:192], v[193:194], v[191:192]
	v_fma_f64 v[193:194], -v[174:175], v[191:192], 1.0
	s_delay_alu instid0(VALU_DEP_1) | instskip(SKIP_1) | instid1(VALU_DEP_1)
	v_fma_f64 v[191:192], v[191:192], v[193:194], v[191:192]
	v_div_scale_f64 v[193:194], vcc_lo, 1.0, v[172:173], 1.0
	v_mul_f64 v[195:196], v[193:194], v[191:192]
	s_delay_alu instid0(VALU_DEP_1) | instskip(NEXT) | instid1(VALU_DEP_1)
	v_fma_f64 v[174:175], -v[174:175], v[195:196], v[193:194]
	v_div_fmas_f64 v[174:175], v[174:175], v[191:192], v[195:196]
	s_delay_alu instid0(VALU_DEP_1) | instskip(NEXT) | instid1(VALU_DEP_1)
	v_div_fixup_f64 v[172:173], v[174:175], v[172:173], 1.0
	v_mul_f64 v[174:175], v[189:190], -v[172:173]
.LBB84_429:
	s_or_b32 exec_lo, exec_lo, s2
.LBB84_430:
	s_delay_alu instid0(SALU_CYCLE_1) | instskip(NEXT) | instid1(SALU_CYCLE_1)
	s_or_b32 exec_lo, exec_lo, s3
	s_mov_b32 s2, exec_lo
	v_cmpx_ne_u32_e64 v188, v180
	s_xor_b32 s2, exec_lo, s2
	s_cbranch_execz .LBB84_436
; %bb.431:
	s_mov_b32 s3, exec_lo
	v_cmpx_eq_u32_e32 20, v188
	s_cbranch_execz .LBB84_435
; %bb.432:
	v_cmp_ne_u32_e32 vcc_lo, 20, v180
	s_xor_b32 s6, s4, -1
	s_delay_alu instid0(SALU_CYCLE_1) | instskip(NEXT) | instid1(SALU_CYCLE_1)
	s_and_b32 s7, s6, vcc_lo
	s_and_saveexec_b32 s6, s7
	s_cbranch_execz .LBB84_434
; %bb.433:
	v_ashrrev_i32_e32 v181, 31, v180
	s_delay_alu instid0(VALU_DEP_1) | instskip(NEXT) | instid1(VALU_DEP_1)
	v_lshlrev_b64 v[187:188], 2, v[180:181]
	v_add_co_u32 v187, vcc_lo, v178, v187
	s_delay_alu instid0(VALU_DEP_2)
	v_add_co_ci_u32_e32 v188, vcc_lo, v179, v188, vcc_lo
	s_clause 0x1
	flat_load_b32 v181, v[187:188]
	flat_load_b32 v189, v[178:179] offset:80
	s_waitcnt vmcnt(1) lgkmcnt(1)
	flat_store_b32 v[178:179], v181 offset:80
	s_waitcnt vmcnt(0) lgkmcnt(1)
	flat_store_b32 v[187:188], v189
.LBB84_434:
	s_or_b32 exec_lo, exec_lo, s6
	v_mov_b32_e32 v188, v180
	v_mov_b32_e32 v187, v180
.LBB84_435:
	s_or_b32 exec_lo, exec_lo, s3
.LBB84_436:
	s_and_not1_saveexec_b32 s2, s2
	s_cbranch_execz .LBB84_438
; %bb.437:
	v_mov_b32_e32 v188, 20
	ds_store_2addr_b64 v182, v[84:85], v[86:87] offset0:42 offset1:43
	ds_store_2addr_b64 v182, v[80:81], v[82:83] offset0:44 offset1:45
	;; [unrolled: 1-line block ×22, first 2 shown]
.LBB84_438:
	s_or_b32 exec_lo, exec_lo, s2
	s_delay_alu instid0(SALU_CYCLE_1)
	s_mov_b32 s2, exec_lo
	s_waitcnt lgkmcnt(0)
	s_waitcnt_vscnt null, 0x0
	s_barrier
	buffer_gl0_inv
	v_cmpx_lt_i32_e32 20, v188
	s_cbranch_execz .LBB84_440
; %bb.439:
	v_mul_f64 v[180:181], v[174:175], v[90:91]
	v_mul_f64 v[90:91], v[172:173], v[90:91]
	s_delay_alu instid0(VALU_DEP_2) | instskip(NEXT) | instid1(VALU_DEP_2)
	v_fma_f64 v[180:181], v[172:173], v[88:89], -v[180:181]
	v_fma_f64 v[90:91], v[174:175], v[88:89], v[90:91]
	ds_load_2addr_b64 v[172:175], v182 offset0:42 offset1:43
	s_waitcnt lgkmcnt(0)
	v_mul_f64 v[88:89], v[174:175], v[90:91]
	s_delay_alu instid0(VALU_DEP_1) | instskip(SKIP_1) | instid1(VALU_DEP_2)
	v_fma_f64 v[88:89], v[172:173], v[180:181], -v[88:89]
	v_mul_f64 v[172:173], v[172:173], v[90:91]
	v_add_f64 v[84:85], v[84:85], -v[88:89]
	s_delay_alu instid0(VALU_DEP_2) | instskip(NEXT) | instid1(VALU_DEP_1)
	v_fma_f64 v[172:173], v[174:175], v[180:181], v[172:173]
	v_add_f64 v[86:87], v[86:87], -v[172:173]
	ds_load_2addr_b64 v[172:175], v182 offset0:44 offset1:45
	s_waitcnt lgkmcnt(0)
	v_mul_f64 v[88:89], v[174:175], v[90:91]
	s_delay_alu instid0(VALU_DEP_1) | instskip(SKIP_1) | instid1(VALU_DEP_2)
	v_fma_f64 v[88:89], v[172:173], v[180:181], -v[88:89]
	v_mul_f64 v[172:173], v[172:173], v[90:91]
	v_add_f64 v[80:81], v[80:81], -v[88:89]
	s_delay_alu instid0(VALU_DEP_2) | instskip(NEXT) | instid1(VALU_DEP_1)
	v_fma_f64 v[172:173], v[174:175], v[180:181], v[172:173]
	v_add_f64 v[82:83], v[82:83], -v[172:173]
	;; [unrolled: 10-line block ×21, first 2 shown]
	ds_load_2addr_b64 v[172:175], v182 offset0:84 offset1:85
	s_waitcnt lgkmcnt(0)
	v_mul_f64 v[88:89], v[174:175], v[90:91]
	s_delay_alu instid0(VALU_DEP_1) | instskip(SKIP_1) | instid1(VALU_DEP_2)
	v_fma_f64 v[88:89], v[172:173], v[180:181], -v[88:89]
	v_mul_f64 v[172:173], v[172:173], v[90:91]
	v_add_f64 v[0:1], v[0:1], -v[88:89]
	s_delay_alu instid0(VALU_DEP_2) | instskip(SKIP_1) | instid1(VALU_DEP_2)
	v_fma_f64 v[172:173], v[174:175], v[180:181], v[172:173]
	v_dual_mov_b32 v88, v180 :: v_dual_mov_b32 v89, v181
	v_add_f64 v[2:3], v[2:3], -v[172:173]
.LBB84_440:
	s_or_b32 exec_lo, exec_lo, s2
	v_lshl_add_u32 v172, v188, 4, v182
	s_barrier
	buffer_gl0_inv
	v_mov_b32_e32 v180, 21
	ds_store_2addr_b64 v172, v[84:85], v[86:87] offset1:1
	s_waitcnt lgkmcnt(0)
	s_barrier
	buffer_gl0_inv
	ds_load_2addr_b64 v[172:175], v182 offset0:42 offset1:43
	s_cmp_lt_i32 s5, 23
	s_cbranch_scc1 .LBB84_443
; %bb.441:
	v_add3_u32 v181, v186, 0, 0x160
	v_mov_b32_e32 v180, 21
	s_mov_b32 s6, 22
	s_set_inst_prefetch_distance 0x1
	.p2align	6
.LBB84_442:                             ; =>This Inner Loop Header: Depth=1
	ds_load_2addr_b64 v[189:192], v181 offset1:1
	s_waitcnt lgkmcnt(1)
	v_cmp_gt_f64_e32 vcc_lo, 0, v[172:173]
	v_xor_b32_e32 v193, 0x80000000, v173
	v_cmp_gt_f64_e64 s2, 0, v[174:175]
	v_xor_b32_e32 v195, 0x80000000, v175
	v_add_nc_u32_e32 v181, 16, v181
	s_waitcnt lgkmcnt(0)
	v_cmp_gt_f64_e64 s3, 0, v[189:190]
	v_mov_b32_e32 v197, v189
	v_dual_mov_b32 v199, v191 :: v_dual_cndmask_b32 v194, v173, v193
	v_xor_b32_e32 v193, 0x80000000, v190
	v_cndmask_b32_e64 v196, v175, v195, s2
	v_xor_b32_e32 v195, 0x80000000, v192
	s_delay_alu instid0(VALU_DEP_3) | instskip(SKIP_2) | instid1(VALU_DEP_2)
	v_cndmask_b32_e64 v198, v190, v193, s3
	v_cmp_gt_f64_e64 s3, 0, v[191:192]
	v_cndmask_b32_e32 v193, v172, v172, vcc_lo
	v_cndmask_b32_e64 v200, v192, v195, s3
	v_cndmask_b32_e64 v195, v174, v174, s2
	s_delay_alu instid0(VALU_DEP_2) | instskip(NEXT) | instid1(VALU_DEP_2)
	v_add_f64 v[197:198], v[197:198], v[199:200]
	v_add_f64 v[193:194], v[193:194], v[195:196]
	s_delay_alu instid0(VALU_DEP_1) | instskip(SKIP_4) | instid1(SALU_CYCLE_1)
	v_cmp_lt_f64_e32 vcc_lo, v[193:194], v[197:198]
	v_dual_cndmask_b32 v174, v174, v191 :: v_dual_cndmask_b32 v173, v173, v190
	v_dual_cndmask_b32 v172, v172, v189 :: v_dual_cndmask_b32 v175, v175, v192
	v_cndmask_b32_e64 v180, v180, s6, vcc_lo
	s_add_i32 s6, s6, 1
	s_cmp_lg_u32 s5, s6
	s_cbranch_scc1 .LBB84_442
.LBB84_443:
	s_set_inst_prefetch_distance 0x2
	s_waitcnt lgkmcnt(0)
	v_cmp_eq_f64_e32 vcc_lo, 0, v[172:173]
	v_cmp_eq_f64_e64 s2, 0, v[174:175]
	s_delay_alu instid0(VALU_DEP_1) | instskip(NEXT) | instid1(SALU_CYCLE_1)
	s_and_b32 s2, vcc_lo, s2
	s_and_saveexec_b32 s3, s2
	s_delay_alu instid0(SALU_CYCLE_1)
	s_xor_b32 s2, exec_lo, s3
; %bb.444:
	v_cmp_ne_u32_e32 vcc_lo, 0, v185
	v_cndmask_b32_e32 v185, 22, v185, vcc_lo
; %bb.445:
	s_and_not1_saveexec_b32 s3, s2
	s_cbranch_execz .LBB84_451
; %bb.446:
	v_cmp_gt_f64_e32 vcc_lo, 0, v[172:173]
	v_cmp_gt_f64_e64 s2, 0, v[174:175]
	v_xor_b32_e32 v181, 0x80000000, v173
	v_xor_b32_e32 v189, 0x80000000, v175
	s_delay_alu instid0(VALU_DEP_2) | instskip(NEXT) | instid1(VALU_DEP_2)
	v_cndmask_b32_e32 v190, v173, v181, vcc_lo
	v_cndmask_b32_e64 v192, v175, v189, s2
	v_cndmask_b32_e32 v189, v172, v172, vcc_lo
	v_cndmask_b32_e64 v191, v174, v174, s2
	s_mov_b32 s2, exec_lo
	s_delay_alu instid0(VALU_DEP_1)
	v_cmpx_ngt_f64_e32 v[189:190], v[191:192]
	s_xor_b32 s2, exec_lo, s2
	s_cbranch_execz .LBB84_448
; %bb.447:
	v_div_scale_f64 v[189:190], null, v[174:175], v[174:175], v[172:173]
	v_div_scale_f64 v[195:196], vcc_lo, v[172:173], v[174:175], v[172:173]
	s_delay_alu instid0(VALU_DEP_2) | instskip(SKIP_2) | instid1(VALU_DEP_1)
	v_rcp_f64_e32 v[191:192], v[189:190]
	s_waitcnt_depctr 0xfff
	v_fma_f64 v[193:194], -v[189:190], v[191:192], 1.0
	v_fma_f64 v[191:192], v[191:192], v[193:194], v[191:192]
	s_delay_alu instid0(VALU_DEP_1) | instskip(NEXT) | instid1(VALU_DEP_1)
	v_fma_f64 v[193:194], -v[189:190], v[191:192], 1.0
	v_fma_f64 v[191:192], v[191:192], v[193:194], v[191:192]
	s_delay_alu instid0(VALU_DEP_1) | instskip(NEXT) | instid1(VALU_DEP_1)
	v_mul_f64 v[193:194], v[195:196], v[191:192]
	v_fma_f64 v[189:190], -v[189:190], v[193:194], v[195:196]
	s_delay_alu instid0(VALU_DEP_1) | instskip(NEXT) | instid1(VALU_DEP_1)
	v_div_fmas_f64 v[189:190], v[189:190], v[191:192], v[193:194]
	v_div_fixup_f64 v[189:190], v[189:190], v[174:175], v[172:173]
	s_delay_alu instid0(VALU_DEP_1) | instskip(NEXT) | instid1(VALU_DEP_1)
	v_fma_f64 v[172:173], v[172:173], v[189:190], v[174:175]
	v_div_scale_f64 v[174:175], null, v[172:173], v[172:173], 1.0
	s_delay_alu instid0(VALU_DEP_1) | instskip(SKIP_2) | instid1(VALU_DEP_1)
	v_rcp_f64_e32 v[191:192], v[174:175]
	s_waitcnt_depctr 0xfff
	v_fma_f64 v[193:194], -v[174:175], v[191:192], 1.0
	v_fma_f64 v[191:192], v[191:192], v[193:194], v[191:192]
	s_delay_alu instid0(VALU_DEP_1) | instskip(NEXT) | instid1(VALU_DEP_1)
	v_fma_f64 v[193:194], -v[174:175], v[191:192], 1.0
	v_fma_f64 v[191:192], v[191:192], v[193:194], v[191:192]
	v_div_scale_f64 v[193:194], vcc_lo, 1.0, v[172:173], 1.0
	s_delay_alu instid0(VALU_DEP_1) | instskip(NEXT) | instid1(VALU_DEP_1)
	v_mul_f64 v[195:196], v[193:194], v[191:192]
	v_fma_f64 v[174:175], -v[174:175], v[195:196], v[193:194]
	s_delay_alu instid0(VALU_DEP_1) | instskip(NEXT) | instid1(VALU_DEP_1)
	v_div_fmas_f64 v[174:175], v[174:175], v[191:192], v[195:196]
	v_div_fixup_f64 v[174:175], v[174:175], v[172:173], 1.0
	s_delay_alu instid0(VALU_DEP_1)
	v_mul_f64 v[172:173], v[189:190], v[174:175]
	v_xor_b32_e32 v175, 0x80000000, v175
.LBB84_448:
	s_and_not1_saveexec_b32 s2, s2
	s_cbranch_execz .LBB84_450
; %bb.449:
	s_delay_alu instid0(VALU_DEP_1) | instskip(SKIP_1) | instid1(VALU_DEP_2)
	v_div_scale_f64 v[189:190], null, v[172:173], v[172:173], v[174:175]
	v_div_scale_f64 v[195:196], vcc_lo, v[174:175], v[172:173], v[174:175]
	v_rcp_f64_e32 v[191:192], v[189:190]
	s_waitcnt_depctr 0xfff
	v_fma_f64 v[193:194], -v[189:190], v[191:192], 1.0
	s_delay_alu instid0(VALU_DEP_1) | instskip(NEXT) | instid1(VALU_DEP_1)
	v_fma_f64 v[191:192], v[191:192], v[193:194], v[191:192]
	v_fma_f64 v[193:194], -v[189:190], v[191:192], 1.0
	s_delay_alu instid0(VALU_DEP_1) | instskip(NEXT) | instid1(VALU_DEP_1)
	v_fma_f64 v[191:192], v[191:192], v[193:194], v[191:192]
	v_mul_f64 v[193:194], v[195:196], v[191:192]
	s_delay_alu instid0(VALU_DEP_1) | instskip(NEXT) | instid1(VALU_DEP_1)
	v_fma_f64 v[189:190], -v[189:190], v[193:194], v[195:196]
	v_div_fmas_f64 v[189:190], v[189:190], v[191:192], v[193:194]
	s_delay_alu instid0(VALU_DEP_1) | instskip(NEXT) | instid1(VALU_DEP_1)
	v_div_fixup_f64 v[189:190], v[189:190], v[172:173], v[174:175]
	v_fma_f64 v[172:173], v[174:175], v[189:190], v[172:173]
	s_delay_alu instid0(VALU_DEP_1) | instskip(NEXT) | instid1(VALU_DEP_1)
	v_div_scale_f64 v[174:175], null, v[172:173], v[172:173], 1.0
	v_rcp_f64_e32 v[191:192], v[174:175]
	s_waitcnt_depctr 0xfff
	v_fma_f64 v[193:194], -v[174:175], v[191:192], 1.0
	s_delay_alu instid0(VALU_DEP_1) | instskip(NEXT) | instid1(VALU_DEP_1)
	v_fma_f64 v[191:192], v[191:192], v[193:194], v[191:192]
	v_fma_f64 v[193:194], -v[174:175], v[191:192], 1.0
	s_delay_alu instid0(VALU_DEP_1) | instskip(SKIP_1) | instid1(VALU_DEP_1)
	v_fma_f64 v[191:192], v[191:192], v[193:194], v[191:192]
	v_div_scale_f64 v[193:194], vcc_lo, 1.0, v[172:173], 1.0
	v_mul_f64 v[195:196], v[193:194], v[191:192]
	s_delay_alu instid0(VALU_DEP_1) | instskip(NEXT) | instid1(VALU_DEP_1)
	v_fma_f64 v[174:175], -v[174:175], v[195:196], v[193:194]
	v_div_fmas_f64 v[174:175], v[174:175], v[191:192], v[195:196]
	s_delay_alu instid0(VALU_DEP_1) | instskip(NEXT) | instid1(VALU_DEP_1)
	v_div_fixup_f64 v[172:173], v[174:175], v[172:173], 1.0
	v_mul_f64 v[174:175], v[189:190], -v[172:173]
.LBB84_450:
	s_or_b32 exec_lo, exec_lo, s2
.LBB84_451:
	s_delay_alu instid0(SALU_CYCLE_1) | instskip(NEXT) | instid1(SALU_CYCLE_1)
	s_or_b32 exec_lo, exec_lo, s3
	s_mov_b32 s2, exec_lo
	v_cmpx_ne_u32_e64 v188, v180
	s_xor_b32 s2, exec_lo, s2
	s_cbranch_execz .LBB84_457
; %bb.452:
	s_mov_b32 s3, exec_lo
	v_cmpx_eq_u32_e32 21, v188
	s_cbranch_execz .LBB84_456
; %bb.453:
	v_cmp_ne_u32_e32 vcc_lo, 21, v180
	s_xor_b32 s6, s4, -1
	s_delay_alu instid0(SALU_CYCLE_1) | instskip(NEXT) | instid1(SALU_CYCLE_1)
	s_and_b32 s7, s6, vcc_lo
	s_and_saveexec_b32 s6, s7
	s_cbranch_execz .LBB84_455
; %bb.454:
	v_ashrrev_i32_e32 v181, 31, v180
	s_delay_alu instid0(VALU_DEP_1) | instskip(NEXT) | instid1(VALU_DEP_1)
	v_lshlrev_b64 v[187:188], 2, v[180:181]
	v_add_co_u32 v187, vcc_lo, v178, v187
	s_delay_alu instid0(VALU_DEP_2)
	v_add_co_ci_u32_e32 v188, vcc_lo, v179, v188, vcc_lo
	s_clause 0x1
	flat_load_b32 v181, v[187:188]
	flat_load_b32 v189, v[178:179] offset:84
	s_waitcnt vmcnt(1) lgkmcnt(1)
	flat_store_b32 v[178:179], v181 offset:84
	s_waitcnt vmcnt(0) lgkmcnt(1)
	flat_store_b32 v[187:188], v189
.LBB84_455:
	s_or_b32 exec_lo, exec_lo, s6
	v_mov_b32_e32 v188, v180
	v_mov_b32_e32 v187, v180
.LBB84_456:
	s_or_b32 exec_lo, exec_lo, s3
.LBB84_457:
	s_and_not1_saveexec_b32 s2, s2
	s_cbranch_execz .LBB84_459
; %bb.458:
	v_mov_b32_e32 v188, 21
	ds_store_2addr_b64 v182, v[80:81], v[82:83] offset0:44 offset1:45
	ds_store_2addr_b64 v182, v[76:77], v[78:79] offset0:46 offset1:47
	;; [unrolled: 1-line block ×21, first 2 shown]
.LBB84_459:
	s_or_b32 exec_lo, exec_lo, s2
	s_delay_alu instid0(SALU_CYCLE_1)
	s_mov_b32 s2, exec_lo
	s_waitcnt lgkmcnt(0)
	s_waitcnt_vscnt null, 0x0
	s_barrier
	buffer_gl0_inv
	v_cmpx_lt_i32_e32 21, v188
	s_cbranch_execz .LBB84_461
; %bb.460:
	v_mul_f64 v[180:181], v[174:175], v[86:87]
	v_mul_f64 v[86:87], v[172:173], v[86:87]
	s_delay_alu instid0(VALU_DEP_2) | instskip(NEXT) | instid1(VALU_DEP_2)
	v_fma_f64 v[180:181], v[172:173], v[84:85], -v[180:181]
	v_fma_f64 v[86:87], v[174:175], v[84:85], v[86:87]
	ds_load_2addr_b64 v[172:175], v182 offset0:44 offset1:45
	s_waitcnt lgkmcnt(0)
	v_mul_f64 v[84:85], v[174:175], v[86:87]
	s_delay_alu instid0(VALU_DEP_1) | instskip(SKIP_1) | instid1(VALU_DEP_2)
	v_fma_f64 v[84:85], v[172:173], v[180:181], -v[84:85]
	v_mul_f64 v[172:173], v[172:173], v[86:87]
	v_add_f64 v[80:81], v[80:81], -v[84:85]
	s_delay_alu instid0(VALU_DEP_2) | instskip(NEXT) | instid1(VALU_DEP_1)
	v_fma_f64 v[172:173], v[174:175], v[180:181], v[172:173]
	v_add_f64 v[82:83], v[82:83], -v[172:173]
	ds_load_2addr_b64 v[172:175], v182 offset0:46 offset1:47
	s_waitcnt lgkmcnt(0)
	v_mul_f64 v[84:85], v[174:175], v[86:87]
	s_delay_alu instid0(VALU_DEP_1) | instskip(SKIP_1) | instid1(VALU_DEP_2)
	v_fma_f64 v[84:85], v[172:173], v[180:181], -v[84:85]
	v_mul_f64 v[172:173], v[172:173], v[86:87]
	v_add_f64 v[76:77], v[76:77], -v[84:85]
	s_delay_alu instid0(VALU_DEP_2) | instskip(NEXT) | instid1(VALU_DEP_1)
	v_fma_f64 v[172:173], v[174:175], v[180:181], v[172:173]
	v_add_f64 v[78:79], v[78:79], -v[172:173]
	;; [unrolled: 10-line block ×20, first 2 shown]
	ds_load_2addr_b64 v[172:175], v182 offset0:84 offset1:85
	s_waitcnt lgkmcnt(0)
	v_mul_f64 v[84:85], v[174:175], v[86:87]
	s_delay_alu instid0(VALU_DEP_1) | instskip(SKIP_1) | instid1(VALU_DEP_2)
	v_fma_f64 v[84:85], v[172:173], v[180:181], -v[84:85]
	v_mul_f64 v[172:173], v[172:173], v[86:87]
	v_add_f64 v[0:1], v[0:1], -v[84:85]
	s_delay_alu instid0(VALU_DEP_2) | instskip(SKIP_1) | instid1(VALU_DEP_2)
	v_fma_f64 v[172:173], v[174:175], v[180:181], v[172:173]
	v_dual_mov_b32 v84, v180 :: v_dual_mov_b32 v85, v181
	v_add_f64 v[2:3], v[2:3], -v[172:173]
.LBB84_461:
	s_or_b32 exec_lo, exec_lo, s2
	v_lshl_add_u32 v172, v188, 4, v182
	s_barrier
	buffer_gl0_inv
	v_mov_b32_e32 v180, 22
	ds_store_2addr_b64 v172, v[80:81], v[82:83] offset1:1
	s_waitcnt lgkmcnt(0)
	s_barrier
	buffer_gl0_inv
	ds_load_2addr_b64 v[172:175], v182 offset0:44 offset1:45
	s_cmp_lt_i32 s5, 24
	s_cbranch_scc1 .LBB84_464
; %bb.462:
	v_add3_u32 v181, v186, 0, 0x170
	v_mov_b32_e32 v180, 22
	s_mov_b32 s6, 23
	s_set_inst_prefetch_distance 0x1
	.p2align	6
.LBB84_463:                             ; =>This Inner Loop Header: Depth=1
	ds_load_2addr_b64 v[189:192], v181 offset1:1
	s_waitcnt lgkmcnt(1)
	v_cmp_gt_f64_e32 vcc_lo, 0, v[172:173]
	v_xor_b32_e32 v193, 0x80000000, v173
	v_cmp_gt_f64_e64 s2, 0, v[174:175]
	v_xor_b32_e32 v195, 0x80000000, v175
	v_add_nc_u32_e32 v181, 16, v181
	s_waitcnt lgkmcnt(0)
	v_cmp_gt_f64_e64 s3, 0, v[189:190]
	v_mov_b32_e32 v197, v189
	v_dual_mov_b32 v199, v191 :: v_dual_cndmask_b32 v194, v173, v193
	v_xor_b32_e32 v193, 0x80000000, v190
	v_cndmask_b32_e64 v196, v175, v195, s2
	v_xor_b32_e32 v195, 0x80000000, v192
	s_delay_alu instid0(VALU_DEP_3) | instskip(SKIP_2) | instid1(VALU_DEP_2)
	v_cndmask_b32_e64 v198, v190, v193, s3
	v_cmp_gt_f64_e64 s3, 0, v[191:192]
	v_cndmask_b32_e32 v193, v172, v172, vcc_lo
	v_cndmask_b32_e64 v200, v192, v195, s3
	v_cndmask_b32_e64 v195, v174, v174, s2
	s_delay_alu instid0(VALU_DEP_2) | instskip(NEXT) | instid1(VALU_DEP_2)
	v_add_f64 v[197:198], v[197:198], v[199:200]
	v_add_f64 v[193:194], v[193:194], v[195:196]
	s_delay_alu instid0(VALU_DEP_1) | instskip(SKIP_4) | instid1(SALU_CYCLE_1)
	v_cmp_lt_f64_e32 vcc_lo, v[193:194], v[197:198]
	v_dual_cndmask_b32 v174, v174, v191 :: v_dual_cndmask_b32 v173, v173, v190
	v_dual_cndmask_b32 v172, v172, v189 :: v_dual_cndmask_b32 v175, v175, v192
	v_cndmask_b32_e64 v180, v180, s6, vcc_lo
	s_add_i32 s6, s6, 1
	s_cmp_lg_u32 s5, s6
	s_cbranch_scc1 .LBB84_463
.LBB84_464:
	s_set_inst_prefetch_distance 0x2
	s_waitcnt lgkmcnt(0)
	v_cmp_eq_f64_e32 vcc_lo, 0, v[172:173]
	v_cmp_eq_f64_e64 s2, 0, v[174:175]
	s_delay_alu instid0(VALU_DEP_1) | instskip(NEXT) | instid1(SALU_CYCLE_1)
	s_and_b32 s2, vcc_lo, s2
	s_and_saveexec_b32 s3, s2
	s_delay_alu instid0(SALU_CYCLE_1)
	s_xor_b32 s2, exec_lo, s3
; %bb.465:
	v_cmp_ne_u32_e32 vcc_lo, 0, v185
	v_cndmask_b32_e32 v185, 23, v185, vcc_lo
; %bb.466:
	s_and_not1_saveexec_b32 s3, s2
	s_cbranch_execz .LBB84_472
; %bb.467:
	v_cmp_gt_f64_e32 vcc_lo, 0, v[172:173]
	v_cmp_gt_f64_e64 s2, 0, v[174:175]
	v_xor_b32_e32 v181, 0x80000000, v173
	v_xor_b32_e32 v189, 0x80000000, v175
	s_delay_alu instid0(VALU_DEP_2) | instskip(NEXT) | instid1(VALU_DEP_2)
	v_cndmask_b32_e32 v190, v173, v181, vcc_lo
	v_cndmask_b32_e64 v192, v175, v189, s2
	v_cndmask_b32_e32 v189, v172, v172, vcc_lo
	v_cndmask_b32_e64 v191, v174, v174, s2
	s_mov_b32 s2, exec_lo
	s_delay_alu instid0(VALU_DEP_1)
	v_cmpx_ngt_f64_e32 v[189:190], v[191:192]
	s_xor_b32 s2, exec_lo, s2
	s_cbranch_execz .LBB84_469
; %bb.468:
	v_div_scale_f64 v[189:190], null, v[174:175], v[174:175], v[172:173]
	v_div_scale_f64 v[195:196], vcc_lo, v[172:173], v[174:175], v[172:173]
	s_delay_alu instid0(VALU_DEP_2) | instskip(SKIP_2) | instid1(VALU_DEP_1)
	v_rcp_f64_e32 v[191:192], v[189:190]
	s_waitcnt_depctr 0xfff
	v_fma_f64 v[193:194], -v[189:190], v[191:192], 1.0
	v_fma_f64 v[191:192], v[191:192], v[193:194], v[191:192]
	s_delay_alu instid0(VALU_DEP_1) | instskip(NEXT) | instid1(VALU_DEP_1)
	v_fma_f64 v[193:194], -v[189:190], v[191:192], 1.0
	v_fma_f64 v[191:192], v[191:192], v[193:194], v[191:192]
	s_delay_alu instid0(VALU_DEP_1) | instskip(NEXT) | instid1(VALU_DEP_1)
	v_mul_f64 v[193:194], v[195:196], v[191:192]
	v_fma_f64 v[189:190], -v[189:190], v[193:194], v[195:196]
	s_delay_alu instid0(VALU_DEP_1) | instskip(NEXT) | instid1(VALU_DEP_1)
	v_div_fmas_f64 v[189:190], v[189:190], v[191:192], v[193:194]
	v_div_fixup_f64 v[189:190], v[189:190], v[174:175], v[172:173]
	s_delay_alu instid0(VALU_DEP_1) | instskip(NEXT) | instid1(VALU_DEP_1)
	v_fma_f64 v[172:173], v[172:173], v[189:190], v[174:175]
	v_div_scale_f64 v[174:175], null, v[172:173], v[172:173], 1.0
	s_delay_alu instid0(VALU_DEP_1) | instskip(SKIP_2) | instid1(VALU_DEP_1)
	v_rcp_f64_e32 v[191:192], v[174:175]
	s_waitcnt_depctr 0xfff
	v_fma_f64 v[193:194], -v[174:175], v[191:192], 1.0
	v_fma_f64 v[191:192], v[191:192], v[193:194], v[191:192]
	s_delay_alu instid0(VALU_DEP_1) | instskip(NEXT) | instid1(VALU_DEP_1)
	v_fma_f64 v[193:194], -v[174:175], v[191:192], 1.0
	v_fma_f64 v[191:192], v[191:192], v[193:194], v[191:192]
	v_div_scale_f64 v[193:194], vcc_lo, 1.0, v[172:173], 1.0
	s_delay_alu instid0(VALU_DEP_1) | instskip(NEXT) | instid1(VALU_DEP_1)
	v_mul_f64 v[195:196], v[193:194], v[191:192]
	v_fma_f64 v[174:175], -v[174:175], v[195:196], v[193:194]
	s_delay_alu instid0(VALU_DEP_1) | instskip(NEXT) | instid1(VALU_DEP_1)
	v_div_fmas_f64 v[174:175], v[174:175], v[191:192], v[195:196]
	v_div_fixup_f64 v[174:175], v[174:175], v[172:173], 1.0
	s_delay_alu instid0(VALU_DEP_1)
	v_mul_f64 v[172:173], v[189:190], v[174:175]
	v_xor_b32_e32 v175, 0x80000000, v175
.LBB84_469:
	s_and_not1_saveexec_b32 s2, s2
	s_cbranch_execz .LBB84_471
; %bb.470:
	s_delay_alu instid0(VALU_DEP_1) | instskip(SKIP_1) | instid1(VALU_DEP_2)
	v_div_scale_f64 v[189:190], null, v[172:173], v[172:173], v[174:175]
	v_div_scale_f64 v[195:196], vcc_lo, v[174:175], v[172:173], v[174:175]
	v_rcp_f64_e32 v[191:192], v[189:190]
	s_waitcnt_depctr 0xfff
	v_fma_f64 v[193:194], -v[189:190], v[191:192], 1.0
	s_delay_alu instid0(VALU_DEP_1) | instskip(NEXT) | instid1(VALU_DEP_1)
	v_fma_f64 v[191:192], v[191:192], v[193:194], v[191:192]
	v_fma_f64 v[193:194], -v[189:190], v[191:192], 1.0
	s_delay_alu instid0(VALU_DEP_1) | instskip(NEXT) | instid1(VALU_DEP_1)
	v_fma_f64 v[191:192], v[191:192], v[193:194], v[191:192]
	v_mul_f64 v[193:194], v[195:196], v[191:192]
	s_delay_alu instid0(VALU_DEP_1) | instskip(NEXT) | instid1(VALU_DEP_1)
	v_fma_f64 v[189:190], -v[189:190], v[193:194], v[195:196]
	v_div_fmas_f64 v[189:190], v[189:190], v[191:192], v[193:194]
	s_delay_alu instid0(VALU_DEP_1) | instskip(NEXT) | instid1(VALU_DEP_1)
	v_div_fixup_f64 v[189:190], v[189:190], v[172:173], v[174:175]
	v_fma_f64 v[172:173], v[174:175], v[189:190], v[172:173]
	s_delay_alu instid0(VALU_DEP_1) | instskip(NEXT) | instid1(VALU_DEP_1)
	v_div_scale_f64 v[174:175], null, v[172:173], v[172:173], 1.0
	v_rcp_f64_e32 v[191:192], v[174:175]
	s_waitcnt_depctr 0xfff
	v_fma_f64 v[193:194], -v[174:175], v[191:192], 1.0
	s_delay_alu instid0(VALU_DEP_1) | instskip(NEXT) | instid1(VALU_DEP_1)
	v_fma_f64 v[191:192], v[191:192], v[193:194], v[191:192]
	v_fma_f64 v[193:194], -v[174:175], v[191:192], 1.0
	s_delay_alu instid0(VALU_DEP_1) | instskip(SKIP_1) | instid1(VALU_DEP_1)
	v_fma_f64 v[191:192], v[191:192], v[193:194], v[191:192]
	v_div_scale_f64 v[193:194], vcc_lo, 1.0, v[172:173], 1.0
	v_mul_f64 v[195:196], v[193:194], v[191:192]
	s_delay_alu instid0(VALU_DEP_1) | instskip(NEXT) | instid1(VALU_DEP_1)
	v_fma_f64 v[174:175], -v[174:175], v[195:196], v[193:194]
	v_div_fmas_f64 v[174:175], v[174:175], v[191:192], v[195:196]
	s_delay_alu instid0(VALU_DEP_1) | instskip(NEXT) | instid1(VALU_DEP_1)
	v_div_fixup_f64 v[172:173], v[174:175], v[172:173], 1.0
	v_mul_f64 v[174:175], v[189:190], -v[172:173]
.LBB84_471:
	s_or_b32 exec_lo, exec_lo, s2
.LBB84_472:
	s_delay_alu instid0(SALU_CYCLE_1) | instskip(NEXT) | instid1(SALU_CYCLE_1)
	s_or_b32 exec_lo, exec_lo, s3
	s_mov_b32 s2, exec_lo
	v_cmpx_ne_u32_e64 v188, v180
	s_xor_b32 s2, exec_lo, s2
	s_cbranch_execz .LBB84_478
; %bb.473:
	s_mov_b32 s3, exec_lo
	v_cmpx_eq_u32_e32 22, v188
	s_cbranch_execz .LBB84_477
; %bb.474:
	v_cmp_ne_u32_e32 vcc_lo, 22, v180
	s_xor_b32 s6, s4, -1
	s_delay_alu instid0(SALU_CYCLE_1) | instskip(NEXT) | instid1(SALU_CYCLE_1)
	s_and_b32 s7, s6, vcc_lo
	s_and_saveexec_b32 s6, s7
	s_cbranch_execz .LBB84_476
; %bb.475:
	v_ashrrev_i32_e32 v181, 31, v180
	s_delay_alu instid0(VALU_DEP_1) | instskip(NEXT) | instid1(VALU_DEP_1)
	v_lshlrev_b64 v[187:188], 2, v[180:181]
	v_add_co_u32 v187, vcc_lo, v178, v187
	s_delay_alu instid0(VALU_DEP_2)
	v_add_co_ci_u32_e32 v188, vcc_lo, v179, v188, vcc_lo
	s_clause 0x1
	flat_load_b32 v181, v[187:188]
	flat_load_b32 v189, v[178:179] offset:88
	s_waitcnt vmcnt(1) lgkmcnt(1)
	flat_store_b32 v[178:179], v181 offset:88
	s_waitcnt vmcnt(0) lgkmcnt(1)
	flat_store_b32 v[187:188], v189
.LBB84_476:
	s_or_b32 exec_lo, exec_lo, s6
	v_mov_b32_e32 v188, v180
	v_mov_b32_e32 v187, v180
.LBB84_477:
	s_or_b32 exec_lo, exec_lo, s3
.LBB84_478:
	s_and_not1_saveexec_b32 s2, s2
	s_cbranch_execz .LBB84_480
; %bb.479:
	v_mov_b32_e32 v188, 22
	ds_store_2addr_b64 v182, v[76:77], v[78:79] offset0:46 offset1:47
	ds_store_2addr_b64 v182, v[72:73], v[74:75] offset0:48 offset1:49
	;; [unrolled: 1-line block ×20, first 2 shown]
.LBB84_480:
	s_or_b32 exec_lo, exec_lo, s2
	s_delay_alu instid0(SALU_CYCLE_1)
	s_mov_b32 s2, exec_lo
	s_waitcnt lgkmcnt(0)
	s_waitcnt_vscnt null, 0x0
	s_barrier
	buffer_gl0_inv
	v_cmpx_lt_i32_e32 22, v188
	s_cbranch_execz .LBB84_482
; %bb.481:
	v_mul_f64 v[180:181], v[174:175], v[82:83]
	v_mul_f64 v[82:83], v[172:173], v[82:83]
	s_delay_alu instid0(VALU_DEP_2) | instskip(NEXT) | instid1(VALU_DEP_2)
	v_fma_f64 v[180:181], v[172:173], v[80:81], -v[180:181]
	v_fma_f64 v[82:83], v[174:175], v[80:81], v[82:83]
	ds_load_2addr_b64 v[172:175], v182 offset0:46 offset1:47
	s_waitcnt lgkmcnt(0)
	v_mul_f64 v[80:81], v[174:175], v[82:83]
	s_delay_alu instid0(VALU_DEP_1) | instskip(SKIP_1) | instid1(VALU_DEP_2)
	v_fma_f64 v[80:81], v[172:173], v[180:181], -v[80:81]
	v_mul_f64 v[172:173], v[172:173], v[82:83]
	v_add_f64 v[76:77], v[76:77], -v[80:81]
	s_delay_alu instid0(VALU_DEP_2) | instskip(NEXT) | instid1(VALU_DEP_1)
	v_fma_f64 v[172:173], v[174:175], v[180:181], v[172:173]
	v_add_f64 v[78:79], v[78:79], -v[172:173]
	ds_load_2addr_b64 v[172:175], v182 offset0:48 offset1:49
	s_waitcnt lgkmcnt(0)
	v_mul_f64 v[80:81], v[174:175], v[82:83]
	s_delay_alu instid0(VALU_DEP_1) | instskip(SKIP_1) | instid1(VALU_DEP_2)
	v_fma_f64 v[80:81], v[172:173], v[180:181], -v[80:81]
	v_mul_f64 v[172:173], v[172:173], v[82:83]
	v_add_f64 v[72:73], v[72:73], -v[80:81]
	s_delay_alu instid0(VALU_DEP_2) | instskip(NEXT) | instid1(VALU_DEP_1)
	v_fma_f64 v[172:173], v[174:175], v[180:181], v[172:173]
	v_add_f64 v[74:75], v[74:75], -v[172:173]
	;; [unrolled: 10-line block ×19, first 2 shown]
	ds_load_2addr_b64 v[172:175], v182 offset0:84 offset1:85
	s_waitcnt lgkmcnt(0)
	v_mul_f64 v[80:81], v[174:175], v[82:83]
	s_delay_alu instid0(VALU_DEP_1) | instskip(SKIP_1) | instid1(VALU_DEP_2)
	v_fma_f64 v[80:81], v[172:173], v[180:181], -v[80:81]
	v_mul_f64 v[172:173], v[172:173], v[82:83]
	v_add_f64 v[0:1], v[0:1], -v[80:81]
	s_delay_alu instid0(VALU_DEP_2) | instskip(SKIP_1) | instid1(VALU_DEP_2)
	v_fma_f64 v[172:173], v[174:175], v[180:181], v[172:173]
	v_dual_mov_b32 v80, v180 :: v_dual_mov_b32 v81, v181
	v_add_f64 v[2:3], v[2:3], -v[172:173]
.LBB84_482:
	s_or_b32 exec_lo, exec_lo, s2
	v_lshl_add_u32 v172, v188, 4, v182
	s_barrier
	buffer_gl0_inv
	v_mov_b32_e32 v180, 23
	ds_store_2addr_b64 v172, v[76:77], v[78:79] offset1:1
	s_waitcnt lgkmcnt(0)
	s_barrier
	buffer_gl0_inv
	ds_load_2addr_b64 v[172:175], v182 offset0:46 offset1:47
	s_cmp_lt_i32 s5, 25
	s_cbranch_scc1 .LBB84_485
; %bb.483:
	v_add3_u32 v181, v186, 0, 0x180
	v_mov_b32_e32 v180, 23
	s_mov_b32 s6, 24
	s_set_inst_prefetch_distance 0x1
	.p2align	6
.LBB84_484:                             ; =>This Inner Loop Header: Depth=1
	ds_load_2addr_b64 v[189:192], v181 offset1:1
	s_waitcnt lgkmcnt(1)
	v_cmp_gt_f64_e32 vcc_lo, 0, v[172:173]
	v_xor_b32_e32 v193, 0x80000000, v173
	v_cmp_gt_f64_e64 s2, 0, v[174:175]
	v_xor_b32_e32 v195, 0x80000000, v175
	v_add_nc_u32_e32 v181, 16, v181
	s_waitcnt lgkmcnt(0)
	v_cmp_gt_f64_e64 s3, 0, v[189:190]
	v_mov_b32_e32 v197, v189
	v_dual_mov_b32 v199, v191 :: v_dual_cndmask_b32 v194, v173, v193
	v_xor_b32_e32 v193, 0x80000000, v190
	v_cndmask_b32_e64 v196, v175, v195, s2
	v_xor_b32_e32 v195, 0x80000000, v192
	s_delay_alu instid0(VALU_DEP_3) | instskip(SKIP_2) | instid1(VALU_DEP_2)
	v_cndmask_b32_e64 v198, v190, v193, s3
	v_cmp_gt_f64_e64 s3, 0, v[191:192]
	v_cndmask_b32_e32 v193, v172, v172, vcc_lo
	v_cndmask_b32_e64 v200, v192, v195, s3
	v_cndmask_b32_e64 v195, v174, v174, s2
	s_delay_alu instid0(VALU_DEP_2) | instskip(NEXT) | instid1(VALU_DEP_2)
	v_add_f64 v[197:198], v[197:198], v[199:200]
	v_add_f64 v[193:194], v[193:194], v[195:196]
	s_delay_alu instid0(VALU_DEP_1) | instskip(SKIP_4) | instid1(SALU_CYCLE_1)
	v_cmp_lt_f64_e32 vcc_lo, v[193:194], v[197:198]
	v_dual_cndmask_b32 v174, v174, v191 :: v_dual_cndmask_b32 v173, v173, v190
	v_dual_cndmask_b32 v172, v172, v189 :: v_dual_cndmask_b32 v175, v175, v192
	v_cndmask_b32_e64 v180, v180, s6, vcc_lo
	s_add_i32 s6, s6, 1
	s_cmp_lg_u32 s5, s6
	s_cbranch_scc1 .LBB84_484
.LBB84_485:
	s_set_inst_prefetch_distance 0x2
	s_waitcnt lgkmcnt(0)
	v_cmp_eq_f64_e32 vcc_lo, 0, v[172:173]
	v_cmp_eq_f64_e64 s2, 0, v[174:175]
	s_delay_alu instid0(VALU_DEP_1) | instskip(NEXT) | instid1(SALU_CYCLE_1)
	s_and_b32 s2, vcc_lo, s2
	s_and_saveexec_b32 s3, s2
	s_delay_alu instid0(SALU_CYCLE_1)
	s_xor_b32 s2, exec_lo, s3
; %bb.486:
	v_cmp_ne_u32_e32 vcc_lo, 0, v185
	v_cndmask_b32_e32 v185, 24, v185, vcc_lo
; %bb.487:
	s_and_not1_saveexec_b32 s3, s2
	s_cbranch_execz .LBB84_493
; %bb.488:
	v_cmp_gt_f64_e32 vcc_lo, 0, v[172:173]
	v_cmp_gt_f64_e64 s2, 0, v[174:175]
	v_xor_b32_e32 v181, 0x80000000, v173
	v_xor_b32_e32 v189, 0x80000000, v175
	s_delay_alu instid0(VALU_DEP_2) | instskip(NEXT) | instid1(VALU_DEP_2)
	v_cndmask_b32_e32 v190, v173, v181, vcc_lo
	v_cndmask_b32_e64 v192, v175, v189, s2
	v_cndmask_b32_e32 v189, v172, v172, vcc_lo
	v_cndmask_b32_e64 v191, v174, v174, s2
	s_mov_b32 s2, exec_lo
	s_delay_alu instid0(VALU_DEP_1)
	v_cmpx_ngt_f64_e32 v[189:190], v[191:192]
	s_xor_b32 s2, exec_lo, s2
	s_cbranch_execz .LBB84_490
; %bb.489:
	v_div_scale_f64 v[189:190], null, v[174:175], v[174:175], v[172:173]
	v_div_scale_f64 v[195:196], vcc_lo, v[172:173], v[174:175], v[172:173]
	s_delay_alu instid0(VALU_DEP_2) | instskip(SKIP_2) | instid1(VALU_DEP_1)
	v_rcp_f64_e32 v[191:192], v[189:190]
	s_waitcnt_depctr 0xfff
	v_fma_f64 v[193:194], -v[189:190], v[191:192], 1.0
	v_fma_f64 v[191:192], v[191:192], v[193:194], v[191:192]
	s_delay_alu instid0(VALU_DEP_1) | instskip(NEXT) | instid1(VALU_DEP_1)
	v_fma_f64 v[193:194], -v[189:190], v[191:192], 1.0
	v_fma_f64 v[191:192], v[191:192], v[193:194], v[191:192]
	s_delay_alu instid0(VALU_DEP_1) | instskip(NEXT) | instid1(VALU_DEP_1)
	v_mul_f64 v[193:194], v[195:196], v[191:192]
	v_fma_f64 v[189:190], -v[189:190], v[193:194], v[195:196]
	s_delay_alu instid0(VALU_DEP_1) | instskip(NEXT) | instid1(VALU_DEP_1)
	v_div_fmas_f64 v[189:190], v[189:190], v[191:192], v[193:194]
	v_div_fixup_f64 v[189:190], v[189:190], v[174:175], v[172:173]
	s_delay_alu instid0(VALU_DEP_1) | instskip(NEXT) | instid1(VALU_DEP_1)
	v_fma_f64 v[172:173], v[172:173], v[189:190], v[174:175]
	v_div_scale_f64 v[174:175], null, v[172:173], v[172:173], 1.0
	s_delay_alu instid0(VALU_DEP_1) | instskip(SKIP_2) | instid1(VALU_DEP_1)
	v_rcp_f64_e32 v[191:192], v[174:175]
	s_waitcnt_depctr 0xfff
	v_fma_f64 v[193:194], -v[174:175], v[191:192], 1.0
	v_fma_f64 v[191:192], v[191:192], v[193:194], v[191:192]
	s_delay_alu instid0(VALU_DEP_1) | instskip(NEXT) | instid1(VALU_DEP_1)
	v_fma_f64 v[193:194], -v[174:175], v[191:192], 1.0
	v_fma_f64 v[191:192], v[191:192], v[193:194], v[191:192]
	v_div_scale_f64 v[193:194], vcc_lo, 1.0, v[172:173], 1.0
	s_delay_alu instid0(VALU_DEP_1) | instskip(NEXT) | instid1(VALU_DEP_1)
	v_mul_f64 v[195:196], v[193:194], v[191:192]
	v_fma_f64 v[174:175], -v[174:175], v[195:196], v[193:194]
	s_delay_alu instid0(VALU_DEP_1) | instskip(NEXT) | instid1(VALU_DEP_1)
	v_div_fmas_f64 v[174:175], v[174:175], v[191:192], v[195:196]
	v_div_fixup_f64 v[174:175], v[174:175], v[172:173], 1.0
	s_delay_alu instid0(VALU_DEP_1)
	v_mul_f64 v[172:173], v[189:190], v[174:175]
	v_xor_b32_e32 v175, 0x80000000, v175
.LBB84_490:
	s_and_not1_saveexec_b32 s2, s2
	s_cbranch_execz .LBB84_492
; %bb.491:
	s_delay_alu instid0(VALU_DEP_1) | instskip(SKIP_1) | instid1(VALU_DEP_2)
	v_div_scale_f64 v[189:190], null, v[172:173], v[172:173], v[174:175]
	v_div_scale_f64 v[195:196], vcc_lo, v[174:175], v[172:173], v[174:175]
	v_rcp_f64_e32 v[191:192], v[189:190]
	s_waitcnt_depctr 0xfff
	v_fma_f64 v[193:194], -v[189:190], v[191:192], 1.0
	s_delay_alu instid0(VALU_DEP_1) | instskip(NEXT) | instid1(VALU_DEP_1)
	v_fma_f64 v[191:192], v[191:192], v[193:194], v[191:192]
	v_fma_f64 v[193:194], -v[189:190], v[191:192], 1.0
	s_delay_alu instid0(VALU_DEP_1) | instskip(NEXT) | instid1(VALU_DEP_1)
	v_fma_f64 v[191:192], v[191:192], v[193:194], v[191:192]
	v_mul_f64 v[193:194], v[195:196], v[191:192]
	s_delay_alu instid0(VALU_DEP_1) | instskip(NEXT) | instid1(VALU_DEP_1)
	v_fma_f64 v[189:190], -v[189:190], v[193:194], v[195:196]
	v_div_fmas_f64 v[189:190], v[189:190], v[191:192], v[193:194]
	s_delay_alu instid0(VALU_DEP_1) | instskip(NEXT) | instid1(VALU_DEP_1)
	v_div_fixup_f64 v[189:190], v[189:190], v[172:173], v[174:175]
	v_fma_f64 v[172:173], v[174:175], v[189:190], v[172:173]
	s_delay_alu instid0(VALU_DEP_1) | instskip(NEXT) | instid1(VALU_DEP_1)
	v_div_scale_f64 v[174:175], null, v[172:173], v[172:173], 1.0
	v_rcp_f64_e32 v[191:192], v[174:175]
	s_waitcnt_depctr 0xfff
	v_fma_f64 v[193:194], -v[174:175], v[191:192], 1.0
	s_delay_alu instid0(VALU_DEP_1) | instskip(NEXT) | instid1(VALU_DEP_1)
	v_fma_f64 v[191:192], v[191:192], v[193:194], v[191:192]
	v_fma_f64 v[193:194], -v[174:175], v[191:192], 1.0
	s_delay_alu instid0(VALU_DEP_1) | instskip(SKIP_1) | instid1(VALU_DEP_1)
	v_fma_f64 v[191:192], v[191:192], v[193:194], v[191:192]
	v_div_scale_f64 v[193:194], vcc_lo, 1.0, v[172:173], 1.0
	v_mul_f64 v[195:196], v[193:194], v[191:192]
	s_delay_alu instid0(VALU_DEP_1) | instskip(NEXT) | instid1(VALU_DEP_1)
	v_fma_f64 v[174:175], -v[174:175], v[195:196], v[193:194]
	v_div_fmas_f64 v[174:175], v[174:175], v[191:192], v[195:196]
	s_delay_alu instid0(VALU_DEP_1) | instskip(NEXT) | instid1(VALU_DEP_1)
	v_div_fixup_f64 v[172:173], v[174:175], v[172:173], 1.0
	v_mul_f64 v[174:175], v[189:190], -v[172:173]
.LBB84_492:
	s_or_b32 exec_lo, exec_lo, s2
.LBB84_493:
	s_delay_alu instid0(SALU_CYCLE_1) | instskip(NEXT) | instid1(SALU_CYCLE_1)
	s_or_b32 exec_lo, exec_lo, s3
	s_mov_b32 s2, exec_lo
	v_cmpx_ne_u32_e64 v188, v180
	s_xor_b32 s2, exec_lo, s2
	s_cbranch_execz .LBB84_499
; %bb.494:
	s_mov_b32 s3, exec_lo
	v_cmpx_eq_u32_e32 23, v188
	s_cbranch_execz .LBB84_498
; %bb.495:
	v_cmp_ne_u32_e32 vcc_lo, 23, v180
	s_xor_b32 s6, s4, -1
	s_delay_alu instid0(SALU_CYCLE_1) | instskip(NEXT) | instid1(SALU_CYCLE_1)
	s_and_b32 s7, s6, vcc_lo
	s_and_saveexec_b32 s6, s7
	s_cbranch_execz .LBB84_497
; %bb.496:
	v_ashrrev_i32_e32 v181, 31, v180
	s_delay_alu instid0(VALU_DEP_1) | instskip(NEXT) | instid1(VALU_DEP_1)
	v_lshlrev_b64 v[187:188], 2, v[180:181]
	v_add_co_u32 v187, vcc_lo, v178, v187
	s_delay_alu instid0(VALU_DEP_2)
	v_add_co_ci_u32_e32 v188, vcc_lo, v179, v188, vcc_lo
	s_clause 0x1
	flat_load_b32 v181, v[187:188]
	flat_load_b32 v189, v[178:179] offset:92
	s_waitcnt vmcnt(1) lgkmcnt(1)
	flat_store_b32 v[178:179], v181 offset:92
	s_waitcnt vmcnt(0) lgkmcnt(1)
	flat_store_b32 v[187:188], v189
.LBB84_497:
	s_or_b32 exec_lo, exec_lo, s6
	v_mov_b32_e32 v188, v180
	v_mov_b32_e32 v187, v180
.LBB84_498:
	s_or_b32 exec_lo, exec_lo, s3
.LBB84_499:
	s_and_not1_saveexec_b32 s2, s2
	s_cbranch_execz .LBB84_501
; %bb.500:
	v_mov_b32_e32 v188, 23
	ds_store_2addr_b64 v182, v[72:73], v[74:75] offset0:48 offset1:49
	ds_store_2addr_b64 v182, v[68:69], v[70:71] offset0:50 offset1:51
	;; [unrolled: 1-line block ×19, first 2 shown]
.LBB84_501:
	s_or_b32 exec_lo, exec_lo, s2
	s_delay_alu instid0(SALU_CYCLE_1)
	s_mov_b32 s2, exec_lo
	s_waitcnt lgkmcnt(0)
	s_waitcnt_vscnt null, 0x0
	s_barrier
	buffer_gl0_inv
	v_cmpx_lt_i32_e32 23, v188
	s_cbranch_execz .LBB84_503
; %bb.502:
	v_mul_f64 v[180:181], v[174:175], v[78:79]
	v_mul_f64 v[78:79], v[172:173], v[78:79]
	s_delay_alu instid0(VALU_DEP_2) | instskip(NEXT) | instid1(VALU_DEP_2)
	v_fma_f64 v[180:181], v[172:173], v[76:77], -v[180:181]
	v_fma_f64 v[78:79], v[174:175], v[76:77], v[78:79]
	ds_load_2addr_b64 v[172:175], v182 offset0:48 offset1:49
	s_waitcnt lgkmcnt(0)
	v_mul_f64 v[76:77], v[174:175], v[78:79]
	s_delay_alu instid0(VALU_DEP_1) | instskip(SKIP_1) | instid1(VALU_DEP_2)
	v_fma_f64 v[76:77], v[172:173], v[180:181], -v[76:77]
	v_mul_f64 v[172:173], v[172:173], v[78:79]
	v_add_f64 v[72:73], v[72:73], -v[76:77]
	s_delay_alu instid0(VALU_DEP_2) | instskip(NEXT) | instid1(VALU_DEP_1)
	v_fma_f64 v[172:173], v[174:175], v[180:181], v[172:173]
	v_add_f64 v[74:75], v[74:75], -v[172:173]
	ds_load_2addr_b64 v[172:175], v182 offset0:50 offset1:51
	s_waitcnt lgkmcnt(0)
	v_mul_f64 v[76:77], v[174:175], v[78:79]
	s_delay_alu instid0(VALU_DEP_1) | instskip(SKIP_1) | instid1(VALU_DEP_2)
	v_fma_f64 v[76:77], v[172:173], v[180:181], -v[76:77]
	v_mul_f64 v[172:173], v[172:173], v[78:79]
	v_add_f64 v[68:69], v[68:69], -v[76:77]
	s_delay_alu instid0(VALU_DEP_2) | instskip(NEXT) | instid1(VALU_DEP_1)
	v_fma_f64 v[172:173], v[174:175], v[180:181], v[172:173]
	v_add_f64 v[70:71], v[70:71], -v[172:173]
	;; [unrolled: 10-line block ×18, first 2 shown]
	ds_load_2addr_b64 v[172:175], v182 offset0:84 offset1:85
	s_waitcnt lgkmcnt(0)
	v_mul_f64 v[76:77], v[174:175], v[78:79]
	s_delay_alu instid0(VALU_DEP_1) | instskip(SKIP_1) | instid1(VALU_DEP_2)
	v_fma_f64 v[76:77], v[172:173], v[180:181], -v[76:77]
	v_mul_f64 v[172:173], v[172:173], v[78:79]
	v_add_f64 v[0:1], v[0:1], -v[76:77]
	s_delay_alu instid0(VALU_DEP_2) | instskip(SKIP_1) | instid1(VALU_DEP_2)
	v_fma_f64 v[172:173], v[174:175], v[180:181], v[172:173]
	v_dual_mov_b32 v76, v180 :: v_dual_mov_b32 v77, v181
	v_add_f64 v[2:3], v[2:3], -v[172:173]
.LBB84_503:
	s_or_b32 exec_lo, exec_lo, s2
	v_lshl_add_u32 v172, v188, 4, v182
	s_barrier
	buffer_gl0_inv
	v_mov_b32_e32 v180, 24
	ds_store_2addr_b64 v172, v[72:73], v[74:75] offset1:1
	s_waitcnt lgkmcnt(0)
	s_barrier
	buffer_gl0_inv
	ds_load_2addr_b64 v[172:175], v182 offset0:48 offset1:49
	s_cmp_lt_i32 s5, 26
	s_cbranch_scc1 .LBB84_506
; %bb.504:
	v_add3_u32 v181, v186, 0, 0x190
	v_mov_b32_e32 v180, 24
	s_mov_b32 s6, 25
	s_set_inst_prefetch_distance 0x1
	.p2align	6
.LBB84_505:                             ; =>This Inner Loop Header: Depth=1
	ds_load_2addr_b64 v[189:192], v181 offset1:1
	s_waitcnt lgkmcnt(1)
	v_cmp_gt_f64_e32 vcc_lo, 0, v[172:173]
	v_xor_b32_e32 v193, 0x80000000, v173
	v_cmp_gt_f64_e64 s2, 0, v[174:175]
	v_xor_b32_e32 v195, 0x80000000, v175
	v_add_nc_u32_e32 v181, 16, v181
	s_waitcnt lgkmcnt(0)
	v_cmp_gt_f64_e64 s3, 0, v[189:190]
	v_mov_b32_e32 v197, v189
	v_dual_mov_b32 v199, v191 :: v_dual_cndmask_b32 v194, v173, v193
	v_xor_b32_e32 v193, 0x80000000, v190
	v_cndmask_b32_e64 v196, v175, v195, s2
	v_xor_b32_e32 v195, 0x80000000, v192
	s_delay_alu instid0(VALU_DEP_3) | instskip(SKIP_2) | instid1(VALU_DEP_2)
	v_cndmask_b32_e64 v198, v190, v193, s3
	v_cmp_gt_f64_e64 s3, 0, v[191:192]
	v_cndmask_b32_e32 v193, v172, v172, vcc_lo
	v_cndmask_b32_e64 v200, v192, v195, s3
	v_cndmask_b32_e64 v195, v174, v174, s2
	s_delay_alu instid0(VALU_DEP_2) | instskip(NEXT) | instid1(VALU_DEP_2)
	v_add_f64 v[197:198], v[197:198], v[199:200]
	v_add_f64 v[193:194], v[193:194], v[195:196]
	s_delay_alu instid0(VALU_DEP_1) | instskip(SKIP_4) | instid1(SALU_CYCLE_1)
	v_cmp_lt_f64_e32 vcc_lo, v[193:194], v[197:198]
	v_dual_cndmask_b32 v174, v174, v191 :: v_dual_cndmask_b32 v173, v173, v190
	v_dual_cndmask_b32 v172, v172, v189 :: v_dual_cndmask_b32 v175, v175, v192
	v_cndmask_b32_e64 v180, v180, s6, vcc_lo
	s_add_i32 s6, s6, 1
	s_cmp_lg_u32 s5, s6
	s_cbranch_scc1 .LBB84_505
.LBB84_506:
	s_set_inst_prefetch_distance 0x2
	s_waitcnt lgkmcnt(0)
	v_cmp_eq_f64_e32 vcc_lo, 0, v[172:173]
	v_cmp_eq_f64_e64 s2, 0, v[174:175]
	s_delay_alu instid0(VALU_DEP_1) | instskip(NEXT) | instid1(SALU_CYCLE_1)
	s_and_b32 s2, vcc_lo, s2
	s_and_saveexec_b32 s3, s2
	s_delay_alu instid0(SALU_CYCLE_1)
	s_xor_b32 s2, exec_lo, s3
; %bb.507:
	v_cmp_ne_u32_e32 vcc_lo, 0, v185
	v_cndmask_b32_e32 v185, 25, v185, vcc_lo
; %bb.508:
	s_and_not1_saveexec_b32 s3, s2
	s_cbranch_execz .LBB84_514
; %bb.509:
	v_cmp_gt_f64_e32 vcc_lo, 0, v[172:173]
	v_cmp_gt_f64_e64 s2, 0, v[174:175]
	v_xor_b32_e32 v181, 0x80000000, v173
	v_xor_b32_e32 v189, 0x80000000, v175
	s_delay_alu instid0(VALU_DEP_2) | instskip(NEXT) | instid1(VALU_DEP_2)
	v_cndmask_b32_e32 v190, v173, v181, vcc_lo
	v_cndmask_b32_e64 v192, v175, v189, s2
	v_cndmask_b32_e32 v189, v172, v172, vcc_lo
	v_cndmask_b32_e64 v191, v174, v174, s2
	s_mov_b32 s2, exec_lo
	s_delay_alu instid0(VALU_DEP_1)
	v_cmpx_ngt_f64_e32 v[189:190], v[191:192]
	s_xor_b32 s2, exec_lo, s2
	s_cbranch_execz .LBB84_511
; %bb.510:
	v_div_scale_f64 v[189:190], null, v[174:175], v[174:175], v[172:173]
	v_div_scale_f64 v[195:196], vcc_lo, v[172:173], v[174:175], v[172:173]
	s_delay_alu instid0(VALU_DEP_2) | instskip(SKIP_2) | instid1(VALU_DEP_1)
	v_rcp_f64_e32 v[191:192], v[189:190]
	s_waitcnt_depctr 0xfff
	v_fma_f64 v[193:194], -v[189:190], v[191:192], 1.0
	v_fma_f64 v[191:192], v[191:192], v[193:194], v[191:192]
	s_delay_alu instid0(VALU_DEP_1) | instskip(NEXT) | instid1(VALU_DEP_1)
	v_fma_f64 v[193:194], -v[189:190], v[191:192], 1.0
	v_fma_f64 v[191:192], v[191:192], v[193:194], v[191:192]
	s_delay_alu instid0(VALU_DEP_1) | instskip(NEXT) | instid1(VALU_DEP_1)
	v_mul_f64 v[193:194], v[195:196], v[191:192]
	v_fma_f64 v[189:190], -v[189:190], v[193:194], v[195:196]
	s_delay_alu instid0(VALU_DEP_1) | instskip(NEXT) | instid1(VALU_DEP_1)
	v_div_fmas_f64 v[189:190], v[189:190], v[191:192], v[193:194]
	v_div_fixup_f64 v[189:190], v[189:190], v[174:175], v[172:173]
	s_delay_alu instid0(VALU_DEP_1) | instskip(NEXT) | instid1(VALU_DEP_1)
	v_fma_f64 v[172:173], v[172:173], v[189:190], v[174:175]
	v_div_scale_f64 v[174:175], null, v[172:173], v[172:173], 1.0
	s_delay_alu instid0(VALU_DEP_1) | instskip(SKIP_2) | instid1(VALU_DEP_1)
	v_rcp_f64_e32 v[191:192], v[174:175]
	s_waitcnt_depctr 0xfff
	v_fma_f64 v[193:194], -v[174:175], v[191:192], 1.0
	v_fma_f64 v[191:192], v[191:192], v[193:194], v[191:192]
	s_delay_alu instid0(VALU_DEP_1) | instskip(NEXT) | instid1(VALU_DEP_1)
	v_fma_f64 v[193:194], -v[174:175], v[191:192], 1.0
	v_fma_f64 v[191:192], v[191:192], v[193:194], v[191:192]
	v_div_scale_f64 v[193:194], vcc_lo, 1.0, v[172:173], 1.0
	s_delay_alu instid0(VALU_DEP_1) | instskip(NEXT) | instid1(VALU_DEP_1)
	v_mul_f64 v[195:196], v[193:194], v[191:192]
	v_fma_f64 v[174:175], -v[174:175], v[195:196], v[193:194]
	s_delay_alu instid0(VALU_DEP_1) | instskip(NEXT) | instid1(VALU_DEP_1)
	v_div_fmas_f64 v[174:175], v[174:175], v[191:192], v[195:196]
	v_div_fixup_f64 v[174:175], v[174:175], v[172:173], 1.0
	s_delay_alu instid0(VALU_DEP_1)
	v_mul_f64 v[172:173], v[189:190], v[174:175]
	v_xor_b32_e32 v175, 0x80000000, v175
.LBB84_511:
	s_and_not1_saveexec_b32 s2, s2
	s_cbranch_execz .LBB84_513
; %bb.512:
	s_delay_alu instid0(VALU_DEP_1) | instskip(SKIP_1) | instid1(VALU_DEP_2)
	v_div_scale_f64 v[189:190], null, v[172:173], v[172:173], v[174:175]
	v_div_scale_f64 v[195:196], vcc_lo, v[174:175], v[172:173], v[174:175]
	v_rcp_f64_e32 v[191:192], v[189:190]
	s_waitcnt_depctr 0xfff
	v_fma_f64 v[193:194], -v[189:190], v[191:192], 1.0
	s_delay_alu instid0(VALU_DEP_1) | instskip(NEXT) | instid1(VALU_DEP_1)
	v_fma_f64 v[191:192], v[191:192], v[193:194], v[191:192]
	v_fma_f64 v[193:194], -v[189:190], v[191:192], 1.0
	s_delay_alu instid0(VALU_DEP_1) | instskip(NEXT) | instid1(VALU_DEP_1)
	v_fma_f64 v[191:192], v[191:192], v[193:194], v[191:192]
	v_mul_f64 v[193:194], v[195:196], v[191:192]
	s_delay_alu instid0(VALU_DEP_1) | instskip(NEXT) | instid1(VALU_DEP_1)
	v_fma_f64 v[189:190], -v[189:190], v[193:194], v[195:196]
	v_div_fmas_f64 v[189:190], v[189:190], v[191:192], v[193:194]
	s_delay_alu instid0(VALU_DEP_1) | instskip(NEXT) | instid1(VALU_DEP_1)
	v_div_fixup_f64 v[189:190], v[189:190], v[172:173], v[174:175]
	v_fma_f64 v[172:173], v[174:175], v[189:190], v[172:173]
	s_delay_alu instid0(VALU_DEP_1) | instskip(NEXT) | instid1(VALU_DEP_1)
	v_div_scale_f64 v[174:175], null, v[172:173], v[172:173], 1.0
	v_rcp_f64_e32 v[191:192], v[174:175]
	s_waitcnt_depctr 0xfff
	v_fma_f64 v[193:194], -v[174:175], v[191:192], 1.0
	s_delay_alu instid0(VALU_DEP_1) | instskip(NEXT) | instid1(VALU_DEP_1)
	v_fma_f64 v[191:192], v[191:192], v[193:194], v[191:192]
	v_fma_f64 v[193:194], -v[174:175], v[191:192], 1.0
	s_delay_alu instid0(VALU_DEP_1) | instskip(SKIP_1) | instid1(VALU_DEP_1)
	v_fma_f64 v[191:192], v[191:192], v[193:194], v[191:192]
	v_div_scale_f64 v[193:194], vcc_lo, 1.0, v[172:173], 1.0
	v_mul_f64 v[195:196], v[193:194], v[191:192]
	s_delay_alu instid0(VALU_DEP_1) | instskip(NEXT) | instid1(VALU_DEP_1)
	v_fma_f64 v[174:175], -v[174:175], v[195:196], v[193:194]
	v_div_fmas_f64 v[174:175], v[174:175], v[191:192], v[195:196]
	s_delay_alu instid0(VALU_DEP_1) | instskip(NEXT) | instid1(VALU_DEP_1)
	v_div_fixup_f64 v[172:173], v[174:175], v[172:173], 1.0
	v_mul_f64 v[174:175], v[189:190], -v[172:173]
.LBB84_513:
	s_or_b32 exec_lo, exec_lo, s2
.LBB84_514:
	s_delay_alu instid0(SALU_CYCLE_1) | instskip(NEXT) | instid1(SALU_CYCLE_1)
	s_or_b32 exec_lo, exec_lo, s3
	s_mov_b32 s2, exec_lo
	v_cmpx_ne_u32_e64 v188, v180
	s_xor_b32 s2, exec_lo, s2
	s_cbranch_execz .LBB84_520
; %bb.515:
	s_mov_b32 s3, exec_lo
	v_cmpx_eq_u32_e32 24, v188
	s_cbranch_execz .LBB84_519
; %bb.516:
	v_cmp_ne_u32_e32 vcc_lo, 24, v180
	s_xor_b32 s6, s4, -1
	s_delay_alu instid0(SALU_CYCLE_1) | instskip(NEXT) | instid1(SALU_CYCLE_1)
	s_and_b32 s7, s6, vcc_lo
	s_and_saveexec_b32 s6, s7
	s_cbranch_execz .LBB84_518
; %bb.517:
	v_ashrrev_i32_e32 v181, 31, v180
	s_delay_alu instid0(VALU_DEP_1) | instskip(NEXT) | instid1(VALU_DEP_1)
	v_lshlrev_b64 v[187:188], 2, v[180:181]
	v_add_co_u32 v187, vcc_lo, v178, v187
	s_delay_alu instid0(VALU_DEP_2)
	v_add_co_ci_u32_e32 v188, vcc_lo, v179, v188, vcc_lo
	s_clause 0x1
	flat_load_b32 v181, v[187:188]
	flat_load_b32 v189, v[178:179] offset:96
	s_waitcnt vmcnt(1) lgkmcnt(1)
	flat_store_b32 v[178:179], v181 offset:96
	s_waitcnt vmcnt(0) lgkmcnt(1)
	flat_store_b32 v[187:188], v189
.LBB84_518:
	s_or_b32 exec_lo, exec_lo, s6
	v_mov_b32_e32 v188, v180
	v_mov_b32_e32 v187, v180
.LBB84_519:
	s_or_b32 exec_lo, exec_lo, s3
.LBB84_520:
	s_and_not1_saveexec_b32 s2, s2
	s_cbranch_execz .LBB84_522
; %bb.521:
	v_mov_b32_e32 v188, 24
	ds_store_2addr_b64 v182, v[68:69], v[70:71] offset0:50 offset1:51
	ds_store_2addr_b64 v182, v[64:65], v[66:67] offset0:52 offset1:53
	;; [unrolled: 1-line block ×18, first 2 shown]
.LBB84_522:
	s_or_b32 exec_lo, exec_lo, s2
	s_delay_alu instid0(SALU_CYCLE_1)
	s_mov_b32 s2, exec_lo
	s_waitcnt lgkmcnt(0)
	s_waitcnt_vscnt null, 0x0
	s_barrier
	buffer_gl0_inv
	v_cmpx_lt_i32_e32 24, v188
	s_cbranch_execz .LBB84_524
; %bb.523:
	v_mul_f64 v[180:181], v[174:175], v[74:75]
	v_mul_f64 v[74:75], v[172:173], v[74:75]
	s_delay_alu instid0(VALU_DEP_2) | instskip(NEXT) | instid1(VALU_DEP_2)
	v_fma_f64 v[180:181], v[172:173], v[72:73], -v[180:181]
	v_fma_f64 v[74:75], v[174:175], v[72:73], v[74:75]
	ds_load_2addr_b64 v[172:175], v182 offset0:50 offset1:51
	s_waitcnt lgkmcnt(0)
	v_mul_f64 v[72:73], v[174:175], v[74:75]
	s_delay_alu instid0(VALU_DEP_1) | instskip(SKIP_1) | instid1(VALU_DEP_2)
	v_fma_f64 v[72:73], v[172:173], v[180:181], -v[72:73]
	v_mul_f64 v[172:173], v[172:173], v[74:75]
	v_add_f64 v[68:69], v[68:69], -v[72:73]
	s_delay_alu instid0(VALU_DEP_2) | instskip(NEXT) | instid1(VALU_DEP_1)
	v_fma_f64 v[172:173], v[174:175], v[180:181], v[172:173]
	v_add_f64 v[70:71], v[70:71], -v[172:173]
	ds_load_2addr_b64 v[172:175], v182 offset0:52 offset1:53
	s_waitcnt lgkmcnt(0)
	v_mul_f64 v[72:73], v[174:175], v[74:75]
	s_delay_alu instid0(VALU_DEP_1) | instskip(SKIP_1) | instid1(VALU_DEP_2)
	v_fma_f64 v[72:73], v[172:173], v[180:181], -v[72:73]
	v_mul_f64 v[172:173], v[172:173], v[74:75]
	v_add_f64 v[64:65], v[64:65], -v[72:73]
	s_delay_alu instid0(VALU_DEP_2) | instskip(NEXT) | instid1(VALU_DEP_1)
	v_fma_f64 v[172:173], v[174:175], v[180:181], v[172:173]
	v_add_f64 v[66:67], v[66:67], -v[172:173]
	;; [unrolled: 10-line block ×17, first 2 shown]
	ds_load_2addr_b64 v[172:175], v182 offset0:84 offset1:85
	s_waitcnt lgkmcnt(0)
	v_mul_f64 v[72:73], v[174:175], v[74:75]
	s_delay_alu instid0(VALU_DEP_1) | instskip(SKIP_1) | instid1(VALU_DEP_2)
	v_fma_f64 v[72:73], v[172:173], v[180:181], -v[72:73]
	v_mul_f64 v[172:173], v[172:173], v[74:75]
	v_add_f64 v[0:1], v[0:1], -v[72:73]
	s_delay_alu instid0(VALU_DEP_2) | instskip(SKIP_1) | instid1(VALU_DEP_2)
	v_fma_f64 v[172:173], v[174:175], v[180:181], v[172:173]
	v_dual_mov_b32 v72, v180 :: v_dual_mov_b32 v73, v181
	v_add_f64 v[2:3], v[2:3], -v[172:173]
.LBB84_524:
	s_or_b32 exec_lo, exec_lo, s2
	v_lshl_add_u32 v172, v188, 4, v182
	s_barrier
	buffer_gl0_inv
	v_mov_b32_e32 v180, 25
	ds_store_2addr_b64 v172, v[68:69], v[70:71] offset1:1
	s_waitcnt lgkmcnt(0)
	s_barrier
	buffer_gl0_inv
	ds_load_2addr_b64 v[172:175], v182 offset0:50 offset1:51
	s_cmp_lt_i32 s5, 27
	s_cbranch_scc1 .LBB84_527
; %bb.525:
	v_add3_u32 v181, v186, 0, 0x1a0
	v_mov_b32_e32 v180, 25
	s_mov_b32 s6, 26
	s_set_inst_prefetch_distance 0x1
	.p2align	6
.LBB84_526:                             ; =>This Inner Loop Header: Depth=1
	ds_load_2addr_b64 v[189:192], v181 offset1:1
	s_waitcnt lgkmcnt(1)
	v_cmp_gt_f64_e32 vcc_lo, 0, v[172:173]
	v_xor_b32_e32 v193, 0x80000000, v173
	v_cmp_gt_f64_e64 s2, 0, v[174:175]
	v_xor_b32_e32 v195, 0x80000000, v175
	v_add_nc_u32_e32 v181, 16, v181
	s_waitcnt lgkmcnt(0)
	v_cmp_gt_f64_e64 s3, 0, v[189:190]
	v_mov_b32_e32 v197, v189
	v_dual_mov_b32 v199, v191 :: v_dual_cndmask_b32 v194, v173, v193
	v_xor_b32_e32 v193, 0x80000000, v190
	v_cndmask_b32_e64 v196, v175, v195, s2
	v_xor_b32_e32 v195, 0x80000000, v192
	s_delay_alu instid0(VALU_DEP_3) | instskip(SKIP_2) | instid1(VALU_DEP_2)
	v_cndmask_b32_e64 v198, v190, v193, s3
	v_cmp_gt_f64_e64 s3, 0, v[191:192]
	v_cndmask_b32_e32 v193, v172, v172, vcc_lo
	v_cndmask_b32_e64 v200, v192, v195, s3
	v_cndmask_b32_e64 v195, v174, v174, s2
	s_delay_alu instid0(VALU_DEP_2) | instskip(NEXT) | instid1(VALU_DEP_2)
	v_add_f64 v[197:198], v[197:198], v[199:200]
	v_add_f64 v[193:194], v[193:194], v[195:196]
	s_delay_alu instid0(VALU_DEP_1) | instskip(SKIP_4) | instid1(SALU_CYCLE_1)
	v_cmp_lt_f64_e32 vcc_lo, v[193:194], v[197:198]
	v_dual_cndmask_b32 v174, v174, v191 :: v_dual_cndmask_b32 v173, v173, v190
	v_dual_cndmask_b32 v172, v172, v189 :: v_dual_cndmask_b32 v175, v175, v192
	v_cndmask_b32_e64 v180, v180, s6, vcc_lo
	s_add_i32 s6, s6, 1
	s_cmp_lg_u32 s5, s6
	s_cbranch_scc1 .LBB84_526
.LBB84_527:
	s_set_inst_prefetch_distance 0x2
	s_waitcnt lgkmcnt(0)
	v_cmp_eq_f64_e32 vcc_lo, 0, v[172:173]
	v_cmp_eq_f64_e64 s2, 0, v[174:175]
	s_delay_alu instid0(VALU_DEP_1) | instskip(NEXT) | instid1(SALU_CYCLE_1)
	s_and_b32 s2, vcc_lo, s2
	s_and_saveexec_b32 s3, s2
	s_delay_alu instid0(SALU_CYCLE_1)
	s_xor_b32 s2, exec_lo, s3
; %bb.528:
	v_cmp_ne_u32_e32 vcc_lo, 0, v185
	v_cndmask_b32_e32 v185, 26, v185, vcc_lo
; %bb.529:
	s_and_not1_saveexec_b32 s3, s2
	s_cbranch_execz .LBB84_535
; %bb.530:
	v_cmp_gt_f64_e32 vcc_lo, 0, v[172:173]
	v_cmp_gt_f64_e64 s2, 0, v[174:175]
	v_xor_b32_e32 v181, 0x80000000, v173
	v_xor_b32_e32 v189, 0x80000000, v175
	s_delay_alu instid0(VALU_DEP_2) | instskip(NEXT) | instid1(VALU_DEP_2)
	v_cndmask_b32_e32 v190, v173, v181, vcc_lo
	v_cndmask_b32_e64 v192, v175, v189, s2
	v_cndmask_b32_e32 v189, v172, v172, vcc_lo
	v_cndmask_b32_e64 v191, v174, v174, s2
	s_mov_b32 s2, exec_lo
	s_delay_alu instid0(VALU_DEP_1)
	v_cmpx_ngt_f64_e32 v[189:190], v[191:192]
	s_xor_b32 s2, exec_lo, s2
	s_cbranch_execz .LBB84_532
; %bb.531:
	v_div_scale_f64 v[189:190], null, v[174:175], v[174:175], v[172:173]
	v_div_scale_f64 v[195:196], vcc_lo, v[172:173], v[174:175], v[172:173]
	s_delay_alu instid0(VALU_DEP_2) | instskip(SKIP_2) | instid1(VALU_DEP_1)
	v_rcp_f64_e32 v[191:192], v[189:190]
	s_waitcnt_depctr 0xfff
	v_fma_f64 v[193:194], -v[189:190], v[191:192], 1.0
	v_fma_f64 v[191:192], v[191:192], v[193:194], v[191:192]
	s_delay_alu instid0(VALU_DEP_1) | instskip(NEXT) | instid1(VALU_DEP_1)
	v_fma_f64 v[193:194], -v[189:190], v[191:192], 1.0
	v_fma_f64 v[191:192], v[191:192], v[193:194], v[191:192]
	s_delay_alu instid0(VALU_DEP_1) | instskip(NEXT) | instid1(VALU_DEP_1)
	v_mul_f64 v[193:194], v[195:196], v[191:192]
	v_fma_f64 v[189:190], -v[189:190], v[193:194], v[195:196]
	s_delay_alu instid0(VALU_DEP_1) | instskip(NEXT) | instid1(VALU_DEP_1)
	v_div_fmas_f64 v[189:190], v[189:190], v[191:192], v[193:194]
	v_div_fixup_f64 v[189:190], v[189:190], v[174:175], v[172:173]
	s_delay_alu instid0(VALU_DEP_1) | instskip(NEXT) | instid1(VALU_DEP_1)
	v_fma_f64 v[172:173], v[172:173], v[189:190], v[174:175]
	v_div_scale_f64 v[174:175], null, v[172:173], v[172:173], 1.0
	s_delay_alu instid0(VALU_DEP_1) | instskip(SKIP_2) | instid1(VALU_DEP_1)
	v_rcp_f64_e32 v[191:192], v[174:175]
	s_waitcnt_depctr 0xfff
	v_fma_f64 v[193:194], -v[174:175], v[191:192], 1.0
	v_fma_f64 v[191:192], v[191:192], v[193:194], v[191:192]
	s_delay_alu instid0(VALU_DEP_1) | instskip(NEXT) | instid1(VALU_DEP_1)
	v_fma_f64 v[193:194], -v[174:175], v[191:192], 1.0
	v_fma_f64 v[191:192], v[191:192], v[193:194], v[191:192]
	v_div_scale_f64 v[193:194], vcc_lo, 1.0, v[172:173], 1.0
	s_delay_alu instid0(VALU_DEP_1) | instskip(NEXT) | instid1(VALU_DEP_1)
	v_mul_f64 v[195:196], v[193:194], v[191:192]
	v_fma_f64 v[174:175], -v[174:175], v[195:196], v[193:194]
	s_delay_alu instid0(VALU_DEP_1) | instskip(NEXT) | instid1(VALU_DEP_1)
	v_div_fmas_f64 v[174:175], v[174:175], v[191:192], v[195:196]
	v_div_fixup_f64 v[174:175], v[174:175], v[172:173], 1.0
	s_delay_alu instid0(VALU_DEP_1)
	v_mul_f64 v[172:173], v[189:190], v[174:175]
	v_xor_b32_e32 v175, 0x80000000, v175
.LBB84_532:
	s_and_not1_saveexec_b32 s2, s2
	s_cbranch_execz .LBB84_534
; %bb.533:
	s_delay_alu instid0(VALU_DEP_1) | instskip(SKIP_1) | instid1(VALU_DEP_2)
	v_div_scale_f64 v[189:190], null, v[172:173], v[172:173], v[174:175]
	v_div_scale_f64 v[195:196], vcc_lo, v[174:175], v[172:173], v[174:175]
	v_rcp_f64_e32 v[191:192], v[189:190]
	s_waitcnt_depctr 0xfff
	v_fma_f64 v[193:194], -v[189:190], v[191:192], 1.0
	s_delay_alu instid0(VALU_DEP_1) | instskip(NEXT) | instid1(VALU_DEP_1)
	v_fma_f64 v[191:192], v[191:192], v[193:194], v[191:192]
	v_fma_f64 v[193:194], -v[189:190], v[191:192], 1.0
	s_delay_alu instid0(VALU_DEP_1) | instskip(NEXT) | instid1(VALU_DEP_1)
	v_fma_f64 v[191:192], v[191:192], v[193:194], v[191:192]
	v_mul_f64 v[193:194], v[195:196], v[191:192]
	s_delay_alu instid0(VALU_DEP_1) | instskip(NEXT) | instid1(VALU_DEP_1)
	v_fma_f64 v[189:190], -v[189:190], v[193:194], v[195:196]
	v_div_fmas_f64 v[189:190], v[189:190], v[191:192], v[193:194]
	s_delay_alu instid0(VALU_DEP_1) | instskip(NEXT) | instid1(VALU_DEP_1)
	v_div_fixup_f64 v[189:190], v[189:190], v[172:173], v[174:175]
	v_fma_f64 v[172:173], v[174:175], v[189:190], v[172:173]
	s_delay_alu instid0(VALU_DEP_1) | instskip(NEXT) | instid1(VALU_DEP_1)
	v_div_scale_f64 v[174:175], null, v[172:173], v[172:173], 1.0
	v_rcp_f64_e32 v[191:192], v[174:175]
	s_waitcnt_depctr 0xfff
	v_fma_f64 v[193:194], -v[174:175], v[191:192], 1.0
	s_delay_alu instid0(VALU_DEP_1) | instskip(NEXT) | instid1(VALU_DEP_1)
	v_fma_f64 v[191:192], v[191:192], v[193:194], v[191:192]
	v_fma_f64 v[193:194], -v[174:175], v[191:192], 1.0
	s_delay_alu instid0(VALU_DEP_1) | instskip(SKIP_1) | instid1(VALU_DEP_1)
	v_fma_f64 v[191:192], v[191:192], v[193:194], v[191:192]
	v_div_scale_f64 v[193:194], vcc_lo, 1.0, v[172:173], 1.0
	v_mul_f64 v[195:196], v[193:194], v[191:192]
	s_delay_alu instid0(VALU_DEP_1) | instskip(NEXT) | instid1(VALU_DEP_1)
	v_fma_f64 v[174:175], -v[174:175], v[195:196], v[193:194]
	v_div_fmas_f64 v[174:175], v[174:175], v[191:192], v[195:196]
	s_delay_alu instid0(VALU_DEP_1) | instskip(NEXT) | instid1(VALU_DEP_1)
	v_div_fixup_f64 v[172:173], v[174:175], v[172:173], 1.0
	v_mul_f64 v[174:175], v[189:190], -v[172:173]
.LBB84_534:
	s_or_b32 exec_lo, exec_lo, s2
.LBB84_535:
	s_delay_alu instid0(SALU_CYCLE_1) | instskip(NEXT) | instid1(SALU_CYCLE_1)
	s_or_b32 exec_lo, exec_lo, s3
	s_mov_b32 s2, exec_lo
	v_cmpx_ne_u32_e64 v188, v180
	s_xor_b32 s2, exec_lo, s2
	s_cbranch_execz .LBB84_541
; %bb.536:
	s_mov_b32 s3, exec_lo
	v_cmpx_eq_u32_e32 25, v188
	s_cbranch_execz .LBB84_540
; %bb.537:
	v_cmp_ne_u32_e32 vcc_lo, 25, v180
	s_xor_b32 s6, s4, -1
	s_delay_alu instid0(SALU_CYCLE_1) | instskip(NEXT) | instid1(SALU_CYCLE_1)
	s_and_b32 s7, s6, vcc_lo
	s_and_saveexec_b32 s6, s7
	s_cbranch_execz .LBB84_539
; %bb.538:
	v_ashrrev_i32_e32 v181, 31, v180
	s_delay_alu instid0(VALU_DEP_1) | instskip(NEXT) | instid1(VALU_DEP_1)
	v_lshlrev_b64 v[187:188], 2, v[180:181]
	v_add_co_u32 v187, vcc_lo, v178, v187
	s_delay_alu instid0(VALU_DEP_2)
	v_add_co_ci_u32_e32 v188, vcc_lo, v179, v188, vcc_lo
	s_clause 0x1
	flat_load_b32 v181, v[187:188]
	flat_load_b32 v189, v[178:179] offset:100
	s_waitcnt vmcnt(1) lgkmcnt(1)
	flat_store_b32 v[178:179], v181 offset:100
	s_waitcnt vmcnt(0) lgkmcnt(1)
	flat_store_b32 v[187:188], v189
.LBB84_539:
	s_or_b32 exec_lo, exec_lo, s6
	v_mov_b32_e32 v188, v180
	v_mov_b32_e32 v187, v180
.LBB84_540:
	s_or_b32 exec_lo, exec_lo, s3
.LBB84_541:
	s_and_not1_saveexec_b32 s2, s2
	s_cbranch_execz .LBB84_543
; %bb.542:
	v_mov_b32_e32 v188, 25
	ds_store_2addr_b64 v182, v[64:65], v[66:67] offset0:52 offset1:53
	ds_store_2addr_b64 v182, v[60:61], v[62:63] offset0:54 offset1:55
	;; [unrolled: 1-line block ×17, first 2 shown]
.LBB84_543:
	s_or_b32 exec_lo, exec_lo, s2
	s_delay_alu instid0(SALU_CYCLE_1)
	s_mov_b32 s2, exec_lo
	s_waitcnt lgkmcnt(0)
	s_waitcnt_vscnt null, 0x0
	s_barrier
	buffer_gl0_inv
	v_cmpx_lt_i32_e32 25, v188
	s_cbranch_execz .LBB84_545
; %bb.544:
	v_mul_f64 v[180:181], v[174:175], v[70:71]
	v_mul_f64 v[70:71], v[172:173], v[70:71]
	s_delay_alu instid0(VALU_DEP_2) | instskip(NEXT) | instid1(VALU_DEP_2)
	v_fma_f64 v[180:181], v[172:173], v[68:69], -v[180:181]
	v_fma_f64 v[70:71], v[174:175], v[68:69], v[70:71]
	ds_load_2addr_b64 v[172:175], v182 offset0:52 offset1:53
	s_waitcnt lgkmcnt(0)
	v_mul_f64 v[68:69], v[174:175], v[70:71]
	s_delay_alu instid0(VALU_DEP_1) | instskip(SKIP_1) | instid1(VALU_DEP_2)
	v_fma_f64 v[68:69], v[172:173], v[180:181], -v[68:69]
	v_mul_f64 v[172:173], v[172:173], v[70:71]
	v_add_f64 v[64:65], v[64:65], -v[68:69]
	s_delay_alu instid0(VALU_DEP_2) | instskip(NEXT) | instid1(VALU_DEP_1)
	v_fma_f64 v[172:173], v[174:175], v[180:181], v[172:173]
	v_add_f64 v[66:67], v[66:67], -v[172:173]
	ds_load_2addr_b64 v[172:175], v182 offset0:54 offset1:55
	s_waitcnt lgkmcnt(0)
	v_mul_f64 v[68:69], v[174:175], v[70:71]
	s_delay_alu instid0(VALU_DEP_1) | instskip(SKIP_1) | instid1(VALU_DEP_2)
	v_fma_f64 v[68:69], v[172:173], v[180:181], -v[68:69]
	v_mul_f64 v[172:173], v[172:173], v[70:71]
	v_add_f64 v[60:61], v[60:61], -v[68:69]
	s_delay_alu instid0(VALU_DEP_2) | instskip(NEXT) | instid1(VALU_DEP_1)
	v_fma_f64 v[172:173], v[174:175], v[180:181], v[172:173]
	v_add_f64 v[62:63], v[62:63], -v[172:173]
	;; [unrolled: 10-line block ×16, first 2 shown]
	ds_load_2addr_b64 v[172:175], v182 offset0:84 offset1:85
	s_waitcnt lgkmcnt(0)
	v_mul_f64 v[68:69], v[174:175], v[70:71]
	s_delay_alu instid0(VALU_DEP_1) | instskip(SKIP_1) | instid1(VALU_DEP_2)
	v_fma_f64 v[68:69], v[172:173], v[180:181], -v[68:69]
	v_mul_f64 v[172:173], v[172:173], v[70:71]
	v_add_f64 v[0:1], v[0:1], -v[68:69]
	s_delay_alu instid0(VALU_DEP_2) | instskip(SKIP_1) | instid1(VALU_DEP_2)
	v_fma_f64 v[172:173], v[174:175], v[180:181], v[172:173]
	v_dual_mov_b32 v68, v180 :: v_dual_mov_b32 v69, v181
	v_add_f64 v[2:3], v[2:3], -v[172:173]
.LBB84_545:
	s_or_b32 exec_lo, exec_lo, s2
	v_lshl_add_u32 v172, v188, 4, v182
	s_barrier
	buffer_gl0_inv
	v_mov_b32_e32 v180, 26
	ds_store_2addr_b64 v172, v[64:65], v[66:67] offset1:1
	s_waitcnt lgkmcnt(0)
	s_barrier
	buffer_gl0_inv
	ds_load_2addr_b64 v[172:175], v182 offset0:52 offset1:53
	s_cmp_lt_i32 s5, 28
	s_cbranch_scc1 .LBB84_548
; %bb.546:
	v_add3_u32 v181, v186, 0, 0x1b0
	v_mov_b32_e32 v180, 26
	s_mov_b32 s6, 27
	s_set_inst_prefetch_distance 0x1
	.p2align	6
.LBB84_547:                             ; =>This Inner Loop Header: Depth=1
	ds_load_2addr_b64 v[189:192], v181 offset1:1
	s_waitcnt lgkmcnt(1)
	v_cmp_gt_f64_e32 vcc_lo, 0, v[172:173]
	v_xor_b32_e32 v193, 0x80000000, v173
	v_cmp_gt_f64_e64 s2, 0, v[174:175]
	v_xor_b32_e32 v195, 0x80000000, v175
	v_add_nc_u32_e32 v181, 16, v181
	s_waitcnt lgkmcnt(0)
	v_cmp_gt_f64_e64 s3, 0, v[189:190]
	v_mov_b32_e32 v197, v189
	v_dual_mov_b32 v199, v191 :: v_dual_cndmask_b32 v194, v173, v193
	v_xor_b32_e32 v193, 0x80000000, v190
	v_cndmask_b32_e64 v196, v175, v195, s2
	v_xor_b32_e32 v195, 0x80000000, v192
	s_delay_alu instid0(VALU_DEP_3) | instskip(SKIP_2) | instid1(VALU_DEP_2)
	v_cndmask_b32_e64 v198, v190, v193, s3
	v_cmp_gt_f64_e64 s3, 0, v[191:192]
	v_cndmask_b32_e32 v193, v172, v172, vcc_lo
	v_cndmask_b32_e64 v200, v192, v195, s3
	v_cndmask_b32_e64 v195, v174, v174, s2
	s_delay_alu instid0(VALU_DEP_2) | instskip(NEXT) | instid1(VALU_DEP_2)
	v_add_f64 v[197:198], v[197:198], v[199:200]
	v_add_f64 v[193:194], v[193:194], v[195:196]
	s_delay_alu instid0(VALU_DEP_1) | instskip(SKIP_4) | instid1(SALU_CYCLE_1)
	v_cmp_lt_f64_e32 vcc_lo, v[193:194], v[197:198]
	v_dual_cndmask_b32 v174, v174, v191 :: v_dual_cndmask_b32 v173, v173, v190
	v_dual_cndmask_b32 v172, v172, v189 :: v_dual_cndmask_b32 v175, v175, v192
	v_cndmask_b32_e64 v180, v180, s6, vcc_lo
	s_add_i32 s6, s6, 1
	s_cmp_lg_u32 s5, s6
	s_cbranch_scc1 .LBB84_547
.LBB84_548:
	s_set_inst_prefetch_distance 0x2
	s_waitcnt lgkmcnt(0)
	v_cmp_eq_f64_e32 vcc_lo, 0, v[172:173]
	v_cmp_eq_f64_e64 s2, 0, v[174:175]
	s_delay_alu instid0(VALU_DEP_1) | instskip(NEXT) | instid1(SALU_CYCLE_1)
	s_and_b32 s2, vcc_lo, s2
	s_and_saveexec_b32 s3, s2
	s_delay_alu instid0(SALU_CYCLE_1)
	s_xor_b32 s2, exec_lo, s3
; %bb.549:
	v_cmp_ne_u32_e32 vcc_lo, 0, v185
	v_cndmask_b32_e32 v185, 27, v185, vcc_lo
; %bb.550:
	s_and_not1_saveexec_b32 s3, s2
	s_cbranch_execz .LBB84_556
; %bb.551:
	v_cmp_gt_f64_e32 vcc_lo, 0, v[172:173]
	v_cmp_gt_f64_e64 s2, 0, v[174:175]
	v_xor_b32_e32 v181, 0x80000000, v173
	v_xor_b32_e32 v189, 0x80000000, v175
	s_delay_alu instid0(VALU_DEP_2) | instskip(NEXT) | instid1(VALU_DEP_2)
	v_cndmask_b32_e32 v190, v173, v181, vcc_lo
	v_cndmask_b32_e64 v192, v175, v189, s2
	v_cndmask_b32_e32 v189, v172, v172, vcc_lo
	v_cndmask_b32_e64 v191, v174, v174, s2
	s_mov_b32 s2, exec_lo
	s_delay_alu instid0(VALU_DEP_1)
	v_cmpx_ngt_f64_e32 v[189:190], v[191:192]
	s_xor_b32 s2, exec_lo, s2
	s_cbranch_execz .LBB84_553
; %bb.552:
	v_div_scale_f64 v[189:190], null, v[174:175], v[174:175], v[172:173]
	v_div_scale_f64 v[195:196], vcc_lo, v[172:173], v[174:175], v[172:173]
	s_delay_alu instid0(VALU_DEP_2) | instskip(SKIP_2) | instid1(VALU_DEP_1)
	v_rcp_f64_e32 v[191:192], v[189:190]
	s_waitcnt_depctr 0xfff
	v_fma_f64 v[193:194], -v[189:190], v[191:192], 1.0
	v_fma_f64 v[191:192], v[191:192], v[193:194], v[191:192]
	s_delay_alu instid0(VALU_DEP_1) | instskip(NEXT) | instid1(VALU_DEP_1)
	v_fma_f64 v[193:194], -v[189:190], v[191:192], 1.0
	v_fma_f64 v[191:192], v[191:192], v[193:194], v[191:192]
	s_delay_alu instid0(VALU_DEP_1) | instskip(NEXT) | instid1(VALU_DEP_1)
	v_mul_f64 v[193:194], v[195:196], v[191:192]
	v_fma_f64 v[189:190], -v[189:190], v[193:194], v[195:196]
	s_delay_alu instid0(VALU_DEP_1) | instskip(NEXT) | instid1(VALU_DEP_1)
	v_div_fmas_f64 v[189:190], v[189:190], v[191:192], v[193:194]
	v_div_fixup_f64 v[189:190], v[189:190], v[174:175], v[172:173]
	s_delay_alu instid0(VALU_DEP_1) | instskip(NEXT) | instid1(VALU_DEP_1)
	v_fma_f64 v[172:173], v[172:173], v[189:190], v[174:175]
	v_div_scale_f64 v[174:175], null, v[172:173], v[172:173], 1.0
	s_delay_alu instid0(VALU_DEP_1) | instskip(SKIP_2) | instid1(VALU_DEP_1)
	v_rcp_f64_e32 v[191:192], v[174:175]
	s_waitcnt_depctr 0xfff
	v_fma_f64 v[193:194], -v[174:175], v[191:192], 1.0
	v_fma_f64 v[191:192], v[191:192], v[193:194], v[191:192]
	s_delay_alu instid0(VALU_DEP_1) | instskip(NEXT) | instid1(VALU_DEP_1)
	v_fma_f64 v[193:194], -v[174:175], v[191:192], 1.0
	v_fma_f64 v[191:192], v[191:192], v[193:194], v[191:192]
	v_div_scale_f64 v[193:194], vcc_lo, 1.0, v[172:173], 1.0
	s_delay_alu instid0(VALU_DEP_1) | instskip(NEXT) | instid1(VALU_DEP_1)
	v_mul_f64 v[195:196], v[193:194], v[191:192]
	v_fma_f64 v[174:175], -v[174:175], v[195:196], v[193:194]
	s_delay_alu instid0(VALU_DEP_1) | instskip(NEXT) | instid1(VALU_DEP_1)
	v_div_fmas_f64 v[174:175], v[174:175], v[191:192], v[195:196]
	v_div_fixup_f64 v[174:175], v[174:175], v[172:173], 1.0
	s_delay_alu instid0(VALU_DEP_1)
	v_mul_f64 v[172:173], v[189:190], v[174:175]
	v_xor_b32_e32 v175, 0x80000000, v175
.LBB84_553:
	s_and_not1_saveexec_b32 s2, s2
	s_cbranch_execz .LBB84_555
; %bb.554:
	s_delay_alu instid0(VALU_DEP_1) | instskip(SKIP_1) | instid1(VALU_DEP_2)
	v_div_scale_f64 v[189:190], null, v[172:173], v[172:173], v[174:175]
	v_div_scale_f64 v[195:196], vcc_lo, v[174:175], v[172:173], v[174:175]
	v_rcp_f64_e32 v[191:192], v[189:190]
	s_waitcnt_depctr 0xfff
	v_fma_f64 v[193:194], -v[189:190], v[191:192], 1.0
	s_delay_alu instid0(VALU_DEP_1) | instskip(NEXT) | instid1(VALU_DEP_1)
	v_fma_f64 v[191:192], v[191:192], v[193:194], v[191:192]
	v_fma_f64 v[193:194], -v[189:190], v[191:192], 1.0
	s_delay_alu instid0(VALU_DEP_1) | instskip(NEXT) | instid1(VALU_DEP_1)
	v_fma_f64 v[191:192], v[191:192], v[193:194], v[191:192]
	v_mul_f64 v[193:194], v[195:196], v[191:192]
	s_delay_alu instid0(VALU_DEP_1) | instskip(NEXT) | instid1(VALU_DEP_1)
	v_fma_f64 v[189:190], -v[189:190], v[193:194], v[195:196]
	v_div_fmas_f64 v[189:190], v[189:190], v[191:192], v[193:194]
	s_delay_alu instid0(VALU_DEP_1) | instskip(NEXT) | instid1(VALU_DEP_1)
	v_div_fixup_f64 v[189:190], v[189:190], v[172:173], v[174:175]
	v_fma_f64 v[172:173], v[174:175], v[189:190], v[172:173]
	s_delay_alu instid0(VALU_DEP_1) | instskip(NEXT) | instid1(VALU_DEP_1)
	v_div_scale_f64 v[174:175], null, v[172:173], v[172:173], 1.0
	v_rcp_f64_e32 v[191:192], v[174:175]
	s_waitcnt_depctr 0xfff
	v_fma_f64 v[193:194], -v[174:175], v[191:192], 1.0
	s_delay_alu instid0(VALU_DEP_1) | instskip(NEXT) | instid1(VALU_DEP_1)
	v_fma_f64 v[191:192], v[191:192], v[193:194], v[191:192]
	v_fma_f64 v[193:194], -v[174:175], v[191:192], 1.0
	s_delay_alu instid0(VALU_DEP_1) | instskip(SKIP_1) | instid1(VALU_DEP_1)
	v_fma_f64 v[191:192], v[191:192], v[193:194], v[191:192]
	v_div_scale_f64 v[193:194], vcc_lo, 1.0, v[172:173], 1.0
	v_mul_f64 v[195:196], v[193:194], v[191:192]
	s_delay_alu instid0(VALU_DEP_1) | instskip(NEXT) | instid1(VALU_DEP_1)
	v_fma_f64 v[174:175], -v[174:175], v[195:196], v[193:194]
	v_div_fmas_f64 v[174:175], v[174:175], v[191:192], v[195:196]
	s_delay_alu instid0(VALU_DEP_1) | instskip(NEXT) | instid1(VALU_DEP_1)
	v_div_fixup_f64 v[172:173], v[174:175], v[172:173], 1.0
	v_mul_f64 v[174:175], v[189:190], -v[172:173]
.LBB84_555:
	s_or_b32 exec_lo, exec_lo, s2
.LBB84_556:
	s_delay_alu instid0(SALU_CYCLE_1) | instskip(NEXT) | instid1(SALU_CYCLE_1)
	s_or_b32 exec_lo, exec_lo, s3
	s_mov_b32 s2, exec_lo
	v_cmpx_ne_u32_e64 v188, v180
	s_xor_b32 s2, exec_lo, s2
	s_cbranch_execz .LBB84_562
; %bb.557:
	s_mov_b32 s3, exec_lo
	v_cmpx_eq_u32_e32 26, v188
	s_cbranch_execz .LBB84_561
; %bb.558:
	v_cmp_ne_u32_e32 vcc_lo, 26, v180
	s_xor_b32 s6, s4, -1
	s_delay_alu instid0(SALU_CYCLE_1) | instskip(NEXT) | instid1(SALU_CYCLE_1)
	s_and_b32 s7, s6, vcc_lo
	s_and_saveexec_b32 s6, s7
	s_cbranch_execz .LBB84_560
; %bb.559:
	v_ashrrev_i32_e32 v181, 31, v180
	s_delay_alu instid0(VALU_DEP_1) | instskip(NEXT) | instid1(VALU_DEP_1)
	v_lshlrev_b64 v[187:188], 2, v[180:181]
	v_add_co_u32 v187, vcc_lo, v178, v187
	s_delay_alu instid0(VALU_DEP_2)
	v_add_co_ci_u32_e32 v188, vcc_lo, v179, v188, vcc_lo
	s_clause 0x1
	flat_load_b32 v181, v[187:188]
	flat_load_b32 v189, v[178:179] offset:104
	s_waitcnt vmcnt(1) lgkmcnt(1)
	flat_store_b32 v[178:179], v181 offset:104
	s_waitcnt vmcnt(0) lgkmcnt(1)
	flat_store_b32 v[187:188], v189
.LBB84_560:
	s_or_b32 exec_lo, exec_lo, s6
	v_mov_b32_e32 v188, v180
	v_mov_b32_e32 v187, v180
.LBB84_561:
	s_or_b32 exec_lo, exec_lo, s3
.LBB84_562:
	s_and_not1_saveexec_b32 s2, s2
	s_cbranch_execz .LBB84_564
; %bb.563:
	v_mov_b32_e32 v188, 26
	ds_store_2addr_b64 v182, v[60:61], v[62:63] offset0:54 offset1:55
	ds_store_2addr_b64 v182, v[56:57], v[58:59] offset0:56 offset1:57
	ds_store_2addr_b64 v182, v[52:53], v[54:55] offset0:58 offset1:59
	ds_store_2addr_b64 v182, v[48:49], v[50:51] offset0:60 offset1:61
	ds_store_2addr_b64 v182, v[44:45], v[46:47] offset0:62 offset1:63
	ds_store_2addr_b64 v182, v[40:41], v[42:43] offset0:64 offset1:65
	ds_store_2addr_b64 v182, v[36:37], v[38:39] offset0:66 offset1:67
	ds_store_2addr_b64 v182, v[32:33], v[34:35] offset0:68 offset1:69
	ds_store_2addr_b64 v182, v[28:29], v[30:31] offset0:70 offset1:71
	ds_store_2addr_b64 v182, v[24:25], v[26:27] offset0:72 offset1:73
	ds_store_2addr_b64 v182, v[20:21], v[22:23] offset0:74 offset1:75
	ds_store_2addr_b64 v182, v[16:17], v[18:19] offset0:76 offset1:77
	ds_store_2addr_b64 v182, v[12:13], v[14:15] offset0:78 offset1:79
	ds_store_2addr_b64 v182, v[8:9], v[10:11] offset0:80 offset1:81
	ds_store_2addr_b64 v182, v[4:5], v[6:7] offset0:82 offset1:83
	ds_store_2addr_b64 v182, v[0:1], v[2:3] offset0:84 offset1:85
.LBB84_564:
	s_or_b32 exec_lo, exec_lo, s2
	s_delay_alu instid0(SALU_CYCLE_1)
	s_mov_b32 s2, exec_lo
	s_waitcnt lgkmcnt(0)
	s_waitcnt_vscnt null, 0x0
	s_barrier
	buffer_gl0_inv
	v_cmpx_lt_i32_e32 26, v188
	s_cbranch_execz .LBB84_566
; %bb.565:
	v_mul_f64 v[180:181], v[172:173], v[66:67]
	v_mul_f64 v[66:67], v[174:175], v[66:67]
	s_delay_alu instid0(VALU_DEP_2) | instskip(NEXT) | instid1(VALU_DEP_2)
	v_fma_f64 v[180:181], v[174:175], v[64:65], v[180:181]
	v_fma_f64 v[64:65], v[172:173], v[64:65], -v[66:67]
	ds_load_2addr_b64 v[172:175], v182 offset0:54 offset1:55
	s_waitcnt lgkmcnt(0)
	v_mul_f64 v[66:67], v[174:175], v[180:181]
	s_delay_alu instid0(VALU_DEP_1) | instskip(SKIP_1) | instid1(VALU_DEP_2)
	v_fma_f64 v[66:67], v[172:173], v[64:65], -v[66:67]
	v_mul_f64 v[172:173], v[172:173], v[180:181]
	v_add_f64 v[60:61], v[60:61], -v[66:67]
	s_delay_alu instid0(VALU_DEP_2) | instskip(NEXT) | instid1(VALU_DEP_1)
	v_fma_f64 v[172:173], v[174:175], v[64:65], v[172:173]
	v_add_f64 v[62:63], v[62:63], -v[172:173]
	ds_load_2addr_b64 v[172:175], v182 offset0:56 offset1:57
	s_waitcnt lgkmcnt(0)
	v_mul_f64 v[66:67], v[174:175], v[180:181]
	s_delay_alu instid0(VALU_DEP_1) | instskip(SKIP_1) | instid1(VALU_DEP_2)
	v_fma_f64 v[66:67], v[172:173], v[64:65], -v[66:67]
	v_mul_f64 v[172:173], v[172:173], v[180:181]
	v_add_f64 v[56:57], v[56:57], -v[66:67]
	s_delay_alu instid0(VALU_DEP_2) | instskip(NEXT) | instid1(VALU_DEP_1)
	v_fma_f64 v[172:173], v[174:175], v[64:65], v[172:173]
	v_add_f64 v[58:59], v[58:59], -v[172:173]
	;; [unrolled: 10-line block ×15, first 2 shown]
	ds_load_2addr_b64 v[172:175], v182 offset0:84 offset1:85
	s_waitcnt lgkmcnt(0)
	v_mul_f64 v[66:67], v[174:175], v[180:181]
	s_delay_alu instid0(VALU_DEP_1) | instskip(SKIP_1) | instid1(VALU_DEP_2)
	v_fma_f64 v[66:67], v[172:173], v[64:65], -v[66:67]
	v_mul_f64 v[172:173], v[172:173], v[180:181]
	v_add_f64 v[0:1], v[0:1], -v[66:67]
	s_delay_alu instid0(VALU_DEP_2) | instskip(SKIP_1) | instid1(VALU_DEP_2)
	v_fma_f64 v[172:173], v[174:175], v[64:65], v[172:173]
	v_dual_mov_b32 v66, v180 :: v_dual_mov_b32 v67, v181
	v_add_f64 v[2:3], v[2:3], -v[172:173]
.LBB84_566:
	s_or_b32 exec_lo, exec_lo, s2
	v_lshl_add_u32 v172, v188, 4, v182
	s_barrier
	buffer_gl0_inv
	v_mov_b32_e32 v180, 27
	ds_store_2addr_b64 v172, v[60:61], v[62:63] offset1:1
	s_waitcnt lgkmcnt(0)
	s_barrier
	buffer_gl0_inv
	ds_load_2addr_b64 v[172:175], v182 offset0:54 offset1:55
	s_cmp_lt_i32 s5, 29
	s_cbranch_scc1 .LBB84_569
; %bb.567:
	v_add3_u32 v181, v186, 0, 0x1c0
	v_mov_b32_e32 v180, 27
	s_mov_b32 s6, 28
	s_set_inst_prefetch_distance 0x1
	.p2align	6
.LBB84_568:                             ; =>This Inner Loop Header: Depth=1
	ds_load_2addr_b64 v[189:192], v181 offset1:1
	s_waitcnt lgkmcnt(1)
	v_cmp_gt_f64_e32 vcc_lo, 0, v[172:173]
	v_xor_b32_e32 v193, 0x80000000, v173
	v_cmp_gt_f64_e64 s2, 0, v[174:175]
	v_xor_b32_e32 v195, 0x80000000, v175
	v_add_nc_u32_e32 v181, 16, v181
	s_waitcnt lgkmcnt(0)
	v_cmp_gt_f64_e64 s3, 0, v[189:190]
	v_mov_b32_e32 v197, v189
	v_dual_mov_b32 v199, v191 :: v_dual_cndmask_b32 v194, v173, v193
	v_xor_b32_e32 v193, 0x80000000, v190
	v_cndmask_b32_e64 v196, v175, v195, s2
	v_xor_b32_e32 v195, 0x80000000, v192
	s_delay_alu instid0(VALU_DEP_3) | instskip(SKIP_2) | instid1(VALU_DEP_2)
	v_cndmask_b32_e64 v198, v190, v193, s3
	v_cmp_gt_f64_e64 s3, 0, v[191:192]
	v_cndmask_b32_e32 v193, v172, v172, vcc_lo
	v_cndmask_b32_e64 v200, v192, v195, s3
	v_cndmask_b32_e64 v195, v174, v174, s2
	s_delay_alu instid0(VALU_DEP_2) | instskip(NEXT) | instid1(VALU_DEP_2)
	v_add_f64 v[197:198], v[197:198], v[199:200]
	v_add_f64 v[193:194], v[193:194], v[195:196]
	s_delay_alu instid0(VALU_DEP_1) | instskip(SKIP_4) | instid1(SALU_CYCLE_1)
	v_cmp_lt_f64_e32 vcc_lo, v[193:194], v[197:198]
	v_dual_cndmask_b32 v174, v174, v191 :: v_dual_cndmask_b32 v173, v173, v190
	v_dual_cndmask_b32 v172, v172, v189 :: v_dual_cndmask_b32 v175, v175, v192
	v_cndmask_b32_e64 v180, v180, s6, vcc_lo
	s_add_i32 s6, s6, 1
	s_cmp_lg_u32 s5, s6
	s_cbranch_scc1 .LBB84_568
.LBB84_569:
	s_set_inst_prefetch_distance 0x2
	s_waitcnt lgkmcnt(0)
	v_cmp_eq_f64_e32 vcc_lo, 0, v[172:173]
	v_cmp_eq_f64_e64 s2, 0, v[174:175]
	s_delay_alu instid0(VALU_DEP_1) | instskip(NEXT) | instid1(SALU_CYCLE_1)
	s_and_b32 s2, vcc_lo, s2
	s_and_saveexec_b32 s3, s2
	s_delay_alu instid0(SALU_CYCLE_1)
	s_xor_b32 s2, exec_lo, s3
; %bb.570:
	v_cmp_ne_u32_e32 vcc_lo, 0, v185
	v_cndmask_b32_e32 v185, 28, v185, vcc_lo
; %bb.571:
	s_and_not1_saveexec_b32 s3, s2
	s_cbranch_execz .LBB84_577
; %bb.572:
	v_cmp_gt_f64_e32 vcc_lo, 0, v[172:173]
	v_cmp_gt_f64_e64 s2, 0, v[174:175]
	v_xor_b32_e32 v181, 0x80000000, v173
	v_xor_b32_e32 v189, 0x80000000, v175
	s_delay_alu instid0(VALU_DEP_2) | instskip(NEXT) | instid1(VALU_DEP_2)
	v_cndmask_b32_e32 v190, v173, v181, vcc_lo
	v_cndmask_b32_e64 v192, v175, v189, s2
	v_cndmask_b32_e32 v189, v172, v172, vcc_lo
	v_cndmask_b32_e64 v191, v174, v174, s2
	s_mov_b32 s2, exec_lo
	s_delay_alu instid0(VALU_DEP_1)
	v_cmpx_ngt_f64_e32 v[189:190], v[191:192]
	s_xor_b32 s2, exec_lo, s2
	s_cbranch_execz .LBB84_574
; %bb.573:
	v_div_scale_f64 v[189:190], null, v[174:175], v[174:175], v[172:173]
	v_div_scale_f64 v[195:196], vcc_lo, v[172:173], v[174:175], v[172:173]
	s_delay_alu instid0(VALU_DEP_2) | instskip(SKIP_2) | instid1(VALU_DEP_1)
	v_rcp_f64_e32 v[191:192], v[189:190]
	s_waitcnt_depctr 0xfff
	v_fma_f64 v[193:194], -v[189:190], v[191:192], 1.0
	v_fma_f64 v[191:192], v[191:192], v[193:194], v[191:192]
	s_delay_alu instid0(VALU_DEP_1) | instskip(NEXT) | instid1(VALU_DEP_1)
	v_fma_f64 v[193:194], -v[189:190], v[191:192], 1.0
	v_fma_f64 v[191:192], v[191:192], v[193:194], v[191:192]
	s_delay_alu instid0(VALU_DEP_1) | instskip(NEXT) | instid1(VALU_DEP_1)
	v_mul_f64 v[193:194], v[195:196], v[191:192]
	v_fma_f64 v[189:190], -v[189:190], v[193:194], v[195:196]
	s_delay_alu instid0(VALU_DEP_1) | instskip(NEXT) | instid1(VALU_DEP_1)
	v_div_fmas_f64 v[189:190], v[189:190], v[191:192], v[193:194]
	v_div_fixup_f64 v[189:190], v[189:190], v[174:175], v[172:173]
	s_delay_alu instid0(VALU_DEP_1) | instskip(NEXT) | instid1(VALU_DEP_1)
	v_fma_f64 v[172:173], v[172:173], v[189:190], v[174:175]
	v_div_scale_f64 v[174:175], null, v[172:173], v[172:173], 1.0
	s_delay_alu instid0(VALU_DEP_1) | instskip(SKIP_2) | instid1(VALU_DEP_1)
	v_rcp_f64_e32 v[191:192], v[174:175]
	s_waitcnt_depctr 0xfff
	v_fma_f64 v[193:194], -v[174:175], v[191:192], 1.0
	v_fma_f64 v[191:192], v[191:192], v[193:194], v[191:192]
	s_delay_alu instid0(VALU_DEP_1) | instskip(NEXT) | instid1(VALU_DEP_1)
	v_fma_f64 v[193:194], -v[174:175], v[191:192], 1.0
	v_fma_f64 v[191:192], v[191:192], v[193:194], v[191:192]
	v_div_scale_f64 v[193:194], vcc_lo, 1.0, v[172:173], 1.0
	s_delay_alu instid0(VALU_DEP_1) | instskip(NEXT) | instid1(VALU_DEP_1)
	v_mul_f64 v[195:196], v[193:194], v[191:192]
	v_fma_f64 v[174:175], -v[174:175], v[195:196], v[193:194]
	s_delay_alu instid0(VALU_DEP_1) | instskip(NEXT) | instid1(VALU_DEP_1)
	v_div_fmas_f64 v[174:175], v[174:175], v[191:192], v[195:196]
	v_div_fixup_f64 v[174:175], v[174:175], v[172:173], 1.0
	s_delay_alu instid0(VALU_DEP_1)
	v_mul_f64 v[172:173], v[189:190], v[174:175]
	v_xor_b32_e32 v175, 0x80000000, v175
.LBB84_574:
	s_and_not1_saveexec_b32 s2, s2
	s_cbranch_execz .LBB84_576
; %bb.575:
	s_delay_alu instid0(VALU_DEP_1) | instskip(SKIP_1) | instid1(VALU_DEP_2)
	v_div_scale_f64 v[189:190], null, v[172:173], v[172:173], v[174:175]
	v_div_scale_f64 v[195:196], vcc_lo, v[174:175], v[172:173], v[174:175]
	v_rcp_f64_e32 v[191:192], v[189:190]
	s_waitcnt_depctr 0xfff
	v_fma_f64 v[193:194], -v[189:190], v[191:192], 1.0
	s_delay_alu instid0(VALU_DEP_1) | instskip(NEXT) | instid1(VALU_DEP_1)
	v_fma_f64 v[191:192], v[191:192], v[193:194], v[191:192]
	v_fma_f64 v[193:194], -v[189:190], v[191:192], 1.0
	s_delay_alu instid0(VALU_DEP_1) | instskip(NEXT) | instid1(VALU_DEP_1)
	v_fma_f64 v[191:192], v[191:192], v[193:194], v[191:192]
	v_mul_f64 v[193:194], v[195:196], v[191:192]
	s_delay_alu instid0(VALU_DEP_1) | instskip(NEXT) | instid1(VALU_DEP_1)
	v_fma_f64 v[189:190], -v[189:190], v[193:194], v[195:196]
	v_div_fmas_f64 v[189:190], v[189:190], v[191:192], v[193:194]
	s_delay_alu instid0(VALU_DEP_1) | instskip(NEXT) | instid1(VALU_DEP_1)
	v_div_fixup_f64 v[189:190], v[189:190], v[172:173], v[174:175]
	v_fma_f64 v[172:173], v[174:175], v[189:190], v[172:173]
	s_delay_alu instid0(VALU_DEP_1) | instskip(NEXT) | instid1(VALU_DEP_1)
	v_div_scale_f64 v[174:175], null, v[172:173], v[172:173], 1.0
	v_rcp_f64_e32 v[191:192], v[174:175]
	s_waitcnt_depctr 0xfff
	v_fma_f64 v[193:194], -v[174:175], v[191:192], 1.0
	s_delay_alu instid0(VALU_DEP_1) | instskip(NEXT) | instid1(VALU_DEP_1)
	v_fma_f64 v[191:192], v[191:192], v[193:194], v[191:192]
	v_fma_f64 v[193:194], -v[174:175], v[191:192], 1.0
	s_delay_alu instid0(VALU_DEP_1) | instskip(SKIP_1) | instid1(VALU_DEP_1)
	v_fma_f64 v[191:192], v[191:192], v[193:194], v[191:192]
	v_div_scale_f64 v[193:194], vcc_lo, 1.0, v[172:173], 1.0
	v_mul_f64 v[195:196], v[193:194], v[191:192]
	s_delay_alu instid0(VALU_DEP_1) | instskip(NEXT) | instid1(VALU_DEP_1)
	v_fma_f64 v[174:175], -v[174:175], v[195:196], v[193:194]
	v_div_fmas_f64 v[174:175], v[174:175], v[191:192], v[195:196]
	s_delay_alu instid0(VALU_DEP_1) | instskip(NEXT) | instid1(VALU_DEP_1)
	v_div_fixup_f64 v[172:173], v[174:175], v[172:173], 1.0
	v_mul_f64 v[174:175], v[189:190], -v[172:173]
.LBB84_576:
	s_or_b32 exec_lo, exec_lo, s2
.LBB84_577:
	s_delay_alu instid0(SALU_CYCLE_1) | instskip(NEXT) | instid1(SALU_CYCLE_1)
	s_or_b32 exec_lo, exec_lo, s3
	s_mov_b32 s2, exec_lo
	v_cmpx_ne_u32_e64 v188, v180
	s_xor_b32 s2, exec_lo, s2
	s_cbranch_execz .LBB84_583
; %bb.578:
	s_mov_b32 s3, exec_lo
	v_cmpx_eq_u32_e32 27, v188
	s_cbranch_execz .LBB84_582
; %bb.579:
	v_cmp_ne_u32_e32 vcc_lo, 27, v180
	s_xor_b32 s6, s4, -1
	s_delay_alu instid0(SALU_CYCLE_1) | instskip(NEXT) | instid1(SALU_CYCLE_1)
	s_and_b32 s7, s6, vcc_lo
	s_and_saveexec_b32 s6, s7
	s_cbranch_execz .LBB84_581
; %bb.580:
	v_ashrrev_i32_e32 v181, 31, v180
	s_delay_alu instid0(VALU_DEP_1) | instskip(NEXT) | instid1(VALU_DEP_1)
	v_lshlrev_b64 v[187:188], 2, v[180:181]
	v_add_co_u32 v187, vcc_lo, v178, v187
	s_delay_alu instid0(VALU_DEP_2)
	v_add_co_ci_u32_e32 v188, vcc_lo, v179, v188, vcc_lo
	s_clause 0x1
	flat_load_b32 v181, v[187:188]
	flat_load_b32 v189, v[178:179] offset:108
	s_waitcnt vmcnt(1) lgkmcnt(1)
	flat_store_b32 v[178:179], v181 offset:108
	s_waitcnt vmcnt(0) lgkmcnt(1)
	flat_store_b32 v[187:188], v189
.LBB84_581:
	s_or_b32 exec_lo, exec_lo, s6
	v_mov_b32_e32 v188, v180
	v_mov_b32_e32 v187, v180
.LBB84_582:
	s_or_b32 exec_lo, exec_lo, s3
.LBB84_583:
	s_and_not1_saveexec_b32 s2, s2
	s_cbranch_execz .LBB84_585
; %bb.584:
	v_mov_b32_e32 v188, 27
	ds_store_2addr_b64 v182, v[56:57], v[58:59] offset0:56 offset1:57
	ds_store_2addr_b64 v182, v[52:53], v[54:55] offset0:58 offset1:59
	;; [unrolled: 1-line block ×15, first 2 shown]
.LBB84_585:
	s_or_b32 exec_lo, exec_lo, s2
	s_delay_alu instid0(SALU_CYCLE_1)
	s_mov_b32 s2, exec_lo
	s_waitcnt lgkmcnt(0)
	s_waitcnt_vscnt null, 0x0
	s_barrier
	buffer_gl0_inv
	v_cmpx_lt_i32_e32 27, v188
	s_cbranch_execz .LBB84_587
; %bb.586:
	v_mul_f64 v[180:181], v[172:173], v[62:63]
	v_mul_f64 v[62:63], v[174:175], v[62:63]
	s_delay_alu instid0(VALU_DEP_2) | instskip(NEXT) | instid1(VALU_DEP_2)
	v_fma_f64 v[180:181], v[174:175], v[60:61], v[180:181]
	v_fma_f64 v[60:61], v[172:173], v[60:61], -v[62:63]
	ds_load_2addr_b64 v[172:175], v182 offset0:56 offset1:57
	s_waitcnt lgkmcnt(0)
	v_mul_f64 v[62:63], v[174:175], v[180:181]
	s_delay_alu instid0(VALU_DEP_1) | instskip(SKIP_1) | instid1(VALU_DEP_2)
	v_fma_f64 v[62:63], v[172:173], v[60:61], -v[62:63]
	v_mul_f64 v[172:173], v[172:173], v[180:181]
	v_add_f64 v[56:57], v[56:57], -v[62:63]
	s_delay_alu instid0(VALU_DEP_2) | instskip(NEXT) | instid1(VALU_DEP_1)
	v_fma_f64 v[172:173], v[174:175], v[60:61], v[172:173]
	v_add_f64 v[58:59], v[58:59], -v[172:173]
	ds_load_2addr_b64 v[172:175], v182 offset0:58 offset1:59
	s_waitcnt lgkmcnt(0)
	v_mul_f64 v[62:63], v[174:175], v[180:181]
	s_delay_alu instid0(VALU_DEP_1) | instskip(SKIP_1) | instid1(VALU_DEP_2)
	v_fma_f64 v[62:63], v[172:173], v[60:61], -v[62:63]
	v_mul_f64 v[172:173], v[172:173], v[180:181]
	v_add_f64 v[52:53], v[52:53], -v[62:63]
	s_delay_alu instid0(VALU_DEP_2) | instskip(NEXT) | instid1(VALU_DEP_1)
	v_fma_f64 v[172:173], v[174:175], v[60:61], v[172:173]
	v_add_f64 v[54:55], v[54:55], -v[172:173]
	;; [unrolled: 10-line block ×14, first 2 shown]
	ds_load_2addr_b64 v[172:175], v182 offset0:84 offset1:85
	s_waitcnt lgkmcnt(0)
	v_mul_f64 v[62:63], v[174:175], v[180:181]
	s_delay_alu instid0(VALU_DEP_1) | instskip(SKIP_1) | instid1(VALU_DEP_2)
	v_fma_f64 v[62:63], v[172:173], v[60:61], -v[62:63]
	v_mul_f64 v[172:173], v[172:173], v[180:181]
	v_add_f64 v[0:1], v[0:1], -v[62:63]
	s_delay_alu instid0(VALU_DEP_2) | instskip(SKIP_1) | instid1(VALU_DEP_2)
	v_fma_f64 v[172:173], v[174:175], v[60:61], v[172:173]
	v_dual_mov_b32 v62, v180 :: v_dual_mov_b32 v63, v181
	v_add_f64 v[2:3], v[2:3], -v[172:173]
.LBB84_587:
	s_or_b32 exec_lo, exec_lo, s2
	v_lshl_add_u32 v172, v188, 4, v182
	s_barrier
	buffer_gl0_inv
	v_mov_b32_e32 v180, 28
	ds_store_2addr_b64 v172, v[56:57], v[58:59] offset1:1
	s_waitcnt lgkmcnt(0)
	s_barrier
	buffer_gl0_inv
	ds_load_2addr_b64 v[172:175], v182 offset0:56 offset1:57
	s_cmp_lt_i32 s5, 30
	s_cbranch_scc1 .LBB84_590
; %bb.588:
	v_add3_u32 v181, v186, 0, 0x1d0
	v_mov_b32_e32 v180, 28
	s_mov_b32 s6, 29
	s_set_inst_prefetch_distance 0x1
	.p2align	6
.LBB84_589:                             ; =>This Inner Loop Header: Depth=1
	ds_load_2addr_b64 v[189:192], v181 offset1:1
	s_waitcnt lgkmcnt(1)
	v_cmp_gt_f64_e32 vcc_lo, 0, v[172:173]
	v_xor_b32_e32 v193, 0x80000000, v173
	v_cmp_gt_f64_e64 s2, 0, v[174:175]
	v_xor_b32_e32 v195, 0x80000000, v175
	v_add_nc_u32_e32 v181, 16, v181
	s_waitcnt lgkmcnt(0)
	v_cmp_gt_f64_e64 s3, 0, v[189:190]
	v_mov_b32_e32 v197, v189
	v_dual_mov_b32 v199, v191 :: v_dual_cndmask_b32 v194, v173, v193
	v_xor_b32_e32 v193, 0x80000000, v190
	v_cndmask_b32_e64 v196, v175, v195, s2
	v_xor_b32_e32 v195, 0x80000000, v192
	s_delay_alu instid0(VALU_DEP_3) | instskip(SKIP_2) | instid1(VALU_DEP_2)
	v_cndmask_b32_e64 v198, v190, v193, s3
	v_cmp_gt_f64_e64 s3, 0, v[191:192]
	v_cndmask_b32_e32 v193, v172, v172, vcc_lo
	v_cndmask_b32_e64 v200, v192, v195, s3
	v_cndmask_b32_e64 v195, v174, v174, s2
	s_delay_alu instid0(VALU_DEP_2) | instskip(NEXT) | instid1(VALU_DEP_2)
	v_add_f64 v[197:198], v[197:198], v[199:200]
	v_add_f64 v[193:194], v[193:194], v[195:196]
	s_delay_alu instid0(VALU_DEP_1) | instskip(SKIP_4) | instid1(SALU_CYCLE_1)
	v_cmp_lt_f64_e32 vcc_lo, v[193:194], v[197:198]
	v_dual_cndmask_b32 v174, v174, v191 :: v_dual_cndmask_b32 v173, v173, v190
	v_dual_cndmask_b32 v172, v172, v189 :: v_dual_cndmask_b32 v175, v175, v192
	v_cndmask_b32_e64 v180, v180, s6, vcc_lo
	s_add_i32 s6, s6, 1
	s_cmp_lg_u32 s5, s6
	s_cbranch_scc1 .LBB84_589
.LBB84_590:
	s_set_inst_prefetch_distance 0x2
	s_waitcnt lgkmcnt(0)
	v_cmp_eq_f64_e32 vcc_lo, 0, v[172:173]
	v_cmp_eq_f64_e64 s2, 0, v[174:175]
	s_delay_alu instid0(VALU_DEP_1) | instskip(NEXT) | instid1(SALU_CYCLE_1)
	s_and_b32 s2, vcc_lo, s2
	s_and_saveexec_b32 s3, s2
	s_delay_alu instid0(SALU_CYCLE_1)
	s_xor_b32 s2, exec_lo, s3
; %bb.591:
	v_cmp_ne_u32_e32 vcc_lo, 0, v185
	v_cndmask_b32_e32 v185, 29, v185, vcc_lo
; %bb.592:
	s_and_not1_saveexec_b32 s3, s2
	s_cbranch_execz .LBB84_598
; %bb.593:
	v_cmp_gt_f64_e32 vcc_lo, 0, v[172:173]
	v_cmp_gt_f64_e64 s2, 0, v[174:175]
	v_xor_b32_e32 v181, 0x80000000, v173
	v_xor_b32_e32 v189, 0x80000000, v175
	s_delay_alu instid0(VALU_DEP_2) | instskip(NEXT) | instid1(VALU_DEP_2)
	v_cndmask_b32_e32 v190, v173, v181, vcc_lo
	v_cndmask_b32_e64 v192, v175, v189, s2
	v_cndmask_b32_e32 v189, v172, v172, vcc_lo
	v_cndmask_b32_e64 v191, v174, v174, s2
	s_mov_b32 s2, exec_lo
	s_delay_alu instid0(VALU_DEP_1)
	v_cmpx_ngt_f64_e32 v[189:190], v[191:192]
	s_xor_b32 s2, exec_lo, s2
	s_cbranch_execz .LBB84_595
; %bb.594:
	v_div_scale_f64 v[189:190], null, v[174:175], v[174:175], v[172:173]
	v_div_scale_f64 v[195:196], vcc_lo, v[172:173], v[174:175], v[172:173]
	s_delay_alu instid0(VALU_DEP_2) | instskip(SKIP_2) | instid1(VALU_DEP_1)
	v_rcp_f64_e32 v[191:192], v[189:190]
	s_waitcnt_depctr 0xfff
	v_fma_f64 v[193:194], -v[189:190], v[191:192], 1.0
	v_fma_f64 v[191:192], v[191:192], v[193:194], v[191:192]
	s_delay_alu instid0(VALU_DEP_1) | instskip(NEXT) | instid1(VALU_DEP_1)
	v_fma_f64 v[193:194], -v[189:190], v[191:192], 1.0
	v_fma_f64 v[191:192], v[191:192], v[193:194], v[191:192]
	s_delay_alu instid0(VALU_DEP_1) | instskip(NEXT) | instid1(VALU_DEP_1)
	v_mul_f64 v[193:194], v[195:196], v[191:192]
	v_fma_f64 v[189:190], -v[189:190], v[193:194], v[195:196]
	s_delay_alu instid0(VALU_DEP_1) | instskip(NEXT) | instid1(VALU_DEP_1)
	v_div_fmas_f64 v[189:190], v[189:190], v[191:192], v[193:194]
	v_div_fixup_f64 v[189:190], v[189:190], v[174:175], v[172:173]
	s_delay_alu instid0(VALU_DEP_1) | instskip(NEXT) | instid1(VALU_DEP_1)
	v_fma_f64 v[172:173], v[172:173], v[189:190], v[174:175]
	v_div_scale_f64 v[174:175], null, v[172:173], v[172:173], 1.0
	s_delay_alu instid0(VALU_DEP_1) | instskip(SKIP_2) | instid1(VALU_DEP_1)
	v_rcp_f64_e32 v[191:192], v[174:175]
	s_waitcnt_depctr 0xfff
	v_fma_f64 v[193:194], -v[174:175], v[191:192], 1.0
	v_fma_f64 v[191:192], v[191:192], v[193:194], v[191:192]
	s_delay_alu instid0(VALU_DEP_1) | instskip(NEXT) | instid1(VALU_DEP_1)
	v_fma_f64 v[193:194], -v[174:175], v[191:192], 1.0
	v_fma_f64 v[191:192], v[191:192], v[193:194], v[191:192]
	v_div_scale_f64 v[193:194], vcc_lo, 1.0, v[172:173], 1.0
	s_delay_alu instid0(VALU_DEP_1) | instskip(NEXT) | instid1(VALU_DEP_1)
	v_mul_f64 v[195:196], v[193:194], v[191:192]
	v_fma_f64 v[174:175], -v[174:175], v[195:196], v[193:194]
	s_delay_alu instid0(VALU_DEP_1) | instskip(NEXT) | instid1(VALU_DEP_1)
	v_div_fmas_f64 v[174:175], v[174:175], v[191:192], v[195:196]
	v_div_fixup_f64 v[174:175], v[174:175], v[172:173], 1.0
	s_delay_alu instid0(VALU_DEP_1)
	v_mul_f64 v[172:173], v[189:190], v[174:175]
	v_xor_b32_e32 v175, 0x80000000, v175
.LBB84_595:
	s_and_not1_saveexec_b32 s2, s2
	s_cbranch_execz .LBB84_597
; %bb.596:
	s_delay_alu instid0(VALU_DEP_1) | instskip(SKIP_1) | instid1(VALU_DEP_2)
	v_div_scale_f64 v[189:190], null, v[172:173], v[172:173], v[174:175]
	v_div_scale_f64 v[195:196], vcc_lo, v[174:175], v[172:173], v[174:175]
	v_rcp_f64_e32 v[191:192], v[189:190]
	s_waitcnt_depctr 0xfff
	v_fma_f64 v[193:194], -v[189:190], v[191:192], 1.0
	s_delay_alu instid0(VALU_DEP_1) | instskip(NEXT) | instid1(VALU_DEP_1)
	v_fma_f64 v[191:192], v[191:192], v[193:194], v[191:192]
	v_fma_f64 v[193:194], -v[189:190], v[191:192], 1.0
	s_delay_alu instid0(VALU_DEP_1) | instskip(NEXT) | instid1(VALU_DEP_1)
	v_fma_f64 v[191:192], v[191:192], v[193:194], v[191:192]
	v_mul_f64 v[193:194], v[195:196], v[191:192]
	s_delay_alu instid0(VALU_DEP_1) | instskip(NEXT) | instid1(VALU_DEP_1)
	v_fma_f64 v[189:190], -v[189:190], v[193:194], v[195:196]
	v_div_fmas_f64 v[189:190], v[189:190], v[191:192], v[193:194]
	s_delay_alu instid0(VALU_DEP_1) | instskip(NEXT) | instid1(VALU_DEP_1)
	v_div_fixup_f64 v[189:190], v[189:190], v[172:173], v[174:175]
	v_fma_f64 v[172:173], v[174:175], v[189:190], v[172:173]
	s_delay_alu instid0(VALU_DEP_1) | instskip(NEXT) | instid1(VALU_DEP_1)
	v_div_scale_f64 v[174:175], null, v[172:173], v[172:173], 1.0
	v_rcp_f64_e32 v[191:192], v[174:175]
	s_waitcnt_depctr 0xfff
	v_fma_f64 v[193:194], -v[174:175], v[191:192], 1.0
	s_delay_alu instid0(VALU_DEP_1) | instskip(NEXT) | instid1(VALU_DEP_1)
	v_fma_f64 v[191:192], v[191:192], v[193:194], v[191:192]
	v_fma_f64 v[193:194], -v[174:175], v[191:192], 1.0
	s_delay_alu instid0(VALU_DEP_1) | instskip(SKIP_1) | instid1(VALU_DEP_1)
	v_fma_f64 v[191:192], v[191:192], v[193:194], v[191:192]
	v_div_scale_f64 v[193:194], vcc_lo, 1.0, v[172:173], 1.0
	v_mul_f64 v[195:196], v[193:194], v[191:192]
	s_delay_alu instid0(VALU_DEP_1) | instskip(NEXT) | instid1(VALU_DEP_1)
	v_fma_f64 v[174:175], -v[174:175], v[195:196], v[193:194]
	v_div_fmas_f64 v[174:175], v[174:175], v[191:192], v[195:196]
	s_delay_alu instid0(VALU_DEP_1) | instskip(NEXT) | instid1(VALU_DEP_1)
	v_div_fixup_f64 v[172:173], v[174:175], v[172:173], 1.0
	v_mul_f64 v[174:175], v[189:190], -v[172:173]
.LBB84_597:
	s_or_b32 exec_lo, exec_lo, s2
.LBB84_598:
	s_delay_alu instid0(SALU_CYCLE_1) | instskip(NEXT) | instid1(SALU_CYCLE_1)
	s_or_b32 exec_lo, exec_lo, s3
	s_mov_b32 s2, exec_lo
	v_cmpx_ne_u32_e64 v188, v180
	s_xor_b32 s2, exec_lo, s2
	s_cbranch_execz .LBB84_604
; %bb.599:
	s_mov_b32 s3, exec_lo
	v_cmpx_eq_u32_e32 28, v188
	s_cbranch_execz .LBB84_603
; %bb.600:
	v_cmp_ne_u32_e32 vcc_lo, 28, v180
	s_xor_b32 s6, s4, -1
	s_delay_alu instid0(SALU_CYCLE_1) | instskip(NEXT) | instid1(SALU_CYCLE_1)
	s_and_b32 s7, s6, vcc_lo
	s_and_saveexec_b32 s6, s7
	s_cbranch_execz .LBB84_602
; %bb.601:
	v_ashrrev_i32_e32 v181, 31, v180
	s_delay_alu instid0(VALU_DEP_1) | instskip(NEXT) | instid1(VALU_DEP_1)
	v_lshlrev_b64 v[187:188], 2, v[180:181]
	v_add_co_u32 v187, vcc_lo, v178, v187
	s_delay_alu instid0(VALU_DEP_2)
	v_add_co_ci_u32_e32 v188, vcc_lo, v179, v188, vcc_lo
	s_clause 0x1
	flat_load_b32 v181, v[187:188]
	flat_load_b32 v189, v[178:179] offset:112
	s_waitcnt vmcnt(1) lgkmcnt(1)
	flat_store_b32 v[178:179], v181 offset:112
	s_waitcnt vmcnt(0) lgkmcnt(1)
	flat_store_b32 v[187:188], v189
.LBB84_602:
	s_or_b32 exec_lo, exec_lo, s6
	v_mov_b32_e32 v188, v180
	v_mov_b32_e32 v187, v180
.LBB84_603:
	s_or_b32 exec_lo, exec_lo, s3
.LBB84_604:
	s_and_not1_saveexec_b32 s2, s2
	s_cbranch_execz .LBB84_606
; %bb.605:
	v_mov_b32_e32 v188, 28
	ds_store_2addr_b64 v182, v[52:53], v[54:55] offset0:58 offset1:59
	ds_store_2addr_b64 v182, v[48:49], v[50:51] offset0:60 offset1:61
	;; [unrolled: 1-line block ×14, first 2 shown]
.LBB84_606:
	s_or_b32 exec_lo, exec_lo, s2
	s_delay_alu instid0(SALU_CYCLE_1)
	s_mov_b32 s2, exec_lo
	s_waitcnt lgkmcnt(0)
	s_waitcnt_vscnt null, 0x0
	s_barrier
	buffer_gl0_inv
	v_cmpx_lt_i32_e32 28, v188
	s_cbranch_execz .LBB84_608
; %bb.607:
	v_mul_f64 v[180:181], v[172:173], v[58:59]
	v_mul_f64 v[58:59], v[174:175], v[58:59]
	s_delay_alu instid0(VALU_DEP_2) | instskip(NEXT) | instid1(VALU_DEP_2)
	v_fma_f64 v[180:181], v[174:175], v[56:57], v[180:181]
	v_fma_f64 v[56:57], v[172:173], v[56:57], -v[58:59]
	ds_load_2addr_b64 v[172:175], v182 offset0:58 offset1:59
	s_waitcnt lgkmcnt(0)
	v_mul_f64 v[58:59], v[174:175], v[180:181]
	s_delay_alu instid0(VALU_DEP_1) | instskip(SKIP_1) | instid1(VALU_DEP_2)
	v_fma_f64 v[58:59], v[172:173], v[56:57], -v[58:59]
	v_mul_f64 v[172:173], v[172:173], v[180:181]
	v_add_f64 v[52:53], v[52:53], -v[58:59]
	s_delay_alu instid0(VALU_DEP_2) | instskip(NEXT) | instid1(VALU_DEP_1)
	v_fma_f64 v[172:173], v[174:175], v[56:57], v[172:173]
	v_add_f64 v[54:55], v[54:55], -v[172:173]
	ds_load_2addr_b64 v[172:175], v182 offset0:60 offset1:61
	s_waitcnt lgkmcnt(0)
	v_mul_f64 v[58:59], v[174:175], v[180:181]
	s_delay_alu instid0(VALU_DEP_1) | instskip(SKIP_1) | instid1(VALU_DEP_2)
	v_fma_f64 v[58:59], v[172:173], v[56:57], -v[58:59]
	v_mul_f64 v[172:173], v[172:173], v[180:181]
	v_add_f64 v[48:49], v[48:49], -v[58:59]
	s_delay_alu instid0(VALU_DEP_2) | instskip(NEXT) | instid1(VALU_DEP_1)
	v_fma_f64 v[172:173], v[174:175], v[56:57], v[172:173]
	v_add_f64 v[50:51], v[50:51], -v[172:173]
	ds_load_2addr_b64 v[172:175], v182 offset0:62 offset1:63
	s_waitcnt lgkmcnt(0)
	v_mul_f64 v[58:59], v[174:175], v[180:181]
	s_delay_alu instid0(VALU_DEP_1) | instskip(SKIP_1) | instid1(VALU_DEP_2)
	v_fma_f64 v[58:59], v[172:173], v[56:57], -v[58:59]
	v_mul_f64 v[172:173], v[172:173], v[180:181]
	v_add_f64 v[44:45], v[44:45], -v[58:59]
	s_delay_alu instid0(VALU_DEP_2) | instskip(NEXT) | instid1(VALU_DEP_1)
	v_fma_f64 v[172:173], v[174:175], v[56:57], v[172:173]
	v_add_f64 v[46:47], v[46:47], -v[172:173]
	ds_load_2addr_b64 v[172:175], v182 offset0:64 offset1:65
	s_waitcnt lgkmcnt(0)
	v_mul_f64 v[58:59], v[174:175], v[180:181]
	s_delay_alu instid0(VALU_DEP_1) | instskip(SKIP_1) | instid1(VALU_DEP_2)
	v_fma_f64 v[58:59], v[172:173], v[56:57], -v[58:59]
	v_mul_f64 v[172:173], v[172:173], v[180:181]
	v_add_f64 v[40:41], v[40:41], -v[58:59]
	s_delay_alu instid0(VALU_DEP_2) | instskip(NEXT) | instid1(VALU_DEP_1)
	v_fma_f64 v[172:173], v[174:175], v[56:57], v[172:173]
	v_add_f64 v[42:43], v[42:43], -v[172:173]
	ds_load_2addr_b64 v[172:175], v182 offset0:66 offset1:67
	s_waitcnt lgkmcnt(0)
	v_mul_f64 v[58:59], v[174:175], v[180:181]
	s_delay_alu instid0(VALU_DEP_1) | instskip(SKIP_1) | instid1(VALU_DEP_2)
	v_fma_f64 v[58:59], v[172:173], v[56:57], -v[58:59]
	v_mul_f64 v[172:173], v[172:173], v[180:181]
	v_add_f64 v[36:37], v[36:37], -v[58:59]
	s_delay_alu instid0(VALU_DEP_2) | instskip(NEXT) | instid1(VALU_DEP_1)
	v_fma_f64 v[172:173], v[174:175], v[56:57], v[172:173]
	v_add_f64 v[38:39], v[38:39], -v[172:173]
	ds_load_2addr_b64 v[172:175], v182 offset0:68 offset1:69
	s_waitcnt lgkmcnt(0)
	v_mul_f64 v[58:59], v[174:175], v[180:181]
	s_delay_alu instid0(VALU_DEP_1) | instskip(SKIP_1) | instid1(VALU_DEP_2)
	v_fma_f64 v[58:59], v[172:173], v[56:57], -v[58:59]
	v_mul_f64 v[172:173], v[172:173], v[180:181]
	v_add_f64 v[32:33], v[32:33], -v[58:59]
	s_delay_alu instid0(VALU_DEP_2) | instskip(NEXT) | instid1(VALU_DEP_1)
	v_fma_f64 v[172:173], v[174:175], v[56:57], v[172:173]
	v_add_f64 v[34:35], v[34:35], -v[172:173]
	ds_load_2addr_b64 v[172:175], v182 offset0:70 offset1:71
	s_waitcnt lgkmcnt(0)
	v_mul_f64 v[58:59], v[174:175], v[180:181]
	s_delay_alu instid0(VALU_DEP_1) | instskip(SKIP_1) | instid1(VALU_DEP_2)
	v_fma_f64 v[58:59], v[172:173], v[56:57], -v[58:59]
	v_mul_f64 v[172:173], v[172:173], v[180:181]
	v_add_f64 v[28:29], v[28:29], -v[58:59]
	s_delay_alu instid0(VALU_DEP_2) | instskip(NEXT) | instid1(VALU_DEP_1)
	v_fma_f64 v[172:173], v[174:175], v[56:57], v[172:173]
	v_add_f64 v[30:31], v[30:31], -v[172:173]
	ds_load_2addr_b64 v[172:175], v182 offset0:72 offset1:73
	s_waitcnt lgkmcnt(0)
	v_mul_f64 v[58:59], v[174:175], v[180:181]
	s_delay_alu instid0(VALU_DEP_1) | instskip(SKIP_1) | instid1(VALU_DEP_2)
	v_fma_f64 v[58:59], v[172:173], v[56:57], -v[58:59]
	v_mul_f64 v[172:173], v[172:173], v[180:181]
	v_add_f64 v[24:25], v[24:25], -v[58:59]
	s_delay_alu instid0(VALU_DEP_2) | instskip(NEXT) | instid1(VALU_DEP_1)
	v_fma_f64 v[172:173], v[174:175], v[56:57], v[172:173]
	v_add_f64 v[26:27], v[26:27], -v[172:173]
	ds_load_2addr_b64 v[172:175], v182 offset0:74 offset1:75
	s_waitcnt lgkmcnt(0)
	v_mul_f64 v[58:59], v[174:175], v[180:181]
	s_delay_alu instid0(VALU_DEP_1) | instskip(SKIP_1) | instid1(VALU_DEP_2)
	v_fma_f64 v[58:59], v[172:173], v[56:57], -v[58:59]
	v_mul_f64 v[172:173], v[172:173], v[180:181]
	v_add_f64 v[20:21], v[20:21], -v[58:59]
	s_delay_alu instid0(VALU_DEP_2) | instskip(NEXT) | instid1(VALU_DEP_1)
	v_fma_f64 v[172:173], v[174:175], v[56:57], v[172:173]
	v_add_f64 v[22:23], v[22:23], -v[172:173]
	ds_load_2addr_b64 v[172:175], v182 offset0:76 offset1:77
	s_waitcnt lgkmcnt(0)
	v_mul_f64 v[58:59], v[174:175], v[180:181]
	s_delay_alu instid0(VALU_DEP_1) | instskip(SKIP_1) | instid1(VALU_DEP_2)
	v_fma_f64 v[58:59], v[172:173], v[56:57], -v[58:59]
	v_mul_f64 v[172:173], v[172:173], v[180:181]
	v_add_f64 v[16:17], v[16:17], -v[58:59]
	s_delay_alu instid0(VALU_DEP_2) | instskip(NEXT) | instid1(VALU_DEP_1)
	v_fma_f64 v[172:173], v[174:175], v[56:57], v[172:173]
	v_add_f64 v[18:19], v[18:19], -v[172:173]
	ds_load_2addr_b64 v[172:175], v182 offset0:78 offset1:79
	s_waitcnt lgkmcnt(0)
	v_mul_f64 v[58:59], v[174:175], v[180:181]
	s_delay_alu instid0(VALU_DEP_1) | instskip(SKIP_1) | instid1(VALU_DEP_2)
	v_fma_f64 v[58:59], v[172:173], v[56:57], -v[58:59]
	v_mul_f64 v[172:173], v[172:173], v[180:181]
	v_add_f64 v[12:13], v[12:13], -v[58:59]
	s_delay_alu instid0(VALU_DEP_2) | instskip(NEXT) | instid1(VALU_DEP_1)
	v_fma_f64 v[172:173], v[174:175], v[56:57], v[172:173]
	v_add_f64 v[14:15], v[14:15], -v[172:173]
	ds_load_2addr_b64 v[172:175], v182 offset0:80 offset1:81
	s_waitcnt lgkmcnt(0)
	v_mul_f64 v[58:59], v[174:175], v[180:181]
	s_delay_alu instid0(VALU_DEP_1) | instskip(SKIP_1) | instid1(VALU_DEP_2)
	v_fma_f64 v[58:59], v[172:173], v[56:57], -v[58:59]
	v_mul_f64 v[172:173], v[172:173], v[180:181]
	v_add_f64 v[8:9], v[8:9], -v[58:59]
	s_delay_alu instid0(VALU_DEP_2) | instskip(NEXT) | instid1(VALU_DEP_1)
	v_fma_f64 v[172:173], v[174:175], v[56:57], v[172:173]
	v_add_f64 v[10:11], v[10:11], -v[172:173]
	ds_load_2addr_b64 v[172:175], v182 offset0:82 offset1:83
	s_waitcnt lgkmcnt(0)
	v_mul_f64 v[58:59], v[174:175], v[180:181]
	s_delay_alu instid0(VALU_DEP_1) | instskip(SKIP_1) | instid1(VALU_DEP_2)
	v_fma_f64 v[58:59], v[172:173], v[56:57], -v[58:59]
	v_mul_f64 v[172:173], v[172:173], v[180:181]
	v_add_f64 v[4:5], v[4:5], -v[58:59]
	s_delay_alu instid0(VALU_DEP_2) | instskip(NEXT) | instid1(VALU_DEP_1)
	v_fma_f64 v[172:173], v[174:175], v[56:57], v[172:173]
	v_add_f64 v[6:7], v[6:7], -v[172:173]
	ds_load_2addr_b64 v[172:175], v182 offset0:84 offset1:85
	s_waitcnt lgkmcnt(0)
	v_mul_f64 v[58:59], v[174:175], v[180:181]
	s_delay_alu instid0(VALU_DEP_1) | instskip(SKIP_1) | instid1(VALU_DEP_2)
	v_fma_f64 v[58:59], v[172:173], v[56:57], -v[58:59]
	v_mul_f64 v[172:173], v[172:173], v[180:181]
	v_add_f64 v[0:1], v[0:1], -v[58:59]
	s_delay_alu instid0(VALU_DEP_2) | instskip(SKIP_1) | instid1(VALU_DEP_2)
	v_fma_f64 v[172:173], v[174:175], v[56:57], v[172:173]
	v_dual_mov_b32 v58, v180 :: v_dual_mov_b32 v59, v181
	v_add_f64 v[2:3], v[2:3], -v[172:173]
.LBB84_608:
	s_or_b32 exec_lo, exec_lo, s2
	v_lshl_add_u32 v172, v188, 4, v182
	s_barrier
	buffer_gl0_inv
	v_mov_b32_e32 v180, 29
	ds_store_2addr_b64 v172, v[52:53], v[54:55] offset1:1
	s_waitcnt lgkmcnt(0)
	s_barrier
	buffer_gl0_inv
	ds_load_2addr_b64 v[172:175], v182 offset0:58 offset1:59
	s_cmp_lt_i32 s5, 31
	s_cbranch_scc1 .LBB84_611
; %bb.609:
	v_add3_u32 v181, v186, 0, 0x1e0
	v_mov_b32_e32 v180, 29
	s_mov_b32 s6, 30
	s_set_inst_prefetch_distance 0x1
	.p2align	6
.LBB84_610:                             ; =>This Inner Loop Header: Depth=1
	ds_load_2addr_b64 v[189:192], v181 offset1:1
	s_waitcnt lgkmcnt(1)
	v_cmp_gt_f64_e32 vcc_lo, 0, v[172:173]
	v_xor_b32_e32 v193, 0x80000000, v173
	v_cmp_gt_f64_e64 s2, 0, v[174:175]
	v_xor_b32_e32 v195, 0x80000000, v175
	v_add_nc_u32_e32 v181, 16, v181
	s_waitcnt lgkmcnt(0)
	v_cmp_gt_f64_e64 s3, 0, v[189:190]
	v_mov_b32_e32 v197, v189
	v_dual_mov_b32 v199, v191 :: v_dual_cndmask_b32 v194, v173, v193
	v_xor_b32_e32 v193, 0x80000000, v190
	v_cndmask_b32_e64 v196, v175, v195, s2
	v_xor_b32_e32 v195, 0x80000000, v192
	s_delay_alu instid0(VALU_DEP_3) | instskip(SKIP_2) | instid1(VALU_DEP_2)
	v_cndmask_b32_e64 v198, v190, v193, s3
	v_cmp_gt_f64_e64 s3, 0, v[191:192]
	v_cndmask_b32_e32 v193, v172, v172, vcc_lo
	v_cndmask_b32_e64 v200, v192, v195, s3
	v_cndmask_b32_e64 v195, v174, v174, s2
	s_delay_alu instid0(VALU_DEP_2) | instskip(NEXT) | instid1(VALU_DEP_2)
	v_add_f64 v[197:198], v[197:198], v[199:200]
	v_add_f64 v[193:194], v[193:194], v[195:196]
	s_delay_alu instid0(VALU_DEP_1) | instskip(SKIP_4) | instid1(SALU_CYCLE_1)
	v_cmp_lt_f64_e32 vcc_lo, v[193:194], v[197:198]
	v_dual_cndmask_b32 v174, v174, v191 :: v_dual_cndmask_b32 v173, v173, v190
	v_dual_cndmask_b32 v172, v172, v189 :: v_dual_cndmask_b32 v175, v175, v192
	v_cndmask_b32_e64 v180, v180, s6, vcc_lo
	s_add_i32 s6, s6, 1
	s_cmp_lg_u32 s5, s6
	s_cbranch_scc1 .LBB84_610
.LBB84_611:
	s_set_inst_prefetch_distance 0x2
	s_waitcnt lgkmcnt(0)
	v_cmp_eq_f64_e32 vcc_lo, 0, v[172:173]
	v_cmp_eq_f64_e64 s2, 0, v[174:175]
	s_delay_alu instid0(VALU_DEP_1) | instskip(NEXT) | instid1(SALU_CYCLE_1)
	s_and_b32 s2, vcc_lo, s2
	s_and_saveexec_b32 s3, s2
	s_delay_alu instid0(SALU_CYCLE_1)
	s_xor_b32 s2, exec_lo, s3
; %bb.612:
	v_cmp_ne_u32_e32 vcc_lo, 0, v185
	v_cndmask_b32_e32 v185, 30, v185, vcc_lo
; %bb.613:
	s_and_not1_saveexec_b32 s3, s2
	s_cbranch_execz .LBB84_619
; %bb.614:
	v_cmp_gt_f64_e32 vcc_lo, 0, v[172:173]
	v_cmp_gt_f64_e64 s2, 0, v[174:175]
	v_xor_b32_e32 v181, 0x80000000, v173
	v_xor_b32_e32 v189, 0x80000000, v175
	s_delay_alu instid0(VALU_DEP_2) | instskip(NEXT) | instid1(VALU_DEP_2)
	v_cndmask_b32_e32 v190, v173, v181, vcc_lo
	v_cndmask_b32_e64 v192, v175, v189, s2
	v_cndmask_b32_e32 v189, v172, v172, vcc_lo
	v_cndmask_b32_e64 v191, v174, v174, s2
	s_mov_b32 s2, exec_lo
	s_delay_alu instid0(VALU_DEP_1)
	v_cmpx_ngt_f64_e32 v[189:190], v[191:192]
	s_xor_b32 s2, exec_lo, s2
	s_cbranch_execz .LBB84_616
; %bb.615:
	v_div_scale_f64 v[189:190], null, v[174:175], v[174:175], v[172:173]
	v_div_scale_f64 v[195:196], vcc_lo, v[172:173], v[174:175], v[172:173]
	s_delay_alu instid0(VALU_DEP_2) | instskip(SKIP_2) | instid1(VALU_DEP_1)
	v_rcp_f64_e32 v[191:192], v[189:190]
	s_waitcnt_depctr 0xfff
	v_fma_f64 v[193:194], -v[189:190], v[191:192], 1.0
	v_fma_f64 v[191:192], v[191:192], v[193:194], v[191:192]
	s_delay_alu instid0(VALU_DEP_1) | instskip(NEXT) | instid1(VALU_DEP_1)
	v_fma_f64 v[193:194], -v[189:190], v[191:192], 1.0
	v_fma_f64 v[191:192], v[191:192], v[193:194], v[191:192]
	s_delay_alu instid0(VALU_DEP_1) | instskip(NEXT) | instid1(VALU_DEP_1)
	v_mul_f64 v[193:194], v[195:196], v[191:192]
	v_fma_f64 v[189:190], -v[189:190], v[193:194], v[195:196]
	s_delay_alu instid0(VALU_DEP_1) | instskip(NEXT) | instid1(VALU_DEP_1)
	v_div_fmas_f64 v[189:190], v[189:190], v[191:192], v[193:194]
	v_div_fixup_f64 v[189:190], v[189:190], v[174:175], v[172:173]
	s_delay_alu instid0(VALU_DEP_1) | instskip(NEXT) | instid1(VALU_DEP_1)
	v_fma_f64 v[172:173], v[172:173], v[189:190], v[174:175]
	v_div_scale_f64 v[174:175], null, v[172:173], v[172:173], 1.0
	s_delay_alu instid0(VALU_DEP_1) | instskip(SKIP_2) | instid1(VALU_DEP_1)
	v_rcp_f64_e32 v[191:192], v[174:175]
	s_waitcnt_depctr 0xfff
	v_fma_f64 v[193:194], -v[174:175], v[191:192], 1.0
	v_fma_f64 v[191:192], v[191:192], v[193:194], v[191:192]
	s_delay_alu instid0(VALU_DEP_1) | instskip(NEXT) | instid1(VALU_DEP_1)
	v_fma_f64 v[193:194], -v[174:175], v[191:192], 1.0
	v_fma_f64 v[191:192], v[191:192], v[193:194], v[191:192]
	v_div_scale_f64 v[193:194], vcc_lo, 1.0, v[172:173], 1.0
	s_delay_alu instid0(VALU_DEP_1) | instskip(NEXT) | instid1(VALU_DEP_1)
	v_mul_f64 v[195:196], v[193:194], v[191:192]
	v_fma_f64 v[174:175], -v[174:175], v[195:196], v[193:194]
	s_delay_alu instid0(VALU_DEP_1) | instskip(NEXT) | instid1(VALU_DEP_1)
	v_div_fmas_f64 v[174:175], v[174:175], v[191:192], v[195:196]
	v_div_fixup_f64 v[174:175], v[174:175], v[172:173], 1.0
	s_delay_alu instid0(VALU_DEP_1)
	v_mul_f64 v[172:173], v[189:190], v[174:175]
	v_xor_b32_e32 v175, 0x80000000, v175
.LBB84_616:
	s_and_not1_saveexec_b32 s2, s2
	s_cbranch_execz .LBB84_618
; %bb.617:
	s_delay_alu instid0(VALU_DEP_1) | instskip(SKIP_1) | instid1(VALU_DEP_2)
	v_div_scale_f64 v[189:190], null, v[172:173], v[172:173], v[174:175]
	v_div_scale_f64 v[195:196], vcc_lo, v[174:175], v[172:173], v[174:175]
	v_rcp_f64_e32 v[191:192], v[189:190]
	s_waitcnt_depctr 0xfff
	v_fma_f64 v[193:194], -v[189:190], v[191:192], 1.0
	s_delay_alu instid0(VALU_DEP_1) | instskip(NEXT) | instid1(VALU_DEP_1)
	v_fma_f64 v[191:192], v[191:192], v[193:194], v[191:192]
	v_fma_f64 v[193:194], -v[189:190], v[191:192], 1.0
	s_delay_alu instid0(VALU_DEP_1) | instskip(NEXT) | instid1(VALU_DEP_1)
	v_fma_f64 v[191:192], v[191:192], v[193:194], v[191:192]
	v_mul_f64 v[193:194], v[195:196], v[191:192]
	s_delay_alu instid0(VALU_DEP_1) | instskip(NEXT) | instid1(VALU_DEP_1)
	v_fma_f64 v[189:190], -v[189:190], v[193:194], v[195:196]
	v_div_fmas_f64 v[189:190], v[189:190], v[191:192], v[193:194]
	s_delay_alu instid0(VALU_DEP_1) | instskip(NEXT) | instid1(VALU_DEP_1)
	v_div_fixup_f64 v[189:190], v[189:190], v[172:173], v[174:175]
	v_fma_f64 v[172:173], v[174:175], v[189:190], v[172:173]
	s_delay_alu instid0(VALU_DEP_1) | instskip(NEXT) | instid1(VALU_DEP_1)
	v_div_scale_f64 v[174:175], null, v[172:173], v[172:173], 1.0
	v_rcp_f64_e32 v[191:192], v[174:175]
	s_waitcnt_depctr 0xfff
	v_fma_f64 v[193:194], -v[174:175], v[191:192], 1.0
	s_delay_alu instid0(VALU_DEP_1) | instskip(NEXT) | instid1(VALU_DEP_1)
	v_fma_f64 v[191:192], v[191:192], v[193:194], v[191:192]
	v_fma_f64 v[193:194], -v[174:175], v[191:192], 1.0
	s_delay_alu instid0(VALU_DEP_1) | instskip(SKIP_1) | instid1(VALU_DEP_1)
	v_fma_f64 v[191:192], v[191:192], v[193:194], v[191:192]
	v_div_scale_f64 v[193:194], vcc_lo, 1.0, v[172:173], 1.0
	v_mul_f64 v[195:196], v[193:194], v[191:192]
	s_delay_alu instid0(VALU_DEP_1) | instskip(NEXT) | instid1(VALU_DEP_1)
	v_fma_f64 v[174:175], -v[174:175], v[195:196], v[193:194]
	v_div_fmas_f64 v[174:175], v[174:175], v[191:192], v[195:196]
	s_delay_alu instid0(VALU_DEP_1) | instskip(NEXT) | instid1(VALU_DEP_1)
	v_div_fixup_f64 v[172:173], v[174:175], v[172:173], 1.0
	v_mul_f64 v[174:175], v[189:190], -v[172:173]
.LBB84_618:
	s_or_b32 exec_lo, exec_lo, s2
.LBB84_619:
	s_delay_alu instid0(SALU_CYCLE_1) | instskip(NEXT) | instid1(SALU_CYCLE_1)
	s_or_b32 exec_lo, exec_lo, s3
	s_mov_b32 s2, exec_lo
	v_cmpx_ne_u32_e64 v188, v180
	s_xor_b32 s2, exec_lo, s2
	s_cbranch_execz .LBB84_625
; %bb.620:
	s_mov_b32 s3, exec_lo
	v_cmpx_eq_u32_e32 29, v188
	s_cbranch_execz .LBB84_624
; %bb.621:
	v_cmp_ne_u32_e32 vcc_lo, 29, v180
	s_xor_b32 s6, s4, -1
	s_delay_alu instid0(SALU_CYCLE_1) | instskip(NEXT) | instid1(SALU_CYCLE_1)
	s_and_b32 s7, s6, vcc_lo
	s_and_saveexec_b32 s6, s7
	s_cbranch_execz .LBB84_623
; %bb.622:
	v_ashrrev_i32_e32 v181, 31, v180
	s_delay_alu instid0(VALU_DEP_1) | instskip(NEXT) | instid1(VALU_DEP_1)
	v_lshlrev_b64 v[187:188], 2, v[180:181]
	v_add_co_u32 v187, vcc_lo, v178, v187
	s_delay_alu instid0(VALU_DEP_2)
	v_add_co_ci_u32_e32 v188, vcc_lo, v179, v188, vcc_lo
	s_clause 0x1
	flat_load_b32 v181, v[187:188]
	flat_load_b32 v189, v[178:179] offset:116
	s_waitcnt vmcnt(1) lgkmcnt(1)
	flat_store_b32 v[178:179], v181 offset:116
	s_waitcnt vmcnt(0) lgkmcnt(1)
	flat_store_b32 v[187:188], v189
.LBB84_623:
	s_or_b32 exec_lo, exec_lo, s6
	v_mov_b32_e32 v188, v180
	v_mov_b32_e32 v187, v180
.LBB84_624:
	s_or_b32 exec_lo, exec_lo, s3
.LBB84_625:
	s_and_not1_saveexec_b32 s2, s2
	s_cbranch_execz .LBB84_627
; %bb.626:
	v_mov_b32_e32 v188, 29
	ds_store_2addr_b64 v182, v[48:49], v[50:51] offset0:60 offset1:61
	ds_store_2addr_b64 v182, v[44:45], v[46:47] offset0:62 offset1:63
	;; [unrolled: 1-line block ×13, first 2 shown]
.LBB84_627:
	s_or_b32 exec_lo, exec_lo, s2
	s_delay_alu instid0(SALU_CYCLE_1)
	s_mov_b32 s2, exec_lo
	s_waitcnt lgkmcnt(0)
	s_waitcnt_vscnt null, 0x0
	s_barrier
	buffer_gl0_inv
	v_cmpx_lt_i32_e32 29, v188
	s_cbranch_execz .LBB84_629
; %bb.628:
	v_mul_f64 v[180:181], v[172:173], v[54:55]
	v_mul_f64 v[54:55], v[174:175], v[54:55]
	s_delay_alu instid0(VALU_DEP_2) | instskip(NEXT) | instid1(VALU_DEP_2)
	v_fma_f64 v[180:181], v[174:175], v[52:53], v[180:181]
	v_fma_f64 v[52:53], v[172:173], v[52:53], -v[54:55]
	ds_load_2addr_b64 v[172:175], v182 offset0:60 offset1:61
	s_waitcnt lgkmcnt(0)
	v_mul_f64 v[54:55], v[174:175], v[180:181]
	s_delay_alu instid0(VALU_DEP_1) | instskip(SKIP_1) | instid1(VALU_DEP_2)
	v_fma_f64 v[54:55], v[172:173], v[52:53], -v[54:55]
	v_mul_f64 v[172:173], v[172:173], v[180:181]
	v_add_f64 v[48:49], v[48:49], -v[54:55]
	s_delay_alu instid0(VALU_DEP_2) | instskip(NEXT) | instid1(VALU_DEP_1)
	v_fma_f64 v[172:173], v[174:175], v[52:53], v[172:173]
	v_add_f64 v[50:51], v[50:51], -v[172:173]
	ds_load_2addr_b64 v[172:175], v182 offset0:62 offset1:63
	s_waitcnt lgkmcnt(0)
	v_mul_f64 v[54:55], v[174:175], v[180:181]
	s_delay_alu instid0(VALU_DEP_1) | instskip(SKIP_1) | instid1(VALU_DEP_2)
	v_fma_f64 v[54:55], v[172:173], v[52:53], -v[54:55]
	v_mul_f64 v[172:173], v[172:173], v[180:181]
	v_add_f64 v[44:45], v[44:45], -v[54:55]
	s_delay_alu instid0(VALU_DEP_2) | instskip(NEXT) | instid1(VALU_DEP_1)
	v_fma_f64 v[172:173], v[174:175], v[52:53], v[172:173]
	v_add_f64 v[46:47], v[46:47], -v[172:173]
	;; [unrolled: 10-line block ×12, first 2 shown]
	ds_load_2addr_b64 v[172:175], v182 offset0:84 offset1:85
	s_waitcnt lgkmcnt(0)
	v_mul_f64 v[54:55], v[174:175], v[180:181]
	s_delay_alu instid0(VALU_DEP_1) | instskip(SKIP_1) | instid1(VALU_DEP_2)
	v_fma_f64 v[54:55], v[172:173], v[52:53], -v[54:55]
	v_mul_f64 v[172:173], v[172:173], v[180:181]
	v_add_f64 v[0:1], v[0:1], -v[54:55]
	s_delay_alu instid0(VALU_DEP_2) | instskip(SKIP_1) | instid1(VALU_DEP_2)
	v_fma_f64 v[172:173], v[174:175], v[52:53], v[172:173]
	v_dual_mov_b32 v54, v180 :: v_dual_mov_b32 v55, v181
	v_add_f64 v[2:3], v[2:3], -v[172:173]
.LBB84_629:
	s_or_b32 exec_lo, exec_lo, s2
	v_lshl_add_u32 v172, v188, 4, v182
	s_barrier
	buffer_gl0_inv
	v_mov_b32_e32 v180, 30
	ds_store_2addr_b64 v172, v[48:49], v[50:51] offset1:1
	s_waitcnt lgkmcnt(0)
	s_barrier
	buffer_gl0_inv
	ds_load_2addr_b64 v[172:175], v182 offset0:60 offset1:61
	s_cmp_lt_i32 s5, 32
	s_cbranch_scc1 .LBB84_632
; %bb.630:
	v_add3_u32 v181, v186, 0, 0x1f0
	v_mov_b32_e32 v180, 30
	s_mov_b32 s6, 31
	s_set_inst_prefetch_distance 0x1
	.p2align	6
.LBB84_631:                             ; =>This Inner Loop Header: Depth=1
	ds_load_2addr_b64 v[189:192], v181 offset1:1
	s_waitcnt lgkmcnt(1)
	v_cmp_gt_f64_e32 vcc_lo, 0, v[172:173]
	v_xor_b32_e32 v193, 0x80000000, v173
	v_cmp_gt_f64_e64 s2, 0, v[174:175]
	v_xor_b32_e32 v195, 0x80000000, v175
	v_add_nc_u32_e32 v181, 16, v181
	s_waitcnt lgkmcnt(0)
	v_cmp_gt_f64_e64 s3, 0, v[189:190]
	v_mov_b32_e32 v197, v189
	v_dual_mov_b32 v199, v191 :: v_dual_cndmask_b32 v194, v173, v193
	v_xor_b32_e32 v193, 0x80000000, v190
	v_cndmask_b32_e64 v196, v175, v195, s2
	v_xor_b32_e32 v195, 0x80000000, v192
	s_delay_alu instid0(VALU_DEP_3) | instskip(SKIP_2) | instid1(VALU_DEP_2)
	v_cndmask_b32_e64 v198, v190, v193, s3
	v_cmp_gt_f64_e64 s3, 0, v[191:192]
	v_cndmask_b32_e32 v193, v172, v172, vcc_lo
	v_cndmask_b32_e64 v200, v192, v195, s3
	v_cndmask_b32_e64 v195, v174, v174, s2
	s_delay_alu instid0(VALU_DEP_2) | instskip(NEXT) | instid1(VALU_DEP_2)
	v_add_f64 v[197:198], v[197:198], v[199:200]
	v_add_f64 v[193:194], v[193:194], v[195:196]
	s_delay_alu instid0(VALU_DEP_1) | instskip(SKIP_4) | instid1(SALU_CYCLE_1)
	v_cmp_lt_f64_e32 vcc_lo, v[193:194], v[197:198]
	v_dual_cndmask_b32 v174, v174, v191 :: v_dual_cndmask_b32 v173, v173, v190
	v_dual_cndmask_b32 v172, v172, v189 :: v_dual_cndmask_b32 v175, v175, v192
	v_cndmask_b32_e64 v180, v180, s6, vcc_lo
	s_add_i32 s6, s6, 1
	s_cmp_lg_u32 s5, s6
	s_cbranch_scc1 .LBB84_631
.LBB84_632:
	s_set_inst_prefetch_distance 0x2
	s_waitcnt lgkmcnt(0)
	v_cmp_eq_f64_e32 vcc_lo, 0, v[172:173]
	v_cmp_eq_f64_e64 s2, 0, v[174:175]
	s_delay_alu instid0(VALU_DEP_1) | instskip(NEXT) | instid1(SALU_CYCLE_1)
	s_and_b32 s2, vcc_lo, s2
	s_and_saveexec_b32 s3, s2
	s_delay_alu instid0(SALU_CYCLE_1)
	s_xor_b32 s2, exec_lo, s3
; %bb.633:
	v_cmp_ne_u32_e32 vcc_lo, 0, v185
	v_cndmask_b32_e32 v185, 31, v185, vcc_lo
; %bb.634:
	s_and_not1_saveexec_b32 s3, s2
	s_cbranch_execz .LBB84_640
; %bb.635:
	v_cmp_gt_f64_e32 vcc_lo, 0, v[172:173]
	v_cmp_gt_f64_e64 s2, 0, v[174:175]
	v_xor_b32_e32 v181, 0x80000000, v173
	v_xor_b32_e32 v189, 0x80000000, v175
	s_delay_alu instid0(VALU_DEP_2) | instskip(NEXT) | instid1(VALU_DEP_2)
	v_cndmask_b32_e32 v190, v173, v181, vcc_lo
	v_cndmask_b32_e64 v192, v175, v189, s2
	v_cndmask_b32_e32 v189, v172, v172, vcc_lo
	v_cndmask_b32_e64 v191, v174, v174, s2
	s_mov_b32 s2, exec_lo
	s_delay_alu instid0(VALU_DEP_1)
	v_cmpx_ngt_f64_e32 v[189:190], v[191:192]
	s_xor_b32 s2, exec_lo, s2
	s_cbranch_execz .LBB84_637
; %bb.636:
	v_div_scale_f64 v[189:190], null, v[174:175], v[174:175], v[172:173]
	v_div_scale_f64 v[195:196], vcc_lo, v[172:173], v[174:175], v[172:173]
	s_delay_alu instid0(VALU_DEP_2) | instskip(SKIP_2) | instid1(VALU_DEP_1)
	v_rcp_f64_e32 v[191:192], v[189:190]
	s_waitcnt_depctr 0xfff
	v_fma_f64 v[193:194], -v[189:190], v[191:192], 1.0
	v_fma_f64 v[191:192], v[191:192], v[193:194], v[191:192]
	s_delay_alu instid0(VALU_DEP_1) | instskip(NEXT) | instid1(VALU_DEP_1)
	v_fma_f64 v[193:194], -v[189:190], v[191:192], 1.0
	v_fma_f64 v[191:192], v[191:192], v[193:194], v[191:192]
	s_delay_alu instid0(VALU_DEP_1) | instskip(NEXT) | instid1(VALU_DEP_1)
	v_mul_f64 v[193:194], v[195:196], v[191:192]
	v_fma_f64 v[189:190], -v[189:190], v[193:194], v[195:196]
	s_delay_alu instid0(VALU_DEP_1) | instskip(NEXT) | instid1(VALU_DEP_1)
	v_div_fmas_f64 v[189:190], v[189:190], v[191:192], v[193:194]
	v_div_fixup_f64 v[189:190], v[189:190], v[174:175], v[172:173]
	s_delay_alu instid0(VALU_DEP_1) | instskip(NEXT) | instid1(VALU_DEP_1)
	v_fma_f64 v[172:173], v[172:173], v[189:190], v[174:175]
	v_div_scale_f64 v[174:175], null, v[172:173], v[172:173], 1.0
	s_delay_alu instid0(VALU_DEP_1) | instskip(SKIP_2) | instid1(VALU_DEP_1)
	v_rcp_f64_e32 v[191:192], v[174:175]
	s_waitcnt_depctr 0xfff
	v_fma_f64 v[193:194], -v[174:175], v[191:192], 1.0
	v_fma_f64 v[191:192], v[191:192], v[193:194], v[191:192]
	s_delay_alu instid0(VALU_DEP_1) | instskip(NEXT) | instid1(VALU_DEP_1)
	v_fma_f64 v[193:194], -v[174:175], v[191:192], 1.0
	v_fma_f64 v[191:192], v[191:192], v[193:194], v[191:192]
	v_div_scale_f64 v[193:194], vcc_lo, 1.0, v[172:173], 1.0
	s_delay_alu instid0(VALU_DEP_1) | instskip(NEXT) | instid1(VALU_DEP_1)
	v_mul_f64 v[195:196], v[193:194], v[191:192]
	v_fma_f64 v[174:175], -v[174:175], v[195:196], v[193:194]
	s_delay_alu instid0(VALU_DEP_1) | instskip(NEXT) | instid1(VALU_DEP_1)
	v_div_fmas_f64 v[174:175], v[174:175], v[191:192], v[195:196]
	v_div_fixup_f64 v[174:175], v[174:175], v[172:173], 1.0
	s_delay_alu instid0(VALU_DEP_1)
	v_mul_f64 v[172:173], v[189:190], v[174:175]
	v_xor_b32_e32 v175, 0x80000000, v175
.LBB84_637:
	s_and_not1_saveexec_b32 s2, s2
	s_cbranch_execz .LBB84_639
; %bb.638:
	s_delay_alu instid0(VALU_DEP_1) | instskip(SKIP_1) | instid1(VALU_DEP_2)
	v_div_scale_f64 v[189:190], null, v[172:173], v[172:173], v[174:175]
	v_div_scale_f64 v[195:196], vcc_lo, v[174:175], v[172:173], v[174:175]
	v_rcp_f64_e32 v[191:192], v[189:190]
	s_waitcnt_depctr 0xfff
	v_fma_f64 v[193:194], -v[189:190], v[191:192], 1.0
	s_delay_alu instid0(VALU_DEP_1) | instskip(NEXT) | instid1(VALU_DEP_1)
	v_fma_f64 v[191:192], v[191:192], v[193:194], v[191:192]
	v_fma_f64 v[193:194], -v[189:190], v[191:192], 1.0
	s_delay_alu instid0(VALU_DEP_1) | instskip(NEXT) | instid1(VALU_DEP_1)
	v_fma_f64 v[191:192], v[191:192], v[193:194], v[191:192]
	v_mul_f64 v[193:194], v[195:196], v[191:192]
	s_delay_alu instid0(VALU_DEP_1) | instskip(NEXT) | instid1(VALU_DEP_1)
	v_fma_f64 v[189:190], -v[189:190], v[193:194], v[195:196]
	v_div_fmas_f64 v[189:190], v[189:190], v[191:192], v[193:194]
	s_delay_alu instid0(VALU_DEP_1) | instskip(NEXT) | instid1(VALU_DEP_1)
	v_div_fixup_f64 v[189:190], v[189:190], v[172:173], v[174:175]
	v_fma_f64 v[172:173], v[174:175], v[189:190], v[172:173]
	s_delay_alu instid0(VALU_DEP_1) | instskip(NEXT) | instid1(VALU_DEP_1)
	v_div_scale_f64 v[174:175], null, v[172:173], v[172:173], 1.0
	v_rcp_f64_e32 v[191:192], v[174:175]
	s_waitcnt_depctr 0xfff
	v_fma_f64 v[193:194], -v[174:175], v[191:192], 1.0
	s_delay_alu instid0(VALU_DEP_1) | instskip(NEXT) | instid1(VALU_DEP_1)
	v_fma_f64 v[191:192], v[191:192], v[193:194], v[191:192]
	v_fma_f64 v[193:194], -v[174:175], v[191:192], 1.0
	s_delay_alu instid0(VALU_DEP_1) | instskip(SKIP_1) | instid1(VALU_DEP_1)
	v_fma_f64 v[191:192], v[191:192], v[193:194], v[191:192]
	v_div_scale_f64 v[193:194], vcc_lo, 1.0, v[172:173], 1.0
	v_mul_f64 v[195:196], v[193:194], v[191:192]
	s_delay_alu instid0(VALU_DEP_1) | instskip(NEXT) | instid1(VALU_DEP_1)
	v_fma_f64 v[174:175], -v[174:175], v[195:196], v[193:194]
	v_div_fmas_f64 v[174:175], v[174:175], v[191:192], v[195:196]
	s_delay_alu instid0(VALU_DEP_1) | instskip(NEXT) | instid1(VALU_DEP_1)
	v_div_fixup_f64 v[172:173], v[174:175], v[172:173], 1.0
	v_mul_f64 v[174:175], v[189:190], -v[172:173]
.LBB84_639:
	s_or_b32 exec_lo, exec_lo, s2
.LBB84_640:
	s_delay_alu instid0(SALU_CYCLE_1) | instskip(NEXT) | instid1(SALU_CYCLE_1)
	s_or_b32 exec_lo, exec_lo, s3
	s_mov_b32 s2, exec_lo
	v_cmpx_ne_u32_e64 v188, v180
	s_xor_b32 s2, exec_lo, s2
	s_cbranch_execz .LBB84_646
; %bb.641:
	s_mov_b32 s3, exec_lo
	v_cmpx_eq_u32_e32 30, v188
	s_cbranch_execz .LBB84_645
; %bb.642:
	v_cmp_ne_u32_e32 vcc_lo, 30, v180
	s_xor_b32 s6, s4, -1
	s_delay_alu instid0(SALU_CYCLE_1) | instskip(NEXT) | instid1(SALU_CYCLE_1)
	s_and_b32 s7, s6, vcc_lo
	s_and_saveexec_b32 s6, s7
	s_cbranch_execz .LBB84_644
; %bb.643:
	v_ashrrev_i32_e32 v181, 31, v180
	s_delay_alu instid0(VALU_DEP_1) | instskip(NEXT) | instid1(VALU_DEP_1)
	v_lshlrev_b64 v[187:188], 2, v[180:181]
	v_add_co_u32 v187, vcc_lo, v178, v187
	s_delay_alu instid0(VALU_DEP_2)
	v_add_co_ci_u32_e32 v188, vcc_lo, v179, v188, vcc_lo
	s_clause 0x1
	flat_load_b32 v181, v[187:188]
	flat_load_b32 v189, v[178:179] offset:120
	s_waitcnt vmcnt(1) lgkmcnt(1)
	flat_store_b32 v[178:179], v181 offset:120
	s_waitcnt vmcnt(0) lgkmcnt(1)
	flat_store_b32 v[187:188], v189
.LBB84_644:
	s_or_b32 exec_lo, exec_lo, s6
	v_mov_b32_e32 v188, v180
	v_mov_b32_e32 v187, v180
.LBB84_645:
	s_or_b32 exec_lo, exec_lo, s3
.LBB84_646:
	s_and_not1_saveexec_b32 s2, s2
	s_cbranch_execz .LBB84_648
; %bb.647:
	v_mov_b32_e32 v188, 30
	ds_store_2addr_b64 v182, v[44:45], v[46:47] offset0:62 offset1:63
	ds_store_2addr_b64 v182, v[40:41], v[42:43] offset0:64 offset1:65
	;; [unrolled: 1-line block ×12, first 2 shown]
.LBB84_648:
	s_or_b32 exec_lo, exec_lo, s2
	s_delay_alu instid0(SALU_CYCLE_1)
	s_mov_b32 s2, exec_lo
	s_waitcnt lgkmcnt(0)
	s_waitcnt_vscnt null, 0x0
	s_barrier
	buffer_gl0_inv
	v_cmpx_lt_i32_e32 30, v188
	s_cbranch_execz .LBB84_650
; %bb.649:
	v_mul_f64 v[180:181], v[172:173], v[50:51]
	v_mul_f64 v[50:51], v[174:175], v[50:51]
	s_delay_alu instid0(VALU_DEP_2) | instskip(NEXT) | instid1(VALU_DEP_2)
	v_fma_f64 v[180:181], v[174:175], v[48:49], v[180:181]
	v_fma_f64 v[48:49], v[172:173], v[48:49], -v[50:51]
	ds_load_2addr_b64 v[172:175], v182 offset0:62 offset1:63
	s_waitcnt lgkmcnt(0)
	v_mul_f64 v[50:51], v[174:175], v[180:181]
	s_delay_alu instid0(VALU_DEP_1) | instskip(SKIP_1) | instid1(VALU_DEP_2)
	v_fma_f64 v[50:51], v[172:173], v[48:49], -v[50:51]
	v_mul_f64 v[172:173], v[172:173], v[180:181]
	v_add_f64 v[44:45], v[44:45], -v[50:51]
	s_delay_alu instid0(VALU_DEP_2) | instskip(NEXT) | instid1(VALU_DEP_1)
	v_fma_f64 v[172:173], v[174:175], v[48:49], v[172:173]
	v_add_f64 v[46:47], v[46:47], -v[172:173]
	ds_load_2addr_b64 v[172:175], v182 offset0:64 offset1:65
	s_waitcnt lgkmcnt(0)
	v_mul_f64 v[50:51], v[174:175], v[180:181]
	s_delay_alu instid0(VALU_DEP_1) | instskip(SKIP_1) | instid1(VALU_DEP_2)
	v_fma_f64 v[50:51], v[172:173], v[48:49], -v[50:51]
	v_mul_f64 v[172:173], v[172:173], v[180:181]
	v_add_f64 v[40:41], v[40:41], -v[50:51]
	s_delay_alu instid0(VALU_DEP_2) | instskip(NEXT) | instid1(VALU_DEP_1)
	v_fma_f64 v[172:173], v[174:175], v[48:49], v[172:173]
	v_add_f64 v[42:43], v[42:43], -v[172:173]
	;; [unrolled: 10-line block ×11, first 2 shown]
	ds_load_2addr_b64 v[172:175], v182 offset0:84 offset1:85
	s_waitcnt lgkmcnt(0)
	v_mul_f64 v[50:51], v[174:175], v[180:181]
	s_delay_alu instid0(VALU_DEP_1) | instskip(SKIP_1) | instid1(VALU_DEP_2)
	v_fma_f64 v[50:51], v[172:173], v[48:49], -v[50:51]
	v_mul_f64 v[172:173], v[172:173], v[180:181]
	v_add_f64 v[0:1], v[0:1], -v[50:51]
	s_delay_alu instid0(VALU_DEP_2) | instskip(SKIP_1) | instid1(VALU_DEP_2)
	v_fma_f64 v[172:173], v[174:175], v[48:49], v[172:173]
	v_dual_mov_b32 v50, v180 :: v_dual_mov_b32 v51, v181
	v_add_f64 v[2:3], v[2:3], -v[172:173]
.LBB84_650:
	s_or_b32 exec_lo, exec_lo, s2
	v_lshl_add_u32 v172, v188, 4, v182
	s_barrier
	buffer_gl0_inv
	v_mov_b32_e32 v180, 31
	ds_store_2addr_b64 v172, v[44:45], v[46:47] offset1:1
	s_waitcnt lgkmcnt(0)
	s_barrier
	buffer_gl0_inv
	ds_load_2addr_b64 v[172:175], v182 offset0:62 offset1:63
	s_cmp_lt_i32 s5, 33
	s_cbranch_scc1 .LBB84_653
; %bb.651:
	v_add3_u32 v181, v186, 0, 0x200
	v_mov_b32_e32 v180, 31
	s_mov_b32 s6, 32
	s_set_inst_prefetch_distance 0x1
	.p2align	6
.LBB84_652:                             ; =>This Inner Loop Header: Depth=1
	ds_load_2addr_b64 v[189:192], v181 offset1:1
	s_waitcnt lgkmcnt(1)
	v_cmp_gt_f64_e32 vcc_lo, 0, v[172:173]
	v_xor_b32_e32 v193, 0x80000000, v173
	v_cmp_gt_f64_e64 s2, 0, v[174:175]
	v_xor_b32_e32 v195, 0x80000000, v175
	v_add_nc_u32_e32 v181, 16, v181
	s_waitcnt lgkmcnt(0)
	v_cmp_gt_f64_e64 s3, 0, v[189:190]
	v_mov_b32_e32 v197, v189
	v_dual_mov_b32 v199, v191 :: v_dual_cndmask_b32 v194, v173, v193
	v_xor_b32_e32 v193, 0x80000000, v190
	v_cndmask_b32_e64 v196, v175, v195, s2
	v_xor_b32_e32 v195, 0x80000000, v192
	s_delay_alu instid0(VALU_DEP_3) | instskip(SKIP_2) | instid1(VALU_DEP_2)
	v_cndmask_b32_e64 v198, v190, v193, s3
	v_cmp_gt_f64_e64 s3, 0, v[191:192]
	v_cndmask_b32_e32 v193, v172, v172, vcc_lo
	v_cndmask_b32_e64 v200, v192, v195, s3
	v_cndmask_b32_e64 v195, v174, v174, s2
	s_delay_alu instid0(VALU_DEP_2) | instskip(NEXT) | instid1(VALU_DEP_2)
	v_add_f64 v[197:198], v[197:198], v[199:200]
	v_add_f64 v[193:194], v[193:194], v[195:196]
	s_delay_alu instid0(VALU_DEP_1) | instskip(SKIP_4) | instid1(SALU_CYCLE_1)
	v_cmp_lt_f64_e32 vcc_lo, v[193:194], v[197:198]
	v_dual_cndmask_b32 v174, v174, v191 :: v_dual_cndmask_b32 v173, v173, v190
	v_dual_cndmask_b32 v172, v172, v189 :: v_dual_cndmask_b32 v175, v175, v192
	v_cndmask_b32_e64 v180, v180, s6, vcc_lo
	s_add_i32 s6, s6, 1
	s_cmp_lg_u32 s5, s6
	s_cbranch_scc1 .LBB84_652
.LBB84_653:
	s_set_inst_prefetch_distance 0x2
	s_waitcnt lgkmcnt(0)
	v_cmp_eq_f64_e32 vcc_lo, 0, v[172:173]
	v_cmp_eq_f64_e64 s2, 0, v[174:175]
	s_delay_alu instid0(VALU_DEP_1) | instskip(NEXT) | instid1(SALU_CYCLE_1)
	s_and_b32 s2, vcc_lo, s2
	s_and_saveexec_b32 s3, s2
	s_delay_alu instid0(SALU_CYCLE_1)
	s_xor_b32 s2, exec_lo, s3
; %bb.654:
	v_cmp_ne_u32_e32 vcc_lo, 0, v185
	v_cndmask_b32_e32 v185, 32, v185, vcc_lo
; %bb.655:
	s_and_not1_saveexec_b32 s3, s2
	s_cbranch_execz .LBB84_661
; %bb.656:
	v_cmp_gt_f64_e32 vcc_lo, 0, v[172:173]
	v_cmp_gt_f64_e64 s2, 0, v[174:175]
	v_xor_b32_e32 v181, 0x80000000, v173
	v_xor_b32_e32 v189, 0x80000000, v175
	s_delay_alu instid0(VALU_DEP_2) | instskip(NEXT) | instid1(VALU_DEP_2)
	v_cndmask_b32_e32 v190, v173, v181, vcc_lo
	v_cndmask_b32_e64 v192, v175, v189, s2
	v_cndmask_b32_e32 v189, v172, v172, vcc_lo
	v_cndmask_b32_e64 v191, v174, v174, s2
	s_mov_b32 s2, exec_lo
	s_delay_alu instid0(VALU_DEP_1)
	v_cmpx_ngt_f64_e32 v[189:190], v[191:192]
	s_xor_b32 s2, exec_lo, s2
	s_cbranch_execz .LBB84_658
; %bb.657:
	v_div_scale_f64 v[189:190], null, v[174:175], v[174:175], v[172:173]
	v_div_scale_f64 v[195:196], vcc_lo, v[172:173], v[174:175], v[172:173]
	s_delay_alu instid0(VALU_DEP_2) | instskip(SKIP_2) | instid1(VALU_DEP_1)
	v_rcp_f64_e32 v[191:192], v[189:190]
	s_waitcnt_depctr 0xfff
	v_fma_f64 v[193:194], -v[189:190], v[191:192], 1.0
	v_fma_f64 v[191:192], v[191:192], v[193:194], v[191:192]
	s_delay_alu instid0(VALU_DEP_1) | instskip(NEXT) | instid1(VALU_DEP_1)
	v_fma_f64 v[193:194], -v[189:190], v[191:192], 1.0
	v_fma_f64 v[191:192], v[191:192], v[193:194], v[191:192]
	s_delay_alu instid0(VALU_DEP_1) | instskip(NEXT) | instid1(VALU_DEP_1)
	v_mul_f64 v[193:194], v[195:196], v[191:192]
	v_fma_f64 v[189:190], -v[189:190], v[193:194], v[195:196]
	s_delay_alu instid0(VALU_DEP_1) | instskip(NEXT) | instid1(VALU_DEP_1)
	v_div_fmas_f64 v[189:190], v[189:190], v[191:192], v[193:194]
	v_div_fixup_f64 v[189:190], v[189:190], v[174:175], v[172:173]
	s_delay_alu instid0(VALU_DEP_1) | instskip(NEXT) | instid1(VALU_DEP_1)
	v_fma_f64 v[172:173], v[172:173], v[189:190], v[174:175]
	v_div_scale_f64 v[174:175], null, v[172:173], v[172:173], 1.0
	s_delay_alu instid0(VALU_DEP_1) | instskip(SKIP_2) | instid1(VALU_DEP_1)
	v_rcp_f64_e32 v[191:192], v[174:175]
	s_waitcnt_depctr 0xfff
	v_fma_f64 v[193:194], -v[174:175], v[191:192], 1.0
	v_fma_f64 v[191:192], v[191:192], v[193:194], v[191:192]
	s_delay_alu instid0(VALU_DEP_1) | instskip(NEXT) | instid1(VALU_DEP_1)
	v_fma_f64 v[193:194], -v[174:175], v[191:192], 1.0
	v_fma_f64 v[191:192], v[191:192], v[193:194], v[191:192]
	v_div_scale_f64 v[193:194], vcc_lo, 1.0, v[172:173], 1.0
	s_delay_alu instid0(VALU_DEP_1) | instskip(NEXT) | instid1(VALU_DEP_1)
	v_mul_f64 v[195:196], v[193:194], v[191:192]
	v_fma_f64 v[174:175], -v[174:175], v[195:196], v[193:194]
	s_delay_alu instid0(VALU_DEP_1) | instskip(NEXT) | instid1(VALU_DEP_1)
	v_div_fmas_f64 v[174:175], v[174:175], v[191:192], v[195:196]
	v_div_fixup_f64 v[174:175], v[174:175], v[172:173], 1.0
	s_delay_alu instid0(VALU_DEP_1)
	v_mul_f64 v[172:173], v[189:190], v[174:175]
	v_xor_b32_e32 v175, 0x80000000, v175
.LBB84_658:
	s_and_not1_saveexec_b32 s2, s2
	s_cbranch_execz .LBB84_660
; %bb.659:
	s_delay_alu instid0(VALU_DEP_1) | instskip(SKIP_1) | instid1(VALU_DEP_2)
	v_div_scale_f64 v[189:190], null, v[172:173], v[172:173], v[174:175]
	v_div_scale_f64 v[195:196], vcc_lo, v[174:175], v[172:173], v[174:175]
	v_rcp_f64_e32 v[191:192], v[189:190]
	s_waitcnt_depctr 0xfff
	v_fma_f64 v[193:194], -v[189:190], v[191:192], 1.0
	s_delay_alu instid0(VALU_DEP_1) | instskip(NEXT) | instid1(VALU_DEP_1)
	v_fma_f64 v[191:192], v[191:192], v[193:194], v[191:192]
	v_fma_f64 v[193:194], -v[189:190], v[191:192], 1.0
	s_delay_alu instid0(VALU_DEP_1) | instskip(NEXT) | instid1(VALU_DEP_1)
	v_fma_f64 v[191:192], v[191:192], v[193:194], v[191:192]
	v_mul_f64 v[193:194], v[195:196], v[191:192]
	s_delay_alu instid0(VALU_DEP_1) | instskip(NEXT) | instid1(VALU_DEP_1)
	v_fma_f64 v[189:190], -v[189:190], v[193:194], v[195:196]
	v_div_fmas_f64 v[189:190], v[189:190], v[191:192], v[193:194]
	s_delay_alu instid0(VALU_DEP_1) | instskip(NEXT) | instid1(VALU_DEP_1)
	v_div_fixup_f64 v[189:190], v[189:190], v[172:173], v[174:175]
	v_fma_f64 v[172:173], v[174:175], v[189:190], v[172:173]
	s_delay_alu instid0(VALU_DEP_1) | instskip(NEXT) | instid1(VALU_DEP_1)
	v_div_scale_f64 v[174:175], null, v[172:173], v[172:173], 1.0
	v_rcp_f64_e32 v[191:192], v[174:175]
	s_waitcnt_depctr 0xfff
	v_fma_f64 v[193:194], -v[174:175], v[191:192], 1.0
	s_delay_alu instid0(VALU_DEP_1) | instskip(NEXT) | instid1(VALU_DEP_1)
	v_fma_f64 v[191:192], v[191:192], v[193:194], v[191:192]
	v_fma_f64 v[193:194], -v[174:175], v[191:192], 1.0
	s_delay_alu instid0(VALU_DEP_1) | instskip(SKIP_1) | instid1(VALU_DEP_1)
	v_fma_f64 v[191:192], v[191:192], v[193:194], v[191:192]
	v_div_scale_f64 v[193:194], vcc_lo, 1.0, v[172:173], 1.0
	v_mul_f64 v[195:196], v[193:194], v[191:192]
	s_delay_alu instid0(VALU_DEP_1) | instskip(NEXT) | instid1(VALU_DEP_1)
	v_fma_f64 v[174:175], -v[174:175], v[195:196], v[193:194]
	v_div_fmas_f64 v[174:175], v[174:175], v[191:192], v[195:196]
	s_delay_alu instid0(VALU_DEP_1) | instskip(NEXT) | instid1(VALU_DEP_1)
	v_div_fixup_f64 v[172:173], v[174:175], v[172:173], 1.0
	v_mul_f64 v[174:175], v[189:190], -v[172:173]
.LBB84_660:
	s_or_b32 exec_lo, exec_lo, s2
.LBB84_661:
	s_delay_alu instid0(SALU_CYCLE_1) | instskip(NEXT) | instid1(SALU_CYCLE_1)
	s_or_b32 exec_lo, exec_lo, s3
	s_mov_b32 s2, exec_lo
	v_cmpx_ne_u32_e64 v188, v180
	s_xor_b32 s2, exec_lo, s2
	s_cbranch_execz .LBB84_667
; %bb.662:
	s_mov_b32 s3, exec_lo
	v_cmpx_eq_u32_e32 31, v188
	s_cbranch_execz .LBB84_666
; %bb.663:
	v_cmp_ne_u32_e32 vcc_lo, 31, v180
	s_xor_b32 s6, s4, -1
	s_delay_alu instid0(SALU_CYCLE_1) | instskip(NEXT) | instid1(SALU_CYCLE_1)
	s_and_b32 s7, s6, vcc_lo
	s_and_saveexec_b32 s6, s7
	s_cbranch_execz .LBB84_665
; %bb.664:
	v_ashrrev_i32_e32 v181, 31, v180
	s_delay_alu instid0(VALU_DEP_1) | instskip(NEXT) | instid1(VALU_DEP_1)
	v_lshlrev_b64 v[187:188], 2, v[180:181]
	v_add_co_u32 v187, vcc_lo, v178, v187
	s_delay_alu instid0(VALU_DEP_2)
	v_add_co_ci_u32_e32 v188, vcc_lo, v179, v188, vcc_lo
	s_clause 0x1
	flat_load_b32 v181, v[187:188]
	flat_load_b32 v189, v[178:179] offset:124
	s_waitcnt vmcnt(1) lgkmcnt(1)
	flat_store_b32 v[178:179], v181 offset:124
	s_waitcnt vmcnt(0) lgkmcnt(1)
	flat_store_b32 v[187:188], v189
.LBB84_665:
	s_or_b32 exec_lo, exec_lo, s6
	v_mov_b32_e32 v188, v180
	v_mov_b32_e32 v187, v180
.LBB84_666:
	s_or_b32 exec_lo, exec_lo, s3
.LBB84_667:
	s_and_not1_saveexec_b32 s2, s2
	s_cbranch_execz .LBB84_669
; %bb.668:
	v_mov_b32_e32 v188, 31
	ds_store_2addr_b64 v182, v[40:41], v[42:43] offset0:64 offset1:65
	ds_store_2addr_b64 v182, v[36:37], v[38:39] offset0:66 offset1:67
	ds_store_2addr_b64 v182, v[32:33], v[34:35] offset0:68 offset1:69
	ds_store_2addr_b64 v182, v[28:29], v[30:31] offset0:70 offset1:71
	ds_store_2addr_b64 v182, v[24:25], v[26:27] offset0:72 offset1:73
	ds_store_2addr_b64 v182, v[20:21], v[22:23] offset0:74 offset1:75
	ds_store_2addr_b64 v182, v[16:17], v[18:19] offset0:76 offset1:77
	ds_store_2addr_b64 v182, v[12:13], v[14:15] offset0:78 offset1:79
	ds_store_2addr_b64 v182, v[8:9], v[10:11] offset0:80 offset1:81
	ds_store_2addr_b64 v182, v[4:5], v[6:7] offset0:82 offset1:83
	ds_store_2addr_b64 v182, v[0:1], v[2:3] offset0:84 offset1:85
.LBB84_669:
	s_or_b32 exec_lo, exec_lo, s2
	s_delay_alu instid0(SALU_CYCLE_1)
	s_mov_b32 s2, exec_lo
	s_waitcnt lgkmcnt(0)
	s_waitcnt_vscnt null, 0x0
	s_barrier
	buffer_gl0_inv
	v_cmpx_lt_i32_e32 31, v188
	s_cbranch_execz .LBB84_671
; %bb.670:
	v_mul_f64 v[180:181], v[172:173], v[46:47]
	v_mul_f64 v[46:47], v[174:175], v[46:47]
	s_delay_alu instid0(VALU_DEP_2) | instskip(NEXT) | instid1(VALU_DEP_2)
	v_fma_f64 v[180:181], v[174:175], v[44:45], v[180:181]
	v_fma_f64 v[44:45], v[172:173], v[44:45], -v[46:47]
	ds_load_2addr_b64 v[172:175], v182 offset0:64 offset1:65
	s_waitcnt lgkmcnt(0)
	v_mul_f64 v[46:47], v[174:175], v[180:181]
	s_delay_alu instid0(VALU_DEP_1) | instskip(SKIP_1) | instid1(VALU_DEP_2)
	v_fma_f64 v[46:47], v[172:173], v[44:45], -v[46:47]
	v_mul_f64 v[172:173], v[172:173], v[180:181]
	v_add_f64 v[40:41], v[40:41], -v[46:47]
	s_delay_alu instid0(VALU_DEP_2) | instskip(NEXT) | instid1(VALU_DEP_1)
	v_fma_f64 v[172:173], v[174:175], v[44:45], v[172:173]
	v_add_f64 v[42:43], v[42:43], -v[172:173]
	ds_load_2addr_b64 v[172:175], v182 offset0:66 offset1:67
	s_waitcnt lgkmcnt(0)
	v_mul_f64 v[46:47], v[174:175], v[180:181]
	s_delay_alu instid0(VALU_DEP_1) | instskip(SKIP_1) | instid1(VALU_DEP_2)
	v_fma_f64 v[46:47], v[172:173], v[44:45], -v[46:47]
	v_mul_f64 v[172:173], v[172:173], v[180:181]
	v_add_f64 v[36:37], v[36:37], -v[46:47]
	s_delay_alu instid0(VALU_DEP_2) | instskip(NEXT) | instid1(VALU_DEP_1)
	v_fma_f64 v[172:173], v[174:175], v[44:45], v[172:173]
	v_add_f64 v[38:39], v[38:39], -v[172:173]
	ds_load_2addr_b64 v[172:175], v182 offset0:68 offset1:69
	s_waitcnt lgkmcnt(0)
	v_mul_f64 v[46:47], v[174:175], v[180:181]
	s_delay_alu instid0(VALU_DEP_1) | instskip(SKIP_1) | instid1(VALU_DEP_2)
	v_fma_f64 v[46:47], v[172:173], v[44:45], -v[46:47]
	v_mul_f64 v[172:173], v[172:173], v[180:181]
	v_add_f64 v[32:33], v[32:33], -v[46:47]
	s_delay_alu instid0(VALU_DEP_2) | instskip(NEXT) | instid1(VALU_DEP_1)
	v_fma_f64 v[172:173], v[174:175], v[44:45], v[172:173]
	v_add_f64 v[34:35], v[34:35], -v[172:173]
	ds_load_2addr_b64 v[172:175], v182 offset0:70 offset1:71
	s_waitcnt lgkmcnt(0)
	v_mul_f64 v[46:47], v[174:175], v[180:181]
	s_delay_alu instid0(VALU_DEP_1) | instskip(SKIP_1) | instid1(VALU_DEP_2)
	v_fma_f64 v[46:47], v[172:173], v[44:45], -v[46:47]
	v_mul_f64 v[172:173], v[172:173], v[180:181]
	v_add_f64 v[28:29], v[28:29], -v[46:47]
	s_delay_alu instid0(VALU_DEP_2) | instskip(NEXT) | instid1(VALU_DEP_1)
	v_fma_f64 v[172:173], v[174:175], v[44:45], v[172:173]
	v_add_f64 v[30:31], v[30:31], -v[172:173]
	ds_load_2addr_b64 v[172:175], v182 offset0:72 offset1:73
	s_waitcnt lgkmcnt(0)
	v_mul_f64 v[46:47], v[174:175], v[180:181]
	s_delay_alu instid0(VALU_DEP_1) | instskip(SKIP_1) | instid1(VALU_DEP_2)
	v_fma_f64 v[46:47], v[172:173], v[44:45], -v[46:47]
	v_mul_f64 v[172:173], v[172:173], v[180:181]
	v_add_f64 v[24:25], v[24:25], -v[46:47]
	s_delay_alu instid0(VALU_DEP_2) | instskip(NEXT) | instid1(VALU_DEP_1)
	v_fma_f64 v[172:173], v[174:175], v[44:45], v[172:173]
	v_add_f64 v[26:27], v[26:27], -v[172:173]
	ds_load_2addr_b64 v[172:175], v182 offset0:74 offset1:75
	s_waitcnt lgkmcnt(0)
	v_mul_f64 v[46:47], v[174:175], v[180:181]
	s_delay_alu instid0(VALU_DEP_1) | instskip(SKIP_1) | instid1(VALU_DEP_2)
	v_fma_f64 v[46:47], v[172:173], v[44:45], -v[46:47]
	v_mul_f64 v[172:173], v[172:173], v[180:181]
	v_add_f64 v[20:21], v[20:21], -v[46:47]
	s_delay_alu instid0(VALU_DEP_2) | instskip(NEXT) | instid1(VALU_DEP_1)
	v_fma_f64 v[172:173], v[174:175], v[44:45], v[172:173]
	v_add_f64 v[22:23], v[22:23], -v[172:173]
	ds_load_2addr_b64 v[172:175], v182 offset0:76 offset1:77
	s_waitcnt lgkmcnt(0)
	v_mul_f64 v[46:47], v[174:175], v[180:181]
	s_delay_alu instid0(VALU_DEP_1) | instskip(SKIP_1) | instid1(VALU_DEP_2)
	v_fma_f64 v[46:47], v[172:173], v[44:45], -v[46:47]
	v_mul_f64 v[172:173], v[172:173], v[180:181]
	v_add_f64 v[16:17], v[16:17], -v[46:47]
	s_delay_alu instid0(VALU_DEP_2) | instskip(NEXT) | instid1(VALU_DEP_1)
	v_fma_f64 v[172:173], v[174:175], v[44:45], v[172:173]
	v_add_f64 v[18:19], v[18:19], -v[172:173]
	ds_load_2addr_b64 v[172:175], v182 offset0:78 offset1:79
	s_waitcnt lgkmcnt(0)
	v_mul_f64 v[46:47], v[174:175], v[180:181]
	s_delay_alu instid0(VALU_DEP_1) | instskip(SKIP_1) | instid1(VALU_DEP_2)
	v_fma_f64 v[46:47], v[172:173], v[44:45], -v[46:47]
	v_mul_f64 v[172:173], v[172:173], v[180:181]
	v_add_f64 v[12:13], v[12:13], -v[46:47]
	s_delay_alu instid0(VALU_DEP_2) | instskip(NEXT) | instid1(VALU_DEP_1)
	v_fma_f64 v[172:173], v[174:175], v[44:45], v[172:173]
	v_add_f64 v[14:15], v[14:15], -v[172:173]
	ds_load_2addr_b64 v[172:175], v182 offset0:80 offset1:81
	s_waitcnt lgkmcnt(0)
	v_mul_f64 v[46:47], v[174:175], v[180:181]
	s_delay_alu instid0(VALU_DEP_1) | instskip(SKIP_1) | instid1(VALU_DEP_2)
	v_fma_f64 v[46:47], v[172:173], v[44:45], -v[46:47]
	v_mul_f64 v[172:173], v[172:173], v[180:181]
	v_add_f64 v[8:9], v[8:9], -v[46:47]
	s_delay_alu instid0(VALU_DEP_2) | instskip(NEXT) | instid1(VALU_DEP_1)
	v_fma_f64 v[172:173], v[174:175], v[44:45], v[172:173]
	v_add_f64 v[10:11], v[10:11], -v[172:173]
	ds_load_2addr_b64 v[172:175], v182 offset0:82 offset1:83
	s_waitcnt lgkmcnt(0)
	v_mul_f64 v[46:47], v[174:175], v[180:181]
	s_delay_alu instid0(VALU_DEP_1) | instskip(SKIP_1) | instid1(VALU_DEP_2)
	v_fma_f64 v[46:47], v[172:173], v[44:45], -v[46:47]
	v_mul_f64 v[172:173], v[172:173], v[180:181]
	v_add_f64 v[4:5], v[4:5], -v[46:47]
	s_delay_alu instid0(VALU_DEP_2) | instskip(NEXT) | instid1(VALU_DEP_1)
	v_fma_f64 v[172:173], v[174:175], v[44:45], v[172:173]
	v_add_f64 v[6:7], v[6:7], -v[172:173]
	ds_load_2addr_b64 v[172:175], v182 offset0:84 offset1:85
	s_waitcnt lgkmcnt(0)
	v_mul_f64 v[46:47], v[174:175], v[180:181]
	s_delay_alu instid0(VALU_DEP_1) | instskip(SKIP_1) | instid1(VALU_DEP_2)
	v_fma_f64 v[46:47], v[172:173], v[44:45], -v[46:47]
	v_mul_f64 v[172:173], v[172:173], v[180:181]
	v_add_f64 v[0:1], v[0:1], -v[46:47]
	s_delay_alu instid0(VALU_DEP_2) | instskip(SKIP_1) | instid1(VALU_DEP_2)
	v_fma_f64 v[172:173], v[174:175], v[44:45], v[172:173]
	v_dual_mov_b32 v46, v180 :: v_dual_mov_b32 v47, v181
	v_add_f64 v[2:3], v[2:3], -v[172:173]
.LBB84_671:
	s_or_b32 exec_lo, exec_lo, s2
	v_lshl_add_u32 v172, v188, 4, v182
	s_barrier
	buffer_gl0_inv
	v_mov_b32_e32 v180, 32
	ds_store_2addr_b64 v172, v[40:41], v[42:43] offset1:1
	s_waitcnt lgkmcnt(0)
	s_barrier
	buffer_gl0_inv
	ds_load_2addr_b64 v[172:175], v182 offset0:64 offset1:65
	s_cmp_lt_i32 s5, 34
	s_cbranch_scc1 .LBB84_674
; %bb.672:
	v_add3_u32 v181, v186, 0, 0x210
	v_mov_b32_e32 v180, 32
	s_mov_b32 s6, 33
	s_set_inst_prefetch_distance 0x1
	.p2align	6
.LBB84_673:                             ; =>This Inner Loop Header: Depth=1
	ds_load_2addr_b64 v[189:192], v181 offset1:1
	s_waitcnt lgkmcnt(1)
	v_cmp_gt_f64_e32 vcc_lo, 0, v[172:173]
	v_xor_b32_e32 v193, 0x80000000, v173
	v_cmp_gt_f64_e64 s2, 0, v[174:175]
	v_xor_b32_e32 v195, 0x80000000, v175
	v_add_nc_u32_e32 v181, 16, v181
	s_waitcnt lgkmcnt(0)
	v_cmp_gt_f64_e64 s3, 0, v[189:190]
	v_mov_b32_e32 v197, v189
	v_dual_mov_b32 v199, v191 :: v_dual_cndmask_b32 v194, v173, v193
	v_xor_b32_e32 v193, 0x80000000, v190
	v_cndmask_b32_e64 v196, v175, v195, s2
	v_xor_b32_e32 v195, 0x80000000, v192
	s_delay_alu instid0(VALU_DEP_3) | instskip(SKIP_2) | instid1(VALU_DEP_2)
	v_cndmask_b32_e64 v198, v190, v193, s3
	v_cmp_gt_f64_e64 s3, 0, v[191:192]
	v_cndmask_b32_e32 v193, v172, v172, vcc_lo
	v_cndmask_b32_e64 v200, v192, v195, s3
	v_cndmask_b32_e64 v195, v174, v174, s2
	s_delay_alu instid0(VALU_DEP_2) | instskip(NEXT) | instid1(VALU_DEP_2)
	v_add_f64 v[197:198], v[197:198], v[199:200]
	v_add_f64 v[193:194], v[193:194], v[195:196]
	s_delay_alu instid0(VALU_DEP_1) | instskip(SKIP_4) | instid1(SALU_CYCLE_1)
	v_cmp_lt_f64_e32 vcc_lo, v[193:194], v[197:198]
	v_dual_cndmask_b32 v174, v174, v191 :: v_dual_cndmask_b32 v173, v173, v190
	v_dual_cndmask_b32 v172, v172, v189 :: v_dual_cndmask_b32 v175, v175, v192
	v_cndmask_b32_e64 v180, v180, s6, vcc_lo
	s_add_i32 s6, s6, 1
	s_cmp_lg_u32 s5, s6
	s_cbranch_scc1 .LBB84_673
.LBB84_674:
	s_set_inst_prefetch_distance 0x2
	s_waitcnt lgkmcnt(0)
	v_cmp_eq_f64_e32 vcc_lo, 0, v[172:173]
	v_cmp_eq_f64_e64 s2, 0, v[174:175]
	s_delay_alu instid0(VALU_DEP_1) | instskip(NEXT) | instid1(SALU_CYCLE_1)
	s_and_b32 s2, vcc_lo, s2
	s_and_saveexec_b32 s3, s2
	s_delay_alu instid0(SALU_CYCLE_1)
	s_xor_b32 s2, exec_lo, s3
; %bb.675:
	v_cmp_ne_u32_e32 vcc_lo, 0, v185
	v_cndmask_b32_e32 v185, 33, v185, vcc_lo
; %bb.676:
	s_and_not1_saveexec_b32 s3, s2
	s_cbranch_execz .LBB84_682
; %bb.677:
	v_cmp_gt_f64_e32 vcc_lo, 0, v[172:173]
	v_cmp_gt_f64_e64 s2, 0, v[174:175]
	v_xor_b32_e32 v181, 0x80000000, v173
	v_xor_b32_e32 v189, 0x80000000, v175
	s_delay_alu instid0(VALU_DEP_2) | instskip(NEXT) | instid1(VALU_DEP_2)
	v_cndmask_b32_e32 v190, v173, v181, vcc_lo
	v_cndmask_b32_e64 v192, v175, v189, s2
	v_cndmask_b32_e32 v189, v172, v172, vcc_lo
	v_cndmask_b32_e64 v191, v174, v174, s2
	s_mov_b32 s2, exec_lo
	s_delay_alu instid0(VALU_DEP_1)
	v_cmpx_ngt_f64_e32 v[189:190], v[191:192]
	s_xor_b32 s2, exec_lo, s2
	s_cbranch_execz .LBB84_679
; %bb.678:
	v_div_scale_f64 v[189:190], null, v[174:175], v[174:175], v[172:173]
	v_div_scale_f64 v[195:196], vcc_lo, v[172:173], v[174:175], v[172:173]
	s_delay_alu instid0(VALU_DEP_2) | instskip(SKIP_2) | instid1(VALU_DEP_1)
	v_rcp_f64_e32 v[191:192], v[189:190]
	s_waitcnt_depctr 0xfff
	v_fma_f64 v[193:194], -v[189:190], v[191:192], 1.0
	v_fma_f64 v[191:192], v[191:192], v[193:194], v[191:192]
	s_delay_alu instid0(VALU_DEP_1) | instskip(NEXT) | instid1(VALU_DEP_1)
	v_fma_f64 v[193:194], -v[189:190], v[191:192], 1.0
	v_fma_f64 v[191:192], v[191:192], v[193:194], v[191:192]
	s_delay_alu instid0(VALU_DEP_1) | instskip(NEXT) | instid1(VALU_DEP_1)
	v_mul_f64 v[193:194], v[195:196], v[191:192]
	v_fma_f64 v[189:190], -v[189:190], v[193:194], v[195:196]
	s_delay_alu instid0(VALU_DEP_1) | instskip(NEXT) | instid1(VALU_DEP_1)
	v_div_fmas_f64 v[189:190], v[189:190], v[191:192], v[193:194]
	v_div_fixup_f64 v[189:190], v[189:190], v[174:175], v[172:173]
	s_delay_alu instid0(VALU_DEP_1) | instskip(NEXT) | instid1(VALU_DEP_1)
	v_fma_f64 v[172:173], v[172:173], v[189:190], v[174:175]
	v_div_scale_f64 v[174:175], null, v[172:173], v[172:173], 1.0
	s_delay_alu instid0(VALU_DEP_1) | instskip(SKIP_2) | instid1(VALU_DEP_1)
	v_rcp_f64_e32 v[191:192], v[174:175]
	s_waitcnt_depctr 0xfff
	v_fma_f64 v[193:194], -v[174:175], v[191:192], 1.0
	v_fma_f64 v[191:192], v[191:192], v[193:194], v[191:192]
	s_delay_alu instid0(VALU_DEP_1) | instskip(NEXT) | instid1(VALU_DEP_1)
	v_fma_f64 v[193:194], -v[174:175], v[191:192], 1.0
	v_fma_f64 v[191:192], v[191:192], v[193:194], v[191:192]
	v_div_scale_f64 v[193:194], vcc_lo, 1.0, v[172:173], 1.0
	s_delay_alu instid0(VALU_DEP_1) | instskip(NEXT) | instid1(VALU_DEP_1)
	v_mul_f64 v[195:196], v[193:194], v[191:192]
	v_fma_f64 v[174:175], -v[174:175], v[195:196], v[193:194]
	s_delay_alu instid0(VALU_DEP_1) | instskip(NEXT) | instid1(VALU_DEP_1)
	v_div_fmas_f64 v[174:175], v[174:175], v[191:192], v[195:196]
	v_div_fixup_f64 v[174:175], v[174:175], v[172:173], 1.0
	s_delay_alu instid0(VALU_DEP_1)
	v_mul_f64 v[172:173], v[189:190], v[174:175]
	v_xor_b32_e32 v175, 0x80000000, v175
.LBB84_679:
	s_and_not1_saveexec_b32 s2, s2
	s_cbranch_execz .LBB84_681
; %bb.680:
	s_delay_alu instid0(VALU_DEP_1) | instskip(SKIP_1) | instid1(VALU_DEP_2)
	v_div_scale_f64 v[189:190], null, v[172:173], v[172:173], v[174:175]
	v_div_scale_f64 v[195:196], vcc_lo, v[174:175], v[172:173], v[174:175]
	v_rcp_f64_e32 v[191:192], v[189:190]
	s_waitcnt_depctr 0xfff
	v_fma_f64 v[193:194], -v[189:190], v[191:192], 1.0
	s_delay_alu instid0(VALU_DEP_1) | instskip(NEXT) | instid1(VALU_DEP_1)
	v_fma_f64 v[191:192], v[191:192], v[193:194], v[191:192]
	v_fma_f64 v[193:194], -v[189:190], v[191:192], 1.0
	s_delay_alu instid0(VALU_DEP_1) | instskip(NEXT) | instid1(VALU_DEP_1)
	v_fma_f64 v[191:192], v[191:192], v[193:194], v[191:192]
	v_mul_f64 v[193:194], v[195:196], v[191:192]
	s_delay_alu instid0(VALU_DEP_1) | instskip(NEXT) | instid1(VALU_DEP_1)
	v_fma_f64 v[189:190], -v[189:190], v[193:194], v[195:196]
	v_div_fmas_f64 v[189:190], v[189:190], v[191:192], v[193:194]
	s_delay_alu instid0(VALU_DEP_1) | instskip(NEXT) | instid1(VALU_DEP_1)
	v_div_fixup_f64 v[189:190], v[189:190], v[172:173], v[174:175]
	v_fma_f64 v[172:173], v[174:175], v[189:190], v[172:173]
	s_delay_alu instid0(VALU_DEP_1) | instskip(NEXT) | instid1(VALU_DEP_1)
	v_div_scale_f64 v[174:175], null, v[172:173], v[172:173], 1.0
	v_rcp_f64_e32 v[191:192], v[174:175]
	s_waitcnt_depctr 0xfff
	v_fma_f64 v[193:194], -v[174:175], v[191:192], 1.0
	s_delay_alu instid0(VALU_DEP_1) | instskip(NEXT) | instid1(VALU_DEP_1)
	v_fma_f64 v[191:192], v[191:192], v[193:194], v[191:192]
	v_fma_f64 v[193:194], -v[174:175], v[191:192], 1.0
	s_delay_alu instid0(VALU_DEP_1) | instskip(SKIP_1) | instid1(VALU_DEP_1)
	v_fma_f64 v[191:192], v[191:192], v[193:194], v[191:192]
	v_div_scale_f64 v[193:194], vcc_lo, 1.0, v[172:173], 1.0
	v_mul_f64 v[195:196], v[193:194], v[191:192]
	s_delay_alu instid0(VALU_DEP_1) | instskip(NEXT) | instid1(VALU_DEP_1)
	v_fma_f64 v[174:175], -v[174:175], v[195:196], v[193:194]
	v_div_fmas_f64 v[174:175], v[174:175], v[191:192], v[195:196]
	s_delay_alu instid0(VALU_DEP_1) | instskip(NEXT) | instid1(VALU_DEP_1)
	v_div_fixup_f64 v[172:173], v[174:175], v[172:173], 1.0
	v_mul_f64 v[174:175], v[189:190], -v[172:173]
.LBB84_681:
	s_or_b32 exec_lo, exec_lo, s2
.LBB84_682:
	s_delay_alu instid0(SALU_CYCLE_1) | instskip(NEXT) | instid1(SALU_CYCLE_1)
	s_or_b32 exec_lo, exec_lo, s3
	s_mov_b32 s2, exec_lo
	v_cmpx_ne_u32_e64 v188, v180
	s_xor_b32 s2, exec_lo, s2
	s_cbranch_execz .LBB84_688
; %bb.683:
	s_mov_b32 s3, exec_lo
	v_cmpx_eq_u32_e32 32, v188
	s_cbranch_execz .LBB84_687
; %bb.684:
	v_cmp_ne_u32_e32 vcc_lo, 32, v180
	s_xor_b32 s6, s4, -1
	s_delay_alu instid0(SALU_CYCLE_1) | instskip(NEXT) | instid1(SALU_CYCLE_1)
	s_and_b32 s7, s6, vcc_lo
	s_and_saveexec_b32 s6, s7
	s_cbranch_execz .LBB84_686
; %bb.685:
	v_ashrrev_i32_e32 v181, 31, v180
	s_delay_alu instid0(VALU_DEP_1) | instskip(NEXT) | instid1(VALU_DEP_1)
	v_lshlrev_b64 v[187:188], 2, v[180:181]
	v_add_co_u32 v187, vcc_lo, v178, v187
	s_delay_alu instid0(VALU_DEP_2)
	v_add_co_ci_u32_e32 v188, vcc_lo, v179, v188, vcc_lo
	s_clause 0x1
	flat_load_b32 v181, v[187:188]
	flat_load_b32 v189, v[178:179] offset:128
	s_waitcnt vmcnt(1) lgkmcnt(1)
	flat_store_b32 v[178:179], v181 offset:128
	s_waitcnt vmcnt(0) lgkmcnt(1)
	flat_store_b32 v[187:188], v189
.LBB84_686:
	s_or_b32 exec_lo, exec_lo, s6
	v_mov_b32_e32 v188, v180
	v_mov_b32_e32 v187, v180
.LBB84_687:
	s_or_b32 exec_lo, exec_lo, s3
.LBB84_688:
	s_and_not1_saveexec_b32 s2, s2
	s_cbranch_execz .LBB84_690
; %bb.689:
	v_mov_b32_e32 v188, 32
	ds_store_2addr_b64 v182, v[36:37], v[38:39] offset0:66 offset1:67
	ds_store_2addr_b64 v182, v[32:33], v[34:35] offset0:68 offset1:69
	;; [unrolled: 1-line block ×10, first 2 shown]
.LBB84_690:
	s_or_b32 exec_lo, exec_lo, s2
	s_delay_alu instid0(SALU_CYCLE_1)
	s_mov_b32 s2, exec_lo
	s_waitcnt lgkmcnt(0)
	s_waitcnt_vscnt null, 0x0
	s_barrier
	buffer_gl0_inv
	v_cmpx_lt_i32_e32 32, v188
	s_cbranch_execz .LBB84_692
; %bb.691:
	v_mul_f64 v[180:181], v[172:173], v[42:43]
	v_mul_f64 v[42:43], v[174:175], v[42:43]
	s_delay_alu instid0(VALU_DEP_2) | instskip(NEXT) | instid1(VALU_DEP_2)
	v_fma_f64 v[180:181], v[174:175], v[40:41], v[180:181]
	v_fma_f64 v[40:41], v[172:173], v[40:41], -v[42:43]
	ds_load_2addr_b64 v[172:175], v182 offset0:66 offset1:67
	s_waitcnt lgkmcnt(0)
	v_mul_f64 v[42:43], v[174:175], v[180:181]
	s_delay_alu instid0(VALU_DEP_1) | instskip(SKIP_1) | instid1(VALU_DEP_2)
	v_fma_f64 v[42:43], v[172:173], v[40:41], -v[42:43]
	v_mul_f64 v[172:173], v[172:173], v[180:181]
	v_add_f64 v[36:37], v[36:37], -v[42:43]
	s_delay_alu instid0(VALU_DEP_2) | instskip(NEXT) | instid1(VALU_DEP_1)
	v_fma_f64 v[172:173], v[174:175], v[40:41], v[172:173]
	v_add_f64 v[38:39], v[38:39], -v[172:173]
	ds_load_2addr_b64 v[172:175], v182 offset0:68 offset1:69
	s_waitcnt lgkmcnt(0)
	v_mul_f64 v[42:43], v[174:175], v[180:181]
	s_delay_alu instid0(VALU_DEP_1) | instskip(SKIP_1) | instid1(VALU_DEP_2)
	v_fma_f64 v[42:43], v[172:173], v[40:41], -v[42:43]
	v_mul_f64 v[172:173], v[172:173], v[180:181]
	v_add_f64 v[32:33], v[32:33], -v[42:43]
	s_delay_alu instid0(VALU_DEP_2) | instskip(NEXT) | instid1(VALU_DEP_1)
	v_fma_f64 v[172:173], v[174:175], v[40:41], v[172:173]
	v_add_f64 v[34:35], v[34:35], -v[172:173]
	;; [unrolled: 10-line block ×9, first 2 shown]
	ds_load_2addr_b64 v[172:175], v182 offset0:84 offset1:85
	s_waitcnt lgkmcnt(0)
	v_mul_f64 v[42:43], v[174:175], v[180:181]
	s_delay_alu instid0(VALU_DEP_1) | instskip(SKIP_1) | instid1(VALU_DEP_2)
	v_fma_f64 v[42:43], v[172:173], v[40:41], -v[42:43]
	v_mul_f64 v[172:173], v[172:173], v[180:181]
	v_add_f64 v[0:1], v[0:1], -v[42:43]
	s_delay_alu instid0(VALU_DEP_2) | instskip(SKIP_1) | instid1(VALU_DEP_2)
	v_fma_f64 v[172:173], v[174:175], v[40:41], v[172:173]
	v_dual_mov_b32 v42, v180 :: v_dual_mov_b32 v43, v181
	v_add_f64 v[2:3], v[2:3], -v[172:173]
.LBB84_692:
	s_or_b32 exec_lo, exec_lo, s2
	v_lshl_add_u32 v172, v188, 4, v182
	s_barrier
	buffer_gl0_inv
	v_mov_b32_e32 v180, 33
	ds_store_2addr_b64 v172, v[36:37], v[38:39] offset1:1
	s_waitcnt lgkmcnt(0)
	s_barrier
	buffer_gl0_inv
	ds_load_2addr_b64 v[172:175], v182 offset0:66 offset1:67
	s_cmp_lt_i32 s5, 35
	s_cbranch_scc1 .LBB84_695
; %bb.693:
	v_add3_u32 v181, v186, 0, 0x220
	v_mov_b32_e32 v180, 33
	s_mov_b32 s6, 34
	s_set_inst_prefetch_distance 0x1
	.p2align	6
.LBB84_694:                             ; =>This Inner Loop Header: Depth=1
	ds_load_2addr_b64 v[189:192], v181 offset1:1
	s_waitcnt lgkmcnt(1)
	v_cmp_gt_f64_e32 vcc_lo, 0, v[172:173]
	v_xor_b32_e32 v193, 0x80000000, v173
	v_cmp_gt_f64_e64 s2, 0, v[174:175]
	v_xor_b32_e32 v195, 0x80000000, v175
	v_add_nc_u32_e32 v181, 16, v181
	s_waitcnt lgkmcnt(0)
	v_cmp_gt_f64_e64 s3, 0, v[189:190]
	v_mov_b32_e32 v197, v189
	v_dual_mov_b32 v199, v191 :: v_dual_cndmask_b32 v194, v173, v193
	v_xor_b32_e32 v193, 0x80000000, v190
	v_cndmask_b32_e64 v196, v175, v195, s2
	v_xor_b32_e32 v195, 0x80000000, v192
	s_delay_alu instid0(VALU_DEP_3) | instskip(SKIP_2) | instid1(VALU_DEP_2)
	v_cndmask_b32_e64 v198, v190, v193, s3
	v_cmp_gt_f64_e64 s3, 0, v[191:192]
	v_cndmask_b32_e32 v193, v172, v172, vcc_lo
	v_cndmask_b32_e64 v200, v192, v195, s3
	v_cndmask_b32_e64 v195, v174, v174, s2
	s_delay_alu instid0(VALU_DEP_2) | instskip(NEXT) | instid1(VALU_DEP_2)
	v_add_f64 v[197:198], v[197:198], v[199:200]
	v_add_f64 v[193:194], v[193:194], v[195:196]
	s_delay_alu instid0(VALU_DEP_1) | instskip(SKIP_4) | instid1(SALU_CYCLE_1)
	v_cmp_lt_f64_e32 vcc_lo, v[193:194], v[197:198]
	v_dual_cndmask_b32 v174, v174, v191 :: v_dual_cndmask_b32 v173, v173, v190
	v_dual_cndmask_b32 v172, v172, v189 :: v_dual_cndmask_b32 v175, v175, v192
	v_cndmask_b32_e64 v180, v180, s6, vcc_lo
	s_add_i32 s6, s6, 1
	s_cmp_lg_u32 s5, s6
	s_cbranch_scc1 .LBB84_694
.LBB84_695:
	s_set_inst_prefetch_distance 0x2
	s_waitcnt lgkmcnt(0)
	v_cmp_eq_f64_e32 vcc_lo, 0, v[172:173]
	v_cmp_eq_f64_e64 s2, 0, v[174:175]
	s_delay_alu instid0(VALU_DEP_1) | instskip(NEXT) | instid1(SALU_CYCLE_1)
	s_and_b32 s2, vcc_lo, s2
	s_and_saveexec_b32 s3, s2
	s_delay_alu instid0(SALU_CYCLE_1)
	s_xor_b32 s2, exec_lo, s3
; %bb.696:
	v_cmp_ne_u32_e32 vcc_lo, 0, v185
	v_cndmask_b32_e32 v185, 34, v185, vcc_lo
; %bb.697:
	s_and_not1_saveexec_b32 s3, s2
	s_cbranch_execz .LBB84_703
; %bb.698:
	v_cmp_gt_f64_e32 vcc_lo, 0, v[172:173]
	v_cmp_gt_f64_e64 s2, 0, v[174:175]
	v_xor_b32_e32 v181, 0x80000000, v173
	v_xor_b32_e32 v189, 0x80000000, v175
	s_delay_alu instid0(VALU_DEP_2) | instskip(NEXT) | instid1(VALU_DEP_2)
	v_cndmask_b32_e32 v190, v173, v181, vcc_lo
	v_cndmask_b32_e64 v192, v175, v189, s2
	v_cndmask_b32_e32 v189, v172, v172, vcc_lo
	v_cndmask_b32_e64 v191, v174, v174, s2
	s_mov_b32 s2, exec_lo
	s_delay_alu instid0(VALU_DEP_1)
	v_cmpx_ngt_f64_e32 v[189:190], v[191:192]
	s_xor_b32 s2, exec_lo, s2
	s_cbranch_execz .LBB84_700
; %bb.699:
	v_div_scale_f64 v[189:190], null, v[174:175], v[174:175], v[172:173]
	v_div_scale_f64 v[195:196], vcc_lo, v[172:173], v[174:175], v[172:173]
	s_delay_alu instid0(VALU_DEP_2) | instskip(SKIP_2) | instid1(VALU_DEP_1)
	v_rcp_f64_e32 v[191:192], v[189:190]
	s_waitcnt_depctr 0xfff
	v_fma_f64 v[193:194], -v[189:190], v[191:192], 1.0
	v_fma_f64 v[191:192], v[191:192], v[193:194], v[191:192]
	s_delay_alu instid0(VALU_DEP_1) | instskip(NEXT) | instid1(VALU_DEP_1)
	v_fma_f64 v[193:194], -v[189:190], v[191:192], 1.0
	v_fma_f64 v[191:192], v[191:192], v[193:194], v[191:192]
	s_delay_alu instid0(VALU_DEP_1) | instskip(NEXT) | instid1(VALU_DEP_1)
	v_mul_f64 v[193:194], v[195:196], v[191:192]
	v_fma_f64 v[189:190], -v[189:190], v[193:194], v[195:196]
	s_delay_alu instid0(VALU_DEP_1) | instskip(NEXT) | instid1(VALU_DEP_1)
	v_div_fmas_f64 v[189:190], v[189:190], v[191:192], v[193:194]
	v_div_fixup_f64 v[189:190], v[189:190], v[174:175], v[172:173]
	s_delay_alu instid0(VALU_DEP_1) | instskip(NEXT) | instid1(VALU_DEP_1)
	v_fma_f64 v[172:173], v[172:173], v[189:190], v[174:175]
	v_div_scale_f64 v[174:175], null, v[172:173], v[172:173], 1.0
	s_delay_alu instid0(VALU_DEP_1) | instskip(SKIP_2) | instid1(VALU_DEP_1)
	v_rcp_f64_e32 v[191:192], v[174:175]
	s_waitcnt_depctr 0xfff
	v_fma_f64 v[193:194], -v[174:175], v[191:192], 1.0
	v_fma_f64 v[191:192], v[191:192], v[193:194], v[191:192]
	s_delay_alu instid0(VALU_DEP_1) | instskip(NEXT) | instid1(VALU_DEP_1)
	v_fma_f64 v[193:194], -v[174:175], v[191:192], 1.0
	v_fma_f64 v[191:192], v[191:192], v[193:194], v[191:192]
	v_div_scale_f64 v[193:194], vcc_lo, 1.0, v[172:173], 1.0
	s_delay_alu instid0(VALU_DEP_1) | instskip(NEXT) | instid1(VALU_DEP_1)
	v_mul_f64 v[195:196], v[193:194], v[191:192]
	v_fma_f64 v[174:175], -v[174:175], v[195:196], v[193:194]
	s_delay_alu instid0(VALU_DEP_1) | instskip(NEXT) | instid1(VALU_DEP_1)
	v_div_fmas_f64 v[174:175], v[174:175], v[191:192], v[195:196]
	v_div_fixup_f64 v[174:175], v[174:175], v[172:173], 1.0
	s_delay_alu instid0(VALU_DEP_1)
	v_mul_f64 v[172:173], v[189:190], v[174:175]
	v_xor_b32_e32 v175, 0x80000000, v175
.LBB84_700:
	s_and_not1_saveexec_b32 s2, s2
	s_cbranch_execz .LBB84_702
; %bb.701:
	s_delay_alu instid0(VALU_DEP_1) | instskip(SKIP_1) | instid1(VALU_DEP_2)
	v_div_scale_f64 v[189:190], null, v[172:173], v[172:173], v[174:175]
	v_div_scale_f64 v[195:196], vcc_lo, v[174:175], v[172:173], v[174:175]
	v_rcp_f64_e32 v[191:192], v[189:190]
	s_waitcnt_depctr 0xfff
	v_fma_f64 v[193:194], -v[189:190], v[191:192], 1.0
	s_delay_alu instid0(VALU_DEP_1) | instskip(NEXT) | instid1(VALU_DEP_1)
	v_fma_f64 v[191:192], v[191:192], v[193:194], v[191:192]
	v_fma_f64 v[193:194], -v[189:190], v[191:192], 1.0
	s_delay_alu instid0(VALU_DEP_1) | instskip(NEXT) | instid1(VALU_DEP_1)
	v_fma_f64 v[191:192], v[191:192], v[193:194], v[191:192]
	v_mul_f64 v[193:194], v[195:196], v[191:192]
	s_delay_alu instid0(VALU_DEP_1) | instskip(NEXT) | instid1(VALU_DEP_1)
	v_fma_f64 v[189:190], -v[189:190], v[193:194], v[195:196]
	v_div_fmas_f64 v[189:190], v[189:190], v[191:192], v[193:194]
	s_delay_alu instid0(VALU_DEP_1) | instskip(NEXT) | instid1(VALU_DEP_1)
	v_div_fixup_f64 v[189:190], v[189:190], v[172:173], v[174:175]
	v_fma_f64 v[172:173], v[174:175], v[189:190], v[172:173]
	s_delay_alu instid0(VALU_DEP_1) | instskip(NEXT) | instid1(VALU_DEP_1)
	v_div_scale_f64 v[174:175], null, v[172:173], v[172:173], 1.0
	v_rcp_f64_e32 v[191:192], v[174:175]
	s_waitcnt_depctr 0xfff
	v_fma_f64 v[193:194], -v[174:175], v[191:192], 1.0
	s_delay_alu instid0(VALU_DEP_1) | instskip(NEXT) | instid1(VALU_DEP_1)
	v_fma_f64 v[191:192], v[191:192], v[193:194], v[191:192]
	v_fma_f64 v[193:194], -v[174:175], v[191:192], 1.0
	s_delay_alu instid0(VALU_DEP_1) | instskip(SKIP_1) | instid1(VALU_DEP_1)
	v_fma_f64 v[191:192], v[191:192], v[193:194], v[191:192]
	v_div_scale_f64 v[193:194], vcc_lo, 1.0, v[172:173], 1.0
	v_mul_f64 v[195:196], v[193:194], v[191:192]
	s_delay_alu instid0(VALU_DEP_1) | instskip(NEXT) | instid1(VALU_DEP_1)
	v_fma_f64 v[174:175], -v[174:175], v[195:196], v[193:194]
	v_div_fmas_f64 v[174:175], v[174:175], v[191:192], v[195:196]
	s_delay_alu instid0(VALU_DEP_1) | instskip(NEXT) | instid1(VALU_DEP_1)
	v_div_fixup_f64 v[172:173], v[174:175], v[172:173], 1.0
	v_mul_f64 v[174:175], v[189:190], -v[172:173]
.LBB84_702:
	s_or_b32 exec_lo, exec_lo, s2
.LBB84_703:
	s_delay_alu instid0(SALU_CYCLE_1) | instskip(NEXT) | instid1(SALU_CYCLE_1)
	s_or_b32 exec_lo, exec_lo, s3
	s_mov_b32 s2, exec_lo
	v_cmpx_ne_u32_e64 v188, v180
	s_xor_b32 s2, exec_lo, s2
	s_cbranch_execz .LBB84_709
; %bb.704:
	s_mov_b32 s3, exec_lo
	v_cmpx_eq_u32_e32 33, v188
	s_cbranch_execz .LBB84_708
; %bb.705:
	v_cmp_ne_u32_e32 vcc_lo, 33, v180
	s_xor_b32 s6, s4, -1
	s_delay_alu instid0(SALU_CYCLE_1) | instskip(NEXT) | instid1(SALU_CYCLE_1)
	s_and_b32 s7, s6, vcc_lo
	s_and_saveexec_b32 s6, s7
	s_cbranch_execz .LBB84_707
; %bb.706:
	v_ashrrev_i32_e32 v181, 31, v180
	s_delay_alu instid0(VALU_DEP_1) | instskip(NEXT) | instid1(VALU_DEP_1)
	v_lshlrev_b64 v[187:188], 2, v[180:181]
	v_add_co_u32 v187, vcc_lo, v178, v187
	s_delay_alu instid0(VALU_DEP_2)
	v_add_co_ci_u32_e32 v188, vcc_lo, v179, v188, vcc_lo
	s_clause 0x1
	flat_load_b32 v181, v[187:188]
	flat_load_b32 v189, v[178:179] offset:132
	s_waitcnt vmcnt(1) lgkmcnt(1)
	flat_store_b32 v[178:179], v181 offset:132
	s_waitcnt vmcnt(0) lgkmcnt(1)
	flat_store_b32 v[187:188], v189
.LBB84_707:
	s_or_b32 exec_lo, exec_lo, s6
	v_mov_b32_e32 v188, v180
	v_mov_b32_e32 v187, v180
.LBB84_708:
	s_or_b32 exec_lo, exec_lo, s3
.LBB84_709:
	s_and_not1_saveexec_b32 s2, s2
	s_cbranch_execz .LBB84_711
; %bb.710:
	v_mov_b32_e32 v188, 33
	ds_store_2addr_b64 v182, v[32:33], v[34:35] offset0:68 offset1:69
	ds_store_2addr_b64 v182, v[28:29], v[30:31] offset0:70 offset1:71
	;; [unrolled: 1-line block ×9, first 2 shown]
.LBB84_711:
	s_or_b32 exec_lo, exec_lo, s2
	s_delay_alu instid0(SALU_CYCLE_1)
	s_mov_b32 s2, exec_lo
	s_waitcnt lgkmcnt(0)
	s_waitcnt_vscnt null, 0x0
	s_barrier
	buffer_gl0_inv
	v_cmpx_lt_i32_e32 33, v188
	s_cbranch_execz .LBB84_713
; %bb.712:
	v_mul_f64 v[180:181], v[172:173], v[38:39]
	v_mul_f64 v[38:39], v[174:175], v[38:39]
	s_delay_alu instid0(VALU_DEP_2) | instskip(NEXT) | instid1(VALU_DEP_2)
	v_fma_f64 v[180:181], v[174:175], v[36:37], v[180:181]
	v_fma_f64 v[36:37], v[172:173], v[36:37], -v[38:39]
	ds_load_2addr_b64 v[172:175], v182 offset0:68 offset1:69
	s_waitcnt lgkmcnt(0)
	v_mul_f64 v[38:39], v[174:175], v[180:181]
	s_delay_alu instid0(VALU_DEP_1) | instskip(SKIP_1) | instid1(VALU_DEP_2)
	v_fma_f64 v[38:39], v[172:173], v[36:37], -v[38:39]
	v_mul_f64 v[172:173], v[172:173], v[180:181]
	v_add_f64 v[32:33], v[32:33], -v[38:39]
	s_delay_alu instid0(VALU_DEP_2) | instskip(NEXT) | instid1(VALU_DEP_1)
	v_fma_f64 v[172:173], v[174:175], v[36:37], v[172:173]
	v_add_f64 v[34:35], v[34:35], -v[172:173]
	ds_load_2addr_b64 v[172:175], v182 offset0:70 offset1:71
	s_waitcnt lgkmcnt(0)
	v_mul_f64 v[38:39], v[174:175], v[180:181]
	s_delay_alu instid0(VALU_DEP_1) | instskip(SKIP_1) | instid1(VALU_DEP_2)
	v_fma_f64 v[38:39], v[172:173], v[36:37], -v[38:39]
	v_mul_f64 v[172:173], v[172:173], v[180:181]
	v_add_f64 v[28:29], v[28:29], -v[38:39]
	s_delay_alu instid0(VALU_DEP_2) | instskip(NEXT) | instid1(VALU_DEP_1)
	v_fma_f64 v[172:173], v[174:175], v[36:37], v[172:173]
	v_add_f64 v[30:31], v[30:31], -v[172:173]
	;; [unrolled: 10-line block ×8, first 2 shown]
	ds_load_2addr_b64 v[172:175], v182 offset0:84 offset1:85
	s_waitcnt lgkmcnt(0)
	v_mul_f64 v[38:39], v[174:175], v[180:181]
	s_delay_alu instid0(VALU_DEP_1) | instskip(SKIP_1) | instid1(VALU_DEP_2)
	v_fma_f64 v[38:39], v[172:173], v[36:37], -v[38:39]
	v_mul_f64 v[172:173], v[172:173], v[180:181]
	v_add_f64 v[0:1], v[0:1], -v[38:39]
	s_delay_alu instid0(VALU_DEP_2) | instskip(SKIP_1) | instid1(VALU_DEP_2)
	v_fma_f64 v[172:173], v[174:175], v[36:37], v[172:173]
	v_dual_mov_b32 v38, v180 :: v_dual_mov_b32 v39, v181
	v_add_f64 v[2:3], v[2:3], -v[172:173]
.LBB84_713:
	s_or_b32 exec_lo, exec_lo, s2
	v_lshl_add_u32 v172, v188, 4, v182
	s_barrier
	buffer_gl0_inv
	v_mov_b32_e32 v180, 34
	ds_store_2addr_b64 v172, v[32:33], v[34:35] offset1:1
	s_waitcnt lgkmcnt(0)
	s_barrier
	buffer_gl0_inv
	ds_load_2addr_b64 v[172:175], v182 offset0:68 offset1:69
	s_cmp_lt_i32 s5, 36
	s_cbranch_scc1 .LBB84_716
; %bb.714:
	v_add3_u32 v181, v186, 0, 0x230
	v_mov_b32_e32 v180, 34
	s_mov_b32 s6, 35
	s_set_inst_prefetch_distance 0x1
	.p2align	6
.LBB84_715:                             ; =>This Inner Loop Header: Depth=1
	ds_load_2addr_b64 v[189:192], v181 offset1:1
	s_waitcnt lgkmcnt(1)
	v_cmp_gt_f64_e32 vcc_lo, 0, v[172:173]
	v_xor_b32_e32 v193, 0x80000000, v173
	v_cmp_gt_f64_e64 s2, 0, v[174:175]
	v_xor_b32_e32 v195, 0x80000000, v175
	v_add_nc_u32_e32 v181, 16, v181
	s_waitcnt lgkmcnt(0)
	v_cmp_gt_f64_e64 s3, 0, v[189:190]
	v_mov_b32_e32 v197, v189
	v_dual_mov_b32 v199, v191 :: v_dual_cndmask_b32 v194, v173, v193
	v_xor_b32_e32 v193, 0x80000000, v190
	v_cndmask_b32_e64 v196, v175, v195, s2
	v_xor_b32_e32 v195, 0x80000000, v192
	s_delay_alu instid0(VALU_DEP_3) | instskip(SKIP_2) | instid1(VALU_DEP_2)
	v_cndmask_b32_e64 v198, v190, v193, s3
	v_cmp_gt_f64_e64 s3, 0, v[191:192]
	v_cndmask_b32_e32 v193, v172, v172, vcc_lo
	v_cndmask_b32_e64 v200, v192, v195, s3
	v_cndmask_b32_e64 v195, v174, v174, s2
	s_delay_alu instid0(VALU_DEP_2) | instskip(NEXT) | instid1(VALU_DEP_2)
	v_add_f64 v[197:198], v[197:198], v[199:200]
	v_add_f64 v[193:194], v[193:194], v[195:196]
	s_delay_alu instid0(VALU_DEP_1) | instskip(SKIP_4) | instid1(SALU_CYCLE_1)
	v_cmp_lt_f64_e32 vcc_lo, v[193:194], v[197:198]
	v_dual_cndmask_b32 v174, v174, v191 :: v_dual_cndmask_b32 v173, v173, v190
	v_dual_cndmask_b32 v172, v172, v189 :: v_dual_cndmask_b32 v175, v175, v192
	v_cndmask_b32_e64 v180, v180, s6, vcc_lo
	s_add_i32 s6, s6, 1
	s_cmp_lg_u32 s5, s6
	s_cbranch_scc1 .LBB84_715
.LBB84_716:
	s_set_inst_prefetch_distance 0x2
	s_waitcnt lgkmcnt(0)
	v_cmp_eq_f64_e32 vcc_lo, 0, v[172:173]
	v_cmp_eq_f64_e64 s2, 0, v[174:175]
	s_delay_alu instid0(VALU_DEP_1) | instskip(NEXT) | instid1(SALU_CYCLE_1)
	s_and_b32 s2, vcc_lo, s2
	s_and_saveexec_b32 s3, s2
	s_delay_alu instid0(SALU_CYCLE_1)
	s_xor_b32 s2, exec_lo, s3
; %bb.717:
	v_cmp_ne_u32_e32 vcc_lo, 0, v185
	v_cndmask_b32_e32 v185, 35, v185, vcc_lo
; %bb.718:
	s_and_not1_saveexec_b32 s3, s2
	s_cbranch_execz .LBB84_724
; %bb.719:
	v_cmp_gt_f64_e32 vcc_lo, 0, v[172:173]
	v_cmp_gt_f64_e64 s2, 0, v[174:175]
	v_xor_b32_e32 v181, 0x80000000, v173
	v_xor_b32_e32 v189, 0x80000000, v175
	s_delay_alu instid0(VALU_DEP_2) | instskip(NEXT) | instid1(VALU_DEP_2)
	v_cndmask_b32_e32 v190, v173, v181, vcc_lo
	v_cndmask_b32_e64 v192, v175, v189, s2
	v_cndmask_b32_e32 v189, v172, v172, vcc_lo
	v_cndmask_b32_e64 v191, v174, v174, s2
	s_mov_b32 s2, exec_lo
	s_delay_alu instid0(VALU_DEP_1)
	v_cmpx_ngt_f64_e32 v[189:190], v[191:192]
	s_xor_b32 s2, exec_lo, s2
	s_cbranch_execz .LBB84_721
; %bb.720:
	v_div_scale_f64 v[189:190], null, v[174:175], v[174:175], v[172:173]
	v_div_scale_f64 v[195:196], vcc_lo, v[172:173], v[174:175], v[172:173]
	s_delay_alu instid0(VALU_DEP_2) | instskip(SKIP_2) | instid1(VALU_DEP_1)
	v_rcp_f64_e32 v[191:192], v[189:190]
	s_waitcnt_depctr 0xfff
	v_fma_f64 v[193:194], -v[189:190], v[191:192], 1.0
	v_fma_f64 v[191:192], v[191:192], v[193:194], v[191:192]
	s_delay_alu instid0(VALU_DEP_1) | instskip(NEXT) | instid1(VALU_DEP_1)
	v_fma_f64 v[193:194], -v[189:190], v[191:192], 1.0
	v_fma_f64 v[191:192], v[191:192], v[193:194], v[191:192]
	s_delay_alu instid0(VALU_DEP_1) | instskip(NEXT) | instid1(VALU_DEP_1)
	v_mul_f64 v[193:194], v[195:196], v[191:192]
	v_fma_f64 v[189:190], -v[189:190], v[193:194], v[195:196]
	s_delay_alu instid0(VALU_DEP_1) | instskip(NEXT) | instid1(VALU_DEP_1)
	v_div_fmas_f64 v[189:190], v[189:190], v[191:192], v[193:194]
	v_div_fixup_f64 v[189:190], v[189:190], v[174:175], v[172:173]
	s_delay_alu instid0(VALU_DEP_1) | instskip(NEXT) | instid1(VALU_DEP_1)
	v_fma_f64 v[172:173], v[172:173], v[189:190], v[174:175]
	v_div_scale_f64 v[174:175], null, v[172:173], v[172:173], 1.0
	s_delay_alu instid0(VALU_DEP_1) | instskip(SKIP_2) | instid1(VALU_DEP_1)
	v_rcp_f64_e32 v[191:192], v[174:175]
	s_waitcnt_depctr 0xfff
	v_fma_f64 v[193:194], -v[174:175], v[191:192], 1.0
	v_fma_f64 v[191:192], v[191:192], v[193:194], v[191:192]
	s_delay_alu instid0(VALU_DEP_1) | instskip(NEXT) | instid1(VALU_DEP_1)
	v_fma_f64 v[193:194], -v[174:175], v[191:192], 1.0
	v_fma_f64 v[191:192], v[191:192], v[193:194], v[191:192]
	v_div_scale_f64 v[193:194], vcc_lo, 1.0, v[172:173], 1.0
	s_delay_alu instid0(VALU_DEP_1) | instskip(NEXT) | instid1(VALU_DEP_1)
	v_mul_f64 v[195:196], v[193:194], v[191:192]
	v_fma_f64 v[174:175], -v[174:175], v[195:196], v[193:194]
	s_delay_alu instid0(VALU_DEP_1) | instskip(NEXT) | instid1(VALU_DEP_1)
	v_div_fmas_f64 v[174:175], v[174:175], v[191:192], v[195:196]
	v_div_fixup_f64 v[174:175], v[174:175], v[172:173], 1.0
	s_delay_alu instid0(VALU_DEP_1)
	v_mul_f64 v[172:173], v[189:190], v[174:175]
	v_xor_b32_e32 v175, 0x80000000, v175
.LBB84_721:
	s_and_not1_saveexec_b32 s2, s2
	s_cbranch_execz .LBB84_723
; %bb.722:
	s_delay_alu instid0(VALU_DEP_1) | instskip(SKIP_1) | instid1(VALU_DEP_2)
	v_div_scale_f64 v[189:190], null, v[172:173], v[172:173], v[174:175]
	v_div_scale_f64 v[195:196], vcc_lo, v[174:175], v[172:173], v[174:175]
	v_rcp_f64_e32 v[191:192], v[189:190]
	s_waitcnt_depctr 0xfff
	v_fma_f64 v[193:194], -v[189:190], v[191:192], 1.0
	s_delay_alu instid0(VALU_DEP_1) | instskip(NEXT) | instid1(VALU_DEP_1)
	v_fma_f64 v[191:192], v[191:192], v[193:194], v[191:192]
	v_fma_f64 v[193:194], -v[189:190], v[191:192], 1.0
	s_delay_alu instid0(VALU_DEP_1) | instskip(NEXT) | instid1(VALU_DEP_1)
	v_fma_f64 v[191:192], v[191:192], v[193:194], v[191:192]
	v_mul_f64 v[193:194], v[195:196], v[191:192]
	s_delay_alu instid0(VALU_DEP_1) | instskip(NEXT) | instid1(VALU_DEP_1)
	v_fma_f64 v[189:190], -v[189:190], v[193:194], v[195:196]
	v_div_fmas_f64 v[189:190], v[189:190], v[191:192], v[193:194]
	s_delay_alu instid0(VALU_DEP_1) | instskip(NEXT) | instid1(VALU_DEP_1)
	v_div_fixup_f64 v[189:190], v[189:190], v[172:173], v[174:175]
	v_fma_f64 v[172:173], v[174:175], v[189:190], v[172:173]
	s_delay_alu instid0(VALU_DEP_1) | instskip(NEXT) | instid1(VALU_DEP_1)
	v_div_scale_f64 v[174:175], null, v[172:173], v[172:173], 1.0
	v_rcp_f64_e32 v[191:192], v[174:175]
	s_waitcnt_depctr 0xfff
	v_fma_f64 v[193:194], -v[174:175], v[191:192], 1.0
	s_delay_alu instid0(VALU_DEP_1) | instskip(NEXT) | instid1(VALU_DEP_1)
	v_fma_f64 v[191:192], v[191:192], v[193:194], v[191:192]
	v_fma_f64 v[193:194], -v[174:175], v[191:192], 1.0
	s_delay_alu instid0(VALU_DEP_1) | instskip(SKIP_1) | instid1(VALU_DEP_1)
	v_fma_f64 v[191:192], v[191:192], v[193:194], v[191:192]
	v_div_scale_f64 v[193:194], vcc_lo, 1.0, v[172:173], 1.0
	v_mul_f64 v[195:196], v[193:194], v[191:192]
	s_delay_alu instid0(VALU_DEP_1) | instskip(NEXT) | instid1(VALU_DEP_1)
	v_fma_f64 v[174:175], -v[174:175], v[195:196], v[193:194]
	v_div_fmas_f64 v[174:175], v[174:175], v[191:192], v[195:196]
	s_delay_alu instid0(VALU_DEP_1) | instskip(NEXT) | instid1(VALU_DEP_1)
	v_div_fixup_f64 v[172:173], v[174:175], v[172:173], 1.0
	v_mul_f64 v[174:175], v[189:190], -v[172:173]
.LBB84_723:
	s_or_b32 exec_lo, exec_lo, s2
.LBB84_724:
	s_delay_alu instid0(SALU_CYCLE_1) | instskip(NEXT) | instid1(SALU_CYCLE_1)
	s_or_b32 exec_lo, exec_lo, s3
	s_mov_b32 s2, exec_lo
	v_cmpx_ne_u32_e64 v188, v180
	s_xor_b32 s2, exec_lo, s2
	s_cbranch_execz .LBB84_730
; %bb.725:
	s_mov_b32 s3, exec_lo
	v_cmpx_eq_u32_e32 34, v188
	s_cbranch_execz .LBB84_729
; %bb.726:
	v_cmp_ne_u32_e32 vcc_lo, 34, v180
	s_xor_b32 s6, s4, -1
	s_delay_alu instid0(SALU_CYCLE_1) | instskip(NEXT) | instid1(SALU_CYCLE_1)
	s_and_b32 s7, s6, vcc_lo
	s_and_saveexec_b32 s6, s7
	s_cbranch_execz .LBB84_728
; %bb.727:
	v_ashrrev_i32_e32 v181, 31, v180
	s_delay_alu instid0(VALU_DEP_1) | instskip(NEXT) | instid1(VALU_DEP_1)
	v_lshlrev_b64 v[187:188], 2, v[180:181]
	v_add_co_u32 v187, vcc_lo, v178, v187
	s_delay_alu instid0(VALU_DEP_2)
	v_add_co_ci_u32_e32 v188, vcc_lo, v179, v188, vcc_lo
	s_clause 0x1
	flat_load_b32 v181, v[187:188]
	flat_load_b32 v189, v[178:179] offset:136
	s_waitcnt vmcnt(1) lgkmcnt(1)
	flat_store_b32 v[178:179], v181 offset:136
	s_waitcnt vmcnt(0) lgkmcnt(1)
	flat_store_b32 v[187:188], v189
.LBB84_728:
	s_or_b32 exec_lo, exec_lo, s6
	v_mov_b32_e32 v188, v180
	v_mov_b32_e32 v187, v180
.LBB84_729:
	s_or_b32 exec_lo, exec_lo, s3
.LBB84_730:
	s_and_not1_saveexec_b32 s2, s2
	s_cbranch_execz .LBB84_732
; %bb.731:
	v_mov_b32_e32 v188, 34
	ds_store_2addr_b64 v182, v[28:29], v[30:31] offset0:70 offset1:71
	ds_store_2addr_b64 v182, v[24:25], v[26:27] offset0:72 offset1:73
	;; [unrolled: 1-line block ×8, first 2 shown]
.LBB84_732:
	s_or_b32 exec_lo, exec_lo, s2
	s_delay_alu instid0(SALU_CYCLE_1)
	s_mov_b32 s2, exec_lo
	s_waitcnt lgkmcnt(0)
	s_waitcnt_vscnt null, 0x0
	s_barrier
	buffer_gl0_inv
	v_cmpx_lt_i32_e32 34, v188
	s_cbranch_execz .LBB84_734
; %bb.733:
	v_mul_f64 v[180:181], v[172:173], v[34:35]
	v_mul_f64 v[34:35], v[174:175], v[34:35]
	ds_load_2addr_b64 v[189:192], v182 offset0:70 offset1:71
	ds_load_2addr_b64 v[193:196], v182 offset0:72 offset1:73
	ds_load_2addr_b64 v[197:200], v182 offset0:74 offset1:75
	ds_load_2addr_b64 v[201:204], v182 offset0:76 offset1:77
	ds_load_2addr_b64 v[205:208], v182 offset0:78 offset1:79
	ds_load_2addr_b64 v[209:212], v182 offset0:80 offset1:81
	ds_load_2addr_b64 v[213:216], v182 offset0:82 offset1:83
	ds_load_2addr_b64 v[217:220], v182 offset0:84 offset1:85
	v_fma_f64 v[174:175], v[174:175], v[32:33], v[180:181]
	v_fma_f64 v[32:33], v[172:173], v[32:33], -v[34:35]
	s_waitcnt lgkmcnt(7)
	s_delay_alu instid0(VALU_DEP_2)
	v_mul_f64 v[34:35], v[191:192], v[174:175]
	v_mul_f64 v[172:173], v[189:190], v[174:175]
	s_waitcnt lgkmcnt(6)
	v_mul_f64 v[180:181], v[195:196], v[174:175]
	v_mul_f64 v[221:222], v[193:194], v[174:175]
	s_waitcnt lgkmcnt(5)
	;; [unrolled: 3-line block ×7, first 2 shown]
	v_mul_f64 v[243:244], v[219:220], v[174:175]
	v_mul_f64 v[245:246], v[217:218], v[174:175]
	v_fma_f64 v[34:35], v[189:190], v[32:33], -v[34:35]
	v_fma_f64 v[172:173], v[191:192], v[32:33], v[172:173]
	v_fma_f64 v[180:181], v[193:194], v[32:33], -v[180:181]
	v_fma_f64 v[189:190], v[195:196], v[32:33], v[221:222]
	;; [unrolled: 2-line block ×8, first 2 shown]
	v_add_f64 v[28:29], v[28:29], -v[34:35]
	v_add_f64 v[30:31], v[30:31], -v[172:173]
	;; [unrolled: 1-line block ×16, first 2 shown]
	v_dual_mov_b32 v34, v174 :: v_dual_mov_b32 v35, v175
.LBB84_734:
	s_or_b32 exec_lo, exec_lo, s2
	v_lshl_add_u32 v172, v188, 4, v182
	s_barrier
	buffer_gl0_inv
	v_mov_b32_e32 v180, 35
	ds_store_2addr_b64 v172, v[28:29], v[30:31] offset1:1
	s_waitcnt lgkmcnt(0)
	s_barrier
	buffer_gl0_inv
	ds_load_2addr_b64 v[172:175], v182 offset0:70 offset1:71
	s_cmp_lt_i32 s5, 37
	s_cbranch_scc1 .LBB84_737
; %bb.735:
	v_add3_u32 v181, v186, 0, 0x240
	v_mov_b32_e32 v180, 35
	s_mov_b32 s6, 36
	s_set_inst_prefetch_distance 0x1
	.p2align	6
.LBB84_736:                             ; =>This Inner Loop Header: Depth=1
	ds_load_2addr_b64 v[189:192], v181 offset1:1
	s_waitcnt lgkmcnt(1)
	v_cmp_gt_f64_e32 vcc_lo, 0, v[172:173]
	v_xor_b32_e32 v193, 0x80000000, v173
	v_cmp_gt_f64_e64 s2, 0, v[174:175]
	v_xor_b32_e32 v195, 0x80000000, v175
	v_add_nc_u32_e32 v181, 16, v181
	s_waitcnt lgkmcnt(0)
	v_cmp_gt_f64_e64 s3, 0, v[189:190]
	v_mov_b32_e32 v197, v189
	v_dual_mov_b32 v199, v191 :: v_dual_cndmask_b32 v194, v173, v193
	v_xor_b32_e32 v193, 0x80000000, v190
	v_cndmask_b32_e64 v196, v175, v195, s2
	v_xor_b32_e32 v195, 0x80000000, v192
	s_delay_alu instid0(VALU_DEP_3) | instskip(SKIP_2) | instid1(VALU_DEP_2)
	v_cndmask_b32_e64 v198, v190, v193, s3
	v_cmp_gt_f64_e64 s3, 0, v[191:192]
	v_cndmask_b32_e32 v193, v172, v172, vcc_lo
	v_cndmask_b32_e64 v200, v192, v195, s3
	v_cndmask_b32_e64 v195, v174, v174, s2
	s_delay_alu instid0(VALU_DEP_2) | instskip(NEXT) | instid1(VALU_DEP_2)
	v_add_f64 v[197:198], v[197:198], v[199:200]
	v_add_f64 v[193:194], v[193:194], v[195:196]
	s_delay_alu instid0(VALU_DEP_1) | instskip(SKIP_4) | instid1(SALU_CYCLE_1)
	v_cmp_lt_f64_e32 vcc_lo, v[193:194], v[197:198]
	v_dual_cndmask_b32 v174, v174, v191 :: v_dual_cndmask_b32 v173, v173, v190
	v_dual_cndmask_b32 v172, v172, v189 :: v_dual_cndmask_b32 v175, v175, v192
	v_cndmask_b32_e64 v180, v180, s6, vcc_lo
	s_add_i32 s6, s6, 1
	s_cmp_lg_u32 s5, s6
	s_cbranch_scc1 .LBB84_736
.LBB84_737:
	s_set_inst_prefetch_distance 0x2
	s_waitcnt lgkmcnt(0)
	v_cmp_eq_f64_e32 vcc_lo, 0, v[172:173]
	v_cmp_eq_f64_e64 s2, 0, v[174:175]
	s_delay_alu instid0(VALU_DEP_1) | instskip(NEXT) | instid1(SALU_CYCLE_1)
	s_and_b32 s2, vcc_lo, s2
	s_and_saveexec_b32 s3, s2
	s_delay_alu instid0(SALU_CYCLE_1)
	s_xor_b32 s2, exec_lo, s3
; %bb.738:
	v_cmp_ne_u32_e32 vcc_lo, 0, v185
	v_cndmask_b32_e32 v185, 36, v185, vcc_lo
; %bb.739:
	s_and_not1_saveexec_b32 s3, s2
	s_cbranch_execz .LBB84_745
; %bb.740:
	v_cmp_gt_f64_e32 vcc_lo, 0, v[172:173]
	v_cmp_gt_f64_e64 s2, 0, v[174:175]
	v_xor_b32_e32 v181, 0x80000000, v173
	v_xor_b32_e32 v189, 0x80000000, v175
	s_delay_alu instid0(VALU_DEP_2) | instskip(NEXT) | instid1(VALU_DEP_2)
	v_cndmask_b32_e32 v190, v173, v181, vcc_lo
	v_cndmask_b32_e64 v192, v175, v189, s2
	v_cndmask_b32_e32 v189, v172, v172, vcc_lo
	v_cndmask_b32_e64 v191, v174, v174, s2
	s_mov_b32 s2, exec_lo
	s_delay_alu instid0(VALU_DEP_1)
	v_cmpx_ngt_f64_e32 v[189:190], v[191:192]
	s_xor_b32 s2, exec_lo, s2
	s_cbranch_execz .LBB84_742
; %bb.741:
	v_div_scale_f64 v[189:190], null, v[174:175], v[174:175], v[172:173]
	v_div_scale_f64 v[195:196], vcc_lo, v[172:173], v[174:175], v[172:173]
	s_delay_alu instid0(VALU_DEP_2) | instskip(SKIP_2) | instid1(VALU_DEP_1)
	v_rcp_f64_e32 v[191:192], v[189:190]
	s_waitcnt_depctr 0xfff
	v_fma_f64 v[193:194], -v[189:190], v[191:192], 1.0
	v_fma_f64 v[191:192], v[191:192], v[193:194], v[191:192]
	s_delay_alu instid0(VALU_DEP_1) | instskip(NEXT) | instid1(VALU_DEP_1)
	v_fma_f64 v[193:194], -v[189:190], v[191:192], 1.0
	v_fma_f64 v[191:192], v[191:192], v[193:194], v[191:192]
	s_delay_alu instid0(VALU_DEP_1) | instskip(NEXT) | instid1(VALU_DEP_1)
	v_mul_f64 v[193:194], v[195:196], v[191:192]
	v_fma_f64 v[189:190], -v[189:190], v[193:194], v[195:196]
	s_delay_alu instid0(VALU_DEP_1) | instskip(NEXT) | instid1(VALU_DEP_1)
	v_div_fmas_f64 v[189:190], v[189:190], v[191:192], v[193:194]
	v_div_fixup_f64 v[189:190], v[189:190], v[174:175], v[172:173]
	s_delay_alu instid0(VALU_DEP_1) | instskip(NEXT) | instid1(VALU_DEP_1)
	v_fma_f64 v[172:173], v[172:173], v[189:190], v[174:175]
	v_div_scale_f64 v[174:175], null, v[172:173], v[172:173], 1.0
	s_delay_alu instid0(VALU_DEP_1) | instskip(SKIP_2) | instid1(VALU_DEP_1)
	v_rcp_f64_e32 v[191:192], v[174:175]
	s_waitcnt_depctr 0xfff
	v_fma_f64 v[193:194], -v[174:175], v[191:192], 1.0
	v_fma_f64 v[191:192], v[191:192], v[193:194], v[191:192]
	s_delay_alu instid0(VALU_DEP_1) | instskip(NEXT) | instid1(VALU_DEP_1)
	v_fma_f64 v[193:194], -v[174:175], v[191:192], 1.0
	v_fma_f64 v[191:192], v[191:192], v[193:194], v[191:192]
	v_div_scale_f64 v[193:194], vcc_lo, 1.0, v[172:173], 1.0
	s_delay_alu instid0(VALU_DEP_1) | instskip(NEXT) | instid1(VALU_DEP_1)
	v_mul_f64 v[195:196], v[193:194], v[191:192]
	v_fma_f64 v[174:175], -v[174:175], v[195:196], v[193:194]
	s_delay_alu instid0(VALU_DEP_1) | instskip(NEXT) | instid1(VALU_DEP_1)
	v_div_fmas_f64 v[174:175], v[174:175], v[191:192], v[195:196]
	v_div_fixup_f64 v[174:175], v[174:175], v[172:173], 1.0
	s_delay_alu instid0(VALU_DEP_1)
	v_mul_f64 v[172:173], v[189:190], v[174:175]
	v_xor_b32_e32 v175, 0x80000000, v175
.LBB84_742:
	s_and_not1_saveexec_b32 s2, s2
	s_cbranch_execz .LBB84_744
; %bb.743:
	s_delay_alu instid0(VALU_DEP_1) | instskip(SKIP_1) | instid1(VALU_DEP_2)
	v_div_scale_f64 v[189:190], null, v[172:173], v[172:173], v[174:175]
	v_div_scale_f64 v[195:196], vcc_lo, v[174:175], v[172:173], v[174:175]
	v_rcp_f64_e32 v[191:192], v[189:190]
	s_waitcnt_depctr 0xfff
	v_fma_f64 v[193:194], -v[189:190], v[191:192], 1.0
	s_delay_alu instid0(VALU_DEP_1) | instskip(NEXT) | instid1(VALU_DEP_1)
	v_fma_f64 v[191:192], v[191:192], v[193:194], v[191:192]
	v_fma_f64 v[193:194], -v[189:190], v[191:192], 1.0
	s_delay_alu instid0(VALU_DEP_1) | instskip(NEXT) | instid1(VALU_DEP_1)
	v_fma_f64 v[191:192], v[191:192], v[193:194], v[191:192]
	v_mul_f64 v[193:194], v[195:196], v[191:192]
	s_delay_alu instid0(VALU_DEP_1) | instskip(NEXT) | instid1(VALU_DEP_1)
	v_fma_f64 v[189:190], -v[189:190], v[193:194], v[195:196]
	v_div_fmas_f64 v[189:190], v[189:190], v[191:192], v[193:194]
	s_delay_alu instid0(VALU_DEP_1) | instskip(NEXT) | instid1(VALU_DEP_1)
	v_div_fixup_f64 v[189:190], v[189:190], v[172:173], v[174:175]
	v_fma_f64 v[172:173], v[174:175], v[189:190], v[172:173]
	s_delay_alu instid0(VALU_DEP_1) | instskip(NEXT) | instid1(VALU_DEP_1)
	v_div_scale_f64 v[174:175], null, v[172:173], v[172:173], 1.0
	v_rcp_f64_e32 v[191:192], v[174:175]
	s_waitcnt_depctr 0xfff
	v_fma_f64 v[193:194], -v[174:175], v[191:192], 1.0
	s_delay_alu instid0(VALU_DEP_1) | instskip(NEXT) | instid1(VALU_DEP_1)
	v_fma_f64 v[191:192], v[191:192], v[193:194], v[191:192]
	v_fma_f64 v[193:194], -v[174:175], v[191:192], 1.0
	s_delay_alu instid0(VALU_DEP_1) | instskip(SKIP_1) | instid1(VALU_DEP_1)
	v_fma_f64 v[191:192], v[191:192], v[193:194], v[191:192]
	v_div_scale_f64 v[193:194], vcc_lo, 1.0, v[172:173], 1.0
	v_mul_f64 v[195:196], v[193:194], v[191:192]
	s_delay_alu instid0(VALU_DEP_1) | instskip(NEXT) | instid1(VALU_DEP_1)
	v_fma_f64 v[174:175], -v[174:175], v[195:196], v[193:194]
	v_div_fmas_f64 v[174:175], v[174:175], v[191:192], v[195:196]
	s_delay_alu instid0(VALU_DEP_1) | instskip(NEXT) | instid1(VALU_DEP_1)
	v_div_fixup_f64 v[172:173], v[174:175], v[172:173], 1.0
	v_mul_f64 v[174:175], v[189:190], -v[172:173]
.LBB84_744:
	s_or_b32 exec_lo, exec_lo, s2
.LBB84_745:
	s_delay_alu instid0(SALU_CYCLE_1) | instskip(NEXT) | instid1(SALU_CYCLE_1)
	s_or_b32 exec_lo, exec_lo, s3
	s_mov_b32 s2, exec_lo
	v_cmpx_ne_u32_e64 v188, v180
	s_xor_b32 s2, exec_lo, s2
	s_cbranch_execz .LBB84_751
; %bb.746:
	s_mov_b32 s3, exec_lo
	v_cmpx_eq_u32_e32 35, v188
	s_cbranch_execz .LBB84_750
; %bb.747:
	v_cmp_ne_u32_e32 vcc_lo, 35, v180
	s_xor_b32 s6, s4, -1
	s_delay_alu instid0(SALU_CYCLE_1) | instskip(NEXT) | instid1(SALU_CYCLE_1)
	s_and_b32 s7, s6, vcc_lo
	s_and_saveexec_b32 s6, s7
	s_cbranch_execz .LBB84_749
; %bb.748:
	v_ashrrev_i32_e32 v181, 31, v180
	s_delay_alu instid0(VALU_DEP_1) | instskip(NEXT) | instid1(VALU_DEP_1)
	v_lshlrev_b64 v[187:188], 2, v[180:181]
	v_add_co_u32 v187, vcc_lo, v178, v187
	s_delay_alu instid0(VALU_DEP_2)
	v_add_co_ci_u32_e32 v188, vcc_lo, v179, v188, vcc_lo
	s_clause 0x1
	flat_load_b32 v181, v[187:188]
	flat_load_b32 v189, v[178:179] offset:140
	s_waitcnt vmcnt(1) lgkmcnt(1)
	flat_store_b32 v[178:179], v181 offset:140
	s_waitcnt vmcnt(0) lgkmcnt(1)
	flat_store_b32 v[187:188], v189
.LBB84_749:
	s_or_b32 exec_lo, exec_lo, s6
	v_mov_b32_e32 v188, v180
	v_mov_b32_e32 v187, v180
.LBB84_750:
	s_or_b32 exec_lo, exec_lo, s3
.LBB84_751:
	s_and_not1_saveexec_b32 s2, s2
	s_cbranch_execz .LBB84_753
; %bb.752:
	v_mov_b32_e32 v188, 35
	ds_store_2addr_b64 v182, v[24:25], v[26:27] offset0:72 offset1:73
	ds_store_2addr_b64 v182, v[20:21], v[22:23] offset0:74 offset1:75
	;; [unrolled: 1-line block ×7, first 2 shown]
.LBB84_753:
	s_or_b32 exec_lo, exec_lo, s2
	s_delay_alu instid0(SALU_CYCLE_1)
	s_mov_b32 s2, exec_lo
	s_waitcnt lgkmcnt(0)
	s_waitcnt_vscnt null, 0x0
	s_barrier
	buffer_gl0_inv
	v_cmpx_lt_i32_e32 35, v188
	s_cbranch_execz .LBB84_755
; %bb.754:
	v_mul_f64 v[180:181], v[172:173], v[30:31]
	v_mul_f64 v[30:31], v[174:175], v[30:31]
	ds_load_2addr_b64 v[189:192], v182 offset0:72 offset1:73
	ds_load_2addr_b64 v[193:196], v182 offset0:74 offset1:75
	;; [unrolled: 1-line block ×7, first 2 shown]
	v_fma_f64 v[174:175], v[174:175], v[28:29], v[180:181]
	v_fma_f64 v[28:29], v[172:173], v[28:29], -v[30:31]
	s_waitcnt lgkmcnt(6)
	s_delay_alu instid0(VALU_DEP_2)
	v_mul_f64 v[30:31], v[191:192], v[174:175]
	v_mul_f64 v[172:173], v[189:190], v[174:175]
	s_waitcnt lgkmcnt(5)
	v_mul_f64 v[180:181], v[195:196], v[174:175]
	v_mul_f64 v[217:218], v[193:194], v[174:175]
	s_waitcnt lgkmcnt(4)
	;; [unrolled: 3-line block ×6, first 2 shown]
	v_mul_f64 v[235:236], v[215:216], v[174:175]
	v_mul_f64 v[237:238], v[213:214], v[174:175]
	v_fma_f64 v[30:31], v[189:190], v[28:29], -v[30:31]
	v_fma_f64 v[172:173], v[191:192], v[28:29], v[172:173]
	v_fma_f64 v[180:181], v[193:194], v[28:29], -v[180:181]
	v_fma_f64 v[189:190], v[195:196], v[28:29], v[217:218]
	v_fma_f64 v[191:192], v[197:198], v[28:29], -v[219:220]
	v_fma_f64 v[193:194], v[199:200], v[28:29], v[221:222]
	v_fma_f64 v[195:196], v[201:202], v[28:29], -v[223:224]
	v_fma_f64 v[197:198], v[203:204], v[28:29], v[225:226]
	v_fma_f64 v[199:200], v[205:206], v[28:29], -v[227:228]
	v_fma_f64 v[201:202], v[207:208], v[28:29], v[229:230]
	v_fma_f64 v[203:204], v[209:210], v[28:29], -v[231:232]
	v_fma_f64 v[205:206], v[211:212], v[28:29], v[233:234]
	v_fma_f64 v[207:208], v[213:214], v[28:29], -v[235:236]
	v_fma_f64 v[209:210], v[215:216], v[28:29], v[237:238]
	v_add_f64 v[24:25], v[24:25], -v[30:31]
	v_add_f64 v[26:27], v[26:27], -v[172:173]
	;; [unrolled: 1-line block ×14, first 2 shown]
	v_dual_mov_b32 v30, v174 :: v_dual_mov_b32 v31, v175
.LBB84_755:
	s_or_b32 exec_lo, exec_lo, s2
	v_lshl_add_u32 v172, v188, 4, v182
	s_barrier
	buffer_gl0_inv
	v_mov_b32_e32 v180, 36
	ds_store_2addr_b64 v172, v[24:25], v[26:27] offset1:1
	s_waitcnt lgkmcnt(0)
	s_barrier
	buffer_gl0_inv
	ds_load_2addr_b64 v[172:175], v182 offset0:72 offset1:73
	s_cmp_lt_i32 s5, 38
	s_cbranch_scc1 .LBB84_758
; %bb.756:
	v_add3_u32 v181, v186, 0, 0x250
	v_mov_b32_e32 v180, 36
	s_mov_b32 s6, 37
	s_set_inst_prefetch_distance 0x1
	.p2align	6
.LBB84_757:                             ; =>This Inner Loop Header: Depth=1
	ds_load_2addr_b64 v[189:192], v181 offset1:1
	s_waitcnt lgkmcnt(1)
	v_cmp_gt_f64_e32 vcc_lo, 0, v[172:173]
	v_xor_b32_e32 v193, 0x80000000, v173
	v_cmp_gt_f64_e64 s2, 0, v[174:175]
	v_xor_b32_e32 v195, 0x80000000, v175
	v_add_nc_u32_e32 v181, 16, v181
	s_waitcnt lgkmcnt(0)
	v_cmp_gt_f64_e64 s3, 0, v[189:190]
	v_mov_b32_e32 v197, v189
	v_dual_mov_b32 v199, v191 :: v_dual_cndmask_b32 v194, v173, v193
	v_xor_b32_e32 v193, 0x80000000, v190
	v_cndmask_b32_e64 v196, v175, v195, s2
	v_xor_b32_e32 v195, 0x80000000, v192
	s_delay_alu instid0(VALU_DEP_3) | instskip(SKIP_2) | instid1(VALU_DEP_2)
	v_cndmask_b32_e64 v198, v190, v193, s3
	v_cmp_gt_f64_e64 s3, 0, v[191:192]
	v_cndmask_b32_e32 v193, v172, v172, vcc_lo
	v_cndmask_b32_e64 v200, v192, v195, s3
	v_cndmask_b32_e64 v195, v174, v174, s2
	s_delay_alu instid0(VALU_DEP_2) | instskip(NEXT) | instid1(VALU_DEP_2)
	v_add_f64 v[197:198], v[197:198], v[199:200]
	v_add_f64 v[193:194], v[193:194], v[195:196]
	s_delay_alu instid0(VALU_DEP_1) | instskip(SKIP_4) | instid1(SALU_CYCLE_1)
	v_cmp_lt_f64_e32 vcc_lo, v[193:194], v[197:198]
	v_dual_cndmask_b32 v174, v174, v191 :: v_dual_cndmask_b32 v173, v173, v190
	v_dual_cndmask_b32 v172, v172, v189 :: v_dual_cndmask_b32 v175, v175, v192
	v_cndmask_b32_e64 v180, v180, s6, vcc_lo
	s_add_i32 s6, s6, 1
	s_cmp_lg_u32 s5, s6
	s_cbranch_scc1 .LBB84_757
.LBB84_758:
	s_set_inst_prefetch_distance 0x2
	s_waitcnt lgkmcnt(0)
	v_cmp_eq_f64_e32 vcc_lo, 0, v[172:173]
	v_cmp_eq_f64_e64 s2, 0, v[174:175]
	s_delay_alu instid0(VALU_DEP_1) | instskip(NEXT) | instid1(SALU_CYCLE_1)
	s_and_b32 s2, vcc_lo, s2
	s_and_saveexec_b32 s3, s2
	s_delay_alu instid0(SALU_CYCLE_1)
	s_xor_b32 s2, exec_lo, s3
; %bb.759:
	v_cmp_ne_u32_e32 vcc_lo, 0, v185
	v_cndmask_b32_e32 v185, 37, v185, vcc_lo
; %bb.760:
	s_and_not1_saveexec_b32 s3, s2
	s_cbranch_execz .LBB84_766
; %bb.761:
	v_cmp_gt_f64_e32 vcc_lo, 0, v[172:173]
	v_cmp_gt_f64_e64 s2, 0, v[174:175]
	v_xor_b32_e32 v181, 0x80000000, v173
	v_xor_b32_e32 v189, 0x80000000, v175
	s_delay_alu instid0(VALU_DEP_2) | instskip(NEXT) | instid1(VALU_DEP_2)
	v_cndmask_b32_e32 v190, v173, v181, vcc_lo
	v_cndmask_b32_e64 v192, v175, v189, s2
	v_cndmask_b32_e32 v189, v172, v172, vcc_lo
	v_cndmask_b32_e64 v191, v174, v174, s2
	s_mov_b32 s2, exec_lo
	s_delay_alu instid0(VALU_DEP_1)
	v_cmpx_ngt_f64_e32 v[189:190], v[191:192]
	s_xor_b32 s2, exec_lo, s2
	s_cbranch_execz .LBB84_763
; %bb.762:
	v_div_scale_f64 v[189:190], null, v[174:175], v[174:175], v[172:173]
	v_div_scale_f64 v[195:196], vcc_lo, v[172:173], v[174:175], v[172:173]
	s_delay_alu instid0(VALU_DEP_2) | instskip(SKIP_2) | instid1(VALU_DEP_1)
	v_rcp_f64_e32 v[191:192], v[189:190]
	s_waitcnt_depctr 0xfff
	v_fma_f64 v[193:194], -v[189:190], v[191:192], 1.0
	v_fma_f64 v[191:192], v[191:192], v[193:194], v[191:192]
	s_delay_alu instid0(VALU_DEP_1) | instskip(NEXT) | instid1(VALU_DEP_1)
	v_fma_f64 v[193:194], -v[189:190], v[191:192], 1.0
	v_fma_f64 v[191:192], v[191:192], v[193:194], v[191:192]
	s_delay_alu instid0(VALU_DEP_1) | instskip(NEXT) | instid1(VALU_DEP_1)
	v_mul_f64 v[193:194], v[195:196], v[191:192]
	v_fma_f64 v[189:190], -v[189:190], v[193:194], v[195:196]
	s_delay_alu instid0(VALU_DEP_1) | instskip(NEXT) | instid1(VALU_DEP_1)
	v_div_fmas_f64 v[189:190], v[189:190], v[191:192], v[193:194]
	v_div_fixup_f64 v[189:190], v[189:190], v[174:175], v[172:173]
	s_delay_alu instid0(VALU_DEP_1) | instskip(NEXT) | instid1(VALU_DEP_1)
	v_fma_f64 v[172:173], v[172:173], v[189:190], v[174:175]
	v_div_scale_f64 v[174:175], null, v[172:173], v[172:173], 1.0
	s_delay_alu instid0(VALU_DEP_1) | instskip(SKIP_2) | instid1(VALU_DEP_1)
	v_rcp_f64_e32 v[191:192], v[174:175]
	s_waitcnt_depctr 0xfff
	v_fma_f64 v[193:194], -v[174:175], v[191:192], 1.0
	v_fma_f64 v[191:192], v[191:192], v[193:194], v[191:192]
	s_delay_alu instid0(VALU_DEP_1) | instskip(NEXT) | instid1(VALU_DEP_1)
	v_fma_f64 v[193:194], -v[174:175], v[191:192], 1.0
	v_fma_f64 v[191:192], v[191:192], v[193:194], v[191:192]
	v_div_scale_f64 v[193:194], vcc_lo, 1.0, v[172:173], 1.0
	s_delay_alu instid0(VALU_DEP_1) | instskip(NEXT) | instid1(VALU_DEP_1)
	v_mul_f64 v[195:196], v[193:194], v[191:192]
	v_fma_f64 v[174:175], -v[174:175], v[195:196], v[193:194]
	s_delay_alu instid0(VALU_DEP_1) | instskip(NEXT) | instid1(VALU_DEP_1)
	v_div_fmas_f64 v[174:175], v[174:175], v[191:192], v[195:196]
	v_div_fixup_f64 v[174:175], v[174:175], v[172:173], 1.0
	s_delay_alu instid0(VALU_DEP_1)
	v_mul_f64 v[172:173], v[189:190], v[174:175]
	v_xor_b32_e32 v175, 0x80000000, v175
.LBB84_763:
	s_and_not1_saveexec_b32 s2, s2
	s_cbranch_execz .LBB84_765
; %bb.764:
	s_delay_alu instid0(VALU_DEP_1) | instskip(SKIP_1) | instid1(VALU_DEP_2)
	v_div_scale_f64 v[189:190], null, v[172:173], v[172:173], v[174:175]
	v_div_scale_f64 v[195:196], vcc_lo, v[174:175], v[172:173], v[174:175]
	v_rcp_f64_e32 v[191:192], v[189:190]
	s_waitcnt_depctr 0xfff
	v_fma_f64 v[193:194], -v[189:190], v[191:192], 1.0
	s_delay_alu instid0(VALU_DEP_1) | instskip(NEXT) | instid1(VALU_DEP_1)
	v_fma_f64 v[191:192], v[191:192], v[193:194], v[191:192]
	v_fma_f64 v[193:194], -v[189:190], v[191:192], 1.0
	s_delay_alu instid0(VALU_DEP_1) | instskip(NEXT) | instid1(VALU_DEP_1)
	v_fma_f64 v[191:192], v[191:192], v[193:194], v[191:192]
	v_mul_f64 v[193:194], v[195:196], v[191:192]
	s_delay_alu instid0(VALU_DEP_1) | instskip(NEXT) | instid1(VALU_DEP_1)
	v_fma_f64 v[189:190], -v[189:190], v[193:194], v[195:196]
	v_div_fmas_f64 v[189:190], v[189:190], v[191:192], v[193:194]
	s_delay_alu instid0(VALU_DEP_1) | instskip(NEXT) | instid1(VALU_DEP_1)
	v_div_fixup_f64 v[189:190], v[189:190], v[172:173], v[174:175]
	v_fma_f64 v[172:173], v[174:175], v[189:190], v[172:173]
	s_delay_alu instid0(VALU_DEP_1) | instskip(NEXT) | instid1(VALU_DEP_1)
	v_div_scale_f64 v[174:175], null, v[172:173], v[172:173], 1.0
	v_rcp_f64_e32 v[191:192], v[174:175]
	s_waitcnt_depctr 0xfff
	v_fma_f64 v[193:194], -v[174:175], v[191:192], 1.0
	s_delay_alu instid0(VALU_DEP_1) | instskip(NEXT) | instid1(VALU_DEP_1)
	v_fma_f64 v[191:192], v[191:192], v[193:194], v[191:192]
	v_fma_f64 v[193:194], -v[174:175], v[191:192], 1.0
	s_delay_alu instid0(VALU_DEP_1) | instskip(SKIP_1) | instid1(VALU_DEP_1)
	v_fma_f64 v[191:192], v[191:192], v[193:194], v[191:192]
	v_div_scale_f64 v[193:194], vcc_lo, 1.0, v[172:173], 1.0
	v_mul_f64 v[195:196], v[193:194], v[191:192]
	s_delay_alu instid0(VALU_DEP_1) | instskip(NEXT) | instid1(VALU_DEP_1)
	v_fma_f64 v[174:175], -v[174:175], v[195:196], v[193:194]
	v_div_fmas_f64 v[174:175], v[174:175], v[191:192], v[195:196]
	s_delay_alu instid0(VALU_DEP_1) | instskip(NEXT) | instid1(VALU_DEP_1)
	v_div_fixup_f64 v[172:173], v[174:175], v[172:173], 1.0
	v_mul_f64 v[174:175], v[189:190], -v[172:173]
.LBB84_765:
	s_or_b32 exec_lo, exec_lo, s2
.LBB84_766:
	s_delay_alu instid0(SALU_CYCLE_1) | instskip(NEXT) | instid1(SALU_CYCLE_1)
	s_or_b32 exec_lo, exec_lo, s3
	s_mov_b32 s2, exec_lo
	v_cmpx_ne_u32_e64 v188, v180
	s_xor_b32 s2, exec_lo, s2
	s_cbranch_execz .LBB84_772
; %bb.767:
	s_mov_b32 s3, exec_lo
	v_cmpx_eq_u32_e32 36, v188
	s_cbranch_execz .LBB84_771
; %bb.768:
	v_cmp_ne_u32_e32 vcc_lo, 36, v180
	s_xor_b32 s6, s4, -1
	s_delay_alu instid0(SALU_CYCLE_1) | instskip(NEXT) | instid1(SALU_CYCLE_1)
	s_and_b32 s7, s6, vcc_lo
	s_and_saveexec_b32 s6, s7
	s_cbranch_execz .LBB84_770
; %bb.769:
	v_ashrrev_i32_e32 v181, 31, v180
	s_delay_alu instid0(VALU_DEP_1) | instskip(NEXT) | instid1(VALU_DEP_1)
	v_lshlrev_b64 v[187:188], 2, v[180:181]
	v_add_co_u32 v187, vcc_lo, v178, v187
	s_delay_alu instid0(VALU_DEP_2)
	v_add_co_ci_u32_e32 v188, vcc_lo, v179, v188, vcc_lo
	s_clause 0x1
	flat_load_b32 v181, v[187:188]
	flat_load_b32 v189, v[178:179] offset:144
	s_waitcnt vmcnt(1) lgkmcnt(1)
	flat_store_b32 v[178:179], v181 offset:144
	s_waitcnt vmcnt(0) lgkmcnt(1)
	flat_store_b32 v[187:188], v189
.LBB84_770:
	s_or_b32 exec_lo, exec_lo, s6
	v_mov_b32_e32 v188, v180
	v_mov_b32_e32 v187, v180
.LBB84_771:
	s_or_b32 exec_lo, exec_lo, s3
.LBB84_772:
	s_and_not1_saveexec_b32 s2, s2
	s_cbranch_execz .LBB84_774
; %bb.773:
	v_mov_b32_e32 v188, 36
	ds_store_2addr_b64 v182, v[20:21], v[22:23] offset0:74 offset1:75
	ds_store_2addr_b64 v182, v[16:17], v[18:19] offset0:76 offset1:77
	;; [unrolled: 1-line block ×6, first 2 shown]
.LBB84_774:
	s_or_b32 exec_lo, exec_lo, s2
	s_delay_alu instid0(SALU_CYCLE_1)
	s_mov_b32 s2, exec_lo
	s_waitcnt lgkmcnt(0)
	s_waitcnt_vscnt null, 0x0
	s_barrier
	buffer_gl0_inv
	v_cmpx_lt_i32_e32 36, v188
	s_cbranch_execz .LBB84_776
; %bb.775:
	v_mul_f64 v[180:181], v[172:173], v[26:27]
	v_mul_f64 v[26:27], v[174:175], v[26:27]
	ds_load_2addr_b64 v[189:192], v182 offset0:74 offset1:75
	ds_load_2addr_b64 v[193:196], v182 offset0:76 offset1:77
	;; [unrolled: 1-line block ×6, first 2 shown]
	v_fma_f64 v[174:175], v[174:175], v[24:25], v[180:181]
	v_fma_f64 v[24:25], v[172:173], v[24:25], -v[26:27]
	s_waitcnt lgkmcnt(5)
	s_delay_alu instid0(VALU_DEP_2)
	v_mul_f64 v[26:27], v[191:192], v[174:175]
	v_mul_f64 v[172:173], v[189:190], v[174:175]
	s_waitcnt lgkmcnt(4)
	v_mul_f64 v[180:181], v[195:196], v[174:175]
	v_mul_f64 v[213:214], v[193:194], v[174:175]
	s_waitcnt lgkmcnt(3)
	;; [unrolled: 3-line block ×5, first 2 shown]
	v_mul_f64 v[227:228], v[211:212], v[174:175]
	v_mul_f64 v[229:230], v[209:210], v[174:175]
	v_fma_f64 v[26:27], v[189:190], v[24:25], -v[26:27]
	v_fma_f64 v[172:173], v[191:192], v[24:25], v[172:173]
	v_fma_f64 v[180:181], v[193:194], v[24:25], -v[180:181]
	v_fma_f64 v[189:190], v[195:196], v[24:25], v[213:214]
	;; [unrolled: 2-line block ×6, first 2 shown]
	v_add_f64 v[20:21], v[20:21], -v[26:27]
	v_add_f64 v[22:23], v[22:23], -v[172:173]
	;; [unrolled: 1-line block ×12, first 2 shown]
	v_dual_mov_b32 v26, v174 :: v_dual_mov_b32 v27, v175
.LBB84_776:
	s_or_b32 exec_lo, exec_lo, s2
	v_lshl_add_u32 v172, v188, 4, v182
	s_barrier
	buffer_gl0_inv
	v_mov_b32_e32 v180, 37
	ds_store_2addr_b64 v172, v[20:21], v[22:23] offset1:1
	s_waitcnt lgkmcnt(0)
	s_barrier
	buffer_gl0_inv
	ds_load_2addr_b64 v[172:175], v182 offset0:74 offset1:75
	s_cmp_lt_i32 s5, 39
	s_cbranch_scc1 .LBB84_779
; %bb.777:
	v_add3_u32 v181, v186, 0, 0x260
	v_mov_b32_e32 v180, 37
	s_mov_b32 s6, 38
	s_set_inst_prefetch_distance 0x1
	.p2align	6
.LBB84_778:                             ; =>This Inner Loop Header: Depth=1
	ds_load_2addr_b64 v[189:192], v181 offset1:1
	s_waitcnt lgkmcnt(1)
	v_cmp_gt_f64_e32 vcc_lo, 0, v[172:173]
	v_xor_b32_e32 v193, 0x80000000, v173
	v_cmp_gt_f64_e64 s2, 0, v[174:175]
	v_xor_b32_e32 v195, 0x80000000, v175
	v_add_nc_u32_e32 v181, 16, v181
	s_waitcnt lgkmcnt(0)
	v_cmp_gt_f64_e64 s3, 0, v[189:190]
	v_mov_b32_e32 v197, v189
	v_dual_mov_b32 v199, v191 :: v_dual_cndmask_b32 v194, v173, v193
	v_xor_b32_e32 v193, 0x80000000, v190
	v_cndmask_b32_e64 v196, v175, v195, s2
	v_xor_b32_e32 v195, 0x80000000, v192
	s_delay_alu instid0(VALU_DEP_3) | instskip(SKIP_2) | instid1(VALU_DEP_2)
	v_cndmask_b32_e64 v198, v190, v193, s3
	v_cmp_gt_f64_e64 s3, 0, v[191:192]
	v_cndmask_b32_e32 v193, v172, v172, vcc_lo
	v_cndmask_b32_e64 v200, v192, v195, s3
	v_cndmask_b32_e64 v195, v174, v174, s2
	s_delay_alu instid0(VALU_DEP_2) | instskip(NEXT) | instid1(VALU_DEP_2)
	v_add_f64 v[197:198], v[197:198], v[199:200]
	v_add_f64 v[193:194], v[193:194], v[195:196]
	s_delay_alu instid0(VALU_DEP_1) | instskip(SKIP_4) | instid1(SALU_CYCLE_1)
	v_cmp_lt_f64_e32 vcc_lo, v[193:194], v[197:198]
	v_dual_cndmask_b32 v174, v174, v191 :: v_dual_cndmask_b32 v173, v173, v190
	v_dual_cndmask_b32 v172, v172, v189 :: v_dual_cndmask_b32 v175, v175, v192
	v_cndmask_b32_e64 v180, v180, s6, vcc_lo
	s_add_i32 s6, s6, 1
	s_cmp_lg_u32 s5, s6
	s_cbranch_scc1 .LBB84_778
.LBB84_779:
	s_set_inst_prefetch_distance 0x2
	s_waitcnt lgkmcnt(0)
	v_cmp_eq_f64_e32 vcc_lo, 0, v[172:173]
	v_cmp_eq_f64_e64 s2, 0, v[174:175]
	s_delay_alu instid0(VALU_DEP_1) | instskip(NEXT) | instid1(SALU_CYCLE_1)
	s_and_b32 s2, vcc_lo, s2
	s_and_saveexec_b32 s3, s2
	s_delay_alu instid0(SALU_CYCLE_1)
	s_xor_b32 s2, exec_lo, s3
; %bb.780:
	v_cmp_ne_u32_e32 vcc_lo, 0, v185
	v_cndmask_b32_e32 v185, 38, v185, vcc_lo
; %bb.781:
	s_and_not1_saveexec_b32 s3, s2
	s_cbranch_execz .LBB84_787
; %bb.782:
	v_cmp_gt_f64_e32 vcc_lo, 0, v[172:173]
	v_cmp_gt_f64_e64 s2, 0, v[174:175]
	v_xor_b32_e32 v181, 0x80000000, v173
	v_xor_b32_e32 v189, 0x80000000, v175
	s_delay_alu instid0(VALU_DEP_2) | instskip(NEXT) | instid1(VALU_DEP_2)
	v_cndmask_b32_e32 v190, v173, v181, vcc_lo
	v_cndmask_b32_e64 v192, v175, v189, s2
	v_cndmask_b32_e32 v189, v172, v172, vcc_lo
	v_cndmask_b32_e64 v191, v174, v174, s2
	s_mov_b32 s2, exec_lo
	s_delay_alu instid0(VALU_DEP_1)
	v_cmpx_ngt_f64_e32 v[189:190], v[191:192]
	s_xor_b32 s2, exec_lo, s2
	s_cbranch_execz .LBB84_784
; %bb.783:
	v_div_scale_f64 v[189:190], null, v[174:175], v[174:175], v[172:173]
	v_div_scale_f64 v[195:196], vcc_lo, v[172:173], v[174:175], v[172:173]
	s_delay_alu instid0(VALU_DEP_2) | instskip(SKIP_2) | instid1(VALU_DEP_1)
	v_rcp_f64_e32 v[191:192], v[189:190]
	s_waitcnt_depctr 0xfff
	v_fma_f64 v[193:194], -v[189:190], v[191:192], 1.0
	v_fma_f64 v[191:192], v[191:192], v[193:194], v[191:192]
	s_delay_alu instid0(VALU_DEP_1) | instskip(NEXT) | instid1(VALU_DEP_1)
	v_fma_f64 v[193:194], -v[189:190], v[191:192], 1.0
	v_fma_f64 v[191:192], v[191:192], v[193:194], v[191:192]
	s_delay_alu instid0(VALU_DEP_1) | instskip(NEXT) | instid1(VALU_DEP_1)
	v_mul_f64 v[193:194], v[195:196], v[191:192]
	v_fma_f64 v[189:190], -v[189:190], v[193:194], v[195:196]
	s_delay_alu instid0(VALU_DEP_1) | instskip(NEXT) | instid1(VALU_DEP_1)
	v_div_fmas_f64 v[189:190], v[189:190], v[191:192], v[193:194]
	v_div_fixup_f64 v[189:190], v[189:190], v[174:175], v[172:173]
	s_delay_alu instid0(VALU_DEP_1) | instskip(NEXT) | instid1(VALU_DEP_1)
	v_fma_f64 v[172:173], v[172:173], v[189:190], v[174:175]
	v_div_scale_f64 v[174:175], null, v[172:173], v[172:173], 1.0
	s_delay_alu instid0(VALU_DEP_1) | instskip(SKIP_2) | instid1(VALU_DEP_1)
	v_rcp_f64_e32 v[191:192], v[174:175]
	s_waitcnt_depctr 0xfff
	v_fma_f64 v[193:194], -v[174:175], v[191:192], 1.0
	v_fma_f64 v[191:192], v[191:192], v[193:194], v[191:192]
	s_delay_alu instid0(VALU_DEP_1) | instskip(NEXT) | instid1(VALU_DEP_1)
	v_fma_f64 v[193:194], -v[174:175], v[191:192], 1.0
	v_fma_f64 v[191:192], v[191:192], v[193:194], v[191:192]
	v_div_scale_f64 v[193:194], vcc_lo, 1.0, v[172:173], 1.0
	s_delay_alu instid0(VALU_DEP_1) | instskip(NEXT) | instid1(VALU_DEP_1)
	v_mul_f64 v[195:196], v[193:194], v[191:192]
	v_fma_f64 v[174:175], -v[174:175], v[195:196], v[193:194]
	s_delay_alu instid0(VALU_DEP_1) | instskip(NEXT) | instid1(VALU_DEP_1)
	v_div_fmas_f64 v[174:175], v[174:175], v[191:192], v[195:196]
	v_div_fixup_f64 v[174:175], v[174:175], v[172:173], 1.0
	s_delay_alu instid0(VALU_DEP_1)
	v_mul_f64 v[172:173], v[189:190], v[174:175]
	v_xor_b32_e32 v175, 0x80000000, v175
.LBB84_784:
	s_and_not1_saveexec_b32 s2, s2
	s_cbranch_execz .LBB84_786
; %bb.785:
	s_delay_alu instid0(VALU_DEP_1) | instskip(SKIP_1) | instid1(VALU_DEP_2)
	v_div_scale_f64 v[189:190], null, v[172:173], v[172:173], v[174:175]
	v_div_scale_f64 v[195:196], vcc_lo, v[174:175], v[172:173], v[174:175]
	v_rcp_f64_e32 v[191:192], v[189:190]
	s_waitcnt_depctr 0xfff
	v_fma_f64 v[193:194], -v[189:190], v[191:192], 1.0
	s_delay_alu instid0(VALU_DEP_1) | instskip(NEXT) | instid1(VALU_DEP_1)
	v_fma_f64 v[191:192], v[191:192], v[193:194], v[191:192]
	v_fma_f64 v[193:194], -v[189:190], v[191:192], 1.0
	s_delay_alu instid0(VALU_DEP_1) | instskip(NEXT) | instid1(VALU_DEP_1)
	v_fma_f64 v[191:192], v[191:192], v[193:194], v[191:192]
	v_mul_f64 v[193:194], v[195:196], v[191:192]
	s_delay_alu instid0(VALU_DEP_1) | instskip(NEXT) | instid1(VALU_DEP_1)
	v_fma_f64 v[189:190], -v[189:190], v[193:194], v[195:196]
	v_div_fmas_f64 v[189:190], v[189:190], v[191:192], v[193:194]
	s_delay_alu instid0(VALU_DEP_1) | instskip(NEXT) | instid1(VALU_DEP_1)
	v_div_fixup_f64 v[189:190], v[189:190], v[172:173], v[174:175]
	v_fma_f64 v[172:173], v[174:175], v[189:190], v[172:173]
	s_delay_alu instid0(VALU_DEP_1) | instskip(NEXT) | instid1(VALU_DEP_1)
	v_div_scale_f64 v[174:175], null, v[172:173], v[172:173], 1.0
	v_rcp_f64_e32 v[191:192], v[174:175]
	s_waitcnt_depctr 0xfff
	v_fma_f64 v[193:194], -v[174:175], v[191:192], 1.0
	s_delay_alu instid0(VALU_DEP_1) | instskip(NEXT) | instid1(VALU_DEP_1)
	v_fma_f64 v[191:192], v[191:192], v[193:194], v[191:192]
	v_fma_f64 v[193:194], -v[174:175], v[191:192], 1.0
	s_delay_alu instid0(VALU_DEP_1) | instskip(SKIP_1) | instid1(VALU_DEP_1)
	v_fma_f64 v[191:192], v[191:192], v[193:194], v[191:192]
	v_div_scale_f64 v[193:194], vcc_lo, 1.0, v[172:173], 1.0
	v_mul_f64 v[195:196], v[193:194], v[191:192]
	s_delay_alu instid0(VALU_DEP_1) | instskip(NEXT) | instid1(VALU_DEP_1)
	v_fma_f64 v[174:175], -v[174:175], v[195:196], v[193:194]
	v_div_fmas_f64 v[174:175], v[174:175], v[191:192], v[195:196]
	s_delay_alu instid0(VALU_DEP_1) | instskip(NEXT) | instid1(VALU_DEP_1)
	v_div_fixup_f64 v[172:173], v[174:175], v[172:173], 1.0
	v_mul_f64 v[174:175], v[189:190], -v[172:173]
.LBB84_786:
	s_or_b32 exec_lo, exec_lo, s2
.LBB84_787:
	s_delay_alu instid0(SALU_CYCLE_1) | instskip(NEXT) | instid1(SALU_CYCLE_1)
	s_or_b32 exec_lo, exec_lo, s3
	s_mov_b32 s2, exec_lo
	v_cmpx_ne_u32_e64 v188, v180
	s_xor_b32 s2, exec_lo, s2
	s_cbranch_execz .LBB84_793
; %bb.788:
	s_mov_b32 s3, exec_lo
	v_cmpx_eq_u32_e32 37, v188
	s_cbranch_execz .LBB84_792
; %bb.789:
	v_cmp_ne_u32_e32 vcc_lo, 37, v180
	s_xor_b32 s6, s4, -1
	s_delay_alu instid0(SALU_CYCLE_1) | instskip(NEXT) | instid1(SALU_CYCLE_1)
	s_and_b32 s7, s6, vcc_lo
	s_and_saveexec_b32 s6, s7
	s_cbranch_execz .LBB84_791
; %bb.790:
	v_ashrrev_i32_e32 v181, 31, v180
	s_delay_alu instid0(VALU_DEP_1) | instskip(NEXT) | instid1(VALU_DEP_1)
	v_lshlrev_b64 v[187:188], 2, v[180:181]
	v_add_co_u32 v187, vcc_lo, v178, v187
	s_delay_alu instid0(VALU_DEP_2)
	v_add_co_ci_u32_e32 v188, vcc_lo, v179, v188, vcc_lo
	s_clause 0x1
	flat_load_b32 v181, v[187:188]
	flat_load_b32 v189, v[178:179] offset:148
	s_waitcnt vmcnt(1) lgkmcnt(1)
	flat_store_b32 v[178:179], v181 offset:148
	s_waitcnt vmcnt(0) lgkmcnt(1)
	flat_store_b32 v[187:188], v189
.LBB84_791:
	s_or_b32 exec_lo, exec_lo, s6
	v_mov_b32_e32 v188, v180
	v_mov_b32_e32 v187, v180
.LBB84_792:
	s_or_b32 exec_lo, exec_lo, s3
.LBB84_793:
	s_and_not1_saveexec_b32 s2, s2
	s_cbranch_execz .LBB84_795
; %bb.794:
	v_mov_b32_e32 v188, 37
	ds_store_2addr_b64 v182, v[16:17], v[18:19] offset0:76 offset1:77
	ds_store_2addr_b64 v182, v[12:13], v[14:15] offset0:78 offset1:79
	;; [unrolled: 1-line block ×5, first 2 shown]
.LBB84_795:
	s_or_b32 exec_lo, exec_lo, s2
	s_delay_alu instid0(SALU_CYCLE_1)
	s_mov_b32 s2, exec_lo
	s_waitcnt lgkmcnt(0)
	s_waitcnt_vscnt null, 0x0
	s_barrier
	buffer_gl0_inv
	v_cmpx_lt_i32_e32 37, v188
	s_cbranch_execz .LBB84_797
; %bb.796:
	v_mul_f64 v[180:181], v[172:173], v[22:23]
	v_mul_f64 v[22:23], v[174:175], v[22:23]
	ds_load_2addr_b64 v[189:192], v182 offset0:76 offset1:77
	ds_load_2addr_b64 v[193:196], v182 offset0:78 offset1:79
	;; [unrolled: 1-line block ×5, first 2 shown]
	v_fma_f64 v[174:175], v[174:175], v[20:21], v[180:181]
	v_fma_f64 v[20:21], v[172:173], v[20:21], -v[22:23]
	s_waitcnt lgkmcnt(4)
	s_delay_alu instid0(VALU_DEP_2)
	v_mul_f64 v[22:23], v[191:192], v[174:175]
	v_mul_f64 v[172:173], v[189:190], v[174:175]
	s_waitcnt lgkmcnt(3)
	v_mul_f64 v[180:181], v[195:196], v[174:175]
	v_mul_f64 v[209:210], v[193:194], v[174:175]
	s_waitcnt lgkmcnt(2)
	v_mul_f64 v[211:212], v[199:200], v[174:175]
	v_mul_f64 v[213:214], v[197:198], v[174:175]
	s_waitcnt lgkmcnt(1)
	v_mul_f64 v[215:216], v[203:204], v[174:175]
	v_mul_f64 v[217:218], v[201:202], v[174:175]
	s_waitcnt lgkmcnt(0)
	v_mul_f64 v[219:220], v[207:208], v[174:175]
	v_mul_f64 v[221:222], v[205:206], v[174:175]
	v_fma_f64 v[22:23], v[189:190], v[20:21], -v[22:23]
	v_fma_f64 v[172:173], v[191:192], v[20:21], v[172:173]
	v_fma_f64 v[180:181], v[193:194], v[20:21], -v[180:181]
	v_fma_f64 v[189:190], v[195:196], v[20:21], v[209:210]
	v_fma_f64 v[191:192], v[197:198], v[20:21], -v[211:212]
	v_fma_f64 v[193:194], v[199:200], v[20:21], v[213:214]
	v_fma_f64 v[195:196], v[201:202], v[20:21], -v[215:216]
	v_fma_f64 v[197:198], v[203:204], v[20:21], v[217:218]
	v_fma_f64 v[199:200], v[205:206], v[20:21], -v[219:220]
	v_fma_f64 v[201:202], v[207:208], v[20:21], v[221:222]
	v_add_f64 v[16:17], v[16:17], -v[22:23]
	v_add_f64 v[18:19], v[18:19], -v[172:173]
	;; [unrolled: 1-line block ×10, first 2 shown]
	v_dual_mov_b32 v22, v174 :: v_dual_mov_b32 v23, v175
.LBB84_797:
	s_or_b32 exec_lo, exec_lo, s2
	v_lshl_add_u32 v172, v188, 4, v182
	s_barrier
	buffer_gl0_inv
	v_mov_b32_e32 v180, 38
	ds_store_2addr_b64 v172, v[16:17], v[18:19] offset1:1
	s_waitcnt lgkmcnt(0)
	s_barrier
	buffer_gl0_inv
	ds_load_2addr_b64 v[172:175], v182 offset0:76 offset1:77
	s_cmp_lt_i32 s5, 40
	s_cbranch_scc1 .LBB84_800
; %bb.798:
	v_add3_u32 v181, v186, 0, 0x270
	v_mov_b32_e32 v180, 38
	s_mov_b32 s6, 39
	s_set_inst_prefetch_distance 0x1
	.p2align	6
.LBB84_799:                             ; =>This Inner Loop Header: Depth=1
	ds_load_2addr_b64 v[189:192], v181 offset1:1
	s_waitcnt lgkmcnt(1)
	v_cmp_gt_f64_e32 vcc_lo, 0, v[172:173]
	v_xor_b32_e32 v193, 0x80000000, v173
	v_cmp_gt_f64_e64 s2, 0, v[174:175]
	v_xor_b32_e32 v195, 0x80000000, v175
	v_add_nc_u32_e32 v181, 16, v181
	s_waitcnt lgkmcnt(0)
	v_cmp_gt_f64_e64 s3, 0, v[189:190]
	v_mov_b32_e32 v197, v189
	v_dual_mov_b32 v199, v191 :: v_dual_cndmask_b32 v194, v173, v193
	v_xor_b32_e32 v193, 0x80000000, v190
	v_cndmask_b32_e64 v196, v175, v195, s2
	v_xor_b32_e32 v195, 0x80000000, v192
	s_delay_alu instid0(VALU_DEP_3) | instskip(SKIP_2) | instid1(VALU_DEP_2)
	v_cndmask_b32_e64 v198, v190, v193, s3
	v_cmp_gt_f64_e64 s3, 0, v[191:192]
	v_cndmask_b32_e32 v193, v172, v172, vcc_lo
	v_cndmask_b32_e64 v200, v192, v195, s3
	v_cndmask_b32_e64 v195, v174, v174, s2
	s_delay_alu instid0(VALU_DEP_2) | instskip(NEXT) | instid1(VALU_DEP_2)
	v_add_f64 v[197:198], v[197:198], v[199:200]
	v_add_f64 v[193:194], v[193:194], v[195:196]
	s_delay_alu instid0(VALU_DEP_1) | instskip(SKIP_4) | instid1(SALU_CYCLE_1)
	v_cmp_lt_f64_e32 vcc_lo, v[193:194], v[197:198]
	v_dual_cndmask_b32 v174, v174, v191 :: v_dual_cndmask_b32 v173, v173, v190
	v_dual_cndmask_b32 v172, v172, v189 :: v_dual_cndmask_b32 v175, v175, v192
	v_cndmask_b32_e64 v180, v180, s6, vcc_lo
	s_add_i32 s6, s6, 1
	s_cmp_lg_u32 s5, s6
	s_cbranch_scc1 .LBB84_799
.LBB84_800:
	s_set_inst_prefetch_distance 0x2
	s_waitcnt lgkmcnt(0)
	v_cmp_eq_f64_e32 vcc_lo, 0, v[172:173]
	v_cmp_eq_f64_e64 s2, 0, v[174:175]
	s_delay_alu instid0(VALU_DEP_1) | instskip(NEXT) | instid1(SALU_CYCLE_1)
	s_and_b32 s2, vcc_lo, s2
	s_and_saveexec_b32 s3, s2
	s_delay_alu instid0(SALU_CYCLE_1)
	s_xor_b32 s2, exec_lo, s3
; %bb.801:
	v_cmp_ne_u32_e32 vcc_lo, 0, v185
	v_cndmask_b32_e32 v185, 39, v185, vcc_lo
; %bb.802:
	s_and_not1_saveexec_b32 s3, s2
	s_cbranch_execz .LBB84_808
; %bb.803:
	v_cmp_gt_f64_e32 vcc_lo, 0, v[172:173]
	v_cmp_gt_f64_e64 s2, 0, v[174:175]
	v_xor_b32_e32 v181, 0x80000000, v173
	v_xor_b32_e32 v189, 0x80000000, v175
	s_delay_alu instid0(VALU_DEP_2) | instskip(NEXT) | instid1(VALU_DEP_2)
	v_cndmask_b32_e32 v190, v173, v181, vcc_lo
	v_cndmask_b32_e64 v192, v175, v189, s2
	v_cndmask_b32_e32 v189, v172, v172, vcc_lo
	v_cndmask_b32_e64 v191, v174, v174, s2
	s_mov_b32 s2, exec_lo
	s_delay_alu instid0(VALU_DEP_1)
	v_cmpx_ngt_f64_e32 v[189:190], v[191:192]
	s_xor_b32 s2, exec_lo, s2
	s_cbranch_execz .LBB84_805
; %bb.804:
	v_div_scale_f64 v[189:190], null, v[174:175], v[174:175], v[172:173]
	v_div_scale_f64 v[195:196], vcc_lo, v[172:173], v[174:175], v[172:173]
	s_delay_alu instid0(VALU_DEP_2) | instskip(SKIP_2) | instid1(VALU_DEP_1)
	v_rcp_f64_e32 v[191:192], v[189:190]
	s_waitcnt_depctr 0xfff
	v_fma_f64 v[193:194], -v[189:190], v[191:192], 1.0
	v_fma_f64 v[191:192], v[191:192], v[193:194], v[191:192]
	s_delay_alu instid0(VALU_DEP_1) | instskip(NEXT) | instid1(VALU_DEP_1)
	v_fma_f64 v[193:194], -v[189:190], v[191:192], 1.0
	v_fma_f64 v[191:192], v[191:192], v[193:194], v[191:192]
	s_delay_alu instid0(VALU_DEP_1) | instskip(NEXT) | instid1(VALU_DEP_1)
	v_mul_f64 v[193:194], v[195:196], v[191:192]
	v_fma_f64 v[189:190], -v[189:190], v[193:194], v[195:196]
	s_delay_alu instid0(VALU_DEP_1) | instskip(NEXT) | instid1(VALU_DEP_1)
	v_div_fmas_f64 v[189:190], v[189:190], v[191:192], v[193:194]
	v_div_fixup_f64 v[189:190], v[189:190], v[174:175], v[172:173]
	s_delay_alu instid0(VALU_DEP_1) | instskip(NEXT) | instid1(VALU_DEP_1)
	v_fma_f64 v[172:173], v[172:173], v[189:190], v[174:175]
	v_div_scale_f64 v[174:175], null, v[172:173], v[172:173], 1.0
	s_delay_alu instid0(VALU_DEP_1) | instskip(SKIP_2) | instid1(VALU_DEP_1)
	v_rcp_f64_e32 v[191:192], v[174:175]
	s_waitcnt_depctr 0xfff
	v_fma_f64 v[193:194], -v[174:175], v[191:192], 1.0
	v_fma_f64 v[191:192], v[191:192], v[193:194], v[191:192]
	s_delay_alu instid0(VALU_DEP_1) | instskip(NEXT) | instid1(VALU_DEP_1)
	v_fma_f64 v[193:194], -v[174:175], v[191:192], 1.0
	v_fma_f64 v[191:192], v[191:192], v[193:194], v[191:192]
	v_div_scale_f64 v[193:194], vcc_lo, 1.0, v[172:173], 1.0
	s_delay_alu instid0(VALU_DEP_1) | instskip(NEXT) | instid1(VALU_DEP_1)
	v_mul_f64 v[195:196], v[193:194], v[191:192]
	v_fma_f64 v[174:175], -v[174:175], v[195:196], v[193:194]
	s_delay_alu instid0(VALU_DEP_1) | instskip(NEXT) | instid1(VALU_DEP_1)
	v_div_fmas_f64 v[174:175], v[174:175], v[191:192], v[195:196]
	v_div_fixup_f64 v[174:175], v[174:175], v[172:173], 1.0
	s_delay_alu instid0(VALU_DEP_1)
	v_mul_f64 v[172:173], v[189:190], v[174:175]
	v_xor_b32_e32 v175, 0x80000000, v175
.LBB84_805:
	s_and_not1_saveexec_b32 s2, s2
	s_cbranch_execz .LBB84_807
; %bb.806:
	s_delay_alu instid0(VALU_DEP_1) | instskip(SKIP_1) | instid1(VALU_DEP_2)
	v_div_scale_f64 v[189:190], null, v[172:173], v[172:173], v[174:175]
	v_div_scale_f64 v[195:196], vcc_lo, v[174:175], v[172:173], v[174:175]
	v_rcp_f64_e32 v[191:192], v[189:190]
	s_waitcnt_depctr 0xfff
	v_fma_f64 v[193:194], -v[189:190], v[191:192], 1.0
	s_delay_alu instid0(VALU_DEP_1) | instskip(NEXT) | instid1(VALU_DEP_1)
	v_fma_f64 v[191:192], v[191:192], v[193:194], v[191:192]
	v_fma_f64 v[193:194], -v[189:190], v[191:192], 1.0
	s_delay_alu instid0(VALU_DEP_1) | instskip(NEXT) | instid1(VALU_DEP_1)
	v_fma_f64 v[191:192], v[191:192], v[193:194], v[191:192]
	v_mul_f64 v[193:194], v[195:196], v[191:192]
	s_delay_alu instid0(VALU_DEP_1) | instskip(NEXT) | instid1(VALU_DEP_1)
	v_fma_f64 v[189:190], -v[189:190], v[193:194], v[195:196]
	v_div_fmas_f64 v[189:190], v[189:190], v[191:192], v[193:194]
	s_delay_alu instid0(VALU_DEP_1) | instskip(NEXT) | instid1(VALU_DEP_1)
	v_div_fixup_f64 v[189:190], v[189:190], v[172:173], v[174:175]
	v_fma_f64 v[172:173], v[174:175], v[189:190], v[172:173]
	s_delay_alu instid0(VALU_DEP_1) | instskip(NEXT) | instid1(VALU_DEP_1)
	v_div_scale_f64 v[174:175], null, v[172:173], v[172:173], 1.0
	v_rcp_f64_e32 v[191:192], v[174:175]
	s_waitcnt_depctr 0xfff
	v_fma_f64 v[193:194], -v[174:175], v[191:192], 1.0
	s_delay_alu instid0(VALU_DEP_1) | instskip(NEXT) | instid1(VALU_DEP_1)
	v_fma_f64 v[191:192], v[191:192], v[193:194], v[191:192]
	v_fma_f64 v[193:194], -v[174:175], v[191:192], 1.0
	s_delay_alu instid0(VALU_DEP_1) | instskip(SKIP_1) | instid1(VALU_DEP_1)
	v_fma_f64 v[191:192], v[191:192], v[193:194], v[191:192]
	v_div_scale_f64 v[193:194], vcc_lo, 1.0, v[172:173], 1.0
	v_mul_f64 v[195:196], v[193:194], v[191:192]
	s_delay_alu instid0(VALU_DEP_1) | instskip(NEXT) | instid1(VALU_DEP_1)
	v_fma_f64 v[174:175], -v[174:175], v[195:196], v[193:194]
	v_div_fmas_f64 v[174:175], v[174:175], v[191:192], v[195:196]
	s_delay_alu instid0(VALU_DEP_1) | instskip(NEXT) | instid1(VALU_DEP_1)
	v_div_fixup_f64 v[172:173], v[174:175], v[172:173], 1.0
	v_mul_f64 v[174:175], v[189:190], -v[172:173]
.LBB84_807:
	s_or_b32 exec_lo, exec_lo, s2
.LBB84_808:
	s_delay_alu instid0(SALU_CYCLE_1) | instskip(NEXT) | instid1(SALU_CYCLE_1)
	s_or_b32 exec_lo, exec_lo, s3
	s_mov_b32 s2, exec_lo
	v_cmpx_ne_u32_e64 v188, v180
	s_xor_b32 s2, exec_lo, s2
	s_cbranch_execz .LBB84_814
; %bb.809:
	s_mov_b32 s3, exec_lo
	v_cmpx_eq_u32_e32 38, v188
	s_cbranch_execz .LBB84_813
; %bb.810:
	v_cmp_ne_u32_e32 vcc_lo, 38, v180
	s_xor_b32 s6, s4, -1
	s_delay_alu instid0(SALU_CYCLE_1) | instskip(NEXT) | instid1(SALU_CYCLE_1)
	s_and_b32 s7, s6, vcc_lo
	s_and_saveexec_b32 s6, s7
	s_cbranch_execz .LBB84_812
; %bb.811:
	v_ashrrev_i32_e32 v181, 31, v180
	s_delay_alu instid0(VALU_DEP_1) | instskip(NEXT) | instid1(VALU_DEP_1)
	v_lshlrev_b64 v[187:188], 2, v[180:181]
	v_add_co_u32 v187, vcc_lo, v178, v187
	s_delay_alu instid0(VALU_DEP_2)
	v_add_co_ci_u32_e32 v188, vcc_lo, v179, v188, vcc_lo
	s_clause 0x1
	flat_load_b32 v181, v[187:188]
	flat_load_b32 v189, v[178:179] offset:152
	s_waitcnt vmcnt(1) lgkmcnt(1)
	flat_store_b32 v[178:179], v181 offset:152
	s_waitcnt vmcnt(0) lgkmcnt(1)
	flat_store_b32 v[187:188], v189
.LBB84_812:
	s_or_b32 exec_lo, exec_lo, s6
	v_mov_b32_e32 v188, v180
	v_mov_b32_e32 v187, v180
.LBB84_813:
	s_or_b32 exec_lo, exec_lo, s3
.LBB84_814:
	s_and_not1_saveexec_b32 s2, s2
	s_cbranch_execz .LBB84_816
; %bb.815:
	v_mov_b32_e32 v188, 38
	ds_store_2addr_b64 v182, v[12:13], v[14:15] offset0:78 offset1:79
	ds_store_2addr_b64 v182, v[8:9], v[10:11] offset0:80 offset1:81
	ds_store_2addr_b64 v182, v[4:5], v[6:7] offset0:82 offset1:83
	ds_store_2addr_b64 v182, v[0:1], v[2:3] offset0:84 offset1:85
.LBB84_816:
	s_or_b32 exec_lo, exec_lo, s2
	s_delay_alu instid0(SALU_CYCLE_1)
	s_mov_b32 s2, exec_lo
	s_waitcnt lgkmcnt(0)
	s_waitcnt_vscnt null, 0x0
	s_barrier
	buffer_gl0_inv
	v_cmpx_lt_i32_e32 38, v188
	s_cbranch_execz .LBB84_818
; %bb.817:
	v_mul_f64 v[180:181], v[172:173], v[18:19]
	v_mul_f64 v[18:19], v[174:175], v[18:19]
	ds_load_2addr_b64 v[189:192], v182 offset0:78 offset1:79
	ds_load_2addr_b64 v[193:196], v182 offset0:80 offset1:81
	;; [unrolled: 1-line block ×4, first 2 shown]
	v_fma_f64 v[174:175], v[174:175], v[16:17], v[180:181]
	v_fma_f64 v[16:17], v[172:173], v[16:17], -v[18:19]
	s_waitcnt lgkmcnt(3)
	s_delay_alu instid0(VALU_DEP_2)
	v_mul_f64 v[18:19], v[191:192], v[174:175]
	v_mul_f64 v[172:173], v[189:190], v[174:175]
	s_waitcnt lgkmcnt(2)
	v_mul_f64 v[180:181], v[195:196], v[174:175]
	v_mul_f64 v[205:206], v[193:194], v[174:175]
	s_waitcnt lgkmcnt(1)
	;; [unrolled: 3-line block ×3, first 2 shown]
	v_mul_f64 v[211:212], v[203:204], v[174:175]
	v_mul_f64 v[213:214], v[201:202], v[174:175]
	v_fma_f64 v[18:19], v[189:190], v[16:17], -v[18:19]
	v_fma_f64 v[172:173], v[191:192], v[16:17], v[172:173]
	v_fma_f64 v[180:181], v[193:194], v[16:17], -v[180:181]
	v_fma_f64 v[189:190], v[195:196], v[16:17], v[205:206]
	;; [unrolled: 2-line block ×4, first 2 shown]
	v_add_f64 v[12:13], v[12:13], -v[18:19]
	v_add_f64 v[14:15], v[14:15], -v[172:173]
	;; [unrolled: 1-line block ×8, first 2 shown]
	v_dual_mov_b32 v18, v174 :: v_dual_mov_b32 v19, v175
.LBB84_818:
	s_or_b32 exec_lo, exec_lo, s2
	v_lshl_add_u32 v172, v188, 4, v182
	s_barrier
	buffer_gl0_inv
	v_mov_b32_e32 v180, 39
	ds_store_2addr_b64 v172, v[12:13], v[14:15] offset1:1
	s_waitcnt lgkmcnt(0)
	s_barrier
	buffer_gl0_inv
	ds_load_2addr_b64 v[172:175], v182 offset0:78 offset1:79
	s_cmp_lt_i32 s5, 41
	s_cbranch_scc1 .LBB84_821
; %bb.819:
	v_add3_u32 v181, v186, 0, 0x280
	v_mov_b32_e32 v180, 39
	s_mov_b32 s6, 40
	s_set_inst_prefetch_distance 0x1
	.p2align	6
.LBB84_820:                             ; =>This Inner Loop Header: Depth=1
	ds_load_2addr_b64 v[189:192], v181 offset1:1
	s_waitcnt lgkmcnt(1)
	v_cmp_gt_f64_e32 vcc_lo, 0, v[172:173]
	v_xor_b32_e32 v193, 0x80000000, v173
	v_cmp_gt_f64_e64 s2, 0, v[174:175]
	v_xor_b32_e32 v195, 0x80000000, v175
	v_add_nc_u32_e32 v181, 16, v181
	s_waitcnt lgkmcnt(0)
	v_cmp_gt_f64_e64 s3, 0, v[189:190]
	v_mov_b32_e32 v197, v189
	v_dual_mov_b32 v199, v191 :: v_dual_cndmask_b32 v194, v173, v193
	v_xor_b32_e32 v193, 0x80000000, v190
	v_cndmask_b32_e64 v196, v175, v195, s2
	v_xor_b32_e32 v195, 0x80000000, v192
	s_delay_alu instid0(VALU_DEP_3) | instskip(SKIP_2) | instid1(VALU_DEP_2)
	v_cndmask_b32_e64 v198, v190, v193, s3
	v_cmp_gt_f64_e64 s3, 0, v[191:192]
	v_cndmask_b32_e32 v193, v172, v172, vcc_lo
	v_cndmask_b32_e64 v200, v192, v195, s3
	v_cndmask_b32_e64 v195, v174, v174, s2
	s_delay_alu instid0(VALU_DEP_2) | instskip(NEXT) | instid1(VALU_DEP_2)
	v_add_f64 v[197:198], v[197:198], v[199:200]
	v_add_f64 v[193:194], v[193:194], v[195:196]
	s_delay_alu instid0(VALU_DEP_1) | instskip(SKIP_4) | instid1(SALU_CYCLE_1)
	v_cmp_lt_f64_e32 vcc_lo, v[193:194], v[197:198]
	v_dual_cndmask_b32 v174, v174, v191 :: v_dual_cndmask_b32 v173, v173, v190
	v_dual_cndmask_b32 v172, v172, v189 :: v_dual_cndmask_b32 v175, v175, v192
	v_cndmask_b32_e64 v180, v180, s6, vcc_lo
	s_add_i32 s6, s6, 1
	s_cmp_lg_u32 s5, s6
	s_cbranch_scc1 .LBB84_820
.LBB84_821:
	s_set_inst_prefetch_distance 0x2
	s_waitcnt lgkmcnt(0)
	v_cmp_eq_f64_e32 vcc_lo, 0, v[172:173]
	v_cmp_eq_f64_e64 s2, 0, v[174:175]
	s_delay_alu instid0(VALU_DEP_1) | instskip(NEXT) | instid1(SALU_CYCLE_1)
	s_and_b32 s2, vcc_lo, s2
	s_and_saveexec_b32 s3, s2
	s_delay_alu instid0(SALU_CYCLE_1)
	s_xor_b32 s2, exec_lo, s3
; %bb.822:
	v_cmp_ne_u32_e32 vcc_lo, 0, v185
	v_cndmask_b32_e32 v185, 40, v185, vcc_lo
; %bb.823:
	s_and_not1_saveexec_b32 s3, s2
	s_cbranch_execz .LBB84_829
; %bb.824:
	v_cmp_gt_f64_e32 vcc_lo, 0, v[172:173]
	v_cmp_gt_f64_e64 s2, 0, v[174:175]
	v_xor_b32_e32 v181, 0x80000000, v173
	v_xor_b32_e32 v189, 0x80000000, v175
	s_delay_alu instid0(VALU_DEP_2) | instskip(NEXT) | instid1(VALU_DEP_2)
	v_cndmask_b32_e32 v190, v173, v181, vcc_lo
	v_cndmask_b32_e64 v192, v175, v189, s2
	v_cndmask_b32_e32 v189, v172, v172, vcc_lo
	v_cndmask_b32_e64 v191, v174, v174, s2
	s_mov_b32 s2, exec_lo
	s_delay_alu instid0(VALU_DEP_1)
	v_cmpx_ngt_f64_e32 v[189:190], v[191:192]
	s_xor_b32 s2, exec_lo, s2
	s_cbranch_execz .LBB84_826
; %bb.825:
	v_div_scale_f64 v[189:190], null, v[174:175], v[174:175], v[172:173]
	v_div_scale_f64 v[195:196], vcc_lo, v[172:173], v[174:175], v[172:173]
	s_delay_alu instid0(VALU_DEP_2) | instskip(SKIP_2) | instid1(VALU_DEP_1)
	v_rcp_f64_e32 v[191:192], v[189:190]
	s_waitcnt_depctr 0xfff
	v_fma_f64 v[193:194], -v[189:190], v[191:192], 1.0
	v_fma_f64 v[191:192], v[191:192], v[193:194], v[191:192]
	s_delay_alu instid0(VALU_DEP_1) | instskip(NEXT) | instid1(VALU_DEP_1)
	v_fma_f64 v[193:194], -v[189:190], v[191:192], 1.0
	v_fma_f64 v[191:192], v[191:192], v[193:194], v[191:192]
	s_delay_alu instid0(VALU_DEP_1) | instskip(NEXT) | instid1(VALU_DEP_1)
	v_mul_f64 v[193:194], v[195:196], v[191:192]
	v_fma_f64 v[189:190], -v[189:190], v[193:194], v[195:196]
	s_delay_alu instid0(VALU_DEP_1) | instskip(NEXT) | instid1(VALU_DEP_1)
	v_div_fmas_f64 v[189:190], v[189:190], v[191:192], v[193:194]
	v_div_fixup_f64 v[189:190], v[189:190], v[174:175], v[172:173]
	s_delay_alu instid0(VALU_DEP_1) | instskip(NEXT) | instid1(VALU_DEP_1)
	v_fma_f64 v[172:173], v[172:173], v[189:190], v[174:175]
	v_div_scale_f64 v[174:175], null, v[172:173], v[172:173], 1.0
	s_delay_alu instid0(VALU_DEP_1) | instskip(SKIP_2) | instid1(VALU_DEP_1)
	v_rcp_f64_e32 v[191:192], v[174:175]
	s_waitcnt_depctr 0xfff
	v_fma_f64 v[193:194], -v[174:175], v[191:192], 1.0
	v_fma_f64 v[191:192], v[191:192], v[193:194], v[191:192]
	s_delay_alu instid0(VALU_DEP_1) | instskip(NEXT) | instid1(VALU_DEP_1)
	v_fma_f64 v[193:194], -v[174:175], v[191:192], 1.0
	v_fma_f64 v[191:192], v[191:192], v[193:194], v[191:192]
	v_div_scale_f64 v[193:194], vcc_lo, 1.0, v[172:173], 1.0
	s_delay_alu instid0(VALU_DEP_1) | instskip(NEXT) | instid1(VALU_DEP_1)
	v_mul_f64 v[195:196], v[193:194], v[191:192]
	v_fma_f64 v[174:175], -v[174:175], v[195:196], v[193:194]
	s_delay_alu instid0(VALU_DEP_1) | instskip(NEXT) | instid1(VALU_DEP_1)
	v_div_fmas_f64 v[174:175], v[174:175], v[191:192], v[195:196]
	v_div_fixup_f64 v[174:175], v[174:175], v[172:173], 1.0
	s_delay_alu instid0(VALU_DEP_1)
	v_mul_f64 v[172:173], v[189:190], v[174:175]
	v_xor_b32_e32 v175, 0x80000000, v175
.LBB84_826:
	s_and_not1_saveexec_b32 s2, s2
	s_cbranch_execz .LBB84_828
; %bb.827:
	s_delay_alu instid0(VALU_DEP_1) | instskip(SKIP_1) | instid1(VALU_DEP_2)
	v_div_scale_f64 v[189:190], null, v[172:173], v[172:173], v[174:175]
	v_div_scale_f64 v[195:196], vcc_lo, v[174:175], v[172:173], v[174:175]
	v_rcp_f64_e32 v[191:192], v[189:190]
	s_waitcnt_depctr 0xfff
	v_fma_f64 v[193:194], -v[189:190], v[191:192], 1.0
	s_delay_alu instid0(VALU_DEP_1) | instskip(NEXT) | instid1(VALU_DEP_1)
	v_fma_f64 v[191:192], v[191:192], v[193:194], v[191:192]
	v_fma_f64 v[193:194], -v[189:190], v[191:192], 1.0
	s_delay_alu instid0(VALU_DEP_1) | instskip(NEXT) | instid1(VALU_DEP_1)
	v_fma_f64 v[191:192], v[191:192], v[193:194], v[191:192]
	v_mul_f64 v[193:194], v[195:196], v[191:192]
	s_delay_alu instid0(VALU_DEP_1) | instskip(NEXT) | instid1(VALU_DEP_1)
	v_fma_f64 v[189:190], -v[189:190], v[193:194], v[195:196]
	v_div_fmas_f64 v[189:190], v[189:190], v[191:192], v[193:194]
	s_delay_alu instid0(VALU_DEP_1) | instskip(NEXT) | instid1(VALU_DEP_1)
	v_div_fixup_f64 v[189:190], v[189:190], v[172:173], v[174:175]
	v_fma_f64 v[172:173], v[174:175], v[189:190], v[172:173]
	s_delay_alu instid0(VALU_DEP_1) | instskip(NEXT) | instid1(VALU_DEP_1)
	v_div_scale_f64 v[174:175], null, v[172:173], v[172:173], 1.0
	v_rcp_f64_e32 v[191:192], v[174:175]
	s_waitcnt_depctr 0xfff
	v_fma_f64 v[193:194], -v[174:175], v[191:192], 1.0
	s_delay_alu instid0(VALU_DEP_1) | instskip(NEXT) | instid1(VALU_DEP_1)
	v_fma_f64 v[191:192], v[191:192], v[193:194], v[191:192]
	v_fma_f64 v[193:194], -v[174:175], v[191:192], 1.0
	s_delay_alu instid0(VALU_DEP_1) | instskip(SKIP_1) | instid1(VALU_DEP_1)
	v_fma_f64 v[191:192], v[191:192], v[193:194], v[191:192]
	v_div_scale_f64 v[193:194], vcc_lo, 1.0, v[172:173], 1.0
	v_mul_f64 v[195:196], v[193:194], v[191:192]
	s_delay_alu instid0(VALU_DEP_1) | instskip(NEXT) | instid1(VALU_DEP_1)
	v_fma_f64 v[174:175], -v[174:175], v[195:196], v[193:194]
	v_div_fmas_f64 v[174:175], v[174:175], v[191:192], v[195:196]
	s_delay_alu instid0(VALU_DEP_1) | instskip(NEXT) | instid1(VALU_DEP_1)
	v_div_fixup_f64 v[172:173], v[174:175], v[172:173], 1.0
	v_mul_f64 v[174:175], v[189:190], -v[172:173]
.LBB84_828:
	s_or_b32 exec_lo, exec_lo, s2
.LBB84_829:
	s_delay_alu instid0(SALU_CYCLE_1) | instskip(NEXT) | instid1(SALU_CYCLE_1)
	s_or_b32 exec_lo, exec_lo, s3
	s_mov_b32 s2, exec_lo
	v_cmpx_ne_u32_e64 v188, v180
	s_xor_b32 s2, exec_lo, s2
	s_cbranch_execz .LBB84_835
; %bb.830:
	s_mov_b32 s3, exec_lo
	v_cmpx_eq_u32_e32 39, v188
	s_cbranch_execz .LBB84_834
; %bb.831:
	v_cmp_ne_u32_e32 vcc_lo, 39, v180
	s_xor_b32 s6, s4, -1
	s_delay_alu instid0(SALU_CYCLE_1) | instskip(NEXT) | instid1(SALU_CYCLE_1)
	s_and_b32 s7, s6, vcc_lo
	s_and_saveexec_b32 s6, s7
	s_cbranch_execz .LBB84_833
; %bb.832:
	v_ashrrev_i32_e32 v181, 31, v180
	s_delay_alu instid0(VALU_DEP_1) | instskip(NEXT) | instid1(VALU_DEP_1)
	v_lshlrev_b64 v[187:188], 2, v[180:181]
	v_add_co_u32 v187, vcc_lo, v178, v187
	s_delay_alu instid0(VALU_DEP_2)
	v_add_co_ci_u32_e32 v188, vcc_lo, v179, v188, vcc_lo
	s_clause 0x1
	flat_load_b32 v181, v[187:188]
	flat_load_b32 v189, v[178:179] offset:156
	s_waitcnt vmcnt(1) lgkmcnt(1)
	flat_store_b32 v[178:179], v181 offset:156
	s_waitcnt vmcnt(0) lgkmcnt(1)
	flat_store_b32 v[187:188], v189
.LBB84_833:
	s_or_b32 exec_lo, exec_lo, s6
	v_mov_b32_e32 v188, v180
	v_mov_b32_e32 v187, v180
.LBB84_834:
	s_or_b32 exec_lo, exec_lo, s3
.LBB84_835:
	s_and_not1_saveexec_b32 s2, s2
	s_cbranch_execz .LBB84_837
; %bb.836:
	v_mov_b32_e32 v188, 39
	ds_store_2addr_b64 v182, v[8:9], v[10:11] offset0:80 offset1:81
	ds_store_2addr_b64 v182, v[4:5], v[6:7] offset0:82 offset1:83
	;; [unrolled: 1-line block ×3, first 2 shown]
.LBB84_837:
	s_or_b32 exec_lo, exec_lo, s2
	s_delay_alu instid0(SALU_CYCLE_1)
	s_mov_b32 s2, exec_lo
	s_waitcnt lgkmcnt(0)
	s_waitcnt_vscnt null, 0x0
	s_barrier
	buffer_gl0_inv
	v_cmpx_lt_i32_e32 39, v188
	s_cbranch_execz .LBB84_839
; %bb.838:
	v_mul_f64 v[180:181], v[172:173], v[14:15]
	v_mul_f64 v[14:15], v[174:175], v[14:15]
	ds_load_2addr_b64 v[189:192], v182 offset0:80 offset1:81
	ds_load_2addr_b64 v[193:196], v182 offset0:82 offset1:83
	;; [unrolled: 1-line block ×3, first 2 shown]
	v_fma_f64 v[174:175], v[174:175], v[12:13], v[180:181]
	v_fma_f64 v[12:13], v[172:173], v[12:13], -v[14:15]
	s_waitcnt lgkmcnt(2)
	s_delay_alu instid0(VALU_DEP_2)
	v_mul_f64 v[14:15], v[191:192], v[174:175]
	v_mul_f64 v[172:173], v[189:190], v[174:175]
	s_waitcnt lgkmcnt(1)
	v_mul_f64 v[180:181], v[195:196], v[174:175]
	v_mul_f64 v[201:202], v[193:194], v[174:175]
	s_waitcnt lgkmcnt(0)
	v_mul_f64 v[203:204], v[199:200], v[174:175]
	v_mul_f64 v[205:206], v[197:198], v[174:175]
	v_fma_f64 v[14:15], v[189:190], v[12:13], -v[14:15]
	v_fma_f64 v[172:173], v[191:192], v[12:13], v[172:173]
	v_fma_f64 v[180:181], v[193:194], v[12:13], -v[180:181]
	v_fma_f64 v[189:190], v[195:196], v[12:13], v[201:202]
	;; [unrolled: 2-line block ×3, first 2 shown]
	v_add_f64 v[8:9], v[8:9], -v[14:15]
	v_add_f64 v[10:11], v[10:11], -v[172:173]
	;; [unrolled: 1-line block ×6, first 2 shown]
	v_dual_mov_b32 v14, v174 :: v_dual_mov_b32 v15, v175
.LBB84_839:
	s_or_b32 exec_lo, exec_lo, s2
	v_lshl_add_u32 v172, v188, 4, v182
	s_barrier
	buffer_gl0_inv
	v_mov_b32_e32 v180, 40
	ds_store_2addr_b64 v172, v[8:9], v[10:11] offset1:1
	s_waitcnt lgkmcnt(0)
	s_barrier
	buffer_gl0_inv
	ds_load_2addr_b64 v[172:175], v182 offset0:80 offset1:81
	s_cmp_lt_i32 s5, 42
	s_cbranch_scc1 .LBB84_842
; %bb.840:
	v_add3_u32 v181, v186, 0, 0x290
	v_mov_b32_e32 v180, 40
	s_mov_b32 s6, 41
	s_set_inst_prefetch_distance 0x1
	.p2align	6
.LBB84_841:                             ; =>This Inner Loop Header: Depth=1
	ds_load_2addr_b64 v[189:192], v181 offset1:1
	s_waitcnt lgkmcnt(1)
	v_cmp_gt_f64_e32 vcc_lo, 0, v[172:173]
	v_xor_b32_e32 v193, 0x80000000, v173
	v_cmp_gt_f64_e64 s2, 0, v[174:175]
	v_xor_b32_e32 v195, 0x80000000, v175
	v_add_nc_u32_e32 v181, 16, v181
	s_waitcnt lgkmcnt(0)
	v_cmp_gt_f64_e64 s3, 0, v[189:190]
	v_mov_b32_e32 v197, v189
	v_dual_mov_b32 v199, v191 :: v_dual_cndmask_b32 v194, v173, v193
	v_xor_b32_e32 v193, 0x80000000, v190
	v_cndmask_b32_e64 v196, v175, v195, s2
	v_xor_b32_e32 v195, 0x80000000, v192
	s_delay_alu instid0(VALU_DEP_3) | instskip(SKIP_2) | instid1(VALU_DEP_2)
	v_cndmask_b32_e64 v198, v190, v193, s3
	v_cmp_gt_f64_e64 s3, 0, v[191:192]
	v_cndmask_b32_e32 v193, v172, v172, vcc_lo
	v_cndmask_b32_e64 v200, v192, v195, s3
	v_cndmask_b32_e64 v195, v174, v174, s2
	s_delay_alu instid0(VALU_DEP_2) | instskip(NEXT) | instid1(VALU_DEP_2)
	v_add_f64 v[197:198], v[197:198], v[199:200]
	v_add_f64 v[193:194], v[193:194], v[195:196]
	s_delay_alu instid0(VALU_DEP_1) | instskip(SKIP_4) | instid1(SALU_CYCLE_1)
	v_cmp_lt_f64_e32 vcc_lo, v[193:194], v[197:198]
	v_dual_cndmask_b32 v174, v174, v191 :: v_dual_cndmask_b32 v173, v173, v190
	v_dual_cndmask_b32 v172, v172, v189 :: v_dual_cndmask_b32 v175, v175, v192
	v_cndmask_b32_e64 v180, v180, s6, vcc_lo
	s_add_i32 s6, s6, 1
	s_cmp_lg_u32 s5, s6
	s_cbranch_scc1 .LBB84_841
.LBB84_842:
	s_set_inst_prefetch_distance 0x2
	s_waitcnt lgkmcnt(0)
	v_cmp_eq_f64_e32 vcc_lo, 0, v[172:173]
	v_cmp_eq_f64_e64 s2, 0, v[174:175]
	s_delay_alu instid0(VALU_DEP_1) | instskip(NEXT) | instid1(SALU_CYCLE_1)
	s_and_b32 s2, vcc_lo, s2
	s_and_saveexec_b32 s3, s2
	s_delay_alu instid0(SALU_CYCLE_1)
	s_xor_b32 s2, exec_lo, s3
; %bb.843:
	v_cmp_ne_u32_e32 vcc_lo, 0, v185
	v_cndmask_b32_e32 v185, 41, v185, vcc_lo
; %bb.844:
	s_and_not1_saveexec_b32 s3, s2
	s_cbranch_execz .LBB84_850
; %bb.845:
	v_cmp_gt_f64_e32 vcc_lo, 0, v[172:173]
	v_cmp_gt_f64_e64 s2, 0, v[174:175]
	v_xor_b32_e32 v181, 0x80000000, v173
	v_xor_b32_e32 v189, 0x80000000, v175
	s_delay_alu instid0(VALU_DEP_2) | instskip(NEXT) | instid1(VALU_DEP_2)
	v_cndmask_b32_e32 v190, v173, v181, vcc_lo
	v_cndmask_b32_e64 v192, v175, v189, s2
	v_cndmask_b32_e32 v189, v172, v172, vcc_lo
	v_cndmask_b32_e64 v191, v174, v174, s2
	s_mov_b32 s2, exec_lo
	s_delay_alu instid0(VALU_DEP_1)
	v_cmpx_ngt_f64_e32 v[189:190], v[191:192]
	s_xor_b32 s2, exec_lo, s2
	s_cbranch_execz .LBB84_847
; %bb.846:
	v_div_scale_f64 v[189:190], null, v[174:175], v[174:175], v[172:173]
	v_div_scale_f64 v[195:196], vcc_lo, v[172:173], v[174:175], v[172:173]
	s_delay_alu instid0(VALU_DEP_2) | instskip(SKIP_2) | instid1(VALU_DEP_1)
	v_rcp_f64_e32 v[191:192], v[189:190]
	s_waitcnt_depctr 0xfff
	v_fma_f64 v[193:194], -v[189:190], v[191:192], 1.0
	v_fma_f64 v[191:192], v[191:192], v[193:194], v[191:192]
	s_delay_alu instid0(VALU_DEP_1) | instskip(NEXT) | instid1(VALU_DEP_1)
	v_fma_f64 v[193:194], -v[189:190], v[191:192], 1.0
	v_fma_f64 v[191:192], v[191:192], v[193:194], v[191:192]
	s_delay_alu instid0(VALU_DEP_1) | instskip(NEXT) | instid1(VALU_DEP_1)
	v_mul_f64 v[193:194], v[195:196], v[191:192]
	v_fma_f64 v[189:190], -v[189:190], v[193:194], v[195:196]
	s_delay_alu instid0(VALU_DEP_1) | instskip(NEXT) | instid1(VALU_DEP_1)
	v_div_fmas_f64 v[189:190], v[189:190], v[191:192], v[193:194]
	v_div_fixup_f64 v[189:190], v[189:190], v[174:175], v[172:173]
	s_delay_alu instid0(VALU_DEP_1) | instskip(NEXT) | instid1(VALU_DEP_1)
	v_fma_f64 v[172:173], v[172:173], v[189:190], v[174:175]
	v_div_scale_f64 v[174:175], null, v[172:173], v[172:173], 1.0
	s_delay_alu instid0(VALU_DEP_1) | instskip(SKIP_2) | instid1(VALU_DEP_1)
	v_rcp_f64_e32 v[191:192], v[174:175]
	s_waitcnt_depctr 0xfff
	v_fma_f64 v[193:194], -v[174:175], v[191:192], 1.0
	v_fma_f64 v[191:192], v[191:192], v[193:194], v[191:192]
	s_delay_alu instid0(VALU_DEP_1) | instskip(NEXT) | instid1(VALU_DEP_1)
	v_fma_f64 v[193:194], -v[174:175], v[191:192], 1.0
	v_fma_f64 v[191:192], v[191:192], v[193:194], v[191:192]
	v_div_scale_f64 v[193:194], vcc_lo, 1.0, v[172:173], 1.0
	s_delay_alu instid0(VALU_DEP_1) | instskip(NEXT) | instid1(VALU_DEP_1)
	v_mul_f64 v[195:196], v[193:194], v[191:192]
	v_fma_f64 v[174:175], -v[174:175], v[195:196], v[193:194]
	s_delay_alu instid0(VALU_DEP_1) | instskip(NEXT) | instid1(VALU_DEP_1)
	v_div_fmas_f64 v[174:175], v[174:175], v[191:192], v[195:196]
	v_div_fixup_f64 v[174:175], v[174:175], v[172:173], 1.0
	s_delay_alu instid0(VALU_DEP_1)
	v_mul_f64 v[172:173], v[189:190], v[174:175]
	v_xor_b32_e32 v175, 0x80000000, v175
.LBB84_847:
	s_and_not1_saveexec_b32 s2, s2
	s_cbranch_execz .LBB84_849
; %bb.848:
	s_delay_alu instid0(VALU_DEP_1) | instskip(SKIP_1) | instid1(VALU_DEP_2)
	v_div_scale_f64 v[189:190], null, v[172:173], v[172:173], v[174:175]
	v_div_scale_f64 v[195:196], vcc_lo, v[174:175], v[172:173], v[174:175]
	v_rcp_f64_e32 v[191:192], v[189:190]
	s_waitcnt_depctr 0xfff
	v_fma_f64 v[193:194], -v[189:190], v[191:192], 1.0
	s_delay_alu instid0(VALU_DEP_1) | instskip(NEXT) | instid1(VALU_DEP_1)
	v_fma_f64 v[191:192], v[191:192], v[193:194], v[191:192]
	v_fma_f64 v[193:194], -v[189:190], v[191:192], 1.0
	s_delay_alu instid0(VALU_DEP_1) | instskip(NEXT) | instid1(VALU_DEP_1)
	v_fma_f64 v[191:192], v[191:192], v[193:194], v[191:192]
	v_mul_f64 v[193:194], v[195:196], v[191:192]
	s_delay_alu instid0(VALU_DEP_1) | instskip(NEXT) | instid1(VALU_DEP_1)
	v_fma_f64 v[189:190], -v[189:190], v[193:194], v[195:196]
	v_div_fmas_f64 v[189:190], v[189:190], v[191:192], v[193:194]
	s_delay_alu instid0(VALU_DEP_1) | instskip(NEXT) | instid1(VALU_DEP_1)
	v_div_fixup_f64 v[189:190], v[189:190], v[172:173], v[174:175]
	v_fma_f64 v[172:173], v[174:175], v[189:190], v[172:173]
	s_delay_alu instid0(VALU_DEP_1) | instskip(NEXT) | instid1(VALU_DEP_1)
	v_div_scale_f64 v[174:175], null, v[172:173], v[172:173], 1.0
	v_rcp_f64_e32 v[191:192], v[174:175]
	s_waitcnt_depctr 0xfff
	v_fma_f64 v[193:194], -v[174:175], v[191:192], 1.0
	s_delay_alu instid0(VALU_DEP_1) | instskip(NEXT) | instid1(VALU_DEP_1)
	v_fma_f64 v[191:192], v[191:192], v[193:194], v[191:192]
	v_fma_f64 v[193:194], -v[174:175], v[191:192], 1.0
	s_delay_alu instid0(VALU_DEP_1) | instskip(SKIP_1) | instid1(VALU_DEP_1)
	v_fma_f64 v[191:192], v[191:192], v[193:194], v[191:192]
	v_div_scale_f64 v[193:194], vcc_lo, 1.0, v[172:173], 1.0
	v_mul_f64 v[195:196], v[193:194], v[191:192]
	s_delay_alu instid0(VALU_DEP_1) | instskip(NEXT) | instid1(VALU_DEP_1)
	v_fma_f64 v[174:175], -v[174:175], v[195:196], v[193:194]
	v_div_fmas_f64 v[174:175], v[174:175], v[191:192], v[195:196]
	s_delay_alu instid0(VALU_DEP_1) | instskip(NEXT) | instid1(VALU_DEP_1)
	v_div_fixup_f64 v[172:173], v[174:175], v[172:173], 1.0
	v_mul_f64 v[174:175], v[189:190], -v[172:173]
.LBB84_849:
	s_or_b32 exec_lo, exec_lo, s2
.LBB84_850:
	s_delay_alu instid0(SALU_CYCLE_1) | instskip(NEXT) | instid1(SALU_CYCLE_1)
	s_or_b32 exec_lo, exec_lo, s3
	s_mov_b32 s2, exec_lo
	v_cmpx_ne_u32_e64 v188, v180
	s_xor_b32 s2, exec_lo, s2
	s_cbranch_execz .LBB84_856
; %bb.851:
	s_mov_b32 s3, exec_lo
	v_cmpx_eq_u32_e32 40, v188
	s_cbranch_execz .LBB84_855
; %bb.852:
	v_cmp_ne_u32_e32 vcc_lo, 40, v180
	s_xor_b32 s6, s4, -1
	s_delay_alu instid0(SALU_CYCLE_1) | instskip(NEXT) | instid1(SALU_CYCLE_1)
	s_and_b32 s7, s6, vcc_lo
	s_and_saveexec_b32 s6, s7
	s_cbranch_execz .LBB84_854
; %bb.853:
	v_ashrrev_i32_e32 v181, 31, v180
	s_delay_alu instid0(VALU_DEP_1) | instskip(NEXT) | instid1(VALU_DEP_1)
	v_lshlrev_b64 v[187:188], 2, v[180:181]
	v_add_co_u32 v187, vcc_lo, v178, v187
	s_delay_alu instid0(VALU_DEP_2)
	v_add_co_ci_u32_e32 v188, vcc_lo, v179, v188, vcc_lo
	s_clause 0x1
	flat_load_b32 v181, v[187:188]
	flat_load_b32 v189, v[178:179] offset:160
	s_waitcnt vmcnt(1) lgkmcnt(1)
	flat_store_b32 v[178:179], v181 offset:160
	s_waitcnt vmcnt(0) lgkmcnt(1)
	flat_store_b32 v[187:188], v189
.LBB84_854:
	s_or_b32 exec_lo, exec_lo, s6
	v_mov_b32_e32 v188, v180
	v_mov_b32_e32 v187, v180
.LBB84_855:
	s_or_b32 exec_lo, exec_lo, s3
.LBB84_856:
	s_and_not1_saveexec_b32 s2, s2
	s_cbranch_execz .LBB84_858
; %bb.857:
	v_mov_b32_e32 v188, 40
	ds_store_2addr_b64 v182, v[4:5], v[6:7] offset0:82 offset1:83
	ds_store_2addr_b64 v182, v[0:1], v[2:3] offset0:84 offset1:85
.LBB84_858:
	s_or_b32 exec_lo, exec_lo, s2
	s_delay_alu instid0(SALU_CYCLE_1)
	s_mov_b32 s2, exec_lo
	s_waitcnt lgkmcnt(0)
	s_waitcnt_vscnt null, 0x0
	s_barrier
	buffer_gl0_inv
	v_cmpx_lt_i32_e32 40, v188
	s_cbranch_execz .LBB84_860
; %bb.859:
	v_mul_f64 v[180:181], v[172:173], v[10:11]
	v_mul_f64 v[10:11], v[174:175], v[10:11]
	ds_load_2addr_b64 v[189:192], v182 offset0:82 offset1:83
	ds_load_2addr_b64 v[193:196], v182 offset0:84 offset1:85
	v_fma_f64 v[174:175], v[174:175], v[8:9], v[180:181]
	v_fma_f64 v[8:9], v[172:173], v[8:9], -v[10:11]
	s_waitcnt lgkmcnt(1)
	s_delay_alu instid0(VALU_DEP_2) | instskip(SKIP_4) | instid1(VALU_DEP_4)
	v_mul_f64 v[10:11], v[191:192], v[174:175]
	v_mul_f64 v[172:173], v[189:190], v[174:175]
	s_waitcnt lgkmcnt(0)
	v_mul_f64 v[180:181], v[195:196], v[174:175]
	v_mul_f64 v[197:198], v[193:194], v[174:175]
	v_fma_f64 v[10:11], v[189:190], v[8:9], -v[10:11]
	s_delay_alu instid0(VALU_DEP_4) | instskip(NEXT) | instid1(VALU_DEP_4)
	v_fma_f64 v[172:173], v[191:192], v[8:9], v[172:173]
	v_fma_f64 v[180:181], v[193:194], v[8:9], -v[180:181]
	s_delay_alu instid0(VALU_DEP_4) | instskip(NEXT) | instid1(VALU_DEP_4)
	v_fma_f64 v[189:190], v[195:196], v[8:9], v[197:198]
	v_add_f64 v[4:5], v[4:5], -v[10:11]
	s_delay_alu instid0(VALU_DEP_4) | instskip(NEXT) | instid1(VALU_DEP_4)
	v_add_f64 v[6:7], v[6:7], -v[172:173]
	v_add_f64 v[0:1], v[0:1], -v[180:181]
	s_delay_alu instid0(VALU_DEP_4)
	v_add_f64 v[2:3], v[2:3], -v[189:190]
	v_dual_mov_b32 v10, v174 :: v_dual_mov_b32 v11, v175
.LBB84_860:
	s_or_b32 exec_lo, exec_lo, s2
	v_lshl_add_u32 v172, v188, 4, v182
	s_barrier
	buffer_gl0_inv
	v_mov_b32_e32 v180, 41
	ds_store_2addr_b64 v172, v[4:5], v[6:7] offset1:1
	s_waitcnt lgkmcnt(0)
	s_barrier
	buffer_gl0_inv
	ds_load_2addr_b64 v[172:175], v182 offset0:82 offset1:83
	s_cmp_lt_i32 s5, 43
	s_cbranch_scc1 .LBB84_863
; %bb.861:
	v_add3_u32 v181, v186, 0, 0x2a0
	v_mov_b32_e32 v180, 41
	s_mov_b32 s6, 42
	s_set_inst_prefetch_distance 0x1
	.p2align	6
.LBB84_862:                             ; =>This Inner Loop Header: Depth=1
	ds_load_2addr_b64 v[189:192], v181 offset1:1
	s_waitcnt lgkmcnt(1)
	v_cmp_gt_f64_e32 vcc_lo, 0, v[172:173]
	v_xor_b32_e32 v193, 0x80000000, v173
	v_cmp_gt_f64_e64 s2, 0, v[174:175]
	v_xor_b32_e32 v195, 0x80000000, v175
	v_add_nc_u32_e32 v181, 16, v181
	s_waitcnt lgkmcnt(0)
	v_cmp_gt_f64_e64 s3, 0, v[189:190]
	v_mov_b32_e32 v197, v189
	v_dual_mov_b32 v199, v191 :: v_dual_cndmask_b32 v194, v173, v193
	v_xor_b32_e32 v193, 0x80000000, v190
	v_cndmask_b32_e64 v196, v175, v195, s2
	v_xor_b32_e32 v195, 0x80000000, v192
	s_delay_alu instid0(VALU_DEP_3) | instskip(SKIP_2) | instid1(VALU_DEP_2)
	v_cndmask_b32_e64 v198, v190, v193, s3
	v_cmp_gt_f64_e64 s3, 0, v[191:192]
	v_cndmask_b32_e32 v193, v172, v172, vcc_lo
	v_cndmask_b32_e64 v200, v192, v195, s3
	v_cndmask_b32_e64 v195, v174, v174, s2
	s_delay_alu instid0(VALU_DEP_2) | instskip(NEXT) | instid1(VALU_DEP_2)
	v_add_f64 v[197:198], v[197:198], v[199:200]
	v_add_f64 v[193:194], v[193:194], v[195:196]
	s_delay_alu instid0(VALU_DEP_1) | instskip(SKIP_4) | instid1(SALU_CYCLE_1)
	v_cmp_lt_f64_e32 vcc_lo, v[193:194], v[197:198]
	v_dual_cndmask_b32 v174, v174, v191 :: v_dual_cndmask_b32 v173, v173, v190
	v_dual_cndmask_b32 v172, v172, v189 :: v_dual_cndmask_b32 v175, v175, v192
	v_cndmask_b32_e64 v180, v180, s6, vcc_lo
	s_add_i32 s6, s6, 1
	s_cmp_lg_u32 s5, s6
	s_cbranch_scc1 .LBB84_862
.LBB84_863:
	s_set_inst_prefetch_distance 0x2
	s_waitcnt lgkmcnt(0)
	v_cmp_eq_f64_e32 vcc_lo, 0, v[172:173]
	v_cmp_eq_f64_e64 s2, 0, v[174:175]
	s_delay_alu instid0(VALU_DEP_1) | instskip(NEXT) | instid1(SALU_CYCLE_1)
	s_and_b32 s2, vcc_lo, s2
	s_and_saveexec_b32 s3, s2
	s_delay_alu instid0(SALU_CYCLE_1)
	s_xor_b32 s2, exec_lo, s3
; %bb.864:
	v_cmp_ne_u32_e32 vcc_lo, 0, v185
	v_cndmask_b32_e32 v185, 42, v185, vcc_lo
; %bb.865:
	s_and_not1_saveexec_b32 s3, s2
	s_cbranch_execz .LBB84_871
; %bb.866:
	v_cmp_gt_f64_e32 vcc_lo, 0, v[172:173]
	v_cmp_gt_f64_e64 s2, 0, v[174:175]
	v_xor_b32_e32 v181, 0x80000000, v173
	v_xor_b32_e32 v189, 0x80000000, v175
	s_delay_alu instid0(VALU_DEP_2) | instskip(NEXT) | instid1(VALU_DEP_2)
	v_cndmask_b32_e32 v190, v173, v181, vcc_lo
	v_cndmask_b32_e64 v192, v175, v189, s2
	v_cndmask_b32_e32 v189, v172, v172, vcc_lo
	v_cndmask_b32_e64 v191, v174, v174, s2
	s_mov_b32 s2, exec_lo
	s_delay_alu instid0(VALU_DEP_1)
	v_cmpx_ngt_f64_e32 v[189:190], v[191:192]
	s_xor_b32 s2, exec_lo, s2
	s_cbranch_execz .LBB84_868
; %bb.867:
	v_div_scale_f64 v[189:190], null, v[174:175], v[174:175], v[172:173]
	v_div_scale_f64 v[195:196], vcc_lo, v[172:173], v[174:175], v[172:173]
	s_delay_alu instid0(VALU_DEP_2) | instskip(SKIP_2) | instid1(VALU_DEP_1)
	v_rcp_f64_e32 v[191:192], v[189:190]
	s_waitcnt_depctr 0xfff
	v_fma_f64 v[193:194], -v[189:190], v[191:192], 1.0
	v_fma_f64 v[191:192], v[191:192], v[193:194], v[191:192]
	s_delay_alu instid0(VALU_DEP_1) | instskip(NEXT) | instid1(VALU_DEP_1)
	v_fma_f64 v[193:194], -v[189:190], v[191:192], 1.0
	v_fma_f64 v[191:192], v[191:192], v[193:194], v[191:192]
	s_delay_alu instid0(VALU_DEP_1) | instskip(NEXT) | instid1(VALU_DEP_1)
	v_mul_f64 v[193:194], v[195:196], v[191:192]
	v_fma_f64 v[189:190], -v[189:190], v[193:194], v[195:196]
	s_delay_alu instid0(VALU_DEP_1) | instskip(NEXT) | instid1(VALU_DEP_1)
	v_div_fmas_f64 v[189:190], v[189:190], v[191:192], v[193:194]
	v_div_fixup_f64 v[189:190], v[189:190], v[174:175], v[172:173]
	s_delay_alu instid0(VALU_DEP_1) | instskip(NEXT) | instid1(VALU_DEP_1)
	v_fma_f64 v[172:173], v[172:173], v[189:190], v[174:175]
	v_div_scale_f64 v[174:175], null, v[172:173], v[172:173], 1.0
	s_delay_alu instid0(VALU_DEP_1) | instskip(SKIP_2) | instid1(VALU_DEP_1)
	v_rcp_f64_e32 v[191:192], v[174:175]
	s_waitcnt_depctr 0xfff
	v_fma_f64 v[193:194], -v[174:175], v[191:192], 1.0
	v_fma_f64 v[191:192], v[191:192], v[193:194], v[191:192]
	s_delay_alu instid0(VALU_DEP_1) | instskip(NEXT) | instid1(VALU_DEP_1)
	v_fma_f64 v[193:194], -v[174:175], v[191:192], 1.0
	v_fma_f64 v[191:192], v[191:192], v[193:194], v[191:192]
	v_div_scale_f64 v[193:194], vcc_lo, 1.0, v[172:173], 1.0
	s_delay_alu instid0(VALU_DEP_1) | instskip(NEXT) | instid1(VALU_DEP_1)
	v_mul_f64 v[195:196], v[193:194], v[191:192]
	v_fma_f64 v[174:175], -v[174:175], v[195:196], v[193:194]
	s_delay_alu instid0(VALU_DEP_1) | instskip(NEXT) | instid1(VALU_DEP_1)
	v_div_fmas_f64 v[174:175], v[174:175], v[191:192], v[195:196]
	v_div_fixup_f64 v[174:175], v[174:175], v[172:173], 1.0
	s_delay_alu instid0(VALU_DEP_1)
	v_mul_f64 v[172:173], v[189:190], v[174:175]
	v_xor_b32_e32 v175, 0x80000000, v175
.LBB84_868:
	s_and_not1_saveexec_b32 s2, s2
	s_cbranch_execz .LBB84_870
; %bb.869:
	s_delay_alu instid0(VALU_DEP_1) | instskip(SKIP_1) | instid1(VALU_DEP_2)
	v_div_scale_f64 v[189:190], null, v[172:173], v[172:173], v[174:175]
	v_div_scale_f64 v[195:196], vcc_lo, v[174:175], v[172:173], v[174:175]
	v_rcp_f64_e32 v[191:192], v[189:190]
	s_waitcnt_depctr 0xfff
	v_fma_f64 v[193:194], -v[189:190], v[191:192], 1.0
	s_delay_alu instid0(VALU_DEP_1) | instskip(NEXT) | instid1(VALU_DEP_1)
	v_fma_f64 v[191:192], v[191:192], v[193:194], v[191:192]
	v_fma_f64 v[193:194], -v[189:190], v[191:192], 1.0
	s_delay_alu instid0(VALU_DEP_1) | instskip(NEXT) | instid1(VALU_DEP_1)
	v_fma_f64 v[191:192], v[191:192], v[193:194], v[191:192]
	v_mul_f64 v[193:194], v[195:196], v[191:192]
	s_delay_alu instid0(VALU_DEP_1) | instskip(NEXT) | instid1(VALU_DEP_1)
	v_fma_f64 v[189:190], -v[189:190], v[193:194], v[195:196]
	v_div_fmas_f64 v[189:190], v[189:190], v[191:192], v[193:194]
	s_delay_alu instid0(VALU_DEP_1) | instskip(NEXT) | instid1(VALU_DEP_1)
	v_div_fixup_f64 v[189:190], v[189:190], v[172:173], v[174:175]
	v_fma_f64 v[172:173], v[174:175], v[189:190], v[172:173]
	s_delay_alu instid0(VALU_DEP_1) | instskip(NEXT) | instid1(VALU_DEP_1)
	v_div_scale_f64 v[174:175], null, v[172:173], v[172:173], 1.0
	v_rcp_f64_e32 v[191:192], v[174:175]
	s_waitcnt_depctr 0xfff
	v_fma_f64 v[193:194], -v[174:175], v[191:192], 1.0
	s_delay_alu instid0(VALU_DEP_1) | instskip(NEXT) | instid1(VALU_DEP_1)
	v_fma_f64 v[191:192], v[191:192], v[193:194], v[191:192]
	v_fma_f64 v[193:194], -v[174:175], v[191:192], 1.0
	s_delay_alu instid0(VALU_DEP_1) | instskip(SKIP_1) | instid1(VALU_DEP_1)
	v_fma_f64 v[191:192], v[191:192], v[193:194], v[191:192]
	v_div_scale_f64 v[193:194], vcc_lo, 1.0, v[172:173], 1.0
	v_mul_f64 v[195:196], v[193:194], v[191:192]
	s_delay_alu instid0(VALU_DEP_1) | instskip(NEXT) | instid1(VALU_DEP_1)
	v_fma_f64 v[174:175], -v[174:175], v[195:196], v[193:194]
	v_div_fmas_f64 v[174:175], v[174:175], v[191:192], v[195:196]
	s_delay_alu instid0(VALU_DEP_1) | instskip(NEXT) | instid1(VALU_DEP_1)
	v_div_fixup_f64 v[172:173], v[174:175], v[172:173], 1.0
	v_mul_f64 v[174:175], v[189:190], -v[172:173]
.LBB84_870:
	s_or_b32 exec_lo, exec_lo, s2
.LBB84_871:
	s_delay_alu instid0(SALU_CYCLE_1) | instskip(NEXT) | instid1(SALU_CYCLE_1)
	s_or_b32 exec_lo, exec_lo, s3
	s_mov_b32 s2, exec_lo
	v_cmpx_ne_u32_e64 v188, v180
	s_xor_b32 s2, exec_lo, s2
	s_cbranch_execz .LBB84_877
; %bb.872:
	s_mov_b32 s3, exec_lo
	v_cmpx_eq_u32_e32 41, v188
	s_cbranch_execz .LBB84_876
; %bb.873:
	v_cmp_ne_u32_e32 vcc_lo, 41, v180
	s_xor_b32 s6, s4, -1
	s_delay_alu instid0(SALU_CYCLE_1) | instskip(NEXT) | instid1(SALU_CYCLE_1)
	s_and_b32 s7, s6, vcc_lo
	s_and_saveexec_b32 s6, s7
	s_cbranch_execz .LBB84_875
; %bb.874:
	v_ashrrev_i32_e32 v181, 31, v180
	s_delay_alu instid0(VALU_DEP_1) | instskip(NEXT) | instid1(VALU_DEP_1)
	v_lshlrev_b64 v[187:188], 2, v[180:181]
	v_add_co_u32 v187, vcc_lo, v178, v187
	s_delay_alu instid0(VALU_DEP_2)
	v_add_co_ci_u32_e32 v188, vcc_lo, v179, v188, vcc_lo
	s_clause 0x1
	flat_load_b32 v181, v[187:188]
	flat_load_b32 v189, v[178:179] offset:164
	s_waitcnt vmcnt(1) lgkmcnt(1)
	flat_store_b32 v[178:179], v181 offset:164
	s_waitcnt vmcnt(0) lgkmcnt(1)
	flat_store_b32 v[187:188], v189
.LBB84_875:
	s_or_b32 exec_lo, exec_lo, s6
	v_mov_b32_e32 v188, v180
	v_mov_b32_e32 v187, v180
.LBB84_876:
	s_or_b32 exec_lo, exec_lo, s3
.LBB84_877:
	s_and_not1_saveexec_b32 s2, s2
	s_cbranch_execz .LBB84_879
; %bb.878:
	v_mov_b32_e32 v188, 41
	ds_store_2addr_b64 v182, v[0:1], v[2:3] offset0:84 offset1:85
.LBB84_879:
	s_or_b32 exec_lo, exec_lo, s2
	s_delay_alu instid0(SALU_CYCLE_1)
	s_mov_b32 s2, exec_lo
	s_waitcnt lgkmcnt(0)
	s_waitcnt_vscnt null, 0x0
	s_barrier
	buffer_gl0_inv
	v_cmpx_lt_i32_e32 41, v188
	s_cbranch_execz .LBB84_881
; %bb.880:
	v_mul_f64 v[180:181], v[172:173], v[6:7]
	v_mul_f64 v[6:7], v[174:175], v[6:7]
	ds_load_2addr_b64 v[189:192], v182 offset0:84 offset1:85
	v_fma_f64 v[174:175], v[174:175], v[4:5], v[180:181]
	v_fma_f64 v[4:5], v[172:173], v[4:5], -v[6:7]
	s_waitcnt lgkmcnt(0)
	s_delay_alu instid0(VALU_DEP_2) | instskip(SKIP_1) | instid1(VALU_DEP_2)
	v_mul_f64 v[6:7], v[191:192], v[174:175]
	v_mul_f64 v[172:173], v[189:190], v[174:175]
	v_fma_f64 v[6:7], v[189:190], v[4:5], -v[6:7]
	s_delay_alu instid0(VALU_DEP_2) | instskip(NEXT) | instid1(VALU_DEP_2)
	v_fma_f64 v[172:173], v[191:192], v[4:5], v[172:173]
	v_add_f64 v[0:1], v[0:1], -v[6:7]
	s_delay_alu instid0(VALU_DEP_2)
	v_add_f64 v[2:3], v[2:3], -v[172:173]
	v_dual_mov_b32 v6, v174 :: v_dual_mov_b32 v7, v175
.LBB84_881:
	s_or_b32 exec_lo, exec_lo, s2
	v_lshl_add_u32 v172, v188, 4, v182
	s_barrier
	buffer_gl0_inv
	v_mov_b32_e32 v180, 42
	ds_store_2addr_b64 v172, v[0:1], v[2:3] offset1:1
	s_waitcnt lgkmcnt(0)
	s_barrier
	buffer_gl0_inv
	ds_load_2addr_b64 v[172:175], v182 offset0:84 offset1:85
	s_cmp_lt_i32 s5, 44
	s_cbranch_scc1 .LBB84_884
; %bb.882:
	v_add3_u32 v181, v186, 0, 0x2b0
	v_mov_b32_e32 v180, 42
	s_mov_b32 s6, 43
	s_set_inst_prefetch_distance 0x1
	.p2align	6
.LBB84_883:                             ; =>This Inner Loop Header: Depth=1
	ds_load_2addr_b64 v[189:192], v181 offset1:1
	s_waitcnt lgkmcnt(1)
	v_cmp_gt_f64_e32 vcc_lo, 0, v[172:173]
	v_xor_b32_e32 v182, 0x80000000, v173
	v_cmp_gt_f64_e64 s2, 0, v[174:175]
	v_xor_b32_e32 v186, 0x80000000, v175
	v_add_nc_u32_e32 v181, 16, v181
	s_waitcnt lgkmcnt(0)
	v_cmp_gt_f64_e64 s3, 0, v[189:190]
	v_mov_b32_e32 v197, v189
	v_dual_mov_b32 v199, v191 :: v_dual_cndmask_b32 v194, v173, v182
	v_xor_b32_e32 v182, 0x80000000, v190
	v_cndmask_b32_e64 v196, v175, v186, s2
	v_xor_b32_e32 v186, 0x80000000, v192
	v_cndmask_b32_e32 v193, v172, v172, vcc_lo
	v_cndmask_b32_e64 v195, v174, v174, s2
	s_delay_alu instid0(VALU_DEP_1) | instskip(SKIP_2) | instid1(VALU_DEP_1)
	v_add_f64 v[193:194], v[193:194], v[195:196]
	v_cndmask_b32_e64 v198, v190, v182, s3
	v_cmp_gt_f64_e64 s3, 0, v[191:192]
	v_cndmask_b32_e64 v200, v192, v186, s3
	s_delay_alu instid0(VALU_DEP_1) | instskip(NEXT) | instid1(VALU_DEP_1)
	v_add_f64 v[197:198], v[197:198], v[199:200]
	v_cmp_lt_f64_e32 vcc_lo, v[193:194], v[197:198]
	v_dual_cndmask_b32 v174, v174, v191 :: v_dual_cndmask_b32 v173, v173, v190
	v_dual_cndmask_b32 v172, v172, v189 :: v_dual_cndmask_b32 v175, v175, v192
	v_cndmask_b32_e64 v180, v180, s6, vcc_lo
	s_add_i32 s6, s6, 1
	s_delay_alu instid0(SALU_CYCLE_1)
	s_cmp_lg_u32 s5, s6
	s_cbranch_scc1 .LBB84_883
.LBB84_884:
	s_set_inst_prefetch_distance 0x2
	s_waitcnt lgkmcnt(0)
	v_cmp_eq_f64_e32 vcc_lo, 0, v[172:173]
	v_cmp_eq_f64_e64 s2, 0, v[174:175]
	s_delay_alu instid0(VALU_DEP_1) | instskip(NEXT) | instid1(SALU_CYCLE_1)
	s_and_b32 s2, vcc_lo, s2
	s_and_saveexec_b32 s3, s2
	s_delay_alu instid0(SALU_CYCLE_1)
	s_xor_b32 s2, exec_lo, s3
; %bb.885:
	v_cmp_ne_u32_e32 vcc_lo, 0, v185
	v_cndmask_b32_e32 v185, 43, v185, vcc_lo
; %bb.886:
	s_and_not1_saveexec_b32 s3, s2
	s_cbranch_execz .LBB84_892
; %bb.887:
	v_cmp_gt_f64_e32 vcc_lo, 0, v[172:173]
	v_cmp_gt_f64_e64 s2, 0, v[174:175]
	v_xor_b32_e32 v181, 0x80000000, v173
	v_xor_b32_e32 v186, 0x80000000, v175
	s_delay_alu instid0(VALU_DEP_2) | instskip(NEXT) | instid1(VALU_DEP_2)
	v_dual_cndmask_b32 v182, v173, v181 :: v_dual_cndmask_b32 v181, v172, v172
	v_cndmask_b32_e64 v190, v175, v186, s2
	v_cndmask_b32_e64 v189, v174, v174, s2
	s_mov_b32 s2, exec_lo
	s_delay_alu instid0(VALU_DEP_1)
	v_cmpx_ngt_f64_e32 v[181:182], v[189:190]
	s_xor_b32 s2, exec_lo, s2
	s_cbranch_execz .LBB84_889
; %bb.888:
	v_div_scale_f64 v[181:182], null, v[174:175], v[174:175], v[172:173]
	v_div_scale_f64 v[193:194], vcc_lo, v[172:173], v[174:175], v[172:173]
	s_delay_alu instid0(VALU_DEP_2) | instskip(SKIP_2) | instid1(VALU_DEP_1)
	v_rcp_f64_e32 v[189:190], v[181:182]
	s_waitcnt_depctr 0xfff
	v_fma_f64 v[191:192], -v[181:182], v[189:190], 1.0
	v_fma_f64 v[189:190], v[189:190], v[191:192], v[189:190]
	s_delay_alu instid0(VALU_DEP_1) | instskip(NEXT) | instid1(VALU_DEP_1)
	v_fma_f64 v[191:192], -v[181:182], v[189:190], 1.0
	v_fma_f64 v[189:190], v[189:190], v[191:192], v[189:190]
	s_delay_alu instid0(VALU_DEP_1) | instskip(NEXT) | instid1(VALU_DEP_1)
	v_mul_f64 v[191:192], v[193:194], v[189:190]
	v_fma_f64 v[181:182], -v[181:182], v[191:192], v[193:194]
	s_delay_alu instid0(VALU_DEP_1) | instskip(NEXT) | instid1(VALU_DEP_1)
	v_div_fmas_f64 v[181:182], v[181:182], v[189:190], v[191:192]
	v_div_fixup_f64 v[181:182], v[181:182], v[174:175], v[172:173]
	s_delay_alu instid0(VALU_DEP_1) | instskip(NEXT) | instid1(VALU_DEP_1)
	v_fma_f64 v[172:173], v[172:173], v[181:182], v[174:175]
	v_div_scale_f64 v[174:175], null, v[172:173], v[172:173], 1.0
	s_delay_alu instid0(VALU_DEP_1) | instskip(SKIP_2) | instid1(VALU_DEP_1)
	v_rcp_f64_e32 v[189:190], v[174:175]
	s_waitcnt_depctr 0xfff
	v_fma_f64 v[191:192], -v[174:175], v[189:190], 1.0
	v_fma_f64 v[189:190], v[189:190], v[191:192], v[189:190]
	s_delay_alu instid0(VALU_DEP_1) | instskip(NEXT) | instid1(VALU_DEP_1)
	v_fma_f64 v[191:192], -v[174:175], v[189:190], 1.0
	v_fma_f64 v[189:190], v[189:190], v[191:192], v[189:190]
	v_div_scale_f64 v[191:192], vcc_lo, 1.0, v[172:173], 1.0
	s_delay_alu instid0(VALU_DEP_1) | instskip(NEXT) | instid1(VALU_DEP_1)
	v_mul_f64 v[193:194], v[191:192], v[189:190]
	v_fma_f64 v[174:175], -v[174:175], v[193:194], v[191:192]
	s_delay_alu instid0(VALU_DEP_1) | instskip(NEXT) | instid1(VALU_DEP_1)
	v_div_fmas_f64 v[174:175], v[174:175], v[189:190], v[193:194]
	v_div_fixup_f64 v[174:175], v[174:175], v[172:173], 1.0
	s_delay_alu instid0(VALU_DEP_1)
	v_mul_f64 v[172:173], v[181:182], v[174:175]
	v_xor_b32_e32 v175, 0x80000000, v175
.LBB84_889:
	s_and_not1_saveexec_b32 s2, s2
	s_cbranch_execz .LBB84_891
; %bb.890:
	s_delay_alu instid0(VALU_DEP_1) | instskip(SKIP_1) | instid1(VALU_DEP_2)
	v_div_scale_f64 v[181:182], null, v[172:173], v[172:173], v[174:175]
	v_div_scale_f64 v[193:194], vcc_lo, v[174:175], v[172:173], v[174:175]
	v_rcp_f64_e32 v[189:190], v[181:182]
	s_waitcnt_depctr 0xfff
	v_fma_f64 v[191:192], -v[181:182], v[189:190], 1.0
	s_delay_alu instid0(VALU_DEP_1) | instskip(NEXT) | instid1(VALU_DEP_1)
	v_fma_f64 v[189:190], v[189:190], v[191:192], v[189:190]
	v_fma_f64 v[191:192], -v[181:182], v[189:190], 1.0
	s_delay_alu instid0(VALU_DEP_1) | instskip(NEXT) | instid1(VALU_DEP_1)
	v_fma_f64 v[189:190], v[189:190], v[191:192], v[189:190]
	v_mul_f64 v[191:192], v[193:194], v[189:190]
	s_delay_alu instid0(VALU_DEP_1) | instskip(NEXT) | instid1(VALU_DEP_1)
	v_fma_f64 v[181:182], -v[181:182], v[191:192], v[193:194]
	v_div_fmas_f64 v[181:182], v[181:182], v[189:190], v[191:192]
	s_delay_alu instid0(VALU_DEP_1) | instskip(NEXT) | instid1(VALU_DEP_1)
	v_div_fixup_f64 v[181:182], v[181:182], v[172:173], v[174:175]
	v_fma_f64 v[172:173], v[174:175], v[181:182], v[172:173]
	s_delay_alu instid0(VALU_DEP_1) | instskip(NEXT) | instid1(VALU_DEP_1)
	v_div_scale_f64 v[174:175], null, v[172:173], v[172:173], 1.0
	v_rcp_f64_e32 v[189:190], v[174:175]
	s_waitcnt_depctr 0xfff
	v_fma_f64 v[191:192], -v[174:175], v[189:190], 1.0
	s_delay_alu instid0(VALU_DEP_1) | instskip(NEXT) | instid1(VALU_DEP_1)
	v_fma_f64 v[189:190], v[189:190], v[191:192], v[189:190]
	v_fma_f64 v[191:192], -v[174:175], v[189:190], 1.0
	s_delay_alu instid0(VALU_DEP_1) | instskip(SKIP_1) | instid1(VALU_DEP_1)
	v_fma_f64 v[189:190], v[189:190], v[191:192], v[189:190]
	v_div_scale_f64 v[191:192], vcc_lo, 1.0, v[172:173], 1.0
	v_mul_f64 v[193:194], v[191:192], v[189:190]
	s_delay_alu instid0(VALU_DEP_1) | instskip(NEXT) | instid1(VALU_DEP_1)
	v_fma_f64 v[174:175], -v[174:175], v[193:194], v[191:192]
	v_div_fmas_f64 v[174:175], v[174:175], v[189:190], v[193:194]
	s_delay_alu instid0(VALU_DEP_1) | instskip(NEXT) | instid1(VALU_DEP_1)
	v_div_fixup_f64 v[172:173], v[174:175], v[172:173], 1.0
	v_mul_f64 v[174:175], v[181:182], -v[172:173]
.LBB84_891:
	s_or_b32 exec_lo, exec_lo, s2
.LBB84_892:
	s_delay_alu instid0(SALU_CYCLE_1)
	s_or_b32 exec_lo, exec_lo, s3
	v_mov_b32_e32 v181, 42
	s_mov_b32 s2, exec_lo
	v_cmpx_ne_u32_e64 v188, v180
	s_cbranch_execz .LBB84_898
; %bb.893:
	s_mov_b32 s3, exec_lo
	v_cmpx_eq_u32_e32 42, v188
	s_cbranch_execz .LBB84_897
; %bb.894:
	v_cmp_ne_u32_e32 vcc_lo, 42, v180
	s_xor_b32 s4, s4, -1
	s_delay_alu instid0(SALU_CYCLE_1) | instskip(NEXT) | instid1(SALU_CYCLE_1)
	s_and_b32 s5, s4, vcc_lo
	s_and_saveexec_b32 s4, s5
	s_cbranch_execz .LBB84_896
; %bb.895:
	v_ashrrev_i32_e32 v181, 31, v180
	s_delay_alu instid0(VALU_DEP_1) | instskip(NEXT) | instid1(VALU_DEP_1)
	v_lshlrev_b64 v[181:182], 2, v[180:181]
	v_add_co_u32 v181, vcc_lo, v178, v181
	s_delay_alu instid0(VALU_DEP_2)
	v_add_co_ci_u32_e32 v182, vcc_lo, v179, v182, vcc_lo
	s_clause 0x1
	flat_load_b32 v186, v[181:182]
	flat_load_b32 v187, v[178:179] offset:168
	s_waitcnt vmcnt(1) lgkmcnt(1)
	flat_store_b32 v[178:179], v186 offset:168
	s_waitcnt vmcnt(0) lgkmcnt(1)
	flat_store_b32 v[181:182], v187
.LBB84_896:
	s_or_b32 exec_lo, exec_lo, s4
	v_mov_b32_e32 v188, v180
	v_mov_b32_e32 v187, v180
.LBB84_897:
	s_or_b32 exec_lo, exec_lo, s3
	s_delay_alu instid0(VALU_DEP_2)
	v_mov_b32_e32 v181, v188
.LBB84_898:
	s_or_b32 exec_lo, exec_lo, s2
	s_delay_alu instid0(SALU_CYCLE_1)
	s_mov_b32 s2, exec_lo
	s_waitcnt lgkmcnt(0)
	s_waitcnt_vscnt null, 0x0
	s_barrier
	buffer_gl0_inv
	v_cmpx_lt_i32_e32 42, v181
; %bb.899:
	v_mul_f64 v[178:179], v[174:175], v[2:3]
	v_mul_f64 v[2:3], v[172:173], v[2:3]
	s_delay_alu instid0(VALU_DEP_2) | instskip(NEXT) | instid1(VALU_DEP_2)
	v_fma_f64 v[172:173], v[172:173], v[0:1], -v[178:179]
	v_fma_f64 v[2:3], v[174:175], v[0:1], v[2:3]
	s_delay_alu instid0(VALU_DEP_2)
	v_dual_mov_b32 v0, v172 :: v_dual_mov_b32 v1, v173
; %bb.900:
	s_or_b32 exec_lo, exec_lo, s2
	s_load_b256 s[0:7], s[0:1], 0x28
	v_ashrrev_i32_e32 v182, 31, v181
	s_mov_b32 s9, exec_lo
	s_waitcnt lgkmcnt(0)
	s_barrier
	buffer_gl0_inv
	v_cmpx_gt_i32_e32 43, v181
	s_cbranch_execz .LBB84_902
; %bb.901:
	v_mul_lo_u32 v174, v177, s4
	v_mul_lo_u32 v175, v176, s5
	v_mad_u64_u32 v[172:173], null, v176, s4, 0
	s_lshl_b64 s[2:3], s[2:3], 2
	s_delay_alu instid0(SALU_CYCLE_1) | instskip(SKIP_1) | instid1(VALU_DEP_1)
	s_add_u32 s0, s2, s0
	s_addc_u32 s1, s3, s1
	v_add3_u32 v173, v173, v175, v174
	v_lshlrev_b64 v[174:175], 2, v[181:182]
	s_delay_alu instid0(VALU_DEP_2) | instskip(NEXT) | instid1(VALU_DEP_1)
	v_lshlrev_b64 v[172:173], 2, v[172:173]
	v_add_co_u32 v172, vcc_lo, s0, v172
	s_delay_alu instid0(VALU_DEP_2) | instskip(NEXT) | instid1(VALU_DEP_2)
	v_add_co_ci_u32_e32 v173, vcc_lo, s1, v173, vcc_lo
	v_add_co_u32 v172, vcc_lo, v172, v174
	s_delay_alu instid0(VALU_DEP_2)
	v_add_co_ci_u32_e32 v173, vcc_lo, v173, v175, vcc_lo
	v_add3_u32 v174, v187, s13, 1
	global_store_b32 v[172:173], v174, off
.LBB84_902:
	s_or_b32 exec_lo, exec_lo, s9
	s_delay_alu instid0(SALU_CYCLE_1)
	s_mov_b32 s1, exec_lo
	v_cmpx_eq_u32_e32 0, v181
	s_cbranch_execz .LBB84_905
; %bb.903:
	v_lshlrev_b64 v[172:173], 2, v[176:177]
	v_cmp_lt_i32_e64 s0, 0, v185
	s_delay_alu instid0(VALU_DEP_2) | instskip(NEXT) | instid1(VALU_DEP_3)
	v_add_co_u32 v172, vcc_lo, s6, v172
	v_add_co_ci_u32_e32 v173, vcc_lo, s7, v173, vcc_lo
	global_load_b32 v174, v[172:173], off
	s_waitcnt vmcnt(0)
	v_cmp_eq_u32_e32 vcc_lo, 0, v174
	s_and_b32 s0, vcc_lo, s0
	s_delay_alu instid0(SALU_CYCLE_1)
	s_and_b32 exec_lo, exec_lo, s0
	s_cbranch_execz .LBB84_905
; %bb.904:
	v_add_nc_u32_e32 v174, s13, v185
	global_store_b32 v[172:173], v174, off
.LBB84_905:
	s_or_b32 exec_lo, exec_lo, s1
	v_lshlrev_b64 v[174:175], 4, v[181:182]
	v_add3_u32 v172, s8, s8, v181
	s_delay_alu instid0(VALU_DEP_1) | instskip(NEXT) | instid1(VALU_DEP_3)
	v_ashrrev_i32_e32 v173, 31, v172
	v_add_co_u32 v174, vcc_lo, v183, v174
	s_delay_alu instid0(VALU_DEP_4) | instskip(SKIP_1) | instid1(VALU_DEP_4)
	v_add_co_ci_u32_e32 v175, vcc_lo, v184, v175, vcc_lo
	v_add_nc_u32_e32 v176, s8, v172
	v_lshlrev_b64 v[172:173], 4, v[172:173]
	global_store_b128 v[174:175], v[168:171], off
	v_add_co_u32 v168, vcc_lo, v174, s10
	v_add_nc_u32_e32 v170, s8, v176
	v_ashrrev_i32_e32 v177, 31, v176
	v_add_co_ci_u32_e32 v169, vcc_lo, s11, v175, vcc_lo
	v_add_co_u32 v172, vcc_lo, v183, v172
	s_delay_alu instid0(VALU_DEP_4) | instskip(SKIP_3) | instid1(VALU_DEP_4)
	v_add_nc_u32_e32 v174, s8, v170
	v_ashrrev_i32_e32 v171, 31, v170
	v_add_co_ci_u32_e32 v173, vcc_lo, v184, v173, vcc_lo
	v_lshlrev_b64 v[176:177], 4, v[176:177]
	v_ashrrev_i32_e32 v175, 31, v174
	s_clause 0x1
	global_store_b128 v[168:169], v[160:163], off
	global_store_b128 v[172:173], v[164:167], off
	v_lshlrev_b64 v[160:161], 4, v[170:171]
	v_add_nc_u32_e32 v166, s8, v174
	v_add_co_u32 v162, vcc_lo, v183, v176
	v_lshlrev_b64 v[164:165], 4, v[174:175]
	v_add_co_ci_u32_e32 v163, vcc_lo, v184, v177, vcc_lo
	v_add_co_u32 v160, vcc_lo, v183, v160
	v_add_co_ci_u32_e32 v161, vcc_lo, v184, v161, vcc_lo
	s_delay_alu instid0(VALU_DEP_4)
	v_add_co_u32 v164, vcc_lo, v183, v164
	v_add_nc_u32_e32 v168, s8, v166
	v_add_co_ci_u32_e32 v165, vcc_lo, v184, v165, vcc_lo
	v_ashrrev_i32_e32 v167, 31, v166
	global_store_b128 v[162:163], v[156:159], off
	v_ashrrev_i32_e32 v169, 31, v168
	s_clause 0x1
	global_store_b128 v[160:161], v[152:155], off
	global_store_b128 v[164:165], v[148:151], off
	v_add_nc_u32_e32 v150, s8, v168
	v_lshlrev_b64 v[156:157], 4, v[166:167]
	v_lshlrev_b64 v[148:149], 4, v[168:169]
	s_delay_alu instid0(VALU_DEP_3) | instskip(SKIP_1) | instid1(VALU_DEP_4)
	v_add_nc_u32_e32 v154, s8, v150
	v_ashrrev_i32_e32 v151, 31, v150
	v_add_co_u32 v152, vcc_lo, v183, v156
	v_add_co_ci_u32_e32 v153, vcc_lo, v184, v157, vcc_lo
	s_delay_alu instid0(VALU_DEP_4)
	v_add_nc_u32_e32 v156, s8, v154
	v_add_co_u32 v148, vcc_lo, v183, v148
	v_ashrrev_i32_e32 v155, 31, v154
	v_add_co_ci_u32_e32 v149, vcc_lo, v184, v149, vcc_lo
	v_lshlrev_b64 v[150:151], 4, v[150:151]
	v_ashrrev_i32_e32 v157, 31, v156
	s_clause 0x1
	global_store_b128 v[152:153], v[144:147], off
	global_store_b128 v[148:149], v[140:143], off
	v_lshlrev_b64 v[140:141], 4, v[154:155]
	v_add_nc_u32_e32 v146, s8, v156
	v_add_co_u32 v142, vcc_lo, v183, v150
	v_lshlrev_b64 v[144:145], 4, v[156:157]
	v_add_co_ci_u32_e32 v143, vcc_lo, v184, v151, vcc_lo
	v_add_co_u32 v140, vcc_lo, v183, v140
	v_add_co_ci_u32_e32 v141, vcc_lo, v184, v141, vcc_lo
	s_delay_alu instid0(VALU_DEP_4)
	v_add_co_u32 v144, vcc_lo, v183, v144
	v_add_nc_u32_e32 v148, s8, v146
	v_add_co_ci_u32_e32 v145, vcc_lo, v184, v145, vcc_lo
	v_ashrrev_i32_e32 v147, 31, v146
	global_store_b128 v[142:143], v[136:139], off
	v_ashrrev_i32_e32 v149, 31, v148
	s_clause 0x1
	global_store_b128 v[140:141], v[132:135], off
	global_store_b128 v[144:145], v[128:131], off
	v_add_nc_u32_e32 v130, s8, v148
	v_lshlrev_b64 v[136:137], 4, v[146:147]
	v_lshlrev_b64 v[128:129], 4, v[148:149]
	s_delay_alu instid0(VALU_DEP_3) | instskip(SKIP_1) | instid1(VALU_DEP_4)
	v_add_nc_u32_e32 v134, s8, v130
	v_ashrrev_i32_e32 v131, 31, v130
	v_add_co_u32 v132, vcc_lo, v183, v136
	v_add_co_ci_u32_e32 v133, vcc_lo, v184, v137, vcc_lo
	s_delay_alu instid0(VALU_DEP_4)
	v_add_nc_u32_e32 v136, s8, v134
	v_add_co_u32 v128, vcc_lo, v183, v128
	;; [unrolled: 35-line block ×6, first 2 shown]
	v_ashrrev_i32_e32 v55, 31, v54
	v_add_co_ci_u32_e32 v49, vcc_lo, v184, v49, vcc_lo
	v_lshlrev_b64 v[50:51], 4, v[50:51]
	v_ashrrev_i32_e32 v57, 31, v56
	s_clause 0x1
	global_store_b128 v[52:53], v[44:47], off
	global_store_b128 v[48:49], v[40:43], off
	v_lshlrev_b64 v[40:41], 4, v[54:55]
	v_add_nc_u32_e32 v46, s8, v56
	v_add_co_u32 v42, vcc_lo, v183, v50
	v_lshlrev_b64 v[44:45], 4, v[56:57]
	v_add_co_ci_u32_e32 v43, vcc_lo, v184, v51, vcc_lo
	v_add_co_u32 v40, vcc_lo, v183, v40
	v_add_nc_u32_e32 v48, s8, v46
	v_add_co_ci_u32_e32 v41, vcc_lo, v184, v41, vcc_lo
	v_ashrrev_i32_e32 v47, 31, v46
	v_add_co_u32 v44, vcc_lo, v183, v44
	v_add_co_ci_u32_e32 v45, vcc_lo, v184, v45, vcc_lo
	v_ashrrev_i32_e32 v49, 31, v48
	global_store_b128 v[42:43], v[36:39], off
	v_lshlrev_b64 v[36:37], 4, v[46:47]
	s_clause 0x1
	global_store_b128 v[40:41], v[32:35], off
	global_store_b128 v[44:45], v[28:31], off
	v_add_nc_u32_e32 v30, s8, v48
	v_lshlrev_b64 v[28:29], 4, v[48:49]
	v_add_co_u32 v32, vcc_lo, v183, v36
	s_delay_alu instid0(VALU_DEP_3) | instskip(SKIP_1) | instid1(VALU_DEP_4)
	v_add_nc_u32_e32 v34, s8, v30
	v_add_co_ci_u32_e32 v33, vcc_lo, v184, v37, vcc_lo
	v_add_co_u32 v28, vcc_lo, v183, v28
	v_add_co_ci_u32_e32 v29, vcc_lo, v184, v29, vcc_lo
	s_delay_alu instid0(VALU_DEP_4)
	v_add_nc_u32_e32 v36, s8, v34
	v_ashrrev_i32_e32 v31, 31, v30
	s_clause 0x1
	global_store_b128 v[32:33], v[24:27], off
	global_store_b128 v[28:29], v[20:23], off
	v_ashrrev_i32_e32 v35, 31, v34
	v_add_nc_u32_e32 v22, s8, v36
	v_lshlrev_b64 v[24:25], 4, v[30:31]
	v_ashrrev_i32_e32 v37, 31, v36
	s_delay_alu instid0(VALU_DEP_4) | instskip(NEXT) | instid1(VALU_DEP_4)
	v_lshlrev_b64 v[20:21], 4, v[34:35]
	v_add_nc_u32_e32 v28, s8, v22
	v_ashrrev_i32_e32 v23, 31, v22
	v_add_co_u32 v24, vcc_lo, v183, v24
	v_lshlrev_b64 v[26:27], 4, v[36:37]
	s_delay_alu instid0(VALU_DEP_4)
	v_ashrrev_i32_e32 v29, 31, v28
	v_add_co_ci_u32_e32 v25, vcc_lo, v184, v25, vcc_lo
	v_add_co_u32 v20, vcc_lo, v183, v20
	v_lshlrev_b64 v[22:23], 4, v[22:23]
	v_add_co_ci_u32_e32 v21, vcc_lo, v184, v21, vcc_lo
	v_add_co_u32 v26, vcc_lo, v183, v26
	v_lshlrev_b64 v[28:29], 4, v[28:29]
	v_add_co_ci_u32_e32 v27, vcc_lo, v184, v27, vcc_lo
	v_add_co_u32 v22, vcc_lo, v183, v22
	v_add_co_ci_u32_e32 v23, vcc_lo, v184, v23, vcc_lo
	s_delay_alu instid0(VALU_DEP_4)
	v_add_co_u32 v28, vcc_lo, v183, v28
	v_add_co_ci_u32_e32 v29, vcc_lo, v184, v29, vcc_lo
	s_clause 0x4
	global_store_b128 v[24:25], v[16:19], off
	global_store_b128 v[20:21], v[12:15], off
	;; [unrolled: 1-line block ×5, first 2 shown]
.LBB84_906:
	s_nop 0
	s_sendmsg sendmsg(MSG_DEALLOC_VGPRS)
	s_endpgm
	.section	.rodata,"a",@progbits
	.p2align	6, 0x0
	.amdhsa_kernel _ZN9rocsolver6v33100L18getf2_small_kernelILi43E19rocblas_complex_numIdEiiPKPS3_EEvT1_T3_lS7_lPS7_llPT2_S7_S7_S9_l
		.amdhsa_group_segment_fixed_size 0
		.amdhsa_private_segment_fixed_size 0
		.amdhsa_kernarg_size 352
		.amdhsa_user_sgpr_count 14
		.amdhsa_user_sgpr_dispatch_ptr 0
		.amdhsa_user_sgpr_queue_ptr 0
		.amdhsa_user_sgpr_kernarg_segment_ptr 1
		.amdhsa_user_sgpr_dispatch_id 0
		.amdhsa_user_sgpr_private_segment_size 0
		.amdhsa_wavefront_size32 1
		.amdhsa_uses_dynamic_stack 0
		.amdhsa_enable_private_segment 0
		.amdhsa_system_sgpr_workgroup_id_x 1
		.amdhsa_system_sgpr_workgroup_id_y 1
		.amdhsa_system_sgpr_workgroup_id_z 0
		.amdhsa_system_sgpr_workgroup_info 0
		.amdhsa_system_vgpr_workitem_id 1
		.amdhsa_next_free_vgpr 247
		.amdhsa_next_free_sgpr 16
		.amdhsa_reserve_vcc 1
		.amdhsa_float_round_mode_32 0
		.amdhsa_float_round_mode_16_64 0
		.amdhsa_float_denorm_mode_32 3
		.amdhsa_float_denorm_mode_16_64 3
		.amdhsa_dx10_clamp 1
		.amdhsa_ieee_mode 1
		.amdhsa_fp16_overflow 0
		.amdhsa_workgroup_processor_mode 1
		.amdhsa_memory_ordered 1
		.amdhsa_forward_progress 0
		.amdhsa_shared_vgpr_count 0
		.amdhsa_exception_fp_ieee_invalid_op 0
		.amdhsa_exception_fp_denorm_src 0
		.amdhsa_exception_fp_ieee_div_zero 0
		.amdhsa_exception_fp_ieee_overflow 0
		.amdhsa_exception_fp_ieee_underflow 0
		.amdhsa_exception_fp_ieee_inexact 0
		.amdhsa_exception_int_div_zero 0
	.end_amdhsa_kernel
	.section	.text._ZN9rocsolver6v33100L18getf2_small_kernelILi43E19rocblas_complex_numIdEiiPKPS3_EEvT1_T3_lS7_lPS7_llPT2_S7_S7_S9_l,"axG",@progbits,_ZN9rocsolver6v33100L18getf2_small_kernelILi43E19rocblas_complex_numIdEiiPKPS3_EEvT1_T3_lS7_lPS7_llPT2_S7_S7_S9_l,comdat
.Lfunc_end84:
	.size	_ZN9rocsolver6v33100L18getf2_small_kernelILi43E19rocblas_complex_numIdEiiPKPS3_EEvT1_T3_lS7_lPS7_llPT2_S7_S7_S9_l, .Lfunc_end84-_ZN9rocsolver6v33100L18getf2_small_kernelILi43E19rocblas_complex_numIdEiiPKPS3_EEvT1_T3_lS7_lPS7_llPT2_S7_S7_S9_l
                                        ; -- End function
	.section	.AMDGPU.csdata,"",@progbits
; Kernel info:
; codeLenInByte = 121952
; NumSgprs: 18
; NumVgprs: 247
; ScratchSize: 0
; MemoryBound: 0
; FloatMode: 240
; IeeeMode: 1
; LDSByteSize: 0 bytes/workgroup (compile time only)
; SGPRBlocks: 2
; VGPRBlocks: 30
; NumSGPRsForWavesPerEU: 18
; NumVGPRsForWavesPerEU: 247
; Occupancy: 5
; WaveLimiterHint : 1
; COMPUTE_PGM_RSRC2:SCRATCH_EN: 0
; COMPUTE_PGM_RSRC2:USER_SGPR: 14
; COMPUTE_PGM_RSRC2:TRAP_HANDLER: 0
; COMPUTE_PGM_RSRC2:TGID_X_EN: 1
; COMPUTE_PGM_RSRC2:TGID_Y_EN: 1
; COMPUTE_PGM_RSRC2:TGID_Z_EN: 0
; COMPUTE_PGM_RSRC2:TIDIG_COMP_CNT: 1
	.section	.text._ZN9rocsolver6v33100L23getf2_npvt_small_kernelILi43E19rocblas_complex_numIdEiiPKPS3_EEvT1_T3_lS7_lPT2_S7_S7_,"axG",@progbits,_ZN9rocsolver6v33100L23getf2_npvt_small_kernelILi43E19rocblas_complex_numIdEiiPKPS3_EEvT1_T3_lS7_lPT2_S7_S7_,comdat
	.globl	_ZN9rocsolver6v33100L23getf2_npvt_small_kernelILi43E19rocblas_complex_numIdEiiPKPS3_EEvT1_T3_lS7_lPT2_S7_S7_ ; -- Begin function _ZN9rocsolver6v33100L23getf2_npvt_small_kernelILi43E19rocblas_complex_numIdEiiPKPS3_EEvT1_T3_lS7_lPT2_S7_S7_
	.p2align	8
	.type	_ZN9rocsolver6v33100L23getf2_npvt_small_kernelILi43E19rocblas_complex_numIdEiiPKPS3_EEvT1_T3_lS7_lPT2_S7_S7_,@function
_ZN9rocsolver6v33100L23getf2_npvt_small_kernelILi43E19rocblas_complex_numIdEiiPKPS3_EEvT1_T3_lS7_lPT2_S7_S7_: ; @_ZN9rocsolver6v33100L23getf2_npvt_small_kernelILi43E19rocblas_complex_numIdEiiPKPS3_EEvT1_T3_lS7_lPT2_S7_S7_
; %bb.0:
	s_clause 0x1
	s_load_b32 s2, s[0:1], 0x44
	s_load_b64 s[10:11], s[0:1], 0x30
	v_bfe_u32 v4, v0, 10, 10
	s_mov_b32 s3, exec_lo
	s_waitcnt lgkmcnt(0)
	s_lshr_b32 s2, s2, 16
	s_delay_alu instid0(VALU_DEP_1) | instid1(SALU_CYCLE_1)
	v_mad_u64_u32 v[1:2], null, s15, s2, v[4:5]
	s_delay_alu instid0(VALU_DEP_1)
	v_cmpx_gt_i32_e64 s10, v1
	s_cbranch_execz .LBB85_392
; %bb.1:
	s_clause 0x1
	s_load_b128 s[4:7], s[0:1], 0x8
	s_load_b32 s8, s[0:1], 0x18
	v_ashrrev_i32_e32 v2, 31, v1
	v_and_b32_e32 v252, 0x3ff, v0
	v_lshlrev_b32_e32 v6, 4, v4
	v_mad_u32_u24 v169, 0x2b0, v4, 0
	s_mulk_i32 s2, 0x2b0
	scratch_store_b64 off, v[1:2], off offset:744 ; 8-byte Folded Spill
	v_lshlrev_b64 v[1:2], 3, v[1:2]
	v_add3_u32 v168, 0, s2, v6
	v_lshlrev_b32_e32 v0, 4, v252
	v_cmp_ne_u32_e64 s3, 0, v252
	v_cmp_eq_u32_e64 s2, 0, v252
	s_waitcnt lgkmcnt(0)
	v_add_co_u32 v1, vcc_lo, s4, v1
	v_add_co_ci_u32_e32 v2, vcc_lo, s5, v2, vcc_lo
	v_add3_u32 v3, s8, s8, v252
	s_lshl_b64 s[6:7], s[6:7], 4
	s_ashr_i32 s9, s8, 31
	global_load_b64 v[1:2], v[1:2], off
	s_lshl_b64 s[4:5], s[8:9], 4
	v_add_nc_u32_e32 v5, s8, v3
	v_ashrrev_i32_e32 v4, 31, v3
	s_delay_alu instid0(VALU_DEP_2) | instskip(SKIP_1) | instid1(VALU_DEP_3)
	v_add_nc_u32_e32 v7, s8, v5
	v_ashrrev_i32_e32 v6, 31, v5
	v_lshlrev_b64 v[3:4], 4, v[3:4]
	s_delay_alu instid0(VALU_DEP_3) | instskip(SKIP_1) | instid1(VALU_DEP_4)
	v_add_nc_u32_e32 v9, s8, v7
	v_ashrrev_i32_e32 v8, 31, v7
	v_lshlrev_b64 v[5:6], 4, v[5:6]
	s_delay_alu instid0(VALU_DEP_3) | instskip(SKIP_1) | instid1(VALU_DEP_4)
	v_add_nc_u32_e32 v11, s8, v9
	v_ashrrev_i32_e32 v10, 31, v9
	v_lshlrev_b64 v[7:8], 4, v[7:8]
	s_delay_alu instid0(VALU_DEP_3) | instskip(SKIP_1) | instid1(VALU_DEP_4)
	v_add_nc_u32_e32 v23, s8, v11
	v_ashrrev_i32_e32 v12, 31, v11
	v_lshlrev_b64 v[9:10], 4, v[9:10]
	s_delay_alu instid0(VALU_DEP_3) | instskip(SKIP_1) | instid1(VALU_DEP_4)
	v_add_nc_u32_e32 v32, s8, v23
	v_ashrrev_i32_e32 v24, 31, v23
	v_lshlrev_b64 v[11:12], 4, v[11:12]
	s_delay_alu instid0(VALU_DEP_3) | instskip(SKIP_1) | instid1(VALU_DEP_4)
	v_add_nc_u32_e32 v41, s8, v32
	v_ashrrev_i32_e32 v33, 31, v32
	v_lshlrev_b64 v[49:50], 4, v[23:24]
	s_delay_alu instid0(VALU_DEP_3) | instskip(SKIP_1) | instid1(VALU_DEP_4)
	v_add_nc_u32_e32 v40, s8, v41
	v_ashrrev_i32_e32 v42, 31, v41
	v_lshlrev_b64 v[51:52], 4, v[32:33]
	s_delay_alu instid0(VALU_DEP_3) | instskip(NEXT) | instid1(VALU_DEP_3)
	v_add_nc_u32_e32 v38, s8, v40
	v_lshlrev_b64 v[53:54], 4, v[41:42]
	v_ashrrev_i32_e32 v41, 31, v40
	s_delay_alu instid0(VALU_DEP_3) | instskip(SKIP_1) | instid1(VALU_DEP_3)
	v_add_nc_u32_e32 v36, s8, v38
	v_ashrrev_i32_e32 v39, 31, v38
	v_lshlrev_b64 v[40:41], 4, v[40:41]
	s_delay_alu instid0(VALU_DEP_3) | instskip(SKIP_1) | instid1(VALU_DEP_4)
	v_add_nc_u32_e32 v34, s8, v36
	v_ashrrev_i32_e32 v37, 31, v36
	v_lshlrev_b64 v[38:39], 4, v[38:39]
	s_delay_alu instid0(VALU_DEP_3) | instskip(SKIP_1) | instid1(VALU_DEP_4)
	;; [unrolled: 4-line block ×6, first 2 shown]
	v_add_nc_u32_e32 v20, s8, v25
	v_ashrrev_i32_e32 v26, 31, v25
	v_lshlrev_b64 v[27:28], 4, v[27:28]
	s_delay_alu instid0(VALU_DEP_3) | instskip(NEXT) | instid1(VALU_DEP_3)
	v_add_nc_u32_e32 v22, s8, v20
	v_lshlrev_b64 v[61:62], 4, v[25:26]
	v_ashrrev_i32_e32 v21, 31, v20
	s_delay_alu instid0(VALU_DEP_3) | instskip(SKIP_1) | instid1(VALU_DEP_3)
	v_add_nc_u32_e32 v16, s8, v22
	v_ashrrev_i32_e32 v23, 31, v22
	v_lshlrev_b64 v[20:21], 4, v[20:21]
	s_delay_alu instid0(VALU_DEP_3) | instskip(SKIP_1) | instid1(VALU_DEP_4)
	v_add_nc_u32_e32 v18, s8, v16
	v_ashrrev_i32_e32 v17, 31, v16
	v_lshlrev_b64 v[22:23], 4, v[22:23]
	s_delay_alu instid0(VALU_DEP_3) | instskip(SKIP_1) | instid1(VALU_DEP_4)
	v_add_nc_u32_e32 v13, s8, v18
	v_ashrrev_i32_e32 v19, 31, v18
	v_lshlrev_b64 v[65:66], 4, v[16:17]
	s_delay_alu instid0(VALU_DEP_3) | instskip(NEXT) | instid1(VALU_DEP_3)
	v_add_nc_u32_e32 v15, s8, v13
	v_lshlrev_b64 v[67:68], 4, v[18:19]
	v_ashrrev_i32_e32 v14, 31, v13
	s_delay_alu instid0(VALU_DEP_3) | instskip(SKIP_1) | instid1(VALU_DEP_3)
	v_add_nc_u32_e32 v43, s8, v15
	v_ashrrev_i32_e32 v16, 31, v15
	v_lshlrev_b64 v[13:14], 4, v[13:14]
	s_delay_alu instid0(VALU_DEP_3) | instskip(SKIP_1) | instid1(VALU_DEP_4)
	v_add_nc_u32_e32 v45, s8, v43
	v_ashrrev_i32_e32 v44, 31, v43
	v_lshlrev_b64 v[15:16], 4, v[15:16]
	s_delay_alu instid0(VALU_DEP_3) | instskip(SKIP_1) | instid1(VALU_DEP_4)
	v_add_nc_u32_e32 v47, s8, v45
	v_ashrrev_i32_e32 v46, 31, v45
	v_lshlrev_b64 v[71:72], 4, v[43:44]
	s_delay_alu instid0(VALU_DEP_3) | instskip(NEXT) | instid1(VALU_DEP_3)
	v_add_nc_u32_e32 v24, s8, v47
	v_lshlrev_b64 v[73:74], 4, v[45:46]
	v_ashrrev_i32_e32 v48, 31, v47
	s_delay_alu instid0(VALU_DEP_3) | instskip(SKIP_1) | instid1(VALU_DEP_3)
	v_add_nc_u32_e32 v33, s8, v24
	v_ashrrev_i32_e32 v25, 31, v24
	v_lshlrev_b64 v[75:76], 4, v[47:48]
	s_delay_alu instid0(VALU_DEP_3) | instskip(SKIP_1) | instid1(VALU_DEP_4)
	v_add_nc_u32_e32 v42, s8, v33
	v_ashrrev_i32_e32 v34, 31, v33
	v_lshlrev_b64 v[24:25], 4, v[24:25]
	s_delay_alu instid0(VALU_DEP_3) | instskip(SKIP_1) | instid1(VALU_DEP_4)
	v_add_nc_u32_e32 v57, s8, v42
	v_ashrrev_i32_e32 v43, 31, v42
	v_lshlrev_b64 v[33:34], 4, v[33:34]
	s_delay_alu instid0(VALU_DEP_3) | instskip(SKIP_1) | instid1(VALU_DEP_4)
	v_add_nc_u32_e32 v59, s8, v57
	v_ashrrev_i32_e32 v58, 31, v57
	v_lshlrev_b64 v[42:43], 4, v[42:43]
	s_delay_alu instid0(VALU_DEP_3) | instskip(SKIP_1) | instid1(VALU_DEP_4)
	;; [unrolled: 4-line block ×12, first 2 shown]
	v_add_nc_u32_e32 v87, s8, v85
	v_ashrrev_i32_e32 v86, 31, v85
	v_lshlrev_b64 v[83:84], 4, v[83:84]
	s_delay_alu instid0(VALU_DEP_3) | instskip(NEXT) | instid1(VALU_DEP_3)
	v_ashrrev_i32_e32 v88, 31, v87
	v_lshlrev_b64 v[85:86], 4, v[85:86]
	s_waitcnt vmcnt(0)
	v_add_co_u32 v19, vcc_lo, v1, s6
	v_add_co_ci_u32_e32 v26, vcc_lo, s7, v2, vcc_lo
	v_lshlrev_b64 v[1:2], 4, v[87:88]
	s_delay_alu instid0(VALU_DEP_3) | instskip(NEXT) | instid1(VALU_DEP_3)
	v_add_co_u32 v121, vcc_lo, v19, v3
	v_add_co_ci_u32_e32 v122, vcc_lo, v26, v4, vcc_lo
	v_add_co_u32 v119, vcc_lo, v19, v5
	v_add_co_ci_u32_e32 v120, vcc_lo, v26, v6, vcc_lo
	;; [unrolled: 2-line block ×42, first 2 shown]
	s_clause 0x3
	scratch_store_b64 off, v[121:122], off offset:336
	scratch_store_b64 off, v[119:120], off offset:328
	scratch_store_b64 off, v[117:118], off offset:320
	scratch_store_b64 off, v[115:116], off offset:312
	s_clause 0x3
	global_load_b128 v[160:163], v[121:122], off
	global_load_b128 v[156:159], v[119:120], off
	global_load_b128 v[152:155], v[117:118], off
	global_load_b128 v[148:151], v[115:116], off
	s_clause 0x3
	scratch_store_b64 off, v[113:114], off offset:304
	scratch_store_b64 off, v[111:112], off offset:296
	scratch_store_b64 off, v[109:110], off offset:288
	scratch_store_b64 off, v[107:108], off offset:280
	s_clause 0x3
	global_load_b128 v[144:147], v[113:114], off
	global_load_b128 v[140:143], v[111:112], off
	global_load_b128 v[136:139], v[109:110], off
	global_load_b128 v[132:135], v[107:108], off
	;; [unrolled: 10-line block ×10, first 2 shown]
	global_load_b128 v[170:173], v[164:165], off
	v_add_co_u32 v166, vcc_lo, v164, s4
	v_add_co_ci_u32_e32 v167, vcc_lo, s5, v165, vcc_lo
	scratch_store_b64 off, v[164:165], off offset:344 ; 8-byte Folded Spill
	s_waitcnt vmcnt(0)
	s_clause 0x1
	scratch_store_b128 off, v[170:173], off
	scratch_store_b64 off, v[166:167], off offset:352
	global_load_b128 v[164:167], v[166:167], off
	scratch_store_b64 off, v[0:1], off offset:64 ; 8-byte Folded Spill
	global_load_b128 v[0:3], v[0:1], off
	s_and_saveexec_b32 s5, s2
	s_cbranch_execz .LBB85_8
; %bb.2:
	scratch_load_b128 v[170:173], off, off  ; 16-byte Folded Reload
	s_waitcnt vmcnt(0)
	ds_store_2addr_b64 v168, v[170:171], v[172:173] offset1:1
	ds_store_2addr_b64 v169, v[164:165], v[166:167] offset0:2 offset1:3
	ds_store_2addr_b64 v169, v[160:161], v[162:163] offset0:4 offset1:5
	;; [unrolled: 1-line block ×42, first 2 shown]
	ds_load_2addr_b64 v[172:175], v168 offset1:1
	s_waitcnt lgkmcnt(0)
	v_cmp_neq_f64_e32 vcc_lo, 0, v[172:173]
	v_cmp_neq_f64_e64 s4, 0, v[174:175]
	s_delay_alu instid0(VALU_DEP_1) | instskip(NEXT) | instid1(SALU_CYCLE_1)
	s_or_b32 s4, vcc_lo, s4
	s_and_b32 exec_lo, exec_lo, s4
	s_cbranch_execz .LBB85_8
; %bb.3:
	v_cmp_gt_f64_e32 vcc_lo, 0, v[172:173]
	v_cmp_gt_f64_e64 s4, 0, v[174:175]
	v_xor_b32_e32 v170, 0x80000000, v173
	v_xor_b32_e32 v176, 0x80000000, v175
                                        ; implicit-def: $vgpr180_vgpr181
	s_delay_alu instid0(VALU_DEP_2) | instskip(NEXT) | instid1(VALU_DEP_2)
	v_dual_cndmask_b32 v171, v173, v170 :: v_dual_cndmask_b32 v170, v172, v172
	v_cndmask_b32_e64 v177, v175, v176, s4
	v_cndmask_b32_e64 v176, v174, v174, s4
	s_mov_b32 s4, exec_lo
	s_delay_alu instid0(VALU_DEP_1)
	v_cmpx_ngt_f64_e32 v[170:171], v[176:177]
	s_xor_b32 s4, exec_lo, s4
                                        ; implicit-def: $vgpr176_vgpr177_vgpr178_vgpr179
	s_cbranch_execz .LBB85_5
; %bb.4:
	v_div_scale_f64 v[170:171], null, v[174:175], v[174:175], v[172:173]
	v_div_scale_f64 v[180:181], vcc_lo, v[172:173], v[174:175], v[172:173]
	s_delay_alu instid0(VALU_DEP_2) | instskip(SKIP_2) | instid1(VALU_DEP_1)
	v_rcp_f64_e32 v[176:177], v[170:171]
	s_waitcnt_depctr 0xfff
	v_fma_f64 v[178:179], -v[170:171], v[176:177], 1.0
	v_fma_f64 v[176:177], v[176:177], v[178:179], v[176:177]
	s_delay_alu instid0(VALU_DEP_1) | instskip(NEXT) | instid1(VALU_DEP_1)
	v_fma_f64 v[178:179], -v[170:171], v[176:177], 1.0
	v_fma_f64 v[176:177], v[176:177], v[178:179], v[176:177]
	s_delay_alu instid0(VALU_DEP_1) | instskip(NEXT) | instid1(VALU_DEP_1)
	v_mul_f64 v[178:179], v[180:181], v[176:177]
	v_fma_f64 v[170:171], -v[170:171], v[178:179], v[180:181]
	s_delay_alu instid0(VALU_DEP_1) | instskip(NEXT) | instid1(VALU_DEP_1)
	v_div_fmas_f64 v[170:171], v[170:171], v[176:177], v[178:179]
	v_div_fixup_f64 v[170:171], v[170:171], v[174:175], v[172:173]
	s_delay_alu instid0(VALU_DEP_1) | instskip(NEXT) | instid1(VALU_DEP_1)
	v_fma_f64 v[172:173], v[172:173], v[170:171], v[174:175]
	v_div_scale_f64 v[174:175], null, v[172:173], v[172:173], 1.0
	s_delay_alu instid0(VALU_DEP_1) | instskip(SKIP_2) | instid1(VALU_DEP_1)
	v_rcp_f64_e32 v[176:177], v[174:175]
	s_waitcnt_depctr 0xfff
	v_fma_f64 v[178:179], -v[174:175], v[176:177], 1.0
	v_fma_f64 v[176:177], v[176:177], v[178:179], v[176:177]
	s_delay_alu instid0(VALU_DEP_1) | instskip(NEXT) | instid1(VALU_DEP_1)
	v_fma_f64 v[178:179], -v[174:175], v[176:177], 1.0
	v_fma_f64 v[176:177], v[176:177], v[178:179], v[176:177]
	v_div_scale_f64 v[178:179], vcc_lo, 1.0, v[172:173], 1.0
	s_delay_alu instid0(VALU_DEP_1) | instskip(NEXT) | instid1(VALU_DEP_1)
	v_mul_f64 v[180:181], v[178:179], v[176:177]
	v_fma_f64 v[174:175], -v[174:175], v[180:181], v[178:179]
	s_delay_alu instid0(VALU_DEP_1) | instskip(NEXT) | instid1(VALU_DEP_1)
	v_div_fmas_f64 v[174:175], v[174:175], v[176:177], v[180:181]
	v_div_fixup_f64 v[178:179], v[174:175], v[172:173], 1.0
                                        ; implicit-def: $vgpr172_vgpr173
	s_delay_alu instid0(VALU_DEP_1)
	v_mul_f64 v[180:181], v[170:171], v[178:179]
	v_xor_b32_e32 v179, 0x80000000, v179
.LBB85_5:
	s_and_not1_saveexec_b32 s4, s4
	s_cbranch_execz .LBB85_7
; %bb.6:
	v_div_scale_f64 v[170:171], null, v[172:173], v[172:173], v[174:175]
	v_div_scale_f64 v[180:181], vcc_lo, v[174:175], v[172:173], v[174:175]
	s_delay_alu instid0(VALU_DEP_2) | instskip(SKIP_2) | instid1(VALU_DEP_1)
	v_rcp_f64_e32 v[176:177], v[170:171]
	s_waitcnt_depctr 0xfff
	v_fma_f64 v[178:179], -v[170:171], v[176:177], 1.0
	v_fma_f64 v[176:177], v[176:177], v[178:179], v[176:177]
	s_delay_alu instid0(VALU_DEP_1) | instskip(NEXT) | instid1(VALU_DEP_1)
	v_fma_f64 v[178:179], -v[170:171], v[176:177], 1.0
	v_fma_f64 v[176:177], v[176:177], v[178:179], v[176:177]
	s_delay_alu instid0(VALU_DEP_1) | instskip(NEXT) | instid1(VALU_DEP_1)
	v_mul_f64 v[178:179], v[180:181], v[176:177]
	v_fma_f64 v[170:171], -v[170:171], v[178:179], v[180:181]
	s_delay_alu instid0(VALU_DEP_1) | instskip(NEXT) | instid1(VALU_DEP_1)
	v_div_fmas_f64 v[170:171], v[170:171], v[176:177], v[178:179]
	v_div_fixup_f64 v[170:171], v[170:171], v[172:173], v[174:175]
	s_delay_alu instid0(VALU_DEP_1) | instskip(NEXT) | instid1(VALU_DEP_1)
	v_fma_f64 v[172:173], v[174:175], v[170:171], v[172:173]
	v_div_scale_f64 v[174:175], null, v[172:173], v[172:173], 1.0
	s_delay_alu instid0(VALU_DEP_1) | instskip(SKIP_2) | instid1(VALU_DEP_1)
	v_rcp_f64_e32 v[176:177], v[174:175]
	s_waitcnt_depctr 0xfff
	v_fma_f64 v[178:179], -v[174:175], v[176:177], 1.0
	v_fma_f64 v[176:177], v[176:177], v[178:179], v[176:177]
	s_delay_alu instid0(VALU_DEP_1) | instskip(NEXT) | instid1(VALU_DEP_1)
	v_fma_f64 v[178:179], -v[174:175], v[176:177], 1.0
	v_fma_f64 v[176:177], v[176:177], v[178:179], v[176:177]
	v_div_scale_f64 v[178:179], vcc_lo, 1.0, v[172:173], 1.0
	s_delay_alu instid0(VALU_DEP_1) | instskip(NEXT) | instid1(VALU_DEP_1)
	v_mul_f64 v[180:181], v[178:179], v[176:177]
	v_fma_f64 v[174:175], -v[174:175], v[180:181], v[178:179]
	s_delay_alu instid0(VALU_DEP_1) | instskip(NEXT) | instid1(VALU_DEP_1)
	v_div_fmas_f64 v[174:175], v[174:175], v[176:177], v[180:181]
	v_div_fixup_f64 v[180:181], v[174:175], v[172:173], 1.0
	s_delay_alu instid0(VALU_DEP_1)
	v_mul_f64 v[178:179], v[170:171], -v[180:181]
.LBB85_7:
	s_or_b32 exec_lo, exec_lo, s4
	ds_store_2addr_b64 v168, v[180:181], v[178:179] offset1:1
.LBB85_8:
	s_or_b32 exec_lo, exec_lo, s5
	s_waitcnt vmcnt(0) lgkmcnt(0)
	s_waitcnt_vscnt null, 0x0
	s_barrier
	buffer_gl0_inv
	ds_load_2addr_b64 v[170:173], v168 offset1:1
	s_waitcnt lgkmcnt(0)
	scratch_store_b128 off, v[170:173], off offset:360 ; 16-byte Folded Spill
	s_and_saveexec_b32 s4, s3
	s_cbranch_execz .LBB85_10
; %bb.9:
	s_clause 0x1
	scratch_load_b128 v[176:179], off, off
	scratch_load_b128 v[180:183], off, off offset:360
	s_waitcnt vmcnt(0)
	v_mul_f64 v[170:171], v[182:183], v[178:179]
	s_delay_alu instid0(VALU_DEP_1) | instskip(SKIP_1) | instid1(VALU_DEP_1)
	v_fma_f64 v[172:173], v[180:181], v[176:177], -v[170:171]
	v_mul_f64 v[170:171], v[180:181], v[178:179]
	v_fma_f64 v[178:179], v[182:183], v[176:177], v[170:171]
	ds_load_2addr_b64 v[174:177], v169 offset0:2 offset1:3
	s_waitcnt lgkmcnt(0)
	v_mul_f64 v[170:171], v[176:177], v[178:179]
	s_delay_alu instid0(VALU_DEP_1) | instskip(SKIP_1) | instid1(VALU_DEP_2)
	v_fma_f64 v[170:171], v[174:175], v[172:173], -v[170:171]
	v_mul_f64 v[174:175], v[174:175], v[178:179]
	v_add_f64 v[164:165], v[164:165], -v[170:171]
	s_delay_alu instid0(VALU_DEP_2) | instskip(NEXT) | instid1(VALU_DEP_1)
	v_fma_f64 v[174:175], v[176:177], v[172:173], v[174:175]
	v_add_f64 v[166:167], v[166:167], -v[174:175]
	ds_load_2addr_b64 v[174:177], v169 offset0:4 offset1:5
	s_waitcnt lgkmcnt(0)
	v_mul_f64 v[170:171], v[176:177], v[178:179]
	s_delay_alu instid0(VALU_DEP_1) | instskip(SKIP_1) | instid1(VALU_DEP_2)
	v_fma_f64 v[170:171], v[174:175], v[172:173], -v[170:171]
	v_mul_f64 v[174:175], v[174:175], v[178:179]
	v_add_f64 v[160:161], v[160:161], -v[170:171]
	s_delay_alu instid0(VALU_DEP_2) | instskip(NEXT) | instid1(VALU_DEP_1)
	v_fma_f64 v[174:175], v[176:177], v[172:173], v[174:175]
	v_add_f64 v[162:163], v[162:163], -v[174:175]
	ds_load_2addr_b64 v[174:177], v169 offset0:6 offset1:7
	s_waitcnt lgkmcnt(0)
	v_mul_f64 v[170:171], v[176:177], v[178:179]
	s_delay_alu instid0(VALU_DEP_1) | instskip(SKIP_1) | instid1(VALU_DEP_2)
	v_fma_f64 v[170:171], v[174:175], v[172:173], -v[170:171]
	v_mul_f64 v[174:175], v[174:175], v[178:179]
	v_add_f64 v[156:157], v[156:157], -v[170:171]
	s_delay_alu instid0(VALU_DEP_2) | instskip(NEXT) | instid1(VALU_DEP_1)
	v_fma_f64 v[174:175], v[176:177], v[172:173], v[174:175]
	v_add_f64 v[158:159], v[158:159], -v[174:175]
	ds_load_2addr_b64 v[174:177], v169 offset0:8 offset1:9
	s_waitcnt lgkmcnt(0)
	v_mul_f64 v[170:171], v[176:177], v[178:179]
	s_delay_alu instid0(VALU_DEP_1) | instskip(SKIP_1) | instid1(VALU_DEP_2)
	v_fma_f64 v[170:171], v[174:175], v[172:173], -v[170:171]
	v_mul_f64 v[174:175], v[174:175], v[178:179]
	v_add_f64 v[152:153], v[152:153], -v[170:171]
	s_delay_alu instid0(VALU_DEP_2) | instskip(NEXT) | instid1(VALU_DEP_1)
	v_fma_f64 v[174:175], v[176:177], v[172:173], v[174:175]
	v_add_f64 v[154:155], v[154:155], -v[174:175]
	ds_load_2addr_b64 v[174:177], v169 offset0:10 offset1:11
	s_waitcnt lgkmcnt(0)
	v_mul_f64 v[170:171], v[176:177], v[178:179]
	s_delay_alu instid0(VALU_DEP_1) | instskip(SKIP_1) | instid1(VALU_DEP_2)
	v_fma_f64 v[170:171], v[174:175], v[172:173], -v[170:171]
	v_mul_f64 v[174:175], v[174:175], v[178:179]
	v_add_f64 v[148:149], v[148:149], -v[170:171]
	s_delay_alu instid0(VALU_DEP_2) | instskip(NEXT) | instid1(VALU_DEP_1)
	v_fma_f64 v[174:175], v[176:177], v[172:173], v[174:175]
	v_add_f64 v[150:151], v[150:151], -v[174:175]
	ds_load_2addr_b64 v[174:177], v169 offset0:12 offset1:13
	s_waitcnt lgkmcnt(0)
	v_mul_f64 v[170:171], v[176:177], v[178:179]
	s_delay_alu instid0(VALU_DEP_1) | instskip(SKIP_1) | instid1(VALU_DEP_2)
	v_fma_f64 v[170:171], v[174:175], v[172:173], -v[170:171]
	v_mul_f64 v[174:175], v[174:175], v[178:179]
	v_add_f64 v[144:145], v[144:145], -v[170:171]
	s_delay_alu instid0(VALU_DEP_2) | instskip(NEXT) | instid1(VALU_DEP_1)
	v_fma_f64 v[174:175], v[176:177], v[172:173], v[174:175]
	v_add_f64 v[146:147], v[146:147], -v[174:175]
	ds_load_2addr_b64 v[174:177], v169 offset0:14 offset1:15
	s_waitcnt lgkmcnt(0)
	v_mul_f64 v[170:171], v[176:177], v[178:179]
	s_delay_alu instid0(VALU_DEP_1) | instskip(SKIP_1) | instid1(VALU_DEP_2)
	v_fma_f64 v[170:171], v[174:175], v[172:173], -v[170:171]
	v_mul_f64 v[174:175], v[174:175], v[178:179]
	v_add_f64 v[140:141], v[140:141], -v[170:171]
	s_delay_alu instid0(VALU_DEP_2) | instskip(NEXT) | instid1(VALU_DEP_1)
	v_fma_f64 v[174:175], v[176:177], v[172:173], v[174:175]
	v_add_f64 v[142:143], v[142:143], -v[174:175]
	ds_load_2addr_b64 v[174:177], v169 offset0:16 offset1:17
	s_waitcnt lgkmcnt(0)
	v_mul_f64 v[170:171], v[176:177], v[178:179]
	s_delay_alu instid0(VALU_DEP_1) | instskip(SKIP_1) | instid1(VALU_DEP_2)
	v_fma_f64 v[170:171], v[174:175], v[172:173], -v[170:171]
	v_mul_f64 v[174:175], v[174:175], v[178:179]
	v_add_f64 v[136:137], v[136:137], -v[170:171]
	s_delay_alu instid0(VALU_DEP_2) | instskip(NEXT) | instid1(VALU_DEP_1)
	v_fma_f64 v[174:175], v[176:177], v[172:173], v[174:175]
	v_add_f64 v[138:139], v[138:139], -v[174:175]
	ds_load_2addr_b64 v[174:177], v169 offset0:18 offset1:19
	s_waitcnt lgkmcnt(0)
	v_mul_f64 v[170:171], v[176:177], v[178:179]
	s_delay_alu instid0(VALU_DEP_1) | instskip(SKIP_1) | instid1(VALU_DEP_2)
	v_fma_f64 v[170:171], v[174:175], v[172:173], -v[170:171]
	v_mul_f64 v[174:175], v[174:175], v[178:179]
	v_add_f64 v[132:133], v[132:133], -v[170:171]
	s_delay_alu instid0(VALU_DEP_2) | instskip(NEXT) | instid1(VALU_DEP_1)
	v_fma_f64 v[174:175], v[176:177], v[172:173], v[174:175]
	v_add_f64 v[134:135], v[134:135], -v[174:175]
	ds_load_2addr_b64 v[174:177], v169 offset0:20 offset1:21
	s_waitcnt lgkmcnt(0)
	v_mul_f64 v[170:171], v[176:177], v[178:179]
	s_delay_alu instid0(VALU_DEP_1) | instskip(SKIP_1) | instid1(VALU_DEP_2)
	v_fma_f64 v[170:171], v[174:175], v[172:173], -v[170:171]
	v_mul_f64 v[174:175], v[174:175], v[178:179]
	v_add_f64 v[128:129], v[128:129], -v[170:171]
	s_delay_alu instid0(VALU_DEP_2) | instskip(NEXT) | instid1(VALU_DEP_1)
	v_fma_f64 v[174:175], v[176:177], v[172:173], v[174:175]
	v_add_f64 v[130:131], v[130:131], -v[174:175]
	ds_load_2addr_b64 v[174:177], v169 offset0:22 offset1:23
	s_waitcnt lgkmcnt(0)
	v_mul_f64 v[170:171], v[176:177], v[178:179]
	s_delay_alu instid0(VALU_DEP_1) | instskip(SKIP_1) | instid1(VALU_DEP_2)
	v_fma_f64 v[170:171], v[174:175], v[172:173], -v[170:171]
	v_mul_f64 v[174:175], v[174:175], v[178:179]
	v_add_f64 v[124:125], v[124:125], -v[170:171]
	s_delay_alu instid0(VALU_DEP_2) | instskip(NEXT) | instid1(VALU_DEP_1)
	v_fma_f64 v[174:175], v[176:177], v[172:173], v[174:175]
	v_add_f64 v[126:127], v[126:127], -v[174:175]
	ds_load_2addr_b64 v[174:177], v169 offset0:24 offset1:25
	s_waitcnt lgkmcnt(0)
	v_mul_f64 v[170:171], v[176:177], v[178:179]
	s_delay_alu instid0(VALU_DEP_1) | instskip(SKIP_1) | instid1(VALU_DEP_2)
	v_fma_f64 v[170:171], v[174:175], v[172:173], -v[170:171]
	v_mul_f64 v[174:175], v[174:175], v[178:179]
	v_add_f64 v[120:121], v[120:121], -v[170:171]
	s_delay_alu instid0(VALU_DEP_2) | instskip(NEXT) | instid1(VALU_DEP_1)
	v_fma_f64 v[174:175], v[176:177], v[172:173], v[174:175]
	v_add_f64 v[122:123], v[122:123], -v[174:175]
	ds_load_2addr_b64 v[174:177], v169 offset0:26 offset1:27
	s_waitcnt lgkmcnt(0)
	v_mul_f64 v[170:171], v[176:177], v[178:179]
	s_delay_alu instid0(VALU_DEP_1) | instskip(SKIP_1) | instid1(VALU_DEP_2)
	v_fma_f64 v[170:171], v[174:175], v[172:173], -v[170:171]
	v_mul_f64 v[174:175], v[174:175], v[178:179]
	v_add_f64 v[116:117], v[116:117], -v[170:171]
	s_delay_alu instid0(VALU_DEP_2) | instskip(NEXT) | instid1(VALU_DEP_1)
	v_fma_f64 v[174:175], v[176:177], v[172:173], v[174:175]
	v_add_f64 v[118:119], v[118:119], -v[174:175]
	ds_load_2addr_b64 v[174:177], v169 offset0:28 offset1:29
	s_waitcnt lgkmcnt(0)
	v_mul_f64 v[170:171], v[176:177], v[178:179]
	s_delay_alu instid0(VALU_DEP_1) | instskip(SKIP_1) | instid1(VALU_DEP_2)
	v_fma_f64 v[170:171], v[174:175], v[172:173], -v[170:171]
	v_mul_f64 v[174:175], v[174:175], v[178:179]
	v_add_f64 v[112:113], v[112:113], -v[170:171]
	s_delay_alu instid0(VALU_DEP_2) | instskip(NEXT) | instid1(VALU_DEP_1)
	v_fma_f64 v[174:175], v[176:177], v[172:173], v[174:175]
	v_add_f64 v[114:115], v[114:115], -v[174:175]
	ds_load_2addr_b64 v[174:177], v169 offset0:30 offset1:31
	s_waitcnt lgkmcnt(0)
	v_mul_f64 v[170:171], v[176:177], v[178:179]
	s_delay_alu instid0(VALU_DEP_1) | instskip(SKIP_1) | instid1(VALU_DEP_2)
	v_fma_f64 v[170:171], v[174:175], v[172:173], -v[170:171]
	v_mul_f64 v[174:175], v[174:175], v[178:179]
	v_add_f64 v[108:109], v[108:109], -v[170:171]
	s_delay_alu instid0(VALU_DEP_2) | instskip(NEXT) | instid1(VALU_DEP_1)
	v_fma_f64 v[174:175], v[176:177], v[172:173], v[174:175]
	v_add_f64 v[110:111], v[110:111], -v[174:175]
	ds_load_2addr_b64 v[174:177], v169 offset0:32 offset1:33
	s_waitcnt lgkmcnt(0)
	v_mul_f64 v[170:171], v[176:177], v[178:179]
	s_delay_alu instid0(VALU_DEP_1) | instskip(SKIP_1) | instid1(VALU_DEP_2)
	v_fma_f64 v[170:171], v[174:175], v[172:173], -v[170:171]
	v_mul_f64 v[174:175], v[174:175], v[178:179]
	v_add_f64 v[104:105], v[104:105], -v[170:171]
	s_delay_alu instid0(VALU_DEP_2) | instskip(NEXT) | instid1(VALU_DEP_1)
	v_fma_f64 v[174:175], v[176:177], v[172:173], v[174:175]
	v_add_f64 v[106:107], v[106:107], -v[174:175]
	ds_load_2addr_b64 v[174:177], v169 offset0:34 offset1:35
	s_waitcnt lgkmcnt(0)
	v_mul_f64 v[170:171], v[176:177], v[178:179]
	s_delay_alu instid0(VALU_DEP_1) | instskip(SKIP_1) | instid1(VALU_DEP_2)
	v_fma_f64 v[170:171], v[174:175], v[172:173], -v[170:171]
	v_mul_f64 v[174:175], v[174:175], v[178:179]
	v_add_f64 v[100:101], v[100:101], -v[170:171]
	s_delay_alu instid0(VALU_DEP_2) | instskip(NEXT) | instid1(VALU_DEP_1)
	v_fma_f64 v[174:175], v[176:177], v[172:173], v[174:175]
	v_add_f64 v[102:103], v[102:103], -v[174:175]
	ds_load_2addr_b64 v[174:177], v169 offset0:36 offset1:37
	s_waitcnt lgkmcnt(0)
	v_mul_f64 v[170:171], v[176:177], v[178:179]
	s_delay_alu instid0(VALU_DEP_1) | instskip(SKIP_1) | instid1(VALU_DEP_2)
	v_fma_f64 v[170:171], v[174:175], v[172:173], -v[170:171]
	v_mul_f64 v[174:175], v[174:175], v[178:179]
	v_add_f64 v[96:97], v[96:97], -v[170:171]
	s_delay_alu instid0(VALU_DEP_2) | instskip(NEXT) | instid1(VALU_DEP_1)
	v_fma_f64 v[174:175], v[176:177], v[172:173], v[174:175]
	v_add_f64 v[98:99], v[98:99], -v[174:175]
	ds_load_2addr_b64 v[174:177], v169 offset0:38 offset1:39
	s_waitcnt lgkmcnt(0)
	v_mul_f64 v[170:171], v[176:177], v[178:179]
	s_delay_alu instid0(VALU_DEP_1) | instskip(SKIP_1) | instid1(VALU_DEP_2)
	v_fma_f64 v[170:171], v[174:175], v[172:173], -v[170:171]
	v_mul_f64 v[174:175], v[174:175], v[178:179]
	v_add_f64 v[92:93], v[92:93], -v[170:171]
	s_delay_alu instid0(VALU_DEP_2) | instskip(NEXT) | instid1(VALU_DEP_1)
	v_fma_f64 v[174:175], v[176:177], v[172:173], v[174:175]
	v_add_f64 v[94:95], v[94:95], -v[174:175]
	ds_load_2addr_b64 v[174:177], v169 offset0:40 offset1:41
	s_waitcnt lgkmcnt(0)
	v_mul_f64 v[170:171], v[176:177], v[178:179]
	s_delay_alu instid0(VALU_DEP_1) | instskip(SKIP_1) | instid1(VALU_DEP_2)
	v_fma_f64 v[170:171], v[174:175], v[172:173], -v[170:171]
	v_mul_f64 v[174:175], v[174:175], v[178:179]
	v_add_f64 v[88:89], v[88:89], -v[170:171]
	s_delay_alu instid0(VALU_DEP_2) | instskip(NEXT) | instid1(VALU_DEP_1)
	v_fma_f64 v[174:175], v[176:177], v[172:173], v[174:175]
	v_add_f64 v[90:91], v[90:91], -v[174:175]
	ds_load_2addr_b64 v[174:177], v169 offset0:42 offset1:43
	s_waitcnt lgkmcnt(0)
	v_mul_f64 v[170:171], v[176:177], v[178:179]
	s_delay_alu instid0(VALU_DEP_1) | instskip(SKIP_1) | instid1(VALU_DEP_2)
	v_fma_f64 v[170:171], v[174:175], v[172:173], -v[170:171]
	v_mul_f64 v[174:175], v[174:175], v[178:179]
	v_add_f64 v[84:85], v[84:85], -v[170:171]
	s_delay_alu instid0(VALU_DEP_2) | instskip(NEXT) | instid1(VALU_DEP_1)
	v_fma_f64 v[174:175], v[176:177], v[172:173], v[174:175]
	v_add_f64 v[86:87], v[86:87], -v[174:175]
	ds_load_2addr_b64 v[174:177], v169 offset0:44 offset1:45
	s_waitcnt lgkmcnt(0)
	v_mul_f64 v[170:171], v[176:177], v[178:179]
	s_delay_alu instid0(VALU_DEP_1) | instskip(SKIP_1) | instid1(VALU_DEP_2)
	v_fma_f64 v[170:171], v[174:175], v[172:173], -v[170:171]
	v_mul_f64 v[174:175], v[174:175], v[178:179]
	v_add_f64 v[80:81], v[80:81], -v[170:171]
	s_delay_alu instid0(VALU_DEP_2) | instskip(NEXT) | instid1(VALU_DEP_1)
	v_fma_f64 v[174:175], v[176:177], v[172:173], v[174:175]
	v_add_f64 v[82:83], v[82:83], -v[174:175]
	ds_load_2addr_b64 v[174:177], v169 offset0:46 offset1:47
	s_waitcnt lgkmcnt(0)
	v_mul_f64 v[170:171], v[176:177], v[178:179]
	s_delay_alu instid0(VALU_DEP_1) | instskip(SKIP_1) | instid1(VALU_DEP_2)
	v_fma_f64 v[170:171], v[174:175], v[172:173], -v[170:171]
	v_mul_f64 v[174:175], v[174:175], v[178:179]
	v_add_f64 v[76:77], v[76:77], -v[170:171]
	s_delay_alu instid0(VALU_DEP_2) | instskip(NEXT) | instid1(VALU_DEP_1)
	v_fma_f64 v[174:175], v[176:177], v[172:173], v[174:175]
	v_add_f64 v[78:79], v[78:79], -v[174:175]
	ds_load_2addr_b64 v[174:177], v169 offset0:48 offset1:49
	s_waitcnt lgkmcnt(0)
	v_mul_f64 v[170:171], v[176:177], v[178:179]
	s_delay_alu instid0(VALU_DEP_1) | instskip(SKIP_1) | instid1(VALU_DEP_2)
	v_fma_f64 v[170:171], v[174:175], v[172:173], -v[170:171]
	v_mul_f64 v[174:175], v[174:175], v[178:179]
	v_add_f64 v[72:73], v[72:73], -v[170:171]
	s_delay_alu instid0(VALU_DEP_2) | instskip(NEXT) | instid1(VALU_DEP_1)
	v_fma_f64 v[174:175], v[176:177], v[172:173], v[174:175]
	v_add_f64 v[74:75], v[74:75], -v[174:175]
	ds_load_2addr_b64 v[174:177], v169 offset0:50 offset1:51
	s_waitcnt lgkmcnt(0)
	v_mul_f64 v[170:171], v[176:177], v[178:179]
	s_delay_alu instid0(VALU_DEP_1) | instskip(SKIP_1) | instid1(VALU_DEP_2)
	v_fma_f64 v[170:171], v[174:175], v[172:173], -v[170:171]
	v_mul_f64 v[174:175], v[174:175], v[178:179]
	v_add_f64 v[68:69], v[68:69], -v[170:171]
	s_delay_alu instid0(VALU_DEP_2) | instskip(NEXT) | instid1(VALU_DEP_1)
	v_fma_f64 v[174:175], v[176:177], v[172:173], v[174:175]
	v_add_f64 v[70:71], v[70:71], -v[174:175]
	ds_load_2addr_b64 v[174:177], v169 offset0:52 offset1:53
	s_waitcnt lgkmcnt(0)
	v_mul_f64 v[170:171], v[176:177], v[178:179]
	s_delay_alu instid0(VALU_DEP_1) | instskip(SKIP_1) | instid1(VALU_DEP_2)
	v_fma_f64 v[170:171], v[174:175], v[172:173], -v[170:171]
	v_mul_f64 v[174:175], v[174:175], v[178:179]
	v_add_f64 v[64:65], v[64:65], -v[170:171]
	s_delay_alu instid0(VALU_DEP_2) | instskip(NEXT) | instid1(VALU_DEP_1)
	v_fma_f64 v[174:175], v[176:177], v[172:173], v[174:175]
	v_add_f64 v[66:67], v[66:67], -v[174:175]
	ds_load_2addr_b64 v[174:177], v169 offset0:54 offset1:55
	s_waitcnt lgkmcnt(0)
	v_mul_f64 v[170:171], v[176:177], v[178:179]
	s_delay_alu instid0(VALU_DEP_1) | instskip(SKIP_1) | instid1(VALU_DEP_2)
	v_fma_f64 v[170:171], v[174:175], v[172:173], -v[170:171]
	v_mul_f64 v[174:175], v[174:175], v[178:179]
	v_add_f64 v[60:61], v[60:61], -v[170:171]
	s_delay_alu instid0(VALU_DEP_2) | instskip(NEXT) | instid1(VALU_DEP_1)
	v_fma_f64 v[174:175], v[176:177], v[172:173], v[174:175]
	v_add_f64 v[62:63], v[62:63], -v[174:175]
	ds_load_2addr_b64 v[174:177], v169 offset0:56 offset1:57
	s_waitcnt lgkmcnt(0)
	v_mul_f64 v[170:171], v[176:177], v[178:179]
	s_delay_alu instid0(VALU_DEP_1) | instskip(SKIP_1) | instid1(VALU_DEP_2)
	v_fma_f64 v[170:171], v[174:175], v[172:173], -v[170:171]
	v_mul_f64 v[174:175], v[174:175], v[178:179]
	v_add_f64 v[56:57], v[56:57], -v[170:171]
	s_delay_alu instid0(VALU_DEP_2) | instskip(NEXT) | instid1(VALU_DEP_1)
	v_fma_f64 v[174:175], v[176:177], v[172:173], v[174:175]
	v_add_f64 v[58:59], v[58:59], -v[174:175]
	ds_load_2addr_b64 v[174:177], v169 offset0:58 offset1:59
	s_waitcnt lgkmcnt(0)
	v_mul_f64 v[170:171], v[176:177], v[178:179]
	s_delay_alu instid0(VALU_DEP_1) | instskip(SKIP_1) | instid1(VALU_DEP_2)
	v_fma_f64 v[170:171], v[174:175], v[172:173], -v[170:171]
	v_mul_f64 v[174:175], v[174:175], v[178:179]
	v_add_f64 v[52:53], v[52:53], -v[170:171]
	s_delay_alu instid0(VALU_DEP_2) | instskip(NEXT) | instid1(VALU_DEP_1)
	v_fma_f64 v[174:175], v[176:177], v[172:173], v[174:175]
	v_add_f64 v[54:55], v[54:55], -v[174:175]
	ds_load_2addr_b64 v[174:177], v169 offset0:60 offset1:61
	s_waitcnt lgkmcnt(0)
	v_mul_f64 v[170:171], v[176:177], v[178:179]
	s_delay_alu instid0(VALU_DEP_1) | instskip(SKIP_1) | instid1(VALU_DEP_2)
	v_fma_f64 v[170:171], v[174:175], v[172:173], -v[170:171]
	v_mul_f64 v[174:175], v[174:175], v[178:179]
	v_add_f64 v[48:49], v[48:49], -v[170:171]
	s_delay_alu instid0(VALU_DEP_2) | instskip(NEXT) | instid1(VALU_DEP_1)
	v_fma_f64 v[174:175], v[176:177], v[172:173], v[174:175]
	v_add_f64 v[50:51], v[50:51], -v[174:175]
	ds_load_2addr_b64 v[174:177], v169 offset0:62 offset1:63
	s_waitcnt lgkmcnt(0)
	v_mul_f64 v[170:171], v[176:177], v[178:179]
	s_delay_alu instid0(VALU_DEP_1) | instskip(SKIP_1) | instid1(VALU_DEP_2)
	v_fma_f64 v[170:171], v[174:175], v[172:173], -v[170:171]
	v_mul_f64 v[174:175], v[174:175], v[178:179]
	v_add_f64 v[44:45], v[44:45], -v[170:171]
	s_delay_alu instid0(VALU_DEP_2) | instskip(NEXT) | instid1(VALU_DEP_1)
	v_fma_f64 v[174:175], v[176:177], v[172:173], v[174:175]
	v_add_f64 v[46:47], v[46:47], -v[174:175]
	ds_load_2addr_b64 v[174:177], v169 offset0:64 offset1:65
	s_waitcnt lgkmcnt(0)
	v_mul_f64 v[170:171], v[176:177], v[178:179]
	s_delay_alu instid0(VALU_DEP_1) | instskip(SKIP_1) | instid1(VALU_DEP_2)
	v_fma_f64 v[170:171], v[174:175], v[172:173], -v[170:171]
	v_mul_f64 v[174:175], v[174:175], v[178:179]
	v_add_f64 v[40:41], v[40:41], -v[170:171]
	s_delay_alu instid0(VALU_DEP_2) | instskip(NEXT) | instid1(VALU_DEP_1)
	v_fma_f64 v[174:175], v[176:177], v[172:173], v[174:175]
	v_add_f64 v[42:43], v[42:43], -v[174:175]
	ds_load_2addr_b64 v[174:177], v169 offset0:66 offset1:67
	s_waitcnt lgkmcnt(0)
	v_mul_f64 v[170:171], v[176:177], v[178:179]
	s_delay_alu instid0(VALU_DEP_1) | instskip(SKIP_1) | instid1(VALU_DEP_2)
	v_fma_f64 v[170:171], v[174:175], v[172:173], -v[170:171]
	v_mul_f64 v[174:175], v[174:175], v[178:179]
	v_add_f64 v[36:37], v[36:37], -v[170:171]
	s_delay_alu instid0(VALU_DEP_2) | instskip(NEXT) | instid1(VALU_DEP_1)
	v_fma_f64 v[174:175], v[176:177], v[172:173], v[174:175]
	v_add_f64 v[38:39], v[38:39], -v[174:175]
	ds_load_2addr_b64 v[174:177], v169 offset0:68 offset1:69
	s_waitcnt lgkmcnt(0)
	v_mul_f64 v[170:171], v[176:177], v[178:179]
	s_delay_alu instid0(VALU_DEP_1) | instskip(SKIP_1) | instid1(VALU_DEP_2)
	v_fma_f64 v[170:171], v[174:175], v[172:173], -v[170:171]
	v_mul_f64 v[174:175], v[174:175], v[178:179]
	v_add_f64 v[32:33], v[32:33], -v[170:171]
	s_delay_alu instid0(VALU_DEP_2) | instskip(NEXT) | instid1(VALU_DEP_1)
	v_fma_f64 v[174:175], v[176:177], v[172:173], v[174:175]
	v_add_f64 v[34:35], v[34:35], -v[174:175]
	ds_load_2addr_b64 v[174:177], v169 offset0:70 offset1:71
	s_waitcnt lgkmcnt(0)
	v_mul_f64 v[170:171], v[176:177], v[178:179]
	s_delay_alu instid0(VALU_DEP_1) | instskip(SKIP_1) | instid1(VALU_DEP_2)
	v_fma_f64 v[170:171], v[174:175], v[172:173], -v[170:171]
	v_mul_f64 v[174:175], v[174:175], v[178:179]
	v_add_f64 v[28:29], v[28:29], -v[170:171]
	s_delay_alu instid0(VALU_DEP_2) | instskip(NEXT) | instid1(VALU_DEP_1)
	v_fma_f64 v[174:175], v[176:177], v[172:173], v[174:175]
	v_add_f64 v[30:31], v[30:31], -v[174:175]
	ds_load_2addr_b64 v[174:177], v169 offset0:72 offset1:73
	s_waitcnt lgkmcnt(0)
	v_mul_f64 v[170:171], v[176:177], v[178:179]
	s_delay_alu instid0(VALU_DEP_1) | instskip(SKIP_1) | instid1(VALU_DEP_2)
	v_fma_f64 v[170:171], v[174:175], v[172:173], -v[170:171]
	v_mul_f64 v[174:175], v[174:175], v[178:179]
	v_add_f64 v[24:25], v[24:25], -v[170:171]
	s_delay_alu instid0(VALU_DEP_2) | instskip(NEXT) | instid1(VALU_DEP_1)
	v_fma_f64 v[174:175], v[176:177], v[172:173], v[174:175]
	v_add_f64 v[26:27], v[26:27], -v[174:175]
	ds_load_2addr_b64 v[174:177], v169 offset0:74 offset1:75
	s_waitcnt lgkmcnt(0)
	v_mul_f64 v[170:171], v[176:177], v[178:179]
	s_delay_alu instid0(VALU_DEP_1) | instskip(SKIP_1) | instid1(VALU_DEP_2)
	v_fma_f64 v[170:171], v[174:175], v[172:173], -v[170:171]
	v_mul_f64 v[174:175], v[174:175], v[178:179]
	v_add_f64 v[20:21], v[20:21], -v[170:171]
	s_delay_alu instid0(VALU_DEP_2) | instskip(NEXT) | instid1(VALU_DEP_1)
	v_fma_f64 v[174:175], v[176:177], v[172:173], v[174:175]
	v_add_f64 v[22:23], v[22:23], -v[174:175]
	ds_load_2addr_b64 v[174:177], v169 offset0:76 offset1:77
	s_waitcnt lgkmcnt(0)
	v_mul_f64 v[170:171], v[176:177], v[178:179]
	s_delay_alu instid0(VALU_DEP_1) | instskip(SKIP_1) | instid1(VALU_DEP_2)
	v_fma_f64 v[170:171], v[174:175], v[172:173], -v[170:171]
	v_mul_f64 v[174:175], v[174:175], v[178:179]
	v_add_f64 v[16:17], v[16:17], -v[170:171]
	s_delay_alu instid0(VALU_DEP_2) | instskip(NEXT) | instid1(VALU_DEP_1)
	v_fma_f64 v[174:175], v[176:177], v[172:173], v[174:175]
	v_add_f64 v[18:19], v[18:19], -v[174:175]
	ds_load_2addr_b64 v[174:177], v169 offset0:78 offset1:79
	s_waitcnt lgkmcnt(0)
	v_mul_f64 v[170:171], v[176:177], v[178:179]
	s_delay_alu instid0(VALU_DEP_1) | instskip(SKIP_1) | instid1(VALU_DEP_2)
	v_fma_f64 v[170:171], v[174:175], v[172:173], -v[170:171]
	v_mul_f64 v[174:175], v[174:175], v[178:179]
	v_add_f64 v[12:13], v[12:13], -v[170:171]
	s_delay_alu instid0(VALU_DEP_2) | instskip(NEXT) | instid1(VALU_DEP_1)
	v_fma_f64 v[174:175], v[176:177], v[172:173], v[174:175]
	v_add_f64 v[14:15], v[14:15], -v[174:175]
	ds_load_2addr_b64 v[174:177], v169 offset0:80 offset1:81
	s_waitcnt lgkmcnt(0)
	v_mul_f64 v[170:171], v[176:177], v[178:179]
	s_delay_alu instid0(VALU_DEP_1) | instskip(SKIP_1) | instid1(VALU_DEP_2)
	v_fma_f64 v[170:171], v[174:175], v[172:173], -v[170:171]
	v_mul_f64 v[174:175], v[174:175], v[178:179]
	v_add_f64 v[8:9], v[8:9], -v[170:171]
	s_delay_alu instid0(VALU_DEP_2) | instskip(NEXT) | instid1(VALU_DEP_1)
	v_fma_f64 v[174:175], v[176:177], v[172:173], v[174:175]
	v_add_f64 v[10:11], v[10:11], -v[174:175]
	ds_load_2addr_b64 v[174:177], v169 offset0:82 offset1:83
	s_waitcnt lgkmcnt(0)
	v_mul_f64 v[170:171], v[176:177], v[178:179]
	s_delay_alu instid0(VALU_DEP_1) | instskip(SKIP_1) | instid1(VALU_DEP_2)
	v_fma_f64 v[170:171], v[174:175], v[172:173], -v[170:171]
	v_mul_f64 v[174:175], v[174:175], v[178:179]
	v_add_f64 v[4:5], v[4:5], -v[170:171]
	s_delay_alu instid0(VALU_DEP_2) | instskip(NEXT) | instid1(VALU_DEP_1)
	v_fma_f64 v[174:175], v[176:177], v[172:173], v[174:175]
	v_add_f64 v[6:7], v[6:7], -v[174:175]
	ds_load_2addr_b64 v[174:177], v169 offset0:84 offset1:85
	s_waitcnt lgkmcnt(0)
	v_mul_f64 v[170:171], v[176:177], v[178:179]
	s_delay_alu instid0(VALU_DEP_1) | instskip(SKIP_1) | instid1(VALU_DEP_2)
	v_fma_f64 v[170:171], v[174:175], v[172:173], -v[170:171]
	v_mul_f64 v[174:175], v[174:175], v[178:179]
	v_add_f64 v[0:1], v[0:1], -v[170:171]
	s_delay_alu instid0(VALU_DEP_2)
	v_fma_f64 v[174:175], v[176:177], v[172:173], v[174:175]
	v_dual_mov_b32 v177, v173 :: v_dual_mov_b32 v176, v172
	scratch_store_b128 off, v[176:179], off ; 16-byte Folded Spill
	v_add_f64 v[2:3], v[2:3], -v[174:175]
.LBB85_10:
	s_or_b32 exec_lo, exec_lo, s4
	s_delay_alu instid0(SALU_CYCLE_1)
	s_mov_b32 s4, exec_lo
	s_waitcnt_vscnt null, 0x0
	s_barrier
	buffer_gl0_inv
	v_cmpx_eq_u32_e32 1, v252
	s_cbranch_execz .LBB85_17
; %bb.11:
	ds_store_2addr_b64 v168, v[164:165], v[166:167] offset1:1
	ds_store_2addr_b64 v169, v[160:161], v[162:163] offset0:4 offset1:5
	ds_store_2addr_b64 v169, v[156:157], v[158:159] offset0:6 offset1:7
	;; [unrolled: 1-line block ×41, first 2 shown]
	ds_load_2addr_b64 v[172:175], v168 offset1:1
	s_waitcnt lgkmcnt(0)
	v_cmp_neq_f64_e32 vcc_lo, 0, v[172:173]
	v_cmp_neq_f64_e64 s3, 0, v[174:175]
	s_delay_alu instid0(VALU_DEP_1) | instskip(NEXT) | instid1(SALU_CYCLE_1)
	s_or_b32 s3, vcc_lo, s3
	s_and_b32 exec_lo, exec_lo, s3
	s_cbranch_execz .LBB85_17
; %bb.12:
	v_cmp_gt_f64_e32 vcc_lo, 0, v[172:173]
	v_cmp_gt_f64_e64 s3, 0, v[174:175]
	v_xor_b32_e32 v170, 0x80000000, v173
	v_xor_b32_e32 v176, 0x80000000, v175
                                        ; implicit-def: $vgpr180_vgpr181
	s_delay_alu instid0(VALU_DEP_2) | instskip(NEXT) | instid1(VALU_DEP_2)
	v_dual_cndmask_b32 v171, v173, v170 :: v_dual_cndmask_b32 v170, v172, v172
	v_cndmask_b32_e64 v177, v175, v176, s3
	v_cndmask_b32_e64 v176, v174, v174, s3
	s_mov_b32 s3, exec_lo
	s_delay_alu instid0(VALU_DEP_1)
	v_cmpx_ngt_f64_e32 v[170:171], v[176:177]
	s_xor_b32 s3, exec_lo, s3
                                        ; implicit-def: $vgpr176_vgpr177_vgpr178_vgpr179
	s_cbranch_execz .LBB85_14
; %bb.13:
	v_div_scale_f64 v[170:171], null, v[174:175], v[174:175], v[172:173]
	v_div_scale_f64 v[180:181], vcc_lo, v[172:173], v[174:175], v[172:173]
	s_delay_alu instid0(VALU_DEP_2) | instskip(SKIP_2) | instid1(VALU_DEP_1)
	v_rcp_f64_e32 v[176:177], v[170:171]
	s_waitcnt_depctr 0xfff
	v_fma_f64 v[178:179], -v[170:171], v[176:177], 1.0
	v_fma_f64 v[176:177], v[176:177], v[178:179], v[176:177]
	s_delay_alu instid0(VALU_DEP_1) | instskip(NEXT) | instid1(VALU_DEP_1)
	v_fma_f64 v[178:179], -v[170:171], v[176:177], 1.0
	v_fma_f64 v[176:177], v[176:177], v[178:179], v[176:177]
	s_delay_alu instid0(VALU_DEP_1) | instskip(NEXT) | instid1(VALU_DEP_1)
	v_mul_f64 v[178:179], v[180:181], v[176:177]
	v_fma_f64 v[170:171], -v[170:171], v[178:179], v[180:181]
	s_delay_alu instid0(VALU_DEP_1) | instskip(NEXT) | instid1(VALU_DEP_1)
	v_div_fmas_f64 v[170:171], v[170:171], v[176:177], v[178:179]
	v_div_fixup_f64 v[170:171], v[170:171], v[174:175], v[172:173]
	s_delay_alu instid0(VALU_DEP_1) | instskip(NEXT) | instid1(VALU_DEP_1)
	v_fma_f64 v[172:173], v[172:173], v[170:171], v[174:175]
	v_div_scale_f64 v[174:175], null, v[172:173], v[172:173], 1.0
	s_delay_alu instid0(VALU_DEP_1) | instskip(SKIP_2) | instid1(VALU_DEP_1)
	v_rcp_f64_e32 v[176:177], v[174:175]
	s_waitcnt_depctr 0xfff
	v_fma_f64 v[178:179], -v[174:175], v[176:177], 1.0
	v_fma_f64 v[176:177], v[176:177], v[178:179], v[176:177]
	s_delay_alu instid0(VALU_DEP_1) | instskip(NEXT) | instid1(VALU_DEP_1)
	v_fma_f64 v[178:179], -v[174:175], v[176:177], 1.0
	v_fma_f64 v[176:177], v[176:177], v[178:179], v[176:177]
	v_div_scale_f64 v[178:179], vcc_lo, 1.0, v[172:173], 1.0
	s_delay_alu instid0(VALU_DEP_1) | instskip(NEXT) | instid1(VALU_DEP_1)
	v_mul_f64 v[180:181], v[178:179], v[176:177]
	v_fma_f64 v[174:175], -v[174:175], v[180:181], v[178:179]
	s_delay_alu instid0(VALU_DEP_1) | instskip(NEXT) | instid1(VALU_DEP_1)
	v_div_fmas_f64 v[174:175], v[174:175], v[176:177], v[180:181]
	v_div_fixup_f64 v[178:179], v[174:175], v[172:173], 1.0
                                        ; implicit-def: $vgpr172_vgpr173
	s_delay_alu instid0(VALU_DEP_1)
	v_mul_f64 v[180:181], v[170:171], v[178:179]
	v_xor_b32_e32 v179, 0x80000000, v179
.LBB85_14:
	s_and_not1_saveexec_b32 s3, s3
	s_cbranch_execz .LBB85_16
; %bb.15:
	v_div_scale_f64 v[170:171], null, v[172:173], v[172:173], v[174:175]
	v_div_scale_f64 v[180:181], vcc_lo, v[174:175], v[172:173], v[174:175]
	s_delay_alu instid0(VALU_DEP_2) | instskip(SKIP_2) | instid1(VALU_DEP_1)
	v_rcp_f64_e32 v[176:177], v[170:171]
	s_waitcnt_depctr 0xfff
	v_fma_f64 v[178:179], -v[170:171], v[176:177], 1.0
	v_fma_f64 v[176:177], v[176:177], v[178:179], v[176:177]
	s_delay_alu instid0(VALU_DEP_1) | instskip(NEXT) | instid1(VALU_DEP_1)
	v_fma_f64 v[178:179], -v[170:171], v[176:177], 1.0
	v_fma_f64 v[176:177], v[176:177], v[178:179], v[176:177]
	s_delay_alu instid0(VALU_DEP_1) | instskip(NEXT) | instid1(VALU_DEP_1)
	v_mul_f64 v[178:179], v[180:181], v[176:177]
	v_fma_f64 v[170:171], -v[170:171], v[178:179], v[180:181]
	s_delay_alu instid0(VALU_DEP_1) | instskip(NEXT) | instid1(VALU_DEP_1)
	v_div_fmas_f64 v[170:171], v[170:171], v[176:177], v[178:179]
	v_div_fixup_f64 v[170:171], v[170:171], v[172:173], v[174:175]
	s_delay_alu instid0(VALU_DEP_1) | instskip(NEXT) | instid1(VALU_DEP_1)
	v_fma_f64 v[172:173], v[174:175], v[170:171], v[172:173]
	v_div_scale_f64 v[174:175], null, v[172:173], v[172:173], 1.0
	s_delay_alu instid0(VALU_DEP_1) | instskip(SKIP_2) | instid1(VALU_DEP_1)
	v_rcp_f64_e32 v[176:177], v[174:175]
	s_waitcnt_depctr 0xfff
	v_fma_f64 v[178:179], -v[174:175], v[176:177], 1.0
	v_fma_f64 v[176:177], v[176:177], v[178:179], v[176:177]
	s_delay_alu instid0(VALU_DEP_1) | instskip(NEXT) | instid1(VALU_DEP_1)
	v_fma_f64 v[178:179], -v[174:175], v[176:177], 1.0
	v_fma_f64 v[176:177], v[176:177], v[178:179], v[176:177]
	v_div_scale_f64 v[178:179], vcc_lo, 1.0, v[172:173], 1.0
	s_delay_alu instid0(VALU_DEP_1) | instskip(NEXT) | instid1(VALU_DEP_1)
	v_mul_f64 v[180:181], v[178:179], v[176:177]
	v_fma_f64 v[174:175], -v[174:175], v[180:181], v[178:179]
	s_delay_alu instid0(VALU_DEP_1) | instskip(NEXT) | instid1(VALU_DEP_1)
	v_div_fmas_f64 v[174:175], v[174:175], v[176:177], v[180:181]
	v_div_fixup_f64 v[180:181], v[174:175], v[172:173], 1.0
	s_delay_alu instid0(VALU_DEP_1)
	v_mul_f64 v[178:179], v[170:171], -v[180:181]
.LBB85_16:
	s_or_b32 exec_lo, exec_lo, s3
	ds_store_2addr_b64 v168, v[180:181], v[178:179] offset1:1
.LBB85_17:
	s_or_b32 exec_lo, exec_lo, s4
	s_waitcnt lgkmcnt(0)
	s_barrier
	buffer_gl0_inv
	ds_load_2addr_b64 v[170:173], v168 offset1:1
	s_mov_b32 s3, exec_lo
	s_waitcnt lgkmcnt(0)
	scratch_store_b128 off, v[170:173], off offset:376 ; 16-byte Folded Spill
	v_cmpx_lt_u32_e32 1, v252
	s_cbranch_execz .LBB85_19
; %bb.18:
	scratch_load_b128 v[174:177], off, off offset:376 ; 16-byte Folded Reload
	s_waitcnt vmcnt(0)
	v_mul_f64 v[170:171], v[176:177], v[166:167]
	v_mul_f64 v[166:167], v[174:175], v[166:167]
	s_delay_alu instid0(VALU_DEP_2) | instskip(NEXT) | instid1(VALU_DEP_2)
	v_fma_f64 v[172:173], v[174:175], v[164:165], -v[170:171]
	v_fma_f64 v[166:167], v[176:177], v[164:165], v[166:167]
	ds_load_2addr_b64 v[174:177], v169 offset0:4 offset1:5
	s_waitcnt lgkmcnt(0)
	v_mul_f64 v[164:165], v[176:177], v[166:167]
	v_mul_f64 v[170:171], v[174:175], v[166:167]
	s_delay_alu instid0(VALU_DEP_2) | instskip(NEXT) | instid1(VALU_DEP_2)
	v_fma_f64 v[164:165], v[174:175], v[172:173], -v[164:165]
	v_fma_f64 v[170:171], v[176:177], v[172:173], v[170:171]
	ds_load_2addr_b64 v[174:177], v169 offset0:6 offset1:7
	v_add_f64 v[160:161], v[160:161], -v[164:165]
	v_add_f64 v[162:163], v[162:163], -v[170:171]
	s_waitcnt lgkmcnt(0)
	v_mul_f64 v[164:165], v[176:177], v[166:167]
	v_mul_f64 v[170:171], v[174:175], v[166:167]
	s_delay_alu instid0(VALU_DEP_2) | instskip(NEXT) | instid1(VALU_DEP_2)
	v_fma_f64 v[164:165], v[174:175], v[172:173], -v[164:165]
	v_fma_f64 v[170:171], v[176:177], v[172:173], v[170:171]
	ds_load_2addr_b64 v[174:177], v169 offset0:8 offset1:9
	v_add_f64 v[156:157], v[156:157], -v[164:165]
	v_add_f64 v[158:159], v[158:159], -v[170:171]
	s_waitcnt lgkmcnt(0)
	v_mul_f64 v[164:165], v[176:177], v[166:167]
	v_mul_f64 v[170:171], v[174:175], v[166:167]
	s_delay_alu instid0(VALU_DEP_2) | instskip(NEXT) | instid1(VALU_DEP_2)
	v_fma_f64 v[164:165], v[174:175], v[172:173], -v[164:165]
	v_fma_f64 v[170:171], v[176:177], v[172:173], v[170:171]
	ds_load_2addr_b64 v[174:177], v169 offset0:10 offset1:11
	v_add_f64 v[152:153], v[152:153], -v[164:165]
	v_add_f64 v[154:155], v[154:155], -v[170:171]
	s_waitcnt lgkmcnt(0)
	v_mul_f64 v[164:165], v[176:177], v[166:167]
	v_mul_f64 v[170:171], v[174:175], v[166:167]
	s_delay_alu instid0(VALU_DEP_2) | instskip(NEXT) | instid1(VALU_DEP_2)
	v_fma_f64 v[164:165], v[174:175], v[172:173], -v[164:165]
	v_fma_f64 v[170:171], v[176:177], v[172:173], v[170:171]
	ds_load_2addr_b64 v[174:177], v169 offset0:12 offset1:13
	v_add_f64 v[148:149], v[148:149], -v[164:165]
	v_add_f64 v[150:151], v[150:151], -v[170:171]
	s_waitcnt lgkmcnt(0)
	v_mul_f64 v[164:165], v[176:177], v[166:167]
	v_mul_f64 v[170:171], v[174:175], v[166:167]
	s_delay_alu instid0(VALU_DEP_2) | instskip(NEXT) | instid1(VALU_DEP_2)
	v_fma_f64 v[164:165], v[174:175], v[172:173], -v[164:165]
	v_fma_f64 v[170:171], v[176:177], v[172:173], v[170:171]
	ds_load_2addr_b64 v[174:177], v169 offset0:14 offset1:15
	v_add_f64 v[144:145], v[144:145], -v[164:165]
	v_add_f64 v[146:147], v[146:147], -v[170:171]
	s_waitcnt lgkmcnt(0)
	v_mul_f64 v[164:165], v[176:177], v[166:167]
	v_mul_f64 v[170:171], v[174:175], v[166:167]
	s_delay_alu instid0(VALU_DEP_2) | instskip(NEXT) | instid1(VALU_DEP_2)
	v_fma_f64 v[164:165], v[174:175], v[172:173], -v[164:165]
	v_fma_f64 v[170:171], v[176:177], v[172:173], v[170:171]
	ds_load_2addr_b64 v[174:177], v169 offset0:16 offset1:17
	v_add_f64 v[140:141], v[140:141], -v[164:165]
	v_add_f64 v[142:143], v[142:143], -v[170:171]
	s_waitcnt lgkmcnt(0)
	v_mul_f64 v[164:165], v[176:177], v[166:167]
	v_mul_f64 v[170:171], v[174:175], v[166:167]
	s_delay_alu instid0(VALU_DEP_2) | instskip(NEXT) | instid1(VALU_DEP_2)
	v_fma_f64 v[164:165], v[174:175], v[172:173], -v[164:165]
	v_fma_f64 v[170:171], v[176:177], v[172:173], v[170:171]
	ds_load_2addr_b64 v[174:177], v169 offset0:18 offset1:19
	v_add_f64 v[136:137], v[136:137], -v[164:165]
	v_add_f64 v[138:139], v[138:139], -v[170:171]
	s_waitcnt lgkmcnt(0)
	v_mul_f64 v[164:165], v[176:177], v[166:167]
	v_mul_f64 v[170:171], v[174:175], v[166:167]
	s_delay_alu instid0(VALU_DEP_2) | instskip(NEXT) | instid1(VALU_DEP_2)
	v_fma_f64 v[164:165], v[174:175], v[172:173], -v[164:165]
	v_fma_f64 v[170:171], v[176:177], v[172:173], v[170:171]
	ds_load_2addr_b64 v[174:177], v169 offset0:20 offset1:21
	v_add_f64 v[132:133], v[132:133], -v[164:165]
	v_add_f64 v[134:135], v[134:135], -v[170:171]
	s_waitcnt lgkmcnt(0)
	v_mul_f64 v[164:165], v[176:177], v[166:167]
	v_mul_f64 v[170:171], v[174:175], v[166:167]
	s_delay_alu instid0(VALU_DEP_2) | instskip(NEXT) | instid1(VALU_DEP_2)
	v_fma_f64 v[164:165], v[174:175], v[172:173], -v[164:165]
	v_fma_f64 v[170:171], v[176:177], v[172:173], v[170:171]
	ds_load_2addr_b64 v[174:177], v169 offset0:22 offset1:23
	v_add_f64 v[128:129], v[128:129], -v[164:165]
	v_add_f64 v[130:131], v[130:131], -v[170:171]
	s_waitcnt lgkmcnt(0)
	v_mul_f64 v[164:165], v[176:177], v[166:167]
	v_mul_f64 v[170:171], v[174:175], v[166:167]
	s_delay_alu instid0(VALU_DEP_2) | instskip(NEXT) | instid1(VALU_DEP_2)
	v_fma_f64 v[164:165], v[174:175], v[172:173], -v[164:165]
	v_fma_f64 v[170:171], v[176:177], v[172:173], v[170:171]
	ds_load_2addr_b64 v[174:177], v169 offset0:24 offset1:25
	v_add_f64 v[124:125], v[124:125], -v[164:165]
	v_add_f64 v[126:127], v[126:127], -v[170:171]
	s_waitcnt lgkmcnt(0)
	v_mul_f64 v[164:165], v[176:177], v[166:167]
	v_mul_f64 v[170:171], v[174:175], v[166:167]
	s_delay_alu instid0(VALU_DEP_2) | instskip(NEXT) | instid1(VALU_DEP_2)
	v_fma_f64 v[164:165], v[174:175], v[172:173], -v[164:165]
	v_fma_f64 v[170:171], v[176:177], v[172:173], v[170:171]
	ds_load_2addr_b64 v[174:177], v169 offset0:26 offset1:27
	v_add_f64 v[120:121], v[120:121], -v[164:165]
	v_add_f64 v[122:123], v[122:123], -v[170:171]
	s_waitcnt lgkmcnt(0)
	v_mul_f64 v[164:165], v[176:177], v[166:167]
	v_mul_f64 v[170:171], v[174:175], v[166:167]
	s_delay_alu instid0(VALU_DEP_2) | instskip(NEXT) | instid1(VALU_DEP_2)
	v_fma_f64 v[164:165], v[174:175], v[172:173], -v[164:165]
	v_fma_f64 v[170:171], v[176:177], v[172:173], v[170:171]
	ds_load_2addr_b64 v[174:177], v169 offset0:28 offset1:29
	v_add_f64 v[116:117], v[116:117], -v[164:165]
	v_add_f64 v[118:119], v[118:119], -v[170:171]
	s_waitcnt lgkmcnt(0)
	v_mul_f64 v[164:165], v[176:177], v[166:167]
	v_mul_f64 v[170:171], v[174:175], v[166:167]
	s_delay_alu instid0(VALU_DEP_2) | instskip(NEXT) | instid1(VALU_DEP_2)
	v_fma_f64 v[164:165], v[174:175], v[172:173], -v[164:165]
	v_fma_f64 v[170:171], v[176:177], v[172:173], v[170:171]
	ds_load_2addr_b64 v[174:177], v169 offset0:30 offset1:31
	v_add_f64 v[112:113], v[112:113], -v[164:165]
	v_add_f64 v[114:115], v[114:115], -v[170:171]
	s_waitcnt lgkmcnt(0)
	v_mul_f64 v[164:165], v[176:177], v[166:167]
	v_mul_f64 v[170:171], v[174:175], v[166:167]
	s_delay_alu instid0(VALU_DEP_2) | instskip(NEXT) | instid1(VALU_DEP_2)
	v_fma_f64 v[164:165], v[174:175], v[172:173], -v[164:165]
	v_fma_f64 v[170:171], v[176:177], v[172:173], v[170:171]
	ds_load_2addr_b64 v[174:177], v169 offset0:32 offset1:33
	v_add_f64 v[108:109], v[108:109], -v[164:165]
	v_add_f64 v[110:111], v[110:111], -v[170:171]
	s_waitcnt lgkmcnt(0)
	v_mul_f64 v[164:165], v[176:177], v[166:167]
	v_mul_f64 v[170:171], v[174:175], v[166:167]
	s_delay_alu instid0(VALU_DEP_2) | instskip(NEXT) | instid1(VALU_DEP_2)
	v_fma_f64 v[164:165], v[174:175], v[172:173], -v[164:165]
	v_fma_f64 v[170:171], v[176:177], v[172:173], v[170:171]
	ds_load_2addr_b64 v[174:177], v169 offset0:34 offset1:35
	v_add_f64 v[104:105], v[104:105], -v[164:165]
	v_add_f64 v[106:107], v[106:107], -v[170:171]
	s_waitcnt lgkmcnt(0)
	v_mul_f64 v[164:165], v[176:177], v[166:167]
	v_mul_f64 v[170:171], v[174:175], v[166:167]
	s_delay_alu instid0(VALU_DEP_2) | instskip(NEXT) | instid1(VALU_DEP_2)
	v_fma_f64 v[164:165], v[174:175], v[172:173], -v[164:165]
	v_fma_f64 v[170:171], v[176:177], v[172:173], v[170:171]
	ds_load_2addr_b64 v[174:177], v169 offset0:36 offset1:37
	v_add_f64 v[100:101], v[100:101], -v[164:165]
	v_add_f64 v[102:103], v[102:103], -v[170:171]
	s_waitcnt lgkmcnt(0)
	v_mul_f64 v[164:165], v[176:177], v[166:167]
	v_mul_f64 v[170:171], v[174:175], v[166:167]
	s_delay_alu instid0(VALU_DEP_2) | instskip(NEXT) | instid1(VALU_DEP_2)
	v_fma_f64 v[164:165], v[174:175], v[172:173], -v[164:165]
	v_fma_f64 v[170:171], v[176:177], v[172:173], v[170:171]
	ds_load_2addr_b64 v[174:177], v169 offset0:38 offset1:39
	v_add_f64 v[96:97], v[96:97], -v[164:165]
	v_add_f64 v[98:99], v[98:99], -v[170:171]
	s_waitcnt lgkmcnt(0)
	v_mul_f64 v[164:165], v[176:177], v[166:167]
	v_mul_f64 v[170:171], v[174:175], v[166:167]
	s_delay_alu instid0(VALU_DEP_2) | instskip(NEXT) | instid1(VALU_DEP_2)
	v_fma_f64 v[164:165], v[174:175], v[172:173], -v[164:165]
	v_fma_f64 v[170:171], v[176:177], v[172:173], v[170:171]
	ds_load_2addr_b64 v[174:177], v169 offset0:40 offset1:41
	v_add_f64 v[92:93], v[92:93], -v[164:165]
	v_add_f64 v[94:95], v[94:95], -v[170:171]
	s_waitcnt lgkmcnt(0)
	v_mul_f64 v[164:165], v[176:177], v[166:167]
	v_mul_f64 v[170:171], v[174:175], v[166:167]
	s_delay_alu instid0(VALU_DEP_2) | instskip(NEXT) | instid1(VALU_DEP_2)
	v_fma_f64 v[164:165], v[174:175], v[172:173], -v[164:165]
	v_fma_f64 v[170:171], v[176:177], v[172:173], v[170:171]
	ds_load_2addr_b64 v[174:177], v169 offset0:42 offset1:43
	v_add_f64 v[88:89], v[88:89], -v[164:165]
	v_add_f64 v[90:91], v[90:91], -v[170:171]
	s_waitcnt lgkmcnt(0)
	v_mul_f64 v[164:165], v[176:177], v[166:167]
	v_mul_f64 v[170:171], v[174:175], v[166:167]
	s_delay_alu instid0(VALU_DEP_2) | instskip(NEXT) | instid1(VALU_DEP_2)
	v_fma_f64 v[164:165], v[174:175], v[172:173], -v[164:165]
	v_fma_f64 v[170:171], v[176:177], v[172:173], v[170:171]
	ds_load_2addr_b64 v[174:177], v169 offset0:44 offset1:45
	v_add_f64 v[84:85], v[84:85], -v[164:165]
	v_add_f64 v[86:87], v[86:87], -v[170:171]
	s_waitcnt lgkmcnt(0)
	v_mul_f64 v[164:165], v[176:177], v[166:167]
	v_mul_f64 v[170:171], v[174:175], v[166:167]
	s_delay_alu instid0(VALU_DEP_2) | instskip(NEXT) | instid1(VALU_DEP_2)
	v_fma_f64 v[164:165], v[174:175], v[172:173], -v[164:165]
	v_fma_f64 v[170:171], v[176:177], v[172:173], v[170:171]
	ds_load_2addr_b64 v[174:177], v169 offset0:46 offset1:47
	v_add_f64 v[80:81], v[80:81], -v[164:165]
	v_add_f64 v[82:83], v[82:83], -v[170:171]
	s_waitcnt lgkmcnt(0)
	v_mul_f64 v[164:165], v[176:177], v[166:167]
	v_mul_f64 v[170:171], v[174:175], v[166:167]
	s_delay_alu instid0(VALU_DEP_2) | instskip(NEXT) | instid1(VALU_DEP_2)
	v_fma_f64 v[164:165], v[174:175], v[172:173], -v[164:165]
	v_fma_f64 v[170:171], v[176:177], v[172:173], v[170:171]
	ds_load_2addr_b64 v[174:177], v169 offset0:48 offset1:49
	v_add_f64 v[76:77], v[76:77], -v[164:165]
	v_add_f64 v[78:79], v[78:79], -v[170:171]
	s_waitcnt lgkmcnt(0)
	v_mul_f64 v[164:165], v[176:177], v[166:167]
	v_mul_f64 v[170:171], v[174:175], v[166:167]
	s_delay_alu instid0(VALU_DEP_2) | instskip(NEXT) | instid1(VALU_DEP_2)
	v_fma_f64 v[164:165], v[174:175], v[172:173], -v[164:165]
	v_fma_f64 v[170:171], v[176:177], v[172:173], v[170:171]
	ds_load_2addr_b64 v[174:177], v169 offset0:50 offset1:51
	v_add_f64 v[72:73], v[72:73], -v[164:165]
	v_add_f64 v[74:75], v[74:75], -v[170:171]
	s_waitcnt lgkmcnt(0)
	v_mul_f64 v[164:165], v[176:177], v[166:167]
	v_mul_f64 v[170:171], v[174:175], v[166:167]
	s_delay_alu instid0(VALU_DEP_2) | instskip(NEXT) | instid1(VALU_DEP_2)
	v_fma_f64 v[164:165], v[174:175], v[172:173], -v[164:165]
	v_fma_f64 v[170:171], v[176:177], v[172:173], v[170:171]
	ds_load_2addr_b64 v[174:177], v169 offset0:52 offset1:53
	v_add_f64 v[68:69], v[68:69], -v[164:165]
	v_add_f64 v[70:71], v[70:71], -v[170:171]
	s_waitcnt lgkmcnt(0)
	v_mul_f64 v[164:165], v[176:177], v[166:167]
	v_mul_f64 v[170:171], v[174:175], v[166:167]
	s_delay_alu instid0(VALU_DEP_2) | instskip(NEXT) | instid1(VALU_DEP_2)
	v_fma_f64 v[164:165], v[174:175], v[172:173], -v[164:165]
	v_fma_f64 v[170:171], v[176:177], v[172:173], v[170:171]
	ds_load_2addr_b64 v[174:177], v169 offset0:54 offset1:55
	v_add_f64 v[64:65], v[64:65], -v[164:165]
	v_add_f64 v[66:67], v[66:67], -v[170:171]
	s_waitcnt lgkmcnt(0)
	v_mul_f64 v[164:165], v[176:177], v[166:167]
	v_mul_f64 v[170:171], v[174:175], v[166:167]
	s_delay_alu instid0(VALU_DEP_2) | instskip(NEXT) | instid1(VALU_DEP_2)
	v_fma_f64 v[164:165], v[174:175], v[172:173], -v[164:165]
	v_fma_f64 v[170:171], v[176:177], v[172:173], v[170:171]
	ds_load_2addr_b64 v[174:177], v169 offset0:56 offset1:57
	v_add_f64 v[60:61], v[60:61], -v[164:165]
	v_add_f64 v[62:63], v[62:63], -v[170:171]
	s_waitcnt lgkmcnt(0)
	v_mul_f64 v[164:165], v[176:177], v[166:167]
	v_mul_f64 v[170:171], v[174:175], v[166:167]
	s_delay_alu instid0(VALU_DEP_2) | instskip(NEXT) | instid1(VALU_DEP_2)
	v_fma_f64 v[164:165], v[174:175], v[172:173], -v[164:165]
	v_fma_f64 v[170:171], v[176:177], v[172:173], v[170:171]
	ds_load_2addr_b64 v[174:177], v169 offset0:58 offset1:59
	v_add_f64 v[56:57], v[56:57], -v[164:165]
	v_add_f64 v[58:59], v[58:59], -v[170:171]
	s_waitcnt lgkmcnt(0)
	v_mul_f64 v[164:165], v[176:177], v[166:167]
	v_mul_f64 v[170:171], v[174:175], v[166:167]
	s_delay_alu instid0(VALU_DEP_2) | instskip(NEXT) | instid1(VALU_DEP_2)
	v_fma_f64 v[164:165], v[174:175], v[172:173], -v[164:165]
	v_fma_f64 v[170:171], v[176:177], v[172:173], v[170:171]
	ds_load_2addr_b64 v[174:177], v169 offset0:60 offset1:61
	v_add_f64 v[52:53], v[52:53], -v[164:165]
	v_add_f64 v[54:55], v[54:55], -v[170:171]
	s_waitcnt lgkmcnt(0)
	v_mul_f64 v[164:165], v[176:177], v[166:167]
	v_mul_f64 v[170:171], v[174:175], v[166:167]
	s_delay_alu instid0(VALU_DEP_2) | instskip(NEXT) | instid1(VALU_DEP_2)
	v_fma_f64 v[164:165], v[174:175], v[172:173], -v[164:165]
	v_fma_f64 v[170:171], v[176:177], v[172:173], v[170:171]
	ds_load_2addr_b64 v[174:177], v169 offset0:62 offset1:63
	v_add_f64 v[48:49], v[48:49], -v[164:165]
	v_add_f64 v[50:51], v[50:51], -v[170:171]
	s_waitcnt lgkmcnt(0)
	v_mul_f64 v[164:165], v[176:177], v[166:167]
	v_mul_f64 v[170:171], v[174:175], v[166:167]
	s_delay_alu instid0(VALU_DEP_2) | instskip(NEXT) | instid1(VALU_DEP_2)
	v_fma_f64 v[164:165], v[174:175], v[172:173], -v[164:165]
	v_fma_f64 v[170:171], v[176:177], v[172:173], v[170:171]
	ds_load_2addr_b64 v[174:177], v169 offset0:64 offset1:65
	v_add_f64 v[44:45], v[44:45], -v[164:165]
	v_add_f64 v[46:47], v[46:47], -v[170:171]
	s_waitcnt lgkmcnt(0)
	v_mul_f64 v[164:165], v[176:177], v[166:167]
	v_mul_f64 v[170:171], v[174:175], v[166:167]
	s_delay_alu instid0(VALU_DEP_2) | instskip(NEXT) | instid1(VALU_DEP_2)
	v_fma_f64 v[164:165], v[174:175], v[172:173], -v[164:165]
	v_fma_f64 v[170:171], v[176:177], v[172:173], v[170:171]
	ds_load_2addr_b64 v[174:177], v169 offset0:66 offset1:67
	v_add_f64 v[40:41], v[40:41], -v[164:165]
	v_add_f64 v[42:43], v[42:43], -v[170:171]
	s_waitcnt lgkmcnt(0)
	v_mul_f64 v[164:165], v[176:177], v[166:167]
	v_mul_f64 v[170:171], v[174:175], v[166:167]
	s_delay_alu instid0(VALU_DEP_2) | instskip(NEXT) | instid1(VALU_DEP_2)
	v_fma_f64 v[164:165], v[174:175], v[172:173], -v[164:165]
	v_fma_f64 v[170:171], v[176:177], v[172:173], v[170:171]
	ds_load_2addr_b64 v[174:177], v169 offset0:68 offset1:69
	v_add_f64 v[36:37], v[36:37], -v[164:165]
	v_add_f64 v[38:39], v[38:39], -v[170:171]
	s_waitcnt lgkmcnt(0)
	v_mul_f64 v[164:165], v[176:177], v[166:167]
	v_mul_f64 v[170:171], v[174:175], v[166:167]
	s_delay_alu instid0(VALU_DEP_2) | instskip(NEXT) | instid1(VALU_DEP_2)
	v_fma_f64 v[164:165], v[174:175], v[172:173], -v[164:165]
	v_fma_f64 v[170:171], v[176:177], v[172:173], v[170:171]
	ds_load_2addr_b64 v[174:177], v169 offset0:70 offset1:71
	v_add_f64 v[32:33], v[32:33], -v[164:165]
	v_add_f64 v[34:35], v[34:35], -v[170:171]
	s_waitcnt lgkmcnt(0)
	v_mul_f64 v[164:165], v[176:177], v[166:167]
	v_mul_f64 v[170:171], v[174:175], v[166:167]
	s_delay_alu instid0(VALU_DEP_2) | instskip(NEXT) | instid1(VALU_DEP_2)
	v_fma_f64 v[164:165], v[174:175], v[172:173], -v[164:165]
	v_fma_f64 v[170:171], v[176:177], v[172:173], v[170:171]
	ds_load_2addr_b64 v[174:177], v169 offset0:72 offset1:73
	v_add_f64 v[28:29], v[28:29], -v[164:165]
	v_add_f64 v[30:31], v[30:31], -v[170:171]
	s_waitcnt lgkmcnt(0)
	v_mul_f64 v[164:165], v[176:177], v[166:167]
	v_mul_f64 v[170:171], v[174:175], v[166:167]
	s_delay_alu instid0(VALU_DEP_2) | instskip(NEXT) | instid1(VALU_DEP_2)
	v_fma_f64 v[164:165], v[174:175], v[172:173], -v[164:165]
	v_fma_f64 v[170:171], v[176:177], v[172:173], v[170:171]
	ds_load_2addr_b64 v[174:177], v169 offset0:74 offset1:75
	v_add_f64 v[24:25], v[24:25], -v[164:165]
	v_add_f64 v[26:27], v[26:27], -v[170:171]
	s_waitcnt lgkmcnt(0)
	v_mul_f64 v[164:165], v[176:177], v[166:167]
	v_mul_f64 v[170:171], v[174:175], v[166:167]
	s_delay_alu instid0(VALU_DEP_2) | instskip(NEXT) | instid1(VALU_DEP_2)
	v_fma_f64 v[164:165], v[174:175], v[172:173], -v[164:165]
	v_fma_f64 v[170:171], v[176:177], v[172:173], v[170:171]
	ds_load_2addr_b64 v[174:177], v169 offset0:76 offset1:77
	v_add_f64 v[20:21], v[20:21], -v[164:165]
	v_add_f64 v[22:23], v[22:23], -v[170:171]
	s_waitcnt lgkmcnt(0)
	v_mul_f64 v[164:165], v[176:177], v[166:167]
	v_mul_f64 v[170:171], v[174:175], v[166:167]
	s_delay_alu instid0(VALU_DEP_2) | instskip(NEXT) | instid1(VALU_DEP_2)
	v_fma_f64 v[164:165], v[174:175], v[172:173], -v[164:165]
	v_fma_f64 v[170:171], v[176:177], v[172:173], v[170:171]
	ds_load_2addr_b64 v[174:177], v169 offset0:78 offset1:79
	v_add_f64 v[16:17], v[16:17], -v[164:165]
	v_add_f64 v[18:19], v[18:19], -v[170:171]
	s_waitcnt lgkmcnt(0)
	v_mul_f64 v[164:165], v[176:177], v[166:167]
	v_mul_f64 v[170:171], v[174:175], v[166:167]
	s_delay_alu instid0(VALU_DEP_2) | instskip(NEXT) | instid1(VALU_DEP_2)
	v_fma_f64 v[164:165], v[174:175], v[172:173], -v[164:165]
	v_fma_f64 v[170:171], v[176:177], v[172:173], v[170:171]
	ds_load_2addr_b64 v[174:177], v169 offset0:80 offset1:81
	v_add_f64 v[12:13], v[12:13], -v[164:165]
	v_add_f64 v[14:15], v[14:15], -v[170:171]
	s_waitcnt lgkmcnt(0)
	v_mul_f64 v[164:165], v[176:177], v[166:167]
	v_mul_f64 v[170:171], v[174:175], v[166:167]
	s_delay_alu instid0(VALU_DEP_2) | instskip(NEXT) | instid1(VALU_DEP_2)
	v_fma_f64 v[164:165], v[174:175], v[172:173], -v[164:165]
	v_fma_f64 v[170:171], v[176:177], v[172:173], v[170:171]
	ds_load_2addr_b64 v[174:177], v169 offset0:82 offset1:83
	v_add_f64 v[8:9], v[8:9], -v[164:165]
	v_add_f64 v[10:11], v[10:11], -v[170:171]
	s_waitcnt lgkmcnt(0)
	v_mul_f64 v[164:165], v[176:177], v[166:167]
	v_mul_f64 v[170:171], v[174:175], v[166:167]
	s_delay_alu instid0(VALU_DEP_2) | instskip(NEXT) | instid1(VALU_DEP_2)
	v_fma_f64 v[164:165], v[174:175], v[172:173], -v[164:165]
	v_fma_f64 v[170:171], v[176:177], v[172:173], v[170:171]
	ds_load_2addr_b64 v[174:177], v169 offset0:84 offset1:85
	v_add_f64 v[4:5], v[4:5], -v[164:165]
	v_add_f64 v[6:7], v[6:7], -v[170:171]
	s_waitcnt lgkmcnt(0)
	v_mul_f64 v[164:165], v[176:177], v[166:167]
	v_mul_f64 v[170:171], v[174:175], v[166:167]
	s_delay_alu instid0(VALU_DEP_2) | instskip(NEXT) | instid1(VALU_DEP_2)
	v_fma_f64 v[164:165], v[174:175], v[172:173], -v[164:165]
	v_fma_f64 v[170:171], v[176:177], v[172:173], v[170:171]
	s_delay_alu instid0(VALU_DEP_2) | instskip(NEXT) | instid1(VALU_DEP_2)
	v_add_f64 v[0:1], v[0:1], -v[164:165]
	v_add_f64 v[2:3], v[2:3], -v[170:171]
	v_dual_mov_b32 v164, v172 :: v_dual_mov_b32 v165, v173
.LBB85_19:
	s_or_b32 exec_lo, exec_lo, s3
	s_delay_alu instid0(SALU_CYCLE_1)
	s_mov_b32 s4, exec_lo
	s_waitcnt_vscnt null, 0x0
	s_barrier
	buffer_gl0_inv
	v_cmpx_eq_u32_e32 2, v252
	s_cbranch_execz .LBB85_26
; %bb.20:
	ds_store_2addr_b64 v168, v[160:161], v[162:163] offset1:1
	ds_store_2addr_b64 v169, v[156:157], v[158:159] offset0:6 offset1:7
	ds_store_2addr_b64 v169, v[152:153], v[154:155] offset0:8 offset1:9
	;; [unrolled: 1-line block ×40, first 2 shown]
	ds_load_2addr_b64 v[172:175], v168 offset1:1
	s_waitcnt lgkmcnt(0)
	v_cmp_neq_f64_e32 vcc_lo, 0, v[172:173]
	v_cmp_neq_f64_e64 s3, 0, v[174:175]
	s_delay_alu instid0(VALU_DEP_1) | instskip(NEXT) | instid1(SALU_CYCLE_1)
	s_or_b32 s3, vcc_lo, s3
	s_and_b32 exec_lo, exec_lo, s3
	s_cbranch_execz .LBB85_26
; %bb.21:
	v_cmp_gt_f64_e32 vcc_lo, 0, v[172:173]
	v_cmp_gt_f64_e64 s3, 0, v[174:175]
	v_xor_b32_e32 v170, 0x80000000, v173
	v_xor_b32_e32 v176, 0x80000000, v175
                                        ; implicit-def: $vgpr180_vgpr181
	s_delay_alu instid0(VALU_DEP_2) | instskip(NEXT) | instid1(VALU_DEP_2)
	v_dual_cndmask_b32 v171, v173, v170 :: v_dual_cndmask_b32 v170, v172, v172
	v_cndmask_b32_e64 v177, v175, v176, s3
	v_cndmask_b32_e64 v176, v174, v174, s3
	s_mov_b32 s3, exec_lo
	s_delay_alu instid0(VALU_DEP_1)
	v_cmpx_ngt_f64_e32 v[170:171], v[176:177]
	s_xor_b32 s3, exec_lo, s3
                                        ; implicit-def: $vgpr176_vgpr177_vgpr178_vgpr179
	s_cbranch_execz .LBB85_23
; %bb.22:
	v_div_scale_f64 v[170:171], null, v[174:175], v[174:175], v[172:173]
	v_div_scale_f64 v[180:181], vcc_lo, v[172:173], v[174:175], v[172:173]
	s_delay_alu instid0(VALU_DEP_2) | instskip(SKIP_2) | instid1(VALU_DEP_1)
	v_rcp_f64_e32 v[176:177], v[170:171]
	s_waitcnt_depctr 0xfff
	v_fma_f64 v[178:179], -v[170:171], v[176:177], 1.0
	v_fma_f64 v[176:177], v[176:177], v[178:179], v[176:177]
	s_delay_alu instid0(VALU_DEP_1) | instskip(NEXT) | instid1(VALU_DEP_1)
	v_fma_f64 v[178:179], -v[170:171], v[176:177], 1.0
	v_fma_f64 v[176:177], v[176:177], v[178:179], v[176:177]
	s_delay_alu instid0(VALU_DEP_1) | instskip(NEXT) | instid1(VALU_DEP_1)
	v_mul_f64 v[178:179], v[180:181], v[176:177]
	v_fma_f64 v[170:171], -v[170:171], v[178:179], v[180:181]
	s_delay_alu instid0(VALU_DEP_1) | instskip(NEXT) | instid1(VALU_DEP_1)
	v_div_fmas_f64 v[170:171], v[170:171], v[176:177], v[178:179]
	v_div_fixup_f64 v[170:171], v[170:171], v[174:175], v[172:173]
	s_delay_alu instid0(VALU_DEP_1) | instskip(NEXT) | instid1(VALU_DEP_1)
	v_fma_f64 v[172:173], v[172:173], v[170:171], v[174:175]
	v_div_scale_f64 v[174:175], null, v[172:173], v[172:173], 1.0
	s_delay_alu instid0(VALU_DEP_1) | instskip(SKIP_2) | instid1(VALU_DEP_1)
	v_rcp_f64_e32 v[176:177], v[174:175]
	s_waitcnt_depctr 0xfff
	v_fma_f64 v[178:179], -v[174:175], v[176:177], 1.0
	v_fma_f64 v[176:177], v[176:177], v[178:179], v[176:177]
	s_delay_alu instid0(VALU_DEP_1) | instskip(NEXT) | instid1(VALU_DEP_1)
	v_fma_f64 v[178:179], -v[174:175], v[176:177], 1.0
	v_fma_f64 v[176:177], v[176:177], v[178:179], v[176:177]
	v_div_scale_f64 v[178:179], vcc_lo, 1.0, v[172:173], 1.0
	s_delay_alu instid0(VALU_DEP_1) | instskip(NEXT) | instid1(VALU_DEP_1)
	v_mul_f64 v[180:181], v[178:179], v[176:177]
	v_fma_f64 v[174:175], -v[174:175], v[180:181], v[178:179]
	s_delay_alu instid0(VALU_DEP_1) | instskip(NEXT) | instid1(VALU_DEP_1)
	v_div_fmas_f64 v[174:175], v[174:175], v[176:177], v[180:181]
	v_div_fixup_f64 v[178:179], v[174:175], v[172:173], 1.0
                                        ; implicit-def: $vgpr172_vgpr173
	s_delay_alu instid0(VALU_DEP_1)
	v_mul_f64 v[180:181], v[170:171], v[178:179]
	v_xor_b32_e32 v179, 0x80000000, v179
.LBB85_23:
	s_and_not1_saveexec_b32 s3, s3
	s_cbranch_execz .LBB85_25
; %bb.24:
	v_div_scale_f64 v[170:171], null, v[172:173], v[172:173], v[174:175]
	v_div_scale_f64 v[180:181], vcc_lo, v[174:175], v[172:173], v[174:175]
	s_delay_alu instid0(VALU_DEP_2) | instskip(SKIP_2) | instid1(VALU_DEP_1)
	v_rcp_f64_e32 v[176:177], v[170:171]
	s_waitcnt_depctr 0xfff
	v_fma_f64 v[178:179], -v[170:171], v[176:177], 1.0
	v_fma_f64 v[176:177], v[176:177], v[178:179], v[176:177]
	s_delay_alu instid0(VALU_DEP_1) | instskip(NEXT) | instid1(VALU_DEP_1)
	v_fma_f64 v[178:179], -v[170:171], v[176:177], 1.0
	v_fma_f64 v[176:177], v[176:177], v[178:179], v[176:177]
	s_delay_alu instid0(VALU_DEP_1) | instskip(NEXT) | instid1(VALU_DEP_1)
	v_mul_f64 v[178:179], v[180:181], v[176:177]
	v_fma_f64 v[170:171], -v[170:171], v[178:179], v[180:181]
	s_delay_alu instid0(VALU_DEP_1) | instskip(NEXT) | instid1(VALU_DEP_1)
	v_div_fmas_f64 v[170:171], v[170:171], v[176:177], v[178:179]
	v_div_fixup_f64 v[170:171], v[170:171], v[172:173], v[174:175]
	s_delay_alu instid0(VALU_DEP_1) | instskip(NEXT) | instid1(VALU_DEP_1)
	v_fma_f64 v[172:173], v[174:175], v[170:171], v[172:173]
	v_div_scale_f64 v[174:175], null, v[172:173], v[172:173], 1.0
	s_delay_alu instid0(VALU_DEP_1) | instskip(SKIP_2) | instid1(VALU_DEP_1)
	v_rcp_f64_e32 v[176:177], v[174:175]
	s_waitcnt_depctr 0xfff
	v_fma_f64 v[178:179], -v[174:175], v[176:177], 1.0
	v_fma_f64 v[176:177], v[176:177], v[178:179], v[176:177]
	s_delay_alu instid0(VALU_DEP_1) | instskip(NEXT) | instid1(VALU_DEP_1)
	v_fma_f64 v[178:179], -v[174:175], v[176:177], 1.0
	v_fma_f64 v[176:177], v[176:177], v[178:179], v[176:177]
	v_div_scale_f64 v[178:179], vcc_lo, 1.0, v[172:173], 1.0
	s_delay_alu instid0(VALU_DEP_1) | instskip(NEXT) | instid1(VALU_DEP_1)
	v_mul_f64 v[180:181], v[178:179], v[176:177]
	v_fma_f64 v[174:175], -v[174:175], v[180:181], v[178:179]
	s_delay_alu instid0(VALU_DEP_1) | instskip(NEXT) | instid1(VALU_DEP_1)
	v_div_fmas_f64 v[174:175], v[174:175], v[176:177], v[180:181]
	v_div_fixup_f64 v[180:181], v[174:175], v[172:173], 1.0
	s_delay_alu instid0(VALU_DEP_1)
	v_mul_f64 v[178:179], v[170:171], -v[180:181]
.LBB85_25:
	s_or_b32 exec_lo, exec_lo, s3
	ds_store_2addr_b64 v168, v[180:181], v[178:179] offset1:1
.LBB85_26:
	s_or_b32 exec_lo, exec_lo, s4
	s_waitcnt lgkmcnt(0)
	s_barrier
	buffer_gl0_inv
	ds_load_2addr_b64 v[170:173], v168 offset1:1
	s_mov_b32 s3, exec_lo
	s_waitcnt lgkmcnt(0)
	scratch_store_b128 off, v[170:173], off offset:392 ; 16-byte Folded Spill
	v_cmpx_lt_u32_e32 2, v252
	s_cbranch_execz .LBB85_28
; %bb.27:
	scratch_load_b128 v[174:177], off, off offset:392 ; 16-byte Folded Reload
	s_waitcnt vmcnt(0)
	v_mul_f64 v[170:171], v[176:177], v[162:163]
	v_mul_f64 v[162:163], v[174:175], v[162:163]
	s_delay_alu instid0(VALU_DEP_2) | instskip(NEXT) | instid1(VALU_DEP_2)
	v_fma_f64 v[172:173], v[174:175], v[160:161], -v[170:171]
	v_fma_f64 v[162:163], v[176:177], v[160:161], v[162:163]
	ds_load_2addr_b64 v[174:177], v169 offset0:6 offset1:7
	s_waitcnt lgkmcnt(0)
	v_mul_f64 v[160:161], v[176:177], v[162:163]
	v_mul_f64 v[170:171], v[174:175], v[162:163]
	s_delay_alu instid0(VALU_DEP_2) | instskip(NEXT) | instid1(VALU_DEP_2)
	v_fma_f64 v[160:161], v[174:175], v[172:173], -v[160:161]
	v_fma_f64 v[170:171], v[176:177], v[172:173], v[170:171]
	ds_load_2addr_b64 v[174:177], v169 offset0:8 offset1:9
	v_add_f64 v[156:157], v[156:157], -v[160:161]
	v_add_f64 v[158:159], v[158:159], -v[170:171]
	s_waitcnt lgkmcnt(0)
	v_mul_f64 v[160:161], v[176:177], v[162:163]
	v_mul_f64 v[170:171], v[174:175], v[162:163]
	s_delay_alu instid0(VALU_DEP_2) | instskip(NEXT) | instid1(VALU_DEP_2)
	v_fma_f64 v[160:161], v[174:175], v[172:173], -v[160:161]
	v_fma_f64 v[170:171], v[176:177], v[172:173], v[170:171]
	ds_load_2addr_b64 v[174:177], v169 offset0:10 offset1:11
	v_add_f64 v[152:153], v[152:153], -v[160:161]
	v_add_f64 v[154:155], v[154:155], -v[170:171]
	;; [unrolled: 9-line block ×39, first 2 shown]
	s_waitcnt lgkmcnt(0)
	v_mul_f64 v[160:161], v[176:177], v[162:163]
	v_mul_f64 v[170:171], v[174:175], v[162:163]
	s_delay_alu instid0(VALU_DEP_2) | instskip(NEXT) | instid1(VALU_DEP_2)
	v_fma_f64 v[160:161], v[174:175], v[172:173], -v[160:161]
	v_fma_f64 v[170:171], v[176:177], v[172:173], v[170:171]
	s_delay_alu instid0(VALU_DEP_2) | instskip(NEXT) | instid1(VALU_DEP_2)
	v_add_f64 v[0:1], v[0:1], -v[160:161]
	v_add_f64 v[2:3], v[2:3], -v[170:171]
	v_dual_mov_b32 v160, v172 :: v_dual_mov_b32 v161, v173
.LBB85_28:
	s_or_b32 exec_lo, exec_lo, s3
	s_delay_alu instid0(SALU_CYCLE_1)
	s_mov_b32 s4, exec_lo
	s_waitcnt_vscnt null, 0x0
	s_barrier
	buffer_gl0_inv
	v_cmpx_eq_u32_e32 3, v252
	s_cbranch_execz .LBB85_35
; %bb.29:
	ds_store_2addr_b64 v168, v[156:157], v[158:159] offset1:1
	ds_store_2addr_b64 v169, v[152:153], v[154:155] offset0:8 offset1:9
	ds_store_2addr_b64 v169, v[148:149], v[150:151] offset0:10 offset1:11
	ds_store_2addr_b64 v169, v[144:145], v[146:147] offset0:12 offset1:13
	ds_store_2addr_b64 v169, v[140:141], v[142:143] offset0:14 offset1:15
	ds_store_2addr_b64 v169, v[136:137], v[138:139] offset0:16 offset1:17
	ds_store_2addr_b64 v169, v[132:133], v[134:135] offset0:18 offset1:19
	ds_store_2addr_b64 v169, v[128:129], v[130:131] offset0:20 offset1:21
	ds_store_2addr_b64 v169, v[124:125], v[126:127] offset0:22 offset1:23
	ds_store_2addr_b64 v169, v[120:121], v[122:123] offset0:24 offset1:25
	ds_store_2addr_b64 v169, v[116:117], v[118:119] offset0:26 offset1:27
	ds_store_2addr_b64 v169, v[112:113], v[114:115] offset0:28 offset1:29
	ds_store_2addr_b64 v169, v[108:109], v[110:111] offset0:30 offset1:31
	ds_store_2addr_b64 v169, v[104:105], v[106:107] offset0:32 offset1:33
	ds_store_2addr_b64 v169, v[100:101], v[102:103] offset0:34 offset1:35
	ds_store_2addr_b64 v169, v[96:97], v[98:99] offset0:36 offset1:37
	ds_store_2addr_b64 v169, v[92:93], v[94:95] offset0:38 offset1:39
	ds_store_2addr_b64 v169, v[88:89], v[90:91] offset0:40 offset1:41
	ds_store_2addr_b64 v169, v[84:85], v[86:87] offset0:42 offset1:43
	ds_store_2addr_b64 v169, v[80:81], v[82:83] offset0:44 offset1:45
	ds_store_2addr_b64 v169, v[76:77], v[78:79] offset0:46 offset1:47
	ds_store_2addr_b64 v169, v[72:73], v[74:75] offset0:48 offset1:49
	ds_store_2addr_b64 v169, v[68:69], v[70:71] offset0:50 offset1:51
	ds_store_2addr_b64 v169, v[64:65], v[66:67] offset0:52 offset1:53
	ds_store_2addr_b64 v169, v[60:61], v[62:63] offset0:54 offset1:55
	ds_store_2addr_b64 v169, v[56:57], v[58:59] offset0:56 offset1:57
	ds_store_2addr_b64 v169, v[52:53], v[54:55] offset0:58 offset1:59
	ds_store_2addr_b64 v169, v[48:49], v[50:51] offset0:60 offset1:61
	ds_store_2addr_b64 v169, v[44:45], v[46:47] offset0:62 offset1:63
	ds_store_2addr_b64 v169, v[40:41], v[42:43] offset0:64 offset1:65
	ds_store_2addr_b64 v169, v[36:37], v[38:39] offset0:66 offset1:67
	ds_store_2addr_b64 v169, v[32:33], v[34:35] offset0:68 offset1:69
	ds_store_2addr_b64 v169, v[28:29], v[30:31] offset0:70 offset1:71
	ds_store_2addr_b64 v169, v[24:25], v[26:27] offset0:72 offset1:73
	ds_store_2addr_b64 v169, v[20:21], v[22:23] offset0:74 offset1:75
	ds_store_2addr_b64 v169, v[16:17], v[18:19] offset0:76 offset1:77
	ds_store_2addr_b64 v169, v[12:13], v[14:15] offset0:78 offset1:79
	ds_store_2addr_b64 v169, v[8:9], v[10:11] offset0:80 offset1:81
	ds_store_2addr_b64 v169, v[4:5], v[6:7] offset0:82 offset1:83
	ds_store_2addr_b64 v169, v[0:1], v[2:3] offset0:84 offset1:85
	ds_load_2addr_b64 v[172:175], v168 offset1:1
	s_waitcnt lgkmcnt(0)
	v_cmp_neq_f64_e32 vcc_lo, 0, v[172:173]
	v_cmp_neq_f64_e64 s3, 0, v[174:175]
	s_delay_alu instid0(VALU_DEP_1) | instskip(NEXT) | instid1(SALU_CYCLE_1)
	s_or_b32 s3, vcc_lo, s3
	s_and_b32 exec_lo, exec_lo, s3
	s_cbranch_execz .LBB85_35
; %bb.30:
	v_cmp_gt_f64_e32 vcc_lo, 0, v[172:173]
	v_xor_b32_e32 v170, 0x80000000, v173
	v_xor_b32_e32 v176, 0x80000000, v175
	s_mov_b32 s3, exec_lo
                                        ; implicit-def: $vgpr180_vgpr181
	s_delay_alu instid0(VALU_DEP_2) | instskip(SKIP_1) | instid1(VALU_DEP_3)
	v_dual_cndmask_b32 v171, v173, v170 :: v_dual_cndmask_b32 v170, v172, v172
	v_cmp_gt_f64_e32 vcc_lo, 0, v[174:175]
	v_dual_cndmask_b32 v177, v175, v176 :: v_dual_cndmask_b32 v176, v174, v174
	s_delay_alu instid0(VALU_DEP_1)
	v_cmpx_ngt_f64_e32 v[170:171], v[176:177]
	s_xor_b32 s3, exec_lo, s3
                                        ; implicit-def: $vgpr176_vgpr177_vgpr178_vgpr179
	s_cbranch_execz .LBB85_32
; %bb.31:
	v_div_scale_f64 v[170:171], null, v[174:175], v[174:175], v[172:173]
	v_div_scale_f64 v[180:181], vcc_lo, v[172:173], v[174:175], v[172:173]
	s_delay_alu instid0(VALU_DEP_2) | instskip(SKIP_2) | instid1(VALU_DEP_1)
	v_rcp_f64_e32 v[176:177], v[170:171]
	s_waitcnt_depctr 0xfff
	v_fma_f64 v[178:179], -v[170:171], v[176:177], 1.0
	v_fma_f64 v[176:177], v[176:177], v[178:179], v[176:177]
	s_delay_alu instid0(VALU_DEP_1) | instskip(NEXT) | instid1(VALU_DEP_1)
	v_fma_f64 v[178:179], -v[170:171], v[176:177], 1.0
	v_fma_f64 v[176:177], v[176:177], v[178:179], v[176:177]
	s_delay_alu instid0(VALU_DEP_1) | instskip(NEXT) | instid1(VALU_DEP_1)
	v_mul_f64 v[178:179], v[180:181], v[176:177]
	v_fma_f64 v[170:171], -v[170:171], v[178:179], v[180:181]
	s_delay_alu instid0(VALU_DEP_1) | instskip(NEXT) | instid1(VALU_DEP_1)
	v_div_fmas_f64 v[170:171], v[170:171], v[176:177], v[178:179]
	v_div_fixup_f64 v[170:171], v[170:171], v[174:175], v[172:173]
	s_delay_alu instid0(VALU_DEP_1) | instskip(NEXT) | instid1(VALU_DEP_1)
	v_fma_f64 v[172:173], v[172:173], v[170:171], v[174:175]
	v_div_scale_f64 v[174:175], null, v[172:173], v[172:173], 1.0
	s_delay_alu instid0(VALU_DEP_1) | instskip(SKIP_2) | instid1(VALU_DEP_1)
	v_rcp_f64_e32 v[176:177], v[174:175]
	s_waitcnt_depctr 0xfff
	v_fma_f64 v[178:179], -v[174:175], v[176:177], 1.0
	v_fma_f64 v[176:177], v[176:177], v[178:179], v[176:177]
	s_delay_alu instid0(VALU_DEP_1) | instskip(NEXT) | instid1(VALU_DEP_1)
	v_fma_f64 v[178:179], -v[174:175], v[176:177], 1.0
	v_fma_f64 v[176:177], v[176:177], v[178:179], v[176:177]
	v_div_scale_f64 v[178:179], vcc_lo, 1.0, v[172:173], 1.0
	s_delay_alu instid0(VALU_DEP_1) | instskip(NEXT) | instid1(VALU_DEP_1)
	v_mul_f64 v[180:181], v[178:179], v[176:177]
	v_fma_f64 v[174:175], -v[174:175], v[180:181], v[178:179]
	s_delay_alu instid0(VALU_DEP_1) | instskip(NEXT) | instid1(VALU_DEP_1)
	v_div_fmas_f64 v[174:175], v[174:175], v[176:177], v[180:181]
	v_div_fixup_f64 v[178:179], v[174:175], v[172:173], 1.0
                                        ; implicit-def: $vgpr172_vgpr173
	s_delay_alu instid0(VALU_DEP_1)
	v_mul_f64 v[180:181], v[170:171], v[178:179]
	v_xor_b32_e32 v179, 0x80000000, v179
.LBB85_32:
	s_and_not1_saveexec_b32 s3, s3
	s_cbranch_execz .LBB85_34
; %bb.33:
	v_div_scale_f64 v[170:171], null, v[172:173], v[172:173], v[174:175]
	v_div_scale_f64 v[180:181], vcc_lo, v[174:175], v[172:173], v[174:175]
	s_delay_alu instid0(VALU_DEP_2) | instskip(SKIP_2) | instid1(VALU_DEP_1)
	v_rcp_f64_e32 v[176:177], v[170:171]
	s_waitcnt_depctr 0xfff
	v_fma_f64 v[178:179], -v[170:171], v[176:177], 1.0
	v_fma_f64 v[176:177], v[176:177], v[178:179], v[176:177]
	s_delay_alu instid0(VALU_DEP_1) | instskip(NEXT) | instid1(VALU_DEP_1)
	v_fma_f64 v[178:179], -v[170:171], v[176:177], 1.0
	v_fma_f64 v[176:177], v[176:177], v[178:179], v[176:177]
	s_delay_alu instid0(VALU_DEP_1) | instskip(NEXT) | instid1(VALU_DEP_1)
	v_mul_f64 v[178:179], v[180:181], v[176:177]
	v_fma_f64 v[170:171], -v[170:171], v[178:179], v[180:181]
	s_delay_alu instid0(VALU_DEP_1) | instskip(NEXT) | instid1(VALU_DEP_1)
	v_div_fmas_f64 v[170:171], v[170:171], v[176:177], v[178:179]
	v_div_fixup_f64 v[170:171], v[170:171], v[172:173], v[174:175]
	s_delay_alu instid0(VALU_DEP_1) | instskip(NEXT) | instid1(VALU_DEP_1)
	v_fma_f64 v[172:173], v[174:175], v[170:171], v[172:173]
	v_div_scale_f64 v[174:175], null, v[172:173], v[172:173], 1.0
	s_delay_alu instid0(VALU_DEP_1) | instskip(SKIP_2) | instid1(VALU_DEP_1)
	v_rcp_f64_e32 v[176:177], v[174:175]
	s_waitcnt_depctr 0xfff
	v_fma_f64 v[178:179], -v[174:175], v[176:177], 1.0
	v_fma_f64 v[176:177], v[176:177], v[178:179], v[176:177]
	s_delay_alu instid0(VALU_DEP_1) | instskip(NEXT) | instid1(VALU_DEP_1)
	v_fma_f64 v[178:179], -v[174:175], v[176:177], 1.0
	v_fma_f64 v[176:177], v[176:177], v[178:179], v[176:177]
	v_div_scale_f64 v[178:179], vcc_lo, 1.0, v[172:173], 1.0
	s_delay_alu instid0(VALU_DEP_1) | instskip(NEXT) | instid1(VALU_DEP_1)
	v_mul_f64 v[180:181], v[178:179], v[176:177]
	v_fma_f64 v[174:175], -v[174:175], v[180:181], v[178:179]
	s_delay_alu instid0(VALU_DEP_1) | instskip(NEXT) | instid1(VALU_DEP_1)
	v_div_fmas_f64 v[174:175], v[174:175], v[176:177], v[180:181]
	v_div_fixup_f64 v[180:181], v[174:175], v[172:173], 1.0
	s_delay_alu instid0(VALU_DEP_1)
	v_mul_f64 v[178:179], v[170:171], -v[180:181]
.LBB85_34:
	s_or_b32 exec_lo, exec_lo, s3
	ds_store_2addr_b64 v168, v[180:181], v[178:179] offset1:1
.LBB85_35:
	s_or_b32 exec_lo, exec_lo, s4
	s_waitcnt lgkmcnt(0)
	s_barrier
	buffer_gl0_inv
	ds_load_2addr_b64 v[170:173], v168 offset1:1
	s_mov_b32 s3, exec_lo
	s_waitcnt lgkmcnt(0)
	scratch_store_b128 off, v[170:173], off offset:408 ; 16-byte Folded Spill
	v_cmpx_lt_u32_e32 3, v252
	s_cbranch_execz .LBB85_37
; %bb.36:
	scratch_load_b128 v[174:177], off, off offset:408 ; 16-byte Folded Reload
	s_waitcnt vmcnt(0)
	v_mul_f64 v[170:171], v[176:177], v[158:159]
	v_mul_f64 v[158:159], v[174:175], v[158:159]
	s_delay_alu instid0(VALU_DEP_2) | instskip(NEXT) | instid1(VALU_DEP_2)
	v_fma_f64 v[172:173], v[174:175], v[156:157], -v[170:171]
	v_fma_f64 v[158:159], v[176:177], v[156:157], v[158:159]
	ds_load_2addr_b64 v[174:177], v169 offset0:8 offset1:9
	s_waitcnt lgkmcnt(0)
	v_mul_f64 v[156:157], v[176:177], v[158:159]
	v_mul_f64 v[170:171], v[174:175], v[158:159]
	s_delay_alu instid0(VALU_DEP_2) | instskip(NEXT) | instid1(VALU_DEP_2)
	v_fma_f64 v[156:157], v[174:175], v[172:173], -v[156:157]
	v_fma_f64 v[170:171], v[176:177], v[172:173], v[170:171]
	ds_load_2addr_b64 v[174:177], v169 offset0:10 offset1:11
	v_add_f64 v[152:153], v[152:153], -v[156:157]
	v_add_f64 v[154:155], v[154:155], -v[170:171]
	s_waitcnt lgkmcnt(0)
	v_mul_f64 v[156:157], v[176:177], v[158:159]
	v_mul_f64 v[170:171], v[174:175], v[158:159]
	s_delay_alu instid0(VALU_DEP_2) | instskip(NEXT) | instid1(VALU_DEP_2)
	v_fma_f64 v[156:157], v[174:175], v[172:173], -v[156:157]
	v_fma_f64 v[170:171], v[176:177], v[172:173], v[170:171]
	ds_load_2addr_b64 v[174:177], v169 offset0:12 offset1:13
	v_add_f64 v[148:149], v[148:149], -v[156:157]
	v_add_f64 v[150:151], v[150:151], -v[170:171]
	;; [unrolled: 9-line block ×38, first 2 shown]
	s_waitcnt lgkmcnt(0)
	v_mul_f64 v[156:157], v[176:177], v[158:159]
	v_mul_f64 v[170:171], v[174:175], v[158:159]
	s_delay_alu instid0(VALU_DEP_2) | instskip(NEXT) | instid1(VALU_DEP_2)
	v_fma_f64 v[156:157], v[174:175], v[172:173], -v[156:157]
	v_fma_f64 v[170:171], v[176:177], v[172:173], v[170:171]
	s_delay_alu instid0(VALU_DEP_2) | instskip(NEXT) | instid1(VALU_DEP_2)
	v_add_f64 v[0:1], v[0:1], -v[156:157]
	v_add_f64 v[2:3], v[2:3], -v[170:171]
	v_dual_mov_b32 v156, v172 :: v_dual_mov_b32 v157, v173
.LBB85_37:
	s_or_b32 exec_lo, exec_lo, s3
	s_delay_alu instid0(SALU_CYCLE_1)
	s_mov_b32 s4, exec_lo
	s_waitcnt_vscnt null, 0x0
	s_barrier
	buffer_gl0_inv
	v_cmpx_eq_u32_e32 4, v252
	s_cbranch_execz .LBB85_44
; %bb.38:
	ds_store_2addr_b64 v168, v[152:153], v[154:155] offset1:1
	ds_store_2addr_b64 v169, v[148:149], v[150:151] offset0:10 offset1:11
	ds_store_2addr_b64 v169, v[144:145], v[146:147] offset0:12 offset1:13
	;; [unrolled: 1-line block ×38, first 2 shown]
	ds_load_2addr_b64 v[172:175], v168 offset1:1
	s_waitcnt lgkmcnt(0)
	v_cmp_neq_f64_e32 vcc_lo, 0, v[172:173]
	v_cmp_neq_f64_e64 s3, 0, v[174:175]
	s_delay_alu instid0(VALU_DEP_1) | instskip(NEXT) | instid1(SALU_CYCLE_1)
	s_or_b32 s3, vcc_lo, s3
	s_and_b32 exec_lo, exec_lo, s3
	s_cbranch_execz .LBB85_44
; %bb.39:
	v_cmp_gt_f64_e32 vcc_lo, 0, v[172:173]
	v_xor_b32_e32 v170, 0x80000000, v173
	v_xor_b32_e32 v176, 0x80000000, v175
	s_mov_b32 s3, exec_lo
                                        ; implicit-def: $vgpr180_vgpr181
	s_delay_alu instid0(VALU_DEP_2) | instskip(SKIP_1) | instid1(VALU_DEP_3)
	v_dual_cndmask_b32 v171, v173, v170 :: v_dual_cndmask_b32 v170, v172, v172
	v_cmp_gt_f64_e32 vcc_lo, 0, v[174:175]
	v_dual_cndmask_b32 v177, v175, v176 :: v_dual_cndmask_b32 v176, v174, v174
	s_delay_alu instid0(VALU_DEP_1)
	v_cmpx_ngt_f64_e32 v[170:171], v[176:177]
	s_xor_b32 s3, exec_lo, s3
                                        ; implicit-def: $vgpr176_vgpr177_vgpr178_vgpr179
	s_cbranch_execz .LBB85_41
; %bb.40:
	v_div_scale_f64 v[170:171], null, v[174:175], v[174:175], v[172:173]
	v_div_scale_f64 v[180:181], vcc_lo, v[172:173], v[174:175], v[172:173]
	s_delay_alu instid0(VALU_DEP_2) | instskip(SKIP_2) | instid1(VALU_DEP_1)
	v_rcp_f64_e32 v[176:177], v[170:171]
	s_waitcnt_depctr 0xfff
	v_fma_f64 v[178:179], -v[170:171], v[176:177], 1.0
	v_fma_f64 v[176:177], v[176:177], v[178:179], v[176:177]
	s_delay_alu instid0(VALU_DEP_1) | instskip(NEXT) | instid1(VALU_DEP_1)
	v_fma_f64 v[178:179], -v[170:171], v[176:177], 1.0
	v_fma_f64 v[176:177], v[176:177], v[178:179], v[176:177]
	s_delay_alu instid0(VALU_DEP_1) | instskip(NEXT) | instid1(VALU_DEP_1)
	v_mul_f64 v[178:179], v[180:181], v[176:177]
	v_fma_f64 v[170:171], -v[170:171], v[178:179], v[180:181]
	s_delay_alu instid0(VALU_DEP_1) | instskip(NEXT) | instid1(VALU_DEP_1)
	v_div_fmas_f64 v[170:171], v[170:171], v[176:177], v[178:179]
	v_div_fixup_f64 v[170:171], v[170:171], v[174:175], v[172:173]
	s_delay_alu instid0(VALU_DEP_1) | instskip(NEXT) | instid1(VALU_DEP_1)
	v_fma_f64 v[172:173], v[172:173], v[170:171], v[174:175]
	v_div_scale_f64 v[174:175], null, v[172:173], v[172:173], 1.0
	s_delay_alu instid0(VALU_DEP_1) | instskip(SKIP_2) | instid1(VALU_DEP_1)
	v_rcp_f64_e32 v[176:177], v[174:175]
	s_waitcnt_depctr 0xfff
	v_fma_f64 v[178:179], -v[174:175], v[176:177], 1.0
	v_fma_f64 v[176:177], v[176:177], v[178:179], v[176:177]
	s_delay_alu instid0(VALU_DEP_1) | instskip(NEXT) | instid1(VALU_DEP_1)
	v_fma_f64 v[178:179], -v[174:175], v[176:177], 1.0
	v_fma_f64 v[176:177], v[176:177], v[178:179], v[176:177]
	v_div_scale_f64 v[178:179], vcc_lo, 1.0, v[172:173], 1.0
	s_delay_alu instid0(VALU_DEP_1) | instskip(NEXT) | instid1(VALU_DEP_1)
	v_mul_f64 v[180:181], v[178:179], v[176:177]
	v_fma_f64 v[174:175], -v[174:175], v[180:181], v[178:179]
	s_delay_alu instid0(VALU_DEP_1) | instskip(NEXT) | instid1(VALU_DEP_1)
	v_div_fmas_f64 v[174:175], v[174:175], v[176:177], v[180:181]
	v_div_fixup_f64 v[178:179], v[174:175], v[172:173], 1.0
                                        ; implicit-def: $vgpr172_vgpr173
	s_delay_alu instid0(VALU_DEP_1)
	v_mul_f64 v[180:181], v[170:171], v[178:179]
	v_xor_b32_e32 v179, 0x80000000, v179
.LBB85_41:
	s_and_not1_saveexec_b32 s3, s3
	s_cbranch_execz .LBB85_43
; %bb.42:
	v_div_scale_f64 v[170:171], null, v[172:173], v[172:173], v[174:175]
	v_div_scale_f64 v[180:181], vcc_lo, v[174:175], v[172:173], v[174:175]
	s_delay_alu instid0(VALU_DEP_2) | instskip(SKIP_2) | instid1(VALU_DEP_1)
	v_rcp_f64_e32 v[176:177], v[170:171]
	s_waitcnt_depctr 0xfff
	v_fma_f64 v[178:179], -v[170:171], v[176:177], 1.0
	v_fma_f64 v[176:177], v[176:177], v[178:179], v[176:177]
	s_delay_alu instid0(VALU_DEP_1) | instskip(NEXT) | instid1(VALU_DEP_1)
	v_fma_f64 v[178:179], -v[170:171], v[176:177], 1.0
	v_fma_f64 v[176:177], v[176:177], v[178:179], v[176:177]
	s_delay_alu instid0(VALU_DEP_1) | instskip(NEXT) | instid1(VALU_DEP_1)
	v_mul_f64 v[178:179], v[180:181], v[176:177]
	v_fma_f64 v[170:171], -v[170:171], v[178:179], v[180:181]
	s_delay_alu instid0(VALU_DEP_1) | instskip(NEXT) | instid1(VALU_DEP_1)
	v_div_fmas_f64 v[170:171], v[170:171], v[176:177], v[178:179]
	v_div_fixup_f64 v[170:171], v[170:171], v[172:173], v[174:175]
	s_delay_alu instid0(VALU_DEP_1) | instskip(NEXT) | instid1(VALU_DEP_1)
	v_fma_f64 v[172:173], v[174:175], v[170:171], v[172:173]
	v_div_scale_f64 v[174:175], null, v[172:173], v[172:173], 1.0
	s_delay_alu instid0(VALU_DEP_1) | instskip(SKIP_2) | instid1(VALU_DEP_1)
	v_rcp_f64_e32 v[176:177], v[174:175]
	s_waitcnt_depctr 0xfff
	v_fma_f64 v[178:179], -v[174:175], v[176:177], 1.0
	v_fma_f64 v[176:177], v[176:177], v[178:179], v[176:177]
	s_delay_alu instid0(VALU_DEP_1) | instskip(NEXT) | instid1(VALU_DEP_1)
	v_fma_f64 v[178:179], -v[174:175], v[176:177], 1.0
	v_fma_f64 v[176:177], v[176:177], v[178:179], v[176:177]
	v_div_scale_f64 v[178:179], vcc_lo, 1.0, v[172:173], 1.0
	s_delay_alu instid0(VALU_DEP_1) | instskip(NEXT) | instid1(VALU_DEP_1)
	v_mul_f64 v[180:181], v[178:179], v[176:177]
	v_fma_f64 v[174:175], -v[174:175], v[180:181], v[178:179]
	s_delay_alu instid0(VALU_DEP_1) | instskip(NEXT) | instid1(VALU_DEP_1)
	v_div_fmas_f64 v[174:175], v[174:175], v[176:177], v[180:181]
	v_div_fixup_f64 v[180:181], v[174:175], v[172:173], 1.0
	s_delay_alu instid0(VALU_DEP_1)
	v_mul_f64 v[178:179], v[170:171], -v[180:181]
.LBB85_43:
	s_or_b32 exec_lo, exec_lo, s3
	ds_store_2addr_b64 v168, v[180:181], v[178:179] offset1:1
.LBB85_44:
	s_or_b32 exec_lo, exec_lo, s4
	s_waitcnt lgkmcnt(0)
	s_barrier
	buffer_gl0_inv
	ds_load_2addr_b64 v[170:173], v168 offset1:1
	s_mov_b32 s3, exec_lo
	s_waitcnt lgkmcnt(0)
	scratch_store_b128 off, v[170:173], off offset:424 ; 16-byte Folded Spill
	v_cmpx_lt_u32_e32 4, v252
	s_cbranch_execz .LBB85_46
; %bb.45:
	scratch_load_b128 v[174:177], off, off offset:424 ; 16-byte Folded Reload
	s_waitcnt vmcnt(0)
	v_mul_f64 v[170:171], v[176:177], v[154:155]
	v_mul_f64 v[154:155], v[174:175], v[154:155]
	s_delay_alu instid0(VALU_DEP_2) | instskip(NEXT) | instid1(VALU_DEP_2)
	v_fma_f64 v[172:173], v[174:175], v[152:153], -v[170:171]
	v_fma_f64 v[154:155], v[176:177], v[152:153], v[154:155]
	ds_load_2addr_b64 v[174:177], v169 offset0:10 offset1:11
	s_waitcnt lgkmcnt(0)
	v_mul_f64 v[152:153], v[176:177], v[154:155]
	v_mul_f64 v[170:171], v[174:175], v[154:155]
	s_delay_alu instid0(VALU_DEP_2) | instskip(NEXT) | instid1(VALU_DEP_2)
	v_fma_f64 v[152:153], v[174:175], v[172:173], -v[152:153]
	v_fma_f64 v[170:171], v[176:177], v[172:173], v[170:171]
	ds_load_2addr_b64 v[174:177], v169 offset0:12 offset1:13
	v_add_f64 v[148:149], v[148:149], -v[152:153]
	v_add_f64 v[150:151], v[150:151], -v[170:171]
	s_waitcnt lgkmcnt(0)
	v_mul_f64 v[152:153], v[176:177], v[154:155]
	v_mul_f64 v[170:171], v[174:175], v[154:155]
	s_delay_alu instid0(VALU_DEP_2) | instskip(NEXT) | instid1(VALU_DEP_2)
	v_fma_f64 v[152:153], v[174:175], v[172:173], -v[152:153]
	v_fma_f64 v[170:171], v[176:177], v[172:173], v[170:171]
	ds_load_2addr_b64 v[174:177], v169 offset0:14 offset1:15
	v_add_f64 v[144:145], v[144:145], -v[152:153]
	v_add_f64 v[146:147], v[146:147], -v[170:171]
	;; [unrolled: 9-line block ×37, first 2 shown]
	s_waitcnt lgkmcnt(0)
	v_mul_f64 v[152:153], v[176:177], v[154:155]
	v_mul_f64 v[170:171], v[174:175], v[154:155]
	s_delay_alu instid0(VALU_DEP_2) | instskip(NEXT) | instid1(VALU_DEP_2)
	v_fma_f64 v[152:153], v[174:175], v[172:173], -v[152:153]
	v_fma_f64 v[170:171], v[176:177], v[172:173], v[170:171]
	s_delay_alu instid0(VALU_DEP_2) | instskip(NEXT) | instid1(VALU_DEP_2)
	v_add_f64 v[0:1], v[0:1], -v[152:153]
	v_add_f64 v[2:3], v[2:3], -v[170:171]
	v_dual_mov_b32 v152, v172 :: v_dual_mov_b32 v153, v173
.LBB85_46:
	s_or_b32 exec_lo, exec_lo, s3
	s_delay_alu instid0(SALU_CYCLE_1)
	s_mov_b32 s4, exec_lo
	s_waitcnt_vscnt null, 0x0
	s_barrier
	buffer_gl0_inv
	v_cmpx_eq_u32_e32 5, v252
	s_cbranch_execz .LBB85_53
; %bb.47:
	ds_store_2addr_b64 v168, v[148:149], v[150:151] offset1:1
	ds_store_2addr_b64 v169, v[144:145], v[146:147] offset0:12 offset1:13
	ds_store_2addr_b64 v169, v[140:141], v[142:143] offset0:14 offset1:15
	;; [unrolled: 1-line block ×37, first 2 shown]
	ds_load_2addr_b64 v[172:175], v168 offset1:1
	s_waitcnt lgkmcnt(0)
	v_cmp_neq_f64_e32 vcc_lo, 0, v[172:173]
	v_cmp_neq_f64_e64 s3, 0, v[174:175]
	s_delay_alu instid0(VALU_DEP_1) | instskip(NEXT) | instid1(SALU_CYCLE_1)
	s_or_b32 s3, vcc_lo, s3
	s_and_b32 exec_lo, exec_lo, s3
	s_cbranch_execz .LBB85_53
; %bb.48:
	v_cmp_gt_f64_e32 vcc_lo, 0, v[172:173]
	v_xor_b32_e32 v170, 0x80000000, v173
	v_xor_b32_e32 v176, 0x80000000, v175
	s_mov_b32 s3, exec_lo
                                        ; implicit-def: $vgpr180_vgpr181
	s_delay_alu instid0(VALU_DEP_2) | instskip(SKIP_1) | instid1(VALU_DEP_3)
	v_dual_cndmask_b32 v171, v173, v170 :: v_dual_cndmask_b32 v170, v172, v172
	v_cmp_gt_f64_e32 vcc_lo, 0, v[174:175]
	v_dual_cndmask_b32 v177, v175, v176 :: v_dual_cndmask_b32 v176, v174, v174
	s_delay_alu instid0(VALU_DEP_1)
	v_cmpx_ngt_f64_e32 v[170:171], v[176:177]
	s_xor_b32 s3, exec_lo, s3
                                        ; implicit-def: $vgpr176_vgpr177_vgpr178_vgpr179
	s_cbranch_execz .LBB85_50
; %bb.49:
	v_div_scale_f64 v[170:171], null, v[174:175], v[174:175], v[172:173]
	v_div_scale_f64 v[180:181], vcc_lo, v[172:173], v[174:175], v[172:173]
	s_delay_alu instid0(VALU_DEP_2) | instskip(SKIP_2) | instid1(VALU_DEP_1)
	v_rcp_f64_e32 v[176:177], v[170:171]
	s_waitcnt_depctr 0xfff
	v_fma_f64 v[178:179], -v[170:171], v[176:177], 1.0
	v_fma_f64 v[176:177], v[176:177], v[178:179], v[176:177]
	s_delay_alu instid0(VALU_DEP_1) | instskip(NEXT) | instid1(VALU_DEP_1)
	v_fma_f64 v[178:179], -v[170:171], v[176:177], 1.0
	v_fma_f64 v[176:177], v[176:177], v[178:179], v[176:177]
	s_delay_alu instid0(VALU_DEP_1) | instskip(NEXT) | instid1(VALU_DEP_1)
	v_mul_f64 v[178:179], v[180:181], v[176:177]
	v_fma_f64 v[170:171], -v[170:171], v[178:179], v[180:181]
	s_delay_alu instid0(VALU_DEP_1) | instskip(NEXT) | instid1(VALU_DEP_1)
	v_div_fmas_f64 v[170:171], v[170:171], v[176:177], v[178:179]
	v_div_fixup_f64 v[170:171], v[170:171], v[174:175], v[172:173]
	s_delay_alu instid0(VALU_DEP_1) | instskip(NEXT) | instid1(VALU_DEP_1)
	v_fma_f64 v[172:173], v[172:173], v[170:171], v[174:175]
	v_div_scale_f64 v[174:175], null, v[172:173], v[172:173], 1.0
	s_delay_alu instid0(VALU_DEP_1) | instskip(SKIP_2) | instid1(VALU_DEP_1)
	v_rcp_f64_e32 v[176:177], v[174:175]
	s_waitcnt_depctr 0xfff
	v_fma_f64 v[178:179], -v[174:175], v[176:177], 1.0
	v_fma_f64 v[176:177], v[176:177], v[178:179], v[176:177]
	s_delay_alu instid0(VALU_DEP_1) | instskip(NEXT) | instid1(VALU_DEP_1)
	v_fma_f64 v[178:179], -v[174:175], v[176:177], 1.0
	v_fma_f64 v[176:177], v[176:177], v[178:179], v[176:177]
	v_div_scale_f64 v[178:179], vcc_lo, 1.0, v[172:173], 1.0
	s_delay_alu instid0(VALU_DEP_1) | instskip(NEXT) | instid1(VALU_DEP_1)
	v_mul_f64 v[180:181], v[178:179], v[176:177]
	v_fma_f64 v[174:175], -v[174:175], v[180:181], v[178:179]
	s_delay_alu instid0(VALU_DEP_1) | instskip(NEXT) | instid1(VALU_DEP_1)
	v_div_fmas_f64 v[174:175], v[174:175], v[176:177], v[180:181]
	v_div_fixup_f64 v[178:179], v[174:175], v[172:173], 1.0
                                        ; implicit-def: $vgpr172_vgpr173
	s_delay_alu instid0(VALU_DEP_1)
	v_mul_f64 v[180:181], v[170:171], v[178:179]
	v_xor_b32_e32 v179, 0x80000000, v179
.LBB85_50:
	s_and_not1_saveexec_b32 s3, s3
	s_cbranch_execz .LBB85_52
; %bb.51:
	v_div_scale_f64 v[170:171], null, v[172:173], v[172:173], v[174:175]
	v_div_scale_f64 v[180:181], vcc_lo, v[174:175], v[172:173], v[174:175]
	s_delay_alu instid0(VALU_DEP_2) | instskip(SKIP_2) | instid1(VALU_DEP_1)
	v_rcp_f64_e32 v[176:177], v[170:171]
	s_waitcnt_depctr 0xfff
	v_fma_f64 v[178:179], -v[170:171], v[176:177], 1.0
	v_fma_f64 v[176:177], v[176:177], v[178:179], v[176:177]
	s_delay_alu instid0(VALU_DEP_1) | instskip(NEXT) | instid1(VALU_DEP_1)
	v_fma_f64 v[178:179], -v[170:171], v[176:177], 1.0
	v_fma_f64 v[176:177], v[176:177], v[178:179], v[176:177]
	s_delay_alu instid0(VALU_DEP_1) | instskip(NEXT) | instid1(VALU_DEP_1)
	v_mul_f64 v[178:179], v[180:181], v[176:177]
	v_fma_f64 v[170:171], -v[170:171], v[178:179], v[180:181]
	s_delay_alu instid0(VALU_DEP_1) | instskip(NEXT) | instid1(VALU_DEP_1)
	v_div_fmas_f64 v[170:171], v[170:171], v[176:177], v[178:179]
	v_div_fixup_f64 v[170:171], v[170:171], v[172:173], v[174:175]
	s_delay_alu instid0(VALU_DEP_1) | instskip(NEXT) | instid1(VALU_DEP_1)
	v_fma_f64 v[172:173], v[174:175], v[170:171], v[172:173]
	v_div_scale_f64 v[174:175], null, v[172:173], v[172:173], 1.0
	s_delay_alu instid0(VALU_DEP_1) | instskip(SKIP_2) | instid1(VALU_DEP_1)
	v_rcp_f64_e32 v[176:177], v[174:175]
	s_waitcnt_depctr 0xfff
	v_fma_f64 v[178:179], -v[174:175], v[176:177], 1.0
	v_fma_f64 v[176:177], v[176:177], v[178:179], v[176:177]
	s_delay_alu instid0(VALU_DEP_1) | instskip(NEXT) | instid1(VALU_DEP_1)
	v_fma_f64 v[178:179], -v[174:175], v[176:177], 1.0
	v_fma_f64 v[176:177], v[176:177], v[178:179], v[176:177]
	v_div_scale_f64 v[178:179], vcc_lo, 1.0, v[172:173], 1.0
	s_delay_alu instid0(VALU_DEP_1) | instskip(NEXT) | instid1(VALU_DEP_1)
	v_mul_f64 v[180:181], v[178:179], v[176:177]
	v_fma_f64 v[174:175], -v[174:175], v[180:181], v[178:179]
	s_delay_alu instid0(VALU_DEP_1) | instskip(NEXT) | instid1(VALU_DEP_1)
	v_div_fmas_f64 v[174:175], v[174:175], v[176:177], v[180:181]
	v_div_fixup_f64 v[180:181], v[174:175], v[172:173], 1.0
	s_delay_alu instid0(VALU_DEP_1)
	v_mul_f64 v[178:179], v[170:171], -v[180:181]
.LBB85_52:
	s_or_b32 exec_lo, exec_lo, s3
	ds_store_2addr_b64 v168, v[180:181], v[178:179] offset1:1
.LBB85_53:
	s_or_b32 exec_lo, exec_lo, s4
	s_waitcnt lgkmcnt(0)
	s_barrier
	buffer_gl0_inv
	ds_load_2addr_b64 v[170:173], v168 offset1:1
	s_mov_b32 s3, exec_lo
	s_waitcnt lgkmcnt(0)
	scratch_store_b128 off, v[170:173], off offset:440 ; 16-byte Folded Spill
	v_cmpx_lt_u32_e32 5, v252
	s_cbranch_execz .LBB85_55
; %bb.54:
	scratch_load_b128 v[174:177], off, off offset:440 ; 16-byte Folded Reload
	s_waitcnt vmcnt(0)
	v_mul_f64 v[170:171], v[176:177], v[150:151]
	v_mul_f64 v[150:151], v[174:175], v[150:151]
	s_delay_alu instid0(VALU_DEP_2) | instskip(NEXT) | instid1(VALU_DEP_2)
	v_fma_f64 v[172:173], v[174:175], v[148:149], -v[170:171]
	v_fma_f64 v[150:151], v[176:177], v[148:149], v[150:151]
	ds_load_2addr_b64 v[174:177], v169 offset0:12 offset1:13
	s_waitcnt lgkmcnt(0)
	v_mul_f64 v[148:149], v[176:177], v[150:151]
	v_mul_f64 v[170:171], v[174:175], v[150:151]
	s_delay_alu instid0(VALU_DEP_2) | instskip(NEXT) | instid1(VALU_DEP_2)
	v_fma_f64 v[148:149], v[174:175], v[172:173], -v[148:149]
	v_fma_f64 v[170:171], v[176:177], v[172:173], v[170:171]
	ds_load_2addr_b64 v[174:177], v169 offset0:14 offset1:15
	v_add_f64 v[144:145], v[144:145], -v[148:149]
	v_add_f64 v[146:147], v[146:147], -v[170:171]
	s_waitcnt lgkmcnt(0)
	v_mul_f64 v[148:149], v[176:177], v[150:151]
	v_mul_f64 v[170:171], v[174:175], v[150:151]
	s_delay_alu instid0(VALU_DEP_2) | instskip(NEXT) | instid1(VALU_DEP_2)
	v_fma_f64 v[148:149], v[174:175], v[172:173], -v[148:149]
	v_fma_f64 v[170:171], v[176:177], v[172:173], v[170:171]
	ds_load_2addr_b64 v[174:177], v169 offset0:16 offset1:17
	v_add_f64 v[140:141], v[140:141], -v[148:149]
	v_add_f64 v[142:143], v[142:143], -v[170:171]
	;; [unrolled: 9-line block ×36, first 2 shown]
	s_waitcnt lgkmcnt(0)
	v_mul_f64 v[148:149], v[176:177], v[150:151]
	v_mul_f64 v[170:171], v[174:175], v[150:151]
	s_delay_alu instid0(VALU_DEP_2) | instskip(NEXT) | instid1(VALU_DEP_2)
	v_fma_f64 v[148:149], v[174:175], v[172:173], -v[148:149]
	v_fma_f64 v[170:171], v[176:177], v[172:173], v[170:171]
	s_delay_alu instid0(VALU_DEP_2) | instskip(NEXT) | instid1(VALU_DEP_2)
	v_add_f64 v[0:1], v[0:1], -v[148:149]
	v_add_f64 v[2:3], v[2:3], -v[170:171]
	v_dual_mov_b32 v148, v172 :: v_dual_mov_b32 v149, v173
.LBB85_55:
	s_or_b32 exec_lo, exec_lo, s3
	s_delay_alu instid0(SALU_CYCLE_1)
	s_mov_b32 s4, exec_lo
	s_waitcnt_vscnt null, 0x0
	s_barrier
	buffer_gl0_inv
	v_cmpx_eq_u32_e32 6, v252
	s_cbranch_execz .LBB85_62
; %bb.56:
	ds_store_2addr_b64 v168, v[144:145], v[146:147] offset1:1
	ds_store_2addr_b64 v169, v[140:141], v[142:143] offset0:14 offset1:15
	ds_store_2addr_b64 v169, v[136:137], v[138:139] offset0:16 offset1:17
	;; [unrolled: 1-line block ×36, first 2 shown]
	ds_load_2addr_b64 v[172:175], v168 offset1:1
	s_waitcnt lgkmcnt(0)
	v_cmp_neq_f64_e32 vcc_lo, 0, v[172:173]
	v_cmp_neq_f64_e64 s3, 0, v[174:175]
	s_delay_alu instid0(VALU_DEP_1) | instskip(NEXT) | instid1(SALU_CYCLE_1)
	s_or_b32 s3, vcc_lo, s3
	s_and_b32 exec_lo, exec_lo, s3
	s_cbranch_execz .LBB85_62
; %bb.57:
	v_cmp_gt_f64_e32 vcc_lo, 0, v[172:173]
	v_xor_b32_e32 v170, 0x80000000, v173
	v_xor_b32_e32 v176, 0x80000000, v175
	s_mov_b32 s3, exec_lo
                                        ; implicit-def: $vgpr180_vgpr181
	s_delay_alu instid0(VALU_DEP_2) | instskip(SKIP_1) | instid1(VALU_DEP_3)
	v_dual_cndmask_b32 v171, v173, v170 :: v_dual_cndmask_b32 v170, v172, v172
	v_cmp_gt_f64_e32 vcc_lo, 0, v[174:175]
	v_dual_cndmask_b32 v177, v175, v176 :: v_dual_cndmask_b32 v176, v174, v174
	s_delay_alu instid0(VALU_DEP_1)
	v_cmpx_ngt_f64_e32 v[170:171], v[176:177]
	s_xor_b32 s3, exec_lo, s3
                                        ; implicit-def: $vgpr176_vgpr177_vgpr178_vgpr179
	s_cbranch_execz .LBB85_59
; %bb.58:
	v_div_scale_f64 v[170:171], null, v[174:175], v[174:175], v[172:173]
	v_div_scale_f64 v[180:181], vcc_lo, v[172:173], v[174:175], v[172:173]
	s_delay_alu instid0(VALU_DEP_2) | instskip(SKIP_2) | instid1(VALU_DEP_1)
	v_rcp_f64_e32 v[176:177], v[170:171]
	s_waitcnt_depctr 0xfff
	v_fma_f64 v[178:179], -v[170:171], v[176:177], 1.0
	v_fma_f64 v[176:177], v[176:177], v[178:179], v[176:177]
	s_delay_alu instid0(VALU_DEP_1) | instskip(NEXT) | instid1(VALU_DEP_1)
	v_fma_f64 v[178:179], -v[170:171], v[176:177], 1.0
	v_fma_f64 v[176:177], v[176:177], v[178:179], v[176:177]
	s_delay_alu instid0(VALU_DEP_1) | instskip(NEXT) | instid1(VALU_DEP_1)
	v_mul_f64 v[178:179], v[180:181], v[176:177]
	v_fma_f64 v[170:171], -v[170:171], v[178:179], v[180:181]
	s_delay_alu instid0(VALU_DEP_1) | instskip(NEXT) | instid1(VALU_DEP_1)
	v_div_fmas_f64 v[170:171], v[170:171], v[176:177], v[178:179]
	v_div_fixup_f64 v[170:171], v[170:171], v[174:175], v[172:173]
	s_delay_alu instid0(VALU_DEP_1) | instskip(NEXT) | instid1(VALU_DEP_1)
	v_fma_f64 v[172:173], v[172:173], v[170:171], v[174:175]
	v_div_scale_f64 v[174:175], null, v[172:173], v[172:173], 1.0
	s_delay_alu instid0(VALU_DEP_1) | instskip(SKIP_2) | instid1(VALU_DEP_1)
	v_rcp_f64_e32 v[176:177], v[174:175]
	s_waitcnt_depctr 0xfff
	v_fma_f64 v[178:179], -v[174:175], v[176:177], 1.0
	v_fma_f64 v[176:177], v[176:177], v[178:179], v[176:177]
	s_delay_alu instid0(VALU_DEP_1) | instskip(NEXT) | instid1(VALU_DEP_1)
	v_fma_f64 v[178:179], -v[174:175], v[176:177], 1.0
	v_fma_f64 v[176:177], v[176:177], v[178:179], v[176:177]
	v_div_scale_f64 v[178:179], vcc_lo, 1.0, v[172:173], 1.0
	s_delay_alu instid0(VALU_DEP_1) | instskip(NEXT) | instid1(VALU_DEP_1)
	v_mul_f64 v[180:181], v[178:179], v[176:177]
	v_fma_f64 v[174:175], -v[174:175], v[180:181], v[178:179]
	s_delay_alu instid0(VALU_DEP_1) | instskip(NEXT) | instid1(VALU_DEP_1)
	v_div_fmas_f64 v[174:175], v[174:175], v[176:177], v[180:181]
	v_div_fixup_f64 v[178:179], v[174:175], v[172:173], 1.0
                                        ; implicit-def: $vgpr172_vgpr173
	s_delay_alu instid0(VALU_DEP_1)
	v_mul_f64 v[180:181], v[170:171], v[178:179]
	v_xor_b32_e32 v179, 0x80000000, v179
.LBB85_59:
	s_and_not1_saveexec_b32 s3, s3
	s_cbranch_execz .LBB85_61
; %bb.60:
	v_div_scale_f64 v[170:171], null, v[172:173], v[172:173], v[174:175]
	v_div_scale_f64 v[180:181], vcc_lo, v[174:175], v[172:173], v[174:175]
	s_delay_alu instid0(VALU_DEP_2) | instskip(SKIP_2) | instid1(VALU_DEP_1)
	v_rcp_f64_e32 v[176:177], v[170:171]
	s_waitcnt_depctr 0xfff
	v_fma_f64 v[178:179], -v[170:171], v[176:177], 1.0
	v_fma_f64 v[176:177], v[176:177], v[178:179], v[176:177]
	s_delay_alu instid0(VALU_DEP_1) | instskip(NEXT) | instid1(VALU_DEP_1)
	v_fma_f64 v[178:179], -v[170:171], v[176:177], 1.0
	v_fma_f64 v[176:177], v[176:177], v[178:179], v[176:177]
	s_delay_alu instid0(VALU_DEP_1) | instskip(NEXT) | instid1(VALU_DEP_1)
	v_mul_f64 v[178:179], v[180:181], v[176:177]
	v_fma_f64 v[170:171], -v[170:171], v[178:179], v[180:181]
	s_delay_alu instid0(VALU_DEP_1) | instskip(NEXT) | instid1(VALU_DEP_1)
	v_div_fmas_f64 v[170:171], v[170:171], v[176:177], v[178:179]
	v_div_fixup_f64 v[170:171], v[170:171], v[172:173], v[174:175]
	s_delay_alu instid0(VALU_DEP_1) | instskip(NEXT) | instid1(VALU_DEP_1)
	v_fma_f64 v[172:173], v[174:175], v[170:171], v[172:173]
	v_div_scale_f64 v[174:175], null, v[172:173], v[172:173], 1.0
	s_delay_alu instid0(VALU_DEP_1) | instskip(SKIP_2) | instid1(VALU_DEP_1)
	v_rcp_f64_e32 v[176:177], v[174:175]
	s_waitcnt_depctr 0xfff
	v_fma_f64 v[178:179], -v[174:175], v[176:177], 1.0
	v_fma_f64 v[176:177], v[176:177], v[178:179], v[176:177]
	s_delay_alu instid0(VALU_DEP_1) | instskip(NEXT) | instid1(VALU_DEP_1)
	v_fma_f64 v[178:179], -v[174:175], v[176:177], 1.0
	v_fma_f64 v[176:177], v[176:177], v[178:179], v[176:177]
	v_div_scale_f64 v[178:179], vcc_lo, 1.0, v[172:173], 1.0
	s_delay_alu instid0(VALU_DEP_1) | instskip(NEXT) | instid1(VALU_DEP_1)
	v_mul_f64 v[180:181], v[178:179], v[176:177]
	v_fma_f64 v[174:175], -v[174:175], v[180:181], v[178:179]
	s_delay_alu instid0(VALU_DEP_1) | instskip(NEXT) | instid1(VALU_DEP_1)
	v_div_fmas_f64 v[174:175], v[174:175], v[176:177], v[180:181]
	v_div_fixup_f64 v[180:181], v[174:175], v[172:173], 1.0
	s_delay_alu instid0(VALU_DEP_1)
	v_mul_f64 v[178:179], v[170:171], -v[180:181]
.LBB85_61:
	s_or_b32 exec_lo, exec_lo, s3
	ds_store_2addr_b64 v168, v[180:181], v[178:179] offset1:1
.LBB85_62:
	s_or_b32 exec_lo, exec_lo, s4
	s_waitcnt lgkmcnt(0)
	s_barrier
	buffer_gl0_inv
	ds_load_2addr_b64 v[170:173], v168 offset1:1
	s_mov_b32 s3, exec_lo
	s_waitcnt lgkmcnt(0)
	scratch_store_b128 off, v[170:173], off offset:456 ; 16-byte Folded Spill
	v_cmpx_lt_u32_e32 6, v252
	s_cbranch_execz .LBB85_64
; %bb.63:
	scratch_load_b128 v[174:177], off, off offset:456 ; 16-byte Folded Reload
	s_waitcnt vmcnt(0)
	v_mul_f64 v[170:171], v[176:177], v[146:147]
	v_mul_f64 v[146:147], v[174:175], v[146:147]
	s_delay_alu instid0(VALU_DEP_2) | instskip(NEXT) | instid1(VALU_DEP_2)
	v_fma_f64 v[172:173], v[174:175], v[144:145], -v[170:171]
	v_fma_f64 v[146:147], v[176:177], v[144:145], v[146:147]
	ds_load_2addr_b64 v[174:177], v169 offset0:14 offset1:15
	s_waitcnt lgkmcnt(0)
	v_mul_f64 v[144:145], v[176:177], v[146:147]
	v_mul_f64 v[170:171], v[174:175], v[146:147]
	s_delay_alu instid0(VALU_DEP_2) | instskip(NEXT) | instid1(VALU_DEP_2)
	v_fma_f64 v[144:145], v[174:175], v[172:173], -v[144:145]
	v_fma_f64 v[170:171], v[176:177], v[172:173], v[170:171]
	ds_load_2addr_b64 v[174:177], v169 offset0:16 offset1:17
	v_add_f64 v[140:141], v[140:141], -v[144:145]
	v_add_f64 v[142:143], v[142:143], -v[170:171]
	s_waitcnt lgkmcnt(0)
	v_mul_f64 v[144:145], v[176:177], v[146:147]
	v_mul_f64 v[170:171], v[174:175], v[146:147]
	s_delay_alu instid0(VALU_DEP_2) | instskip(NEXT) | instid1(VALU_DEP_2)
	v_fma_f64 v[144:145], v[174:175], v[172:173], -v[144:145]
	v_fma_f64 v[170:171], v[176:177], v[172:173], v[170:171]
	ds_load_2addr_b64 v[174:177], v169 offset0:18 offset1:19
	v_add_f64 v[136:137], v[136:137], -v[144:145]
	v_add_f64 v[138:139], v[138:139], -v[170:171]
	;; [unrolled: 9-line block ×35, first 2 shown]
	s_waitcnt lgkmcnt(0)
	v_mul_f64 v[144:145], v[176:177], v[146:147]
	v_mul_f64 v[170:171], v[174:175], v[146:147]
	s_delay_alu instid0(VALU_DEP_2) | instskip(NEXT) | instid1(VALU_DEP_2)
	v_fma_f64 v[144:145], v[174:175], v[172:173], -v[144:145]
	v_fma_f64 v[170:171], v[176:177], v[172:173], v[170:171]
	s_delay_alu instid0(VALU_DEP_2) | instskip(NEXT) | instid1(VALU_DEP_2)
	v_add_f64 v[0:1], v[0:1], -v[144:145]
	v_add_f64 v[2:3], v[2:3], -v[170:171]
	v_dual_mov_b32 v144, v172 :: v_dual_mov_b32 v145, v173
.LBB85_64:
	s_or_b32 exec_lo, exec_lo, s3
	s_delay_alu instid0(SALU_CYCLE_1)
	s_mov_b32 s4, exec_lo
	s_waitcnt_vscnt null, 0x0
	s_barrier
	buffer_gl0_inv
	v_cmpx_eq_u32_e32 7, v252
	s_cbranch_execz .LBB85_71
; %bb.65:
	ds_store_2addr_b64 v168, v[140:141], v[142:143] offset1:1
	ds_store_2addr_b64 v169, v[136:137], v[138:139] offset0:16 offset1:17
	ds_store_2addr_b64 v169, v[132:133], v[134:135] offset0:18 offset1:19
	;; [unrolled: 1-line block ×35, first 2 shown]
	ds_load_2addr_b64 v[172:175], v168 offset1:1
	s_waitcnt lgkmcnt(0)
	v_cmp_neq_f64_e32 vcc_lo, 0, v[172:173]
	v_cmp_neq_f64_e64 s3, 0, v[174:175]
	s_delay_alu instid0(VALU_DEP_1) | instskip(NEXT) | instid1(SALU_CYCLE_1)
	s_or_b32 s3, vcc_lo, s3
	s_and_b32 exec_lo, exec_lo, s3
	s_cbranch_execz .LBB85_71
; %bb.66:
	v_cmp_gt_f64_e32 vcc_lo, 0, v[172:173]
	v_xor_b32_e32 v170, 0x80000000, v173
	v_xor_b32_e32 v176, 0x80000000, v175
	s_mov_b32 s3, exec_lo
                                        ; implicit-def: $vgpr180_vgpr181
	s_delay_alu instid0(VALU_DEP_2) | instskip(SKIP_1) | instid1(VALU_DEP_3)
	v_dual_cndmask_b32 v171, v173, v170 :: v_dual_cndmask_b32 v170, v172, v172
	v_cmp_gt_f64_e32 vcc_lo, 0, v[174:175]
	v_dual_cndmask_b32 v177, v175, v176 :: v_dual_cndmask_b32 v176, v174, v174
	s_delay_alu instid0(VALU_DEP_1)
	v_cmpx_ngt_f64_e32 v[170:171], v[176:177]
	s_xor_b32 s3, exec_lo, s3
                                        ; implicit-def: $vgpr176_vgpr177_vgpr178_vgpr179
	s_cbranch_execz .LBB85_68
; %bb.67:
	v_div_scale_f64 v[170:171], null, v[174:175], v[174:175], v[172:173]
	v_div_scale_f64 v[180:181], vcc_lo, v[172:173], v[174:175], v[172:173]
	s_delay_alu instid0(VALU_DEP_2) | instskip(SKIP_2) | instid1(VALU_DEP_1)
	v_rcp_f64_e32 v[176:177], v[170:171]
	s_waitcnt_depctr 0xfff
	v_fma_f64 v[178:179], -v[170:171], v[176:177], 1.0
	v_fma_f64 v[176:177], v[176:177], v[178:179], v[176:177]
	s_delay_alu instid0(VALU_DEP_1) | instskip(NEXT) | instid1(VALU_DEP_1)
	v_fma_f64 v[178:179], -v[170:171], v[176:177], 1.0
	v_fma_f64 v[176:177], v[176:177], v[178:179], v[176:177]
	s_delay_alu instid0(VALU_DEP_1) | instskip(NEXT) | instid1(VALU_DEP_1)
	v_mul_f64 v[178:179], v[180:181], v[176:177]
	v_fma_f64 v[170:171], -v[170:171], v[178:179], v[180:181]
	s_delay_alu instid0(VALU_DEP_1) | instskip(NEXT) | instid1(VALU_DEP_1)
	v_div_fmas_f64 v[170:171], v[170:171], v[176:177], v[178:179]
	v_div_fixup_f64 v[170:171], v[170:171], v[174:175], v[172:173]
	s_delay_alu instid0(VALU_DEP_1) | instskip(NEXT) | instid1(VALU_DEP_1)
	v_fma_f64 v[172:173], v[172:173], v[170:171], v[174:175]
	v_div_scale_f64 v[174:175], null, v[172:173], v[172:173], 1.0
	s_delay_alu instid0(VALU_DEP_1) | instskip(SKIP_2) | instid1(VALU_DEP_1)
	v_rcp_f64_e32 v[176:177], v[174:175]
	s_waitcnt_depctr 0xfff
	v_fma_f64 v[178:179], -v[174:175], v[176:177], 1.0
	v_fma_f64 v[176:177], v[176:177], v[178:179], v[176:177]
	s_delay_alu instid0(VALU_DEP_1) | instskip(NEXT) | instid1(VALU_DEP_1)
	v_fma_f64 v[178:179], -v[174:175], v[176:177], 1.0
	v_fma_f64 v[176:177], v[176:177], v[178:179], v[176:177]
	v_div_scale_f64 v[178:179], vcc_lo, 1.0, v[172:173], 1.0
	s_delay_alu instid0(VALU_DEP_1) | instskip(NEXT) | instid1(VALU_DEP_1)
	v_mul_f64 v[180:181], v[178:179], v[176:177]
	v_fma_f64 v[174:175], -v[174:175], v[180:181], v[178:179]
	s_delay_alu instid0(VALU_DEP_1) | instskip(NEXT) | instid1(VALU_DEP_1)
	v_div_fmas_f64 v[174:175], v[174:175], v[176:177], v[180:181]
	v_div_fixup_f64 v[178:179], v[174:175], v[172:173], 1.0
                                        ; implicit-def: $vgpr172_vgpr173
	s_delay_alu instid0(VALU_DEP_1)
	v_mul_f64 v[180:181], v[170:171], v[178:179]
	v_xor_b32_e32 v179, 0x80000000, v179
.LBB85_68:
	s_and_not1_saveexec_b32 s3, s3
	s_cbranch_execz .LBB85_70
; %bb.69:
	v_div_scale_f64 v[170:171], null, v[172:173], v[172:173], v[174:175]
	v_div_scale_f64 v[180:181], vcc_lo, v[174:175], v[172:173], v[174:175]
	s_delay_alu instid0(VALU_DEP_2) | instskip(SKIP_2) | instid1(VALU_DEP_1)
	v_rcp_f64_e32 v[176:177], v[170:171]
	s_waitcnt_depctr 0xfff
	v_fma_f64 v[178:179], -v[170:171], v[176:177], 1.0
	v_fma_f64 v[176:177], v[176:177], v[178:179], v[176:177]
	s_delay_alu instid0(VALU_DEP_1) | instskip(NEXT) | instid1(VALU_DEP_1)
	v_fma_f64 v[178:179], -v[170:171], v[176:177], 1.0
	v_fma_f64 v[176:177], v[176:177], v[178:179], v[176:177]
	s_delay_alu instid0(VALU_DEP_1) | instskip(NEXT) | instid1(VALU_DEP_1)
	v_mul_f64 v[178:179], v[180:181], v[176:177]
	v_fma_f64 v[170:171], -v[170:171], v[178:179], v[180:181]
	s_delay_alu instid0(VALU_DEP_1) | instskip(NEXT) | instid1(VALU_DEP_1)
	v_div_fmas_f64 v[170:171], v[170:171], v[176:177], v[178:179]
	v_div_fixup_f64 v[170:171], v[170:171], v[172:173], v[174:175]
	s_delay_alu instid0(VALU_DEP_1) | instskip(NEXT) | instid1(VALU_DEP_1)
	v_fma_f64 v[172:173], v[174:175], v[170:171], v[172:173]
	v_div_scale_f64 v[174:175], null, v[172:173], v[172:173], 1.0
	s_delay_alu instid0(VALU_DEP_1) | instskip(SKIP_2) | instid1(VALU_DEP_1)
	v_rcp_f64_e32 v[176:177], v[174:175]
	s_waitcnt_depctr 0xfff
	v_fma_f64 v[178:179], -v[174:175], v[176:177], 1.0
	v_fma_f64 v[176:177], v[176:177], v[178:179], v[176:177]
	s_delay_alu instid0(VALU_DEP_1) | instskip(NEXT) | instid1(VALU_DEP_1)
	v_fma_f64 v[178:179], -v[174:175], v[176:177], 1.0
	v_fma_f64 v[176:177], v[176:177], v[178:179], v[176:177]
	v_div_scale_f64 v[178:179], vcc_lo, 1.0, v[172:173], 1.0
	s_delay_alu instid0(VALU_DEP_1) | instskip(NEXT) | instid1(VALU_DEP_1)
	v_mul_f64 v[180:181], v[178:179], v[176:177]
	v_fma_f64 v[174:175], -v[174:175], v[180:181], v[178:179]
	s_delay_alu instid0(VALU_DEP_1) | instskip(NEXT) | instid1(VALU_DEP_1)
	v_div_fmas_f64 v[174:175], v[174:175], v[176:177], v[180:181]
	v_div_fixup_f64 v[180:181], v[174:175], v[172:173], 1.0
	s_delay_alu instid0(VALU_DEP_1)
	v_mul_f64 v[178:179], v[170:171], -v[180:181]
.LBB85_70:
	s_or_b32 exec_lo, exec_lo, s3
	ds_store_2addr_b64 v168, v[180:181], v[178:179] offset1:1
.LBB85_71:
	s_or_b32 exec_lo, exec_lo, s4
	s_waitcnt lgkmcnt(0)
	s_barrier
	buffer_gl0_inv
	ds_load_2addr_b64 v[170:173], v168 offset1:1
	s_mov_b32 s3, exec_lo
	s_waitcnt lgkmcnt(0)
	scratch_store_b128 off, v[170:173], off offset:472 ; 16-byte Folded Spill
	v_cmpx_lt_u32_e32 7, v252
	s_cbranch_execz .LBB85_73
; %bb.72:
	scratch_load_b128 v[174:177], off, off offset:472 ; 16-byte Folded Reload
	s_waitcnt vmcnt(0)
	v_mul_f64 v[170:171], v[176:177], v[142:143]
	v_mul_f64 v[142:143], v[174:175], v[142:143]
	s_delay_alu instid0(VALU_DEP_2) | instskip(NEXT) | instid1(VALU_DEP_2)
	v_fma_f64 v[172:173], v[174:175], v[140:141], -v[170:171]
	v_fma_f64 v[142:143], v[176:177], v[140:141], v[142:143]
	ds_load_2addr_b64 v[174:177], v169 offset0:16 offset1:17
	s_waitcnt lgkmcnt(0)
	v_mul_f64 v[140:141], v[176:177], v[142:143]
	v_mul_f64 v[170:171], v[174:175], v[142:143]
	s_delay_alu instid0(VALU_DEP_2) | instskip(NEXT) | instid1(VALU_DEP_2)
	v_fma_f64 v[140:141], v[174:175], v[172:173], -v[140:141]
	v_fma_f64 v[170:171], v[176:177], v[172:173], v[170:171]
	ds_load_2addr_b64 v[174:177], v169 offset0:18 offset1:19
	v_add_f64 v[136:137], v[136:137], -v[140:141]
	v_add_f64 v[138:139], v[138:139], -v[170:171]
	s_waitcnt lgkmcnt(0)
	v_mul_f64 v[140:141], v[176:177], v[142:143]
	v_mul_f64 v[170:171], v[174:175], v[142:143]
	s_delay_alu instid0(VALU_DEP_2) | instskip(NEXT) | instid1(VALU_DEP_2)
	v_fma_f64 v[140:141], v[174:175], v[172:173], -v[140:141]
	v_fma_f64 v[170:171], v[176:177], v[172:173], v[170:171]
	ds_load_2addr_b64 v[174:177], v169 offset0:20 offset1:21
	v_add_f64 v[132:133], v[132:133], -v[140:141]
	v_add_f64 v[134:135], v[134:135], -v[170:171]
	;; [unrolled: 9-line block ×34, first 2 shown]
	s_waitcnt lgkmcnt(0)
	v_mul_f64 v[140:141], v[176:177], v[142:143]
	v_mul_f64 v[170:171], v[174:175], v[142:143]
	s_delay_alu instid0(VALU_DEP_2) | instskip(NEXT) | instid1(VALU_DEP_2)
	v_fma_f64 v[140:141], v[174:175], v[172:173], -v[140:141]
	v_fma_f64 v[170:171], v[176:177], v[172:173], v[170:171]
	s_delay_alu instid0(VALU_DEP_2) | instskip(NEXT) | instid1(VALU_DEP_2)
	v_add_f64 v[0:1], v[0:1], -v[140:141]
	v_add_f64 v[2:3], v[2:3], -v[170:171]
	v_dual_mov_b32 v140, v172 :: v_dual_mov_b32 v141, v173
.LBB85_73:
	s_or_b32 exec_lo, exec_lo, s3
	s_delay_alu instid0(SALU_CYCLE_1)
	s_mov_b32 s4, exec_lo
	s_waitcnt_vscnt null, 0x0
	s_barrier
	buffer_gl0_inv
	v_cmpx_eq_u32_e32 8, v252
	s_cbranch_execz .LBB85_80
; %bb.74:
	ds_store_2addr_b64 v168, v[136:137], v[138:139] offset1:1
	ds_store_2addr_b64 v169, v[132:133], v[134:135] offset0:18 offset1:19
	ds_store_2addr_b64 v169, v[128:129], v[130:131] offset0:20 offset1:21
	;; [unrolled: 1-line block ×34, first 2 shown]
	ds_load_2addr_b64 v[172:175], v168 offset1:1
	s_waitcnt lgkmcnt(0)
	v_cmp_neq_f64_e32 vcc_lo, 0, v[172:173]
	v_cmp_neq_f64_e64 s3, 0, v[174:175]
	s_delay_alu instid0(VALU_DEP_1) | instskip(NEXT) | instid1(SALU_CYCLE_1)
	s_or_b32 s3, vcc_lo, s3
	s_and_b32 exec_lo, exec_lo, s3
	s_cbranch_execz .LBB85_80
; %bb.75:
	v_cmp_gt_f64_e32 vcc_lo, 0, v[172:173]
	v_xor_b32_e32 v170, 0x80000000, v173
	v_xor_b32_e32 v176, 0x80000000, v175
	s_mov_b32 s3, exec_lo
                                        ; implicit-def: $vgpr180_vgpr181
	s_delay_alu instid0(VALU_DEP_2) | instskip(SKIP_1) | instid1(VALU_DEP_3)
	v_dual_cndmask_b32 v171, v173, v170 :: v_dual_cndmask_b32 v170, v172, v172
	v_cmp_gt_f64_e32 vcc_lo, 0, v[174:175]
	v_dual_cndmask_b32 v177, v175, v176 :: v_dual_cndmask_b32 v176, v174, v174
	s_delay_alu instid0(VALU_DEP_1)
	v_cmpx_ngt_f64_e32 v[170:171], v[176:177]
	s_xor_b32 s3, exec_lo, s3
                                        ; implicit-def: $vgpr176_vgpr177_vgpr178_vgpr179
	s_cbranch_execz .LBB85_77
; %bb.76:
	v_div_scale_f64 v[170:171], null, v[174:175], v[174:175], v[172:173]
	v_div_scale_f64 v[180:181], vcc_lo, v[172:173], v[174:175], v[172:173]
	s_delay_alu instid0(VALU_DEP_2) | instskip(SKIP_2) | instid1(VALU_DEP_1)
	v_rcp_f64_e32 v[176:177], v[170:171]
	s_waitcnt_depctr 0xfff
	v_fma_f64 v[178:179], -v[170:171], v[176:177], 1.0
	v_fma_f64 v[176:177], v[176:177], v[178:179], v[176:177]
	s_delay_alu instid0(VALU_DEP_1) | instskip(NEXT) | instid1(VALU_DEP_1)
	v_fma_f64 v[178:179], -v[170:171], v[176:177], 1.0
	v_fma_f64 v[176:177], v[176:177], v[178:179], v[176:177]
	s_delay_alu instid0(VALU_DEP_1) | instskip(NEXT) | instid1(VALU_DEP_1)
	v_mul_f64 v[178:179], v[180:181], v[176:177]
	v_fma_f64 v[170:171], -v[170:171], v[178:179], v[180:181]
	s_delay_alu instid0(VALU_DEP_1) | instskip(NEXT) | instid1(VALU_DEP_1)
	v_div_fmas_f64 v[170:171], v[170:171], v[176:177], v[178:179]
	v_div_fixup_f64 v[170:171], v[170:171], v[174:175], v[172:173]
	s_delay_alu instid0(VALU_DEP_1) | instskip(NEXT) | instid1(VALU_DEP_1)
	v_fma_f64 v[172:173], v[172:173], v[170:171], v[174:175]
	v_div_scale_f64 v[174:175], null, v[172:173], v[172:173], 1.0
	s_delay_alu instid0(VALU_DEP_1) | instskip(SKIP_2) | instid1(VALU_DEP_1)
	v_rcp_f64_e32 v[176:177], v[174:175]
	s_waitcnt_depctr 0xfff
	v_fma_f64 v[178:179], -v[174:175], v[176:177], 1.0
	v_fma_f64 v[176:177], v[176:177], v[178:179], v[176:177]
	s_delay_alu instid0(VALU_DEP_1) | instskip(NEXT) | instid1(VALU_DEP_1)
	v_fma_f64 v[178:179], -v[174:175], v[176:177], 1.0
	v_fma_f64 v[176:177], v[176:177], v[178:179], v[176:177]
	v_div_scale_f64 v[178:179], vcc_lo, 1.0, v[172:173], 1.0
	s_delay_alu instid0(VALU_DEP_1) | instskip(NEXT) | instid1(VALU_DEP_1)
	v_mul_f64 v[180:181], v[178:179], v[176:177]
	v_fma_f64 v[174:175], -v[174:175], v[180:181], v[178:179]
	s_delay_alu instid0(VALU_DEP_1) | instskip(NEXT) | instid1(VALU_DEP_1)
	v_div_fmas_f64 v[174:175], v[174:175], v[176:177], v[180:181]
	v_div_fixup_f64 v[178:179], v[174:175], v[172:173], 1.0
                                        ; implicit-def: $vgpr172_vgpr173
	s_delay_alu instid0(VALU_DEP_1)
	v_mul_f64 v[180:181], v[170:171], v[178:179]
	v_xor_b32_e32 v179, 0x80000000, v179
.LBB85_77:
	s_and_not1_saveexec_b32 s3, s3
	s_cbranch_execz .LBB85_79
; %bb.78:
	v_div_scale_f64 v[170:171], null, v[172:173], v[172:173], v[174:175]
	v_div_scale_f64 v[180:181], vcc_lo, v[174:175], v[172:173], v[174:175]
	s_delay_alu instid0(VALU_DEP_2) | instskip(SKIP_2) | instid1(VALU_DEP_1)
	v_rcp_f64_e32 v[176:177], v[170:171]
	s_waitcnt_depctr 0xfff
	v_fma_f64 v[178:179], -v[170:171], v[176:177], 1.0
	v_fma_f64 v[176:177], v[176:177], v[178:179], v[176:177]
	s_delay_alu instid0(VALU_DEP_1) | instskip(NEXT) | instid1(VALU_DEP_1)
	v_fma_f64 v[178:179], -v[170:171], v[176:177], 1.0
	v_fma_f64 v[176:177], v[176:177], v[178:179], v[176:177]
	s_delay_alu instid0(VALU_DEP_1) | instskip(NEXT) | instid1(VALU_DEP_1)
	v_mul_f64 v[178:179], v[180:181], v[176:177]
	v_fma_f64 v[170:171], -v[170:171], v[178:179], v[180:181]
	s_delay_alu instid0(VALU_DEP_1) | instskip(NEXT) | instid1(VALU_DEP_1)
	v_div_fmas_f64 v[170:171], v[170:171], v[176:177], v[178:179]
	v_div_fixup_f64 v[170:171], v[170:171], v[172:173], v[174:175]
	s_delay_alu instid0(VALU_DEP_1) | instskip(NEXT) | instid1(VALU_DEP_1)
	v_fma_f64 v[172:173], v[174:175], v[170:171], v[172:173]
	v_div_scale_f64 v[174:175], null, v[172:173], v[172:173], 1.0
	s_delay_alu instid0(VALU_DEP_1) | instskip(SKIP_2) | instid1(VALU_DEP_1)
	v_rcp_f64_e32 v[176:177], v[174:175]
	s_waitcnt_depctr 0xfff
	v_fma_f64 v[178:179], -v[174:175], v[176:177], 1.0
	v_fma_f64 v[176:177], v[176:177], v[178:179], v[176:177]
	s_delay_alu instid0(VALU_DEP_1) | instskip(NEXT) | instid1(VALU_DEP_1)
	v_fma_f64 v[178:179], -v[174:175], v[176:177], 1.0
	v_fma_f64 v[176:177], v[176:177], v[178:179], v[176:177]
	v_div_scale_f64 v[178:179], vcc_lo, 1.0, v[172:173], 1.0
	s_delay_alu instid0(VALU_DEP_1) | instskip(NEXT) | instid1(VALU_DEP_1)
	v_mul_f64 v[180:181], v[178:179], v[176:177]
	v_fma_f64 v[174:175], -v[174:175], v[180:181], v[178:179]
	s_delay_alu instid0(VALU_DEP_1) | instskip(NEXT) | instid1(VALU_DEP_1)
	v_div_fmas_f64 v[174:175], v[174:175], v[176:177], v[180:181]
	v_div_fixup_f64 v[180:181], v[174:175], v[172:173], 1.0
	s_delay_alu instid0(VALU_DEP_1)
	v_mul_f64 v[178:179], v[170:171], -v[180:181]
.LBB85_79:
	s_or_b32 exec_lo, exec_lo, s3
	ds_store_2addr_b64 v168, v[180:181], v[178:179] offset1:1
.LBB85_80:
	s_or_b32 exec_lo, exec_lo, s4
	s_waitcnt lgkmcnt(0)
	s_barrier
	buffer_gl0_inv
	ds_load_2addr_b64 v[170:173], v168 offset1:1
	s_mov_b32 s3, exec_lo
	s_waitcnt lgkmcnt(0)
	scratch_store_b128 off, v[170:173], off offset:488 ; 16-byte Folded Spill
	v_cmpx_lt_u32_e32 8, v252
	s_cbranch_execz .LBB85_82
; %bb.81:
	scratch_load_b128 v[174:177], off, off offset:488 ; 16-byte Folded Reload
	s_waitcnt vmcnt(0)
	v_mul_f64 v[170:171], v[176:177], v[138:139]
	v_mul_f64 v[138:139], v[174:175], v[138:139]
	s_delay_alu instid0(VALU_DEP_2) | instskip(NEXT) | instid1(VALU_DEP_2)
	v_fma_f64 v[172:173], v[174:175], v[136:137], -v[170:171]
	v_fma_f64 v[138:139], v[176:177], v[136:137], v[138:139]
	ds_load_2addr_b64 v[174:177], v169 offset0:18 offset1:19
	s_waitcnt lgkmcnt(0)
	v_mul_f64 v[136:137], v[176:177], v[138:139]
	v_mul_f64 v[170:171], v[174:175], v[138:139]
	s_delay_alu instid0(VALU_DEP_2) | instskip(NEXT) | instid1(VALU_DEP_2)
	v_fma_f64 v[136:137], v[174:175], v[172:173], -v[136:137]
	v_fma_f64 v[170:171], v[176:177], v[172:173], v[170:171]
	ds_load_2addr_b64 v[174:177], v169 offset0:20 offset1:21
	v_add_f64 v[132:133], v[132:133], -v[136:137]
	v_add_f64 v[134:135], v[134:135], -v[170:171]
	s_waitcnt lgkmcnt(0)
	v_mul_f64 v[136:137], v[176:177], v[138:139]
	v_mul_f64 v[170:171], v[174:175], v[138:139]
	s_delay_alu instid0(VALU_DEP_2) | instskip(NEXT) | instid1(VALU_DEP_2)
	v_fma_f64 v[136:137], v[174:175], v[172:173], -v[136:137]
	v_fma_f64 v[170:171], v[176:177], v[172:173], v[170:171]
	ds_load_2addr_b64 v[174:177], v169 offset0:22 offset1:23
	v_add_f64 v[128:129], v[128:129], -v[136:137]
	v_add_f64 v[130:131], v[130:131], -v[170:171]
	;; [unrolled: 9-line block ×33, first 2 shown]
	s_waitcnt lgkmcnt(0)
	v_mul_f64 v[136:137], v[176:177], v[138:139]
	v_mul_f64 v[170:171], v[174:175], v[138:139]
	s_delay_alu instid0(VALU_DEP_2) | instskip(NEXT) | instid1(VALU_DEP_2)
	v_fma_f64 v[136:137], v[174:175], v[172:173], -v[136:137]
	v_fma_f64 v[170:171], v[176:177], v[172:173], v[170:171]
	s_delay_alu instid0(VALU_DEP_2) | instskip(NEXT) | instid1(VALU_DEP_2)
	v_add_f64 v[0:1], v[0:1], -v[136:137]
	v_add_f64 v[2:3], v[2:3], -v[170:171]
	v_dual_mov_b32 v136, v172 :: v_dual_mov_b32 v137, v173
.LBB85_82:
	s_or_b32 exec_lo, exec_lo, s3
	s_delay_alu instid0(SALU_CYCLE_1)
	s_mov_b32 s4, exec_lo
	s_waitcnt_vscnt null, 0x0
	s_barrier
	buffer_gl0_inv
	v_cmpx_eq_u32_e32 9, v252
	s_cbranch_execz .LBB85_89
; %bb.83:
	ds_store_2addr_b64 v168, v[132:133], v[134:135] offset1:1
	ds_store_2addr_b64 v169, v[128:129], v[130:131] offset0:20 offset1:21
	ds_store_2addr_b64 v169, v[124:125], v[126:127] offset0:22 offset1:23
	;; [unrolled: 1-line block ×33, first 2 shown]
	ds_load_2addr_b64 v[172:175], v168 offset1:1
	s_waitcnt lgkmcnt(0)
	v_cmp_neq_f64_e32 vcc_lo, 0, v[172:173]
	v_cmp_neq_f64_e64 s3, 0, v[174:175]
	s_delay_alu instid0(VALU_DEP_1) | instskip(NEXT) | instid1(SALU_CYCLE_1)
	s_or_b32 s3, vcc_lo, s3
	s_and_b32 exec_lo, exec_lo, s3
	s_cbranch_execz .LBB85_89
; %bb.84:
	v_cmp_gt_f64_e32 vcc_lo, 0, v[172:173]
	v_xor_b32_e32 v170, 0x80000000, v173
	v_xor_b32_e32 v176, 0x80000000, v175
	s_mov_b32 s3, exec_lo
                                        ; implicit-def: $vgpr180_vgpr181
	s_delay_alu instid0(VALU_DEP_2) | instskip(SKIP_1) | instid1(VALU_DEP_3)
	v_dual_cndmask_b32 v171, v173, v170 :: v_dual_cndmask_b32 v170, v172, v172
	v_cmp_gt_f64_e32 vcc_lo, 0, v[174:175]
	v_dual_cndmask_b32 v177, v175, v176 :: v_dual_cndmask_b32 v176, v174, v174
	s_delay_alu instid0(VALU_DEP_1)
	v_cmpx_ngt_f64_e32 v[170:171], v[176:177]
	s_xor_b32 s3, exec_lo, s3
                                        ; implicit-def: $vgpr176_vgpr177_vgpr178_vgpr179
	s_cbranch_execz .LBB85_86
; %bb.85:
	v_div_scale_f64 v[170:171], null, v[174:175], v[174:175], v[172:173]
	v_div_scale_f64 v[180:181], vcc_lo, v[172:173], v[174:175], v[172:173]
	s_delay_alu instid0(VALU_DEP_2) | instskip(SKIP_2) | instid1(VALU_DEP_1)
	v_rcp_f64_e32 v[176:177], v[170:171]
	s_waitcnt_depctr 0xfff
	v_fma_f64 v[178:179], -v[170:171], v[176:177], 1.0
	v_fma_f64 v[176:177], v[176:177], v[178:179], v[176:177]
	s_delay_alu instid0(VALU_DEP_1) | instskip(NEXT) | instid1(VALU_DEP_1)
	v_fma_f64 v[178:179], -v[170:171], v[176:177], 1.0
	v_fma_f64 v[176:177], v[176:177], v[178:179], v[176:177]
	s_delay_alu instid0(VALU_DEP_1) | instskip(NEXT) | instid1(VALU_DEP_1)
	v_mul_f64 v[178:179], v[180:181], v[176:177]
	v_fma_f64 v[170:171], -v[170:171], v[178:179], v[180:181]
	s_delay_alu instid0(VALU_DEP_1) | instskip(NEXT) | instid1(VALU_DEP_1)
	v_div_fmas_f64 v[170:171], v[170:171], v[176:177], v[178:179]
	v_div_fixup_f64 v[170:171], v[170:171], v[174:175], v[172:173]
	s_delay_alu instid0(VALU_DEP_1) | instskip(NEXT) | instid1(VALU_DEP_1)
	v_fma_f64 v[172:173], v[172:173], v[170:171], v[174:175]
	v_div_scale_f64 v[174:175], null, v[172:173], v[172:173], 1.0
	s_delay_alu instid0(VALU_DEP_1) | instskip(SKIP_2) | instid1(VALU_DEP_1)
	v_rcp_f64_e32 v[176:177], v[174:175]
	s_waitcnt_depctr 0xfff
	v_fma_f64 v[178:179], -v[174:175], v[176:177], 1.0
	v_fma_f64 v[176:177], v[176:177], v[178:179], v[176:177]
	s_delay_alu instid0(VALU_DEP_1) | instskip(NEXT) | instid1(VALU_DEP_1)
	v_fma_f64 v[178:179], -v[174:175], v[176:177], 1.0
	v_fma_f64 v[176:177], v[176:177], v[178:179], v[176:177]
	v_div_scale_f64 v[178:179], vcc_lo, 1.0, v[172:173], 1.0
	s_delay_alu instid0(VALU_DEP_1) | instskip(NEXT) | instid1(VALU_DEP_1)
	v_mul_f64 v[180:181], v[178:179], v[176:177]
	v_fma_f64 v[174:175], -v[174:175], v[180:181], v[178:179]
	s_delay_alu instid0(VALU_DEP_1) | instskip(NEXT) | instid1(VALU_DEP_1)
	v_div_fmas_f64 v[174:175], v[174:175], v[176:177], v[180:181]
	v_div_fixup_f64 v[178:179], v[174:175], v[172:173], 1.0
                                        ; implicit-def: $vgpr172_vgpr173
	s_delay_alu instid0(VALU_DEP_1)
	v_mul_f64 v[180:181], v[170:171], v[178:179]
	v_xor_b32_e32 v179, 0x80000000, v179
.LBB85_86:
	s_and_not1_saveexec_b32 s3, s3
	s_cbranch_execz .LBB85_88
; %bb.87:
	v_div_scale_f64 v[170:171], null, v[172:173], v[172:173], v[174:175]
	v_div_scale_f64 v[180:181], vcc_lo, v[174:175], v[172:173], v[174:175]
	s_delay_alu instid0(VALU_DEP_2) | instskip(SKIP_2) | instid1(VALU_DEP_1)
	v_rcp_f64_e32 v[176:177], v[170:171]
	s_waitcnt_depctr 0xfff
	v_fma_f64 v[178:179], -v[170:171], v[176:177], 1.0
	v_fma_f64 v[176:177], v[176:177], v[178:179], v[176:177]
	s_delay_alu instid0(VALU_DEP_1) | instskip(NEXT) | instid1(VALU_DEP_1)
	v_fma_f64 v[178:179], -v[170:171], v[176:177], 1.0
	v_fma_f64 v[176:177], v[176:177], v[178:179], v[176:177]
	s_delay_alu instid0(VALU_DEP_1) | instskip(NEXT) | instid1(VALU_DEP_1)
	v_mul_f64 v[178:179], v[180:181], v[176:177]
	v_fma_f64 v[170:171], -v[170:171], v[178:179], v[180:181]
	s_delay_alu instid0(VALU_DEP_1) | instskip(NEXT) | instid1(VALU_DEP_1)
	v_div_fmas_f64 v[170:171], v[170:171], v[176:177], v[178:179]
	v_div_fixup_f64 v[170:171], v[170:171], v[172:173], v[174:175]
	s_delay_alu instid0(VALU_DEP_1) | instskip(NEXT) | instid1(VALU_DEP_1)
	v_fma_f64 v[172:173], v[174:175], v[170:171], v[172:173]
	v_div_scale_f64 v[174:175], null, v[172:173], v[172:173], 1.0
	s_delay_alu instid0(VALU_DEP_1) | instskip(SKIP_2) | instid1(VALU_DEP_1)
	v_rcp_f64_e32 v[176:177], v[174:175]
	s_waitcnt_depctr 0xfff
	v_fma_f64 v[178:179], -v[174:175], v[176:177], 1.0
	v_fma_f64 v[176:177], v[176:177], v[178:179], v[176:177]
	s_delay_alu instid0(VALU_DEP_1) | instskip(NEXT) | instid1(VALU_DEP_1)
	v_fma_f64 v[178:179], -v[174:175], v[176:177], 1.0
	v_fma_f64 v[176:177], v[176:177], v[178:179], v[176:177]
	v_div_scale_f64 v[178:179], vcc_lo, 1.0, v[172:173], 1.0
	s_delay_alu instid0(VALU_DEP_1) | instskip(NEXT) | instid1(VALU_DEP_1)
	v_mul_f64 v[180:181], v[178:179], v[176:177]
	v_fma_f64 v[174:175], -v[174:175], v[180:181], v[178:179]
	s_delay_alu instid0(VALU_DEP_1) | instskip(NEXT) | instid1(VALU_DEP_1)
	v_div_fmas_f64 v[174:175], v[174:175], v[176:177], v[180:181]
	v_div_fixup_f64 v[180:181], v[174:175], v[172:173], 1.0
	s_delay_alu instid0(VALU_DEP_1)
	v_mul_f64 v[178:179], v[170:171], -v[180:181]
.LBB85_88:
	s_or_b32 exec_lo, exec_lo, s3
	ds_store_2addr_b64 v168, v[180:181], v[178:179] offset1:1
.LBB85_89:
	s_or_b32 exec_lo, exec_lo, s4
	s_waitcnt lgkmcnt(0)
	s_barrier
	buffer_gl0_inv
	ds_load_2addr_b64 v[170:173], v168 offset1:1
	s_mov_b32 s3, exec_lo
	s_waitcnt lgkmcnt(0)
	scratch_store_b128 off, v[170:173], off offset:504 ; 16-byte Folded Spill
	v_cmpx_lt_u32_e32 9, v252
	s_cbranch_execz .LBB85_91
; %bb.90:
	scratch_load_b128 v[174:177], off, off offset:504 ; 16-byte Folded Reload
	s_waitcnt vmcnt(0)
	v_mul_f64 v[170:171], v[176:177], v[134:135]
	v_mul_f64 v[134:135], v[174:175], v[134:135]
	s_delay_alu instid0(VALU_DEP_2) | instskip(NEXT) | instid1(VALU_DEP_2)
	v_fma_f64 v[172:173], v[174:175], v[132:133], -v[170:171]
	v_fma_f64 v[134:135], v[176:177], v[132:133], v[134:135]
	ds_load_2addr_b64 v[174:177], v169 offset0:20 offset1:21
	s_waitcnt lgkmcnt(0)
	v_mul_f64 v[132:133], v[176:177], v[134:135]
	v_mul_f64 v[170:171], v[174:175], v[134:135]
	s_delay_alu instid0(VALU_DEP_2) | instskip(NEXT) | instid1(VALU_DEP_2)
	v_fma_f64 v[132:133], v[174:175], v[172:173], -v[132:133]
	v_fma_f64 v[170:171], v[176:177], v[172:173], v[170:171]
	ds_load_2addr_b64 v[174:177], v169 offset0:22 offset1:23
	v_add_f64 v[128:129], v[128:129], -v[132:133]
	v_add_f64 v[130:131], v[130:131], -v[170:171]
	s_waitcnt lgkmcnt(0)
	v_mul_f64 v[132:133], v[176:177], v[134:135]
	v_mul_f64 v[170:171], v[174:175], v[134:135]
	s_delay_alu instid0(VALU_DEP_2) | instskip(NEXT) | instid1(VALU_DEP_2)
	v_fma_f64 v[132:133], v[174:175], v[172:173], -v[132:133]
	v_fma_f64 v[170:171], v[176:177], v[172:173], v[170:171]
	ds_load_2addr_b64 v[174:177], v169 offset0:24 offset1:25
	v_add_f64 v[124:125], v[124:125], -v[132:133]
	v_add_f64 v[126:127], v[126:127], -v[170:171]
	;; [unrolled: 9-line block ×32, first 2 shown]
	s_waitcnt lgkmcnt(0)
	v_mul_f64 v[132:133], v[176:177], v[134:135]
	v_mul_f64 v[170:171], v[174:175], v[134:135]
	s_delay_alu instid0(VALU_DEP_2) | instskip(NEXT) | instid1(VALU_DEP_2)
	v_fma_f64 v[132:133], v[174:175], v[172:173], -v[132:133]
	v_fma_f64 v[170:171], v[176:177], v[172:173], v[170:171]
	s_delay_alu instid0(VALU_DEP_2) | instskip(NEXT) | instid1(VALU_DEP_2)
	v_add_f64 v[0:1], v[0:1], -v[132:133]
	v_add_f64 v[2:3], v[2:3], -v[170:171]
	v_dual_mov_b32 v132, v172 :: v_dual_mov_b32 v133, v173
.LBB85_91:
	s_or_b32 exec_lo, exec_lo, s3
	s_delay_alu instid0(SALU_CYCLE_1)
	s_mov_b32 s4, exec_lo
	s_waitcnt_vscnt null, 0x0
	s_barrier
	buffer_gl0_inv
	v_cmpx_eq_u32_e32 10, v252
	s_cbranch_execz .LBB85_98
; %bb.92:
	ds_store_2addr_b64 v168, v[128:129], v[130:131] offset1:1
	ds_store_2addr_b64 v169, v[124:125], v[126:127] offset0:22 offset1:23
	ds_store_2addr_b64 v169, v[120:121], v[122:123] offset0:24 offset1:25
	;; [unrolled: 1-line block ×32, first 2 shown]
	ds_load_2addr_b64 v[172:175], v168 offset1:1
	s_waitcnt lgkmcnt(0)
	v_cmp_neq_f64_e32 vcc_lo, 0, v[172:173]
	v_cmp_neq_f64_e64 s3, 0, v[174:175]
	s_delay_alu instid0(VALU_DEP_1) | instskip(NEXT) | instid1(SALU_CYCLE_1)
	s_or_b32 s3, vcc_lo, s3
	s_and_b32 exec_lo, exec_lo, s3
	s_cbranch_execz .LBB85_98
; %bb.93:
	v_cmp_gt_f64_e32 vcc_lo, 0, v[172:173]
	v_xor_b32_e32 v170, 0x80000000, v173
	v_xor_b32_e32 v176, 0x80000000, v175
	s_mov_b32 s3, exec_lo
                                        ; implicit-def: $vgpr180_vgpr181
	s_delay_alu instid0(VALU_DEP_2) | instskip(SKIP_1) | instid1(VALU_DEP_3)
	v_dual_cndmask_b32 v171, v173, v170 :: v_dual_cndmask_b32 v170, v172, v172
	v_cmp_gt_f64_e32 vcc_lo, 0, v[174:175]
	v_dual_cndmask_b32 v177, v175, v176 :: v_dual_cndmask_b32 v176, v174, v174
	s_delay_alu instid0(VALU_DEP_1)
	v_cmpx_ngt_f64_e32 v[170:171], v[176:177]
	s_xor_b32 s3, exec_lo, s3
                                        ; implicit-def: $vgpr176_vgpr177_vgpr178_vgpr179
	s_cbranch_execz .LBB85_95
; %bb.94:
	v_div_scale_f64 v[170:171], null, v[174:175], v[174:175], v[172:173]
	v_div_scale_f64 v[180:181], vcc_lo, v[172:173], v[174:175], v[172:173]
	s_delay_alu instid0(VALU_DEP_2) | instskip(SKIP_2) | instid1(VALU_DEP_1)
	v_rcp_f64_e32 v[176:177], v[170:171]
	s_waitcnt_depctr 0xfff
	v_fma_f64 v[178:179], -v[170:171], v[176:177], 1.0
	v_fma_f64 v[176:177], v[176:177], v[178:179], v[176:177]
	s_delay_alu instid0(VALU_DEP_1) | instskip(NEXT) | instid1(VALU_DEP_1)
	v_fma_f64 v[178:179], -v[170:171], v[176:177], 1.0
	v_fma_f64 v[176:177], v[176:177], v[178:179], v[176:177]
	s_delay_alu instid0(VALU_DEP_1) | instskip(NEXT) | instid1(VALU_DEP_1)
	v_mul_f64 v[178:179], v[180:181], v[176:177]
	v_fma_f64 v[170:171], -v[170:171], v[178:179], v[180:181]
	s_delay_alu instid0(VALU_DEP_1) | instskip(NEXT) | instid1(VALU_DEP_1)
	v_div_fmas_f64 v[170:171], v[170:171], v[176:177], v[178:179]
	v_div_fixup_f64 v[170:171], v[170:171], v[174:175], v[172:173]
	s_delay_alu instid0(VALU_DEP_1) | instskip(NEXT) | instid1(VALU_DEP_1)
	v_fma_f64 v[172:173], v[172:173], v[170:171], v[174:175]
	v_div_scale_f64 v[174:175], null, v[172:173], v[172:173], 1.0
	s_delay_alu instid0(VALU_DEP_1) | instskip(SKIP_2) | instid1(VALU_DEP_1)
	v_rcp_f64_e32 v[176:177], v[174:175]
	s_waitcnt_depctr 0xfff
	v_fma_f64 v[178:179], -v[174:175], v[176:177], 1.0
	v_fma_f64 v[176:177], v[176:177], v[178:179], v[176:177]
	s_delay_alu instid0(VALU_DEP_1) | instskip(NEXT) | instid1(VALU_DEP_1)
	v_fma_f64 v[178:179], -v[174:175], v[176:177], 1.0
	v_fma_f64 v[176:177], v[176:177], v[178:179], v[176:177]
	v_div_scale_f64 v[178:179], vcc_lo, 1.0, v[172:173], 1.0
	s_delay_alu instid0(VALU_DEP_1) | instskip(NEXT) | instid1(VALU_DEP_1)
	v_mul_f64 v[180:181], v[178:179], v[176:177]
	v_fma_f64 v[174:175], -v[174:175], v[180:181], v[178:179]
	s_delay_alu instid0(VALU_DEP_1) | instskip(NEXT) | instid1(VALU_DEP_1)
	v_div_fmas_f64 v[174:175], v[174:175], v[176:177], v[180:181]
	v_div_fixup_f64 v[178:179], v[174:175], v[172:173], 1.0
                                        ; implicit-def: $vgpr172_vgpr173
	s_delay_alu instid0(VALU_DEP_1)
	v_mul_f64 v[180:181], v[170:171], v[178:179]
	v_xor_b32_e32 v179, 0x80000000, v179
.LBB85_95:
	s_and_not1_saveexec_b32 s3, s3
	s_cbranch_execz .LBB85_97
; %bb.96:
	v_div_scale_f64 v[170:171], null, v[172:173], v[172:173], v[174:175]
	v_div_scale_f64 v[180:181], vcc_lo, v[174:175], v[172:173], v[174:175]
	s_delay_alu instid0(VALU_DEP_2) | instskip(SKIP_2) | instid1(VALU_DEP_1)
	v_rcp_f64_e32 v[176:177], v[170:171]
	s_waitcnt_depctr 0xfff
	v_fma_f64 v[178:179], -v[170:171], v[176:177], 1.0
	v_fma_f64 v[176:177], v[176:177], v[178:179], v[176:177]
	s_delay_alu instid0(VALU_DEP_1) | instskip(NEXT) | instid1(VALU_DEP_1)
	v_fma_f64 v[178:179], -v[170:171], v[176:177], 1.0
	v_fma_f64 v[176:177], v[176:177], v[178:179], v[176:177]
	s_delay_alu instid0(VALU_DEP_1) | instskip(NEXT) | instid1(VALU_DEP_1)
	v_mul_f64 v[178:179], v[180:181], v[176:177]
	v_fma_f64 v[170:171], -v[170:171], v[178:179], v[180:181]
	s_delay_alu instid0(VALU_DEP_1) | instskip(NEXT) | instid1(VALU_DEP_1)
	v_div_fmas_f64 v[170:171], v[170:171], v[176:177], v[178:179]
	v_div_fixup_f64 v[170:171], v[170:171], v[172:173], v[174:175]
	s_delay_alu instid0(VALU_DEP_1) | instskip(NEXT) | instid1(VALU_DEP_1)
	v_fma_f64 v[172:173], v[174:175], v[170:171], v[172:173]
	v_div_scale_f64 v[174:175], null, v[172:173], v[172:173], 1.0
	s_delay_alu instid0(VALU_DEP_1) | instskip(SKIP_2) | instid1(VALU_DEP_1)
	v_rcp_f64_e32 v[176:177], v[174:175]
	s_waitcnt_depctr 0xfff
	v_fma_f64 v[178:179], -v[174:175], v[176:177], 1.0
	v_fma_f64 v[176:177], v[176:177], v[178:179], v[176:177]
	s_delay_alu instid0(VALU_DEP_1) | instskip(NEXT) | instid1(VALU_DEP_1)
	v_fma_f64 v[178:179], -v[174:175], v[176:177], 1.0
	v_fma_f64 v[176:177], v[176:177], v[178:179], v[176:177]
	v_div_scale_f64 v[178:179], vcc_lo, 1.0, v[172:173], 1.0
	s_delay_alu instid0(VALU_DEP_1) | instskip(NEXT) | instid1(VALU_DEP_1)
	v_mul_f64 v[180:181], v[178:179], v[176:177]
	v_fma_f64 v[174:175], -v[174:175], v[180:181], v[178:179]
	s_delay_alu instid0(VALU_DEP_1) | instskip(NEXT) | instid1(VALU_DEP_1)
	v_div_fmas_f64 v[174:175], v[174:175], v[176:177], v[180:181]
	v_div_fixup_f64 v[180:181], v[174:175], v[172:173], 1.0
	s_delay_alu instid0(VALU_DEP_1)
	v_mul_f64 v[178:179], v[170:171], -v[180:181]
.LBB85_97:
	s_or_b32 exec_lo, exec_lo, s3
	ds_store_2addr_b64 v168, v[180:181], v[178:179] offset1:1
.LBB85_98:
	s_or_b32 exec_lo, exec_lo, s4
	s_waitcnt lgkmcnt(0)
	s_barrier
	buffer_gl0_inv
	ds_load_2addr_b64 v[170:173], v168 offset1:1
	s_mov_b32 s3, exec_lo
	s_waitcnt lgkmcnt(0)
	scratch_store_b128 off, v[170:173], off offset:520 ; 16-byte Folded Spill
	v_cmpx_lt_u32_e32 10, v252
	s_cbranch_execz .LBB85_100
; %bb.99:
	scratch_load_b128 v[174:177], off, off offset:520 ; 16-byte Folded Reload
	s_waitcnt vmcnt(0)
	v_mul_f64 v[170:171], v[176:177], v[130:131]
	v_mul_f64 v[130:131], v[174:175], v[130:131]
	s_delay_alu instid0(VALU_DEP_2) | instskip(NEXT) | instid1(VALU_DEP_2)
	v_fma_f64 v[172:173], v[174:175], v[128:129], -v[170:171]
	v_fma_f64 v[130:131], v[176:177], v[128:129], v[130:131]
	ds_load_2addr_b64 v[174:177], v169 offset0:22 offset1:23
	s_waitcnt lgkmcnt(0)
	v_mul_f64 v[128:129], v[176:177], v[130:131]
	v_mul_f64 v[170:171], v[174:175], v[130:131]
	s_delay_alu instid0(VALU_DEP_2) | instskip(NEXT) | instid1(VALU_DEP_2)
	v_fma_f64 v[128:129], v[174:175], v[172:173], -v[128:129]
	v_fma_f64 v[170:171], v[176:177], v[172:173], v[170:171]
	ds_load_2addr_b64 v[174:177], v169 offset0:24 offset1:25
	v_add_f64 v[124:125], v[124:125], -v[128:129]
	v_add_f64 v[126:127], v[126:127], -v[170:171]
	s_waitcnt lgkmcnt(0)
	v_mul_f64 v[128:129], v[176:177], v[130:131]
	v_mul_f64 v[170:171], v[174:175], v[130:131]
	s_delay_alu instid0(VALU_DEP_2) | instskip(NEXT) | instid1(VALU_DEP_2)
	v_fma_f64 v[128:129], v[174:175], v[172:173], -v[128:129]
	v_fma_f64 v[170:171], v[176:177], v[172:173], v[170:171]
	ds_load_2addr_b64 v[174:177], v169 offset0:26 offset1:27
	v_add_f64 v[120:121], v[120:121], -v[128:129]
	v_add_f64 v[122:123], v[122:123], -v[170:171]
	;; [unrolled: 9-line block ×31, first 2 shown]
	s_waitcnt lgkmcnt(0)
	v_mul_f64 v[128:129], v[176:177], v[130:131]
	v_mul_f64 v[170:171], v[174:175], v[130:131]
	s_delay_alu instid0(VALU_DEP_2) | instskip(NEXT) | instid1(VALU_DEP_2)
	v_fma_f64 v[128:129], v[174:175], v[172:173], -v[128:129]
	v_fma_f64 v[170:171], v[176:177], v[172:173], v[170:171]
	s_delay_alu instid0(VALU_DEP_2) | instskip(NEXT) | instid1(VALU_DEP_2)
	v_add_f64 v[0:1], v[0:1], -v[128:129]
	v_add_f64 v[2:3], v[2:3], -v[170:171]
	v_dual_mov_b32 v128, v172 :: v_dual_mov_b32 v129, v173
.LBB85_100:
	s_or_b32 exec_lo, exec_lo, s3
	s_delay_alu instid0(SALU_CYCLE_1)
	s_mov_b32 s4, exec_lo
	s_waitcnt_vscnt null, 0x0
	s_barrier
	buffer_gl0_inv
	v_cmpx_eq_u32_e32 11, v252
	s_cbranch_execz .LBB85_107
; %bb.101:
	ds_store_2addr_b64 v168, v[124:125], v[126:127] offset1:1
	ds_store_2addr_b64 v169, v[120:121], v[122:123] offset0:24 offset1:25
	ds_store_2addr_b64 v169, v[116:117], v[118:119] offset0:26 offset1:27
	;; [unrolled: 1-line block ×31, first 2 shown]
	ds_load_2addr_b64 v[172:175], v168 offset1:1
	s_waitcnt lgkmcnt(0)
	v_cmp_neq_f64_e32 vcc_lo, 0, v[172:173]
	v_cmp_neq_f64_e64 s3, 0, v[174:175]
	s_delay_alu instid0(VALU_DEP_1) | instskip(NEXT) | instid1(SALU_CYCLE_1)
	s_or_b32 s3, vcc_lo, s3
	s_and_b32 exec_lo, exec_lo, s3
	s_cbranch_execz .LBB85_107
; %bb.102:
	v_cmp_gt_f64_e32 vcc_lo, 0, v[172:173]
	v_xor_b32_e32 v170, 0x80000000, v173
	v_xor_b32_e32 v176, 0x80000000, v175
	s_mov_b32 s3, exec_lo
                                        ; implicit-def: $vgpr180_vgpr181
	s_delay_alu instid0(VALU_DEP_2) | instskip(SKIP_1) | instid1(VALU_DEP_3)
	v_dual_cndmask_b32 v171, v173, v170 :: v_dual_cndmask_b32 v170, v172, v172
	v_cmp_gt_f64_e32 vcc_lo, 0, v[174:175]
	v_dual_cndmask_b32 v177, v175, v176 :: v_dual_cndmask_b32 v176, v174, v174
	s_delay_alu instid0(VALU_DEP_1)
	v_cmpx_ngt_f64_e32 v[170:171], v[176:177]
	s_xor_b32 s3, exec_lo, s3
                                        ; implicit-def: $vgpr176_vgpr177_vgpr178_vgpr179
	s_cbranch_execz .LBB85_104
; %bb.103:
	v_div_scale_f64 v[170:171], null, v[174:175], v[174:175], v[172:173]
	v_div_scale_f64 v[180:181], vcc_lo, v[172:173], v[174:175], v[172:173]
	s_delay_alu instid0(VALU_DEP_2) | instskip(SKIP_2) | instid1(VALU_DEP_1)
	v_rcp_f64_e32 v[176:177], v[170:171]
	s_waitcnt_depctr 0xfff
	v_fma_f64 v[178:179], -v[170:171], v[176:177], 1.0
	v_fma_f64 v[176:177], v[176:177], v[178:179], v[176:177]
	s_delay_alu instid0(VALU_DEP_1) | instskip(NEXT) | instid1(VALU_DEP_1)
	v_fma_f64 v[178:179], -v[170:171], v[176:177], 1.0
	v_fma_f64 v[176:177], v[176:177], v[178:179], v[176:177]
	s_delay_alu instid0(VALU_DEP_1) | instskip(NEXT) | instid1(VALU_DEP_1)
	v_mul_f64 v[178:179], v[180:181], v[176:177]
	v_fma_f64 v[170:171], -v[170:171], v[178:179], v[180:181]
	s_delay_alu instid0(VALU_DEP_1) | instskip(NEXT) | instid1(VALU_DEP_1)
	v_div_fmas_f64 v[170:171], v[170:171], v[176:177], v[178:179]
	v_div_fixup_f64 v[170:171], v[170:171], v[174:175], v[172:173]
	s_delay_alu instid0(VALU_DEP_1) | instskip(NEXT) | instid1(VALU_DEP_1)
	v_fma_f64 v[172:173], v[172:173], v[170:171], v[174:175]
	v_div_scale_f64 v[174:175], null, v[172:173], v[172:173], 1.0
	s_delay_alu instid0(VALU_DEP_1) | instskip(SKIP_2) | instid1(VALU_DEP_1)
	v_rcp_f64_e32 v[176:177], v[174:175]
	s_waitcnt_depctr 0xfff
	v_fma_f64 v[178:179], -v[174:175], v[176:177], 1.0
	v_fma_f64 v[176:177], v[176:177], v[178:179], v[176:177]
	s_delay_alu instid0(VALU_DEP_1) | instskip(NEXT) | instid1(VALU_DEP_1)
	v_fma_f64 v[178:179], -v[174:175], v[176:177], 1.0
	v_fma_f64 v[176:177], v[176:177], v[178:179], v[176:177]
	v_div_scale_f64 v[178:179], vcc_lo, 1.0, v[172:173], 1.0
	s_delay_alu instid0(VALU_DEP_1) | instskip(NEXT) | instid1(VALU_DEP_1)
	v_mul_f64 v[180:181], v[178:179], v[176:177]
	v_fma_f64 v[174:175], -v[174:175], v[180:181], v[178:179]
	s_delay_alu instid0(VALU_DEP_1) | instskip(NEXT) | instid1(VALU_DEP_1)
	v_div_fmas_f64 v[174:175], v[174:175], v[176:177], v[180:181]
	v_div_fixup_f64 v[178:179], v[174:175], v[172:173], 1.0
                                        ; implicit-def: $vgpr172_vgpr173
	s_delay_alu instid0(VALU_DEP_1)
	v_mul_f64 v[180:181], v[170:171], v[178:179]
	v_xor_b32_e32 v179, 0x80000000, v179
.LBB85_104:
	s_and_not1_saveexec_b32 s3, s3
	s_cbranch_execz .LBB85_106
; %bb.105:
	v_div_scale_f64 v[170:171], null, v[172:173], v[172:173], v[174:175]
	v_div_scale_f64 v[180:181], vcc_lo, v[174:175], v[172:173], v[174:175]
	s_delay_alu instid0(VALU_DEP_2) | instskip(SKIP_2) | instid1(VALU_DEP_1)
	v_rcp_f64_e32 v[176:177], v[170:171]
	s_waitcnt_depctr 0xfff
	v_fma_f64 v[178:179], -v[170:171], v[176:177], 1.0
	v_fma_f64 v[176:177], v[176:177], v[178:179], v[176:177]
	s_delay_alu instid0(VALU_DEP_1) | instskip(NEXT) | instid1(VALU_DEP_1)
	v_fma_f64 v[178:179], -v[170:171], v[176:177], 1.0
	v_fma_f64 v[176:177], v[176:177], v[178:179], v[176:177]
	s_delay_alu instid0(VALU_DEP_1) | instskip(NEXT) | instid1(VALU_DEP_1)
	v_mul_f64 v[178:179], v[180:181], v[176:177]
	v_fma_f64 v[170:171], -v[170:171], v[178:179], v[180:181]
	s_delay_alu instid0(VALU_DEP_1) | instskip(NEXT) | instid1(VALU_DEP_1)
	v_div_fmas_f64 v[170:171], v[170:171], v[176:177], v[178:179]
	v_div_fixup_f64 v[170:171], v[170:171], v[172:173], v[174:175]
	s_delay_alu instid0(VALU_DEP_1) | instskip(NEXT) | instid1(VALU_DEP_1)
	v_fma_f64 v[172:173], v[174:175], v[170:171], v[172:173]
	v_div_scale_f64 v[174:175], null, v[172:173], v[172:173], 1.0
	s_delay_alu instid0(VALU_DEP_1) | instskip(SKIP_2) | instid1(VALU_DEP_1)
	v_rcp_f64_e32 v[176:177], v[174:175]
	s_waitcnt_depctr 0xfff
	v_fma_f64 v[178:179], -v[174:175], v[176:177], 1.0
	v_fma_f64 v[176:177], v[176:177], v[178:179], v[176:177]
	s_delay_alu instid0(VALU_DEP_1) | instskip(NEXT) | instid1(VALU_DEP_1)
	v_fma_f64 v[178:179], -v[174:175], v[176:177], 1.0
	v_fma_f64 v[176:177], v[176:177], v[178:179], v[176:177]
	v_div_scale_f64 v[178:179], vcc_lo, 1.0, v[172:173], 1.0
	s_delay_alu instid0(VALU_DEP_1) | instskip(NEXT) | instid1(VALU_DEP_1)
	v_mul_f64 v[180:181], v[178:179], v[176:177]
	v_fma_f64 v[174:175], -v[174:175], v[180:181], v[178:179]
	s_delay_alu instid0(VALU_DEP_1) | instskip(NEXT) | instid1(VALU_DEP_1)
	v_div_fmas_f64 v[174:175], v[174:175], v[176:177], v[180:181]
	v_div_fixup_f64 v[180:181], v[174:175], v[172:173], 1.0
	s_delay_alu instid0(VALU_DEP_1)
	v_mul_f64 v[178:179], v[170:171], -v[180:181]
.LBB85_106:
	s_or_b32 exec_lo, exec_lo, s3
	ds_store_2addr_b64 v168, v[180:181], v[178:179] offset1:1
.LBB85_107:
	s_or_b32 exec_lo, exec_lo, s4
	s_waitcnt lgkmcnt(0)
	s_barrier
	buffer_gl0_inv
	ds_load_2addr_b64 v[170:173], v168 offset1:1
	s_mov_b32 s3, exec_lo
	s_waitcnt lgkmcnt(0)
	scratch_store_b128 off, v[170:173], off offset:536 ; 16-byte Folded Spill
	v_cmpx_lt_u32_e32 11, v252
	s_cbranch_execz .LBB85_109
; %bb.108:
	scratch_load_b128 v[174:177], off, off offset:536 ; 16-byte Folded Reload
	s_waitcnt vmcnt(0)
	v_mul_f64 v[170:171], v[176:177], v[126:127]
	v_mul_f64 v[126:127], v[174:175], v[126:127]
	s_delay_alu instid0(VALU_DEP_2) | instskip(NEXT) | instid1(VALU_DEP_2)
	v_fma_f64 v[172:173], v[174:175], v[124:125], -v[170:171]
	v_fma_f64 v[126:127], v[176:177], v[124:125], v[126:127]
	ds_load_2addr_b64 v[174:177], v169 offset0:24 offset1:25
	s_waitcnt lgkmcnt(0)
	v_mul_f64 v[124:125], v[176:177], v[126:127]
	v_mul_f64 v[170:171], v[174:175], v[126:127]
	s_delay_alu instid0(VALU_DEP_2) | instskip(NEXT) | instid1(VALU_DEP_2)
	v_fma_f64 v[124:125], v[174:175], v[172:173], -v[124:125]
	v_fma_f64 v[170:171], v[176:177], v[172:173], v[170:171]
	ds_load_2addr_b64 v[174:177], v169 offset0:26 offset1:27
	v_add_f64 v[120:121], v[120:121], -v[124:125]
	v_add_f64 v[122:123], v[122:123], -v[170:171]
	s_waitcnt lgkmcnt(0)
	v_mul_f64 v[124:125], v[176:177], v[126:127]
	v_mul_f64 v[170:171], v[174:175], v[126:127]
	s_delay_alu instid0(VALU_DEP_2) | instskip(NEXT) | instid1(VALU_DEP_2)
	v_fma_f64 v[124:125], v[174:175], v[172:173], -v[124:125]
	v_fma_f64 v[170:171], v[176:177], v[172:173], v[170:171]
	ds_load_2addr_b64 v[174:177], v169 offset0:28 offset1:29
	v_add_f64 v[116:117], v[116:117], -v[124:125]
	v_add_f64 v[118:119], v[118:119], -v[170:171]
	;; [unrolled: 9-line block ×30, first 2 shown]
	s_waitcnt lgkmcnt(0)
	v_mul_f64 v[124:125], v[176:177], v[126:127]
	v_mul_f64 v[170:171], v[174:175], v[126:127]
	s_delay_alu instid0(VALU_DEP_2) | instskip(NEXT) | instid1(VALU_DEP_2)
	v_fma_f64 v[124:125], v[174:175], v[172:173], -v[124:125]
	v_fma_f64 v[170:171], v[176:177], v[172:173], v[170:171]
	s_delay_alu instid0(VALU_DEP_2) | instskip(NEXT) | instid1(VALU_DEP_2)
	v_add_f64 v[0:1], v[0:1], -v[124:125]
	v_add_f64 v[2:3], v[2:3], -v[170:171]
	v_dual_mov_b32 v124, v172 :: v_dual_mov_b32 v125, v173
.LBB85_109:
	s_or_b32 exec_lo, exec_lo, s3
	s_delay_alu instid0(SALU_CYCLE_1)
	s_mov_b32 s4, exec_lo
	s_waitcnt_vscnt null, 0x0
	s_barrier
	buffer_gl0_inv
	v_cmpx_eq_u32_e32 12, v252
	s_cbranch_execz .LBB85_116
; %bb.110:
	ds_store_2addr_b64 v168, v[120:121], v[122:123] offset1:1
	ds_store_2addr_b64 v169, v[116:117], v[118:119] offset0:26 offset1:27
	ds_store_2addr_b64 v169, v[112:113], v[114:115] offset0:28 offset1:29
	;; [unrolled: 1-line block ×30, first 2 shown]
	ds_load_2addr_b64 v[172:175], v168 offset1:1
	s_waitcnt lgkmcnt(0)
	v_cmp_neq_f64_e32 vcc_lo, 0, v[172:173]
	v_cmp_neq_f64_e64 s3, 0, v[174:175]
	s_delay_alu instid0(VALU_DEP_1) | instskip(NEXT) | instid1(SALU_CYCLE_1)
	s_or_b32 s3, vcc_lo, s3
	s_and_b32 exec_lo, exec_lo, s3
	s_cbranch_execz .LBB85_116
; %bb.111:
	v_cmp_gt_f64_e32 vcc_lo, 0, v[172:173]
	v_xor_b32_e32 v170, 0x80000000, v173
	v_xor_b32_e32 v176, 0x80000000, v175
	s_mov_b32 s3, exec_lo
                                        ; implicit-def: $vgpr180_vgpr181
	s_delay_alu instid0(VALU_DEP_2) | instskip(SKIP_1) | instid1(VALU_DEP_3)
	v_dual_cndmask_b32 v171, v173, v170 :: v_dual_cndmask_b32 v170, v172, v172
	v_cmp_gt_f64_e32 vcc_lo, 0, v[174:175]
	v_dual_cndmask_b32 v177, v175, v176 :: v_dual_cndmask_b32 v176, v174, v174
	s_delay_alu instid0(VALU_DEP_1)
	v_cmpx_ngt_f64_e32 v[170:171], v[176:177]
	s_xor_b32 s3, exec_lo, s3
                                        ; implicit-def: $vgpr176_vgpr177_vgpr178_vgpr179
	s_cbranch_execz .LBB85_113
; %bb.112:
	v_div_scale_f64 v[170:171], null, v[174:175], v[174:175], v[172:173]
	v_div_scale_f64 v[180:181], vcc_lo, v[172:173], v[174:175], v[172:173]
	s_delay_alu instid0(VALU_DEP_2) | instskip(SKIP_2) | instid1(VALU_DEP_1)
	v_rcp_f64_e32 v[176:177], v[170:171]
	s_waitcnt_depctr 0xfff
	v_fma_f64 v[178:179], -v[170:171], v[176:177], 1.0
	v_fma_f64 v[176:177], v[176:177], v[178:179], v[176:177]
	s_delay_alu instid0(VALU_DEP_1) | instskip(NEXT) | instid1(VALU_DEP_1)
	v_fma_f64 v[178:179], -v[170:171], v[176:177], 1.0
	v_fma_f64 v[176:177], v[176:177], v[178:179], v[176:177]
	s_delay_alu instid0(VALU_DEP_1) | instskip(NEXT) | instid1(VALU_DEP_1)
	v_mul_f64 v[178:179], v[180:181], v[176:177]
	v_fma_f64 v[170:171], -v[170:171], v[178:179], v[180:181]
	s_delay_alu instid0(VALU_DEP_1) | instskip(NEXT) | instid1(VALU_DEP_1)
	v_div_fmas_f64 v[170:171], v[170:171], v[176:177], v[178:179]
	v_div_fixup_f64 v[170:171], v[170:171], v[174:175], v[172:173]
	s_delay_alu instid0(VALU_DEP_1) | instskip(NEXT) | instid1(VALU_DEP_1)
	v_fma_f64 v[172:173], v[172:173], v[170:171], v[174:175]
	v_div_scale_f64 v[174:175], null, v[172:173], v[172:173], 1.0
	s_delay_alu instid0(VALU_DEP_1) | instskip(SKIP_2) | instid1(VALU_DEP_1)
	v_rcp_f64_e32 v[176:177], v[174:175]
	s_waitcnt_depctr 0xfff
	v_fma_f64 v[178:179], -v[174:175], v[176:177], 1.0
	v_fma_f64 v[176:177], v[176:177], v[178:179], v[176:177]
	s_delay_alu instid0(VALU_DEP_1) | instskip(NEXT) | instid1(VALU_DEP_1)
	v_fma_f64 v[178:179], -v[174:175], v[176:177], 1.0
	v_fma_f64 v[176:177], v[176:177], v[178:179], v[176:177]
	v_div_scale_f64 v[178:179], vcc_lo, 1.0, v[172:173], 1.0
	s_delay_alu instid0(VALU_DEP_1) | instskip(NEXT) | instid1(VALU_DEP_1)
	v_mul_f64 v[180:181], v[178:179], v[176:177]
	v_fma_f64 v[174:175], -v[174:175], v[180:181], v[178:179]
	s_delay_alu instid0(VALU_DEP_1) | instskip(NEXT) | instid1(VALU_DEP_1)
	v_div_fmas_f64 v[174:175], v[174:175], v[176:177], v[180:181]
	v_div_fixup_f64 v[178:179], v[174:175], v[172:173], 1.0
                                        ; implicit-def: $vgpr172_vgpr173
	s_delay_alu instid0(VALU_DEP_1)
	v_mul_f64 v[180:181], v[170:171], v[178:179]
	v_xor_b32_e32 v179, 0x80000000, v179
.LBB85_113:
	s_and_not1_saveexec_b32 s3, s3
	s_cbranch_execz .LBB85_115
; %bb.114:
	v_div_scale_f64 v[170:171], null, v[172:173], v[172:173], v[174:175]
	v_div_scale_f64 v[180:181], vcc_lo, v[174:175], v[172:173], v[174:175]
	s_delay_alu instid0(VALU_DEP_2) | instskip(SKIP_2) | instid1(VALU_DEP_1)
	v_rcp_f64_e32 v[176:177], v[170:171]
	s_waitcnt_depctr 0xfff
	v_fma_f64 v[178:179], -v[170:171], v[176:177], 1.0
	v_fma_f64 v[176:177], v[176:177], v[178:179], v[176:177]
	s_delay_alu instid0(VALU_DEP_1) | instskip(NEXT) | instid1(VALU_DEP_1)
	v_fma_f64 v[178:179], -v[170:171], v[176:177], 1.0
	v_fma_f64 v[176:177], v[176:177], v[178:179], v[176:177]
	s_delay_alu instid0(VALU_DEP_1) | instskip(NEXT) | instid1(VALU_DEP_1)
	v_mul_f64 v[178:179], v[180:181], v[176:177]
	v_fma_f64 v[170:171], -v[170:171], v[178:179], v[180:181]
	s_delay_alu instid0(VALU_DEP_1) | instskip(NEXT) | instid1(VALU_DEP_1)
	v_div_fmas_f64 v[170:171], v[170:171], v[176:177], v[178:179]
	v_div_fixup_f64 v[170:171], v[170:171], v[172:173], v[174:175]
	s_delay_alu instid0(VALU_DEP_1) | instskip(NEXT) | instid1(VALU_DEP_1)
	v_fma_f64 v[172:173], v[174:175], v[170:171], v[172:173]
	v_div_scale_f64 v[174:175], null, v[172:173], v[172:173], 1.0
	s_delay_alu instid0(VALU_DEP_1) | instskip(SKIP_2) | instid1(VALU_DEP_1)
	v_rcp_f64_e32 v[176:177], v[174:175]
	s_waitcnt_depctr 0xfff
	v_fma_f64 v[178:179], -v[174:175], v[176:177], 1.0
	v_fma_f64 v[176:177], v[176:177], v[178:179], v[176:177]
	s_delay_alu instid0(VALU_DEP_1) | instskip(NEXT) | instid1(VALU_DEP_1)
	v_fma_f64 v[178:179], -v[174:175], v[176:177], 1.0
	v_fma_f64 v[176:177], v[176:177], v[178:179], v[176:177]
	v_div_scale_f64 v[178:179], vcc_lo, 1.0, v[172:173], 1.0
	s_delay_alu instid0(VALU_DEP_1) | instskip(NEXT) | instid1(VALU_DEP_1)
	v_mul_f64 v[180:181], v[178:179], v[176:177]
	v_fma_f64 v[174:175], -v[174:175], v[180:181], v[178:179]
	s_delay_alu instid0(VALU_DEP_1) | instskip(NEXT) | instid1(VALU_DEP_1)
	v_div_fmas_f64 v[174:175], v[174:175], v[176:177], v[180:181]
	v_div_fixup_f64 v[180:181], v[174:175], v[172:173], 1.0
	s_delay_alu instid0(VALU_DEP_1)
	v_mul_f64 v[178:179], v[170:171], -v[180:181]
.LBB85_115:
	s_or_b32 exec_lo, exec_lo, s3
	ds_store_2addr_b64 v168, v[180:181], v[178:179] offset1:1
.LBB85_116:
	s_or_b32 exec_lo, exec_lo, s4
	s_waitcnt lgkmcnt(0)
	s_barrier
	buffer_gl0_inv
	ds_load_2addr_b64 v[170:173], v168 offset1:1
	s_mov_b32 s3, exec_lo
	s_waitcnt lgkmcnt(0)
	scratch_store_b128 off, v[170:173], off offset:552 ; 16-byte Folded Spill
	v_cmpx_lt_u32_e32 12, v252
	s_cbranch_execz .LBB85_118
; %bb.117:
	scratch_load_b128 v[174:177], off, off offset:552 ; 16-byte Folded Reload
	s_waitcnt vmcnt(0)
	v_mul_f64 v[170:171], v[176:177], v[122:123]
	v_mul_f64 v[122:123], v[174:175], v[122:123]
	s_delay_alu instid0(VALU_DEP_2) | instskip(NEXT) | instid1(VALU_DEP_2)
	v_fma_f64 v[172:173], v[174:175], v[120:121], -v[170:171]
	v_fma_f64 v[122:123], v[176:177], v[120:121], v[122:123]
	ds_load_2addr_b64 v[174:177], v169 offset0:26 offset1:27
	s_waitcnt lgkmcnt(0)
	v_mul_f64 v[120:121], v[176:177], v[122:123]
	v_mul_f64 v[170:171], v[174:175], v[122:123]
	s_delay_alu instid0(VALU_DEP_2) | instskip(NEXT) | instid1(VALU_DEP_2)
	v_fma_f64 v[120:121], v[174:175], v[172:173], -v[120:121]
	v_fma_f64 v[170:171], v[176:177], v[172:173], v[170:171]
	ds_load_2addr_b64 v[174:177], v169 offset0:28 offset1:29
	v_add_f64 v[116:117], v[116:117], -v[120:121]
	v_add_f64 v[118:119], v[118:119], -v[170:171]
	s_waitcnt lgkmcnt(0)
	v_mul_f64 v[120:121], v[176:177], v[122:123]
	v_mul_f64 v[170:171], v[174:175], v[122:123]
	s_delay_alu instid0(VALU_DEP_2) | instskip(NEXT) | instid1(VALU_DEP_2)
	v_fma_f64 v[120:121], v[174:175], v[172:173], -v[120:121]
	v_fma_f64 v[170:171], v[176:177], v[172:173], v[170:171]
	ds_load_2addr_b64 v[174:177], v169 offset0:30 offset1:31
	v_add_f64 v[112:113], v[112:113], -v[120:121]
	v_add_f64 v[114:115], v[114:115], -v[170:171]
	;; [unrolled: 9-line block ×29, first 2 shown]
	s_waitcnt lgkmcnt(0)
	v_mul_f64 v[120:121], v[176:177], v[122:123]
	v_mul_f64 v[170:171], v[174:175], v[122:123]
	s_delay_alu instid0(VALU_DEP_2) | instskip(NEXT) | instid1(VALU_DEP_2)
	v_fma_f64 v[120:121], v[174:175], v[172:173], -v[120:121]
	v_fma_f64 v[170:171], v[176:177], v[172:173], v[170:171]
	s_delay_alu instid0(VALU_DEP_2) | instskip(NEXT) | instid1(VALU_DEP_2)
	v_add_f64 v[0:1], v[0:1], -v[120:121]
	v_add_f64 v[2:3], v[2:3], -v[170:171]
	v_dual_mov_b32 v120, v172 :: v_dual_mov_b32 v121, v173
.LBB85_118:
	s_or_b32 exec_lo, exec_lo, s3
	s_delay_alu instid0(SALU_CYCLE_1)
	s_mov_b32 s4, exec_lo
	s_waitcnt_vscnt null, 0x0
	s_barrier
	buffer_gl0_inv
	v_cmpx_eq_u32_e32 13, v252
	s_cbranch_execz .LBB85_125
; %bb.119:
	ds_store_2addr_b64 v168, v[116:117], v[118:119] offset1:1
	ds_store_2addr_b64 v169, v[112:113], v[114:115] offset0:28 offset1:29
	ds_store_2addr_b64 v169, v[108:109], v[110:111] offset0:30 offset1:31
	;; [unrolled: 1-line block ×29, first 2 shown]
	ds_load_2addr_b64 v[172:175], v168 offset1:1
	s_waitcnt lgkmcnt(0)
	v_cmp_neq_f64_e32 vcc_lo, 0, v[172:173]
	v_cmp_neq_f64_e64 s3, 0, v[174:175]
	s_delay_alu instid0(VALU_DEP_1) | instskip(NEXT) | instid1(SALU_CYCLE_1)
	s_or_b32 s3, vcc_lo, s3
	s_and_b32 exec_lo, exec_lo, s3
	s_cbranch_execz .LBB85_125
; %bb.120:
	v_cmp_gt_f64_e32 vcc_lo, 0, v[172:173]
	v_xor_b32_e32 v170, 0x80000000, v173
	v_xor_b32_e32 v176, 0x80000000, v175
	s_mov_b32 s3, exec_lo
                                        ; implicit-def: $vgpr180_vgpr181
	s_delay_alu instid0(VALU_DEP_2) | instskip(SKIP_1) | instid1(VALU_DEP_3)
	v_dual_cndmask_b32 v171, v173, v170 :: v_dual_cndmask_b32 v170, v172, v172
	v_cmp_gt_f64_e32 vcc_lo, 0, v[174:175]
	v_dual_cndmask_b32 v177, v175, v176 :: v_dual_cndmask_b32 v176, v174, v174
	s_delay_alu instid0(VALU_DEP_1)
	v_cmpx_ngt_f64_e32 v[170:171], v[176:177]
	s_xor_b32 s3, exec_lo, s3
                                        ; implicit-def: $vgpr176_vgpr177_vgpr178_vgpr179
	s_cbranch_execz .LBB85_122
; %bb.121:
	v_div_scale_f64 v[170:171], null, v[174:175], v[174:175], v[172:173]
	v_div_scale_f64 v[180:181], vcc_lo, v[172:173], v[174:175], v[172:173]
	s_delay_alu instid0(VALU_DEP_2) | instskip(SKIP_2) | instid1(VALU_DEP_1)
	v_rcp_f64_e32 v[176:177], v[170:171]
	s_waitcnt_depctr 0xfff
	v_fma_f64 v[178:179], -v[170:171], v[176:177], 1.0
	v_fma_f64 v[176:177], v[176:177], v[178:179], v[176:177]
	s_delay_alu instid0(VALU_DEP_1) | instskip(NEXT) | instid1(VALU_DEP_1)
	v_fma_f64 v[178:179], -v[170:171], v[176:177], 1.0
	v_fma_f64 v[176:177], v[176:177], v[178:179], v[176:177]
	s_delay_alu instid0(VALU_DEP_1) | instskip(NEXT) | instid1(VALU_DEP_1)
	v_mul_f64 v[178:179], v[180:181], v[176:177]
	v_fma_f64 v[170:171], -v[170:171], v[178:179], v[180:181]
	s_delay_alu instid0(VALU_DEP_1) | instskip(NEXT) | instid1(VALU_DEP_1)
	v_div_fmas_f64 v[170:171], v[170:171], v[176:177], v[178:179]
	v_div_fixup_f64 v[170:171], v[170:171], v[174:175], v[172:173]
	s_delay_alu instid0(VALU_DEP_1) | instskip(NEXT) | instid1(VALU_DEP_1)
	v_fma_f64 v[172:173], v[172:173], v[170:171], v[174:175]
	v_div_scale_f64 v[174:175], null, v[172:173], v[172:173], 1.0
	s_delay_alu instid0(VALU_DEP_1) | instskip(SKIP_2) | instid1(VALU_DEP_1)
	v_rcp_f64_e32 v[176:177], v[174:175]
	s_waitcnt_depctr 0xfff
	v_fma_f64 v[178:179], -v[174:175], v[176:177], 1.0
	v_fma_f64 v[176:177], v[176:177], v[178:179], v[176:177]
	s_delay_alu instid0(VALU_DEP_1) | instskip(NEXT) | instid1(VALU_DEP_1)
	v_fma_f64 v[178:179], -v[174:175], v[176:177], 1.0
	v_fma_f64 v[176:177], v[176:177], v[178:179], v[176:177]
	v_div_scale_f64 v[178:179], vcc_lo, 1.0, v[172:173], 1.0
	s_delay_alu instid0(VALU_DEP_1) | instskip(NEXT) | instid1(VALU_DEP_1)
	v_mul_f64 v[180:181], v[178:179], v[176:177]
	v_fma_f64 v[174:175], -v[174:175], v[180:181], v[178:179]
	s_delay_alu instid0(VALU_DEP_1) | instskip(NEXT) | instid1(VALU_DEP_1)
	v_div_fmas_f64 v[174:175], v[174:175], v[176:177], v[180:181]
	v_div_fixup_f64 v[178:179], v[174:175], v[172:173], 1.0
                                        ; implicit-def: $vgpr172_vgpr173
	s_delay_alu instid0(VALU_DEP_1)
	v_mul_f64 v[180:181], v[170:171], v[178:179]
	v_xor_b32_e32 v179, 0x80000000, v179
.LBB85_122:
	s_and_not1_saveexec_b32 s3, s3
	s_cbranch_execz .LBB85_124
; %bb.123:
	v_div_scale_f64 v[170:171], null, v[172:173], v[172:173], v[174:175]
	v_div_scale_f64 v[180:181], vcc_lo, v[174:175], v[172:173], v[174:175]
	s_delay_alu instid0(VALU_DEP_2) | instskip(SKIP_2) | instid1(VALU_DEP_1)
	v_rcp_f64_e32 v[176:177], v[170:171]
	s_waitcnt_depctr 0xfff
	v_fma_f64 v[178:179], -v[170:171], v[176:177], 1.0
	v_fma_f64 v[176:177], v[176:177], v[178:179], v[176:177]
	s_delay_alu instid0(VALU_DEP_1) | instskip(NEXT) | instid1(VALU_DEP_1)
	v_fma_f64 v[178:179], -v[170:171], v[176:177], 1.0
	v_fma_f64 v[176:177], v[176:177], v[178:179], v[176:177]
	s_delay_alu instid0(VALU_DEP_1) | instskip(NEXT) | instid1(VALU_DEP_1)
	v_mul_f64 v[178:179], v[180:181], v[176:177]
	v_fma_f64 v[170:171], -v[170:171], v[178:179], v[180:181]
	s_delay_alu instid0(VALU_DEP_1) | instskip(NEXT) | instid1(VALU_DEP_1)
	v_div_fmas_f64 v[170:171], v[170:171], v[176:177], v[178:179]
	v_div_fixup_f64 v[170:171], v[170:171], v[172:173], v[174:175]
	s_delay_alu instid0(VALU_DEP_1) | instskip(NEXT) | instid1(VALU_DEP_1)
	v_fma_f64 v[172:173], v[174:175], v[170:171], v[172:173]
	v_div_scale_f64 v[174:175], null, v[172:173], v[172:173], 1.0
	s_delay_alu instid0(VALU_DEP_1) | instskip(SKIP_2) | instid1(VALU_DEP_1)
	v_rcp_f64_e32 v[176:177], v[174:175]
	s_waitcnt_depctr 0xfff
	v_fma_f64 v[178:179], -v[174:175], v[176:177], 1.0
	v_fma_f64 v[176:177], v[176:177], v[178:179], v[176:177]
	s_delay_alu instid0(VALU_DEP_1) | instskip(NEXT) | instid1(VALU_DEP_1)
	v_fma_f64 v[178:179], -v[174:175], v[176:177], 1.0
	v_fma_f64 v[176:177], v[176:177], v[178:179], v[176:177]
	v_div_scale_f64 v[178:179], vcc_lo, 1.0, v[172:173], 1.0
	s_delay_alu instid0(VALU_DEP_1) | instskip(NEXT) | instid1(VALU_DEP_1)
	v_mul_f64 v[180:181], v[178:179], v[176:177]
	v_fma_f64 v[174:175], -v[174:175], v[180:181], v[178:179]
	s_delay_alu instid0(VALU_DEP_1) | instskip(NEXT) | instid1(VALU_DEP_1)
	v_div_fmas_f64 v[174:175], v[174:175], v[176:177], v[180:181]
	v_div_fixup_f64 v[180:181], v[174:175], v[172:173], 1.0
	s_delay_alu instid0(VALU_DEP_1)
	v_mul_f64 v[178:179], v[170:171], -v[180:181]
.LBB85_124:
	s_or_b32 exec_lo, exec_lo, s3
	ds_store_2addr_b64 v168, v[180:181], v[178:179] offset1:1
.LBB85_125:
	s_or_b32 exec_lo, exec_lo, s4
	s_waitcnt lgkmcnt(0)
	s_barrier
	buffer_gl0_inv
	ds_load_2addr_b64 v[170:173], v168 offset1:1
	s_mov_b32 s3, exec_lo
	s_waitcnt lgkmcnt(0)
	scratch_store_b128 off, v[170:173], off offset:568 ; 16-byte Folded Spill
	v_cmpx_lt_u32_e32 13, v252
	s_cbranch_execz .LBB85_127
; %bb.126:
	scratch_load_b128 v[174:177], off, off offset:568 ; 16-byte Folded Reload
	s_waitcnt vmcnt(0)
	v_mul_f64 v[170:171], v[176:177], v[118:119]
	v_mul_f64 v[118:119], v[174:175], v[118:119]
	s_delay_alu instid0(VALU_DEP_2) | instskip(NEXT) | instid1(VALU_DEP_2)
	v_fma_f64 v[172:173], v[174:175], v[116:117], -v[170:171]
	v_fma_f64 v[118:119], v[176:177], v[116:117], v[118:119]
	ds_load_2addr_b64 v[174:177], v169 offset0:28 offset1:29
	s_waitcnt lgkmcnt(0)
	v_mul_f64 v[116:117], v[176:177], v[118:119]
	v_mul_f64 v[170:171], v[174:175], v[118:119]
	s_delay_alu instid0(VALU_DEP_2) | instskip(NEXT) | instid1(VALU_DEP_2)
	v_fma_f64 v[116:117], v[174:175], v[172:173], -v[116:117]
	v_fma_f64 v[170:171], v[176:177], v[172:173], v[170:171]
	ds_load_2addr_b64 v[174:177], v169 offset0:30 offset1:31
	v_add_f64 v[112:113], v[112:113], -v[116:117]
	v_add_f64 v[114:115], v[114:115], -v[170:171]
	s_waitcnt lgkmcnt(0)
	v_mul_f64 v[116:117], v[176:177], v[118:119]
	v_mul_f64 v[170:171], v[174:175], v[118:119]
	s_delay_alu instid0(VALU_DEP_2) | instskip(NEXT) | instid1(VALU_DEP_2)
	v_fma_f64 v[116:117], v[174:175], v[172:173], -v[116:117]
	v_fma_f64 v[170:171], v[176:177], v[172:173], v[170:171]
	ds_load_2addr_b64 v[174:177], v169 offset0:32 offset1:33
	v_add_f64 v[108:109], v[108:109], -v[116:117]
	v_add_f64 v[110:111], v[110:111], -v[170:171]
	s_waitcnt lgkmcnt(0)
	v_mul_f64 v[116:117], v[176:177], v[118:119]
	v_mul_f64 v[170:171], v[174:175], v[118:119]
	s_delay_alu instid0(VALU_DEP_2) | instskip(NEXT) | instid1(VALU_DEP_2)
	v_fma_f64 v[116:117], v[174:175], v[172:173], -v[116:117]
	v_fma_f64 v[170:171], v[176:177], v[172:173], v[170:171]
	ds_load_2addr_b64 v[174:177], v169 offset0:34 offset1:35
	v_add_f64 v[104:105], v[104:105], -v[116:117]
	v_add_f64 v[106:107], v[106:107], -v[170:171]
	s_waitcnt lgkmcnt(0)
	v_mul_f64 v[116:117], v[176:177], v[118:119]
	v_mul_f64 v[170:171], v[174:175], v[118:119]
	s_delay_alu instid0(VALU_DEP_2) | instskip(NEXT) | instid1(VALU_DEP_2)
	v_fma_f64 v[116:117], v[174:175], v[172:173], -v[116:117]
	v_fma_f64 v[170:171], v[176:177], v[172:173], v[170:171]
	ds_load_2addr_b64 v[174:177], v169 offset0:36 offset1:37
	v_add_f64 v[100:101], v[100:101], -v[116:117]
	v_add_f64 v[102:103], v[102:103], -v[170:171]
	s_waitcnt lgkmcnt(0)
	v_mul_f64 v[116:117], v[176:177], v[118:119]
	v_mul_f64 v[170:171], v[174:175], v[118:119]
	s_delay_alu instid0(VALU_DEP_2) | instskip(NEXT) | instid1(VALU_DEP_2)
	v_fma_f64 v[116:117], v[174:175], v[172:173], -v[116:117]
	v_fma_f64 v[170:171], v[176:177], v[172:173], v[170:171]
	ds_load_2addr_b64 v[174:177], v169 offset0:38 offset1:39
	v_add_f64 v[96:97], v[96:97], -v[116:117]
	v_add_f64 v[98:99], v[98:99], -v[170:171]
	s_waitcnt lgkmcnt(0)
	v_mul_f64 v[116:117], v[176:177], v[118:119]
	v_mul_f64 v[170:171], v[174:175], v[118:119]
	s_delay_alu instid0(VALU_DEP_2) | instskip(NEXT) | instid1(VALU_DEP_2)
	v_fma_f64 v[116:117], v[174:175], v[172:173], -v[116:117]
	v_fma_f64 v[170:171], v[176:177], v[172:173], v[170:171]
	ds_load_2addr_b64 v[174:177], v169 offset0:40 offset1:41
	v_add_f64 v[92:93], v[92:93], -v[116:117]
	v_add_f64 v[94:95], v[94:95], -v[170:171]
	s_waitcnt lgkmcnt(0)
	v_mul_f64 v[116:117], v[176:177], v[118:119]
	v_mul_f64 v[170:171], v[174:175], v[118:119]
	s_delay_alu instid0(VALU_DEP_2) | instskip(NEXT) | instid1(VALU_DEP_2)
	v_fma_f64 v[116:117], v[174:175], v[172:173], -v[116:117]
	v_fma_f64 v[170:171], v[176:177], v[172:173], v[170:171]
	ds_load_2addr_b64 v[174:177], v169 offset0:42 offset1:43
	v_add_f64 v[88:89], v[88:89], -v[116:117]
	v_add_f64 v[90:91], v[90:91], -v[170:171]
	s_waitcnt lgkmcnt(0)
	v_mul_f64 v[116:117], v[176:177], v[118:119]
	v_mul_f64 v[170:171], v[174:175], v[118:119]
	s_delay_alu instid0(VALU_DEP_2) | instskip(NEXT) | instid1(VALU_DEP_2)
	v_fma_f64 v[116:117], v[174:175], v[172:173], -v[116:117]
	v_fma_f64 v[170:171], v[176:177], v[172:173], v[170:171]
	ds_load_2addr_b64 v[174:177], v169 offset0:44 offset1:45
	v_add_f64 v[84:85], v[84:85], -v[116:117]
	v_add_f64 v[86:87], v[86:87], -v[170:171]
	s_waitcnt lgkmcnt(0)
	v_mul_f64 v[116:117], v[176:177], v[118:119]
	v_mul_f64 v[170:171], v[174:175], v[118:119]
	s_delay_alu instid0(VALU_DEP_2) | instskip(NEXT) | instid1(VALU_DEP_2)
	v_fma_f64 v[116:117], v[174:175], v[172:173], -v[116:117]
	v_fma_f64 v[170:171], v[176:177], v[172:173], v[170:171]
	ds_load_2addr_b64 v[174:177], v169 offset0:46 offset1:47
	v_add_f64 v[80:81], v[80:81], -v[116:117]
	v_add_f64 v[82:83], v[82:83], -v[170:171]
	s_waitcnt lgkmcnt(0)
	v_mul_f64 v[116:117], v[176:177], v[118:119]
	v_mul_f64 v[170:171], v[174:175], v[118:119]
	s_delay_alu instid0(VALU_DEP_2) | instskip(NEXT) | instid1(VALU_DEP_2)
	v_fma_f64 v[116:117], v[174:175], v[172:173], -v[116:117]
	v_fma_f64 v[170:171], v[176:177], v[172:173], v[170:171]
	ds_load_2addr_b64 v[174:177], v169 offset0:48 offset1:49
	v_add_f64 v[76:77], v[76:77], -v[116:117]
	v_add_f64 v[78:79], v[78:79], -v[170:171]
	s_waitcnt lgkmcnt(0)
	v_mul_f64 v[116:117], v[176:177], v[118:119]
	v_mul_f64 v[170:171], v[174:175], v[118:119]
	s_delay_alu instid0(VALU_DEP_2) | instskip(NEXT) | instid1(VALU_DEP_2)
	v_fma_f64 v[116:117], v[174:175], v[172:173], -v[116:117]
	v_fma_f64 v[170:171], v[176:177], v[172:173], v[170:171]
	ds_load_2addr_b64 v[174:177], v169 offset0:50 offset1:51
	v_add_f64 v[72:73], v[72:73], -v[116:117]
	v_add_f64 v[74:75], v[74:75], -v[170:171]
	s_waitcnt lgkmcnt(0)
	v_mul_f64 v[116:117], v[176:177], v[118:119]
	v_mul_f64 v[170:171], v[174:175], v[118:119]
	s_delay_alu instid0(VALU_DEP_2) | instskip(NEXT) | instid1(VALU_DEP_2)
	v_fma_f64 v[116:117], v[174:175], v[172:173], -v[116:117]
	v_fma_f64 v[170:171], v[176:177], v[172:173], v[170:171]
	ds_load_2addr_b64 v[174:177], v169 offset0:52 offset1:53
	v_add_f64 v[68:69], v[68:69], -v[116:117]
	v_add_f64 v[70:71], v[70:71], -v[170:171]
	s_waitcnt lgkmcnt(0)
	v_mul_f64 v[116:117], v[176:177], v[118:119]
	v_mul_f64 v[170:171], v[174:175], v[118:119]
	s_delay_alu instid0(VALU_DEP_2) | instskip(NEXT) | instid1(VALU_DEP_2)
	v_fma_f64 v[116:117], v[174:175], v[172:173], -v[116:117]
	v_fma_f64 v[170:171], v[176:177], v[172:173], v[170:171]
	ds_load_2addr_b64 v[174:177], v169 offset0:54 offset1:55
	v_add_f64 v[64:65], v[64:65], -v[116:117]
	v_add_f64 v[66:67], v[66:67], -v[170:171]
	s_waitcnt lgkmcnt(0)
	v_mul_f64 v[116:117], v[176:177], v[118:119]
	v_mul_f64 v[170:171], v[174:175], v[118:119]
	s_delay_alu instid0(VALU_DEP_2) | instskip(NEXT) | instid1(VALU_DEP_2)
	v_fma_f64 v[116:117], v[174:175], v[172:173], -v[116:117]
	v_fma_f64 v[170:171], v[176:177], v[172:173], v[170:171]
	ds_load_2addr_b64 v[174:177], v169 offset0:56 offset1:57
	v_add_f64 v[60:61], v[60:61], -v[116:117]
	v_add_f64 v[62:63], v[62:63], -v[170:171]
	s_waitcnt lgkmcnt(0)
	v_mul_f64 v[116:117], v[176:177], v[118:119]
	v_mul_f64 v[170:171], v[174:175], v[118:119]
	s_delay_alu instid0(VALU_DEP_2) | instskip(NEXT) | instid1(VALU_DEP_2)
	v_fma_f64 v[116:117], v[174:175], v[172:173], -v[116:117]
	v_fma_f64 v[170:171], v[176:177], v[172:173], v[170:171]
	ds_load_2addr_b64 v[174:177], v169 offset0:58 offset1:59
	v_add_f64 v[56:57], v[56:57], -v[116:117]
	v_add_f64 v[58:59], v[58:59], -v[170:171]
	s_waitcnt lgkmcnt(0)
	v_mul_f64 v[116:117], v[176:177], v[118:119]
	v_mul_f64 v[170:171], v[174:175], v[118:119]
	s_delay_alu instid0(VALU_DEP_2) | instskip(NEXT) | instid1(VALU_DEP_2)
	v_fma_f64 v[116:117], v[174:175], v[172:173], -v[116:117]
	v_fma_f64 v[170:171], v[176:177], v[172:173], v[170:171]
	ds_load_2addr_b64 v[174:177], v169 offset0:60 offset1:61
	v_add_f64 v[52:53], v[52:53], -v[116:117]
	v_add_f64 v[54:55], v[54:55], -v[170:171]
	s_waitcnt lgkmcnt(0)
	v_mul_f64 v[116:117], v[176:177], v[118:119]
	v_mul_f64 v[170:171], v[174:175], v[118:119]
	s_delay_alu instid0(VALU_DEP_2) | instskip(NEXT) | instid1(VALU_DEP_2)
	v_fma_f64 v[116:117], v[174:175], v[172:173], -v[116:117]
	v_fma_f64 v[170:171], v[176:177], v[172:173], v[170:171]
	ds_load_2addr_b64 v[174:177], v169 offset0:62 offset1:63
	v_add_f64 v[48:49], v[48:49], -v[116:117]
	v_add_f64 v[50:51], v[50:51], -v[170:171]
	s_waitcnt lgkmcnt(0)
	v_mul_f64 v[116:117], v[176:177], v[118:119]
	v_mul_f64 v[170:171], v[174:175], v[118:119]
	s_delay_alu instid0(VALU_DEP_2) | instskip(NEXT) | instid1(VALU_DEP_2)
	v_fma_f64 v[116:117], v[174:175], v[172:173], -v[116:117]
	v_fma_f64 v[170:171], v[176:177], v[172:173], v[170:171]
	ds_load_2addr_b64 v[174:177], v169 offset0:64 offset1:65
	v_add_f64 v[44:45], v[44:45], -v[116:117]
	v_add_f64 v[46:47], v[46:47], -v[170:171]
	s_waitcnt lgkmcnt(0)
	v_mul_f64 v[116:117], v[176:177], v[118:119]
	v_mul_f64 v[170:171], v[174:175], v[118:119]
	s_delay_alu instid0(VALU_DEP_2) | instskip(NEXT) | instid1(VALU_DEP_2)
	v_fma_f64 v[116:117], v[174:175], v[172:173], -v[116:117]
	v_fma_f64 v[170:171], v[176:177], v[172:173], v[170:171]
	ds_load_2addr_b64 v[174:177], v169 offset0:66 offset1:67
	v_add_f64 v[40:41], v[40:41], -v[116:117]
	v_add_f64 v[42:43], v[42:43], -v[170:171]
	s_waitcnt lgkmcnt(0)
	v_mul_f64 v[116:117], v[176:177], v[118:119]
	v_mul_f64 v[170:171], v[174:175], v[118:119]
	s_delay_alu instid0(VALU_DEP_2) | instskip(NEXT) | instid1(VALU_DEP_2)
	v_fma_f64 v[116:117], v[174:175], v[172:173], -v[116:117]
	v_fma_f64 v[170:171], v[176:177], v[172:173], v[170:171]
	ds_load_2addr_b64 v[174:177], v169 offset0:68 offset1:69
	v_add_f64 v[36:37], v[36:37], -v[116:117]
	v_add_f64 v[38:39], v[38:39], -v[170:171]
	s_waitcnt lgkmcnt(0)
	v_mul_f64 v[116:117], v[176:177], v[118:119]
	v_mul_f64 v[170:171], v[174:175], v[118:119]
	s_delay_alu instid0(VALU_DEP_2) | instskip(NEXT) | instid1(VALU_DEP_2)
	v_fma_f64 v[116:117], v[174:175], v[172:173], -v[116:117]
	v_fma_f64 v[170:171], v[176:177], v[172:173], v[170:171]
	ds_load_2addr_b64 v[174:177], v169 offset0:70 offset1:71
	v_add_f64 v[32:33], v[32:33], -v[116:117]
	v_add_f64 v[34:35], v[34:35], -v[170:171]
	s_waitcnt lgkmcnt(0)
	v_mul_f64 v[116:117], v[176:177], v[118:119]
	v_mul_f64 v[170:171], v[174:175], v[118:119]
	s_delay_alu instid0(VALU_DEP_2) | instskip(NEXT) | instid1(VALU_DEP_2)
	v_fma_f64 v[116:117], v[174:175], v[172:173], -v[116:117]
	v_fma_f64 v[170:171], v[176:177], v[172:173], v[170:171]
	ds_load_2addr_b64 v[174:177], v169 offset0:72 offset1:73
	v_add_f64 v[28:29], v[28:29], -v[116:117]
	v_add_f64 v[30:31], v[30:31], -v[170:171]
	s_waitcnt lgkmcnt(0)
	v_mul_f64 v[116:117], v[176:177], v[118:119]
	v_mul_f64 v[170:171], v[174:175], v[118:119]
	s_delay_alu instid0(VALU_DEP_2) | instskip(NEXT) | instid1(VALU_DEP_2)
	v_fma_f64 v[116:117], v[174:175], v[172:173], -v[116:117]
	v_fma_f64 v[170:171], v[176:177], v[172:173], v[170:171]
	ds_load_2addr_b64 v[174:177], v169 offset0:74 offset1:75
	v_add_f64 v[24:25], v[24:25], -v[116:117]
	v_add_f64 v[26:27], v[26:27], -v[170:171]
	s_waitcnt lgkmcnt(0)
	v_mul_f64 v[116:117], v[176:177], v[118:119]
	v_mul_f64 v[170:171], v[174:175], v[118:119]
	s_delay_alu instid0(VALU_DEP_2) | instskip(NEXT) | instid1(VALU_DEP_2)
	v_fma_f64 v[116:117], v[174:175], v[172:173], -v[116:117]
	v_fma_f64 v[170:171], v[176:177], v[172:173], v[170:171]
	ds_load_2addr_b64 v[174:177], v169 offset0:76 offset1:77
	v_add_f64 v[20:21], v[20:21], -v[116:117]
	v_add_f64 v[22:23], v[22:23], -v[170:171]
	s_waitcnt lgkmcnt(0)
	v_mul_f64 v[116:117], v[176:177], v[118:119]
	v_mul_f64 v[170:171], v[174:175], v[118:119]
	s_delay_alu instid0(VALU_DEP_2) | instskip(NEXT) | instid1(VALU_DEP_2)
	v_fma_f64 v[116:117], v[174:175], v[172:173], -v[116:117]
	v_fma_f64 v[170:171], v[176:177], v[172:173], v[170:171]
	ds_load_2addr_b64 v[174:177], v169 offset0:78 offset1:79
	v_add_f64 v[16:17], v[16:17], -v[116:117]
	v_add_f64 v[18:19], v[18:19], -v[170:171]
	s_waitcnt lgkmcnt(0)
	v_mul_f64 v[116:117], v[176:177], v[118:119]
	v_mul_f64 v[170:171], v[174:175], v[118:119]
	s_delay_alu instid0(VALU_DEP_2) | instskip(NEXT) | instid1(VALU_DEP_2)
	v_fma_f64 v[116:117], v[174:175], v[172:173], -v[116:117]
	v_fma_f64 v[170:171], v[176:177], v[172:173], v[170:171]
	ds_load_2addr_b64 v[174:177], v169 offset0:80 offset1:81
	v_add_f64 v[12:13], v[12:13], -v[116:117]
	v_add_f64 v[14:15], v[14:15], -v[170:171]
	s_waitcnt lgkmcnt(0)
	v_mul_f64 v[116:117], v[176:177], v[118:119]
	v_mul_f64 v[170:171], v[174:175], v[118:119]
	s_delay_alu instid0(VALU_DEP_2) | instskip(NEXT) | instid1(VALU_DEP_2)
	v_fma_f64 v[116:117], v[174:175], v[172:173], -v[116:117]
	v_fma_f64 v[170:171], v[176:177], v[172:173], v[170:171]
	ds_load_2addr_b64 v[174:177], v169 offset0:82 offset1:83
	v_add_f64 v[8:9], v[8:9], -v[116:117]
	v_add_f64 v[10:11], v[10:11], -v[170:171]
	s_waitcnt lgkmcnt(0)
	v_mul_f64 v[116:117], v[176:177], v[118:119]
	v_mul_f64 v[170:171], v[174:175], v[118:119]
	s_delay_alu instid0(VALU_DEP_2) | instskip(NEXT) | instid1(VALU_DEP_2)
	v_fma_f64 v[116:117], v[174:175], v[172:173], -v[116:117]
	v_fma_f64 v[170:171], v[176:177], v[172:173], v[170:171]
	ds_load_2addr_b64 v[174:177], v169 offset0:84 offset1:85
	v_add_f64 v[4:5], v[4:5], -v[116:117]
	v_add_f64 v[6:7], v[6:7], -v[170:171]
	s_waitcnt lgkmcnt(0)
	v_mul_f64 v[116:117], v[176:177], v[118:119]
	v_mul_f64 v[170:171], v[174:175], v[118:119]
	s_delay_alu instid0(VALU_DEP_2) | instskip(NEXT) | instid1(VALU_DEP_2)
	v_fma_f64 v[116:117], v[174:175], v[172:173], -v[116:117]
	v_fma_f64 v[170:171], v[176:177], v[172:173], v[170:171]
	s_delay_alu instid0(VALU_DEP_2) | instskip(NEXT) | instid1(VALU_DEP_2)
	v_add_f64 v[0:1], v[0:1], -v[116:117]
	v_add_f64 v[2:3], v[2:3], -v[170:171]
	v_dual_mov_b32 v116, v172 :: v_dual_mov_b32 v117, v173
.LBB85_127:
	s_or_b32 exec_lo, exec_lo, s3
	s_delay_alu instid0(SALU_CYCLE_1)
	s_mov_b32 s4, exec_lo
	s_waitcnt_vscnt null, 0x0
	s_barrier
	buffer_gl0_inv
	v_cmpx_eq_u32_e32 14, v252
	s_cbranch_execz .LBB85_134
; %bb.128:
	ds_store_2addr_b64 v168, v[112:113], v[114:115] offset1:1
	ds_store_2addr_b64 v169, v[108:109], v[110:111] offset0:30 offset1:31
	ds_store_2addr_b64 v169, v[104:105], v[106:107] offset0:32 offset1:33
	;; [unrolled: 1-line block ×28, first 2 shown]
	ds_load_2addr_b64 v[172:175], v168 offset1:1
	s_waitcnt lgkmcnt(0)
	v_cmp_neq_f64_e32 vcc_lo, 0, v[172:173]
	v_cmp_neq_f64_e64 s3, 0, v[174:175]
	s_delay_alu instid0(VALU_DEP_1) | instskip(NEXT) | instid1(SALU_CYCLE_1)
	s_or_b32 s3, vcc_lo, s3
	s_and_b32 exec_lo, exec_lo, s3
	s_cbranch_execz .LBB85_134
; %bb.129:
	v_cmp_gt_f64_e32 vcc_lo, 0, v[172:173]
	v_xor_b32_e32 v170, 0x80000000, v173
	v_xor_b32_e32 v176, 0x80000000, v175
	s_mov_b32 s3, exec_lo
                                        ; implicit-def: $vgpr180_vgpr181
	s_delay_alu instid0(VALU_DEP_2) | instskip(SKIP_1) | instid1(VALU_DEP_3)
	v_dual_cndmask_b32 v171, v173, v170 :: v_dual_cndmask_b32 v170, v172, v172
	v_cmp_gt_f64_e32 vcc_lo, 0, v[174:175]
	v_dual_cndmask_b32 v177, v175, v176 :: v_dual_cndmask_b32 v176, v174, v174
	s_delay_alu instid0(VALU_DEP_1)
	v_cmpx_ngt_f64_e32 v[170:171], v[176:177]
	s_xor_b32 s3, exec_lo, s3
                                        ; implicit-def: $vgpr176_vgpr177_vgpr178_vgpr179
	s_cbranch_execz .LBB85_131
; %bb.130:
	v_div_scale_f64 v[170:171], null, v[174:175], v[174:175], v[172:173]
	v_div_scale_f64 v[180:181], vcc_lo, v[172:173], v[174:175], v[172:173]
	s_delay_alu instid0(VALU_DEP_2) | instskip(SKIP_2) | instid1(VALU_DEP_1)
	v_rcp_f64_e32 v[176:177], v[170:171]
	s_waitcnt_depctr 0xfff
	v_fma_f64 v[178:179], -v[170:171], v[176:177], 1.0
	v_fma_f64 v[176:177], v[176:177], v[178:179], v[176:177]
	s_delay_alu instid0(VALU_DEP_1) | instskip(NEXT) | instid1(VALU_DEP_1)
	v_fma_f64 v[178:179], -v[170:171], v[176:177], 1.0
	v_fma_f64 v[176:177], v[176:177], v[178:179], v[176:177]
	s_delay_alu instid0(VALU_DEP_1) | instskip(NEXT) | instid1(VALU_DEP_1)
	v_mul_f64 v[178:179], v[180:181], v[176:177]
	v_fma_f64 v[170:171], -v[170:171], v[178:179], v[180:181]
	s_delay_alu instid0(VALU_DEP_1) | instskip(NEXT) | instid1(VALU_DEP_1)
	v_div_fmas_f64 v[170:171], v[170:171], v[176:177], v[178:179]
	v_div_fixup_f64 v[170:171], v[170:171], v[174:175], v[172:173]
	s_delay_alu instid0(VALU_DEP_1) | instskip(NEXT) | instid1(VALU_DEP_1)
	v_fma_f64 v[172:173], v[172:173], v[170:171], v[174:175]
	v_div_scale_f64 v[174:175], null, v[172:173], v[172:173], 1.0
	s_delay_alu instid0(VALU_DEP_1) | instskip(SKIP_2) | instid1(VALU_DEP_1)
	v_rcp_f64_e32 v[176:177], v[174:175]
	s_waitcnt_depctr 0xfff
	v_fma_f64 v[178:179], -v[174:175], v[176:177], 1.0
	v_fma_f64 v[176:177], v[176:177], v[178:179], v[176:177]
	s_delay_alu instid0(VALU_DEP_1) | instskip(NEXT) | instid1(VALU_DEP_1)
	v_fma_f64 v[178:179], -v[174:175], v[176:177], 1.0
	v_fma_f64 v[176:177], v[176:177], v[178:179], v[176:177]
	v_div_scale_f64 v[178:179], vcc_lo, 1.0, v[172:173], 1.0
	s_delay_alu instid0(VALU_DEP_1) | instskip(NEXT) | instid1(VALU_DEP_1)
	v_mul_f64 v[180:181], v[178:179], v[176:177]
	v_fma_f64 v[174:175], -v[174:175], v[180:181], v[178:179]
	s_delay_alu instid0(VALU_DEP_1) | instskip(NEXT) | instid1(VALU_DEP_1)
	v_div_fmas_f64 v[174:175], v[174:175], v[176:177], v[180:181]
	v_div_fixup_f64 v[178:179], v[174:175], v[172:173], 1.0
                                        ; implicit-def: $vgpr172_vgpr173
	s_delay_alu instid0(VALU_DEP_1)
	v_mul_f64 v[180:181], v[170:171], v[178:179]
	v_xor_b32_e32 v179, 0x80000000, v179
.LBB85_131:
	s_and_not1_saveexec_b32 s3, s3
	s_cbranch_execz .LBB85_133
; %bb.132:
	v_div_scale_f64 v[170:171], null, v[172:173], v[172:173], v[174:175]
	v_div_scale_f64 v[180:181], vcc_lo, v[174:175], v[172:173], v[174:175]
	s_delay_alu instid0(VALU_DEP_2) | instskip(SKIP_2) | instid1(VALU_DEP_1)
	v_rcp_f64_e32 v[176:177], v[170:171]
	s_waitcnt_depctr 0xfff
	v_fma_f64 v[178:179], -v[170:171], v[176:177], 1.0
	v_fma_f64 v[176:177], v[176:177], v[178:179], v[176:177]
	s_delay_alu instid0(VALU_DEP_1) | instskip(NEXT) | instid1(VALU_DEP_1)
	v_fma_f64 v[178:179], -v[170:171], v[176:177], 1.0
	v_fma_f64 v[176:177], v[176:177], v[178:179], v[176:177]
	s_delay_alu instid0(VALU_DEP_1) | instskip(NEXT) | instid1(VALU_DEP_1)
	v_mul_f64 v[178:179], v[180:181], v[176:177]
	v_fma_f64 v[170:171], -v[170:171], v[178:179], v[180:181]
	s_delay_alu instid0(VALU_DEP_1) | instskip(NEXT) | instid1(VALU_DEP_1)
	v_div_fmas_f64 v[170:171], v[170:171], v[176:177], v[178:179]
	v_div_fixup_f64 v[170:171], v[170:171], v[172:173], v[174:175]
	s_delay_alu instid0(VALU_DEP_1) | instskip(NEXT) | instid1(VALU_DEP_1)
	v_fma_f64 v[172:173], v[174:175], v[170:171], v[172:173]
	v_div_scale_f64 v[174:175], null, v[172:173], v[172:173], 1.0
	s_delay_alu instid0(VALU_DEP_1) | instskip(SKIP_2) | instid1(VALU_DEP_1)
	v_rcp_f64_e32 v[176:177], v[174:175]
	s_waitcnt_depctr 0xfff
	v_fma_f64 v[178:179], -v[174:175], v[176:177], 1.0
	v_fma_f64 v[176:177], v[176:177], v[178:179], v[176:177]
	s_delay_alu instid0(VALU_DEP_1) | instskip(NEXT) | instid1(VALU_DEP_1)
	v_fma_f64 v[178:179], -v[174:175], v[176:177], 1.0
	v_fma_f64 v[176:177], v[176:177], v[178:179], v[176:177]
	v_div_scale_f64 v[178:179], vcc_lo, 1.0, v[172:173], 1.0
	s_delay_alu instid0(VALU_DEP_1) | instskip(NEXT) | instid1(VALU_DEP_1)
	v_mul_f64 v[180:181], v[178:179], v[176:177]
	v_fma_f64 v[174:175], -v[174:175], v[180:181], v[178:179]
	s_delay_alu instid0(VALU_DEP_1) | instskip(NEXT) | instid1(VALU_DEP_1)
	v_div_fmas_f64 v[174:175], v[174:175], v[176:177], v[180:181]
	v_div_fixup_f64 v[180:181], v[174:175], v[172:173], 1.0
	s_delay_alu instid0(VALU_DEP_1)
	v_mul_f64 v[178:179], v[170:171], -v[180:181]
.LBB85_133:
	s_or_b32 exec_lo, exec_lo, s3
	ds_store_2addr_b64 v168, v[180:181], v[178:179] offset1:1
.LBB85_134:
	s_or_b32 exec_lo, exec_lo, s4
	s_waitcnt lgkmcnt(0)
	s_barrier
	buffer_gl0_inv
	ds_load_2addr_b64 v[170:173], v168 offset1:1
	s_mov_b32 s3, exec_lo
	s_waitcnt lgkmcnt(0)
	scratch_store_b128 off, v[170:173], off offset:584 ; 16-byte Folded Spill
	v_cmpx_lt_u32_e32 14, v252
	s_cbranch_execz .LBB85_136
; %bb.135:
	scratch_load_b128 v[174:177], off, off offset:584 ; 16-byte Folded Reload
	s_waitcnt vmcnt(0)
	v_mul_f64 v[170:171], v[176:177], v[114:115]
	v_mul_f64 v[114:115], v[174:175], v[114:115]
	s_delay_alu instid0(VALU_DEP_2) | instskip(NEXT) | instid1(VALU_DEP_2)
	v_fma_f64 v[172:173], v[174:175], v[112:113], -v[170:171]
	v_fma_f64 v[114:115], v[176:177], v[112:113], v[114:115]
	ds_load_2addr_b64 v[174:177], v169 offset0:30 offset1:31
	s_waitcnt lgkmcnt(0)
	v_mul_f64 v[112:113], v[176:177], v[114:115]
	v_mul_f64 v[170:171], v[174:175], v[114:115]
	s_delay_alu instid0(VALU_DEP_2) | instskip(NEXT) | instid1(VALU_DEP_2)
	v_fma_f64 v[112:113], v[174:175], v[172:173], -v[112:113]
	v_fma_f64 v[170:171], v[176:177], v[172:173], v[170:171]
	ds_load_2addr_b64 v[174:177], v169 offset0:32 offset1:33
	v_add_f64 v[108:109], v[108:109], -v[112:113]
	v_add_f64 v[110:111], v[110:111], -v[170:171]
	s_waitcnt lgkmcnt(0)
	v_mul_f64 v[112:113], v[176:177], v[114:115]
	v_mul_f64 v[170:171], v[174:175], v[114:115]
	s_delay_alu instid0(VALU_DEP_2) | instskip(NEXT) | instid1(VALU_DEP_2)
	v_fma_f64 v[112:113], v[174:175], v[172:173], -v[112:113]
	v_fma_f64 v[170:171], v[176:177], v[172:173], v[170:171]
	ds_load_2addr_b64 v[174:177], v169 offset0:34 offset1:35
	v_add_f64 v[104:105], v[104:105], -v[112:113]
	v_add_f64 v[106:107], v[106:107], -v[170:171]
	;; [unrolled: 9-line block ×27, first 2 shown]
	s_waitcnt lgkmcnt(0)
	v_mul_f64 v[112:113], v[176:177], v[114:115]
	v_mul_f64 v[170:171], v[174:175], v[114:115]
	s_delay_alu instid0(VALU_DEP_2) | instskip(NEXT) | instid1(VALU_DEP_2)
	v_fma_f64 v[112:113], v[174:175], v[172:173], -v[112:113]
	v_fma_f64 v[170:171], v[176:177], v[172:173], v[170:171]
	s_delay_alu instid0(VALU_DEP_2) | instskip(NEXT) | instid1(VALU_DEP_2)
	v_add_f64 v[0:1], v[0:1], -v[112:113]
	v_add_f64 v[2:3], v[2:3], -v[170:171]
	v_dual_mov_b32 v112, v172 :: v_dual_mov_b32 v113, v173
.LBB85_136:
	s_or_b32 exec_lo, exec_lo, s3
	s_delay_alu instid0(SALU_CYCLE_1)
	s_mov_b32 s4, exec_lo
	s_waitcnt_vscnt null, 0x0
	s_barrier
	buffer_gl0_inv
	v_cmpx_eq_u32_e32 15, v252
	s_cbranch_execz .LBB85_143
; %bb.137:
	ds_store_2addr_b64 v168, v[108:109], v[110:111] offset1:1
	ds_store_2addr_b64 v169, v[104:105], v[106:107] offset0:32 offset1:33
	ds_store_2addr_b64 v169, v[100:101], v[102:103] offset0:34 offset1:35
	;; [unrolled: 1-line block ×27, first 2 shown]
	ds_load_2addr_b64 v[172:175], v168 offset1:1
	s_waitcnt lgkmcnt(0)
	v_cmp_neq_f64_e32 vcc_lo, 0, v[172:173]
	v_cmp_neq_f64_e64 s3, 0, v[174:175]
	s_delay_alu instid0(VALU_DEP_1) | instskip(NEXT) | instid1(SALU_CYCLE_1)
	s_or_b32 s3, vcc_lo, s3
	s_and_b32 exec_lo, exec_lo, s3
	s_cbranch_execz .LBB85_143
; %bb.138:
	v_cmp_gt_f64_e32 vcc_lo, 0, v[172:173]
	v_xor_b32_e32 v170, 0x80000000, v173
	v_xor_b32_e32 v176, 0x80000000, v175
	s_mov_b32 s3, exec_lo
                                        ; implicit-def: $vgpr180_vgpr181
	s_delay_alu instid0(VALU_DEP_2) | instskip(SKIP_1) | instid1(VALU_DEP_3)
	v_dual_cndmask_b32 v171, v173, v170 :: v_dual_cndmask_b32 v170, v172, v172
	v_cmp_gt_f64_e32 vcc_lo, 0, v[174:175]
	v_dual_cndmask_b32 v177, v175, v176 :: v_dual_cndmask_b32 v176, v174, v174
	s_delay_alu instid0(VALU_DEP_1)
	v_cmpx_ngt_f64_e32 v[170:171], v[176:177]
	s_xor_b32 s3, exec_lo, s3
                                        ; implicit-def: $vgpr176_vgpr177_vgpr178_vgpr179
	s_cbranch_execz .LBB85_140
; %bb.139:
	v_div_scale_f64 v[170:171], null, v[174:175], v[174:175], v[172:173]
	v_div_scale_f64 v[180:181], vcc_lo, v[172:173], v[174:175], v[172:173]
	s_delay_alu instid0(VALU_DEP_2) | instskip(SKIP_2) | instid1(VALU_DEP_1)
	v_rcp_f64_e32 v[176:177], v[170:171]
	s_waitcnt_depctr 0xfff
	v_fma_f64 v[178:179], -v[170:171], v[176:177], 1.0
	v_fma_f64 v[176:177], v[176:177], v[178:179], v[176:177]
	s_delay_alu instid0(VALU_DEP_1) | instskip(NEXT) | instid1(VALU_DEP_1)
	v_fma_f64 v[178:179], -v[170:171], v[176:177], 1.0
	v_fma_f64 v[176:177], v[176:177], v[178:179], v[176:177]
	s_delay_alu instid0(VALU_DEP_1) | instskip(NEXT) | instid1(VALU_DEP_1)
	v_mul_f64 v[178:179], v[180:181], v[176:177]
	v_fma_f64 v[170:171], -v[170:171], v[178:179], v[180:181]
	s_delay_alu instid0(VALU_DEP_1) | instskip(NEXT) | instid1(VALU_DEP_1)
	v_div_fmas_f64 v[170:171], v[170:171], v[176:177], v[178:179]
	v_div_fixup_f64 v[170:171], v[170:171], v[174:175], v[172:173]
	s_delay_alu instid0(VALU_DEP_1) | instskip(NEXT) | instid1(VALU_DEP_1)
	v_fma_f64 v[172:173], v[172:173], v[170:171], v[174:175]
	v_div_scale_f64 v[174:175], null, v[172:173], v[172:173], 1.0
	s_delay_alu instid0(VALU_DEP_1) | instskip(SKIP_2) | instid1(VALU_DEP_1)
	v_rcp_f64_e32 v[176:177], v[174:175]
	s_waitcnt_depctr 0xfff
	v_fma_f64 v[178:179], -v[174:175], v[176:177], 1.0
	v_fma_f64 v[176:177], v[176:177], v[178:179], v[176:177]
	s_delay_alu instid0(VALU_DEP_1) | instskip(NEXT) | instid1(VALU_DEP_1)
	v_fma_f64 v[178:179], -v[174:175], v[176:177], 1.0
	v_fma_f64 v[176:177], v[176:177], v[178:179], v[176:177]
	v_div_scale_f64 v[178:179], vcc_lo, 1.0, v[172:173], 1.0
	s_delay_alu instid0(VALU_DEP_1) | instskip(NEXT) | instid1(VALU_DEP_1)
	v_mul_f64 v[180:181], v[178:179], v[176:177]
	v_fma_f64 v[174:175], -v[174:175], v[180:181], v[178:179]
	s_delay_alu instid0(VALU_DEP_1) | instskip(NEXT) | instid1(VALU_DEP_1)
	v_div_fmas_f64 v[174:175], v[174:175], v[176:177], v[180:181]
	v_div_fixup_f64 v[178:179], v[174:175], v[172:173], 1.0
                                        ; implicit-def: $vgpr172_vgpr173
	s_delay_alu instid0(VALU_DEP_1)
	v_mul_f64 v[180:181], v[170:171], v[178:179]
	v_xor_b32_e32 v179, 0x80000000, v179
.LBB85_140:
	s_and_not1_saveexec_b32 s3, s3
	s_cbranch_execz .LBB85_142
; %bb.141:
	v_div_scale_f64 v[170:171], null, v[172:173], v[172:173], v[174:175]
	v_div_scale_f64 v[180:181], vcc_lo, v[174:175], v[172:173], v[174:175]
	s_delay_alu instid0(VALU_DEP_2) | instskip(SKIP_2) | instid1(VALU_DEP_1)
	v_rcp_f64_e32 v[176:177], v[170:171]
	s_waitcnt_depctr 0xfff
	v_fma_f64 v[178:179], -v[170:171], v[176:177], 1.0
	v_fma_f64 v[176:177], v[176:177], v[178:179], v[176:177]
	s_delay_alu instid0(VALU_DEP_1) | instskip(NEXT) | instid1(VALU_DEP_1)
	v_fma_f64 v[178:179], -v[170:171], v[176:177], 1.0
	v_fma_f64 v[176:177], v[176:177], v[178:179], v[176:177]
	s_delay_alu instid0(VALU_DEP_1) | instskip(NEXT) | instid1(VALU_DEP_1)
	v_mul_f64 v[178:179], v[180:181], v[176:177]
	v_fma_f64 v[170:171], -v[170:171], v[178:179], v[180:181]
	s_delay_alu instid0(VALU_DEP_1) | instskip(NEXT) | instid1(VALU_DEP_1)
	v_div_fmas_f64 v[170:171], v[170:171], v[176:177], v[178:179]
	v_div_fixup_f64 v[170:171], v[170:171], v[172:173], v[174:175]
	s_delay_alu instid0(VALU_DEP_1) | instskip(NEXT) | instid1(VALU_DEP_1)
	v_fma_f64 v[172:173], v[174:175], v[170:171], v[172:173]
	v_div_scale_f64 v[174:175], null, v[172:173], v[172:173], 1.0
	s_delay_alu instid0(VALU_DEP_1) | instskip(SKIP_2) | instid1(VALU_DEP_1)
	v_rcp_f64_e32 v[176:177], v[174:175]
	s_waitcnt_depctr 0xfff
	v_fma_f64 v[178:179], -v[174:175], v[176:177], 1.0
	v_fma_f64 v[176:177], v[176:177], v[178:179], v[176:177]
	s_delay_alu instid0(VALU_DEP_1) | instskip(NEXT) | instid1(VALU_DEP_1)
	v_fma_f64 v[178:179], -v[174:175], v[176:177], 1.0
	v_fma_f64 v[176:177], v[176:177], v[178:179], v[176:177]
	v_div_scale_f64 v[178:179], vcc_lo, 1.0, v[172:173], 1.0
	s_delay_alu instid0(VALU_DEP_1) | instskip(NEXT) | instid1(VALU_DEP_1)
	v_mul_f64 v[180:181], v[178:179], v[176:177]
	v_fma_f64 v[174:175], -v[174:175], v[180:181], v[178:179]
	s_delay_alu instid0(VALU_DEP_1) | instskip(NEXT) | instid1(VALU_DEP_1)
	v_div_fmas_f64 v[174:175], v[174:175], v[176:177], v[180:181]
	v_div_fixup_f64 v[180:181], v[174:175], v[172:173], 1.0
	s_delay_alu instid0(VALU_DEP_1)
	v_mul_f64 v[178:179], v[170:171], -v[180:181]
.LBB85_142:
	s_or_b32 exec_lo, exec_lo, s3
	ds_store_2addr_b64 v168, v[180:181], v[178:179] offset1:1
.LBB85_143:
	s_or_b32 exec_lo, exec_lo, s4
	s_waitcnt lgkmcnt(0)
	s_barrier
	buffer_gl0_inv
	ds_load_2addr_b64 v[170:173], v168 offset1:1
	s_mov_b32 s3, exec_lo
	s_waitcnt lgkmcnt(0)
	scratch_store_b128 off, v[170:173], off offset:600 ; 16-byte Folded Spill
	v_cmpx_lt_u32_e32 15, v252
	s_cbranch_execz .LBB85_145
; %bb.144:
	scratch_load_b128 v[174:177], off, off offset:600 ; 16-byte Folded Reload
	s_waitcnt vmcnt(0)
	v_mul_f64 v[170:171], v[176:177], v[110:111]
	v_mul_f64 v[110:111], v[174:175], v[110:111]
	s_delay_alu instid0(VALU_DEP_2) | instskip(NEXT) | instid1(VALU_DEP_2)
	v_fma_f64 v[172:173], v[174:175], v[108:109], -v[170:171]
	v_fma_f64 v[110:111], v[176:177], v[108:109], v[110:111]
	ds_load_2addr_b64 v[174:177], v169 offset0:32 offset1:33
	s_waitcnt lgkmcnt(0)
	v_mul_f64 v[108:109], v[176:177], v[110:111]
	v_mul_f64 v[170:171], v[174:175], v[110:111]
	s_delay_alu instid0(VALU_DEP_2) | instskip(NEXT) | instid1(VALU_DEP_2)
	v_fma_f64 v[108:109], v[174:175], v[172:173], -v[108:109]
	v_fma_f64 v[170:171], v[176:177], v[172:173], v[170:171]
	ds_load_2addr_b64 v[174:177], v169 offset0:34 offset1:35
	v_add_f64 v[104:105], v[104:105], -v[108:109]
	v_add_f64 v[106:107], v[106:107], -v[170:171]
	s_waitcnt lgkmcnt(0)
	v_mul_f64 v[108:109], v[176:177], v[110:111]
	v_mul_f64 v[170:171], v[174:175], v[110:111]
	s_delay_alu instid0(VALU_DEP_2) | instskip(NEXT) | instid1(VALU_DEP_2)
	v_fma_f64 v[108:109], v[174:175], v[172:173], -v[108:109]
	v_fma_f64 v[170:171], v[176:177], v[172:173], v[170:171]
	ds_load_2addr_b64 v[174:177], v169 offset0:36 offset1:37
	v_add_f64 v[100:101], v[100:101], -v[108:109]
	v_add_f64 v[102:103], v[102:103], -v[170:171]
	;; [unrolled: 9-line block ×26, first 2 shown]
	s_waitcnt lgkmcnt(0)
	v_mul_f64 v[108:109], v[176:177], v[110:111]
	v_mul_f64 v[170:171], v[174:175], v[110:111]
	s_delay_alu instid0(VALU_DEP_2) | instskip(NEXT) | instid1(VALU_DEP_2)
	v_fma_f64 v[108:109], v[174:175], v[172:173], -v[108:109]
	v_fma_f64 v[170:171], v[176:177], v[172:173], v[170:171]
	s_delay_alu instid0(VALU_DEP_2) | instskip(NEXT) | instid1(VALU_DEP_2)
	v_add_f64 v[0:1], v[0:1], -v[108:109]
	v_add_f64 v[2:3], v[2:3], -v[170:171]
	v_dual_mov_b32 v108, v172 :: v_dual_mov_b32 v109, v173
.LBB85_145:
	s_or_b32 exec_lo, exec_lo, s3
	s_delay_alu instid0(SALU_CYCLE_1)
	s_mov_b32 s4, exec_lo
	s_waitcnt_vscnt null, 0x0
	s_barrier
	buffer_gl0_inv
	v_cmpx_eq_u32_e32 16, v252
	s_cbranch_execz .LBB85_152
; %bb.146:
	ds_store_2addr_b64 v168, v[104:105], v[106:107] offset1:1
	ds_store_2addr_b64 v169, v[100:101], v[102:103] offset0:34 offset1:35
	ds_store_2addr_b64 v169, v[96:97], v[98:99] offset0:36 offset1:37
	;; [unrolled: 1-line block ×26, first 2 shown]
	ds_load_2addr_b64 v[172:175], v168 offset1:1
	s_waitcnt lgkmcnt(0)
	v_cmp_neq_f64_e32 vcc_lo, 0, v[172:173]
	v_cmp_neq_f64_e64 s3, 0, v[174:175]
	s_delay_alu instid0(VALU_DEP_1) | instskip(NEXT) | instid1(SALU_CYCLE_1)
	s_or_b32 s3, vcc_lo, s3
	s_and_b32 exec_lo, exec_lo, s3
	s_cbranch_execz .LBB85_152
; %bb.147:
	v_cmp_gt_f64_e32 vcc_lo, 0, v[172:173]
	v_xor_b32_e32 v170, 0x80000000, v173
	v_xor_b32_e32 v176, 0x80000000, v175
	s_mov_b32 s3, exec_lo
                                        ; implicit-def: $vgpr180_vgpr181
	s_delay_alu instid0(VALU_DEP_2) | instskip(SKIP_1) | instid1(VALU_DEP_3)
	v_dual_cndmask_b32 v171, v173, v170 :: v_dual_cndmask_b32 v170, v172, v172
	v_cmp_gt_f64_e32 vcc_lo, 0, v[174:175]
	v_dual_cndmask_b32 v177, v175, v176 :: v_dual_cndmask_b32 v176, v174, v174
	s_delay_alu instid0(VALU_DEP_1)
	v_cmpx_ngt_f64_e32 v[170:171], v[176:177]
	s_xor_b32 s3, exec_lo, s3
                                        ; implicit-def: $vgpr176_vgpr177_vgpr178_vgpr179
	s_cbranch_execz .LBB85_149
; %bb.148:
	v_div_scale_f64 v[170:171], null, v[174:175], v[174:175], v[172:173]
	v_div_scale_f64 v[180:181], vcc_lo, v[172:173], v[174:175], v[172:173]
	s_delay_alu instid0(VALU_DEP_2) | instskip(SKIP_2) | instid1(VALU_DEP_1)
	v_rcp_f64_e32 v[176:177], v[170:171]
	s_waitcnt_depctr 0xfff
	v_fma_f64 v[178:179], -v[170:171], v[176:177], 1.0
	v_fma_f64 v[176:177], v[176:177], v[178:179], v[176:177]
	s_delay_alu instid0(VALU_DEP_1) | instskip(NEXT) | instid1(VALU_DEP_1)
	v_fma_f64 v[178:179], -v[170:171], v[176:177], 1.0
	v_fma_f64 v[176:177], v[176:177], v[178:179], v[176:177]
	s_delay_alu instid0(VALU_DEP_1) | instskip(NEXT) | instid1(VALU_DEP_1)
	v_mul_f64 v[178:179], v[180:181], v[176:177]
	v_fma_f64 v[170:171], -v[170:171], v[178:179], v[180:181]
	s_delay_alu instid0(VALU_DEP_1) | instskip(NEXT) | instid1(VALU_DEP_1)
	v_div_fmas_f64 v[170:171], v[170:171], v[176:177], v[178:179]
	v_div_fixup_f64 v[170:171], v[170:171], v[174:175], v[172:173]
	s_delay_alu instid0(VALU_DEP_1) | instskip(NEXT) | instid1(VALU_DEP_1)
	v_fma_f64 v[172:173], v[172:173], v[170:171], v[174:175]
	v_div_scale_f64 v[174:175], null, v[172:173], v[172:173], 1.0
	s_delay_alu instid0(VALU_DEP_1) | instskip(SKIP_2) | instid1(VALU_DEP_1)
	v_rcp_f64_e32 v[176:177], v[174:175]
	s_waitcnt_depctr 0xfff
	v_fma_f64 v[178:179], -v[174:175], v[176:177], 1.0
	v_fma_f64 v[176:177], v[176:177], v[178:179], v[176:177]
	s_delay_alu instid0(VALU_DEP_1) | instskip(NEXT) | instid1(VALU_DEP_1)
	v_fma_f64 v[178:179], -v[174:175], v[176:177], 1.0
	v_fma_f64 v[176:177], v[176:177], v[178:179], v[176:177]
	v_div_scale_f64 v[178:179], vcc_lo, 1.0, v[172:173], 1.0
	s_delay_alu instid0(VALU_DEP_1) | instskip(NEXT) | instid1(VALU_DEP_1)
	v_mul_f64 v[180:181], v[178:179], v[176:177]
	v_fma_f64 v[174:175], -v[174:175], v[180:181], v[178:179]
	s_delay_alu instid0(VALU_DEP_1) | instskip(NEXT) | instid1(VALU_DEP_1)
	v_div_fmas_f64 v[174:175], v[174:175], v[176:177], v[180:181]
	v_div_fixup_f64 v[178:179], v[174:175], v[172:173], 1.0
                                        ; implicit-def: $vgpr172_vgpr173
	s_delay_alu instid0(VALU_DEP_1)
	v_mul_f64 v[180:181], v[170:171], v[178:179]
	v_xor_b32_e32 v179, 0x80000000, v179
.LBB85_149:
	s_and_not1_saveexec_b32 s3, s3
	s_cbranch_execz .LBB85_151
; %bb.150:
	v_div_scale_f64 v[170:171], null, v[172:173], v[172:173], v[174:175]
	v_div_scale_f64 v[180:181], vcc_lo, v[174:175], v[172:173], v[174:175]
	s_delay_alu instid0(VALU_DEP_2) | instskip(SKIP_2) | instid1(VALU_DEP_1)
	v_rcp_f64_e32 v[176:177], v[170:171]
	s_waitcnt_depctr 0xfff
	v_fma_f64 v[178:179], -v[170:171], v[176:177], 1.0
	v_fma_f64 v[176:177], v[176:177], v[178:179], v[176:177]
	s_delay_alu instid0(VALU_DEP_1) | instskip(NEXT) | instid1(VALU_DEP_1)
	v_fma_f64 v[178:179], -v[170:171], v[176:177], 1.0
	v_fma_f64 v[176:177], v[176:177], v[178:179], v[176:177]
	s_delay_alu instid0(VALU_DEP_1) | instskip(NEXT) | instid1(VALU_DEP_1)
	v_mul_f64 v[178:179], v[180:181], v[176:177]
	v_fma_f64 v[170:171], -v[170:171], v[178:179], v[180:181]
	s_delay_alu instid0(VALU_DEP_1) | instskip(NEXT) | instid1(VALU_DEP_1)
	v_div_fmas_f64 v[170:171], v[170:171], v[176:177], v[178:179]
	v_div_fixup_f64 v[170:171], v[170:171], v[172:173], v[174:175]
	s_delay_alu instid0(VALU_DEP_1) | instskip(NEXT) | instid1(VALU_DEP_1)
	v_fma_f64 v[172:173], v[174:175], v[170:171], v[172:173]
	v_div_scale_f64 v[174:175], null, v[172:173], v[172:173], 1.0
	s_delay_alu instid0(VALU_DEP_1) | instskip(SKIP_2) | instid1(VALU_DEP_1)
	v_rcp_f64_e32 v[176:177], v[174:175]
	s_waitcnt_depctr 0xfff
	v_fma_f64 v[178:179], -v[174:175], v[176:177], 1.0
	v_fma_f64 v[176:177], v[176:177], v[178:179], v[176:177]
	s_delay_alu instid0(VALU_DEP_1) | instskip(NEXT) | instid1(VALU_DEP_1)
	v_fma_f64 v[178:179], -v[174:175], v[176:177], 1.0
	v_fma_f64 v[176:177], v[176:177], v[178:179], v[176:177]
	v_div_scale_f64 v[178:179], vcc_lo, 1.0, v[172:173], 1.0
	s_delay_alu instid0(VALU_DEP_1) | instskip(NEXT) | instid1(VALU_DEP_1)
	v_mul_f64 v[180:181], v[178:179], v[176:177]
	v_fma_f64 v[174:175], -v[174:175], v[180:181], v[178:179]
	s_delay_alu instid0(VALU_DEP_1) | instskip(NEXT) | instid1(VALU_DEP_1)
	v_div_fmas_f64 v[174:175], v[174:175], v[176:177], v[180:181]
	v_div_fixup_f64 v[180:181], v[174:175], v[172:173], 1.0
	s_delay_alu instid0(VALU_DEP_1)
	v_mul_f64 v[178:179], v[170:171], -v[180:181]
.LBB85_151:
	s_or_b32 exec_lo, exec_lo, s3
	ds_store_2addr_b64 v168, v[180:181], v[178:179] offset1:1
.LBB85_152:
	s_or_b32 exec_lo, exec_lo, s4
	s_waitcnt lgkmcnt(0)
	s_barrier
	buffer_gl0_inv
	ds_load_2addr_b64 v[170:173], v168 offset1:1
	s_mov_b32 s3, exec_lo
	s_waitcnt lgkmcnt(0)
	scratch_store_b128 off, v[170:173], off offset:616 ; 16-byte Folded Spill
	v_cmpx_lt_u32_e32 16, v252
	s_cbranch_execz .LBB85_154
; %bb.153:
	scratch_load_b128 v[174:177], off, off offset:616 ; 16-byte Folded Reload
	s_waitcnt vmcnt(0)
	v_mul_f64 v[170:171], v[176:177], v[106:107]
	v_mul_f64 v[106:107], v[174:175], v[106:107]
	s_delay_alu instid0(VALU_DEP_2) | instskip(NEXT) | instid1(VALU_DEP_2)
	v_fma_f64 v[172:173], v[174:175], v[104:105], -v[170:171]
	v_fma_f64 v[106:107], v[176:177], v[104:105], v[106:107]
	ds_load_2addr_b64 v[174:177], v169 offset0:34 offset1:35
	s_waitcnt lgkmcnt(0)
	v_mul_f64 v[104:105], v[176:177], v[106:107]
	v_mul_f64 v[170:171], v[174:175], v[106:107]
	s_delay_alu instid0(VALU_DEP_2) | instskip(NEXT) | instid1(VALU_DEP_2)
	v_fma_f64 v[104:105], v[174:175], v[172:173], -v[104:105]
	v_fma_f64 v[170:171], v[176:177], v[172:173], v[170:171]
	ds_load_2addr_b64 v[174:177], v169 offset0:36 offset1:37
	v_add_f64 v[100:101], v[100:101], -v[104:105]
	v_add_f64 v[102:103], v[102:103], -v[170:171]
	s_waitcnt lgkmcnt(0)
	v_mul_f64 v[104:105], v[176:177], v[106:107]
	v_mul_f64 v[170:171], v[174:175], v[106:107]
	s_delay_alu instid0(VALU_DEP_2) | instskip(NEXT) | instid1(VALU_DEP_2)
	v_fma_f64 v[104:105], v[174:175], v[172:173], -v[104:105]
	v_fma_f64 v[170:171], v[176:177], v[172:173], v[170:171]
	ds_load_2addr_b64 v[174:177], v169 offset0:38 offset1:39
	v_add_f64 v[96:97], v[96:97], -v[104:105]
	v_add_f64 v[98:99], v[98:99], -v[170:171]
	;; [unrolled: 9-line block ×25, first 2 shown]
	s_waitcnt lgkmcnt(0)
	v_mul_f64 v[104:105], v[176:177], v[106:107]
	v_mul_f64 v[170:171], v[174:175], v[106:107]
	s_delay_alu instid0(VALU_DEP_2) | instskip(NEXT) | instid1(VALU_DEP_2)
	v_fma_f64 v[104:105], v[174:175], v[172:173], -v[104:105]
	v_fma_f64 v[170:171], v[176:177], v[172:173], v[170:171]
	s_delay_alu instid0(VALU_DEP_2) | instskip(NEXT) | instid1(VALU_DEP_2)
	v_add_f64 v[0:1], v[0:1], -v[104:105]
	v_add_f64 v[2:3], v[2:3], -v[170:171]
	v_dual_mov_b32 v104, v172 :: v_dual_mov_b32 v105, v173
.LBB85_154:
	s_or_b32 exec_lo, exec_lo, s3
	s_delay_alu instid0(SALU_CYCLE_1)
	s_mov_b32 s4, exec_lo
	s_waitcnt_vscnt null, 0x0
	s_barrier
	buffer_gl0_inv
	v_cmpx_eq_u32_e32 17, v252
	s_cbranch_execz .LBB85_161
; %bb.155:
	ds_store_2addr_b64 v168, v[100:101], v[102:103] offset1:1
	ds_store_2addr_b64 v169, v[96:97], v[98:99] offset0:36 offset1:37
	ds_store_2addr_b64 v169, v[92:93], v[94:95] offset0:38 offset1:39
	;; [unrolled: 1-line block ×25, first 2 shown]
	ds_load_2addr_b64 v[172:175], v168 offset1:1
	s_waitcnt lgkmcnt(0)
	v_cmp_neq_f64_e32 vcc_lo, 0, v[172:173]
	v_cmp_neq_f64_e64 s3, 0, v[174:175]
	s_delay_alu instid0(VALU_DEP_1) | instskip(NEXT) | instid1(SALU_CYCLE_1)
	s_or_b32 s3, vcc_lo, s3
	s_and_b32 exec_lo, exec_lo, s3
	s_cbranch_execz .LBB85_161
; %bb.156:
	v_cmp_gt_f64_e32 vcc_lo, 0, v[172:173]
	v_xor_b32_e32 v170, 0x80000000, v173
	v_xor_b32_e32 v176, 0x80000000, v175
	s_mov_b32 s3, exec_lo
                                        ; implicit-def: $vgpr180_vgpr181
	s_delay_alu instid0(VALU_DEP_2) | instskip(SKIP_1) | instid1(VALU_DEP_3)
	v_dual_cndmask_b32 v171, v173, v170 :: v_dual_cndmask_b32 v170, v172, v172
	v_cmp_gt_f64_e32 vcc_lo, 0, v[174:175]
	v_dual_cndmask_b32 v177, v175, v176 :: v_dual_cndmask_b32 v176, v174, v174
	s_delay_alu instid0(VALU_DEP_1)
	v_cmpx_ngt_f64_e32 v[170:171], v[176:177]
	s_xor_b32 s3, exec_lo, s3
                                        ; implicit-def: $vgpr176_vgpr177_vgpr178_vgpr179
	s_cbranch_execz .LBB85_158
; %bb.157:
	v_div_scale_f64 v[170:171], null, v[174:175], v[174:175], v[172:173]
	v_div_scale_f64 v[180:181], vcc_lo, v[172:173], v[174:175], v[172:173]
	s_delay_alu instid0(VALU_DEP_2) | instskip(SKIP_2) | instid1(VALU_DEP_1)
	v_rcp_f64_e32 v[176:177], v[170:171]
	s_waitcnt_depctr 0xfff
	v_fma_f64 v[178:179], -v[170:171], v[176:177], 1.0
	v_fma_f64 v[176:177], v[176:177], v[178:179], v[176:177]
	s_delay_alu instid0(VALU_DEP_1) | instskip(NEXT) | instid1(VALU_DEP_1)
	v_fma_f64 v[178:179], -v[170:171], v[176:177], 1.0
	v_fma_f64 v[176:177], v[176:177], v[178:179], v[176:177]
	s_delay_alu instid0(VALU_DEP_1) | instskip(NEXT) | instid1(VALU_DEP_1)
	v_mul_f64 v[178:179], v[180:181], v[176:177]
	v_fma_f64 v[170:171], -v[170:171], v[178:179], v[180:181]
	s_delay_alu instid0(VALU_DEP_1) | instskip(NEXT) | instid1(VALU_DEP_1)
	v_div_fmas_f64 v[170:171], v[170:171], v[176:177], v[178:179]
	v_div_fixup_f64 v[170:171], v[170:171], v[174:175], v[172:173]
	s_delay_alu instid0(VALU_DEP_1) | instskip(NEXT) | instid1(VALU_DEP_1)
	v_fma_f64 v[172:173], v[172:173], v[170:171], v[174:175]
	v_div_scale_f64 v[174:175], null, v[172:173], v[172:173], 1.0
	s_delay_alu instid0(VALU_DEP_1) | instskip(SKIP_2) | instid1(VALU_DEP_1)
	v_rcp_f64_e32 v[176:177], v[174:175]
	s_waitcnt_depctr 0xfff
	v_fma_f64 v[178:179], -v[174:175], v[176:177], 1.0
	v_fma_f64 v[176:177], v[176:177], v[178:179], v[176:177]
	s_delay_alu instid0(VALU_DEP_1) | instskip(NEXT) | instid1(VALU_DEP_1)
	v_fma_f64 v[178:179], -v[174:175], v[176:177], 1.0
	v_fma_f64 v[176:177], v[176:177], v[178:179], v[176:177]
	v_div_scale_f64 v[178:179], vcc_lo, 1.0, v[172:173], 1.0
	s_delay_alu instid0(VALU_DEP_1) | instskip(NEXT) | instid1(VALU_DEP_1)
	v_mul_f64 v[180:181], v[178:179], v[176:177]
	v_fma_f64 v[174:175], -v[174:175], v[180:181], v[178:179]
	s_delay_alu instid0(VALU_DEP_1) | instskip(NEXT) | instid1(VALU_DEP_1)
	v_div_fmas_f64 v[174:175], v[174:175], v[176:177], v[180:181]
	v_div_fixup_f64 v[178:179], v[174:175], v[172:173], 1.0
                                        ; implicit-def: $vgpr172_vgpr173
	s_delay_alu instid0(VALU_DEP_1)
	v_mul_f64 v[180:181], v[170:171], v[178:179]
	v_xor_b32_e32 v179, 0x80000000, v179
.LBB85_158:
	s_and_not1_saveexec_b32 s3, s3
	s_cbranch_execz .LBB85_160
; %bb.159:
	v_div_scale_f64 v[170:171], null, v[172:173], v[172:173], v[174:175]
	v_div_scale_f64 v[180:181], vcc_lo, v[174:175], v[172:173], v[174:175]
	s_delay_alu instid0(VALU_DEP_2) | instskip(SKIP_2) | instid1(VALU_DEP_1)
	v_rcp_f64_e32 v[176:177], v[170:171]
	s_waitcnt_depctr 0xfff
	v_fma_f64 v[178:179], -v[170:171], v[176:177], 1.0
	v_fma_f64 v[176:177], v[176:177], v[178:179], v[176:177]
	s_delay_alu instid0(VALU_DEP_1) | instskip(NEXT) | instid1(VALU_DEP_1)
	v_fma_f64 v[178:179], -v[170:171], v[176:177], 1.0
	v_fma_f64 v[176:177], v[176:177], v[178:179], v[176:177]
	s_delay_alu instid0(VALU_DEP_1) | instskip(NEXT) | instid1(VALU_DEP_1)
	v_mul_f64 v[178:179], v[180:181], v[176:177]
	v_fma_f64 v[170:171], -v[170:171], v[178:179], v[180:181]
	s_delay_alu instid0(VALU_DEP_1) | instskip(NEXT) | instid1(VALU_DEP_1)
	v_div_fmas_f64 v[170:171], v[170:171], v[176:177], v[178:179]
	v_div_fixup_f64 v[170:171], v[170:171], v[172:173], v[174:175]
	s_delay_alu instid0(VALU_DEP_1) | instskip(NEXT) | instid1(VALU_DEP_1)
	v_fma_f64 v[172:173], v[174:175], v[170:171], v[172:173]
	v_div_scale_f64 v[174:175], null, v[172:173], v[172:173], 1.0
	s_delay_alu instid0(VALU_DEP_1) | instskip(SKIP_2) | instid1(VALU_DEP_1)
	v_rcp_f64_e32 v[176:177], v[174:175]
	s_waitcnt_depctr 0xfff
	v_fma_f64 v[178:179], -v[174:175], v[176:177], 1.0
	v_fma_f64 v[176:177], v[176:177], v[178:179], v[176:177]
	s_delay_alu instid0(VALU_DEP_1) | instskip(NEXT) | instid1(VALU_DEP_1)
	v_fma_f64 v[178:179], -v[174:175], v[176:177], 1.0
	v_fma_f64 v[176:177], v[176:177], v[178:179], v[176:177]
	v_div_scale_f64 v[178:179], vcc_lo, 1.0, v[172:173], 1.0
	s_delay_alu instid0(VALU_DEP_1) | instskip(NEXT) | instid1(VALU_DEP_1)
	v_mul_f64 v[180:181], v[178:179], v[176:177]
	v_fma_f64 v[174:175], -v[174:175], v[180:181], v[178:179]
	s_delay_alu instid0(VALU_DEP_1) | instskip(NEXT) | instid1(VALU_DEP_1)
	v_div_fmas_f64 v[174:175], v[174:175], v[176:177], v[180:181]
	v_div_fixup_f64 v[180:181], v[174:175], v[172:173], 1.0
	s_delay_alu instid0(VALU_DEP_1)
	v_mul_f64 v[178:179], v[170:171], -v[180:181]
.LBB85_160:
	s_or_b32 exec_lo, exec_lo, s3
	ds_store_2addr_b64 v168, v[180:181], v[178:179] offset1:1
.LBB85_161:
	s_or_b32 exec_lo, exec_lo, s4
	s_waitcnt lgkmcnt(0)
	s_barrier
	buffer_gl0_inv
	ds_load_2addr_b64 v[170:173], v168 offset1:1
	s_mov_b32 s3, exec_lo
	s_waitcnt lgkmcnt(0)
	scratch_store_b128 off, v[170:173], off offset:632 ; 16-byte Folded Spill
	v_cmpx_lt_u32_e32 17, v252
	s_cbranch_execz .LBB85_163
; %bb.162:
	scratch_load_b128 v[174:177], off, off offset:632 ; 16-byte Folded Reload
	s_waitcnt vmcnt(0)
	v_mul_f64 v[170:171], v[176:177], v[102:103]
	v_mul_f64 v[102:103], v[174:175], v[102:103]
	s_delay_alu instid0(VALU_DEP_2) | instskip(NEXT) | instid1(VALU_DEP_2)
	v_fma_f64 v[172:173], v[174:175], v[100:101], -v[170:171]
	v_fma_f64 v[102:103], v[176:177], v[100:101], v[102:103]
	ds_load_2addr_b64 v[174:177], v169 offset0:36 offset1:37
	s_waitcnt lgkmcnt(0)
	v_mul_f64 v[100:101], v[176:177], v[102:103]
	v_mul_f64 v[170:171], v[174:175], v[102:103]
	s_delay_alu instid0(VALU_DEP_2) | instskip(NEXT) | instid1(VALU_DEP_2)
	v_fma_f64 v[100:101], v[174:175], v[172:173], -v[100:101]
	v_fma_f64 v[170:171], v[176:177], v[172:173], v[170:171]
	ds_load_2addr_b64 v[174:177], v169 offset0:38 offset1:39
	v_add_f64 v[96:97], v[96:97], -v[100:101]
	v_add_f64 v[98:99], v[98:99], -v[170:171]
	s_waitcnt lgkmcnt(0)
	v_mul_f64 v[100:101], v[176:177], v[102:103]
	v_mul_f64 v[170:171], v[174:175], v[102:103]
	s_delay_alu instid0(VALU_DEP_2) | instskip(NEXT) | instid1(VALU_DEP_2)
	v_fma_f64 v[100:101], v[174:175], v[172:173], -v[100:101]
	v_fma_f64 v[170:171], v[176:177], v[172:173], v[170:171]
	ds_load_2addr_b64 v[174:177], v169 offset0:40 offset1:41
	v_add_f64 v[92:93], v[92:93], -v[100:101]
	v_add_f64 v[94:95], v[94:95], -v[170:171]
	;; [unrolled: 9-line block ×24, first 2 shown]
	s_waitcnt lgkmcnt(0)
	v_mul_f64 v[100:101], v[176:177], v[102:103]
	v_mul_f64 v[170:171], v[174:175], v[102:103]
	s_delay_alu instid0(VALU_DEP_2) | instskip(NEXT) | instid1(VALU_DEP_2)
	v_fma_f64 v[100:101], v[174:175], v[172:173], -v[100:101]
	v_fma_f64 v[170:171], v[176:177], v[172:173], v[170:171]
	s_delay_alu instid0(VALU_DEP_2) | instskip(NEXT) | instid1(VALU_DEP_2)
	v_add_f64 v[0:1], v[0:1], -v[100:101]
	v_add_f64 v[2:3], v[2:3], -v[170:171]
	v_dual_mov_b32 v100, v172 :: v_dual_mov_b32 v101, v173
.LBB85_163:
	s_or_b32 exec_lo, exec_lo, s3
	s_delay_alu instid0(SALU_CYCLE_1)
	s_mov_b32 s4, exec_lo
	s_waitcnt_vscnt null, 0x0
	s_barrier
	buffer_gl0_inv
	v_cmpx_eq_u32_e32 18, v252
	s_cbranch_execz .LBB85_170
; %bb.164:
	ds_store_2addr_b64 v168, v[96:97], v[98:99] offset1:1
	ds_store_2addr_b64 v169, v[92:93], v[94:95] offset0:38 offset1:39
	ds_store_2addr_b64 v169, v[88:89], v[90:91] offset0:40 offset1:41
	;; [unrolled: 1-line block ×24, first 2 shown]
	ds_load_2addr_b64 v[172:175], v168 offset1:1
	s_waitcnt lgkmcnt(0)
	v_cmp_neq_f64_e32 vcc_lo, 0, v[172:173]
	v_cmp_neq_f64_e64 s3, 0, v[174:175]
	s_delay_alu instid0(VALU_DEP_1) | instskip(NEXT) | instid1(SALU_CYCLE_1)
	s_or_b32 s3, vcc_lo, s3
	s_and_b32 exec_lo, exec_lo, s3
	s_cbranch_execz .LBB85_170
; %bb.165:
	v_cmp_gt_f64_e32 vcc_lo, 0, v[172:173]
	v_xor_b32_e32 v170, 0x80000000, v173
	v_xor_b32_e32 v176, 0x80000000, v175
	s_mov_b32 s3, exec_lo
                                        ; implicit-def: $vgpr180_vgpr181
	s_delay_alu instid0(VALU_DEP_2) | instskip(SKIP_1) | instid1(VALU_DEP_3)
	v_dual_cndmask_b32 v171, v173, v170 :: v_dual_cndmask_b32 v170, v172, v172
	v_cmp_gt_f64_e32 vcc_lo, 0, v[174:175]
	v_dual_cndmask_b32 v177, v175, v176 :: v_dual_cndmask_b32 v176, v174, v174
	s_delay_alu instid0(VALU_DEP_1)
	v_cmpx_ngt_f64_e32 v[170:171], v[176:177]
	s_xor_b32 s3, exec_lo, s3
                                        ; implicit-def: $vgpr176_vgpr177_vgpr178_vgpr179
	s_cbranch_execz .LBB85_167
; %bb.166:
	v_div_scale_f64 v[170:171], null, v[174:175], v[174:175], v[172:173]
	v_div_scale_f64 v[180:181], vcc_lo, v[172:173], v[174:175], v[172:173]
	s_delay_alu instid0(VALU_DEP_2) | instskip(SKIP_2) | instid1(VALU_DEP_1)
	v_rcp_f64_e32 v[176:177], v[170:171]
	s_waitcnt_depctr 0xfff
	v_fma_f64 v[178:179], -v[170:171], v[176:177], 1.0
	v_fma_f64 v[176:177], v[176:177], v[178:179], v[176:177]
	s_delay_alu instid0(VALU_DEP_1) | instskip(NEXT) | instid1(VALU_DEP_1)
	v_fma_f64 v[178:179], -v[170:171], v[176:177], 1.0
	v_fma_f64 v[176:177], v[176:177], v[178:179], v[176:177]
	s_delay_alu instid0(VALU_DEP_1) | instskip(NEXT) | instid1(VALU_DEP_1)
	v_mul_f64 v[178:179], v[180:181], v[176:177]
	v_fma_f64 v[170:171], -v[170:171], v[178:179], v[180:181]
	s_delay_alu instid0(VALU_DEP_1) | instskip(NEXT) | instid1(VALU_DEP_1)
	v_div_fmas_f64 v[170:171], v[170:171], v[176:177], v[178:179]
	v_div_fixup_f64 v[170:171], v[170:171], v[174:175], v[172:173]
	s_delay_alu instid0(VALU_DEP_1) | instskip(NEXT) | instid1(VALU_DEP_1)
	v_fma_f64 v[172:173], v[172:173], v[170:171], v[174:175]
	v_div_scale_f64 v[174:175], null, v[172:173], v[172:173], 1.0
	s_delay_alu instid0(VALU_DEP_1) | instskip(SKIP_2) | instid1(VALU_DEP_1)
	v_rcp_f64_e32 v[176:177], v[174:175]
	s_waitcnt_depctr 0xfff
	v_fma_f64 v[178:179], -v[174:175], v[176:177], 1.0
	v_fma_f64 v[176:177], v[176:177], v[178:179], v[176:177]
	s_delay_alu instid0(VALU_DEP_1) | instskip(NEXT) | instid1(VALU_DEP_1)
	v_fma_f64 v[178:179], -v[174:175], v[176:177], 1.0
	v_fma_f64 v[176:177], v[176:177], v[178:179], v[176:177]
	v_div_scale_f64 v[178:179], vcc_lo, 1.0, v[172:173], 1.0
	s_delay_alu instid0(VALU_DEP_1) | instskip(NEXT) | instid1(VALU_DEP_1)
	v_mul_f64 v[180:181], v[178:179], v[176:177]
	v_fma_f64 v[174:175], -v[174:175], v[180:181], v[178:179]
	s_delay_alu instid0(VALU_DEP_1) | instskip(NEXT) | instid1(VALU_DEP_1)
	v_div_fmas_f64 v[174:175], v[174:175], v[176:177], v[180:181]
	v_div_fixup_f64 v[178:179], v[174:175], v[172:173], 1.0
                                        ; implicit-def: $vgpr172_vgpr173
	s_delay_alu instid0(VALU_DEP_1)
	v_mul_f64 v[180:181], v[170:171], v[178:179]
	v_xor_b32_e32 v179, 0x80000000, v179
.LBB85_167:
	s_and_not1_saveexec_b32 s3, s3
	s_cbranch_execz .LBB85_169
; %bb.168:
	v_div_scale_f64 v[170:171], null, v[172:173], v[172:173], v[174:175]
	v_div_scale_f64 v[180:181], vcc_lo, v[174:175], v[172:173], v[174:175]
	s_delay_alu instid0(VALU_DEP_2) | instskip(SKIP_2) | instid1(VALU_DEP_1)
	v_rcp_f64_e32 v[176:177], v[170:171]
	s_waitcnt_depctr 0xfff
	v_fma_f64 v[178:179], -v[170:171], v[176:177], 1.0
	v_fma_f64 v[176:177], v[176:177], v[178:179], v[176:177]
	s_delay_alu instid0(VALU_DEP_1) | instskip(NEXT) | instid1(VALU_DEP_1)
	v_fma_f64 v[178:179], -v[170:171], v[176:177], 1.0
	v_fma_f64 v[176:177], v[176:177], v[178:179], v[176:177]
	s_delay_alu instid0(VALU_DEP_1) | instskip(NEXT) | instid1(VALU_DEP_1)
	v_mul_f64 v[178:179], v[180:181], v[176:177]
	v_fma_f64 v[170:171], -v[170:171], v[178:179], v[180:181]
	s_delay_alu instid0(VALU_DEP_1) | instskip(NEXT) | instid1(VALU_DEP_1)
	v_div_fmas_f64 v[170:171], v[170:171], v[176:177], v[178:179]
	v_div_fixup_f64 v[170:171], v[170:171], v[172:173], v[174:175]
	s_delay_alu instid0(VALU_DEP_1) | instskip(NEXT) | instid1(VALU_DEP_1)
	v_fma_f64 v[172:173], v[174:175], v[170:171], v[172:173]
	v_div_scale_f64 v[174:175], null, v[172:173], v[172:173], 1.0
	s_delay_alu instid0(VALU_DEP_1) | instskip(SKIP_2) | instid1(VALU_DEP_1)
	v_rcp_f64_e32 v[176:177], v[174:175]
	s_waitcnt_depctr 0xfff
	v_fma_f64 v[178:179], -v[174:175], v[176:177], 1.0
	v_fma_f64 v[176:177], v[176:177], v[178:179], v[176:177]
	s_delay_alu instid0(VALU_DEP_1) | instskip(NEXT) | instid1(VALU_DEP_1)
	v_fma_f64 v[178:179], -v[174:175], v[176:177], 1.0
	v_fma_f64 v[176:177], v[176:177], v[178:179], v[176:177]
	v_div_scale_f64 v[178:179], vcc_lo, 1.0, v[172:173], 1.0
	s_delay_alu instid0(VALU_DEP_1) | instskip(NEXT) | instid1(VALU_DEP_1)
	v_mul_f64 v[180:181], v[178:179], v[176:177]
	v_fma_f64 v[174:175], -v[174:175], v[180:181], v[178:179]
	s_delay_alu instid0(VALU_DEP_1) | instskip(NEXT) | instid1(VALU_DEP_1)
	v_div_fmas_f64 v[174:175], v[174:175], v[176:177], v[180:181]
	v_div_fixup_f64 v[180:181], v[174:175], v[172:173], 1.0
	s_delay_alu instid0(VALU_DEP_1)
	v_mul_f64 v[178:179], v[170:171], -v[180:181]
.LBB85_169:
	s_or_b32 exec_lo, exec_lo, s3
	ds_store_2addr_b64 v168, v[180:181], v[178:179] offset1:1
.LBB85_170:
	s_or_b32 exec_lo, exec_lo, s4
	s_waitcnt lgkmcnt(0)
	s_barrier
	buffer_gl0_inv
	ds_load_2addr_b64 v[170:173], v168 offset1:1
	s_mov_b32 s3, exec_lo
	s_waitcnt lgkmcnt(0)
	scratch_store_b128 off, v[170:173], off offset:648 ; 16-byte Folded Spill
	v_cmpx_lt_u32_e32 18, v252
	s_cbranch_execz .LBB85_172
; %bb.171:
	scratch_load_b128 v[174:177], off, off offset:648 ; 16-byte Folded Reload
	s_waitcnt vmcnt(0)
	v_mul_f64 v[170:171], v[176:177], v[98:99]
	v_mul_f64 v[98:99], v[174:175], v[98:99]
	s_delay_alu instid0(VALU_DEP_2) | instskip(NEXT) | instid1(VALU_DEP_2)
	v_fma_f64 v[172:173], v[174:175], v[96:97], -v[170:171]
	v_fma_f64 v[98:99], v[176:177], v[96:97], v[98:99]
	ds_load_2addr_b64 v[174:177], v169 offset0:38 offset1:39
	s_waitcnt lgkmcnt(0)
	v_mul_f64 v[96:97], v[176:177], v[98:99]
	v_mul_f64 v[170:171], v[174:175], v[98:99]
	s_delay_alu instid0(VALU_DEP_2) | instskip(NEXT) | instid1(VALU_DEP_2)
	v_fma_f64 v[96:97], v[174:175], v[172:173], -v[96:97]
	v_fma_f64 v[170:171], v[176:177], v[172:173], v[170:171]
	ds_load_2addr_b64 v[174:177], v169 offset0:40 offset1:41
	v_add_f64 v[92:93], v[92:93], -v[96:97]
	v_add_f64 v[94:95], v[94:95], -v[170:171]
	s_waitcnt lgkmcnt(0)
	v_mul_f64 v[96:97], v[176:177], v[98:99]
	v_mul_f64 v[170:171], v[174:175], v[98:99]
	s_delay_alu instid0(VALU_DEP_2) | instskip(NEXT) | instid1(VALU_DEP_2)
	v_fma_f64 v[96:97], v[174:175], v[172:173], -v[96:97]
	v_fma_f64 v[170:171], v[176:177], v[172:173], v[170:171]
	ds_load_2addr_b64 v[174:177], v169 offset0:42 offset1:43
	v_add_f64 v[88:89], v[88:89], -v[96:97]
	v_add_f64 v[90:91], v[90:91], -v[170:171]
	;; [unrolled: 9-line block ×23, first 2 shown]
	s_waitcnt lgkmcnt(0)
	v_mul_f64 v[96:97], v[176:177], v[98:99]
	v_mul_f64 v[170:171], v[174:175], v[98:99]
	s_delay_alu instid0(VALU_DEP_2) | instskip(NEXT) | instid1(VALU_DEP_2)
	v_fma_f64 v[96:97], v[174:175], v[172:173], -v[96:97]
	v_fma_f64 v[170:171], v[176:177], v[172:173], v[170:171]
	s_delay_alu instid0(VALU_DEP_2) | instskip(NEXT) | instid1(VALU_DEP_2)
	v_add_f64 v[0:1], v[0:1], -v[96:97]
	v_add_f64 v[2:3], v[2:3], -v[170:171]
	v_dual_mov_b32 v96, v172 :: v_dual_mov_b32 v97, v173
.LBB85_172:
	s_or_b32 exec_lo, exec_lo, s3
	s_delay_alu instid0(SALU_CYCLE_1)
	s_mov_b32 s4, exec_lo
	s_waitcnt_vscnt null, 0x0
	s_barrier
	buffer_gl0_inv
	v_cmpx_eq_u32_e32 19, v252
	s_cbranch_execz .LBB85_179
; %bb.173:
	ds_store_2addr_b64 v168, v[92:93], v[94:95] offset1:1
	ds_store_2addr_b64 v169, v[88:89], v[90:91] offset0:40 offset1:41
	ds_store_2addr_b64 v169, v[84:85], v[86:87] offset0:42 offset1:43
	;; [unrolled: 1-line block ×23, first 2 shown]
	ds_load_2addr_b64 v[172:175], v168 offset1:1
	s_waitcnt lgkmcnt(0)
	v_cmp_neq_f64_e32 vcc_lo, 0, v[172:173]
	v_cmp_neq_f64_e64 s3, 0, v[174:175]
	s_delay_alu instid0(VALU_DEP_1) | instskip(NEXT) | instid1(SALU_CYCLE_1)
	s_or_b32 s3, vcc_lo, s3
	s_and_b32 exec_lo, exec_lo, s3
	s_cbranch_execz .LBB85_179
; %bb.174:
	v_cmp_gt_f64_e32 vcc_lo, 0, v[172:173]
	v_xor_b32_e32 v170, 0x80000000, v173
	v_xor_b32_e32 v176, 0x80000000, v175
	s_mov_b32 s3, exec_lo
                                        ; implicit-def: $vgpr180_vgpr181
	s_delay_alu instid0(VALU_DEP_2) | instskip(SKIP_1) | instid1(VALU_DEP_3)
	v_dual_cndmask_b32 v171, v173, v170 :: v_dual_cndmask_b32 v170, v172, v172
	v_cmp_gt_f64_e32 vcc_lo, 0, v[174:175]
	v_dual_cndmask_b32 v177, v175, v176 :: v_dual_cndmask_b32 v176, v174, v174
	s_delay_alu instid0(VALU_DEP_1)
	v_cmpx_ngt_f64_e32 v[170:171], v[176:177]
	s_xor_b32 s3, exec_lo, s3
                                        ; implicit-def: $vgpr176_vgpr177_vgpr178_vgpr179
	s_cbranch_execz .LBB85_176
; %bb.175:
	v_div_scale_f64 v[170:171], null, v[174:175], v[174:175], v[172:173]
	v_div_scale_f64 v[180:181], vcc_lo, v[172:173], v[174:175], v[172:173]
	s_delay_alu instid0(VALU_DEP_2) | instskip(SKIP_2) | instid1(VALU_DEP_1)
	v_rcp_f64_e32 v[176:177], v[170:171]
	s_waitcnt_depctr 0xfff
	v_fma_f64 v[178:179], -v[170:171], v[176:177], 1.0
	v_fma_f64 v[176:177], v[176:177], v[178:179], v[176:177]
	s_delay_alu instid0(VALU_DEP_1) | instskip(NEXT) | instid1(VALU_DEP_1)
	v_fma_f64 v[178:179], -v[170:171], v[176:177], 1.0
	v_fma_f64 v[176:177], v[176:177], v[178:179], v[176:177]
	s_delay_alu instid0(VALU_DEP_1) | instskip(NEXT) | instid1(VALU_DEP_1)
	v_mul_f64 v[178:179], v[180:181], v[176:177]
	v_fma_f64 v[170:171], -v[170:171], v[178:179], v[180:181]
	s_delay_alu instid0(VALU_DEP_1) | instskip(NEXT) | instid1(VALU_DEP_1)
	v_div_fmas_f64 v[170:171], v[170:171], v[176:177], v[178:179]
	v_div_fixup_f64 v[170:171], v[170:171], v[174:175], v[172:173]
	s_delay_alu instid0(VALU_DEP_1) | instskip(NEXT) | instid1(VALU_DEP_1)
	v_fma_f64 v[172:173], v[172:173], v[170:171], v[174:175]
	v_div_scale_f64 v[174:175], null, v[172:173], v[172:173], 1.0
	s_delay_alu instid0(VALU_DEP_1) | instskip(SKIP_2) | instid1(VALU_DEP_1)
	v_rcp_f64_e32 v[176:177], v[174:175]
	s_waitcnt_depctr 0xfff
	v_fma_f64 v[178:179], -v[174:175], v[176:177], 1.0
	v_fma_f64 v[176:177], v[176:177], v[178:179], v[176:177]
	s_delay_alu instid0(VALU_DEP_1) | instskip(NEXT) | instid1(VALU_DEP_1)
	v_fma_f64 v[178:179], -v[174:175], v[176:177], 1.0
	v_fma_f64 v[176:177], v[176:177], v[178:179], v[176:177]
	v_div_scale_f64 v[178:179], vcc_lo, 1.0, v[172:173], 1.0
	s_delay_alu instid0(VALU_DEP_1) | instskip(NEXT) | instid1(VALU_DEP_1)
	v_mul_f64 v[180:181], v[178:179], v[176:177]
	v_fma_f64 v[174:175], -v[174:175], v[180:181], v[178:179]
	s_delay_alu instid0(VALU_DEP_1) | instskip(NEXT) | instid1(VALU_DEP_1)
	v_div_fmas_f64 v[174:175], v[174:175], v[176:177], v[180:181]
	v_div_fixup_f64 v[178:179], v[174:175], v[172:173], 1.0
                                        ; implicit-def: $vgpr172_vgpr173
	s_delay_alu instid0(VALU_DEP_1)
	v_mul_f64 v[180:181], v[170:171], v[178:179]
	v_xor_b32_e32 v179, 0x80000000, v179
.LBB85_176:
	s_and_not1_saveexec_b32 s3, s3
	s_cbranch_execz .LBB85_178
; %bb.177:
	v_div_scale_f64 v[170:171], null, v[172:173], v[172:173], v[174:175]
	v_div_scale_f64 v[180:181], vcc_lo, v[174:175], v[172:173], v[174:175]
	s_delay_alu instid0(VALU_DEP_2) | instskip(SKIP_2) | instid1(VALU_DEP_1)
	v_rcp_f64_e32 v[176:177], v[170:171]
	s_waitcnt_depctr 0xfff
	v_fma_f64 v[178:179], -v[170:171], v[176:177], 1.0
	v_fma_f64 v[176:177], v[176:177], v[178:179], v[176:177]
	s_delay_alu instid0(VALU_DEP_1) | instskip(NEXT) | instid1(VALU_DEP_1)
	v_fma_f64 v[178:179], -v[170:171], v[176:177], 1.0
	v_fma_f64 v[176:177], v[176:177], v[178:179], v[176:177]
	s_delay_alu instid0(VALU_DEP_1) | instskip(NEXT) | instid1(VALU_DEP_1)
	v_mul_f64 v[178:179], v[180:181], v[176:177]
	v_fma_f64 v[170:171], -v[170:171], v[178:179], v[180:181]
	s_delay_alu instid0(VALU_DEP_1) | instskip(NEXT) | instid1(VALU_DEP_1)
	v_div_fmas_f64 v[170:171], v[170:171], v[176:177], v[178:179]
	v_div_fixup_f64 v[170:171], v[170:171], v[172:173], v[174:175]
	s_delay_alu instid0(VALU_DEP_1) | instskip(NEXT) | instid1(VALU_DEP_1)
	v_fma_f64 v[172:173], v[174:175], v[170:171], v[172:173]
	v_div_scale_f64 v[174:175], null, v[172:173], v[172:173], 1.0
	s_delay_alu instid0(VALU_DEP_1) | instskip(SKIP_2) | instid1(VALU_DEP_1)
	v_rcp_f64_e32 v[176:177], v[174:175]
	s_waitcnt_depctr 0xfff
	v_fma_f64 v[178:179], -v[174:175], v[176:177], 1.0
	v_fma_f64 v[176:177], v[176:177], v[178:179], v[176:177]
	s_delay_alu instid0(VALU_DEP_1) | instskip(NEXT) | instid1(VALU_DEP_1)
	v_fma_f64 v[178:179], -v[174:175], v[176:177], 1.0
	v_fma_f64 v[176:177], v[176:177], v[178:179], v[176:177]
	v_div_scale_f64 v[178:179], vcc_lo, 1.0, v[172:173], 1.0
	s_delay_alu instid0(VALU_DEP_1) | instskip(NEXT) | instid1(VALU_DEP_1)
	v_mul_f64 v[180:181], v[178:179], v[176:177]
	v_fma_f64 v[174:175], -v[174:175], v[180:181], v[178:179]
	s_delay_alu instid0(VALU_DEP_1) | instskip(NEXT) | instid1(VALU_DEP_1)
	v_div_fmas_f64 v[174:175], v[174:175], v[176:177], v[180:181]
	v_div_fixup_f64 v[180:181], v[174:175], v[172:173], 1.0
	s_delay_alu instid0(VALU_DEP_1)
	v_mul_f64 v[178:179], v[170:171], -v[180:181]
.LBB85_178:
	s_or_b32 exec_lo, exec_lo, s3
	ds_store_2addr_b64 v168, v[180:181], v[178:179] offset1:1
.LBB85_179:
	s_or_b32 exec_lo, exec_lo, s4
	s_waitcnt lgkmcnt(0)
	s_barrier
	buffer_gl0_inv
	ds_load_2addr_b64 v[170:173], v168 offset1:1
	s_mov_b32 s3, exec_lo
	s_waitcnt lgkmcnt(0)
	scratch_store_b128 off, v[170:173], off offset:664 ; 16-byte Folded Spill
	v_cmpx_lt_u32_e32 19, v252
	s_cbranch_execz .LBB85_181
; %bb.180:
	scratch_load_b128 v[174:177], off, off offset:664 ; 16-byte Folded Reload
	s_waitcnt vmcnt(0)
	v_mul_f64 v[170:171], v[176:177], v[94:95]
	v_mul_f64 v[94:95], v[174:175], v[94:95]
	s_delay_alu instid0(VALU_DEP_2) | instskip(NEXT) | instid1(VALU_DEP_2)
	v_fma_f64 v[172:173], v[174:175], v[92:93], -v[170:171]
	v_fma_f64 v[94:95], v[176:177], v[92:93], v[94:95]
	ds_load_2addr_b64 v[174:177], v169 offset0:40 offset1:41
	s_waitcnt lgkmcnt(0)
	v_mul_f64 v[92:93], v[176:177], v[94:95]
	v_mul_f64 v[170:171], v[174:175], v[94:95]
	s_delay_alu instid0(VALU_DEP_2) | instskip(NEXT) | instid1(VALU_DEP_2)
	v_fma_f64 v[92:93], v[174:175], v[172:173], -v[92:93]
	v_fma_f64 v[170:171], v[176:177], v[172:173], v[170:171]
	ds_load_2addr_b64 v[174:177], v169 offset0:42 offset1:43
	v_add_f64 v[88:89], v[88:89], -v[92:93]
	v_add_f64 v[90:91], v[90:91], -v[170:171]
	s_waitcnt lgkmcnt(0)
	v_mul_f64 v[92:93], v[176:177], v[94:95]
	v_mul_f64 v[170:171], v[174:175], v[94:95]
	s_delay_alu instid0(VALU_DEP_2) | instskip(NEXT) | instid1(VALU_DEP_2)
	v_fma_f64 v[92:93], v[174:175], v[172:173], -v[92:93]
	v_fma_f64 v[170:171], v[176:177], v[172:173], v[170:171]
	ds_load_2addr_b64 v[174:177], v169 offset0:44 offset1:45
	v_add_f64 v[84:85], v[84:85], -v[92:93]
	v_add_f64 v[86:87], v[86:87], -v[170:171]
	;; [unrolled: 9-line block ×22, first 2 shown]
	s_waitcnt lgkmcnt(0)
	v_mul_f64 v[92:93], v[176:177], v[94:95]
	v_mul_f64 v[170:171], v[174:175], v[94:95]
	s_delay_alu instid0(VALU_DEP_2) | instskip(NEXT) | instid1(VALU_DEP_2)
	v_fma_f64 v[92:93], v[174:175], v[172:173], -v[92:93]
	v_fma_f64 v[170:171], v[176:177], v[172:173], v[170:171]
	s_delay_alu instid0(VALU_DEP_2) | instskip(NEXT) | instid1(VALU_DEP_2)
	v_add_f64 v[0:1], v[0:1], -v[92:93]
	v_add_f64 v[2:3], v[2:3], -v[170:171]
	v_dual_mov_b32 v92, v172 :: v_dual_mov_b32 v93, v173
.LBB85_181:
	s_or_b32 exec_lo, exec_lo, s3
	s_delay_alu instid0(SALU_CYCLE_1)
	s_mov_b32 s4, exec_lo
	s_waitcnt_vscnt null, 0x0
	s_barrier
	buffer_gl0_inv
	v_cmpx_eq_u32_e32 20, v252
	s_cbranch_execz .LBB85_188
; %bb.182:
	ds_store_2addr_b64 v168, v[88:89], v[90:91] offset1:1
	ds_store_2addr_b64 v169, v[84:85], v[86:87] offset0:42 offset1:43
	ds_store_2addr_b64 v169, v[80:81], v[82:83] offset0:44 offset1:45
	;; [unrolled: 1-line block ×22, first 2 shown]
	ds_load_2addr_b64 v[172:175], v168 offset1:1
	s_waitcnt lgkmcnt(0)
	v_cmp_neq_f64_e32 vcc_lo, 0, v[172:173]
	v_cmp_neq_f64_e64 s3, 0, v[174:175]
	s_delay_alu instid0(VALU_DEP_1) | instskip(NEXT) | instid1(SALU_CYCLE_1)
	s_or_b32 s3, vcc_lo, s3
	s_and_b32 exec_lo, exec_lo, s3
	s_cbranch_execz .LBB85_188
; %bb.183:
	v_cmp_gt_f64_e32 vcc_lo, 0, v[172:173]
	v_xor_b32_e32 v170, 0x80000000, v173
	v_xor_b32_e32 v176, 0x80000000, v175
	s_mov_b32 s3, exec_lo
                                        ; implicit-def: $vgpr180_vgpr181
	s_delay_alu instid0(VALU_DEP_2) | instskip(SKIP_1) | instid1(VALU_DEP_3)
	v_dual_cndmask_b32 v171, v173, v170 :: v_dual_cndmask_b32 v170, v172, v172
	v_cmp_gt_f64_e32 vcc_lo, 0, v[174:175]
	v_dual_cndmask_b32 v177, v175, v176 :: v_dual_cndmask_b32 v176, v174, v174
	s_delay_alu instid0(VALU_DEP_1)
	v_cmpx_ngt_f64_e32 v[170:171], v[176:177]
	s_xor_b32 s3, exec_lo, s3
                                        ; implicit-def: $vgpr176_vgpr177_vgpr178_vgpr179
	s_cbranch_execz .LBB85_185
; %bb.184:
	v_div_scale_f64 v[170:171], null, v[174:175], v[174:175], v[172:173]
	v_div_scale_f64 v[180:181], vcc_lo, v[172:173], v[174:175], v[172:173]
	s_delay_alu instid0(VALU_DEP_2) | instskip(SKIP_2) | instid1(VALU_DEP_1)
	v_rcp_f64_e32 v[176:177], v[170:171]
	s_waitcnt_depctr 0xfff
	v_fma_f64 v[178:179], -v[170:171], v[176:177], 1.0
	v_fma_f64 v[176:177], v[176:177], v[178:179], v[176:177]
	s_delay_alu instid0(VALU_DEP_1) | instskip(NEXT) | instid1(VALU_DEP_1)
	v_fma_f64 v[178:179], -v[170:171], v[176:177], 1.0
	v_fma_f64 v[176:177], v[176:177], v[178:179], v[176:177]
	s_delay_alu instid0(VALU_DEP_1) | instskip(NEXT) | instid1(VALU_DEP_1)
	v_mul_f64 v[178:179], v[180:181], v[176:177]
	v_fma_f64 v[170:171], -v[170:171], v[178:179], v[180:181]
	s_delay_alu instid0(VALU_DEP_1) | instskip(NEXT) | instid1(VALU_DEP_1)
	v_div_fmas_f64 v[170:171], v[170:171], v[176:177], v[178:179]
	v_div_fixup_f64 v[170:171], v[170:171], v[174:175], v[172:173]
	s_delay_alu instid0(VALU_DEP_1) | instskip(NEXT) | instid1(VALU_DEP_1)
	v_fma_f64 v[172:173], v[172:173], v[170:171], v[174:175]
	v_div_scale_f64 v[174:175], null, v[172:173], v[172:173], 1.0
	s_delay_alu instid0(VALU_DEP_1) | instskip(SKIP_2) | instid1(VALU_DEP_1)
	v_rcp_f64_e32 v[176:177], v[174:175]
	s_waitcnt_depctr 0xfff
	v_fma_f64 v[178:179], -v[174:175], v[176:177], 1.0
	v_fma_f64 v[176:177], v[176:177], v[178:179], v[176:177]
	s_delay_alu instid0(VALU_DEP_1) | instskip(NEXT) | instid1(VALU_DEP_1)
	v_fma_f64 v[178:179], -v[174:175], v[176:177], 1.0
	v_fma_f64 v[176:177], v[176:177], v[178:179], v[176:177]
	v_div_scale_f64 v[178:179], vcc_lo, 1.0, v[172:173], 1.0
	s_delay_alu instid0(VALU_DEP_1) | instskip(NEXT) | instid1(VALU_DEP_1)
	v_mul_f64 v[180:181], v[178:179], v[176:177]
	v_fma_f64 v[174:175], -v[174:175], v[180:181], v[178:179]
	s_delay_alu instid0(VALU_DEP_1) | instskip(NEXT) | instid1(VALU_DEP_1)
	v_div_fmas_f64 v[174:175], v[174:175], v[176:177], v[180:181]
	v_div_fixup_f64 v[178:179], v[174:175], v[172:173], 1.0
                                        ; implicit-def: $vgpr172_vgpr173
	s_delay_alu instid0(VALU_DEP_1)
	v_mul_f64 v[180:181], v[170:171], v[178:179]
	v_xor_b32_e32 v179, 0x80000000, v179
.LBB85_185:
	s_and_not1_saveexec_b32 s3, s3
	s_cbranch_execz .LBB85_187
; %bb.186:
	v_div_scale_f64 v[170:171], null, v[172:173], v[172:173], v[174:175]
	v_div_scale_f64 v[180:181], vcc_lo, v[174:175], v[172:173], v[174:175]
	s_delay_alu instid0(VALU_DEP_2) | instskip(SKIP_2) | instid1(VALU_DEP_1)
	v_rcp_f64_e32 v[176:177], v[170:171]
	s_waitcnt_depctr 0xfff
	v_fma_f64 v[178:179], -v[170:171], v[176:177], 1.0
	v_fma_f64 v[176:177], v[176:177], v[178:179], v[176:177]
	s_delay_alu instid0(VALU_DEP_1) | instskip(NEXT) | instid1(VALU_DEP_1)
	v_fma_f64 v[178:179], -v[170:171], v[176:177], 1.0
	v_fma_f64 v[176:177], v[176:177], v[178:179], v[176:177]
	s_delay_alu instid0(VALU_DEP_1) | instskip(NEXT) | instid1(VALU_DEP_1)
	v_mul_f64 v[178:179], v[180:181], v[176:177]
	v_fma_f64 v[170:171], -v[170:171], v[178:179], v[180:181]
	s_delay_alu instid0(VALU_DEP_1) | instskip(NEXT) | instid1(VALU_DEP_1)
	v_div_fmas_f64 v[170:171], v[170:171], v[176:177], v[178:179]
	v_div_fixup_f64 v[170:171], v[170:171], v[172:173], v[174:175]
	s_delay_alu instid0(VALU_DEP_1) | instskip(NEXT) | instid1(VALU_DEP_1)
	v_fma_f64 v[172:173], v[174:175], v[170:171], v[172:173]
	v_div_scale_f64 v[174:175], null, v[172:173], v[172:173], 1.0
	s_delay_alu instid0(VALU_DEP_1) | instskip(SKIP_2) | instid1(VALU_DEP_1)
	v_rcp_f64_e32 v[176:177], v[174:175]
	s_waitcnt_depctr 0xfff
	v_fma_f64 v[178:179], -v[174:175], v[176:177], 1.0
	v_fma_f64 v[176:177], v[176:177], v[178:179], v[176:177]
	s_delay_alu instid0(VALU_DEP_1) | instskip(NEXT) | instid1(VALU_DEP_1)
	v_fma_f64 v[178:179], -v[174:175], v[176:177], 1.0
	v_fma_f64 v[176:177], v[176:177], v[178:179], v[176:177]
	v_div_scale_f64 v[178:179], vcc_lo, 1.0, v[172:173], 1.0
	s_delay_alu instid0(VALU_DEP_1) | instskip(NEXT) | instid1(VALU_DEP_1)
	v_mul_f64 v[180:181], v[178:179], v[176:177]
	v_fma_f64 v[174:175], -v[174:175], v[180:181], v[178:179]
	s_delay_alu instid0(VALU_DEP_1) | instskip(NEXT) | instid1(VALU_DEP_1)
	v_div_fmas_f64 v[174:175], v[174:175], v[176:177], v[180:181]
	v_div_fixup_f64 v[180:181], v[174:175], v[172:173], 1.0
	s_delay_alu instid0(VALU_DEP_1)
	v_mul_f64 v[178:179], v[170:171], -v[180:181]
.LBB85_187:
	s_or_b32 exec_lo, exec_lo, s3
	ds_store_2addr_b64 v168, v[180:181], v[178:179] offset1:1
.LBB85_188:
	s_or_b32 exec_lo, exec_lo, s4
	s_waitcnt lgkmcnt(0)
	s_barrier
	buffer_gl0_inv
	ds_load_2addr_b64 v[170:173], v168 offset1:1
	s_mov_b32 s3, exec_lo
	s_waitcnt lgkmcnt(0)
	scratch_store_b128 off, v[170:173], off offset:680 ; 16-byte Folded Spill
	v_cmpx_lt_u32_e32 20, v252
	s_cbranch_execz .LBB85_190
; %bb.189:
	scratch_load_b128 v[174:177], off, off offset:680 ; 16-byte Folded Reload
	s_waitcnt vmcnt(0)
	v_mul_f64 v[170:171], v[176:177], v[90:91]
	v_mul_f64 v[90:91], v[174:175], v[90:91]
	s_delay_alu instid0(VALU_DEP_2) | instskip(NEXT) | instid1(VALU_DEP_2)
	v_fma_f64 v[172:173], v[174:175], v[88:89], -v[170:171]
	v_fma_f64 v[90:91], v[176:177], v[88:89], v[90:91]
	ds_load_2addr_b64 v[174:177], v169 offset0:42 offset1:43
	s_waitcnt lgkmcnt(0)
	v_mul_f64 v[88:89], v[176:177], v[90:91]
	v_mul_f64 v[170:171], v[174:175], v[90:91]
	s_delay_alu instid0(VALU_DEP_2) | instskip(NEXT) | instid1(VALU_DEP_2)
	v_fma_f64 v[88:89], v[174:175], v[172:173], -v[88:89]
	v_fma_f64 v[170:171], v[176:177], v[172:173], v[170:171]
	ds_load_2addr_b64 v[174:177], v169 offset0:44 offset1:45
	v_add_f64 v[84:85], v[84:85], -v[88:89]
	v_add_f64 v[86:87], v[86:87], -v[170:171]
	s_waitcnt lgkmcnt(0)
	v_mul_f64 v[88:89], v[176:177], v[90:91]
	v_mul_f64 v[170:171], v[174:175], v[90:91]
	s_delay_alu instid0(VALU_DEP_2) | instskip(NEXT) | instid1(VALU_DEP_2)
	v_fma_f64 v[88:89], v[174:175], v[172:173], -v[88:89]
	v_fma_f64 v[170:171], v[176:177], v[172:173], v[170:171]
	ds_load_2addr_b64 v[174:177], v169 offset0:46 offset1:47
	v_add_f64 v[80:81], v[80:81], -v[88:89]
	v_add_f64 v[82:83], v[82:83], -v[170:171]
	;; [unrolled: 9-line block ×21, first 2 shown]
	s_waitcnt lgkmcnt(0)
	v_mul_f64 v[88:89], v[176:177], v[90:91]
	v_mul_f64 v[170:171], v[174:175], v[90:91]
	s_delay_alu instid0(VALU_DEP_2) | instskip(NEXT) | instid1(VALU_DEP_2)
	v_fma_f64 v[88:89], v[174:175], v[172:173], -v[88:89]
	v_fma_f64 v[170:171], v[176:177], v[172:173], v[170:171]
	s_delay_alu instid0(VALU_DEP_2) | instskip(NEXT) | instid1(VALU_DEP_2)
	v_add_f64 v[0:1], v[0:1], -v[88:89]
	v_add_f64 v[2:3], v[2:3], -v[170:171]
	v_dual_mov_b32 v88, v172 :: v_dual_mov_b32 v89, v173
.LBB85_190:
	s_or_b32 exec_lo, exec_lo, s3
	s_delay_alu instid0(SALU_CYCLE_1)
	s_mov_b32 s4, exec_lo
	s_waitcnt_vscnt null, 0x0
	s_barrier
	buffer_gl0_inv
	v_cmpx_eq_u32_e32 21, v252
	s_cbranch_execz .LBB85_197
; %bb.191:
	ds_store_2addr_b64 v168, v[84:85], v[86:87] offset1:1
	ds_store_2addr_b64 v169, v[80:81], v[82:83] offset0:44 offset1:45
	ds_store_2addr_b64 v169, v[76:77], v[78:79] offset0:46 offset1:47
	;; [unrolled: 1-line block ×21, first 2 shown]
	ds_load_2addr_b64 v[172:175], v168 offset1:1
	s_waitcnt lgkmcnt(0)
	v_cmp_neq_f64_e32 vcc_lo, 0, v[172:173]
	v_cmp_neq_f64_e64 s3, 0, v[174:175]
	s_delay_alu instid0(VALU_DEP_1) | instskip(NEXT) | instid1(SALU_CYCLE_1)
	s_or_b32 s3, vcc_lo, s3
	s_and_b32 exec_lo, exec_lo, s3
	s_cbranch_execz .LBB85_197
; %bb.192:
	v_cmp_gt_f64_e32 vcc_lo, 0, v[172:173]
	v_xor_b32_e32 v170, 0x80000000, v173
	v_xor_b32_e32 v176, 0x80000000, v175
	s_mov_b32 s3, exec_lo
                                        ; implicit-def: $vgpr180_vgpr181
	s_delay_alu instid0(VALU_DEP_2) | instskip(SKIP_1) | instid1(VALU_DEP_3)
	v_dual_cndmask_b32 v171, v173, v170 :: v_dual_cndmask_b32 v170, v172, v172
	v_cmp_gt_f64_e32 vcc_lo, 0, v[174:175]
	v_dual_cndmask_b32 v177, v175, v176 :: v_dual_cndmask_b32 v176, v174, v174
	s_delay_alu instid0(VALU_DEP_1)
	v_cmpx_ngt_f64_e32 v[170:171], v[176:177]
	s_xor_b32 s3, exec_lo, s3
                                        ; implicit-def: $vgpr176_vgpr177_vgpr178_vgpr179
	s_cbranch_execz .LBB85_194
; %bb.193:
	v_div_scale_f64 v[170:171], null, v[174:175], v[174:175], v[172:173]
	v_div_scale_f64 v[180:181], vcc_lo, v[172:173], v[174:175], v[172:173]
	s_delay_alu instid0(VALU_DEP_2) | instskip(SKIP_2) | instid1(VALU_DEP_1)
	v_rcp_f64_e32 v[176:177], v[170:171]
	s_waitcnt_depctr 0xfff
	v_fma_f64 v[178:179], -v[170:171], v[176:177], 1.0
	v_fma_f64 v[176:177], v[176:177], v[178:179], v[176:177]
	s_delay_alu instid0(VALU_DEP_1) | instskip(NEXT) | instid1(VALU_DEP_1)
	v_fma_f64 v[178:179], -v[170:171], v[176:177], 1.0
	v_fma_f64 v[176:177], v[176:177], v[178:179], v[176:177]
	s_delay_alu instid0(VALU_DEP_1) | instskip(NEXT) | instid1(VALU_DEP_1)
	v_mul_f64 v[178:179], v[180:181], v[176:177]
	v_fma_f64 v[170:171], -v[170:171], v[178:179], v[180:181]
	s_delay_alu instid0(VALU_DEP_1) | instskip(NEXT) | instid1(VALU_DEP_1)
	v_div_fmas_f64 v[170:171], v[170:171], v[176:177], v[178:179]
	v_div_fixup_f64 v[170:171], v[170:171], v[174:175], v[172:173]
	s_delay_alu instid0(VALU_DEP_1) | instskip(NEXT) | instid1(VALU_DEP_1)
	v_fma_f64 v[172:173], v[172:173], v[170:171], v[174:175]
	v_div_scale_f64 v[174:175], null, v[172:173], v[172:173], 1.0
	s_delay_alu instid0(VALU_DEP_1) | instskip(SKIP_2) | instid1(VALU_DEP_1)
	v_rcp_f64_e32 v[176:177], v[174:175]
	s_waitcnt_depctr 0xfff
	v_fma_f64 v[178:179], -v[174:175], v[176:177], 1.0
	v_fma_f64 v[176:177], v[176:177], v[178:179], v[176:177]
	s_delay_alu instid0(VALU_DEP_1) | instskip(NEXT) | instid1(VALU_DEP_1)
	v_fma_f64 v[178:179], -v[174:175], v[176:177], 1.0
	v_fma_f64 v[176:177], v[176:177], v[178:179], v[176:177]
	v_div_scale_f64 v[178:179], vcc_lo, 1.0, v[172:173], 1.0
	s_delay_alu instid0(VALU_DEP_1) | instskip(NEXT) | instid1(VALU_DEP_1)
	v_mul_f64 v[180:181], v[178:179], v[176:177]
	v_fma_f64 v[174:175], -v[174:175], v[180:181], v[178:179]
	s_delay_alu instid0(VALU_DEP_1) | instskip(NEXT) | instid1(VALU_DEP_1)
	v_div_fmas_f64 v[174:175], v[174:175], v[176:177], v[180:181]
	v_div_fixup_f64 v[178:179], v[174:175], v[172:173], 1.0
                                        ; implicit-def: $vgpr172_vgpr173
	s_delay_alu instid0(VALU_DEP_1)
	v_mul_f64 v[180:181], v[170:171], v[178:179]
	v_xor_b32_e32 v179, 0x80000000, v179
.LBB85_194:
	s_and_not1_saveexec_b32 s3, s3
	s_cbranch_execz .LBB85_196
; %bb.195:
	v_div_scale_f64 v[170:171], null, v[172:173], v[172:173], v[174:175]
	v_div_scale_f64 v[180:181], vcc_lo, v[174:175], v[172:173], v[174:175]
	s_delay_alu instid0(VALU_DEP_2) | instskip(SKIP_2) | instid1(VALU_DEP_1)
	v_rcp_f64_e32 v[176:177], v[170:171]
	s_waitcnt_depctr 0xfff
	v_fma_f64 v[178:179], -v[170:171], v[176:177], 1.0
	v_fma_f64 v[176:177], v[176:177], v[178:179], v[176:177]
	s_delay_alu instid0(VALU_DEP_1) | instskip(NEXT) | instid1(VALU_DEP_1)
	v_fma_f64 v[178:179], -v[170:171], v[176:177], 1.0
	v_fma_f64 v[176:177], v[176:177], v[178:179], v[176:177]
	s_delay_alu instid0(VALU_DEP_1) | instskip(NEXT) | instid1(VALU_DEP_1)
	v_mul_f64 v[178:179], v[180:181], v[176:177]
	v_fma_f64 v[170:171], -v[170:171], v[178:179], v[180:181]
	s_delay_alu instid0(VALU_DEP_1) | instskip(NEXT) | instid1(VALU_DEP_1)
	v_div_fmas_f64 v[170:171], v[170:171], v[176:177], v[178:179]
	v_div_fixup_f64 v[170:171], v[170:171], v[172:173], v[174:175]
	s_delay_alu instid0(VALU_DEP_1) | instskip(NEXT) | instid1(VALU_DEP_1)
	v_fma_f64 v[172:173], v[174:175], v[170:171], v[172:173]
	v_div_scale_f64 v[174:175], null, v[172:173], v[172:173], 1.0
	s_delay_alu instid0(VALU_DEP_1) | instskip(SKIP_2) | instid1(VALU_DEP_1)
	v_rcp_f64_e32 v[176:177], v[174:175]
	s_waitcnt_depctr 0xfff
	v_fma_f64 v[178:179], -v[174:175], v[176:177], 1.0
	v_fma_f64 v[176:177], v[176:177], v[178:179], v[176:177]
	s_delay_alu instid0(VALU_DEP_1) | instskip(NEXT) | instid1(VALU_DEP_1)
	v_fma_f64 v[178:179], -v[174:175], v[176:177], 1.0
	v_fma_f64 v[176:177], v[176:177], v[178:179], v[176:177]
	v_div_scale_f64 v[178:179], vcc_lo, 1.0, v[172:173], 1.0
	s_delay_alu instid0(VALU_DEP_1) | instskip(NEXT) | instid1(VALU_DEP_1)
	v_mul_f64 v[180:181], v[178:179], v[176:177]
	v_fma_f64 v[174:175], -v[174:175], v[180:181], v[178:179]
	s_delay_alu instid0(VALU_DEP_1) | instskip(NEXT) | instid1(VALU_DEP_1)
	v_div_fmas_f64 v[174:175], v[174:175], v[176:177], v[180:181]
	v_div_fixup_f64 v[180:181], v[174:175], v[172:173], 1.0
	s_delay_alu instid0(VALU_DEP_1)
	v_mul_f64 v[178:179], v[170:171], -v[180:181]
.LBB85_196:
	s_or_b32 exec_lo, exec_lo, s3
	ds_store_2addr_b64 v168, v[180:181], v[178:179] offset1:1
.LBB85_197:
	s_or_b32 exec_lo, exec_lo, s4
	s_waitcnt lgkmcnt(0)
	s_barrier
	buffer_gl0_inv
	ds_load_2addr_b64 v[170:173], v168 offset1:1
	s_mov_b32 s3, exec_lo
	s_waitcnt lgkmcnt(0)
	scratch_store_b128 off, v[170:173], off offset:696 ; 16-byte Folded Spill
	v_cmpx_lt_u32_e32 21, v252
	s_cbranch_execz .LBB85_199
; %bb.198:
	scratch_load_b128 v[174:177], off, off offset:696 ; 16-byte Folded Reload
	s_waitcnt vmcnt(0)
	v_mul_f64 v[170:171], v[176:177], v[86:87]
	v_mul_f64 v[86:87], v[174:175], v[86:87]
	s_delay_alu instid0(VALU_DEP_2) | instskip(NEXT) | instid1(VALU_DEP_2)
	v_fma_f64 v[172:173], v[174:175], v[84:85], -v[170:171]
	v_fma_f64 v[86:87], v[176:177], v[84:85], v[86:87]
	ds_load_2addr_b64 v[174:177], v169 offset0:44 offset1:45
	s_waitcnt lgkmcnt(0)
	v_mul_f64 v[84:85], v[176:177], v[86:87]
	v_mul_f64 v[170:171], v[174:175], v[86:87]
	s_delay_alu instid0(VALU_DEP_2) | instskip(NEXT) | instid1(VALU_DEP_2)
	v_fma_f64 v[84:85], v[174:175], v[172:173], -v[84:85]
	v_fma_f64 v[170:171], v[176:177], v[172:173], v[170:171]
	ds_load_2addr_b64 v[174:177], v169 offset0:46 offset1:47
	v_add_f64 v[80:81], v[80:81], -v[84:85]
	v_add_f64 v[82:83], v[82:83], -v[170:171]
	s_waitcnt lgkmcnt(0)
	v_mul_f64 v[84:85], v[176:177], v[86:87]
	v_mul_f64 v[170:171], v[174:175], v[86:87]
	s_delay_alu instid0(VALU_DEP_2) | instskip(NEXT) | instid1(VALU_DEP_2)
	v_fma_f64 v[84:85], v[174:175], v[172:173], -v[84:85]
	v_fma_f64 v[170:171], v[176:177], v[172:173], v[170:171]
	ds_load_2addr_b64 v[174:177], v169 offset0:48 offset1:49
	v_add_f64 v[76:77], v[76:77], -v[84:85]
	v_add_f64 v[78:79], v[78:79], -v[170:171]
	;; [unrolled: 9-line block ×20, first 2 shown]
	s_waitcnt lgkmcnt(0)
	v_mul_f64 v[84:85], v[176:177], v[86:87]
	v_mul_f64 v[170:171], v[174:175], v[86:87]
	s_delay_alu instid0(VALU_DEP_2) | instskip(NEXT) | instid1(VALU_DEP_2)
	v_fma_f64 v[84:85], v[174:175], v[172:173], -v[84:85]
	v_fma_f64 v[170:171], v[176:177], v[172:173], v[170:171]
	s_delay_alu instid0(VALU_DEP_2) | instskip(NEXT) | instid1(VALU_DEP_2)
	v_add_f64 v[0:1], v[0:1], -v[84:85]
	v_add_f64 v[2:3], v[2:3], -v[170:171]
	v_dual_mov_b32 v84, v172 :: v_dual_mov_b32 v85, v173
.LBB85_199:
	s_or_b32 exec_lo, exec_lo, s3
	s_delay_alu instid0(SALU_CYCLE_1)
	s_mov_b32 s4, exec_lo
	s_waitcnt_vscnt null, 0x0
	s_barrier
	buffer_gl0_inv
	v_cmpx_eq_u32_e32 22, v252
	s_cbranch_execz .LBB85_206
; %bb.200:
	ds_store_2addr_b64 v168, v[80:81], v[82:83] offset1:1
	ds_store_2addr_b64 v169, v[76:77], v[78:79] offset0:46 offset1:47
	ds_store_2addr_b64 v169, v[72:73], v[74:75] offset0:48 offset1:49
	;; [unrolled: 1-line block ×20, first 2 shown]
	ds_load_2addr_b64 v[172:175], v168 offset1:1
	s_waitcnt lgkmcnt(0)
	v_cmp_neq_f64_e32 vcc_lo, 0, v[172:173]
	v_cmp_neq_f64_e64 s3, 0, v[174:175]
	s_delay_alu instid0(VALU_DEP_1) | instskip(NEXT) | instid1(SALU_CYCLE_1)
	s_or_b32 s3, vcc_lo, s3
	s_and_b32 exec_lo, exec_lo, s3
	s_cbranch_execz .LBB85_206
; %bb.201:
	v_cmp_gt_f64_e32 vcc_lo, 0, v[172:173]
	v_xor_b32_e32 v170, 0x80000000, v173
	v_xor_b32_e32 v176, 0x80000000, v175
	s_mov_b32 s3, exec_lo
                                        ; implicit-def: $vgpr180_vgpr181
	s_delay_alu instid0(VALU_DEP_2) | instskip(SKIP_1) | instid1(VALU_DEP_3)
	v_dual_cndmask_b32 v171, v173, v170 :: v_dual_cndmask_b32 v170, v172, v172
	v_cmp_gt_f64_e32 vcc_lo, 0, v[174:175]
	v_dual_cndmask_b32 v177, v175, v176 :: v_dual_cndmask_b32 v176, v174, v174
	s_delay_alu instid0(VALU_DEP_1)
	v_cmpx_ngt_f64_e32 v[170:171], v[176:177]
	s_xor_b32 s3, exec_lo, s3
                                        ; implicit-def: $vgpr176_vgpr177_vgpr178_vgpr179
	s_cbranch_execz .LBB85_203
; %bb.202:
	v_div_scale_f64 v[170:171], null, v[174:175], v[174:175], v[172:173]
	v_div_scale_f64 v[180:181], vcc_lo, v[172:173], v[174:175], v[172:173]
	s_delay_alu instid0(VALU_DEP_2) | instskip(SKIP_2) | instid1(VALU_DEP_1)
	v_rcp_f64_e32 v[176:177], v[170:171]
	s_waitcnt_depctr 0xfff
	v_fma_f64 v[178:179], -v[170:171], v[176:177], 1.0
	v_fma_f64 v[176:177], v[176:177], v[178:179], v[176:177]
	s_delay_alu instid0(VALU_DEP_1) | instskip(NEXT) | instid1(VALU_DEP_1)
	v_fma_f64 v[178:179], -v[170:171], v[176:177], 1.0
	v_fma_f64 v[176:177], v[176:177], v[178:179], v[176:177]
	s_delay_alu instid0(VALU_DEP_1) | instskip(NEXT) | instid1(VALU_DEP_1)
	v_mul_f64 v[178:179], v[180:181], v[176:177]
	v_fma_f64 v[170:171], -v[170:171], v[178:179], v[180:181]
	s_delay_alu instid0(VALU_DEP_1) | instskip(NEXT) | instid1(VALU_DEP_1)
	v_div_fmas_f64 v[170:171], v[170:171], v[176:177], v[178:179]
	v_div_fixup_f64 v[170:171], v[170:171], v[174:175], v[172:173]
	s_delay_alu instid0(VALU_DEP_1) | instskip(NEXT) | instid1(VALU_DEP_1)
	v_fma_f64 v[172:173], v[172:173], v[170:171], v[174:175]
	v_div_scale_f64 v[174:175], null, v[172:173], v[172:173], 1.0
	s_delay_alu instid0(VALU_DEP_1) | instskip(SKIP_2) | instid1(VALU_DEP_1)
	v_rcp_f64_e32 v[176:177], v[174:175]
	s_waitcnt_depctr 0xfff
	v_fma_f64 v[178:179], -v[174:175], v[176:177], 1.0
	v_fma_f64 v[176:177], v[176:177], v[178:179], v[176:177]
	s_delay_alu instid0(VALU_DEP_1) | instskip(NEXT) | instid1(VALU_DEP_1)
	v_fma_f64 v[178:179], -v[174:175], v[176:177], 1.0
	v_fma_f64 v[176:177], v[176:177], v[178:179], v[176:177]
	v_div_scale_f64 v[178:179], vcc_lo, 1.0, v[172:173], 1.0
	s_delay_alu instid0(VALU_DEP_1) | instskip(NEXT) | instid1(VALU_DEP_1)
	v_mul_f64 v[180:181], v[178:179], v[176:177]
	v_fma_f64 v[174:175], -v[174:175], v[180:181], v[178:179]
	s_delay_alu instid0(VALU_DEP_1) | instskip(NEXT) | instid1(VALU_DEP_1)
	v_div_fmas_f64 v[174:175], v[174:175], v[176:177], v[180:181]
	v_div_fixup_f64 v[178:179], v[174:175], v[172:173], 1.0
                                        ; implicit-def: $vgpr172_vgpr173
	s_delay_alu instid0(VALU_DEP_1)
	v_mul_f64 v[180:181], v[170:171], v[178:179]
	v_xor_b32_e32 v179, 0x80000000, v179
.LBB85_203:
	s_and_not1_saveexec_b32 s3, s3
	s_cbranch_execz .LBB85_205
; %bb.204:
	v_div_scale_f64 v[170:171], null, v[172:173], v[172:173], v[174:175]
	v_div_scale_f64 v[180:181], vcc_lo, v[174:175], v[172:173], v[174:175]
	s_delay_alu instid0(VALU_DEP_2) | instskip(SKIP_2) | instid1(VALU_DEP_1)
	v_rcp_f64_e32 v[176:177], v[170:171]
	s_waitcnt_depctr 0xfff
	v_fma_f64 v[178:179], -v[170:171], v[176:177], 1.0
	v_fma_f64 v[176:177], v[176:177], v[178:179], v[176:177]
	s_delay_alu instid0(VALU_DEP_1) | instskip(NEXT) | instid1(VALU_DEP_1)
	v_fma_f64 v[178:179], -v[170:171], v[176:177], 1.0
	v_fma_f64 v[176:177], v[176:177], v[178:179], v[176:177]
	s_delay_alu instid0(VALU_DEP_1) | instskip(NEXT) | instid1(VALU_DEP_1)
	v_mul_f64 v[178:179], v[180:181], v[176:177]
	v_fma_f64 v[170:171], -v[170:171], v[178:179], v[180:181]
	s_delay_alu instid0(VALU_DEP_1) | instskip(NEXT) | instid1(VALU_DEP_1)
	v_div_fmas_f64 v[170:171], v[170:171], v[176:177], v[178:179]
	v_div_fixup_f64 v[170:171], v[170:171], v[172:173], v[174:175]
	s_delay_alu instid0(VALU_DEP_1) | instskip(NEXT) | instid1(VALU_DEP_1)
	v_fma_f64 v[172:173], v[174:175], v[170:171], v[172:173]
	v_div_scale_f64 v[174:175], null, v[172:173], v[172:173], 1.0
	s_delay_alu instid0(VALU_DEP_1) | instskip(SKIP_2) | instid1(VALU_DEP_1)
	v_rcp_f64_e32 v[176:177], v[174:175]
	s_waitcnt_depctr 0xfff
	v_fma_f64 v[178:179], -v[174:175], v[176:177], 1.0
	v_fma_f64 v[176:177], v[176:177], v[178:179], v[176:177]
	s_delay_alu instid0(VALU_DEP_1) | instskip(NEXT) | instid1(VALU_DEP_1)
	v_fma_f64 v[178:179], -v[174:175], v[176:177], 1.0
	v_fma_f64 v[176:177], v[176:177], v[178:179], v[176:177]
	v_div_scale_f64 v[178:179], vcc_lo, 1.0, v[172:173], 1.0
	s_delay_alu instid0(VALU_DEP_1) | instskip(NEXT) | instid1(VALU_DEP_1)
	v_mul_f64 v[180:181], v[178:179], v[176:177]
	v_fma_f64 v[174:175], -v[174:175], v[180:181], v[178:179]
	s_delay_alu instid0(VALU_DEP_1) | instskip(NEXT) | instid1(VALU_DEP_1)
	v_div_fmas_f64 v[174:175], v[174:175], v[176:177], v[180:181]
	v_div_fixup_f64 v[180:181], v[174:175], v[172:173], 1.0
	s_delay_alu instid0(VALU_DEP_1)
	v_mul_f64 v[178:179], v[170:171], -v[180:181]
.LBB85_205:
	s_or_b32 exec_lo, exec_lo, s3
	ds_store_2addr_b64 v168, v[180:181], v[178:179] offset1:1
.LBB85_206:
	s_or_b32 exec_lo, exec_lo, s4
	s_waitcnt lgkmcnt(0)
	s_barrier
	buffer_gl0_inv
	ds_load_2addr_b64 v[170:173], v168 offset1:1
	s_mov_b32 s3, exec_lo
	s_waitcnt lgkmcnt(0)
	scratch_store_b128 off, v[170:173], off offset:712 ; 16-byte Folded Spill
	v_cmpx_lt_u32_e32 22, v252
	s_cbranch_execz .LBB85_208
; %bb.207:
	scratch_load_b128 v[174:177], off, off offset:712 ; 16-byte Folded Reload
	s_waitcnt vmcnt(0)
	v_mul_f64 v[170:171], v[176:177], v[82:83]
	v_mul_f64 v[82:83], v[174:175], v[82:83]
	s_delay_alu instid0(VALU_DEP_2) | instskip(NEXT) | instid1(VALU_DEP_2)
	v_fma_f64 v[172:173], v[174:175], v[80:81], -v[170:171]
	v_fma_f64 v[82:83], v[176:177], v[80:81], v[82:83]
	ds_load_2addr_b64 v[174:177], v169 offset0:46 offset1:47
	s_waitcnt lgkmcnt(0)
	v_mul_f64 v[80:81], v[176:177], v[82:83]
	v_mul_f64 v[170:171], v[174:175], v[82:83]
	s_delay_alu instid0(VALU_DEP_2) | instskip(NEXT) | instid1(VALU_DEP_2)
	v_fma_f64 v[80:81], v[174:175], v[172:173], -v[80:81]
	v_fma_f64 v[170:171], v[176:177], v[172:173], v[170:171]
	ds_load_2addr_b64 v[174:177], v169 offset0:48 offset1:49
	v_add_f64 v[76:77], v[76:77], -v[80:81]
	v_add_f64 v[78:79], v[78:79], -v[170:171]
	s_waitcnt lgkmcnt(0)
	v_mul_f64 v[80:81], v[176:177], v[82:83]
	v_mul_f64 v[170:171], v[174:175], v[82:83]
	s_delay_alu instid0(VALU_DEP_2) | instskip(NEXT) | instid1(VALU_DEP_2)
	v_fma_f64 v[80:81], v[174:175], v[172:173], -v[80:81]
	v_fma_f64 v[170:171], v[176:177], v[172:173], v[170:171]
	ds_load_2addr_b64 v[174:177], v169 offset0:50 offset1:51
	v_add_f64 v[72:73], v[72:73], -v[80:81]
	v_add_f64 v[74:75], v[74:75], -v[170:171]
	;; [unrolled: 9-line block ×19, first 2 shown]
	s_waitcnt lgkmcnt(0)
	v_mul_f64 v[80:81], v[176:177], v[82:83]
	v_mul_f64 v[170:171], v[174:175], v[82:83]
	s_delay_alu instid0(VALU_DEP_2) | instskip(NEXT) | instid1(VALU_DEP_2)
	v_fma_f64 v[80:81], v[174:175], v[172:173], -v[80:81]
	v_fma_f64 v[170:171], v[176:177], v[172:173], v[170:171]
	s_delay_alu instid0(VALU_DEP_2) | instskip(NEXT) | instid1(VALU_DEP_2)
	v_add_f64 v[0:1], v[0:1], -v[80:81]
	v_add_f64 v[2:3], v[2:3], -v[170:171]
	v_dual_mov_b32 v80, v172 :: v_dual_mov_b32 v81, v173
.LBB85_208:
	s_or_b32 exec_lo, exec_lo, s3
	s_delay_alu instid0(SALU_CYCLE_1)
	s_mov_b32 s4, exec_lo
	s_waitcnt_vscnt null, 0x0
	s_barrier
	buffer_gl0_inv
	v_cmpx_eq_u32_e32 23, v252
	s_cbranch_execz .LBB85_215
; %bb.209:
	ds_store_2addr_b64 v168, v[76:77], v[78:79] offset1:1
	ds_store_2addr_b64 v169, v[72:73], v[74:75] offset0:48 offset1:49
	ds_store_2addr_b64 v169, v[68:69], v[70:71] offset0:50 offset1:51
	;; [unrolled: 1-line block ×19, first 2 shown]
	ds_load_2addr_b64 v[172:175], v168 offset1:1
	s_waitcnt lgkmcnt(0)
	v_cmp_neq_f64_e32 vcc_lo, 0, v[172:173]
	v_cmp_neq_f64_e64 s3, 0, v[174:175]
	s_delay_alu instid0(VALU_DEP_1) | instskip(NEXT) | instid1(SALU_CYCLE_1)
	s_or_b32 s3, vcc_lo, s3
	s_and_b32 exec_lo, exec_lo, s3
	s_cbranch_execz .LBB85_215
; %bb.210:
	v_cmp_gt_f64_e32 vcc_lo, 0, v[172:173]
	v_xor_b32_e32 v170, 0x80000000, v173
	v_xor_b32_e32 v176, 0x80000000, v175
	s_delay_alu instid0(VALU_DEP_2) | instskip(SKIP_1) | instid1(VALU_DEP_3)
	v_dual_cndmask_b32 v171, v173, v170 :: v_dual_cndmask_b32 v170, v172, v172
	v_cmp_gt_f64_e32 vcc_lo, 0, v[174:175]
	v_dual_cndmask_b32 v177, v175, v176 :: v_dual_cndmask_b32 v176, v174, v174
	s_delay_alu instid0(VALU_DEP_1) | instskip(SKIP_1) | instid1(SALU_CYCLE_1)
	v_cmp_ngt_f64_e32 vcc_lo, v[170:171], v[176:177]
                                        ; implicit-def: $vgpr176_vgpr177
	s_and_saveexec_b32 s3, vcc_lo
	s_xor_b32 s3, exec_lo, s3
                                        ; implicit-def: $vgpr180_vgpr181_vgpr182_vgpr183
	s_cbranch_execz .LBB85_212
; %bb.211:
	v_div_scale_f64 v[170:171], null, v[174:175], v[174:175], v[172:173]
	v_div_scale_f64 v[180:181], vcc_lo, v[172:173], v[174:175], v[172:173]
	s_delay_alu instid0(VALU_DEP_2) | instskip(SKIP_2) | instid1(VALU_DEP_1)
	v_rcp_f64_e32 v[176:177], v[170:171]
	s_waitcnt_depctr 0xfff
	v_fma_f64 v[178:179], -v[170:171], v[176:177], 1.0
	v_fma_f64 v[176:177], v[176:177], v[178:179], v[176:177]
	s_delay_alu instid0(VALU_DEP_1) | instskip(NEXT) | instid1(VALU_DEP_1)
	v_fma_f64 v[178:179], -v[170:171], v[176:177], 1.0
	v_fma_f64 v[176:177], v[176:177], v[178:179], v[176:177]
	s_delay_alu instid0(VALU_DEP_1) | instskip(NEXT) | instid1(VALU_DEP_1)
	v_mul_f64 v[178:179], v[180:181], v[176:177]
	v_fma_f64 v[170:171], -v[170:171], v[178:179], v[180:181]
	s_delay_alu instid0(VALU_DEP_1) | instskip(NEXT) | instid1(VALU_DEP_1)
	v_div_fmas_f64 v[170:171], v[170:171], v[176:177], v[178:179]
	v_div_fixup_f64 v[170:171], v[170:171], v[174:175], v[172:173]
	s_delay_alu instid0(VALU_DEP_1) | instskip(NEXT) | instid1(VALU_DEP_1)
	v_fma_f64 v[172:173], v[172:173], v[170:171], v[174:175]
	v_div_scale_f64 v[174:175], null, v[172:173], v[172:173], 1.0
	s_delay_alu instid0(VALU_DEP_1) | instskip(SKIP_2) | instid1(VALU_DEP_1)
	v_rcp_f64_e32 v[176:177], v[174:175]
	s_waitcnt_depctr 0xfff
	v_fma_f64 v[178:179], -v[174:175], v[176:177], 1.0
	v_fma_f64 v[176:177], v[176:177], v[178:179], v[176:177]
	s_delay_alu instid0(VALU_DEP_1) | instskip(NEXT) | instid1(VALU_DEP_1)
	v_fma_f64 v[178:179], -v[174:175], v[176:177], 1.0
	v_fma_f64 v[176:177], v[176:177], v[178:179], v[176:177]
	v_div_scale_f64 v[178:179], vcc_lo, 1.0, v[172:173], 1.0
	s_delay_alu instid0(VALU_DEP_1) | instskip(NEXT) | instid1(VALU_DEP_1)
	v_mul_f64 v[180:181], v[178:179], v[176:177]
	v_fma_f64 v[174:175], -v[174:175], v[180:181], v[178:179]
	s_delay_alu instid0(VALU_DEP_1) | instskip(NEXT) | instid1(VALU_DEP_1)
	v_div_fmas_f64 v[174:175], v[174:175], v[176:177], v[180:181]
	v_div_fixup_f64 v[182:183], v[174:175], v[172:173], 1.0
                                        ; implicit-def: $vgpr172_vgpr173
	s_delay_alu instid0(VALU_DEP_1)
	v_mul_f64 v[176:177], v[170:171], v[182:183]
	v_xor_b32_e32 v183, 0x80000000, v183
.LBB85_212:
	s_and_not1_saveexec_b32 s3, s3
	s_cbranch_execz .LBB85_214
; %bb.213:
	v_div_scale_f64 v[170:171], null, v[172:173], v[172:173], v[174:175]
	v_div_scale_f64 v[180:181], vcc_lo, v[174:175], v[172:173], v[174:175]
	s_delay_alu instid0(VALU_DEP_2) | instskip(SKIP_2) | instid1(VALU_DEP_1)
	v_rcp_f64_e32 v[176:177], v[170:171]
	s_waitcnt_depctr 0xfff
	v_fma_f64 v[178:179], -v[170:171], v[176:177], 1.0
	v_fma_f64 v[176:177], v[176:177], v[178:179], v[176:177]
	s_delay_alu instid0(VALU_DEP_1) | instskip(NEXT) | instid1(VALU_DEP_1)
	v_fma_f64 v[178:179], -v[170:171], v[176:177], 1.0
	v_fma_f64 v[176:177], v[176:177], v[178:179], v[176:177]
	s_delay_alu instid0(VALU_DEP_1) | instskip(NEXT) | instid1(VALU_DEP_1)
	v_mul_f64 v[178:179], v[180:181], v[176:177]
	v_fma_f64 v[170:171], -v[170:171], v[178:179], v[180:181]
	s_delay_alu instid0(VALU_DEP_1) | instskip(NEXT) | instid1(VALU_DEP_1)
	v_div_fmas_f64 v[170:171], v[170:171], v[176:177], v[178:179]
	v_div_fixup_f64 v[170:171], v[170:171], v[172:173], v[174:175]
	s_delay_alu instid0(VALU_DEP_1) | instskip(NEXT) | instid1(VALU_DEP_1)
	v_fma_f64 v[172:173], v[174:175], v[170:171], v[172:173]
	v_div_scale_f64 v[174:175], null, v[172:173], v[172:173], 1.0
	s_delay_alu instid0(VALU_DEP_1) | instskip(SKIP_2) | instid1(VALU_DEP_1)
	v_rcp_f64_e32 v[176:177], v[174:175]
	s_waitcnt_depctr 0xfff
	v_fma_f64 v[178:179], -v[174:175], v[176:177], 1.0
	v_fma_f64 v[176:177], v[176:177], v[178:179], v[176:177]
	s_delay_alu instid0(VALU_DEP_1) | instskip(NEXT) | instid1(VALU_DEP_1)
	v_fma_f64 v[178:179], -v[174:175], v[176:177], 1.0
	v_fma_f64 v[176:177], v[176:177], v[178:179], v[176:177]
	v_div_scale_f64 v[178:179], vcc_lo, 1.0, v[172:173], 1.0
	s_delay_alu instid0(VALU_DEP_1) | instskip(NEXT) | instid1(VALU_DEP_1)
	v_mul_f64 v[180:181], v[178:179], v[176:177]
	v_fma_f64 v[174:175], -v[174:175], v[180:181], v[178:179]
	s_delay_alu instid0(VALU_DEP_1) | instskip(NEXT) | instid1(VALU_DEP_1)
	v_div_fmas_f64 v[174:175], v[174:175], v[176:177], v[180:181]
	v_div_fixup_f64 v[176:177], v[174:175], v[172:173], 1.0
	s_delay_alu instid0(VALU_DEP_1)
	v_mul_f64 v[182:183], v[170:171], -v[176:177]
.LBB85_214:
	s_or_b32 exec_lo, exec_lo, s3
	ds_store_2addr_b64 v168, v[176:177], v[182:183] offset1:1
.LBB85_215:
	s_or_b32 exec_lo, exec_lo, s4
	s_waitcnt lgkmcnt(0)
	s_barrier
	buffer_gl0_inv
	ds_load_2addr_b64 v[170:173], v168 offset1:1
	s_mov_b32 s3, exec_lo
	s_waitcnt lgkmcnt(0)
	scratch_store_b128 off, v[170:173], off offset:728 ; 16-byte Folded Spill
	v_cmpx_lt_u32_e32 23, v252
	s_cbranch_execz .LBB85_217
; %bb.216:
	scratch_load_b128 v[174:177], off, off offset:728 ; 16-byte Folded Reload
	s_waitcnt vmcnt(0)
	v_mul_f64 v[170:171], v[176:177], v[78:79]
	v_mul_f64 v[78:79], v[174:175], v[78:79]
	s_delay_alu instid0(VALU_DEP_2) | instskip(NEXT) | instid1(VALU_DEP_2)
	v_fma_f64 v[172:173], v[174:175], v[76:77], -v[170:171]
	v_fma_f64 v[78:79], v[176:177], v[76:77], v[78:79]
	ds_load_2addr_b64 v[174:177], v169 offset0:48 offset1:49
	s_waitcnt lgkmcnt(0)
	v_mul_f64 v[76:77], v[176:177], v[78:79]
	v_mul_f64 v[170:171], v[174:175], v[78:79]
	s_delay_alu instid0(VALU_DEP_2) | instskip(NEXT) | instid1(VALU_DEP_2)
	v_fma_f64 v[76:77], v[174:175], v[172:173], -v[76:77]
	v_fma_f64 v[170:171], v[176:177], v[172:173], v[170:171]
	ds_load_2addr_b64 v[174:177], v169 offset0:50 offset1:51
	v_add_f64 v[72:73], v[72:73], -v[76:77]
	v_add_f64 v[74:75], v[74:75], -v[170:171]
	s_waitcnt lgkmcnt(0)
	v_mul_f64 v[76:77], v[176:177], v[78:79]
	v_mul_f64 v[170:171], v[174:175], v[78:79]
	s_delay_alu instid0(VALU_DEP_2) | instskip(NEXT) | instid1(VALU_DEP_2)
	v_fma_f64 v[76:77], v[174:175], v[172:173], -v[76:77]
	v_fma_f64 v[170:171], v[176:177], v[172:173], v[170:171]
	ds_load_2addr_b64 v[174:177], v169 offset0:52 offset1:53
	v_add_f64 v[68:69], v[68:69], -v[76:77]
	v_add_f64 v[70:71], v[70:71], -v[170:171]
	s_waitcnt lgkmcnt(0)
	v_mul_f64 v[76:77], v[176:177], v[78:79]
	v_mul_f64 v[170:171], v[174:175], v[78:79]
	s_delay_alu instid0(VALU_DEP_2) | instskip(NEXT) | instid1(VALU_DEP_2)
	v_fma_f64 v[76:77], v[174:175], v[172:173], -v[76:77]
	v_fma_f64 v[170:171], v[176:177], v[172:173], v[170:171]
	ds_load_2addr_b64 v[174:177], v169 offset0:54 offset1:55
	v_add_f64 v[64:65], v[64:65], -v[76:77]
	v_add_f64 v[66:67], v[66:67], -v[170:171]
	s_waitcnt lgkmcnt(0)
	v_mul_f64 v[76:77], v[176:177], v[78:79]
	v_mul_f64 v[170:171], v[174:175], v[78:79]
	s_delay_alu instid0(VALU_DEP_2) | instskip(NEXT) | instid1(VALU_DEP_2)
	v_fma_f64 v[76:77], v[174:175], v[172:173], -v[76:77]
	v_fma_f64 v[170:171], v[176:177], v[172:173], v[170:171]
	ds_load_2addr_b64 v[174:177], v169 offset0:56 offset1:57
	v_add_f64 v[60:61], v[60:61], -v[76:77]
	v_add_f64 v[62:63], v[62:63], -v[170:171]
	s_waitcnt lgkmcnt(0)
	v_mul_f64 v[76:77], v[176:177], v[78:79]
	v_mul_f64 v[170:171], v[174:175], v[78:79]
	s_delay_alu instid0(VALU_DEP_2) | instskip(NEXT) | instid1(VALU_DEP_2)
	v_fma_f64 v[76:77], v[174:175], v[172:173], -v[76:77]
	v_fma_f64 v[170:171], v[176:177], v[172:173], v[170:171]
	ds_load_2addr_b64 v[174:177], v169 offset0:58 offset1:59
	v_add_f64 v[56:57], v[56:57], -v[76:77]
	v_add_f64 v[58:59], v[58:59], -v[170:171]
	s_waitcnt lgkmcnt(0)
	v_mul_f64 v[76:77], v[176:177], v[78:79]
	v_mul_f64 v[170:171], v[174:175], v[78:79]
	s_delay_alu instid0(VALU_DEP_2) | instskip(NEXT) | instid1(VALU_DEP_2)
	v_fma_f64 v[76:77], v[174:175], v[172:173], -v[76:77]
	v_fma_f64 v[170:171], v[176:177], v[172:173], v[170:171]
	ds_load_2addr_b64 v[174:177], v169 offset0:60 offset1:61
	v_add_f64 v[52:53], v[52:53], -v[76:77]
	v_add_f64 v[54:55], v[54:55], -v[170:171]
	s_waitcnt lgkmcnt(0)
	v_mul_f64 v[76:77], v[176:177], v[78:79]
	v_mul_f64 v[170:171], v[174:175], v[78:79]
	s_delay_alu instid0(VALU_DEP_2) | instskip(NEXT) | instid1(VALU_DEP_2)
	v_fma_f64 v[76:77], v[174:175], v[172:173], -v[76:77]
	v_fma_f64 v[170:171], v[176:177], v[172:173], v[170:171]
	ds_load_2addr_b64 v[174:177], v169 offset0:62 offset1:63
	v_add_f64 v[48:49], v[48:49], -v[76:77]
	v_add_f64 v[50:51], v[50:51], -v[170:171]
	s_waitcnt lgkmcnt(0)
	v_mul_f64 v[76:77], v[176:177], v[78:79]
	v_mul_f64 v[170:171], v[174:175], v[78:79]
	s_delay_alu instid0(VALU_DEP_2) | instskip(NEXT) | instid1(VALU_DEP_2)
	v_fma_f64 v[76:77], v[174:175], v[172:173], -v[76:77]
	v_fma_f64 v[170:171], v[176:177], v[172:173], v[170:171]
	ds_load_2addr_b64 v[174:177], v169 offset0:64 offset1:65
	v_add_f64 v[44:45], v[44:45], -v[76:77]
	v_add_f64 v[46:47], v[46:47], -v[170:171]
	s_waitcnt lgkmcnt(0)
	v_mul_f64 v[76:77], v[176:177], v[78:79]
	v_mul_f64 v[170:171], v[174:175], v[78:79]
	s_delay_alu instid0(VALU_DEP_2) | instskip(NEXT) | instid1(VALU_DEP_2)
	v_fma_f64 v[76:77], v[174:175], v[172:173], -v[76:77]
	v_fma_f64 v[170:171], v[176:177], v[172:173], v[170:171]
	ds_load_2addr_b64 v[174:177], v169 offset0:66 offset1:67
	v_add_f64 v[40:41], v[40:41], -v[76:77]
	v_add_f64 v[42:43], v[42:43], -v[170:171]
	s_waitcnt lgkmcnt(0)
	v_mul_f64 v[76:77], v[176:177], v[78:79]
	v_mul_f64 v[170:171], v[174:175], v[78:79]
	s_delay_alu instid0(VALU_DEP_2) | instskip(NEXT) | instid1(VALU_DEP_2)
	v_fma_f64 v[76:77], v[174:175], v[172:173], -v[76:77]
	v_fma_f64 v[170:171], v[176:177], v[172:173], v[170:171]
	ds_load_2addr_b64 v[174:177], v169 offset0:68 offset1:69
	v_add_f64 v[36:37], v[36:37], -v[76:77]
	v_add_f64 v[38:39], v[38:39], -v[170:171]
	s_waitcnt lgkmcnt(0)
	v_mul_f64 v[76:77], v[176:177], v[78:79]
	v_mul_f64 v[170:171], v[174:175], v[78:79]
	s_delay_alu instid0(VALU_DEP_2) | instskip(NEXT) | instid1(VALU_DEP_2)
	v_fma_f64 v[76:77], v[174:175], v[172:173], -v[76:77]
	v_fma_f64 v[170:171], v[176:177], v[172:173], v[170:171]
	ds_load_2addr_b64 v[174:177], v169 offset0:70 offset1:71
	v_add_f64 v[32:33], v[32:33], -v[76:77]
	v_add_f64 v[34:35], v[34:35], -v[170:171]
	s_waitcnt lgkmcnt(0)
	v_mul_f64 v[76:77], v[176:177], v[78:79]
	v_mul_f64 v[170:171], v[174:175], v[78:79]
	s_delay_alu instid0(VALU_DEP_2) | instskip(NEXT) | instid1(VALU_DEP_2)
	v_fma_f64 v[76:77], v[174:175], v[172:173], -v[76:77]
	v_fma_f64 v[170:171], v[176:177], v[172:173], v[170:171]
	ds_load_2addr_b64 v[174:177], v169 offset0:72 offset1:73
	v_add_f64 v[28:29], v[28:29], -v[76:77]
	v_add_f64 v[30:31], v[30:31], -v[170:171]
	s_waitcnt lgkmcnt(0)
	v_mul_f64 v[76:77], v[176:177], v[78:79]
	v_mul_f64 v[170:171], v[174:175], v[78:79]
	s_delay_alu instid0(VALU_DEP_2) | instskip(NEXT) | instid1(VALU_DEP_2)
	v_fma_f64 v[76:77], v[174:175], v[172:173], -v[76:77]
	v_fma_f64 v[170:171], v[176:177], v[172:173], v[170:171]
	ds_load_2addr_b64 v[174:177], v169 offset0:74 offset1:75
	v_add_f64 v[24:25], v[24:25], -v[76:77]
	v_add_f64 v[26:27], v[26:27], -v[170:171]
	s_waitcnt lgkmcnt(0)
	v_mul_f64 v[76:77], v[176:177], v[78:79]
	v_mul_f64 v[170:171], v[174:175], v[78:79]
	s_delay_alu instid0(VALU_DEP_2) | instskip(NEXT) | instid1(VALU_DEP_2)
	v_fma_f64 v[76:77], v[174:175], v[172:173], -v[76:77]
	v_fma_f64 v[170:171], v[176:177], v[172:173], v[170:171]
	ds_load_2addr_b64 v[174:177], v169 offset0:76 offset1:77
	v_add_f64 v[20:21], v[20:21], -v[76:77]
	v_add_f64 v[22:23], v[22:23], -v[170:171]
	s_waitcnt lgkmcnt(0)
	v_mul_f64 v[76:77], v[176:177], v[78:79]
	v_mul_f64 v[170:171], v[174:175], v[78:79]
	s_delay_alu instid0(VALU_DEP_2) | instskip(NEXT) | instid1(VALU_DEP_2)
	v_fma_f64 v[76:77], v[174:175], v[172:173], -v[76:77]
	v_fma_f64 v[170:171], v[176:177], v[172:173], v[170:171]
	ds_load_2addr_b64 v[174:177], v169 offset0:78 offset1:79
	v_add_f64 v[16:17], v[16:17], -v[76:77]
	v_add_f64 v[18:19], v[18:19], -v[170:171]
	s_waitcnt lgkmcnt(0)
	v_mul_f64 v[76:77], v[176:177], v[78:79]
	v_mul_f64 v[170:171], v[174:175], v[78:79]
	s_delay_alu instid0(VALU_DEP_2) | instskip(NEXT) | instid1(VALU_DEP_2)
	v_fma_f64 v[76:77], v[174:175], v[172:173], -v[76:77]
	v_fma_f64 v[170:171], v[176:177], v[172:173], v[170:171]
	ds_load_2addr_b64 v[174:177], v169 offset0:80 offset1:81
	v_add_f64 v[12:13], v[12:13], -v[76:77]
	v_add_f64 v[14:15], v[14:15], -v[170:171]
	s_waitcnt lgkmcnt(0)
	v_mul_f64 v[76:77], v[176:177], v[78:79]
	v_mul_f64 v[170:171], v[174:175], v[78:79]
	s_delay_alu instid0(VALU_DEP_2) | instskip(NEXT) | instid1(VALU_DEP_2)
	v_fma_f64 v[76:77], v[174:175], v[172:173], -v[76:77]
	v_fma_f64 v[170:171], v[176:177], v[172:173], v[170:171]
	ds_load_2addr_b64 v[174:177], v169 offset0:82 offset1:83
	v_add_f64 v[8:9], v[8:9], -v[76:77]
	v_add_f64 v[10:11], v[10:11], -v[170:171]
	s_waitcnt lgkmcnt(0)
	v_mul_f64 v[76:77], v[176:177], v[78:79]
	v_mul_f64 v[170:171], v[174:175], v[78:79]
	s_delay_alu instid0(VALU_DEP_2) | instskip(NEXT) | instid1(VALU_DEP_2)
	v_fma_f64 v[76:77], v[174:175], v[172:173], -v[76:77]
	v_fma_f64 v[170:171], v[176:177], v[172:173], v[170:171]
	ds_load_2addr_b64 v[174:177], v169 offset0:84 offset1:85
	v_add_f64 v[4:5], v[4:5], -v[76:77]
	v_add_f64 v[6:7], v[6:7], -v[170:171]
	s_waitcnt lgkmcnt(0)
	v_mul_f64 v[76:77], v[176:177], v[78:79]
	v_mul_f64 v[170:171], v[174:175], v[78:79]
	s_delay_alu instid0(VALU_DEP_2) | instskip(NEXT) | instid1(VALU_DEP_2)
	v_fma_f64 v[76:77], v[174:175], v[172:173], -v[76:77]
	v_fma_f64 v[170:171], v[176:177], v[172:173], v[170:171]
	s_delay_alu instid0(VALU_DEP_2) | instskip(NEXT) | instid1(VALU_DEP_2)
	v_add_f64 v[0:1], v[0:1], -v[76:77]
	v_add_f64 v[2:3], v[2:3], -v[170:171]
	v_dual_mov_b32 v76, v172 :: v_dual_mov_b32 v77, v173
.LBB85_217:
	s_or_b32 exec_lo, exec_lo, s3
	s_delay_alu instid0(SALU_CYCLE_1)
	s_mov_b32 s4, exec_lo
	s_waitcnt_vscnt null, 0x0
	s_barrier
	buffer_gl0_inv
	v_cmpx_eq_u32_e32 24, v252
	s_cbranch_execz .LBB85_224
; %bb.218:
	ds_store_2addr_b64 v168, v[72:73], v[74:75] offset1:1
	ds_store_2addr_b64 v169, v[68:69], v[70:71] offset0:50 offset1:51
	ds_store_2addr_b64 v169, v[64:65], v[66:67] offset0:52 offset1:53
	;; [unrolled: 1-line block ×18, first 2 shown]
	ds_load_2addr_b64 v[172:175], v168 offset1:1
	s_waitcnt lgkmcnt(0)
	v_cmp_neq_f64_e32 vcc_lo, 0, v[172:173]
	v_cmp_neq_f64_e64 s3, 0, v[174:175]
	s_delay_alu instid0(VALU_DEP_1) | instskip(NEXT) | instid1(SALU_CYCLE_1)
	s_or_b32 s3, vcc_lo, s3
	s_and_b32 exec_lo, exec_lo, s3
	s_cbranch_execz .LBB85_224
; %bb.219:
	v_cmp_gt_f64_e32 vcc_lo, 0, v[172:173]
	v_xor_b32_e32 v170, 0x80000000, v173
	v_xor_b32_e32 v176, 0x80000000, v175
	s_delay_alu instid0(VALU_DEP_2) | instskip(SKIP_1) | instid1(VALU_DEP_3)
	v_dual_cndmask_b32 v171, v173, v170 :: v_dual_cndmask_b32 v170, v172, v172
	v_cmp_gt_f64_e32 vcc_lo, 0, v[174:175]
	v_dual_cndmask_b32 v177, v175, v176 :: v_dual_cndmask_b32 v176, v174, v174
	s_delay_alu instid0(VALU_DEP_1) | instskip(SKIP_1) | instid1(SALU_CYCLE_1)
	v_cmp_ngt_f64_e32 vcc_lo, v[170:171], v[176:177]
                                        ; implicit-def: $vgpr176_vgpr177
	s_and_saveexec_b32 s3, vcc_lo
	s_xor_b32 s3, exec_lo, s3
                                        ; implicit-def: $vgpr184_vgpr185_vgpr186_vgpr187
	s_cbranch_execz .LBB85_221
; %bb.220:
	v_div_scale_f64 v[170:171], null, v[174:175], v[174:175], v[172:173]
	v_div_scale_f64 v[184:185], vcc_lo, v[172:173], v[174:175], v[172:173]
	s_delay_alu instid0(VALU_DEP_2) | instskip(SKIP_2) | instid1(VALU_DEP_1)
	v_rcp_f64_e32 v[176:177], v[170:171]
	s_waitcnt_depctr 0xfff
	v_fma_f64 v[178:179], -v[170:171], v[176:177], 1.0
	v_fma_f64 v[176:177], v[176:177], v[178:179], v[176:177]
	s_delay_alu instid0(VALU_DEP_1) | instskip(NEXT) | instid1(VALU_DEP_1)
	v_fma_f64 v[178:179], -v[170:171], v[176:177], 1.0
	v_fma_f64 v[176:177], v[176:177], v[178:179], v[176:177]
	s_delay_alu instid0(VALU_DEP_1) | instskip(NEXT) | instid1(VALU_DEP_1)
	v_mul_f64 v[178:179], v[184:185], v[176:177]
	v_fma_f64 v[170:171], -v[170:171], v[178:179], v[184:185]
	s_delay_alu instid0(VALU_DEP_1) | instskip(NEXT) | instid1(VALU_DEP_1)
	v_div_fmas_f64 v[170:171], v[170:171], v[176:177], v[178:179]
	v_div_fixup_f64 v[170:171], v[170:171], v[174:175], v[172:173]
	s_delay_alu instid0(VALU_DEP_1) | instskip(NEXT) | instid1(VALU_DEP_1)
	v_fma_f64 v[172:173], v[172:173], v[170:171], v[174:175]
	v_div_scale_f64 v[174:175], null, v[172:173], v[172:173], 1.0
	s_delay_alu instid0(VALU_DEP_1) | instskip(SKIP_2) | instid1(VALU_DEP_1)
	v_rcp_f64_e32 v[176:177], v[174:175]
	s_waitcnt_depctr 0xfff
	v_fma_f64 v[178:179], -v[174:175], v[176:177], 1.0
	v_fma_f64 v[176:177], v[176:177], v[178:179], v[176:177]
	s_delay_alu instid0(VALU_DEP_1) | instskip(NEXT) | instid1(VALU_DEP_1)
	v_fma_f64 v[178:179], -v[174:175], v[176:177], 1.0
	v_fma_f64 v[176:177], v[176:177], v[178:179], v[176:177]
	v_div_scale_f64 v[178:179], vcc_lo, 1.0, v[172:173], 1.0
	s_delay_alu instid0(VALU_DEP_1) | instskip(NEXT) | instid1(VALU_DEP_1)
	v_mul_f64 v[184:185], v[178:179], v[176:177]
	v_fma_f64 v[174:175], -v[174:175], v[184:185], v[178:179]
	s_delay_alu instid0(VALU_DEP_1) | instskip(NEXT) | instid1(VALU_DEP_1)
	v_div_fmas_f64 v[174:175], v[174:175], v[176:177], v[184:185]
	v_div_fixup_f64 v[186:187], v[174:175], v[172:173], 1.0
                                        ; implicit-def: $vgpr172_vgpr173
	s_delay_alu instid0(VALU_DEP_1)
	v_mul_f64 v[176:177], v[170:171], v[186:187]
	v_xor_b32_e32 v187, 0x80000000, v187
.LBB85_221:
	s_and_not1_saveexec_b32 s3, s3
	s_cbranch_execz .LBB85_223
; %bb.222:
	v_div_scale_f64 v[170:171], null, v[172:173], v[172:173], v[174:175]
	v_div_scale_f64 v[184:185], vcc_lo, v[174:175], v[172:173], v[174:175]
	s_delay_alu instid0(VALU_DEP_2) | instskip(SKIP_2) | instid1(VALU_DEP_1)
	v_rcp_f64_e32 v[176:177], v[170:171]
	s_waitcnt_depctr 0xfff
	v_fma_f64 v[178:179], -v[170:171], v[176:177], 1.0
	v_fma_f64 v[176:177], v[176:177], v[178:179], v[176:177]
	s_delay_alu instid0(VALU_DEP_1) | instskip(NEXT) | instid1(VALU_DEP_1)
	v_fma_f64 v[178:179], -v[170:171], v[176:177], 1.0
	v_fma_f64 v[176:177], v[176:177], v[178:179], v[176:177]
	s_delay_alu instid0(VALU_DEP_1) | instskip(NEXT) | instid1(VALU_DEP_1)
	v_mul_f64 v[178:179], v[184:185], v[176:177]
	v_fma_f64 v[170:171], -v[170:171], v[178:179], v[184:185]
	s_delay_alu instid0(VALU_DEP_1) | instskip(NEXT) | instid1(VALU_DEP_1)
	v_div_fmas_f64 v[170:171], v[170:171], v[176:177], v[178:179]
	v_div_fixup_f64 v[170:171], v[170:171], v[172:173], v[174:175]
	s_delay_alu instid0(VALU_DEP_1) | instskip(NEXT) | instid1(VALU_DEP_1)
	v_fma_f64 v[172:173], v[174:175], v[170:171], v[172:173]
	v_div_scale_f64 v[174:175], null, v[172:173], v[172:173], 1.0
	s_delay_alu instid0(VALU_DEP_1) | instskip(SKIP_2) | instid1(VALU_DEP_1)
	v_rcp_f64_e32 v[176:177], v[174:175]
	s_waitcnt_depctr 0xfff
	v_fma_f64 v[178:179], -v[174:175], v[176:177], 1.0
	v_fma_f64 v[176:177], v[176:177], v[178:179], v[176:177]
	s_delay_alu instid0(VALU_DEP_1) | instskip(NEXT) | instid1(VALU_DEP_1)
	v_fma_f64 v[178:179], -v[174:175], v[176:177], 1.0
	v_fma_f64 v[176:177], v[176:177], v[178:179], v[176:177]
	v_div_scale_f64 v[178:179], vcc_lo, 1.0, v[172:173], 1.0
	s_delay_alu instid0(VALU_DEP_1) | instskip(NEXT) | instid1(VALU_DEP_1)
	v_mul_f64 v[184:185], v[178:179], v[176:177]
	v_fma_f64 v[174:175], -v[174:175], v[184:185], v[178:179]
	s_delay_alu instid0(VALU_DEP_1) | instskip(NEXT) | instid1(VALU_DEP_1)
	v_div_fmas_f64 v[174:175], v[174:175], v[176:177], v[184:185]
	v_div_fixup_f64 v[176:177], v[174:175], v[172:173], 1.0
	s_delay_alu instid0(VALU_DEP_1)
	v_mul_f64 v[186:187], v[170:171], -v[176:177]
.LBB85_223:
	s_or_b32 exec_lo, exec_lo, s3
	ds_store_2addr_b64 v168, v[176:177], v[186:187] offset1:1
.LBB85_224:
	s_or_b32 exec_lo, exec_lo, s4
	s_waitcnt lgkmcnt(0)
	s_barrier
	buffer_gl0_inv
	ds_load_2addr_b64 v[184:187], v168 offset1:1
	s_mov_b32 s3, exec_lo
	v_cmpx_lt_u32_e32 24, v252
	s_cbranch_execz .LBB85_226
; %bb.225:
	s_waitcnt lgkmcnt(0)
	v_mul_f64 v[170:171], v[186:187], v[74:75]
	v_mul_f64 v[74:75], v[184:185], v[74:75]
	ds_load_2addr_b64 v[174:177], v169 offset0:50 offset1:51
	v_fma_f64 v[172:173], v[184:185], v[72:73], -v[170:171]
	v_fma_f64 v[74:75], v[186:187], v[72:73], v[74:75]
	s_waitcnt lgkmcnt(0)
	s_delay_alu instid0(VALU_DEP_1) | instskip(SKIP_1) | instid1(VALU_DEP_2)
	v_mul_f64 v[72:73], v[176:177], v[74:75]
	v_mul_f64 v[170:171], v[174:175], v[74:75]
	v_fma_f64 v[72:73], v[174:175], v[172:173], -v[72:73]
	s_delay_alu instid0(VALU_DEP_2)
	v_fma_f64 v[170:171], v[176:177], v[172:173], v[170:171]
	ds_load_2addr_b64 v[174:177], v169 offset0:52 offset1:53
	v_add_f64 v[68:69], v[68:69], -v[72:73]
	v_add_f64 v[70:71], v[70:71], -v[170:171]
	s_waitcnt lgkmcnt(0)
	v_mul_f64 v[72:73], v[176:177], v[74:75]
	v_mul_f64 v[170:171], v[174:175], v[74:75]
	s_delay_alu instid0(VALU_DEP_2) | instskip(NEXT) | instid1(VALU_DEP_2)
	v_fma_f64 v[72:73], v[174:175], v[172:173], -v[72:73]
	v_fma_f64 v[170:171], v[176:177], v[172:173], v[170:171]
	ds_load_2addr_b64 v[174:177], v169 offset0:54 offset1:55
	v_add_f64 v[64:65], v[64:65], -v[72:73]
	v_add_f64 v[66:67], v[66:67], -v[170:171]
	s_waitcnt lgkmcnt(0)
	v_mul_f64 v[72:73], v[176:177], v[74:75]
	v_mul_f64 v[170:171], v[174:175], v[74:75]
	s_delay_alu instid0(VALU_DEP_2) | instskip(NEXT) | instid1(VALU_DEP_2)
	v_fma_f64 v[72:73], v[174:175], v[172:173], -v[72:73]
	;; [unrolled: 9-line block ×17, first 2 shown]
	v_fma_f64 v[170:171], v[176:177], v[172:173], v[170:171]
	s_delay_alu instid0(VALU_DEP_2) | instskip(NEXT) | instid1(VALU_DEP_2)
	v_add_f64 v[0:1], v[0:1], -v[72:73]
	v_add_f64 v[2:3], v[2:3], -v[170:171]
	v_dual_mov_b32 v72, v172 :: v_dual_mov_b32 v73, v173
.LBB85_226:
	s_or_b32 exec_lo, exec_lo, s3
	s_delay_alu instid0(SALU_CYCLE_1)
	s_mov_b32 s4, exec_lo
	s_waitcnt lgkmcnt(0)
	s_barrier
	buffer_gl0_inv
	v_cmpx_eq_u32_e32 25, v252
	s_cbranch_execz .LBB85_233
; %bb.227:
	ds_store_2addr_b64 v168, v[68:69], v[70:71] offset1:1
	ds_store_2addr_b64 v169, v[64:65], v[66:67] offset0:52 offset1:53
	ds_store_2addr_b64 v169, v[60:61], v[62:63] offset0:54 offset1:55
	;; [unrolled: 1-line block ×17, first 2 shown]
	ds_load_2addr_b64 v[172:175], v168 offset1:1
	s_waitcnt lgkmcnt(0)
	v_cmp_neq_f64_e32 vcc_lo, 0, v[172:173]
	v_cmp_neq_f64_e64 s3, 0, v[174:175]
	s_delay_alu instid0(VALU_DEP_1) | instskip(NEXT) | instid1(SALU_CYCLE_1)
	s_or_b32 s3, vcc_lo, s3
	s_and_b32 exec_lo, exec_lo, s3
	s_cbranch_execz .LBB85_233
; %bb.228:
	v_cmp_gt_f64_e32 vcc_lo, 0, v[172:173]
	v_xor_b32_e32 v170, 0x80000000, v173
	v_xor_b32_e32 v176, 0x80000000, v175
	s_delay_alu instid0(VALU_DEP_2) | instskip(SKIP_1) | instid1(VALU_DEP_3)
	v_dual_cndmask_b32 v171, v173, v170 :: v_dual_cndmask_b32 v170, v172, v172
	v_cmp_gt_f64_e32 vcc_lo, 0, v[174:175]
	v_dual_cndmask_b32 v177, v175, v176 :: v_dual_cndmask_b32 v176, v174, v174
	s_delay_alu instid0(VALU_DEP_1) | instskip(SKIP_1) | instid1(SALU_CYCLE_1)
	v_cmp_ngt_f64_e32 vcc_lo, v[170:171], v[176:177]
                                        ; implicit-def: $vgpr176_vgpr177
	s_and_saveexec_b32 s3, vcc_lo
	s_xor_b32 s3, exec_lo, s3
                                        ; implicit-def: $vgpr188_vgpr189_vgpr190_vgpr191
	s_cbranch_execz .LBB85_230
; %bb.229:
	v_div_scale_f64 v[170:171], null, v[174:175], v[174:175], v[172:173]
	v_div_scale_f64 v[188:189], vcc_lo, v[172:173], v[174:175], v[172:173]
	s_delay_alu instid0(VALU_DEP_2) | instskip(SKIP_2) | instid1(VALU_DEP_1)
	v_rcp_f64_e32 v[176:177], v[170:171]
	s_waitcnt_depctr 0xfff
	v_fma_f64 v[178:179], -v[170:171], v[176:177], 1.0
	v_fma_f64 v[176:177], v[176:177], v[178:179], v[176:177]
	s_delay_alu instid0(VALU_DEP_1) | instskip(NEXT) | instid1(VALU_DEP_1)
	v_fma_f64 v[178:179], -v[170:171], v[176:177], 1.0
	v_fma_f64 v[176:177], v[176:177], v[178:179], v[176:177]
	s_delay_alu instid0(VALU_DEP_1) | instskip(NEXT) | instid1(VALU_DEP_1)
	v_mul_f64 v[178:179], v[188:189], v[176:177]
	v_fma_f64 v[170:171], -v[170:171], v[178:179], v[188:189]
	s_delay_alu instid0(VALU_DEP_1) | instskip(NEXT) | instid1(VALU_DEP_1)
	v_div_fmas_f64 v[170:171], v[170:171], v[176:177], v[178:179]
	v_div_fixup_f64 v[170:171], v[170:171], v[174:175], v[172:173]
	s_delay_alu instid0(VALU_DEP_1) | instskip(NEXT) | instid1(VALU_DEP_1)
	v_fma_f64 v[172:173], v[172:173], v[170:171], v[174:175]
	v_div_scale_f64 v[174:175], null, v[172:173], v[172:173], 1.0
	s_delay_alu instid0(VALU_DEP_1) | instskip(SKIP_2) | instid1(VALU_DEP_1)
	v_rcp_f64_e32 v[176:177], v[174:175]
	s_waitcnt_depctr 0xfff
	v_fma_f64 v[178:179], -v[174:175], v[176:177], 1.0
	v_fma_f64 v[176:177], v[176:177], v[178:179], v[176:177]
	s_delay_alu instid0(VALU_DEP_1) | instskip(NEXT) | instid1(VALU_DEP_1)
	v_fma_f64 v[178:179], -v[174:175], v[176:177], 1.0
	v_fma_f64 v[176:177], v[176:177], v[178:179], v[176:177]
	v_div_scale_f64 v[178:179], vcc_lo, 1.0, v[172:173], 1.0
	s_delay_alu instid0(VALU_DEP_1) | instskip(NEXT) | instid1(VALU_DEP_1)
	v_mul_f64 v[188:189], v[178:179], v[176:177]
	v_fma_f64 v[174:175], -v[174:175], v[188:189], v[178:179]
	s_delay_alu instid0(VALU_DEP_1) | instskip(NEXT) | instid1(VALU_DEP_1)
	v_div_fmas_f64 v[174:175], v[174:175], v[176:177], v[188:189]
	v_div_fixup_f64 v[190:191], v[174:175], v[172:173], 1.0
                                        ; implicit-def: $vgpr172_vgpr173
	s_delay_alu instid0(VALU_DEP_1)
	v_mul_f64 v[176:177], v[170:171], v[190:191]
	v_xor_b32_e32 v191, 0x80000000, v191
.LBB85_230:
	s_and_not1_saveexec_b32 s3, s3
	s_cbranch_execz .LBB85_232
; %bb.231:
	v_div_scale_f64 v[170:171], null, v[172:173], v[172:173], v[174:175]
	v_div_scale_f64 v[188:189], vcc_lo, v[174:175], v[172:173], v[174:175]
	s_delay_alu instid0(VALU_DEP_2) | instskip(SKIP_2) | instid1(VALU_DEP_1)
	v_rcp_f64_e32 v[176:177], v[170:171]
	s_waitcnt_depctr 0xfff
	v_fma_f64 v[178:179], -v[170:171], v[176:177], 1.0
	v_fma_f64 v[176:177], v[176:177], v[178:179], v[176:177]
	s_delay_alu instid0(VALU_DEP_1) | instskip(NEXT) | instid1(VALU_DEP_1)
	v_fma_f64 v[178:179], -v[170:171], v[176:177], 1.0
	v_fma_f64 v[176:177], v[176:177], v[178:179], v[176:177]
	s_delay_alu instid0(VALU_DEP_1) | instskip(NEXT) | instid1(VALU_DEP_1)
	v_mul_f64 v[178:179], v[188:189], v[176:177]
	v_fma_f64 v[170:171], -v[170:171], v[178:179], v[188:189]
	s_delay_alu instid0(VALU_DEP_1) | instskip(NEXT) | instid1(VALU_DEP_1)
	v_div_fmas_f64 v[170:171], v[170:171], v[176:177], v[178:179]
	v_div_fixup_f64 v[170:171], v[170:171], v[172:173], v[174:175]
	s_delay_alu instid0(VALU_DEP_1) | instskip(NEXT) | instid1(VALU_DEP_1)
	v_fma_f64 v[172:173], v[174:175], v[170:171], v[172:173]
	v_div_scale_f64 v[174:175], null, v[172:173], v[172:173], 1.0
	s_delay_alu instid0(VALU_DEP_1) | instskip(SKIP_2) | instid1(VALU_DEP_1)
	v_rcp_f64_e32 v[176:177], v[174:175]
	s_waitcnt_depctr 0xfff
	v_fma_f64 v[178:179], -v[174:175], v[176:177], 1.0
	v_fma_f64 v[176:177], v[176:177], v[178:179], v[176:177]
	s_delay_alu instid0(VALU_DEP_1) | instskip(NEXT) | instid1(VALU_DEP_1)
	v_fma_f64 v[178:179], -v[174:175], v[176:177], 1.0
	v_fma_f64 v[176:177], v[176:177], v[178:179], v[176:177]
	v_div_scale_f64 v[178:179], vcc_lo, 1.0, v[172:173], 1.0
	s_delay_alu instid0(VALU_DEP_1) | instskip(NEXT) | instid1(VALU_DEP_1)
	v_mul_f64 v[188:189], v[178:179], v[176:177]
	v_fma_f64 v[174:175], -v[174:175], v[188:189], v[178:179]
	s_delay_alu instid0(VALU_DEP_1) | instskip(NEXT) | instid1(VALU_DEP_1)
	v_div_fmas_f64 v[174:175], v[174:175], v[176:177], v[188:189]
	v_div_fixup_f64 v[176:177], v[174:175], v[172:173], 1.0
	s_delay_alu instid0(VALU_DEP_1)
	v_mul_f64 v[190:191], v[170:171], -v[176:177]
.LBB85_232:
	s_or_b32 exec_lo, exec_lo, s3
	ds_store_2addr_b64 v168, v[176:177], v[190:191] offset1:1
.LBB85_233:
	s_or_b32 exec_lo, exec_lo, s4
	s_waitcnt lgkmcnt(0)
	s_barrier
	buffer_gl0_inv
	ds_load_2addr_b64 v[188:191], v168 offset1:1
	s_mov_b32 s3, exec_lo
	v_cmpx_lt_u32_e32 25, v252
	s_cbranch_execz .LBB85_235
; %bb.234:
	s_waitcnt lgkmcnt(0)
	v_mul_f64 v[170:171], v[190:191], v[70:71]
	v_mul_f64 v[70:71], v[188:189], v[70:71]
	ds_load_2addr_b64 v[174:177], v169 offset0:52 offset1:53
	v_fma_f64 v[172:173], v[188:189], v[68:69], -v[170:171]
	v_fma_f64 v[70:71], v[190:191], v[68:69], v[70:71]
	s_waitcnt lgkmcnt(0)
	s_delay_alu instid0(VALU_DEP_1) | instskip(SKIP_1) | instid1(VALU_DEP_2)
	v_mul_f64 v[68:69], v[176:177], v[70:71]
	v_mul_f64 v[170:171], v[174:175], v[70:71]
	v_fma_f64 v[68:69], v[174:175], v[172:173], -v[68:69]
	s_delay_alu instid0(VALU_DEP_2)
	v_fma_f64 v[170:171], v[176:177], v[172:173], v[170:171]
	ds_load_2addr_b64 v[174:177], v169 offset0:54 offset1:55
	v_add_f64 v[64:65], v[64:65], -v[68:69]
	v_add_f64 v[66:67], v[66:67], -v[170:171]
	s_waitcnt lgkmcnt(0)
	v_mul_f64 v[68:69], v[176:177], v[70:71]
	v_mul_f64 v[170:171], v[174:175], v[70:71]
	s_delay_alu instid0(VALU_DEP_2) | instskip(NEXT) | instid1(VALU_DEP_2)
	v_fma_f64 v[68:69], v[174:175], v[172:173], -v[68:69]
	v_fma_f64 v[170:171], v[176:177], v[172:173], v[170:171]
	ds_load_2addr_b64 v[174:177], v169 offset0:56 offset1:57
	v_add_f64 v[60:61], v[60:61], -v[68:69]
	v_add_f64 v[62:63], v[62:63], -v[170:171]
	s_waitcnt lgkmcnt(0)
	v_mul_f64 v[68:69], v[176:177], v[70:71]
	v_mul_f64 v[170:171], v[174:175], v[70:71]
	s_delay_alu instid0(VALU_DEP_2) | instskip(NEXT) | instid1(VALU_DEP_2)
	v_fma_f64 v[68:69], v[174:175], v[172:173], -v[68:69]
	;; [unrolled: 9-line block ×16, first 2 shown]
	v_fma_f64 v[170:171], v[176:177], v[172:173], v[170:171]
	s_delay_alu instid0(VALU_DEP_2) | instskip(NEXT) | instid1(VALU_DEP_2)
	v_add_f64 v[0:1], v[0:1], -v[68:69]
	v_add_f64 v[2:3], v[2:3], -v[170:171]
	v_dual_mov_b32 v68, v172 :: v_dual_mov_b32 v69, v173
.LBB85_235:
	s_or_b32 exec_lo, exec_lo, s3
	s_delay_alu instid0(SALU_CYCLE_1)
	s_mov_b32 s4, exec_lo
	s_waitcnt lgkmcnt(0)
	s_barrier
	buffer_gl0_inv
	v_cmpx_eq_u32_e32 26, v252
	s_cbranch_execz .LBB85_242
; %bb.236:
	ds_store_2addr_b64 v168, v[64:65], v[66:67] offset1:1
	ds_store_2addr_b64 v169, v[60:61], v[62:63] offset0:54 offset1:55
	ds_store_2addr_b64 v169, v[56:57], v[58:59] offset0:56 offset1:57
	;; [unrolled: 1-line block ×16, first 2 shown]
	ds_load_2addr_b64 v[172:175], v168 offset1:1
	s_waitcnt lgkmcnt(0)
	v_cmp_neq_f64_e32 vcc_lo, 0, v[172:173]
	v_cmp_neq_f64_e64 s3, 0, v[174:175]
	s_delay_alu instid0(VALU_DEP_1) | instskip(NEXT) | instid1(SALU_CYCLE_1)
	s_or_b32 s3, vcc_lo, s3
	s_and_b32 exec_lo, exec_lo, s3
	s_cbranch_execz .LBB85_242
; %bb.237:
	v_cmp_gt_f64_e32 vcc_lo, 0, v[172:173]
	v_xor_b32_e32 v170, 0x80000000, v173
	v_xor_b32_e32 v176, 0x80000000, v175
	s_delay_alu instid0(VALU_DEP_2) | instskip(SKIP_1) | instid1(VALU_DEP_3)
	v_dual_cndmask_b32 v171, v173, v170 :: v_dual_cndmask_b32 v170, v172, v172
	v_cmp_gt_f64_e32 vcc_lo, 0, v[174:175]
	v_dual_cndmask_b32 v177, v175, v176 :: v_dual_cndmask_b32 v176, v174, v174
	s_delay_alu instid0(VALU_DEP_1) | instskip(SKIP_1) | instid1(SALU_CYCLE_1)
	v_cmp_ngt_f64_e32 vcc_lo, v[170:171], v[176:177]
                                        ; implicit-def: $vgpr176_vgpr177
	s_and_saveexec_b32 s3, vcc_lo
	s_xor_b32 s3, exec_lo, s3
                                        ; implicit-def: $vgpr192_vgpr193_vgpr194_vgpr195
	s_cbranch_execz .LBB85_239
; %bb.238:
	v_div_scale_f64 v[170:171], null, v[174:175], v[174:175], v[172:173]
	v_div_scale_f64 v[192:193], vcc_lo, v[172:173], v[174:175], v[172:173]
	s_delay_alu instid0(VALU_DEP_2) | instskip(SKIP_2) | instid1(VALU_DEP_1)
	v_rcp_f64_e32 v[176:177], v[170:171]
	s_waitcnt_depctr 0xfff
	v_fma_f64 v[178:179], -v[170:171], v[176:177], 1.0
	v_fma_f64 v[176:177], v[176:177], v[178:179], v[176:177]
	s_delay_alu instid0(VALU_DEP_1) | instskip(NEXT) | instid1(VALU_DEP_1)
	v_fma_f64 v[178:179], -v[170:171], v[176:177], 1.0
	v_fma_f64 v[176:177], v[176:177], v[178:179], v[176:177]
	s_delay_alu instid0(VALU_DEP_1) | instskip(NEXT) | instid1(VALU_DEP_1)
	v_mul_f64 v[178:179], v[192:193], v[176:177]
	v_fma_f64 v[170:171], -v[170:171], v[178:179], v[192:193]
	s_delay_alu instid0(VALU_DEP_1) | instskip(NEXT) | instid1(VALU_DEP_1)
	v_div_fmas_f64 v[170:171], v[170:171], v[176:177], v[178:179]
	v_div_fixup_f64 v[170:171], v[170:171], v[174:175], v[172:173]
	s_delay_alu instid0(VALU_DEP_1) | instskip(NEXT) | instid1(VALU_DEP_1)
	v_fma_f64 v[172:173], v[172:173], v[170:171], v[174:175]
	v_div_scale_f64 v[174:175], null, v[172:173], v[172:173], 1.0
	s_delay_alu instid0(VALU_DEP_1) | instskip(SKIP_2) | instid1(VALU_DEP_1)
	v_rcp_f64_e32 v[176:177], v[174:175]
	s_waitcnt_depctr 0xfff
	v_fma_f64 v[178:179], -v[174:175], v[176:177], 1.0
	v_fma_f64 v[176:177], v[176:177], v[178:179], v[176:177]
	s_delay_alu instid0(VALU_DEP_1) | instskip(NEXT) | instid1(VALU_DEP_1)
	v_fma_f64 v[178:179], -v[174:175], v[176:177], 1.0
	v_fma_f64 v[176:177], v[176:177], v[178:179], v[176:177]
	v_div_scale_f64 v[178:179], vcc_lo, 1.0, v[172:173], 1.0
	s_delay_alu instid0(VALU_DEP_1) | instskip(NEXT) | instid1(VALU_DEP_1)
	v_mul_f64 v[192:193], v[178:179], v[176:177]
	v_fma_f64 v[174:175], -v[174:175], v[192:193], v[178:179]
	s_delay_alu instid0(VALU_DEP_1) | instskip(NEXT) | instid1(VALU_DEP_1)
	v_div_fmas_f64 v[174:175], v[174:175], v[176:177], v[192:193]
	v_div_fixup_f64 v[194:195], v[174:175], v[172:173], 1.0
                                        ; implicit-def: $vgpr172_vgpr173
	s_delay_alu instid0(VALU_DEP_1)
	v_mul_f64 v[176:177], v[170:171], v[194:195]
	v_xor_b32_e32 v195, 0x80000000, v195
.LBB85_239:
	s_and_not1_saveexec_b32 s3, s3
	s_cbranch_execz .LBB85_241
; %bb.240:
	v_div_scale_f64 v[170:171], null, v[172:173], v[172:173], v[174:175]
	v_div_scale_f64 v[192:193], vcc_lo, v[174:175], v[172:173], v[174:175]
	s_delay_alu instid0(VALU_DEP_2) | instskip(SKIP_2) | instid1(VALU_DEP_1)
	v_rcp_f64_e32 v[176:177], v[170:171]
	s_waitcnt_depctr 0xfff
	v_fma_f64 v[178:179], -v[170:171], v[176:177], 1.0
	v_fma_f64 v[176:177], v[176:177], v[178:179], v[176:177]
	s_delay_alu instid0(VALU_DEP_1) | instskip(NEXT) | instid1(VALU_DEP_1)
	v_fma_f64 v[178:179], -v[170:171], v[176:177], 1.0
	v_fma_f64 v[176:177], v[176:177], v[178:179], v[176:177]
	s_delay_alu instid0(VALU_DEP_1) | instskip(NEXT) | instid1(VALU_DEP_1)
	v_mul_f64 v[178:179], v[192:193], v[176:177]
	v_fma_f64 v[170:171], -v[170:171], v[178:179], v[192:193]
	s_delay_alu instid0(VALU_DEP_1) | instskip(NEXT) | instid1(VALU_DEP_1)
	v_div_fmas_f64 v[170:171], v[170:171], v[176:177], v[178:179]
	v_div_fixup_f64 v[170:171], v[170:171], v[172:173], v[174:175]
	s_delay_alu instid0(VALU_DEP_1) | instskip(NEXT) | instid1(VALU_DEP_1)
	v_fma_f64 v[172:173], v[174:175], v[170:171], v[172:173]
	v_div_scale_f64 v[174:175], null, v[172:173], v[172:173], 1.0
	s_delay_alu instid0(VALU_DEP_1) | instskip(SKIP_2) | instid1(VALU_DEP_1)
	v_rcp_f64_e32 v[176:177], v[174:175]
	s_waitcnt_depctr 0xfff
	v_fma_f64 v[178:179], -v[174:175], v[176:177], 1.0
	v_fma_f64 v[176:177], v[176:177], v[178:179], v[176:177]
	s_delay_alu instid0(VALU_DEP_1) | instskip(NEXT) | instid1(VALU_DEP_1)
	v_fma_f64 v[178:179], -v[174:175], v[176:177], 1.0
	v_fma_f64 v[176:177], v[176:177], v[178:179], v[176:177]
	v_div_scale_f64 v[178:179], vcc_lo, 1.0, v[172:173], 1.0
	s_delay_alu instid0(VALU_DEP_1) | instskip(NEXT) | instid1(VALU_DEP_1)
	v_mul_f64 v[192:193], v[178:179], v[176:177]
	v_fma_f64 v[174:175], -v[174:175], v[192:193], v[178:179]
	s_delay_alu instid0(VALU_DEP_1) | instskip(NEXT) | instid1(VALU_DEP_1)
	v_div_fmas_f64 v[174:175], v[174:175], v[176:177], v[192:193]
	v_div_fixup_f64 v[176:177], v[174:175], v[172:173], 1.0
	s_delay_alu instid0(VALU_DEP_1)
	v_mul_f64 v[194:195], v[170:171], -v[176:177]
.LBB85_241:
	s_or_b32 exec_lo, exec_lo, s3
	ds_store_2addr_b64 v168, v[176:177], v[194:195] offset1:1
.LBB85_242:
	s_or_b32 exec_lo, exec_lo, s4
	s_waitcnt lgkmcnt(0)
	s_barrier
	buffer_gl0_inv
	ds_load_2addr_b64 v[192:195], v168 offset1:1
	s_mov_b32 s3, exec_lo
	v_cmpx_lt_u32_e32 26, v252
	s_cbranch_execz .LBB85_244
; %bb.243:
	s_waitcnt lgkmcnt(0)
	v_mul_f64 v[170:171], v[192:193], v[66:67]
	v_mul_f64 v[66:67], v[194:195], v[66:67]
	ds_load_2addr_b64 v[174:177], v169 offset0:54 offset1:55
	v_fma_f64 v[172:173], v[194:195], v[64:65], v[170:171]
	v_fma_f64 v[64:65], v[192:193], v[64:65], -v[66:67]
	s_waitcnt lgkmcnt(0)
	s_delay_alu instid0(VALU_DEP_2) | instskip(SKIP_1) | instid1(VALU_DEP_2)
	v_mul_f64 v[66:67], v[176:177], v[172:173]
	v_mul_f64 v[170:171], v[174:175], v[172:173]
	v_fma_f64 v[66:67], v[174:175], v[64:65], -v[66:67]
	s_delay_alu instid0(VALU_DEP_2)
	v_fma_f64 v[170:171], v[176:177], v[64:65], v[170:171]
	ds_load_2addr_b64 v[174:177], v169 offset0:56 offset1:57
	v_add_f64 v[60:61], v[60:61], -v[66:67]
	v_add_f64 v[62:63], v[62:63], -v[170:171]
	s_waitcnt lgkmcnt(0)
	v_mul_f64 v[66:67], v[176:177], v[172:173]
	v_mul_f64 v[170:171], v[174:175], v[172:173]
	s_delay_alu instid0(VALU_DEP_2) | instskip(NEXT) | instid1(VALU_DEP_2)
	v_fma_f64 v[66:67], v[174:175], v[64:65], -v[66:67]
	v_fma_f64 v[170:171], v[176:177], v[64:65], v[170:171]
	ds_load_2addr_b64 v[174:177], v169 offset0:58 offset1:59
	v_add_f64 v[56:57], v[56:57], -v[66:67]
	v_add_f64 v[58:59], v[58:59], -v[170:171]
	s_waitcnt lgkmcnt(0)
	v_mul_f64 v[66:67], v[176:177], v[172:173]
	v_mul_f64 v[170:171], v[174:175], v[172:173]
	s_delay_alu instid0(VALU_DEP_2) | instskip(NEXT) | instid1(VALU_DEP_2)
	v_fma_f64 v[66:67], v[174:175], v[64:65], -v[66:67]
	;; [unrolled: 9-line block ×15, first 2 shown]
	v_fma_f64 v[170:171], v[176:177], v[64:65], v[170:171]
	s_delay_alu instid0(VALU_DEP_2) | instskip(NEXT) | instid1(VALU_DEP_2)
	v_add_f64 v[0:1], v[0:1], -v[66:67]
	v_add_f64 v[2:3], v[2:3], -v[170:171]
	v_dual_mov_b32 v66, v172 :: v_dual_mov_b32 v67, v173
.LBB85_244:
	s_or_b32 exec_lo, exec_lo, s3
	s_delay_alu instid0(SALU_CYCLE_1)
	s_mov_b32 s4, exec_lo
	s_waitcnt lgkmcnt(0)
	s_barrier
	buffer_gl0_inv
	v_cmpx_eq_u32_e32 27, v252
	s_cbranch_execz .LBB85_251
; %bb.245:
	ds_store_2addr_b64 v168, v[60:61], v[62:63] offset1:1
	ds_store_2addr_b64 v169, v[56:57], v[58:59] offset0:56 offset1:57
	ds_store_2addr_b64 v169, v[52:53], v[54:55] offset0:58 offset1:59
	;; [unrolled: 1-line block ×15, first 2 shown]
	ds_load_2addr_b64 v[172:175], v168 offset1:1
	s_waitcnt lgkmcnt(0)
	v_cmp_neq_f64_e32 vcc_lo, 0, v[172:173]
	v_cmp_neq_f64_e64 s3, 0, v[174:175]
	s_delay_alu instid0(VALU_DEP_1) | instskip(NEXT) | instid1(SALU_CYCLE_1)
	s_or_b32 s3, vcc_lo, s3
	s_and_b32 exec_lo, exec_lo, s3
	s_cbranch_execz .LBB85_251
; %bb.246:
	v_cmp_gt_f64_e32 vcc_lo, 0, v[172:173]
	v_xor_b32_e32 v170, 0x80000000, v173
	v_xor_b32_e32 v176, 0x80000000, v175
	s_delay_alu instid0(VALU_DEP_2) | instskip(SKIP_1) | instid1(VALU_DEP_3)
	v_dual_cndmask_b32 v171, v173, v170 :: v_dual_cndmask_b32 v170, v172, v172
	v_cmp_gt_f64_e32 vcc_lo, 0, v[174:175]
	v_dual_cndmask_b32 v177, v175, v176 :: v_dual_cndmask_b32 v176, v174, v174
	s_delay_alu instid0(VALU_DEP_1) | instskip(SKIP_1) | instid1(SALU_CYCLE_1)
	v_cmp_ngt_f64_e32 vcc_lo, v[170:171], v[176:177]
                                        ; implicit-def: $vgpr176_vgpr177
	s_and_saveexec_b32 s3, vcc_lo
	s_xor_b32 s3, exec_lo, s3
                                        ; implicit-def: $vgpr196_vgpr197_vgpr198_vgpr199
	s_cbranch_execz .LBB85_248
; %bb.247:
	v_div_scale_f64 v[170:171], null, v[174:175], v[174:175], v[172:173]
	v_div_scale_f64 v[196:197], vcc_lo, v[172:173], v[174:175], v[172:173]
	s_delay_alu instid0(VALU_DEP_2) | instskip(SKIP_2) | instid1(VALU_DEP_1)
	v_rcp_f64_e32 v[176:177], v[170:171]
	s_waitcnt_depctr 0xfff
	v_fma_f64 v[178:179], -v[170:171], v[176:177], 1.0
	v_fma_f64 v[176:177], v[176:177], v[178:179], v[176:177]
	s_delay_alu instid0(VALU_DEP_1) | instskip(NEXT) | instid1(VALU_DEP_1)
	v_fma_f64 v[178:179], -v[170:171], v[176:177], 1.0
	v_fma_f64 v[176:177], v[176:177], v[178:179], v[176:177]
	s_delay_alu instid0(VALU_DEP_1) | instskip(NEXT) | instid1(VALU_DEP_1)
	v_mul_f64 v[178:179], v[196:197], v[176:177]
	v_fma_f64 v[170:171], -v[170:171], v[178:179], v[196:197]
	s_delay_alu instid0(VALU_DEP_1) | instskip(NEXT) | instid1(VALU_DEP_1)
	v_div_fmas_f64 v[170:171], v[170:171], v[176:177], v[178:179]
	v_div_fixup_f64 v[170:171], v[170:171], v[174:175], v[172:173]
	s_delay_alu instid0(VALU_DEP_1) | instskip(NEXT) | instid1(VALU_DEP_1)
	v_fma_f64 v[172:173], v[172:173], v[170:171], v[174:175]
	v_div_scale_f64 v[174:175], null, v[172:173], v[172:173], 1.0
	s_delay_alu instid0(VALU_DEP_1) | instskip(SKIP_2) | instid1(VALU_DEP_1)
	v_rcp_f64_e32 v[176:177], v[174:175]
	s_waitcnt_depctr 0xfff
	v_fma_f64 v[178:179], -v[174:175], v[176:177], 1.0
	v_fma_f64 v[176:177], v[176:177], v[178:179], v[176:177]
	s_delay_alu instid0(VALU_DEP_1) | instskip(NEXT) | instid1(VALU_DEP_1)
	v_fma_f64 v[178:179], -v[174:175], v[176:177], 1.0
	v_fma_f64 v[176:177], v[176:177], v[178:179], v[176:177]
	v_div_scale_f64 v[178:179], vcc_lo, 1.0, v[172:173], 1.0
	s_delay_alu instid0(VALU_DEP_1) | instskip(NEXT) | instid1(VALU_DEP_1)
	v_mul_f64 v[196:197], v[178:179], v[176:177]
	v_fma_f64 v[174:175], -v[174:175], v[196:197], v[178:179]
	s_delay_alu instid0(VALU_DEP_1) | instskip(NEXT) | instid1(VALU_DEP_1)
	v_div_fmas_f64 v[174:175], v[174:175], v[176:177], v[196:197]
	v_div_fixup_f64 v[198:199], v[174:175], v[172:173], 1.0
                                        ; implicit-def: $vgpr172_vgpr173
	s_delay_alu instid0(VALU_DEP_1)
	v_mul_f64 v[176:177], v[170:171], v[198:199]
	v_xor_b32_e32 v199, 0x80000000, v199
.LBB85_248:
	s_and_not1_saveexec_b32 s3, s3
	s_cbranch_execz .LBB85_250
; %bb.249:
	v_div_scale_f64 v[170:171], null, v[172:173], v[172:173], v[174:175]
	v_div_scale_f64 v[196:197], vcc_lo, v[174:175], v[172:173], v[174:175]
	s_delay_alu instid0(VALU_DEP_2) | instskip(SKIP_2) | instid1(VALU_DEP_1)
	v_rcp_f64_e32 v[176:177], v[170:171]
	s_waitcnt_depctr 0xfff
	v_fma_f64 v[178:179], -v[170:171], v[176:177], 1.0
	v_fma_f64 v[176:177], v[176:177], v[178:179], v[176:177]
	s_delay_alu instid0(VALU_DEP_1) | instskip(NEXT) | instid1(VALU_DEP_1)
	v_fma_f64 v[178:179], -v[170:171], v[176:177], 1.0
	v_fma_f64 v[176:177], v[176:177], v[178:179], v[176:177]
	s_delay_alu instid0(VALU_DEP_1) | instskip(NEXT) | instid1(VALU_DEP_1)
	v_mul_f64 v[178:179], v[196:197], v[176:177]
	v_fma_f64 v[170:171], -v[170:171], v[178:179], v[196:197]
	s_delay_alu instid0(VALU_DEP_1) | instskip(NEXT) | instid1(VALU_DEP_1)
	v_div_fmas_f64 v[170:171], v[170:171], v[176:177], v[178:179]
	v_div_fixup_f64 v[170:171], v[170:171], v[172:173], v[174:175]
	s_delay_alu instid0(VALU_DEP_1) | instskip(NEXT) | instid1(VALU_DEP_1)
	v_fma_f64 v[172:173], v[174:175], v[170:171], v[172:173]
	v_div_scale_f64 v[174:175], null, v[172:173], v[172:173], 1.0
	s_delay_alu instid0(VALU_DEP_1) | instskip(SKIP_2) | instid1(VALU_DEP_1)
	v_rcp_f64_e32 v[176:177], v[174:175]
	s_waitcnt_depctr 0xfff
	v_fma_f64 v[178:179], -v[174:175], v[176:177], 1.0
	v_fma_f64 v[176:177], v[176:177], v[178:179], v[176:177]
	s_delay_alu instid0(VALU_DEP_1) | instskip(NEXT) | instid1(VALU_DEP_1)
	v_fma_f64 v[178:179], -v[174:175], v[176:177], 1.0
	v_fma_f64 v[176:177], v[176:177], v[178:179], v[176:177]
	v_div_scale_f64 v[178:179], vcc_lo, 1.0, v[172:173], 1.0
	s_delay_alu instid0(VALU_DEP_1) | instskip(NEXT) | instid1(VALU_DEP_1)
	v_mul_f64 v[196:197], v[178:179], v[176:177]
	v_fma_f64 v[174:175], -v[174:175], v[196:197], v[178:179]
	s_delay_alu instid0(VALU_DEP_1) | instskip(NEXT) | instid1(VALU_DEP_1)
	v_div_fmas_f64 v[174:175], v[174:175], v[176:177], v[196:197]
	v_div_fixup_f64 v[176:177], v[174:175], v[172:173], 1.0
	s_delay_alu instid0(VALU_DEP_1)
	v_mul_f64 v[198:199], v[170:171], -v[176:177]
.LBB85_250:
	s_or_b32 exec_lo, exec_lo, s3
	ds_store_2addr_b64 v168, v[176:177], v[198:199] offset1:1
.LBB85_251:
	s_or_b32 exec_lo, exec_lo, s4
	s_waitcnt lgkmcnt(0)
	s_barrier
	buffer_gl0_inv
	ds_load_2addr_b64 v[196:199], v168 offset1:1
	s_mov_b32 s3, exec_lo
	v_cmpx_lt_u32_e32 27, v252
	s_cbranch_execz .LBB85_253
; %bb.252:
	s_waitcnt lgkmcnt(0)
	v_mul_f64 v[170:171], v[196:197], v[62:63]
	v_mul_f64 v[62:63], v[198:199], v[62:63]
	ds_load_2addr_b64 v[174:177], v169 offset0:56 offset1:57
	v_fma_f64 v[172:173], v[198:199], v[60:61], v[170:171]
	v_fma_f64 v[60:61], v[196:197], v[60:61], -v[62:63]
	s_waitcnt lgkmcnt(0)
	s_delay_alu instid0(VALU_DEP_2) | instskip(SKIP_1) | instid1(VALU_DEP_2)
	v_mul_f64 v[62:63], v[176:177], v[172:173]
	v_mul_f64 v[170:171], v[174:175], v[172:173]
	v_fma_f64 v[62:63], v[174:175], v[60:61], -v[62:63]
	s_delay_alu instid0(VALU_DEP_2)
	v_fma_f64 v[170:171], v[176:177], v[60:61], v[170:171]
	ds_load_2addr_b64 v[174:177], v169 offset0:58 offset1:59
	v_add_f64 v[56:57], v[56:57], -v[62:63]
	v_add_f64 v[58:59], v[58:59], -v[170:171]
	s_waitcnt lgkmcnt(0)
	v_mul_f64 v[62:63], v[176:177], v[172:173]
	v_mul_f64 v[170:171], v[174:175], v[172:173]
	s_delay_alu instid0(VALU_DEP_2) | instskip(NEXT) | instid1(VALU_DEP_2)
	v_fma_f64 v[62:63], v[174:175], v[60:61], -v[62:63]
	v_fma_f64 v[170:171], v[176:177], v[60:61], v[170:171]
	ds_load_2addr_b64 v[174:177], v169 offset0:60 offset1:61
	v_add_f64 v[52:53], v[52:53], -v[62:63]
	v_add_f64 v[54:55], v[54:55], -v[170:171]
	s_waitcnt lgkmcnt(0)
	v_mul_f64 v[62:63], v[176:177], v[172:173]
	v_mul_f64 v[170:171], v[174:175], v[172:173]
	s_delay_alu instid0(VALU_DEP_2) | instskip(NEXT) | instid1(VALU_DEP_2)
	v_fma_f64 v[62:63], v[174:175], v[60:61], -v[62:63]
	;; [unrolled: 9-line block ×14, first 2 shown]
	v_fma_f64 v[170:171], v[176:177], v[60:61], v[170:171]
	s_delay_alu instid0(VALU_DEP_2) | instskip(NEXT) | instid1(VALU_DEP_2)
	v_add_f64 v[0:1], v[0:1], -v[62:63]
	v_add_f64 v[2:3], v[2:3], -v[170:171]
	v_dual_mov_b32 v62, v172 :: v_dual_mov_b32 v63, v173
.LBB85_253:
	s_or_b32 exec_lo, exec_lo, s3
	s_delay_alu instid0(SALU_CYCLE_1)
	s_mov_b32 s4, exec_lo
	s_waitcnt lgkmcnt(0)
	s_barrier
	buffer_gl0_inv
	v_cmpx_eq_u32_e32 28, v252
	s_cbranch_execz .LBB85_260
; %bb.254:
	ds_store_2addr_b64 v168, v[56:57], v[58:59] offset1:1
	ds_store_2addr_b64 v169, v[52:53], v[54:55] offset0:58 offset1:59
	ds_store_2addr_b64 v169, v[48:49], v[50:51] offset0:60 offset1:61
	;; [unrolled: 1-line block ×14, first 2 shown]
	ds_load_2addr_b64 v[172:175], v168 offset1:1
	s_waitcnt lgkmcnt(0)
	v_cmp_neq_f64_e32 vcc_lo, 0, v[172:173]
	v_cmp_neq_f64_e64 s3, 0, v[174:175]
	s_delay_alu instid0(VALU_DEP_1) | instskip(NEXT) | instid1(SALU_CYCLE_1)
	s_or_b32 s3, vcc_lo, s3
	s_and_b32 exec_lo, exec_lo, s3
	s_cbranch_execz .LBB85_260
; %bb.255:
	v_cmp_gt_f64_e32 vcc_lo, 0, v[172:173]
	v_xor_b32_e32 v170, 0x80000000, v173
	v_xor_b32_e32 v176, 0x80000000, v175
	s_delay_alu instid0(VALU_DEP_2) | instskip(SKIP_1) | instid1(VALU_DEP_3)
	v_dual_cndmask_b32 v171, v173, v170 :: v_dual_cndmask_b32 v170, v172, v172
	v_cmp_gt_f64_e32 vcc_lo, 0, v[174:175]
	v_dual_cndmask_b32 v177, v175, v176 :: v_dual_cndmask_b32 v176, v174, v174
	s_delay_alu instid0(VALU_DEP_1) | instskip(SKIP_1) | instid1(SALU_CYCLE_1)
	v_cmp_ngt_f64_e32 vcc_lo, v[170:171], v[176:177]
                                        ; implicit-def: $vgpr176_vgpr177
	s_and_saveexec_b32 s3, vcc_lo
	s_xor_b32 s3, exec_lo, s3
                                        ; implicit-def: $vgpr200_vgpr201_vgpr202_vgpr203
	s_cbranch_execz .LBB85_257
; %bb.256:
	v_div_scale_f64 v[170:171], null, v[174:175], v[174:175], v[172:173]
	v_div_scale_f64 v[200:201], vcc_lo, v[172:173], v[174:175], v[172:173]
	s_delay_alu instid0(VALU_DEP_2) | instskip(SKIP_2) | instid1(VALU_DEP_1)
	v_rcp_f64_e32 v[176:177], v[170:171]
	s_waitcnt_depctr 0xfff
	v_fma_f64 v[178:179], -v[170:171], v[176:177], 1.0
	v_fma_f64 v[176:177], v[176:177], v[178:179], v[176:177]
	s_delay_alu instid0(VALU_DEP_1) | instskip(NEXT) | instid1(VALU_DEP_1)
	v_fma_f64 v[178:179], -v[170:171], v[176:177], 1.0
	v_fma_f64 v[176:177], v[176:177], v[178:179], v[176:177]
	s_delay_alu instid0(VALU_DEP_1) | instskip(NEXT) | instid1(VALU_DEP_1)
	v_mul_f64 v[178:179], v[200:201], v[176:177]
	v_fma_f64 v[170:171], -v[170:171], v[178:179], v[200:201]
	s_delay_alu instid0(VALU_DEP_1) | instskip(NEXT) | instid1(VALU_DEP_1)
	v_div_fmas_f64 v[170:171], v[170:171], v[176:177], v[178:179]
	v_div_fixup_f64 v[170:171], v[170:171], v[174:175], v[172:173]
	s_delay_alu instid0(VALU_DEP_1) | instskip(NEXT) | instid1(VALU_DEP_1)
	v_fma_f64 v[172:173], v[172:173], v[170:171], v[174:175]
	v_div_scale_f64 v[174:175], null, v[172:173], v[172:173], 1.0
	s_delay_alu instid0(VALU_DEP_1) | instskip(SKIP_2) | instid1(VALU_DEP_1)
	v_rcp_f64_e32 v[176:177], v[174:175]
	s_waitcnt_depctr 0xfff
	v_fma_f64 v[178:179], -v[174:175], v[176:177], 1.0
	v_fma_f64 v[176:177], v[176:177], v[178:179], v[176:177]
	s_delay_alu instid0(VALU_DEP_1) | instskip(NEXT) | instid1(VALU_DEP_1)
	v_fma_f64 v[178:179], -v[174:175], v[176:177], 1.0
	v_fma_f64 v[176:177], v[176:177], v[178:179], v[176:177]
	v_div_scale_f64 v[178:179], vcc_lo, 1.0, v[172:173], 1.0
	s_delay_alu instid0(VALU_DEP_1) | instskip(NEXT) | instid1(VALU_DEP_1)
	v_mul_f64 v[200:201], v[178:179], v[176:177]
	v_fma_f64 v[174:175], -v[174:175], v[200:201], v[178:179]
	s_delay_alu instid0(VALU_DEP_1) | instskip(NEXT) | instid1(VALU_DEP_1)
	v_div_fmas_f64 v[174:175], v[174:175], v[176:177], v[200:201]
	v_div_fixup_f64 v[202:203], v[174:175], v[172:173], 1.0
                                        ; implicit-def: $vgpr172_vgpr173
	s_delay_alu instid0(VALU_DEP_1)
	v_mul_f64 v[176:177], v[170:171], v[202:203]
	v_xor_b32_e32 v203, 0x80000000, v203
.LBB85_257:
	s_and_not1_saveexec_b32 s3, s3
	s_cbranch_execz .LBB85_259
; %bb.258:
	v_div_scale_f64 v[170:171], null, v[172:173], v[172:173], v[174:175]
	v_div_scale_f64 v[200:201], vcc_lo, v[174:175], v[172:173], v[174:175]
	s_delay_alu instid0(VALU_DEP_2) | instskip(SKIP_2) | instid1(VALU_DEP_1)
	v_rcp_f64_e32 v[176:177], v[170:171]
	s_waitcnt_depctr 0xfff
	v_fma_f64 v[178:179], -v[170:171], v[176:177], 1.0
	v_fma_f64 v[176:177], v[176:177], v[178:179], v[176:177]
	s_delay_alu instid0(VALU_DEP_1) | instskip(NEXT) | instid1(VALU_DEP_1)
	v_fma_f64 v[178:179], -v[170:171], v[176:177], 1.0
	v_fma_f64 v[176:177], v[176:177], v[178:179], v[176:177]
	s_delay_alu instid0(VALU_DEP_1) | instskip(NEXT) | instid1(VALU_DEP_1)
	v_mul_f64 v[178:179], v[200:201], v[176:177]
	v_fma_f64 v[170:171], -v[170:171], v[178:179], v[200:201]
	s_delay_alu instid0(VALU_DEP_1) | instskip(NEXT) | instid1(VALU_DEP_1)
	v_div_fmas_f64 v[170:171], v[170:171], v[176:177], v[178:179]
	v_div_fixup_f64 v[170:171], v[170:171], v[172:173], v[174:175]
	s_delay_alu instid0(VALU_DEP_1) | instskip(NEXT) | instid1(VALU_DEP_1)
	v_fma_f64 v[172:173], v[174:175], v[170:171], v[172:173]
	v_div_scale_f64 v[174:175], null, v[172:173], v[172:173], 1.0
	s_delay_alu instid0(VALU_DEP_1) | instskip(SKIP_2) | instid1(VALU_DEP_1)
	v_rcp_f64_e32 v[176:177], v[174:175]
	s_waitcnt_depctr 0xfff
	v_fma_f64 v[178:179], -v[174:175], v[176:177], 1.0
	v_fma_f64 v[176:177], v[176:177], v[178:179], v[176:177]
	s_delay_alu instid0(VALU_DEP_1) | instskip(NEXT) | instid1(VALU_DEP_1)
	v_fma_f64 v[178:179], -v[174:175], v[176:177], 1.0
	v_fma_f64 v[176:177], v[176:177], v[178:179], v[176:177]
	v_div_scale_f64 v[178:179], vcc_lo, 1.0, v[172:173], 1.0
	s_delay_alu instid0(VALU_DEP_1) | instskip(NEXT) | instid1(VALU_DEP_1)
	v_mul_f64 v[200:201], v[178:179], v[176:177]
	v_fma_f64 v[174:175], -v[174:175], v[200:201], v[178:179]
	s_delay_alu instid0(VALU_DEP_1) | instskip(NEXT) | instid1(VALU_DEP_1)
	v_div_fmas_f64 v[174:175], v[174:175], v[176:177], v[200:201]
	v_div_fixup_f64 v[176:177], v[174:175], v[172:173], 1.0
	s_delay_alu instid0(VALU_DEP_1)
	v_mul_f64 v[202:203], v[170:171], -v[176:177]
.LBB85_259:
	s_or_b32 exec_lo, exec_lo, s3
	ds_store_2addr_b64 v168, v[176:177], v[202:203] offset1:1
.LBB85_260:
	s_or_b32 exec_lo, exec_lo, s4
	s_waitcnt lgkmcnt(0)
	s_barrier
	buffer_gl0_inv
	ds_load_2addr_b64 v[200:203], v168 offset1:1
	s_mov_b32 s3, exec_lo
	v_cmpx_lt_u32_e32 28, v252
	s_cbranch_execz .LBB85_262
; %bb.261:
	s_waitcnt lgkmcnt(0)
	v_mul_f64 v[170:171], v[200:201], v[58:59]
	v_mul_f64 v[58:59], v[202:203], v[58:59]
	ds_load_2addr_b64 v[174:177], v169 offset0:58 offset1:59
	v_fma_f64 v[172:173], v[202:203], v[56:57], v[170:171]
	v_fma_f64 v[56:57], v[200:201], v[56:57], -v[58:59]
	s_waitcnt lgkmcnt(0)
	s_delay_alu instid0(VALU_DEP_2) | instskip(SKIP_1) | instid1(VALU_DEP_2)
	v_mul_f64 v[58:59], v[176:177], v[172:173]
	v_mul_f64 v[170:171], v[174:175], v[172:173]
	v_fma_f64 v[58:59], v[174:175], v[56:57], -v[58:59]
	s_delay_alu instid0(VALU_DEP_2)
	v_fma_f64 v[170:171], v[176:177], v[56:57], v[170:171]
	ds_load_2addr_b64 v[174:177], v169 offset0:60 offset1:61
	v_add_f64 v[52:53], v[52:53], -v[58:59]
	v_add_f64 v[54:55], v[54:55], -v[170:171]
	s_waitcnt lgkmcnt(0)
	v_mul_f64 v[58:59], v[176:177], v[172:173]
	v_mul_f64 v[170:171], v[174:175], v[172:173]
	s_delay_alu instid0(VALU_DEP_2) | instskip(NEXT) | instid1(VALU_DEP_2)
	v_fma_f64 v[58:59], v[174:175], v[56:57], -v[58:59]
	v_fma_f64 v[170:171], v[176:177], v[56:57], v[170:171]
	ds_load_2addr_b64 v[174:177], v169 offset0:62 offset1:63
	v_add_f64 v[48:49], v[48:49], -v[58:59]
	v_add_f64 v[50:51], v[50:51], -v[170:171]
	s_waitcnt lgkmcnt(0)
	v_mul_f64 v[58:59], v[176:177], v[172:173]
	v_mul_f64 v[170:171], v[174:175], v[172:173]
	s_delay_alu instid0(VALU_DEP_2) | instskip(NEXT) | instid1(VALU_DEP_2)
	v_fma_f64 v[58:59], v[174:175], v[56:57], -v[58:59]
	v_fma_f64 v[170:171], v[176:177], v[56:57], v[170:171]
	ds_load_2addr_b64 v[174:177], v169 offset0:64 offset1:65
	v_add_f64 v[44:45], v[44:45], -v[58:59]
	v_add_f64 v[46:47], v[46:47], -v[170:171]
	s_waitcnt lgkmcnt(0)
	v_mul_f64 v[58:59], v[176:177], v[172:173]
	v_mul_f64 v[170:171], v[174:175], v[172:173]
	s_delay_alu instid0(VALU_DEP_2) | instskip(NEXT) | instid1(VALU_DEP_2)
	v_fma_f64 v[58:59], v[174:175], v[56:57], -v[58:59]
	v_fma_f64 v[170:171], v[176:177], v[56:57], v[170:171]
	ds_load_2addr_b64 v[174:177], v169 offset0:66 offset1:67
	v_add_f64 v[40:41], v[40:41], -v[58:59]
	v_add_f64 v[42:43], v[42:43], -v[170:171]
	s_waitcnt lgkmcnt(0)
	v_mul_f64 v[58:59], v[176:177], v[172:173]
	v_mul_f64 v[170:171], v[174:175], v[172:173]
	s_delay_alu instid0(VALU_DEP_2) | instskip(NEXT) | instid1(VALU_DEP_2)
	v_fma_f64 v[58:59], v[174:175], v[56:57], -v[58:59]
	v_fma_f64 v[170:171], v[176:177], v[56:57], v[170:171]
	ds_load_2addr_b64 v[174:177], v169 offset0:68 offset1:69
	v_add_f64 v[36:37], v[36:37], -v[58:59]
	v_add_f64 v[38:39], v[38:39], -v[170:171]
	s_waitcnt lgkmcnt(0)
	v_mul_f64 v[58:59], v[176:177], v[172:173]
	v_mul_f64 v[170:171], v[174:175], v[172:173]
	s_delay_alu instid0(VALU_DEP_2) | instskip(NEXT) | instid1(VALU_DEP_2)
	v_fma_f64 v[58:59], v[174:175], v[56:57], -v[58:59]
	v_fma_f64 v[170:171], v[176:177], v[56:57], v[170:171]
	ds_load_2addr_b64 v[174:177], v169 offset0:70 offset1:71
	v_add_f64 v[32:33], v[32:33], -v[58:59]
	v_add_f64 v[34:35], v[34:35], -v[170:171]
	s_waitcnt lgkmcnt(0)
	v_mul_f64 v[58:59], v[176:177], v[172:173]
	v_mul_f64 v[170:171], v[174:175], v[172:173]
	s_delay_alu instid0(VALU_DEP_2) | instskip(NEXT) | instid1(VALU_DEP_2)
	v_fma_f64 v[58:59], v[174:175], v[56:57], -v[58:59]
	v_fma_f64 v[170:171], v[176:177], v[56:57], v[170:171]
	ds_load_2addr_b64 v[174:177], v169 offset0:72 offset1:73
	v_add_f64 v[28:29], v[28:29], -v[58:59]
	v_add_f64 v[30:31], v[30:31], -v[170:171]
	s_waitcnt lgkmcnt(0)
	v_mul_f64 v[58:59], v[176:177], v[172:173]
	v_mul_f64 v[170:171], v[174:175], v[172:173]
	s_delay_alu instid0(VALU_DEP_2) | instskip(NEXT) | instid1(VALU_DEP_2)
	v_fma_f64 v[58:59], v[174:175], v[56:57], -v[58:59]
	v_fma_f64 v[170:171], v[176:177], v[56:57], v[170:171]
	ds_load_2addr_b64 v[174:177], v169 offset0:74 offset1:75
	v_add_f64 v[24:25], v[24:25], -v[58:59]
	v_add_f64 v[26:27], v[26:27], -v[170:171]
	s_waitcnt lgkmcnt(0)
	v_mul_f64 v[58:59], v[176:177], v[172:173]
	v_mul_f64 v[170:171], v[174:175], v[172:173]
	s_delay_alu instid0(VALU_DEP_2) | instskip(NEXT) | instid1(VALU_DEP_2)
	v_fma_f64 v[58:59], v[174:175], v[56:57], -v[58:59]
	v_fma_f64 v[170:171], v[176:177], v[56:57], v[170:171]
	ds_load_2addr_b64 v[174:177], v169 offset0:76 offset1:77
	v_add_f64 v[20:21], v[20:21], -v[58:59]
	v_add_f64 v[22:23], v[22:23], -v[170:171]
	s_waitcnt lgkmcnt(0)
	v_mul_f64 v[58:59], v[176:177], v[172:173]
	v_mul_f64 v[170:171], v[174:175], v[172:173]
	s_delay_alu instid0(VALU_DEP_2) | instskip(NEXT) | instid1(VALU_DEP_2)
	v_fma_f64 v[58:59], v[174:175], v[56:57], -v[58:59]
	v_fma_f64 v[170:171], v[176:177], v[56:57], v[170:171]
	ds_load_2addr_b64 v[174:177], v169 offset0:78 offset1:79
	v_add_f64 v[16:17], v[16:17], -v[58:59]
	v_add_f64 v[18:19], v[18:19], -v[170:171]
	s_waitcnt lgkmcnt(0)
	v_mul_f64 v[58:59], v[176:177], v[172:173]
	v_mul_f64 v[170:171], v[174:175], v[172:173]
	s_delay_alu instid0(VALU_DEP_2) | instskip(NEXT) | instid1(VALU_DEP_2)
	v_fma_f64 v[58:59], v[174:175], v[56:57], -v[58:59]
	v_fma_f64 v[170:171], v[176:177], v[56:57], v[170:171]
	ds_load_2addr_b64 v[174:177], v169 offset0:80 offset1:81
	v_add_f64 v[12:13], v[12:13], -v[58:59]
	v_add_f64 v[14:15], v[14:15], -v[170:171]
	s_waitcnt lgkmcnt(0)
	v_mul_f64 v[58:59], v[176:177], v[172:173]
	v_mul_f64 v[170:171], v[174:175], v[172:173]
	s_delay_alu instid0(VALU_DEP_2) | instskip(NEXT) | instid1(VALU_DEP_2)
	v_fma_f64 v[58:59], v[174:175], v[56:57], -v[58:59]
	v_fma_f64 v[170:171], v[176:177], v[56:57], v[170:171]
	ds_load_2addr_b64 v[174:177], v169 offset0:82 offset1:83
	v_add_f64 v[8:9], v[8:9], -v[58:59]
	v_add_f64 v[10:11], v[10:11], -v[170:171]
	s_waitcnt lgkmcnt(0)
	v_mul_f64 v[58:59], v[176:177], v[172:173]
	v_mul_f64 v[170:171], v[174:175], v[172:173]
	s_delay_alu instid0(VALU_DEP_2) | instskip(NEXT) | instid1(VALU_DEP_2)
	v_fma_f64 v[58:59], v[174:175], v[56:57], -v[58:59]
	v_fma_f64 v[170:171], v[176:177], v[56:57], v[170:171]
	ds_load_2addr_b64 v[174:177], v169 offset0:84 offset1:85
	v_add_f64 v[4:5], v[4:5], -v[58:59]
	v_add_f64 v[6:7], v[6:7], -v[170:171]
	s_waitcnt lgkmcnt(0)
	v_mul_f64 v[58:59], v[176:177], v[172:173]
	v_mul_f64 v[170:171], v[174:175], v[172:173]
	s_delay_alu instid0(VALU_DEP_2) | instskip(NEXT) | instid1(VALU_DEP_2)
	v_fma_f64 v[58:59], v[174:175], v[56:57], -v[58:59]
	v_fma_f64 v[170:171], v[176:177], v[56:57], v[170:171]
	s_delay_alu instid0(VALU_DEP_2) | instskip(NEXT) | instid1(VALU_DEP_2)
	v_add_f64 v[0:1], v[0:1], -v[58:59]
	v_add_f64 v[2:3], v[2:3], -v[170:171]
	v_dual_mov_b32 v58, v172 :: v_dual_mov_b32 v59, v173
.LBB85_262:
	s_or_b32 exec_lo, exec_lo, s3
	s_delay_alu instid0(SALU_CYCLE_1)
	s_mov_b32 s4, exec_lo
	s_waitcnt lgkmcnt(0)
	s_barrier
	buffer_gl0_inv
	v_cmpx_eq_u32_e32 29, v252
	s_cbranch_execz .LBB85_269
; %bb.263:
	ds_store_2addr_b64 v168, v[52:53], v[54:55] offset1:1
	ds_store_2addr_b64 v169, v[48:49], v[50:51] offset0:60 offset1:61
	ds_store_2addr_b64 v169, v[44:45], v[46:47] offset0:62 offset1:63
	;; [unrolled: 1-line block ×13, first 2 shown]
	ds_load_2addr_b64 v[172:175], v168 offset1:1
	s_waitcnt lgkmcnt(0)
	v_cmp_neq_f64_e32 vcc_lo, 0, v[172:173]
	v_cmp_neq_f64_e64 s3, 0, v[174:175]
	s_delay_alu instid0(VALU_DEP_1) | instskip(NEXT) | instid1(SALU_CYCLE_1)
	s_or_b32 s3, vcc_lo, s3
	s_and_b32 exec_lo, exec_lo, s3
	s_cbranch_execz .LBB85_269
; %bb.264:
	v_cmp_gt_f64_e32 vcc_lo, 0, v[172:173]
	v_xor_b32_e32 v170, 0x80000000, v173
	v_xor_b32_e32 v176, 0x80000000, v175
	s_delay_alu instid0(VALU_DEP_2) | instskip(SKIP_1) | instid1(VALU_DEP_3)
	v_dual_cndmask_b32 v171, v173, v170 :: v_dual_cndmask_b32 v170, v172, v172
	v_cmp_gt_f64_e32 vcc_lo, 0, v[174:175]
	v_dual_cndmask_b32 v177, v175, v176 :: v_dual_cndmask_b32 v176, v174, v174
	s_delay_alu instid0(VALU_DEP_1) | instskip(SKIP_1) | instid1(SALU_CYCLE_1)
	v_cmp_ngt_f64_e32 vcc_lo, v[170:171], v[176:177]
                                        ; implicit-def: $vgpr176_vgpr177
	s_and_saveexec_b32 s3, vcc_lo
	s_xor_b32 s3, exec_lo, s3
                                        ; implicit-def: $vgpr204_vgpr205_vgpr206_vgpr207
	s_cbranch_execz .LBB85_266
; %bb.265:
	v_div_scale_f64 v[170:171], null, v[174:175], v[174:175], v[172:173]
	v_div_scale_f64 v[204:205], vcc_lo, v[172:173], v[174:175], v[172:173]
	s_delay_alu instid0(VALU_DEP_2) | instskip(SKIP_2) | instid1(VALU_DEP_1)
	v_rcp_f64_e32 v[176:177], v[170:171]
	s_waitcnt_depctr 0xfff
	v_fma_f64 v[178:179], -v[170:171], v[176:177], 1.0
	v_fma_f64 v[176:177], v[176:177], v[178:179], v[176:177]
	s_delay_alu instid0(VALU_DEP_1) | instskip(NEXT) | instid1(VALU_DEP_1)
	v_fma_f64 v[178:179], -v[170:171], v[176:177], 1.0
	v_fma_f64 v[176:177], v[176:177], v[178:179], v[176:177]
	s_delay_alu instid0(VALU_DEP_1) | instskip(NEXT) | instid1(VALU_DEP_1)
	v_mul_f64 v[178:179], v[204:205], v[176:177]
	v_fma_f64 v[170:171], -v[170:171], v[178:179], v[204:205]
	s_delay_alu instid0(VALU_DEP_1) | instskip(NEXT) | instid1(VALU_DEP_1)
	v_div_fmas_f64 v[170:171], v[170:171], v[176:177], v[178:179]
	v_div_fixup_f64 v[170:171], v[170:171], v[174:175], v[172:173]
	s_delay_alu instid0(VALU_DEP_1) | instskip(NEXT) | instid1(VALU_DEP_1)
	v_fma_f64 v[172:173], v[172:173], v[170:171], v[174:175]
	v_div_scale_f64 v[174:175], null, v[172:173], v[172:173], 1.0
	s_delay_alu instid0(VALU_DEP_1) | instskip(SKIP_2) | instid1(VALU_DEP_1)
	v_rcp_f64_e32 v[176:177], v[174:175]
	s_waitcnt_depctr 0xfff
	v_fma_f64 v[178:179], -v[174:175], v[176:177], 1.0
	v_fma_f64 v[176:177], v[176:177], v[178:179], v[176:177]
	s_delay_alu instid0(VALU_DEP_1) | instskip(NEXT) | instid1(VALU_DEP_1)
	v_fma_f64 v[178:179], -v[174:175], v[176:177], 1.0
	v_fma_f64 v[176:177], v[176:177], v[178:179], v[176:177]
	v_div_scale_f64 v[178:179], vcc_lo, 1.0, v[172:173], 1.0
	s_delay_alu instid0(VALU_DEP_1) | instskip(NEXT) | instid1(VALU_DEP_1)
	v_mul_f64 v[204:205], v[178:179], v[176:177]
	v_fma_f64 v[174:175], -v[174:175], v[204:205], v[178:179]
	s_delay_alu instid0(VALU_DEP_1) | instskip(NEXT) | instid1(VALU_DEP_1)
	v_div_fmas_f64 v[174:175], v[174:175], v[176:177], v[204:205]
	v_div_fixup_f64 v[206:207], v[174:175], v[172:173], 1.0
                                        ; implicit-def: $vgpr172_vgpr173
	s_delay_alu instid0(VALU_DEP_1)
	v_mul_f64 v[176:177], v[170:171], v[206:207]
	v_xor_b32_e32 v207, 0x80000000, v207
.LBB85_266:
	s_and_not1_saveexec_b32 s3, s3
	s_cbranch_execz .LBB85_268
; %bb.267:
	v_div_scale_f64 v[170:171], null, v[172:173], v[172:173], v[174:175]
	v_div_scale_f64 v[204:205], vcc_lo, v[174:175], v[172:173], v[174:175]
	s_delay_alu instid0(VALU_DEP_2) | instskip(SKIP_2) | instid1(VALU_DEP_1)
	v_rcp_f64_e32 v[176:177], v[170:171]
	s_waitcnt_depctr 0xfff
	v_fma_f64 v[178:179], -v[170:171], v[176:177], 1.0
	v_fma_f64 v[176:177], v[176:177], v[178:179], v[176:177]
	s_delay_alu instid0(VALU_DEP_1) | instskip(NEXT) | instid1(VALU_DEP_1)
	v_fma_f64 v[178:179], -v[170:171], v[176:177], 1.0
	v_fma_f64 v[176:177], v[176:177], v[178:179], v[176:177]
	s_delay_alu instid0(VALU_DEP_1) | instskip(NEXT) | instid1(VALU_DEP_1)
	v_mul_f64 v[178:179], v[204:205], v[176:177]
	v_fma_f64 v[170:171], -v[170:171], v[178:179], v[204:205]
	s_delay_alu instid0(VALU_DEP_1) | instskip(NEXT) | instid1(VALU_DEP_1)
	v_div_fmas_f64 v[170:171], v[170:171], v[176:177], v[178:179]
	v_div_fixup_f64 v[170:171], v[170:171], v[172:173], v[174:175]
	s_delay_alu instid0(VALU_DEP_1) | instskip(NEXT) | instid1(VALU_DEP_1)
	v_fma_f64 v[172:173], v[174:175], v[170:171], v[172:173]
	v_div_scale_f64 v[174:175], null, v[172:173], v[172:173], 1.0
	s_delay_alu instid0(VALU_DEP_1) | instskip(SKIP_2) | instid1(VALU_DEP_1)
	v_rcp_f64_e32 v[176:177], v[174:175]
	s_waitcnt_depctr 0xfff
	v_fma_f64 v[178:179], -v[174:175], v[176:177], 1.0
	v_fma_f64 v[176:177], v[176:177], v[178:179], v[176:177]
	s_delay_alu instid0(VALU_DEP_1) | instskip(NEXT) | instid1(VALU_DEP_1)
	v_fma_f64 v[178:179], -v[174:175], v[176:177], 1.0
	v_fma_f64 v[176:177], v[176:177], v[178:179], v[176:177]
	v_div_scale_f64 v[178:179], vcc_lo, 1.0, v[172:173], 1.0
	s_delay_alu instid0(VALU_DEP_1) | instskip(NEXT) | instid1(VALU_DEP_1)
	v_mul_f64 v[204:205], v[178:179], v[176:177]
	v_fma_f64 v[174:175], -v[174:175], v[204:205], v[178:179]
	s_delay_alu instid0(VALU_DEP_1) | instskip(NEXT) | instid1(VALU_DEP_1)
	v_div_fmas_f64 v[174:175], v[174:175], v[176:177], v[204:205]
	v_div_fixup_f64 v[176:177], v[174:175], v[172:173], 1.0
	s_delay_alu instid0(VALU_DEP_1)
	v_mul_f64 v[206:207], v[170:171], -v[176:177]
.LBB85_268:
	s_or_b32 exec_lo, exec_lo, s3
	ds_store_2addr_b64 v168, v[176:177], v[206:207] offset1:1
.LBB85_269:
	s_or_b32 exec_lo, exec_lo, s4
	s_waitcnt lgkmcnt(0)
	s_barrier
	buffer_gl0_inv
	ds_load_2addr_b64 v[204:207], v168 offset1:1
	s_mov_b32 s3, exec_lo
	v_cmpx_lt_u32_e32 29, v252
	s_cbranch_execz .LBB85_271
; %bb.270:
	s_waitcnt lgkmcnt(0)
	v_mul_f64 v[170:171], v[204:205], v[54:55]
	v_mul_f64 v[54:55], v[206:207], v[54:55]
	ds_load_2addr_b64 v[174:177], v169 offset0:60 offset1:61
	v_fma_f64 v[172:173], v[206:207], v[52:53], v[170:171]
	v_fma_f64 v[52:53], v[204:205], v[52:53], -v[54:55]
	s_waitcnt lgkmcnt(0)
	s_delay_alu instid0(VALU_DEP_2) | instskip(SKIP_1) | instid1(VALU_DEP_2)
	v_mul_f64 v[54:55], v[176:177], v[172:173]
	v_mul_f64 v[170:171], v[174:175], v[172:173]
	v_fma_f64 v[54:55], v[174:175], v[52:53], -v[54:55]
	s_delay_alu instid0(VALU_DEP_2)
	v_fma_f64 v[170:171], v[176:177], v[52:53], v[170:171]
	ds_load_2addr_b64 v[174:177], v169 offset0:62 offset1:63
	v_add_f64 v[48:49], v[48:49], -v[54:55]
	v_add_f64 v[50:51], v[50:51], -v[170:171]
	s_waitcnt lgkmcnt(0)
	v_mul_f64 v[54:55], v[176:177], v[172:173]
	v_mul_f64 v[170:171], v[174:175], v[172:173]
	s_delay_alu instid0(VALU_DEP_2) | instskip(NEXT) | instid1(VALU_DEP_2)
	v_fma_f64 v[54:55], v[174:175], v[52:53], -v[54:55]
	v_fma_f64 v[170:171], v[176:177], v[52:53], v[170:171]
	ds_load_2addr_b64 v[174:177], v169 offset0:64 offset1:65
	v_add_f64 v[44:45], v[44:45], -v[54:55]
	v_add_f64 v[46:47], v[46:47], -v[170:171]
	s_waitcnt lgkmcnt(0)
	v_mul_f64 v[54:55], v[176:177], v[172:173]
	v_mul_f64 v[170:171], v[174:175], v[172:173]
	s_delay_alu instid0(VALU_DEP_2) | instskip(NEXT) | instid1(VALU_DEP_2)
	v_fma_f64 v[54:55], v[174:175], v[52:53], -v[54:55]
	;; [unrolled: 9-line block ×12, first 2 shown]
	v_fma_f64 v[170:171], v[176:177], v[52:53], v[170:171]
	s_delay_alu instid0(VALU_DEP_2) | instskip(NEXT) | instid1(VALU_DEP_2)
	v_add_f64 v[0:1], v[0:1], -v[54:55]
	v_add_f64 v[2:3], v[2:3], -v[170:171]
	v_dual_mov_b32 v54, v172 :: v_dual_mov_b32 v55, v173
.LBB85_271:
	s_or_b32 exec_lo, exec_lo, s3
	s_delay_alu instid0(SALU_CYCLE_1)
	s_mov_b32 s4, exec_lo
	s_waitcnt lgkmcnt(0)
	s_barrier
	buffer_gl0_inv
	v_cmpx_eq_u32_e32 30, v252
	s_cbranch_execz .LBB85_278
; %bb.272:
	ds_store_2addr_b64 v168, v[48:49], v[50:51] offset1:1
	ds_store_2addr_b64 v169, v[44:45], v[46:47] offset0:62 offset1:63
	ds_store_2addr_b64 v169, v[40:41], v[42:43] offset0:64 offset1:65
	ds_store_2addr_b64 v169, v[36:37], v[38:39] offset0:66 offset1:67
	ds_store_2addr_b64 v169, v[32:33], v[34:35] offset0:68 offset1:69
	ds_store_2addr_b64 v169, v[28:29], v[30:31] offset0:70 offset1:71
	ds_store_2addr_b64 v169, v[24:25], v[26:27] offset0:72 offset1:73
	ds_store_2addr_b64 v169, v[20:21], v[22:23] offset0:74 offset1:75
	ds_store_2addr_b64 v169, v[16:17], v[18:19] offset0:76 offset1:77
	ds_store_2addr_b64 v169, v[12:13], v[14:15] offset0:78 offset1:79
	ds_store_2addr_b64 v169, v[8:9], v[10:11] offset0:80 offset1:81
	ds_store_2addr_b64 v169, v[4:5], v[6:7] offset0:82 offset1:83
	ds_store_2addr_b64 v169, v[0:1], v[2:3] offset0:84 offset1:85
	ds_load_2addr_b64 v[172:175], v168 offset1:1
	s_waitcnt lgkmcnt(0)
	v_cmp_neq_f64_e32 vcc_lo, 0, v[172:173]
	v_cmp_neq_f64_e64 s3, 0, v[174:175]
	s_delay_alu instid0(VALU_DEP_1) | instskip(NEXT) | instid1(SALU_CYCLE_1)
	s_or_b32 s3, vcc_lo, s3
	s_and_b32 exec_lo, exec_lo, s3
	s_cbranch_execz .LBB85_278
; %bb.273:
	v_cmp_gt_f64_e32 vcc_lo, 0, v[172:173]
	v_xor_b32_e32 v170, 0x80000000, v173
	v_xor_b32_e32 v176, 0x80000000, v175
	s_delay_alu instid0(VALU_DEP_2) | instskip(SKIP_1) | instid1(VALU_DEP_3)
	v_dual_cndmask_b32 v171, v173, v170 :: v_dual_cndmask_b32 v170, v172, v172
	v_cmp_gt_f64_e32 vcc_lo, 0, v[174:175]
	v_dual_cndmask_b32 v177, v175, v176 :: v_dual_cndmask_b32 v176, v174, v174
	s_delay_alu instid0(VALU_DEP_1) | instskip(SKIP_1) | instid1(SALU_CYCLE_1)
	v_cmp_ngt_f64_e32 vcc_lo, v[170:171], v[176:177]
                                        ; implicit-def: $vgpr176_vgpr177
	s_and_saveexec_b32 s3, vcc_lo
	s_xor_b32 s3, exec_lo, s3
                                        ; implicit-def: $vgpr208_vgpr209_vgpr210_vgpr211
	s_cbranch_execz .LBB85_275
; %bb.274:
	v_div_scale_f64 v[170:171], null, v[174:175], v[174:175], v[172:173]
	v_div_scale_f64 v[208:209], vcc_lo, v[172:173], v[174:175], v[172:173]
	s_delay_alu instid0(VALU_DEP_2) | instskip(SKIP_2) | instid1(VALU_DEP_1)
	v_rcp_f64_e32 v[176:177], v[170:171]
	s_waitcnt_depctr 0xfff
	v_fma_f64 v[178:179], -v[170:171], v[176:177], 1.0
	v_fma_f64 v[176:177], v[176:177], v[178:179], v[176:177]
	s_delay_alu instid0(VALU_DEP_1) | instskip(NEXT) | instid1(VALU_DEP_1)
	v_fma_f64 v[178:179], -v[170:171], v[176:177], 1.0
	v_fma_f64 v[176:177], v[176:177], v[178:179], v[176:177]
	s_delay_alu instid0(VALU_DEP_1) | instskip(NEXT) | instid1(VALU_DEP_1)
	v_mul_f64 v[178:179], v[208:209], v[176:177]
	v_fma_f64 v[170:171], -v[170:171], v[178:179], v[208:209]
	s_delay_alu instid0(VALU_DEP_1) | instskip(NEXT) | instid1(VALU_DEP_1)
	v_div_fmas_f64 v[170:171], v[170:171], v[176:177], v[178:179]
	v_div_fixup_f64 v[170:171], v[170:171], v[174:175], v[172:173]
	s_delay_alu instid0(VALU_DEP_1) | instskip(NEXT) | instid1(VALU_DEP_1)
	v_fma_f64 v[172:173], v[172:173], v[170:171], v[174:175]
	v_div_scale_f64 v[174:175], null, v[172:173], v[172:173], 1.0
	s_delay_alu instid0(VALU_DEP_1) | instskip(SKIP_2) | instid1(VALU_DEP_1)
	v_rcp_f64_e32 v[176:177], v[174:175]
	s_waitcnt_depctr 0xfff
	v_fma_f64 v[178:179], -v[174:175], v[176:177], 1.0
	v_fma_f64 v[176:177], v[176:177], v[178:179], v[176:177]
	s_delay_alu instid0(VALU_DEP_1) | instskip(NEXT) | instid1(VALU_DEP_1)
	v_fma_f64 v[178:179], -v[174:175], v[176:177], 1.0
	v_fma_f64 v[176:177], v[176:177], v[178:179], v[176:177]
	v_div_scale_f64 v[178:179], vcc_lo, 1.0, v[172:173], 1.0
	s_delay_alu instid0(VALU_DEP_1) | instskip(NEXT) | instid1(VALU_DEP_1)
	v_mul_f64 v[208:209], v[178:179], v[176:177]
	v_fma_f64 v[174:175], -v[174:175], v[208:209], v[178:179]
	s_delay_alu instid0(VALU_DEP_1) | instskip(NEXT) | instid1(VALU_DEP_1)
	v_div_fmas_f64 v[174:175], v[174:175], v[176:177], v[208:209]
	v_div_fixup_f64 v[210:211], v[174:175], v[172:173], 1.0
                                        ; implicit-def: $vgpr172_vgpr173
	s_delay_alu instid0(VALU_DEP_1)
	v_mul_f64 v[176:177], v[170:171], v[210:211]
	v_xor_b32_e32 v211, 0x80000000, v211
.LBB85_275:
	s_and_not1_saveexec_b32 s3, s3
	s_cbranch_execz .LBB85_277
; %bb.276:
	v_div_scale_f64 v[170:171], null, v[172:173], v[172:173], v[174:175]
	v_div_scale_f64 v[208:209], vcc_lo, v[174:175], v[172:173], v[174:175]
	s_delay_alu instid0(VALU_DEP_2) | instskip(SKIP_2) | instid1(VALU_DEP_1)
	v_rcp_f64_e32 v[176:177], v[170:171]
	s_waitcnt_depctr 0xfff
	v_fma_f64 v[178:179], -v[170:171], v[176:177], 1.0
	v_fma_f64 v[176:177], v[176:177], v[178:179], v[176:177]
	s_delay_alu instid0(VALU_DEP_1) | instskip(NEXT) | instid1(VALU_DEP_1)
	v_fma_f64 v[178:179], -v[170:171], v[176:177], 1.0
	v_fma_f64 v[176:177], v[176:177], v[178:179], v[176:177]
	s_delay_alu instid0(VALU_DEP_1) | instskip(NEXT) | instid1(VALU_DEP_1)
	v_mul_f64 v[178:179], v[208:209], v[176:177]
	v_fma_f64 v[170:171], -v[170:171], v[178:179], v[208:209]
	s_delay_alu instid0(VALU_DEP_1) | instskip(NEXT) | instid1(VALU_DEP_1)
	v_div_fmas_f64 v[170:171], v[170:171], v[176:177], v[178:179]
	v_div_fixup_f64 v[170:171], v[170:171], v[172:173], v[174:175]
	s_delay_alu instid0(VALU_DEP_1) | instskip(NEXT) | instid1(VALU_DEP_1)
	v_fma_f64 v[172:173], v[174:175], v[170:171], v[172:173]
	v_div_scale_f64 v[174:175], null, v[172:173], v[172:173], 1.0
	s_delay_alu instid0(VALU_DEP_1) | instskip(SKIP_2) | instid1(VALU_DEP_1)
	v_rcp_f64_e32 v[176:177], v[174:175]
	s_waitcnt_depctr 0xfff
	v_fma_f64 v[178:179], -v[174:175], v[176:177], 1.0
	v_fma_f64 v[176:177], v[176:177], v[178:179], v[176:177]
	s_delay_alu instid0(VALU_DEP_1) | instskip(NEXT) | instid1(VALU_DEP_1)
	v_fma_f64 v[178:179], -v[174:175], v[176:177], 1.0
	v_fma_f64 v[176:177], v[176:177], v[178:179], v[176:177]
	v_div_scale_f64 v[178:179], vcc_lo, 1.0, v[172:173], 1.0
	s_delay_alu instid0(VALU_DEP_1) | instskip(NEXT) | instid1(VALU_DEP_1)
	v_mul_f64 v[208:209], v[178:179], v[176:177]
	v_fma_f64 v[174:175], -v[174:175], v[208:209], v[178:179]
	s_delay_alu instid0(VALU_DEP_1) | instskip(NEXT) | instid1(VALU_DEP_1)
	v_div_fmas_f64 v[174:175], v[174:175], v[176:177], v[208:209]
	v_div_fixup_f64 v[176:177], v[174:175], v[172:173], 1.0
	s_delay_alu instid0(VALU_DEP_1)
	v_mul_f64 v[210:211], v[170:171], -v[176:177]
.LBB85_277:
	s_or_b32 exec_lo, exec_lo, s3
	ds_store_2addr_b64 v168, v[176:177], v[210:211] offset1:1
.LBB85_278:
	s_or_b32 exec_lo, exec_lo, s4
	s_waitcnt lgkmcnt(0)
	s_barrier
	buffer_gl0_inv
	ds_load_2addr_b64 v[208:211], v168 offset1:1
	s_mov_b32 s3, exec_lo
	v_cmpx_lt_u32_e32 30, v252
	s_cbranch_execz .LBB85_280
; %bb.279:
	s_waitcnt lgkmcnt(0)
	v_mul_f64 v[170:171], v[208:209], v[50:51]
	v_mul_f64 v[50:51], v[210:211], v[50:51]
	s_delay_alu instid0(VALU_DEP_2) | instskip(SKIP_4) | instid1(VALU_DEP_1)
	v_fma_f64 v[174:175], v[210:211], v[48:49], v[170:171]
	ds_load_2addr_b64 v[170:173], v169 offset0:62 offset1:63
	v_fma_f64 v[48:49], v[208:209], v[48:49], -v[50:51]
	s_waitcnt lgkmcnt(0)
	v_mul_f64 v[50:51], v[172:173], v[174:175]
	v_fma_f64 v[50:51], v[170:171], v[48:49], -v[50:51]
	v_mul_f64 v[170:171], v[170:171], v[174:175]
	s_delay_alu instid0(VALU_DEP_2) | instskip(NEXT) | instid1(VALU_DEP_2)
	v_add_f64 v[44:45], v[44:45], -v[50:51]
	v_fma_f64 v[170:171], v[172:173], v[48:49], v[170:171]
	s_delay_alu instid0(VALU_DEP_1) | instskip(SKIP_3) | instid1(VALU_DEP_1)
	v_add_f64 v[46:47], v[46:47], -v[170:171]
	ds_load_2addr_b64 v[170:173], v169 offset0:64 offset1:65
	s_waitcnt lgkmcnt(0)
	v_mul_f64 v[50:51], v[172:173], v[174:175]
	v_fma_f64 v[50:51], v[170:171], v[48:49], -v[50:51]
	v_mul_f64 v[170:171], v[170:171], v[174:175]
	s_delay_alu instid0(VALU_DEP_2) | instskip(NEXT) | instid1(VALU_DEP_2)
	v_add_f64 v[40:41], v[40:41], -v[50:51]
	v_fma_f64 v[170:171], v[172:173], v[48:49], v[170:171]
	s_delay_alu instid0(VALU_DEP_1) | instskip(SKIP_3) | instid1(VALU_DEP_1)
	v_add_f64 v[42:43], v[42:43], -v[170:171]
	ds_load_2addr_b64 v[170:173], v169 offset0:66 offset1:67
	;; [unrolled: 10-line block ×11, first 2 shown]
	s_waitcnt lgkmcnt(0)
	v_mul_f64 v[50:51], v[172:173], v[174:175]
	v_fma_f64 v[50:51], v[170:171], v[48:49], -v[50:51]
	v_mul_f64 v[170:171], v[170:171], v[174:175]
	s_delay_alu instid0(VALU_DEP_2) | instskip(NEXT) | instid1(VALU_DEP_2)
	v_add_f64 v[0:1], v[0:1], -v[50:51]
	v_fma_f64 v[170:171], v[172:173], v[48:49], v[170:171]
	v_dual_mov_b32 v50, v174 :: v_dual_mov_b32 v51, v175
	s_delay_alu instid0(VALU_DEP_2)
	v_add_f64 v[2:3], v[2:3], -v[170:171]
.LBB85_280:
	s_or_b32 exec_lo, exec_lo, s3
	s_delay_alu instid0(SALU_CYCLE_1)
	s_mov_b32 s4, exec_lo
	s_waitcnt lgkmcnt(0)
	s_barrier
	buffer_gl0_inv
	v_cmpx_eq_u32_e32 31, v252
	s_cbranch_execz .LBB85_287
; %bb.281:
	ds_store_2addr_b64 v168, v[44:45], v[46:47] offset1:1
	ds_store_2addr_b64 v169, v[40:41], v[42:43] offset0:64 offset1:65
	ds_store_2addr_b64 v169, v[36:37], v[38:39] offset0:66 offset1:67
	ds_store_2addr_b64 v169, v[32:33], v[34:35] offset0:68 offset1:69
	ds_store_2addr_b64 v169, v[28:29], v[30:31] offset0:70 offset1:71
	ds_store_2addr_b64 v169, v[24:25], v[26:27] offset0:72 offset1:73
	ds_store_2addr_b64 v169, v[20:21], v[22:23] offset0:74 offset1:75
	ds_store_2addr_b64 v169, v[16:17], v[18:19] offset0:76 offset1:77
	ds_store_2addr_b64 v169, v[12:13], v[14:15] offset0:78 offset1:79
	ds_store_2addr_b64 v169, v[8:9], v[10:11] offset0:80 offset1:81
	ds_store_2addr_b64 v169, v[4:5], v[6:7] offset0:82 offset1:83
	ds_store_2addr_b64 v169, v[0:1], v[2:3] offset0:84 offset1:85
	ds_load_2addr_b64 v[172:175], v168 offset1:1
	s_waitcnt lgkmcnt(0)
	v_cmp_neq_f64_e32 vcc_lo, 0, v[172:173]
	v_cmp_neq_f64_e64 s3, 0, v[174:175]
	s_delay_alu instid0(VALU_DEP_1) | instskip(NEXT) | instid1(SALU_CYCLE_1)
	s_or_b32 s3, vcc_lo, s3
	s_and_b32 exec_lo, exec_lo, s3
	s_cbranch_execz .LBB85_287
; %bb.282:
	v_cmp_gt_f64_e32 vcc_lo, 0, v[172:173]
	v_xor_b32_e32 v170, 0x80000000, v173
	v_xor_b32_e32 v176, 0x80000000, v175
	s_delay_alu instid0(VALU_DEP_2) | instskip(SKIP_1) | instid1(VALU_DEP_3)
	v_dual_cndmask_b32 v171, v173, v170 :: v_dual_cndmask_b32 v170, v172, v172
	v_cmp_gt_f64_e32 vcc_lo, 0, v[174:175]
	v_dual_cndmask_b32 v177, v175, v176 :: v_dual_cndmask_b32 v176, v174, v174
	s_delay_alu instid0(VALU_DEP_1) | instskip(SKIP_1) | instid1(SALU_CYCLE_1)
	v_cmp_ngt_f64_e32 vcc_lo, v[170:171], v[176:177]
                                        ; implicit-def: $vgpr176_vgpr177
	s_and_saveexec_b32 s3, vcc_lo
	s_xor_b32 s3, exec_lo, s3
                                        ; implicit-def: $vgpr212_vgpr213_vgpr214_vgpr215
	s_cbranch_execz .LBB85_284
; %bb.283:
	v_div_scale_f64 v[170:171], null, v[174:175], v[174:175], v[172:173]
	v_div_scale_f64 v[212:213], vcc_lo, v[172:173], v[174:175], v[172:173]
	s_delay_alu instid0(VALU_DEP_2) | instskip(SKIP_2) | instid1(VALU_DEP_1)
	v_rcp_f64_e32 v[176:177], v[170:171]
	s_waitcnt_depctr 0xfff
	v_fma_f64 v[178:179], -v[170:171], v[176:177], 1.0
	v_fma_f64 v[176:177], v[176:177], v[178:179], v[176:177]
	s_delay_alu instid0(VALU_DEP_1) | instskip(NEXT) | instid1(VALU_DEP_1)
	v_fma_f64 v[178:179], -v[170:171], v[176:177], 1.0
	v_fma_f64 v[176:177], v[176:177], v[178:179], v[176:177]
	s_delay_alu instid0(VALU_DEP_1) | instskip(NEXT) | instid1(VALU_DEP_1)
	v_mul_f64 v[178:179], v[212:213], v[176:177]
	v_fma_f64 v[170:171], -v[170:171], v[178:179], v[212:213]
	s_delay_alu instid0(VALU_DEP_1) | instskip(NEXT) | instid1(VALU_DEP_1)
	v_div_fmas_f64 v[170:171], v[170:171], v[176:177], v[178:179]
	v_div_fixup_f64 v[170:171], v[170:171], v[174:175], v[172:173]
	s_delay_alu instid0(VALU_DEP_1) | instskip(NEXT) | instid1(VALU_DEP_1)
	v_fma_f64 v[172:173], v[172:173], v[170:171], v[174:175]
	v_div_scale_f64 v[174:175], null, v[172:173], v[172:173], 1.0
	s_delay_alu instid0(VALU_DEP_1) | instskip(SKIP_2) | instid1(VALU_DEP_1)
	v_rcp_f64_e32 v[176:177], v[174:175]
	s_waitcnt_depctr 0xfff
	v_fma_f64 v[178:179], -v[174:175], v[176:177], 1.0
	v_fma_f64 v[176:177], v[176:177], v[178:179], v[176:177]
	s_delay_alu instid0(VALU_DEP_1) | instskip(NEXT) | instid1(VALU_DEP_1)
	v_fma_f64 v[178:179], -v[174:175], v[176:177], 1.0
	v_fma_f64 v[176:177], v[176:177], v[178:179], v[176:177]
	v_div_scale_f64 v[178:179], vcc_lo, 1.0, v[172:173], 1.0
	s_delay_alu instid0(VALU_DEP_1) | instskip(NEXT) | instid1(VALU_DEP_1)
	v_mul_f64 v[212:213], v[178:179], v[176:177]
	v_fma_f64 v[174:175], -v[174:175], v[212:213], v[178:179]
	s_delay_alu instid0(VALU_DEP_1) | instskip(NEXT) | instid1(VALU_DEP_1)
	v_div_fmas_f64 v[174:175], v[174:175], v[176:177], v[212:213]
	v_div_fixup_f64 v[214:215], v[174:175], v[172:173], 1.0
                                        ; implicit-def: $vgpr172_vgpr173
	s_delay_alu instid0(VALU_DEP_1)
	v_mul_f64 v[176:177], v[170:171], v[214:215]
	v_xor_b32_e32 v215, 0x80000000, v215
.LBB85_284:
	s_and_not1_saveexec_b32 s3, s3
	s_cbranch_execz .LBB85_286
; %bb.285:
	v_div_scale_f64 v[170:171], null, v[172:173], v[172:173], v[174:175]
	v_div_scale_f64 v[212:213], vcc_lo, v[174:175], v[172:173], v[174:175]
	s_delay_alu instid0(VALU_DEP_2) | instskip(SKIP_2) | instid1(VALU_DEP_1)
	v_rcp_f64_e32 v[176:177], v[170:171]
	s_waitcnt_depctr 0xfff
	v_fma_f64 v[178:179], -v[170:171], v[176:177], 1.0
	v_fma_f64 v[176:177], v[176:177], v[178:179], v[176:177]
	s_delay_alu instid0(VALU_DEP_1) | instskip(NEXT) | instid1(VALU_DEP_1)
	v_fma_f64 v[178:179], -v[170:171], v[176:177], 1.0
	v_fma_f64 v[176:177], v[176:177], v[178:179], v[176:177]
	s_delay_alu instid0(VALU_DEP_1) | instskip(NEXT) | instid1(VALU_DEP_1)
	v_mul_f64 v[178:179], v[212:213], v[176:177]
	v_fma_f64 v[170:171], -v[170:171], v[178:179], v[212:213]
	s_delay_alu instid0(VALU_DEP_1) | instskip(NEXT) | instid1(VALU_DEP_1)
	v_div_fmas_f64 v[170:171], v[170:171], v[176:177], v[178:179]
	v_div_fixup_f64 v[170:171], v[170:171], v[172:173], v[174:175]
	s_delay_alu instid0(VALU_DEP_1) | instskip(NEXT) | instid1(VALU_DEP_1)
	v_fma_f64 v[172:173], v[174:175], v[170:171], v[172:173]
	v_div_scale_f64 v[174:175], null, v[172:173], v[172:173], 1.0
	s_delay_alu instid0(VALU_DEP_1) | instskip(SKIP_2) | instid1(VALU_DEP_1)
	v_rcp_f64_e32 v[176:177], v[174:175]
	s_waitcnt_depctr 0xfff
	v_fma_f64 v[178:179], -v[174:175], v[176:177], 1.0
	v_fma_f64 v[176:177], v[176:177], v[178:179], v[176:177]
	s_delay_alu instid0(VALU_DEP_1) | instskip(NEXT) | instid1(VALU_DEP_1)
	v_fma_f64 v[178:179], -v[174:175], v[176:177], 1.0
	v_fma_f64 v[176:177], v[176:177], v[178:179], v[176:177]
	v_div_scale_f64 v[178:179], vcc_lo, 1.0, v[172:173], 1.0
	s_delay_alu instid0(VALU_DEP_1) | instskip(NEXT) | instid1(VALU_DEP_1)
	v_mul_f64 v[212:213], v[178:179], v[176:177]
	v_fma_f64 v[174:175], -v[174:175], v[212:213], v[178:179]
	s_delay_alu instid0(VALU_DEP_1) | instskip(NEXT) | instid1(VALU_DEP_1)
	v_div_fmas_f64 v[174:175], v[174:175], v[176:177], v[212:213]
	v_div_fixup_f64 v[176:177], v[174:175], v[172:173], 1.0
	s_delay_alu instid0(VALU_DEP_1)
	v_mul_f64 v[214:215], v[170:171], -v[176:177]
.LBB85_286:
	s_or_b32 exec_lo, exec_lo, s3
	ds_store_2addr_b64 v168, v[176:177], v[214:215] offset1:1
.LBB85_287:
	s_or_b32 exec_lo, exec_lo, s4
	s_waitcnt lgkmcnt(0)
	s_barrier
	buffer_gl0_inv
	ds_load_2addr_b64 v[212:215], v168 offset1:1
	s_mov_b32 s3, exec_lo
	v_cmpx_lt_u32_e32 31, v252
	s_cbranch_execz .LBB85_289
; %bb.288:
	s_waitcnt lgkmcnt(0)
	v_mul_f64 v[170:171], v[212:213], v[46:47]
	v_mul_f64 v[46:47], v[214:215], v[46:47]
	s_delay_alu instid0(VALU_DEP_2) | instskip(SKIP_4) | instid1(VALU_DEP_1)
	v_fma_f64 v[174:175], v[214:215], v[44:45], v[170:171]
	ds_load_2addr_b64 v[170:173], v169 offset0:64 offset1:65
	v_fma_f64 v[44:45], v[212:213], v[44:45], -v[46:47]
	s_waitcnt lgkmcnt(0)
	v_mul_f64 v[46:47], v[172:173], v[174:175]
	v_fma_f64 v[46:47], v[170:171], v[44:45], -v[46:47]
	v_mul_f64 v[170:171], v[170:171], v[174:175]
	s_delay_alu instid0(VALU_DEP_2) | instskip(NEXT) | instid1(VALU_DEP_2)
	v_add_f64 v[40:41], v[40:41], -v[46:47]
	v_fma_f64 v[170:171], v[172:173], v[44:45], v[170:171]
	s_delay_alu instid0(VALU_DEP_1) | instskip(SKIP_3) | instid1(VALU_DEP_1)
	v_add_f64 v[42:43], v[42:43], -v[170:171]
	ds_load_2addr_b64 v[170:173], v169 offset0:66 offset1:67
	s_waitcnt lgkmcnt(0)
	v_mul_f64 v[46:47], v[172:173], v[174:175]
	v_fma_f64 v[46:47], v[170:171], v[44:45], -v[46:47]
	v_mul_f64 v[170:171], v[170:171], v[174:175]
	s_delay_alu instid0(VALU_DEP_2) | instskip(NEXT) | instid1(VALU_DEP_2)
	v_add_f64 v[36:37], v[36:37], -v[46:47]
	v_fma_f64 v[170:171], v[172:173], v[44:45], v[170:171]
	s_delay_alu instid0(VALU_DEP_1) | instskip(SKIP_3) | instid1(VALU_DEP_1)
	v_add_f64 v[38:39], v[38:39], -v[170:171]
	ds_load_2addr_b64 v[170:173], v169 offset0:68 offset1:69
	;; [unrolled: 10-line block ×10, first 2 shown]
	s_waitcnt lgkmcnt(0)
	v_mul_f64 v[46:47], v[172:173], v[174:175]
	v_fma_f64 v[46:47], v[170:171], v[44:45], -v[46:47]
	v_mul_f64 v[170:171], v[170:171], v[174:175]
	s_delay_alu instid0(VALU_DEP_2) | instskip(NEXT) | instid1(VALU_DEP_2)
	v_add_f64 v[0:1], v[0:1], -v[46:47]
	v_fma_f64 v[170:171], v[172:173], v[44:45], v[170:171]
	v_dual_mov_b32 v46, v174 :: v_dual_mov_b32 v47, v175
	s_delay_alu instid0(VALU_DEP_2)
	v_add_f64 v[2:3], v[2:3], -v[170:171]
.LBB85_289:
	s_or_b32 exec_lo, exec_lo, s3
	s_delay_alu instid0(SALU_CYCLE_1)
	s_mov_b32 s4, exec_lo
	s_waitcnt lgkmcnt(0)
	s_barrier
	buffer_gl0_inv
	v_cmpx_eq_u32_e32 32, v252
	s_cbranch_execz .LBB85_296
; %bb.290:
	ds_store_2addr_b64 v168, v[40:41], v[42:43] offset1:1
	ds_store_2addr_b64 v169, v[36:37], v[38:39] offset0:66 offset1:67
	ds_store_2addr_b64 v169, v[32:33], v[34:35] offset0:68 offset1:69
	;; [unrolled: 1-line block ×10, first 2 shown]
	ds_load_2addr_b64 v[172:175], v168 offset1:1
	s_waitcnt lgkmcnt(0)
	v_cmp_neq_f64_e32 vcc_lo, 0, v[172:173]
	v_cmp_neq_f64_e64 s3, 0, v[174:175]
	s_delay_alu instid0(VALU_DEP_1) | instskip(NEXT) | instid1(SALU_CYCLE_1)
	s_or_b32 s3, vcc_lo, s3
	s_and_b32 exec_lo, exec_lo, s3
	s_cbranch_execz .LBB85_296
; %bb.291:
	v_cmp_gt_f64_e32 vcc_lo, 0, v[172:173]
	v_xor_b32_e32 v170, 0x80000000, v173
	v_xor_b32_e32 v176, 0x80000000, v175
	s_delay_alu instid0(VALU_DEP_2) | instskip(SKIP_1) | instid1(VALU_DEP_3)
	v_dual_cndmask_b32 v171, v173, v170 :: v_dual_cndmask_b32 v170, v172, v172
	v_cmp_gt_f64_e32 vcc_lo, 0, v[174:175]
	v_dual_cndmask_b32 v177, v175, v176 :: v_dual_cndmask_b32 v176, v174, v174
	s_delay_alu instid0(VALU_DEP_1) | instskip(SKIP_1) | instid1(SALU_CYCLE_1)
	v_cmp_ngt_f64_e32 vcc_lo, v[170:171], v[176:177]
                                        ; implicit-def: $vgpr176_vgpr177
	s_and_saveexec_b32 s3, vcc_lo
	s_xor_b32 s3, exec_lo, s3
                                        ; implicit-def: $vgpr216_vgpr217_vgpr218_vgpr219
	s_cbranch_execz .LBB85_293
; %bb.292:
	v_div_scale_f64 v[170:171], null, v[174:175], v[174:175], v[172:173]
	v_div_scale_f64 v[216:217], vcc_lo, v[172:173], v[174:175], v[172:173]
	s_delay_alu instid0(VALU_DEP_2) | instskip(SKIP_2) | instid1(VALU_DEP_1)
	v_rcp_f64_e32 v[176:177], v[170:171]
	s_waitcnt_depctr 0xfff
	v_fma_f64 v[178:179], -v[170:171], v[176:177], 1.0
	v_fma_f64 v[176:177], v[176:177], v[178:179], v[176:177]
	s_delay_alu instid0(VALU_DEP_1) | instskip(NEXT) | instid1(VALU_DEP_1)
	v_fma_f64 v[178:179], -v[170:171], v[176:177], 1.0
	v_fma_f64 v[176:177], v[176:177], v[178:179], v[176:177]
	s_delay_alu instid0(VALU_DEP_1) | instskip(NEXT) | instid1(VALU_DEP_1)
	v_mul_f64 v[178:179], v[216:217], v[176:177]
	v_fma_f64 v[170:171], -v[170:171], v[178:179], v[216:217]
	s_delay_alu instid0(VALU_DEP_1) | instskip(NEXT) | instid1(VALU_DEP_1)
	v_div_fmas_f64 v[170:171], v[170:171], v[176:177], v[178:179]
	v_div_fixup_f64 v[170:171], v[170:171], v[174:175], v[172:173]
	s_delay_alu instid0(VALU_DEP_1) | instskip(NEXT) | instid1(VALU_DEP_1)
	v_fma_f64 v[172:173], v[172:173], v[170:171], v[174:175]
	v_div_scale_f64 v[174:175], null, v[172:173], v[172:173], 1.0
	s_delay_alu instid0(VALU_DEP_1) | instskip(SKIP_2) | instid1(VALU_DEP_1)
	v_rcp_f64_e32 v[176:177], v[174:175]
	s_waitcnt_depctr 0xfff
	v_fma_f64 v[178:179], -v[174:175], v[176:177], 1.0
	v_fma_f64 v[176:177], v[176:177], v[178:179], v[176:177]
	s_delay_alu instid0(VALU_DEP_1) | instskip(NEXT) | instid1(VALU_DEP_1)
	v_fma_f64 v[178:179], -v[174:175], v[176:177], 1.0
	v_fma_f64 v[176:177], v[176:177], v[178:179], v[176:177]
	v_div_scale_f64 v[178:179], vcc_lo, 1.0, v[172:173], 1.0
	s_delay_alu instid0(VALU_DEP_1) | instskip(NEXT) | instid1(VALU_DEP_1)
	v_mul_f64 v[216:217], v[178:179], v[176:177]
	v_fma_f64 v[174:175], -v[174:175], v[216:217], v[178:179]
	s_delay_alu instid0(VALU_DEP_1) | instskip(NEXT) | instid1(VALU_DEP_1)
	v_div_fmas_f64 v[174:175], v[174:175], v[176:177], v[216:217]
	v_div_fixup_f64 v[218:219], v[174:175], v[172:173], 1.0
                                        ; implicit-def: $vgpr172_vgpr173
	s_delay_alu instid0(VALU_DEP_1)
	v_mul_f64 v[176:177], v[170:171], v[218:219]
	v_xor_b32_e32 v219, 0x80000000, v219
.LBB85_293:
	s_and_not1_saveexec_b32 s3, s3
	s_cbranch_execz .LBB85_295
; %bb.294:
	v_div_scale_f64 v[170:171], null, v[172:173], v[172:173], v[174:175]
	v_div_scale_f64 v[216:217], vcc_lo, v[174:175], v[172:173], v[174:175]
	s_delay_alu instid0(VALU_DEP_2) | instskip(SKIP_2) | instid1(VALU_DEP_1)
	v_rcp_f64_e32 v[176:177], v[170:171]
	s_waitcnt_depctr 0xfff
	v_fma_f64 v[178:179], -v[170:171], v[176:177], 1.0
	v_fma_f64 v[176:177], v[176:177], v[178:179], v[176:177]
	s_delay_alu instid0(VALU_DEP_1) | instskip(NEXT) | instid1(VALU_DEP_1)
	v_fma_f64 v[178:179], -v[170:171], v[176:177], 1.0
	v_fma_f64 v[176:177], v[176:177], v[178:179], v[176:177]
	s_delay_alu instid0(VALU_DEP_1) | instskip(NEXT) | instid1(VALU_DEP_1)
	v_mul_f64 v[178:179], v[216:217], v[176:177]
	v_fma_f64 v[170:171], -v[170:171], v[178:179], v[216:217]
	s_delay_alu instid0(VALU_DEP_1) | instskip(NEXT) | instid1(VALU_DEP_1)
	v_div_fmas_f64 v[170:171], v[170:171], v[176:177], v[178:179]
	v_div_fixup_f64 v[170:171], v[170:171], v[172:173], v[174:175]
	s_delay_alu instid0(VALU_DEP_1) | instskip(NEXT) | instid1(VALU_DEP_1)
	v_fma_f64 v[172:173], v[174:175], v[170:171], v[172:173]
	v_div_scale_f64 v[174:175], null, v[172:173], v[172:173], 1.0
	s_delay_alu instid0(VALU_DEP_1) | instskip(SKIP_2) | instid1(VALU_DEP_1)
	v_rcp_f64_e32 v[176:177], v[174:175]
	s_waitcnt_depctr 0xfff
	v_fma_f64 v[178:179], -v[174:175], v[176:177], 1.0
	v_fma_f64 v[176:177], v[176:177], v[178:179], v[176:177]
	s_delay_alu instid0(VALU_DEP_1) | instskip(NEXT) | instid1(VALU_DEP_1)
	v_fma_f64 v[178:179], -v[174:175], v[176:177], 1.0
	v_fma_f64 v[176:177], v[176:177], v[178:179], v[176:177]
	v_div_scale_f64 v[178:179], vcc_lo, 1.0, v[172:173], 1.0
	s_delay_alu instid0(VALU_DEP_1) | instskip(NEXT) | instid1(VALU_DEP_1)
	v_mul_f64 v[216:217], v[178:179], v[176:177]
	v_fma_f64 v[174:175], -v[174:175], v[216:217], v[178:179]
	s_delay_alu instid0(VALU_DEP_1) | instskip(NEXT) | instid1(VALU_DEP_1)
	v_div_fmas_f64 v[174:175], v[174:175], v[176:177], v[216:217]
	v_div_fixup_f64 v[176:177], v[174:175], v[172:173], 1.0
	s_delay_alu instid0(VALU_DEP_1)
	v_mul_f64 v[218:219], v[170:171], -v[176:177]
.LBB85_295:
	s_or_b32 exec_lo, exec_lo, s3
	ds_store_2addr_b64 v168, v[176:177], v[218:219] offset1:1
.LBB85_296:
	s_or_b32 exec_lo, exec_lo, s4
	s_waitcnt lgkmcnt(0)
	s_barrier
	buffer_gl0_inv
	ds_load_2addr_b64 v[216:219], v168 offset1:1
	s_mov_b32 s3, exec_lo
	v_cmpx_lt_u32_e32 32, v252
	s_cbranch_execz .LBB85_298
; %bb.297:
	s_waitcnt lgkmcnt(0)
	v_mul_f64 v[170:171], v[216:217], v[42:43]
	v_mul_f64 v[42:43], v[218:219], v[42:43]
	s_delay_alu instid0(VALU_DEP_2) | instskip(SKIP_4) | instid1(VALU_DEP_1)
	v_fma_f64 v[174:175], v[218:219], v[40:41], v[170:171]
	ds_load_2addr_b64 v[170:173], v169 offset0:66 offset1:67
	v_fma_f64 v[40:41], v[216:217], v[40:41], -v[42:43]
	s_waitcnt lgkmcnt(0)
	v_mul_f64 v[42:43], v[172:173], v[174:175]
	v_fma_f64 v[42:43], v[170:171], v[40:41], -v[42:43]
	v_mul_f64 v[170:171], v[170:171], v[174:175]
	s_delay_alu instid0(VALU_DEP_2) | instskip(NEXT) | instid1(VALU_DEP_2)
	v_add_f64 v[36:37], v[36:37], -v[42:43]
	v_fma_f64 v[170:171], v[172:173], v[40:41], v[170:171]
	s_delay_alu instid0(VALU_DEP_1) | instskip(SKIP_3) | instid1(VALU_DEP_1)
	v_add_f64 v[38:39], v[38:39], -v[170:171]
	ds_load_2addr_b64 v[170:173], v169 offset0:68 offset1:69
	s_waitcnt lgkmcnt(0)
	v_mul_f64 v[42:43], v[172:173], v[174:175]
	v_fma_f64 v[42:43], v[170:171], v[40:41], -v[42:43]
	v_mul_f64 v[170:171], v[170:171], v[174:175]
	s_delay_alu instid0(VALU_DEP_2) | instskip(NEXT) | instid1(VALU_DEP_2)
	v_add_f64 v[32:33], v[32:33], -v[42:43]
	v_fma_f64 v[170:171], v[172:173], v[40:41], v[170:171]
	s_delay_alu instid0(VALU_DEP_1) | instskip(SKIP_3) | instid1(VALU_DEP_1)
	v_add_f64 v[34:35], v[34:35], -v[170:171]
	ds_load_2addr_b64 v[170:173], v169 offset0:70 offset1:71
	s_waitcnt lgkmcnt(0)
	v_mul_f64 v[42:43], v[172:173], v[174:175]
	v_fma_f64 v[42:43], v[170:171], v[40:41], -v[42:43]
	v_mul_f64 v[170:171], v[170:171], v[174:175]
	s_delay_alu instid0(VALU_DEP_2) | instskip(NEXT) | instid1(VALU_DEP_2)
	v_add_f64 v[28:29], v[28:29], -v[42:43]
	v_fma_f64 v[170:171], v[172:173], v[40:41], v[170:171]
	s_delay_alu instid0(VALU_DEP_1) | instskip(SKIP_3) | instid1(VALU_DEP_1)
	v_add_f64 v[30:31], v[30:31], -v[170:171]
	ds_load_2addr_b64 v[170:173], v169 offset0:72 offset1:73
	s_waitcnt lgkmcnt(0)
	v_mul_f64 v[42:43], v[172:173], v[174:175]
	v_fma_f64 v[42:43], v[170:171], v[40:41], -v[42:43]
	v_mul_f64 v[170:171], v[170:171], v[174:175]
	s_delay_alu instid0(VALU_DEP_2) | instskip(NEXT) | instid1(VALU_DEP_2)
	v_add_f64 v[24:25], v[24:25], -v[42:43]
	v_fma_f64 v[170:171], v[172:173], v[40:41], v[170:171]
	s_delay_alu instid0(VALU_DEP_1) | instskip(SKIP_3) | instid1(VALU_DEP_1)
	v_add_f64 v[26:27], v[26:27], -v[170:171]
	ds_load_2addr_b64 v[170:173], v169 offset0:74 offset1:75
	s_waitcnt lgkmcnt(0)
	v_mul_f64 v[42:43], v[172:173], v[174:175]
	v_fma_f64 v[42:43], v[170:171], v[40:41], -v[42:43]
	v_mul_f64 v[170:171], v[170:171], v[174:175]
	s_delay_alu instid0(VALU_DEP_2) | instskip(NEXT) | instid1(VALU_DEP_2)
	v_add_f64 v[20:21], v[20:21], -v[42:43]
	v_fma_f64 v[170:171], v[172:173], v[40:41], v[170:171]
	s_delay_alu instid0(VALU_DEP_1) | instskip(SKIP_3) | instid1(VALU_DEP_1)
	v_add_f64 v[22:23], v[22:23], -v[170:171]
	ds_load_2addr_b64 v[170:173], v169 offset0:76 offset1:77
	s_waitcnt lgkmcnt(0)
	v_mul_f64 v[42:43], v[172:173], v[174:175]
	v_fma_f64 v[42:43], v[170:171], v[40:41], -v[42:43]
	v_mul_f64 v[170:171], v[170:171], v[174:175]
	s_delay_alu instid0(VALU_DEP_2) | instskip(NEXT) | instid1(VALU_DEP_2)
	v_add_f64 v[16:17], v[16:17], -v[42:43]
	v_fma_f64 v[170:171], v[172:173], v[40:41], v[170:171]
	s_delay_alu instid0(VALU_DEP_1) | instskip(SKIP_3) | instid1(VALU_DEP_1)
	v_add_f64 v[18:19], v[18:19], -v[170:171]
	ds_load_2addr_b64 v[170:173], v169 offset0:78 offset1:79
	s_waitcnt lgkmcnt(0)
	v_mul_f64 v[42:43], v[172:173], v[174:175]
	v_fma_f64 v[42:43], v[170:171], v[40:41], -v[42:43]
	v_mul_f64 v[170:171], v[170:171], v[174:175]
	s_delay_alu instid0(VALU_DEP_2) | instskip(NEXT) | instid1(VALU_DEP_2)
	v_add_f64 v[12:13], v[12:13], -v[42:43]
	v_fma_f64 v[170:171], v[172:173], v[40:41], v[170:171]
	s_delay_alu instid0(VALU_DEP_1) | instskip(SKIP_3) | instid1(VALU_DEP_1)
	v_add_f64 v[14:15], v[14:15], -v[170:171]
	ds_load_2addr_b64 v[170:173], v169 offset0:80 offset1:81
	s_waitcnt lgkmcnt(0)
	v_mul_f64 v[42:43], v[172:173], v[174:175]
	v_fma_f64 v[42:43], v[170:171], v[40:41], -v[42:43]
	v_mul_f64 v[170:171], v[170:171], v[174:175]
	s_delay_alu instid0(VALU_DEP_2) | instskip(NEXT) | instid1(VALU_DEP_2)
	v_add_f64 v[8:9], v[8:9], -v[42:43]
	v_fma_f64 v[170:171], v[172:173], v[40:41], v[170:171]
	s_delay_alu instid0(VALU_DEP_1) | instskip(SKIP_3) | instid1(VALU_DEP_1)
	v_add_f64 v[10:11], v[10:11], -v[170:171]
	ds_load_2addr_b64 v[170:173], v169 offset0:82 offset1:83
	s_waitcnt lgkmcnt(0)
	v_mul_f64 v[42:43], v[172:173], v[174:175]
	v_fma_f64 v[42:43], v[170:171], v[40:41], -v[42:43]
	v_mul_f64 v[170:171], v[170:171], v[174:175]
	s_delay_alu instid0(VALU_DEP_2) | instskip(NEXT) | instid1(VALU_DEP_2)
	v_add_f64 v[4:5], v[4:5], -v[42:43]
	v_fma_f64 v[170:171], v[172:173], v[40:41], v[170:171]
	s_delay_alu instid0(VALU_DEP_1) | instskip(SKIP_3) | instid1(VALU_DEP_1)
	v_add_f64 v[6:7], v[6:7], -v[170:171]
	ds_load_2addr_b64 v[170:173], v169 offset0:84 offset1:85
	s_waitcnt lgkmcnt(0)
	v_mul_f64 v[42:43], v[172:173], v[174:175]
	v_fma_f64 v[42:43], v[170:171], v[40:41], -v[42:43]
	v_mul_f64 v[170:171], v[170:171], v[174:175]
	s_delay_alu instid0(VALU_DEP_2) | instskip(NEXT) | instid1(VALU_DEP_2)
	v_add_f64 v[0:1], v[0:1], -v[42:43]
	v_fma_f64 v[170:171], v[172:173], v[40:41], v[170:171]
	v_dual_mov_b32 v42, v174 :: v_dual_mov_b32 v43, v175
	s_delay_alu instid0(VALU_DEP_2)
	v_add_f64 v[2:3], v[2:3], -v[170:171]
.LBB85_298:
	s_or_b32 exec_lo, exec_lo, s3
	s_delay_alu instid0(SALU_CYCLE_1)
	s_mov_b32 s4, exec_lo
	s_waitcnt lgkmcnt(0)
	s_barrier
	buffer_gl0_inv
	v_cmpx_eq_u32_e32 33, v252
	s_cbranch_execz .LBB85_305
; %bb.299:
	ds_store_2addr_b64 v168, v[36:37], v[38:39] offset1:1
	ds_store_2addr_b64 v169, v[32:33], v[34:35] offset0:68 offset1:69
	ds_store_2addr_b64 v169, v[28:29], v[30:31] offset0:70 offset1:71
	;; [unrolled: 1-line block ×9, first 2 shown]
	ds_load_2addr_b64 v[172:175], v168 offset1:1
	s_waitcnt lgkmcnt(0)
	v_cmp_neq_f64_e32 vcc_lo, 0, v[172:173]
	v_cmp_neq_f64_e64 s3, 0, v[174:175]
	s_delay_alu instid0(VALU_DEP_1) | instskip(NEXT) | instid1(SALU_CYCLE_1)
	s_or_b32 s3, vcc_lo, s3
	s_and_b32 exec_lo, exec_lo, s3
	s_cbranch_execz .LBB85_305
; %bb.300:
	v_cmp_gt_f64_e32 vcc_lo, 0, v[172:173]
	v_xor_b32_e32 v170, 0x80000000, v173
	v_xor_b32_e32 v176, 0x80000000, v175
	s_delay_alu instid0(VALU_DEP_2) | instskip(SKIP_1) | instid1(VALU_DEP_3)
	v_dual_cndmask_b32 v171, v173, v170 :: v_dual_cndmask_b32 v170, v172, v172
	v_cmp_gt_f64_e32 vcc_lo, 0, v[174:175]
	v_dual_cndmask_b32 v177, v175, v176 :: v_dual_cndmask_b32 v176, v174, v174
	s_delay_alu instid0(VALU_DEP_1) | instskip(SKIP_1) | instid1(SALU_CYCLE_1)
	v_cmp_ngt_f64_e32 vcc_lo, v[170:171], v[176:177]
                                        ; implicit-def: $vgpr176_vgpr177
	s_and_saveexec_b32 s3, vcc_lo
	s_xor_b32 s3, exec_lo, s3
                                        ; implicit-def: $vgpr220_vgpr221_vgpr222_vgpr223
	s_cbranch_execz .LBB85_302
; %bb.301:
	v_div_scale_f64 v[170:171], null, v[174:175], v[174:175], v[172:173]
	v_div_scale_f64 v[220:221], vcc_lo, v[172:173], v[174:175], v[172:173]
	s_delay_alu instid0(VALU_DEP_2) | instskip(SKIP_2) | instid1(VALU_DEP_1)
	v_rcp_f64_e32 v[176:177], v[170:171]
	s_waitcnt_depctr 0xfff
	v_fma_f64 v[178:179], -v[170:171], v[176:177], 1.0
	v_fma_f64 v[176:177], v[176:177], v[178:179], v[176:177]
	s_delay_alu instid0(VALU_DEP_1) | instskip(NEXT) | instid1(VALU_DEP_1)
	v_fma_f64 v[178:179], -v[170:171], v[176:177], 1.0
	v_fma_f64 v[176:177], v[176:177], v[178:179], v[176:177]
	s_delay_alu instid0(VALU_DEP_1) | instskip(NEXT) | instid1(VALU_DEP_1)
	v_mul_f64 v[178:179], v[220:221], v[176:177]
	v_fma_f64 v[170:171], -v[170:171], v[178:179], v[220:221]
	s_delay_alu instid0(VALU_DEP_1) | instskip(NEXT) | instid1(VALU_DEP_1)
	v_div_fmas_f64 v[170:171], v[170:171], v[176:177], v[178:179]
	v_div_fixup_f64 v[170:171], v[170:171], v[174:175], v[172:173]
	s_delay_alu instid0(VALU_DEP_1) | instskip(NEXT) | instid1(VALU_DEP_1)
	v_fma_f64 v[172:173], v[172:173], v[170:171], v[174:175]
	v_div_scale_f64 v[174:175], null, v[172:173], v[172:173], 1.0
	s_delay_alu instid0(VALU_DEP_1) | instskip(SKIP_2) | instid1(VALU_DEP_1)
	v_rcp_f64_e32 v[176:177], v[174:175]
	s_waitcnt_depctr 0xfff
	v_fma_f64 v[178:179], -v[174:175], v[176:177], 1.0
	v_fma_f64 v[176:177], v[176:177], v[178:179], v[176:177]
	s_delay_alu instid0(VALU_DEP_1) | instskip(NEXT) | instid1(VALU_DEP_1)
	v_fma_f64 v[178:179], -v[174:175], v[176:177], 1.0
	v_fma_f64 v[176:177], v[176:177], v[178:179], v[176:177]
	v_div_scale_f64 v[178:179], vcc_lo, 1.0, v[172:173], 1.0
	s_delay_alu instid0(VALU_DEP_1) | instskip(NEXT) | instid1(VALU_DEP_1)
	v_mul_f64 v[220:221], v[178:179], v[176:177]
	v_fma_f64 v[174:175], -v[174:175], v[220:221], v[178:179]
	s_delay_alu instid0(VALU_DEP_1) | instskip(NEXT) | instid1(VALU_DEP_1)
	v_div_fmas_f64 v[174:175], v[174:175], v[176:177], v[220:221]
	v_div_fixup_f64 v[222:223], v[174:175], v[172:173], 1.0
                                        ; implicit-def: $vgpr172_vgpr173
	s_delay_alu instid0(VALU_DEP_1)
	v_mul_f64 v[176:177], v[170:171], v[222:223]
	v_xor_b32_e32 v223, 0x80000000, v223
.LBB85_302:
	s_and_not1_saveexec_b32 s3, s3
	s_cbranch_execz .LBB85_304
; %bb.303:
	v_div_scale_f64 v[170:171], null, v[172:173], v[172:173], v[174:175]
	v_div_scale_f64 v[220:221], vcc_lo, v[174:175], v[172:173], v[174:175]
	s_delay_alu instid0(VALU_DEP_2) | instskip(SKIP_2) | instid1(VALU_DEP_1)
	v_rcp_f64_e32 v[176:177], v[170:171]
	s_waitcnt_depctr 0xfff
	v_fma_f64 v[178:179], -v[170:171], v[176:177], 1.0
	v_fma_f64 v[176:177], v[176:177], v[178:179], v[176:177]
	s_delay_alu instid0(VALU_DEP_1) | instskip(NEXT) | instid1(VALU_DEP_1)
	v_fma_f64 v[178:179], -v[170:171], v[176:177], 1.0
	v_fma_f64 v[176:177], v[176:177], v[178:179], v[176:177]
	s_delay_alu instid0(VALU_DEP_1) | instskip(NEXT) | instid1(VALU_DEP_1)
	v_mul_f64 v[178:179], v[220:221], v[176:177]
	v_fma_f64 v[170:171], -v[170:171], v[178:179], v[220:221]
	s_delay_alu instid0(VALU_DEP_1) | instskip(NEXT) | instid1(VALU_DEP_1)
	v_div_fmas_f64 v[170:171], v[170:171], v[176:177], v[178:179]
	v_div_fixup_f64 v[170:171], v[170:171], v[172:173], v[174:175]
	s_delay_alu instid0(VALU_DEP_1) | instskip(NEXT) | instid1(VALU_DEP_1)
	v_fma_f64 v[172:173], v[174:175], v[170:171], v[172:173]
	v_div_scale_f64 v[174:175], null, v[172:173], v[172:173], 1.0
	s_delay_alu instid0(VALU_DEP_1) | instskip(SKIP_2) | instid1(VALU_DEP_1)
	v_rcp_f64_e32 v[176:177], v[174:175]
	s_waitcnt_depctr 0xfff
	v_fma_f64 v[178:179], -v[174:175], v[176:177], 1.0
	v_fma_f64 v[176:177], v[176:177], v[178:179], v[176:177]
	s_delay_alu instid0(VALU_DEP_1) | instskip(NEXT) | instid1(VALU_DEP_1)
	v_fma_f64 v[178:179], -v[174:175], v[176:177], 1.0
	v_fma_f64 v[176:177], v[176:177], v[178:179], v[176:177]
	v_div_scale_f64 v[178:179], vcc_lo, 1.0, v[172:173], 1.0
	s_delay_alu instid0(VALU_DEP_1) | instskip(NEXT) | instid1(VALU_DEP_1)
	v_mul_f64 v[220:221], v[178:179], v[176:177]
	v_fma_f64 v[174:175], -v[174:175], v[220:221], v[178:179]
	s_delay_alu instid0(VALU_DEP_1) | instskip(NEXT) | instid1(VALU_DEP_1)
	v_div_fmas_f64 v[174:175], v[174:175], v[176:177], v[220:221]
	v_div_fixup_f64 v[176:177], v[174:175], v[172:173], 1.0
	s_delay_alu instid0(VALU_DEP_1)
	v_mul_f64 v[222:223], v[170:171], -v[176:177]
.LBB85_304:
	s_or_b32 exec_lo, exec_lo, s3
	ds_store_2addr_b64 v168, v[176:177], v[222:223] offset1:1
.LBB85_305:
	s_or_b32 exec_lo, exec_lo, s4
	s_waitcnt lgkmcnt(0)
	s_barrier
	buffer_gl0_inv
	ds_load_2addr_b64 v[220:223], v168 offset1:1
	s_mov_b32 s3, exec_lo
	v_cmpx_lt_u32_e32 33, v252
	s_cbranch_execz .LBB85_307
; %bb.306:
	s_waitcnt lgkmcnt(0)
	v_mul_f64 v[170:171], v[220:221], v[38:39]
	v_mul_f64 v[38:39], v[222:223], v[38:39]
	s_delay_alu instid0(VALU_DEP_2) | instskip(SKIP_4) | instid1(VALU_DEP_1)
	v_fma_f64 v[174:175], v[222:223], v[36:37], v[170:171]
	ds_load_2addr_b64 v[170:173], v169 offset0:68 offset1:69
	v_fma_f64 v[36:37], v[220:221], v[36:37], -v[38:39]
	s_waitcnt lgkmcnt(0)
	v_mul_f64 v[38:39], v[172:173], v[174:175]
	v_fma_f64 v[38:39], v[170:171], v[36:37], -v[38:39]
	v_mul_f64 v[170:171], v[170:171], v[174:175]
	s_delay_alu instid0(VALU_DEP_2) | instskip(NEXT) | instid1(VALU_DEP_2)
	v_add_f64 v[32:33], v[32:33], -v[38:39]
	v_fma_f64 v[170:171], v[172:173], v[36:37], v[170:171]
	s_delay_alu instid0(VALU_DEP_1) | instskip(SKIP_3) | instid1(VALU_DEP_1)
	v_add_f64 v[34:35], v[34:35], -v[170:171]
	ds_load_2addr_b64 v[170:173], v169 offset0:70 offset1:71
	s_waitcnt lgkmcnt(0)
	v_mul_f64 v[38:39], v[172:173], v[174:175]
	v_fma_f64 v[38:39], v[170:171], v[36:37], -v[38:39]
	v_mul_f64 v[170:171], v[170:171], v[174:175]
	s_delay_alu instid0(VALU_DEP_2) | instskip(NEXT) | instid1(VALU_DEP_2)
	v_add_f64 v[28:29], v[28:29], -v[38:39]
	v_fma_f64 v[170:171], v[172:173], v[36:37], v[170:171]
	s_delay_alu instid0(VALU_DEP_1) | instskip(SKIP_3) | instid1(VALU_DEP_1)
	v_add_f64 v[30:31], v[30:31], -v[170:171]
	ds_load_2addr_b64 v[170:173], v169 offset0:72 offset1:73
	;; [unrolled: 10-line block ×8, first 2 shown]
	s_waitcnt lgkmcnt(0)
	v_mul_f64 v[38:39], v[172:173], v[174:175]
	v_fma_f64 v[38:39], v[170:171], v[36:37], -v[38:39]
	v_mul_f64 v[170:171], v[170:171], v[174:175]
	s_delay_alu instid0(VALU_DEP_2) | instskip(NEXT) | instid1(VALU_DEP_2)
	v_add_f64 v[0:1], v[0:1], -v[38:39]
	v_fma_f64 v[170:171], v[172:173], v[36:37], v[170:171]
	v_dual_mov_b32 v38, v174 :: v_dual_mov_b32 v39, v175
	s_delay_alu instid0(VALU_DEP_2)
	v_add_f64 v[2:3], v[2:3], -v[170:171]
.LBB85_307:
	s_or_b32 exec_lo, exec_lo, s3
	s_delay_alu instid0(SALU_CYCLE_1)
	s_mov_b32 s4, exec_lo
	s_waitcnt lgkmcnt(0)
	s_barrier
	buffer_gl0_inv
	v_cmpx_eq_u32_e32 34, v252
	s_cbranch_execz .LBB85_314
; %bb.308:
	ds_store_2addr_b64 v168, v[32:33], v[34:35] offset1:1
	ds_store_2addr_b64 v169, v[28:29], v[30:31] offset0:70 offset1:71
	ds_store_2addr_b64 v169, v[24:25], v[26:27] offset0:72 offset1:73
	;; [unrolled: 1-line block ×8, first 2 shown]
	ds_load_2addr_b64 v[172:175], v168 offset1:1
	s_waitcnt lgkmcnt(0)
	v_cmp_neq_f64_e32 vcc_lo, 0, v[172:173]
	v_cmp_neq_f64_e64 s3, 0, v[174:175]
	s_delay_alu instid0(VALU_DEP_1) | instskip(NEXT) | instid1(SALU_CYCLE_1)
	s_or_b32 s3, vcc_lo, s3
	s_and_b32 exec_lo, exec_lo, s3
	s_cbranch_execz .LBB85_314
; %bb.309:
	v_cmp_gt_f64_e32 vcc_lo, 0, v[172:173]
	v_xor_b32_e32 v170, 0x80000000, v173
	v_xor_b32_e32 v176, 0x80000000, v175
	s_delay_alu instid0(VALU_DEP_2) | instskip(SKIP_1) | instid1(VALU_DEP_3)
	v_dual_cndmask_b32 v171, v173, v170 :: v_dual_cndmask_b32 v170, v172, v172
	v_cmp_gt_f64_e32 vcc_lo, 0, v[174:175]
	v_dual_cndmask_b32 v177, v175, v176 :: v_dual_cndmask_b32 v176, v174, v174
	s_delay_alu instid0(VALU_DEP_1) | instskip(SKIP_1) | instid1(SALU_CYCLE_1)
	v_cmp_ngt_f64_e32 vcc_lo, v[170:171], v[176:177]
                                        ; implicit-def: $vgpr176_vgpr177
	s_and_saveexec_b32 s3, vcc_lo
	s_xor_b32 s3, exec_lo, s3
                                        ; implicit-def: $vgpr224_vgpr225_vgpr226_vgpr227
	s_cbranch_execz .LBB85_311
; %bb.310:
	v_div_scale_f64 v[170:171], null, v[174:175], v[174:175], v[172:173]
	v_div_scale_f64 v[224:225], vcc_lo, v[172:173], v[174:175], v[172:173]
	s_delay_alu instid0(VALU_DEP_2) | instskip(SKIP_2) | instid1(VALU_DEP_1)
	v_rcp_f64_e32 v[176:177], v[170:171]
	s_waitcnt_depctr 0xfff
	v_fma_f64 v[178:179], -v[170:171], v[176:177], 1.0
	v_fma_f64 v[176:177], v[176:177], v[178:179], v[176:177]
	s_delay_alu instid0(VALU_DEP_1) | instskip(NEXT) | instid1(VALU_DEP_1)
	v_fma_f64 v[178:179], -v[170:171], v[176:177], 1.0
	v_fma_f64 v[176:177], v[176:177], v[178:179], v[176:177]
	s_delay_alu instid0(VALU_DEP_1) | instskip(NEXT) | instid1(VALU_DEP_1)
	v_mul_f64 v[178:179], v[224:225], v[176:177]
	v_fma_f64 v[170:171], -v[170:171], v[178:179], v[224:225]
	s_delay_alu instid0(VALU_DEP_1) | instskip(NEXT) | instid1(VALU_DEP_1)
	v_div_fmas_f64 v[170:171], v[170:171], v[176:177], v[178:179]
	v_div_fixup_f64 v[170:171], v[170:171], v[174:175], v[172:173]
	s_delay_alu instid0(VALU_DEP_1) | instskip(NEXT) | instid1(VALU_DEP_1)
	v_fma_f64 v[172:173], v[172:173], v[170:171], v[174:175]
	v_div_scale_f64 v[174:175], null, v[172:173], v[172:173], 1.0
	s_delay_alu instid0(VALU_DEP_1) | instskip(SKIP_2) | instid1(VALU_DEP_1)
	v_rcp_f64_e32 v[176:177], v[174:175]
	s_waitcnt_depctr 0xfff
	v_fma_f64 v[178:179], -v[174:175], v[176:177], 1.0
	v_fma_f64 v[176:177], v[176:177], v[178:179], v[176:177]
	s_delay_alu instid0(VALU_DEP_1) | instskip(NEXT) | instid1(VALU_DEP_1)
	v_fma_f64 v[178:179], -v[174:175], v[176:177], 1.0
	v_fma_f64 v[176:177], v[176:177], v[178:179], v[176:177]
	v_div_scale_f64 v[178:179], vcc_lo, 1.0, v[172:173], 1.0
	s_delay_alu instid0(VALU_DEP_1) | instskip(NEXT) | instid1(VALU_DEP_1)
	v_mul_f64 v[224:225], v[178:179], v[176:177]
	v_fma_f64 v[174:175], -v[174:175], v[224:225], v[178:179]
	s_delay_alu instid0(VALU_DEP_1) | instskip(NEXT) | instid1(VALU_DEP_1)
	v_div_fmas_f64 v[174:175], v[174:175], v[176:177], v[224:225]
	v_div_fixup_f64 v[226:227], v[174:175], v[172:173], 1.0
                                        ; implicit-def: $vgpr172_vgpr173
	s_delay_alu instid0(VALU_DEP_1)
	v_mul_f64 v[176:177], v[170:171], v[226:227]
	v_xor_b32_e32 v227, 0x80000000, v227
.LBB85_311:
	s_and_not1_saveexec_b32 s3, s3
	s_cbranch_execz .LBB85_313
; %bb.312:
	v_div_scale_f64 v[170:171], null, v[172:173], v[172:173], v[174:175]
	v_div_scale_f64 v[224:225], vcc_lo, v[174:175], v[172:173], v[174:175]
	s_delay_alu instid0(VALU_DEP_2) | instskip(SKIP_2) | instid1(VALU_DEP_1)
	v_rcp_f64_e32 v[176:177], v[170:171]
	s_waitcnt_depctr 0xfff
	v_fma_f64 v[178:179], -v[170:171], v[176:177], 1.0
	v_fma_f64 v[176:177], v[176:177], v[178:179], v[176:177]
	s_delay_alu instid0(VALU_DEP_1) | instskip(NEXT) | instid1(VALU_DEP_1)
	v_fma_f64 v[178:179], -v[170:171], v[176:177], 1.0
	v_fma_f64 v[176:177], v[176:177], v[178:179], v[176:177]
	s_delay_alu instid0(VALU_DEP_1) | instskip(NEXT) | instid1(VALU_DEP_1)
	v_mul_f64 v[178:179], v[224:225], v[176:177]
	v_fma_f64 v[170:171], -v[170:171], v[178:179], v[224:225]
	s_delay_alu instid0(VALU_DEP_1) | instskip(NEXT) | instid1(VALU_DEP_1)
	v_div_fmas_f64 v[170:171], v[170:171], v[176:177], v[178:179]
	v_div_fixup_f64 v[170:171], v[170:171], v[172:173], v[174:175]
	s_delay_alu instid0(VALU_DEP_1) | instskip(NEXT) | instid1(VALU_DEP_1)
	v_fma_f64 v[172:173], v[174:175], v[170:171], v[172:173]
	v_div_scale_f64 v[174:175], null, v[172:173], v[172:173], 1.0
	s_delay_alu instid0(VALU_DEP_1) | instskip(SKIP_2) | instid1(VALU_DEP_1)
	v_rcp_f64_e32 v[176:177], v[174:175]
	s_waitcnt_depctr 0xfff
	v_fma_f64 v[178:179], -v[174:175], v[176:177], 1.0
	v_fma_f64 v[176:177], v[176:177], v[178:179], v[176:177]
	s_delay_alu instid0(VALU_DEP_1) | instskip(NEXT) | instid1(VALU_DEP_1)
	v_fma_f64 v[178:179], -v[174:175], v[176:177], 1.0
	v_fma_f64 v[176:177], v[176:177], v[178:179], v[176:177]
	v_div_scale_f64 v[178:179], vcc_lo, 1.0, v[172:173], 1.0
	s_delay_alu instid0(VALU_DEP_1) | instskip(NEXT) | instid1(VALU_DEP_1)
	v_mul_f64 v[224:225], v[178:179], v[176:177]
	v_fma_f64 v[174:175], -v[174:175], v[224:225], v[178:179]
	s_delay_alu instid0(VALU_DEP_1) | instskip(NEXT) | instid1(VALU_DEP_1)
	v_div_fmas_f64 v[174:175], v[174:175], v[176:177], v[224:225]
	v_div_fixup_f64 v[176:177], v[174:175], v[172:173], 1.0
	s_delay_alu instid0(VALU_DEP_1)
	v_mul_f64 v[226:227], v[170:171], -v[176:177]
.LBB85_313:
	s_or_b32 exec_lo, exec_lo, s3
	ds_store_2addr_b64 v168, v[176:177], v[226:227] offset1:1
.LBB85_314:
	s_or_b32 exec_lo, exec_lo, s4
	s_waitcnt lgkmcnt(0)
	s_barrier
	buffer_gl0_inv
	ds_load_2addr_b64 v[224:227], v168 offset1:1
	s_mov_b32 s3, exec_lo
	v_cmpx_lt_u32_e32 34, v252
	s_cbranch_execz .LBB85_316
; %bb.315:
	s_waitcnt lgkmcnt(0)
	v_mul_f64 v[170:171], v[224:225], v[34:35]
	v_mul_f64 v[34:35], v[226:227], v[34:35]
	s_delay_alu instid0(VALU_DEP_2) | instskip(SKIP_4) | instid1(VALU_DEP_1)
	v_fma_f64 v[174:175], v[226:227], v[32:33], v[170:171]
	ds_load_2addr_b64 v[170:173], v169 offset0:70 offset1:71
	v_fma_f64 v[32:33], v[224:225], v[32:33], -v[34:35]
	s_waitcnt lgkmcnt(0)
	v_mul_f64 v[34:35], v[172:173], v[174:175]
	v_fma_f64 v[34:35], v[170:171], v[32:33], -v[34:35]
	v_mul_f64 v[170:171], v[170:171], v[174:175]
	s_delay_alu instid0(VALU_DEP_2) | instskip(NEXT) | instid1(VALU_DEP_2)
	v_add_f64 v[28:29], v[28:29], -v[34:35]
	v_fma_f64 v[170:171], v[172:173], v[32:33], v[170:171]
	s_delay_alu instid0(VALU_DEP_1) | instskip(SKIP_3) | instid1(VALU_DEP_1)
	v_add_f64 v[30:31], v[30:31], -v[170:171]
	ds_load_2addr_b64 v[170:173], v169 offset0:72 offset1:73
	s_waitcnt lgkmcnt(0)
	v_mul_f64 v[34:35], v[172:173], v[174:175]
	v_fma_f64 v[34:35], v[170:171], v[32:33], -v[34:35]
	v_mul_f64 v[170:171], v[170:171], v[174:175]
	s_delay_alu instid0(VALU_DEP_2) | instskip(NEXT) | instid1(VALU_DEP_2)
	v_add_f64 v[24:25], v[24:25], -v[34:35]
	v_fma_f64 v[170:171], v[172:173], v[32:33], v[170:171]
	s_delay_alu instid0(VALU_DEP_1) | instskip(SKIP_3) | instid1(VALU_DEP_1)
	v_add_f64 v[26:27], v[26:27], -v[170:171]
	ds_load_2addr_b64 v[170:173], v169 offset0:74 offset1:75
	;; [unrolled: 10-line block ×7, first 2 shown]
	s_waitcnt lgkmcnt(0)
	v_mul_f64 v[34:35], v[172:173], v[174:175]
	v_fma_f64 v[34:35], v[170:171], v[32:33], -v[34:35]
	v_mul_f64 v[170:171], v[170:171], v[174:175]
	s_delay_alu instid0(VALU_DEP_2) | instskip(NEXT) | instid1(VALU_DEP_2)
	v_add_f64 v[0:1], v[0:1], -v[34:35]
	v_fma_f64 v[170:171], v[172:173], v[32:33], v[170:171]
	v_dual_mov_b32 v34, v174 :: v_dual_mov_b32 v35, v175
	s_delay_alu instid0(VALU_DEP_2)
	v_add_f64 v[2:3], v[2:3], -v[170:171]
.LBB85_316:
	s_or_b32 exec_lo, exec_lo, s3
	s_delay_alu instid0(SALU_CYCLE_1)
	s_mov_b32 s4, exec_lo
	s_waitcnt lgkmcnt(0)
	s_barrier
	buffer_gl0_inv
	v_cmpx_eq_u32_e32 35, v252
	s_cbranch_execz .LBB85_323
; %bb.317:
	ds_store_2addr_b64 v168, v[28:29], v[30:31] offset1:1
	ds_store_2addr_b64 v169, v[24:25], v[26:27] offset0:72 offset1:73
	ds_store_2addr_b64 v169, v[20:21], v[22:23] offset0:74 offset1:75
	;; [unrolled: 1-line block ×7, first 2 shown]
	ds_load_2addr_b64 v[172:175], v168 offset1:1
	s_waitcnt lgkmcnt(0)
	v_cmp_neq_f64_e32 vcc_lo, 0, v[172:173]
	v_cmp_neq_f64_e64 s3, 0, v[174:175]
	s_delay_alu instid0(VALU_DEP_1) | instskip(NEXT) | instid1(SALU_CYCLE_1)
	s_or_b32 s3, vcc_lo, s3
	s_and_b32 exec_lo, exec_lo, s3
	s_cbranch_execz .LBB85_323
; %bb.318:
	v_cmp_gt_f64_e32 vcc_lo, 0, v[172:173]
	v_xor_b32_e32 v170, 0x80000000, v173
	v_xor_b32_e32 v176, 0x80000000, v175
	s_delay_alu instid0(VALU_DEP_2) | instskip(SKIP_1) | instid1(VALU_DEP_3)
	v_dual_cndmask_b32 v171, v173, v170 :: v_dual_cndmask_b32 v170, v172, v172
	v_cmp_gt_f64_e32 vcc_lo, 0, v[174:175]
	v_dual_cndmask_b32 v177, v175, v176 :: v_dual_cndmask_b32 v176, v174, v174
	s_delay_alu instid0(VALU_DEP_1) | instskip(SKIP_1) | instid1(SALU_CYCLE_1)
	v_cmp_ngt_f64_e32 vcc_lo, v[170:171], v[176:177]
                                        ; implicit-def: $vgpr176_vgpr177
	s_and_saveexec_b32 s3, vcc_lo
	s_xor_b32 s3, exec_lo, s3
                                        ; implicit-def: $vgpr228_vgpr229_vgpr230_vgpr231
	s_cbranch_execz .LBB85_320
; %bb.319:
	v_div_scale_f64 v[170:171], null, v[174:175], v[174:175], v[172:173]
	v_div_scale_f64 v[228:229], vcc_lo, v[172:173], v[174:175], v[172:173]
	s_delay_alu instid0(VALU_DEP_2) | instskip(SKIP_2) | instid1(VALU_DEP_1)
	v_rcp_f64_e32 v[176:177], v[170:171]
	s_waitcnt_depctr 0xfff
	v_fma_f64 v[178:179], -v[170:171], v[176:177], 1.0
	v_fma_f64 v[176:177], v[176:177], v[178:179], v[176:177]
	s_delay_alu instid0(VALU_DEP_1) | instskip(NEXT) | instid1(VALU_DEP_1)
	v_fma_f64 v[178:179], -v[170:171], v[176:177], 1.0
	v_fma_f64 v[176:177], v[176:177], v[178:179], v[176:177]
	s_delay_alu instid0(VALU_DEP_1) | instskip(NEXT) | instid1(VALU_DEP_1)
	v_mul_f64 v[178:179], v[228:229], v[176:177]
	v_fma_f64 v[170:171], -v[170:171], v[178:179], v[228:229]
	s_delay_alu instid0(VALU_DEP_1) | instskip(NEXT) | instid1(VALU_DEP_1)
	v_div_fmas_f64 v[170:171], v[170:171], v[176:177], v[178:179]
	v_div_fixup_f64 v[170:171], v[170:171], v[174:175], v[172:173]
	s_delay_alu instid0(VALU_DEP_1) | instskip(NEXT) | instid1(VALU_DEP_1)
	v_fma_f64 v[172:173], v[172:173], v[170:171], v[174:175]
	v_div_scale_f64 v[174:175], null, v[172:173], v[172:173], 1.0
	s_delay_alu instid0(VALU_DEP_1) | instskip(SKIP_2) | instid1(VALU_DEP_1)
	v_rcp_f64_e32 v[176:177], v[174:175]
	s_waitcnt_depctr 0xfff
	v_fma_f64 v[178:179], -v[174:175], v[176:177], 1.0
	v_fma_f64 v[176:177], v[176:177], v[178:179], v[176:177]
	s_delay_alu instid0(VALU_DEP_1) | instskip(NEXT) | instid1(VALU_DEP_1)
	v_fma_f64 v[178:179], -v[174:175], v[176:177], 1.0
	v_fma_f64 v[176:177], v[176:177], v[178:179], v[176:177]
	v_div_scale_f64 v[178:179], vcc_lo, 1.0, v[172:173], 1.0
	s_delay_alu instid0(VALU_DEP_1) | instskip(NEXT) | instid1(VALU_DEP_1)
	v_mul_f64 v[228:229], v[178:179], v[176:177]
	v_fma_f64 v[174:175], -v[174:175], v[228:229], v[178:179]
	s_delay_alu instid0(VALU_DEP_1) | instskip(NEXT) | instid1(VALU_DEP_1)
	v_div_fmas_f64 v[174:175], v[174:175], v[176:177], v[228:229]
	v_div_fixup_f64 v[230:231], v[174:175], v[172:173], 1.0
                                        ; implicit-def: $vgpr172_vgpr173
	s_delay_alu instid0(VALU_DEP_1)
	v_mul_f64 v[176:177], v[170:171], v[230:231]
	v_xor_b32_e32 v231, 0x80000000, v231
.LBB85_320:
	s_and_not1_saveexec_b32 s3, s3
	s_cbranch_execz .LBB85_322
; %bb.321:
	v_div_scale_f64 v[170:171], null, v[172:173], v[172:173], v[174:175]
	v_div_scale_f64 v[228:229], vcc_lo, v[174:175], v[172:173], v[174:175]
	s_delay_alu instid0(VALU_DEP_2) | instskip(SKIP_2) | instid1(VALU_DEP_1)
	v_rcp_f64_e32 v[176:177], v[170:171]
	s_waitcnt_depctr 0xfff
	v_fma_f64 v[178:179], -v[170:171], v[176:177], 1.0
	v_fma_f64 v[176:177], v[176:177], v[178:179], v[176:177]
	s_delay_alu instid0(VALU_DEP_1) | instskip(NEXT) | instid1(VALU_DEP_1)
	v_fma_f64 v[178:179], -v[170:171], v[176:177], 1.0
	v_fma_f64 v[176:177], v[176:177], v[178:179], v[176:177]
	s_delay_alu instid0(VALU_DEP_1) | instskip(NEXT) | instid1(VALU_DEP_1)
	v_mul_f64 v[178:179], v[228:229], v[176:177]
	v_fma_f64 v[170:171], -v[170:171], v[178:179], v[228:229]
	s_delay_alu instid0(VALU_DEP_1) | instskip(NEXT) | instid1(VALU_DEP_1)
	v_div_fmas_f64 v[170:171], v[170:171], v[176:177], v[178:179]
	v_div_fixup_f64 v[170:171], v[170:171], v[172:173], v[174:175]
	s_delay_alu instid0(VALU_DEP_1) | instskip(NEXT) | instid1(VALU_DEP_1)
	v_fma_f64 v[172:173], v[174:175], v[170:171], v[172:173]
	v_div_scale_f64 v[174:175], null, v[172:173], v[172:173], 1.0
	s_delay_alu instid0(VALU_DEP_1) | instskip(SKIP_2) | instid1(VALU_DEP_1)
	v_rcp_f64_e32 v[176:177], v[174:175]
	s_waitcnt_depctr 0xfff
	v_fma_f64 v[178:179], -v[174:175], v[176:177], 1.0
	v_fma_f64 v[176:177], v[176:177], v[178:179], v[176:177]
	s_delay_alu instid0(VALU_DEP_1) | instskip(NEXT) | instid1(VALU_DEP_1)
	v_fma_f64 v[178:179], -v[174:175], v[176:177], 1.0
	v_fma_f64 v[176:177], v[176:177], v[178:179], v[176:177]
	v_div_scale_f64 v[178:179], vcc_lo, 1.0, v[172:173], 1.0
	s_delay_alu instid0(VALU_DEP_1) | instskip(NEXT) | instid1(VALU_DEP_1)
	v_mul_f64 v[228:229], v[178:179], v[176:177]
	v_fma_f64 v[174:175], -v[174:175], v[228:229], v[178:179]
	s_delay_alu instid0(VALU_DEP_1) | instskip(NEXT) | instid1(VALU_DEP_1)
	v_div_fmas_f64 v[174:175], v[174:175], v[176:177], v[228:229]
	v_div_fixup_f64 v[176:177], v[174:175], v[172:173], 1.0
	s_delay_alu instid0(VALU_DEP_1)
	v_mul_f64 v[230:231], v[170:171], -v[176:177]
.LBB85_322:
	s_or_b32 exec_lo, exec_lo, s3
	ds_store_2addr_b64 v168, v[176:177], v[230:231] offset1:1
.LBB85_323:
	s_or_b32 exec_lo, exec_lo, s4
	s_waitcnt lgkmcnt(0)
	s_barrier
	buffer_gl0_inv
	ds_load_2addr_b64 v[228:231], v168 offset1:1
	s_mov_b32 s3, exec_lo
	v_cmpx_lt_u32_e32 35, v252
	s_cbranch_execz .LBB85_325
; %bb.324:
	s_waitcnt lgkmcnt(0)
	v_mul_f64 v[170:171], v[228:229], v[30:31]
	v_mul_f64 v[30:31], v[230:231], v[30:31]
	s_delay_alu instid0(VALU_DEP_2) | instskip(SKIP_4) | instid1(VALU_DEP_1)
	v_fma_f64 v[174:175], v[230:231], v[28:29], v[170:171]
	ds_load_2addr_b64 v[170:173], v169 offset0:72 offset1:73
	v_fma_f64 v[28:29], v[228:229], v[28:29], -v[30:31]
	s_waitcnt lgkmcnt(0)
	v_mul_f64 v[30:31], v[172:173], v[174:175]
	v_fma_f64 v[30:31], v[170:171], v[28:29], -v[30:31]
	v_mul_f64 v[170:171], v[170:171], v[174:175]
	s_delay_alu instid0(VALU_DEP_2) | instskip(NEXT) | instid1(VALU_DEP_2)
	v_add_f64 v[24:25], v[24:25], -v[30:31]
	v_fma_f64 v[170:171], v[172:173], v[28:29], v[170:171]
	s_delay_alu instid0(VALU_DEP_1) | instskip(SKIP_3) | instid1(VALU_DEP_1)
	v_add_f64 v[26:27], v[26:27], -v[170:171]
	ds_load_2addr_b64 v[170:173], v169 offset0:74 offset1:75
	s_waitcnt lgkmcnt(0)
	v_mul_f64 v[30:31], v[172:173], v[174:175]
	v_fma_f64 v[30:31], v[170:171], v[28:29], -v[30:31]
	v_mul_f64 v[170:171], v[170:171], v[174:175]
	s_delay_alu instid0(VALU_DEP_2) | instskip(NEXT) | instid1(VALU_DEP_2)
	v_add_f64 v[20:21], v[20:21], -v[30:31]
	v_fma_f64 v[170:171], v[172:173], v[28:29], v[170:171]
	s_delay_alu instid0(VALU_DEP_1) | instskip(SKIP_3) | instid1(VALU_DEP_1)
	v_add_f64 v[22:23], v[22:23], -v[170:171]
	ds_load_2addr_b64 v[170:173], v169 offset0:76 offset1:77
	s_waitcnt lgkmcnt(0)
	v_mul_f64 v[30:31], v[172:173], v[174:175]
	v_fma_f64 v[30:31], v[170:171], v[28:29], -v[30:31]
	v_mul_f64 v[170:171], v[170:171], v[174:175]
	s_delay_alu instid0(VALU_DEP_2) | instskip(NEXT) | instid1(VALU_DEP_2)
	v_add_f64 v[16:17], v[16:17], -v[30:31]
	v_fma_f64 v[170:171], v[172:173], v[28:29], v[170:171]
	s_delay_alu instid0(VALU_DEP_1) | instskip(SKIP_3) | instid1(VALU_DEP_1)
	v_add_f64 v[18:19], v[18:19], -v[170:171]
	ds_load_2addr_b64 v[170:173], v169 offset0:78 offset1:79
	s_waitcnt lgkmcnt(0)
	v_mul_f64 v[30:31], v[172:173], v[174:175]
	v_fma_f64 v[30:31], v[170:171], v[28:29], -v[30:31]
	v_mul_f64 v[170:171], v[170:171], v[174:175]
	s_delay_alu instid0(VALU_DEP_2) | instskip(NEXT) | instid1(VALU_DEP_2)
	v_add_f64 v[12:13], v[12:13], -v[30:31]
	v_fma_f64 v[170:171], v[172:173], v[28:29], v[170:171]
	s_delay_alu instid0(VALU_DEP_1) | instskip(SKIP_3) | instid1(VALU_DEP_1)
	v_add_f64 v[14:15], v[14:15], -v[170:171]
	ds_load_2addr_b64 v[170:173], v169 offset0:80 offset1:81
	s_waitcnt lgkmcnt(0)
	v_mul_f64 v[30:31], v[172:173], v[174:175]
	v_fma_f64 v[30:31], v[170:171], v[28:29], -v[30:31]
	v_mul_f64 v[170:171], v[170:171], v[174:175]
	s_delay_alu instid0(VALU_DEP_2) | instskip(NEXT) | instid1(VALU_DEP_2)
	v_add_f64 v[8:9], v[8:9], -v[30:31]
	v_fma_f64 v[170:171], v[172:173], v[28:29], v[170:171]
	s_delay_alu instid0(VALU_DEP_1) | instskip(SKIP_3) | instid1(VALU_DEP_1)
	v_add_f64 v[10:11], v[10:11], -v[170:171]
	ds_load_2addr_b64 v[170:173], v169 offset0:82 offset1:83
	s_waitcnt lgkmcnt(0)
	v_mul_f64 v[30:31], v[172:173], v[174:175]
	v_fma_f64 v[30:31], v[170:171], v[28:29], -v[30:31]
	v_mul_f64 v[170:171], v[170:171], v[174:175]
	s_delay_alu instid0(VALU_DEP_2) | instskip(NEXT) | instid1(VALU_DEP_2)
	v_add_f64 v[4:5], v[4:5], -v[30:31]
	v_fma_f64 v[170:171], v[172:173], v[28:29], v[170:171]
	s_delay_alu instid0(VALU_DEP_1) | instskip(SKIP_3) | instid1(VALU_DEP_1)
	v_add_f64 v[6:7], v[6:7], -v[170:171]
	ds_load_2addr_b64 v[170:173], v169 offset0:84 offset1:85
	s_waitcnt lgkmcnt(0)
	v_mul_f64 v[30:31], v[172:173], v[174:175]
	v_fma_f64 v[30:31], v[170:171], v[28:29], -v[30:31]
	v_mul_f64 v[170:171], v[170:171], v[174:175]
	s_delay_alu instid0(VALU_DEP_2) | instskip(NEXT) | instid1(VALU_DEP_2)
	v_add_f64 v[0:1], v[0:1], -v[30:31]
	v_fma_f64 v[170:171], v[172:173], v[28:29], v[170:171]
	v_dual_mov_b32 v30, v174 :: v_dual_mov_b32 v31, v175
	s_delay_alu instid0(VALU_DEP_2)
	v_add_f64 v[2:3], v[2:3], -v[170:171]
.LBB85_325:
	s_or_b32 exec_lo, exec_lo, s3
	s_delay_alu instid0(SALU_CYCLE_1)
	s_mov_b32 s4, exec_lo
	s_waitcnt lgkmcnt(0)
	s_barrier
	buffer_gl0_inv
	v_cmpx_eq_u32_e32 36, v252
	s_cbranch_execz .LBB85_332
; %bb.326:
	ds_store_2addr_b64 v168, v[24:25], v[26:27] offset1:1
	ds_store_2addr_b64 v169, v[20:21], v[22:23] offset0:74 offset1:75
	ds_store_2addr_b64 v169, v[16:17], v[18:19] offset0:76 offset1:77
	;; [unrolled: 1-line block ×6, first 2 shown]
	ds_load_2addr_b64 v[172:175], v168 offset1:1
	s_waitcnt lgkmcnt(0)
	v_cmp_neq_f64_e32 vcc_lo, 0, v[172:173]
	v_cmp_neq_f64_e64 s3, 0, v[174:175]
	s_delay_alu instid0(VALU_DEP_1) | instskip(NEXT) | instid1(SALU_CYCLE_1)
	s_or_b32 s3, vcc_lo, s3
	s_and_b32 exec_lo, exec_lo, s3
	s_cbranch_execz .LBB85_332
; %bb.327:
	v_cmp_gt_f64_e32 vcc_lo, 0, v[172:173]
	v_xor_b32_e32 v170, 0x80000000, v173
	v_xor_b32_e32 v176, 0x80000000, v175
	s_delay_alu instid0(VALU_DEP_2) | instskip(SKIP_1) | instid1(VALU_DEP_3)
	v_dual_cndmask_b32 v171, v173, v170 :: v_dual_cndmask_b32 v170, v172, v172
	v_cmp_gt_f64_e32 vcc_lo, 0, v[174:175]
	v_dual_cndmask_b32 v177, v175, v176 :: v_dual_cndmask_b32 v176, v174, v174
	s_delay_alu instid0(VALU_DEP_1) | instskip(SKIP_1) | instid1(SALU_CYCLE_1)
	v_cmp_ngt_f64_e32 vcc_lo, v[170:171], v[176:177]
                                        ; implicit-def: $vgpr176_vgpr177
	s_and_saveexec_b32 s3, vcc_lo
	s_xor_b32 s3, exec_lo, s3
                                        ; implicit-def: $vgpr232_vgpr233_vgpr234_vgpr235
	s_cbranch_execz .LBB85_329
; %bb.328:
	v_div_scale_f64 v[170:171], null, v[174:175], v[174:175], v[172:173]
	v_div_scale_f64 v[232:233], vcc_lo, v[172:173], v[174:175], v[172:173]
	s_delay_alu instid0(VALU_DEP_2) | instskip(SKIP_2) | instid1(VALU_DEP_1)
	v_rcp_f64_e32 v[176:177], v[170:171]
	s_waitcnt_depctr 0xfff
	v_fma_f64 v[178:179], -v[170:171], v[176:177], 1.0
	v_fma_f64 v[176:177], v[176:177], v[178:179], v[176:177]
	s_delay_alu instid0(VALU_DEP_1) | instskip(NEXT) | instid1(VALU_DEP_1)
	v_fma_f64 v[178:179], -v[170:171], v[176:177], 1.0
	v_fma_f64 v[176:177], v[176:177], v[178:179], v[176:177]
	s_delay_alu instid0(VALU_DEP_1) | instskip(NEXT) | instid1(VALU_DEP_1)
	v_mul_f64 v[178:179], v[232:233], v[176:177]
	v_fma_f64 v[170:171], -v[170:171], v[178:179], v[232:233]
	s_delay_alu instid0(VALU_DEP_1) | instskip(NEXT) | instid1(VALU_DEP_1)
	v_div_fmas_f64 v[170:171], v[170:171], v[176:177], v[178:179]
	v_div_fixup_f64 v[170:171], v[170:171], v[174:175], v[172:173]
	s_delay_alu instid0(VALU_DEP_1) | instskip(NEXT) | instid1(VALU_DEP_1)
	v_fma_f64 v[172:173], v[172:173], v[170:171], v[174:175]
	v_div_scale_f64 v[174:175], null, v[172:173], v[172:173], 1.0
	s_delay_alu instid0(VALU_DEP_1) | instskip(SKIP_2) | instid1(VALU_DEP_1)
	v_rcp_f64_e32 v[176:177], v[174:175]
	s_waitcnt_depctr 0xfff
	v_fma_f64 v[178:179], -v[174:175], v[176:177], 1.0
	v_fma_f64 v[176:177], v[176:177], v[178:179], v[176:177]
	s_delay_alu instid0(VALU_DEP_1) | instskip(NEXT) | instid1(VALU_DEP_1)
	v_fma_f64 v[178:179], -v[174:175], v[176:177], 1.0
	v_fma_f64 v[176:177], v[176:177], v[178:179], v[176:177]
	v_div_scale_f64 v[178:179], vcc_lo, 1.0, v[172:173], 1.0
	s_delay_alu instid0(VALU_DEP_1) | instskip(NEXT) | instid1(VALU_DEP_1)
	v_mul_f64 v[232:233], v[178:179], v[176:177]
	v_fma_f64 v[174:175], -v[174:175], v[232:233], v[178:179]
	s_delay_alu instid0(VALU_DEP_1) | instskip(NEXT) | instid1(VALU_DEP_1)
	v_div_fmas_f64 v[174:175], v[174:175], v[176:177], v[232:233]
	v_div_fixup_f64 v[234:235], v[174:175], v[172:173], 1.0
                                        ; implicit-def: $vgpr172_vgpr173
	s_delay_alu instid0(VALU_DEP_1)
	v_mul_f64 v[176:177], v[170:171], v[234:235]
	v_xor_b32_e32 v235, 0x80000000, v235
.LBB85_329:
	s_and_not1_saveexec_b32 s3, s3
	s_cbranch_execz .LBB85_331
; %bb.330:
	v_div_scale_f64 v[170:171], null, v[172:173], v[172:173], v[174:175]
	v_div_scale_f64 v[232:233], vcc_lo, v[174:175], v[172:173], v[174:175]
	s_delay_alu instid0(VALU_DEP_2) | instskip(SKIP_2) | instid1(VALU_DEP_1)
	v_rcp_f64_e32 v[176:177], v[170:171]
	s_waitcnt_depctr 0xfff
	v_fma_f64 v[178:179], -v[170:171], v[176:177], 1.0
	v_fma_f64 v[176:177], v[176:177], v[178:179], v[176:177]
	s_delay_alu instid0(VALU_DEP_1) | instskip(NEXT) | instid1(VALU_DEP_1)
	v_fma_f64 v[178:179], -v[170:171], v[176:177], 1.0
	v_fma_f64 v[176:177], v[176:177], v[178:179], v[176:177]
	s_delay_alu instid0(VALU_DEP_1) | instskip(NEXT) | instid1(VALU_DEP_1)
	v_mul_f64 v[178:179], v[232:233], v[176:177]
	v_fma_f64 v[170:171], -v[170:171], v[178:179], v[232:233]
	s_delay_alu instid0(VALU_DEP_1) | instskip(NEXT) | instid1(VALU_DEP_1)
	v_div_fmas_f64 v[170:171], v[170:171], v[176:177], v[178:179]
	v_div_fixup_f64 v[170:171], v[170:171], v[172:173], v[174:175]
	s_delay_alu instid0(VALU_DEP_1) | instskip(NEXT) | instid1(VALU_DEP_1)
	v_fma_f64 v[172:173], v[174:175], v[170:171], v[172:173]
	v_div_scale_f64 v[174:175], null, v[172:173], v[172:173], 1.0
	s_delay_alu instid0(VALU_DEP_1) | instskip(SKIP_2) | instid1(VALU_DEP_1)
	v_rcp_f64_e32 v[176:177], v[174:175]
	s_waitcnt_depctr 0xfff
	v_fma_f64 v[178:179], -v[174:175], v[176:177], 1.0
	v_fma_f64 v[176:177], v[176:177], v[178:179], v[176:177]
	s_delay_alu instid0(VALU_DEP_1) | instskip(NEXT) | instid1(VALU_DEP_1)
	v_fma_f64 v[178:179], -v[174:175], v[176:177], 1.0
	v_fma_f64 v[176:177], v[176:177], v[178:179], v[176:177]
	v_div_scale_f64 v[178:179], vcc_lo, 1.0, v[172:173], 1.0
	s_delay_alu instid0(VALU_DEP_1) | instskip(NEXT) | instid1(VALU_DEP_1)
	v_mul_f64 v[232:233], v[178:179], v[176:177]
	v_fma_f64 v[174:175], -v[174:175], v[232:233], v[178:179]
	s_delay_alu instid0(VALU_DEP_1) | instskip(NEXT) | instid1(VALU_DEP_1)
	v_div_fmas_f64 v[174:175], v[174:175], v[176:177], v[232:233]
	v_div_fixup_f64 v[176:177], v[174:175], v[172:173], 1.0
	s_delay_alu instid0(VALU_DEP_1)
	v_mul_f64 v[234:235], v[170:171], -v[176:177]
.LBB85_331:
	s_or_b32 exec_lo, exec_lo, s3
	ds_store_2addr_b64 v168, v[176:177], v[234:235] offset1:1
.LBB85_332:
	s_or_b32 exec_lo, exec_lo, s4
	s_waitcnt lgkmcnt(0)
	s_barrier
	buffer_gl0_inv
	ds_load_2addr_b64 v[232:235], v168 offset1:1
	s_mov_b32 s3, exec_lo
	v_cmpx_lt_u32_e32 36, v252
	s_cbranch_execz .LBB85_334
; %bb.333:
	s_waitcnt lgkmcnt(0)
	v_mul_f64 v[170:171], v[232:233], v[26:27]
	v_mul_f64 v[26:27], v[234:235], v[26:27]
	s_delay_alu instid0(VALU_DEP_2) | instskip(SKIP_4) | instid1(VALU_DEP_1)
	v_fma_f64 v[174:175], v[234:235], v[24:25], v[170:171]
	ds_load_2addr_b64 v[170:173], v169 offset0:74 offset1:75
	v_fma_f64 v[24:25], v[232:233], v[24:25], -v[26:27]
	s_waitcnt lgkmcnt(0)
	v_mul_f64 v[26:27], v[172:173], v[174:175]
	v_fma_f64 v[26:27], v[170:171], v[24:25], -v[26:27]
	v_mul_f64 v[170:171], v[170:171], v[174:175]
	s_delay_alu instid0(VALU_DEP_2) | instskip(NEXT) | instid1(VALU_DEP_2)
	v_add_f64 v[20:21], v[20:21], -v[26:27]
	v_fma_f64 v[170:171], v[172:173], v[24:25], v[170:171]
	s_delay_alu instid0(VALU_DEP_1) | instskip(SKIP_3) | instid1(VALU_DEP_1)
	v_add_f64 v[22:23], v[22:23], -v[170:171]
	ds_load_2addr_b64 v[170:173], v169 offset0:76 offset1:77
	s_waitcnt lgkmcnt(0)
	v_mul_f64 v[26:27], v[172:173], v[174:175]
	v_fma_f64 v[26:27], v[170:171], v[24:25], -v[26:27]
	v_mul_f64 v[170:171], v[170:171], v[174:175]
	s_delay_alu instid0(VALU_DEP_2) | instskip(NEXT) | instid1(VALU_DEP_2)
	v_add_f64 v[16:17], v[16:17], -v[26:27]
	v_fma_f64 v[170:171], v[172:173], v[24:25], v[170:171]
	s_delay_alu instid0(VALU_DEP_1) | instskip(SKIP_3) | instid1(VALU_DEP_1)
	v_add_f64 v[18:19], v[18:19], -v[170:171]
	ds_load_2addr_b64 v[170:173], v169 offset0:78 offset1:79
	;; [unrolled: 10-line block ×5, first 2 shown]
	s_waitcnt lgkmcnt(0)
	v_mul_f64 v[26:27], v[172:173], v[174:175]
	v_fma_f64 v[26:27], v[170:171], v[24:25], -v[26:27]
	v_mul_f64 v[170:171], v[170:171], v[174:175]
	s_delay_alu instid0(VALU_DEP_2) | instskip(NEXT) | instid1(VALU_DEP_2)
	v_add_f64 v[0:1], v[0:1], -v[26:27]
	v_fma_f64 v[170:171], v[172:173], v[24:25], v[170:171]
	v_dual_mov_b32 v26, v174 :: v_dual_mov_b32 v27, v175
	s_delay_alu instid0(VALU_DEP_2)
	v_add_f64 v[2:3], v[2:3], -v[170:171]
.LBB85_334:
	s_or_b32 exec_lo, exec_lo, s3
	s_delay_alu instid0(SALU_CYCLE_1)
	s_mov_b32 s4, exec_lo
	s_waitcnt lgkmcnt(0)
	s_barrier
	buffer_gl0_inv
	v_cmpx_eq_u32_e32 37, v252
	s_cbranch_execz .LBB85_341
; %bb.335:
	ds_store_2addr_b64 v168, v[20:21], v[22:23] offset1:1
	ds_store_2addr_b64 v169, v[16:17], v[18:19] offset0:76 offset1:77
	ds_store_2addr_b64 v169, v[12:13], v[14:15] offset0:78 offset1:79
	;; [unrolled: 1-line block ×5, first 2 shown]
	ds_load_2addr_b64 v[172:175], v168 offset1:1
	s_waitcnt lgkmcnt(0)
	v_cmp_neq_f64_e32 vcc_lo, 0, v[172:173]
	v_cmp_neq_f64_e64 s3, 0, v[174:175]
	s_delay_alu instid0(VALU_DEP_1) | instskip(NEXT) | instid1(SALU_CYCLE_1)
	s_or_b32 s3, vcc_lo, s3
	s_and_b32 exec_lo, exec_lo, s3
	s_cbranch_execz .LBB85_341
; %bb.336:
	v_cmp_gt_f64_e32 vcc_lo, 0, v[172:173]
	v_xor_b32_e32 v170, 0x80000000, v173
	v_xor_b32_e32 v176, 0x80000000, v175
	s_delay_alu instid0(VALU_DEP_2) | instskip(SKIP_1) | instid1(VALU_DEP_3)
	v_dual_cndmask_b32 v171, v173, v170 :: v_dual_cndmask_b32 v170, v172, v172
	v_cmp_gt_f64_e32 vcc_lo, 0, v[174:175]
	v_dual_cndmask_b32 v177, v175, v176 :: v_dual_cndmask_b32 v176, v174, v174
	s_delay_alu instid0(VALU_DEP_1) | instskip(SKIP_1) | instid1(SALU_CYCLE_1)
	v_cmp_ngt_f64_e32 vcc_lo, v[170:171], v[176:177]
                                        ; implicit-def: $vgpr176_vgpr177
	s_and_saveexec_b32 s3, vcc_lo
	s_xor_b32 s3, exec_lo, s3
                                        ; implicit-def: $vgpr236_vgpr237_vgpr238_vgpr239
	s_cbranch_execz .LBB85_338
; %bb.337:
	v_div_scale_f64 v[170:171], null, v[174:175], v[174:175], v[172:173]
	v_div_scale_f64 v[236:237], vcc_lo, v[172:173], v[174:175], v[172:173]
	s_delay_alu instid0(VALU_DEP_2) | instskip(SKIP_2) | instid1(VALU_DEP_1)
	v_rcp_f64_e32 v[176:177], v[170:171]
	s_waitcnt_depctr 0xfff
	v_fma_f64 v[178:179], -v[170:171], v[176:177], 1.0
	v_fma_f64 v[176:177], v[176:177], v[178:179], v[176:177]
	s_delay_alu instid0(VALU_DEP_1) | instskip(NEXT) | instid1(VALU_DEP_1)
	v_fma_f64 v[178:179], -v[170:171], v[176:177], 1.0
	v_fma_f64 v[176:177], v[176:177], v[178:179], v[176:177]
	s_delay_alu instid0(VALU_DEP_1) | instskip(NEXT) | instid1(VALU_DEP_1)
	v_mul_f64 v[178:179], v[236:237], v[176:177]
	v_fma_f64 v[170:171], -v[170:171], v[178:179], v[236:237]
	s_delay_alu instid0(VALU_DEP_1) | instskip(NEXT) | instid1(VALU_DEP_1)
	v_div_fmas_f64 v[170:171], v[170:171], v[176:177], v[178:179]
	v_div_fixup_f64 v[170:171], v[170:171], v[174:175], v[172:173]
	s_delay_alu instid0(VALU_DEP_1) | instskip(NEXT) | instid1(VALU_DEP_1)
	v_fma_f64 v[172:173], v[172:173], v[170:171], v[174:175]
	v_div_scale_f64 v[174:175], null, v[172:173], v[172:173], 1.0
	s_delay_alu instid0(VALU_DEP_1) | instskip(SKIP_2) | instid1(VALU_DEP_1)
	v_rcp_f64_e32 v[176:177], v[174:175]
	s_waitcnt_depctr 0xfff
	v_fma_f64 v[178:179], -v[174:175], v[176:177], 1.0
	v_fma_f64 v[176:177], v[176:177], v[178:179], v[176:177]
	s_delay_alu instid0(VALU_DEP_1) | instskip(NEXT) | instid1(VALU_DEP_1)
	v_fma_f64 v[178:179], -v[174:175], v[176:177], 1.0
	v_fma_f64 v[176:177], v[176:177], v[178:179], v[176:177]
	v_div_scale_f64 v[178:179], vcc_lo, 1.0, v[172:173], 1.0
	s_delay_alu instid0(VALU_DEP_1) | instskip(NEXT) | instid1(VALU_DEP_1)
	v_mul_f64 v[236:237], v[178:179], v[176:177]
	v_fma_f64 v[174:175], -v[174:175], v[236:237], v[178:179]
	s_delay_alu instid0(VALU_DEP_1) | instskip(NEXT) | instid1(VALU_DEP_1)
	v_div_fmas_f64 v[174:175], v[174:175], v[176:177], v[236:237]
	v_div_fixup_f64 v[238:239], v[174:175], v[172:173], 1.0
                                        ; implicit-def: $vgpr172_vgpr173
	s_delay_alu instid0(VALU_DEP_1)
	v_mul_f64 v[176:177], v[170:171], v[238:239]
	v_xor_b32_e32 v239, 0x80000000, v239
.LBB85_338:
	s_and_not1_saveexec_b32 s3, s3
	s_cbranch_execz .LBB85_340
; %bb.339:
	v_div_scale_f64 v[170:171], null, v[172:173], v[172:173], v[174:175]
	v_div_scale_f64 v[236:237], vcc_lo, v[174:175], v[172:173], v[174:175]
	s_delay_alu instid0(VALU_DEP_2) | instskip(SKIP_2) | instid1(VALU_DEP_1)
	v_rcp_f64_e32 v[176:177], v[170:171]
	s_waitcnt_depctr 0xfff
	v_fma_f64 v[178:179], -v[170:171], v[176:177], 1.0
	v_fma_f64 v[176:177], v[176:177], v[178:179], v[176:177]
	s_delay_alu instid0(VALU_DEP_1) | instskip(NEXT) | instid1(VALU_DEP_1)
	v_fma_f64 v[178:179], -v[170:171], v[176:177], 1.0
	v_fma_f64 v[176:177], v[176:177], v[178:179], v[176:177]
	s_delay_alu instid0(VALU_DEP_1) | instskip(NEXT) | instid1(VALU_DEP_1)
	v_mul_f64 v[178:179], v[236:237], v[176:177]
	v_fma_f64 v[170:171], -v[170:171], v[178:179], v[236:237]
	s_delay_alu instid0(VALU_DEP_1) | instskip(NEXT) | instid1(VALU_DEP_1)
	v_div_fmas_f64 v[170:171], v[170:171], v[176:177], v[178:179]
	v_div_fixup_f64 v[170:171], v[170:171], v[172:173], v[174:175]
	s_delay_alu instid0(VALU_DEP_1) | instskip(NEXT) | instid1(VALU_DEP_1)
	v_fma_f64 v[172:173], v[174:175], v[170:171], v[172:173]
	v_div_scale_f64 v[174:175], null, v[172:173], v[172:173], 1.0
	s_delay_alu instid0(VALU_DEP_1) | instskip(SKIP_2) | instid1(VALU_DEP_1)
	v_rcp_f64_e32 v[176:177], v[174:175]
	s_waitcnt_depctr 0xfff
	v_fma_f64 v[178:179], -v[174:175], v[176:177], 1.0
	v_fma_f64 v[176:177], v[176:177], v[178:179], v[176:177]
	s_delay_alu instid0(VALU_DEP_1) | instskip(NEXT) | instid1(VALU_DEP_1)
	v_fma_f64 v[178:179], -v[174:175], v[176:177], 1.0
	v_fma_f64 v[176:177], v[176:177], v[178:179], v[176:177]
	v_div_scale_f64 v[178:179], vcc_lo, 1.0, v[172:173], 1.0
	s_delay_alu instid0(VALU_DEP_1) | instskip(NEXT) | instid1(VALU_DEP_1)
	v_mul_f64 v[236:237], v[178:179], v[176:177]
	v_fma_f64 v[174:175], -v[174:175], v[236:237], v[178:179]
	s_delay_alu instid0(VALU_DEP_1) | instskip(NEXT) | instid1(VALU_DEP_1)
	v_div_fmas_f64 v[174:175], v[174:175], v[176:177], v[236:237]
	v_div_fixup_f64 v[176:177], v[174:175], v[172:173], 1.0
	s_delay_alu instid0(VALU_DEP_1)
	v_mul_f64 v[238:239], v[170:171], -v[176:177]
.LBB85_340:
	s_or_b32 exec_lo, exec_lo, s3
	ds_store_2addr_b64 v168, v[176:177], v[238:239] offset1:1
.LBB85_341:
	s_or_b32 exec_lo, exec_lo, s4
	s_waitcnt lgkmcnt(0)
	s_barrier
	buffer_gl0_inv
	ds_load_2addr_b64 v[236:239], v168 offset1:1
	s_mov_b32 s3, exec_lo
	v_cmpx_lt_u32_e32 37, v252
	s_cbranch_execz .LBB85_343
; %bb.342:
	s_waitcnt lgkmcnt(0)
	v_mul_f64 v[170:171], v[236:237], v[22:23]
	v_mul_f64 v[22:23], v[238:239], v[22:23]
	s_delay_alu instid0(VALU_DEP_2) | instskip(SKIP_4) | instid1(VALU_DEP_1)
	v_fma_f64 v[174:175], v[238:239], v[20:21], v[170:171]
	ds_load_2addr_b64 v[170:173], v169 offset0:76 offset1:77
	v_fma_f64 v[20:21], v[236:237], v[20:21], -v[22:23]
	s_waitcnt lgkmcnt(0)
	v_mul_f64 v[22:23], v[172:173], v[174:175]
	v_fma_f64 v[22:23], v[170:171], v[20:21], -v[22:23]
	v_mul_f64 v[170:171], v[170:171], v[174:175]
	s_delay_alu instid0(VALU_DEP_2) | instskip(NEXT) | instid1(VALU_DEP_2)
	v_add_f64 v[16:17], v[16:17], -v[22:23]
	v_fma_f64 v[170:171], v[172:173], v[20:21], v[170:171]
	s_delay_alu instid0(VALU_DEP_1) | instskip(SKIP_3) | instid1(VALU_DEP_1)
	v_add_f64 v[18:19], v[18:19], -v[170:171]
	ds_load_2addr_b64 v[170:173], v169 offset0:78 offset1:79
	s_waitcnt lgkmcnt(0)
	v_mul_f64 v[22:23], v[172:173], v[174:175]
	v_fma_f64 v[22:23], v[170:171], v[20:21], -v[22:23]
	v_mul_f64 v[170:171], v[170:171], v[174:175]
	s_delay_alu instid0(VALU_DEP_2) | instskip(NEXT) | instid1(VALU_DEP_2)
	v_add_f64 v[12:13], v[12:13], -v[22:23]
	v_fma_f64 v[170:171], v[172:173], v[20:21], v[170:171]
	s_delay_alu instid0(VALU_DEP_1) | instskip(SKIP_3) | instid1(VALU_DEP_1)
	v_add_f64 v[14:15], v[14:15], -v[170:171]
	ds_load_2addr_b64 v[170:173], v169 offset0:80 offset1:81
	;; [unrolled: 10-line block ×4, first 2 shown]
	s_waitcnt lgkmcnt(0)
	v_mul_f64 v[22:23], v[172:173], v[174:175]
	v_fma_f64 v[22:23], v[170:171], v[20:21], -v[22:23]
	v_mul_f64 v[170:171], v[170:171], v[174:175]
	s_delay_alu instid0(VALU_DEP_2) | instskip(NEXT) | instid1(VALU_DEP_2)
	v_add_f64 v[0:1], v[0:1], -v[22:23]
	v_fma_f64 v[170:171], v[172:173], v[20:21], v[170:171]
	v_dual_mov_b32 v22, v174 :: v_dual_mov_b32 v23, v175
	s_delay_alu instid0(VALU_DEP_2)
	v_add_f64 v[2:3], v[2:3], -v[170:171]
.LBB85_343:
	s_or_b32 exec_lo, exec_lo, s3
	s_delay_alu instid0(SALU_CYCLE_1)
	s_mov_b32 s4, exec_lo
	s_waitcnt lgkmcnt(0)
	s_barrier
	buffer_gl0_inv
	v_cmpx_eq_u32_e32 38, v252
	s_cbranch_execz .LBB85_350
; %bb.344:
	ds_store_2addr_b64 v168, v[16:17], v[18:19] offset1:1
	ds_store_2addr_b64 v169, v[12:13], v[14:15] offset0:78 offset1:79
	ds_store_2addr_b64 v169, v[8:9], v[10:11] offset0:80 offset1:81
	;; [unrolled: 1-line block ×4, first 2 shown]
	ds_load_2addr_b64 v[172:175], v168 offset1:1
	s_waitcnt lgkmcnt(0)
	v_cmp_neq_f64_e32 vcc_lo, 0, v[172:173]
	v_cmp_neq_f64_e64 s3, 0, v[174:175]
	s_delay_alu instid0(VALU_DEP_1) | instskip(NEXT) | instid1(SALU_CYCLE_1)
	s_or_b32 s3, vcc_lo, s3
	s_and_b32 exec_lo, exec_lo, s3
	s_cbranch_execz .LBB85_350
; %bb.345:
	v_cmp_gt_f64_e32 vcc_lo, 0, v[172:173]
	v_xor_b32_e32 v170, 0x80000000, v173
	v_xor_b32_e32 v176, 0x80000000, v175
	s_delay_alu instid0(VALU_DEP_2) | instskip(SKIP_1) | instid1(VALU_DEP_3)
	v_dual_cndmask_b32 v171, v173, v170 :: v_dual_cndmask_b32 v170, v172, v172
	v_cmp_gt_f64_e32 vcc_lo, 0, v[174:175]
	v_dual_cndmask_b32 v177, v175, v176 :: v_dual_cndmask_b32 v176, v174, v174
	s_delay_alu instid0(VALU_DEP_1) | instskip(SKIP_1) | instid1(SALU_CYCLE_1)
	v_cmp_ngt_f64_e32 vcc_lo, v[170:171], v[176:177]
                                        ; implicit-def: $vgpr176_vgpr177
	s_and_saveexec_b32 s3, vcc_lo
	s_xor_b32 s3, exec_lo, s3
                                        ; implicit-def: $vgpr240_vgpr241_vgpr242_vgpr243
	s_cbranch_execz .LBB85_347
; %bb.346:
	v_div_scale_f64 v[170:171], null, v[174:175], v[174:175], v[172:173]
	v_div_scale_f64 v[240:241], vcc_lo, v[172:173], v[174:175], v[172:173]
	s_delay_alu instid0(VALU_DEP_2) | instskip(SKIP_2) | instid1(VALU_DEP_1)
	v_rcp_f64_e32 v[176:177], v[170:171]
	s_waitcnt_depctr 0xfff
	v_fma_f64 v[178:179], -v[170:171], v[176:177], 1.0
	v_fma_f64 v[176:177], v[176:177], v[178:179], v[176:177]
	s_delay_alu instid0(VALU_DEP_1) | instskip(NEXT) | instid1(VALU_DEP_1)
	v_fma_f64 v[178:179], -v[170:171], v[176:177], 1.0
	v_fma_f64 v[176:177], v[176:177], v[178:179], v[176:177]
	s_delay_alu instid0(VALU_DEP_1) | instskip(NEXT) | instid1(VALU_DEP_1)
	v_mul_f64 v[178:179], v[240:241], v[176:177]
	v_fma_f64 v[170:171], -v[170:171], v[178:179], v[240:241]
	s_delay_alu instid0(VALU_DEP_1) | instskip(NEXT) | instid1(VALU_DEP_1)
	v_div_fmas_f64 v[170:171], v[170:171], v[176:177], v[178:179]
	v_div_fixup_f64 v[170:171], v[170:171], v[174:175], v[172:173]
	s_delay_alu instid0(VALU_DEP_1) | instskip(NEXT) | instid1(VALU_DEP_1)
	v_fma_f64 v[172:173], v[172:173], v[170:171], v[174:175]
	v_div_scale_f64 v[174:175], null, v[172:173], v[172:173], 1.0
	s_delay_alu instid0(VALU_DEP_1) | instskip(SKIP_2) | instid1(VALU_DEP_1)
	v_rcp_f64_e32 v[176:177], v[174:175]
	s_waitcnt_depctr 0xfff
	v_fma_f64 v[178:179], -v[174:175], v[176:177], 1.0
	v_fma_f64 v[176:177], v[176:177], v[178:179], v[176:177]
	s_delay_alu instid0(VALU_DEP_1) | instskip(NEXT) | instid1(VALU_DEP_1)
	v_fma_f64 v[178:179], -v[174:175], v[176:177], 1.0
	v_fma_f64 v[176:177], v[176:177], v[178:179], v[176:177]
	v_div_scale_f64 v[178:179], vcc_lo, 1.0, v[172:173], 1.0
	s_delay_alu instid0(VALU_DEP_1) | instskip(NEXT) | instid1(VALU_DEP_1)
	v_mul_f64 v[240:241], v[178:179], v[176:177]
	v_fma_f64 v[174:175], -v[174:175], v[240:241], v[178:179]
	s_delay_alu instid0(VALU_DEP_1) | instskip(NEXT) | instid1(VALU_DEP_1)
	v_div_fmas_f64 v[174:175], v[174:175], v[176:177], v[240:241]
	v_div_fixup_f64 v[242:243], v[174:175], v[172:173], 1.0
                                        ; implicit-def: $vgpr172_vgpr173
	s_delay_alu instid0(VALU_DEP_1)
	v_mul_f64 v[176:177], v[170:171], v[242:243]
	v_xor_b32_e32 v243, 0x80000000, v243
.LBB85_347:
	s_and_not1_saveexec_b32 s3, s3
	s_cbranch_execz .LBB85_349
; %bb.348:
	v_div_scale_f64 v[170:171], null, v[172:173], v[172:173], v[174:175]
	v_div_scale_f64 v[240:241], vcc_lo, v[174:175], v[172:173], v[174:175]
	s_delay_alu instid0(VALU_DEP_2) | instskip(SKIP_2) | instid1(VALU_DEP_1)
	v_rcp_f64_e32 v[176:177], v[170:171]
	s_waitcnt_depctr 0xfff
	v_fma_f64 v[178:179], -v[170:171], v[176:177], 1.0
	v_fma_f64 v[176:177], v[176:177], v[178:179], v[176:177]
	s_delay_alu instid0(VALU_DEP_1) | instskip(NEXT) | instid1(VALU_DEP_1)
	v_fma_f64 v[178:179], -v[170:171], v[176:177], 1.0
	v_fma_f64 v[176:177], v[176:177], v[178:179], v[176:177]
	s_delay_alu instid0(VALU_DEP_1) | instskip(NEXT) | instid1(VALU_DEP_1)
	v_mul_f64 v[178:179], v[240:241], v[176:177]
	v_fma_f64 v[170:171], -v[170:171], v[178:179], v[240:241]
	s_delay_alu instid0(VALU_DEP_1) | instskip(NEXT) | instid1(VALU_DEP_1)
	v_div_fmas_f64 v[170:171], v[170:171], v[176:177], v[178:179]
	v_div_fixup_f64 v[170:171], v[170:171], v[172:173], v[174:175]
	s_delay_alu instid0(VALU_DEP_1) | instskip(NEXT) | instid1(VALU_DEP_1)
	v_fma_f64 v[172:173], v[174:175], v[170:171], v[172:173]
	v_div_scale_f64 v[174:175], null, v[172:173], v[172:173], 1.0
	s_delay_alu instid0(VALU_DEP_1) | instskip(SKIP_2) | instid1(VALU_DEP_1)
	v_rcp_f64_e32 v[176:177], v[174:175]
	s_waitcnt_depctr 0xfff
	v_fma_f64 v[178:179], -v[174:175], v[176:177], 1.0
	v_fma_f64 v[176:177], v[176:177], v[178:179], v[176:177]
	s_delay_alu instid0(VALU_DEP_1) | instskip(NEXT) | instid1(VALU_DEP_1)
	v_fma_f64 v[178:179], -v[174:175], v[176:177], 1.0
	v_fma_f64 v[176:177], v[176:177], v[178:179], v[176:177]
	v_div_scale_f64 v[178:179], vcc_lo, 1.0, v[172:173], 1.0
	s_delay_alu instid0(VALU_DEP_1) | instskip(NEXT) | instid1(VALU_DEP_1)
	v_mul_f64 v[240:241], v[178:179], v[176:177]
	v_fma_f64 v[174:175], -v[174:175], v[240:241], v[178:179]
	s_delay_alu instid0(VALU_DEP_1) | instskip(NEXT) | instid1(VALU_DEP_1)
	v_div_fmas_f64 v[174:175], v[174:175], v[176:177], v[240:241]
	v_div_fixup_f64 v[176:177], v[174:175], v[172:173], 1.0
	s_delay_alu instid0(VALU_DEP_1)
	v_mul_f64 v[242:243], v[170:171], -v[176:177]
.LBB85_349:
	s_or_b32 exec_lo, exec_lo, s3
	ds_store_2addr_b64 v168, v[176:177], v[242:243] offset1:1
.LBB85_350:
	s_or_b32 exec_lo, exec_lo, s4
	s_waitcnt lgkmcnt(0)
	s_barrier
	buffer_gl0_inv
	ds_load_2addr_b64 v[240:243], v168 offset1:1
	s_mov_b32 s3, exec_lo
	v_cmpx_lt_u32_e32 38, v252
	s_cbranch_execz .LBB85_352
; %bb.351:
	s_waitcnt lgkmcnt(0)
	v_mul_f64 v[170:171], v[240:241], v[18:19]
	v_mul_f64 v[18:19], v[242:243], v[18:19]
	s_delay_alu instid0(VALU_DEP_2) | instskip(SKIP_4) | instid1(VALU_DEP_1)
	v_fma_f64 v[174:175], v[242:243], v[16:17], v[170:171]
	ds_load_2addr_b64 v[170:173], v169 offset0:78 offset1:79
	v_fma_f64 v[16:17], v[240:241], v[16:17], -v[18:19]
	s_waitcnt lgkmcnt(0)
	v_mul_f64 v[18:19], v[172:173], v[174:175]
	v_fma_f64 v[18:19], v[170:171], v[16:17], -v[18:19]
	v_mul_f64 v[170:171], v[170:171], v[174:175]
	s_delay_alu instid0(VALU_DEP_2) | instskip(NEXT) | instid1(VALU_DEP_2)
	v_add_f64 v[12:13], v[12:13], -v[18:19]
	v_fma_f64 v[170:171], v[172:173], v[16:17], v[170:171]
	s_delay_alu instid0(VALU_DEP_1) | instskip(SKIP_3) | instid1(VALU_DEP_1)
	v_add_f64 v[14:15], v[14:15], -v[170:171]
	ds_load_2addr_b64 v[170:173], v169 offset0:80 offset1:81
	s_waitcnt lgkmcnt(0)
	v_mul_f64 v[18:19], v[172:173], v[174:175]
	v_fma_f64 v[18:19], v[170:171], v[16:17], -v[18:19]
	v_mul_f64 v[170:171], v[170:171], v[174:175]
	s_delay_alu instid0(VALU_DEP_2) | instskip(NEXT) | instid1(VALU_DEP_2)
	v_add_f64 v[8:9], v[8:9], -v[18:19]
	v_fma_f64 v[170:171], v[172:173], v[16:17], v[170:171]
	s_delay_alu instid0(VALU_DEP_1) | instskip(SKIP_3) | instid1(VALU_DEP_1)
	v_add_f64 v[10:11], v[10:11], -v[170:171]
	ds_load_2addr_b64 v[170:173], v169 offset0:82 offset1:83
	s_waitcnt lgkmcnt(0)
	v_mul_f64 v[18:19], v[172:173], v[174:175]
	v_fma_f64 v[18:19], v[170:171], v[16:17], -v[18:19]
	v_mul_f64 v[170:171], v[170:171], v[174:175]
	s_delay_alu instid0(VALU_DEP_2) | instskip(NEXT) | instid1(VALU_DEP_2)
	v_add_f64 v[4:5], v[4:5], -v[18:19]
	v_fma_f64 v[170:171], v[172:173], v[16:17], v[170:171]
	s_delay_alu instid0(VALU_DEP_1) | instskip(SKIP_3) | instid1(VALU_DEP_1)
	v_add_f64 v[6:7], v[6:7], -v[170:171]
	ds_load_2addr_b64 v[170:173], v169 offset0:84 offset1:85
	s_waitcnt lgkmcnt(0)
	v_mul_f64 v[18:19], v[172:173], v[174:175]
	v_fma_f64 v[18:19], v[170:171], v[16:17], -v[18:19]
	v_mul_f64 v[170:171], v[170:171], v[174:175]
	s_delay_alu instid0(VALU_DEP_2) | instskip(NEXT) | instid1(VALU_DEP_2)
	v_add_f64 v[0:1], v[0:1], -v[18:19]
	v_fma_f64 v[170:171], v[172:173], v[16:17], v[170:171]
	v_dual_mov_b32 v18, v174 :: v_dual_mov_b32 v19, v175
	s_delay_alu instid0(VALU_DEP_2)
	v_add_f64 v[2:3], v[2:3], -v[170:171]
.LBB85_352:
	s_or_b32 exec_lo, exec_lo, s3
	s_delay_alu instid0(SALU_CYCLE_1)
	s_mov_b32 s4, exec_lo
	s_waitcnt lgkmcnt(0)
	s_barrier
	buffer_gl0_inv
	v_cmpx_eq_u32_e32 39, v252
	s_cbranch_execz .LBB85_359
; %bb.353:
	ds_store_2addr_b64 v168, v[12:13], v[14:15] offset1:1
	ds_store_2addr_b64 v169, v[8:9], v[10:11] offset0:80 offset1:81
	ds_store_2addr_b64 v169, v[4:5], v[6:7] offset0:82 offset1:83
	;; [unrolled: 1-line block ×3, first 2 shown]
	ds_load_2addr_b64 v[172:175], v168 offset1:1
	s_waitcnt lgkmcnt(0)
	v_cmp_neq_f64_e32 vcc_lo, 0, v[172:173]
	v_cmp_neq_f64_e64 s3, 0, v[174:175]
	s_delay_alu instid0(VALU_DEP_1) | instskip(NEXT) | instid1(SALU_CYCLE_1)
	s_or_b32 s3, vcc_lo, s3
	s_and_b32 exec_lo, exec_lo, s3
	s_cbranch_execz .LBB85_359
; %bb.354:
	v_cmp_gt_f64_e32 vcc_lo, 0, v[172:173]
	v_xor_b32_e32 v170, 0x80000000, v173
	v_xor_b32_e32 v176, 0x80000000, v175
	s_delay_alu instid0(VALU_DEP_2) | instskip(SKIP_1) | instid1(VALU_DEP_3)
	v_dual_cndmask_b32 v171, v173, v170 :: v_dual_cndmask_b32 v170, v172, v172
	v_cmp_gt_f64_e32 vcc_lo, 0, v[174:175]
	v_dual_cndmask_b32 v177, v175, v176 :: v_dual_cndmask_b32 v176, v174, v174
	s_delay_alu instid0(VALU_DEP_1) | instskip(SKIP_1) | instid1(SALU_CYCLE_1)
	v_cmp_ngt_f64_e32 vcc_lo, v[170:171], v[176:177]
                                        ; implicit-def: $vgpr176_vgpr177
	s_and_saveexec_b32 s3, vcc_lo
	s_xor_b32 s3, exec_lo, s3
                                        ; implicit-def: $vgpr244_vgpr245_vgpr246_vgpr247
	s_cbranch_execz .LBB85_356
; %bb.355:
	v_div_scale_f64 v[170:171], null, v[174:175], v[174:175], v[172:173]
	v_div_scale_f64 v[244:245], vcc_lo, v[172:173], v[174:175], v[172:173]
	s_delay_alu instid0(VALU_DEP_2) | instskip(SKIP_2) | instid1(VALU_DEP_1)
	v_rcp_f64_e32 v[176:177], v[170:171]
	s_waitcnt_depctr 0xfff
	v_fma_f64 v[178:179], -v[170:171], v[176:177], 1.0
	v_fma_f64 v[176:177], v[176:177], v[178:179], v[176:177]
	s_delay_alu instid0(VALU_DEP_1) | instskip(NEXT) | instid1(VALU_DEP_1)
	v_fma_f64 v[178:179], -v[170:171], v[176:177], 1.0
	v_fma_f64 v[176:177], v[176:177], v[178:179], v[176:177]
	s_delay_alu instid0(VALU_DEP_1) | instskip(NEXT) | instid1(VALU_DEP_1)
	v_mul_f64 v[178:179], v[244:245], v[176:177]
	v_fma_f64 v[170:171], -v[170:171], v[178:179], v[244:245]
	s_delay_alu instid0(VALU_DEP_1) | instskip(NEXT) | instid1(VALU_DEP_1)
	v_div_fmas_f64 v[170:171], v[170:171], v[176:177], v[178:179]
	v_div_fixup_f64 v[170:171], v[170:171], v[174:175], v[172:173]
	s_delay_alu instid0(VALU_DEP_1) | instskip(NEXT) | instid1(VALU_DEP_1)
	v_fma_f64 v[172:173], v[172:173], v[170:171], v[174:175]
	v_div_scale_f64 v[174:175], null, v[172:173], v[172:173], 1.0
	s_delay_alu instid0(VALU_DEP_1) | instskip(SKIP_2) | instid1(VALU_DEP_1)
	v_rcp_f64_e32 v[176:177], v[174:175]
	s_waitcnt_depctr 0xfff
	v_fma_f64 v[178:179], -v[174:175], v[176:177], 1.0
	v_fma_f64 v[176:177], v[176:177], v[178:179], v[176:177]
	s_delay_alu instid0(VALU_DEP_1) | instskip(NEXT) | instid1(VALU_DEP_1)
	v_fma_f64 v[178:179], -v[174:175], v[176:177], 1.0
	v_fma_f64 v[176:177], v[176:177], v[178:179], v[176:177]
	v_div_scale_f64 v[178:179], vcc_lo, 1.0, v[172:173], 1.0
	s_delay_alu instid0(VALU_DEP_1) | instskip(NEXT) | instid1(VALU_DEP_1)
	v_mul_f64 v[244:245], v[178:179], v[176:177]
	v_fma_f64 v[174:175], -v[174:175], v[244:245], v[178:179]
	s_delay_alu instid0(VALU_DEP_1) | instskip(NEXT) | instid1(VALU_DEP_1)
	v_div_fmas_f64 v[174:175], v[174:175], v[176:177], v[244:245]
	v_div_fixup_f64 v[246:247], v[174:175], v[172:173], 1.0
                                        ; implicit-def: $vgpr172_vgpr173
	s_delay_alu instid0(VALU_DEP_1)
	v_mul_f64 v[176:177], v[170:171], v[246:247]
	v_xor_b32_e32 v247, 0x80000000, v247
.LBB85_356:
	s_and_not1_saveexec_b32 s3, s3
	s_cbranch_execz .LBB85_358
; %bb.357:
	v_div_scale_f64 v[170:171], null, v[172:173], v[172:173], v[174:175]
	v_div_scale_f64 v[244:245], vcc_lo, v[174:175], v[172:173], v[174:175]
	s_delay_alu instid0(VALU_DEP_2) | instskip(SKIP_2) | instid1(VALU_DEP_1)
	v_rcp_f64_e32 v[176:177], v[170:171]
	s_waitcnt_depctr 0xfff
	v_fma_f64 v[178:179], -v[170:171], v[176:177], 1.0
	v_fma_f64 v[176:177], v[176:177], v[178:179], v[176:177]
	s_delay_alu instid0(VALU_DEP_1) | instskip(NEXT) | instid1(VALU_DEP_1)
	v_fma_f64 v[178:179], -v[170:171], v[176:177], 1.0
	v_fma_f64 v[176:177], v[176:177], v[178:179], v[176:177]
	s_delay_alu instid0(VALU_DEP_1) | instskip(NEXT) | instid1(VALU_DEP_1)
	v_mul_f64 v[178:179], v[244:245], v[176:177]
	v_fma_f64 v[170:171], -v[170:171], v[178:179], v[244:245]
	s_delay_alu instid0(VALU_DEP_1) | instskip(NEXT) | instid1(VALU_DEP_1)
	v_div_fmas_f64 v[170:171], v[170:171], v[176:177], v[178:179]
	v_div_fixup_f64 v[170:171], v[170:171], v[172:173], v[174:175]
	s_delay_alu instid0(VALU_DEP_1) | instskip(NEXT) | instid1(VALU_DEP_1)
	v_fma_f64 v[172:173], v[174:175], v[170:171], v[172:173]
	v_div_scale_f64 v[174:175], null, v[172:173], v[172:173], 1.0
	s_delay_alu instid0(VALU_DEP_1) | instskip(SKIP_2) | instid1(VALU_DEP_1)
	v_rcp_f64_e32 v[176:177], v[174:175]
	s_waitcnt_depctr 0xfff
	v_fma_f64 v[178:179], -v[174:175], v[176:177], 1.0
	v_fma_f64 v[176:177], v[176:177], v[178:179], v[176:177]
	s_delay_alu instid0(VALU_DEP_1) | instskip(NEXT) | instid1(VALU_DEP_1)
	v_fma_f64 v[178:179], -v[174:175], v[176:177], 1.0
	v_fma_f64 v[176:177], v[176:177], v[178:179], v[176:177]
	v_div_scale_f64 v[178:179], vcc_lo, 1.0, v[172:173], 1.0
	s_delay_alu instid0(VALU_DEP_1) | instskip(NEXT) | instid1(VALU_DEP_1)
	v_mul_f64 v[244:245], v[178:179], v[176:177]
	v_fma_f64 v[174:175], -v[174:175], v[244:245], v[178:179]
	s_delay_alu instid0(VALU_DEP_1) | instskip(NEXT) | instid1(VALU_DEP_1)
	v_div_fmas_f64 v[174:175], v[174:175], v[176:177], v[244:245]
	v_div_fixup_f64 v[176:177], v[174:175], v[172:173], 1.0
	s_delay_alu instid0(VALU_DEP_1)
	v_mul_f64 v[246:247], v[170:171], -v[176:177]
.LBB85_358:
	s_or_b32 exec_lo, exec_lo, s3
	ds_store_2addr_b64 v168, v[176:177], v[246:247] offset1:1
.LBB85_359:
	s_or_b32 exec_lo, exec_lo, s4
	s_waitcnt lgkmcnt(0)
	s_barrier
	buffer_gl0_inv
	ds_load_2addr_b64 v[244:247], v168 offset1:1
	s_mov_b32 s3, exec_lo
	v_cmpx_lt_u32_e32 39, v252
	s_cbranch_execz .LBB85_361
; %bb.360:
	s_waitcnt lgkmcnt(0)
	v_mul_f64 v[170:171], v[244:245], v[14:15]
	v_mul_f64 v[14:15], v[246:247], v[14:15]
	s_delay_alu instid0(VALU_DEP_2) | instskip(SKIP_4) | instid1(VALU_DEP_1)
	v_fma_f64 v[174:175], v[246:247], v[12:13], v[170:171]
	ds_load_2addr_b64 v[170:173], v169 offset0:80 offset1:81
	v_fma_f64 v[12:13], v[244:245], v[12:13], -v[14:15]
	s_waitcnt lgkmcnt(0)
	v_mul_f64 v[14:15], v[172:173], v[174:175]
	v_fma_f64 v[14:15], v[170:171], v[12:13], -v[14:15]
	v_mul_f64 v[170:171], v[170:171], v[174:175]
	s_delay_alu instid0(VALU_DEP_2) | instskip(NEXT) | instid1(VALU_DEP_2)
	v_add_f64 v[8:9], v[8:9], -v[14:15]
	v_fma_f64 v[170:171], v[172:173], v[12:13], v[170:171]
	s_delay_alu instid0(VALU_DEP_1) | instskip(SKIP_3) | instid1(VALU_DEP_1)
	v_add_f64 v[10:11], v[10:11], -v[170:171]
	ds_load_2addr_b64 v[170:173], v169 offset0:82 offset1:83
	s_waitcnt lgkmcnt(0)
	v_mul_f64 v[14:15], v[172:173], v[174:175]
	v_fma_f64 v[14:15], v[170:171], v[12:13], -v[14:15]
	v_mul_f64 v[170:171], v[170:171], v[174:175]
	s_delay_alu instid0(VALU_DEP_2) | instskip(NEXT) | instid1(VALU_DEP_2)
	v_add_f64 v[4:5], v[4:5], -v[14:15]
	v_fma_f64 v[170:171], v[172:173], v[12:13], v[170:171]
	s_delay_alu instid0(VALU_DEP_1) | instskip(SKIP_3) | instid1(VALU_DEP_1)
	v_add_f64 v[6:7], v[6:7], -v[170:171]
	ds_load_2addr_b64 v[170:173], v169 offset0:84 offset1:85
	s_waitcnt lgkmcnt(0)
	v_mul_f64 v[14:15], v[172:173], v[174:175]
	v_fma_f64 v[14:15], v[170:171], v[12:13], -v[14:15]
	v_mul_f64 v[170:171], v[170:171], v[174:175]
	s_delay_alu instid0(VALU_DEP_2) | instskip(NEXT) | instid1(VALU_DEP_2)
	v_add_f64 v[0:1], v[0:1], -v[14:15]
	v_fma_f64 v[170:171], v[172:173], v[12:13], v[170:171]
	v_dual_mov_b32 v14, v174 :: v_dual_mov_b32 v15, v175
	s_delay_alu instid0(VALU_DEP_2)
	v_add_f64 v[2:3], v[2:3], -v[170:171]
.LBB85_361:
	s_or_b32 exec_lo, exec_lo, s3
	s_delay_alu instid0(SALU_CYCLE_1)
	s_mov_b32 s4, exec_lo
	s_waitcnt lgkmcnt(0)
	s_barrier
	buffer_gl0_inv
	v_cmpx_eq_u32_e32 40, v252
	s_cbranch_execz .LBB85_368
; %bb.362:
	ds_store_2addr_b64 v168, v[8:9], v[10:11] offset1:1
	ds_store_2addr_b64 v169, v[4:5], v[6:7] offset0:82 offset1:83
	ds_store_2addr_b64 v169, v[0:1], v[2:3] offset0:84 offset1:85
	ds_load_2addr_b64 v[172:175], v168 offset1:1
	s_waitcnt lgkmcnt(0)
	v_cmp_neq_f64_e32 vcc_lo, 0, v[172:173]
	v_cmp_neq_f64_e64 s3, 0, v[174:175]
	s_delay_alu instid0(VALU_DEP_1) | instskip(NEXT) | instid1(SALU_CYCLE_1)
	s_or_b32 s3, vcc_lo, s3
	s_and_b32 exec_lo, exec_lo, s3
	s_cbranch_execz .LBB85_368
; %bb.363:
	v_cmp_gt_f64_e32 vcc_lo, 0, v[172:173]
	v_xor_b32_e32 v170, 0x80000000, v173
	v_xor_b32_e32 v176, 0x80000000, v175
	s_delay_alu instid0(VALU_DEP_2) | instskip(SKIP_1) | instid1(VALU_DEP_3)
	v_dual_cndmask_b32 v171, v173, v170 :: v_dual_cndmask_b32 v170, v172, v172
	v_cmp_gt_f64_e32 vcc_lo, 0, v[174:175]
	v_dual_cndmask_b32 v177, v175, v176 :: v_dual_cndmask_b32 v176, v174, v174
	s_delay_alu instid0(VALU_DEP_1) | instskip(SKIP_1) | instid1(SALU_CYCLE_1)
	v_cmp_ngt_f64_e32 vcc_lo, v[170:171], v[176:177]
                                        ; implicit-def: $vgpr176_vgpr177
	s_and_saveexec_b32 s3, vcc_lo
	s_xor_b32 s3, exec_lo, s3
                                        ; implicit-def: $vgpr248_vgpr249_vgpr250_vgpr251
	s_cbranch_execz .LBB85_365
; %bb.364:
	v_div_scale_f64 v[170:171], null, v[174:175], v[174:175], v[172:173]
	v_div_scale_f64 v[248:249], vcc_lo, v[172:173], v[174:175], v[172:173]
	s_delay_alu instid0(VALU_DEP_2) | instskip(SKIP_2) | instid1(VALU_DEP_1)
	v_rcp_f64_e32 v[176:177], v[170:171]
	s_waitcnt_depctr 0xfff
	v_fma_f64 v[178:179], -v[170:171], v[176:177], 1.0
	v_fma_f64 v[176:177], v[176:177], v[178:179], v[176:177]
	s_delay_alu instid0(VALU_DEP_1) | instskip(NEXT) | instid1(VALU_DEP_1)
	v_fma_f64 v[178:179], -v[170:171], v[176:177], 1.0
	v_fma_f64 v[176:177], v[176:177], v[178:179], v[176:177]
	s_delay_alu instid0(VALU_DEP_1) | instskip(NEXT) | instid1(VALU_DEP_1)
	v_mul_f64 v[178:179], v[248:249], v[176:177]
	v_fma_f64 v[170:171], -v[170:171], v[178:179], v[248:249]
	s_delay_alu instid0(VALU_DEP_1) | instskip(NEXT) | instid1(VALU_DEP_1)
	v_div_fmas_f64 v[170:171], v[170:171], v[176:177], v[178:179]
	v_div_fixup_f64 v[170:171], v[170:171], v[174:175], v[172:173]
	s_delay_alu instid0(VALU_DEP_1) | instskip(NEXT) | instid1(VALU_DEP_1)
	v_fma_f64 v[172:173], v[172:173], v[170:171], v[174:175]
	v_div_scale_f64 v[174:175], null, v[172:173], v[172:173], 1.0
	s_delay_alu instid0(VALU_DEP_1) | instskip(SKIP_2) | instid1(VALU_DEP_1)
	v_rcp_f64_e32 v[176:177], v[174:175]
	s_waitcnt_depctr 0xfff
	v_fma_f64 v[178:179], -v[174:175], v[176:177], 1.0
	v_fma_f64 v[176:177], v[176:177], v[178:179], v[176:177]
	s_delay_alu instid0(VALU_DEP_1) | instskip(NEXT) | instid1(VALU_DEP_1)
	v_fma_f64 v[178:179], -v[174:175], v[176:177], 1.0
	v_fma_f64 v[176:177], v[176:177], v[178:179], v[176:177]
	v_div_scale_f64 v[178:179], vcc_lo, 1.0, v[172:173], 1.0
	s_delay_alu instid0(VALU_DEP_1) | instskip(NEXT) | instid1(VALU_DEP_1)
	v_mul_f64 v[248:249], v[178:179], v[176:177]
	v_fma_f64 v[174:175], -v[174:175], v[248:249], v[178:179]
	s_delay_alu instid0(VALU_DEP_1) | instskip(NEXT) | instid1(VALU_DEP_1)
	v_div_fmas_f64 v[174:175], v[174:175], v[176:177], v[248:249]
	v_div_fixup_f64 v[250:251], v[174:175], v[172:173], 1.0
                                        ; implicit-def: $vgpr172_vgpr173
	s_delay_alu instid0(VALU_DEP_1)
	v_mul_f64 v[176:177], v[170:171], v[250:251]
	v_xor_b32_e32 v251, 0x80000000, v251
.LBB85_365:
	s_and_not1_saveexec_b32 s3, s3
	s_cbranch_execz .LBB85_367
; %bb.366:
	v_div_scale_f64 v[170:171], null, v[172:173], v[172:173], v[174:175]
	v_div_scale_f64 v[248:249], vcc_lo, v[174:175], v[172:173], v[174:175]
	s_delay_alu instid0(VALU_DEP_2) | instskip(SKIP_2) | instid1(VALU_DEP_1)
	v_rcp_f64_e32 v[176:177], v[170:171]
	s_waitcnt_depctr 0xfff
	v_fma_f64 v[178:179], -v[170:171], v[176:177], 1.0
	v_fma_f64 v[176:177], v[176:177], v[178:179], v[176:177]
	s_delay_alu instid0(VALU_DEP_1) | instskip(NEXT) | instid1(VALU_DEP_1)
	v_fma_f64 v[178:179], -v[170:171], v[176:177], 1.0
	v_fma_f64 v[176:177], v[176:177], v[178:179], v[176:177]
	s_delay_alu instid0(VALU_DEP_1) | instskip(NEXT) | instid1(VALU_DEP_1)
	v_mul_f64 v[178:179], v[248:249], v[176:177]
	v_fma_f64 v[170:171], -v[170:171], v[178:179], v[248:249]
	s_delay_alu instid0(VALU_DEP_1) | instskip(NEXT) | instid1(VALU_DEP_1)
	v_div_fmas_f64 v[170:171], v[170:171], v[176:177], v[178:179]
	v_div_fixup_f64 v[170:171], v[170:171], v[172:173], v[174:175]
	s_delay_alu instid0(VALU_DEP_1) | instskip(NEXT) | instid1(VALU_DEP_1)
	v_fma_f64 v[172:173], v[174:175], v[170:171], v[172:173]
	v_div_scale_f64 v[174:175], null, v[172:173], v[172:173], 1.0
	s_delay_alu instid0(VALU_DEP_1) | instskip(SKIP_2) | instid1(VALU_DEP_1)
	v_rcp_f64_e32 v[176:177], v[174:175]
	s_waitcnt_depctr 0xfff
	v_fma_f64 v[178:179], -v[174:175], v[176:177], 1.0
	v_fma_f64 v[176:177], v[176:177], v[178:179], v[176:177]
	s_delay_alu instid0(VALU_DEP_1) | instskip(NEXT) | instid1(VALU_DEP_1)
	v_fma_f64 v[178:179], -v[174:175], v[176:177], 1.0
	v_fma_f64 v[176:177], v[176:177], v[178:179], v[176:177]
	v_div_scale_f64 v[178:179], vcc_lo, 1.0, v[172:173], 1.0
	s_delay_alu instid0(VALU_DEP_1) | instskip(NEXT) | instid1(VALU_DEP_1)
	v_mul_f64 v[248:249], v[178:179], v[176:177]
	v_fma_f64 v[174:175], -v[174:175], v[248:249], v[178:179]
	s_delay_alu instid0(VALU_DEP_1) | instskip(NEXT) | instid1(VALU_DEP_1)
	v_div_fmas_f64 v[174:175], v[174:175], v[176:177], v[248:249]
	v_div_fixup_f64 v[176:177], v[174:175], v[172:173], 1.0
	s_delay_alu instid0(VALU_DEP_1)
	v_mul_f64 v[250:251], v[170:171], -v[176:177]
.LBB85_367:
	s_or_b32 exec_lo, exec_lo, s3
	ds_store_2addr_b64 v168, v[176:177], v[250:251] offset1:1
.LBB85_368:
	s_or_b32 exec_lo, exec_lo, s4
	s_waitcnt lgkmcnt(0)
	s_barrier
	buffer_gl0_inv
	ds_load_2addr_b64 v[248:251], v168 offset1:1
	s_mov_b32 s3, exec_lo
	v_cmpx_lt_u32_e32 40, v252
	s_cbranch_execz .LBB85_370
; %bb.369:
	s_waitcnt lgkmcnt(0)
	v_mul_f64 v[170:171], v[248:249], v[10:11]
	v_mul_f64 v[10:11], v[250:251], v[10:11]
	s_delay_alu instid0(VALU_DEP_2) | instskip(SKIP_4) | instid1(VALU_DEP_1)
	v_fma_f64 v[174:175], v[250:251], v[8:9], v[170:171]
	ds_load_2addr_b64 v[170:173], v169 offset0:82 offset1:83
	v_fma_f64 v[8:9], v[248:249], v[8:9], -v[10:11]
	s_waitcnt lgkmcnt(0)
	v_mul_f64 v[10:11], v[172:173], v[174:175]
	v_fma_f64 v[10:11], v[170:171], v[8:9], -v[10:11]
	v_mul_f64 v[170:171], v[170:171], v[174:175]
	s_delay_alu instid0(VALU_DEP_2) | instskip(NEXT) | instid1(VALU_DEP_2)
	v_add_f64 v[4:5], v[4:5], -v[10:11]
	v_fma_f64 v[170:171], v[172:173], v[8:9], v[170:171]
	s_delay_alu instid0(VALU_DEP_1) | instskip(SKIP_3) | instid1(VALU_DEP_1)
	v_add_f64 v[6:7], v[6:7], -v[170:171]
	ds_load_2addr_b64 v[170:173], v169 offset0:84 offset1:85
	s_waitcnt lgkmcnt(0)
	v_mul_f64 v[10:11], v[172:173], v[174:175]
	v_fma_f64 v[10:11], v[170:171], v[8:9], -v[10:11]
	v_mul_f64 v[170:171], v[170:171], v[174:175]
	s_delay_alu instid0(VALU_DEP_2) | instskip(NEXT) | instid1(VALU_DEP_2)
	v_add_f64 v[0:1], v[0:1], -v[10:11]
	v_fma_f64 v[170:171], v[172:173], v[8:9], v[170:171]
	v_dual_mov_b32 v10, v174 :: v_dual_mov_b32 v11, v175
	s_delay_alu instid0(VALU_DEP_2)
	v_add_f64 v[2:3], v[2:3], -v[170:171]
.LBB85_370:
	s_or_b32 exec_lo, exec_lo, s3
	v_mov_b32_e32 v181, v252
	s_mov_b32 s4, exec_lo
	s_waitcnt lgkmcnt(0)
	s_barrier
	buffer_gl0_inv
	v_cmpx_eq_u32_e32 41, v252
	s_cbranch_execz .LBB85_377
; %bb.371:
	ds_store_2addr_b64 v168, v[4:5], v[6:7] offset1:1
	ds_store_2addr_b64 v169, v[0:1], v[2:3] offset0:84 offset1:85
	ds_load_2addr_b64 v[172:175], v168 offset1:1
	s_waitcnt lgkmcnt(0)
	v_cmp_neq_f64_e32 vcc_lo, 0, v[172:173]
	v_cmp_neq_f64_e64 s3, 0, v[174:175]
	s_delay_alu instid0(VALU_DEP_1) | instskip(NEXT) | instid1(SALU_CYCLE_1)
	s_or_b32 s3, vcc_lo, s3
	s_and_b32 exec_lo, exec_lo, s3
	s_cbranch_execz .LBB85_377
; %bb.372:
	v_cmp_gt_f64_e32 vcc_lo, 0, v[172:173]
	v_xor_b32_e32 v170, 0x80000000, v173
	v_xor_b32_e32 v176, 0x80000000, v175
	s_delay_alu instid0(VALU_DEP_2) | instskip(SKIP_1) | instid1(VALU_DEP_3)
	v_dual_cndmask_b32 v171, v173, v170 :: v_dual_cndmask_b32 v170, v172, v172
	v_cmp_gt_f64_e32 vcc_lo, 0, v[174:175]
	v_dual_cndmask_b32 v177, v175, v176 :: v_dual_cndmask_b32 v176, v174, v174
	s_delay_alu instid0(VALU_DEP_1) | instskip(SKIP_1) | instid1(SALU_CYCLE_1)
	v_cmp_ngt_f64_e32 vcc_lo, v[170:171], v[176:177]
                                        ; implicit-def: $vgpr176_vgpr177
	s_and_saveexec_b32 s3, vcc_lo
	s_xor_b32 s3, exec_lo, s3
                                        ; implicit-def: $vgpr252_vgpr253_vgpr254_vgpr255
	s_cbranch_execz .LBB85_374
; %bb.373:
	v_div_scale_f64 v[170:171], null, v[174:175], v[174:175], v[172:173]
	v_div_scale_f64 v[252:253], vcc_lo, v[172:173], v[174:175], v[172:173]
	s_delay_alu instid0(VALU_DEP_2) | instskip(SKIP_2) | instid1(VALU_DEP_1)
	v_rcp_f64_e32 v[176:177], v[170:171]
	s_waitcnt_depctr 0xfff
	v_fma_f64 v[178:179], -v[170:171], v[176:177], 1.0
	v_fma_f64 v[176:177], v[176:177], v[178:179], v[176:177]
	s_delay_alu instid0(VALU_DEP_1) | instskip(NEXT) | instid1(VALU_DEP_1)
	v_fma_f64 v[178:179], -v[170:171], v[176:177], 1.0
	v_fma_f64 v[176:177], v[176:177], v[178:179], v[176:177]
	s_delay_alu instid0(VALU_DEP_1) | instskip(NEXT) | instid1(VALU_DEP_1)
	v_mul_f64 v[178:179], v[252:253], v[176:177]
	v_fma_f64 v[170:171], -v[170:171], v[178:179], v[252:253]
	s_delay_alu instid0(VALU_DEP_1) | instskip(NEXT) | instid1(VALU_DEP_1)
	v_div_fmas_f64 v[170:171], v[170:171], v[176:177], v[178:179]
	v_div_fixup_f64 v[170:171], v[170:171], v[174:175], v[172:173]
	s_delay_alu instid0(VALU_DEP_1) | instskip(NEXT) | instid1(VALU_DEP_1)
	v_fma_f64 v[172:173], v[172:173], v[170:171], v[174:175]
	v_div_scale_f64 v[174:175], null, v[172:173], v[172:173], 1.0
	s_delay_alu instid0(VALU_DEP_1) | instskip(SKIP_2) | instid1(VALU_DEP_1)
	v_rcp_f64_e32 v[176:177], v[174:175]
	s_waitcnt_depctr 0xfff
	v_fma_f64 v[178:179], -v[174:175], v[176:177], 1.0
	v_fma_f64 v[176:177], v[176:177], v[178:179], v[176:177]
	s_delay_alu instid0(VALU_DEP_1) | instskip(NEXT) | instid1(VALU_DEP_1)
	v_fma_f64 v[178:179], -v[174:175], v[176:177], 1.0
	v_fma_f64 v[176:177], v[176:177], v[178:179], v[176:177]
	v_div_scale_f64 v[178:179], vcc_lo, 1.0, v[172:173], 1.0
	s_delay_alu instid0(VALU_DEP_1) | instskip(NEXT) | instid1(VALU_DEP_1)
	v_mul_f64 v[252:253], v[178:179], v[176:177]
	v_fma_f64 v[174:175], -v[174:175], v[252:253], v[178:179]
	s_delay_alu instid0(VALU_DEP_1) | instskip(NEXT) | instid1(VALU_DEP_1)
	v_div_fmas_f64 v[174:175], v[174:175], v[176:177], v[252:253]
	v_div_fixup_f64 v[254:255], v[174:175], v[172:173], 1.0
                                        ; implicit-def: $vgpr172_vgpr173
	s_delay_alu instid0(VALU_DEP_1)
	v_mul_f64 v[176:177], v[170:171], v[254:255]
	v_xor_b32_e32 v255, 0x80000000, v255
.LBB85_374:
	s_and_not1_saveexec_b32 s3, s3
	s_cbranch_execz .LBB85_376
; %bb.375:
	v_div_scale_f64 v[170:171], null, v[172:173], v[172:173], v[174:175]
	v_div_scale_f64 v[252:253], vcc_lo, v[174:175], v[172:173], v[174:175]
	s_delay_alu instid0(VALU_DEP_2) | instskip(SKIP_2) | instid1(VALU_DEP_1)
	v_rcp_f64_e32 v[176:177], v[170:171]
	s_waitcnt_depctr 0xfff
	v_fma_f64 v[178:179], -v[170:171], v[176:177], 1.0
	v_fma_f64 v[176:177], v[176:177], v[178:179], v[176:177]
	s_delay_alu instid0(VALU_DEP_1) | instskip(NEXT) | instid1(VALU_DEP_1)
	v_fma_f64 v[178:179], -v[170:171], v[176:177], 1.0
	v_fma_f64 v[176:177], v[176:177], v[178:179], v[176:177]
	s_delay_alu instid0(VALU_DEP_1) | instskip(NEXT) | instid1(VALU_DEP_1)
	v_mul_f64 v[178:179], v[252:253], v[176:177]
	v_fma_f64 v[170:171], -v[170:171], v[178:179], v[252:253]
	s_delay_alu instid0(VALU_DEP_1) | instskip(NEXT) | instid1(VALU_DEP_1)
	v_div_fmas_f64 v[170:171], v[170:171], v[176:177], v[178:179]
	v_div_fixup_f64 v[170:171], v[170:171], v[172:173], v[174:175]
	s_delay_alu instid0(VALU_DEP_1) | instskip(NEXT) | instid1(VALU_DEP_1)
	v_fma_f64 v[172:173], v[174:175], v[170:171], v[172:173]
	v_div_scale_f64 v[174:175], null, v[172:173], v[172:173], 1.0
	s_delay_alu instid0(VALU_DEP_1) | instskip(SKIP_2) | instid1(VALU_DEP_1)
	v_rcp_f64_e32 v[176:177], v[174:175]
	s_waitcnt_depctr 0xfff
	v_fma_f64 v[178:179], -v[174:175], v[176:177], 1.0
	v_fma_f64 v[176:177], v[176:177], v[178:179], v[176:177]
	s_delay_alu instid0(VALU_DEP_1) | instskip(NEXT) | instid1(VALU_DEP_1)
	v_fma_f64 v[178:179], -v[174:175], v[176:177], 1.0
	v_fma_f64 v[176:177], v[176:177], v[178:179], v[176:177]
	v_div_scale_f64 v[178:179], vcc_lo, 1.0, v[172:173], 1.0
	s_delay_alu instid0(VALU_DEP_1) | instskip(NEXT) | instid1(VALU_DEP_1)
	v_mul_f64 v[252:253], v[178:179], v[176:177]
	v_fma_f64 v[174:175], -v[174:175], v[252:253], v[178:179]
	s_delay_alu instid0(VALU_DEP_1) | instskip(NEXT) | instid1(VALU_DEP_1)
	v_div_fmas_f64 v[174:175], v[174:175], v[176:177], v[252:253]
	v_div_fixup_f64 v[176:177], v[174:175], v[172:173], 1.0
	s_delay_alu instid0(VALU_DEP_1)
	v_mul_f64 v[254:255], v[170:171], -v[176:177]
.LBB85_376:
	s_or_b32 exec_lo, exec_lo, s3
	ds_store_2addr_b64 v168, v[176:177], v[254:255] offset1:1
.LBB85_377:
	s_or_b32 exec_lo, exec_lo, s4
	s_waitcnt lgkmcnt(0)
	s_barrier
	buffer_gl0_inv
	ds_load_2addr_b64 v[252:255], v168 offset1:1
	s_mov_b32 s3, exec_lo
	v_cmpx_lt_u32_e32 41, v181
	s_cbranch_execz .LBB85_379
; %bb.378:
	s_waitcnt lgkmcnt(0)
	v_mul_f64 v[170:171], v[252:253], v[6:7]
	v_mul_f64 v[6:7], v[254:255], v[6:7]
	s_delay_alu instid0(VALU_DEP_2) | instskip(SKIP_4) | instid1(VALU_DEP_1)
	v_fma_f64 v[173:174], v[254:255], v[4:5], v[170:171]
	ds_load_2addr_b64 v[169:172], v169 offset0:84 offset1:85
	v_fma_f64 v[4:5], v[252:253], v[4:5], -v[6:7]
	s_waitcnt lgkmcnt(0)
	v_mul_f64 v[6:7], v[171:172], v[173:174]
	v_fma_f64 v[6:7], v[169:170], v[4:5], -v[6:7]
	v_mul_f64 v[169:170], v[169:170], v[173:174]
	s_delay_alu instid0(VALU_DEP_2) | instskip(NEXT) | instid1(VALU_DEP_2)
	v_add_f64 v[0:1], v[0:1], -v[6:7]
	v_fma_f64 v[169:170], v[171:172], v[4:5], v[169:170]
	v_dual_mov_b32 v6, v173 :: v_dual_mov_b32 v7, v174
	s_delay_alu instid0(VALU_DEP_2)
	v_add_f64 v[2:3], v[2:3], -v[169:170]
.LBB85_379:
	s_or_b32 exec_lo, exec_lo, s3
	s_delay_alu instid0(SALU_CYCLE_1)
	s_mov_b32 s4, exec_lo
	s_waitcnt lgkmcnt(0)
	s_barrier
	buffer_gl0_inv
	v_cmpx_eq_u32_e32 42, v181
	s_cbranch_execz .LBB85_386
; %bb.380:
	v_cmp_neq_f64_e32 vcc_lo, 0, v[0:1]
	v_cmp_neq_f64_e64 s3, 0, v[2:3]
	ds_store_2addr_b64 v168, v[0:1], v[2:3] offset1:1
	s_or_b32 s3, vcc_lo, s3
	s_delay_alu instid0(SALU_CYCLE_1)
	s_and_b32 exec_lo, exec_lo, s3
	s_cbranch_execz .LBB85_386
; %bb.381:
	v_cmp_gt_f64_e32 vcc_lo, 0, v[0:1]
	v_xor_b32_e32 v169, 0x80000000, v1
	v_xor_b32_e32 v171, 0x80000000, v3
	s_mov_b32 s3, exec_lo
                                        ; implicit-def: $vgpr176_vgpr177
	s_delay_alu instid0(VALU_DEP_2) | instskip(SKIP_1) | instid1(VALU_DEP_3)
	v_dual_cndmask_b32 v170, v1, v169 :: v_dual_cndmask_b32 v169, v0, v0
	v_cmp_gt_f64_e32 vcc_lo, 0, v[2:3]
	v_dual_cndmask_b32 v172, v3, v171 :: v_dual_cndmask_b32 v171, v2, v2
	s_delay_alu instid0(VALU_DEP_1)
	v_cmpx_ngt_f64_e32 v[169:170], v[171:172]
	s_xor_b32 s3, exec_lo, s3
                                        ; implicit-def: $vgpr172_vgpr173_vgpr174_vgpr175
	s_cbranch_execz .LBB85_383
; %bb.382:
	v_div_scale_f64 v[169:170], null, v[2:3], v[2:3], v[0:1]
	v_div_scale_f64 v[175:176], vcc_lo, v[0:1], v[2:3], v[0:1]
	s_delay_alu instid0(VALU_DEP_2) | instskip(SKIP_2) | instid1(VALU_DEP_1)
	v_rcp_f64_e32 v[171:172], v[169:170]
	s_waitcnt_depctr 0xfff
	v_fma_f64 v[173:174], -v[169:170], v[171:172], 1.0
	v_fma_f64 v[171:172], v[171:172], v[173:174], v[171:172]
	s_delay_alu instid0(VALU_DEP_1) | instskip(NEXT) | instid1(VALU_DEP_1)
	v_fma_f64 v[173:174], -v[169:170], v[171:172], 1.0
	v_fma_f64 v[171:172], v[171:172], v[173:174], v[171:172]
	s_delay_alu instid0(VALU_DEP_1) | instskip(NEXT) | instid1(VALU_DEP_1)
	v_mul_f64 v[173:174], v[175:176], v[171:172]
	v_fma_f64 v[169:170], -v[169:170], v[173:174], v[175:176]
	s_delay_alu instid0(VALU_DEP_1) | instskip(NEXT) | instid1(VALU_DEP_1)
	v_div_fmas_f64 v[169:170], v[169:170], v[171:172], v[173:174]
	v_div_fixup_f64 v[169:170], v[169:170], v[2:3], v[0:1]
	s_delay_alu instid0(VALU_DEP_1) | instskip(NEXT) | instid1(VALU_DEP_1)
	v_fma_f64 v[171:172], v[0:1], v[169:170], v[2:3]
	v_div_scale_f64 v[173:174], null, v[171:172], v[171:172], 1.0
	s_delay_alu instid0(VALU_DEP_1) | instskip(SKIP_2) | instid1(VALU_DEP_1)
	v_rcp_f64_e32 v[175:176], v[173:174]
	s_waitcnt_depctr 0xfff
	v_fma_f64 v[177:178], -v[173:174], v[175:176], 1.0
	v_fma_f64 v[175:176], v[175:176], v[177:178], v[175:176]
	s_delay_alu instid0(VALU_DEP_1) | instskip(NEXT) | instid1(VALU_DEP_1)
	v_fma_f64 v[177:178], -v[173:174], v[175:176], 1.0
	v_fma_f64 v[175:176], v[175:176], v[177:178], v[175:176]
	v_div_scale_f64 v[177:178], vcc_lo, 1.0, v[171:172], 1.0
	s_delay_alu instid0(VALU_DEP_1) | instskip(NEXT) | instid1(VALU_DEP_1)
	v_mul_f64 v[179:180], v[177:178], v[175:176]
	v_fma_f64 v[173:174], -v[173:174], v[179:180], v[177:178]
	s_delay_alu instid0(VALU_DEP_1) | instskip(NEXT) | instid1(VALU_DEP_1)
	v_div_fmas_f64 v[173:174], v[173:174], v[175:176], v[179:180]
	v_div_fixup_f64 v[174:175], v[173:174], v[171:172], 1.0
	s_delay_alu instid0(VALU_DEP_1)
	v_mul_f64 v[176:177], v[169:170], v[174:175]
	v_xor_b32_e32 v175, 0x80000000, v175
.LBB85_383:
	s_and_not1_saveexec_b32 s3, s3
	s_cbranch_execz .LBB85_385
; %bb.384:
	v_div_scale_f64 v[169:170], null, v[0:1], v[0:1], v[2:3]
	v_div_scale_f64 v[175:176], vcc_lo, v[2:3], v[0:1], v[2:3]
	s_delay_alu instid0(VALU_DEP_2) | instskip(SKIP_2) | instid1(VALU_DEP_1)
	v_rcp_f64_e32 v[171:172], v[169:170]
	s_waitcnt_depctr 0xfff
	v_fma_f64 v[173:174], -v[169:170], v[171:172], 1.0
	v_fma_f64 v[171:172], v[171:172], v[173:174], v[171:172]
	s_delay_alu instid0(VALU_DEP_1) | instskip(NEXT) | instid1(VALU_DEP_1)
	v_fma_f64 v[173:174], -v[169:170], v[171:172], 1.0
	v_fma_f64 v[171:172], v[171:172], v[173:174], v[171:172]
	s_delay_alu instid0(VALU_DEP_1) | instskip(NEXT) | instid1(VALU_DEP_1)
	v_mul_f64 v[173:174], v[175:176], v[171:172]
	v_fma_f64 v[169:170], -v[169:170], v[173:174], v[175:176]
	s_delay_alu instid0(VALU_DEP_1) | instskip(NEXT) | instid1(VALU_DEP_1)
	v_div_fmas_f64 v[169:170], v[169:170], v[171:172], v[173:174]
	v_div_fixup_f64 v[169:170], v[169:170], v[0:1], v[2:3]
	s_delay_alu instid0(VALU_DEP_1) | instskip(NEXT) | instid1(VALU_DEP_1)
	v_fma_f64 v[171:172], v[2:3], v[169:170], v[0:1]
	v_div_scale_f64 v[173:174], null, v[171:172], v[171:172], 1.0
	s_delay_alu instid0(VALU_DEP_1) | instskip(SKIP_2) | instid1(VALU_DEP_1)
	v_rcp_f64_e32 v[175:176], v[173:174]
	s_waitcnt_depctr 0xfff
	v_fma_f64 v[177:178], -v[173:174], v[175:176], 1.0
	v_fma_f64 v[175:176], v[175:176], v[177:178], v[175:176]
	s_delay_alu instid0(VALU_DEP_1) | instskip(NEXT) | instid1(VALU_DEP_1)
	v_fma_f64 v[177:178], -v[173:174], v[175:176], 1.0
	v_fma_f64 v[175:176], v[175:176], v[177:178], v[175:176]
	v_div_scale_f64 v[177:178], vcc_lo, 1.0, v[171:172], 1.0
	s_delay_alu instid0(VALU_DEP_1) | instskip(NEXT) | instid1(VALU_DEP_1)
	v_mul_f64 v[179:180], v[177:178], v[175:176]
	v_fma_f64 v[173:174], -v[173:174], v[179:180], v[177:178]
	s_delay_alu instid0(VALU_DEP_1) | instskip(NEXT) | instid1(VALU_DEP_1)
	v_div_fmas_f64 v[173:174], v[173:174], v[175:176], v[179:180]
	v_div_fixup_f64 v[176:177], v[173:174], v[171:172], 1.0
	s_delay_alu instid0(VALU_DEP_1)
	v_mul_f64 v[174:175], v[169:170], -v[176:177]
.LBB85_385:
	s_or_b32 exec_lo, exec_lo, s3
	ds_store_2addr_b64 v168, v[176:177], v[174:175] offset1:1
.LBB85_386:
	s_or_b32 exec_lo, exec_lo, s4
	s_waitcnt lgkmcnt(0)
	s_barrier
	buffer_gl0_inv
	ds_load_2addr_b64 v[172:175], v168 offset1:1
	s_mov_b32 s3, exec_lo
	v_cmpx_lt_u32_e32 42, v181
	s_cbranch_execz .LBB85_388
; %bb.387:
	s_waitcnt lgkmcnt(0)
	v_mul_f64 v[168:169], v[174:175], v[2:3]
	v_mul_f64 v[2:3], v[172:173], v[2:3]
	s_delay_alu instid0(VALU_DEP_2) | instskip(NEXT) | instid1(VALU_DEP_2)
	v_fma_f64 v[168:169], v[172:173], v[0:1], -v[168:169]
	v_fma_f64 v[2:3], v[174:175], v[0:1], v[2:3]
	s_delay_alu instid0(VALU_DEP_2)
	v_dual_mov_b32 v0, v168 :: v_dual_mov_b32 v1, v169
.LBB85_388:
	s_or_b32 exec_lo, exec_lo, s3
	s_waitcnt lgkmcnt(0)
	s_barrier
	buffer_gl0_inv
	s_and_saveexec_b32 s12, s2
	s_cbranch_execz .LBB85_391
; %bb.389:
	s_clause 0x1
	scratch_load_b128 v[168:171], off, off offset:360
	scratch_load_b128 v[176:179], off, off offset:440
	s_load_b64 s[14:15], s[0:1], 0x28
	s_waitcnt vmcnt(1)
	v_cmp_eq_f64_e32 vcc_lo, 0, v[168:169]
	v_cmp_eq_f64_e64 s2, 0, v[170:171]
	scratch_load_b128 v[168:171], off, off offset:376 ; 16-byte Folded Reload
	s_and_b32 s2, vcc_lo, s2
	s_waitcnt vmcnt(0)
	v_cmp_neq_f64_e64 s3, 0, v[168:169]
	v_cmp_neq_f64_e64 s4, 0, v[170:171]
	scratch_load_b128 v[168:171], off, off offset:392 ; 16-byte Folded Reload
	s_or_b32 s3, s3, s4
	s_delay_alu instid0(SALU_CYCLE_1)
	s_or_b32 vcc_lo, s3, s2
	s_waitcnt vmcnt(0)
	v_cmp_eq_f64_e64 s5, 0, v[168:169]
	v_cmp_eq_f64_e64 s6, 0, v[170:171]
	scratch_load_b128 v[168:171], off, off offset:408 ; 16-byte Folded Reload
	s_and_b32 s4, s5, s6
	s_waitcnt vmcnt(0)
	v_cmp_eq_f64_e64 s7, 0, v[168:169]
	v_cmp_eq_f64_e64 s8, 0, v[170:171]
	scratch_load_b128 v[168:171], off, off offset:424 ; 16-byte Folded Reload
	s_and_b32 s6, s7, s8
	s_waitcnt vmcnt(0)
	v_cmp_eq_f64_e64 s9, 0, v[168:169]
	v_cndmask_b32_e64 v168, 0, 1, s2
	v_cmp_eq_f64_e64 s2, 0, v[178:179]
	v_cmp_eq_f64_e64 s10, 0, v[170:171]
	s_delay_alu instid0(VALU_DEP_3) | instskip(SKIP_3) | instid1(VALU_DEP_1)
	v_cndmask_b32_e32 v168, 2, v168, vcc_lo
	v_cmp_eq_f64_e32 vcc_lo, 0, v[176:177]
	scratch_load_b128 v[176:179], off, off offset:456 ; 16-byte Folded Reload
	v_cmp_eq_u32_e64 s3, 0, v168
	s_and_b32 s3, s4, s3
	s_delay_alu instid0(SALU_CYCLE_1) | instskip(NEXT) | instid1(VALU_DEP_1)
	v_cndmask_b32_e64 v168, v168, 3, s3
	v_cmp_eq_u32_e64 s5, 0, v168
	s_delay_alu instid0(VALU_DEP_1) | instskip(NEXT) | instid1(SALU_CYCLE_1)
	s_and_b32 s5, s6, s5
	v_cndmask_b32_e64 v168, v168, 4, s5
	s_delay_alu instid0(VALU_DEP_1)
	v_cmp_eq_u32_e64 s7, 0, v168
	s_and_b32 s8, s9, s10
	s_delay_alu instid0(VALU_DEP_1) | instid1(SALU_CYCLE_1)
	s_and_b32 s7, s8, s7
	s_delay_alu instid0(SALU_CYCLE_1) | instskip(SKIP_1) | instid1(VALU_DEP_1)
	v_cndmask_b32_e64 v168, v168, 5, s7
	s_and_b32 s2, vcc_lo, s2
	v_cmp_eq_u32_e64 s9, 0, v168
	s_delay_alu instid0(VALU_DEP_1) | instskip(NEXT) | instid1(SALU_CYCLE_1)
	s_and_b32 s2, s2, s9
	v_cndmask_b32_e64 v168, v168, 6, s2
	s_delay_alu instid0(VALU_DEP_1)
	v_cmp_eq_u32_e64 s9, 0, v168
	s_waitcnt vmcnt(0)
	v_cmp_eq_f64_e64 s3, 0, v[176:177]
	v_cmp_eq_f64_e64 s4, 0, v[178:179]
	scratch_load_b128 v[176:179], off, off offset:472 ; 16-byte Folded Reload
	s_and_b32 s3, s3, s4
	s_delay_alu instid0(SALU_CYCLE_1) | instskip(NEXT) | instid1(SALU_CYCLE_1)
	s_and_b32 s3, s3, s9
	v_cndmask_b32_e64 v168, v168, 7, s3
	s_delay_alu instid0(VALU_DEP_1)
	v_cmp_eq_u32_e64 s9, 0, v168
	s_waitcnt vmcnt(0)
	v_cmp_eq_f64_e64 s5, 0, v[176:177]
	v_cmp_eq_f64_e64 s6, 0, v[178:179]
	scratch_load_b128 v[176:179], off, off offset:488 ; 16-byte Folded Reload
	s_and_b32 s5, s5, s6
	s_delay_alu instid0(SALU_CYCLE_1) | instskip(NEXT) | instid1(SALU_CYCLE_1)
	;; [unrolled: 10-line block ×3, first 2 shown]
	s_and_b32 s7, s7, s9
	v_cndmask_b32_e64 v168, v168, 9, s7
	s_delay_alu instid0(VALU_DEP_1)
	v_cmp_eq_u32_e64 s9, 0, v168
	s_waitcnt vmcnt(0)
	v_cmp_eq_f64_e32 vcc_lo, 0, v[176:177]
	v_cmp_eq_f64_e64 s2, 0, v[178:179]
	scratch_load_b128 v[176:179], off, off offset:520 ; 16-byte Folded Reload
	s_and_b32 s13, vcc_lo, s2
	s_delay_alu instid0(SALU_CYCLE_1) | instskip(NEXT) | instid1(SALU_CYCLE_1)
	s_and_b32 s9, s13, s9
	v_cndmask_b32_e64 v168, v168, 10, s9
	v_cmp_eq_f64_e64 s9, 0, v[186:187]
	s_delay_alu instid0(VALU_DEP_2)
	v_cmp_eq_u32_e32 vcc_lo, 0, v168
	s_waitcnt vmcnt(0)
	v_cmp_eq_f64_e64 s3, 0, v[176:177]
	v_cmp_eq_f64_e64 s4, 0, v[178:179]
	scratch_load_b128 v[176:179], off, off offset:536 ; 16-byte Folded Reload
	s_and_b32 s3, s3, s4
	s_delay_alu instid0(SALU_CYCLE_1) | instskip(NEXT) | instid1(SALU_CYCLE_1)
	s_and_b32 s3, s3, vcc_lo
	v_cndmask_b32_e64 v168, v168, 11, s3
	s_delay_alu instid0(VALU_DEP_1)
	v_cmp_eq_u32_e32 vcc_lo, 0, v168
	s_waitcnt vmcnt(0)
	v_cmp_eq_f64_e64 s5, 0, v[176:177]
	v_cmp_eq_f64_e64 s6, 0, v[178:179]
	scratch_load_b128 v[176:179], off, off offset:552 ; 16-byte Folded Reload
	s_and_b32 s5, s5, s6
	s_delay_alu instid0(SALU_CYCLE_1) | instskip(NEXT) | instid1(SALU_CYCLE_1)
	s_and_b32 s0, s5, vcc_lo
	v_cndmask_b32_e64 v168, v168, 12, s0
	s_delay_alu instid0(VALU_DEP_1)
	v_cmp_eq_u32_e64 s1, 0, v168
	s_waitcnt vmcnt(0)
	v_cmp_eq_f64_e64 s7, 0, v[176:177]
	v_cmp_eq_f64_e64 s8, 0, v[178:179]
	scratch_load_b128 v[176:179], off, off offset:568 ; 16-byte Folded Reload
	s_and_b32 s5, s7, s8
	s_delay_alu instid0(SALU_CYCLE_1) | instskip(NEXT) | instid1(SALU_CYCLE_1)
	s_and_b32 s1, s5, s1
	v_cndmask_b32_e64 v170, v168, 13, s1
	scratch_load_b64 v[168:169], off, off offset:744 ; 8-byte Folded Reload
	s_waitcnt vmcnt(1)
	v_cmp_eq_f64_e64 s10, 0, v[176:177]
	v_cmp_eq_f64_e64 s2, 0, v[178:179]
	scratch_load_b128 v[176:179], off, off offset:584 ; 16-byte Folded Reload
	s_and_b32 s7, s10, s2
	v_cmp_eq_u32_e64 s2, 0, v170
	s_waitcnt vmcnt(1)
	v_lshlrev_b64 v[168:169], 2, v[168:169]
	s_delay_alu instid0(VALU_DEP_2)
	s_and_b32 s2, s7, s2
	s_waitcnt vmcnt(0)
	v_cmp_eq_f64_e64 s3, 0, v[176:177]
	v_cmp_eq_f64_e64 s4, 0, v[178:179]
	scratch_load_b128 v[176:179], off, off offset:600 ; 16-byte Folded Reload
	s_and_b32 s3, s3, s4
	s_waitcnt vmcnt(0)
	v_cmp_eq_f64_e32 vcc_lo, 0, v[176:177]
	v_cmp_eq_f64_e64 s0, 0, v[178:179]
	scratch_load_b128 v[176:179], off, off offset:616 ; 16-byte Folded Reload
	s_and_b32 s0, vcc_lo, s0
	s_waitcnt vmcnt(0)
	v_cmp_eq_f64_e64 s5, 0, v[178:179]
	scratch_load_b128 v[178:181], off, off offset:632 ; 16-byte Folded Reload
	v_cmp_eq_f64_e64 s1, 0, v[176:177]
	s_waitcnt lgkmcnt(0)
	v_add_co_u32 v176, s6, s14, v168
	s_delay_alu instid0(VALU_DEP_1) | instskip(SKIP_3) | instid1(VALU_DEP_1)
	v_add_co_ci_u32_e64 v177, s6, s15, v169, s6
	v_cndmask_b32_e64 v169, v170, 14, s2
	global_load_b32 v168, v[176:177], off
	v_cmp_eq_u32_e64 s7, 0, v169
	s_and_b32 s3, s3, s7
	s_delay_alu instid0(SALU_CYCLE_1) | instskip(NEXT) | instid1(VALU_DEP_1)
	v_cndmask_b32_e64 v169, v169, 15, s3
	v_cmp_eq_u32_e64 s7, 0, v169
	s_delay_alu instid0(VALU_DEP_1) | instskip(NEXT) | instid1(SALU_CYCLE_1)
	s_and_b32 s0, s0, s7
	v_cndmask_b32_e64 v169, v169, 16, s0
	s_delay_alu instid0(VALU_DEP_1)
	v_cmp_eq_u32_e64 s7, 0, v169
	s_and_b32 s1, s1, s5
	s_delay_alu instid0(VALU_DEP_1) | instid1(SALU_CYCLE_1)
	s_and_b32 s1, s1, s7
	s_delay_alu instid0(SALU_CYCLE_1) | instskip(NEXT) | instid1(VALU_DEP_1)
	v_cndmask_b32_e64 v169, v169, 17, s1
	v_cmp_eq_u32_e64 s7, 0, v169
	s_waitcnt vmcnt(1)
	v_cmp_eq_f64_e64 s2, 0, v[178:179]
	v_cmp_eq_f64_e64 s6, 0, v[180:181]
	scratch_load_b128 v[178:181], off, off offset:648 ; 16-byte Folded Reload
	s_and_b32 s2, s2, s6
	s_delay_alu instid0(SALU_CYCLE_1) | instskip(NEXT) | instid1(SALU_CYCLE_1)
	s_and_b32 s2, s2, s7
	v_cndmask_b32_e64 v169, v169, 18, s2
	s_delay_alu instid0(VALU_DEP_1)
	v_cmp_eq_u32_e64 s7, 0, v169
	s_waitcnt vmcnt(0)
	v_cmp_eq_f64_e64 s3, 0, v[178:179]
	v_cmp_eq_f64_e64 s4, 0, v[180:181]
	scratch_load_b128 v[178:181], off, off offset:664 ; 16-byte Folded Reload
	s_and_b32 s3, s3, s4
	s_delay_alu instid0(SALU_CYCLE_1) | instskip(NEXT) | instid1(SALU_CYCLE_1)
	s_and_b32 s3, s3, s7
	v_cndmask_b32_e64 v169, v169, 19, s3
	s_delay_alu instid0(VALU_DEP_1)
	v_cmp_eq_u32_e64 s7, 0, v169
	s_waitcnt vmcnt(0)
	v_cmp_eq_f64_e32 vcc_lo, 0, v[178:179]
	v_cmp_eq_f64_e64 s0, 0, v[180:181]
	scratch_load_b128 v[178:181], off, off offset:680 ; 16-byte Folded Reload
	s_and_b32 s0, vcc_lo, s0
	s_delay_alu instid0(SALU_CYCLE_1) | instskip(NEXT) | instid1(SALU_CYCLE_1)
	s_and_b32 s0, s0, s7
	v_cndmask_b32_e64 v169, v169, 20, s0
	s_delay_alu instid0(VALU_DEP_1)
	v_cmp_eq_u32_e32 vcc_lo, 0, v169
	s_waitcnt vmcnt(0)
	v_cmp_eq_f64_e64 s1, 0, v[178:179]
	v_cmp_eq_f64_e64 s5, 0, v[180:181]
	scratch_load_b128 v[178:181], off, off offset:696 ; 16-byte Folded Reload
	s_and_b32 s0, s1, s5
	v_cmp_eq_f64_e64 s5, 0, v[184:185]
	s_and_b32 s0, s0, vcc_lo
	s_delay_alu instid0(SALU_CYCLE_1) | instskip(NEXT) | instid1(VALU_DEP_1)
	v_cndmask_b32_e64 v169, v169, 21, s0
	v_cmp_eq_u32_e32 vcc_lo, 0, v169
	s_delay_alu instid0(VALU_DEP_3)
	s_and_b32 s5, s5, s9
	s_waitcnt vmcnt(0)
	v_cmp_eq_f64_e64 s2, 0, v[178:179]
	v_cmp_eq_f64_e64 s6, 0, v[180:181]
	scratch_load_b128 v[178:181], off, off offset:712 ; 16-byte Folded Reload
	s_and_b32 s0, s2, s6
	s_delay_alu instid0(SALU_CYCLE_1) | instskip(SKIP_3) | instid1(VALU_DEP_2)
	s_and_b32 s0, s0, vcc_lo
	v_cmp_eq_f64_e32 vcc_lo, 0, v[188:189]
	v_cndmask_b32_e64 v169, v169, 22, s0
	v_cmp_eq_f64_e64 s0, 0, v[190:191]
	v_cmp_eq_u32_e64 s1, 0, v169
	s_delay_alu instid0(VALU_DEP_2)
	s_and_b32 s0, vcc_lo, s0
	v_cmp_eq_f64_e32 vcc_lo, 0, v[204:205]
	s_waitcnt vmcnt(0)
	v_cmp_eq_f64_e64 s3, 0, v[178:179]
	v_cmp_eq_f64_e64 s4, 0, v[180:181]
	scratch_load_b128 v[178:181], off, off offset:728 ; 16-byte Folded Reload
	s_and_b32 s2, s3, s4
	s_delay_alu instid0(SALU_CYCLE_1) | instskip(SKIP_3) | instid1(VALU_DEP_2)
	s_and_b32 s1, s2, s1
	v_cmp_eq_f64_e64 s2, 0, v[194:195]
	v_cndmask_b32_e64 v169, v169, 23, s1
	v_cmp_eq_f64_e64 s1, 0, v[192:193]
	v_cmp_eq_u32_e64 s3, 0, v169
	s_delay_alu instid0(VALU_DEP_2) | instskip(SKIP_4) | instid1(VALU_DEP_1)
	s_and_b32 s1, s1, s2
	v_cmp_eq_f64_e64 s2, 0, v[210:211]
	s_waitcnt vmcnt(0)
	v_cmp_eq_f64_e64 s7, 0, v[178:179]
	v_cmp_eq_f64_e64 s8, 0, v[180:181]
	s_and_b32 s4, s7, s8
	s_delay_alu instid0(SALU_CYCLE_1) | instskip(SKIP_3) | instid1(VALU_DEP_2)
	s_and_b32 s3, s4, s3
	v_cmp_eq_f64_e64 s4, 0, v[198:199]
	v_cndmask_b32_e64 v169, v169, 24, s3
	v_cmp_eq_f64_e64 s3, 0, v[196:197]
	v_cmp_eq_u32_e64 s6, 0, v169
	s_delay_alu instid0(VALU_DEP_1) | instskip(SKIP_3) | instid1(VALU_DEP_2)
	s_and_b32 s5, s5, s6
	v_cmp_eq_f64_e64 s6, 0, v[202:203]
	v_cndmask_b32_e64 v169, v169, 25, s5
	v_cmp_eq_f64_e64 s5, 0, v[200:201]
	v_cmp_eq_u32_e64 s7, 0, v169
	s_delay_alu instid0(VALU_DEP_1) | instskip(NEXT) | instid1(SALU_CYCLE_1)
	s_and_b32 s0, s0, s7
	v_cndmask_b32_e64 v169, v169, 26, s0
	v_cmp_eq_f64_e64 s0, 0, v[206:207]
	s_delay_alu instid0(VALU_DEP_2) | instskip(NEXT) | instid1(VALU_DEP_1)
	v_cmp_eq_u32_e64 s7, 0, v169
	s_and_b32 s1, s1, s7
	s_delay_alu instid0(SALU_CYCLE_1) | instskip(SKIP_3) | instid1(VALU_DEP_3)
	v_cndmask_b32_e64 v169, v169, 27, s1
	v_cmp_eq_f64_e64 s1, 0, v[208:209]
	s_and_b32 s3, s3, s4
	v_cmp_eq_f64_e64 s4, 0, v[214:215]
	v_cmp_eq_u32_e64 s7, 0, v169
	s_delay_alu instid0(VALU_DEP_1) | instskip(NEXT) | instid1(SALU_CYCLE_1)
	s_and_b32 s3, s3, s7
	v_cndmask_b32_e64 v169, v169, 28, s3
	v_cmp_eq_f64_e64 s3, 0, v[212:213]
	s_and_b32 s5, s5, s6
	v_cmp_eq_f64_e64 s6, 0, v[218:219]
	s_delay_alu instid0(VALU_DEP_3) | instskip(NEXT) | instid1(VALU_DEP_1)
	v_cmp_eq_u32_e64 s7, 0, v169
	s_and_b32 s5, s5, s7
	s_delay_alu instid0(SALU_CYCLE_1) | instskip(SKIP_3) | instid1(VALU_DEP_3)
	v_cndmask_b32_e64 v169, v169, 29, s5
	v_cmp_eq_f64_e64 s5, 0, v[216:217]
	s_and_b32 s0, vcc_lo, s0
	v_cmp_eq_f64_e32 vcc_lo, 0, v[220:221]
	v_cmp_eq_u32_e64 s7, 0, v169
	s_delay_alu instid0(VALU_DEP_1) | instskip(NEXT) | instid1(SALU_CYCLE_1)
	s_and_b32 s0, s0, s7
	v_cndmask_b32_e64 v169, v169, 30, s0
	v_cmp_eq_f64_e64 s0, 0, v[222:223]
	s_and_b32 s1, s1, s2
	v_cmp_eq_f64_e64 s2, 0, v[226:227]
	s_delay_alu instid0(VALU_DEP_3) | instskip(NEXT) | instid1(VALU_DEP_1)
	v_cmp_eq_u32_e64 s7, 0, v169
	s_and_b32 s1, s1, s7
	s_delay_alu instid0(SALU_CYCLE_1) | instskip(SKIP_3) | instid1(VALU_DEP_3)
	v_cndmask_b32_e64 v169, v169, 31, s1
	v_cmp_eq_f64_e64 s1, 0, v[224:225]
	s_and_b32 s3, s3, s4
	v_cmp_eq_f64_e64 s4, 0, v[230:231]
	v_cmp_eq_u32_e64 s7, 0, v169
	s_delay_alu instid0(VALU_DEP_1) | instskip(NEXT) | instid1(SALU_CYCLE_1)
	s_and_b32 s3, s3, s7
	v_cndmask_b32_e64 v169, v169, 32, s3
	v_cmp_eq_f64_e64 s3, 0, v[228:229]
	s_and_b32 s5, s5, s6
	v_cmp_eq_f64_e64 s6, 0, v[234:235]
	s_delay_alu instid0(VALU_DEP_3) | instskip(NEXT) | instid1(VALU_DEP_1)
	v_cmp_eq_u32_e64 s7, 0, v169
	s_and_b32 s5, s5, s7
	s_delay_alu instid0(SALU_CYCLE_1) | instskip(SKIP_3) | instid1(VALU_DEP_3)
	v_cndmask_b32_e64 v169, v169, 33, s5
	v_cmp_eq_f64_e64 s5, 0, v[232:233]
	s_and_b32 s0, vcc_lo, s0
	v_cmp_eq_f64_e32 vcc_lo, 0, v[236:237]
	v_cmp_eq_u32_e64 s7, 0, v169
	s_delay_alu instid0(VALU_DEP_1) | instskip(NEXT) | instid1(SALU_CYCLE_1)
	s_and_b32 s0, s0, s7
	v_cndmask_b32_e64 v169, v169, 34, s0
	v_cmp_eq_f64_e64 s0, 0, v[238:239]
	s_and_b32 s1, s1, s2
	v_cmp_eq_f64_e64 s2, 0, v[242:243]
	s_delay_alu instid0(VALU_DEP_3) | instskip(NEXT) | instid1(VALU_DEP_1)
	;; [unrolled: 30-line block ×3, first 2 shown]
	v_cmp_eq_u32_e64 s7, 0, v169
	s_and_b32 s1, s1, s7
	s_delay_alu instid0(SALU_CYCLE_1) | instskip(SKIP_2) | instid1(VALU_DEP_2)
	v_cndmask_b32_e64 v169, v169, 39, s1
	v_cmp_eq_f64_e64 s1, 0, v[172:173]
	s_and_b32 s3, s3, s4
	v_cmp_eq_u32_e64 s7, 0, v169
	s_delay_alu instid0(VALU_DEP_1) | instskip(NEXT) | instid1(SALU_CYCLE_1)
	s_and_b32 s3, s3, s7
	v_cndmask_b32_e64 v169, v169, 40, s3
	s_and_b32 s4, s5, s6
	s_delay_alu instid0(VALU_DEP_1) | instskip(NEXT) | instid1(VALU_DEP_1)
	v_cmp_eq_u32_e64 s3, 0, v169
	s_and_b32 s3, s4, s3
	s_delay_alu instid0(SALU_CYCLE_1) | instskip(SKIP_1) | instid1(VALU_DEP_1)
	v_cndmask_b32_e64 v169, v169, 41, s3
	s_and_b32 s0, vcc_lo, s0
	v_cmp_eq_u32_e64 s3, 0, v169
	s_delay_alu instid0(VALU_DEP_1) | instskip(NEXT) | instid1(SALU_CYCLE_1)
	s_and_b32 s0, s0, s3
	v_cndmask_b32_e64 v169, v169, 42, s0
	s_and_b32 s0, s1, s2
	s_delay_alu instid0(VALU_DEP_1) | instskip(SKIP_3) | instid1(VALU_DEP_1)
	v_cmp_eq_u32_e32 vcc_lo, 0, v169
	s_and_b32 s0, s0, vcc_lo
	v_cmp_eq_u32_e32 vcc_lo, 0, v168
	v_cndmask_b32_e64 v169, v169, 43, s0
	v_cmp_ne_u32_e64 s0, 0, v169
	s_delay_alu instid0(VALU_DEP_1) | instskip(NEXT) | instid1(SALU_CYCLE_1)
	s_and_b32 s0, vcc_lo, s0
	s_and_b32 exec_lo, exec_lo, s0
	s_cbranch_execz .LBB85_391
; %bb.390:
	v_add_nc_u32_e32 v168, s11, v169
	global_store_b32 v[176:177], v168, off
.LBB85_391:
	s_or_b32 exec_lo, exec_lo, s12
	s_clause 0x1
	scratch_load_b64 v[168:169], off, off offset:344
	scratch_load_b128 v[170:173], off, off
	s_waitcnt vmcnt(0)
	global_store_b128 v[168:169], v[170:173], off
	scratch_load_b64 v[168:169], off, off offset:352 ; 8-byte Folded Reload
	s_waitcnt vmcnt(0)
	global_store_b128 v[168:169], v[164:167], off
	scratch_load_b64 v[164:165], off, off offset:336 ; 8-byte Folded Reload
	;; [unrolled: 3-line block ×42, first 2 shown]
	s_waitcnt vmcnt(0)
	global_store_b128 v[4:5], v[0:3], off
.LBB85_392:
	s_nop 0
	s_sendmsg sendmsg(MSG_DEALLOC_VGPRS)
	s_endpgm
	.section	.rodata,"a",@progbits
	.p2align	6, 0x0
	.amdhsa_kernel _ZN9rocsolver6v33100L23getf2_npvt_small_kernelILi43E19rocblas_complex_numIdEiiPKPS3_EEvT1_T3_lS7_lPT2_S7_S7_
		.amdhsa_group_segment_fixed_size 0
		.amdhsa_private_segment_fixed_size 756
		.amdhsa_kernarg_size 312
		.amdhsa_user_sgpr_count 14
		.amdhsa_user_sgpr_dispatch_ptr 0
		.amdhsa_user_sgpr_queue_ptr 0
		.amdhsa_user_sgpr_kernarg_segment_ptr 1
		.amdhsa_user_sgpr_dispatch_id 0
		.amdhsa_user_sgpr_private_segment_size 0
		.amdhsa_wavefront_size32 1
		.amdhsa_uses_dynamic_stack 0
		.amdhsa_enable_private_segment 1
		.amdhsa_system_sgpr_workgroup_id_x 1
		.amdhsa_system_sgpr_workgroup_id_y 1
		.amdhsa_system_sgpr_workgroup_id_z 0
		.amdhsa_system_sgpr_workgroup_info 0
		.amdhsa_system_vgpr_workitem_id 1
		.amdhsa_next_free_vgpr 256
		.amdhsa_next_free_sgpr 16
		.amdhsa_reserve_vcc 1
		.amdhsa_float_round_mode_32 0
		.amdhsa_float_round_mode_16_64 0
		.amdhsa_float_denorm_mode_32 3
		.amdhsa_float_denorm_mode_16_64 3
		.amdhsa_dx10_clamp 1
		.amdhsa_ieee_mode 1
		.amdhsa_fp16_overflow 0
		.amdhsa_workgroup_processor_mode 1
		.amdhsa_memory_ordered 1
		.amdhsa_forward_progress 0
		.amdhsa_shared_vgpr_count 0
		.amdhsa_exception_fp_ieee_invalid_op 0
		.amdhsa_exception_fp_denorm_src 0
		.amdhsa_exception_fp_ieee_div_zero 0
		.amdhsa_exception_fp_ieee_overflow 0
		.amdhsa_exception_fp_ieee_underflow 0
		.amdhsa_exception_fp_ieee_inexact 0
		.amdhsa_exception_int_div_zero 0
	.end_amdhsa_kernel
	.section	.text._ZN9rocsolver6v33100L23getf2_npvt_small_kernelILi43E19rocblas_complex_numIdEiiPKPS3_EEvT1_T3_lS7_lPT2_S7_S7_,"axG",@progbits,_ZN9rocsolver6v33100L23getf2_npvt_small_kernelILi43E19rocblas_complex_numIdEiiPKPS3_EEvT1_T3_lS7_lPT2_S7_S7_,comdat
.Lfunc_end85:
	.size	_ZN9rocsolver6v33100L23getf2_npvt_small_kernelILi43E19rocblas_complex_numIdEiiPKPS3_EEvT1_T3_lS7_lPT2_S7_S7_, .Lfunc_end85-_ZN9rocsolver6v33100L23getf2_npvt_small_kernelILi43E19rocblas_complex_numIdEiiPKPS3_EEvT1_T3_lS7_lPT2_S7_S7_
                                        ; -- End function
	.section	.AMDGPU.csdata,"",@progbits
; Kernel info:
; codeLenInByte = 102980
; NumSgprs: 18
; NumVgprs: 256
; ScratchSize: 756
; MemoryBound: 1
; FloatMode: 240
; IeeeMode: 1
; LDSByteSize: 0 bytes/workgroup (compile time only)
; SGPRBlocks: 2
; VGPRBlocks: 31
; NumSGPRsForWavesPerEU: 18
; NumVGPRsForWavesPerEU: 256
; Occupancy: 5
; WaveLimiterHint : 1
; COMPUTE_PGM_RSRC2:SCRATCH_EN: 1
; COMPUTE_PGM_RSRC2:USER_SGPR: 14
; COMPUTE_PGM_RSRC2:TRAP_HANDLER: 0
; COMPUTE_PGM_RSRC2:TGID_X_EN: 1
; COMPUTE_PGM_RSRC2:TGID_Y_EN: 1
; COMPUTE_PGM_RSRC2:TGID_Z_EN: 0
; COMPUTE_PGM_RSRC2:TIDIG_COMP_CNT: 1
	.section	.text._ZN9rocsolver6v33100L18getf2_small_kernelILi44E19rocblas_complex_numIdEiiPKPS3_EEvT1_T3_lS7_lPS7_llPT2_S7_S7_S9_l,"axG",@progbits,_ZN9rocsolver6v33100L18getf2_small_kernelILi44E19rocblas_complex_numIdEiiPKPS3_EEvT1_T3_lS7_lPS7_llPT2_S7_S7_S9_l,comdat
	.globl	_ZN9rocsolver6v33100L18getf2_small_kernelILi44E19rocblas_complex_numIdEiiPKPS3_EEvT1_T3_lS7_lPS7_llPT2_S7_S7_S9_l ; -- Begin function _ZN9rocsolver6v33100L18getf2_small_kernelILi44E19rocblas_complex_numIdEiiPKPS3_EEvT1_T3_lS7_lPS7_llPT2_S7_S7_S9_l
	.p2align	8
	.type	_ZN9rocsolver6v33100L18getf2_small_kernelILi44E19rocblas_complex_numIdEiiPKPS3_EEvT1_T3_lS7_lPS7_llPT2_S7_S7_S9_l,@function
_ZN9rocsolver6v33100L18getf2_small_kernelILi44E19rocblas_complex_numIdEiiPKPS3_EEvT1_T3_lS7_lPS7_llPT2_S7_S7_S9_l: ; @_ZN9rocsolver6v33100L18getf2_small_kernelILi44E19rocblas_complex_numIdEiiPKPS3_EEvT1_T3_lS7_lPS7_llPT2_S7_S7_S9_l
; %bb.0:
	s_clause 0x1
	s_load_b32 s2, s[0:1], 0x6c
	s_load_b64 s[12:13], s[0:1], 0x48
	v_bfe_u32 v176, v0, 10, 10
	s_waitcnt lgkmcnt(0)
	s_lshr_b32 s2, s2, 16
	s_delay_alu instid0(VALU_DEP_1) | instid1(SALU_CYCLE_1)
	v_mad_u64_u32 v[180:181], null, s15, s2, v[176:177]
	s_mov_b32 s2, exec_lo
	s_delay_alu instid0(VALU_DEP_1)
	v_cmpx_gt_i32_e64 s12, v180
	s_cbranch_execz .LBB86_927
; %bb.1:
	s_clause 0x1
	s_load_b128 s[4:7], s[0:1], 0x8
	s_load_b128 s[8:11], s[0:1], 0x50
	v_ashrrev_i32_e32 v181, 31, v180
	v_mov_b32_e32 v182, 0
	v_mov_b32_e32 v183, 0
	s_delay_alu instid0(VALU_DEP_3) | instskip(SKIP_1) | instid1(VALU_DEP_1)
	v_lshlrev_b64 v[1:2], 3, v[180:181]
	s_waitcnt lgkmcnt(0)
	v_add_co_u32 v1, vcc_lo, s4, v1
	s_delay_alu instid0(VALU_DEP_2)
	v_add_co_ci_u32_e32 v2, vcc_lo, s5, v2, vcc_lo
	s_cmp_eq_u64 s[8:9], 0
	s_cselect_b32 s4, -1, 0
	global_load_b64 v[1:2], v[1:2], off
	s_and_b32 vcc_lo, exec_lo, s4
	s_cbranch_vccnz .LBB86_3
; %bb.2:
	v_mul_lo_u32 v5, v181, s10
	v_mul_lo_u32 v6, v180, s11
	v_mad_u64_u32 v[3:4], null, v180, s10, 0
	s_delay_alu instid0(VALU_DEP_1) | instskip(NEXT) | instid1(VALU_DEP_1)
	v_add3_u32 v4, v4, v6, v5
	v_lshlrev_b64 v[3:4], 2, v[3:4]
	s_delay_alu instid0(VALU_DEP_1) | instskip(NEXT) | instid1(VALU_DEP_2)
	v_add_co_u32 v182, vcc_lo, s8, v3
	v_add_co_ci_u32_e32 v183, vcc_lo, s9, v4, vcc_lo
.LBB86_3:
	s_clause 0x1
	s_load_b32 s8, s[0:1], 0x18
	s_load_b32 s5, s[0:1], 0x0
	v_and_b32_e32 v191, 0x3ff, v0
	s_lshl_b64 s[2:3], s[6:7], 4
	s_waitcnt vmcnt(0)
	v_add_co_u32 v187, vcc_lo, v1, s2
	v_add_co_ci_u32_e32 v188, vcc_lo, s3, v2, vcc_lo
	v_lshlrev_b32_e32 v177, 4, v191
	s_waitcnt lgkmcnt(0)
	v_add3_u32 v3, s8, s8, v191
	s_ashr_i32 s9, s8, 31
	s_max_i32 s2, s5, 44
	s_lshl_b64 s[10:11], s[8:9], 4
	s_cmp_lt_i32 s5, 2
	v_add_nc_u32_e32 v0, s8, v3
	v_ashrrev_i32_e32 v4, 31, v3
	s_delay_alu instid0(VALU_DEP_2) | instskip(NEXT) | instid1(VALU_DEP_2)
	v_add_nc_u32_e32 v2, s8, v0
	v_lshlrev_b64 v[4:5], 4, v[3:4]
	v_ashrrev_i32_e32 v1, 31, v0
	s_delay_alu instid0(VALU_DEP_3) | instskip(SKIP_1) | instid1(VALU_DEP_3)
	v_add_nc_u32_e32 v8, s8, v2
	v_ashrrev_i32_e32 v3, 31, v2
	v_lshlrev_b64 v[6:7], 4, v[0:1]
	v_add_co_u32 v0, vcc_lo, v187, v4
	s_delay_alu instid0(VALU_DEP_4) | instskip(SKIP_3) | instid1(VALU_DEP_4)
	v_add_nc_u32_e32 v4, s8, v8
	v_ashrrev_i32_e32 v9, 31, v8
	v_lshlrev_b64 v[2:3], 4, v[2:3]
	v_add_co_ci_u32_e32 v1, vcc_lo, v188, v5, vcc_lo
	v_add_nc_u32_e32 v10, s8, v4
	v_ashrrev_i32_e32 v5, 31, v4
	v_add_co_u32 v6, vcc_lo, v187, v6
	v_lshlrev_b64 v[8:9], 4, v[8:9]
	s_delay_alu instid0(VALU_DEP_4) | instskip(SKIP_3) | instid1(VALU_DEP_4)
	v_add_nc_u32_e32 v12, s8, v10
	v_ashrrev_i32_e32 v11, 31, v10
	v_add_co_ci_u32_e32 v7, vcc_lo, v188, v7, vcc_lo
	v_add_co_u32 v2, vcc_lo, v187, v2
	v_add_nc_u32_e32 v14, s8, v12
	v_lshlrev_b64 v[4:5], 4, v[4:5]
	v_ashrrev_i32_e32 v13, 31, v12
	v_add_co_ci_u32_e32 v3, vcc_lo, v188, v3, vcc_lo
	s_delay_alu instid0(VALU_DEP_4) | instskip(SKIP_3) | instid1(VALU_DEP_4)
	v_add_nc_u32_e32 v16, s8, v14
	v_add_co_u32 v8, vcc_lo, v187, v8
	v_lshlrev_b64 v[10:11], 4, v[10:11]
	v_ashrrev_i32_e32 v15, 31, v14
	v_add_nc_u32_e32 v18, s8, v16
	v_add_co_ci_u32_e32 v9, vcc_lo, v188, v9, vcc_lo
	v_add_co_u32 v4, vcc_lo, v187, v4
	s_delay_alu instid0(VALU_DEP_3) | instskip(SKIP_3) | instid1(VALU_DEP_4)
	v_add_nc_u32_e32 v20, s8, v18
	v_lshlrev_b64 v[12:13], 4, v[12:13]
	v_ashrrev_i32_e32 v17, 31, v16
	v_add_co_ci_u32_e32 v5, vcc_lo, v188, v5, vcc_lo
	v_add_nc_u32_e32 v22, s8, v20
	v_add_co_u32 v10, vcc_lo, v187, v10
	v_lshlrev_b64 v[14:15], 4, v[14:15]
	v_ashrrev_i32_e32 v19, 31, v18
	s_delay_alu instid0(VALU_DEP_4) | instskip(SKIP_2) | instid1(VALU_DEP_3)
	v_add_nc_u32_e32 v24, s8, v22
	v_add_co_ci_u32_e32 v11, vcc_lo, v188, v11, vcc_lo
	v_add_co_u32 v12, vcc_lo, v187, v12
	v_add_nc_u32_e32 v26, s8, v24
	v_lshlrev_b64 v[16:17], 4, v[16:17]
	v_ashrrev_i32_e32 v21, 31, v20
	v_add_co_ci_u32_e32 v13, vcc_lo, v188, v13, vcc_lo
	s_delay_alu instid0(VALU_DEP_4) | instskip(SKIP_3) | instid1(VALU_DEP_4)
	v_add_nc_u32_e32 v28, s8, v26
	v_add_co_u32 v14, vcc_lo, v187, v14
	v_lshlrev_b64 v[18:19], 4, v[18:19]
	v_ashrrev_i32_e32 v23, 31, v22
	v_add_nc_u32_e32 v30, s8, v28
	v_add_co_ci_u32_e32 v15, vcc_lo, v188, v15, vcc_lo
	v_add_co_u32 v16, vcc_lo, v187, v16
	s_delay_alu instid0(VALU_DEP_3) | instskip(SKIP_3) | instid1(VALU_DEP_4)
	v_add_nc_u32_e32 v32, s8, v30
	v_lshlrev_b64 v[20:21], 4, v[20:21]
	v_ashrrev_i32_e32 v25, 31, v24
	v_add_co_ci_u32_e32 v17, vcc_lo, v188, v17, vcc_lo
	v_add_nc_u32_e32 v34, s8, v32
	v_add_co_u32 v18, vcc_lo, v187, v18
	v_lshlrev_b64 v[22:23], 4, v[22:23]
	v_ashrrev_i32_e32 v27, 31, v26
	s_delay_alu instid0(VALU_DEP_4) | instskip(SKIP_2) | instid1(VALU_DEP_3)
	v_add_nc_u32_e32 v36, s8, v34
	v_add_co_ci_u32_e32 v19, vcc_lo, v188, v19, vcc_lo
	v_add_co_u32 v20, vcc_lo, v187, v20
	v_add_nc_u32_e32 v38, s8, v36
	v_lshlrev_b64 v[24:25], 4, v[24:25]
	v_ashrrev_i32_e32 v29, 31, v28
	v_add_co_ci_u32_e32 v21, vcc_lo, v188, v21, vcc_lo
	s_delay_alu instid0(VALU_DEP_4) | instskip(SKIP_3) | instid1(VALU_DEP_4)
	v_add_nc_u32_e32 v40, s8, v38
	v_add_co_u32 v22, vcc_lo, v187, v22
	v_lshlrev_b64 v[26:27], 4, v[26:27]
	v_ashrrev_i32_e32 v31, 31, v30
	v_add_nc_u32_e32 v42, s8, v40
	v_add_co_ci_u32_e32 v23, vcc_lo, v188, v23, vcc_lo
	v_add_co_u32 v24, vcc_lo, v187, v24
	v_lshlrev_b64 v[28:29], 4, v[28:29]
	s_delay_alu instid0(VALU_DEP_4)
	v_add_nc_u32_e32 v44, s8, v42
	v_ashrrev_i32_e32 v33, 31, v32
	v_add_co_ci_u32_e32 v25, vcc_lo, v188, v25, vcc_lo
	v_add_co_u32 v26, vcc_lo, v187, v26
	v_lshlrev_b64 v[30:31], 4, v[30:31]
	v_ashrrev_i32_e32 v35, 31, v34
	v_add_co_ci_u32_e32 v27, vcc_lo, v188, v27, vcc_lo
	v_add_nc_u32_e32 v46, s8, v44
	v_add_co_u32 v28, vcc_lo, v187, v28
	v_lshlrev_b64 v[32:33], 4, v[32:33]
	v_ashrrev_i32_e32 v37, 31, v36
	v_add_co_ci_u32_e32 v29, vcc_lo, v188, v29, vcc_lo
	v_add_co_u32 v30, vcc_lo, v187, v30
	v_lshlrev_b64 v[34:35], 4, v[34:35]
	v_ashrrev_i32_e32 v39, 31, v38
	v_add_nc_u32_e32 v48, s8, v46
	v_add_co_ci_u32_e32 v31, vcc_lo, v188, v31, vcc_lo
	v_add_co_u32 v32, vcc_lo, v187, v32
	v_lshlrev_b64 v[36:37], 4, v[36:37]
	v_ashrrev_i32_e32 v41, 31, v40
	v_add_co_ci_u32_e32 v33, vcc_lo, v188, v33, vcc_lo
	v_add_co_u32 v34, vcc_lo, v187, v34
	v_lshlrev_b64 v[38:39], 4, v[38:39]
	v_add_nc_u32_e32 v50, s8, v48
	v_ashrrev_i32_e32 v43, 31, v42
	v_add_co_ci_u32_e32 v35, vcc_lo, v188, v35, vcc_lo
	v_add_co_u32 v36, vcc_lo, v187, v36
	v_lshlrev_b64 v[40:41], 4, v[40:41]
	v_ashrrev_i32_e32 v45, 31, v44
	v_add_co_ci_u32_e32 v37, vcc_lo, v188, v37, vcc_lo
	v_add_nc_u32_e32 v52, s8, v50
	v_add_co_u32 v38, vcc_lo, v187, v38
	v_lshlrev_b64 v[42:43], 4, v[42:43]
	v_ashrrev_i32_e32 v47, 31, v46
	v_add_co_ci_u32_e32 v39, vcc_lo, v188, v39, vcc_lo
	v_add_co_u32 v40, vcc_lo, v187, v40
	v_lshlrev_b64 v[44:45], 4, v[44:45]
	v_ashrrev_i32_e32 v49, 31, v48
	v_add_nc_u32_e32 v54, s8, v52
	v_add_co_ci_u32_e32 v41, vcc_lo, v188, v41, vcc_lo
	v_add_co_u32 v42, vcc_lo, v187, v42
	v_lshlrev_b64 v[46:47], 4, v[46:47]
	v_ashrrev_i32_e32 v51, 31, v50
	v_add_co_ci_u32_e32 v43, vcc_lo, v188, v43, vcc_lo
	v_add_co_u32 v44, vcc_lo, v187, v44
	v_lshlrev_b64 v[48:49], 4, v[48:49]
	v_add_nc_u32_e32 v56, s8, v54
	v_ashrrev_i32_e32 v53, 31, v52
	v_add_co_ci_u32_e32 v45, vcc_lo, v188, v45, vcc_lo
	v_add_co_u32 v46, vcc_lo, v187, v46
	v_lshlrev_b64 v[50:51], 4, v[50:51]
	v_ashrrev_i32_e32 v55, 31, v54
	v_add_co_ci_u32_e32 v47, vcc_lo, v188, v47, vcc_lo
	v_add_nc_u32_e32 v58, s8, v56
	v_add_co_u32 v48, vcc_lo, v187, v48
	v_lshlrev_b64 v[52:53], 4, v[52:53]
	v_ashrrev_i32_e32 v57, 31, v56
	v_add_co_ci_u32_e32 v49, vcc_lo, v188, v49, vcc_lo
	v_add_co_u32 v50, vcc_lo, v187, v50
	v_lshlrev_b64 v[54:55], 4, v[54:55]
	v_add_nc_u32_e32 v60, s8, v58
	v_add_co_ci_u32_e32 v51, vcc_lo, v188, v51, vcc_lo
	v_add_co_u32 v52, vcc_lo, v187, v52
	v_lshlrev_b64 v[56:57], 4, v[56:57]
	v_ashrrev_i32_e32 v59, 31, v58
	v_add_co_ci_u32_e32 v53, vcc_lo, v188, v53, vcc_lo
	v_add_co_u32 v54, vcc_lo, v187, v54
	v_ashrrev_i32_e32 v61, 31, v60
	v_add_nc_u32_e32 v62, s8, v60
	v_add_co_ci_u32_e32 v55, vcc_lo, v188, v55, vcc_lo
	v_lshlrev_b64 v[58:59], 4, v[58:59]
	v_add_co_u32 v178, vcc_lo, v187, v56
	v_add_co_ci_u32_e32 v179, vcc_lo, v188, v57, vcc_lo
	v_lshlrev_b64 v[56:57], 4, v[60:61]
	v_ashrrev_i32_e32 v63, 31, v62
	v_add_nc_u32_e32 v60, s8, v62
	v_add_co_u32 v184, vcc_lo, v187, v58
	v_add_co_ci_u32_e32 v185, vcc_lo, v188, v59, vcc_lo
	s_delay_alu instid0(VALU_DEP_4) | instskip(NEXT) | instid1(VALU_DEP_4)
	v_lshlrev_b64 v[58:59], 4, v[62:63]
	v_ashrrev_i32_e32 v61, 31, v60
	v_add_nc_u32_e32 v62, s8, v60
	v_add_co_u32 v189, vcc_lo, v187, v56
	v_add_co_ci_u32_e32 v190, vcc_lo, v188, v57, vcc_lo
	s_delay_alu instid0(VALU_DEP_4) | instskip(NEXT) | instid1(VALU_DEP_4)
	;; [unrolled: 6-line block ×8, first 2 shown]
	v_lshlrev_b64 v[56:57], 4, v[60:61]
	v_add_nc_u32_e32 v60, s8, v62
	v_ashrrev_i32_e32 v63, 31, v62
	v_add_co_u32 v204, vcc_lo, v187, v58
	v_add_co_ci_u32_e32 v205, vcc_lo, v188, v59, vcc_lo
	s_delay_alu instid0(VALU_DEP_4) | instskip(NEXT) | instid1(VALU_DEP_4)
	v_ashrrev_i32_e32 v61, 31, v60
	v_lshlrev_b64 v[58:59], 4, v[62:63]
	v_add_co_u32 v206, vcc_lo, v187, v56
	v_add_co_ci_u32_e32 v207, vcc_lo, v188, v57, vcc_lo
	s_delay_alu instid0(VALU_DEP_4) | instskip(SKIP_3) | instid1(VALU_DEP_4)
	v_lshlrev_b64 v[56:57], 4, v[60:61]
	v_add_nc_u32_e32 v62, s8, v60
	v_add_co_u32 v208, vcc_lo, v187, v58
	v_add_co_ci_u32_e32 v209, vcc_lo, v188, v59, vcc_lo
	v_add_co_u32 v210, vcc_lo, v187, v56
	s_delay_alu instid0(VALU_DEP_4) | instskip(SKIP_3) | instid1(VALU_DEP_4)
	v_ashrrev_i32_e32 v63, 31, v62
	v_add_co_ci_u32_e32 v211, vcc_lo, v188, v57, vcc_lo
	v_add_co_u32 v56, vcc_lo, v187, v177
	v_add_co_ci_u32_e32 v57, vcc_lo, 0, v188, vcc_lo
	v_lshlrev_b64 v[58:59], 4, v[62:63]
	s_delay_alu instid0(VALU_DEP_3) | instskip(NEXT) | instid1(VALU_DEP_3)
	v_add_co_u32 v60, vcc_lo, v56, s10
	v_add_co_ci_u32_e32 v61, vcc_lo, s11, v57, vcc_lo
	s_delay_alu instid0(VALU_DEP_3) | instskip(NEXT) | instid1(VALU_DEP_4)
	v_add_co_u32 v212, vcc_lo, v187, v58
	v_add_co_ci_u32_e32 v213, vcc_lo, v188, v59, vcc_lo
	s_clause 0x1f
	global_load_b128 v[172:175], v[56:57], off
	global_load_b128 v[168:171], v[60:61], off
	;; [unrolled: 1-line block ×32, first 2 shown]
	s_clause 0xb
	global_load_b128 v[44:47], v[189:190], off
	global_load_b128 v[40:43], v[192:193], off
	;; [unrolled: 1-line block ×12, first 2 shown]
	v_mul_lo_u32 v184, s2, v176
	s_delay_alu instid0(VALU_DEP_1) | instskip(SKIP_2) | instid1(VALU_DEP_3)
	v_lshl_add_u32 v186, v184, 4, 0
	v_lshlrev_b32_e32 v190, 4, v184
	v_mov_b32_e32 v184, 0
	v_add_nc_u32_e32 v176, v186, v177
	s_waitcnt vmcnt(43)
	ds_store_2addr_b64 v176, v[172:173], v[174:175] offset1:1
	s_waitcnt vmcnt(0) lgkmcnt(0)
	s_barrier
	buffer_gl0_inv
	ds_load_2addr_b64 v[176:179], v186 offset1:1
	s_cbranch_scc1 .LBB86_6
; %bb.4:
	v_add3_u32 v185, v190, 0, 16
	v_mov_b32_e32 v184, 0
	s_mov_b32 s6, 1
	s_set_inst_prefetch_distance 0x1
	.p2align	6
.LBB86_5:                               ; =>This Inner Loop Header: Depth=1
	ds_load_2addr_b64 v[192:195], v185 offset1:1
	s_waitcnt lgkmcnt(1)
	v_cmp_gt_f64_e32 vcc_lo, 0, v[176:177]
	v_xor_b32_e32 v189, 0x80000000, v177
	v_cmp_gt_f64_e64 s2, 0, v[178:179]
	v_xor_b32_e32 v196, 0x80000000, v179
	v_add_nc_u32_e32 v185, 16, v185
	s_waitcnt lgkmcnt(0)
	v_cmp_gt_f64_e64 s3, 0, v[192:193]
	v_mov_b32_e32 v200, v192
	v_dual_mov_b32 v202, v194 :: v_dual_cndmask_b32 v197, v177, v189
	v_xor_b32_e32 v189, 0x80000000, v193
	v_cndmask_b32_e64 v199, v179, v196, s2
	v_xor_b32_e32 v196, 0x80000000, v195
	v_cndmask_b32_e64 v198, v178, v178, s2
	s_delay_alu instid0(VALU_DEP_4) | instskip(SKIP_1) | instid1(VALU_DEP_1)
	v_cndmask_b32_e64 v201, v193, v189, s3
	v_cmp_gt_f64_e64 s3, 0, v[194:195]
	v_cndmask_b32_e64 v203, v195, v196, s3
	v_cndmask_b32_e32 v196, v176, v176, vcc_lo
	s_delay_alu instid0(VALU_DEP_2) | instskip(NEXT) | instid1(VALU_DEP_2)
	v_add_f64 v[200:201], v[200:201], v[202:203]
	v_add_f64 v[196:197], v[196:197], v[198:199]
	s_delay_alu instid0(VALU_DEP_1)
	v_cmp_lt_f64_e32 vcc_lo, v[196:197], v[200:201]
	v_cndmask_b32_e32 v179, v179, v195, vcc_lo
	v_dual_cndmask_b32 v177, v177, v193 :: v_dual_cndmask_b32 v176, v176, v192
	v_cndmask_b32_e32 v178, v178, v194, vcc_lo
	v_cndmask_b32_e64 v184, v184, s6, vcc_lo
	s_add_i32 s6, s6, 1
	s_delay_alu instid0(SALU_CYCLE_1)
	s_cmp_eq_u32 s5, s6
	s_cbranch_scc0 .LBB86_5
.LBB86_6:
	s_set_inst_prefetch_distance 0x2
	s_waitcnt lgkmcnt(0)
	v_cmp_neq_f64_e32 vcc_lo, 0, v[176:177]
	v_cmp_neq_f64_e64 s2, 0, v[178:179]
	v_mov_b32_e32 v189, 1
	v_mov_b32_e32 v193, 1
	s_delay_alu instid0(VALU_DEP_3) | instskip(NEXT) | instid1(SALU_CYCLE_1)
	s_or_b32 s2, vcc_lo, s2
	s_and_saveexec_b32 s3, s2
	s_cbranch_execz .LBB86_12
; %bb.7:
	v_cmp_gt_f64_e32 vcc_lo, 0, v[176:177]
	v_cmp_gt_f64_e64 s2, 0, v[178:179]
	v_xor_b32_e32 v185, 0x80000000, v177
	v_xor_b32_e32 v189, 0x80000000, v179
                                        ; implicit-def: $sgpr6
                                        ; implicit-def: $sgpr7
	s_delay_alu instid0(VALU_DEP_2) | instskip(NEXT) | instid1(VALU_DEP_2)
	v_dual_cndmask_b32 v193, v177, v185 :: v_dual_cndmask_b32 v192, v176, v176
	v_cndmask_b32_e64 v195, v179, v189, s2
	v_cndmask_b32_e64 v194, v178, v178, s2
	s_mov_b32 s2, exec_lo
	s_delay_alu instid0(VALU_DEP_1)
	v_cmpx_ngt_f64_e32 v[192:193], v[194:195]
	s_xor_b32 s2, exec_lo, s2
	s_cbranch_execz .LBB86_9
; %bb.8:
	v_div_scale_f64 v[192:193], null, v[178:179], v[178:179], v[176:177]
	v_div_scale_f64 v[198:199], vcc_lo, v[176:177], v[178:179], v[176:177]
	s_mov_b32 s7, 2
	s_mov_b32 s6, 0
	s_delay_alu instid0(VALU_DEP_2) | instskip(SKIP_2) | instid1(VALU_DEP_1)
	v_rcp_f64_e32 v[194:195], v[192:193]
	s_waitcnt_depctr 0xfff
	v_fma_f64 v[196:197], -v[192:193], v[194:195], 1.0
	v_fma_f64 v[194:195], v[194:195], v[196:197], v[194:195]
	s_delay_alu instid0(VALU_DEP_1) | instskip(NEXT) | instid1(VALU_DEP_1)
	v_fma_f64 v[196:197], -v[192:193], v[194:195], 1.0
	v_fma_f64 v[194:195], v[194:195], v[196:197], v[194:195]
	s_delay_alu instid0(VALU_DEP_1) | instskip(NEXT) | instid1(VALU_DEP_1)
	v_mul_f64 v[196:197], v[198:199], v[194:195]
	v_fma_f64 v[192:193], -v[192:193], v[196:197], v[198:199]
	s_delay_alu instid0(VALU_DEP_1) | instskip(NEXT) | instid1(VALU_DEP_1)
	v_div_fmas_f64 v[192:193], v[192:193], v[194:195], v[196:197]
	v_div_fixup_f64 v[192:193], v[192:193], v[178:179], v[176:177]
	s_delay_alu instid0(VALU_DEP_1) | instskip(NEXT) | instid1(VALU_DEP_1)
	v_fma_f64 v[176:177], v[176:177], v[192:193], v[178:179]
	v_div_scale_f64 v[178:179], null, v[176:177], v[176:177], 1.0
	s_delay_alu instid0(VALU_DEP_1) | instskip(SKIP_2) | instid1(VALU_DEP_1)
	v_rcp_f64_e32 v[194:195], v[178:179]
	s_waitcnt_depctr 0xfff
	v_fma_f64 v[196:197], -v[178:179], v[194:195], 1.0
	v_fma_f64 v[194:195], v[194:195], v[196:197], v[194:195]
	s_delay_alu instid0(VALU_DEP_1) | instskip(NEXT) | instid1(VALU_DEP_1)
	v_fma_f64 v[196:197], -v[178:179], v[194:195], 1.0
	v_fma_f64 v[194:195], v[194:195], v[196:197], v[194:195]
	v_div_scale_f64 v[196:197], vcc_lo, 1.0, v[176:177], 1.0
	s_delay_alu instid0(VALU_DEP_1) | instskip(NEXT) | instid1(VALU_DEP_1)
	v_mul_f64 v[198:199], v[196:197], v[194:195]
	v_fma_f64 v[178:179], -v[178:179], v[198:199], v[196:197]
	s_delay_alu instid0(VALU_DEP_1) | instskip(NEXT) | instid1(VALU_DEP_1)
	v_div_fmas_f64 v[178:179], v[178:179], v[194:195], v[198:199]
	v_div_fixup_f64 v[178:179], v[178:179], v[176:177], 1.0
	s_delay_alu instid0(VALU_DEP_1)
	v_mul_f64 v[176:177], v[192:193], v[178:179]
	v_xor_b32_e32 v179, 0x80000000, v179
.LBB86_9:
	s_or_saveexec_b32 s2, s2
	v_mov_b32_e32 v193, s6
	v_mov_b32_e32 v189, s7
	s_xor_b32 exec_lo, exec_lo, s2
	s_cbranch_execz .LBB86_11
; %bb.10:
	s_delay_alu instid0(VALU_DEP_4) | instskip(SKIP_2) | instid1(VALU_DEP_3)
	v_div_scale_f64 v[192:193], null, v[176:177], v[176:177], v[178:179]
	v_div_scale_f64 v[198:199], vcc_lo, v[178:179], v[176:177], v[178:179]
	v_mov_b32_e32 v189, 2
	v_rcp_f64_e32 v[194:195], v[192:193]
	s_waitcnt_depctr 0xfff
	v_fma_f64 v[196:197], -v[192:193], v[194:195], 1.0
	s_delay_alu instid0(VALU_DEP_1) | instskip(NEXT) | instid1(VALU_DEP_1)
	v_fma_f64 v[194:195], v[194:195], v[196:197], v[194:195]
	v_fma_f64 v[196:197], -v[192:193], v[194:195], 1.0
	s_delay_alu instid0(VALU_DEP_1) | instskip(NEXT) | instid1(VALU_DEP_1)
	v_fma_f64 v[194:195], v[194:195], v[196:197], v[194:195]
	v_mul_f64 v[196:197], v[198:199], v[194:195]
	s_delay_alu instid0(VALU_DEP_1) | instskip(NEXT) | instid1(VALU_DEP_1)
	v_fma_f64 v[192:193], -v[192:193], v[196:197], v[198:199]
	v_div_fmas_f64 v[192:193], v[192:193], v[194:195], v[196:197]
	s_delay_alu instid0(VALU_DEP_1) | instskip(NEXT) | instid1(VALU_DEP_1)
	v_div_fixup_f64 v[192:193], v[192:193], v[176:177], v[178:179]
	v_fma_f64 v[176:177], v[178:179], v[192:193], v[176:177]
	s_delay_alu instid0(VALU_DEP_1) | instskip(NEXT) | instid1(VALU_DEP_1)
	v_div_scale_f64 v[178:179], null, v[176:177], v[176:177], 1.0
	v_rcp_f64_e32 v[194:195], v[178:179]
	s_waitcnt_depctr 0xfff
	v_fma_f64 v[196:197], -v[178:179], v[194:195], 1.0
	s_delay_alu instid0(VALU_DEP_1) | instskip(NEXT) | instid1(VALU_DEP_1)
	v_fma_f64 v[194:195], v[194:195], v[196:197], v[194:195]
	v_fma_f64 v[196:197], -v[178:179], v[194:195], 1.0
	s_delay_alu instid0(VALU_DEP_1) | instskip(SKIP_1) | instid1(VALU_DEP_1)
	v_fma_f64 v[194:195], v[194:195], v[196:197], v[194:195]
	v_div_scale_f64 v[196:197], vcc_lo, 1.0, v[176:177], 1.0
	v_mul_f64 v[198:199], v[196:197], v[194:195]
	s_delay_alu instid0(VALU_DEP_1) | instskip(NEXT) | instid1(VALU_DEP_1)
	v_fma_f64 v[178:179], -v[178:179], v[198:199], v[196:197]
	v_div_fmas_f64 v[178:179], v[178:179], v[194:195], v[198:199]
	s_delay_alu instid0(VALU_DEP_1) | instskip(NEXT) | instid1(VALU_DEP_1)
	v_div_fixup_f64 v[176:177], v[178:179], v[176:177], 1.0
	v_mul_f64 v[178:179], v[192:193], -v[176:177]
	v_mov_b32_e32 v193, 0
.LBB86_11:
	s_or_b32 exec_lo, exec_lo, s2
.LBB86_12:
	s_delay_alu instid0(SALU_CYCLE_1) | instskip(NEXT) | instid1(SALU_CYCLE_1)
	s_or_b32 exec_lo, exec_lo, s3
	s_mov_b32 s2, exec_lo
	v_cmpx_ne_u32_e64 v191, v184
	s_xor_b32 s2, exec_lo, s2
	s_cbranch_execz .LBB86_18
; %bb.13:
	s_mov_b32 s3, exec_lo
	v_cmpx_eq_u32_e32 0, v191
	s_cbranch_execz .LBB86_17
; %bb.14:
	v_cmp_ne_u32_e32 vcc_lo, 0, v184
	s_xor_b32 s6, s4, -1
	s_delay_alu instid0(SALU_CYCLE_1) | instskip(NEXT) | instid1(SALU_CYCLE_1)
	s_and_b32 s7, s6, vcc_lo
	s_and_saveexec_b32 s6, s7
	s_cbranch_execz .LBB86_16
; %bb.15:
	v_ashrrev_i32_e32 v185, 31, v184
	s_delay_alu instid0(VALU_DEP_1) | instskip(NEXT) | instid1(VALU_DEP_1)
	v_lshlrev_b64 v[191:192], 2, v[184:185]
	v_add_co_u32 v191, vcc_lo, v182, v191
	s_delay_alu instid0(VALU_DEP_2)
	v_add_co_ci_u32_e32 v192, vcc_lo, v183, v192, vcc_lo
	s_clause 0x1
	flat_load_b32 v185, v[191:192]
	flat_load_b32 v194, v[182:183]
	s_waitcnt vmcnt(1) lgkmcnt(1)
	flat_store_b32 v[182:183], v185
	s_waitcnt vmcnt(0) lgkmcnt(1)
	flat_store_b32 v[191:192], v194
.LBB86_16:
	s_or_b32 exec_lo, exec_lo, s6
	v_mov_b32_e32 v191, v184
.LBB86_17:
	s_or_b32 exec_lo, exec_lo, s3
.LBB86_18:
	s_or_saveexec_b32 s2, s2
	s_delay_alu instid0(VALU_DEP_1)
	v_mov_b32_e32 v192, v191
	s_xor_b32 exec_lo, exec_lo, s2
	s_cbranch_execz .LBB86_20
; %bb.19:
	v_mov_b32_e32 v192, 0
	ds_store_2addr_b64 v186, v[168:169], v[170:171] offset0:2 offset1:3
	ds_store_2addr_b64 v186, v[164:165], v[166:167] offset0:4 offset1:5
	ds_store_2addr_b64 v186, v[160:161], v[162:163] offset0:6 offset1:7
	ds_store_2addr_b64 v186, v[156:157], v[158:159] offset0:8 offset1:9
	ds_store_2addr_b64 v186, v[152:153], v[154:155] offset0:10 offset1:11
	ds_store_2addr_b64 v186, v[148:149], v[150:151] offset0:12 offset1:13
	ds_store_2addr_b64 v186, v[144:145], v[146:147] offset0:14 offset1:15
	ds_store_2addr_b64 v186, v[140:141], v[142:143] offset0:16 offset1:17
	ds_store_2addr_b64 v186, v[136:137], v[138:139] offset0:18 offset1:19
	ds_store_2addr_b64 v186, v[132:133], v[134:135] offset0:20 offset1:21
	ds_store_2addr_b64 v186, v[128:129], v[130:131] offset0:22 offset1:23
	ds_store_2addr_b64 v186, v[124:125], v[126:127] offset0:24 offset1:25
	ds_store_2addr_b64 v186, v[120:121], v[122:123] offset0:26 offset1:27
	ds_store_2addr_b64 v186, v[116:117], v[118:119] offset0:28 offset1:29
	ds_store_2addr_b64 v186, v[112:113], v[114:115] offset0:30 offset1:31
	ds_store_2addr_b64 v186, v[108:109], v[110:111] offset0:32 offset1:33
	ds_store_2addr_b64 v186, v[104:105], v[106:107] offset0:34 offset1:35
	ds_store_2addr_b64 v186, v[100:101], v[102:103] offset0:36 offset1:37
	ds_store_2addr_b64 v186, v[96:97], v[98:99] offset0:38 offset1:39
	ds_store_2addr_b64 v186, v[92:93], v[94:95] offset0:40 offset1:41
	ds_store_2addr_b64 v186, v[88:89], v[90:91] offset0:42 offset1:43
	ds_store_2addr_b64 v186, v[84:85], v[86:87] offset0:44 offset1:45
	ds_store_2addr_b64 v186, v[80:81], v[82:83] offset0:46 offset1:47
	ds_store_2addr_b64 v186, v[76:77], v[78:79] offset0:48 offset1:49
	ds_store_2addr_b64 v186, v[72:73], v[74:75] offset0:50 offset1:51
	ds_store_2addr_b64 v186, v[68:69], v[70:71] offset0:52 offset1:53
	ds_store_2addr_b64 v186, v[64:65], v[66:67] offset0:54 offset1:55
	ds_store_2addr_b64 v186, v[60:61], v[62:63] offset0:56 offset1:57
	ds_store_2addr_b64 v186, v[56:57], v[58:59] offset0:58 offset1:59
	ds_store_2addr_b64 v186, v[52:53], v[54:55] offset0:60 offset1:61
	ds_store_2addr_b64 v186, v[48:49], v[50:51] offset0:62 offset1:63
	ds_store_2addr_b64 v186, v[44:45], v[46:47] offset0:64 offset1:65
	ds_store_2addr_b64 v186, v[40:41], v[42:43] offset0:66 offset1:67
	ds_store_2addr_b64 v186, v[36:37], v[38:39] offset0:68 offset1:69
	ds_store_2addr_b64 v186, v[32:33], v[34:35] offset0:70 offset1:71
	ds_store_2addr_b64 v186, v[28:29], v[30:31] offset0:72 offset1:73
	ds_store_2addr_b64 v186, v[24:25], v[26:27] offset0:74 offset1:75
	ds_store_2addr_b64 v186, v[20:21], v[22:23] offset0:76 offset1:77
	ds_store_2addr_b64 v186, v[16:17], v[18:19] offset0:78 offset1:79
	ds_store_2addr_b64 v186, v[12:13], v[14:15] offset0:80 offset1:81
	ds_store_2addr_b64 v186, v[8:9], v[10:11] offset0:82 offset1:83
	ds_store_2addr_b64 v186, v[4:5], v[6:7] offset0:84 offset1:85
	ds_store_2addr_b64 v186, v[0:1], v[2:3] offset0:86 offset1:87
.LBB86_20:
	s_or_b32 exec_lo, exec_lo, s2
	s_delay_alu instid0(SALU_CYCLE_1)
	s_mov_b32 s2, exec_lo
	s_waitcnt lgkmcnt(0)
	s_waitcnt_vscnt null, 0x0
	s_barrier
	buffer_gl0_inv
	v_cmpx_lt_i32_e32 0, v192
	s_cbranch_execz .LBB86_22
; %bb.21:
	v_mul_f64 v[184:185], v[178:179], v[174:175]
	v_mul_f64 v[174:175], v[176:177], v[174:175]
	s_delay_alu instid0(VALU_DEP_2) | instskip(NEXT) | instid1(VALU_DEP_2)
	v_fma_f64 v[184:185], v[176:177], v[172:173], -v[184:185]
	v_fma_f64 v[174:175], v[178:179], v[172:173], v[174:175]
	ds_load_2addr_b64 v[176:179], v186 offset0:2 offset1:3
	s_waitcnt lgkmcnt(0)
	v_mul_f64 v[172:173], v[178:179], v[174:175]
	s_delay_alu instid0(VALU_DEP_1) | instskip(SKIP_1) | instid1(VALU_DEP_2)
	v_fma_f64 v[172:173], v[176:177], v[184:185], -v[172:173]
	v_mul_f64 v[176:177], v[176:177], v[174:175]
	v_add_f64 v[168:169], v[168:169], -v[172:173]
	s_delay_alu instid0(VALU_DEP_2) | instskip(NEXT) | instid1(VALU_DEP_1)
	v_fma_f64 v[176:177], v[178:179], v[184:185], v[176:177]
	v_add_f64 v[170:171], v[170:171], -v[176:177]
	ds_load_2addr_b64 v[176:179], v186 offset0:4 offset1:5
	s_waitcnt lgkmcnt(0)
	v_mul_f64 v[172:173], v[178:179], v[174:175]
	s_delay_alu instid0(VALU_DEP_1) | instskip(SKIP_1) | instid1(VALU_DEP_2)
	v_fma_f64 v[172:173], v[176:177], v[184:185], -v[172:173]
	v_mul_f64 v[176:177], v[176:177], v[174:175]
	v_add_f64 v[164:165], v[164:165], -v[172:173]
	s_delay_alu instid0(VALU_DEP_2) | instskip(NEXT) | instid1(VALU_DEP_1)
	v_fma_f64 v[176:177], v[178:179], v[184:185], v[176:177]
	v_add_f64 v[166:167], v[166:167], -v[176:177]
	;; [unrolled: 10-line block ×42, first 2 shown]
	ds_load_2addr_b64 v[176:179], v186 offset0:86 offset1:87
	s_waitcnt lgkmcnt(0)
	v_mul_f64 v[172:173], v[178:179], v[174:175]
	s_delay_alu instid0(VALU_DEP_1) | instskip(SKIP_1) | instid1(VALU_DEP_2)
	v_fma_f64 v[172:173], v[176:177], v[184:185], -v[172:173]
	v_mul_f64 v[176:177], v[176:177], v[174:175]
	v_add_f64 v[0:1], v[0:1], -v[172:173]
	s_delay_alu instid0(VALU_DEP_2) | instskip(SKIP_1) | instid1(VALU_DEP_2)
	v_fma_f64 v[176:177], v[178:179], v[184:185], v[176:177]
	v_dual_mov_b32 v172, v184 :: v_dual_mov_b32 v173, v185
	v_add_f64 v[2:3], v[2:3], -v[176:177]
.LBB86_22:
	s_or_b32 exec_lo, exec_lo, s2
	v_lshl_add_u32 v176, v192, 4, v186
	s_barrier
	buffer_gl0_inv
	v_mov_b32_e32 v184, 1
	ds_store_2addr_b64 v176, v[168:169], v[170:171] offset1:1
	s_waitcnt lgkmcnt(0)
	s_barrier
	buffer_gl0_inv
	ds_load_2addr_b64 v[176:179], v186 offset0:2 offset1:3
	s_cmp_lt_i32 s5, 3
	s_cbranch_scc1 .LBB86_25
; %bb.23:
	v_add3_u32 v185, v190, 0, 32
	v_mov_b32_e32 v184, 1
	s_mov_b32 s6, 2
	s_set_inst_prefetch_distance 0x1
	.p2align	6
.LBB86_24:                              ; =>This Inner Loop Header: Depth=1
	ds_load_2addr_b64 v[194:197], v185 offset1:1
	s_waitcnt lgkmcnt(1)
	v_cmp_gt_f64_e32 vcc_lo, 0, v[176:177]
	v_xor_b32_e32 v198, 0x80000000, v177
	v_cmp_gt_f64_e64 s2, 0, v[178:179]
	v_xor_b32_e32 v200, 0x80000000, v179
	v_add_nc_u32_e32 v185, 16, v185
	s_waitcnt lgkmcnt(0)
	v_cmp_gt_f64_e64 s3, 0, v[194:195]
	v_mov_b32_e32 v202, v194
	v_dual_mov_b32 v204, v196 :: v_dual_cndmask_b32 v199, v177, v198
	v_xor_b32_e32 v198, 0x80000000, v195
	v_cndmask_b32_e64 v201, v179, v200, s2
	v_xor_b32_e32 v200, 0x80000000, v197
	s_delay_alu instid0(VALU_DEP_3) | instskip(SKIP_2) | instid1(VALU_DEP_2)
	v_cndmask_b32_e64 v203, v195, v198, s3
	v_cmp_gt_f64_e64 s3, 0, v[196:197]
	v_cndmask_b32_e32 v198, v176, v176, vcc_lo
	v_cndmask_b32_e64 v205, v197, v200, s3
	v_cndmask_b32_e64 v200, v178, v178, s2
	s_delay_alu instid0(VALU_DEP_2) | instskip(NEXT) | instid1(VALU_DEP_2)
	v_add_f64 v[202:203], v[202:203], v[204:205]
	v_add_f64 v[198:199], v[198:199], v[200:201]
	s_delay_alu instid0(VALU_DEP_1)
	v_cmp_lt_f64_e32 vcc_lo, v[198:199], v[202:203]
	v_cndmask_b32_e32 v179, v179, v197, vcc_lo
	v_dual_cndmask_b32 v177, v177, v195 :: v_dual_cndmask_b32 v176, v176, v194
	v_cndmask_b32_e32 v178, v178, v196, vcc_lo
	v_cndmask_b32_e64 v184, v184, s6, vcc_lo
	s_add_i32 s6, s6, 1
	s_delay_alu instid0(SALU_CYCLE_1)
	s_cmp_lg_u32 s5, s6
	s_cbranch_scc1 .LBB86_24
.LBB86_25:
	s_set_inst_prefetch_distance 0x2
	s_waitcnt lgkmcnt(0)
	v_cmp_neq_f64_e32 vcc_lo, 0, v[176:177]
	v_cmp_neq_f64_e64 s2, 0, v[178:179]
	s_delay_alu instid0(VALU_DEP_1) | instskip(NEXT) | instid1(SALU_CYCLE_1)
	s_or_b32 s2, vcc_lo, s2
	s_and_saveexec_b32 s3, s2
	s_cbranch_execz .LBB86_31
; %bb.26:
	v_cmp_gt_f64_e32 vcc_lo, 0, v[176:177]
	v_cmp_gt_f64_e64 s2, 0, v[178:179]
	v_xor_b32_e32 v185, 0x80000000, v177
	v_xor_b32_e32 v189, 0x80000000, v179
	s_delay_alu instid0(VALU_DEP_2) | instskip(NEXT) | instid1(VALU_DEP_2)
	v_dual_cndmask_b32 v195, v177, v185 :: v_dual_cndmask_b32 v194, v176, v176
	v_cndmask_b32_e64 v197, v179, v189, s2
	v_cndmask_b32_e64 v196, v178, v178, s2
	s_mov_b32 s2, exec_lo
	s_delay_alu instid0(VALU_DEP_1)
	v_cmpx_ngt_f64_e32 v[194:195], v[196:197]
	s_xor_b32 s2, exec_lo, s2
	s_cbranch_execz .LBB86_28
; %bb.27:
	v_div_scale_f64 v[194:195], null, v[178:179], v[178:179], v[176:177]
	v_div_scale_f64 v[200:201], vcc_lo, v[176:177], v[178:179], v[176:177]
	s_delay_alu instid0(VALU_DEP_2) | instskip(SKIP_2) | instid1(VALU_DEP_1)
	v_rcp_f64_e32 v[196:197], v[194:195]
	s_waitcnt_depctr 0xfff
	v_fma_f64 v[198:199], -v[194:195], v[196:197], 1.0
	v_fma_f64 v[196:197], v[196:197], v[198:199], v[196:197]
	s_delay_alu instid0(VALU_DEP_1) | instskip(NEXT) | instid1(VALU_DEP_1)
	v_fma_f64 v[198:199], -v[194:195], v[196:197], 1.0
	v_fma_f64 v[196:197], v[196:197], v[198:199], v[196:197]
	s_delay_alu instid0(VALU_DEP_1) | instskip(NEXT) | instid1(VALU_DEP_1)
	v_mul_f64 v[198:199], v[200:201], v[196:197]
	v_fma_f64 v[194:195], -v[194:195], v[198:199], v[200:201]
	s_delay_alu instid0(VALU_DEP_1) | instskip(NEXT) | instid1(VALU_DEP_1)
	v_div_fmas_f64 v[194:195], v[194:195], v[196:197], v[198:199]
	v_div_fixup_f64 v[194:195], v[194:195], v[178:179], v[176:177]
	s_delay_alu instid0(VALU_DEP_1) | instskip(NEXT) | instid1(VALU_DEP_1)
	v_fma_f64 v[176:177], v[176:177], v[194:195], v[178:179]
	v_div_scale_f64 v[178:179], null, v[176:177], v[176:177], 1.0
	s_delay_alu instid0(VALU_DEP_1) | instskip(SKIP_2) | instid1(VALU_DEP_1)
	v_rcp_f64_e32 v[196:197], v[178:179]
	s_waitcnt_depctr 0xfff
	v_fma_f64 v[198:199], -v[178:179], v[196:197], 1.0
	v_fma_f64 v[196:197], v[196:197], v[198:199], v[196:197]
	s_delay_alu instid0(VALU_DEP_1) | instskip(NEXT) | instid1(VALU_DEP_1)
	v_fma_f64 v[198:199], -v[178:179], v[196:197], 1.0
	v_fma_f64 v[196:197], v[196:197], v[198:199], v[196:197]
	v_div_scale_f64 v[198:199], vcc_lo, 1.0, v[176:177], 1.0
	s_delay_alu instid0(VALU_DEP_1) | instskip(NEXT) | instid1(VALU_DEP_1)
	v_mul_f64 v[200:201], v[198:199], v[196:197]
	v_fma_f64 v[178:179], -v[178:179], v[200:201], v[198:199]
	s_delay_alu instid0(VALU_DEP_1) | instskip(NEXT) | instid1(VALU_DEP_1)
	v_div_fmas_f64 v[178:179], v[178:179], v[196:197], v[200:201]
	v_div_fixup_f64 v[178:179], v[178:179], v[176:177], 1.0
	s_delay_alu instid0(VALU_DEP_1)
	v_mul_f64 v[176:177], v[194:195], v[178:179]
	v_xor_b32_e32 v179, 0x80000000, v179
.LBB86_28:
	s_and_not1_saveexec_b32 s2, s2
	s_cbranch_execz .LBB86_30
; %bb.29:
	s_delay_alu instid0(VALU_DEP_1) | instskip(SKIP_1) | instid1(VALU_DEP_2)
	v_div_scale_f64 v[194:195], null, v[176:177], v[176:177], v[178:179]
	v_div_scale_f64 v[200:201], vcc_lo, v[178:179], v[176:177], v[178:179]
	v_rcp_f64_e32 v[196:197], v[194:195]
	s_waitcnt_depctr 0xfff
	v_fma_f64 v[198:199], -v[194:195], v[196:197], 1.0
	s_delay_alu instid0(VALU_DEP_1) | instskip(NEXT) | instid1(VALU_DEP_1)
	v_fma_f64 v[196:197], v[196:197], v[198:199], v[196:197]
	v_fma_f64 v[198:199], -v[194:195], v[196:197], 1.0
	s_delay_alu instid0(VALU_DEP_1) | instskip(NEXT) | instid1(VALU_DEP_1)
	v_fma_f64 v[196:197], v[196:197], v[198:199], v[196:197]
	v_mul_f64 v[198:199], v[200:201], v[196:197]
	s_delay_alu instid0(VALU_DEP_1) | instskip(NEXT) | instid1(VALU_DEP_1)
	v_fma_f64 v[194:195], -v[194:195], v[198:199], v[200:201]
	v_div_fmas_f64 v[194:195], v[194:195], v[196:197], v[198:199]
	s_delay_alu instid0(VALU_DEP_1) | instskip(NEXT) | instid1(VALU_DEP_1)
	v_div_fixup_f64 v[194:195], v[194:195], v[176:177], v[178:179]
	v_fma_f64 v[176:177], v[178:179], v[194:195], v[176:177]
	s_delay_alu instid0(VALU_DEP_1) | instskip(NEXT) | instid1(VALU_DEP_1)
	v_div_scale_f64 v[178:179], null, v[176:177], v[176:177], 1.0
	v_rcp_f64_e32 v[196:197], v[178:179]
	s_waitcnt_depctr 0xfff
	v_fma_f64 v[198:199], -v[178:179], v[196:197], 1.0
	s_delay_alu instid0(VALU_DEP_1) | instskip(NEXT) | instid1(VALU_DEP_1)
	v_fma_f64 v[196:197], v[196:197], v[198:199], v[196:197]
	v_fma_f64 v[198:199], -v[178:179], v[196:197], 1.0
	s_delay_alu instid0(VALU_DEP_1) | instskip(SKIP_1) | instid1(VALU_DEP_1)
	v_fma_f64 v[196:197], v[196:197], v[198:199], v[196:197]
	v_div_scale_f64 v[198:199], vcc_lo, 1.0, v[176:177], 1.0
	v_mul_f64 v[200:201], v[198:199], v[196:197]
	s_delay_alu instid0(VALU_DEP_1) | instskip(NEXT) | instid1(VALU_DEP_1)
	v_fma_f64 v[178:179], -v[178:179], v[200:201], v[198:199]
	v_div_fmas_f64 v[178:179], v[178:179], v[196:197], v[200:201]
	s_delay_alu instid0(VALU_DEP_1) | instskip(NEXT) | instid1(VALU_DEP_1)
	v_div_fixup_f64 v[176:177], v[178:179], v[176:177], 1.0
	v_mul_f64 v[178:179], v[194:195], -v[176:177]
.LBB86_30:
	s_or_b32 exec_lo, exec_lo, s2
	v_mov_b32_e32 v189, v193
.LBB86_31:
	s_or_b32 exec_lo, exec_lo, s3
	s_delay_alu instid0(SALU_CYCLE_1)
	s_mov_b32 s2, exec_lo
	v_cmpx_ne_u32_e64 v192, v184
	s_xor_b32 s2, exec_lo, s2
	s_cbranch_execz .LBB86_37
; %bb.32:
	s_mov_b32 s3, exec_lo
	v_cmpx_eq_u32_e32 1, v192
	s_cbranch_execz .LBB86_36
; %bb.33:
	v_cmp_ne_u32_e32 vcc_lo, 1, v184
	s_xor_b32 s6, s4, -1
	s_delay_alu instid0(SALU_CYCLE_1) | instskip(NEXT) | instid1(SALU_CYCLE_1)
	s_and_b32 s7, s6, vcc_lo
	s_and_saveexec_b32 s6, s7
	s_cbranch_execz .LBB86_35
; %bb.34:
	v_ashrrev_i32_e32 v185, 31, v184
	s_delay_alu instid0(VALU_DEP_1) | instskip(NEXT) | instid1(VALU_DEP_1)
	v_lshlrev_b64 v[191:192], 2, v[184:185]
	v_add_co_u32 v191, vcc_lo, v182, v191
	s_delay_alu instid0(VALU_DEP_2)
	v_add_co_ci_u32_e32 v192, vcc_lo, v183, v192, vcc_lo
	s_clause 0x1
	flat_load_b32 v185, v[191:192]
	flat_load_b32 v193, v[182:183] offset:4
	s_waitcnt vmcnt(1) lgkmcnt(1)
	flat_store_b32 v[182:183], v185 offset:4
	s_waitcnt vmcnt(0) lgkmcnt(1)
	flat_store_b32 v[191:192], v193
.LBB86_35:
	s_or_b32 exec_lo, exec_lo, s6
	v_mov_b32_e32 v192, v184
	v_mov_b32_e32 v191, v184
.LBB86_36:
	s_or_b32 exec_lo, exec_lo, s3
.LBB86_37:
	s_and_not1_saveexec_b32 s2, s2
	s_cbranch_execz .LBB86_39
; %bb.38:
	v_mov_b32_e32 v192, 1
	ds_store_2addr_b64 v186, v[164:165], v[166:167] offset0:4 offset1:5
	ds_store_2addr_b64 v186, v[160:161], v[162:163] offset0:6 offset1:7
	;; [unrolled: 1-line block ×42, first 2 shown]
.LBB86_39:
	s_or_b32 exec_lo, exec_lo, s2
	s_delay_alu instid0(SALU_CYCLE_1)
	s_mov_b32 s2, exec_lo
	s_waitcnt lgkmcnt(0)
	s_waitcnt_vscnt null, 0x0
	s_barrier
	buffer_gl0_inv
	v_cmpx_lt_i32_e32 1, v192
	s_cbranch_execz .LBB86_41
; %bb.40:
	v_mul_f64 v[184:185], v[178:179], v[170:171]
	v_mul_f64 v[170:171], v[176:177], v[170:171]
	s_delay_alu instid0(VALU_DEP_2) | instskip(NEXT) | instid1(VALU_DEP_2)
	v_fma_f64 v[184:185], v[176:177], v[168:169], -v[184:185]
	v_fma_f64 v[170:171], v[178:179], v[168:169], v[170:171]
	ds_load_2addr_b64 v[176:179], v186 offset0:4 offset1:5
	s_waitcnt lgkmcnt(0)
	v_mul_f64 v[168:169], v[178:179], v[170:171]
	s_delay_alu instid0(VALU_DEP_1) | instskip(SKIP_1) | instid1(VALU_DEP_2)
	v_fma_f64 v[168:169], v[176:177], v[184:185], -v[168:169]
	v_mul_f64 v[176:177], v[176:177], v[170:171]
	v_add_f64 v[164:165], v[164:165], -v[168:169]
	s_delay_alu instid0(VALU_DEP_2) | instskip(NEXT) | instid1(VALU_DEP_1)
	v_fma_f64 v[176:177], v[178:179], v[184:185], v[176:177]
	v_add_f64 v[166:167], v[166:167], -v[176:177]
	ds_load_2addr_b64 v[176:179], v186 offset0:6 offset1:7
	s_waitcnt lgkmcnt(0)
	v_mul_f64 v[168:169], v[178:179], v[170:171]
	s_delay_alu instid0(VALU_DEP_1) | instskip(SKIP_1) | instid1(VALU_DEP_2)
	v_fma_f64 v[168:169], v[176:177], v[184:185], -v[168:169]
	v_mul_f64 v[176:177], v[176:177], v[170:171]
	v_add_f64 v[160:161], v[160:161], -v[168:169]
	s_delay_alu instid0(VALU_DEP_2) | instskip(NEXT) | instid1(VALU_DEP_1)
	v_fma_f64 v[176:177], v[178:179], v[184:185], v[176:177]
	v_add_f64 v[162:163], v[162:163], -v[176:177]
	;; [unrolled: 10-line block ×41, first 2 shown]
	ds_load_2addr_b64 v[176:179], v186 offset0:86 offset1:87
	s_waitcnt lgkmcnt(0)
	v_mul_f64 v[168:169], v[178:179], v[170:171]
	s_delay_alu instid0(VALU_DEP_1) | instskip(SKIP_1) | instid1(VALU_DEP_2)
	v_fma_f64 v[168:169], v[176:177], v[184:185], -v[168:169]
	v_mul_f64 v[176:177], v[176:177], v[170:171]
	v_add_f64 v[0:1], v[0:1], -v[168:169]
	s_delay_alu instid0(VALU_DEP_2) | instskip(SKIP_1) | instid1(VALU_DEP_2)
	v_fma_f64 v[176:177], v[178:179], v[184:185], v[176:177]
	v_dual_mov_b32 v168, v184 :: v_dual_mov_b32 v169, v185
	v_add_f64 v[2:3], v[2:3], -v[176:177]
.LBB86_41:
	s_or_b32 exec_lo, exec_lo, s2
	v_lshl_add_u32 v176, v192, 4, v186
	s_barrier
	buffer_gl0_inv
	v_mov_b32_e32 v184, 2
	ds_store_2addr_b64 v176, v[164:165], v[166:167] offset1:1
	s_waitcnt lgkmcnt(0)
	s_barrier
	buffer_gl0_inv
	ds_load_2addr_b64 v[176:179], v186 offset0:4 offset1:5
	s_cmp_lt_i32 s5, 4
	s_cbranch_scc1 .LBB86_44
; %bb.42:
	v_add3_u32 v185, v190, 0, 48
	v_mov_b32_e32 v184, 2
	s_mov_b32 s6, 3
	s_set_inst_prefetch_distance 0x1
	.p2align	6
.LBB86_43:                              ; =>This Inner Loop Header: Depth=1
	ds_load_2addr_b64 v[193:196], v185 offset1:1
	s_waitcnt lgkmcnt(1)
	v_cmp_gt_f64_e32 vcc_lo, 0, v[176:177]
	v_xor_b32_e32 v197, 0x80000000, v177
	v_cmp_gt_f64_e64 s2, 0, v[178:179]
	v_xor_b32_e32 v199, 0x80000000, v179
	v_add_nc_u32_e32 v185, 16, v185
	s_waitcnt lgkmcnt(0)
	v_cmp_gt_f64_e64 s3, 0, v[193:194]
	v_mov_b32_e32 v201, v193
	v_dual_mov_b32 v203, v195 :: v_dual_cndmask_b32 v198, v177, v197
	v_xor_b32_e32 v197, 0x80000000, v194
	v_cndmask_b32_e64 v200, v179, v199, s2
	v_xor_b32_e32 v199, 0x80000000, v196
	s_delay_alu instid0(VALU_DEP_3) | instskip(SKIP_2) | instid1(VALU_DEP_2)
	v_cndmask_b32_e64 v202, v194, v197, s3
	v_cmp_gt_f64_e64 s3, 0, v[195:196]
	v_cndmask_b32_e32 v197, v176, v176, vcc_lo
	v_cndmask_b32_e64 v204, v196, v199, s3
	v_cndmask_b32_e64 v199, v178, v178, s2
	s_delay_alu instid0(VALU_DEP_2) | instskip(NEXT) | instid1(VALU_DEP_2)
	v_add_f64 v[201:202], v[201:202], v[203:204]
	v_add_f64 v[197:198], v[197:198], v[199:200]
	s_delay_alu instid0(VALU_DEP_1) | instskip(SKIP_4) | instid1(SALU_CYCLE_1)
	v_cmp_lt_f64_e32 vcc_lo, v[197:198], v[201:202]
	v_dual_cndmask_b32 v178, v178, v195 :: v_dual_cndmask_b32 v177, v177, v194
	v_dual_cndmask_b32 v176, v176, v193 :: v_dual_cndmask_b32 v179, v179, v196
	v_cndmask_b32_e64 v184, v184, s6, vcc_lo
	s_add_i32 s6, s6, 1
	s_cmp_lg_u32 s5, s6
	s_cbranch_scc1 .LBB86_43
.LBB86_44:
	s_set_inst_prefetch_distance 0x2
	s_waitcnt lgkmcnt(0)
	v_cmp_eq_f64_e32 vcc_lo, 0, v[176:177]
	v_cmp_eq_f64_e64 s2, 0, v[178:179]
	s_delay_alu instid0(VALU_DEP_1) | instskip(NEXT) | instid1(SALU_CYCLE_1)
	s_and_b32 s2, vcc_lo, s2
	s_and_saveexec_b32 s3, s2
	s_delay_alu instid0(SALU_CYCLE_1)
	s_xor_b32 s2, exec_lo, s3
; %bb.45:
	v_cmp_ne_u32_e32 vcc_lo, 0, v189
	v_cndmask_b32_e32 v189, 3, v189, vcc_lo
; %bb.46:
	s_and_not1_saveexec_b32 s3, s2
	s_cbranch_execz .LBB86_52
; %bb.47:
	v_cmp_gt_f64_e32 vcc_lo, 0, v[176:177]
	v_cmp_gt_f64_e64 s2, 0, v[178:179]
	v_xor_b32_e32 v185, 0x80000000, v177
	v_xor_b32_e32 v193, 0x80000000, v179
	s_delay_alu instid0(VALU_DEP_2) | instskip(NEXT) | instid1(VALU_DEP_2)
	v_cndmask_b32_e32 v194, v177, v185, vcc_lo
	v_cndmask_b32_e64 v196, v179, v193, s2
	v_cndmask_b32_e32 v193, v176, v176, vcc_lo
	v_cndmask_b32_e64 v195, v178, v178, s2
	s_mov_b32 s2, exec_lo
	s_delay_alu instid0(VALU_DEP_1)
	v_cmpx_ngt_f64_e32 v[193:194], v[195:196]
	s_xor_b32 s2, exec_lo, s2
	s_cbranch_execz .LBB86_49
; %bb.48:
	v_div_scale_f64 v[193:194], null, v[178:179], v[178:179], v[176:177]
	v_div_scale_f64 v[199:200], vcc_lo, v[176:177], v[178:179], v[176:177]
	s_delay_alu instid0(VALU_DEP_2) | instskip(SKIP_2) | instid1(VALU_DEP_1)
	v_rcp_f64_e32 v[195:196], v[193:194]
	s_waitcnt_depctr 0xfff
	v_fma_f64 v[197:198], -v[193:194], v[195:196], 1.0
	v_fma_f64 v[195:196], v[195:196], v[197:198], v[195:196]
	s_delay_alu instid0(VALU_DEP_1) | instskip(NEXT) | instid1(VALU_DEP_1)
	v_fma_f64 v[197:198], -v[193:194], v[195:196], 1.0
	v_fma_f64 v[195:196], v[195:196], v[197:198], v[195:196]
	s_delay_alu instid0(VALU_DEP_1) | instskip(NEXT) | instid1(VALU_DEP_1)
	v_mul_f64 v[197:198], v[199:200], v[195:196]
	v_fma_f64 v[193:194], -v[193:194], v[197:198], v[199:200]
	s_delay_alu instid0(VALU_DEP_1) | instskip(NEXT) | instid1(VALU_DEP_1)
	v_div_fmas_f64 v[193:194], v[193:194], v[195:196], v[197:198]
	v_div_fixup_f64 v[193:194], v[193:194], v[178:179], v[176:177]
	s_delay_alu instid0(VALU_DEP_1) | instskip(NEXT) | instid1(VALU_DEP_1)
	v_fma_f64 v[176:177], v[176:177], v[193:194], v[178:179]
	v_div_scale_f64 v[178:179], null, v[176:177], v[176:177], 1.0
	s_delay_alu instid0(VALU_DEP_1) | instskip(SKIP_2) | instid1(VALU_DEP_1)
	v_rcp_f64_e32 v[195:196], v[178:179]
	s_waitcnt_depctr 0xfff
	v_fma_f64 v[197:198], -v[178:179], v[195:196], 1.0
	v_fma_f64 v[195:196], v[195:196], v[197:198], v[195:196]
	s_delay_alu instid0(VALU_DEP_1) | instskip(NEXT) | instid1(VALU_DEP_1)
	v_fma_f64 v[197:198], -v[178:179], v[195:196], 1.0
	v_fma_f64 v[195:196], v[195:196], v[197:198], v[195:196]
	v_div_scale_f64 v[197:198], vcc_lo, 1.0, v[176:177], 1.0
	s_delay_alu instid0(VALU_DEP_1) | instskip(NEXT) | instid1(VALU_DEP_1)
	v_mul_f64 v[199:200], v[197:198], v[195:196]
	v_fma_f64 v[178:179], -v[178:179], v[199:200], v[197:198]
	s_delay_alu instid0(VALU_DEP_1) | instskip(NEXT) | instid1(VALU_DEP_1)
	v_div_fmas_f64 v[178:179], v[178:179], v[195:196], v[199:200]
	v_div_fixup_f64 v[178:179], v[178:179], v[176:177], 1.0
	s_delay_alu instid0(VALU_DEP_1)
	v_mul_f64 v[176:177], v[193:194], v[178:179]
	v_xor_b32_e32 v179, 0x80000000, v179
.LBB86_49:
	s_and_not1_saveexec_b32 s2, s2
	s_cbranch_execz .LBB86_51
; %bb.50:
	s_delay_alu instid0(VALU_DEP_1) | instskip(SKIP_1) | instid1(VALU_DEP_2)
	v_div_scale_f64 v[193:194], null, v[176:177], v[176:177], v[178:179]
	v_div_scale_f64 v[199:200], vcc_lo, v[178:179], v[176:177], v[178:179]
	v_rcp_f64_e32 v[195:196], v[193:194]
	s_waitcnt_depctr 0xfff
	v_fma_f64 v[197:198], -v[193:194], v[195:196], 1.0
	s_delay_alu instid0(VALU_DEP_1) | instskip(NEXT) | instid1(VALU_DEP_1)
	v_fma_f64 v[195:196], v[195:196], v[197:198], v[195:196]
	v_fma_f64 v[197:198], -v[193:194], v[195:196], 1.0
	s_delay_alu instid0(VALU_DEP_1) | instskip(NEXT) | instid1(VALU_DEP_1)
	v_fma_f64 v[195:196], v[195:196], v[197:198], v[195:196]
	v_mul_f64 v[197:198], v[199:200], v[195:196]
	s_delay_alu instid0(VALU_DEP_1) | instskip(NEXT) | instid1(VALU_DEP_1)
	v_fma_f64 v[193:194], -v[193:194], v[197:198], v[199:200]
	v_div_fmas_f64 v[193:194], v[193:194], v[195:196], v[197:198]
	s_delay_alu instid0(VALU_DEP_1) | instskip(NEXT) | instid1(VALU_DEP_1)
	v_div_fixup_f64 v[193:194], v[193:194], v[176:177], v[178:179]
	v_fma_f64 v[176:177], v[178:179], v[193:194], v[176:177]
	s_delay_alu instid0(VALU_DEP_1) | instskip(NEXT) | instid1(VALU_DEP_1)
	v_div_scale_f64 v[178:179], null, v[176:177], v[176:177], 1.0
	v_rcp_f64_e32 v[195:196], v[178:179]
	s_waitcnt_depctr 0xfff
	v_fma_f64 v[197:198], -v[178:179], v[195:196], 1.0
	s_delay_alu instid0(VALU_DEP_1) | instskip(NEXT) | instid1(VALU_DEP_1)
	v_fma_f64 v[195:196], v[195:196], v[197:198], v[195:196]
	v_fma_f64 v[197:198], -v[178:179], v[195:196], 1.0
	s_delay_alu instid0(VALU_DEP_1) | instskip(SKIP_1) | instid1(VALU_DEP_1)
	v_fma_f64 v[195:196], v[195:196], v[197:198], v[195:196]
	v_div_scale_f64 v[197:198], vcc_lo, 1.0, v[176:177], 1.0
	v_mul_f64 v[199:200], v[197:198], v[195:196]
	s_delay_alu instid0(VALU_DEP_1) | instskip(NEXT) | instid1(VALU_DEP_1)
	v_fma_f64 v[178:179], -v[178:179], v[199:200], v[197:198]
	v_div_fmas_f64 v[178:179], v[178:179], v[195:196], v[199:200]
	s_delay_alu instid0(VALU_DEP_1) | instskip(NEXT) | instid1(VALU_DEP_1)
	v_div_fixup_f64 v[176:177], v[178:179], v[176:177], 1.0
	v_mul_f64 v[178:179], v[193:194], -v[176:177]
.LBB86_51:
	s_or_b32 exec_lo, exec_lo, s2
.LBB86_52:
	s_delay_alu instid0(SALU_CYCLE_1) | instskip(NEXT) | instid1(SALU_CYCLE_1)
	s_or_b32 exec_lo, exec_lo, s3
	s_mov_b32 s2, exec_lo
	v_cmpx_ne_u32_e64 v192, v184
	s_xor_b32 s2, exec_lo, s2
	s_cbranch_execz .LBB86_58
; %bb.53:
	s_mov_b32 s3, exec_lo
	v_cmpx_eq_u32_e32 2, v192
	s_cbranch_execz .LBB86_57
; %bb.54:
	v_cmp_ne_u32_e32 vcc_lo, 2, v184
	s_xor_b32 s6, s4, -1
	s_delay_alu instid0(SALU_CYCLE_1) | instskip(NEXT) | instid1(SALU_CYCLE_1)
	s_and_b32 s7, s6, vcc_lo
	s_and_saveexec_b32 s6, s7
	s_cbranch_execz .LBB86_56
; %bb.55:
	v_ashrrev_i32_e32 v185, 31, v184
	s_delay_alu instid0(VALU_DEP_1) | instskip(NEXT) | instid1(VALU_DEP_1)
	v_lshlrev_b64 v[191:192], 2, v[184:185]
	v_add_co_u32 v191, vcc_lo, v182, v191
	s_delay_alu instid0(VALU_DEP_2)
	v_add_co_ci_u32_e32 v192, vcc_lo, v183, v192, vcc_lo
	s_clause 0x1
	flat_load_b32 v185, v[191:192]
	flat_load_b32 v193, v[182:183] offset:8
	s_waitcnt vmcnt(1) lgkmcnt(1)
	flat_store_b32 v[182:183], v185 offset:8
	s_waitcnt vmcnt(0) lgkmcnt(1)
	flat_store_b32 v[191:192], v193
.LBB86_56:
	s_or_b32 exec_lo, exec_lo, s6
	v_mov_b32_e32 v192, v184
	v_mov_b32_e32 v191, v184
.LBB86_57:
	s_or_b32 exec_lo, exec_lo, s3
.LBB86_58:
	s_and_not1_saveexec_b32 s2, s2
	s_cbranch_execz .LBB86_60
; %bb.59:
	v_mov_b32_e32 v192, 2
	ds_store_2addr_b64 v186, v[160:161], v[162:163] offset0:6 offset1:7
	ds_store_2addr_b64 v186, v[156:157], v[158:159] offset0:8 offset1:9
	;; [unrolled: 1-line block ×41, first 2 shown]
.LBB86_60:
	s_or_b32 exec_lo, exec_lo, s2
	s_delay_alu instid0(SALU_CYCLE_1)
	s_mov_b32 s2, exec_lo
	s_waitcnt lgkmcnt(0)
	s_waitcnt_vscnt null, 0x0
	s_barrier
	buffer_gl0_inv
	v_cmpx_lt_i32_e32 2, v192
	s_cbranch_execz .LBB86_62
; %bb.61:
	v_mul_f64 v[184:185], v[178:179], v[166:167]
	v_mul_f64 v[166:167], v[176:177], v[166:167]
	s_delay_alu instid0(VALU_DEP_2) | instskip(NEXT) | instid1(VALU_DEP_2)
	v_fma_f64 v[184:185], v[176:177], v[164:165], -v[184:185]
	v_fma_f64 v[166:167], v[178:179], v[164:165], v[166:167]
	ds_load_2addr_b64 v[176:179], v186 offset0:6 offset1:7
	s_waitcnt lgkmcnt(0)
	v_mul_f64 v[164:165], v[178:179], v[166:167]
	s_delay_alu instid0(VALU_DEP_1) | instskip(SKIP_1) | instid1(VALU_DEP_2)
	v_fma_f64 v[164:165], v[176:177], v[184:185], -v[164:165]
	v_mul_f64 v[176:177], v[176:177], v[166:167]
	v_add_f64 v[160:161], v[160:161], -v[164:165]
	s_delay_alu instid0(VALU_DEP_2) | instskip(NEXT) | instid1(VALU_DEP_1)
	v_fma_f64 v[176:177], v[178:179], v[184:185], v[176:177]
	v_add_f64 v[162:163], v[162:163], -v[176:177]
	ds_load_2addr_b64 v[176:179], v186 offset0:8 offset1:9
	s_waitcnt lgkmcnt(0)
	v_mul_f64 v[164:165], v[178:179], v[166:167]
	s_delay_alu instid0(VALU_DEP_1) | instskip(SKIP_1) | instid1(VALU_DEP_2)
	v_fma_f64 v[164:165], v[176:177], v[184:185], -v[164:165]
	v_mul_f64 v[176:177], v[176:177], v[166:167]
	v_add_f64 v[156:157], v[156:157], -v[164:165]
	s_delay_alu instid0(VALU_DEP_2) | instskip(NEXT) | instid1(VALU_DEP_1)
	v_fma_f64 v[176:177], v[178:179], v[184:185], v[176:177]
	v_add_f64 v[158:159], v[158:159], -v[176:177]
	;; [unrolled: 10-line block ×40, first 2 shown]
	ds_load_2addr_b64 v[176:179], v186 offset0:86 offset1:87
	s_waitcnt lgkmcnt(0)
	v_mul_f64 v[164:165], v[178:179], v[166:167]
	s_delay_alu instid0(VALU_DEP_1) | instskip(SKIP_1) | instid1(VALU_DEP_2)
	v_fma_f64 v[164:165], v[176:177], v[184:185], -v[164:165]
	v_mul_f64 v[176:177], v[176:177], v[166:167]
	v_add_f64 v[0:1], v[0:1], -v[164:165]
	s_delay_alu instid0(VALU_DEP_2) | instskip(SKIP_1) | instid1(VALU_DEP_2)
	v_fma_f64 v[176:177], v[178:179], v[184:185], v[176:177]
	v_dual_mov_b32 v164, v184 :: v_dual_mov_b32 v165, v185
	v_add_f64 v[2:3], v[2:3], -v[176:177]
.LBB86_62:
	s_or_b32 exec_lo, exec_lo, s2
	v_lshl_add_u32 v176, v192, 4, v186
	s_barrier
	buffer_gl0_inv
	v_mov_b32_e32 v184, 3
	ds_store_2addr_b64 v176, v[160:161], v[162:163] offset1:1
	s_waitcnt lgkmcnt(0)
	s_barrier
	buffer_gl0_inv
	ds_load_2addr_b64 v[176:179], v186 offset0:6 offset1:7
	s_cmp_lt_i32 s5, 5
	s_mov_b32 s6, 4
	s_cbranch_scc1 .LBB86_65
; %bb.63:
	v_add3_u32 v185, v190, 0, 64
	v_mov_b32_e32 v184, 3
	s_set_inst_prefetch_distance 0x1
	.p2align	6
.LBB86_64:                              ; =>This Inner Loop Header: Depth=1
	ds_load_2addr_b64 v[193:196], v185 offset1:1
	s_waitcnt lgkmcnt(1)
	v_cmp_gt_f64_e32 vcc_lo, 0, v[176:177]
	v_xor_b32_e32 v197, 0x80000000, v177
	v_cmp_gt_f64_e64 s2, 0, v[178:179]
	v_xor_b32_e32 v199, 0x80000000, v179
	v_add_nc_u32_e32 v185, 16, v185
	s_waitcnt lgkmcnt(0)
	v_cmp_gt_f64_e64 s3, 0, v[193:194]
	v_mov_b32_e32 v201, v193
	v_dual_mov_b32 v203, v195 :: v_dual_cndmask_b32 v198, v177, v197
	v_xor_b32_e32 v197, 0x80000000, v194
	v_cndmask_b32_e64 v200, v179, v199, s2
	v_xor_b32_e32 v199, 0x80000000, v196
	s_delay_alu instid0(VALU_DEP_3) | instskip(SKIP_2) | instid1(VALU_DEP_2)
	v_cndmask_b32_e64 v202, v194, v197, s3
	v_cmp_gt_f64_e64 s3, 0, v[195:196]
	v_cndmask_b32_e32 v197, v176, v176, vcc_lo
	v_cndmask_b32_e64 v204, v196, v199, s3
	v_cndmask_b32_e64 v199, v178, v178, s2
	s_delay_alu instid0(VALU_DEP_2) | instskip(NEXT) | instid1(VALU_DEP_2)
	v_add_f64 v[201:202], v[201:202], v[203:204]
	v_add_f64 v[197:198], v[197:198], v[199:200]
	s_delay_alu instid0(VALU_DEP_1) | instskip(SKIP_4) | instid1(SALU_CYCLE_1)
	v_cmp_lt_f64_e32 vcc_lo, v[197:198], v[201:202]
	v_dual_cndmask_b32 v178, v178, v195 :: v_dual_cndmask_b32 v177, v177, v194
	v_dual_cndmask_b32 v176, v176, v193 :: v_dual_cndmask_b32 v179, v179, v196
	v_cndmask_b32_e64 v184, v184, s6, vcc_lo
	s_add_i32 s6, s6, 1
	s_cmp_lg_u32 s5, s6
	s_cbranch_scc1 .LBB86_64
.LBB86_65:
	s_set_inst_prefetch_distance 0x2
	s_waitcnt lgkmcnt(0)
	v_cmp_eq_f64_e32 vcc_lo, 0, v[176:177]
	v_cmp_eq_f64_e64 s2, 0, v[178:179]
	s_delay_alu instid0(VALU_DEP_1) | instskip(NEXT) | instid1(SALU_CYCLE_1)
	s_and_b32 s2, vcc_lo, s2
	s_and_saveexec_b32 s3, s2
	s_delay_alu instid0(SALU_CYCLE_1)
	s_xor_b32 s2, exec_lo, s3
; %bb.66:
	v_cmp_ne_u32_e32 vcc_lo, 0, v189
	v_cndmask_b32_e32 v189, 4, v189, vcc_lo
; %bb.67:
	s_and_not1_saveexec_b32 s3, s2
	s_cbranch_execz .LBB86_73
; %bb.68:
	v_cmp_gt_f64_e32 vcc_lo, 0, v[176:177]
	v_cmp_gt_f64_e64 s2, 0, v[178:179]
	v_xor_b32_e32 v185, 0x80000000, v177
	v_xor_b32_e32 v193, 0x80000000, v179
	s_delay_alu instid0(VALU_DEP_2) | instskip(NEXT) | instid1(VALU_DEP_2)
	v_cndmask_b32_e32 v194, v177, v185, vcc_lo
	v_cndmask_b32_e64 v196, v179, v193, s2
	v_cndmask_b32_e32 v193, v176, v176, vcc_lo
	v_cndmask_b32_e64 v195, v178, v178, s2
	s_mov_b32 s2, exec_lo
	s_delay_alu instid0(VALU_DEP_1)
	v_cmpx_ngt_f64_e32 v[193:194], v[195:196]
	s_xor_b32 s2, exec_lo, s2
	s_cbranch_execz .LBB86_70
; %bb.69:
	v_div_scale_f64 v[193:194], null, v[178:179], v[178:179], v[176:177]
	v_div_scale_f64 v[199:200], vcc_lo, v[176:177], v[178:179], v[176:177]
	s_delay_alu instid0(VALU_DEP_2) | instskip(SKIP_2) | instid1(VALU_DEP_1)
	v_rcp_f64_e32 v[195:196], v[193:194]
	s_waitcnt_depctr 0xfff
	v_fma_f64 v[197:198], -v[193:194], v[195:196], 1.0
	v_fma_f64 v[195:196], v[195:196], v[197:198], v[195:196]
	s_delay_alu instid0(VALU_DEP_1) | instskip(NEXT) | instid1(VALU_DEP_1)
	v_fma_f64 v[197:198], -v[193:194], v[195:196], 1.0
	v_fma_f64 v[195:196], v[195:196], v[197:198], v[195:196]
	s_delay_alu instid0(VALU_DEP_1) | instskip(NEXT) | instid1(VALU_DEP_1)
	v_mul_f64 v[197:198], v[199:200], v[195:196]
	v_fma_f64 v[193:194], -v[193:194], v[197:198], v[199:200]
	s_delay_alu instid0(VALU_DEP_1) | instskip(NEXT) | instid1(VALU_DEP_1)
	v_div_fmas_f64 v[193:194], v[193:194], v[195:196], v[197:198]
	v_div_fixup_f64 v[193:194], v[193:194], v[178:179], v[176:177]
	s_delay_alu instid0(VALU_DEP_1) | instskip(NEXT) | instid1(VALU_DEP_1)
	v_fma_f64 v[176:177], v[176:177], v[193:194], v[178:179]
	v_div_scale_f64 v[178:179], null, v[176:177], v[176:177], 1.0
	s_delay_alu instid0(VALU_DEP_1) | instskip(SKIP_2) | instid1(VALU_DEP_1)
	v_rcp_f64_e32 v[195:196], v[178:179]
	s_waitcnt_depctr 0xfff
	v_fma_f64 v[197:198], -v[178:179], v[195:196], 1.0
	v_fma_f64 v[195:196], v[195:196], v[197:198], v[195:196]
	s_delay_alu instid0(VALU_DEP_1) | instskip(NEXT) | instid1(VALU_DEP_1)
	v_fma_f64 v[197:198], -v[178:179], v[195:196], 1.0
	v_fma_f64 v[195:196], v[195:196], v[197:198], v[195:196]
	v_div_scale_f64 v[197:198], vcc_lo, 1.0, v[176:177], 1.0
	s_delay_alu instid0(VALU_DEP_1) | instskip(NEXT) | instid1(VALU_DEP_1)
	v_mul_f64 v[199:200], v[197:198], v[195:196]
	v_fma_f64 v[178:179], -v[178:179], v[199:200], v[197:198]
	s_delay_alu instid0(VALU_DEP_1) | instskip(NEXT) | instid1(VALU_DEP_1)
	v_div_fmas_f64 v[178:179], v[178:179], v[195:196], v[199:200]
	v_div_fixup_f64 v[178:179], v[178:179], v[176:177], 1.0
	s_delay_alu instid0(VALU_DEP_1)
	v_mul_f64 v[176:177], v[193:194], v[178:179]
	v_xor_b32_e32 v179, 0x80000000, v179
.LBB86_70:
	s_and_not1_saveexec_b32 s2, s2
	s_cbranch_execz .LBB86_72
; %bb.71:
	s_delay_alu instid0(VALU_DEP_1) | instskip(SKIP_1) | instid1(VALU_DEP_2)
	v_div_scale_f64 v[193:194], null, v[176:177], v[176:177], v[178:179]
	v_div_scale_f64 v[199:200], vcc_lo, v[178:179], v[176:177], v[178:179]
	v_rcp_f64_e32 v[195:196], v[193:194]
	s_waitcnt_depctr 0xfff
	v_fma_f64 v[197:198], -v[193:194], v[195:196], 1.0
	s_delay_alu instid0(VALU_DEP_1) | instskip(NEXT) | instid1(VALU_DEP_1)
	v_fma_f64 v[195:196], v[195:196], v[197:198], v[195:196]
	v_fma_f64 v[197:198], -v[193:194], v[195:196], 1.0
	s_delay_alu instid0(VALU_DEP_1) | instskip(NEXT) | instid1(VALU_DEP_1)
	v_fma_f64 v[195:196], v[195:196], v[197:198], v[195:196]
	v_mul_f64 v[197:198], v[199:200], v[195:196]
	s_delay_alu instid0(VALU_DEP_1) | instskip(NEXT) | instid1(VALU_DEP_1)
	v_fma_f64 v[193:194], -v[193:194], v[197:198], v[199:200]
	v_div_fmas_f64 v[193:194], v[193:194], v[195:196], v[197:198]
	s_delay_alu instid0(VALU_DEP_1) | instskip(NEXT) | instid1(VALU_DEP_1)
	v_div_fixup_f64 v[193:194], v[193:194], v[176:177], v[178:179]
	v_fma_f64 v[176:177], v[178:179], v[193:194], v[176:177]
	s_delay_alu instid0(VALU_DEP_1) | instskip(NEXT) | instid1(VALU_DEP_1)
	v_div_scale_f64 v[178:179], null, v[176:177], v[176:177], 1.0
	v_rcp_f64_e32 v[195:196], v[178:179]
	s_waitcnt_depctr 0xfff
	v_fma_f64 v[197:198], -v[178:179], v[195:196], 1.0
	s_delay_alu instid0(VALU_DEP_1) | instskip(NEXT) | instid1(VALU_DEP_1)
	v_fma_f64 v[195:196], v[195:196], v[197:198], v[195:196]
	v_fma_f64 v[197:198], -v[178:179], v[195:196], 1.0
	s_delay_alu instid0(VALU_DEP_1) | instskip(SKIP_1) | instid1(VALU_DEP_1)
	v_fma_f64 v[195:196], v[195:196], v[197:198], v[195:196]
	v_div_scale_f64 v[197:198], vcc_lo, 1.0, v[176:177], 1.0
	v_mul_f64 v[199:200], v[197:198], v[195:196]
	s_delay_alu instid0(VALU_DEP_1) | instskip(NEXT) | instid1(VALU_DEP_1)
	v_fma_f64 v[178:179], -v[178:179], v[199:200], v[197:198]
	v_div_fmas_f64 v[178:179], v[178:179], v[195:196], v[199:200]
	s_delay_alu instid0(VALU_DEP_1) | instskip(NEXT) | instid1(VALU_DEP_1)
	v_div_fixup_f64 v[176:177], v[178:179], v[176:177], 1.0
	v_mul_f64 v[178:179], v[193:194], -v[176:177]
.LBB86_72:
	s_or_b32 exec_lo, exec_lo, s2
.LBB86_73:
	s_delay_alu instid0(SALU_CYCLE_1) | instskip(NEXT) | instid1(SALU_CYCLE_1)
	s_or_b32 exec_lo, exec_lo, s3
	s_mov_b32 s2, exec_lo
	v_cmpx_ne_u32_e64 v192, v184
	s_xor_b32 s2, exec_lo, s2
	s_cbranch_execz .LBB86_79
; %bb.74:
	s_mov_b32 s3, exec_lo
	v_cmpx_eq_u32_e32 3, v192
	s_cbranch_execz .LBB86_78
; %bb.75:
	v_cmp_ne_u32_e32 vcc_lo, 3, v184
	s_xor_b32 s6, s4, -1
	s_delay_alu instid0(SALU_CYCLE_1) | instskip(NEXT) | instid1(SALU_CYCLE_1)
	s_and_b32 s7, s6, vcc_lo
	s_and_saveexec_b32 s6, s7
	s_cbranch_execz .LBB86_77
; %bb.76:
	v_ashrrev_i32_e32 v185, 31, v184
	s_delay_alu instid0(VALU_DEP_1) | instskip(NEXT) | instid1(VALU_DEP_1)
	v_lshlrev_b64 v[191:192], 2, v[184:185]
	v_add_co_u32 v191, vcc_lo, v182, v191
	s_delay_alu instid0(VALU_DEP_2)
	v_add_co_ci_u32_e32 v192, vcc_lo, v183, v192, vcc_lo
	s_clause 0x1
	flat_load_b32 v185, v[191:192]
	flat_load_b32 v193, v[182:183] offset:12
	s_waitcnt vmcnt(1) lgkmcnt(1)
	flat_store_b32 v[182:183], v185 offset:12
	s_waitcnt vmcnt(0) lgkmcnt(1)
	flat_store_b32 v[191:192], v193
.LBB86_77:
	s_or_b32 exec_lo, exec_lo, s6
	v_mov_b32_e32 v192, v184
	v_mov_b32_e32 v191, v184
.LBB86_78:
	s_or_b32 exec_lo, exec_lo, s3
.LBB86_79:
	s_and_not1_saveexec_b32 s2, s2
	s_cbranch_execz .LBB86_81
; %bb.80:
	v_mov_b32_e32 v192, 3
	ds_store_2addr_b64 v186, v[156:157], v[158:159] offset0:8 offset1:9
	ds_store_2addr_b64 v186, v[152:153], v[154:155] offset0:10 offset1:11
	;; [unrolled: 1-line block ×40, first 2 shown]
.LBB86_81:
	s_or_b32 exec_lo, exec_lo, s2
	s_delay_alu instid0(SALU_CYCLE_1)
	s_mov_b32 s2, exec_lo
	s_waitcnt lgkmcnt(0)
	s_waitcnt_vscnt null, 0x0
	s_barrier
	buffer_gl0_inv
	v_cmpx_lt_i32_e32 3, v192
	s_cbranch_execz .LBB86_83
; %bb.82:
	v_mul_f64 v[184:185], v[178:179], v[162:163]
	v_mul_f64 v[162:163], v[176:177], v[162:163]
	s_delay_alu instid0(VALU_DEP_2) | instskip(NEXT) | instid1(VALU_DEP_2)
	v_fma_f64 v[184:185], v[176:177], v[160:161], -v[184:185]
	v_fma_f64 v[162:163], v[178:179], v[160:161], v[162:163]
	ds_load_2addr_b64 v[176:179], v186 offset0:8 offset1:9
	s_waitcnt lgkmcnt(0)
	v_mul_f64 v[160:161], v[178:179], v[162:163]
	s_delay_alu instid0(VALU_DEP_1) | instskip(SKIP_1) | instid1(VALU_DEP_2)
	v_fma_f64 v[160:161], v[176:177], v[184:185], -v[160:161]
	v_mul_f64 v[176:177], v[176:177], v[162:163]
	v_add_f64 v[156:157], v[156:157], -v[160:161]
	s_delay_alu instid0(VALU_DEP_2) | instskip(NEXT) | instid1(VALU_DEP_1)
	v_fma_f64 v[176:177], v[178:179], v[184:185], v[176:177]
	v_add_f64 v[158:159], v[158:159], -v[176:177]
	ds_load_2addr_b64 v[176:179], v186 offset0:10 offset1:11
	s_waitcnt lgkmcnt(0)
	v_mul_f64 v[160:161], v[178:179], v[162:163]
	s_delay_alu instid0(VALU_DEP_1) | instskip(SKIP_1) | instid1(VALU_DEP_2)
	v_fma_f64 v[160:161], v[176:177], v[184:185], -v[160:161]
	v_mul_f64 v[176:177], v[176:177], v[162:163]
	v_add_f64 v[152:153], v[152:153], -v[160:161]
	s_delay_alu instid0(VALU_DEP_2) | instskip(NEXT) | instid1(VALU_DEP_1)
	v_fma_f64 v[176:177], v[178:179], v[184:185], v[176:177]
	v_add_f64 v[154:155], v[154:155], -v[176:177]
	ds_load_2addr_b64 v[176:179], v186 offset0:12 offset1:13
	s_waitcnt lgkmcnt(0)
	v_mul_f64 v[160:161], v[178:179], v[162:163]
	s_delay_alu instid0(VALU_DEP_1) | instskip(SKIP_1) | instid1(VALU_DEP_2)
	v_fma_f64 v[160:161], v[176:177], v[184:185], -v[160:161]
	v_mul_f64 v[176:177], v[176:177], v[162:163]
	v_add_f64 v[148:149], v[148:149], -v[160:161]
	s_delay_alu instid0(VALU_DEP_2) | instskip(NEXT) | instid1(VALU_DEP_1)
	v_fma_f64 v[176:177], v[178:179], v[184:185], v[176:177]
	v_add_f64 v[150:151], v[150:151], -v[176:177]
	ds_load_2addr_b64 v[176:179], v186 offset0:14 offset1:15
	s_waitcnt lgkmcnt(0)
	v_mul_f64 v[160:161], v[178:179], v[162:163]
	s_delay_alu instid0(VALU_DEP_1) | instskip(SKIP_1) | instid1(VALU_DEP_2)
	v_fma_f64 v[160:161], v[176:177], v[184:185], -v[160:161]
	v_mul_f64 v[176:177], v[176:177], v[162:163]
	v_add_f64 v[144:145], v[144:145], -v[160:161]
	s_delay_alu instid0(VALU_DEP_2) | instskip(NEXT) | instid1(VALU_DEP_1)
	v_fma_f64 v[176:177], v[178:179], v[184:185], v[176:177]
	v_add_f64 v[146:147], v[146:147], -v[176:177]
	ds_load_2addr_b64 v[176:179], v186 offset0:16 offset1:17
	s_waitcnt lgkmcnt(0)
	v_mul_f64 v[160:161], v[178:179], v[162:163]
	s_delay_alu instid0(VALU_DEP_1) | instskip(SKIP_1) | instid1(VALU_DEP_2)
	v_fma_f64 v[160:161], v[176:177], v[184:185], -v[160:161]
	v_mul_f64 v[176:177], v[176:177], v[162:163]
	v_add_f64 v[140:141], v[140:141], -v[160:161]
	s_delay_alu instid0(VALU_DEP_2) | instskip(NEXT) | instid1(VALU_DEP_1)
	v_fma_f64 v[176:177], v[178:179], v[184:185], v[176:177]
	v_add_f64 v[142:143], v[142:143], -v[176:177]
	ds_load_2addr_b64 v[176:179], v186 offset0:18 offset1:19
	s_waitcnt lgkmcnt(0)
	v_mul_f64 v[160:161], v[178:179], v[162:163]
	s_delay_alu instid0(VALU_DEP_1) | instskip(SKIP_1) | instid1(VALU_DEP_2)
	v_fma_f64 v[160:161], v[176:177], v[184:185], -v[160:161]
	v_mul_f64 v[176:177], v[176:177], v[162:163]
	v_add_f64 v[136:137], v[136:137], -v[160:161]
	s_delay_alu instid0(VALU_DEP_2) | instskip(NEXT) | instid1(VALU_DEP_1)
	v_fma_f64 v[176:177], v[178:179], v[184:185], v[176:177]
	v_add_f64 v[138:139], v[138:139], -v[176:177]
	ds_load_2addr_b64 v[176:179], v186 offset0:20 offset1:21
	s_waitcnt lgkmcnt(0)
	v_mul_f64 v[160:161], v[178:179], v[162:163]
	s_delay_alu instid0(VALU_DEP_1) | instskip(SKIP_1) | instid1(VALU_DEP_2)
	v_fma_f64 v[160:161], v[176:177], v[184:185], -v[160:161]
	v_mul_f64 v[176:177], v[176:177], v[162:163]
	v_add_f64 v[132:133], v[132:133], -v[160:161]
	s_delay_alu instid0(VALU_DEP_2) | instskip(NEXT) | instid1(VALU_DEP_1)
	v_fma_f64 v[176:177], v[178:179], v[184:185], v[176:177]
	v_add_f64 v[134:135], v[134:135], -v[176:177]
	ds_load_2addr_b64 v[176:179], v186 offset0:22 offset1:23
	s_waitcnt lgkmcnt(0)
	v_mul_f64 v[160:161], v[178:179], v[162:163]
	s_delay_alu instid0(VALU_DEP_1) | instskip(SKIP_1) | instid1(VALU_DEP_2)
	v_fma_f64 v[160:161], v[176:177], v[184:185], -v[160:161]
	v_mul_f64 v[176:177], v[176:177], v[162:163]
	v_add_f64 v[128:129], v[128:129], -v[160:161]
	s_delay_alu instid0(VALU_DEP_2) | instskip(NEXT) | instid1(VALU_DEP_1)
	v_fma_f64 v[176:177], v[178:179], v[184:185], v[176:177]
	v_add_f64 v[130:131], v[130:131], -v[176:177]
	ds_load_2addr_b64 v[176:179], v186 offset0:24 offset1:25
	s_waitcnt lgkmcnt(0)
	v_mul_f64 v[160:161], v[178:179], v[162:163]
	s_delay_alu instid0(VALU_DEP_1) | instskip(SKIP_1) | instid1(VALU_DEP_2)
	v_fma_f64 v[160:161], v[176:177], v[184:185], -v[160:161]
	v_mul_f64 v[176:177], v[176:177], v[162:163]
	v_add_f64 v[124:125], v[124:125], -v[160:161]
	s_delay_alu instid0(VALU_DEP_2) | instskip(NEXT) | instid1(VALU_DEP_1)
	v_fma_f64 v[176:177], v[178:179], v[184:185], v[176:177]
	v_add_f64 v[126:127], v[126:127], -v[176:177]
	ds_load_2addr_b64 v[176:179], v186 offset0:26 offset1:27
	s_waitcnt lgkmcnt(0)
	v_mul_f64 v[160:161], v[178:179], v[162:163]
	s_delay_alu instid0(VALU_DEP_1) | instskip(SKIP_1) | instid1(VALU_DEP_2)
	v_fma_f64 v[160:161], v[176:177], v[184:185], -v[160:161]
	v_mul_f64 v[176:177], v[176:177], v[162:163]
	v_add_f64 v[120:121], v[120:121], -v[160:161]
	s_delay_alu instid0(VALU_DEP_2) | instskip(NEXT) | instid1(VALU_DEP_1)
	v_fma_f64 v[176:177], v[178:179], v[184:185], v[176:177]
	v_add_f64 v[122:123], v[122:123], -v[176:177]
	ds_load_2addr_b64 v[176:179], v186 offset0:28 offset1:29
	s_waitcnt lgkmcnt(0)
	v_mul_f64 v[160:161], v[178:179], v[162:163]
	s_delay_alu instid0(VALU_DEP_1) | instskip(SKIP_1) | instid1(VALU_DEP_2)
	v_fma_f64 v[160:161], v[176:177], v[184:185], -v[160:161]
	v_mul_f64 v[176:177], v[176:177], v[162:163]
	v_add_f64 v[116:117], v[116:117], -v[160:161]
	s_delay_alu instid0(VALU_DEP_2) | instskip(NEXT) | instid1(VALU_DEP_1)
	v_fma_f64 v[176:177], v[178:179], v[184:185], v[176:177]
	v_add_f64 v[118:119], v[118:119], -v[176:177]
	ds_load_2addr_b64 v[176:179], v186 offset0:30 offset1:31
	s_waitcnt lgkmcnt(0)
	v_mul_f64 v[160:161], v[178:179], v[162:163]
	s_delay_alu instid0(VALU_DEP_1) | instskip(SKIP_1) | instid1(VALU_DEP_2)
	v_fma_f64 v[160:161], v[176:177], v[184:185], -v[160:161]
	v_mul_f64 v[176:177], v[176:177], v[162:163]
	v_add_f64 v[112:113], v[112:113], -v[160:161]
	s_delay_alu instid0(VALU_DEP_2) | instskip(NEXT) | instid1(VALU_DEP_1)
	v_fma_f64 v[176:177], v[178:179], v[184:185], v[176:177]
	v_add_f64 v[114:115], v[114:115], -v[176:177]
	ds_load_2addr_b64 v[176:179], v186 offset0:32 offset1:33
	s_waitcnt lgkmcnt(0)
	v_mul_f64 v[160:161], v[178:179], v[162:163]
	s_delay_alu instid0(VALU_DEP_1) | instskip(SKIP_1) | instid1(VALU_DEP_2)
	v_fma_f64 v[160:161], v[176:177], v[184:185], -v[160:161]
	v_mul_f64 v[176:177], v[176:177], v[162:163]
	v_add_f64 v[108:109], v[108:109], -v[160:161]
	s_delay_alu instid0(VALU_DEP_2) | instskip(NEXT) | instid1(VALU_DEP_1)
	v_fma_f64 v[176:177], v[178:179], v[184:185], v[176:177]
	v_add_f64 v[110:111], v[110:111], -v[176:177]
	ds_load_2addr_b64 v[176:179], v186 offset0:34 offset1:35
	s_waitcnt lgkmcnt(0)
	v_mul_f64 v[160:161], v[178:179], v[162:163]
	s_delay_alu instid0(VALU_DEP_1) | instskip(SKIP_1) | instid1(VALU_DEP_2)
	v_fma_f64 v[160:161], v[176:177], v[184:185], -v[160:161]
	v_mul_f64 v[176:177], v[176:177], v[162:163]
	v_add_f64 v[104:105], v[104:105], -v[160:161]
	s_delay_alu instid0(VALU_DEP_2) | instskip(NEXT) | instid1(VALU_DEP_1)
	v_fma_f64 v[176:177], v[178:179], v[184:185], v[176:177]
	v_add_f64 v[106:107], v[106:107], -v[176:177]
	ds_load_2addr_b64 v[176:179], v186 offset0:36 offset1:37
	s_waitcnt lgkmcnt(0)
	v_mul_f64 v[160:161], v[178:179], v[162:163]
	s_delay_alu instid0(VALU_DEP_1) | instskip(SKIP_1) | instid1(VALU_DEP_2)
	v_fma_f64 v[160:161], v[176:177], v[184:185], -v[160:161]
	v_mul_f64 v[176:177], v[176:177], v[162:163]
	v_add_f64 v[100:101], v[100:101], -v[160:161]
	s_delay_alu instid0(VALU_DEP_2) | instskip(NEXT) | instid1(VALU_DEP_1)
	v_fma_f64 v[176:177], v[178:179], v[184:185], v[176:177]
	v_add_f64 v[102:103], v[102:103], -v[176:177]
	ds_load_2addr_b64 v[176:179], v186 offset0:38 offset1:39
	s_waitcnt lgkmcnt(0)
	v_mul_f64 v[160:161], v[178:179], v[162:163]
	s_delay_alu instid0(VALU_DEP_1) | instskip(SKIP_1) | instid1(VALU_DEP_2)
	v_fma_f64 v[160:161], v[176:177], v[184:185], -v[160:161]
	v_mul_f64 v[176:177], v[176:177], v[162:163]
	v_add_f64 v[96:97], v[96:97], -v[160:161]
	s_delay_alu instid0(VALU_DEP_2) | instskip(NEXT) | instid1(VALU_DEP_1)
	v_fma_f64 v[176:177], v[178:179], v[184:185], v[176:177]
	v_add_f64 v[98:99], v[98:99], -v[176:177]
	ds_load_2addr_b64 v[176:179], v186 offset0:40 offset1:41
	s_waitcnt lgkmcnt(0)
	v_mul_f64 v[160:161], v[178:179], v[162:163]
	s_delay_alu instid0(VALU_DEP_1) | instskip(SKIP_1) | instid1(VALU_DEP_2)
	v_fma_f64 v[160:161], v[176:177], v[184:185], -v[160:161]
	v_mul_f64 v[176:177], v[176:177], v[162:163]
	v_add_f64 v[92:93], v[92:93], -v[160:161]
	s_delay_alu instid0(VALU_DEP_2) | instskip(NEXT) | instid1(VALU_DEP_1)
	v_fma_f64 v[176:177], v[178:179], v[184:185], v[176:177]
	v_add_f64 v[94:95], v[94:95], -v[176:177]
	ds_load_2addr_b64 v[176:179], v186 offset0:42 offset1:43
	s_waitcnt lgkmcnt(0)
	v_mul_f64 v[160:161], v[178:179], v[162:163]
	s_delay_alu instid0(VALU_DEP_1) | instskip(SKIP_1) | instid1(VALU_DEP_2)
	v_fma_f64 v[160:161], v[176:177], v[184:185], -v[160:161]
	v_mul_f64 v[176:177], v[176:177], v[162:163]
	v_add_f64 v[88:89], v[88:89], -v[160:161]
	s_delay_alu instid0(VALU_DEP_2) | instskip(NEXT) | instid1(VALU_DEP_1)
	v_fma_f64 v[176:177], v[178:179], v[184:185], v[176:177]
	v_add_f64 v[90:91], v[90:91], -v[176:177]
	ds_load_2addr_b64 v[176:179], v186 offset0:44 offset1:45
	s_waitcnt lgkmcnt(0)
	v_mul_f64 v[160:161], v[178:179], v[162:163]
	s_delay_alu instid0(VALU_DEP_1) | instskip(SKIP_1) | instid1(VALU_DEP_2)
	v_fma_f64 v[160:161], v[176:177], v[184:185], -v[160:161]
	v_mul_f64 v[176:177], v[176:177], v[162:163]
	v_add_f64 v[84:85], v[84:85], -v[160:161]
	s_delay_alu instid0(VALU_DEP_2) | instskip(NEXT) | instid1(VALU_DEP_1)
	v_fma_f64 v[176:177], v[178:179], v[184:185], v[176:177]
	v_add_f64 v[86:87], v[86:87], -v[176:177]
	ds_load_2addr_b64 v[176:179], v186 offset0:46 offset1:47
	s_waitcnt lgkmcnt(0)
	v_mul_f64 v[160:161], v[178:179], v[162:163]
	s_delay_alu instid0(VALU_DEP_1) | instskip(SKIP_1) | instid1(VALU_DEP_2)
	v_fma_f64 v[160:161], v[176:177], v[184:185], -v[160:161]
	v_mul_f64 v[176:177], v[176:177], v[162:163]
	v_add_f64 v[80:81], v[80:81], -v[160:161]
	s_delay_alu instid0(VALU_DEP_2) | instskip(NEXT) | instid1(VALU_DEP_1)
	v_fma_f64 v[176:177], v[178:179], v[184:185], v[176:177]
	v_add_f64 v[82:83], v[82:83], -v[176:177]
	ds_load_2addr_b64 v[176:179], v186 offset0:48 offset1:49
	s_waitcnt lgkmcnt(0)
	v_mul_f64 v[160:161], v[178:179], v[162:163]
	s_delay_alu instid0(VALU_DEP_1) | instskip(SKIP_1) | instid1(VALU_DEP_2)
	v_fma_f64 v[160:161], v[176:177], v[184:185], -v[160:161]
	v_mul_f64 v[176:177], v[176:177], v[162:163]
	v_add_f64 v[76:77], v[76:77], -v[160:161]
	s_delay_alu instid0(VALU_DEP_2) | instskip(NEXT) | instid1(VALU_DEP_1)
	v_fma_f64 v[176:177], v[178:179], v[184:185], v[176:177]
	v_add_f64 v[78:79], v[78:79], -v[176:177]
	ds_load_2addr_b64 v[176:179], v186 offset0:50 offset1:51
	s_waitcnt lgkmcnt(0)
	v_mul_f64 v[160:161], v[178:179], v[162:163]
	s_delay_alu instid0(VALU_DEP_1) | instskip(SKIP_1) | instid1(VALU_DEP_2)
	v_fma_f64 v[160:161], v[176:177], v[184:185], -v[160:161]
	v_mul_f64 v[176:177], v[176:177], v[162:163]
	v_add_f64 v[72:73], v[72:73], -v[160:161]
	s_delay_alu instid0(VALU_DEP_2) | instskip(NEXT) | instid1(VALU_DEP_1)
	v_fma_f64 v[176:177], v[178:179], v[184:185], v[176:177]
	v_add_f64 v[74:75], v[74:75], -v[176:177]
	ds_load_2addr_b64 v[176:179], v186 offset0:52 offset1:53
	s_waitcnt lgkmcnt(0)
	v_mul_f64 v[160:161], v[178:179], v[162:163]
	s_delay_alu instid0(VALU_DEP_1) | instskip(SKIP_1) | instid1(VALU_DEP_2)
	v_fma_f64 v[160:161], v[176:177], v[184:185], -v[160:161]
	v_mul_f64 v[176:177], v[176:177], v[162:163]
	v_add_f64 v[68:69], v[68:69], -v[160:161]
	s_delay_alu instid0(VALU_DEP_2) | instskip(NEXT) | instid1(VALU_DEP_1)
	v_fma_f64 v[176:177], v[178:179], v[184:185], v[176:177]
	v_add_f64 v[70:71], v[70:71], -v[176:177]
	ds_load_2addr_b64 v[176:179], v186 offset0:54 offset1:55
	s_waitcnt lgkmcnt(0)
	v_mul_f64 v[160:161], v[178:179], v[162:163]
	s_delay_alu instid0(VALU_DEP_1) | instskip(SKIP_1) | instid1(VALU_DEP_2)
	v_fma_f64 v[160:161], v[176:177], v[184:185], -v[160:161]
	v_mul_f64 v[176:177], v[176:177], v[162:163]
	v_add_f64 v[64:65], v[64:65], -v[160:161]
	s_delay_alu instid0(VALU_DEP_2) | instskip(NEXT) | instid1(VALU_DEP_1)
	v_fma_f64 v[176:177], v[178:179], v[184:185], v[176:177]
	v_add_f64 v[66:67], v[66:67], -v[176:177]
	ds_load_2addr_b64 v[176:179], v186 offset0:56 offset1:57
	s_waitcnt lgkmcnt(0)
	v_mul_f64 v[160:161], v[178:179], v[162:163]
	s_delay_alu instid0(VALU_DEP_1) | instskip(SKIP_1) | instid1(VALU_DEP_2)
	v_fma_f64 v[160:161], v[176:177], v[184:185], -v[160:161]
	v_mul_f64 v[176:177], v[176:177], v[162:163]
	v_add_f64 v[60:61], v[60:61], -v[160:161]
	s_delay_alu instid0(VALU_DEP_2) | instskip(NEXT) | instid1(VALU_DEP_1)
	v_fma_f64 v[176:177], v[178:179], v[184:185], v[176:177]
	v_add_f64 v[62:63], v[62:63], -v[176:177]
	ds_load_2addr_b64 v[176:179], v186 offset0:58 offset1:59
	s_waitcnt lgkmcnt(0)
	v_mul_f64 v[160:161], v[178:179], v[162:163]
	s_delay_alu instid0(VALU_DEP_1) | instskip(SKIP_1) | instid1(VALU_DEP_2)
	v_fma_f64 v[160:161], v[176:177], v[184:185], -v[160:161]
	v_mul_f64 v[176:177], v[176:177], v[162:163]
	v_add_f64 v[56:57], v[56:57], -v[160:161]
	s_delay_alu instid0(VALU_DEP_2) | instskip(NEXT) | instid1(VALU_DEP_1)
	v_fma_f64 v[176:177], v[178:179], v[184:185], v[176:177]
	v_add_f64 v[58:59], v[58:59], -v[176:177]
	ds_load_2addr_b64 v[176:179], v186 offset0:60 offset1:61
	s_waitcnt lgkmcnt(0)
	v_mul_f64 v[160:161], v[178:179], v[162:163]
	s_delay_alu instid0(VALU_DEP_1) | instskip(SKIP_1) | instid1(VALU_DEP_2)
	v_fma_f64 v[160:161], v[176:177], v[184:185], -v[160:161]
	v_mul_f64 v[176:177], v[176:177], v[162:163]
	v_add_f64 v[52:53], v[52:53], -v[160:161]
	s_delay_alu instid0(VALU_DEP_2) | instskip(NEXT) | instid1(VALU_DEP_1)
	v_fma_f64 v[176:177], v[178:179], v[184:185], v[176:177]
	v_add_f64 v[54:55], v[54:55], -v[176:177]
	ds_load_2addr_b64 v[176:179], v186 offset0:62 offset1:63
	s_waitcnt lgkmcnt(0)
	v_mul_f64 v[160:161], v[178:179], v[162:163]
	s_delay_alu instid0(VALU_DEP_1) | instskip(SKIP_1) | instid1(VALU_DEP_2)
	v_fma_f64 v[160:161], v[176:177], v[184:185], -v[160:161]
	v_mul_f64 v[176:177], v[176:177], v[162:163]
	v_add_f64 v[48:49], v[48:49], -v[160:161]
	s_delay_alu instid0(VALU_DEP_2) | instskip(NEXT) | instid1(VALU_DEP_1)
	v_fma_f64 v[176:177], v[178:179], v[184:185], v[176:177]
	v_add_f64 v[50:51], v[50:51], -v[176:177]
	ds_load_2addr_b64 v[176:179], v186 offset0:64 offset1:65
	s_waitcnt lgkmcnt(0)
	v_mul_f64 v[160:161], v[178:179], v[162:163]
	s_delay_alu instid0(VALU_DEP_1) | instskip(SKIP_1) | instid1(VALU_DEP_2)
	v_fma_f64 v[160:161], v[176:177], v[184:185], -v[160:161]
	v_mul_f64 v[176:177], v[176:177], v[162:163]
	v_add_f64 v[44:45], v[44:45], -v[160:161]
	s_delay_alu instid0(VALU_DEP_2) | instskip(NEXT) | instid1(VALU_DEP_1)
	v_fma_f64 v[176:177], v[178:179], v[184:185], v[176:177]
	v_add_f64 v[46:47], v[46:47], -v[176:177]
	ds_load_2addr_b64 v[176:179], v186 offset0:66 offset1:67
	s_waitcnt lgkmcnt(0)
	v_mul_f64 v[160:161], v[178:179], v[162:163]
	s_delay_alu instid0(VALU_DEP_1) | instskip(SKIP_1) | instid1(VALU_DEP_2)
	v_fma_f64 v[160:161], v[176:177], v[184:185], -v[160:161]
	v_mul_f64 v[176:177], v[176:177], v[162:163]
	v_add_f64 v[40:41], v[40:41], -v[160:161]
	s_delay_alu instid0(VALU_DEP_2) | instskip(NEXT) | instid1(VALU_DEP_1)
	v_fma_f64 v[176:177], v[178:179], v[184:185], v[176:177]
	v_add_f64 v[42:43], v[42:43], -v[176:177]
	ds_load_2addr_b64 v[176:179], v186 offset0:68 offset1:69
	s_waitcnt lgkmcnt(0)
	v_mul_f64 v[160:161], v[178:179], v[162:163]
	s_delay_alu instid0(VALU_DEP_1) | instskip(SKIP_1) | instid1(VALU_DEP_2)
	v_fma_f64 v[160:161], v[176:177], v[184:185], -v[160:161]
	v_mul_f64 v[176:177], v[176:177], v[162:163]
	v_add_f64 v[36:37], v[36:37], -v[160:161]
	s_delay_alu instid0(VALU_DEP_2) | instskip(NEXT) | instid1(VALU_DEP_1)
	v_fma_f64 v[176:177], v[178:179], v[184:185], v[176:177]
	v_add_f64 v[38:39], v[38:39], -v[176:177]
	ds_load_2addr_b64 v[176:179], v186 offset0:70 offset1:71
	s_waitcnt lgkmcnt(0)
	v_mul_f64 v[160:161], v[178:179], v[162:163]
	s_delay_alu instid0(VALU_DEP_1) | instskip(SKIP_1) | instid1(VALU_DEP_2)
	v_fma_f64 v[160:161], v[176:177], v[184:185], -v[160:161]
	v_mul_f64 v[176:177], v[176:177], v[162:163]
	v_add_f64 v[32:33], v[32:33], -v[160:161]
	s_delay_alu instid0(VALU_DEP_2) | instskip(NEXT) | instid1(VALU_DEP_1)
	v_fma_f64 v[176:177], v[178:179], v[184:185], v[176:177]
	v_add_f64 v[34:35], v[34:35], -v[176:177]
	ds_load_2addr_b64 v[176:179], v186 offset0:72 offset1:73
	s_waitcnt lgkmcnt(0)
	v_mul_f64 v[160:161], v[178:179], v[162:163]
	s_delay_alu instid0(VALU_DEP_1) | instskip(SKIP_1) | instid1(VALU_DEP_2)
	v_fma_f64 v[160:161], v[176:177], v[184:185], -v[160:161]
	v_mul_f64 v[176:177], v[176:177], v[162:163]
	v_add_f64 v[28:29], v[28:29], -v[160:161]
	s_delay_alu instid0(VALU_DEP_2) | instskip(NEXT) | instid1(VALU_DEP_1)
	v_fma_f64 v[176:177], v[178:179], v[184:185], v[176:177]
	v_add_f64 v[30:31], v[30:31], -v[176:177]
	ds_load_2addr_b64 v[176:179], v186 offset0:74 offset1:75
	s_waitcnt lgkmcnt(0)
	v_mul_f64 v[160:161], v[178:179], v[162:163]
	s_delay_alu instid0(VALU_DEP_1) | instskip(SKIP_1) | instid1(VALU_DEP_2)
	v_fma_f64 v[160:161], v[176:177], v[184:185], -v[160:161]
	v_mul_f64 v[176:177], v[176:177], v[162:163]
	v_add_f64 v[24:25], v[24:25], -v[160:161]
	s_delay_alu instid0(VALU_DEP_2) | instskip(NEXT) | instid1(VALU_DEP_1)
	v_fma_f64 v[176:177], v[178:179], v[184:185], v[176:177]
	v_add_f64 v[26:27], v[26:27], -v[176:177]
	ds_load_2addr_b64 v[176:179], v186 offset0:76 offset1:77
	s_waitcnt lgkmcnt(0)
	v_mul_f64 v[160:161], v[178:179], v[162:163]
	s_delay_alu instid0(VALU_DEP_1) | instskip(SKIP_1) | instid1(VALU_DEP_2)
	v_fma_f64 v[160:161], v[176:177], v[184:185], -v[160:161]
	v_mul_f64 v[176:177], v[176:177], v[162:163]
	v_add_f64 v[20:21], v[20:21], -v[160:161]
	s_delay_alu instid0(VALU_DEP_2) | instskip(NEXT) | instid1(VALU_DEP_1)
	v_fma_f64 v[176:177], v[178:179], v[184:185], v[176:177]
	v_add_f64 v[22:23], v[22:23], -v[176:177]
	ds_load_2addr_b64 v[176:179], v186 offset0:78 offset1:79
	s_waitcnt lgkmcnt(0)
	v_mul_f64 v[160:161], v[178:179], v[162:163]
	s_delay_alu instid0(VALU_DEP_1) | instskip(SKIP_1) | instid1(VALU_DEP_2)
	v_fma_f64 v[160:161], v[176:177], v[184:185], -v[160:161]
	v_mul_f64 v[176:177], v[176:177], v[162:163]
	v_add_f64 v[16:17], v[16:17], -v[160:161]
	s_delay_alu instid0(VALU_DEP_2) | instskip(NEXT) | instid1(VALU_DEP_1)
	v_fma_f64 v[176:177], v[178:179], v[184:185], v[176:177]
	v_add_f64 v[18:19], v[18:19], -v[176:177]
	ds_load_2addr_b64 v[176:179], v186 offset0:80 offset1:81
	s_waitcnt lgkmcnt(0)
	v_mul_f64 v[160:161], v[178:179], v[162:163]
	s_delay_alu instid0(VALU_DEP_1) | instskip(SKIP_1) | instid1(VALU_DEP_2)
	v_fma_f64 v[160:161], v[176:177], v[184:185], -v[160:161]
	v_mul_f64 v[176:177], v[176:177], v[162:163]
	v_add_f64 v[12:13], v[12:13], -v[160:161]
	s_delay_alu instid0(VALU_DEP_2) | instskip(NEXT) | instid1(VALU_DEP_1)
	v_fma_f64 v[176:177], v[178:179], v[184:185], v[176:177]
	v_add_f64 v[14:15], v[14:15], -v[176:177]
	ds_load_2addr_b64 v[176:179], v186 offset0:82 offset1:83
	s_waitcnt lgkmcnt(0)
	v_mul_f64 v[160:161], v[178:179], v[162:163]
	s_delay_alu instid0(VALU_DEP_1) | instskip(SKIP_1) | instid1(VALU_DEP_2)
	v_fma_f64 v[160:161], v[176:177], v[184:185], -v[160:161]
	v_mul_f64 v[176:177], v[176:177], v[162:163]
	v_add_f64 v[8:9], v[8:9], -v[160:161]
	s_delay_alu instid0(VALU_DEP_2) | instskip(NEXT) | instid1(VALU_DEP_1)
	v_fma_f64 v[176:177], v[178:179], v[184:185], v[176:177]
	v_add_f64 v[10:11], v[10:11], -v[176:177]
	ds_load_2addr_b64 v[176:179], v186 offset0:84 offset1:85
	s_waitcnt lgkmcnt(0)
	v_mul_f64 v[160:161], v[178:179], v[162:163]
	s_delay_alu instid0(VALU_DEP_1) | instskip(SKIP_1) | instid1(VALU_DEP_2)
	v_fma_f64 v[160:161], v[176:177], v[184:185], -v[160:161]
	v_mul_f64 v[176:177], v[176:177], v[162:163]
	v_add_f64 v[4:5], v[4:5], -v[160:161]
	s_delay_alu instid0(VALU_DEP_2) | instskip(NEXT) | instid1(VALU_DEP_1)
	v_fma_f64 v[176:177], v[178:179], v[184:185], v[176:177]
	v_add_f64 v[6:7], v[6:7], -v[176:177]
	ds_load_2addr_b64 v[176:179], v186 offset0:86 offset1:87
	s_waitcnt lgkmcnt(0)
	v_mul_f64 v[160:161], v[178:179], v[162:163]
	s_delay_alu instid0(VALU_DEP_1) | instskip(SKIP_1) | instid1(VALU_DEP_2)
	v_fma_f64 v[160:161], v[176:177], v[184:185], -v[160:161]
	v_mul_f64 v[176:177], v[176:177], v[162:163]
	v_add_f64 v[0:1], v[0:1], -v[160:161]
	s_delay_alu instid0(VALU_DEP_2) | instskip(SKIP_1) | instid1(VALU_DEP_2)
	v_fma_f64 v[176:177], v[178:179], v[184:185], v[176:177]
	v_dual_mov_b32 v160, v184 :: v_dual_mov_b32 v161, v185
	v_add_f64 v[2:3], v[2:3], -v[176:177]
.LBB86_83:
	s_or_b32 exec_lo, exec_lo, s2
	v_lshl_add_u32 v176, v192, 4, v186
	s_barrier
	buffer_gl0_inv
	v_mov_b32_e32 v184, 4
	ds_store_2addr_b64 v176, v[156:157], v[158:159] offset1:1
	s_waitcnt lgkmcnt(0)
	s_barrier
	buffer_gl0_inv
	ds_load_2addr_b64 v[176:179], v186 offset0:8 offset1:9
	s_cmp_lt_i32 s5, 6
	s_cbranch_scc1 .LBB86_86
; %bb.84:
	v_add3_u32 v185, v190, 0, 0x50
	v_mov_b32_e32 v184, 4
	s_mov_b32 s6, 5
	s_set_inst_prefetch_distance 0x1
	.p2align	6
.LBB86_85:                              ; =>This Inner Loop Header: Depth=1
	ds_load_2addr_b64 v[193:196], v185 offset1:1
	s_waitcnt lgkmcnt(1)
	v_cmp_gt_f64_e32 vcc_lo, 0, v[176:177]
	v_xor_b32_e32 v197, 0x80000000, v177
	v_cmp_gt_f64_e64 s2, 0, v[178:179]
	v_xor_b32_e32 v199, 0x80000000, v179
	v_add_nc_u32_e32 v185, 16, v185
	s_waitcnt lgkmcnt(0)
	v_cmp_gt_f64_e64 s3, 0, v[193:194]
	v_mov_b32_e32 v201, v193
	v_dual_mov_b32 v203, v195 :: v_dual_cndmask_b32 v198, v177, v197
	v_xor_b32_e32 v197, 0x80000000, v194
	v_cndmask_b32_e64 v200, v179, v199, s2
	v_xor_b32_e32 v199, 0x80000000, v196
	s_delay_alu instid0(VALU_DEP_3) | instskip(SKIP_2) | instid1(VALU_DEP_2)
	v_cndmask_b32_e64 v202, v194, v197, s3
	v_cmp_gt_f64_e64 s3, 0, v[195:196]
	v_cndmask_b32_e32 v197, v176, v176, vcc_lo
	v_cndmask_b32_e64 v204, v196, v199, s3
	v_cndmask_b32_e64 v199, v178, v178, s2
	s_delay_alu instid0(VALU_DEP_2) | instskip(NEXT) | instid1(VALU_DEP_2)
	v_add_f64 v[201:202], v[201:202], v[203:204]
	v_add_f64 v[197:198], v[197:198], v[199:200]
	s_delay_alu instid0(VALU_DEP_1) | instskip(SKIP_4) | instid1(SALU_CYCLE_1)
	v_cmp_lt_f64_e32 vcc_lo, v[197:198], v[201:202]
	v_dual_cndmask_b32 v178, v178, v195 :: v_dual_cndmask_b32 v177, v177, v194
	v_dual_cndmask_b32 v176, v176, v193 :: v_dual_cndmask_b32 v179, v179, v196
	v_cndmask_b32_e64 v184, v184, s6, vcc_lo
	s_add_i32 s6, s6, 1
	s_cmp_lg_u32 s5, s6
	s_cbranch_scc1 .LBB86_85
.LBB86_86:
	s_set_inst_prefetch_distance 0x2
	s_waitcnt lgkmcnt(0)
	v_cmp_eq_f64_e32 vcc_lo, 0, v[176:177]
	v_cmp_eq_f64_e64 s2, 0, v[178:179]
	s_delay_alu instid0(VALU_DEP_1) | instskip(NEXT) | instid1(SALU_CYCLE_1)
	s_and_b32 s2, vcc_lo, s2
	s_and_saveexec_b32 s3, s2
	s_delay_alu instid0(SALU_CYCLE_1)
	s_xor_b32 s2, exec_lo, s3
; %bb.87:
	v_cmp_ne_u32_e32 vcc_lo, 0, v189
	v_cndmask_b32_e32 v189, 5, v189, vcc_lo
; %bb.88:
	s_and_not1_saveexec_b32 s3, s2
	s_cbranch_execz .LBB86_94
; %bb.89:
	v_cmp_gt_f64_e32 vcc_lo, 0, v[176:177]
	v_cmp_gt_f64_e64 s2, 0, v[178:179]
	v_xor_b32_e32 v185, 0x80000000, v177
	v_xor_b32_e32 v193, 0x80000000, v179
	s_delay_alu instid0(VALU_DEP_2) | instskip(NEXT) | instid1(VALU_DEP_2)
	v_cndmask_b32_e32 v194, v177, v185, vcc_lo
	v_cndmask_b32_e64 v196, v179, v193, s2
	v_cndmask_b32_e32 v193, v176, v176, vcc_lo
	v_cndmask_b32_e64 v195, v178, v178, s2
	s_mov_b32 s2, exec_lo
	s_delay_alu instid0(VALU_DEP_1)
	v_cmpx_ngt_f64_e32 v[193:194], v[195:196]
	s_xor_b32 s2, exec_lo, s2
	s_cbranch_execz .LBB86_91
; %bb.90:
	v_div_scale_f64 v[193:194], null, v[178:179], v[178:179], v[176:177]
	v_div_scale_f64 v[199:200], vcc_lo, v[176:177], v[178:179], v[176:177]
	s_delay_alu instid0(VALU_DEP_2) | instskip(SKIP_2) | instid1(VALU_DEP_1)
	v_rcp_f64_e32 v[195:196], v[193:194]
	s_waitcnt_depctr 0xfff
	v_fma_f64 v[197:198], -v[193:194], v[195:196], 1.0
	v_fma_f64 v[195:196], v[195:196], v[197:198], v[195:196]
	s_delay_alu instid0(VALU_DEP_1) | instskip(NEXT) | instid1(VALU_DEP_1)
	v_fma_f64 v[197:198], -v[193:194], v[195:196], 1.0
	v_fma_f64 v[195:196], v[195:196], v[197:198], v[195:196]
	s_delay_alu instid0(VALU_DEP_1) | instskip(NEXT) | instid1(VALU_DEP_1)
	v_mul_f64 v[197:198], v[199:200], v[195:196]
	v_fma_f64 v[193:194], -v[193:194], v[197:198], v[199:200]
	s_delay_alu instid0(VALU_DEP_1) | instskip(NEXT) | instid1(VALU_DEP_1)
	v_div_fmas_f64 v[193:194], v[193:194], v[195:196], v[197:198]
	v_div_fixup_f64 v[193:194], v[193:194], v[178:179], v[176:177]
	s_delay_alu instid0(VALU_DEP_1) | instskip(NEXT) | instid1(VALU_DEP_1)
	v_fma_f64 v[176:177], v[176:177], v[193:194], v[178:179]
	v_div_scale_f64 v[178:179], null, v[176:177], v[176:177], 1.0
	s_delay_alu instid0(VALU_DEP_1) | instskip(SKIP_2) | instid1(VALU_DEP_1)
	v_rcp_f64_e32 v[195:196], v[178:179]
	s_waitcnt_depctr 0xfff
	v_fma_f64 v[197:198], -v[178:179], v[195:196], 1.0
	v_fma_f64 v[195:196], v[195:196], v[197:198], v[195:196]
	s_delay_alu instid0(VALU_DEP_1) | instskip(NEXT) | instid1(VALU_DEP_1)
	v_fma_f64 v[197:198], -v[178:179], v[195:196], 1.0
	v_fma_f64 v[195:196], v[195:196], v[197:198], v[195:196]
	v_div_scale_f64 v[197:198], vcc_lo, 1.0, v[176:177], 1.0
	s_delay_alu instid0(VALU_DEP_1) | instskip(NEXT) | instid1(VALU_DEP_1)
	v_mul_f64 v[199:200], v[197:198], v[195:196]
	v_fma_f64 v[178:179], -v[178:179], v[199:200], v[197:198]
	s_delay_alu instid0(VALU_DEP_1) | instskip(NEXT) | instid1(VALU_DEP_1)
	v_div_fmas_f64 v[178:179], v[178:179], v[195:196], v[199:200]
	v_div_fixup_f64 v[178:179], v[178:179], v[176:177], 1.0
	s_delay_alu instid0(VALU_DEP_1)
	v_mul_f64 v[176:177], v[193:194], v[178:179]
	v_xor_b32_e32 v179, 0x80000000, v179
.LBB86_91:
	s_and_not1_saveexec_b32 s2, s2
	s_cbranch_execz .LBB86_93
; %bb.92:
	s_delay_alu instid0(VALU_DEP_1) | instskip(SKIP_1) | instid1(VALU_DEP_2)
	v_div_scale_f64 v[193:194], null, v[176:177], v[176:177], v[178:179]
	v_div_scale_f64 v[199:200], vcc_lo, v[178:179], v[176:177], v[178:179]
	v_rcp_f64_e32 v[195:196], v[193:194]
	s_waitcnt_depctr 0xfff
	v_fma_f64 v[197:198], -v[193:194], v[195:196], 1.0
	s_delay_alu instid0(VALU_DEP_1) | instskip(NEXT) | instid1(VALU_DEP_1)
	v_fma_f64 v[195:196], v[195:196], v[197:198], v[195:196]
	v_fma_f64 v[197:198], -v[193:194], v[195:196], 1.0
	s_delay_alu instid0(VALU_DEP_1) | instskip(NEXT) | instid1(VALU_DEP_1)
	v_fma_f64 v[195:196], v[195:196], v[197:198], v[195:196]
	v_mul_f64 v[197:198], v[199:200], v[195:196]
	s_delay_alu instid0(VALU_DEP_1) | instskip(NEXT) | instid1(VALU_DEP_1)
	v_fma_f64 v[193:194], -v[193:194], v[197:198], v[199:200]
	v_div_fmas_f64 v[193:194], v[193:194], v[195:196], v[197:198]
	s_delay_alu instid0(VALU_DEP_1) | instskip(NEXT) | instid1(VALU_DEP_1)
	v_div_fixup_f64 v[193:194], v[193:194], v[176:177], v[178:179]
	v_fma_f64 v[176:177], v[178:179], v[193:194], v[176:177]
	s_delay_alu instid0(VALU_DEP_1) | instskip(NEXT) | instid1(VALU_DEP_1)
	v_div_scale_f64 v[178:179], null, v[176:177], v[176:177], 1.0
	v_rcp_f64_e32 v[195:196], v[178:179]
	s_waitcnt_depctr 0xfff
	v_fma_f64 v[197:198], -v[178:179], v[195:196], 1.0
	s_delay_alu instid0(VALU_DEP_1) | instskip(NEXT) | instid1(VALU_DEP_1)
	v_fma_f64 v[195:196], v[195:196], v[197:198], v[195:196]
	v_fma_f64 v[197:198], -v[178:179], v[195:196], 1.0
	s_delay_alu instid0(VALU_DEP_1) | instskip(SKIP_1) | instid1(VALU_DEP_1)
	v_fma_f64 v[195:196], v[195:196], v[197:198], v[195:196]
	v_div_scale_f64 v[197:198], vcc_lo, 1.0, v[176:177], 1.0
	v_mul_f64 v[199:200], v[197:198], v[195:196]
	s_delay_alu instid0(VALU_DEP_1) | instskip(NEXT) | instid1(VALU_DEP_1)
	v_fma_f64 v[178:179], -v[178:179], v[199:200], v[197:198]
	v_div_fmas_f64 v[178:179], v[178:179], v[195:196], v[199:200]
	s_delay_alu instid0(VALU_DEP_1) | instskip(NEXT) | instid1(VALU_DEP_1)
	v_div_fixup_f64 v[176:177], v[178:179], v[176:177], 1.0
	v_mul_f64 v[178:179], v[193:194], -v[176:177]
.LBB86_93:
	s_or_b32 exec_lo, exec_lo, s2
.LBB86_94:
	s_delay_alu instid0(SALU_CYCLE_1) | instskip(NEXT) | instid1(SALU_CYCLE_1)
	s_or_b32 exec_lo, exec_lo, s3
	s_mov_b32 s2, exec_lo
	v_cmpx_ne_u32_e64 v192, v184
	s_xor_b32 s2, exec_lo, s2
	s_cbranch_execz .LBB86_100
; %bb.95:
	s_mov_b32 s3, exec_lo
	v_cmpx_eq_u32_e32 4, v192
	s_cbranch_execz .LBB86_99
; %bb.96:
	v_cmp_ne_u32_e32 vcc_lo, 4, v184
	s_xor_b32 s6, s4, -1
	s_delay_alu instid0(SALU_CYCLE_1) | instskip(NEXT) | instid1(SALU_CYCLE_1)
	s_and_b32 s7, s6, vcc_lo
	s_and_saveexec_b32 s6, s7
	s_cbranch_execz .LBB86_98
; %bb.97:
	v_ashrrev_i32_e32 v185, 31, v184
	s_delay_alu instid0(VALU_DEP_1) | instskip(NEXT) | instid1(VALU_DEP_1)
	v_lshlrev_b64 v[191:192], 2, v[184:185]
	v_add_co_u32 v191, vcc_lo, v182, v191
	s_delay_alu instid0(VALU_DEP_2)
	v_add_co_ci_u32_e32 v192, vcc_lo, v183, v192, vcc_lo
	s_clause 0x1
	flat_load_b32 v185, v[191:192]
	flat_load_b32 v193, v[182:183] offset:16
	s_waitcnt vmcnt(1) lgkmcnt(1)
	flat_store_b32 v[182:183], v185 offset:16
	s_waitcnt vmcnt(0) lgkmcnt(1)
	flat_store_b32 v[191:192], v193
.LBB86_98:
	s_or_b32 exec_lo, exec_lo, s6
	v_mov_b32_e32 v192, v184
	v_mov_b32_e32 v191, v184
.LBB86_99:
	s_or_b32 exec_lo, exec_lo, s3
.LBB86_100:
	s_and_not1_saveexec_b32 s2, s2
	s_cbranch_execz .LBB86_102
; %bb.101:
	v_mov_b32_e32 v192, 4
	ds_store_2addr_b64 v186, v[152:153], v[154:155] offset0:10 offset1:11
	ds_store_2addr_b64 v186, v[148:149], v[150:151] offset0:12 offset1:13
	;; [unrolled: 1-line block ×39, first 2 shown]
.LBB86_102:
	s_or_b32 exec_lo, exec_lo, s2
	s_delay_alu instid0(SALU_CYCLE_1)
	s_mov_b32 s2, exec_lo
	s_waitcnt lgkmcnt(0)
	s_waitcnt_vscnt null, 0x0
	s_barrier
	buffer_gl0_inv
	v_cmpx_lt_i32_e32 4, v192
	s_cbranch_execz .LBB86_104
; %bb.103:
	v_mul_f64 v[184:185], v[178:179], v[158:159]
	v_mul_f64 v[158:159], v[176:177], v[158:159]
	s_delay_alu instid0(VALU_DEP_2) | instskip(NEXT) | instid1(VALU_DEP_2)
	v_fma_f64 v[184:185], v[176:177], v[156:157], -v[184:185]
	v_fma_f64 v[158:159], v[178:179], v[156:157], v[158:159]
	ds_load_2addr_b64 v[176:179], v186 offset0:10 offset1:11
	s_waitcnt lgkmcnt(0)
	v_mul_f64 v[156:157], v[178:179], v[158:159]
	s_delay_alu instid0(VALU_DEP_1) | instskip(SKIP_1) | instid1(VALU_DEP_2)
	v_fma_f64 v[156:157], v[176:177], v[184:185], -v[156:157]
	v_mul_f64 v[176:177], v[176:177], v[158:159]
	v_add_f64 v[152:153], v[152:153], -v[156:157]
	s_delay_alu instid0(VALU_DEP_2) | instskip(NEXT) | instid1(VALU_DEP_1)
	v_fma_f64 v[176:177], v[178:179], v[184:185], v[176:177]
	v_add_f64 v[154:155], v[154:155], -v[176:177]
	ds_load_2addr_b64 v[176:179], v186 offset0:12 offset1:13
	s_waitcnt lgkmcnt(0)
	v_mul_f64 v[156:157], v[178:179], v[158:159]
	s_delay_alu instid0(VALU_DEP_1) | instskip(SKIP_1) | instid1(VALU_DEP_2)
	v_fma_f64 v[156:157], v[176:177], v[184:185], -v[156:157]
	v_mul_f64 v[176:177], v[176:177], v[158:159]
	v_add_f64 v[148:149], v[148:149], -v[156:157]
	s_delay_alu instid0(VALU_DEP_2) | instskip(NEXT) | instid1(VALU_DEP_1)
	v_fma_f64 v[176:177], v[178:179], v[184:185], v[176:177]
	v_add_f64 v[150:151], v[150:151], -v[176:177]
	;; [unrolled: 10-line block ×38, first 2 shown]
	ds_load_2addr_b64 v[176:179], v186 offset0:86 offset1:87
	s_waitcnt lgkmcnt(0)
	v_mul_f64 v[156:157], v[178:179], v[158:159]
	s_delay_alu instid0(VALU_DEP_1) | instskip(SKIP_1) | instid1(VALU_DEP_2)
	v_fma_f64 v[156:157], v[176:177], v[184:185], -v[156:157]
	v_mul_f64 v[176:177], v[176:177], v[158:159]
	v_add_f64 v[0:1], v[0:1], -v[156:157]
	s_delay_alu instid0(VALU_DEP_2) | instskip(SKIP_1) | instid1(VALU_DEP_2)
	v_fma_f64 v[176:177], v[178:179], v[184:185], v[176:177]
	v_dual_mov_b32 v156, v184 :: v_dual_mov_b32 v157, v185
	v_add_f64 v[2:3], v[2:3], -v[176:177]
.LBB86_104:
	s_or_b32 exec_lo, exec_lo, s2
	v_lshl_add_u32 v176, v192, 4, v186
	s_barrier
	buffer_gl0_inv
	v_mov_b32_e32 v184, 5
	ds_store_2addr_b64 v176, v[152:153], v[154:155] offset1:1
	s_waitcnt lgkmcnt(0)
	s_barrier
	buffer_gl0_inv
	ds_load_2addr_b64 v[176:179], v186 offset0:10 offset1:11
	s_cmp_lt_i32 s5, 7
	s_cbranch_scc1 .LBB86_107
; %bb.105:
	v_add3_u32 v185, v190, 0, 0x60
	v_mov_b32_e32 v184, 5
	s_mov_b32 s6, 6
	s_set_inst_prefetch_distance 0x1
	.p2align	6
.LBB86_106:                             ; =>This Inner Loop Header: Depth=1
	ds_load_2addr_b64 v[193:196], v185 offset1:1
	s_waitcnt lgkmcnt(1)
	v_cmp_gt_f64_e32 vcc_lo, 0, v[176:177]
	v_xor_b32_e32 v197, 0x80000000, v177
	v_cmp_gt_f64_e64 s2, 0, v[178:179]
	v_xor_b32_e32 v199, 0x80000000, v179
	v_add_nc_u32_e32 v185, 16, v185
	s_waitcnt lgkmcnt(0)
	v_cmp_gt_f64_e64 s3, 0, v[193:194]
	v_mov_b32_e32 v201, v193
	v_dual_mov_b32 v203, v195 :: v_dual_cndmask_b32 v198, v177, v197
	v_xor_b32_e32 v197, 0x80000000, v194
	v_cndmask_b32_e64 v200, v179, v199, s2
	v_xor_b32_e32 v199, 0x80000000, v196
	s_delay_alu instid0(VALU_DEP_3) | instskip(SKIP_2) | instid1(VALU_DEP_2)
	v_cndmask_b32_e64 v202, v194, v197, s3
	v_cmp_gt_f64_e64 s3, 0, v[195:196]
	v_cndmask_b32_e32 v197, v176, v176, vcc_lo
	v_cndmask_b32_e64 v204, v196, v199, s3
	v_cndmask_b32_e64 v199, v178, v178, s2
	s_delay_alu instid0(VALU_DEP_2) | instskip(NEXT) | instid1(VALU_DEP_2)
	v_add_f64 v[201:202], v[201:202], v[203:204]
	v_add_f64 v[197:198], v[197:198], v[199:200]
	s_delay_alu instid0(VALU_DEP_1) | instskip(SKIP_4) | instid1(SALU_CYCLE_1)
	v_cmp_lt_f64_e32 vcc_lo, v[197:198], v[201:202]
	v_dual_cndmask_b32 v178, v178, v195 :: v_dual_cndmask_b32 v177, v177, v194
	v_dual_cndmask_b32 v176, v176, v193 :: v_dual_cndmask_b32 v179, v179, v196
	v_cndmask_b32_e64 v184, v184, s6, vcc_lo
	s_add_i32 s6, s6, 1
	s_cmp_lg_u32 s5, s6
	s_cbranch_scc1 .LBB86_106
.LBB86_107:
	s_set_inst_prefetch_distance 0x2
	s_waitcnt lgkmcnt(0)
	v_cmp_eq_f64_e32 vcc_lo, 0, v[176:177]
	v_cmp_eq_f64_e64 s2, 0, v[178:179]
	s_delay_alu instid0(VALU_DEP_1) | instskip(NEXT) | instid1(SALU_CYCLE_1)
	s_and_b32 s2, vcc_lo, s2
	s_and_saveexec_b32 s3, s2
	s_delay_alu instid0(SALU_CYCLE_1)
	s_xor_b32 s2, exec_lo, s3
; %bb.108:
	v_cmp_ne_u32_e32 vcc_lo, 0, v189
	v_cndmask_b32_e32 v189, 6, v189, vcc_lo
; %bb.109:
	s_and_not1_saveexec_b32 s3, s2
	s_cbranch_execz .LBB86_115
; %bb.110:
	v_cmp_gt_f64_e32 vcc_lo, 0, v[176:177]
	v_cmp_gt_f64_e64 s2, 0, v[178:179]
	v_xor_b32_e32 v185, 0x80000000, v177
	v_xor_b32_e32 v193, 0x80000000, v179
	s_delay_alu instid0(VALU_DEP_2) | instskip(NEXT) | instid1(VALU_DEP_2)
	v_cndmask_b32_e32 v194, v177, v185, vcc_lo
	v_cndmask_b32_e64 v196, v179, v193, s2
	v_cndmask_b32_e32 v193, v176, v176, vcc_lo
	v_cndmask_b32_e64 v195, v178, v178, s2
	s_mov_b32 s2, exec_lo
	s_delay_alu instid0(VALU_DEP_1)
	v_cmpx_ngt_f64_e32 v[193:194], v[195:196]
	s_xor_b32 s2, exec_lo, s2
	s_cbranch_execz .LBB86_112
; %bb.111:
	v_div_scale_f64 v[193:194], null, v[178:179], v[178:179], v[176:177]
	v_div_scale_f64 v[199:200], vcc_lo, v[176:177], v[178:179], v[176:177]
	s_delay_alu instid0(VALU_DEP_2) | instskip(SKIP_2) | instid1(VALU_DEP_1)
	v_rcp_f64_e32 v[195:196], v[193:194]
	s_waitcnt_depctr 0xfff
	v_fma_f64 v[197:198], -v[193:194], v[195:196], 1.0
	v_fma_f64 v[195:196], v[195:196], v[197:198], v[195:196]
	s_delay_alu instid0(VALU_DEP_1) | instskip(NEXT) | instid1(VALU_DEP_1)
	v_fma_f64 v[197:198], -v[193:194], v[195:196], 1.0
	v_fma_f64 v[195:196], v[195:196], v[197:198], v[195:196]
	s_delay_alu instid0(VALU_DEP_1) | instskip(NEXT) | instid1(VALU_DEP_1)
	v_mul_f64 v[197:198], v[199:200], v[195:196]
	v_fma_f64 v[193:194], -v[193:194], v[197:198], v[199:200]
	s_delay_alu instid0(VALU_DEP_1) | instskip(NEXT) | instid1(VALU_DEP_1)
	v_div_fmas_f64 v[193:194], v[193:194], v[195:196], v[197:198]
	v_div_fixup_f64 v[193:194], v[193:194], v[178:179], v[176:177]
	s_delay_alu instid0(VALU_DEP_1) | instskip(NEXT) | instid1(VALU_DEP_1)
	v_fma_f64 v[176:177], v[176:177], v[193:194], v[178:179]
	v_div_scale_f64 v[178:179], null, v[176:177], v[176:177], 1.0
	s_delay_alu instid0(VALU_DEP_1) | instskip(SKIP_2) | instid1(VALU_DEP_1)
	v_rcp_f64_e32 v[195:196], v[178:179]
	s_waitcnt_depctr 0xfff
	v_fma_f64 v[197:198], -v[178:179], v[195:196], 1.0
	v_fma_f64 v[195:196], v[195:196], v[197:198], v[195:196]
	s_delay_alu instid0(VALU_DEP_1) | instskip(NEXT) | instid1(VALU_DEP_1)
	v_fma_f64 v[197:198], -v[178:179], v[195:196], 1.0
	v_fma_f64 v[195:196], v[195:196], v[197:198], v[195:196]
	v_div_scale_f64 v[197:198], vcc_lo, 1.0, v[176:177], 1.0
	s_delay_alu instid0(VALU_DEP_1) | instskip(NEXT) | instid1(VALU_DEP_1)
	v_mul_f64 v[199:200], v[197:198], v[195:196]
	v_fma_f64 v[178:179], -v[178:179], v[199:200], v[197:198]
	s_delay_alu instid0(VALU_DEP_1) | instskip(NEXT) | instid1(VALU_DEP_1)
	v_div_fmas_f64 v[178:179], v[178:179], v[195:196], v[199:200]
	v_div_fixup_f64 v[178:179], v[178:179], v[176:177], 1.0
	s_delay_alu instid0(VALU_DEP_1)
	v_mul_f64 v[176:177], v[193:194], v[178:179]
	v_xor_b32_e32 v179, 0x80000000, v179
.LBB86_112:
	s_and_not1_saveexec_b32 s2, s2
	s_cbranch_execz .LBB86_114
; %bb.113:
	s_delay_alu instid0(VALU_DEP_1) | instskip(SKIP_1) | instid1(VALU_DEP_2)
	v_div_scale_f64 v[193:194], null, v[176:177], v[176:177], v[178:179]
	v_div_scale_f64 v[199:200], vcc_lo, v[178:179], v[176:177], v[178:179]
	v_rcp_f64_e32 v[195:196], v[193:194]
	s_waitcnt_depctr 0xfff
	v_fma_f64 v[197:198], -v[193:194], v[195:196], 1.0
	s_delay_alu instid0(VALU_DEP_1) | instskip(NEXT) | instid1(VALU_DEP_1)
	v_fma_f64 v[195:196], v[195:196], v[197:198], v[195:196]
	v_fma_f64 v[197:198], -v[193:194], v[195:196], 1.0
	s_delay_alu instid0(VALU_DEP_1) | instskip(NEXT) | instid1(VALU_DEP_1)
	v_fma_f64 v[195:196], v[195:196], v[197:198], v[195:196]
	v_mul_f64 v[197:198], v[199:200], v[195:196]
	s_delay_alu instid0(VALU_DEP_1) | instskip(NEXT) | instid1(VALU_DEP_1)
	v_fma_f64 v[193:194], -v[193:194], v[197:198], v[199:200]
	v_div_fmas_f64 v[193:194], v[193:194], v[195:196], v[197:198]
	s_delay_alu instid0(VALU_DEP_1) | instskip(NEXT) | instid1(VALU_DEP_1)
	v_div_fixup_f64 v[193:194], v[193:194], v[176:177], v[178:179]
	v_fma_f64 v[176:177], v[178:179], v[193:194], v[176:177]
	s_delay_alu instid0(VALU_DEP_1) | instskip(NEXT) | instid1(VALU_DEP_1)
	v_div_scale_f64 v[178:179], null, v[176:177], v[176:177], 1.0
	v_rcp_f64_e32 v[195:196], v[178:179]
	s_waitcnt_depctr 0xfff
	v_fma_f64 v[197:198], -v[178:179], v[195:196], 1.0
	s_delay_alu instid0(VALU_DEP_1) | instskip(NEXT) | instid1(VALU_DEP_1)
	v_fma_f64 v[195:196], v[195:196], v[197:198], v[195:196]
	v_fma_f64 v[197:198], -v[178:179], v[195:196], 1.0
	s_delay_alu instid0(VALU_DEP_1) | instskip(SKIP_1) | instid1(VALU_DEP_1)
	v_fma_f64 v[195:196], v[195:196], v[197:198], v[195:196]
	v_div_scale_f64 v[197:198], vcc_lo, 1.0, v[176:177], 1.0
	v_mul_f64 v[199:200], v[197:198], v[195:196]
	s_delay_alu instid0(VALU_DEP_1) | instskip(NEXT) | instid1(VALU_DEP_1)
	v_fma_f64 v[178:179], -v[178:179], v[199:200], v[197:198]
	v_div_fmas_f64 v[178:179], v[178:179], v[195:196], v[199:200]
	s_delay_alu instid0(VALU_DEP_1) | instskip(NEXT) | instid1(VALU_DEP_1)
	v_div_fixup_f64 v[176:177], v[178:179], v[176:177], 1.0
	v_mul_f64 v[178:179], v[193:194], -v[176:177]
.LBB86_114:
	s_or_b32 exec_lo, exec_lo, s2
.LBB86_115:
	s_delay_alu instid0(SALU_CYCLE_1) | instskip(NEXT) | instid1(SALU_CYCLE_1)
	s_or_b32 exec_lo, exec_lo, s3
	s_mov_b32 s2, exec_lo
	v_cmpx_ne_u32_e64 v192, v184
	s_xor_b32 s2, exec_lo, s2
	s_cbranch_execz .LBB86_121
; %bb.116:
	s_mov_b32 s3, exec_lo
	v_cmpx_eq_u32_e32 5, v192
	s_cbranch_execz .LBB86_120
; %bb.117:
	v_cmp_ne_u32_e32 vcc_lo, 5, v184
	s_xor_b32 s6, s4, -1
	s_delay_alu instid0(SALU_CYCLE_1) | instskip(NEXT) | instid1(SALU_CYCLE_1)
	s_and_b32 s7, s6, vcc_lo
	s_and_saveexec_b32 s6, s7
	s_cbranch_execz .LBB86_119
; %bb.118:
	v_ashrrev_i32_e32 v185, 31, v184
	s_delay_alu instid0(VALU_DEP_1) | instskip(NEXT) | instid1(VALU_DEP_1)
	v_lshlrev_b64 v[191:192], 2, v[184:185]
	v_add_co_u32 v191, vcc_lo, v182, v191
	s_delay_alu instid0(VALU_DEP_2)
	v_add_co_ci_u32_e32 v192, vcc_lo, v183, v192, vcc_lo
	s_clause 0x1
	flat_load_b32 v185, v[191:192]
	flat_load_b32 v193, v[182:183] offset:20
	s_waitcnt vmcnt(1) lgkmcnt(1)
	flat_store_b32 v[182:183], v185 offset:20
	s_waitcnt vmcnt(0) lgkmcnt(1)
	flat_store_b32 v[191:192], v193
.LBB86_119:
	s_or_b32 exec_lo, exec_lo, s6
	v_mov_b32_e32 v192, v184
	v_mov_b32_e32 v191, v184
.LBB86_120:
	s_or_b32 exec_lo, exec_lo, s3
.LBB86_121:
	s_and_not1_saveexec_b32 s2, s2
	s_cbranch_execz .LBB86_123
; %bb.122:
	v_mov_b32_e32 v192, 5
	ds_store_2addr_b64 v186, v[148:149], v[150:151] offset0:12 offset1:13
	ds_store_2addr_b64 v186, v[144:145], v[146:147] offset0:14 offset1:15
	;; [unrolled: 1-line block ×38, first 2 shown]
.LBB86_123:
	s_or_b32 exec_lo, exec_lo, s2
	s_delay_alu instid0(SALU_CYCLE_1)
	s_mov_b32 s2, exec_lo
	s_waitcnt lgkmcnt(0)
	s_waitcnt_vscnt null, 0x0
	s_barrier
	buffer_gl0_inv
	v_cmpx_lt_i32_e32 5, v192
	s_cbranch_execz .LBB86_125
; %bb.124:
	v_mul_f64 v[184:185], v[178:179], v[154:155]
	v_mul_f64 v[154:155], v[176:177], v[154:155]
	s_delay_alu instid0(VALU_DEP_2) | instskip(NEXT) | instid1(VALU_DEP_2)
	v_fma_f64 v[184:185], v[176:177], v[152:153], -v[184:185]
	v_fma_f64 v[154:155], v[178:179], v[152:153], v[154:155]
	ds_load_2addr_b64 v[176:179], v186 offset0:12 offset1:13
	s_waitcnt lgkmcnt(0)
	v_mul_f64 v[152:153], v[178:179], v[154:155]
	s_delay_alu instid0(VALU_DEP_1) | instskip(SKIP_1) | instid1(VALU_DEP_2)
	v_fma_f64 v[152:153], v[176:177], v[184:185], -v[152:153]
	v_mul_f64 v[176:177], v[176:177], v[154:155]
	v_add_f64 v[148:149], v[148:149], -v[152:153]
	s_delay_alu instid0(VALU_DEP_2) | instskip(NEXT) | instid1(VALU_DEP_1)
	v_fma_f64 v[176:177], v[178:179], v[184:185], v[176:177]
	v_add_f64 v[150:151], v[150:151], -v[176:177]
	ds_load_2addr_b64 v[176:179], v186 offset0:14 offset1:15
	s_waitcnt lgkmcnt(0)
	v_mul_f64 v[152:153], v[178:179], v[154:155]
	s_delay_alu instid0(VALU_DEP_1) | instskip(SKIP_1) | instid1(VALU_DEP_2)
	v_fma_f64 v[152:153], v[176:177], v[184:185], -v[152:153]
	v_mul_f64 v[176:177], v[176:177], v[154:155]
	v_add_f64 v[144:145], v[144:145], -v[152:153]
	s_delay_alu instid0(VALU_DEP_2) | instskip(NEXT) | instid1(VALU_DEP_1)
	v_fma_f64 v[176:177], v[178:179], v[184:185], v[176:177]
	v_add_f64 v[146:147], v[146:147], -v[176:177]
	;; [unrolled: 10-line block ×37, first 2 shown]
	ds_load_2addr_b64 v[176:179], v186 offset0:86 offset1:87
	s_waitcnt lgkmcnt(0)
	v_mul_f64 v[152:153], v[178:179], v[154:155]
	s_delay_alu instid0(VALU_DEP_1) | instskip(SKIP_1) | instid1(VALU_DEP_2)
	v_fma_f64 v[152:153], v[176:177], v[184:185], -v[152:153]
	v_mul_f64 v[176:177], v[176:177], v[154:155]
	v_add_f64 v[0:1], v[0:1], -v[152:153]
	s_delay_alu instid0(VALU_DEP_2) | instskip(SKIP_1) | instid1(VALU_DEP_2)
	v_fma_f64 v[176:177], v[178:179], v[184:185], v[176:177]
	v_dual_mov_b32 v152, v184 :: v_dual_mov_b32 v153, v185
	v_add_f64 v[2:3], v[2:3], -v[176:177]
.LBB86_125:
	s_or_b32 exec_lo, exec_lo, s2
	v_lshl_add_u32 v176, v192, 4, v186
	s_barrier
	buffer_gl0_inv
	v_mov_b32_e32 v184, 6
	ds_store_2addr_b64 v176, v[148:149], v[150:151] offset1:1
	s_waitcnt lgkmcnt(0)
	s_barrier
	buffer_gl0_inv
	ds_load_2addr_b64 v[176:179], v186 offset0:12 offset1:13
	s_cmp_lt_i32 s5, 8
	s_cbranch_scc1 .LBB86_128
; %bb.126:
	v_add3_u32 v185, v190, 0, 0x70
	v_mov_b32_e32 v184, 6
	s_mov_b32 s6, 7
	s_set_inst_prefetch_distance 0x1
	.p2align	6
.LBB86_127:                             ; =>This Inner Loop Header: Depth=1
	ds_load_2addr_b64 v[193:196], v185 offset1:1
	s_waitcnt lgkmcnt(1)
	v_cmp_gt_f64_e32 vcc_lo, 0, v[176:177]
	v_xor_b32_e32 v197, 0x80000000, v177
	v_cmp_gt_f64_e64 s2, 0, v[178:179]
	v_xor_b32_e32 v199, 0x80000000, v179
	v_add_nc_u32_e32 v185, 16, v185
	s_waitcnt lgkmcnt(0)
	v_cmp_gt_f64_e64 s3, 0, v[193:194]
	v_mov_b32_e32 v201, v193
	v_dual_mov_b32 v203, v195 :: v_dual_cndmask_b32 v198, v177, v197
	v_xor_b32_e32 v197, 0x80000000, v194
	v_cndmask_b32_e64 v200, v179, v199, s2
	v_xor_b32_e32 v199, 0x80000000, v196
	s_delay_alu instid0(VALU_DEP_3) | instskip(SKIP_2) | instid1(VALU_DEP_2)
	v_cndmask_b32_e64 v202, v194, v197, s3
	v_cmp_gt_f64_e64 s3, 0, v[195:196]
	v_cndmask_b32_e32 v197, v176, v176, vcc_lo
	v_cndmask_b32_e64 v204, v196, v199, s3
	v_cndmask_b32_e64 v199, v178, v178, s2
	s_delay_alu instid0(VALU_DEP_2) | instskip(NEXT) | instid1(VALU_DEP_2)
	v_add_f64 v[201:202], v[201:202], v[203:204]
	v_add_f64 v[197:198], v[197:198], v[199:200]
	s_delay_alu instid0(VALU_DEP_1) | instskip(SKIP_4) | instid1(SALU_CYCLE_1)
	v_cmp_lt_f64_e32 vcc_lo, v[197:198], v[201:202]
	v_dual_cndmask_b32 v178, v178, v195 :: v_dual_cndmask_b32 v177, v177, v194
	v_dual_cndmask_b32 v176, v176, v193 :: v_dual_cndmask_b32 v179, v179, v196
	v_cndmask_b32_e64 v184, v184, s6, vcc_lo
	s_add_i32 s6, s6, 1
	s_cmp_lg_u32 s5, s6
	s_cbranch_scc1 .LBB86_127
.LBB86_128:
	s_set_inst_prefetch_distance 0x2
	s_waitcnt lgkmcnt(0)
	v_cmp_eq_f64_e32 vcc_lo, 0, v[176:177]
	v_cmp_eq_f64_e64 s2, 0, v[178:179]
	s_delay_alu instid0(VALU_DEP_1) | instskip(NEXT) | instid1(SALU_CYCLE_1)
	s_and_b32 s2, vcc_lo, s2
	s_and_saveexec_b32 s3, s2
	s_delay_alu instid0(SALU_CYCLE_1)
	s_xor_b32 s2, exec_lo, s3
; %bb.129:
	v_cmp_ne_u32_e32 vcc_lo, 0, v189
	v_cndmask_b32_e32 v189, 7, v189, vcc_lo
; %bb.130:
	s_and_not1_saveexec_b32 s3, s2
	s_cbranch_execz .LBB86_136
; %bb.131:
	v_cmp_gt_f64_e32 vcc_lo, 0, v[176:177]
	v_cmp_gt_f64_e64 s2, 0, v[178:179]
	v_xor_b32_e32 v185, 0x80000000, v177
	v_xor_b32_e32 v193, 0x80000000, v179
	s_delay_alu instid0(VALU_DEP_2) | instskip(NEXT) | instid1(VALU_DEP_2)
	v_cndmask_b32_e32 v194, v177, v185, vcc_lo
	v_cndmask_b32_e64 v196, v179, v193, s2
	v_cndmask_b32_e32 v193, v176, v176, vcc_lo
	v_cndmask_b32_e64 v195, v178, v178, s2
	s_mov_b32 s2, exec_lo
	s_delay_alu instid0(VALU_DEP_1)
	v_cmpx_ngt_f64_e32 v[193:194], v[195:196]
	s_xor_b32 s2, exec_lo, s2
	s_cbranch_execz .LBB86_133
; %bb.132:
	v_div_scale_f64 v[193:194], null, v[178:179], v[178:179], v[176:177]
	v_div_scale_f64 v[199:200], vcc_lo, v[176:177], v[178:179], v[176:177]
	s_delay_alu instid0(VALU_DEP_2) | instskip(SKIP_2) | instid1(VALU_DEP_1)
	v_rcp_f64_e32 v[195:196], v[193:194]
	s_waitcnt_depctr 0xfff
	v_fma_f64 v[197:198], -v[193:194], v[195:196], 1.0
	v_fma_f64 v[195:196], v[195:196], v[197:198], v[195:196]
	s_delay_alu instid0(VALU_DEP_1) | instskip(NEXT) | instid1(VALU_DEP_1)
	v_fma_f64 v[197:198], -v[193:194], v[195:196], 1.0
	v_fma_f64 v[195:196], v[195:196], v[197:198], v[195:196]
	s_delay_alu instid0(VALU_DEP_1) | instskip(NEXT) | instid1(VALU_DEP_1)
	v_mul_f64 v[197:198], v[199:200], v[195:196]
	v_fma_f64 v[193:194], -v[193:194], v[197:198], v[199:200]
	s_delay_alu instid0(VALU_DEP_1) | instskip(NEXT) | instid1(VALU_DEP_1)
	v_div_fmas_f64 v[193:194], v[193:194], v[195:196], v[197:198]
	v_div_fixup_f64 v[193:194], v[193:194], v[178:179], v[176:177]
	s_delay_alu instid0(VALU_DEP_1) | instskip(NEXT) | instid1(VALU_DEP_1)
	v_fma_f64 v[176:177], v[176:177], v[193:194], v[178:179]
	v_div_scale_f64 v[178:179], null, v[176:177], v[176:177], 1.0
	s_delay_alu instid0(VALU_DEP_1) | instskip(SKIP_2) | instid1(VALU_DEP_1)
	v_rcp_f64_e32 v[195:196], v[178:179]
	s_waitcnt_depctr 0xfff
	v_fma_f64 v[197:198], -v[178:179], v[195:196], 1.0
	v_fma_f64 v[195:196], v[195:196], v[197:198], v[195:196]
	s_delay_alu instid0(VALU_DEP_1) | instskip(NEXT) | instid1(VALU_DEP_1)
	v_fma_f64 v[197:198], -v[178:179], v[195:196], 1.0
	v_fma_f64 v[195:196], v[195:196], v[197:198], v[195:196]
	v_div_scale_f64 v[197:198], vcc_lo, 1.0, v[176:177], 1.0
	s_delay_alu instid0(VALU_DEP_1) | instskip(NEXT) | instid1(VALU_DEP_1)
	v_mul_f64 v[199:200], v[197:198], v[195:196]
	v_fma_f64 v[178:179], -v[178:179], v[199:200], v[197:198]
	s_delay_alu instid0(VALU_DEP_1) | instskip(NEXT) | instid1(VALU_DEP_1)
	v_div_fmas_f64 v[178:179], v[178:179], v[195:196], v[199:200]
	v_div_fixup_f64 v[178:179], v[178:179], v[176:177], 1.0
	s_delay_alu instid0(VALU_DEP_1)
	v_mul_f64 v[176:177], v[193:194], v[178:179]
	v_xor_b32_e32 v179, 0x80000000, v179
.LBB86_133:
	s_and_not1_saveexec_b32 s2, s2
	s_cbranch_execz .LBB86_135
; %bb.134:
	s_delay_alu instid0(VALU_DEP_1) | instskip(SKIP_1) | instid1(VALU_DEP_2)
	v_div_scale_f64 v[193:194], null, v[176:177], v[176:177], v[178:179]
	v_div_scale_f64 v[199:200], vcc_lo, v[178:179], v[176:177], v[178:179]
	v_rcp_f64_e32 v[195:196], v[193:194]
	s_waitcnt_depctr 0xfff
	v_fma_f64 v[197:198], -v[193:194], v[195:196], 1.0
	s_delay_alu instid0(VALU_DEP_1) | instskip(NEXT) | instid1(VALU_DEP_1)
	v_fma_f64 v[195:196], v[195:196], v[197:198], v[195:196]
	v_fma_f64 v[197:198], -v[193:194], v[195:196], 1.0
	s_delay_alu instid0(VALU_DEP_1) | instskip(NEXT) | instid1(VALU_DEP_1)
	v_fma_f64 v[195:196], v[195:196], v[197:198], v[195:196]
	v_mul_f64 v[197:198], v[199:200], v[195:196]
	s_delay_alu instid0(VALU_DEP_1) | instskip(NEXT) | instid1(VALU_DEP_1)
	v_fma_f64 v[193:194], -v[193:194], v[197:198], v[199:200]
	v_div_fmas_f64 v[193:194], v[193:194], v[195:196], v[197:198]
	s_delay_alu instid0(VALU_DEP_1) | instskip(NEXT) | instid1(VALU_DEP_1)
	v_div_fixup_f64 v[193:194], v[193:194], v[176:177], v[178:179]
	v_fma_f64 v[176:177], v[178:179], v[193:194], v[176:177]
	s_delay_alu instid0(VALU_DEP_1) | instskip(NEXT) | instid1(VALU_DEP_1)
	v_div_scale_f64 v[178:179], null, v[176:177], v[176:177], 1.0
	v_rcp_f64_e32 v[195:196], v[178:179]
	s_waitcnt_depctr 0xfff
	v_fma_f64 v[197:198], -v[178:179], v[195:196], 1.0
	s_delay_alu instid0(VALU_DEP_1) | instskip(NEXT) | instid1(VALU_DEP_1)
	v_fma_f64 v[195:196], v[195:196], v[197:198], v[195:196]
	v_fma_f64 v[197:198], -v[178:179], v[195:196], 1.0
	s_delay_alu instid0(VALU_DEP_1) | instskip(SKIP_1) | instid1(VALU_DEP_1)
	v_fma_f64 v[195:196], v[195:196], v[197:198], v[195:196]
	v_div_scale_f64 v[197:198], vcc_lo, 1.0, v[176:177], 1.0
	v_mul_f64 v[199:200], v[197:198], v[195:196]
	s_delay_alu instid0(VALU_DEP_1) | instskip(NEXT) | instid1(VALU_DEP_1)
	v_fma_f64 v[178:179], -v[178:179], v[199:200], v[197:198]
	v_div_fmas_f64 v[178:179], v[178:179], v[195:196], v[199:200]
	s_delay_alu instid0(VALU_DEP_1) | instskip(NEXT) | instid1(VALU_DEP_1)
	v_div_fixup_f64 v[176:177], v[178:179], v[176:177], 1.0
	v_mul_f64 v[178:179], v[193:194], -v[176:177]
.LBB86_135:
	s_or_b32 exec_lo, exec_lo, s2
.LBB86_136:
	s_delay_alu instid0(SALU_CYCLE_1) | instskip(NEXT) | instid1(SALU_CYCLE_1)
	s_or_b32 exec_lo, exec_lo, s3
	s_mov_b32 s2, exec_lo
	v_cmpx_ne_u32_e64 v192, v184
	s_xor_b32 s2, exec_lo, s2
	s_cbranch_execz .LBB86_142
; %bb.137:
	s_mov_b32 s3, exec_lo
	v_cmpx_eq_u32_e32 6, v192
	s_cbranch_execz .LBB86_141
; %bb.138:
	v_cmp_ne_u32_e32 vcc_lo, 6, v184
	s_xor_b32 s6, s4, -1
	s_delay_alu instid0(SALU_CYCLE_1) | instskip(NEXT) | instid1(SALU_CYCLE_1)
	s_and_b32 s7, s6, vcc_lo
	s_and_saveexec_b32 s6, s7
	s_cbranch_execz .LBB86_140
; %bb.139:
	v_ashrrev_i32_e32 v185, 31, v184
	s_delay_alu instid0(VALU_DEP_1) | instskip(NEXT) | instid1(VALU_DEP_1)
	v_lshlrev_b64 v[191:192], 2, v[184:185]
	v_add_co_u32 v191, vcc_lo, v182, v191
	s_delay_alu instid0(VALU_DEP_2)
	v_add_co_ci_u32_e32 v192, vcc_lo, v183, v192, vcc_lo
	s_clause 0x1
	flat_load_b32 v185, v[191:192]
	flat_load_b32 v193, v[182:183] offset:24
	s_waitcnt vmcnt(1) lgkmcnt(1)
	flat_store_b32 v[182:183], v185 offset:24
	s_waitcnt vmcnt(0) lgkmcnt(1)
	flat_store_b32 v[191:192], v193
.LBB86_140:
	s_or_b32 exec_lo, exec_lo, s6
	v_mov_b32_e32 v192, v184
	v_mov_b32_e32 v191, v184
.LBB86_141:
	s_or_b32 exec_lo, exec_lo, s3
.LBB86_142:
	s_and_not1_saveexec_b32 s2, s2
	s_cbranch_execz .LBB86_144
; %bb.143:
	v_mov_b32_e32 v192, 6
	ds_store_2addr_b64 v186, v[144:145], v[146:147] offset0:14 offset1:15
	ds_store_2addr_b64 v186, v[140:141], v[142:143] offset0:16 offset1:17
	;; [unrolled: 1-line block ×37, first 2 shown]
.LBB86_144:
	s_or_b32 exec_lo, exec_lo, s2
	s_delay_alu instid0(SALU_CYCLE_1)
	s_mov_b32 s2, exec_lo
	s_waitcnt lgkmcnt(0)
	s_waitcnt_vscnt null, 0x0
	s_barrier
	buffer_gl0_inv
	v_cmpx_lt_i32_e32 6, v192
	s_cbranch_execz .LBB86_146
; %bb.145:
	v_mul_f64 v[184:185], v[178:179], v[150:151]
	v_mul_f64 v[150:151], v[176:177], v[150:151]
	s_delay_alu instid0(VALU_DEP_2) | instskip(NEXT) | instid1(VALU_DEP_2)
	v_fma_f64 v[184:185], v[176:177], v[148:149], -v[184:185]
	v_fma_f64 v[150:151], v[178:179], v[148:149], v[150:151]
	ds_load_2addr_b64 v[176:179], v186 offset0:14 offset1:15
	s_waitcnt lgkmcnt(0)
	v_mul_f64 v[148:149], v[178:179], v[150:151]
	s_delay_alu instid0(VALU_DEP_1) | instskip(SKIP_1) | instid1(VALU_DEP_2)
	v_fma_f64 v[148:149], v[176:177], v[184:185], -v[148:149]
	v_mul_f64 v[176:177], v[176:177], v[150:151]
	v_add_f64 v[144:145], v[144:145], -v[148:149]
	s_delay_alu instid0(VALU_DEP_2) | instskip(NEXT) | instid1(VALU_DEP_1)
	v_fma_f64 v[176:177], v[178:179], v[184:185], v[176:177]
	v_add_f64 v[146:147], v[146:147], -v[176:177]
	ds_load_2addr_b64 v[176:179], v186 offset0:16 offset1:17
	s_waitcnt lgkmcnt(0)
	v_mul_f64 v[148:149], v[178:179], v[150:151]
	s_delay_alu instid0(VALU_DEP_1) | instskip(SKIP_1) | instid1(VALU_DEP_2)
	v_fma_f64 v[148:149], v[176:177], v[184:185], -v[148:149]
	v_mul_f64 v[176:177], v[176:177], v[150:151]
	v_add_f64 v[140:141], v[140:141], -v[148:149]
	s_delay_alu instid0(VALU_DEP_2) | instskip(NEXT) | instid1(VALU_DEP_1)
	v_fma_f64 v[176:177], v[178:179], v[184:185], v[176:177]
	v_add_f64 v[142:143], v[142:143], -v[176:177]
	ds_load_2addr_b64 v[176:179], v186 offset0:18 offset1:19
	s_waitcnt lgkmcnt(0)
	v_mul_f64 v[148:149], v[178:179], v[150:151]
	s_delay_alu instid0(VALU_DEP_1) | instskip(SKIP_1) | instid1(VALU_DEP_2)
	v_fma_f64 v[148:149], v[176:177], v[184:185], -v[148:149]
	v_mul_f64 v[176:177], v[176:177], v[150:151]
	v_add_f64 v[136:137], v[136:137], -v[148:149]
	s_delay_alu instid0(VALU_DEP_2) | instskip(NEXT) | instid1(VALU_DEP_1)
	v_fma_f64 v[176:177], v[178:179], v[184:185], v[176:177]
	v_add_f64 v[138:139], v[138:139], -v[176:177]
	ds_load_2addr_b64 v[176:179], v186 offset0:20 offset1:21
	s_waitcnt lgkmcnt(0)
	v_mul_f64 v[148:149], v[178:179], v[150:151]
	s_delay_alu instid0(VALU_DEP_1) | instskip(SKIP_1) | instid1(VALU_DEP_2)
	v_fma_f64 v[148:149], v[176:177], v[184:185], -v[148:149]
	v_mul_f64 v[176:177], v[176:177], v[150:151]
	v_add_f64 v[132:133], v[132:133], -v[148:149]
	s_delay_alu instid0(VALU_DEP_2) | instskip(NEXT) | instid1(VALU_DEP_1)
	v_fma_f64 v[176:177], v[178:179], v[184:185], v[176:177]
	v_add_f64 v[134:135], v[134:135], -v[176:177]
	ds_load_2addr_b64 v[176:179], v186 offset0:22 offset1:23
	s_waitcnt lgkmcnt(0)
	v_mul_f64 v[148:149], v[178:179], v[150:151]
	s_delay_alu instid0(VALU_DEP_1) | instskip(SKIP_1) | instid1(VALU_DEP_2)
	v_fma_f64 v[148:149], v[176:177], v[184:185], -v[148:149]
	v_mul_f64 v[176:177], v[176:177], v[150:151]
	v_add_f64 v[128:129], v[128:129], -v[148:149]
	s_delay_alu instid0(VALU_DEP_2) | instskip(NEXT) | instid1(VALU_DEP_1)
	v_fma_f64 v[176:177], v[178:179], v[184:185], v[176:177]
	v_add_f64 v[130:131], v[130:131], -v[176:177]
	ds_load_2addr_b64 v[176:179], v186 offset0:24 offset1:25
	s_waitcnt lgkmcnt(0)
	v_mul_f64 v[148:149], v[178:179], v[150:151]
	s_delay_alu instid0(VALU_DEP_1) | instskip(SKIP_1) | instid1(VALU_DEP_2)
	v_fma_f64 v[148:149], v[176:177], v[184:185], -v[148:149]
	v_mul_f64 v[176:177], v[176:177], v[150:151]
	v_add_f64 v[124:125], v[124:125], -v[148:149]
	s_delay_alu instid0(VALU_DEP_2) | instskip(NEXT) | instid1(VALU_DEP_1)
	v_fma_f64 v[176:177], v[178:179], v[184:185], v[176:177]
	v_add_f64 v[126:127], v[126:127], -v[176:177]
	ds_load_2addr_b64 v[176:179], v186 offset0:26 offset1:27
	s_waitcnt lgkmcnt(0)
	v_mul_f64 v[148:149], v[178:179], v[150:151]
	s_delay_alu instid0(VALU_DEP_1) | instskip(SKIP_1) | instid1(VALU_DEP_2)
	v_fma_f64 v[148:149], v[176:177], v[184:185], -v[148:149]
	v_mul_f64 v[176:177], v[176:177], v[150:151]
	v_add_f64 v[120:121], v[120:121], -v[148:149]
	s_delay_alu instid0(VALU_DEP_2) | instskip(NEXT) | instid1(VALU_DEP_1)
	v_fma_f64 v[176:177], v[178:179], v[184:185], v[176:177]
	v_add_f64 v[122:123], v[122:123], -v[176:177]
	ds_load_2addr_b64 v[176:179], v186 offset0:28 offset1:29
	s_waitcnt lgkmcnt(0)
	v_mul_f64 v[148:149], v[178:179], v[150:151]
	s_delay_alu instid0(VALU_DEP_1) | instskip(SKIP_1) | instid1(VALU_DEP_2)
	v_fma_f64 v[148:149], v[176:177], v[184:185], -v[148:149]
	v_mul_f64 v[176:177], v[176:177], v[150:151]
	v_add_f64 v[116:117], v[116:117], -v[148:149]
	s_delay_alu instid0(VALU_DEP_2) | instskip(NEXT) | instid1(VALU_DEP_1)
	v_fma_f64 v[176:177], v[178:179], v[184:185], v[176:177]
	v_add_f64 v[118:119], v[118:119], -v[176:177]
	ds_load_2addr_b64 v[176:179], v186 offset0:30 offset1:31
	s_waitcnt lgkmcnt(0)
	v_mul_f64 v[148:149], v[178:179], v[150:151]
	s_delay_alu instid0(VALU_DEP_1) | instskip(SKIP_1) | instid1(VALU_DEP_2)
	v_fma_f64 v[148:149], v[176:177], v[184:185], -v[148:149]
	v_mul_f64 v[176:177], v[176:177], v[150:151]
	v_add_f64 v[112:113], v[112:113], -v[148:149]
	s_delay_alu instid0(VALU_DEP_2) | instskip(NEXT) | instid1(VALU_DEP_1)
	v_fma_f64 v[176:177], v[178:179], v[184:185], v[176:177]
	v_add_f64 v[114:115], v[114:115], -v[176:177]
	ds_load_2addr_b64 v[176:179], v186 offset0:32 offset1:33
	s_waitcnt lgkmcnt(0)
	v_mul_f64 v[148:149], v[178:179], v[150:151]
	s_delay_alu instid0(VALU_DEP_1) | instskip(SKIP_1) | instid1(VALU_DEP_2)
	v_fma_f64 v[148:149], v[176:177], v[184:185], -v[148:149]
	v_mul_f64 v[176:177], v[176:177], v[150:151]
	v_add_f64 v[108:109], v[108:109], -v[148:149]
	s_delay_alu instid0(VALU_DEP_2) | instskip(NEXT) | instid1(VALU_DEP_1)
	v_fma_f64 v[176:177], v[178:179], v[184:185], v[176:177]
	v_add_f64 v[110:111], v[110:111], -v[176:177]
	ds_load_2addr_b64 v[176:179], v186 offset0:34 offset1:35
	s_waitcnt lgkmcnt(0)
	v_mul_f64 v[148:149], v[178:179], v[150:151]
	s_delay_alu instid0(VALU_DEP_1) | instskip(SKIP_1) | instid1(VALU_DEP_2)
	v_fma_f64 v[148:149], v[176:177], v[184:185], -v[148:149]
	v_mul_f64 v[176:177], v[176:177], v[150:151]
	v_add_f64 v[104:105], v[104:105], -v[148:149]
	s_delay_alu instid0(VALU_DEP_2) | instskip(NEXT) | instid1(VALU_DEP_1)
	v_fma_f64 v[176:177], v[178:179], v[184:185], v[176:177]
	v_add_f64 v[106:107], v[106:107], -v[176:177]
	ds_load_2addr_b64 v[176:179], v186 offset0:36 offset1:37
	s_waitcnt lgkmcnt(0)
	v_mul_f64 v[148:149], v[178:179], v[150:151]
	s_delay_alu instid0(VALU_DEP_1) | instskip(SKIP_1) | instid1(VALU_DEP_2)
	v_fma_f64 v[148:149], v[176:177], v[184:185], -v[148:149]
	v_mul_f64 v[176:177], v[176:177], v[150:151]
	v_add_f64 v[100:101], v[100:101], -v[148:149]
	s_delay_alu instid0(VALU_DEP_2) | instskip(NEXT) | instid1(VALU_DEP_1)
	v_fma_f64 v[176:177], v[178:179], v[184:185], v[176:177]
	v_add_f64 v[102:103], v[102:103], -v[176:177]
	ds_load_2addr_b64 v[176:179], v186 offset0:38 offset1:39
	s_waitcnt lgkmcnt(0)
	v_mul_f64 v[148:149], v[178:179], v[150:151]
	s_delay_alu instid0(VALU_DEP_1) | instskip(SKIP_1) | instid1(VALU_DEP_2)
	v_fma_f64 v[148:149], v[176:177], v[184:185], -v[148:149]
	v_mul_f64 v[176:177], v[176:177], v[150:151]
	v_add_f64 v[96:97], v[96:97], -v[148:149]
	s_delay_alu instid0(VALU_DEP_2) | instskip(NEXT) | instid1(VALU_DEP_1)
	v_fma_f64 v[176:177], v[178:179], v[184:185], v[176:177]
	v_add_f64 v[98:99], v[98:99], -v[176:177]
	ds_load_2addr_b64 v[176:179], v186 offset0:40 offset1:41
	s_waitcnt lgkmcnt(0)
	v_mul_f64 v[148:149], v[178:179], v[150:151]
	s_delay_alu instid0(VALU_DEP_1) | instskip(SKIP_1) | instid1(VALU_DEP_2)
	v_fma_f64 v[148:149], v[176:177], v[184:185], -v[148:149]
	v_mul_f64 v[176:177], v[176:177], v[150:151]
	v_add_f64 v[92:93], v[92:93], -v[148:149]
	s_delay_alu instid0(VALU_DEP_2) | instskip(NEXT) | instid1(VALU_DEP_1)
	v_fma_f64 v[176:177], v[178:179], v[184:185], v[176:177]
	v_add_f64 v[94:95], v[94:95], -v[176:177]
	ds_load_2addr_b64 v[176:179], v186 offset0:42 offset1:43
	s_waitcnt lgkmcnt(0)
	v_mul_f64 v[148:149], v[178:179], v[150:151]
	s_delay_alu instid0(VALU_DEP_1) | instskip(SKIP_1) | instid1(VALU_DEP_2)
	v_fma_f64 v[148:149], v[176:177], v[184:185], -v[148:149]
	v_mul_f64 v[176:177], v[176:177], v[150:151]
	v_add_f64 v[88:89], v[88:89], -v[148:149]
	s_delay_alu instid0(VALU_DEP_2) | instskip(NEXT) | instid1(VALU_DEP_1)
	v_fma_f64 v[176:177], v[178:179], v[184:185], v[176:177]
	v_add_f64 v[90:91], v[90:91], -v[176:177]
	ds_load_2addr_b64 v[176:179], v186 offset0:44 offset1:45
	s_waitcnt lgkmcnt(0)
	v_mul_f64 v[148:149], v[178:179], v[150:151]
	s_delay_alu instid0(VALU_DEP_1) | instskip(SKIP_1) | instid1(VALU_DEP_2)
	v_fma_f64 v[148:149], v[176:177], v[184:185], -v[148:149]
	v_mul_f64 v[176:177], v[176:177], v[150:151]
	v_add_f64 v[84:85], v[84:85], -v[148:149]
	s_delay_alu instid0(VALU_DEP_2) | instskip(NEXT) | instid1(VALU_DEP_1)
	v_fma_f64 v[176:177], v[178:179], v[184:185], v[176:177]
	v_add_f64 v[86:87], v[86:87], -v[176:177]
	ds_load_2addr_b64 v[176:179], v186 offset0:46 offset1:47
	s_waitcnt lgkmcnt(0)
	v_mul_f64 v[148:149], v[178:179], v[150:151]
	s_delay_alu instid0(VALU_DEP_1) | instskip(SKIP_1) | instid1(VALU_DEP_2)
	v_fma_f64 v[148:149], v[176:177], v[184:185], -v[148:149]
	v_mul_f64 v[176:177], v[176:177], v[150:151]
	v_add_f64 v[80:81], v[80:81], -v[148:149]
	s_delay_alu instid0(VALU_DEP_2) | instskip(NEXT) | instid1(VALU_DEP_1)
	v_fma_f64 v[176:177], v[178:179], v[184:185], v[176:177]
	v_add_f64 v[82:83], v[82:83], -v[176:177]
	ds_load_2addr_b64 v[176:179], v186 offset0:48 offset1:49
	s_waitcnt lgkmcnt(0)
	v_mul_f64 v[148:149], v[178:179], v[150:151]
	s_delay_alu instid0(VALU_DEP_1) | instskip(SKIP_1) | instid1(VALU_DEP_2)
	v_fma_f64 v[148:149], v[176:177], v[184:185], -v[148:149]
	v_mul_f64 v[176:177], v[176:177], v[150:151]
	v_add_f64 v[76:77], v[76:77], -v[148:149]
	s_delay_alu instid0(VALU_DEP_2) | instskip(NEXT) | instid1(VALU_DEP_1)
	v_fma_f64 v[176:177], v[178:179], v[184:185], v[176:177]
	v_add_f64 v[78:79], v[78:79], -v[176:177]
	ds_load_2addr_b64 v[176:179], v186 offset0:50 offset1:51
	s_waitcnt lgkmcnt(0)
	v_mul_f64 v[148:149], v[178:179], v[150:151]
	s_delay_alu instid0(VALU_DEP_1) | instskip(SKIP_1) | instid1(VALU_DEP_2)
	v_fma_f64 v[148:149], v[176:177], v[184:185], -v[148:149]
	v_mul_f64 v[176:177], v[176:177], v[150:151]
	v_add_f64 v[72:73], v[72:73], -v[148:149]
	s_delay_alu instid0(VALU_DEP_2) | instskip(NEXT) | instid1(VALU_DEP_1)
	v_fma_f64 v[176:177], v[178:179], v[184:185], v[176:177]
	v_add_f64 v[74:75], v[74:75], -v[176:177]
	ds_load_2addr_b64 v[176:179], v186 offset0:52 offset1:53
	s_waitcnt lgkmcnt(0)
	v_mul_f64 v[148:149], v[178:179], v[150:151]
	s_delay_alu instid0(VALU_DEP_1) | instskip(SKIP_1) | instid1(VALU_DEP_2)
	v_fma_f64 v[148:149], v[176:177], v[184:185], -v[148:149]
	v_mul_f64 v[176:177], v[176:177], v[150:151]
	v_add_f64 v[68:69], v[68:69], -v[148:149]
	s_delay_alu instid0(VALU_DEP_2) | instskip(NEXT) | instid1(VALU_DEP_1)
	v_fma_f64 v[176:177], v[178:179], v[184:185], v[176:177]
	v_add_f64 v[70:71], v[70:71], -v[176:177]
	ds_load_2addr_b64 v[176:179], v186 offset0:54 offset1:55
	s_waitcnt lgkmcnt(0)
	v_mul_f64 v[148:149], v[178:179], v[150:151]
	s_delay_alu instid0(VALU_DEP_1) | instskip(SKIP_1) | instid1(VALU_DEP_2)
	v_fma_f64 v[148:149], v[176:177], v[184:185], -v[148:149]
	v_mul_f64 v[176:177], v[176:177], v[150:151]
	v_add_f64 v[64:65], v[64:65], -v[148:149]
	s_delay_alu instid0(VALU_DEP_2) | instskip(NEXT) | instid1(VALU_DEP_1)
	v_fma_f64 v[176:177], v[178:179], v[184:185], v[176:177]
	v_add_f64 v[66:67], v[66:67], -v[176:177]
	ds_load_2addr_b64 v[176:179], v186 offset0:56 offset1:57
	s_waitcnt lgkmcnt(0)
	v_mul_f64 v[148:149], v[178:179], v[150:151]
	s_delay_alu instid0(VALU_DEP_1) | instskip(SKIP_1) | instid1(VALU_DEP_2)
	v_fma_f64 v[148:149], v[176:177], v[184:185], -v[148:149]
	v_mul_f64 v[176:177], v[176:177], v[150:151]
	v_add_f64 v[60:61], v[60:61], -v[148:149]
	s_delay_alu instid0(VALU_DEP_2) | instskip(NEXT) | instid1(VALU_DEP_1)
	v_fma_f64 v[176:177], v[178:179], v[184:185], v[176:177]
	v_add_f64 v[62:63], v[62:63], -v[176:177]
	ds_load_2addr_b64 v[176:179], v186 offset0:58 offset1:59
	s_waitcnt lgkmcnt(0)
	v_mul_f64 v[148:149], v[178:179], v[150:151]
	s_delay_alu instid0(VALU_DEP_1) | instskip(SKIP_1) | instid1(VALU_DEP_2)
	v_fma_f64 v[148:149], v[176:177], v[184:185], -v[148:149]
	v_mul_f64 v[176:177], v[176:177], v[150:151]
	v_add_f64 v[56:57], v[56:57], -v[148:149]
	s_delay_alu instid0(VALU_DEP_2) | instskip(NEXT) | instid1(VALU_DEP_1)
	v_fma_f64 v[176:177], v[178:179], v[184:185], v[176:177]
	v_add_f64 v[58:59], v[58:59], -v[176:177]
	ds_load_2addr_b64 v[176:179], v186 offset0:60 offset1:61
	s_waitcnt lgkmcnt(0)
	v_mul_f64 v[148:149], v[178:179], v[150:151]
	s_delay_alu instid0(VALU_DEP_1) | instskip(SKIP_1) | instid1(VALU_DEP_2)
	v_fma_f64 v[148:149], v[176:177], v[184:185], -v[148:149]
	v_mul_f64 v[176:177], v[176:177], v[150:151]
	v_add_f64 v[52:53], v[52:53], -v[148:149]
	s_delay_alu instid0(VALU_DEP_2) | instskip(NEXT) | instid1(VALU_DEP_1)
	v_fma_f64 v[176:177], v[178:179], v[184:185], v[176:177]
	v_add_f64 v[54:55], v[54:55], -v[176:177]
	ds_load_2addr_b64 v[176:179], v186 offset0:62 offset1:63
	s_waitcnt lgkmcnt(0)
	v_mul_f64 v[148:149], v[178:179], v[150:151]
	s_delay_alu instid0(VALU_DEP_1) | instskip(SKIP_1) | instid1(VALU_DEP_2)
	v_fma_f64 v[148:149], v[176:177], v[184:185], -v[148:149]
	v_mul_f64 v[176:177], v[176:177], v[150:151]
	v_add_f64 v[48:49], v[48:49], -v[148:149]
	s_delay_alu instid0(VALU_DEP_2) | instskip(NEXT) | instid1(VALU_DEP_1)
	v_fma_f64 v[176:177], v[178:179], v[184:185], v[176:177]
	v_add_f64 v[50:51], v[50:51], -v[176:177]
	ds_load_2addr_b64 v[176:179], v186 offset0:64 offset1:65
	s_waitcnt lgkmcnt(0)
	v_mul_f64 v[148:149], v[178:179], v[150:151]
	s_delay_alu instid0(VALU_DEP_1) | instskip(SKIP_1) | instid1(VALU_DEP_2)
	v_fma_f64 v[148:149], v[176:177], v[184:185], -v[148:149]
	v_mul_f64 v[176:177], v[176:177], v[150:151]
	v_add_f64 v[44:45], v[44:45], -v[148:149]
	s_delay_alu instid0(VALU_DEP_2) | instskip(NEXT) | instid1(VALU_DEP_1)
	v_fma_f64 v[176:177], v[178:179], v[184:185], v[176:177]
	v_add_f64 v[46:47], v[46:47], -v[176:177]
	ds_load_2addr_b64 v[176:179], v186 offset0:66 offset1:67
	s_waitcnt lgkmcnt(0)
	v_mul_f64 v[148:149], v[178:179], v[150:151]
	s_delay_alu instid0(VALU_DEP_1) | instskip(SKIP_1) | instid1(VALU_DEP_2)
	v_fma_f64 v[148:149], v[176:177], v[184:185], -v[148:149]
	v_mul_f64 v[176:177], v[176:177], v[150:151]
	v_add_f64 v[40:41], v[40:41], -v[148:149]
	s_delay_alu instid0(VALU_DEP_2) | instskip(NEXT) | instid1(VALU_DEP_1)
	v_fma_f64 v[176:177], v[178:179], v[184:185], v[176:177]
	v_add_f64 v[42:43], v[42:43], -v[176:177]
	ds_load_2addr_b64 v[176:179], v186 offset0:68 offset1:69
	s_waitcnt lgkmcnt(0)
	v_mul_f64 v[148:149], v[178:179], v[150:151]
	s_delay_alu instid0(VALU_DEP_1) | instskip(SKIP_1) | instid1(VALU_DEP_2)
	v_fma_f64 v[148:149], v[176:177], v[184:185], -v[148:149]
	v_mul_f64 v[176:177], v[176:177], v[150:151]
	v_add_f64 v[36:37], v[36:37], -v[148:149]
	s_delay_alu instid0(VALU_DEP_2) | instskip(NEXT) | instid1(VALU_DEP_1)
	v_fma_f64 v[176:177], v[178:179], v[184:185], v[176:177]
	v_add_f64 v[38:39], v[38:39], -v[176:177]
	ds_load_2addr_b64 v[176:179], v186 offset0:70 offset1:71
	s_waitcnt lgkmcnt(0)
	v_mul_f64 v[148:149], v[178:179], v[150:151]
	s_delay_alu instid0(VALU_DEP_1) | instskip(SKIP_1) | instid1(VALU_DEP_2)
	v_fma_f64 v[148:149], v[176:177], v[184:185], -v[148:149]
	v_mul_f64 v[176:177], v[176:177], v[150:151]
	v_add_f64 v[32:33], v[32:33], -v[148:149]
	s_delay_alu instid0(VALU_DEP_2) | instskip(NEXT) | instid1(VALU_DEP_1)
	v_fma_f64 v[176:177], v[178:179], v[184:185], v[176:177]
	v_add_f64 v[34:35], v[34:35], -v[176:177]
	ds_load_2addr_b64 v[176:179], v186 offset0:72 offset1:73
	s_waitcnt lgkmcnt(0)
	v_mul_f64 v[148:149], v[178:179], v[150:151]
	s_delay_alu instid0(VALU_DEP_1) | instskip(SKIP_1) | instid1(VALU_DEP_2)
	v_fma_f64 v[148:149], v[176:177], v[184:185], -v[148:149]
	v_mul_f64 v[176:177], v[176:177], v[150:151]
	v_add_f64 v[28:29], v[28:29], -v[148:149]
	s_delay_alu instid0(VALU_DEP_2) | instskip(NEXT) | instid1(VALU_DEP_1)
	v_fma_f64 v[176:177], v[178:179], v[184:185], v[176:177]
	v_add_f64 v[30:31], v[30:31], -v[176:177]
	ds_load_2addr_b64 v[176:179], v186 offset0:74 offset1:75
	s_waitcnt lgkmcnt(0)
	v_mul_f64 v[148:149], v[178:179], v[150:151]
	s_delay_alu instid0(VALU_DEP_1) | instskip(SKIP_1) | instid1(VALU_DEP_2)
	v_fma_f64 v[148:149], v[176:177], v[184:185], -v[148:149]
	v_mul_f64 v[176:177], v[176:177], v[150:151]
	v_add_f64 v[24:25], v[24:25], -v[148:149]
	s_delay_alu instid0(VALU_DEP_2) | instskip(NEXT) | instid1(VALU_DEP_1)
	v_fma_f64 v[176:177], v[178:179], v[184:185], v[176:177]
	v_add_f64 v[26:27], v[26:27], -v[176:177]
	ds_load_2addr_b64 v[176:179], v186 offset0:76 offset1:77
	s_waitcnt lgkmcnt(0)
	v_mul_f64 v[148:149], v[178:179], v[150:151]
	s_delay_alu instid0(VALU_DEP_1) | instskip(SKIP_1) | instid1(VALU_DEP_2)
	v_fma_f64 v[148:149], v[176:177], v[184:185], -v[148:149]
	v_mul_f64 v[176:177], v[176:177], v[150:151]
	v_add_f64 v[20:21], v[20:21], -v[148:149]
	s_delay_alu instid0(VALU_DEP_2) | instskip(NEXT) | instid1(VALU_DEP_1)
	v_fma_f64 v[176:177], v[178:179], v[184:185], v[176:177]
	v_add_f64 v[22:23], v[22:23], -v[176:177]
	ds_load_2addr_b64 v[176:179], v186 offset0:78 offset1:79
	s_waitcnt lgkmcnt(0)
	v_mul_f64 v[148:149], v[178:179], v[150:151]
	s_delay_alu instid0(VALU_DEP_1) | instskip(SKIP_1) | instid1(VALU_DEP_2)
	v_fma_f64 v[148:149], v[176:177], v[184:185], -v[148:149]
	v_mul_f64 v[176:177], v[176:177], v[150:151]
	v_add_f64 v[16:17], v[16:17], -v[148:149]
	s_delay_alu instid0(VALU_DEP_2) | instskip(NEXT) | instid1(VALU_DEP_1)
	v_fma_f64 v[176:177], v[178:179], v[184:185], v[176:177]
	v_add_f64 v[18:19], v[18:19], -v[176:177]
	ds_load_2addr_b64 v[176:179], v186 offset0:80 offset1:81
	s_waitcnt lgkmcnt(0)
	v_mul_f64 v[148:149], v[178:179], v[150:151]
	s_delay_alu instid0(VALU_DEP_1) | instskip(SKIP_1) | instid1(VALU_DEP_2)
	v_fma_f64 v[148:149], v[176:177], v[184:185], -v[148:149]
	v_mul_f64 v[176:177], v[176:177], v[150:151]
	v_add_f64 v[12:13], v[12:13], -v[148:149]
	s_delay_alu instid0(VALU_DEP_2) | instskip(NEXT) | instid1(VALU_DEP_1)
	v_fma_f64 v[176:177], v[178:179], v[184:185], v[176:177]
	v_add_f64 v[14:15], v[14:15], -v[176:177]
	ds_load_2addr_b64 v[176:179], v186 offset0:82 offset1:83
	s_waitcnt lgkmcnt(0)
	v_mul_f64 v[148:149], v[178:179], v[150:151]
	s_delay_alu instid0(VALU_DEP_1) | instskip(SKIP_1) | instid1(VALU_DEP_2)
	v_fma_f64 v[148:149], v[176:177], v[184:185], -v[148:149]
	v_mul_f64 v[176:177], v[176:177], v[150:151]
	v_add_f64 v[8:9], v[8:9], -v[148:149]
	s_delay_alu instid0(VALU_DEP_2) | instskip(NEXT) | instid1(VALU_DEP_1)
	v_fma_f64 v[176:177], v[178:179], v[184:185], v[176:177]
	v_add_f64 v[10:11], v[10:11], -v[176:177]
	ds_load_2addr_b64 v[176:179], v186 offset0:84 offset1:85
	s_waitcnt lgkmcnt(0)
	v_mul_f64 v[148:149], v[178:179], v[150:151]
	s_delay_alu instid0(VALU_DEP_1) | instskip(SKIP_1) | instid1(VALU_DEP_2)
	v_fma_f64 v[148:149], v[176:177], v[184:185], -v[148:149]
	v_mul_f64 v[176:177], v[176:177], v[150:151]
	v_add_f64 v[4:5], v[4:5], -v[148:149]
	s_delay_alu instid0(VALU_DEP_2) | instskip(NEXT) | instid1(VALU_DEP_1)
	v_fma_f64 v[176:177], v[178:179], v[184:185], v[176:177]
	v_add_f64 v[6:7], v[6:7], -v[176:177]
	ds_load_2addr_b64 v[176:179], v186 offset0:86 offset1:87
	s_waitcnt lgkmcnt(0)
	v_mul_f64 v[148:149], v[178:179], v[150:151]
	s_delay_alu instid0(VALU_DEP_1) | instskip(SKIP_1) | instid1(VALU_DEP_2)
	v_fma_f64 v[148:149], v[176:177], v[184:185], -v[148:149]
	v_mul_f64 v[176:177], v[176:177], v[150:151]
	v_add_f64 v[0:1], v[0:1], -v[148:149]
	s_delay_alu instid0(VALU_DEP_2) | instskip(SKIP_1) | instid1(VALU_DEP_2)
	v_fma_f64 v[176:177], v[178:179], v[184:185], v[176:177]
	v_dual_mov_b32 v148, v184 :: v_dual_mov_b32 v149, v185
	v_add_f64 v[2:3], v[2:3], -v[176:177]
.LBB86_146:
	s_or_b32 exec_lo, exec_lo, s2
	v_lshl_add_u32 v176, v192, 4, v186
	s_barrier
	buffer_gl0_inv
	v_mov_b32_e32 v184, 7
	ds_store_2addr_b64 v176, v[144:145], v[146:147] offset1:1
	s_waitcnt lgkmcnt(0)
	s_barrier
	buffer_gl0_inv
	ds_load_2addr_b64 v[176:179], v186 offset0:14 offset1:15
	s_cmp_lt_i32 s5, 9
	s_cbranch_scc1 .LBB86_149
; %bb.147:
	v_add3_u32 v185, v190, 0, 0x80
	v_mov_b32_e32 v184, 7
	s_mov_b32 s6, 8
	s_set_inst_prefetch_distance 0x1
	.p2align	6
.LBB86_148:                             ; =>This Inner Loop Header: Depth=1
	ds_load_2addr_b64 v[193:196], v185 offset1:1
	s_waitcnt lgkmcnt(1)
	v_cmp_gt_f64_e32 vcc_lo, 0, v[176:177]
	v_xor_b32_e32 v197, 0x80000000, v177
	v_cmp_gt_f64_e64 s2, 0, v[178:179]
	v_xor_b32_e32 v199, 0x80000000, v179
	v_add_nc_u32_e32 v185, 16, v185
	s_waitcnt lgkmcnt(0)
	v_cmp_gt_f64_e64 s3, 0, v[193:194]
	v_mov_b32_e32 v201, v193
	v_dual_mov_b32 v203, v195 :: v_dual_cndmask_b32 v198, v177, v197
	v_xor_b32_e32 v197, 0x80000000, v194
	v_cndmask_b32_e64 v200, v179, v199, s2
	v_xor_b32_e32 v199, 0x80000000, v196
	s_delay_alu instid0(VALU_DEP_3) | instskip(SKIP_2) | instid1(VALU_DEP_2)
	v_cndmask_b32_e64 v202, v194, v197, s3
	v_cmp_gt_f64_e64 s3, 0, v[195:196]
	v_cndmask_b32_e32 v197, v176, v176, vcc_lo
	v_cndmask_b32_e64 v204, v196, v199, s3
	v_cndmask_b32_e64 v199, v178, v178, s2
	s_delay_alu instid0(VALU_DEP_2) | instskip(NEXT) | instid1(VALU_DEP_2)
	v_add_f64 v[201:202], v[201:202], v[203:204]
	v_add_f64 v[197:198], v[197:198], v[199:200]
	s_delay_alu instid0(VALU_DEP_1) | instskip(SKIP_4) | instid1(SALU_CYCLE_1)
	v_cmp_lt_f64_e32 vcc_lo, v[197:198], v[201:202]
	v_dual_cndmask_b32 v178, v178, v195 :: v_dual_cndmask_b32 v177, v177, v194
	v_dual_cndmask_b32 v176, v176, v193 :: v_dual_cndmask_b32 v179, v179, v196
	v_cndmask_b32_e64 v184, v184, s6, vcc_lo
	s_add_i32 s6, s6, 1
	s_cmp_lg_u32 s5, s6
	s_cbranch_scc1 .LBB86_148
.LBB86_149:
	s_set_inst_prefetch_distance 0x2
	s_waitcnt lgkmcnt(0)
	v_cmp_eq_f64_e32 vcc_lo, 0, v[176:177]
	v_cmp_eq_f64_e64 s2, 0, v[178:179]
	s_delay_alu instid0(VALU_DEP_1) | instskip(NEXT) | instid1(SALU_CYCLE_1)
	s_and_b32 s2, vcc_lo, s2
	s_and_saveexec_b32 s3, s2
	s_delay_alu instid0(SALU_CYCLE_1)
	s_xor_b32 s2, exec_lo, s3
; %bb.150:
	v_cmp_ne_u32_e32 vcc_lo, 0, v189
	v_cndmask_b32_e32 v189, 8, v189, vcc_lo
; %bb.151:
	s_and_not1_saveexec_b32 s3, s2
	s_cbranch_execz .LBB86_157
; %bb.152:
	v_cmp_gt_f64_e32 vcc_lo, 0, v[176:177]
	v_cmp_gt_f64_e64 s2, 0, v[178:179]
	v_xor_b32_e32 v185, 0x80000000, v177
	v_xor_b32_e32 v193, 0x80000000, v179
	s_delay_alu instid0(VALU_DEP_2) | instskip(NEXT) | instid1(VALU_DEP_2)
	v_cndmask_b32_e32 v194, v177, v185, vcc_lo
	v_cndmask_b32_e64 v196, v179, v193, s2
	v_cndmask_b32_e32 v193, v176, v176, vcc_lo
	v_cndmask_b32_e64 v195, v178, v178, s2
	s_mov_b32 s2, exec_lo
	s_delay_alu instid0(VALU_DEP_1)
	v_cmpx_ngt_f64_e32 v[193:194], v[195:196]
	s_xor_b32 s2, exec_lo, s2
	s_cbranch_execz .LBB86_154
; %bb.153:
	v_div_scale_f64 v[193:194], null, v[178:179], v[178:179], v[176:177]
	v_div_scale_f64 v[199:200], vcc_lo, v[176:177], v[178:179], v[176:177]
	s_delay_alu instid0(VALU_DEP_2) | instskip(SKIP_2) | instid1(VALU_DEP_1)
	v_rcp_f64_e32 v[195:196], v[193:194]
	s_waitcnt_depctr 0xfff
	v_fma_f64 v[197:198], -v[193:194], v[195:196], 1.0
	v_fma_f64 v[195:196], v[195:196], v[197:198], v[195:196]
	s_delay_alu instid0(VALU_DEP_1) | instskip(NEXT) | instid1(VALU_DEP_1)
	v_fma_f64 v[197:198], -v[193:194], v[195:196], 1.0
	v_fma_f64 v[195:196], v[195:196], v[197:198], v[195:196]
	s_delay_alu instid0(VALU_DEP_1) | instskip(NEXT) | instid1(VALU_DEP_1)
	v_mul_f64 v[197:198], v[199:200], v[195:196]
	v_fma_f64 v[193:194], -v[193:194], v[197:198], v[199:200]
	s_delay_alu instid0(VALU_DEP_1) | instskip(NEXT) | instid1(VALU_DEP_1)
	v_div_fmas_f64 v[193:194], v[193:194], v[195:196], v[197:198]
	v_div_fixup_f64 v[193:194], v[193:194], v[178:179], v[176:177]
	s_delay_alu instid0(VALU_DEP_1) | instskip(NEXT) | instid1(VALU_DEP_1)
	v_fma_f64 v[176:177], v[176:177], v[193:194], v[178:179]
	v_div_scale_f64 v[178:179], null, v[176:177], v[176:177], 1.0
	s_delay_alu instid0(VALU_DEP_1) | instskip(SKIP_2) | instid1(VALU_DEP_1)
	v_rcp_f64_e32 v[195:196], v[178:179]
	s_waitcnt_depctr 0xfff
	v_fma_f64 v[197:198], -v[178:179], v[195:196], 1.0
	v_fma_f64 v[195:196], v[195:196], v[197:198], v[195:196]
	s_delay_alu instid0(VALU_DEP_1) | instskip(NEXT) | instid1(VALU_DEP_1)
	v_fma_f64 v[197:198], -v[178:179], v[195:196], 1.0
	v_fma_f64 v[195:196], v[195:196], v[197:198], v[195:196]
	v_div_scale_f64 v[197:198], vcc_lo, 1.0, v[176:177], 1.0
	s_delay_alu instid0(VALU_DEP_1) | instskip(NEXT) | instid1(VALU_DEP_1)
	v_mul_f64 v[199:200], v[197:198], v[195:196]
	v_fma_f64 v[178:179], -v[178:179], v[199:200], v[197:198]
	s_delay_alu instid0(VALU_DEP_1) | instskip(NEXT) | instid1(VALU_DEP_1)
	v_div_fmas_f64 v[178:179], v[178:179], v[195:196], v[199:200]
	v_div_fixup_f64 v[178:179], v[178:179], v[176:177], 1.0
	s_delay_alu instid0(VALU_DEP_1)
	v_mul_f64 v[176:177], v[193:194], v[178:179]
	v_xor_b32_e32 v179, 0x80000000, v179
.LBB86_154:
	s_and_not1_saveexec_b32 s2, s2
	s_cbranch_execz .LBB86_156
; %bb.155:
	s_delay_alu instid0(VALU_DEP_1) | instskip(SKIP_1) | instid1(VALU_DEP_2)
	v_div_scale_f64 v[193:194], null, v[176:177], v[176:177], v[178:179]
	v_div_scale_f64 v[199:200], vcc_lo, v[178:179], v[176:177], v[178:179]
	v_rcp_f64_e32 v[195:196], v[193:194]
	s_waitcnt_depctr 0xfff
	v_fma_f64 v[197:198], -v[193:194], v[195:196], 1.0
	s_delay_alu instid0(VALU_DEP_1) | instskip(NEXT) | instid1(VALU_DEP_1)
	v_fma_f64 v[195:196], v[195:196], v[197:198], v[195:196]
	v_fma_f64 v[197:198], -v[193:194], v[195:196], 1.0
	s_delay_alu instid0(VALU_DEP_1) | instskip(NEXT) | instid1(VALU_DEP_1)
	v_fma_f64 v[195:196], v[195:196], v[197:198], v[195:196]
	v_mul_f64 v[197:198], v[199:200], v[195:196]
	s_delay_alu instid0(VALU_DEP_1) | instskip(NEXT) | instid1(VALU_DEP_1)
	v_fma_f64 v[193:194], -v[193:194], v[197:198], v[199:200]
	v_div_fmas_f64 v[193:194], v[193:194], v[195:196], v[197:198]
	s_delay_alu instid0(VALU_DEP_1) | instskip(NEXT) | instid1(VALU_DEP_1)
	v_div_fixup_f64 v[193:194], v[193:194], v[176:177], v[178:179]
	v_fma_f64 v[176:177], v[178:179], v[193:194], v[176:177]
	s_delay_alu instid0(VALU_DEP_1) | instskip(NEXT) | instid1(VALU_DEP_1)
	v_div_scale_f64 v[178:179], null, v[176:177], v[176:177], 1.0
	v_rcp_f64_e32 v[195:196], v[178:179]
	s_waitcnt_depctr 0xfff
	v_fma_f64 v[197:198], -v[178:179], v[195:196], 1.0
	s_delay_alu instid0(VALU_DEP_1) | instskip(NEXT) | instid1(VALU_DEP_1)
	v_fma_f64 v[195:196], v[195:196], v[197:198], v[195:196]
	v_fma_f64 v[197:198], -v[178:179], v[195:196], 1.0
	s_delay_alu instid0(VALU_DEP_1) | instskip(SKIP_1) | instid1(VALU_DEP_1)
	v_fma_f64 v[195:196], v[195:196], v[197:198], v[195:196]
	v_div_scale_f64 v[197:198], vcc_lo, 1.0, v[176:177], 1.0
	v_mul_f64 v[199:200], v[197:198], v[195:196]
	s_delay_alu instid0(VALU_DEP_1) | instskip(NEXT) | instid1(VALU_DEP_1)
	v_fma_f64 v[178:179], -v[178:179], v[199:200], v[197:198]
	v_div_fmas_f64 v[178:179], v[178:179], v[195:196], v[199:200]
	s_delay_alu instid0(VALU_DEP_1) | instskip(NEXT) | instid1(VALU_DEP_1)
	v_div_fixup_f64 v[176:177], v[178:179], v[176:177], 1.0
	v_mul_f64 v[178:179], v[193:194], -v[176:177]
.LBB86_156:
	s_or_b32 exec_lo, exec_lo, s2
.LBB86_157:
	s_delay_alu instid0(SALU_CYCLE_1) | instskip(NEXT) | instid1(SALU_CYCLE_1)
	s_or_b32 exec_lo, exec_lo, s3
	s_mov_b32 s2, exec_lo
	v_cmpx_ne_u32_e64 v192, v184
	s_xor_b32 s2, exec_lo, s2
	s_cbranch_execz .LBB86_163
; %bb.158:
	s_mov_b32 s3, exec_lo
	v_cmpx_eq_u32_e32 7, v192
	s_cbranch_execz .LBB86_162
; %bb.159:
	v_cmp_ne_u32_e32 vcc_lo, 7, v184
	s_xor_b32 s6, s4, -1
	s_delay_alu instid0(SALU_CYCLE_1) | instskip(NEXT) | instid1(SALU_CYCLE_1)
	s_and_b32 s7, s6, vcc_lo
	s_and_saveexec_b32 s6, s7
	s_cbranch_execz .LBB86_161
; %bb.160:
	v_ashrrev_i32_e32 v185, 31, v184
	s_delay_alu instid0(VALU_DEP_1) | instskip(NEXT) | instid1(VALU_DEP_1)
	v_lshlrev_b64 v[191:192], 2, v[184:185]
	v_add_co_u32 v191, vcc_lo, v182, v191
	s_delay_alu instid0(VALU_DEP_2)
	v_add_co_ci_u32_e32 v192, vcc_lo, v183, v192, vcc_lo
	s_clause 0x1
	flat_load_b32 v185, v[191:192]
	flat_load_b32 v193, v[182:183] offset:28
	s_waitcnt vmcnt(1) lgkmcnt(1)
	flat_store_b32 v[182:183], v185 offset:28
	s_waitcnt vmcnt(0) lgkmcnt(1)
	flat_store_b32 v[191:192], v193
.LBB86_161:
	s_or_b32 exec_lo, exec_lo, s6
	v_mov_b32_e32 v192, v184
	v_mov_b32_e32 v191, v184
.LBB86_162:
	s_or_b32 exec_lo, exec_lo, s3
.LBB86_163:
	s_and_not1_saveexec_b32 s2, s2
	s_cbranch_execz .LBB86_165
; %bb.164:
	v_mov_b32_e32 v192, 7
	ds_store_2addr_b64 v186, v[140:141], v[142:143] offset0:16 offset1:17
	ds_store_2addr_b64 v186, v[136:137], v[138:139] offset0:18 offset1:19
	;; [unrolled: 1-line block ×36, first 2 shown]
.LBB86_165:
	s_or_b32 exec_lo, exec_lo, s2
	s_delay_alu instid0(SALU_CYCLE_1)
	s_mov_b32 s2, exec_lo
	s_waitcnt lgkmcnt(0)
	s_waitcnt_vscnt null, 0x0
	s_barrier
	buffer_gl0_inv
	v_cmpx_lt_i32_e32 7, v192
	s_cbranch_execz .LBB86_167
; %bb.166:
	v_mul_f64 v[184:185], v[178:179], v[146:147]
	v_mul_f64 v[146:147], v[176:177], v[146:147]
	s_delay_alu instid0(VALU_DEP_2) | instskip(NEXT) | instid1(VALU_DEP_2)
	v_fma_f64 v[184:185], v[176:177], v[144:145], -v[184:185]
	v_fma_f64 v[146:147], v[178:179], v[144:145], v[146:147]
	ds_load_2addr_b64 v[176:179], v186 offset0:16 offset1:17
	s_waitcnt lgkmcnt(0)
	v_mul_f64 v[144:145], v[178:179], v[146:147]
	s_delay_alu instid0(VALU_DEP_1) | instskip(SKIP_1) | instid1(VALU_DEP_2)
	v_fma_f64 v[144:145], v[176:177], v[184:185], -v[144:145]
	v_mul_f64 v[176:177], v[176:177], v[146:147]
	v_add_f64 v[140:141], v[140:141], -v[144:145]
	s_delay_alu instid0(VALU_DEP_2) | instskip(NEXT) | instid1(VALU_DEP_1)
	v_fma_f64 v[176:177], v[178:179], v[184:185], v[176:177]
	v_add_f64 v[142:143], v[142:143], -v[176:177]
	ds_load_2addr_b64 v[176:179], v186 offset0:18 offset1:19
	s_waitcnt lgkmcnt(0)
	v_mul_f64 v[144:145], v[178:179], v[146:147]
	s_delay_alu instid0(VALU_DEP_1) | instskip(SKIP_1) | instid1(VALU_DEP_2)
	v_fma_f64 v[144:145], v[176:177], v[184:185], -v[144:145]
	v_mul_f64 v[176:177], v[176:177], v[146:147]
	v_add_f64 v[136:137], v[136:137], -v[144:145]
	s_delay_alu instid0(VALU_DEP_2) | instskip(NEXT) | instid1(VALU_DEP_1)
	v_fma_f64 v[176:177], v[178:179], v[184:185], v[176:177]
	v_add_f64 v[138:139], v[138:139], -v[176:177]
	;; [unrolled: 10-line block ×35, first 2 shown]
	ds_load_2addr_b64 v[176:179], v186 offset0:86 offset1:87
	s_waitcnt lgkmcnt(0)
	v_mul_f64 v[144:145], v[178:179], v[146:147]
	s_delay_alu instid0(VALU_DEP_1) | instskip(SKIP_1) | instid1(VALU_DEP_2)
	v_fma_f64 v[144:145], v[176:177], v[184:185], -v[144:145]
	v_mul_f64 v[176:177], v[176:177], v[146:147]
	v_add_f64 v[0:1], v[0:1], -v[144:145]
	s_delay_alu instid0(VALU_DEP_2) | instskip(SKIP_1) | instid1(VALU_DEP_2)
	v_fma_f64 v[176:177], v[178:179], v[184:185], v[176:177]
	v_dual_mov_b32 v144, v184 :: v_dual_mov_b32 v145, v185
	v_add_f64 v[2:3], v[2:3], -v[176:177]
.LBB86_167:
	s_or_b32 exec_lo, exec_lo, s2
	v_lshl_add_u32 v176, v192, 4, v186
	s_barrier
	buffer_gl0_inv
	v_mov_b32_e32 v184, 8
	ds_store_2addr_b64 v176, v[140:141], v[142:143] offset1:1
	s_waitcnt lgkmcnt(0)
	s_barrier
	buffer_gl0_inv
	ds_load_2addr_b64 v[176:179], v186 offset0:16 offset1:17
	s_cmp_lt_i32 s5, 10
	s_cbranch_scc1 .LBB86_170
; %bb.168:
	v_add3_u32 v185, v190, 0, 0x90
	v_mov_b32_e32 v184, 8
	s_mov_b32 s6, 9
	s_set_inst_prefetch_distance 0x1
	.p2align	6
.LBB86_169:                             ; =>This Inner Loop Header: Depth=1
	ds_load_2addr_b64 v[193:196], v185 offset1:1
	s_waitcnt lgkmcnt(1)
	v_cmp_gt_f64_e32 vcc_lo, 0, v[176:177]
	v_xor_b32_e32 v197, 0x80000000, v177
	v_cmp_gt_f64_e64 s2, 0, v[178:179]
	v_xor_b32_e32 v199, 0x80000000, v179
	v_add_nc_u32_e32 v185, 16, v185
	s_waitcnt lgkmcnt(0)
	v_cmp_gt_f64_e64 s3, 0, v[193:194]
	v_mov_b32_e32 v201, v193
	v_dual_mov_b32 v203, v195 :: v_dual_cndmask_b32 v198, v177, v197
	v_xor_b32_e32 v197, 0x80000000, v194
	v_cndmask_b32_e64 v200, v179, v199, s2
	v_xor_b32_e32 v199, 0x80000000, v196
	s_delay_alu instid0(VALU_DEP_3) | instskip(SKIP_2) | instid1(VALU_DEP_2)
	v_cndmask_b32_e64 v202, v194, v197, s3
	v_cmp_gt_f64_e64 s3, 0, v[195:196]
	v_cndmask_b32_e32 v197, v176, v176, vcc_lo
	v_cndmask_b32_e64 v204, v196, v199, s3
	v_cndmask_b32_e64 v199, v178, v178, s2
	s_delay_alu instid0(VALU_DEP_2) | instskip(NEXT) | instid1(VALU_DEP_2)
	v_add_f64 v[201:202], v[201:202], v[203:204]
	v_add_f64 v[197:198], v[197:198], v[199:200]
	s_delay_alu instid0(VALU_DEP_1) | instskip(SKIP_4) | instid1(SALU_CYCLE_1)
	v_cmp_lt_f64_e32 vcc_lo, v[197:198], v[201:202]
	v_dual_cndmask_b32 v178, v178, v195 :: v_dual_cndmask_b32 v177, v177, v194
	v_dual_cndmask_b32 v176, v176, v193 :: v_dual_cndmask_b32 v179, v179, v196
	v_cndmask_b32_e64 v184, v184, s6, vcc_lo
	s_add_i32 s6, s6, 1
	s_cmp_lg_u32 s5, s6
	s_cbranch_scc1 .LBB86_169
.LBB86_170:
	s_set_inst_prefetch_distance 0x2
	s_waitcnt lgkmcnt(0)
	v_cmp_eq_f64_e32 vcc_lo, 0, v[176:177]
	v_cmp_eq_f64_e64 s2, 0, v[178:179]
	s_delay_alu instid0(VALU_DEP_1) | instskip(NEXT) | instid1(SALU_CYCLE_1)
	s_and_b32 s2, vcc_lo, s2
	s_and_saveexec_b32 s3, s2
	s_delay_alu instid0(SALU_CYCLE_1)
	s_xor_b32 s2, exec_lo, s3
; %bb.171:
	v_cmp_ne_u32_e32 vcc_lo, 0, v189
	v_cndmask_b32_e32 v189, 9, v189, vcc_lo
; %bb.172:
	s_and_not1_saveexec_b32 s3, s2
	s_cbranch_execz .LBB86_178
; %bb.173:
	v_cmp_gt_f64_e32 vcc_lo, 0, v[176:177]
	v_cmp_gt_f64_e64 s2, 0, v[178:179]
	v_xor_b32_e32 v185, 0x80000000, v177
	v_xor_b32_e32 v193, 0x80000000, v179
	s_delay_alu instid0(VALU_DEP_2) | instskip(NEXT) | instid1(VALU_DEP_2)
	v_cndmask_b32_e32 v194, v177, v185, vcc_lo
	v_cndmask_b32_e64 v196, v179, v193, s2
	v_cndmask_b32_e32 v193, v176, v176, vcc_lo
	v_cndmask_b32_e64 v195, v178, v178, s2
	s_mov_b32 s2, exec_lo
	s_delay_alu instid0(VALU_DEP_1)
	v_cmpx_ngt_f64_e32 v[193:194], v[195:196]
	s_xor_b32 s2, exec_lo, s2
	s_cbranch_execz .LBB86_175
; %bb.174:
	v_div_scale_f64 v[193:194], null, v[178:179], v[178:179], v[176:177]
	v_div_scale_f64 v[199:200], vcc_lo, v[176:177], v[178:179], v[176:177]
	s_delay_alu instid0(VALU_DEP_2) | instskip(SKIP_2) | instid1(VALU_DEP_1)
	v_rcp_f64_e32 v[195:196], v[193:194]
	s_waitcnt_depctr 0xfff
	v_fma_f64 v[197:198], -v[193:194], v[195:196], 1.0
	v_fma_f64 v[195:196], v[195:196], v[197:198], v[195:196]
	s_delay_alu instid0(VALU_DEP_1) | instskip(NEXT) | instid1(VALU_DEP_1)
	v_fma_f64 v[197:198], -v[193:194], v[195:196], 1.0
	v_fma_f64 v[195:196], v[195:196], v[197:198], v[195:196]
	s_delay_alu instid0(VALU_DEP_1) | instskip(NEXT) | instid1(VALU_DEP_1)
	v_mul_f64 v[197:198], v[199:200], v[195:196]
	v_fma_f64 v[193:194], -v[193:194], v[197:198], v[199:200]
	s_delay_alu instid0(VALU_DEP_1) | instskip(NEXT) | instid1(VALU_DEP_1)
	v_div_fmas_f64 v[193:194], v[193:194], v[195:196], v[197:198]
	v_div_fixup_f64 v[193:194], v[193:194], v[178:179], v[176:177]
	s_delay_alu instid0(VALU_DEP_1) | instskip(NEXT) | instid1(VALU_DEP_1)
	v_fma_f64 v[176:177], v[176:177], v[193:194], v[178:179]
	v_div_scale_f64 v[178:179], null, v[176:177], v[176:177], 1.0
	s_delay_alu instid0(VALU_DEP_1) | instskip(SKIP_2) | instid1(VALU_DEP_1)
	v_rcp_f64_e32 v[195:196], v[178:179]
	s_waitcnt_depctr 0xfff
	v_fma_f64 v[197:198], -v[178:179], v[195:196], 1.0
	v_fma_f64 v[195:196], v[195:196], v[197:198], v[195:196]
	s_delay_alu instid0(VALU_DEP_1) | instskip(NEXT) | instid1(VALU_DEP_1)
	v_fma_f64 v[197:198], -v[178:179], v[195:196], 1.0
	v_fma_f64 v[195:196], v[195:196], v[197:198], v[195:196]
	v_div_scale_f64 v[197:198], vcc_lo, 1.0, v[176:177], 1.0
	s_delay_alu instid0(VALU_DEP_1) | instskip(NEXT) | instid1(VALU_DEP_1)
	v_mul_f64 v[199:200], v[197:198], v[195:196]
	v_fma_f64 v[178:179], -v[178:179], v[199:200], v[197:198]
	s_delay_alu instid0(VALU_DEP_1) | instskip(NEXT) | instid1(VALU_DEP_1)
	v_div_fmas_f64 v[178:179], v[178:179], v[195:196], v[199:200]
	v_div_fixup_f64 v[178:179], v[178:179], v[176:177], 1.0
	s_delay_alu instid0(VALU_DEP_1)
	v_mul_f64 v[176:177], v[193:194], v[178:179]
	v_xor_b32_e32 v179, 0x80000000, v179
.LBB86_175:
	s_and_not1_saveexec_b32 s2, s2
	s_cbranch_execz .LBB86_177
; %bb.176:
	s_delay_alu instid0(VALU_DEP_1) | instskip(SKIP_1) | instid1(VALU_DEP_2)
	v_div_scale_f64 v[193:194], null, v[176:177], v[176:177], v[178:179]
	v_div_scale_f64 v[199:200], vcc_lo, v[178:179], v[176:177], v[178:179]
	v_rcp_f64_e32 v[195:196], v[193:194]
	s_waitcnt_depctr 0xfff
	v_fma_f64 v[197:198], -v[193:194], v[195:196], 1.0
	s_delay_alu instid0(VALU_DEP_1) | instskip(NEXT) | instid1(VALU_DEP_1)
	v_fma_f64 v[195:196], v[195:196], v[197:198], v[195:196]
	v_fma_f64 v[197:198], -v[193:194], v[195:196], 1.0
	s_delay_alu instid0(VALU_DEP_1) | instskip(NEXT) | instid1(VALU_DEP_1)
	v_fma_f64 v[195:196], v[195:196], v[197:198], v[195:196]
	v_mul_f64 v[197:198], v[199:200], v[195:196]
	s_delay_alu instid0(VALU_DEP_1) | instskip(NEXT) | instid1(VALU_DEP_1)
	v_fma_f64 v[193:194], -v[193:194], v[197:198], v[199:200]
	v_div_fmas_f64 v[193:194], v[193:194], v[195:196], v[197:198]
	s_delay_alu instid0(VALU_DEP_1) | instskip(NEXT) | instid1(VALU_DEP_1)
	v_div_fixup_f64 v[193:194], v[193:194], v[176:177], v[178:179]
	v_fma_f64 v[176:177], v[178:179], v[193:194], v[176:177]
	s_delay_alu instid0(VALU_DEP_1) | instskip(NEXT) | instid1(VALU_DEP_1)
	v_div_scale_f64 v[178:179], null, v[176:177], v[176:177], 1.0
	v_rcp_f64_e32 v[195:196], v[178:179]
	s_waitcnt_depctr 0xfff
	v_fma_f64 v[197:198], -v[178:179], v[195:196], 1.0
	s_delay_alu instid0(VALU_DEP_1) | instskip(NEXT) | instid1(VALU_DEP_1)
	v_fma_f64 v[195:196], v[195:196], v[197:198], v[195:196]
	v_fma_f64 v[197:198], -v[178:179], v[195:196], 1.0
	s_delay_alu instid0(VALU_DEP_1) | instskip(SKIP_1) | instid1(VALU_DEP_1)
	v_fma_f64 v[195:196], v[195:196], v[197:198], v[195:196]
	v_div_scale_f64 v[197:198], vcc_lo, 1.0, v[176:177], 1.0
	v_mul_f64 v[199:200], v[197:198], v[195:196]
	s_delay_alu instid0(VALU_DEP_1) | instskip(NEXT) | instid1(VALU_DEP_1)
	v_fma_f64 v[178:179], -v[178:179], v[199:200], v[197:198]
	v_div_fmas_f64 v[178:179], v[178:179], v[195:196], v[199:200]
	s_delay_alu instid0(VALU_DEP_1) | instskip(NEXT) | instid1(VALU_DEP_1)
	v_div_fixup_f64 v[176:177], v[178:179], v[176:177], 1.0
	v_mul_f64 v[178:179], v[193:194], -v[176:177]
.LBB86_177:
	s_or_b32 exec_lo, exec_lo, s2
.LBB86_178:
	s_delay_alu instid0(SALU_CYCLE_1) | instskip(NEXT) | instid1(SALU_CYCLE_1)
	s_or_b32 exec_lo, exec_lo, s3
	s_mov_b32 s2, exec_lo
	v_cmpx_ne_u32_e64 v192, v184
	s_xor_b32 s2, exec_lo, s2
	s_cbranch_execz .LBB86_184
; %bb.179:
	s_mov_b32 s3, exec_lo
	v_cmpx_eq_u32_e32 8, v192
	s_cbranch_execz .LBB86_183
; %bb.180:
	v_cmp_ne_u32_e32 vcc_lo, 8, v184
	s_xor_b32 s6, s4, -1
	s_delay_alu instid0(SALU_CYCLE_1) | instskip(NEXT) | instid1(SALU_CYCLE_1)
	s_and_b32 s7, s6, vcc_lo
	s_and_saveexec_b32 s6, s7
	s_cbranch_execz .LBB86_182
; %bb.181:
	v_ashrrev_i32_e32 v185, 31, v184
	s_delay_alu instid0(VALU_DEP_1) | instskip(NEXT) | instid1(VALU_DEP_1)
	v_lshlrev_b64 v[191:192], 2, v[184:185]
	v_add_co_u32 v191, vcc_lo, v182, v191
	s_delay_alu instid0(VALU_DEP_2)
	v_add_co_ci_u32_e32 v192, vcc_lo, v183, v192, vcc_lo
	s_clause 0x1
	flat_load_b32 v185, v[191:192]
	flat_load_b32 v193, v[182:183] offset:32
	s_waitcnt vmcnt(1) lgkmcnt(1)
	flat_store_b32 v[182:183], v185 offset:32
	s_waitcnt vmcnt(0) lgkmcnt(1)
	flat_store_b32 v[191:192], v193
.LBB86_182:
	s_or_b32 exec_lo, exec_lo, s6
	v_mov_b32_e32 v192, v184
	v_mov_b32_e32 v191, v184
.LBB86_183:
	s_or_b32 exec_lo, exec_lo, s3
.LBB86_184:
	s_and_not1_saveexec_b32 s2, s2
	s_cbranch_execz .LBB86_186
; %bb.185:
	v_mov_b32_e32 v192, 8
	ds_store_2addr_b64 v186, v[136:137], v[138:139] offset0:18 offset1:19
	ds_store_2addr_b64 v186, v[132:133], v[134:135] offset0:20 offset1:21
	ds_store_2addr_b64 v186, v[128:129], v[130:131] offset0:22 offset1:23
	ds_store_2addr_b64 v186, v[124:125], v[126:127] offset0:24 offset1:25
	ds_store_2addr_b64 v186, v[120:121], v[122:123] offset0:26 offset1:27
	ds_store_2addr_b64 v186, v[116:117], v[118:119] offset0:28 offset1:29
	ds_store_2addr_b64 v186, v[112:113], v[114:115] offset0:30 offset1:31
	ds_store_2addr_b64 v186, v[108:109], v[110:111] offset0:32 offset1:33
	ds_store_2addr_b64 v186, v[104:105], v[106:107] offset0:34 offset1:35
	ds_store_2addr_b64 v186, v[100:101], v[102:103] offset0:36 offset1:37
	ds_store_2addr_b64 v186, v[96:97], v[98:99] offset0:38 offset1:39
	ds_store_2addr_b64 v186, v[92:93], v[94:95] offset0:40 offset1:41
	ds_store_2addr_b64 v186, v[88:89], v[90:91] offset0:42 offset1:43
	ds_store_2addr_b64 v186, v[84:85], v[86:87] offset0:44 offset1:45
	ds_store_2addr_b64 v186, v[80:81], v[82:83] offset0:46 offset1:47
	ds_store_2addr_b64 v186, v[76:77], v[78:79] offset0:48 offset1:49
	ds_store_2addr_b64 v186, v[72:73], v[74:75] offset0:50 offset1:51
	ds_store_2addr_b64 v186, v[68:69], v[70:71] offset0:52 offset1:53
	ds_store_2addr_b64 v186, v[64:65], v[66:67] offset0:54 offset1:55
	ds_store_2addr_b64 v186, v[60:61], v[62:63] offset0:56 offset1:57
	ds_store_2addr_b64 v186, v[56:57], v[58:59] offset0:58 offset1:59
	ds_store_2addr_b64 v186, v[52:53], v[54:55] offset0:60 offset1:61
	ds_store_2addr_b64 v186, v[48:49], v[50:51] offset0:62 offset1:63
	ds_store_2addr_b64 v186, v[44:45], v[46:47] offset0:64 offset1:65
	ds_store_2addr_b64 v186, v[40:41], v[42:43] offset0:66 offset1:67
	ds_store_2addr_b64 v186, v[36:37], v[38:39] offset0:68 offset1:69
	ds_store_2addr_b64 v186, v[32:33], v[34:35] offset0:70 offset1:71
	ds_store_2addr_b64 v186, v[28:29], v[30:31] offset0:72 offset1:73
	ds_store_2addr_b64 v186, v[24:25], v[26:27] offset0:74 offset1:75
	ds_store_2addr_b64 v186, v[20:21], v[22:23] offset0:76 offset1:77
	ds_store_2addr_b64 v186, v[16:17], v[18:19] offset0:78 offset1:79
	ds_store_2addr_b64 v186, v[12:13], v[14:15] offset0:80 offset1:81
	ds_store_2addr_b64 v186, v[8:9], v[10:11] offset0:82 offset1:83
	ds_store_2addr_b64 v186, v[4:5], v[6:7] offset0:84 offset1:85
	ds_store_2addr_b64 v186, v[0:1], v[2:3] offset0:86 offset1:87
.LBB86_186:
	s_or_b32 exec_lo, exec_lo, s2
	s_delay_alu instid0(SALU_CYCLE_1)
	s_mov_b32 s2, exec_lo
	s_waitcnt lgkmcnt(0)
	s_waitcnt_vscnt null, 0x0
	s_barrier
	buffer_gl0_inv
	v_cmpx_lt_i32_e32 8, v192
	s_cbranch_execz .LBB86_188
; %bb.187:
	v_mul_f64 v[184:185], v[178:179], v[142:143]
	v_mul_f64 v[142:143], v[176:177], v[142:143]
	s_delay_alu instid0(VALU_DEP_2) | instskip(NEXT) | instid1(VALU_DEP_2)
	v_fma_f64 v[184:185], v[176:177], v[140:141], -v[184:185]
	v_fma_f64 v[142:143], v[178:179], v[140:141], v[142:143]
	ds_load_2addr_b64 v[176:179], v186 offset0:18 offset1:19
	s_waitcnt lgkmcnt(0)
	v_mul_f64 v[140:141], v[178:179], v[142:143]
	s_delay_alu instid0(VALU_DEP_1) | instskip(SKIP_1) | instid1(VALU_DEP_2)
	v_fma_f64 v[140:141], v[176:177], v[184:185], -v[140:141]
	v_mul_f64 v[176:177], v[176:177], v[142:143]
	v_add_f64 v[136:137], v[136:137], -v[140:141]
	s_delay_alu instid0(VALU_DEP_2) | instskip(NEXT) | instid1(VALU_DEP_1)
	v_fma_f64 v[176:177], v[178:179], v[184:185], v[176:177]
	v_add_f64 v[138:139], v[138:139], -v[176:177]
	ds_load_2addr_b64 v[176:179], v186 offset0:20 offset1:21
	s_waitcnt lgkmcnt(0)
	v_mul_f64 v[140:141], v[178:179], v[142:143]
	s_delay_alu instid0(VALU_DEP_1) | instskip(SKIP_1) | instid1(VALU_DEP_2)
	v_fma_f64 v[140:141], v[176:177], v[184:185], -v[140:141]
	v_mul_f64 v[176:177], v[176:177], v[142:143]
	v_add_f64 v[132:133], v[132:133], -v[140:141]
	s_delay_alu instid0(VALU_DEP_2) | instskip(NEXT) | instid1(VALU_DEP_1)
	v_fma_f64 v[176:177], v[178:179], v[184:185], v[176:177]
	v_add_f64 v[134:135], v[134:135], -v[176:177]
	;; [unrolled: 10-line block ×34, first 2 shown]
	ds_load_2addr_b64 v[176:179], v186 offset0:86 offset1:87
	s_waitcnt lgkmcnt(0)
	v_mul_f64 v[140:141], v[178:179], v[142:143]
	s_delay_alu instid0(VALU_DEP_1) | instskip(SKIP_1) | instid1(VALU_DEP_2)
	v_fma_f64 v[140:141], v[176:177], v[184:185], -v[140:141]
	v_mul_f64 v[176:177], v[176:177], v[142:143]
	v_add_f64 v[0:1], v[0:1], -v[140:141]
	s_delay_alu instid0(VALU_DEP_2) | instskip(SKIP_1) | instid1(VALU_DEP_2)
	v_fma_f64 v[176:177], v[178:179], v[184:185], v[176:177]
	v_dual_mov_b32 v140, v184 :: v_dual_mov_b32 v141, v185
	v_add_f64 v[2:3], v[2:3], -v[176:177]
.LBB86_188:
	s_or_b32 exec_lo, exec_lo, s2
	v_lshl_add_u32 v176, v192, 4, v186
	s_barrier
	buffer_gl0_inv
	v_mov_b32_e32 v184, 9
	ds_store_2addr_b64 v176, v[136:137], v[138:139] offset1:1
	s_waitcnt lgkmcnt(0)
	s_barrier
	buffer_gl0_inv
	ds_load_2addr_b64 v[176:179], v186 offset0:18 offset1:19
	s_cmp_lt_i32 s5, 11
	s_cbranch_scc1 .LBB86_191
; %bb.189:
	v_add3_u32 v185, v190, 0, 0xa0
	v_mov_b32_e32 v184, 9
	s_mov_b32 s6, 10
	s_set_inst_prefetch_distance 0x1
	.p2align	6
.LBB86_190:                             ; =>This Inner Loop Header: Depth=1
	ds_load_2addr_b64 v[193:196], v185 offset1:1
	s_waitcnt lgkmcnt(1)
	v_cmp_gt_f64_e32 vcc_lo, 0, v[176:177]
	v_xor_b32_e32 v197, 0x80000000, v177
	v_cmp_gt_f64_e64 s2, 0, v[178:179]
	v_xor_b32_e32 v199, 0x80000000, v179
	v_add_nc_u32_e32 v185, 16, v185
	s_waitcnt lgkmcnt(0)
	v_cmp_gt_f64_e64 s3, 0, v[193:194]
	v_mov_b32_e32 v201, v193
	v_dual_mov_b32 v203, v195 :: v_dual_cndmask_b32 v198, v177, v197
	v_xor_b32_e32 v197, 0x80000000, v194
	v_cndmask_b32_e64 v200, v179, v199, s2
	v_xor_b32_e32 v199, 0x80000000, v196
	s_delay_alu instid0(VALU_DEP_3) | instskip(SKIP_2) | instid1(VALU_DEP_2)
	v_cndmask_b32_e64 v202, v194, v197, s3
	v_cmp_gt_f64_e64 s3, 0, v[195:196]
	v_cndmask_b32_e32 v197, v176, v176, vcc_lo
	v_cndmask_b32_e64 v204, v196, v199, s3
	v_cndmask_b32_e64 v199, v178, v178, s2
	s_delay_alu instid0(VALU_DEP_2) | instskip(NEXT) | instid1(VALU_DEP_2)
	v_add_f64 v[201:202], v[201:202], v[203:204]
	v_add_f64 v[197:198], v[197:198], v[199:200]
	s_delay_alu instid0(VALU_DEP_1) | instskip(SKIP_4) | instid1(SALU_CYCLE_1)
	v_cmp_lt_f64_e32 vcc_lo, v[197:198], v[201:202]
	v_dual_cndmask_b32 v178, v178, v195 :: v_dual_cndmask_b32 v177, v177, v194
	v_dual_cndmask_b32 v176, v176, v193 :: v_dual_cndmask_b32 v179, v179, v196
	v_cndmask_b32_e64 v184, v184, s6, vcc_lo
	s_add_i32 s6, s6, 1
	s_cmp_lg_u32 s5, s6
	s_cbranch_scc1 .LBB86_190
.LBB86_191:
	s_set_inst_prefetch_distance 0x2
	s_waitcnt lgkmcnt(0)
	v_cmp_eq_f64_e32 vcc_lo, 0, v[176:177]
	v_cmp_eq_f64_e64 s2, 0, v[178:179]
	s_delay_alu instid0(VALU_DEP_1) | instskip(NEXT) | instid1(SALU_CYCLE_1)
	s_and_b32 s2, vcc_lo, s2
	s_and_saveexec_b32 s3, s2
	s_delay_alu instid0(SALU_CYCLE_1)
	s_xor_b32 s2, exec_lo, s3
; %bb.192:
	v_cmp_ne_u32_e32 vcc_lo, 0, v189
	v_cndmask_b32_e32 v189, 10, v189, vcc_lo
; %bb.193:
	s_and_not1_saveexec_b32 s3, s2
	s_cbranch_execz .LBB86_199
; %bb.194:
	v_cmp_gt_f64_e32 vcc_lo, 0, v[176:177]
	v_cmp_gt_f64_e64 s2, 0, v[178:179]
	v_xor_b32_e32 v185, 0x80000000, v177
	v_xor_b32_e32 v193, 0x80000000, v179
	s_delay_alu instid0(VALU_DEP_2) | instskip(NEXT) | instid1(VALU_DEP_2)
	v_cndmask_b32_e32 v194, v177, v185, vcc_lo
	v_cndmask_b32_e64 v196, v179, v193, s2
	v_cndmask_b32_e32 v193, v176, v176, vcc_lo
	v_cndmask_b32_e64 v195, v178, v178, s2
	s_mov_b32 s2, exec_lo
	s_delay_alu instid0(VALU_DEP_1)
	v_cmpx_ngt_f64_e32 v[193:194], v[195:196]
	s_xor_b32 s2, exec_lo, s2
	s_cbranch_execz .LBB86_196
; %bb.195:
	v_div_scale_f64 v[193:194], null, v[178:179], v[178:179], v[176:177]
	v_div_scale_f64 v[199:200], vcc_lo, v[176:177], v[178:179], v[176:177]
	s_delay_alu instid0(VALU_DEP_2) | instskip(SKIP_2) | instid1(VALU_DEP_1)
	v_rcp_f64_e32 v[195:196], v[193:194]
	s_waitcnt_depctr 0xfff
	v_fma_f64 v[197:198], -v[193:194], v[195:196], 1.0
	v_fma_f64 v[195:196], v[195:196], v[197:198], v[195:196]
	s_delay_alu instid0(VALU_DEP_1) | instskip(NEXT) | instid1(VALU_DEP_1)
	v_fma_f64 v[197:198], -v[193:194], v[195:196], 1.0
	v_fma_f64 v[195:196], v[195:196], v[197:198], v[195:196]
	s_delay_alu instid0(VALU_DEP_1) | instskip(NEXT) | instid1(VALU_DEP_1)
	v_mul_f64 v[197:198], v[199:200], v[195:196]
	v_fma_f64 v[193:194], -v[193:194], v[197:198], v[199:200]
	s_delay_alu instid0(VALU_DEP_1) | instskip(NEXT) | instid1(VALU_DEP_1)
	v_div_fmas_f64 v[193:194], v[193:194], v[195:196], v[197:198]
	v_div_fixup_f64 v[193:194], v[193:194], v[178:179], v[176:177]
	s_delay_alu instid0(VALU_DEP_1) | instskip(NEXT) | instid1(VALU_DEP_1)
	v_fma_f64 v[176:177], v[176:177], v[193:194], v[178:179]
	v_div_scale_f64 v[178:179], null, v[176:177], v[176:177], 1.0
	s_delay_alu instid0(VALU_DEP_1) | instskip(SKIP_2) | instid1(VALU_DEP_1)
	v_rcp_f64_e32 v[195:196], v[178:179]
	s_waitcnt_depctr 0xfff
	v_fma_f64 v[197:198], -v[178:179], v[195:196], 1.0
	v_fma_f64 v[195:196], v[195:196], v[197:198], v[195:196]
	s_delay_alu instid0(VALU_DEP_1) | instskip(NEXT) | instid1(VALU_DEP_1)
	v_fma_f64 v[197:198], -v[178:179], v[195:196], 1.0
	v_fma_f64 v[195:196], v[195:196], v[197:198], v[195:196]
	v_div_scale_f64 v[197:198], vcc_lo, 1.0, v[176:177], 1.0
	s_delay_alu instid0(VALU_DEP_1) | instskip(NEXT) | instid1(VALU_DEP_1)
	v_mul_f64 v[199:200], v[197:198], v[195:196]
	v_fma_f64 v[178:179], -v[178:179], v[199:200], v[197:198]
	s_delay_alu instid0(VALU_DEP_1) | instskip(NEXT) | instid1(VALU_DEP_1)
	v_div_fmas_f64 v[178:179], v[178:179], v[195:196], v[199:200]
	v_div_fixup_f64 v[178:179], v[178:179], v[176:177], 1.0
	s_delay_alu instid0(VALU_DEP_1)
	v_mul_f64 v[176:177], v[193:194], v[178:179]
	v_xor_b32_e32 v179, 0x80000000, v179
.LBB86_196:
	s_and_not1_saveexec_b32 s2, s2
	s_cbranch_execz .LBB86_198
; %bb.197:
	s_delay_alu instid0(VALU_DEP_1) | instskip(SKIP_1) | instid1(VALU_DEP_2)
	v_div_scale_f64 v[193:194], null, v[176:177], v[176:177], v[178:179]
	v_div_scale_f64 v[199:200], vcc_lo, v[178:179], v[176:177], v[178:179]
	v_rcp_f64_e32 v[195:196], v[193:194]
	s_waitcnt_depctr 0xfff
	v_fma_f64 v[197:198], -v[193:194], v[195:196], 1.0
	s_delay_alu instid0(VALU_DEP_1) | instskip(NEXT) | instid1(VALU_DEP_1)
	v_fma_f64 v[195:196], v[195:196], v[197:198], v[195:196]
	v_fma_f64 v[197:198], -v[193:194], v[195:196], 1.0
	s_delay_alu instid0(VALU_DEP_1) | instskip(NEXT) | instid1(VALU_DEP_1)
	v_fma_f64 v[195:196], v[195:196], v[197:198], v[195:196]
	v_mul_f64 v[197:198], v[199:200], v[195:196]
	s_delay_alu instid0(VALU_DEP_1) | instskip(NEXT) | instid1(VALU_DEP_1)
	v_fma_f64 v[193:194], -v[193:194], v[197:198], v[199:200]
	v_div_fmas_f64 v[193:194], v[193:194], v[195:196], v[197:198]
	s_delay_alu instid0(VALU_DEP_1) | instskip(NEXT) | instid1(VALU_DEP_1)
	v_div_fixup_f64 v[193:194], v[193:194], v[176:177], v[178:179]
	v_fma_f64 v[176:177], v[178:179], v[193:194], v[176:177]
	s_delay_alu instid0(VALU_DEP_1) | instskip(NEXT) | instid1(VALU_DEP_1)
	v_div_scale_f64 v[178:179], null, v[176:177], v[176:177], 1.0
	v_rcp_f64_e32 v[195:196], v[178:179]
	s_waitcnt_depctr 0xfff
	v_fma_f64 v[197:198], -v[178:179], v[195:196], 1.0
	s_delay_alu instid0(VALU_DEP_1) | instskip(NEXT) | instid1(VALU_DEP_1)
	v_fma_f64 v[195:196], v[195:196], v[197:198], v[195:196]
	v_fma_f64 v[197:198], -v[178:179], v[195:196], 1.0
	s_delay_alu instid0(VALU_DEP_1) | instskip(SKIP_1) | instid1(VALU_DEP_1)
	v_fma_f64 v[195:196], v[195:196], v[197:198], v[195:196]
	v_div_scale_f64 v[197:198], vcc_lo, 1.0, v[176:177], 1.0
	v_mul_f64 v[199:200], v[197:198], v[195:196]
	s_delay_alu instid0(VALU_DEP_1) | instskip(NEXT) | instid1(VALU_DEP_1)
	v_fma_f64 v[178:179], -v[178:179], v[199:200], v[197:198]
	v_div_fmas_f64 v[178:179], v[178:179], v[195:196], v[199:200]
	s_delay_alu instid0(VALU_DEP_1) | instskip(NEXT) | instid1(VALU_DEP_1)
	v_div_fixup_f64 v[176:177], v[178:179], v[176:177], 1.0
	v_mul_f64 v[178:179], v[193:194], -v[176:177]
.LBB86_198:
	s_or_b32 exec_lo, exec_lo, s2
.LBB86_199:
	s_delay_alu instid0(SALU_CYCLE_1) | instskip(NEXT) | instid1(SALU_CYCLE_1)
	s_or_b32 exec_lo, exec_lo, s3
	s_mov_b32 s2, exec_lo
	v_cmpx_ne_u32_e64 v192, v184
	s_xor_b32 s2, exec_lo, s2
	s_cbranch_execz .LBB86_205
; %bb.200:
	s_mov_b32 s3, exec_lo
	v_cmpx_eq_u32_e32 9, v192
	s_cbranch_execz .LBB86_204
; %bb.201:
	v_cmp_ne_u32_e32 vcc_lo, 9, v184
	s_xor_b32 s6, s4, -1
	s_delay_alu instid0(SALU_CYCLE_1) | instskip(NEXT) | instid1(SALU_CYCLE_1)
	s_and_b32 s7, s6, vcc_lo
	s_and_saveexec_b32 s6, s7
	s_cbranch_execz .LBB86_203
; %bb.202:
	v_ashrrev_i32_e32 v185, 31, v184
	s_delay_alu instid0(VALU_DEP_1) | instskip(NEXT) | instid1(VALU_DEP_1)
	v_lshlrev_b64 v[191:192], 2, v[184:185]
	v_add_co_u32 v191, vcc_lo, v182, v191
	s_delay_alu instid0(VALU_DEP_2)
	v_add_co_ci_u32_e32 v192, vcc_lo, v183, v192, vcc_lo
	s_clause 0x1
	flat_load_b32 v185, v[191:192]
	flat_load_b32 v193, v[182:183] offset:36
	s_waitcnt vmcnt(1) lgkmcnt(1)
	flat_store_b32 v[182:183], v185 offset:36
	s_waitcnt vmcnt(0) lgkmcnt(1)
	flat_store_b32 v[191:192], v193
.LBB86_203:
	s_or_b32 exec_lo, exec_lo, s6
	v_mov_b32_e32 v192, v184
	v_mov_b32_e32 v191, v184
.LBB86_204:
	s_or_b32 exec_lo, exec_lo, s3
.LBB86_205:
	s_and_not1_saveexec_b32 s2, s2
	s_cbranch_execz .LBB86_207
; %bb.206:
	v_mov_b32_e32 v192, 9
	ds_store_2addr_b64 v186, v[132:133], v[134:135] offset0:20 offset1:21
	ds_store_2addr_b64 v186, v[128:129], v[130:131] offset0:22 offset1:23
	;; [unrolled: 1-line block ×34, first 2 shown]
.LBB86_207:
	s_or_b32 exec_lo, exec_lo, s2
	s_delay_alu instid0(SALU_CYCLE_1)
	s_mov_b32 s2, exec_lo
	s_waitcnt lgkmcnt(0)
	s_waitcnt_vscnt null, 0x0
	s_barrier
	buffer_gl0_inv
	v_cmpx_lt_i32_e32 9, v192
	s_cbranch_execz .LBB86_209
; %bb.208:
	v_mul_f64 v[184:185], v[178:179], v[138:139]
	v_mul_f64 v[138:139], v[176:177], v[138:139]
	s_delay_alu instid0(VALU_DEP_2) | instskip(NEXT) | instid1(VALU_DEP_2)
	v_fma_f64 v[184:185], v[176:177], v[136:137], -v[184:185]
	v_fma_f64 v[138:139], v[178:179], v[136:137], v[138:139]
	ds_load_2addr_b64 v[176:179], v186 offset0:20 offset1:21
	s_waitcnt lgkmcnt(0)
	v_mul_f64 v[136:137], v[178:179], v[138:139]
	s_delay_alu instid0(VALU_DEP_1) | instskip(SKIP_1) | instid1(VALU_DEP_2)
	v_fma_f64 v[136:137], v[176:177], v[184:185], -v[136:137]
	v_mul_f64 v[176:177], v[176:177], v[138:139]
	v_add_f64 v[132:133], v[132:133], -v[136:137]
	s_delay_alu instid0(VALU_DEP_2) | instskip(NEXT) | instid1(VALU_DEP_1)
	v_fma_f64 v[176:177], v[178:179], v[184:185], v[176:177]
	v_add_f64 v[134:135], v[134:135], -v[176:177]
	ds_load_2addr_b64 v[176:179], v186 offset0:22 offset1:23
	s_waitcnt lgkmcnt(0)
	v_mul_f64 v[136:137], v[178:179], v[138:139]
	s_delay_alu instid0(VALU_DEP_1) | instskip(SKIP_1) | instid1(VALU_DEP_2)
	v_fma_f64 v[136:137], v[176:177], v[184:185], -v[136:137]
	v_mul_f64 v[176:177], v[176:177], v[138:139]
	v_add_f64 v[128:129], v[128:129], -v[136:137]
	s_delay_alu instid0(VALU_DEP_2) | instskip(NEXT) | instid1(VALU_DEP_1)
	v_fma_f64 v[176:177], v[178:179], v[184:185], v[176:177]
	v_add_f64 v[130:131], v[130:131], -v[176:177]
	;; [unrolled: 10-line block ×33, first 2 shown]
	ds_load_2addr_b64 v[176:179], v186 offset0:86 offset1:87
	s_waitcnt lgkmcnt(0)
	v_mul_f64 v[136:137], v[178:179], v[138:139]
	s_delay_alu instid0(VALU_DEP_1) | instskip(SKIP_1) | instid1(VALU_DEP_2)
	v_fma_f64 v[136:137], v[176:177], v[184:185], -v[136:137]
	v_mul_f64 v[176:177], v[176:177], v[138:139]
	v_add_f64 v[0:1], v[0:1], -v[136:137]
	s_delay_alu instid0(VALU_DEP_2) | instskip(SKIP_1) | instid1(VALU_DEP_2)
	v_fma_f64 v[176:177], v[178:179], v[184:185], v[176:177]
	v_dual_mov_b32 v136, v184 :: v_dual_mov_b32 v137, v185
	v_add_f64 v[2:3], v[2:3], -v[176:177]
.LBB86_209:
	s_or_b32 exec_lo, exec_lo, s2
	v_lshl_add_u32 v176, v192, 4, v186
	s_barrier
	buffer_gl0_inv
	v_mov_b32_e32 v184, 10
	ds_store_2addr_b64 v176, v[132:133], v[134:135] offset1:1
	s_waitcnt lgkmcnt(0)
	s_barrier
	buffer_gl0_inv
	ds_load_2addr_b64 v[176:179], v186 offset0:20 offset1:21
	s_cmp_lt_i32 s5, 12
	s_cbranch_scc1 .LBB86_212
; %bb.210:
	v_add3_u32 v185, v190, 0, 0xb0
	v_mov_b32_e32 v184, 10
	s_mov_b32 s6, 11
	s_set_inst_prefetch_distance 0x1
	.p2align	6
.LBB86_211:                             ; =>This Inner Loop Header: Depth=1
	ds_load_2addr_b64 v[193:196], v185 offset1:1
	s_waitcnt lgkmcnt(1)
	v_cmp_gt_f64_e32 vcc_lo, 0, v[176:177]
	v_xor_b32_e32 v197, 0x80000000, v177
	v_cmp_gt_f64_e64 s2, 0, v[178:179]
	v_xor_b32_e32 v199, 0x80000000, v179
	v_add_nc_u32_e32 v185, 16, v185
	s_waitcnt lgkmcnt(0)
	v_cmp_gt_f64_e64 s3, 0, v[193:194]
	v_mov_b32_e32 v201, v193
	v_dual_mov_b32 v203, v195 :: v_dual_cndmask_b32 v198, v177, v197
	v_xor_b32_e32 v197, 0x80000000, v194
	v_cndmask_b32_e64 v200, v179, v199, s2
	v_xor_b32_e32 v199, 0x80000000, v196
	s_delay_alu instid0(VALU_DEP_3) | instskip(SKIP_2) | instid1(VALU_DEP_2)
	v_cndmask_b32_e64 v202, v194, v197, s3
	v_cmp_gt_f64_e64 s3, 0, v[195:196]
	v_cndmask_b32_e32 v197, v176, v176, vcc_lo
	v_cndmask_b32_e64 v204, v196, v199, s3
	v_cndmask_b32_e64 v199, v178, v178, s2
	s_delay_alu instid0(VALU_DEP_2) | instskip(NEXT) | instid1(VALU_DEP_2)
	v_add_f64 v[201:202], v[201:202], v[203:204]
	v_add_f64 v[197:198], v[197:198], v[199:200]
	s_delay_alu instid0(VALU_DEP_1) | instskip(SKIP_4) | instid1(SALU_CYCLE_1)
	v_cmp_lt_f64_e32 vcc_lo, v[197:198], v[201:202]
	v_dual_cndmask_b32 v178, v178, v195 :: v_dual_cndmask_b32 v177, v177, v194
	v_dual_cndmask_b32 v176, v176, v193 :: v_dual_cndmask_b32 v179, v179, v196
	v_cndmask_b32_e64 v184, v184, s6, vcc_lo
	s_add_i32 s6, s6, 1
	s_cmp_lg_u32 s5, s6
	s_cbranch_scc1 .LBB86_211
.LBB86_212:
	s_set_inst_prefetch_distance 0x2
	s_waitcnt lgkmcnt(0)
	v_cmp_eq_f64_e32 vcc_lo, 0, v[176:177]
	v_cmp_eq_f64_e64 s2, 0, v[178:179]
	s_delay_alu instid0(VALU_DEP_1) | instskip(NEXT) | instid1(SALU_CYCLE_1)
	s_and_b32 s2, vcc_lo, s2
	s_and_saveexec_b32 s3, s2
	s_delay_alu instid0(SALU_CYCLE_1)
	s_xor_b32 s2, exec_lo, s3
; %bb.213:
	v_cmp_ne_u32_e32 vcc_lo, 0, v189
	v_cndmask_b32_e32 v189, 11, v189, vcc_lo
; %bb.214:
	s_and_not1_saveexec_b32 s3, s2
	s_cbranch_execz .LBB86_220
; %bb.215:
	v_cmp_gt_f64_e32 vcc_lo, 0, v[176:177]
	v_cmp_gt_f64_e64 s2, 0, v[178:179]
	v_xor_b32_e32 v185, 0x80000000, v177
	v_xor_b32_e32 v193, 0x80000000, v179
	s_delay_alu instid0(VALU_DEP_2) | instskip(NEXT) | instid1(VALU_DEP_2)
	v_cndmask_b32_e32 v194, v177, v185, vcc_lo
	v_cndmask_b32_e64 v196, v179, v193, s2
	v_cndmask_b32_e32 v193, v176, v176, vcc_lo
	v_cndmask_b32_e64 v195, v178, v178, s2
	s_mov_b32 s2, exec_lo
	s_delay_alu instid0(VALU_DEP_1)
	v_cmpx_ngt_f64_e32 v[193:194], v[195:196]
	s_xor_b32 s2, exec_lo, s2
	s_cbranch_execz .LBB86_217
; %bb.216:
	v_div_scale_f64 v[193:194], null, v[178:179], v[178:179], v[176:177]
	v_div_scale_f64 v[199:200], vcc_lo, v[176:177], v[178:179], v[176:177]
	s_delay_alu instid0(VALU_DEP_2) | instskip(SKIP_2) | instid1(VALU_DEP_1)
	v_rcp_f64_e32 v[195:196], v[193:194]
	s_waitcnt_depctr 0xfff
	v_fma_f64 v[197:198], -v[193:194], v[195:196], 1.0
	v_fma_f64 v[195:196], v[195:196], v[197:198], v[195:196]
	s_delay_alu instid0(VALU_DEP_1) | instskip(NEXT) | instid1(VALU_DEP_1)
	v_fma_f64 v[197:198], -v[193:194], v[195:196], 1.0
	v_fma_f64 v[195:196], v[195:196], v[197:198], v[195:196]
	s_delay_alu instid0(VALU_DEP_1) | instskip(NEXT) | instid1(VALU_DEP_1)
	v_mul_f64 v[197:198], v[199:200], v[195:196]
	v_fma_f64 v[193:194], -v[193:194], v[197:198], v[199:200]
	s_delay_alu instid0(VALU_DEP_1) | instskip(NEXT) | instid1(VALU_DEP_1)
	v_div_fmas_f64 v[193:194], v[193:194], v[195:196], v[197:198]
	v_div_fixup_f64 v[193:194], v[193:194], v[178:179], v[176:177]
	s_delay_alu instid0(VALU_DEP_1) | instskip(NEXT) | instid1(VALU_DEP_1)
	v_fma_f64 v[176:177], v[176:177], v[193:194], v[178:179]
	v_div_scale_f64 v[178:179], null, v[176:177], v[176:177], 1.0
	s_delay_alu instid0(VALU_DEP_1) | instskip(SKIP_2) | instid1(VALU_DEP_1)
	v_rcp_f64_e32 v[195:196], v[178:179]
	s_waitcnt_depctr 0xfff
	v_fma_f64 v[197:198], -v[178:179], v[195:196], 1.0
	v_fma_f64 v[195:196], v[195:196], v[197:198], v[195:196]
	s_delay_alu instid0(VALU_DEP_1) | instskip(NEXT) | instid1(VALU_DEP_1)
	v_fma_f64 v[197:198], -v[178:179], v[195:196], 1.0
	v_fma_f64 v[195:196], v[195:196], v[197:198], v[195:196]
	v_div_scale_f64 v[197:198], vcc_lo, 1.0, v[176:177], 1.0
	s_delay_alu instid0(VALU_DEP_1) | instskip(NEXT) | instid1(VALU_DEP_1)
	v_mul_f64 v[199:200], v[197:198], v[195:196]
	v_fma_f64 v[178:179], -v[178:179], v[199:200], v[197:198]
	s_delay_alu instid0(VALU_DEP_1) | instskip(NEXT) | instid1(VALU_DEP_1)
	v_div_fmas_f64 v[178:179], v[178:179], v[195:196], v[199:200]
	v_div_fixup_f64 v[178:179], v[178:179], v[176:177], 1.0
	s_delay_alu instid0(VALU_DEP_1)
	v_mul_f64 v[176:177], v[193:194], v[178:179]
	v_xor_b32_e32 v179, 0x80000000, v179
.LBB86_217:
	s_and_not1_saveexec_b32 s2, s2
	s_cbranch_execz .LBB86_219
; %bb.218:
	s_delay_alu instid0(VALU_DEP_1) | instskip(SKIP_1) | instid1(VALU_DEP_2)
	v_div_scale_f64 v[193:194], null, v[176:177], v[176:177], v[178:179]
	v_div_scale_f64 v[199:200], vcc_lo, v[178:179], v[176:177], v[178:179]
	v_rcp_f64_e32 v[195:196], v[193:194]
	s_waitcnt_depctr 0xfff
	v_fma_f64 v[197:198], -v[193:194], v[195:196], 1.0
	s_delay_alu instid0(VALU_DEP_1) | instskip(NEXT) | instid1(VALU_DEP_1)
	v_fma_f64 v[195:196], v[195:196], v[197:198], v[195:196]
	v_fma_f64 v[197:198], -v[193:194], v[195:196], 1.0
	s_delay_alu instid0(VALU_DEP_1) | instskip(NEXT) | instid1(VALU_DEP_1)
	v_fma_f64 v[195:196], v[195:196], v[197:198], v[195:196]
	v_mul_f64 v[197:198], v[199:200], v[195:196]
	s_delay_alu instid0(VALU_DEP_1) | instskip(NEXT) | instid1(VALU_DEP_1)
	v_fma_f64 v[193:194], -v[193:194], v[197:198], v[199:200]
	v_div_fmas_f64 v[193:194], v[193:194], v[195:196], v[197:198]
	s_delay_alu instid0(VALU_DEP_1) | instskip(NEXT) | instid1(VALU_DEP_1)
	v_div_fixup_f64 v[193:194], v[193:194], v[176:177], v[178:179]
	v_fma_f64 v[176:177], v[178:179], v[193:194], v[176:177]
	s_delay_alu instid0(VALU_DEP_1) | instskip(NEXT) | instid1(VALU_DEP_1)
	v_div_scale_f64 v[178:179], null, v[176:177], v[176:177], 1.0
	v_rcp_f64_e32 v[195:196], v[178:179]
	s_waitcnt_depctr 0xfff
	v_fma_f64 v[197:198], -v[178:179], v[195:196], 1.0
	s_delay_alu instid0(VALU_DEP_1) | instskip(NEXT) | instid1(VALU_DEP_1)
	v_fma_f64 v[195:196], v[195:196], v[197:198], v[195:196]
	v_fma_f64 v[197:198], -v[178:179], v[195:196], 1.0
	s_delay_alu instid0(VALU_DEP_1) | instskip(SKIP_1) | instid1(VALU_DEP_1)
	v_fma_f64 v[195:196], v[195:196], v[197:198], v[195:196]
	v_div_scale_f64 v[197:198], vcc_lo, 1.0, v[176:177], 1.0
	v_mul_f64 v[199:200], v[197:198], v[195:196]
	s_delay_alu instid0(VALU_DEP_1) | instskip(NEXT) | instid1(VALU_DEP_1)
	v_fma_f64 v[178:179], -v[178:179], v[199:200], v[197:198]
	v_div_fmas_f64 v[178:179], v[178:179], v[195:196], v[199:200]
	s_delay_alu instid0(VALU_DEP_1) | instskip(NEXT) | instid1(VALU_DEP_1)
	v_div_fixup_f64 v[176:177], v[178:179], v[176:177], 1.0
	v_mul_f64 v[178:179], v[193:194], -v[176:177]
.LBB86_219:
	s_or_b32 exec_lo, exec_lo, s2
.LBB86_220:
	s_delay_alu instid0(SALU_CYCLE_1) | instskip(NEXT) | instid1(SALU_CYCLE_1)
	s_or_b32 exec_lo, exec_lo, s3
	s_mov_b32 s2, exec_lo
	v_cmpx_ne_u32_e64 v192, v184
	s_xor_b32 s2, exec_lo, s2
	s_cbranch_execz .LBB86_226
; %bb.221:
	s_mov_b32 s3, exec_lo
	v_cmpx_eq_u32_e32 10, v192
	s_cbranch_execz .LBB86_225
; %bb.222:
	v_cmp_ne_u32_e32 vcc_lo, 10, v184
	s_xor_b32 s6, s4, -1
	s_delay_alu instid0(SALU_CYCLE_1) | instskip(NEXT) | instid1(SALU_CYCLE_1)
	s_and_b32 s7, s6, vcc_lo
	s_and_saveexec_b32 s6, s7
	s_cbranch_execz .LBB86_224
; %bb.223:
	v_ashrrev_i32_e32 v185, 31, v184
	s_delay_alu instid0(VALU_DEP_1) | instskip(NEXT) | instid1(VALU_DEP_1)
	v_lshlrev_b64 v[191:192], 2, v[184:185]
	v_add_co_u32 v191, vcc_lo, v182, v191
	s_delay_alu instid0(VALU_DEP_2)
	v_add_co_ci_u32_e32 v192, vcc_lo, v183, v192, vcc_lo
	s_clause 0x1
	flat_load_b32 v185, v[191:192]
	flat_load_b32 v193, v[182:183] offset:40
	s_waitcnt vmcnt(1) lgkmcnt(1)
	flat_store_b32 v[182:183], v185 offset:40
	s_waitcnt vmcnt(0) lgkmcnt(1)
	flat_store_b32 v[191:192], v193
.LBB86_224:
	s_or_b32 exec_lo, exec_lo, s6
	v_mov_b32_e32 v192, v184
	v_mov_b32_e32 v191, v184
.LBB86_225:
	s_or_b32 exec_lo, exec_lo, s3
.LBB86_226:
	s_and_not1_saveexec_b32 s2, s2
	s_cbranch_execz .LBB86_228
; %bb.227:
	v_mov_b32_e32 v192, 10
	ds_store_2addr_b64 v186, v[128:129], v[130:131] offset0:22 offset1:23
	ds_store_2addr_b64 v186, v[124:125], v[126:127] offset0:24 offset1:25
	;; [unrolled: 1-line block ×33, first 2 shown]
.LBB86_228:
	s_or_b32 exec_lo, exec_lo, s2
	s_delay_alu instid0(SALU_CYCLE_1)
	s_mov_b32 s2, exec_lo
	s_waitcnt lgkmcnt(0)
	s_waitcnt_vscnt null, 0x0
	s_barrier
	buffer_gl0_inv
	v_cmpx_lt_i32_e32 10, v192
	s_cbranch_execz .LBB86_230
; %bb.229:
	v_mul_f64 v[184:185], v[178:179], v[134:135]
	v_mul_f64 v[134:135], v[176:177], v[134:135]
	s_delay_alu instid0(VALU_DEP_2) | instskip(NEXT) | instid1(VALU_DEP_2)
	v_fma_f64 v[184:185], v[176:177], v[132:133], -v[184:185]
	v_fma_f64 v[134:135], v[178:179], v[132:133], v[134:135]
	ds_load_2addr_b64 v[176:179], v186 offset0:22 offset1:23
	s_waitcnt lgkmcnt(0)
	v_mul_f64 v[132:133], v[178:179], v[134:135]
	s_delay_alu instid0(VALU_DEP_1) | instskip(SKIP_1) | instid1(VALU_DEP_2)
	v_fma_f64 v[132:133], v[176:177], v[184:185], -v[132:133]
	v_mul_f64 v[176:177], v[176:177], v[134:135]
	v_add_f64 v[128:129], v[128:129], -v[132:133]
	s_delay_alu instid0(VALU_DEP_2) | instskip(NEXT) | instid1(VALU_DEP_1)
	v_fma_f64 v[176:177], v[178:179], v[184:185], v[176:177]
	v_add_f64 v[130:131], v[130:131], -v[176:177]
	ds_load_2addr_b64 v[176:179], v186 offset0:24 offset1:25
	s_waitcnt lgkmcnt(0)
	v_mul_f64 v[132:133], v[178:179], v[134:135]
	s_delay_alu instid0(VALU_DEP_1) | instskip(SKIP_1) | instid1(VALU_DEP_2)
	v_fma_f64 v[132:133], v[176:177], v[184:185], -v[132:133]
	v_mul_f64 v[176:177], v[176:177], v[134:135]
	v_add_f64 v[124:125], v[124:125], -v[132:133]
	s_delay_alu instid0(VALU_DEP_2) | instskip(NEXT) | instid1(VALU_DEP_1)
	v_fma_f64 v[176:177], v[178:179], v[184:185], v[176:177]
	v_add_f64 v[126:127], v[126:127], -v[176:177]
	;; [unrolled: 10-line block ×32, first 2 shown]
	ds_load_2addr_b64 v[176:179], v186 offset0:86 offset1:87
	s_waitcnt lgkmcnt(0)
	v_mul_f64 v[132:133], v[178:179], v[134:135]
	s_delay_alu instid0(VALU_DEP_1) | instskip(SKIP_1) | instid1(VALU_DEP_2)
	v_fma_f64 v[132:133], v[176:177], v[184:185], -v[132:133]
	v_mul_f64 v[176:177], v[176:177], v[134:135]
	v_add_f64 v[0:1], v[0:1], -v[132:133]
	s_delay_alu instid0(VALU_DEP_2) | instskip(SKIP_1) | instid1(VALU_DEP_2)
	v_fma_f64 v[176:177], v[178:179], v[184:185], v[176:177]
	v_dual_mov_b32 v132, v184 :: v_dual_mov_b32 v133, v185
	v_add_f64 v[2:3], v[2:3], -v[176:177]
.LBB86_230:
	s_or_b32 exec_lo, exec_lo, s2
	v_lshl_add_u32 v176, v192, 4, v186
	s_barrier
	buffer_gl0_inv
	v_mov_b32_e32 v184, 11
	ds_store_2addr_b64 v176, v[128:129], v[130:131] offset1:1
	s_waitcnt lgkmcnt(0)
	s_barrier
	buffer_gl0_inv
	ds_load_2addr_b64 v[176:179], v186 offset0:22 offset1:23
	s_cmp_lt_i32 s5, 13
	s_cbranch_scc1 .LBB86_233
; %bb.231:
	v_add3_u32 v185, v190, 0, 0xc0
	v_mov_b32_e32 v184, 11
	s_mov_b32 s6, 12
	s_set_inst_prefetch_distance 0x1
	.p2align	6
.LBB86_232:                             ; =>This Inner Loop Header: Depth=1
	ds_load_2addr_b64 v[193:196], v185 offset1:1
	s_waitcnt lgkmcnt(1)
	v_cmp_gt_f64_e32 vcc_lo, 0, v[176:177]
	v_xor_b32_e32 v197, 0x80000000, v177
	v_cmp_gt_f64_e64 s2, 0, v[178:179]
	v_xor_b32_e32 v199, 0x80000000, v179
	v_add_nc_u32_e32 v185, 16, v185
	s_waitcnt lgkmcnt(0)
	v_cmp_gt_f64_e64 s3, 0, v[193:194]
	v_mov_b32_e32 v201, v193
	v_dual_mov_b32 v203, v195 :: v_dual_cndmask_b32 v198, v177, v197
	v_xor_b32_e32 v197, 0x80000000, v194
	v_cndmask_b32_e64 v200, v179, v199, s2
	v_xor_b32_e32 v199, 0x80000000, v196
	s_delay_alu instid0(VALU_DEP_3) | instskip(SKIP_2) | instid1(VALU_DEP_2)
	v_cndmask_b32_e64 v202, v194, v197, s3
	v_cmp_gt_f64_e64 s3, 0, v[195:196]
	v_cndmask_b32_e32 v197, v176, v176, vcc_lo
	v_cndmask_b32_e64 v204, v196, v199, s3
	v_cndmask_b32_e64 v199, v178, v178, s2
	s_delay_alu instid0(VALU_DEP_2) | instskip(NEXT) | instid1(VALU_DEP_2)
	v_add_f64 v[201:202], v[201:202], v[203:204]
	v_add_f64 v[197:198], v[197:198], v[199:200]
	s_delay_alu instid0(VALU_DEP_1) | instskip(SKIP_4) | instid1(SALU_CYCLE_1)
	v_cmp_lt_f64_e32 vcc_lo, v[197:198], v[201:202]
	v_dual_cndmask_b32 v178, v178, v195 :: v_dual_cndmask_b32 v177, v177, v194
	v_dual_cndmask_b32 v176, v176, v193 :: v_dual_cndmask_b32 v179, v179, v196
	v_cndmask_b32_e64 v184, v184, s6, vcc_lo
	s_add_i32 s6, s6, 1
	s_cmp_lg_u32 s5, s6
	s_cbranch_scc1 .LBB86_232
.LBB86_233:
	s_set_inst_prefetch_distance 0x2
	s_waitcnt lgkmcnt(0)
	v_cmp_eq_f64_e32 vcc_lo, 0, v[176:177]
	v_cmp_eq_f64_e64 s2, 0, v[178:179]
	s_delay_alu instid0(VALU_DEP_1) | instskip(NEXT) | instid1(SALU_CYCLE_1)
	s_and_b32 s2, vcc_lo, s2
	s_and_saveexec_b32 s3, s2
	s_delay_alu instid0(SALU_CYCLE_1)
	s_xor_b32 s2, exec_lo, s3
; %bb.234:
	v_cmp_ne_u32_e32 vcc_lo, 0, v189
	v_cndmask_b32_e32 v189, 12, v189, vcc_lo
; %bb.235:
	s_and_not1_saveexec_b32 s3, s2
	s_cbranch_execz .LBB86_241
; %bb.236:
	v_cmp_gt_f64_e32 vcc_lo, 0, v[176:177]
	v_cmp_gt_f64_e64 s2, 0, v[178:179]
	v_xor_b32_e32 v185, 0x80000000, v177
	v_xor_b32_e32 v193, 0x80000000, v179
	s_delay_alu instid0(VALU_DEP_2) | instskip(NEXT) | instid1(VALU_DEP_2)
	v_cndmask_b32_e32 v194, v177, v185, vcc_lo
	v_cndmask_b32_e64 v196, v179, v193, s2
	v_cndmask_b32_e32 v193, v176, v176, vcc_lo
	v_cndmask_b32_e64 v195, v178, v178, s2
	s_mov_b32 s2, exec_lo
	s_delay_alu instid0(VALU_DEP_1)
	v_cmpx_ngt_f64_e32 v[193:194], v[195:196]
	s_xor_b32 s2, exec_lo, s2
	s_cbranch_execz .LBB86_238
; %bb.237:
	v_div_scale_f64 v[193:194], null, v[178:179], v[178:179], v[176:177]
	v_div_scale_f64 v[199:200], vcc_lo, v[176:177], v[178:179], v[176:177]
	s_delay_alu instid0(VALU_DEP_2) | instskip(SKIP_2) | instid1(VALU_DEP_1)
	v_rcp_f64_e32 v[195:196], v[193:194]
	s_waitcnt_depctr 0xfff
	v_fma_f64 v[197:198], -v[193:194], v[195:196], 1.0
	v_fma_f64 v[195:196], v[195:196], v[197:198], v[195:196]
	s_delay_alu instid0(VALU_DEP_1) | instskip(NEXT) | instid1(VALU_DEP_1)
	v_fma_f64 v[197:198], -v[193:194], v[195:196], 1.0
	v_fma_f64 v[195:196], v[195:196], v[197:198], v[195:196]
	s_delay_alu instid0(VALU_DEP_1) | instskip(NEXT) | instid1(VALU_DEP_1)
	v_mul_f64 v[197:198], v[199:200], v[195:196]
	v_fma_f64 v[193:194], -v[193:194], v[197:198], v[199:200]
	s_delay_alu instid0(VALU_DEP_1) | instskip(NEXT) | instid1(VALU_DEP_1)
	v_div_fmas_f64 v[193:194], v[193:194], v[195:196], v[197:198]
	v_div_fixup_f64 v[193:194], v[193:194], v[178:179], v[176:177]
	s_delay_alu instid0(VALU_DEP_1) | instskip(NEXT) | instid1(VALU_DEP_1)
	v_fma_f64 v[176:177], v[176:177], v[193:194], v[178:179]
	v_div_scale_f64 v[178:179], null, v[176:177], v[176:177], 1.0
	s_delay_alu instid0(VALU_DEP_1) | instskip(SKIP_2) | instid1(VALU_DEP_1)
	v_rcp_f64_e32 v[195:196], v[178:179]
	s_waitcnt_depctr 0xfff
	v_fma_f64 v[197:198], -v[178:179], v[195:196], 1.0
	v_fma_f64 v[195:196], v[195:196], v[197:198], v[195:196]
	s_delay_alu instid0(VALU_DEP_1) | instskip(NEXT) | instid1(VALU_DEP_1)
	v_fma_f64 v[197:198], -v[178:179], v[195:196], 1.0
	v_fma_f64 v[195:196], v[195:196], v[197:198], v[195:196]
	v_div_scale_f64 v[197:198], vcc_lo, 1.0, v[176:177], 1.0
	s_delay_alu instid0(VALU_DEP_1) | instskip(NEXT) | instid1(VALU_DEP_1)
	v_mul_f64 v[199:200], v[197:198], v[195:196]
	v_fma_f64 v[178:179], -v[178:179], v[199:200], v[197:198]
	s_delay_alu instid0(VALU_DEP_1) | instskip(NEXT) | instid1(VALU_DEP_1)
	v_div_fmas_f64 v[178:179], v[178:179], v[195:196], v[199:200]
	v_div_fixup_f64 v[178:179], v[178:179], v[176:177], 1.0
	s_delay_alu instid0(VALU_DEP_1)
	v_mul_f64 v[176:177], v[193:194], v[178:179]
	v_xor_b32_e32 v179, 0x80000000, v179
.LBB86_238:
	s_and_not1_saveexec_b32 s2, s2
	s_cbranch_execz .LBB86_240
; %bb.239:
	s_delay_alu instid0(VALU_DEP_1) | instskip(SKIP_1) | instid1(VALU_DEP_2)
	v_div_scale_f64 v[193:194], null, v[176:177], v[176:177], v[178:179]
	v_div_scale_f64 v[199:200], vcc_lo, v[178:179], v[176:177], v[178:179]
	v_rcp_f64_e32 v[195:196], v[193:194]
	s_waitcnt_depctr 0xfff
	v_fma_f64 v[197:198], -v[193:194], v[195:196], 1.0
	s_delay_alu instid0(VALU_DEP_1) | instskip(NEXT) | instid1(VALU_DEP_1)
	v_fma_f64 v[195:196], v[195:196], v[197:198], v[195:196]
	v_fma_f64 v[197:198], -v[193:194], v[195:196], 1.0
	s_delay_alu instid0(VALU_DEP_1) | instskip(NEXT) | instid1(VALU_DEP_1)
	v_fma_f64 v[195:196], v[195:196], v[197:198], v[195:196]
	v_mul_f64 v[197:198], v[199:200], v[195:196]
	s_delay_alu instid0(VALU_DEP_1) | instskip(NEXT) | instid1(VALU_DEP_1)
	v_fma_f64 v[193:194], -v[193:194], v[197:198], v[199:200]
	v_div_fmas_f64 v[193:194], v[193:194], v[195:196], v[197:198]
	s_delay_alu instid0(VALU_DEP_1) | instskip(NEXT) | instid1(VALU_DEP_1)
	v_div_fixup_f64 v[193:194], v[193:194], v[176:177], v[178:179]
	v_fma_f64 v[176:177], v[178:179], v[193:194], v[176:177]
	s_delay_alu instid0(VALU_DEP_1) | instskip(NEXT) | instid1(VALU_DEP_1)
	v_div_scale_f64 v[178:179], null, v[176:177], v[176:177], 1.0
	v_rcp_f64_e32 v[195:196], v[178:179]
	s_waitcnt_depctr 0xfff
	v_fma_f64 v[197:198], -v[178:179], v[195:196], 1.0
	s_delay_alu instid0(VALU_DEP_1) | instskip(NEXT) | instid1(VALU_DEP_1)
	v_fma_f64 v[195:196], v[195:196], v[197:198], v[195:196]
	v_fma_f64 v[197:198], -v[178:179], v[195:196], 1.0
	s_delay_alu instid0(VALU_DEP_1) | instskip(SKIP_1) | instid1(VALU_DEP_1)
	v_fma_f64 v[195:196], v[195:196], v[197:198], v[195:196]
	v_div_scale_f64 v[197:198], vcc_lo, 1.0, v[176:177], 1.0
	v_mul_f64 v[199:200], v[197:198], v[195:196]
	s_delay_alu instid0(VALU_DEP_1) | instskip(NEXT) | instid1(VALU_DEP_1)
	v_fma_f64 v[178:179], -v[178:179], v[199:200], v[197:198]
	v_div_fmas_f64 v[178:179], v[178:179], v[195:196], v[199:200]
	s_delay_alu instid0(VALU_DEP_1) | instskip(NEXT) | instid1(VALU_DEP_1)
	v_div_fixup_f64 v[176:177], v[178:179], v[176:177], 1.0
	v_mul_f64 v[178:179], v[193:194], -v[176:177]
.LBB86_240:
	s_or_b32 exec_lo, exec_lo, s2
.LBB86_241:
	s_delay_alu instid0(SALU_CYCLE_1) | instskip(NEXT) | instid1(SALU_CYCLE_1)
	s_or_b32 exec_lo, exec_lo, s3
	s_mov_b32 s2, exec_lo
	v_cmpx_ne_u32_e64 v192, v184
	s_xor_b32 s2, exec_lo, s2
	s_cbranch_execz .LBB86_247
; %bb.242:
	s_mov_b32 s3, exec_lo
	v_cmpx_eq_u32_e32 11, v192
	s_cbranch_execz .LBB86_246
; %bb.243:
	v_cmp_ne_u32_e32 vcc_lo, 11, v184
	s_xor_b32 s6, s4, -1
	s_delay_alu instid0(SALU_CYCLE_1) | instskip(NEXT) | instid1(SALU_CYCLE_1)
	s_and_b32 s7, s6, vcc_lo
	s_and_saveexec_b32 s6, s7
	s_cbranch_execz .LBB86_245
; %bb.244:
	v_ashrrev_i32_e32 v185, 31, v184
	s_delay_alu instid0(VALU_DEP_1) | instskip(NEXT) | instid1(VALU_DEP_1)
	v_lshlrev_b64 v[191:192], 2, v[184:185]
	v_add_co_u32 v191, vcc_lo, v182, v191
	s_delay_alu instid0(VALU_DEP_2)
	v_add_co_ci_u32_e32 v192, vcc_lo, v183, v192, vcc_lo
	s_clause 0x1
	flat_load_b32 v185, v[191:192]
	flat_load_b32 v193, v[182:183] offset:44
	s_waitcnt vmcnt(1) lgkmcnt(1)
	flat_store_b32 v[182:183], v185 offset:44
	s_waitcnt vmcnt(0) lgkmcnt(1)
	flat_store_b32 v[191:192], v193
.LBB86_245:
	s_or_b32 exec_lo, exec_lo, s6
	v_mov_b32_e32 v192, v184
	v_mov_b32_e32 v191, v184
.LBB86_246:
	s_or_b32 exec_lo, exec_lo, s3
.LBB86_247:
	s_and_not1_saveexec_b32 s2, s2
	s_cbranch_execz .LBB86_249
; %bb.248:
	v_mov_b32_e32 v192, 11
	ds_store_2addr_b64 v186, v[124:125], v[126:127] offset0:24 offset1:25
	ds_store_2addr_b64 v186, v[120:121], v[122:123] offset0:26 offset1:27
	;; [unrolled: 1-line block ×32, first 2 shown]
.LBB86_249:
	s_or_b32 exec_lo, exec_lo, s2
	s_delay_alu instid0(SALU_CYCLE_1)
	s_mov_b32 s2, exec_lo
	s_waitcnt lgkmcnt(0)
	s_waitcnt_vscnt null, 0x0
	s_barrier
	buffer_gl0_inv
	v_cmpx_lt_i32_e32 11, v192
	s_cbranch_execz .LBB86_251
; %bb.250:
	v_mul_f64 v[184:185], v[178:179], v[130:131]
	v_mul_f64 v[130:131], v[176:177], v[130:131]
	s_delay_alu instid0(VALU_DEP_2) | instskip(NEXT) | instid1(VALU_DEP_2)
	v_fma_f64 v[184:185], v[176:177], v[128:129], -v[184:185]
	v_fma_f64 v[130:131], v[178:179], v[128:129], v[130:131]
	ds_load_2addr_b64 v[176:179], v186 offset0:24 offset1:25
	s_waitcnt lgkmcnt(0)
	v_mul_f64 v[128:129], v[178:179], v[130:131]
	s_delay_alu instid0(VALU_DEP_1) | instskip(SKIP_1) | instid1(VALU_DEP_2)
	v_fma_f64 v[128:129], v[176:177], v[184:185], -v[128:129]
	v_mul_f64 v[176:177], v[176:177], v[130:131]
	v_add_f64 v[124:125], v[124:125], -v[128:129]
	s_delay_alu instid0(VALU_DEP_2) | instskip(NEXT) | instid1(VALU_DEP_1)
	v_fma_f64 v[176:177], v[178:179], v[184:185], v[176:177]
	v_add_f64 v[126:127], v[126:127], -v[176:177]
	ds_load_2addr_b64 v[176:179], v186 offset0:26 offset1:27
	s_waitcnt lgkmcnt(0)
	v_mul_f64 v[128:129], v[178:179], v[130:131]
	s_delay_alu instid0(VALU_DEP_1) | instskip(SKIP_1) | instid1(VALU_DEP_2)
	v_fma_f64 v[128:129], v[176:177], v[184:185], -v[128:129]
	v_mul_f64 v[176:177], v[176:177], v[130:131]
	v_add_f64 v[120:121], v[120:121], -v[128:129]
	s_delay_alu instid0(VALU_DEP_2) | instskip(NEXT) | instid1(VALU_DEP_1)
	v_fma_f64 v[176:177], v[178:179], v[184:185], v[176:177]
	v_add_f64 v[122:123], v[122:123], -v[176:177]
	;; [unrolled: 10-line block ×31, first 2 shown]
	ds_load_2addr_b64 v[176:179], v186 offset0:86 offset1:87
	s_waitcnt lgkmcnt(0)
	v_mul_f64 v[128:129], v[178:179], v[130:131]
	s_delay_alu instid0(VALU_DEP_1) | instskip(SKIP_1) | instid1(VALU_DEP_2)
	v_fma_f64 v[128:129], v[176:177], v[184:185], -v[128:129]
	v_mul_f64 v[176:177], v[176:177], v[130:131]
	v_add_f64 v[0:1], v[0:1], -v[128:129]
	s_delay_alu instid0(VALU_DEP_2) | instskip(SKIP_1) | instid1(VALU_DEP_2)
	v_fma_f64 v[176:177], v[178:179], v[184:185], v[176:177]
	v_dual_mov_b32 v128, v184 :: v_dual_mov_b32 v129, v185
	v_add_f64 v[2:3], v[2:3], -v[176:177]
.LBB86_251:
	s_or_b32 exec_lo, exec_lo, s2
	v_lshl_add_u32 v176, v192, 4, v186
	s_barrier
	buffer_gl0_inv
	v_mov_b32_e32 v184, 12
	ds_store_2addr_b64 v176, v[124:125], v[126:127] offset1:1
	s_waitcnt lgkmcnt(0)
	s_barrier
	buffer_gl0_inv
	ds_load_2addr_b64 v[176:179], v186 offset0:24 offset1:25
	s_cmp_lt_i32 s5, 14
	s_cbranch_scc1 .LBB86_254
; %bb.252:
	v_add3_u32 v185, v190, 0, 0xd0
	v_mov_b32_e32 v184, 12
	s_mov_b32 s6, 13
	s_set_inst_prefetch_distance 0x1
	.p2align	6
.LBB86_253:                             ; =>This Inner Loop Header: Depth=1
	ds_load_2addr_b64 v[193:196], v185 offset1:1
	s_waitcnt lgkmcnt(1)
	v_cmp_gt_f64_e32 vcc_lo, 0, v[176:177]
	v_xor_b32_e32 v197, 0x80000000, v177
	v_cmp_gt_f64_e64 s2, 0, v[178:179]
	v_xor_b32_e32 v199, 0x80000000, v179
	v_add_nc_u32_e32 v185, 16, v185
	s_waitcnt lgkmcnt(0)
	v_cmp_gt_f64_e64 s3, 0, v[193:194]
	v_mov_b32_e32 v201, v193
	v_dual_mov_b32 v203, v195 :: v_dual_cndmask_b32 v198, v177, v197
	v_xor_b32_e32 v197, 0x80000000, v194
	v_cndmask_b32_e64 v200, v179, v199, s2
	v_xor_b32_e32 v199, 0x80000000, v196
	s_delay_alu instid0(VALU_DEP_3) | instskip(SKIP_2) | instid1(VALU_DEP_2)
	v_cndmask_b32_e64 v202, v194, v197, s3
	v_cmp_gt_f64_e64 s3, 0, v[195:196]
	v_cndmask_b32_e32 v197, v176, v176, vcc_lo
	v_cndmask_b32_e64 v204, v196, v199, s3
	v_cndmask_b32_e64 v199, v178, v178, s2
	s_delay_alu instid0(VALU_DEP_2) | instskip(NEXT) | instid1(VALU_DEP_2)
	v_add_f64 v[201:202], v[201:202], v[203:204]
	v_add_f64 v[197:198], v[197:198], v[199:200]
	s_delay_alu instid0(VALU_DEP_1) | instskip(SKIP_4) | instid1(SALU_CYCLE_1)
	v_cmp_lt_f64_e32 vcc_lo, v[197:198], v[201:202]
	v_dual_cndmask_b32 v178, v178, v195 :: v_dual_cndmask_b32 v177, v177, v194
	v_dual_cndmask_b32 v176, v176, v193 :: v_dual_cndmask_b32 v179, v179, v196
	v_cndmask_b32_e64 v184, v184, s6, vcc_lo
	s_add_i32 s6, s6, 1
	s_cmp_lg_u32 s5, s6
	s_cbranch_scc1 .LBB86_253
.LBB86_254:
	s_set_inst_prefetch_distance 0x2
	s_waitcnt lgkmcnt(0)
	v_cmp_eq_f64_e32 vcc_lo, 0, v[176:177]
	v_cmp_eq_f64_e64 s2, 0, v[178:179]
	s_delay_alu instid0(VALU_DEP_1) | instskip(NEXT) | instid1(SALU_CYCLE_1)
	s_and_b32 s2, vcc_lo, s2
	s_and_saveexec_b32 s3, s2
	s_delay_alu instid0(SALU_CYCLE_1)
	s_xor_b32 s2, exec_lo, s3
; %bb.255:
	v_cmp_ne_u32_e32 vcc_lo, 0, v189
	v_cndmask_b32_e32 v189, 13, v189, vcc_lo
; %bb.256:
	s_and_not1_saveexec_b32 s3, s2
	s_cbranch_execz .LBB86_262
; %bb.257:
	v_cmp_gt_f64_e32 vcc_lo, 0, v[176:177]
	v_cmp_gt_f64_e64 s2, 0, v[178:179]
	v_xor_b32_e32 v185, 0x80000000, v177
	v_xor_b32_e32 v193, 0x80000000, v179
	s_delay_alu instid0(VALU_DEP_2) | instskip(NEXT) | instid1(VALU_DEP_2)
	v_cndmask_b32_e32 v194, v177, v185, vcc_lo
	v_cndmask_b32_e64 v196, v179, v193, s2
	v_cndmask_b32_e32 v193, v176, v176, vcc_lo
	v_cndmask_b32_e64 v195, v178, v178, s2
	s_mov_b32 s2, exec_lo
	s_delay_alu instid0(VALU_DEP_1)
	v_cmpx_ngt_f64_e32 v[193:194], v[195:196]
	s_xor_b32 s2, exec_lo, s2
	s_cbranch_execz .LBB86_259
; %bb.258:
	v_div_scale_f64 v[193:194], null, v[178:179], v[178:179], v[176:177]
	v_div_scale_f64 v[199:200], vcc_lo, v[176:177], v[178:179], v[176:177]
	s_delay_alu instid0(VALU_DEP_2) | instskip(SKIP_2) | instid1(VALU_DEP_1)
	v_rcp_f64_e32 v[195:196], v[193:194]
	s_waitcnt_depctr 0xfff
	v_fma_f64 v[197:198], -v[193:194], v[195:196], 1.0
	v_fma_f64 v[195:196], v[195:196], v[197:198], v[195:196]
	s_delay_alu instid0(VALU_DEP_1) | instskip(NEXT) | instid1(VALU_DEP_1)
	v_fma_f64 v[197:198], -v[193:194], v[195:196], 1.0
	v_fma_f64 v[195:196], v[195:196], v[197:198], v[195:196]
	s_delay_alu instid0(VALU_DEP_1) | instskip(NEXT) | instid1(VALU_DEP_1)
	v_mul_f64 v[197:198], v[199:200], v[195:196]
	v_fma_f64 v[193:194], -v[193:194], v[197:198], v[199:200]
	s_delay_alu instid0(VALU_DEP_1) | instskip(NEXT) | instid1(VALU_DEP_1)
	v_div_fmas_f64 v[193:194], v[193:194], v[195:196], v[197:198]
	v_div_fixup_f64 v[193:194], v[193:194], v[178:179], v[176:177]
	s_delay_alu instid0(VALU_DEP_1) | instskip(NEXT) | instid1(VALU_DEP_1)
	v_fma_f64 v[176:177], v[176:177], v[193:194], v[178:179]
	v_div_scale_f64 v[178:179], null, v[176:177], v[176:177], 1.0
	s_delay_alu instid0(VALU_DEP_1) | instskip(SKIP_2) | instid1(VALU_DEP_1)
	v_rcp_f64_e32 v[195:196], v[178:179]
	s_waitcnt_depctr 0xfff
	v_fma_f64 v[197:198], -v[178:179], v[195:196], 1.0
	v_fma_f64 v[195:196], v[195:196], v[197:198], v[195:196]
	s_delay_alu instid0(VALU_DEP_1) | instskip(NEXT) | instid1(VALU_DEP_1)
	v_fma_f64 v[197:198], -v[178:179], v[195:196], 1.0
	v_fma_f64 v[195:196], v[195:196], v[197:198], v[195:196]
	v_div_scale_f64 v[197:198], vcc_lo, 1.0, v[176:177], 1.0
	s_delay_alu instid0(VALU_DEP_1) | instskip(NEXT) | instid1(VALU_DEP_1)
	v_mul_f64 v[199:200], v[197:198], v[195:196]
	v_fma_f64 v[178:179], -v[178:179], v[199:200], v[197:198]
	s_delay_alu instid0(VALU_DEP_1) | instskip(NEXT) | instid1(VALU_DEP_1)
	v_div_fmas_f64 v[178:179], v[178:179], v[195:196], v[199:200]
	v_div_fixup_f64 v[178:179], v[178:179], v[176:177], 1.0
	s_delay_alu instid0(VALU_DEP_1)
	v_mul_f64 v[176:177], v[193:194], v[178:179]
	v_xor_b32_e32 v179, 0x80000000, v179
.LBB86_259:
	s_and_not1_saveexec_b32 s2, s2
	s_cbranch_execz .LBB86_261
; %bb.260:
	s_delay_alu instid0(VALU_DEP_1) | instskip(SKIP_1) | instid1(VALU_DEP_2)
	v_div_scale_f64 v[193:194], null, v[176:177], v[176:177], v[178:179]
	v_div_scale_f64 v[199:200], vcc_lo, v[178:179], v[176:177], v[178:179]
	v_rcp_f64_e32 v[195:196], v[193:194]
	s_waitcnt_depctr 0xfff
	v_fma_f64 v[197:198], -v[193:194], v[195:196], 1.0
	s_delay_alu instid0(VALU_DEP_1) | instskip(NEXT) | instid1(VALU_DEP_1)
	v_fma_f64 v[195:196], v[195:196], v[197:198], v[195:196]
	v_fma_f64 v[197:198], -v[193:194], v[195:196], 1.0
	s_delay_alu instid0(VALU_DEP_1) | instskip(NEXT) | instid1(VALU_DEP_1)
	v_fma_f64 v[195:196], v[195:196], v[197:198], v[195:196]
	v_mul_f64 v[197:198], v[199:200], v[195:196]
	s_delay_alu instid0(VALU_DEP_1) | instskip(NEXT) | instid1(VALU_DEP_1)
	v_fma_f64 v[193:194], -v[193:194], v[197:198], v[199:200]
	v_div_fmas_f64 v[193:194], v[193:194], v[195:196], v[197:198]
	s_delay_alu instid0(VALU_DEP_1) | instskip(NEXT) | instid1(VALU_DEP_1)
	v_div_fixup_f64 v[193:194], v[193:194], v[176:177], v[178:179]
	v_fma_f64 v[176:177], v[178:179], v[193:194], v[176:177]
	s_delay_alu instid0(VALU_DEP_1) | instskip(NEXT) | instid1(VALU_DEP_1)
	v_div_scale_f64 v[178:179], null, v[176:177], v[176:177], 1.0
	v_rcp_f64_e32 v[195:196], v[178:179]
	s_waitcnt_depctr 0xfff
	v_fma_f64 v[197:198], -v[178:179], v[195:196], 1.0
	s_delay_alu instid0(VALU_DEP_1) | instskip(NEXT) | instid1(VALU_DEP_1)
	v_fma_f64 v[195:196], v[195:196], v[197:198], v[195:196]
	v_fma_f64 v[197:198], -v[178:179], v[195:196], 1.0
	s_delay_alu instid0(VALU_DEP_1) | instskip(SKIP_1) | instid1(VALU_DEP_1)
	v_fma_f64 v[195:196], v[195:196], v[197:198], v[195:196]
	v_div_scale_f64 v[197:198], vcc_lo, 1.0, v[176:177], 1.0
	v_mul_f64 v[199:200], v[197:198], v[195:196]
	s_delay_alu instid0(VALU_DEP_1) | instskip(NEXT) | instid1(VALU_DEP_1)
	v_fma_f64 v[178:179], -v[178:179], v[199:200], v[197:198]
	v_div_fmas_f64 v[178:179], v[178:179], v[195:196], v[199:200]
	s_delay_alu instid0(VALU_DEP_1) | instskip(NEXT) | instid1(VALU_DEP_1)
	v_div_fixup_f64 v[176:177], v[178:179], v[176:177], 1.0
	v_mul_f64 v[178:179], v[193:194], -v[176:177]
.LBB86_261:
	s_or_b32 exec_lo, exec_lo, s2
.LBB86_262:
	s_delay_alu instid0(SALU_CYCLE_1) | instskip(NEXT) | instid1(SALU_CYCLE_1)
	s_or_b32 exec_lo, exec_lo, s3
	s_mov_b32 s2, exec_lo
	v_cmpx_ne_u32_e64 v192, v184
	s_xor_b32 s2, exec_lo, s2
	s_cbranch_execz .LBB86_268
; %bb.263:
	s_mov_b32 s3, exec_lo
	v_cmpx_eq_u32_e32 12, v192
	s_cbranch_execz .LBB86_267
; %bb.264:
	v_cmp_ne_u32_e32 vcc_lo, 12, v184
	s_xor_b32 s6, s4, -1
	s_delay_alu instid0(SALU_CYCLE_1) | instskip(NEXT) | instid1(SALU_CYCLE_1)
	s_and_b32 s7, s6, vcc_lo
	s_and_saveexec_b32 s6, s7
	s_cbranch_execz .LBB86_266
; %bb.265:
	v_ashrrev_i32_e32 v185, 31, v184
	s_delay_alu instid0(VALU_DEP_1) | instskip(NEXT) | instid1(VALU_DEP_1)
	v_lshlrev_b64 v[191:192], 2, v[184:185]
	v_add_co_u32 v191, vcc_lo, v182, v191
	s_delay_alu instid0(VALU_DEP_2)
	v_add_co_ci_u32_e32 v192, vcc_lo, v183, v192, vcc_lo
	s_clause 0x1
	flat_load_b32 v185, v[191:192]
	flat_load_b32 v193, v[182:183] offset:48
	s_waitcnt vmcnt(1) lgkmcnt(1)
	flat_store_b32 v[182:183], v185 offset:48
	s_waitcnt vmcnt(0) lgkmcnt(1)
	flat_store_b32 v[191:192], v193
.LBB86_266:
	s_or_b32 exec_lo, exec_lo, s6
	v_mov_b32_e32 v192, v184
	v_mov_b32_e32 v191, v184
.LBB86_267:
	s_or_b32 exec_lo, exec_lo, s3
.LBB86_268:
	s_and_not1_saveexec_b32 s2, s2
	s_cbranch_execz .LBB86_270
; %bb.269:
	v_mov_b32_e32 v192, 12
	ds_store_2addr_b64 v186, v[120:121], v[122:123] offset0:26 offset1:27
	ds_store_2addr_b64 v186, v[116:117], v[118:119] offset0:28 offset1:29
	;; [unrolled: 1-line block ×31, first 2 shown]
.LBB86_270:
	s_or_b32 exec_lo, exec_lo, s2
	s_delay_alu instid0(SALU_CYCLE_1)
	s_mov_b32 s2, exec_lo
	s_waitcnt lgkmcnt(0)
	s_waitcnt_vscnt null, 0x0
	s_barrier
	buffer_gl0_inv
	v_cmpx_lt_i32_e32 12, v192
	s_cbranch_execz .LBB86_272
; %bb.271:
	v_mul_f64 v[184:185], v[178:179], v[126:127]
	v_mul_f64 v[126:127], v[176:177], v[126:127]
	s_delay_alu instid0(VALU_DEP_2) | instskip(NEXT) | instid1(VALU_DEP_2)
	v_fma_f64 v[184:185], v[176:177], v[124:125], -v[184:185]
	v_fma_f64 v[126:127], v[178:179], v[124:125], v[126:127]
	ds_load_2addr_b64 v[176:179], v186 offset0:26 offset1:27
	s_waitcnt lgkmcnt(0)
	v_mul_f64 v[124:125], v[178:179], v[126:127]
	s_delay_alu instid0(VALU_DEP_1) | instskip(SKIP_1) | instid1(VALU_DEP_2)
	v_fma_f64 v[124:125], v[176:177], v[184:185], -v[124:125]
	v_mul_f64 v[176:177], v[176:177], v[126:127]
	v_add_f64 v[120:121], v[120:121], -v[124:125]
	s_delay_alu instid0(VALU_DEP_2) | instskip(NEXT) | instid1(VALU_DEP_1)
	v_fma_f64 v[176:177], v[178:179], v[184:185], v[176:177]
	v_add_f64 v[122:123], v[122:123], -v[176:177]
	ds_load_2addr_b64 v[176:179], v186 offset0:28 offset1:29
	s_waitcnt lgkmcnt(0)
	v_mul_f64 v[124:125], v[178:179], v[126:127]
	s_delay_alu instid0(VALU_DEP_1) | instskip(SKIP_1) | instid1(VALU_DEP_2)
	v_fma_f64 v[124:125], v[176:177], v[184:185], -v[124:125]
	v_mul_f64 v[176:177], v[176:177], v[126:127]
	v_add_f64 v[116:117], v[116:117], -v[124:125]
	s_delay_alu instid0(VALU_DEP_2) | instskip(NEXT) | instid1(VALU_DEP_1)
	v_fma_f64 v[176:177], v[178:179], v[184:185], v[176:177]
	v_add_f64 v[118:119], v[118:119], -v[176:177]
	;; [unrolled: 10-line block ×30, first 2 shown]
	ds_load_2addr_b64 v[176:179], v186 offset0:86 offset1:87
	s_waitcnt lgkmcnt(0)
	v_mul_f64 v[124:125], v[178:179], v[126:127]
	s_delay_alu instid0(VALU_DEP_1) | instskip(SKIP_1) | instid1(VALU_DEP_2)
	v_fma_f64 v[124:125], v[176:177], v[184:185], -v[124:125]
	v_mul_f64 v[176:177], v[176:177], v[126:127]
	v_add_f64 v[0:1], v[0:1], -v[124:125]
	s_delay_alu instid0(VALU_DEP_2) | instskip(SKIP_1) | instid1(VALU_DEP_2)
	v_fma_f64 v[176:177], v[178:179], v[184:185], v[176:177]
	v_dual_mov_b32 v124, v184 :: v_dual_mov_b32 v125, v185
	v_add_f64 v[2:3], v[2:3], -v[176:177]
.LBB86_272:
	s_or_b32 exec_lo, exec_lo, s2
	v_lshl_add_u32 v176, v192, 4, v186
	s_barrier
	buffer_gl0_inv
	v_mov_b32_e32 v184, 13
	ds_store_2addr_b64 v176, v[120:121], v[122:123] offset1:1
	s_waitcnt lgkmcnt(0)
	s_barrier
	buffer_gl0_inv
	ds_load_2addr_b64 v[176:179], v186 offset0:26 offset1:27
	s_cmp_lt_i32 s5, 15
	s_cbranch_scc1 .LBB86_275
; %bb.273:
	v_add3_u32 v185, v190, 0, 0xe0
	v_mov_b32_e32 v184, 13
	s_mov_b32 s6, 14
	s_set_inst_prefetch_distance 0x1
	.p2align	6
.LBB86_274:                             ; =>This Inner Loop Header: Depth=1
	ds_load_2addr_b64 v[193:196], v185 offset1:1
	s_waitcnt lgkmcnt(1)
	v_cmp_gt_f64_e32 vcc_lo, 0, v[176:177]
	v_xor_b32_e32 v197, 0x80000000, v177
	v_cmp_gt_f64_e64 s2, 0, v[178:179]
	v_xor_b32_e32 v199, 0x80000000, v179
	v_add_nc_u32_e32 v185, 16, v185
	s_waitcnt lgkmcnt(0)
	v_cmp_gt_f64_e64 s3, 0, v[193:194]
	v_mov_b32_e32 v201, v193
	v_dual_mov_b32 v203, v195 :: v_dual_cndmask_b32 v198, v177, v197
	v_xor_b32_e32 v197, 0x80000000, v194
	v_cndmask_b32_e64 v200, v179, v199, s2
	v_xor_b32_e32 v199, 0x80000000, v196
	s_delay_alu instid0(VALU_DEP_3) | instskip(SKIP_2) | instid1(VALU_DEP_2)
	v_cndmask_b32_e64 v202, v194, v197, s3
	v_cmp_gt_f64_e64 s3, 0, v[195:196]
	v_cndmask_b32_e32 v197, v176, v176, vcc_lo
	v_cndmask_b32_e64 v204, v196, v199, s3
	v_cndmask_b32_e64 v199, v178, v178, s2
	s_delay_alu instid0(VALU_DEP_2) | instskip(NEXT) | instid1(VALU_DEP_2)
	v_add_f64 v[201:202], v[201:202], v[203:204]
	v_add_f64 v[197:198], v[197:198], v[199:200]
	s_delay_alu instid0(VALU_DEP_1) | instskip(SKIP_4) | instid1(SALU_CYCLE_1)
	v_cmp_lt_f64_e32 vcc_lo, v[197:198], v[201:202]
	v_dual_cndmask_b32 v178, v178, v195 :: v_dual_cndmask_b32 v177, v177, v194
	v_dual_cndmask_b32 v176, v176, v193 :: v_dual_cndmask_b32 v179, v179, v196
	v_cndmask_b32_e64 v184, v184, s6, vcc_lo
	s_add_i32 s6, s6, 1
	s_cmp_lg_u32 s5, s6
	s_cbranch_scc1 .LBB86_274
.LBB86_275:
	s_set_inst_prefetch_distance 0x2
	s_waitcnt lgkmcnt(0)
	v_cmp_eq_f64_e32 vcc_lo, 0, v[176:177]
	v_cmp_eq_f64_e64 s2, 0, v[178:179]
	s_delay_alu instid0(VALU_DEP_1) | instskip(NEXT) | instid1(SALU_CYCLE_1)
	s_and_b32 s2, vcc_lo, s2
	s_and_saveexec_b32 s3, s2
	s_delay_alu instid0(SALU_CYCLE_1)
	s_xor_b32 s2, exec_lo, s3
; %bb.276:
	v_cmp_ne_u32_e32 vcc_lo, 0, v189
	v_cndmask_b32_e32 v189, 14, v189, vcc_lo
; %bb.277:
	s_and_not1_saveexec_b32 s3, s2
	s_cbranch_execz .LBB86_283
; %bb.278:
	v_cmp_gt_f64_e32 vcc_lo, 0, v[176:177]
	v_cmp_gt_f64_e64 s2, 0, v[178:179]
	v_xor_b32_e32 v185, 0x80000000, v177
	v_xor_b32_e32 v193, 0x80000000, v179
	s_delay_alu instid0(VALU_DEP_2) | instskip(NEXT) | instid1(VALU_DEP_2)
	v_cndmask_b32_e32 v194, v177, v185, vcc_lo
	v_cndmask_b32_e64 v196, v179, v193, s2
	v_cndmask_b32_e32 v193, v176, v176, vcc_lo
	v_cndmask_b32_e64 v195, v178, v178, s2
	s_mov_b32 s2, exec_lo
	s_delay_alu instid0(VALU_DEP_1)
	v_cmpx_ngt_f64_e32 v[193:194], v[195:196]
	s_xor_b32 s2, exec_lo, s2
	s_cbranch_execz .LBB86_280
; %bb.279:
	v_div_scale_f64 v[193:194], null, v[178:179], v[178:179], v[176:177]
	v_div_scale_f64 v[199:200], vcc_lo, v[176:177], v[178:179], v[176:177]
	s_delay_alu instid0(VALU_DEP_2) | instskip(SKIP_2) | instid1(VALU_DEP_1)
	v_rcp_f64_e32 v[195:196], v[193:194]
	s_waitcnt_depctr 0xfff
	v_fma_f64 v[197:198], -v[193:194], v[195:196], 1.0
	v_fma_f64 v[195:196], v[195:196], v[197:198], v[195:196]
	s_delay_alu instid0(VALU_DEP_1) | instskip(NEXT) | instid1(VALU_DEP_1)
	v_fma_f64 v[197:198], -v[193:194], v[195:196], 1.0
	v_fma_f64 v[195:196], v[195:196], v[197:198], v[195:196]
	s_delay_alu instid0(VALU_DEP_1) | instskip(NEXT) | instid1(VALU_DEP_1)
	v_mul_f64 v[197:198], v[199:200], v[195:196]
	v_fma_f64 v[193:194], -v[193:194], v[197:198], v[199:200]
	s_delay_alu instid0(VALU_DEP_1) | instskip(NEXT) | instid1(VALU_DEP_1)
	v_div_fmas_f64 v[193:194], v[193:194], v[195:196], v[197:198]
	v_div_fixup_f64 v[193:194], v[193:194], v[178:179], v[176:177]
	s_delay_alu instid0(VALU_DEP_1) | instskip(NEXT) | instid1(VALU_DEP_1)
	v_fma_f64 v[176:177], v[176:177], v[193:194], v[178:179]
	v_div_scale_f64 v[178:179], null, v[176:177], v[176:177], 1.0
	s_delay_alu instid0(VALU_DEP_1) | instskip(SKIP_2) | instid1(VALU_DEP_1)
	v_rcp_f64_e32 v[195:196], v[178:179]
	s_waitcnt_depctr 0xfff
	v_fma_f64 v[197:198], -v[178:179], v[195:196], 1.0
	v_fma_f64 v[195:196], v[195:196], v[197:198], v[195:196]
	s_delay_alu instid0(VALU_DEP_1) | instskip(NEXT) | instid1(VALU_DEP_1)
	v_fma_f64 v[197:198], -v[178:179], v[195:196], 1.0
	v_fma_f64 v[195:196], v[195:196], v[197:198], v[195:196]
	v_div_scale_f64 v[197:198], vcc_lo, 1.0, v[176:177], 1.0
	s_delay_alu instid0(VALU_DEP_1) | instskip(NEXT) | instid1(VALU_DEP_1)
	v_mul_f64 v[199:200], v[197:198], v[195:196]
	v_fma_f64 v[178:179], -v[178:179], v[199:200], v[197:198]
	s_delay_alu instid0(VALU_DEP_1) | instskip(NEXT) | instid1(VALU_DEP_1)
	v_div_fmas_f64 v[178:179], v[178:179], v[195:196], v[199:200]
	v_div_fixup_f64 v[178:179], v[178:179], v[176:177], 1.0
	s_delay_alu instid0(VALU_DEP_1)
	v_mul_f64 v[176:177], v[193:194], v[178:179]
	v_xor_b32_e32 v179, 0x80000000, v179
.LBB86_280:
	s_and_not1_saveexec_b32 s2, s2
	s_cbranch_execz .LBB86_282
; %bb.281:
	s_delay_alu instid0(VALU_DEP_1) | instskip(SKIP_1) | instid1(VALU_DEP_2)
	v_div_scale_f64 v[193:194], null, v[176:177], v[176:177], v[178:179]
	v_div_scale_f64 v[199:200], vcc_lo, v[178:179], v[176:177], v[178:179]
	v_rcp_f64_e32 v[195:196], v[193:194]
	s_waitcnt_depctr 0xfff
	v_fma_f64 v[197:198], -v[193:194], v[195:196], 1.0
	s_delay_alu instid0(VALU_DEP_1) | instskip(NEXT) | instid1(VALU_DEP_1)
	v_fma_f64 v[195:196], v[195:196], v[197:198], v[195:196]
	v_fma_f64 v[197:198], -v[193:194], v[195:196], 1.0
	s_delay_alu instid0(VALU_DEP_1) | instskip(NEXT) | instid1(VALU_DEP_1)
	v_fma_f64 v[195:196], v[195:196], v[197:198], v[195:196]
	v_mul_f64 v[197:198], v[199:200], v[195:196]
	s_delay_alu instid0(VALU_DEP_1) | instskip(NEXT) | instid1(VALU_DEP_1)
	v_fma_f64 v[193:194], -v[193:194], v[197:198], v[199:200]
	v_div_fmas_f64 v[193:194], v[193:194], v[195:196], v[197:198]
	s_delay_alu instid0(VALU_DEP_1) | instskip(NEXT) | instid1(VALU_DEP_1)
	v_div_fixup_f64 v[193:194], v[193:194], v[176:177], v[178:179]
	v_fma_f64 v[176:177], v[178:179], v[193:194], v[176:177]
	s_delay_alu instid0(VALU_DEP_1) | instskip(NEXT) | instid1(VALU_DEP_1)
	v_div_scale_f64 v[178:179], null, v[176:177], v[176:177], 1.0
	v_rcp_f64_e32 v[195:196], v[178:179]
	s_waitcnt_depctr 0xfff
	v_fma_f64 v[197:198], -v[178:179], v[195:196], 1.0
	s_delay_alu instid0(VALU_DEP_1) | instskip(NEXT) | instid1(VALU_DEP_1)
	v_fma_f64 v[195:196], v[195:196], v[197:198], v[195:196]
	v_fma_f64 v[197:198], -v[178:179], v[195:196], 1.0
	s_delay_alu instid0(VALU_DEP_1) | instskip(SKIP_1) | instid1(VALU_DEP_1)
	v_fma_f64 v[195:196], v[195:196], v[197:198], v[195:196]
	v_div_scale_f64 v[197:198], vcc_lo, 1.0, v[176:177], 1.0
	v_mul_f64 v[199:200], v[197:198], v[195:196]
	s_delay_alu instid0(VALU_DEP_1) | instskip(NEXT) | instid1(VALU_DEP_1)
	v_fma_f64 v[178:179], -v[178:179], v[199:200], v[197:198]
	v_div_fmas_f64 v[178:179], v[178:179], v[195:196], v[199:200]
	s_delay_alu instid0(VALU_DEP_1) | instskip(NEXT) | instid1(VALU_DEP_1)
	v_div_fixup_f64 v[176:177], v[178:179], v[176:177], 1.0
	v_mul_f64 v[178:179], v[193:194], -v[176:177]
.LBB86_282:
	s_or_b32 exec_lo, exec_lo, s2
.LBB86_283:
	s_delay_alu instid0(SALU_CYCLE_1) | instskip(NEXT) | instid1(SALU_CYCLE_1)
	s_or_b32 exec_lo, exec_lo, s3
	s_mov_b32 s2, exec_lo
	v_cmpx_ne_u32_e64 v192, v184
	s_xor_b32 s2, exec_lo, s2
	s_cbranch_execz .LBB86_289
; %bb.284:
	s_mov_b32 s3, exec_lo
	v_cmpx_eq_u32_e32 13, v192
	s_cbranch_execz .LBB86_288
; %bb.285:
	v_cmp_ne_u32_e32 vcc_lo, 13, v184
	s_xor_b32 s6, s4, -1
	s_delay_alu instid0(SALU_CYCLE_1) | instskip(NEXT) | instid1(SALU_CYCLE_1)
	s_and_b32 s7, s6, vcc_lo
	s_and_saveexec_b32 s6, s7
	s_cbranch_execz .LBB86_287
; %bb.286:
	v_ashrrev_i32_e32 v185, 31, v184
	s_delay_alu instid0(VALU_DEP_1) | instskip(NEXT) | instid1(VALU_DEP_1)
	v_lshlrev_b64 v[191:192], 2, v[184:185]
	v_add_co_u32 v191, vcc_lo, v182, v191
	s_delay_alu instid0(VALU_DEP_2)
	v_add_co_ci_u32_e32 v192, vcc_lo, v183, v192, vcc_lo
	s_clause 0x1
	flat_load_b32 v185, v[191:192]
	flat_load_b32 v193, v[182:183] offset:52
	s_waitcnt vmcnt(1) lgkmcnt(1)
	flat_store_b32 v[182:183], v185 offset:52
	s_waitcnt vmcnt(0) lgkmcnt(1)
	flat_store_b32 v[191:192], v193
.LBB86_287:
	s_or_b32 exec_lo, exec_lo, s6
	v_mov_b32_e32 v192, v184
	v_mov_b32_e32 v191, v184
.LBB86_288:
	s_or_b32 exec_lo, exec_lo, s3
.LBB86_289:
	s_and_not1_saveexec_b32 s2, s2
	s_cbranch_execz .LBB86_291
; %bb.290:
	v_mov_b32_e32 v192, 13
	ds_store_2addr_b64 v186, v[116:117], v[118:119] offset0:28 offset1:29
	ds_store_2addr_b64 v186, v[112:113], v[114:115] offset0:30 offset1:31
	ds_store_2addr_b64 v186, v[108:109], v[110:111] offset0:32 offset1:33
	ds_store_2addr_b64 v186, v[104:105], v[106:107] offset0:34 offset1:35
	ds_store_2addr_b64 v186, v[100:101], v[102:103] offset0:36 offset1:37
	ds_store_2addr_b64 v186, v[96:97], v[98:99] offset0:38 offset1:39
	ds_store_2addr_b64 v186, v[92:93], v[94:95] offset0:40 offset1:41
	ds_store_2addr_b64 v186, v[88:89], v[90:91] offset0:42 offset1:43
	ds_store_2addr_b64 v186, v[84:85], v[86:87] offset0:44 offset1:45
	ds_store_2addr_b64 v186, v[80:81], v[82:83] offset0:46 offset1:47
	ds_store_2addr_b64 v186, v[76:77], v[78:79] offset0:48 offset1:49
	ds_store_2addr_b64 v186, v[72:73], v[74:75] offset0:50 offset1:51
	ds_store_2addr_b64 v186, v[68:69], v[70:71] offset0:52 offset1:53
	ds_store_2addr_b64 v186, v[64:65], v[66:67] offset0:54 offset1:55
	ds_store_2addr_b64 v186, v[60:61], v[62:63] offset0:56 offset1:57
	ds_store_2addr_b64 v186, v[56:57], v[58:59] offset0:58 offset1:59
	ds_store_2addr_b64 v186, v[52:53], v[54:55] offset0:60 offset1:61
	ds_store_2addr_b64 v186, v[48:49], v[50:51] offset0:62 offset1:63
	ds_store_2addr_b64 v186, v[44:45], v[46:47] offset0:64 offset1:65
	ds_store_2addr_b64 v186, v[40:41], v[42:43] offset0:66 offset1:67
	ds_store_2addr_b64 v186, v[36:37], v[38:39] offset0:68 offset1:69
	ds_store_2addr_b64 v186, v[32:33], v[34:35] offset0:70 offset1:71
	ds_store_2addr_b64 v186, v[28:29], v[30:31] offset0:72 offset1:73
	ds_store_2addr_b64 v186, v[24:25], v[26:27] offset0:74 offset1:75
	ds_store_2addr_b64 v186, v[20:21], v[22:23] offset0:76 offset1:77
	ds_store_2addr_b64 v186, v[16:17], v[18:19] offset0:78 offset1:79
	ds_store_2addr_b64 v186, v[12:13], v[14:15] offset0:80 offset1:81
	ds_store_2addr_b64 v186, v[8:9], v[10:11] offset0:82 offset1:83
	ds_store_2addr_b64 v186, v[4:5], v[6:7] offset0:84 offset1:85
	ds_store_2addr_b64 v186, v[0:1], v[2:3] offset0:86 offset1:87
.LBB86_291:
	s_or_b32 exec_lo, exec_lo, s2
	s_delay_alu instid0(SALU_CYCLE_1)
	s_mov_b32 s2, exec_lo
	s_waitcnt lgkmcnt(0)
	s_waitcnt_vscnt null, 0x0
	s_barrier
	buffer_gl0_inv
	v_cmpx_lt_i32_e32 13, v192
	s_cbranch_execz .LBB86_293
; %bb.292:
	v_mul_f64 v[184:185], v[178:179], v[122:123]
	v_mul_f64 v[122:123], v[176:177], v[122:123]
	s_delay_alu instid0(VALU_DEP_2) | instskip(NEXT) | instid1(VALU_DEP_2)
	v_fma_f64 v[184:185], v[176:177], v[120:121], -v[184:185]
	v_fma_f64 v[122:123], v[178:179], v[120:121], v[122:123]
	ds_load_2addr_b64 v[176:179], v186 offset0:28 offset1:29
	s_waitcnt lgkmcnt(0)
	v_mul_f64 v[120:121], v[178:179], v[122:123]
	s_delay_alu instid0(VALU_DEP_1) | instskip(SKIP_1) | instid1(VALU_DEP_2)
	v_fma_f64 v[120:121], v[176:177], v[184:185], -v[120:121]
	v_mul_f64 v[176:177], v[176:177], v[122:123]
	v_add_f64 v[116:117], v[116:117], -v[120:121]
	s_delay_alu instid0(VALU_DEP_2) | instskip(NEXT) | instid1(VALU_DEP_1)
	v_fma_f64 v[176:177], v[178:179], v[184:185], v[176:177]
	v_add_f64 v[118:119], v[118:119], -v[176:177]
	ds_load_2addr_b64 v[176:179], v186 offset0:30 offset1:31
	s_waitcnt lgkmcnt(0)
	v_mul_f64 v[120:121], v[178:179], v[122:123]
	s_delay_alu instid0(VALU_DEP_1) | instskip(SKIP_1) | instid1(VALU_DEP_2)
	v_fma_f64 v[120:121], v[176:177], v[184:185], -v[120:121]
	v_mul_f64 v[176:177], v[176:177], v[122:123]
	v_add_f64 v[112:113], v[112:113], -v[120:121]
	s_delay_alu instid0(VALU_DEP_2) | instskip(NEXT) | instid1(VALU_DEP_1)
	v_fma_f64 v[176:177], v[178:179], v[184:185], v[176:177]
	v_add_f64 v[114:115], v[114:115], -v[176:177]
	;; [unrolled: 10-line block ×29, first 2 shown]
	ds_load_2addr_b64 v[176:179], v186 offset0:86 offset1:87
	s_waitcnt lgkmcnt(0)
	v_mul_f64 v[120:121], v[178:179], v[122:123]
	s_delay_alu instid0(VALU_DEP_1) | instskip(SKIP_1) | instid1(VALU_DEP_2)
	v_fma_f64 v[120:121], v[176:177], v[184:185], -v[120:121]
	v_mul_f64 v[176:177], v[176:177], v[122:123]
	v_add_f64 v[0:1], v[0:1], -v[120:121]
	s_delay_alu instid0(VALU_DEP_2) | instskip(SKIP_1) | instid1(VALU_DEP_2)
	v_fma_f64 v[176:177], v[178:179], v[184:185], v[176:177]
	v_dual_mov_b32 v120, v184 :: v_dual_mov_b32 v121, v185
	v_add_f64 v[2:3], v[2:3], -v[176:177]
.LBB86_293:
	s_or_b32 exec_lo, exec_lo, s2
	v_lshl_add_u32 v176, v192, 4, v186
	s_barrier
	buffer_gl0_inv
	v_mov_b32_e32 v184, 14
	ds_store_2addr_b64 v176, v[116:117], v[118:119] offset1:1
	s_waitcnt lgkmcnt(0)
	s_barrier
	buffer_gl0_inv
	ds_load_2addr_b64 v[176:179], v186 offset0:28 offset1:29
	s_cmp_lt_i32 s5, 16
	s_cbranch_scc1 .LBB86_296
; %bb.294:
	v_add3_u32 v185, v190, 0, 0xf0
	v_mov_b32_e32 v184, 14
	s_mov_b32 s6, 15
	s_set_inst_prefetch_distance 0x1
	.p2align	6
.LBB86_295:                             ; =>This Inner Loop Header: Depth=1
	ds_load_2addr_b64 v[193:196], v185 offset1:1
	s_waitcnt lgkmcnt(1)
	v_cmp_gt_f64_e32 vcc_lo, 0, v[176:177]
	v_xor_b32_e32 v197, 0x80000000, v177
	v_cmp_gt_f64_e64 s2, 0, v[178:179]
	v_xor_b32_e32 v199, 0x80000000, v179
	v_add_nc_u32_e32 v185, 16, v185
	s_waitcnt lgkmcnt(0)
	v_cmp_gt_f64_e64 s3, 0, v[193:194]
	v_mov_b32_e32 v201, v193
	v_dual_mov_b32 v203, v195 :: v_dual_cndmask_b32 v198, v177, v197
	v_xor_b32_e32 v197, 0x80000000, v194
	v_cndmask_b32_e64 v200, v179, v199, s2
	v_xor_b32_e32 v199, 0x80000000, v196
	s_delay_alu instid0(VALU_DEP_3) | instskip(SKIP_2) | instid1(VALU_DEP_2)
	v_cndmask_b32_e64 v202, v194, v197, s3
	v_cmp_gt_f64_e64 s3, 0, v[195:196]
	v_cndmask_b32_e32 v197, v176, v176, vcc_lo
	v_cndmask_b32_e64 v204, v196, v199, s3
	v_cndmask_b32_e64 v199, v178, v178, s2
	s_delay_alu instid0(VALU_DEP_2) | instskip(NEXT) | instid1(VALU_DEP_2)
	v_add_f64 v[201:202], v[201:202], v[203:204]
	v_add_f64 v[197:198], v[197:198], v[199:200]
	s_delay_alu instid0(VALU_DEP_1) | instskip(SKIP_4) | instid1(SALU_CYCLE_1)
	v_cmp_lt_f64_e32 vcc_lo, v[197:198], v[201:202]
	v_dual_cndmask_b32 v178, v178, v195 :: v_dual_cndmask_b32 v177, v177, v194
	v_dual_cndmask_b32 v176, v176, v193 :: v_dual_cndmask_b32 v179, v179, v196
	v_cndmask_b32_e64 v184, v184, s6, vcc_lo
	s_add_i32 s6, s6, 1
	s_cmp_lg_u32 s5, s6
	s_cbranch_scc1 .LBB86_295
.LBB86_296:
	s_set_inst_prefetch_distance 0x2
	s_waitcnt lgkmcnt(0)
	v_cmp_eq_f64_e32 vcc_lo, 0, v[176:177]
	v_cmp_eq_f64_e64 s2, 0, v[178:179]
	s_delay_alu instid0(VALU_DEP_1) | instskip(NEXT) | instid1(SALU_CYCLE_1)
	s_and_b32 s2, vcc_lo, s2
	s_and_saveexec_b32 s3, s2
	s_delay_alu instid0(SALU_CYCLE_1)
	s_xor_b32 s2, exec_lo, s3
; %bb.297:
	v_cmp_ne_u32_e32 vcc_lo, 0, v189
	v_cndmask_b32_e32 v189, 15, v189, vcc_lo
; %bb.298:
	s_and_not1_saveexec_b32 s3, s2
	s_cbranch_execz .LBB86_304
; %bb.299:
	v_cmp_gt_f64_e32 vcc_lo, 0, v[176:177]
	v_cmp_gt_f64_e64 s2, 0, v[178:179]
	v_xor_b32_e32 v185, 0x80000000, v177
	v_xor_b32_e32 v193, 0x80000000, v179
	s_delay_alu instid0(VALU_DEP_2) | instskip(NEXT) | instid1(VALU_DEP_2)
	v_cndmask_b32_e32 v194, v177, v185, vcc_lo
	v_cndmask_b32_e64 v196, v179, v193, s2
	v_cndmask_b32_e32 v193, v176, v176, vcc_lo
	v_cndmask_b32_e64 v195, v178, v178, s2
	s_mov_b32 s2, exec_lo
	s_delay_alu instid0(VALU_DEP_1)
	v_cmpx_ngt_f64_e32 v[193:194], v[195:196]
	s_xor_b32 s2, exec_lo, s2
	s_cbranch_execz .LBB86_301
; %bb.300:
	v_div_scale_f64 v[193:194], null, v[178:179], v[178:179], v[176:177]
	v_div_scale_f64 v[199:200], vcc_lo, v[176:177], v[178:179], v[176:177]
	s_delay_alu instid0(VALU_DEP_2) | instskip(SKIP_2) | instid1(VALU_DEP_1)
	v_rcp_f64_e32 v[195:196], v[193:194]
	s_waitcnt_depctr 0xfff
	v_fma_f64 v[197:198], -v[193:194], v[195:196], 1.0
	v_fma_f64 v[195:196], v[195:196], v[197:198], v[195:196]
	s_delay_alu instid0(VALU_DEP_1) | instskip(NEXT) | instid1(VALU_DEP_1)
	v_fma_f64 v[197:198], -v[193:194], v[195:196], 1.0
	v_fma_f64 v[195:196], v[195:196], v[197:198], v[195:196]
	s_delay_alu instid0(VALU_DEP_1) | instskip(NEXT) | instid1(VALU_DEP_1)
	v_mul_f64 v[197:198], v[199:200], v[195:196]
	v_fma_f64 v[193:194], -v[193:194], v[197:198], v[199:200]
	s_delay_alu instid0(VALU_DEP_1) | instskip(NEXT) | instid1(VALU_DEP_1)
	v_div_fmas_f64 v[193:194], v[193:194], v[195:196], v[197:198]
	v_div_fixup_f64 v[193:194], v[193:194], v[178:179], v[176:177]
	s_delay_alu instid0(VALU_DEP_1) | instskip(NEXT) | instid1(VALU_DEP_1)
	v_fma_f64 v[176:177], v[176:177], v[193:194], v[178:179]
	v_div_scale_f64 v[178:179], null, v[176:177], v[176:177], 1.0
	s_delay_alu instid0(VALU_DEP_1) | instskip(SKIP_2) | instid1(VALU_DEP_1)
	v_rcp_f64_e32 v[195:196], v[178:179]
	s_waitcnt_depctr 0xfff
	v_fma_f64 v[197:198], -v[178:179], v[195:196], 1.0
	v_fma_f64 v[195:196], v[195:196], v[197:198], v[195:196]
	s_delay_alu instid0(VALU_DEP_1) | instskip(NEXT) | instid1(VALU_DEP_1)
	v_fma_f64 v[197:198], -v[178:179], v[195:196], 1.0
	v_fma_f64 v[195:196], v[195:196], v[197:198], v[195:196]
	v_div_scale_f64 v[197:198], vcc_lo, 1.0, v[176:177], 1.0
	s_delay_alu instid0(VALU_DEP_1) | instskip(NEXT) | instid1(VALU_DEP_1)
	v_mul_f64 v[199:200], v[197:198], v[195:196]
	v_fma_f64 v[178:179], -v[178:179], v[199:200], v[197:198]
	s_delay_alu instid0(VALU_DEP_1) | instskip(NEXT) | instid1(VALU_DEP_1)
	v_div_fmas_f64 v[178:179], v[178:179], v[195:196], v[199:200]
	v_div_fixup_f64 v[178:179], v[178:179], v[176:177], 1.0
	s_delay_alu instid0(VALU_DEP_1)
	v_mul_f64 v[176:177], v[193:194], v[178:179]
	v_xor_b32_e32 v179, 0x80000000, v179
.LBB86_301:
	s_and_not1_saveexec_b32 s2, s2
	s_cbranch_execz .LBB86_303
; %bb.302:
	s_delay_alu instid0(VALU_DEP_1) | instskip(SKIP_1) | instid1(VALU_DEP_2)
	v_div_scale_f64 v[193:194], null, v[176:177], v[176:177], v[178:179]
	v_div_scale_f64 v[199:200], vcc_lo, v[178:179], v[176:177], v[178:179]
	v_rcp_f64_e32 v[195:196], v[193:194]
	s_waitcnt_depctr 0xfff
	v_fma_f64 v[197:198], -v[193:194], v[195:196], 1.0
	s_delay_alu instid0(VALU_DEP_1) | instskip(NEXT) | instid1(VALU_DEP_1)
	v_fma_f64 v[195:196], v[195:196], v[197:198], v[195:196]
	v_fma_f64 v[197:198], -v[193:194], v[195:196], 1.0
	s_delay_alu instid0(VALU_DEP_1) | instskip(NEXT) | instid1(VALU_DEP_1)
	v_fma_f64 v[195:196], v[195:196], v[197:198], v[195:196]
	v_mul_f64 v[197:198], v[199:200], v[195:196]
	s_delay_alu instid0(VALU_DEP_1) | instskip(NEXT) | instid1(VALU_DEP_1)
	v_fma_f64 v[193:194], -v[193:194], v[197:198], v[199:200]
	v_div_fmas_f64 v[193:194], v[193:194], v[195:196], v[197:198]
	s_delay_alu instid0(VALU_DEP_1) | instskip(NEXT) | instid1(VALU_DEP_1)
	v_div_fixup_f64 v[193:194], v[193:194], v[176:177], v[178:179]
	v_fma_f64 v[176:177], v[178:179], v[193:194], v[176:177]
	s_delay_alu instid0(VALU_DEP_1) | instskip(NEXT) | instid1(VALU_DEP_1)
	v_div_scale_f64 v[178:179], null, v[176:177], v[176:177], 1.0
	v_rcp_f64_e32 v[195:196], v[178:179]
	s_waitcnt_depctr 0xfff
	v_fma_f64 v[197:198], -v[178:179], v[195:196], 1.0
	s_delay_alu instid0(VALU_DEP_1) | instskip(NEXT) | instid1(VALU_DEP_1)
	v_fma_f64 v[195:196], v[195:196], v[197:198], v[195:196]
	v_fma_f64 v[197:198], -v[178:179], v[195:196], 1.0
	s_delay_alu instid0(VALU_DEP_1) | instskip(SKIP_1) | instid1(VALU_DEP_1)
	v_fma_f64 v[195:196], v[195:196], v[197:198], v[195:196]
	v_div_scale_f64 v[197:198], vcc_lo, 1.0, v[176:177], 1.0
	v_mul_f64 v[199:200], v[197:198], v[195:196]
	s_delay_alu instid0(VALU_DEP_1) | instskip(NEXT) | instid1(VALU_DEP_1)
	v_fma_f64 v[178:179], -v[178:179], v[199:200], v[197:198]
	v_div_fmas_f64 v[178:179], v[178:179], v[195:196], v[199:200]
	s_delay_alu instid0(VALU_DEP_1) | instskip(NEXT) | instid1(VALU_DEP_1)
	v_div_fixup_f64 v[176:177], v[178:179], v[176:177], 1.0
	v_mul_f64 v[178:179], v[193:194], -v[176:177]
.LBB86_303:
	s_or_b32 exec_lo, exec_lo, s2
.LBB86_304:
	s_delay_alu instid0(SALU_CYCLE_1) | instskip(NEXT) | instid1(SALU_CYCLE_1)
	s_or_b32 exec_lo, exec_lo, s3
	s_mov_b32 s2, exec_lo
	v_cmpx_ne_u32_e64 v192, v184
	s_xor_b32 s2, exec_lo, s2
	s_cbranch_execz .LBB86_310
; %bb.305:
	s_mov_b32 s3, exec_lo
	v_cmpx_eq_u32_e32 14, v192
	s_cbranch_execz .LBB86_309
; %bb.306:
	v_cmp_ne_u32_e32 vcc_lo, 14, v184
	s_xor_b32 s6, s4, -1
	s_delay_alu instid0(SALU_CYCLE_1) | instskip(NEXT) | instid1(SALU_CYCLE_1)
	s_and_b32 s7, s6, vcc_lo
	s_and_saveexec_b32 s6, s7
	s_cbranch_execz .LBB86_308
; %bb.307:
	v_ashrrev_i32_e32 v185, 31, v184
	s_delay_alu instid0(VALU_DEP_1) | instskip(NEXT) | instid1(VALU_DEP_1)
	v_lshlrev_b64 v[191:192], 2, v[184:185]
	v_add_co_u32 v191, vcc_lo, v182, v191
	s_delay_alu instid0(VALU_DEP_2)
	v_add_co_ci_u32_e32 v192, vcc_lo, v183, v192, vcc_lo
	s_clause 0x1
	flat_load_b32 v185, v[191:192]
	flat_load_b32 v193, v[182:183] offset:56
	s_waitcnt vmcnt(1) lgkmcnt(1)
	flat_store_b32 v[182:183], v185 offset:56
	s_waitcnt vmcnt(0) lgkmcnt(1)
	flat_store_b32 v[191:192], v193
.LBB86_308:
	s_or_b32 exec_lo, exec_lo, s6
	v_mov_b32_e32 v192, v184
	v_mov_b32_e32 v191, v184
.LBB86_309:
	s_or_b32 exec_lo, exec_lo, s3
.LBB86_310:
	s_and_not1_saveexec_b32 s2, s2
	s_cbranch_execz .LBB86_312
; %bb.311:
	v_mov_b32_e32 v192, 14
	ds_store_2addr_b64 v186, v[112:113], v[114:115] offset0:30 offset1:31
	ds_store_2addr_b64 v186, v[108:109], v[110:111] offset0:32 offset1:33
	;; [unrolled: 1-line block ×29, first 2 shown]
.LBB86_312:
	s_or_b32 exec_lo, exec_lo, s2
	s_delay_alu instid0(SALU_CYCLE_1)
	s_mov_b32 s2, exec_lo
	s_waitcnt lgkmcnt(0)
	s_waitcnt_vscnt null, 0x0
	s_barrier
	buffer_gl0_inv
	v_cmpx_lt_i32_e32 14, v192
	s_cbranch_execz .LBB86_314
; %bb.313:
	v_mul_f64 v[184:185], v[178:179], v[118:119]
	v_mul_f64 v[118:119], v[176:177], v[118:119]
	s_delay_alu instid0(VALU_DEP_2) | instskip(NEXT) | instid1(VALU_DEP_2)
	v_fma_f64 v[184:185], v[176:177], v[116:117], -v[184:185]
	v_fma_f64 v[118:119], v[178:179], v[116:117], v[118:119]
	ds_load_2addr_b64 v[176:179], v186 offset0:30 offset1:31
	s_waitcnt lgkmcnt(0)
	v_mul_f64 v[116:117], v[178:179], v[118:119]
	s_delay_alu instid0(VALU_DEP_1) | instskip(SKIP_1) | instid1(VALU_DEP_2)
	v_fma_f64 v[116:117], v[176:177], v[184:185], -v[116:117]
	v_mul_f64 v[176:177], v[176:177], v[118:119]
	v_add_f64 v[112:113], v[112:113], -v[116:117]
	s_delay_alu instid0(VALU_DEP_2) | instskip(NEXT) | instid1(VALU_DEP_1)
	v_fma_f64 v[176:177], v[178:179], v[184:185], v[176:177]
	v_add_f64 v[114:115], v[114:115], -v[176:177]
	ds_load_2addr_b64 v[176:179], v186 offset0:32 offset1:33
	s_waitcnt lgkmcnt(0)
	v_mul_f64 v[116:117], v[178:179], v[118:119]
	s_delay_alu instid0(VALU_DEP_1) | instskip(SKIP_1) | instid1(VALU_DEP_2)
	v_fma_f64 v[116:117], v[176:177], v[184:185], -v[116:117]
	v_mul_f64 v[176:177], v[176:177], v[118:119]
	v_add_f64 v[108:109], v[108:109], -v[116:117]
	s_delay_alu instid0(VALU_DEP_2) | instskip(NEXT) | instid1(VALU_DEP_1)
	v_fma_f64 v[176:177], v[178:179], v[184:185], v[176:177]
	v_add_f64 v[110:111], v[110:111], -v[176:177]
	;; [unrolled: 10-line block ×28, first 2 shown]
	ds_load_2addr_b64 v[176:179], v186 offset0:86 offset1:87
	s_waitcnt lgkmcnt(0)
	v_mul_f64 v[116:117], v[178:179], v[118:119]
	s_delay_alu instid0(VALU_DEP_1) | instskip(SKIP_1) | instid1(VALU_DEP_2)
	v_fma_f64 v[116:117], v[176:177], v[184:185], -v[116:117]
	v_mul_f64 v[176:177], v[176:177], v[118:119]
	v_add_f64 v[0:1], v[0:1], -v[116:117]
	s_delay_alu instid0(VALU_DEP_2) | instskip(SKIP_1) | instid1(VALU_DEP_2)
	v_fma_f64 v[176:177], v[178:179], v[184:185], v[176:177]
	v_dual_mov_b32 v116, v184 :: v_dual_mov_b32 v117, v185
	v_add_f64 v[2:3], v[2:3], -v[176:177]
.LBB86_314:
	s_or_b32 exec_lo, exec_lo, s2
	v_lshl_add_u32 v176, v192, 4, v186
	s_barrier
	buffer_gl0_inv
	v_mov_b32_e32 v184, 15
	ds_store_2addr_b64 v176, v[112:113], v[114:115] offset1:1
	s_waitcnt lgkmcnt(0)
	s_barrier
	buffer_gl0_inv
	ds_load_2addr_b64 v[176:179], v186 offset0:30 offset1:31
	s_cmp_lt_i32 s5, 17
	s_cbranch_scc1 .LBB86_317
; %bb.315:
	v_add3_u32 v185, v190, 0, 0x100
	v_mov_b32_e32 v184, 15
	s_mov_b32 s6, 16
	s_set_inst_prefetch_distance 0x1
	.p2align	6
.LBB86_316:                             ; =>This Inner Loop Header: Depth=1
	ds_load_2addr_b64 v[193:196], v185 offset1:1
	s_waitcnt lgkmcnt(1)
	v_cmp_gt_f64_e32 vcc_lo, 0, v[176:177]
	v_xor_b32_e32 v197, 0x80000000, v177
	v_cmp_gt_f64_e64 s2, 0, v[178:179]
	v_xor_b32_e32 v199, 0x80000000, v179
	v_add_nc_u32_e32 v185, 16, v185
	s_waitcnt lgkmcnt(0)
	v_cmp_gt_f64_e64 s3, 0, v[193:194]
	v_mov_b32_e32 v201, v193
	v_dual_mov_b32 v203, v195 :: v_dual_cndmask_b32 v198, v177, v197
	v_xor_b32_e32 v197, 0x80000000, v194
	v_cndmask_b32_e64 v200, v179, v199, s2
	v_xor_b32_e32 v199, 0x80000000, v196
	s_delay_alu instid0(VALU_DEP_3) | instskip(SKIP_2) | instid1(VALU_DEP_2)
	v_cndmask_b32_e64 v202, v194, v197, s3
	v_cmp_gt_f64_e64 s3, 0, v[195:196]
	v_cndmask_b32_e32 v197, v176, v176, vcc_lo
	v_cndmask_b32_e64 v204, v196, v199, s3
	v_cndmask_b32_e64 v199, v178, v178, s2
	s_delay_alu instid0(VALU_DEP_2) | instskip(NEXT) | instid1(VALU_DEP_2)
	v_add_f64 v[201:202], v[201:202], v[203:204]
	v_add_f64 v[197:198], v[197:198], v[199:200]
	s_delay_alu instid0(VALU_DEP_1) | instskip(SKIP_4) | instid1(SALU_CYCLE_1)
	v_cmp_lt_f64_e32 vcc_lo, v[197:198], v[201:202]
	v_dual_cndmask_b32 v178, v178, v195 :: v_dual_cndmask_b32 v177, v177, v194
	v_dual_cndmask_b32 v176, v176, v193 :: v_dual_cndmask_b32 v179, v179, v196
	v_cndmask_b32_e64 v184, v184, s6, vcc_lo
	s_add_i32 s6, s6, 1
	s_cmp_lg_u32 s5, s6
	s_cbranch_scc1 .LBB86_316
.LBB86_317:
	s_set_inst_prefetch_distance 0x2
	s_waitcnt lgkmcnt(0)
	v_cmp_eq_f64_e32 vcc_lo, 0, v[176:177]
	v_cmp_eq_f64_e64 s2, 0, v[178:179]
	s_delay_alu instid0(VALU_DEP_1) | instskip(NEXT) | instid1(SALU_CYCLE_1)
	s_and_b32 s2, vcc_lo, s2
	s_and_saveexec_b32 s3, s2
	s_delay_alu instid0(SALU_CYCLE_1)
	s_xor_b32 s2, exec_lo, s3
; %bb.318:
	v_cmp_ne_u32_e32 vcc_lo, 0, v189
	v_cndmask_b32_e32 v189, 16, v189, vcc_lo
; %bb.319:
	s_and_not1_saveexec_b32 s3, s2
	s_cbranch_execz .LBB86_325
; %bb.320:
	v_cmp_gt_f64_e32 vcc_lo, 0, v[176:177]
	v_cmp_gt_f64_e64 s2, 0, v[178:179]
	v_xor_b32_e32 v185, 0x80000000, v177
	v_xor_b32_e32 v193, 0x80000000, v179
	s_delay_alu instid0(VALU_DEP_2) | instskip(NEXT) | instid1(VALU_DEP_2)
	v_cndmask_b32_e32 v194, v177, v185, vcc_lo
	v_cndmask_b32_e64 v196, v179, v193, s2
	v_cndmask_b32_e32 v193, v176, v176, vcc_lo
	v_cndmask_b32_e64 v195, v178, v178, s2
	s_mov_b32 s2, exec_lo
	s_delay_alu instid0(VALU_DEP_1)
	v_cmpx_ngt_f64_e32 v[193:194], v[195:196]
	s_xor_b32 s2, exec_lo, s2
	s_cbranch_execz .LBB86_322
; %bb.321:
	v_div_scale_f64 v[193:194], null, v[178:179], v[178:179], v[176:177]
	v_div_scale_f64 v[199:200], vcc_lo, v[176:177], v[178:179], v[176:177]
	s_delay_alu instid0(VALU_DEP_2) | instskip(SKIP_2) | instid1(VALU_DEP_1)
	v_rcp_f64_e32 v[195:196], v[193:194]
	s_waitcnt_depctr 0xfff
	v_fma_f64 v[197:198], -v[193:194], v[195:196], 1.0
	v_fma_f64 v[195:196], v[195:196], v[197:198], v[195:196]
	s_delay_alu instid0(VALU_DEP_1) | instskip(NEXT) | instid1(VALU_DEP_1)
	v_fma_f64 v[197:198], -v[193:194], v[195:196], 1.0
	v_fma_f64 v[195:196], v[195:196], v[197:198], v[195:196]
	s_delay_alu instid0(VALU_DEP_1) | instskip(NEXT) | instid1(VALU_DEP_1)
	v_mul_f64 v[197:198], v[199:200], v[195:196]
	v_fma_f64 v[193:194], -v[193:194], v[197:198], v[199:200]
	s_delay_alu instid0(VALU_DEP_1) | instskip(NEXT) | instid1(VALU_DEP_1)
	v_div_fmas_f64 v[193:194], v[193:194], v[195:196], v[197:198]
	v_div_fixup_f64 v[193:194], v[193:194], v[178:179], v[176:177]
	s_delay_alu instid0(VALU_DEP_1) | instskip(NEXT) | instid1(VALU_DEP_1)
	v_fma_f64 v[176:177], v[176:177], v[193:194], v[178:179]
	v_div_scale_f64 v[178:179], null, v[176:177], v[176:177], 1.0
	s_delay_alu instid0(VALU_DEP_1) | instskip(SKIP_2) | instid1(VALU_DEP_1)
	v_rcp_f64_e32 v[195:196], v[178:179]
	s_waitcnt_depctr 0xfff
	v_fma_f64 v[197:198], -v[178:179], v[195:196], 1.0
	v_fma_f64 v[195:196], v[195:196], v[197:198], v[195:196]
	s_delay_alu instid0(VALU_DEP_1) | instskip(NEXT) | instid1(VALU_DEP_1)
	v_fma_f64 v[197:198], -v[178:179], v[195:196], 1.0
	v_fma_f64 v[195:196], v[195:196], v[197:198], v[195:196]
	v_div_scale_f64 v[197:198], vcc_lo, 1.0, v[176:177], 1.0
	s_delay_alu instid0(VALU_DEP_1) | instskip(NEXT) | instid1(VALU_DEP_1)
	v_mul_f64 v[199:200], v[197:198], v[195:196]
	v_fma_f64 v[178:179], -v[178:179], v[199:200], v[197:198]
	s_delay_alu instid0(VALU_DEP_1) | instskip(NEXT) | instid1(VALU_DEP_1)
	v_div_fmas_f64 v[178:179], v[178:179], v[195:196], v[199:200]
	v_div_fixup_f64 v[178:179], v[178:179], v[176:177], 1.0
	s_delay_alu instid0(VALU_DEP_1)
	v_mul_f64 v[176:177], v[193:194], v[178:179]
	v_xor_b32_e32 v179, 0x80000000, v179
.LBB86_322:
	s_and_not1_saveexec_b32 s2, s2
	s_cbranch_execz .LBB86_324
; %bb.323:
	s_delay_alu instid0(VALU_DEP_1) | instskip(SKIP_1) | instid1(VALU_DEP_2)
	v_div_scale_f64 v[193:194], null, v[176:177], v[176:177], v[178:179]
	v_div_scale_f64 v[199:200], vcc_lo, v[178:179], v[176:177], v[178:179]
	v_rcp_f64_e32 v[195:196], v[193:194]
	s_waitcnt_depctr 0xfff
	v_fma_f64 v[197:198], -v[193:194], v[195:196], 1.0
	s_delay_alu instid0(VALU_DEP_1) | instskip(NEXT) | instid1(VALU_DEP_1)
	v_fma_f64 v[195:196], v[195:196], v[197:198], v[195:196]
	v_fma_f64 v[197:198], -v[193:194], v[195:196], 1.0
	s_delay_alu instid0(VALU_DEP_1) | instskip(NEXT) | instid1(VALU_DEP_1)
	v_fma_f64 v[195:196], v[195:196], v[197:198], v[195:196]
	v_mul_f64 v[197:198], v[199:200], v[195:196]
	s_delay_alu instid0(VALU_DEP_1) | instskip(NEXT) | instid1(VALU_DEP_1)
	v_fma_f64 v[193:194], -v[193:194], v[197:198], v[199:200]
	v_div_fmas_f64 v[193:194], v[193:194], v[195:196], v[197:198]
	s_delay_alu instid0(VALU_DEP_1) | instskip(NEXT) | instid1(VALU_DEP_1)
	v_div_fixup_f64 v[193:194], v[193:194], v[176:177], v[178:179]
	v_fma_f64 v[176:177], v[178:179], v[193:194], v[176:177]
	s_delay_alu instid0(VALU_DEP_1) | instskip(NEXT) | instid1(VALU_DEP_1)
	v_div_scale_f64 v[178:179], null, v[176:177], v[176:177], 1.0
	v_rcp_f64_e32 v[195:196], v[178:179]
	s_waitcnt_depctr 0xfff
	v_fma_f64 v[197:198], -v[178:179], v[195:196], 1.0
	s_delay_alu instid0(VALU_DEP_1) | instskip(NEXT) | instid1(VALU_DEP_1)
	v_fma_f64 v[195:196], v[195:196], v[197:198], v[195:196]
	v_fma_f64 v[197:198], -v[178:179], v[195:196], 1.0
	s_delay_alu instid0(VALU_DEP_1) | instskip(SKIP_1) | instid1(VALU_DEP_1)
	v_fma_f64 v[195:196], v[195:196], v[197:198], v[195:196]
	v_div_scale_f64 v[197:198], vcc_lo, 1.0, v[176:177], 1.0
	v_mul_f64 v[199:200], v[197:198], v[195:196]
	s_delay_alu instid0(VALU_DEP_1) | instskip(NEXT) | instid1(VALU_DEP_1)
	v_fma_f64 v[178:179], -v[178:179], v[199:200], v[197:198]
	v_div_fmas_f64 v[178:179], v[178:179], v[195:196], v[199:200]
	s_delay_alu instid0(VALU_DEP_1) | instskip(NEXT) | instid1(VALU_DEP_1)
	v_div_fixup_f64 v[176:177], v[178:179], v[176:177], 1.0
	v_mul_f64 v[178:179], v[193:194], -v[176:177]
.LBB86_324:
	s_or_b32 exec_lo, exec_lo, s2
.LBB86_325:
	s_delay_alu instid0(SALU_CYCLE_1) | instskip(NEXT) | instid1(SALU_CYCLE_1)
	s_or_b32 exec_lo, exec_lo, s3
	s_mov_b32 s2, exec_lo
	v_cmpx_ne_u32_e64 v192, v184
	s_xor_b32 s2, exec_lo, s2
	s_cbranch_execz .LBB86_331
; %bb.326:
	s_mov_b32 s3, exec_lo
	v_cmpx_eq_u32_e32 15, v192
	s_cbranch_execz .LBB86_330
; %bb.327:
	v_cmp_ne_u32_e32 vcc_lo, 15, v184
	s_xor_b32 s6, s4, -1
	s_delay_alu instid0(SALU_CYCLE_1) | instskip(NEXT) | instid1(SALU_CYCLE_1)
	s_and_b32 s7, s6, vcc_lo
	s_and_saveexec_b32 s6, s7
	s_cbranch_execz .LBB86_329
; %bb.328:
	v_ashrrev_i32_e32 v185, 31, v184
	s_delay_alu instid0(VALU_DEP_1) | instskip(NEXT) | instid1(VALU_DEP_1)
	v_lshlrev_b64 v[191:192], 2, v[184:185]
	v_add_co_u32 v191, vcc_lo, v182, v191
	s_delay_alu instid0(VALU_DEP_2)
	v_add_co_ci_u32_e32 v192, vcc_lo, v183, v192, vcc_lo
	s_clause 0x1
	flat_load_b32 v185, v[191:192]
	flat_load_b32 v193, v[182:183] offset:60
	s_waitcnt vmcnt(1) lgkmcnt(1)
	flat_store_b32 v[182:183], v185 offset:60
	s_waitcnt vmcnt(0) lgkmcnt(1)
	flat_store_b32 v[191:192], v193
.LBB86_329:
	s_or_b32 exec_lo, exec_lo, s6
	v_mov_b32_e32 v192, v184
	v_mov_b32_e32 v191, v184
.LBB86_330:
	s_or_b32 exec_lo, exec_lo, s3
.LBB86_331:
	s_and_not1_saveexec_b32 s2, s2
	s_cbranch_execz .LBB86_333
; %bb.332:
	v_mov_b32_e32 v192, 15
	ds_store_2addr_b64 v186, v[108:109], v[110:111] offset0:32 offset1:33
	ds_store_2addr_b64 v186, v[104:105], v[106:107] offset0:34 offset1:35
	;; [unrolled: 1-line block ×28, first 2 shown]
.LBB86_333:
	s_or_b32 exec_lo, exec_lo, s2
	s_delay_alu instid0(SALU_CYCLE_1)
	s_mov_b32 s2, exec_lo
	s_waitcnt lgkmcnt(0)
	s_waitcnt_vscnt null, 0x0
	s_barrier
	buffer_gl0_inv
	v_cmpx_lt_i32_e32 15, v192
	s_cbranch_execz .LBB86_335
; %bb.334:
	v_mul_f64 v[184:185], v[178:179], v[114:115]
	v_mul_f64 v[114:115], v[176:177], v[114:115]
	s_delay_alu instid0(VALU_DEP_2) | instskip(NEXT) | instid1(VALU_DEP_2)
	v_fma_f64 v[184:185], v[176:177], v[112:113], -v[184:185]
	v_fma_f64 v[114:115], v[178:179], v[112:113], v[114:115]
	ds_load_2addr_b64 v[176:179], v186 offset0:32 offset1:33
	s_waitcnt lgkmcnt(0)
	v_mul_f64 v[112:113], v[178:179], v[114:115]
	s_delay_alu instid0(VALU_DEP_1) | instskip(SKIP_1) | instid1(VALU_DEP_2)
	v_fma_f64 v[112:113], v[176:177], v[184:185], -v[112:113]
	v_mul_f64 v[176:177], v[176:177], v[114:115]
	v_add_f64 v[108:109], v[108:109], -v[112:113]
	s_delay_alu instid0(VALU_DEP_2) | instskip(NEXT) | instid1(VALU_DEP_1)
	v_fma_f64 v[176:177], v[178:179], v[184:185], v[176:177]
	v_add_f64 v[110:111], v[110:111], -v[176:177]
	ds_load_2addr_b64 v[176:179], v186 offset0:34 offset1:35
	s_waitcnt lgkmcnt(0)
	v_mul_f64 v[112:113], v[178:179], v[114:115]
	s_delay_alu instid0(VALU_DEP_1) | instskip(SKIP_1) | instid1(VALU_DEP_2)
	v_fma_f64 v[112:113], v[176:177], v[184:185], -v[112:113]
	v_mul_f64 v[176:177], v[176:177], v[114:115]
	v_add_f64 v[104:105], v[104:105], -v[112:113]
	s_delay_alu instid0(VALU_DEP_2) | instskip(NEXT) | instid1(VALU_DEP_1)
	v_fma_f64 v[176:177], v[178:179], v[184:185], v[176:177]
	v_add_f64 v[106:107], v[106:107], -v[176:177]
	;; [unrolled: 10-line block ×27, first 2 shown]
	ds_load_2addr_b64 v[176:179], v186 offset0:86 offset1:87
	s_waitcnt lgkmcnt(0)
	v_mul_f64 v[112:113], v[178:179], v[114:115]
	s_delay_alu instid0(VALU_DEP_1) | instskip(SKIP_1) | instid1(VALU_DEP_2)
	v_fma_f64 v[112:113], v[176:177], v[184:185], -v[112:113]
	v_mul_f64 v[176:177], v[176:177], v[114:115]
	v_add_f64 v[0:1], v[0:1], -v[112:113]
	s_delay_alu instid0(VALU_DEP_2) | instskip(SKIP_1) | instid1(VALU_DEP_2)
	v_fma_f64 v[176:177], v[178:179], v[184:185], v[176:177]
	v_dual_mov_b32 v112, v184 :: v_dual_mov_b32 v113, v185
	v_add_f64 v[2:3], v[2:3], -v[176:177]
.LBB86_335:
	s_or_b32 exec_lo, exec_lo, s2
	v_lshl_add_u32 v176, v192, 4, v186
	s_barrier
	buffer_gl0_inv
	v_mov_b32_e32 v184, 16
	ds_store_2addr_b64 v176, v[108:109], v[110:111] offset1:1
	s_waitcnt lgkmcnt(0)
	s_barrier
	buffer_gl0_inv
	ds_load_2addr_b64 v[176:179], v186 offset0:32 offset1:33
	s_cmp_lt_i32 s5, 18
	s_cbranch_scc1 .LBB86_338
; %bb.336:
	v_add3_u32 v185, v190, 0, 0x110
	v_mov_b32_e32 v184, 16
	s_mov_b32 s6, 17
	s_set_inst_prefetch_distance 0x1
	.p2align	6
.LBB86_337:                             ; =>This Inner Loop Header: Depth=1
	ds_load_2addr_b64 v[193:196], v185 offset1:1
	s_waitcnt lgkmcnt(1)
	v_cmp_gt_f64_e32 vcc_lo, 0, v[176:177]
	v_xor_b32_e32 v197, 0x80000000, v177
	v_cmp_gt_f64_e64 s2, 0, v[178:179]
	v_xor_b32_e32 v199, 0x80000000, v179
	v_add_nc_u32_e32 v185, 16, v185
	s_waitcnt lgkmcnt(0)
	v_cmp_gt_f64_e64 s3, 0, v[193:194]
	v_mov_b32_e32 v201, v193
	v_dual_mov_b32 v203, v195 :: v_dual_cndmask_b32 v198, v177, v197
	v_xor_b32_e32 v197, 0x80000000, v194
	v_cndmask_b32_e64 v200, v179, v199, s2
	v_xor_b32_e32 v199, 0x80000000, v196
	s_delay_alu instid0(VALU_DEP_3) | instskip(SKIP_2) | instid1(VALU_DEP_2)
	v_cndmask_b32_e64 v202, v194, v197, s3
	v_cmp_gt_f64_e64 s3, 0, v[195:196]
	v_cndmask_b32_e32 v197, v176, v176, vcc_lo
	v_cndmask_b32_e64 v204, v196, v199, s3
	v_cndmask_b32_e64 v199, v178, v178, s2
	s_delay_alu instid0(VALU_DEP_2) | instskip(NEXT) | instid1(VALU_DEP_2)
	v_add_f64 v[201:202], v[201:202], v[203:204]
	v_add_f64 v[197:198], v[197:198], v[199:200]
	s_delay_alu instid0(VALU_DEP_1) | instskip(SKIP_4) | instid1(SALU_CYCLE_1)
	v_cmp_lt_f64_e32 vcc_lo, v[197:198], v[201:202]
	v_dual_cndmask_b32 v178, v178, v195 :: v_dual_cndmask_b32 v177, v177, v194
	v_dual_cndmask_b32 v176, v176, v193 :: v_dual_cndmask_b32 v179, v179, v196
	v_cndmask_b32_e64 v184, v184, s6, vcc_lo
	s_add_i32 s6, s6, 1
	s_cmp_lg_u32 s5, s6
	s_cbranch_scc1 .LBB86_337
.LBB86_338:
	s_set_inst_prefetch_distance 0x2
	s_waitcnt lgkmcnt(0)
	v_cmp_eq_f64_e32 vcc_lo, 0, v[176:177]
	v_cmp_eq_f64_e64 s2, 0, v[178:179]
	s_delay_alu instid0(VALU_DEP_1) | instskip(NEXT) | instid1(SALU_CYCLE_1)
	s_and_b32 s2, vcc_lo, s2
	s_and_saveexec_b32 s3, s2
	s_delay_alu instid0(SALU_CYCLE_1)
	s_xor_b32 s2, exec_lo, s3
; %bb.339:
	v_cmp_ne_u32_e32 vcc_lo, 0, v189
	v_cndmask_b32_e32 v189, 17, v189, vcc_lo
; %bb.340:
	s_and_not1_saveexec_b32 s3, s2
	s_cbranch_execz .LBB86_346
; %bb.341:
	v_cmp_gt_f64_e32 vcc_lo, 0, v[176:177]
	v_cmp_gt_f64_e64 s2, 0, v[178:179]
	v_xor_b32_e32 v185, 0x80000000, v177
	v_xor_b32_e32 v193, 0x80000000, v179
	s_delay_alu instid0(VALU_DEP_2) | instskip(NEXT) | instid1(VALU_DEP_2)
	v_cndmask_b32_e32 v194, v177, v185, vcc_lo
	v_cndmask_b32_e64 v196, v179, v193, s2
	v_cndmask_b32_e32 v193, v176, v176, vcc_lo
	v_cndmask_b32_e64 v195, v178, v178, s2
	s_mov_b32 s2, exec_lo
	s_delay_alu instid0(VALU_DEP_1)
	v_cmpx_ngt_f64_e32 v[193:194], v[195:196]
	s_xor_b32 s2, exec_lo, s2
	s_cbranch_execz .LBB86_343
; %bb.342:
	v_div_scale_f64 v[193:194], null, v[178:179], v[178:179], v[176:177]
	v_div_scale_f64 v[199:200], vcc_lo, v[176:177], v[178:179], v[176:177]
	s_delay_alu instid0(VALU_DEP_2) | instskip(SKIP_2) | instid1(VALU_DEP_1)
	v_rcp_f64_e32 v[195:196], v[193:194]
	s_waitcnt_depctr 0xfff
	v_fma_f64 v[197:198], -v[193:194], v[195:196], 1.0
	v_fma_f64 v[195:196], v[195:196], v[197:198], v[195:196]
	s_delay_alu instid0(VALU_DEP_1) | instskip(NEXT) | instid1(VALU_DEP_1)
	v_fma_f64 v[197:198], -v[193:194], v[195:196], 1.0
	v_fma_f64 v[195:196], v[195:196], v[197:198], v[195:196]
	s_delay_alu instid0(VALU_DEP_1) | instskip(NEXT) | instid1(VALU_DEP_1)
	v_mul_f64 v[197:198], v[199:200], v[195:196]
	v_fma_f64 v[193:194], -v[193:194], v[197:198], v[199:200]
	s_delay_alu instid0(VALU_DEP_1) | instskip(NEXT) | instid1(VALU_DEP_1)
	v_div_fmas_f64 v[193:194], v[193:194], v[195:196], v[197:198]
	v_div_fixup_f64 v[193:194], v[193:194], v[178:179], v[176:177]
	s_delay_alu instid0(VALU_DEP_1) | instskip(NEXT) | instid1(VALU_DEP_1)
	v_fma_f64 v[176:177], v[176:177], v[193:194], v[178:179]
	v_div_scale_f64 v[178:179], null, v[176:177], v[176:177], 1.0
	s_delay_alu instid0(VALU_DEP_1) | instskip(SKIP_2) | instid1(VALU_DEP_1)
	v_rcp_f64_e32 v[195:196], v[178:179]
	s_waitcnt_depctr 0xfff
	v_fma_f64 v[197:198], -v[178:179], v[195:196], 1.0
	v_fma_f64 v[195:196], v[195:196], v[197:198], v[195:196]
	s_delay_alu instid0(VALU_DEP_1) | instskip(NEXT) | instid1(VALU_DEP_1)
	v_fma_f64 v[197:198], -v[178:179], v[195:196], 1.0
	v_fma_f64 v[195:196], v[195:196], v[197:198], v[195:196]
	v_div_scale_f64 v[197:198], vcc_lo, 1.0, v[176:177], 1.0
	s_delay_alu instid0(VALU_DEP_1) | instskip(NEXT) | instid1(VALU_DEP_1)
	v_mul_f64 v[199:200], v[197:198], v[195:196]
	v_fma_f64 v[178:179], -v[178:179], v[199:200], v[197:198]
	s_delay_alu instid0(VALU_DEP_1) | instskip(NEXT) | instid1(VALU_DEP_1)
	v_div_fmas_f64 v[178:179], v[178:179], v[195:196], v[199:200]
	v_div_fixup_f64 v[178:179], v[178:179], v[176:177], 1.0
	s_delay_alu instid0(VALU_DEP_1)
	v_mul_f64 v[176:177], v[193:194], v[178:179]
	v_xor_b32_e32 v179, 0x80000000, v179
.LBB86_343:
	s_and_not1_saveexec_b32 s2, s2
	s_cbranch_execz .LBB86_345
; %bb.344:
	s_delay_alu instid0(VALU_DEP_1) | instskip(SKIP_1) | instid1(VALU_DEP_2)
	v_div_scale_f64 v[193:194], null, v[176:177], v[176:177], v[178:179]
	v_div_scale_f64 v[199:200], vcc_lo, v[178:179], v[176:177], v[178:179]
	v_rcp_f64_e32 v[195:196], v[193:194]
	s_waitcnt_depctr 0xfff
	v_fma_f64 v[197:198], -v[193:194], v[195:196], 1.0
	s_delay_alu instid0(VALU_DEP_1) | instskip(NEXT) | instid1(VALU_DEP_1)
	v_fma_f64 v[195:196], v[195:196], v[197:198], v[195:196]
	v_fma_f64 v[197:198], -v[193:194], v[195:196], 1.0
	s_delay_alu instid0(VALU_DEP_1) | instskip(NEXT) | instid1(VALU_DEP_1)
	v_fma_f64 v[195:196], v[195:196], v[197:198], v[195:196]
	v_mul_f64 v[197:198], v[199:200], v[195:196]
	s_delay_alu instid0(VALU_DEP_1) | instskip(NEXT) | instid1(VALU_DEP_1)
	v_fma_f64 v[193:194], -v[193:194], v[197:198], v[199:200]
	v_div_fmas_f64 v[193:194], v[193:194], v[195:196], v[197:198]
	s_delay_alu instid0(VALU_DEP_1) | instskip(NEXT) | instid1(VALU_DEP_1)
	v_div_fixup_f64 v[193:194], v[193:194], v[176:177], v[178:179]
	v_fma_f64 v[176:177], v[178:179], v[193:194], v[176:177]
	s_delay_alu instid0(VALU_DEP_1) | instskip(NEXT) | instid1(VALU_DEP_1)
	v_div_scale_f64 v[178:179], null, v[176:177], v[176:177], 1.0
	v_rcp_f64_e32 v[195:196], v[178:179]
	s_waitcnt_depctr 0xfff
	v_fma_f64 v[197:198], -v[178:179], v[195:196], 1.0
	s_delay_alu instid0(VALU_DEP_1) | instskip(NEXT) | instid1(VALU_DEP_1)
	v_fma_f64 v[195:196], v[195:196], v[197:198], v[195:196]
	v_fma_f64 v[197:198], -v[178:179], v[195:196], 1.0
	s_delay_alu instid0(VALU_DEP_1) | instskip(SKIP_1) | instid1(VALU_DEP_1)
	v_fma_f64 v[195:196], v[195:196], v[197:198], v[195:196]
	v_div_scale_f64 v[197:198], vcc_lo, 1.0, v[176:177], 1.0
	v_mul_f64 v[199:200], v[197:198], v[195:196]
	s_delay_alu instid0(VALU_DEP_1) | instskip(NEXT) | instid1(VALU_DEP_1)
	v_fma_f64 v[178:179], -v[178:179], v[199:200], v[197:198]
	v_div_fmas_f64 v[178:179], v[178:179], v[195:196], v[199:200]
	s_delay_alu instid0(VALU_DEP_1) | instskip(NEXT) | instid1(VALU_DEP_1)
	v_div_fixup_f64 v[176:177], v[178:179], v[176:177], 1.0
	v_mul_f64 v[178:179], v[193:194], -v[176:177]
.LBB86_345:
	s_or_b32 exec_lo, exec_lo, s2
.LBB86_346:
	s_delay_alu instid0(SALU_CYCLE_1) | instskip(NEXT) | instid1(SALU_CYCLE_1)
	s_or_b32 exec_lo, exec_lo, s3
	s_mov_b32 s2, exec_lo
	v_cmpx_ne_u32_e64 v192, v184
	s_xor_b32 s2, exec_lo, s2
	s_cbranch_execz .LBB86_352
; %bb.347:
	s_mov_b32 s3, exec_lo
	v_cmpx_eq_u32_e32 16, v192
	s_cbranch_execz .LBB86_351
; %bb.348:
	v_cmp_ne_u32_e32 vcc_lo, 16, v184
	s_xor_b32 s6, s4, -1
	s_delay_alu instid0(SALU_CYCLE_1) | instskip(NEXT) | instid1(SALU_CYCLE_1)
	s_and_b32 s7, s6, vcc_lo
	s_and_saveexec_b32 s6, s7
	s_cbranch_execz .LBB86_350
; %bb.349:
	v_ashrrev_i32_e32 v185, 31, v184
	s_delay_alu instid0(VALU_DEP_1) | instskip(NEXT) | instid1(VALU_DEP_1)
	v_lshlrev_b64 v[191:192], 2, v[184:185]
	v_add_co_u32 v191, vcc_lo, v182, v191
	s_delay_alu instid0(VALU_DEP_2)
	v_add_co_ci_u32_e32 v192, vcc_lo, v183, v192, vcc_lo
	s_clause 0x1
	flat_load_b32 v185, v[191:192]
	flat_load_b32 v193, v[182:183] offset:64
	s_waitcnt vmcnt(1) lgkmcnt(1)
	flat_store_b32 v[182:183], v185 offset:64
	s_waitcnt vmcnt(0) lgkmcnt(1)
	flat_store_b32 v[191:192], v193
.LBB86_350:
	s_or_b32 exec_lo, exec_lo, s6
	v_mov_b32_e32 v192, v184
	v_mov_b32_e32 v191, v184
.LBB86_351:
	s_or_b32 exec_lo, exec_lo, s3
.LBB86_352:
	s_and_not1_saveexec_b32 s2, s2
	s_cbranch_execz .LBB86_354
; %bb.353:
	v_mov_b32_e32 v192, 16
	ds_store_2addr_b64 v186, v[104:105], v[106:107] offset0:34 offset1:35
	ds_store_2addr_b64 v186, v[100:101], v[102:103] offset0:36 offset1:37
	;; [unrolled: 1-line block ×27, first 2 shown]
.LBB86_354:
	s_or_b32 exec_lo, exec_lo, s2
	s_delay_alu instid0(SALU_CYCLE_1)
	s_mov_b32 s2, exec_lo
	s_waitcnt lgkmcnt(0)
	s_waitcnt_vscnt null, 0x0
	s_barrier
	buffer_gl0_inv
	v_cmpx_lt_i32_e32 16, v192
	s_cbranch_execz .LBB86_356
; %bb.355:
	v_mul_f64 v[184:185], v[178:179], v[110:111]
	v_mul_f64 v[110:111], v[176:177], v[110:111]
	s_delay_alu instid0(VALU_DEP_2) | instskip(NEXT) | instid1(VALU_DEP_2)
	v_fma_f64 v[184:185], v[176:177], v[108:109], -v[184:185]
	v_fma_f64 v[110:111], v[178:179], v[108:109], v[110:111]
	ds_load_2addr_b64 v[176:179], v186 offset0:34 offset1:35
	s_waitcnt lgkmcnt(0)
	v_mul_f64 v[108:109], v[178:179], v[110:111]
	s_delay_alu instid0(VALU_DEP_1) | instskip(SKIP_1) | instid1(VALU_DEP_2)
	v_fma_f64 v[108:109], v[176:177], v[184:185], -v[108:109]
	v_mul_f64 v[176:177], v[176:177], v[110:111]
	v_add_f64 v[104:105], v[104:105], -v[108:109]
	s_delay_alu instid0(VALU_DEP_2) | instskip(NEXT) | instid1(VALU_DEP_1)
	v_fma_f64 v[176:177], v[178:179], v[184:185], v[176:177]
	v_add_f64 v[106:107], v[106:107], -v[176:177]
	ds_load_2addr_b64 v[176:179], v186 offset0:36 offset1:37
	s_waitcnt lgkmcnt(0)
	v_mul_f64 v[108:109], v[178:179], v[110:111]
	s_delay_alu instid0(VALU_DEP_1) | instskip(SKIP_1) | instid1(VALU_DEP_2)
	v_fma_f64 v[108:109], v[176:177], v[184:185], -v[108:109]
	v_mul_f64 v[176:177], v[176:177], v[110:111]
	v_add_f64 v[100:101], v[100:101], -v[108:109]
	s_delay_alu instid0(VALU_DEP_2) | instskip(NEXT) | instid1(VALU_DEP_1)
	v_fma_f64 v[176:177], v[178:179], v[184:185], v[176:177]
	v_add_f64 v[102:103], v[102:103], -v[176:177]
	;; [unrolled: 10-line block ×26, first 2 shown]
	ds_load_2addr_b64 v[176:179], v186 offset0:86 offset1:87
	s_waitcnt lgkmcnt(0)
	v_mul_f64 v[108:109], v[178:179], v[110:111]
	s_delay_alu instid0(VALU_DEP_1) | instskip(SKIP_1) | instid1(VALU_DEP_2)
	v_fma_f64 v[108:109], v[176:177], v[184:185], -v[108:109]
	v_mul_f64 v[176:177], v[176:177], v[110:111]
	v_add_f64 v[0:1], v[0:1], -v[108:109]
	s_delay_alu instid0(VALU_DEP_2) | instskip(SKIP_1) | instid1(VALU_DEP_2)
	v_fma_f64 v[176:177], v[178:179], v[184:185], v[176:177]
	v_dual_mov_b32 v108, v184 :: v_dual_mov_b32 v109, v185
	v_add_f64 v[2:3], v[2:3], -v[176:177]
.LBB86_356:
	s_or_b32 exec_lo, exec_lo, s2
	v_lshl_add_u32 v176, v192, 4, v186
	s_barrier
	buffer_gl0_inv
	v_mov_b32_e32 v184, 17
	ds_store_2addr_b64 v176, v[104:105], v[106:107] offset1:1
	s_waitcnt lgkmcnt(0)
	s_barrier
	buffer_gl0_inv
	ds_load_2addr_b64 v[176:179], v186 offset0:34 offset1:35
	s_cmp_lt_i32 s5, 19
	s_cbranch_scc1 .LBB86_359
; %bb.357:
	v_add3_u32 v185, v190, 0, 0x120
	v_mov_b32_e32 v184, 17
	s_mov_b32 s6, 18
	s_set_inst_prefetch_distance 0x1
	.p2align	6
.LBB86_358:                             ; =>This Inner Loop Header: Depth=1
	ds_load_2addr_b64 v[193:196], v185 offset1:1
	s_waitcnt lgkmcnt(1)
	v_cmp_gt_f64_e32 vcc_lo, 0, v[176:177]
	v_xor_b32_e32 v197, 0x80000000, v177
	v_cmp_gt_f64_e64 s2, 0, v[178:179]
	v_xor_b32_e32 v199, 0x80000000, v179
	v_add_nc_u32_e32 v185, 16, v185
	s_waitcnt lgkmcnt(0)
	v_cmp_gt_f64_e64 s3, 0, v[193:194]
	v_mov_b32_e32 v201, v193
	v_dual_mov_b32 v203, v195 :: v_dual_cndmask_b32 v198, v177, v197
	v_xor_b32_e32 v197, 0x80000000, v194
	v_cndmask_b32_e64 v200, v179, v199, s2
	v_xor_b32_e32 v199, 0x80000000, v196
	s_delay_alu instid0(VALU_DEP_3) | instskip(SKIP_2) | instid1(VALU_DEP_2)
	v_cndmask_b32_e64 v202, v194, v197, s3
	v_cmp_gt_f64_e64 s3, 0, v[195:196]
	v_cndmask_b32_e32 v197, v176, v176, vcc_lo
	v_cndmask_b32_e64 v204, v196, v199, s3
	v_cndmask_b32_e64 v199, v178, v178, s2
	s_delay_alu instid0(VALU_DEP_2) | instskip(NEXT) | instid1(VALU_DEP_2)
	v_add_f64 v[201:202], v[201:202], v[203:204]
	v_add_f64 v[197:198], v[197:198], v[199:200]
	s_delay_alu instid0(VALU_DEP_1) | instskip(SKIP_4) | instid1(SALU_CYCLE_1)
	v_cmp_lt_f64_e32 vcc_lo, v[197:198], v[201:202]
	v_dual_cndmask_b32 v178, v178, v195 :: v_dual_cndmask_b32 v177, v177, v194
	v_dual_cndmask_b32 v176, v176, v193 :: v_dual_cndmask_b32 v179, v179, v196
	v_cndmask_b32_e64 v184, v184, s6, vcc_lo
	s_add_i32 s6, s6, 1
	s_cmp_lg_u32 s5, s6
	s_cbranch_scc1 .LBB86_358
.LBB86_359:
	s_set_inst_prefetch_distance 0x2
	s_waitcnt lgkmcnt(0)
	v_cmp_eq_f64_e32 vcc_lo, 0, v[176:177]
	v_cmp_eq_f64_e64 s2, 0, v[178:179]
	s_delay_alu instid0(VALU_DEP_1) | instskip(NEXT) | instid1(SALU_CYCLE_1)
	s_and_b32 s2, vcc_lo, s2
	s_and_saveexec_b32 s3, s2
	s_delay_alu instid0(SALU_CYCLE_1)
	s_xor_b32 s2, exec_lo, s3
; %bb.360:
	v_cmp_ne_u32_e32 vcc_lo, 0, v189
	v_cndmask_b32_e32 v189, 18, v189, vcc_lo
; %bb.361:
	s_and_not1_saveexec_b32 s3, s2
	s_cbranch_execz .LBB86_367
; %bb.362:
	v_cmp_gt_f64_e32 vcc_lo, 0, v[176:177]
	v_cmp_gt_f64_e64 s2, 0, v[178:179]
	v_xor_b32_e32 v185, 0x80000000, v177
	v_xor_b32_e32 v193, 0x80000000, v179
	s_delay_alu instid0(VALU_DEP_2) | instskip(NEXT) | instid1(VALU_DEP_2)
	v_cndmask_b32_e32 v194, v177, v185, vcc_lo
	v_cndmask_b32_e64 v196, v179, v193, s2
	v_cndmask_b32_e32 v193, v176, v176, vcc_lo
	v_cndmask_b32_e64 v195, v178, v178, s2
	s_mov_b32 s2, exec_lo
	s_delay_alu instid0(VALU_DEP_1)
	v_cmpx_ngt_f64_e32 v[193:194], v[195:196]
	s_xor_b32 s2, exec_lo, s2
	s_cbranch_execz .LBB86_364
; %bb.363:
	v_div_scale_f64 v[193:194], null, v[178:179], v[178:179], v[176:177]
	v_div_scale_f64 v[199:200], vcc_lo, v[176:177], v[178:179], v[176:177]
	s_delay_alu instid0(VALU_DEP_2) | instskip(SKIP_2) | instid1(VALU_DEP_1)
	v_rcp_f64_e32 v[195:196], v[193:194]
	s_waitcnt_depctr 0xfff
	v_fma_f64 v[197:198], -v[193:194], v[195:196], 1.0
	v_fma_f64 v[195:196], v[195:196], v[197:198], v[195:196]
	s_delay_alu instid0(VALU_DEP_1) | instskip(NEXT) | instid1(VALU_DEP_1)
	v_fma_f64 v[197:198], -v[193:194], v[195:196], 1.0
	v_fma_f64 v[195:196], v[195:196], v[197:198], v[195:196]
	s_delay_alu instid0(VALU_DEP_1) | instskip(NEXT) | instid1(VALU_DEP_1)
	v_mul_f64 v[197:198], v[199:200], v[195:196]
	v_fma_f64 v[193:194], -v[193:194], v[197:198], v[199:200]
	s_delay_alu instid0(VALU_DEP_1) | instskip(NEXT) | instid1(VALU_DEP_1)
	v_div_fmas_f64 v[193:194], v[193:194], v[195:196], v[197:198]
	v_div_fixup_f64 v[193:194], v[193:194], v[178:179], v[176:177]
	s_delay_alu instid0(VALU_DEP_1) | instskip(NEXT) | instid1(VALU_DEP_1)
	v_fma_f64 v[176:177], v[176:177], v[193:194], v[178:179]
	v_div_scale_f64 v[178:179], null, v[176:177], v[176:177], 1.0
	s_delay_alu instid0(VALU_DEP_1) | instskip(SKIP_2) | instid1(VALU_DEP_1)
	v_rcp_f64_e32 v[195:196], v[178:179]
	s_waitcnt_depctr 0xfff
	v_fma_f64 v[197:198], -v[178:179], v[195:196], 1.0
	v_fma_f64 v[195:196], v[195:196], v[197:198], v[195:196]
	s_delay_alu instid0(VALU_DEP_1) | instskip(NEXT) | instid1(VALU_DEP_1)
	v_fma_f64 v[197:198], -v[178:179], v[195:196], 1.0
	v_fma_f64 v[195:196], v[195:196], v[197:198], v[195:196]
	v_div_scale_f64 v[197:198], vcc_lo, 1.0, v[176:177], 1.0
	s_delay_alu instid0(VALU_DEP_1) | instskip(NEXT) | instid1(VALU_DEP_1)
	v_mul_f64 v[199:200], v[197:198], v[195:196]
	v_fma_f64 v[178:179], -v[178:179], v[199:200], v[197:198]
	s_delay_alu instid0(VALU_DEP_1) | instskip(NEXT) | instid1(VALU_DEP_1)
	v_div_fmas_f64 v[178:179], v[178:179], v[195:196], v[199:200]
	v_div_fixup_f64 v[178:179], v[178:179], v[176:177], 1.0
	s_delay_alu instid0(VALU_DEP_1)
	v_mul_f64 v[176:177], v[193:194], v[178:179]
	v_xor_b32_e32 v179, 0x80000000, v179
.LBB86_364:
	s_and_not1_saveexec_b32 s2, s2
	s_cbranch_execz .LBB86_366
; %bb.365:
	s_delay_alu instid0(VALU_DEP_1) | instskip(SKIP_1) | instid1(VALU_DEP_2)
	v_div_scale_f64 v[193:194], null, v[176:177], v[176:177], v[178:179]
	v_div_scale_f64 v[199:200], vcc_lo, v[178:179], v[176:177], v[178:179]
	v_rcp_f64_e32 v[195:196], v[193:194]
	s_waitcnt_depctr 0xfff
	v_fma_f64 v[197:198], -v[193:194], v[195:196], 1.0
	s_delay_alu instid0(VALU_DEP_1) | instskip(NEXT) | instid1(VALU_DEP_1)
	v_fma_f64 v[195:196], v[195:196], v[197:198], v[195:196]
	v_fma_f64 v[197:198], -v[193:194], v[195:196], 1.0
	s_delay_alu instid0(VALU_DEP_1) | instskip(NEXT) | instid1(VALU_DEP_1)
	v_fma_f64 v[195:196], v[195:196], v[197:198], v[195:196]
	v_mul_f64 v[197:198], v[199:200], v[195:196]
	s_delay_alu instid0(VALU_DEP_1) | instskip(NEXT) | instid1(VALU_DEP_1)
	v_fma_f64 v[193:194], -v[193:194], v[197:198], v[199:200]
	v_div_fmas_f64 v[193:194], v[193:194], v[195:196], v[197:198]
	s_delay_alu instid0(VALU_DEP_1) | instskip(NEXT) | instid1(VALU_DEP_1)
	v_div_fixup_f64 v[193:194], v[193:194], v[176:177], v[178:179]
	v_fma_f64 v[176:177], v[178:179], v[193:194], v[176:177]
	s_delay_alu instid0(VALU_DEP_1) | instskip(NEXT) | instid1(VALU_DEP_1)
	v_div_scale_f64 v[178:179], null, v[176:177], v[176:177], 1.0
	v_rcp_f64_e32 v[195:196], v[178:179]
	s_waitcnt_depctr 0xfff
	v_fma_f64 v[197:198], -v[178:179], v[195:196], 1.0
	s_delay_alu instid0(VALU_DEP_1) | instskip(NEXT) | instid1(VALU_DEP_1)
	v_fma_f64 v[195:196], v[195:196], v[197:198], v[195:196]
	v_fma_f64 v[197:198], -v[178:179], v[195:196], 1.0
	s_delay_alu instid0(VALU_DEP_1) | instskip(SKIP_1) | instid1(VALU_DEP_1)
	v_fma_f64 v[195:196], v[195:196], v[197:198], v[195:196]
	v_div_scale_f64 v[197:198], vcc_lo, 1.0, v[176:177], 1.0
	v_mul_f64 v[199:200], v[197:198], v[195:196]
	s_delay_alu instid0(VALU_DEP_1) | instskip(NEXT) | instid1(VALU_DEP_1)
	v_fma_f64 v[178:179], -v[178:179], v[199:200], v[197:198]
	v_div_fmas_f64 v[178:179], v[178:179], v[195:196], v[199:200]
	s_delay_alu instid0(VALU_DEP_1) | instskip(NEXT) | instid1(VALU_DEP_1)
	v_div_fixup_f64 v[176:177], v[178:179], v[176:177], 1.0
	v_mul_f64 v[178:179], v[193:194], -v[176:177]
.LBB86_366:
	s_or_b32 exec_lo, exec_lo, s2
.LBB86_367:
	s_delay_alu instid0(SALU_CYCLE_1) | instskip(NEXT) | instid1(SALU_CYCLE_1)
	s_or_b32 exec_lo, exec_lo, s3
	s_mov_b32 s2, exec_lo
	v_cmpx_ne_u32_e64 v192, v184
	s_xor_b32 s2, exec_lo, s2
	s_cbranch_execz .LBB86_373
; %bb.368:
	s_mov_b32 s3, exec_lo
	v_cmpx_eq_u32_e32 17, v192
	s_cbranch_execz .LBB86_372
; %bb.369:
	v_cmp_ne_u32_e32 vcc_lo, 17, v184
	s_xor_b32 s6, s4, -1
	s_delay_alu instid0(SALU_CYCLE_1) | instskip(NEXT) | instid1(SALU_CYCLE_1)
	s_and_b32 s7, s6, vcc_lo
	s_and_saveexec_b32 s6, s7
	s_cbranch_execz .LBB86_371
; %bb.370:
	v_ashrrev_i32_e32 v185, 31, v184
	s_delay_alu instid0(VALU_DEP_1) | instskip(NEXT) | instid1(VALU_DEP_1)
	v_lshlrev_b64 v[191:192], 2, v[184:185]
	v_add_co_u32 v191, vcc_lo, v182, v191
	s_delay_alu instid0(VALU_DEP_2)
	v_add_co_ci_u32_e32 v192, vcc_lo, v183, v192, vcc_lo
	s_clause 0x1
	flat_load_b32 v185, v[191:192]
	flat_load_b32 v193, v[182:183] offset:68
	s_waitcnt vmcnt(1) lgkmcnt(1)
	flat_store_b32 v[182:183], v185 offset:68
	s_waitcnt vmcnt(0) lgkmcnt(1)
	flat_store_b32 v[191:192], v193
.LBB86_371:
	s_or_b32 exec_lo, exec_lo, s6
	v_mov_b32_e32 v192, v184
	v_mov_b32_e32 v191, v184
.LBB86_372:
	s_or_b32 exec_lo, exec_lo, s3
.LBB86_373:
	s_and_not1_saveexec_b32 s2, s2
	s_cbranch_execz .LBB86_375
; %bb.374:
	v_mov_b32_e32 v192, 17
	ds_store_2addr_b64 v186, v[100:101], v[102:103] offset0:36 offset1:37
	ds_store_2addr_b64 v186, v[96:97], v[98:99] offset0:38 offset1:39
	;; [unrolled: 1-line block ×26, first 2 shown]
.LBB86_375:
	s_or_b32 exec_lo, exec_lo, s2
	s_delay_alu instid0(SALU_CYCLE_1)
	s_mov_b32 s2, exec_lo
	s_waitcnt lgkmcnt(0)
	s_waitcnt_vscnt null, 0x0
	s_barrier
	buffer_gl0_inv
	v_cmpx_lt_i32_e32 17, v192
	s_cbranch_execz .LBB86_377
; %bb.376:
	v_mul_f64 v[184:185], v[178:179], v[106:107]
	v_mul_f64 v[106:107], v[176:177], v[106:107]
	s_delay_alu instid0(VALU_DEP_2) | instskip(NEXT) | instid1(VALU_DEP_2)
	v_fma_f64 v[184:185], v[176:177], v[104:105], -v[184:185]
	v_fma_f64 v[106:107], v[178:179], v[104:105], v[106:107]
	ds_load_2addr_b64 v[176:179], v186 offset0:36 offset1:37
	s_waitcnt lgkmcnt(0)
	v_mul_f64 v[104:105], v[178:179], v[106:107]
	s_delay_alu instid0(VALU_DEP_1) | instskip(SKIP_1) | instid1(VALU_DEP_2)
	v_fma_f64 v[104:105], v[176:177], v[184:185], -v[104:105]
	v_mul_f64 v[176:177], v[176:177], v[106:107]
	v_add_f64 v[100:101], v[100:101], -v[104:105]
	s_delay_alu instid0(VALU_DEP_2) | instskip(NEXT) | instid1(VALU_DEP_1)
	v_fma_f64 v[176:177], v[178:179], v[184:185], v[176:177]
	v_add_f64 v[102:103], v[102:103], -v[176:177]
	ds_load_2addr_b64 v[176:179], v186 offset0:38 offset1:39
	s_waitcnt lgkmcnt(0)
	v_mul_f64 v[104:105], v[178:179], v[106:107]
	s_delay_alu instid0(VALU_DEP_1) | instskip(SKIP_1) | instid1(VALU_DEP_2)
	v_fma_f64 v[104:105], v[176:177], v[184:185], -v[104:105]
	v_mul_f64 v[176:177], v[176:177], v[106:107]
	v_add_f64 v[96:97], v[96:97], -v[104:105]
	s_delay_alu instid0(VALU_DEP_2) | instskip(NEXT) | instid1(VALU_DEP_1)
	v_fma_f64 v[176:177], v[178:179], v[184:185], v[176:177]
	v_add_f64 v[98:99], v[98:99], -v[176:177]
	;; [unrolled: 10-line block ×25, first 2 shown]
	ds_load_2addr_b64 v[176:179], v186 offset0:86 offset1:87
	s_waitcnt lgkmcnt(0)
	v_mul_f64 v[104:105], v[178:179], v[106:107]
	s_delay_alu instid0(VALU_DEP_1) | instskip(SKIP_1) | instid1(VALU_DEP_2)
	v_fma_f64 v[104:105], v[176:177], v[184:185], -v[104:105]
	v_mul_f64 v[176:177], v[176:177], v[106:107]
	v_add_f64 v[0:1], v[0:1], -v[104:105]
	s_delay_alu instid0(VALU_DEP_2) | instskip(SKIP_1) | instid1(VALU_DEP_2)
	v_fma_f64 v[176:177], v[178:179], v[184:185], v[176:177]
	v_dual_mov_b32 v104, v184 :: v_dual_mov_b32 v105, v185
	v_add_f64 v[2:3], v[2:3], -v[176:177]
.LBB86_377:
	s_or_b32 exec_lo, exec_lo, s2
	v_lshl_add_u32 v176, v192, 4, v186
	s_barrier
	buffer_gl0_inv
	v_mov_b32_e32 v184, 18
	ds_store_2addr_b64 v176, v[100:101], v[102:103] offset1:1
	s_waitcnt lgkmcnt(0)
	s_barrier
	buffer_gl0_inv
	ds_load_2addr_b64 v[176:179], v186 offset0:36 offset1:37
	s_cmp_lt_i32 s5, 20
	s_cbranch_scc1 .LBB86_380
; %bb.378:
	v_add3_u32 v185, v190, 0, 0x130
	v_mov_b32_e32 v184, 18
	s_mov_b32 s6, 19
	s_set_inst_prefetch_distance 0x1
	.p2align	6
.LBB86_379:                             ; =>This Inner Loop Header: Depth=1
	ds_load_2addr_b64 v[193:196], v185 offset1:1
	s_waitcnt lgkmcnt(1)
	v_cmp_gt_f64_e32 vcc_lo, 0, v[176:177]
	v_xor_b32_e32 v197, 0x80000000, v177
	v_cmp_gt_f64_e64 s2, 0, v[178:179]
	v_xor_b32_e32 v199, 0x80000000, v179
	v_add_nc_u32_e32 v185, 16, v185
	s_waitcnt lgkmcnt(0)
	v_cmp_gt_f64_e64 s3, 0, v[193:194]
	v_mov_b32_e32 v201, v193
	v_dual_mov_b32 v203, v195 :: v_dual_cndmask_b32 v198, v177, v197
	v_xor_b32_e32 v197, 0x80000000, v194
	v_cndmask_b32_e64 v200, v179, v199, s2
	v_xor_b32_e32 v199, 0x80000000, v196
	s_delay_alu instid0(VALU_DEP_3) | instskip(SKIP_2) | instid1(VALU_DEP_2)
	v_cndmask_b32_e64 v202, v194, v197, s3
	v_cmp_gt_f64_e64 s3, 0, v[195:196]
	v_cndmask_b32_e32 v197, v176, v176, vcc_lo
	v_cndmask_b32_e64 v204, v196, v199, s3
	v_cndmask_b32_e64 v199, v178, v178, s2
	s_delay_alu instid0(VALU_DEP_2) | instskip(NEXT) | instid1(VALU_DEP_2)
	v_add_f64 v[201:202], v[201:202], v[203:204]
	v_add_f64 v[197:198], v[197:198], v[199:200]
	s_delay_alu instid0(VALU_DEP_1) | instskip(SKIP_4) | instid1(SALU_CYCLE_1)
	v_cmp_lt_f64_e32 vcc_lo, v[197:198], v[201:202]
	v_dual_cndmask_b32 v178, v178, v195 :: v_dual_cndmask_b32 v177, v177, v194
	v_dual_cndmask_b32 v176, v176, v193 :: v_dual_cndmask_b32 v179, v179, v196
	v_cndmask_b32_e64 v184, v184, s6, vcc_lo
	s_add_i32 s6, s6, 1
	s_cmp_lg_u32 s5, s6
	s_cbranch_scc1 .LBB86_379
.LBB86_380:
	s_set_inst_prefetch_distance 0x2
	s_waitcnt lgkmcnt(0)
	v_cmp_eq_f64_e32 vcc_lo, 0, v[176:177]
	v_cmp_eq_f64_e64 s2, 0, v[178:179]
	s_delay_alu instid0(VALU_DEP_1) | instskip(NEXT) | instid1(SALU_CYCLE_1)
	s_and_b32 s2, vcc_lo, s2
	s_and_saveexec_b32 s3, s2
	s_delay_alu instid0(SALU_CYCLE_1)
	s_xor_b32 s2, exec_lo, s3
; %bb.381:
	v_cmp_ne_u32_e32 vcc_lo, 0, v189
	v_cndmask_b32_e32 v189, 19, v189, vcc_lo
; %bb.382:
	s_and_not1_saveexec_b32 s3, s2
	s_cbranch_execz .LBB86_388
; %bb.383:
	v_cmp_gt_f64_e32 vcc_lo, 0, v[176:177]
	v_cmp_gt_f64_e64 s2, 0, v[178:179]
	v_xor_b32_e32 v185, 0x80000000, v177
	v_xor_b32_e32 v193, 0x80000000, v179
	s_delay_alu instid0(VALU_DEP_2) | instskip(NEXT) | instid1(VALU_DEP_2)
	v_cndmask_b32_e32 v194, v177, v185, vcc_lo
	v_cndmask_b32_e64 v196, v179, v193, s2
	v_cndmask_b32_e32 v193, v176, v176, vcc_lo
	v_cndmask_b32_e64 v195, v178, v178, s2
	s_mov_b32 s2, exec_lo
	s_delay_alu instid0(VALU_DEP_1)
	v_cmpx_ngt_f64_e32 v[193:194], v[195:196]
	s_xor_b32 s2, exec_lo, s2
	s_cbranch_execz .LBB86_385
; %bb.384:
	v_div_scale_f64 v[193:194], null, v[178:179], v[178:179], v[176:177]
	v_div_scale_f64 v[199:200], vcc_lo, v[176:177], v[178:179], v[176:177]
	s_delay_alu instid0(VALU_DEP_2) | instskip(SKIP_2) | instid1(VALU_DEP_1)
	v_rcp_f64_e32 v[195:196], v[193:194]
	s_waitcnt_depctr 0xfff
	v_fma_f64 v[197:198], -v[193:194], v[195:196], 1.0
	v_fma_f64 v[195:196], v[195:196], v[197:198], v[195:196]
	s_delay_alu instid0(VALU_DEP_1) | instskip(NEXT) | instid1(VALU_DEP_1)
	v_fma_f64 v[197:198], -v[193:194], v[195:196], 1.0
	v_fma_f64 v[195:196], v[195:196], v[197:198], v[195:196]
	s_delay_alu instid0(VALU_DEP_1) | instskip(NEXT) | instid1(VALU_DEP_1)
	v_mul_f64 v[197:198], v[199:200], v[195:196]
	v_fma_f64 v[193:194], -v[193:194], v[197:198], v[199:200]
	s_delay_alu instid0(VALU_DEP_1) | instskip(NEXT) | instid1(VALU_DEP_1)
	v_div_fmas_f64 v[193:194], v[193:194], v[195:196], v[197:198]
	v_div_fixup_f64 v[193:194], v[193:194], v[178:179], v[176:177]
	s_delay_alu instid0(VALU_DEP_1) | instskip(NEXT) | instid1(VALU_DEP_1)
	v_fma_f64 v[176:177], v[176:177], v[193:194], v[178:179]
	v_div_scale_f64 v[178:179], null, v[176:177], v[176:177], 1.0
	s_delay_alu instid0(VALU_DEP_1) | instskip(SKIP_2) | instid1(VALU_DEP_1)
	v_rcp_f64_e32 v[195:196], v[178:179]
	s_waitcnt_depctr 0xfff
	v_fma_f64 v[197:198], -v[178:179], v[195:196], 1.0
	v_fma_f64 v[195:196], v[195:196], v[197:198], v[195:196]
	s_delay_alu instid0(VALU_DEP_1) | instskip(NEXT) | instid1(VALU_DEP_1)
	v_fma_f64 v[197:198], -v[178:179], v[195:196], 1.0
	v_fma_f64 v[195:196], v[195:196], v[197:198], v[195:196]
	v_div_scale_f64 v[197:198], vcc_lo, 1.0, v[176:177], 1.0
	s_delay_alu instid0(VALU_DEP_1) | instskip(NEXT) | instid1(VALU_DEP_1)
	v_mul_f64 v[199:200], v[197:198], v[195:196]
	v_fma_f64 v[178:179], -v[178:179], v[199:200], v[197:198]
	s_delay_alu instid0(VALU_DEP_1) | instskip(NEXT) | instid1(VALU_DEP_1)
	v_div_fmas_f64 v[178:179], v[178:179], v[195:196], v[199:200]
	v_div_fixup_f64 v[178:179], v[178:179], v[176:177], 1.0
	s_delay_alu instid0(VALU_DEP_1)
	v_mul_f64 v[176:177], v[193:194], v[178:179]
	v_xor_b32_e32 v179, 0x80000000, v179
.LBB86_385:
	s_and_not1_saveexec_b32 s2, s2
	s_cbranch_execz .LBB86_387
; %bb.386:
	s_delay_alu instid0(VALU_DEP_1) | instskip(SKIP_1) | instid1(VALU_DEP_2)
	v_div_scale_f64 v[193:194], null, v[176:177], v[176:177], v[178:179]
	v_div_scale_f64 v[199:200], vcc_lo, v[178:179], v[176:177], v[178:179]
	v_rcp_f64_e32 v[195:196], v[193:194]
	s_waitcnt_depctr 0xfff
	v_fma_f64 v[197:198], -v[193:194], v[195:196], 1.0
	s_delay_alu instid0(VALU_DEP_1) | instskip(NEXT) | instid1(VALU_DEP_1)
	v_fma_f64 v[195:196], v[195:196], v[197:198], v[195:196]
	v_fma_f64 v[197:198], -v[193:194], v[195:196], 1.0
	s_delay_alu instid0(VALU_DEP_1) | instskip(NEXT) | instid1(VALU_DEP_1)
	v_fma_f64 v[195:196], v[195:196], v[197:198], v[195:196]
	v_mul_f64 v[197:198], v[199:200], v[195:196]
	s_delay_alu instid0(VALU_DEP_1) | instskip(NEXT) | instid1(VALU_DEP_1)
	v_fma_f64 v[193:194], -v[193:194], v[197:198], v[199:200]
	v_div_fmas_f64 v[193:194], v[193:194], v[195:196], v[197:198]
	s_delay_alu instid0(VALU_DEP_1) | instskip(NEXT) | instid1(VALU_DEP_1)
	v_div_fixup_f64 v[193:194], v[193:194], v[176:177], v[178:179]
	v_fma_f64 v[176:177], v[178:179], v[193:194], v[176:177]
	s_delay_alu instid0(VALU_DEP_1) | instskip(NEXT) | instid1(VALU_DEP_1)
	v_div_scale_f64 v[178:179], null, v[176:177], v[176:177], 1.0
	v_rcp_f64_e32 v[195:196], v[178:179]
	s_waitcnt_depctr 0xfff
	v_fma_f64 v[197:198], -v[178:179], v[195:196], 1.0
	s_delay_alu instid0(VALU_DEP_1) | instskip(NEXT) | instid1(VALU_DEP_1)
	v_fma_f64 v[195:196], v[195:196], v[197:198], v[195:196]
	v_fma_f64 v[197:198], -v[178:179], v[195:196], 1.0
	s_delay_alu instid0(VALU_DEP_1) | instskip(SKIP_1) | instid1(VALU_DEP_1)
	v_fma_f64 v[195:196], v[195:196], v[197:198], v[195:196]
	v_div_scale_f64 v[197:198], vcc_lo, 1.0, v[176:177], 1.0
	v_mul_f64 v[199:200], v[197:198], v[195:196]
	s_delay_alu instid0(VALU_DEP_1) | instskip(NEXT) | instid1(VALU_DEP_1)
	v_fma_f64 v[178:179], -v[178:179], v[199:200], v[197:198]
	v_div_fmas_f64 v[178:179], v[178:179], v[195:196], v[199:200]
	s_delay_alu instid0(VALU_DEP_1) | instskip(NEXT) | instid1(VALU_DEP_1)
	v_div_fixup_f64 v[176:177], v[178:179], v[176:177], 1.0
	v_mul_f64 v[178:179], v[193:194], -v[176:177]
.LBB86_387:
	s_or_b32 exec_lo, exec_lo, s2
.LBB86_388:
	s_delay_alu instid0(SALU_CYCLE_1) | instskip(NEXT) | instid1(SALU_CYCLE_1)
	s_or_b32 exec_lo, exec_lo, s3
	s_mov_b32 s2, exec_lo
	v_cmpx_ne_u32_e64 v192, v184
	s_xor_b32 s2, exec_lo, s2
	s_cbranch_execz .LBB86_394
; %bb.389:
	s_mov_b32 s3, exec_lo
	v_cmpx_eq_u32_e32 18, v192
	s_cbranch_execz .LBB86_393
; %bb.390:
	v_cmp_ne_u32_e32 vcc_lo, 18, v184
	s_xor_b32 s6, s4, -1
	s_delay_alu instid0(SALU_CYCLE_1) | instskip(NEXT) | instid1(SALU_CYCLE_1)
	s_and_b32 s7, s6, vcc_lo
	s_and_saveexec_b32 s6, s7
	s_cbranch_execz .LBB86_392
; %bb.391:
	v_ashrrev_i32_e32 v185, 31, v184
	s_delay_alu instid0(VALU_DEP_1) | instskip(NEXT) | instid1(VALU_DEP_1)
	v_lshlrev_b64 v[191:192], 2, v[184:185]
	v_add_co_u32 v191, vcc_lo, v182, v191
	s_delay_alu instid0(VALU_DEP_2)
	v_add_co_ci_u32_e32 v192, vcc_lo, v183, v192, vcc_lo
	s_clause 0x1
	flat_load_b32 v185, v[191:192]
	flat_load_b32 v193, v[182:183] offset:72
	s_waitcnt vmcnt(1) lgkmcnt(1)
	flat_store_b32 v[182:183], v185 offset:72
	s_waitcnt vmcnt(0) lgkmcnt(1)
	flat_store_b32 v[191:192], v193
.LBB86_392:
	s_or_b32 exec_lo, exec_lo, s6
	v_mov_b32_e32 v192, v184
	v_mov_b32_e32 v191, v184
.LBB86_393:
	s_or_b32 exec_lo, exec_lo, s3
.LBB86_394:
	s_and_not1_saveexec_b32 s2, s2
	s_cbranch_execz .LBB86_396
; %bb.395:
	v_mov_b32_e32 v192, 18
	ds_store_2addr_b64 v186, v[96:97], v[98:99] offset0:38 offset1:39
	ds_store_2addr_b64 v186, v[92:93], v[94:95] offset0:40 offset1:41
	;; [unrolled: 1-line block ×25, first 2 shown]
.LBB86_396:
	s_or_b32 exec_lo, exec_lo, s2
	s_delay_alu instid0(SALU_CYCLE_1)
	s_mov_b32 s2, exec_lo
	s_waitcnt lgkmcnt(0)
	s_waitcnt_vscnt null, 0x0
	s_barrier
	buffer_gl0_inv
	v_cmpx_lt_i32_e32 18, v192
	s_cbranch_execz .LBB86_398
; %bb.397:
	v_mul_f64 v[184:185], v[178:179], v[102:103]
	v_mul_f64 v[102:103], v[176:177], v[102:103]
	s_delay_alu instid0(VALU_DEP_2) | instskip(NEXT) | instid1(VALU_DEP_2)
	v_fma_f64 v[184:185], v[176:177], v[100:101], -v[184:185]
	v_fma_f64 v[102:103], v[178:179], v[100:101], v[102:103]
	ds_load_2addr_b64 v[176:179], v186 offset0:38 offset1:39
	s_waitcnt lgkmcnt(0)
	v_mul_f64 v[100:101], v[178:179], v[102:103]
	s_delay_alu instid0(VALU_DEP_1) | instskip(SKIP_1) | instid1(VALU_DEP_2)
	v_fma_f64 v[100:101], v[176:177], v[184:185], -v[100:101]
	v_mul_f64 v[176:177], v[176:177], v[102:103]
	v_add_f64 v[96:97], v[96:97], -v[100:101]
	s_delay_alu instid0(VALU_DEP_2) | instskip(NEXT) | instid1(VALU_DEP_1)
	v_fma_f64 v[176:177], v[178:179], v[184:185], v[176:177]
	v_add_f64 v[98:99], v[98:99], -v[176:177]
	ds_load_2addr_b64 v[176:179], v186 offset0:40 offset1:41
	s_waitcnt lgkmcnt(0)
	v_mul_f64 v[100:101], v[178:179], v[102:103]
	s_delay_alu instid0(VALU_DEP_1) | instskip(SKIP_1) | instid1(VALU_DEP_2)
	v_fma_f64 v[100:101], v[176:177], v[184:185], -v[100:101]
	v_mul_f64 v[176:177], v[176:177], v[102:103]
	v_add_f64 v[92:93], v[92:93], -v[100:101]
	s_delay_alu instid0(VALU_DEP_2) | instskip(NEXT) | instid1(VALU_DEP_1)
	v_fma_f64 v[176:177], v[178:179], v[184:185], v[176:177]
	v_add_f64 v[94:95], v[94:95], -v[176:177]
	;; [unrolled: 10-line block ×24, first 2 shown]
	ds_load_2addr_b64 v[176:179], v186 offset0:86 offset1:87
	s_waitcnt lgkmcnt(0)
	v_mul_f64 v[100:101], v[178:179], v[102:103]
	s_delay_alu instid0(VALU_DEP_1) | instskip(SKIP_1) | instid1(VALU_DEP_2)
	v_fma_f64 v[100:101], v[176:177], v[184:185], -v[100:101]
	v_mul_f64 v[176:177], v[176:177], v[102:103]
	v_add_f64 v[0:1], v[0:1], -v[100:101]
	s_delay_alu instid0(VALU_DEP_2) | instskip(SKIP_1) | instid1(VALU_DEP_2)
	v_fma_f64 v[176:177], v[178:179], v[184:185], v[176:177]
	v_dual_mov_b32 v100, v184 :: v_dual_mov_b32 v101, v185
	v_add_f64 v[2:3], v[2:3], -v[176:177]
.LBB86_398:
	s_or_b32 exec_lo, exec_lo, s2
	v_lshl_add_u32 v176, v192, 4, v186
	s_barrier
	buffer_gl0_inv
	v_mov_b32_e32 v184, 19
	ds_store_2addr_b64 v176, v[96:97], v[98:99] offset1:1
	s_waitcnt lgkmcnt(0)
	s_barrier
	buffer_gl0_inv
	ds_load_2addr_b64 v[176:179], v186 offset0:38 offset1:39
	s_cmp_lt_i32 s5, 21
	s_cbranch_scc1 .LBB86_401
; %bb.399:
	v_add3_u32 v185, v190, 0, 0x140
	v_mov_b32_e32 v184, 19
	s_mov_b32 s6, 20
	s_set_inst_prefetch_distance 0x1
	.p2align	6
.LBB86_400:                             ; =>This Inner Loop Header: Depth=1
	ds_load_2addr_b64 v[193:196], v185 offset1:1
	s_waitcnt lgkmcnt(1)
	v_cmp_gt_f64_e32 vcc_lo, 0, v[176:177]
	v_xor_b32_e32 v197, 0x80000000, v177
	v_cmp_gt_f64_e64 s2, 0, v[178:179]
	v_xor_b32_e32 v199, 0x80000000, v179
	v_add_nc_u32_e32 v185, 16, v185
	s_waitcnt lgkmcnt(0)
	v_cmp_gt_f64_e64 s3, 0, v[193:194]
	v_mov_b32_e32 v201, v193
	v_dual_mov_b32 v203, v195 :: v_dual_cndmask_b32 v198, v177, v197
	v_xor_b32_e32 v197, 0x80000000, v194
	v_cndmask_b32_e64 v200, v179, v199, s2
	v_xor_b32_e32 v199, 0x80000000, v196
	s_delay_alu instid0(VALU_DEP_3) | instskip(SKIP_2) | instid1(VALU_DEP_2)
	v_cndmask_b32_e64 v202, v194, v197, s3
	v_cmp_gt_f64_e64 s3, 0, v[195:196]
	v_cndmask_b32_e32 v197, v176, v176, vcc_lo
	v_cndmask_b32_e64 v204, v196, v199, s3
	v_cndmask_b32_e64 v199, v178, v178, s2
	s_delay_alu instid0(VALU_DEP_2) | instskip(NEXT) | instid1(VALU_DEP_2)
	v_add_f64 v[201:202], v[201:202], v[203:204]
	v_add_f64 v[197:198], v[197:198], v[199:200]
	s_delay_alu instid0(VALU_DEP_1) | instskip(SKIP_4) | instid1(SALU_CYCLE_1)
	v_cmp_lt_f64_e32 vcc_lo, v[197:198], v[201:202]
	v_dual_cndmask_b32 v178, v178, v195 :: v_dual_cndmask_b32 v177, v177, v194
	v_dual_cndmask_b32 v176, v176, v193 :: v_dual_cndmask_b32 v179, v179, v196
	v_cndmask_b32_e64 v184, v184, s6, vcc_lo
	s_add_i32 s6, s6, 1
	s_cmp_lg_u32 s5, s6
	s_cbranch_scc1 .LBB86_400
.LBB86_401:
	s_set_inst_prefetch_distance 0x2
	s_waitcnt lgkmcnt(0)
	v_cmp_eq_f64_e32 vcc_lo, 0, v[176:177]
	v_cmp_eq_f64_e64 s2, 0, v[178:179]
	s_delay_alu instid0(VALU_DEP_1) | instskip(NEXT) | instid1(SALU_CYCLE_1)
	s_and_b32 s2, vcc_lo, s2
	s_and_saveexec_b32 s3, s2
	s_delay_alu instid0(SALU_CYCLE_1)
	s_xor_b32 s2, exec_lo, s3
; %bb.402:
	v_cmp_ne_u32_e32 vcc_lo, 0, v189
	v_cndmask_b32_e32 v189, 20, v189, vcc_lo
; %bb.403:
	s_and_not1_saveexec_b32 s3, s2
	s_cbranch_execz .LBB86_409
; %bb.404:
	v_cmp_gt_f64_e32 vcc_lo, 0, v[176:177]
	v_cmp_gt_f64_e64 s2, 0, v[178:179]
	v_xor_b32_e32 v185, 0x80000000, v177
	v_xor_b32_e32 v193, 0x80000000, v179
	s_delay_alu instid0(VALU_DEP_2) | instskip(NEXT) | instid1(VALU_DEP_2)
	v_cndmask_b32_e32 v194, v177, v185, vcc_lo
	v_cndmask_b32_e64 v196, v179, v193, s2
	v_cndmask_b32_e32 v193, v176, v176, vcc_lo
	v_cndmask_b32_e64 v195, v178, v178, s2
	s_mov_b32 s2, exec_lo
	s_delay_alu instid0(VALU_DEP_1)
	v_cmpx_ngt_f64_e32 v[193:194], v[195:196]
	s_xor_b32 s2, exec_lo, s2
	s_cbranch_execz .LBB86_406
; %bb.405:
	v_div_scale_f64 v[193:194], null, v[178:179], v[178:179], v[176:177]
	v_div_scale_f64 v[199:200], vcc_lo, v[176:177], v[178:179], v[176:177]
	s_delay_alu instid0(VALU_DEP_2) | instskip(SKIP_2) | instid1(VALU_DEP_1)
	v_rcp_f64_e32 v[195:196], v[193:194]
	s_waitcnt_depctr 0xfff
	v_fma_f64 v[197:198], -v[193:194], v[195:196], 1.0
	v_fma_f64 v[195:196], v[195:196], v[197:198], v[195:196]
	s_delay_alu instid0(VALU_DEP_1) | instskip(NEXT) | instid1(VALU_DEP_1)
	v_fma_f64 v[197:198], -v[193:194], v[195:196], 1.0
	v_fma_f64 v[195:196], v[195:196], v[197:198], v[195:196]
	s_delay_alu instid0(VALU_DEP_1) | instskip(NEXT) | instid1(VALU_DEP_1)
	v_mul_f64 v[197:198], v[199:200], v[195:196]
	v_fma_f64 v[193:194], -v[193:194], v[197:198], v[199:200]
	s_delay_alu instid0(VALU_DEP_1) | instskip(NEXT) | instid1(VALU_DEP_1)
	v_div_fmas_f64 v[193:194], v[193:194], v[195:196], v[197:198]
	v_div_fixup_f64 v[193:194], v[193:194], v[178:179], v[176:177]
	s_delay_alu instid0(VALU_DEP_1) | instskip(NEXT) | instid1(VALU_DEP_1)
	v_fma_f64 v[176:177], v[176:177], v[193:194], v[178:179]
	v_div_scale_f64 v[178:179], null, v[176:177], v[176:177], 1.0
	s_delay_alu instid0(VALU_DEP_1) | instskip(SKIP_2) | instid1(VALU_DEP_1)
	v_rcp_f64_e32 v[195:196], v[178:179]
	s_waitcnt_depctr 0xfff
	v_fma_f64 v[197:198], -v[178:179], v[195:196], 1.0
	v_fma_f64 v[195:196], v[195:196], v[197:198], v[195:196]
	s_delay_alu instid0(VALU_DEP_1) | instskip(NEXT) | instid1(VALU_DEP_1)
	v_fma_f64 v[197:198], -v[178:179], v[195:196], 1.0
	v_fma_f64 v[195:196], v[195:196], v[197:198], v[195:196]
	v_div_scale_f64 v[197:198], vcc_lo, 1.0, v[176:177], 1.0
	s_delay_alu instid0(VALU_DEP_1) | instskip(NEXT) | instid1(VALU_DEP_1)
	v_mul_f64 v[199:200], v[197:198], v[195:196]
	v_fma_f64 v[178:179], -v[178:179], v[199:200], v[197:198]
	s_delay_alu instid0(VALU_DEP_1) | instskip(NEXT) | instid1(VALU_DEP_1)
	v_div_fmas_f64 v[178:179], v[178:179], v[195:196], v[199:200]
	v_div_fixup_f64 v[178:179], v[178:179], v[176:177], 1.0
	s_delay_alu instid0(VALU_DEP_1)
	v_mul_f64 v[176:177], v[193:194], v[178:179]
	v_xor_b32_e32 v179, 0x80000000, v179
.LBB86_406:
	s_and_not1_saveexec_b32 s2, s2
	s_cbranch_execz .LBB86_408
; %bb.407:
	s_delay_alu instid0(VALU_DEP_1) | instskip(SKIP_1) | instid1(VALU_DEP_2)
	v_div_scale_f64 v[193:194], null, v[176:177], v[176:177], v[178:179]
	v_div_scale_f64 v[199:200], vcc_lo, v[178:179], v[176:177], v[178:179]
	v_rcp_f64_e32 v[195:196], v[193:194]
	s_waitcnt_depctr 0xfff
	v_fma_f64 v[197:198], -v[193:194], v[195:196], 1.0
	s_delay_alu instid0(VALU_DEP_1) | instskip(NEXT) | instid1(VALU_DEP_1)
	v_fma_f64 v[195:196], v[195:196], v[197:198], v[195:196]
	v_fma_f64 v[197:198], -v[193:194], v[195:196], 1.0
	s_delay_alu instid0(VALU_DEP_1) | instskip(NEXT) | instid1(VALU_DEP_1)
	v_fma_f64 v[195:196], v[195:196], v[197:198], v[195:196]
	v_mul_f64 v[197:198], v[199:200], v[195:196]
	s_delay_alu instid0(VALU_DEP_1) | instskip(NEXT) | instid1(VALU_DEP_1)
	v_fma_f64 v[193:194], -v[193:194], v[197:198], v[199:200]
	v_div_fmas_f64 v[193:194], v[193:194], v[195:196], v[197:198]
	s_delay_alu instid0(VALU_DEP_1) | instskip(NEXT) | instid1(VALU_DEP_1)
	v_div_fixup_f64 v[193:194], v[193:194], v[176:177], v[178:179]
	v_fma_f64 v[176:177], v[178:179], v[193:194], v[176:177]
	s_delay_alu instid0(VALU_DEP_1) | instskip(NEXT) | instid1(VALU_DEP_1)
	v_div_scale_f64 v[178:179], null, v[176:177], v[176:177], 1.0
	v_rcp_f64_e32 v[195:196], v[178:179]
	s_waitcnt_depctr 0xfff
	v_fma_f64 v[197:198], -v[178:179], v[195:196], 1.0
	s_delay_alu instid0(VALU_DEP_1) | instskip(NEXT) | instid1(VALU_DEP_1)
	v_fma_f64 v[195:196], v[195:196], v[197:198], v[195:196]
	v_fma_f64 v[197:198], -v[178:179], v[195:196], 1.0
	s_delay_alu instid0(VALU_DEP_1) | instskip(SKIP_1) | instid1(VALU_DEP_1)
	v_fma_f64 v[195:196], v[195:196], v[197:198], v[195:196]
	v_div_scale_f64 v[197:198], vcc_lo, 1.0, v[176:177], 1.0
	v_mul_f64 v[199:200], v[197:198], v[195:196]
	s_delay_alu instid0(VALU_DEP_1) | instskip(NEXT) | instid1(VALU_DEP_1)
	v_fma_f64 v[178:179], -v[178:179], v[199:200], v[197:198]
	v_div_fmas_f64 v[178:179], v[178:179], v[195:196], v[199:200]
	s_delay_alu instid0(VALU_DEP_1) | instskip(NEXT) | instid1(VALU_DEP_1)
	v_div_fixup_f64 v[176:177], v[178:179], v[176:177], 1.0
	v_mul_f64 v[178:179], v[193:194], -v[176:177]
.LBB86_408:
	s_or_b32 exec_lo, exec_lo, s2
.LBB86_409:
	s_delay_alu instid0(SALU_CYCLE_1) | instskip(NEXT) | instid1(SALU_CYCLE_1)
	s_or_b32 exec_lo, exec_lo, s3
	s_mov_b32 s2, exec_lo
	v_cmpx_ne_u32_e64 v192, v184
	s_xor_b32 s2, exec_lo, s2
	s_cbranch_execz .LBB86_415
; %bb.410:
	s_mov_b32 s3, exec_lo
	v_cmpx_eq_u32_e32 19, v192
	s_cbranch_execz .LBB86_414
; %bb.411:
	v_cmp_ne_u32_e32 vcc_lo, 19, v184
	s_xor_b32 s6, s4, -1
	s_delay_alu instid0(SALU_CYCLE_1) | instskip(NEXT) | instid1(SALU_CYCLE_1)
	s_and_b32 s7, s6, vcc_lo
	s_and_saveexec_b32 s6, s7
	s_cbranch_execz .LBB86_413
; %bb.412:
	v_ashrrev_i32_e32 v185, 31, v184
	s_delay_alu instid0(VALU_DEP_1) | instskip(NEXT) | instid1(VALU_DEP_1)
	v_lshlrev_b64 v[191:192], 2, v[184:185]
	v_add_co_u32 v191, vcc_lo, v182, v191
	s_delay_alu instid0(VALU_DEP_2)
	v_add_co_ci_u32_e32 v192, vcc_lo, v183, v192, vcc_lo
	s_clause 0x1
	flat_load_b32 v185, v[191:192]
	flat_load_b32 v193, v[182:183] offset:76
	s_waitcnt vmcnt(1) lgkmcnt(1)
	flat_store_b32 v[182:183], v185 offset:76
	s_waitcnt vmcnt(0) lgkmcnt(1)
	flat_store_b32 v[191:192], v193
.LBB86_413:
	s_or_b32 exec_lo, exec_lo, s6
	v_mov_b32_e32 v192, v184
	v_mov_b32_e32 v191, v184
.LBB86_414:
	s_or_b32 exec_lo, exec_lo, s3
.LBB86_415:
	s_and_not1_saveexec_b32 s2, s2
	s_cbranch_execz .LBB86_417
; %bb.416:
	v_mov_b32_e32 v192, 19
	ds_store_2addr_b64 v186, v[92:93], v[94:95] offset0:40 offset1:41
	ds_store_2addr_b64 v186, v[88:89], v[90:91] offset0:42 offset1:43
	;; [unrolled: 1-line block ×24, first 2 shown]
.LBB86_417:
	s_or_b32 exec_lo, exec_lo, s2
	s_delay_alu instid0(SALU_CYCLE_1)
	s_mov_b32 s2, exec_lo
	s_waitcnt lgkmcnt(0)
	s_waitcnt_vscnt null, 0x0
	s_barrier
	buffer_gl0_inv
	v_cmpx_lt_i32_e32 19, v192
	s_cbranch_execz .LBB86_419
; %bb.418:
	v_mul_f64 v[184:185], v[178:179], v[98:99]
	v_mul_f64 v[98:99], v[176:177], v[98:99]
	s_delay_alu instid0(VALU_DEP_2) | instskip(NEXT) | instid1(VALU_DEP_2)
	v_fma_f64 v[184:185], v[176:177], v[96:97], -v[184:185]
	v_fma_f64 v[98:99], v[178:179], v[96:97], v[98:99]
	ds_load_2addr_b64 v[176:179], v186 offset0:40 offset1:41
	s_waitcnt lgkmcnt(0)
	v_mul_f64 v[96:97], v[178:179], v[98:99]
	s_delay_alu instid0(VALU_DEP_1) | instskip(SKIP_1) | instid1(VALU_DEP_2)
	v_fma_f64 v[96:97], v[176:177], v[184:185], -v[96:97]
	v_mul_f64 v[176:177], v[176:177], v[98:99]
	v_add_f64 v[92:93], v[92:93], -v[96:97]
	s_delay_alu instid0(VALU_DEP_2) | instskip(NEXT) | instid1(VALU_DEP_1)
	v_fma_f64 v[176:177], v[178:179], v[184:185], v[176:177]
	v_add_f64 v[94:95], v[94:95], -v[176:177]
	ds_load_2addr_b64 v[176:179], v186 offset0:42 offset1:43
	s_waitcnt lgkmcnt(0)
	v_mul_f64 v[96:97], v[178:179], v[98:99]
	s_delay_alu instid0(VALU_DEP_1) | instskip(SKIP_1) | instid1(VALU_DEP_2)
	v_fma_f64 v[96:97], v[176:177], v[184:185], -v[96:97]
	v_mul_f64 v[176:177], v[176:177], v[98:99]
	v_add_f64 v[88:89], v[88:89], -v[96:97]
	s_delay_alu instid0(VALU_DEP_2) | instskip(NEXT) | instid1(VALU_DEP_1)
	v_fma_f64 v[176:177], v[178:179], v[184:185], v[176:177]
	v_add_f64 v[90:91], v[90:91], -v[176:177]
	;; [unrolled: 10-line block ×23, first 2 shown]
	ds_load_2addr_b64 v[176:179], v186 offset0:86 offset1:87
	s_waitcnt lgkmcnt(0)
	v_mul_f64 v[96:97], v[178:179], v[98:99]
	s_delay_alu instid0(VALU_DEP_1) | instskip(SKIP_1) | instid1(VALU_DEP_2)
	v_fma_f64 v[96:97], v[176:177], v[184:185], -v[96:97]
	v_mul_f64 v[176:177], v[176:177], v[98:99]
	v_add_f64 v[0:1], v[0:1], -v[96:97]
	s_delay_alu instid0(VALU_DEP_2) | instskip(SKIP_1) | instid1(VALU_DEP_2)
	v_fma_f64 v[176:177], v[178:179], v[184:185], v[176:177]
	v_dual_mov_b32 v96, v184 :: v_dual_mov_b32 v97, v185
	v_add_f64 v[2:3], v[2:3], -v[176:177]
.LBB86_419:
	s_or_b32 exec_lo, exec_lo, s2
	v_lshl_add_u32 v176, v192, 4, v186
	s_barrier
	buffer_gl0_inv
	v_mov_b32_e32 v184, 20
	ds_store_2addr_b64 v176, v[92:93], v[94:95] offset1:1
	s_waitcnt lgkmcnt(0)
	s_barrier
	buffer_gl0_inv
	ds_load_2addr_b64 v[176:179], v186 offset0:40 offset1:41
	s_cmp_lt_i32 s5, 22
	s_cbranch_scc1 .LBB86_422
; %bb.420:
	v_add3_u32 v185, v190, 0, 0x150
	v_mov_b32_e32 v184, 20
	s_mov_b32 s6, 21
	s_set_inst_prefetch_distance 0x1
	.p2align	6
.LBB86_421:                             ; =>This Inner Loop Header: Depth=1
	ds_load_2addr_b64 v[193:196], v185 offset1:1
	s_waitcnt lgkmcnt(1)
	v_cmp_gt_f64_e32 vcc_lo, 0, v[176:177]
	v_xor_b32_e32 v197, 0x80000000, v177
	v_cmp_gt_f64_e64 s2, 0, v[178:179]
	v_xor_b32_e32 v199, 0x80000000, v179
	v_add_nc_u32_e32 v185, 16, v185
	s_waitcnt lgkmcnt(0)
	v_cmp_gt_f64_e64 s3, 0, v[193:194]
	v_mov_b32_e32 v201, v193
	v_dual_mov_b32 v203, v195 :: v_dual_cndmask_b32 v198, v177, v197
	v_xor_b32_e32 v197, 0x80000000, v194
	v_cndmask_b32_e64 v200, v179, v199, s2
	v_xor_b32_e32 v199, 0x80000000, v196
	s_delay_alu instid0(VALU_DEP_3) | instskip(SKIP_2) | instid1(VALU_DEP_2)
	v_cndmask_b32_e64 v202, v194, v197, s3
	v_cmp_gt_f64_e64 s3, 0, v[195:196]
	v_cndmask_b32_e32 v197, v176, v176, vcc_lo
	v_cndmask_b32_e64 v204, v196, v199, s3
	v_cndmask_b32_e64 v199, v178, v178, s2
	s_delay_alu instid0(VALU_DEP_2) | instskip(NEXT) | instid1(VALU_DEP_2)
	v_add_f64 v[201:202], v[201:202], v[203:204]
	v_add_f64 v[197:198], v[197:198], v[199:200]
	s_delay_alu instid0(VALU_DEP_1) | instskip(SKIP_4) | instid1(SALU_CYCLE_1)
	v_cmp_lt_f64_e32 vcc_lo, v[197:198], v[201:202]
	v_dual_cndmask_b32 v178, v178, v195 :: v_dual_cndmask_b32 v177, v177, v194
	v_dual_cndmask_b32 v176, v176, v193 :: v_dual_cndmask_b32 v179, v179, v196
	v_cndmask_b32_e64 v184, v184, s6, vcc_lo
	s_add_i32 s6, s6, 1
	s_cmp_lg_u32 s5, s6
	s_cbranch_scc1 .LBB86_421
.LBB86_422:
	s_set_inst_prefetch_distance 0x2
	s_waitcnt lgkmcnt(0)
	v_cmp_eq_f64_e32 vcc_lo, 0, v[176:177]
	v_cmp_eq_f64_e64 s2, 0, v[178:179]
	s_delay_alu instid0(VALU_DEP_1) | instskip(NEXT) | instid1(SALU_CYCLE_1)
	s_and_b32 s2, vcc_lo, s2
	s_and_saveexec_b32 s3, s2
	s_delay_alu instid0(SALU_CYCLE_1)
	s_xor_b32 s2, exec_lo, s3
; %bb.423:
	v_cmp_ne_u32_e32 vcc_lo, 0, v189
	v_cndmask_b32_e32 v189, 21, v189, vcc_lo
; %bb.424:
	s_and_not1_saveexec_b32 s3, s2
	s_cbranch_execz .LBB86_430
; %bb.425:
	v_cmp_gt_f64_e32 vcc_lo, 0, v[176:177]
	v_cmp_gt_f64_e64 s2, 0, v[178:179]
	v_xor_b32_e32 v185, 0x80000000, v177
	v_xor_b32_e32 v193, 0x80000000, v179
	s_delay_alu instid0(VALU_DEP_2) | instskip(NEXT) | instid1(VALU_DEP_2)
	v_cndmask_b32_e32 v194, v177, v185, vcc_lo
	v_cndmask_b32_e64 v196, v179, v193, s2
	v_cndmask_b32_e32 v193, v176, v176, vcc_lo
	v_cndmask_b32_e64 v195, v178, v178, s2
	s_mov_b32 s2, exec_lo
	s_delay_alu instid0(VALU_DEP_1)
	v_cmpx_ngt_f64_e32 v[193:194], v[195:196]
	s_xor_b32 s2, exec_lo, s2
	s_cbranch_execz .LBB86_427
; %bb.426:
	v_div_scale_f64 v[193:194], null, v[178:179], v[178:179], v[176:177]
	v_div_scale_f64 v[199:200], vcc_lo, v[176:177], v[178:179], v[176:177]
	s_delay_alu instid0(VALU_DEP_2) | instskip(SKIP_2) | instid1(VALU_DEP_1)
	v_rcp_f64_e32 v[195:196], v[193:194]
	s_waitcnt_depctr 0xfff
	v_fma_f64 v[197:198], -v[193:194], v[195:196], 1.0
	v_fma_f64 v[195:196], v[195:196], v[197:198], v[195:196]
	s_delay_alu instid0(VALU_DEP_1) | instskip(NEXT) | instid1(VALU_DEP_1)
	v_fma_f64 v[197:198], -v[193:194], v[195:196], 1.0
	v_fma_f64 v[195:196], v[195:196], v[197:198], v[195:196]
	s_delay_alu instid0(VALU_DEP_1) | instskip(NEXT) | instid1(VALU_DEP_1)
	v_mul_f64 v[197:198], v[199:200], v[195:196]
	v_fma_f64 v[193:194], -v[193:194], v[197:198], v[199:200]
	s_delay_alu instid0(VALU_DEP_1) | instskip(NEXT) | instid1(VALU_DEP_1)
	v_div_fmas_f64 v[193:194], v[193:194], v[195:196], v[197:198]
	v_div_fixup_f64 v[193:194], v[193:194], v[178:179], v[176:177]
	s_delay_alu instid0(VALU_DEP_1) | instskip(NEXT) | instid1(VALU_DEP_1)
	v_fma_f64 v[176:177], v[176:177], v[193:194], v[178:179]
	v_div_scale_f64 v[178:179], null, v[176:177], v[176:177], 1.0
	s_delay_alu instid0(VALU_DEP_1) | instskip(SKIP_2) | instid1(VALU_DEP_1)
	v_rcp_f64_e32 v[195:196], v[178:179]
	s_waitcnt_depctr 0xfff
	v_fma_f64 v[197:198], -v[178:179], v[195:196], 1.0
	v_fma_f64 v[195:196], v[195:196], v[197:198], v[195:196]
	s_delay_alu instid0(VALU_DEP_1) | instskip(NEXT) | instid1(VALU_DEP_1)
	v_fma_f64 v[197:198], -v[178:179], v[195:196], 1.0
	v_fma_f64 v[195:196], v[195:196], v[197:198], v[195:196]
	v_div_scale_f64 v[197:198], vcc_lo, 1.0, v[176:177], 1.0
	s_delay_alu instid0(VALU_DEP_1) | instskip(NEXT) | instid1(VALU_DEP_1)
	v_mul_f64 v[199:200], v[197:198], v[195:196]
	v_fma_f64 v[178:179], -v[178:179], v[199:200], v[197:198]
	s_delay_alu instid0(VALU_DEP_1) | instskip(NEXT) | instid1(VALU_DEP_1)
	v_div_fmas_f64 v[178:179], v[178:179], v[195:196], v[199:200]
	v_div_fixup_f64 v[178:179], v[178:179], v[176:177], 1.0
	s_delay_alu instid0(VALU_DEP_1)
	v_mul_f64 v[176:177], v[193:194], v[178:179]
	v_xor_b32_e32 v179, 0x80000000, v179
.LBB86_427:
	s_and_not1_saveexec_b32 s2, s2
	s_cbranch_execz .LBB86_429
; %bb.428:
	s_delay_alu instid0(VALU_DEP_1) | instskip(SKIP_1) | instid1(VALU_DEP_2)
	v_div_scale_f64 v[193:194], null, v[176:177], v[176:177], v[178:179]
	v_div_scale_f64 v[199:200], vcc_lo, v[178:179], v[176:177], v[178:179]
	v_rcp_f64_e32 v[195:196], v[193:194]
	s_waitcnt_depctr 0xfff
	v_fma_f64 v[197:198], -v[193:194], v[195:196], 1.0
	s_delay_alu instid0(VALU_DEP_1) | instskip(NEXT) | instid1(VALU_DEP_1)
	v_fma_f64 v[195:196], v[195:196], v[197:198], v[195:196]
	v_fma_f64 v[197:198], -v[193:194], v[195:196], 1.0
	s_delay_alu instid0(VALU_DEP_1) | instskip(NEXT) | instid1(VALU_DEP_1)
	v_fma_f64 v[195:196], v[195:196], v[197:198], v[195:196]
	v_mul_f64 v[197:198], v[199:200], v[195:196]
	s_delay_alu instid0(VALU_DEP_1) | instskip(NEXT) | instid1(VALU_DEP_1)
	v_fma_f64 v[193:194], -v[193:194], v[197:198], v[199:200]
	v_div_fmas_f64 v[193:194], v[193:194], v[195:196], v[197:198]
	s_delay_alu instid0(VALU_DEP_1) | instskip(NEXT) | instid1(VALU_DEP_1)
	v_div_fixup_f64 v[193:194], v[193:194], v[176:177], v[178:179]
	v_fma_f64 v[176:177], v[178:179], v[193:194], v[176:177]
	s_delay_alu instid0(VALU_DEP_1) | instskip(NEXT) | instid1(VALU_DEP_1)
	v_div_scale_f64 v[178:179], null, v[176:177], v[176:177], 1.0
	v_rcp_f64_e32 v[195:196], v[178:179]
	s_waitcnt_depctr 0xfff
	v_fma_f64 v[197:198], -v[178:179], v[195:196], 1.0
	s_delay_alu instid0(VALU_DEP_1) | instskip(NEXT) | instid1(VALU_DEP_1)
	v_fma_f64 v[195:196], v[195:196], v[197:198], v[195:196]
	v_fma_f64 v[197:198], -v[178:179], v[195:196], 1.0
	s_delay_alu instid0(VALU_DEP_1) | instskip(SKIP_1) | instid1(VALU_DEP_1)
	v_fma_f64 v[195:196], v[195:196], v[197:198], v[195:196]
	v_div_scale_f64 v[197:198], vcc_lo, 1.0, v[176:177], 1.0
	v_mul_f64 v[199:200], v[197:198], v[195:196]
	s_delay_alu instid0(VALU_DEP_1) | instskip(NEXT) | instid1(VALU_DEP_1)
	v_fma_f64 v[178:179], -v[178:179], v[199:200], v[197:198]
	v_div_fmas_f64 v[178:179], v[178:179], v[195:196], v[199:200]
	s_delay_alu instid0(VALU_DEP_1) | instskip(NEXT) | instid1(VALU_DEP_1)
	v_div_fixup_f64 v[176:177], v[178:179], v[176:177], 1.0
	v_mul_f64 v[178:179], v[193:194], -v[176:177]
.LBB86_429:
	s_or_b32 exec_lo, exec_lo, s2
.LBB86_430:
	s_delay_alu instid0(SALU_CYCLE_1) | instskip(NEXT) | instid1(SALU_CYCLE_1)
	s_or_b32 exec_lo, exec_lo, s3
	s_mov_b32 s2, exec_lo
	v_cmpx_ne_u32_e64 v192, v184
	s_xor_b32 s2, exec_lo, s2
	s_cbranch_execz .LBB86_436
; %bb.431:
	s_mov_b32 s3, exec_lo
	v_cmpx_eq_u32_e32 20, v192
	s_cbranch_execz .LBB86_435
; %bb.432:
	v_cmp_ne_u32_e32 vcc_lo, 20, v184
	s_xor_b32 s6, s4, -1
	s_delay_alu instid0(SALU_CYCLE_1) | instskip(NEXT) | instid1(SALU_CYCLE_1)
	s_and_b32 s7, s6, vcc_lo
	s_and_saveexec_b32 s6, s7
	s_cbranch_execz .LBB86_434
; %bb.433:
	v_ashrrev_i32_e32 v185, 31, v184
	s_delay_alu instid0(VALU_DEP_1) | instskip(NEXT) | instid1(VALU_DEP_1)
	v_lshlrev_b64 v[191:192], 2, v[184:185]
	v_add_co_u32 v191, vcc_lo, v182, v191
	s_delay_alu instid0(VALU_DEP_2)
	v_add_co_ci_u32_e32 v192, vcc_lo, v183, v192, vcc_lo
	s_clause 0x1
	flat_load_b32 v185, v[191:192]
	flat_load_b32 v193, v[182:183] offset:80
	s_waitcnt vmcnt(1) lgkmcnt(1)
	flat_store_b32 v[182:183], v185 offset:80
	s_waitcnt vmcnt(0) lgkmcnt(1)
	flat_store_b32 v[191:192], v193
.LBB86_434:
	s_or_b32 exec_lo, exec_lo, s6
	v_mov_b32_e32 v192, v184
	v_mov_b32_e32 v191, v184
.LBB86_435:
	s_or_b32 exec_lo, exec_lo, s3
.LBB86_436:
	s_and_not1_saveexec_b32 s2, s2
	s_cbranch_execz .LBB86_438
; %bb.437:
	v_mov_b32_e32 v192, 20
	ds_store_2addr_b64 v186, v[88:89], v[90:91] offset0:42 offset1:43
	ds_store_2addr_b64 v186, v[84:85], v[86:87] offset0:44 offset1:45
	;; [unrolled: 1-line block ×23, first 2 shown]
.LBB86_438:
	s_or_b32 exec_lo, exec_lo, s2
	s_delay_alu instid0(SALU_CYCLE_1)
	s_mov_b32 s2, exec_lo
	s_waitcnt lgkmcnt(0)
	s_waitcnt_vscnt null, 0x0
	s_barrier
	buffer_gl0_inv
	v_cmpx_lt_i32_e32 20, v192
	s_cbranch_execz .LBB86_440
; %bb.439:
	v_mul_f64 v[184:185], v[178:179], v[94:95]
	v_mul_f64 v[94:95], v[176:177], v[94:95]
	s_delay_alu instid0(VALU_DEP_2) | instskip(NEXT) | instid1(VALU_DEP_2)
	v_fma_f64 v[184:185], v[176:177], v[92:93], -v[184:185]
	v_fma_f64 v[94:95], v[178:179], v[92:93], v[94:95]
	ds_load_2addr_b64 v[176:179], v186 offset0:42 offset1:43
	s_waitcnt lgkmcnt(0)
	v_mul_f64 v[92:93], v[178:179], v[94:95]
	s_delay_alu instid0(VALU_DEP_1) | instskip(SKIP_1) | instid1(VALU_DEP_2)
	v_fma_f64 v[92:93], v[176:177], v[184:185], -v[92:93]
	v_mul_f64 v[176:177], v[176:177], v[94:95]
	v_add_f64 v[88:89], v[88:89], -v[92:93]
	s_delay_alu instid0(VALU_DEP_2) | instskip(NEXT) | instid1(VALU_DEP_1)
	v_fma_f64 v[176:177], v[178:179], v[184:185], v[176:177]
	v_add_f64 v[90:91], v[90:91], -v[176:177]
	ds_load_2addr_b64 v[176:179], v186 offset0:44 offset1:45
	s_waitcnt lgkmcnt(0)
	v_mul_f64 v[92:93], v[178:179], v[94:95]
	s_delay_alu instid0(VALU_DEP_1) | instskip(SKIP_1) | instid1(VALU_DEP_2)
	v_fma_f64 v[92:93], v[176:177], v[184:185], -v[92:93]
	v_mul_f64 v[176:177], v[176:177], v[94:95]
	v_add_f64 v[84:85], v[84:85], -v[92:93]
	s_delay_alu instid0(VALU_DEP_2) | instskip(NEXT) | instid1(VALU_DEP_1)
	v_fma_f64 v[176:177], v[178:179], v[184:185], v[176:177]
	v_add_f64 v[86:87], v[86:87], -v[176:177]
	ds_load_2addr_b64 v[176:179], v186 offset0:46 offset1:47
	s_waitcnt lgkmcnt(0)
	v_mul_f64 v[92:93], v[178:179], v[94:95]
	s_delay_alu instid0(VALU_DEP_1) | instskip(SKIP_1) | instid1(VALU_DEP_2)
	v_fma_f64 v[92:93], v[176:177], v[184:185], -v[92:93]
	v_mul_f64 v[176:177], v[176:177], v[94:95]
	v_add_f64 v[80:81], v[80:81], -v[92:93]
	s_delay_alu instid0(VALU_DEP_2) | instskip(NEXT) | instid1(VALU_DEP_1)
	v_fma_f64 v[176:177], v[178:179], v[184:185], v[176:177]
	v_add_f64 v[82:83], v[82:83], -v[176:177]
	ds_load_2addr_b64 v[176:179], v186 offset0:48 offset1:49
	s_waitcnt lgkmcnt(0)
	v_mul_f64 v[92:93], v[178:179], v[94:95]
	s_delay_alu instid0(VALU_DEP_1) | instskip(SKIP_1) | instid1(VALU_DEP_2)
	v_fma_f64 v[92:93], v[176:177], v[184:185], -v[92:93]
	v_mul_f64 v[176:177], v[176:177], v[94:95]
	v_add_f64 v[76:77], v[76:77], -v[92:93]
	s_delay_alu instid0(VALU_DEP_2) | instskip(NEXT) | instid1(VALU_DEP_1)
	v_fma_f64 v[176:177], v[178:179], v[184:185], v[176:177]
	v_add_f64 v[78:79], v[78:79], -v[176:177]
	ds_load_2addr_b64 v[176:179], v186 offset0:50 offset1:51
	s_waitcnt lgkmcnt(0)
	v_mul_f64 v[92:93], v[178:179], v[94:95]
	s_delay_alu instid0(VALU_DEP_1) | instskip(SKIP_1) | instid1(VALU_DEP_2)
	v_fma_f64 v[92:93], v[176:177], v[184:185], -v[92:93]
	v_mul_f64 v[176:177], v[176:177], v[94:95]
	v_add_f64 v[72:73], v[72:73], -v[92:93]
	s_delay_alu instid0(VALU_DEP_2) | instskip(NEXT) | instid1(VALU_DEP_1)
	v_fma_f64 v[176:177], v[178:179], v[184:185], v[176:177]
	v_add_f64 v[74:75], v[74:75], -v[176:177]
	ds_load_2addr_b64 v[176:179], v186 offset0:52 offset1:53
	s_waitcnt lgkmcnt(0)
	v_mul_f64 v[92:93], v[178:179], v[94:95]
	s_delay_alu instid0(VALU_DEP_1) | instskip(SKIP_1) | instid1(VALU_DEP_2)
	v_fma_f64 v[92:93], v[176:177], v[184:185], -v[92:93]
	v_mul_f64 v[176:177], v[176:177], v[94:95]
	v_add_f64 v[68:69], v[68:69], -v[92:93]
	s_delay_alu instid0(VALU_DEP_2) | instskip(NEXT) | instid1(VALU_DEP_1)
	v_fma_f64 v[176:177], v[178:179], v[184:185], v[176:177]
	v_add_f64 v[70:71], v[70:71], -v[176:177]
	ds_load_2addr_b64 v[176:179], v186 offset0:54 offset1:55
	s_waitcnt lgkmcnt(0)
	v_mul_f64 v[92:93], v[178:179], v[94:95]
	s_delay_alu instid0(VALU_DEP_1) | instskip(SKIP_1) | instid1(VALU_DEP_2)
	v_fma_f64 v[92:93], v[176:177], v[184:185], -v[92:93]
	v_mul_f64 v[176:177], v[176:177], v[94:95]
	v_add_f64 v[64:65], v[64:65], -v[92:93]
	s_delay_alu instid0(VALU_DEP_2) | instskip(NEXT) | instid1(VALU_DEP_1)
	v_fma_f64 v[176:177], v[178:179], v[184:185], v[176:177]
	v_add_f64 v[66:67], v[66:67], -v[176:177]
	ds_load_2addr_b64 v[176:179], v186 offset0:56 offset1:57
	s_waitcnt lgkmcnt(0)
	v_mul_f64 v[92:93], v[178:179], v[94:95]
	s_delay_alu instid0(VALU_DEP_1) | instskip(SKIP_1) | instid1(VALU_DEP_2)
	v_fma_f64 v[92:93], v[176:177], v[184:185], -v[92:93]
	v_mul_f64 v[176:177], v[176:177], v[94:95]
	v_add_f64 v[60:61], v[60:61], -v[92:93]
	s_delay_alu instid0(VALU_DEP_2) | instskip(NEXT) | instid1(VALU_DEP_1)
	v_fma_f64 v[176:177], v[178:179], v[184:185], v[176:177]
	v_add_f64 v[62:63], v[62:63], -v[176:177]
	ds_load_2addr_b64 v[176:179], v186 offset0:58 offset1:59
	s_waitcnt lgkmcnt(0)
	v_mul_f64 v[92:93], v[178:179], v[94:95]
	s_delay_alu instid0(VALU_DEP_1) | instskip(SKIP_1) | instid1(VALU_DEP_2)
	v_fma_f64 v[92:93], v[176:177], v[184:185], -v[92:93]
	v_mul_f64 v[176:177], v[176:177], v[94:95]
	v_add_f64 v[56:57], v[56:57], -v[92:93]
	s_delay_alu instid0(VALU_DEP_2) | instskip(NEXT) | instid1(VALU_DEP_1)
	v_fma_f64 v[176:177], v[178:179], v[184:185], v[176:177]
	v_add_f64 v[58:59], v[58:59], -v[176:177]
	ds_load_2addr_b64 v[176:179], v186 offset0:60 offset1:61
	s_waitcnt lgkmcnt(0)
	v_mul_f64 v[92:93], v[178:179], v[94:95]
	s_delay_alu instid0(VALU_DEP_1) | instskip(SKIP_1) | instid1(VALU_DEP_2)
	v_fma_f64 v[92:93], v[176:177], v[184:185], -v[92:93]
	v_mul_f64 v[176:177], v[176:177], v[94:95]
	v_add_f64 v[52:53], v[52:53], -v[92:93]
	s_delay_alu instid0(VALU_DEP_2) | instskip(NEXT) | instid1(VALU_DEP_1)
	v_fma_f64 v[176:177], v[178:179], v[184:185], v[176:177]
	v_add_f64 v[54:55], v[54:55], -v[176:177]
	ds_load_2addr_b64 v[176:179], v186 offset0:62 offset1:63
	s_waitcnt lgkmcnt(0)
	v_mul_f64 v[92:93], v[178:179], v[94:95]
	s_delay_alu instid0(VALU_DEP_1) | instskip(SKIP_1) | instid1(VALU_DEP_2)
	v_fma_f64 v[92:93], v[176:177], v[184:185], -v[92:93]
	v_mul_f64 v[176:177], v[176:177], v[94:95]
	v_add_f64 v[48:49], v[48:49], -v[92:93]
	s_delay_alu instid0(VALU_DEP_2) | instskip(NEXT) | instid1(VALU_DEP_1)
	v_fma_f64 v[176:177], v[178:179], v[184:185], v[176:177]
	v_add_f64 v[50:51], v[50:51], -v[176:177]
	ds_load_2addr_b64 v[176:179], v186 offset0:64 offset1:65
	s_waitcnt lgkmcnt(0)
	v_mul_f64 v[92:93], v[178:179], v[94:95]
	s_delay_alu instid0(VALU_DEP_1) | instskip(SKIP_1) | instid1(VALU_DEP_2)
	v_fma_f64 v[92:93], v[176:177], v[184:185], -v[92:93]
	v_mul_f64 v[176:177], v[176:177], v[94:95]
	v_add_f64 v[44:45], v[44:45], -v[92:93]
	s_delay_alu instid0(VALU_DEP_2) | instskip(NEXT) | instid1(VALU_DEP_1)
	v_fma_f64 v[176:177], v[178:179], v[184:185], v[176:177]
	v_add_f64 v[46:47], v[46:47], -v[176:177]
	ds_load_2addr_b64 v[176:179], v186 offset0:66 offset1:67
	s_waitcnt lgkmcnt(0)
	v_mul_f64 v[92:93], v[178:179], v[94:95]
	s_delay_alu instid0(VALU_DEP_1) | instskip(SKIP_1) | instid1(VALU_DEP_2)
	v_fma_f64 v[92:93], v[176:177], v[184:185], -v[92:93]
	v_mul_f64 v[176:177], v[176:177], v[94:95]
	v_add_f64 v[40:41], v[40:41], -v[92:93]
	s_delay_alu instid0(VALU_DEP_2) | instskip(NEXT) | instid1(VALU_DEP_1)
	v_fma_f64 v[176:177], v[178:179], v[184:185], v[176:177]
	v_add_f64 v[42:43], v[42:43], -v[176:177]
	ds_load_2addr_b64 v[176:179], v186 offset0:68 offset1:69
	s_waitcnt lgkmcnt(0)
	v_mul_f64 v[92:93], v[178:179], v[94:95]
	s_delay_alu instid0(VALU_DEP_1) | instskip(SKIP_1) | instid1(VALU_DEP_2)
	v_fma_f64 v[92:93], v[176:177], v[184:185], -v[92:93]
	v_mul_f64 v[176:177], v[176:177], v[94:95]
	v_add_f64 v[36:37], v[36:37], -v[92:93]
	s_delay_alu instid0(VALU_DEP_2) | instskip(NEXT) | instid1(VALU_DEP_1)
	v_fma_f64 v[176:177], v[178:179], v[184:185], v[176:177]
	v_add_f64 v[38:39], v[38:39], -v[176:177]
	ds_load_2addr_b64 v[176:179], v186 offset0:70 offset1:71
	s_waitcnt lgkmcnt(0)
	v_mul_f64 v[92:93], v[178:179], v[94:95]
	s_delay_alu instid0(VALU_DEP_1) | instskip(SKIP_1) | instid1(VALU_DEP_2)
	v_fma_f64 v[92:93], v[176:177], v[184:185], -v[92:93]
	v_mul_f64 v[176:177], v[176:177], v[94:95]
	v_add_f64 v[32:33], v[32:33], -v[92:93]
	s_delay_alu instid0(VALU_DEP_2) | instskip(NEXT) | instid1(VALU_DEP_1)
	v_fma_f64 v[176:177], v[178:179], v[184:185], v[176:177]
	v_add_f64 v[34:35], v[34:35], -v[176:177]
	ds_load_2addr_b64 v[176:179], v186 offset0:72 offset1:73
	s_waitcnt lgkmcnt(0)
	v_mul_f64 v[92:93], v[178:179], v[94:95]
	s_delay_alu instid0(VALU_DEP_1) | instskip(SKIP_1) | instid1(VALU_DEP_2)
	v_fma_f64 v[92:93], v[176:177], v[184:185], -v[92:93]
	v_mul_f64 v[176:177], v[176:177], v[94:95]
	v_add_f64 v[28:29], v[28:29], -v[92:93]
	s_delay_alu instid0(VALU_DEP_2) | instskip(NEXT) | instid1(VALU_DEP_1)
	v_fma_f64 v[176:177], v[178:179], v[184:185], v[176:177]
	v_add_f64 v[30:31], v[30:31], -v[176:177]
	ds_load_2addr_b64 v[176:179], v186 offset0:74 offset1:75
	s_waitcnt lgkmcnt(0)
	v_mul_f64 v[92:93], v[178:179], v[94:95]
	s_delay_alu instid0(VALU_DEP_1) | instskip(SKIP_1) | instid1(VALU_DEP_2)
	v_fma_f64 v[92:93], v[176:177], v[184:185], -v[92:93]
	v_mul_f64 v[176:177], v[176:177], v[94:95]
	v_add_f64 v[24:25], v[24:25], -v[92:93]
	s_delay_alu instid0(VALU_DEP_2) | instskip(NEXT) | instid1(VALU_DEP_1)
	v_fma_f64 v[176:177], v[178:179], v[184:185], v[176:177]
	v_add_f64 v[26:27], v[26:27], -v[176:177]
	ds_load_2addr_b64 v[176:179], v186 offset0:76 offset1:77
	s_waitcnt lgkmcnt(0)
	v_mul_f64 v[92:93], v[178:179], v[94:95]
	s_delay_alu instid0(VALU_DEP_1) | instskip(SKIP_1) | instid1(VALU_DEP_2)
	v_fma_f64 v[92:93], v[176:177], v[184:185], -v[92:93]
	v_mul_f64 v[176:177], v[176:177], v[94:95]
	v_add_f64 v[20:21], v[20:21], -v[92:93]
	s_delay_alu instid0(VALU_DEP_2) | instskip(NEXT) | instid1(VALU_DEP_1)
	v_fma_f64 v[176:177], v[178:179], v[184:185], v[176:177]
	v_add_f64 v[22:23], v[22:23], -v[176:177]
	ds_load_2addr_b64 v[176:179], v186 offset0:78 offset1:79
	s_waitcnt lgkmcnt(0)
	v_mul_f64 v[92:93], v[178:179], v[94:95]
	s_delay_alu instid0(VALU_DEP_1) | instskip(SKIP_1) | instid1(VALU_DEP_2)
	v_fma_f64 v[92:93], v[176:177], v[184:185], -v[92:93]
	v_mul_f64 v[176:177], v[176:177], v[94:95]
	v_add_f64 v[16:17], v[16:17], -v[92:93]
	s_delay_alu instid0(VALU_DEP_2) | instskip(NEXT) | instid1(VALU_DEP_1)
	v_fma_f64 v[176:177], v[178:179], v[184:185], v[176:177]
	v_add_f64 v[18:19], v[18:19], -v[176:177]
	ds_load_2addr_b64 v[176:179], v186 offset0:80 offset1:81
	s_waitcnt lgkmcnt(0)
	v_mul_f64 v[92:93], v[178:179], v[94:95]
	s_delay_alu instid0(VALU_DEP_1) | instskip(SKIP_1) | instid1(VALU_DEP_2)
	v_fma_f64 v[92:93], v[176:177], v[184:185], -v[92:93]
	v_mul_f64 v[176:177], v[176:177], v[94:95]
	v_add_f64 v[12:13], v[12:13], -v[92:93]
	s_delay_alu instid0(VALU_DEP_2) | instskip(NEXT) | instid1(VALU_DEP_1)
	v_fma_f64 v[176:177], v[178:179], v[184:185], v[176:177]
	v_add_f64 v[14:15], v[14:15], -v[176:177]
	ds_load_2addr_b64 v[176:179], v186 offset0:82 offset1:83
	s_waitcnt lgkmcnt(0)
	v_mul_f64 v[92:93], v[178:179], v[94:95]
	s_delay_alu instid0(VALU_DEP_1) | instskip(SKIP_1) | instid1(VALU_DEP_2)
	v_fma_f64 v[92:93], v[176:177], v[184:185], -v[92:93]
	v_mul_f64 v[176:177], v[176:177], v[94:95]
	v_add_f64 v[8:9], v[8:9], -v[92:93]
	s_delay_alu instid0(VALU_DEP_2) | instskip(NEXT) | instid1(VALU_DEP_1)
	v_fma_f64 v[176:177], v[178:179], v[184:185], v[176:177]
	v_add_f64 v[10:11], v[10:11], -v[176:177]
	ds_load_2addr_b64 v[176:179], v186 offset0:84 offset1:85
	s_waitcnt lgkmcnt(0)
	v_mul_f64 v[92:93], v[178:179], v[94:95]
	s_delay_alu instid0(VALU_DEP_1) | instskip(SKIP_1) | instid1(VALU_DEP_2)
	v_fma_f64 v[92:93], v[176:177], v[184:185], -v[92:93]
	v_mul_f64 v[176:177], v[176:177], v[94:95]
	v_add_f64 v[4:5], v[4:5], -v[92:93]
	s_delay_alu instid0(VALU_DEP_2) | instskip(NEXT) | instid1(VALU_DEP_1)
	v_fma_f64 v[176:177], v[178:179], v[184:185], v[176:177]
	v_add_f64 v[6:7], v[6:7], -v[176:177]
	ds_load_2addr_b64 v[176:179], v186 offset0:86 offset1:87
	s_waitcnt lgkmcnt(0)
	v_mul_f64 v[92:93], v[178:179], v[94:95]
	s_delay_alu instid0(VALU_DEP_1) | instskip(SKIP_1) | instid1(VALU_DEP_2)
	v_fma_f64 v[92:93], v[176:177], v[184:185], -v[92:93]
	v_mul_f64 v[176:177], v[176:177], v[94:95]
	v_add_f64 v[0:1], v[0:1], -v[92:93]
	s_delay_alu instid0(VALU_DEP_2) | instskip(SKIP_1) | instid1(VALU_DEP_2)
	v_fma_f64 v[176:177], v[178:179], v[184:185], v[176:177]
	v_dual_mov_b32 v92, v184 :: v_dual_mov_b32 v93, v185
	v_add_f64 v[2:3], v[2:3], -v[176:177]
.LBB86_440:
	s_or_b32 exec_lo, exec_lo, s2
	v_lshl_add_u32 v176, v192, 4, v186
	s_barrier
	buffer_gl0_inv
	v_mov_b32_e32 v184, 21
	ds_store_2addr_b64 v176, v[88:89], v[90:91] offset1:1
	s_waitcnt lgkmcnt(0)
	s_barrier
	buffer_gl0_inv
	ds_load_2addr_b64 v[176:179], v186 offset0:42 offset1:43
	s_cmp_lt_i32 s5, 23
	s_cbranch_scc1 .LBB86_443
; %bb.441:
	v_add3_u32 v185, v190, 0, 0x160
	v_mov_b32_e32 v184, 21
	s_mov_b32 s6, 22
	s_set_inst_prefetch_distance 0x1
	.p2align	6
.LBB86_442:                             ; =>This Inner Loop Header: Depth=1
	ds_load_2addr_b64 v[193:196], v185 offset1:1
	s_waitcnt lgkmcnt(1)
	v_cmp_gt_f64_e32 vcc_lo, 0, v[176:177]
	v_xor_b32_e32 v197, 0x80000000, v177
	v_cmp_gt_f64_e64 s2, 0, v[178:179]
	v_xor_b32_e32 v199, 0x80000000, v179
	v_add_nc_u32_e32 v185, 16, v185
	s_waitcnt lgkmcnt(0)
	v_cmp_gt_f64_e64 s3, 0, v[193:194]
	v_mov_b32_e32 v201, v193
	v_dual_mov_b32 v203, v195 :: v_dual_cndmask_b32 v198, v177, v197
	v_xor_b32_e32 v197, 0x80000000, v194
	v_cndmask_b32_e64 v200, v179, v199, s2
	v_xor_b32_e32 v199, 0x80000000, v196
	s_delay_alu instid0(VALU_DEP_3) | instskip(SKIP_2) | instid1(VALU_DEP_2)
	v_cndmask_b32_e64 v202, v194, v197, s3
	v_cmp_gt_f64_e64 s3, 0, v[195:196]
	v_cndmask_b32_e32 v197, v176, v176, vcc_lo
	v_cndmask_b32_e64 v204, v196, v199, s3
	v_cndmask_b32_e64 v199, v178, v178, s2
	s_delay_alu instid0(VALU_DEP_2) | instskip(NEXT) | instid1(VALU_DEP_2)
	v_add_f64 v[201:202], v[201:202], v[203:204]
	v_add_f64 v[197:198], v[197:198], v[199:200]
	s_delay_alu instid0(VALU_DEP_1) | instskip(SKIP_4) | instid1(SALU_CYCLE_1)
	v_cmp_lt_f64_e32 vcc_lo, v[197:198], v[201:202]
	v_dual_cndmask_b32 v178, v178, v195 :: v_dual_cndmask_b32 v177, v177, v194
	v_dual_cndmask_b32 v176, v176, v193 :: v_dual_cndmask_b32 v179, v179, v196
	v_cndmask_b32_e64 v184, v184, s6, vcc_lo
	s_add_i32 s6, s6, 1
	s_cmp_lg_u32 s5, s6
	s_cbranch_scc1 .LBB86_442
.LBB86_443:
	s_set_inst_prefetch_distance 0x2
	s_waitcnt lgkmcnt(0)
	v_cmp_eq_f64_e32 vcc_lo, 0, v[176:177]
	v_cmp_eq_f64_e64 s2, 0, v[178:179]
	s_delay_alu instid0(VALU_DEP_1) | instskip(NEXT) | instid1(SALU_CYCLE_1)
	s_and_b32 s2, vcc_lo, s2
	s_and_saveexec_b32 s3, s2
	s_delay_alu instid0(SALU_CYCLE_1)
	s_xor_b32 s2, exec_lo, s3
; %bb.444:
	v_cmp_ne_u32_e32 vcc_lo, 0, v189
	v_cndmask_b32_e32 v189, 22, v189, vcc_lo
; %bb.445:
	s_and_not1_saveexec_b32 s3, s2
	s_cbranch_execz .LBB86_451
; %bb.446:
	v_cmp_gt_f64_e32 vcc_lo, 0, v[176:177]
	v_cmp_gt_f64_e64 s2, 0, v[178:179]
	v_xor_b32_e32 v185, 0x80000000, v177
	v_xor_b32_e32 v193, 0x80000000, v179
	s_delay_alu instid0(VALU_DEP_2) | instskip(NEXT) | instid1(VALU_DEP_2)
	v_cndmask_b32_e32 v194, v177, v185, vcc_lo
	v_cndmask_b32_e64 v196, v179, v193, s2
	v_cndmask_b32_e32 v193, v176, v176, vcc_lo
	v_cndmask_b32_e64 v195, v178, v178, s2
	s_mov_b32 s2, exec_lo
	s_delay_alu instid0(VALU_DEP_1)
	v_cmpx_ngt_f64_e32 v[193:194], v[195:196]
	s_xor_b32 s2, exec_lo, s2
	s_cbranch_execz .LBB86_448
; %bb.447:
	v_div_scale_f64 v[193:194], null, v[178:179], v[178:179], v[176:177]
	v_div_scale_f64 v[199:200], vcc_lo, v[176:177], v[178:179], v[176:177]
	s_delay_alu instid0(VALU_DEP_2) | instskip(SKIP_2) | instid1(VALU_DEP_1)
	v_rcp_f64_e32 v[195:196], v[193:194]
	s_waitcnt_depctr 0xfff
	v_fma_f64 v[197:198], -v[193:194], v[195:196], 1.0
	v_fma_f64 v[195:196], v[195:196], v[197:198], v[195:196]
	s_delay_alu instid0(VALU_DEP_1) | instskip(NEXT) | instid1(VALU_DEP_1)
	v_fma_f64 v[197:198], -v[193:194], v[195:196], 1.0
	v_fma_f64 v[195:196], v[195:196], v[197:198], v[195:196]
	s_delay_alu instid0(VALU_DEP_1) | instskip(NEXT) | instid1(VALU_DEP_1)
	v_mul_f64 v[197:198], v[199:200], v[195:196]
	v_fma_f64 v[193:194], -v[193:194], v[197:198], v[199:200]
	s_delay_alu instid0(VALU_DEP_1) | instskip(NEXT) | instid1(VALU_DEP_1)
	v_div_fmas_f64 v[193:194], v[193:194], v[195:196], v[197:198]
	v_div_fixup_f64 v[193:194], v[193:194], v[178:179], v[176:177]
	s_delay_alu instid0(VALU_DEP_1) | instskip(NEXT) | instid1(VALU_DEP_1)
	v_fma_f64 v[176:177], v[176:177], v[193:194], v[178:179]
	v_div_scale_f64 v[178:179], null, v[176:177], v[176:177], 1.0
	s_delay_alu instid0(VALU_DEP_1) | instskip(SKIP_2) | instid1(VALU_DEP_1)
	v_rcp_f64_e32 v[195:196], v[178:179]
	s_waitcnt_depctr 0xfff
	v_fma_f64 v[197:198], -v[178:179], v[195:196], 1.0
	v_fma_f64 v[195:196], v[195:196], v[197:198], v[195:196]
	s_delay_alu instid0(VALU_DEP_1) | instskip(NEXT) | instid1(VALU_DEP_1)
	v_fma_f64 v[197:198], -v[178:179], v[195:196], 1.0
	v_fma_f64 v[195:196], v[195:196], v[197:198], v[195:196]
	v_div_scale_f64 v[197:198], vcc_lo, 1.0, v[176:177], 1.0
	s_delay_alu instid0(VALU_DEP_1) | instskip(NEXT) | instid1(VALU_DEP_1)
	v_mul_f64 v[199:200], v[197:198], v[195:196]
	v_fma_f64 v[178:179], -v[178:179], v[199:200], v[197:198]
	s_delay_alu instid0(VALU_DEP_1) | instskip(NEXT) | instid1(VALU_DEP_1)
	v_div_fmas_f64 v[178:179], v[178:179], v[195:196], v[199:200]
	v_div_fixup_f64 v[178:179], v[178:179], v[176:177], 1.0
	s_delay_alu instid0(VALU_DEP_1)
	v_mul_f64 v[176:177], v[193:194], v[178:179]
	v_xor_b32_e32 v179, 0x80000000, v179
.LBB86_448:
	s_and_not1_saveexec_b32 s2, s2
	s_cbranch_execz .LBB86_450
; %bb.449:
	s_delay_alu instid0(VALU_DEP_1) | instskip(SKIP_1) | instid1(VALU_DEP_2)
	v_div_scale_f64 v[193:194], null, v[176:177], v[176:177], v[178:179]
	v_div_scale_f64 v[199:200], vcc_lo, v[178:179], v[176:177], v[178:179]
	v_rcp_f64_e32 v[195:196], v[193:194]
	s_waitcnt_depctr 0xfff
	v_fma_f64 v[197:198], -v[193:194], v[195:196], 1.0
	s_delay_alu instid0(VALU_DEP_1) | instskip(NEXT) | instid1(VALU_DEP_1)
	v_fma_f64 v[195:196], v[195:196], v[197:198], v[195:196]
	v_fma_f64 v[197:198], -v[193:194], v[195:196], 1.0
	s_delay_alu instid0(VALU_DEP_1) | instskip(NEXT) | instid1(VALU_DEP_1)
	v_fma_f64 v[195:196], v[195:196], v[197:198], v[195:196]
	v_mul_f64 v[197:198], v[199:200], v[195:196]
	s_delay_alu instid0(VALU_DEP_1) | instskip(NEXT) | instid1(VALU_DEP_1)
	v_fma_f64 v[193:194], -v[193:194], v[197:198], v[199:200]
	v_div_fmas_f64 v[193:194], v[193:194], v[195:196], v[197:198]
	s_delay_alu instid0(VALU_DEP_1) | instskip(NEXT) | instid1(VALU_DEP_1)
	v_div_fixup_f64 v[193:194], v[193:194], v[176:177], v[178:179]
	v_fma_f64 v[176:177], v[178:179], v[193:194], v[176:177]
	s_delay_alu instid0(VALU_DEP_1) | instskip(NEXT) | instid1(VALU_DEP_1)
	v_div_scale_f64 v[178:179], null, v[176:177], v[176:177], 1.0
	v_rcp_f64_e32 v[195:196], v[178:179]
	s_waitcnt_depctr 0xfff
	v_fma_f64 v[197:198], -v[178:179], v[195:196], 1.0
	s_delay_alu instid0(VALU_DEP_1) | instskip(NEXT) | instid1(VALU_DEP_1)
	v_fma_f64 v[195:196], v[195:196], v[197:198], v[195:196]
	v_fma_f64 v[197:198], -v[178:179], v[195:196], 1.0
	s_delay_alu instid0(VALU_DEP_1) | instskip(SKIP_1) | instid1(VALU_DEP_1)
	v_fma_f64 v[195:196], v[195:196], v[197:198], v[195:196]
	v_div_scale_f64 v[197:198], vcc_lo, 1.0, v[176:177], 1.0
	v_mul_f64 v[199:200], v[197:198], v[195:196]
	s_delay_alu instid0(VALU_DEP_1) | instskip(NEXT) | instid1(VALU_DEP_1)
	v_fma_f64 v[178:179], -v[178:179], v[199:200], v[197:198]
	v_div_fmas_f64 v[178:179], v[178:179], v[195:196], v[199:200]
	s_delay_alu instid0(VALU_DEP_1) | instskip(NEXT) | instid1(VALU_DEP_1)
	v_div_fixup_f64 v[176:177], v[178:179], v[176:177], 1.0
	v_mul_f64 v[178:179], v[193:194], -v[176:177]
.LBB86_450:
	s_or_b32 exec_lo, exec_lo, s2
.LBB86_451:
	s_delay_alu instid0(SALU_CYCLE_1) | instskip(NEXT) | instid1(SALU_CYCLE_1)
	s_or_b32 exec_lo, exec_lo, s3
	s_mov_b32 s2, exec_lo
	v_cmpx_ne_u32_e64 v192, v184
	s_xor_b32 s2, exec_lo, s2
	s_cbranch_execz .LBB86_457
; %bb.452:
	s_mov_b32 s3, exec_lo
	v_cmpx_eq_u32_e32 21, v192
	s_cbranch_execz .LBB86_456
; %bb.453:
	v_cmp_ne_u32_e32 vcc_lo, 21, v184
	s_xor_b32 s6, s4, -1
	s_delay_alu instid0(SALU_CYCLE_1) | instskip(NEXT) | instid1(SALU_CYCLE_1)
	s_and_b32 s7, s6, vcc_lo
	s_and_saveexec_b32 s6, s7
	s_cbranch_execz .LBB86_455
; %bb.454:
	v_ashrrev_i32_e32 v185, 31, v184
	s_delay_alu instid0(VALU_DEP_1) | instskip(NEXT) | instid1(VALU_DEP_1)
	v_lshlrev_b64 v[191:192], 2, v[184:185]
	v_add_co_u32 v191, vcc_lo, v182, v191
	s_delay_alu instid0(VALU_DEP_2)
	v_add_co_ci_u32_e32 v192, vcc_lo, v183, v192, vcc_lo
	s_clause 0x1
	flat_load_b32 v185, v[191:192]
	flat_load_b32 v193, v[182:183] offset:84
	s_waitcnt vmcnt(1) lgkmcnt(1)
	flat_store_b32 v[182:183], v185 offset:84
	s_waitcnt vmcnt(0) lgkmcnt(1)
	flat_store_b32 v[191:192], v193
.LBB86_455:
	s_or_b32 exec_lo, exec_lo, s6
	v_mov_b32_e32 v192, v184
	v_mov_b32_e32 v191, v184
.LBB86_456:
	s_or_b32 exec_lo, exec_lo, s3
.LBB86_457:
	s_and_not1_saveexec_b32 s2, s2
	s_cbranch_execz .LBB86_459
; %bb.458:
	v_mov_b32_e32 v192, 21
	ds_store_2addr_b64 v186, v[84:85], v[86:87] offset0:44 offset1:45
	ds_store_2addr_b64 v186, v[80:81], v[82:83] offset0:46 offset1:47
	;; [unrolled: 1-line block ×22, first 2 shown]
.LBB86_459:
	s_or_b32 exec_lo, exec_lo, s2
	s_delay_alu instid0(SALU_CYCLE_1)
	s_mov_b32 s2, exec_lo
	s_waitcnt lgkmcnt(0)
	s_waitcnt_vscnt null, 0x0
	s_barrier
	buffer_gl0_inv
	v_cmpx_lt_i32_e32 21, v192
	s_cbranch_execz .LBB86_461
; %bb.460:
	v_mul_f64 v[184:185], v[178:179], v[90:91]
	v_mul_f64 v[90:91], v[176:177], v[90:91]
	s_delay_alu instid0(VALU_DEP_2) | instskip(NEXT) | instid1(VALU_DEP_2)
	v_fma_f64 v[184:185], v[176:177], v[88:89], -v[184:185]
	v_fma_f64 v[90:91], v[178:179], v[88:89], v[90:91]
	ds_load_2addr_b64 v[176:179], v186 offset0:44 offset1:45
	s_waitcnt lgkmcnt(0)
	v_mul_f64 v[88:89], v[178:179], v[90:91]
	s_delay_alu instid0(VALU_DEP_1) | instskip(SKIP_1) | instid1(VALU_DEP_2)
	v_fma_f64 v[88:89], v[176:177], v[184:185], -v[88:89]
	v_mul_f64 v[176:177], v[176:177], v[90:91]
	v_add_f64 v[84:85], v[84:85], -v[88:89]
	s_delay_alu instid0(VALU_DEP_2) | instskip(NEXT) | instid1(VALU_DEP_1)
	v_fma_f64 v[176:177], v[178:179], v[184:185], v[176:177]
	v_add_f64 v[86:87], v[86:87], -v[176:177]
	ds_load_2addr_b64 v[176:179], v186 offset0:46 offset1:47
	s_waitcnt lgkmcnt(0)
	v_mul_f64 v[88:89], v[178:179], v[90:91]
	s_delay_alu instid0(VALU_DEP_1) | instskip(SKIP_1) | instid1(VALU_DEP_2)
	v_fma_f64 v[88:89], v[176:177], v[184:185], -v[88:89]
	v_mul_f64 v[176:177], v[176:177], v[90:91]
	v_add_f64 v[80:81], v[80:81], -v[88:89]
	s_delay_alu instid0(VALU_DEP_2) | instskip(NEXT) | instid1(VALU_DEP_1)
	v_fma_f64 v[176:177], v[178:179], v[184:185], v[176:177]
	v_add_f64 v[82:83], v[82:83], -v[176:177]
	;; [unrolled: 10-line block ×21, first 2 shown]
	ds_load_2addr_b64 v[176:179], v186 offset0:86 offset1:87
	s_waitcnt lgkmcnt(0)
	v_mul_f64 v[88:89], v[178:179], v[90:91]
	s_delay_alu instid0(VALU_DEP_1) | instskip(SKIP_1) | instid1(VALU_DEP_2)
	v_fma_f64 v[88:89], v[176:177], v[184:185], -v[88:89]
	v_mul_f64 v[176:177], v[176:177], v[90:91]
	v_add_f64 v[0:1], v[0:1], -v[88:89]
	s_delay_alu instid0(VALU_DEP_2) | instskip(SKIP_1) | instid1(VALU_DEP_2)
	v_fma_f64 v[176:177], v[178:179], v[184:185], v[176:177]
	v_dual_mov_b32 v88, v184 :: v_dual_mov_b32 v89, v185
	v_add_f64 v[2:3], v[2:3], -v[176:177]
.LBB86_461:
	s_or_b32 exec_lo, exec_lo, s2
	v_lshl_add_u32 v176, v192, 4, v186
	s_barrier
	buffer_gl0_inv
	v_mov_b32_e32 v184, 22
	ds_store_2addr_b64 v176, v[84:85], v[86:87] offset1:1
	s_waitcnt lgkmcnt(0)
	s_barrier
	buffer_gl0_inv
	ds_load_2addr_b64 v[176:179], v186 offset0:44 offset1:45
	s_cmp_lt_i32 s5, 24
	s_cbranch_scc1 .LBB86_464
; %bb.462:
	v_add3_u32 v185, v190, 0, 0x170
	v_mov_b32_e32 v184, 22
	s_mov_b32 s6, 23
	s_set_inst_prefetch_distance 0x1
	.p2align	6
.LBB86_463:                             ; =>This Inner Loop Header: Depth=1
	ds_load_2addr_b64 v[193:196], v185 offset1:1
	s_waitcnt lgkmcnt(1)
	v_cmp_gt_f64_e32 vcc_lo, 0, v[176:177]
	v_xor_b32_e32 v197, 0x80000000, v177
	v_cmp_gt_f64_e64 s2, 0, v[178:179]
	v_xor_b32_e32 v199, 0x80000000, v179
	v_add_nc_u32_e32 v185, 16, v185
	s_waitcnt lgkmcnt(0)
	v_cmp_gt_f64_e64 s3, 0, v[193:194]
	v_mov_b32_e32 v201, v193
	v_dual_mov_b32 v203, v195 :: v_dual_cndmask_b32 v198, v177, v197
	v_xor_b32_e32 v197, 0x80000000, v194
	v_cndmask_b32_e64 v200, v179, v199, s2
	v_xor_b32_e32 v199, 0x80000000, v196
	s_delay_alu instid0(VALU_DEP_3) | instskip(SKIP_2) | instid1(VALU_DEP_2)
	v_cndmask_b32_e64 v202, v194, v197, s3
	v_cmp_gt_f64_e64 s3, 0, v[195:196]
	v_cndmask_b32_e32 v197, v176, v176, vcc_lo
	v_cndmask_b32_e64 v204, v196, v199, s3
	v_cndmask_b32_e64 v199, v178, v178, s2
	s_delay_alu instid0(VALU_DEP_2) | instskip(NEXT) | instid1(VALU_DEP_2)
	v_add_f64 v[201:202], v[201:202], v[203:204]
	v_add_f64 v[197:198], v[197:198], v[199:200]
	s_delay_alu instid0(VALU_DEP_1) | instskip(SKIP_4) | instid1(SALU_CYCLE_1)
	v_cmp_lt_f64_e32 vcc_lo, v[197:198], v[201:202]
	v_dual_cndmask_b32 v178, v178, v195 :: v_dual_cndmask_b32 v177, v177, v194
	v_dual_cndmask_b32 v176, v176, v193 :: v_dual_cndmask_b32 v179, v179, v196
	v_cndmask_b32_e64 v184, v184, s6, vcc_lo
	s_add_i32 s6, s6, 1
	s_cmp_lg_u32 s5, s6
	s_cbranch_scc1 .LBB86_463
.LBB86_464:
	s_set_inst_prefetch_distance 0x2
	s_waitcnt lgkmcnt(0)
	v_cmp_eq_f64_e32 vcc_lo, 0, v[176:177]
	v_cmp_eq_f64_e64 s2, 0, v[178:179]
	s_delay_alu instid0(VALU_DEP_1) | instskip(NEXT) | instid1(SALU_CYCLE_1)
	s_and_b32 s2, vcc_lo, s2
	s_and_saveexec_b32 s3, s2
	s_delay_alu instid0(SALU_CYCLE_1)
	s_xor_b32 s2, exec_lo, s3
; %bb.465:
	v_cmp_ne_u32_e32 vcc_lo, 0, v189
	v_cndmask_b32_e32 v189, 23, v189, vcc_lo
; %bb.466:
	s_and_not1_saveexec_b32 s3, s2
	s_cbranch_execz .LBB86_472
; %bb.467:
	v_cmp_gt_f64_e32 vcc_lo, 0, v[176:177]
	v_cmp_gt_f64_e64 s2, 0, v[178:179]
	v_xor_b32_e32 v185, 0x80000000, v177
	v_xor_b32_e32 v193, 0x80000000, v179
	s_delay_alu instid0(VALU_DEP_2) | instskip(NEXT) | instid1(VALU_DEP_2)
	v_cndmask_b32_e32 v194, v177, v185, vcc_lo
	v_cndmask_b32_e64 v196, v179, v193, s2
	v_cndmask_b32_e32 v193, v176, v176, vcc_lo
	v_cndmask_b32_e64 v195, v178, v178, s2
	s_mov_b32 s2, exec_lo
	s_delay_alu instid0(VALU_DEP_1)
	v_cmpx_ngt_f64_e32 v[193:194], v[195:196]
	s_xor_b32 s2, exec_lo, s2
	s_cbranch_execz .LBB86_469
; %bb.468:
	v_div_scale_f64 v[193:194], null, v[178:179], v[178:179], v[176:177]
	v_div_scale_f64 v[199:200], vcc_lo, v[176:177], v[178:179], v[176:177]
	s_delay_alu instid0(VALU_DEP_2) | instskip(SKIP_2) | instid1(VALU_DEP_1)
	v_rcp_f64_e32 v[195:196], v[193:194]
	s_waitcnt_depctr 0xfff
	v_fma_f64 v[197:198], -v[193:194], v[195:196], 1.0
	v_fma_f64 v[195:196], v[195:196], v[197:198], v[195:196]
	s_delay_alu instid0(VALU_DEP_1) | instskip(NEXT) | instid1(VALU_DEP_1)
	v_fma_f64 v[197:198], -v[193:194], v[195:196], 1.0
	v_fma_f64 v[195:196], v[195:196], v[197:198], v[195:196]
	s_delay_alu instid0(VALU_DEP_1) | instskip(NEXT) | instid1(VALU_DEP_1)
	v_mul_f64 v[197:198], v[199:200], v[195:196]
	v_fma_f64 v[193:194], -v[193:194], v[197:198], v[199:200]
	s_delay_alu instid0(VALU_DEP_1) | instskip(NEXT) | instid1(VALU_DEP_1)
	v_div_fmas_f64 v[193:194], v[193:194], v[195:196], v[197:198]
	v_div_fixup_f64 v[193:194], v[193:194], v[178:179], v[176:177]
	s_delay_alu instid0(VALU_DEP_1) | instskip(NEXT) | instid1(VALU_DEP_1)
	v_fma_f64 v[176:177], v[176:177], v[193:194], v[178:179]
	v_div_scale_f64 v[178:179], null, v[176:177], v[176:177], 1.0
	s_delay_alu instid0(VALU_DEP_1) | instskip(SKIP_2) | instid1(VALU_DEP_1)
	v_rcp_f64_e32 v[195:196], v[178:179]
	s_waitcnt_depctr 0xfff
	v_fma_f64 v[197:198], -v[178:179], v[195:196], 1.0
	v_fma_f64 v[195:196], v[195:196], v[197:198], v[195:196]
	s_delay_alu instid0(VALU_DEP_1) | instskip(NEXT) | instid1(VALU_DEP_1)
	v_fma_f64 v[197:198], -v[178:179], v[195:196], 1.0
	v_fma_f64 v[195:196], v[195:196], v[197:198], v[195:196]
	v_div_scale_f64 v[197:198], vcc_lo, 1.0, v[176:177], 1.0
	s_delay_alu instid0(VALU_DEP_1) | instskip(NEXT) | instid1(VALU_DEP_1)
	v_mul_f64 v[199:200], v[197:198], v[195:196]
	v_fma_f64 v[178:179], -v[178:179], v[199:200], v[197:198]
	s_delay_alu instid0(VALU_DEP_1) | instskip(NEXT) | instid1(VALU_DEP_1)
	v_div_fmas_f64 v[178:179], v[178:179], v[195:196], v[199:200]
	v_div_fixup_f64 v[178:179], v[178:179], v[176:177], 1.0
	s_delay_alu instid0(VALU_DEP_1)
	v_mul_f64 v[176:177], v[193:194], v[178:179]
	v_xor_b32_e32 v179, 0x80000000, v179
.LBB86_469:
	s_and_not1_saveexec_b32 s2, s2
	s_cbranch_execz .LBB86_471
; %bb.470:
	s_delay_alu instid0(VALU_DEP_1) | instskip(SKIP_1) | instid1(VALU_DEP_2)
	v_div_scale_f64 v[193:194], null, v[176:177], v[176:177], v[178:179]
	v_div_scale_f64 v[199:200], vcc_lo, v[178:179], v[176:177], v[178:179]
	v_rcp_f64_e32 v[195:196], v[193:194]
	s_waitcnt_depctr 0xfff
	v_fma_f64 v[197:198], -v[193:194], v[195:196], 1.0
	s_delay_alu instid0(VALU_DEP_1) | instskip(NEXT) | instid1(VALU_DEP_1)
	v_fma_f64 v[195:196], v[195:196], v[197:198], v[195:196]
	v_fma_f64 v[197:198], -v[193:194], v[195:196], 1.0
	s_delay_alu instid0(VALU_DEP_1) | instskip(NEXT) | instid1(VALU_DEP_1)
	v_fma_f64 v[195:196], v[195:196], v[197:198], v[195:196]
	v_mul_f64 v[197:198], v[199:200], v[195:196]
	s_delay_alu instid0(VALU_DEP_1) | instskip(NEXT) | instid1(VALU_DEP_1)
	v_fma_f64 v[193:194], -v[193:194], v[197:198], v[199:200]
	v_div_fmas_f64 v[193:194], v[193:194], v[195:196], v[197:198]
	s_delay_alu instid0(VALU_DEP_1) | instskip(NEXT) | instid1(VALU_DEP_1)
	v_div_fixup_f64 v[193:194], v[193:194], v[176:177], v[178:179]
	v_fma_f64 v[176:177], v[178:179], v[193:194], v[176:177]
	s_delay_alu instid0(VALU_DEP_1) | instskip(NEXT) | instid1(VALU_DEP_1)
	v_div_scale_f64 v[178:179], null, v[176:177], v[176:177], 1.0
	v_rcp_f64_e32 v[195:196], v[178:179]
	s_waitcnt_depctr 0xfff
	v_fma_f64 v[197:198], -v[178:179], v[195:196], 1.0
	s_delay_alu instid0(VALU_DEP_1) | instskip(NEXT) | instid1(VALU_DEP_1)
	v_fma_f64 v[195:196], v[195:196], v[197:198], v[195:196]
	v_fma_f64 v[197:198], -v[178:179], v[195:196], 1.0
	s_delay_alu instid0(VALU_DEP_1) | instskip(SKIP_1) | instid1(VALU_DEP_1)
	v_fma_f64 v[195:196], v[195:196], v[197:198], v[195:196]
	v_div_scale_f64 v[197:198], vcc_lo, 1.0, v[176:177], 1.0
	v_mul_f64 v[199:200], v[197:198], v[195:196]
	s_delay_alu instid0(VALU_DEP_1) | instskip(NEXT) | instid1(VALU_DEP_1)
	v_fma_f64 v[178:179], -v[178:179], v[199:200], v[197:198]
	v_div_fmas_f64 v[178:179], v[178:179], v[195:196], v[199:200]
	s_delay_alu instid0(VALU_DEP_1) | instskip(NEXT) | instid1(VALU_DEP_1)
	v_div_fixup_f64 v[176:177], v[178:179], v[176:177], 1.0
	v_mul_f64 v[178:179], v[193:194], -v[176:177]
.LBB86_471:
	s_or_b32 exec_lo, exec_lo, s2
.LBB86_472:
	s_delay_alu instid0(SALU_CYCLE_1) | instskip(NEXT) | instid1(SALU_CYCLE_1)
	s_or_b32 exec_lo, exec_lo, s3
	s_mov_b32 s2, exec_lo
	v_cmpx_ne_u32_e64 v192, v184
	s_xor_b32 s2, exec_lo, s2
	s_cbranch_execz .LBB86_478
; %bb.473:
	s_mov_b32 s3, exec_lo
	v_cmpx_eq_u32_e32 22, v192
	s_cbranch_execz .LBB86_477
; %bb.474:
	v_cmp_ne_u32_e32 vcc_lo, 22, v184
	s_xor_b32 s6, s4, -1
	s_delay_alu instid0(SALU_CYCLE_1) | instskip(NEXT) | instid1(SALU_CYCLE_1)
	s_and_b32 s7, s6, vcc_lo
	s_and_saveexec_b32 s6, s7
	s_cbranch_execz .LBB86_476
; %bb.475:
	v_ashrrev_i32_e32 v185, 31, v184
	s_delay_alu instid0(VALU_DEP_1) | instskip(NEXT) | instid1(VALU_DEP_1)
	v_lshlrev_b64 v[191:192], 2, v[184:185]
	v_add_co_u32 v191, vcc_lo, v182, v191
	s_delay_alu instid0(VALU_DEP_2)
	v_add_co_ci_u32_e32 v192, vcc_lo, v183, v192, vcc_lo
	s_clause 0x1
	flat_load_b32 v185, v[191:192]
	flat_load_b32 v193, v[182:183] offset:88
	s_waitcnt vmcnt(1) lgkmcnt(1)
	flat_store_b32 v[182:183], v185 offset:88
	s_waitcnt vmcnt(0) lgkmcnt(1)
	flat_store_b32 v[191:192], v193
.LBB86_476:
	s_or_b32 exec_lo, exec_lo, s6
	v_mov_b32_e32 v192, v184
	v_mov_b32_e32 v191, v184
.LBB86_477:
	s_or_b32 exec_lo, exec_lo, s3
.LBB86_478:
	s_and_not1_saveexec_b32 s2, s2
	s_cbranch_execz .LBB86_480
; %bb.479:
	v_mov_b32_e32 v192, 22
	ds_store_2addr_b64 v186, v[80:81], v[82:83] offset0:46 offset1:47
	ds_store_2addr_b64 v186, v[76:77], v[78:79] offset0:48 offset1:49
	ds_store_2addr_b64 v186, v[72:73], v[74:75] offset0:50 offset1:51
	ds_store_2addr_b64 v186, v[68:69], v[70:71] offset0:52 offset1:53
	ds_store_2addr_b64 v186, v[64:65], v[66:67] offset0:54 offset1:55
	ds_store_2addr_b64 v186, v[60:61], v[62:63] offset0:56 offset1:57
	ds_store_2addr_b64 v186, v[56:57], v[58:59] offset0:58 offset1:59
	ds_store_2addr_b64 v186, v[52:53], v[54:55] offset0:60 offset1:61
	ds_store_2addr_b64 v186, v[48:49], v[50:51] offset0:62 offset1:63
	ds_store_2addr_b64 v186, v[44:45], v[46:47] offset0:64 offset1:65
	ds_store_2addr_b64 v186, v[40:41], v[42:43] offset0:66 offset1:67
	ds_store_2addr_b64 v186, v[36:37], v[38:39] offset0:68 offset1:69
	ds_store_2addr_b64 v186, v[32:33], v[34:35] offset0:70 offset1:71
	ds_store_2addr_b64 v186, v[28:29], v[30:31] offset0:72 offset1:73
	ds_store_2addr_b64 v186, v[24:25], v[26:27] offset0:74 offset1:75
	ds_store_2addr_b64 v186, v[20:21], v[22:23] offset0:76 offset1:77
	ds_store_2addr_b64 v186, v[16:17], v[18:19] offset0:78 offset1:79
	ds_store_2addr_b64 v186, v[12:13], v[14:15] offset0:80 offset1:81
	ds_store_2addr_b64 v186, v[8:9], v[10:11] offset0:82 offset1:83
	ds_store_2addr_b64 v186, v[4:5], v[6:7] offset0:84 offset1:85
	ds_store_2addr_b64 v186, v[0:1], v[2:3] offset0:86 offset1:87
.LBB86_480:
	s_or_b32 exec_lo, exec_lo, s2
	s_delay_alu instid0(SALU_CYCLE_1)
	s_mov_b32 s2, exec_lo
	s_waitcnt lgkmcnt(0)
	s_waitcnt_vscnt null, 0x0
	s_barrier
	buffer_gl0_inv
	v_cmpx_lt_i32_e32 22, v192
	s_cbranch_execz .LBB86_482
; %bb.481:
	v_mul_f64 v[184:185], v[178:179], v[86:87]
	v_mul_f64 v[86:87], v[176:177], v[86:87]
	s_delay_alu instid0(VALU_DEP_2) | instskip(NEXT) | instid1(VALU_DEP_2)
	v_fma_f64 v[184:185], v[176:177], v[84:85], -v[184:185]
	v_fma_f64 v[86:87], v[178:179], v[84:85], v[86:87]
	ds_load_2addr_b64 v[176:179], v186 offset0:46 offset1:47
	s_waitcnt lgkmcnt(0)
	v_mul_f64 v[84:85], v[178:179], v[86:87]
	s_delay_alu instid0(VALU_DEP_1) | instskip(SKIP_1) | instid1(VALU_DEP_2)
	v_fma_f64 v[84:85], v[176:177], v[184:185], -v[84:85]
	v_mul_f64 v[176:177], v[176:177], v[86:87]
	v_add_f64 v[80:81], v[80:81], -v[84:85]
	s_delay_alu instid0(VALU_DEP_2) | instskip(NEXT) | instid1(VALU_DEP_1)
	v_fma_f64 v[176:177], v[178:179], v[184:185], v[176:177]
	v_add_f64 v[82:83], v[82:83], -v[176:177]
	ds_load_2addr_b64 v[176:179], v186 offset0:48 offset1:49
	s_waitcnt lgkmcnt(0)
	v_mul_f64 v[84:85], v[178:179], v[86:87]
	s_delay_alu instid0(VALU_DEP_1) | instskip(SKIP_1) | instid1(VALU_DEP_2)
	v_fma_f64 v[84:85], v[176:177], v[184:185], -v[84:85]
	v_mul_f64 v[176:177], v[176:177], v[86:87]
	v_add_f64 v[76:77], v[76:77], -v[84:85]
	s_delay_alu instid0(VALU_DEP_2) | instskip(NEXT) | instid1(VALU_DEP_1)
	v_fma_f64 v[176:177], v[178:179], v[184:185], v[176:177]
	v_add_f64 v[78:79], v[78:79], -v[176:177]
	;; [unrolled: 10-line block ×20, first 2 shown]
	ds_load_2addr_b64 v[176:179], v186 offset0:86 offset1:87
	s_waitcnt lgkmcnt(0)
	v_mul_f64 v[84:85], v[178:179], v[86:87]
	s_delay_alu instid0(VALU_DEP_1) | instskip(SKIP_1) | instid1(VALU_DEP_2)
	v_fma_f64 v[84:85], v[176:177], v[184:185], -v[84:85]
	v_mul_f64 v[176:177], v[176:177], v[86:87]
	v_add_f64 v[0:1], v[0:1], -v[84:85]
	s_delay_alu instid0(VALU_DEP_2) | instskip(SKIP_1) | instid1(VALU_DEP_2)
	v_fma_f64 v[176:177], v[178:179], v[184:185], v[176:177]
	v_dual_mov_b32 v84, v184 :: v_dual_mov_b32 v85, v185
	v_add_f64 v[2:3], v[2:3], -v[176:177]
.LBB86_482:
	s_or_b32 exec_lo, exec_lo, s2
	v_lshl_add_u32 v176, v192, 4, v186
	s_barrier
	buffer_gl0_inv
	v_mov_b32_e32 v184, 23
	ds_store_2addr_b64 v176, v[80:81], v[82:83] offset1:1
	s_waitcnt lgkmcnt(0)
	s_barrier
	buffer_gl0_inv
	ds_load_2addr_b64 v[176:179], v186 offset0:46 offset1:47
	s_cmp_lt_i32 s5, 25
	s_cbranch_scc1 .LBB86_485
; %bb.483:
	v_add3_u32 v185, v190, 0, 0x180
	v_mov_b32_e32 v184, 23
	s_mov_b32 s6, 24
	s_set_inst_prefetch_distance 0x1
	.p2align	6
.LBB86_484:                             ; =>This Inner Loop Header: Depth=1
	ds_load_2addr_b64 v[193:196], v185 offset1:1
	s_waitcnt lgkmcnt(1)
	v_cmp_gt_f64_e32 vcc_lo, 0, v[176:177]
	v_xor_b32_e32 v197, 0x80000000, v177
	v_cmp_gt_f64_e64 s2, 0, v[178:179]
	v_xor_b32_e32 v199, 0x80000000, v179
	v_add_nc_u32_e32 v185, 16, v185
	s_waitcnt lgkmcnt(0)
	v_cmp_gt_f64_e64 s3, 0, v[193:194]
	v_mov_b32_e32 v201, v193
	v_dual_mov_b32 v203, v195 :: v_dual_cndmask_b32 v198, v177, v197
	v_xor_b32_e32 v197, 0x80000000, v194
	v_cndmask_b32_e64 v200, v179, v199, s2
	v_xor_b32_e32 v199, 0x80000000, v196
	s_delay_alu instid0(VALU_DEP_3) | instskip(SKIP_2) | instid1(VALU_DEP_2)
	v_cndmask_b32_e64 v202, v194, v197, s3
	v_cmp_gt_f64_e64 s3, 0, v[195:196]
	v_cndmask_b32_e32 v197, v176, v176, vcc_lo
	v_cndmask_b32_e64 v204, v196, v199, s3
	v_cndmask_b32_e64 v199, v178, v178, s2
	s_delay_alu instid0(VALU_DEP_2) | instskip(NEXT) | instid1(VALU_DEP_2)
	v_add_f64 v[201:202], v[201:202], v[203:204]
	v_add_f64 v[197:198], v[197:198], v[199:200]
	s_delay_alu instid0(VALU_DEP_1) | instskip(SKIP_4) | instid1(SALU_CYCLE_1)
	v_cmp_lt_f64_e32 vcc_lo, v[197:198], v[201:202]
	v_dual_cndmask_b32 v178, v178, v195 :: v_dual_cndmask_b32 v177, v177, v194
	v_dual_cndmask_b32 v176, v176, v193 :: v_dual_cndmask_b32 v179, v179, v196
	v_cndmask_b32_e64 v184, v184, s6, vcc_lo
	s_add_i32 s6, s6, 1
	s_cmp_lg_u32 s5, s6
	s_cbranch_scc1 .LBB86_484
.LBB86_485:
	s_set_inst_prefetch_distance 0x2
	s_waitcnt lgkmcnt(0)
	v_cmp_eq_f64_e32 vcc_lo, 0, v[176:177]
	v_cmp_eq_f64_e64 s2, 0, v[178:179]
	s_delay_alu instid0(VALU_DEP_1) | instskip(NEXT) | instid1(SALU_CYCLE_1)
	s_and_b32 s2, vcc_lo, s2
	s_and_saveexec_b32 s3, s2
	s_delay_alu instid0(SALU_CYCLE_1)
	s_xor_b32 s2, exec_lo, s3
; %bb.486:
	v_cmp_ne_u32_e32 vcc_lo, 0, v189
	v_cndmask_b32_e32 v189, 24, v189, vcc_lo
; %bb.487:
	s_and_not1_saveexec_b32 s3, s2
	s_cbranch_execz .LBB86_493
; %bb.488:
	v_cmp_gt_f64_e32 vcc_lo, 0, v[176:177]
	v_cmp_gt_f64_e64 s2, 0, v[178:179]
	v_xor_b32_e32 v185, 0x80000000, v177
	v_xor_b32_e32 v193, 0x80000000, v179
	s_delay_alu instid0(VALU_DEP_2) | instskip(NEXT) | instid1(VALU_DEP_2)
	v_cndmask_b32_e32 v194, v177, v185, vcc_lo
	v_cndmask_b32_e64 v196, v179, v193, s2
	v_cndmask_b32_e32 v193, v176, v176, vcc_lo
	v_cndmask_b32_e64 v195, v178, v178, s2
	s_mov_b32 s2, exec_lo
	s_delay_alu instid0(VALU_DEP_1)
	v_cmpx_ngt_f64_e32 v[193:194], v[195:196]
	s_xor_b32 s2, exec_lo, s2
	s_cbranch_execz .LBB86_490
; %bb.489:
	v_div_scale_f64 v[193:194], null, v[178:179], v[178:179], v[176:177]
	v_div_scale_f64 v[199:200], vcc_lo, v[176:177], v[178:179], v[176:177]
	s_delay_alu instid0(VALU_DEP_2) | instskip(SKIP_2) | instid1(VALU_DEP_1)
	v_rcp_f64_e32 v[195:196], v[193:194]
	s_waitcnt_depctr 0xfff
	v_fma_f64 v[197:198], -v[193:194], v[195:196], 1.0
	v_fma_f64 v[195:196], v[195:196], v[197:198], v[195:196]
	s_delay_alu instid0(VALU_DEP_1) | instskip(NEXT) | instid1(VALU_DEP_1)
	v_fma_f64 v[197:198], -v[193:194], v[195:196], 1.0
	v_fma_f64 v[195:196], v[195:196], v[197:198], v[195:196]
	s_delay_alu instid0(VALU_DEP_1) | instskip(NEXT) | instid1(VALU_DEP_1)
	v_mul_f64 v[197:198], v[199:200], v[195:196]
	v_fma_f64 v[193:194], -v[193:194], v[197:198], v[199:200]
	s_delay_alu instid0(VALU_DEP_1) | instskip(NEXT) | instid1(VALU_DEP_1)
	v_div_fmas_f64 v[193:194], v[193:194], v[195:196], v[197:198]
	v_div_fixup_f64 v[193:194], v[193:194], v[178:179], v[176:177]
	s_delay_alu instid0(VALU_DEP_1) | instskip(NEXT) | instid1(VALU_DEP_1)
	v_fma_f64 v[176:177], v[176:177], v[193:194], v[178:179]
	v_div_scale_f64 v[178:179], null, v[176:177], v[176:177], 1.0
	s_delay_alu instid0(VALU_DEP_1) | instskip(SKIP_2) | instid1(VALU_DEP_1)
	v_rcp_f64_e32 v[195:196], v[178:179]
	s_waitcnt_depctr 0xfff
	v_fma_f64 v[197:198], -v[178:179], v[195:196], 1.0
	v_fma_f64 v[195:196], v[195:196], v[197:198], v[195:196]
	s_delay_alu instid0(VALU_DEP_1) | instskip(NEXT) | instid1(VALU_DEP_1)
	v_fma_f64 v[197:198], -v[178:179], v[195:196], 1.0
	v_fma_f64 v[195:196], v[195:196], v[197:198], v[195:196]
	v_div_scale_f64 v[197:198], vcc_lo, 1.0, v[176:177], 1.0
	s_delay_alu instid0(VALU_DEP_1) | instskip(NEXT) | instid1(VALU_DEP_1)
	v_mul_f64 v[199:200], v[197:198], v[195:196]
	v_fma_f64 v[178:179], -v[178:179], v[199:200], v[197:198]
	s_delay_alu instid0(VALU_DEP_1) | instskip(NEXT) | instid1(VALU_DEP_1)
	v_div_fmas_f64 v[178:179], v[178:179], v[195:196], v[199:200]
	v_div_fixup_f64 v[178:179], v[178:179], v[176:177], 1.0
	s_delay_alu instid0(VALU_DEP_1)
	v_mul_f64 v[176:177], v[193:194], v[178:179]
	v_xor_b32_e32 v179, 0x80000000, v179
.LBB86_490:
	s_and_not1_saveexec_b32 s2, s2
	s_cbranch_execz .LBB86_492
; %bb.491:
	s_delay_alu instid0(VALU_DEP_1) | instskip(SKIP_1) | instid1(VALU_DEP_2)
	v_div_scale_f64 v[193:194], null, v[176:177], v[176:177], v[178:179]
	v_div_scale_f64 v[199:200], vcc_lo, v[178:179], v[176:177], v[178:179]
	v_rcp_f64_e32 v[195:196], v[193:194]
	s_waitcnt_depctr 0xfff
	v_fma_f64 v[197:198], -v[193:194], v[195:196], 1.0
	s_delay_alu instid0(VALU_DEP_1) | instskip(NEXT) | instid1(VALU_DEP_1)
	v_fma_f64 v[195:196], v[195:196], v[197:198], v[195:196]
	v_fma_f64 v[197:198], -v[193:194], v[195:196], 1.0
	s_delay_alu instid0(VALU_DEP_1) | instskip(NEXT) | instid1(VALU_DEP_1)
	v_fma_f64 v[195:196], v[195:196], v[197:198], v[195:196]
	v_mul_f64 v[197:198], v[199:200], v[195:196]
	s_delay_alu instid0(VALU_DEP_1) | instskip(NEXT) | instid1(VALU_DEP_1)
	v_fma_f64 v[193:194], -v[193:194], v[197:198], v[199:200]
	v_div_fmas_f64 v[193:194], v[193:194], v[195:196], v[197:198]
	s_delay_alu instid0(VALU_DEP_1) | instskip(NEXT) | instid1(VALU_DEP_1)
	v_div_fixup_f64 v[193:194], v[193:194], v[176:177], v[178:179]
	v_fma_f64 v[176:177], v[178:179], v[193:194], v[176:177]
	s_delay_alu instid0(VALU_DEP_1) | instskip(NEXT) | instid1(VALU_DEP_1)
	v_div_scale_f64 v[178:179], null, v[176:177], v[176:177], 1.0
	v_rcp_f64_e32 v[195:196], v[178:179]
	s_waitcnt_depctr 0xfff
	v_fma_f64 v[197:198], -v[178:179], v[195:196], 1.0
	s_delay_alu instid0(VALU_DEP_1) | instskip(NEXT) | instid1(VALU_DEP_1)
	v_fma_f64 v[195:196], v[195:196], v[197:198], v[195:196]
	v_fma_f64 v[197:198], -v[178:179], v[195:196], 1.0
	s_delay_alu instid0(VALU_DEP_1) | instskip(SKIP_1) | instid1(VALU_DEP_1)
	v_fma_f64 v[195:196], v[195:196], v[197:198], v[195:196]
	v_div_scale_f64 v[197:198], vcc_lo, 1.0, v[176:177], 1.0
	v_mul_f64 v[199:200], v[197:198], v[195:196]
	s_delay_alu instid0(VALU_DEP_1) | instskip(NEXT) | instid1(VALU_DEP_1)
	v_fma_f64 v[178:179], -v[178:179], v[199:200], v[197:198]
	v_div_fmas_f64 v[178:179], v[178:179], v[195:196], v[199:200]
	s_delay_alu instid0(VALU_DEP_1) | instskip(NEXT) | instid1(VALU_DEP_1)
	v_div_fixup_f64 v[176:177], v[178:179], v[176:177], 1.0
	v_mul_f64 v[178:179], v[193:194], -v[176:177]
.LBB86_492:
	s_or_b32 exec_lo, exec_lo, s2
.LBB86_493:
	s_delay_alu instid0(SALU_CYCLE_1) | instskip(NEXT) | instid1(SALU_CYCLE_1)
	s_or_b32 exec_lo, exec_lo, s3
	s_mov_b32 s2, exec_lo
	v_cmpx_ne_u32_e64 v192, v184
	s_xor_b32 s2, exec_lo, s2
	s_cbranch_execz .LBB86_499
; %bb.494:
	s_mov_b32 s3, exec_lo
	v_cmpx_eq_u32_e32 23, v192
	s_cbranch_execz .LBB86_498
; %bb.495:
	v_cmp_ne_u32_e32 vcc_lo, 23, v184
	s_xor_b32 s6, s4, -1
	s_delay_alu instid0(SALU_CYCLE_1) | instskip(NEXT) | instid1(SALU_CYCLE_1)
	s_and_b32 s7, s6, vcc_lo
	s_and_saveexec_b32 s6, s7
	s_cbranch_execz .LBB86_497
; %bb.496:
	v_ashrrev_i32_e32 v185, 31, v184
	s_delay_alu instid0(VALU_DEP_1) | instskip(NEXT) | instid1(VALU_DEP_1)
	v_lshlrev_b64 v[191:192], 2, v[184:185]
	v_add_co_u32 v191, vcc_lo, v182, v191
	s_delay_alu instid0(VALU_DEP_2)
	v_add_co_ci_u32_e32 v192, vcc_lo, v183, v192, vcc_lo
	s_clause 0x1
	flat_load_b32 v185, v[191:192]
	flat_load_b32 v193, v[182:183] offset:92
	s_waitcnt vmcnt(1) lgkmcnt(1)
	flat_store_b32 v[182:183], v185 offset:92
	s_waitcnt vmcnt(0) lgkmcnt(1)
	flat_store_b32 v[191:192], v193
.LBB86_497:
	s_or_b32 exec_lo, exec_lo, s6
	v_mov_b32_e32 v192, v184
	v_mov_b32_e32 v191, v184
.LBB86_498:
	s_or_b32 exec_lo, exec_lo, s3
.LBB86_499:
	s_and_not1_saveexec_b32 s2, s2
	s_cbranch_execz .LBB86_501
; %bb.500:
	v_mov_b32_e32 v192, 23
	ds_store_2addr_b64 v186, v[76:77], v[78:79] offset0:48 offset1:49
	ds_store_2addr_b64 v186, v[72:73], v[74:75] offset0:50 offset1:51
	;; [unrolled: 1-line block ×20, first 2 shown]
.LBB86_501:
	s_or_b32 exec_lo, exec_lo, s2
	s_delay_alu instid0(SALU_CYCLE_1)
	s_mov_b32 s2, exec_lo
	s_waitcnt lgkmcnt(0)
	s_waitcnt_vscnt null, 0x0
	s_barrier
	buffer_gl0_inv
	v_cmpx_lt_i32_e32 23, v192
	s_cbranch_execz .LBB86_503
; %bb.502:
	v_mul_f64 v[184:185], v[178:179], v[82:83]
	v_mul_f64 v[82:83], v[176:177], v[82:83]
	s_delay_alu instid0(VALU_DEP_2) | instskip(NEXT) | instid1(VALU_DEP_2)
	v_fma_f64 v[184:185], v[176:177], v[80:81], -v[184:185]
	v_fma_f64 v[82:83], v[178:179], v[80:81], v[82:83]
	ds_load_2addr_b64 v[176:179], v186 offset0:48 offset1:49
	s_waitcnt lgkmcnt(0)
	v_mul_f64 v[80:81], v[178:179], v[82:83]
	s_delay_alu instid0(VALU_DEP_1) | instskip(SKIP_1) | instid1(VALU_DEP_2)
	v_fma_f64 v[80:81], v[176:177], v[184:185], -v[80:81]
	v_mul_f64 v[176:177], v[176:177], v[82:83]
	v_add_f64 v[76:77], v[76:77], -v[80:81]
	s_delay_alu instid0(VALU_DEP_2) | instskip(NEXT) | instid1(VALU_DEP_1)
	v_fma_f64 v[176:177], v[178:179], v[184:185], v[176:177]
	v_add_f64 v[78:79], v[78:79], -v[176:177]
	ds_load_2addr_b64 v[176:179], v186 offset0:50 offset1:51
	s_waitcnt lgkmcnt(0)
	v_mul_f64 v[80:81], v[178:179], v[82:83]
	s_delay_alu instid0(VALU_DEP_1) | instskip(SKIP_1) | instid1(VALU_DEP_2)
	v_fma_f64 v[80:81], v[176:177], v[184:185], -v[80:81]
	v_mul_f64 v[176:177], v[176:177], v[82:83]
	v_add_f64 v[72:73], v[72:73], -v[80:81]
	s_delay_alu instid0(VALU_DEP_2) | instskip(NEXT) | instid1(VALU_DEP_1)
	v_fma_f64 v[176:177], v[178:179], v[184:185], v[176:177]
	v_add_f64 v[74:75], v[74:75], -v[176:177]
	;; [unrolled: 10-line block ×19, first 2 shown]
	ds_load_2addr_b64 v[176:179], v186 offset0:86 offset1:87
	s_waitcnt lgkmcnt(0)
	v_mul_f64 v[80:81], v[178:179], v[82:83]
	s_delay_alu instid0(VALU_DEP_1) | instskip(SKIP_1) | instid1(VALU_DEP_2)
	v_fma_f64 v[80:81], v[176:177], v[184:185], -v[80:81]
	v_mul_f64 v[176:177], v[176:177], v[82:83]
	v_add_f64 v[0:1], v[0:1], -v[80:81]
	s_delay_alu instid0(VALU_DEP_2) | instskip(SKIP_1) | instid1(VALU_DEP_2)
	v_fma_f64 v[176:177], v[178:179], v[184:185], v[176:177]
	v_dual_mov_b32 v80, v184 :: v_dual_mov_b32 v81, v185
	v_add_f64 v[2:3], v[2:3], -v[176:177]
.LBB86_503:
	s_or_b32 exec_lo, exec_lo, s2
	v_lshl_add_u32 v176, v192, 4, v186
	s_barrier
	buffer_gl0_inv
	v_mov_b32_e32 v184, 24
	ds_store_2addr_b64 v176, v[76:77], v[78:79] offset1:1
	s_waitcnt lgkmcnt(0)
	s_barrier
	buffer_gl0_inv
	ds_load_2addr_b64 v[176:179], v186 offset0:48 offset1:49
	s_cmp_lt_i32 s5, 26
	s_cbranch_scc1 .LBB86_506
; %bb.504:
	v_add3_u32 v185, v190, 0, 0x190
	v_mov_b32_e32 v184, 24
	s_mov_b32 s6, 25
	s_set_inst_prefetch_distance 0x1
	.p2align	6
.LBB86_505:                             ; =>This Inner Loop Header: Depth=1
	ds_load_2addr_b64 v[193:196], v185 offset1:1
	s_waitcnt lgkmcnt(1)
	v_cmp_gt_f64_e32 vcc_lo, 0, v[176:177]
	v_xor_b32_e32 v197, 0x80000000, v177
	v_cmp_gt_f64_e64 s2, 0, v[178:179]
	v_xor_b32_e32 v199, 0x80000000, v179
	v_add_nc_u32_e32 v185, 16, v185
	s_waitcnt lgkmcnt(0)
	v_cmp_gt_f64_e64 s3, 0, v[193:194]
	v_mov_b32_e32 v201, v193
	v_dual_mov_b32 v203, v195 :: v_dual_cndmask_b32 v198, v177, v197
	v_xor_b32_e32 v197, 0x80000000, v194
	v_cndmask_b32_e64 v200, v179, v199, s2
	v_xor_b32_e32 v199, 0x80000000, v196
	s_delay_alu instid0(VALU_DEP_3) | instskip(SKIP_2) | instid1(VALU_DEP_2)
	v_cndmask_b32_e64 v202, v194, v197, s3
	v_cmp_gt_f64_e64 s3, 0, v[195:196]
	v_cndmask_b32_e32 v197, v176, v176, vcc_lo
	v_cndmask_b32_e64 v204, v196, v199, s3
	v_cndmask_b32_e64 v199, v178, v178, s2
	s_delay_alu instid0(VALU_DEP_2) | instskip(NEXT) | instid1(VALU_DEP_2)
	v_add_f64 v[201:202], v[201:202], v[203:204]
	v_add_f64 v[197:198], v[197:198], v[199:200]
	s_delay_alu instid0(VALU_DEP_1) | instskip(SKIP_4) | instid1(SALU_CYCLE_1)
	v_cmp_lt_f64_e32 vcc_lo, v[197:198], v[201:202]
	v_dual_cndmask_b32 v178, v178, v195 :: v_dual_cndmask_b32 v177, v177, v194
	v_dual_cndmask_b32 v176, v176, v193 :: v_dual_cndmask_b32 v179, v179, v196
	v_cndmask_b32_e64 v184, v184, s6, vcc_lo
	s_add_i32 s6, s6, 1
	s_cmp_lg_u32 s5, s6
	s_cbranch_scc1 .LBB86_505
.LBB86_506:
	s_set_inst_prefetch_distance 0x2
	s_waitcnt lgkmcnt(0)
	v_cmp_eq_f64_e32 vcc_lo, 0, v[176:177]
	v_cmp_eq_f64_e64 s2, 0, v[178:179]
	s_delay_alu instid0(VALU_DEP_1) | instskip(NEXT) | instid1(SALU_CYCLE_1)
	s_and_b32 s2, vcc_lo, s2
	s_and_saveexec_b32 s3, s2
	s_delay_alu instid0(SALU_CYCLE_1)
	s_xor_b32 s2, exec_lo, s3
; %bb.507:
	v_cmp_ne_u32_e32 vcc_lo, 0, v189
	v_cndmask_b32_e32 v189, 25, v189, vcc_lo
; %bb.508:
	s_and_not1_saveexec_b32 s3, s2
	s_cbranch_execz .LBB86_514
; %bb.509:
	v_cmp_gt_f64_e32 vcc_lo, 0, v[176:177]
	v_cmp_gt_f64_e64 s2, 0, v[178:179]
	v_xor_b32_e32 v185, 0x80000000, v177
	v_xor_b32_e32 v193, 0x80000000, v179
	s_delay_alu instid0(VALU_DEP_2) | instskip(NEXT) | instid1(VALU_DEP_2)
	v_cndmask_b32_e32 v194, v177, v185, vcc_lo
	v_cndmask_b32_e64 v196, v179, v193, s2
	v_cndmask_b32_e32 v193, v176, v176, vcc_lo
	v_cndmask_b32_e64 v195, v178, v178, s2
	s_mov_b32 s2, exec_lo
	s_delay_alu instid0(VALU_DEP_1)
	v_cmpx_ngt_f64_e32 v[193:194], v[195:196]
	s_xor_b32 s2, exec_lo, s2
	s_cbranch_execz .LBB86_511
; %bb.510:
	v_div_scale_f64 v[193:194], null, v[178:179], v[178:179], v[176:177]
	v_div_scale_f64 v[199:200], vcc_lo, v[176:177], v[178:179], v[176:177]
	s_delay_alu instid0(VALU_DEP_2) | instskip(SKIP_2) | instid1(VALU_DEP_1)
	v_rcp_f64_e32 v[195:196], v[193:194]
	s_waitcnt_depctr 0xfff
	v_fma_f64 v[197:198], -v[193:194], v[195:196], 1.0
	v_fma_f64 v[195:196], v[195:196], v[197:198], v[195:196]
	s_delay_alu instid0(VALU_DEP_1) | instskip(NEXT) | instid1(VALU_DEP_1)
	v_fma_f64 v[197:198], -v[193:194], v[195:196], 1.0
	v_fma_f64 v[195:196], v[195:196], v[197:198], v[195:196]
	s_delay_alu instid0(VALU_DEP_1) | instskip(NEXT) | instid1(VALU_DEP_1)
	v_mul_f64 v[197:198], v[199:200], v[195:196]
	v_fma_f64 v[193:194], -v[193:194], v[197:198], v[199:200]
	s_delay_alu instid0(VALU_DEP_1) | instskip(NEXT) | instid1(VALU_DEP_1)
	v_div_fmas_f64 v[193:194], v[193:194], v[195:196], v[197:198]
	v_div_fixup_f64 v[193:194], v[193:194], v[178:179], v[176:177]
	s_delay_alu instid0(VALU_DEP_1) | instskip(NEXT) | instid1(VALU_DEP_1)
	v_fma_f64 v[176:177], v[176:177], v[193:194], v[178:179]
	v_div_scale_f64 v[178:179], null, v[176:177], v[176:177], 1.0
	s_delay_alu instid0(VALU_DEP_1) | instskip(SKIP_2) | instid1(VALU_DEP_1)
	v_rcp_f64_e32 v[195:196], v[178:179]
	s_waitcnt_depctr 0xfff
	v_fma_f64 v[197:198], -v[178:179], v[195:196], 1.0
	v_fma_f64 v[195:196], v[195:196], v[197:198], v[195:196]
	s_delay_alu instid0(VALU_DEP_1) | instskip(NEXT) | instid1(VALU_DEP_1)
	v_fma_f64 v[197:198], -v[178:179], v[195:196], 1.0
	v_fma_f64 v[195:196], v[195:196], v[197:198], v[195:196]
	v_div_scale_f64 v[197:198], vcc_lo, 1.0, v[176:177], 1.0
	s_delay_alu instid0(VALU_DEP_1) | instskip(NEXT) | instid1(VALU_DEP_1)
	v_mul_f64 v[199:200], v[197:198], v[195:196]
	v_fma_f64 v[178:179], -v[178:179], v[199:200], v[197:198]
	s_delay_alu instid0(VALU_DEP_1) | instskip(NEXT) | instid1(VALU_DEP_1)
	v_div_fmas_f64 v[178:179], v[178:179], v[195:196], v[199:200]
	v_div_fixup_f64 v[178:179], v[178:179], v[176:177], 1.0
	s_delay_alu instid0(VALU_DEP_1)
	v_mul_f64 v[176:177], v[193:194], v[178:179]
	v_xor_b32_e32 v179, 0x80000000, v179
.LBB86_511:
	s_and_not1_saveexec_b32 s2, s2
	s_cbranch_execz .LBB86_513
; %bb.512:
	s_delay_alu instid0(VALU_DEP_1) | instskip(SKIP_1) | instid1(VALU_DEP_2)
	v_div_scale_f64 v[193:194], null, v[176:177], v[176:177], v[178:179]
	v_div_scale_f64 v[199:200], vcc_lo, v[178:179], v[176:177], v[178:179]
	v_rcp_f64_e32 v[195:196], v[193:194]
	s_waitcnt_depctr 0xfff
	v_fma_f64 v[197:198], -v[193:194], v[195:196], 1.0
	s_delay_alu instid0(VALU_DEP_1) | instskip(NEXT) | instid1(VALU_DEP_1)
	v_fma_f64 v[195:196], v[195:196], v[197:198], v[195:196]
	v_fma_f64 v[197:198], -v[193:194], v[195:196], 1.0
	s_delay_alu instid0(VALU_DEP_1) | instskip(NEXT) | instid1(VALU_DEP_1)
	v_fma_f64 v[195:196], v[195:196], v[197:198], v[195:196]
	v_mul_f64 v[197:198], v[199:200], v[195:196]
	s_delay_alu instid0(VALU_DEP_1) | instskip(NEXT) | instid1(VALU_DEP_1)
	v_fma_f64 v[193:194], -v[193:194], v[197:198], v[199:200]
	v_div_fmas_f64 v[193:194], v[193:194], v[195:196], v[197:198]
	s_delay_alu instid0(VALU_DEP_1) | instskip(NEXT) | instid1(VALU_DEP_1)
	v_div_fixup_f64 v[193:194], v[193:194], v[176:177], v[178:179]
	v_fma_f64 v[176:177], v[178:179], v[193:194], v[176:177]
	s_delay_alu instid0(VALU_DEP_1) | instskip(NEXT) | instid1(VALU_DEP_1)
	v_div_scale_f64 v[178:179], null, v[176:177], v[176:177], 1.0
	v_rcp_f64_e32 v[195:196], v[178:179]
	s_waitcnt_depctr 0xfff
	v_fma_f64 v[197:198], -v[178:179], v[195:196], 1.0
	s_delay_alu instid0(VALU_DEP_1) | instskip(NEXT) | instid1(VALU_DEP_1)
	v_fma_f64 v[195:196], v[195:196], v[197:198], v[195:196]
	v_fma_f64 v[197:198], -v[178:179], v[195:196], 1.0
	s_delay_alu instid0(VALU_DEP_1) | instskip(SKIP_1) | instid1(VALU_DEP_1)
	v_fma_f64 v[195:196], v[195:196], v[197:198], v[195:196]
	v_div_scale_f64 v[197:198], vcc_lo, 1.0, v[176:177], 1.0
	v_mul_f64 v[199:200], v[197:198], v[195:196]
	s_delay_alu instid0(VALU_DEP_1) | instskip(NEXT) | instid1(VALU_DEP_1)
	v_fma_f64 v[178:179], -v[178:179], v[199:200], v[197:198]
	v_div_fmas_f64 v[178:179], v[178:179], v[195:196], v[199:200]
	s_delay_alu instid0(VALU_DEP_1) | instskip(NEXT) | instid1(VALU_DEP_1)
	v_div_fixup_f64 v[176:177], v[178:179], v[176:177], 1.0
	v_mul_f64 v[178:179], v[193:194], -v[176:177]
.LBB86_513:
	s_or_b32 exec_lo, exec_lo, s2
.LBB86_514:
	s_delay_alu instid0(SALU_CYCLE_1) | instskip(NEXT) | instid1(SALU_CYCLE_1)
	s_or_b32 exec_lo, exec_lo, s3
	s_mov_b32 s2, exec_lo
	v_cmpx_ne_u32_e64 v192, v184
	s_xor_b32 s2, exec_lo, s2
	s_cbranch_execz .LBB86_520
; %bb.515:
	s_mov_b32 s3, exec_lo
	v_cmpx_eq_u32_e32 24, v192
	s_cbranch_execz .LBB86_519
; %bb.516:
	v_cmp_ne_u32_e32 vcc_lo, 24, v184
	s_xor_b32 s6, s4, -1
	s_delay_alu instid0(SALU_CYCLE_1) | instskip(NEXT) | instid1(SALU_CYCLE_1)
	s_and_b32 s7, s6, vcc_lo
	s_and_saveexec_b32 s6, s7
	s_cbranch_execz .LBB86_518
; %bb.517:
	v_ashrrev_i32_e32 v185, 31, v184
	s_delay_alu instid0(VALU_DEP_1) | instskip(NEXT) | instid1(VALU_DEP_1)
	v_lshlrev_b64 v[191:192], 2, v[184:185]
	v_add_co_u32 v191, vcc_lo, v182, v191
	s_delay_alu instid0(VALU_DEP_2)
	v_add_co_ci_u32_e32 v192, vcc_lo, v183, v192, vcc_lo
	s_clause 0x1
	flat_load_b32 v185, v[191:192]
	flat_load_b32 v193, v[182:183] offset:96
	s_waitcnt vmcnt(1) lgkmcnt(1)
	flat_store_b32 v[182:183], v185 offset:96
	s_waitcnt vmcnt(0) lgkmcnt(1)
	flat_store_b32 v[191:192], v193
.LBB86_518:
	s_or_b32 exec_lo, exec_lo, s6
	v_mov_b32_e32 v192, v184
	v_mov_b32_e32 v191, v184
.LBB86_519:
	s_or_b32 exec_lo, exec_lo, s3
.LBB86_520:
	s_and_not1_saveexec_b32 s2, s2
	s_cbranch_execz .LBB86_522
; %bb.521:
	v_mov_b32_e32 v192, 24
	ds_store_2addr_b64 v186, v[72:73], v[74:75] offset0:50 offset1:51
	ds_store_2addr_b64 v186, v[68:69], v[70:71] offset0:52 offset1:53
	;; [unrolled: 1-line block ×19, first 2 shown]
.LBB86_522:
	s_or_b32 exec_lo, exec_lo, s2
	s_delay_alu instid0(SALU_CYCLE_1)
	s_mov_b32 s2, exec_lo
	s_waitcnt lgkmcnt(0)
	s_waitcnt_vscnt null, 0x0
	s_barrier
	buffer_gl0_inv
	v_cmpx_lt_i32_e32 24, v192
	s_cbranch_execz .LBB86_524
; %bb.523:
	v_mul_f64 v[184:185], v[178:179], v[78:79]
	v_mul_f64 v[78:79], v[176:177], v[78:79]
	s_delay_alu instid0(VALU_DEP_2) | instskip(NEXT) | instid1(VALU_DEP_2)
	v_fma_f64 v[184:185], v[176:177], v[76:77], -v[184:185]
	v_fma_f64 v[78:79], v[178:179], v[76:77], v[78:79]
	ds_load_2addr_b64 v[176:179], v186 offset0:50 offset1:51
	s_waitcnt lgkmcnt(0)
	v_mul_f64 v[76:77], v[178:179], v[78:79]
	s_delay_alu instid0(VALU_DEP_1) | instskip(SKIP_1) | instid1(VALU_DEP_2)
	v_fma_f64 v[76:77], v[176:177], v[184:185], -v[76:77]
	v_mul_f64 v[176:177], v[176:177], v[78:79]
	v_add_f64 v[72:73], v[72:73], -v[76:77]
	s_delay_alu instid0(VALU_DEP_2) | instskip(NEXT) | instid1(VALU_DEP_1)
	v_fma_f64 v[176:177], v[178:179], v[184:185], v[176:177]
	v_add_f64 v[74:75], v[74:75], -v[176:177]
	ds_load_2addr_b64 v[176:179], v186 offset0:52 offset1:53
	s_waitcnt lgkmcnt(0)
	v_mul_f64 v[76:77], v[178:179], v[78:79]
	s_delay_alu instid0(VALU_DEP_1) | instskip(SKIP_1) | instid1(VALU_DEP_2)
	v_fma_f64 v[76:77], v[176:177], v[184:185], -v[76:77]
	v_mul_f64 v[176:177], v[176:177], v[78:79]
	v_add_f64 v[68:69], v[68:69], -v[76:77]
	s_delay_alu instid0(VALU_DEP_2) | instskip(NEXT) | instid1(VALU_DEP_1)
	v_fma_f64 v[176:177], v[178:179], v[184:185], v[176:177]
	v_add_f64 v[70:71], v[70:71], -v[176:177]
	ds_load_2addr_b64 v[176:179], v186 offset0:54 offset1:55
	s_waitcnt lgkmcnt(0)
	v_mul_f64 v[76:77], v[178:179], v[78:79]
	s_delay_alu instid0(VALU_DEP_1) | instskip(SKIP_1) | instid1(VALU_DEP_2)
	v_fma_f64 v[76:77], v[176:177], v[184:185], -v[76:77]
	v_mul_f64 v[176:177], v[176:177], v[78:79]
	v_add_f64 v[64:65], v[64:65], -v[76:77]
	s_delay_alu instid0(VALU_DEP_2) | instskip(NEXT) | instid1(VALU_DEP_1)
	v_fma_f64 v[176:177], v[178:179], v[184:185], v[176:177]
	v_add_f64 v[66:67], v[66:67], -v[176:177]
	ds_load_2addr_b64 v[176:179], v186 offset0:56 offset1:57
	s_waitcnt lgkmcnt(0)
	v_mul_f64 v[76:77], v[178:179], v[78:79]
	s_delay_alu instid0(VALU_DEP_1) | instskip(SKIP_1) | instid1(VALU_DEP_2)
	v_fma_f64 v[76:77], v[176:177], v[184:185], -v[76:77]
	v_mul_f64 v[176:177], v[176:177], v[78:79]
	v_add_f64 v[60:61], v[60:61], -v[76:77]
	s_delay_alu instid0(VALU_DEP_2) | instskip(NEXT) | instid1(VALU_DEP_1)
	v_fma_f64 v[176:177], v[178:179], v[184:185], v[176:177]
	v_add_f64 v[62:63], v[62:63], -v[176:177]
	ds_load_2addr_b64 v[176:179], v186 offset0:58 offset1:59
	s_waitcnt lgkmcnt(0)
	v_mul_f64 v[76:77], v[178:179], v[78:79]
	s_delay_alu instid0(VALU_DEP_1) | instskip(SKIP_1) | instid1(VALU_DEP_2)
	v_fma_f64 v[76:77], v[176:177], v[184:185], -v[76:77]
	v_mul_f64 v[176:177], v[176:177], v[78:79]
	v_add_f64 v[56:57], v[56:57], -v[76:77]
	s_delay_alu instid0(VALU_DEP_2) | instskip(NEXT) | instid1(VALU_DEP_1)
	v_fma_f64 v[176:177], v[178:179], v[184:185], v[176:177]
	v_add_f64 v[58:59], v[58:59], -v[176:177]
	ds_load_2addr_b64 v[176:179], v186 offset0:60 offset1:61
	s_waitcnt lgkmcnt(0)
	v_mul_f64 v[76:77], v[178:179], v[78:79]
	s_delay_alu instid0(VALU_DEP_1) | instskip(SKIP_1) | instid1(VALU_DEP_2)
	v_fma_f64 v[76:77], v[176:177], v[184:185], -v[76:77]
	v_mul_f64 v[176:177], v[176:177], v[78:79]
	v_add_f64 v[52:53], v[52:53], -v[76:77]
	s_delay_alu instid0(VALU_DEP_2) | instskip(NEXT) | instid1(VALU_DEP_1)
	v_fma_f64 v[176:177], v[178:179], v[184:185], v[176:177]
	v_add_f64 v[54:55], v[54:55], -v[176:177]
	ds_load_2addr_b64 v[176:179], v186 offset0:62 offset1:63
	s_waitcnt lgkmcnt(0)
	v_mul_f64 v[76:77], v[178:179], v[78:79]
	s_delay_alu instid0(VALU_DEP_1) | instskip(SKIP_1) | instid1(VALU_DEP_2)
	v_fma_f64 v[76:77], v[176:177], v[184:185], -v[76:77]
	v_mul_f64 v[176:177], v[176:177], v[78:79]
	v_add_f64 v[48:49], v[48:49], -v[76:77]
	s_delay_alu instid0(VALU_DEP_2) | instskip(NEXT) | instid1(VALU_DEP_1)
	v_fma_f64 v[176:177], v[178:179], v[184:185], v[176:177]
	v_add_f64 v[50:51], v[50:51], -v[176:177]
	ds_load_2addr_b64 v[176:179], v186 offset0:64 offset1:65
	s_waitcnt lgkmcnt(0)
	v_mul_f64 v[76:77], v[178:179], v[78:79]
	s_delay_alu instid0(VALU_DEP_1) | instskip(SKIP_1) | instid1(VALU_DEP_2)
	v_fma_f64 v[76:77], v[176:177], v[184:185], -v[76:77]
	v_mul_f64 v[176:177], v[176:177], v[78:79]
	v_add_f64 v[44:45], v[44:45], -v[76:77]
	s_delay_alu instid0(VALU_DEP_2) | instskip(NEXT) | instid1(VALU_DEP_1)
	v_fma_f64 v[176:177], v[178:179], v[184:185], v[176:177]
	v_add_f64 v[46:47], v[46:47], -v[176:177]
	ds_load_2addr_b64 v[176:179], v186 offset0:66 offset1:67
	s_waitcnt lgkmcnt(0)
	v_mul_f64 v[76:77], v[178:179], v[78:79]
	s_delay_alu instid0(VALU_DEP_1) | instskip(SKIP_1) | instid1(VALU_DEP_2)
	v_fma_f64 v[76:77], v[176:177], v[184:185], -v[76:77]
	v_mul_f64 v[176:177], v[176:177], v[78:79]
	v_add_f64 v[40:41], v[40:41], -v[76:77]
	s_delay_alu instid0(VALU_DEP_2) | instskip(NEXT) | instid1(VALU_DEP_1)
	v_fma_f64 v[176:177], v[178:179], v[184:185], v[176:177]
	v_add_f64 v[42:43], v[42:43], -v[176:177]
	ds_load_2addr_b64 v[176:179], v186 offset0:68 offset1:69
	s_waitcnt lgkmcnt(0)
	v_mul_f64 v[76:77], v[178:179], v[78:79]
	s_delay_alu instid0(VALU_DEP_1) | instskip(SKIP_1) | instid1(VALU_DEP_2)
	v_fma_f64 v[76:77], v[176:177], v[184:185], -v[76:77]
	v_mul_f64 v[176:177], v[176:177], v[78:79]
	v_add_f64 v[36:37], v[36:37], -v[76:77]
	s_delay_alu instid0(VALU_DEP_2) | instskip(NEXT) | instid1(VALU_DEP_1)
	v_fma_f64 v[176:177], v[178:179], v[184:185], v[176:177]
	v_add_f64 v[38:39], v[38:39], -v[176:177]
	ds_load_2addr_b64 v[176:179], v186 offset0:70 offset1:71
	s_waitcnt lgkmcnt(0)
	v_mul_f64 v[76:77], v[178:179], v[78:79]
	s_delay_alu instid0(VALU_DEP_1) | instskip(SKIP_1) | instid1(VALU_DEP_2)
	v_fma_f64 v[76:77], v[176:177], v[184:185], -v[76:77]
	v_mul_f64 v[176:177], v[176:177], v[78:79]
	v_add_f64 v[32:33], v[32:33], -v[76:77]
	s_delay_alu instid0(VALU_DEP_2) | instskip(NEXT) | instid1(VALU_DEP_1)
	v_fma_f64 v[176:177], v[178:179], v[184:185], v[176:177]
	v_add_f64 v[34:35], v[34:35], -v[176:177]
	ds_load_2addr_b64 v[176:179], v186 offset0:72 offset1:73
	s_waitcnt lgkmcnt(0)
	v_mul_f64 v[76:77], v[178:179], v[78:79]
	s_delay_alu instid0(VALU_DEP_1) | instskip(SKIP_1) | instid1(VALU_DEP_2)
	v_fma_f64 v[76:77], v[176:177], v[184:185], -v[76:77]
	v_mul_f64 v[176:177], v[176:177], v[78:79]
	v_add_f64 v[28:29], v[28:29], -v[76:77]
	s_delay_alu instid0(VALU_DEP_2) | instskip(NEXT) | instid1(VALU_DEP_1)
	v_fma_f64 v[176:177], v[178:179], v[184:185], v[176:177]
	v_add_f64 v[30:31], v[30:31], -v[176:177]
	ds_load_2addr_b64 v[176:179], v186 offset0:74 offset1:75
	s_waitcnt lgkmcnt(0)
	v_mul_f64 v[76:77], v[178:179], v[78:79]
	s_delay_alu instid0(VALU_DEP_1) | instskip(SKIP_1) | instid1(VALU_DEP_2)
	v_fma_f64 v[76:77], v[176:177], v[184:185], -v[76:77]
	v_mul_f64 v[176:177], v[176:177], v[78:79]
	v_add_f64 v[24:25], v[24:25], -v[76:77]
	s_delay_alu instid0(VALU_DEP_2) | instskip(NEXT) | instid1(VALU_DEP_1)
	v_fma_f64 v[176:177], v[178:179], v[184:185], v[176:177]
	v_add_f64 v[26:27], v[26:27], -v[176:177]
	ds_load_2addr_b64 v[176:179], v186 offset0:76 offset1:77
	s_waitcnt lgkmcnt(0)
	v_mul_f64 v[76:77], v[178:179], v[78:79]
	s_delay_alu instid0(VALU_DEP_1) | instskip(SKIP_1) | instid1(VALU_DEP_2)
	v_fma_f64 v[76:77], v[176:177], v[184:185], -v[76:77]
	v_mul_f64 v[176:177], v[176:177], v[78:79]
	v_add_f64 v[20:21], v[20:21], -v[76:77]
	s_delay_alu instid0(VALU_DEP_2) | instskip(NEXT) | instid1(VALU_DEP_1)
	v_fma_f64 v[176:177], v[178:179], v[184:185], v[176:177]
	v_add_f64 v[22:23], v[22:23], -v[176:177]
	ds_load_2addr_b64 v[176:179], v186 offset0:78 offset1:79
	s_waitcnt lgkmcnt(0)
	v_mul_f64 v[76:77], v[178:179], v[78:79]
	s_delay_alu instid0(VALU_DEP_1) | instskip(SKIP_1) | instid1(VALU_DEP_2)
	v_fma_f64 v[76:77], v[176:177], v[184:185], -v[76:77]
	v_mul_f64 v[176:177], v[176:177], v[78:79]
	v_add_f64 v[16:17], v[16:17], -v[76:77]
	s_delay_alu instid0(VALU_DEP_2) | instskip(NEXT) | instid1(VALU_DEP_1)
	v_fma_f64 v[176:177], v[178:179], v[184:185], v[176:177]
	v_add_f64 v[18:19], v[18:19], -v[176:177]
	ds_load_2addr_b64 v[176:179], v186 offset0:80 offset1:81
	s_waitcnt lgkmcnt(0)
	v_mul_f64 v[76:77], v[178:179], v[78:79]
	s_delay_alu instid0(VALU_DEP_1) | instskip(SKIP_1) | instid1(VALU_DEP_2)
	v_fma_f64 v[76:77], v[176:177], v[184:185], -v[76:77]
	v_mul_f64 v[176:177], v[176:177], v[78:79]
	v_add_f64 v[12:13], v[12:13], -v[76:77]
	s_delay_alu instid0(VALU_DEP_2) | instskip(NEXT) | instid1(VALU_DEP_1)
	v_fma_f64 v[176:177], v[178:179], v[184:185], v[176:177]
	v_add_f64 v[14:15], v[14:15], -v[176:177]
	ds_load_2addr_b64 v[176:179], v186 offset0:82 offset1:83
	s_waitcnt lgkmcnt(0)
	v_mul_f64 v[76:77], v[178:179], v[78:79]
	s_delay_alu instid0(VALU_DEP_1) | instskip(SKIP_1) | instid1(VALU_DEP_2)
	v_fma_f64 v[76:77], v[176:177], v[184:185], -v[76:77]
	v_mul_f64 v[176:177], v[176:177], v[78:79]
	v_add_f64 v[8:9], v[8:9], -v[76:77]
	s_delay_alu instid0(VALU_DEP_2) | instskip(NEXT) | instid1(VALU_DEP_1)
	v_fma_f64 v[176:177], v[178:179], v[184:185], v[176:177]
	v_add_f64 v[10:11], v[10:11], -v[176:177]
	ds_load_2addr_b64 v[176:179], v186 offset0:84 offset1:85
	s_waitcnt lgkmcnt(0)
	v_mul_f64 v[76:77], v[178:179], v[78:79]
	s_delay_alu instid0(VALU_DEP_1) | instskip(SKIP_1) | instid1(VALU_DEP_2)
	v_fma_f64 v[76:77], v[176:177], v[184:185], -v[76:77]
	v_mul_f64 v[176:177], v[176:177], v[78:79]
	v_add_f64 v[4:5], v[4:5], -v[76:77]
	s_delay_alu instid0(VALU_DEP_2) | instskip(NEXT) | instid1(VALU_DEP_1)
	v_fma_f64 v[176:177], v[178:179], v[184:185], v[176:177]
	v_add_f64 v[6:7], v[6:7], -v[176:177]
	ds_load_2addr_b64 v[176:179], v186 offset0:86 offset1:87
	s_waitcnt lgkmcnt(0)
	v_mul_f64 v[76:77], v[178:179], v[78:79]
	s_delay_alu instid0(VALU_DEP_1) | instskip(SKIP_1) | instid1(VALU_DEP_2)
	v_fma_f64 v[76:77], v[176:177], v[184:185], -v[76:77]
	v_mul_f64 v[176:177], v[176:177], v[78:79]
	v_add_f64 v[0:1], v[0:1], -v[76:77]
	s_delay_alu instid0(VALU_DEP_2) | instskip(SKIP_1) | instid1(VALU_DEP_2)
	v_fma_f64 v[176:177], v[178:179], v[184:185], v[176:177]
	v_dual_mov_b32 v76, v184 :: v_dual_mov_b32 v77, v185
	v_add_f64 v[2:3], v[2:3], -v[176:177]
.LBB86_524:
	s_or_b32 exec_lo, exec_lo, s2
	v_lshl_add_u32 v176, v192, 4, v186
	s_barrier
	buffer_gl0_inv
	v_mov_b32_e32 v184, 25
	ds_store_2addr_b64 v176, v[72:73], v[74:75] offset1:1
	s_waitcnt lgkmcnt(0)
	s_barrier
	buffer_gl0_inv
	ds_load_2addr_b64 v[176:179], v186 offset0:50 offset1:51
	s_cmp_lt_i32 s5, 27
	s_cbranch_scc1 .LBB86_527
; %bb.525:
	v_add3_u32 v185, v190, 0, 0x1a0
	v_mov_b32_e32 v184, 25
	s_mov_b32 s6, 26
	s_set_inst_prefetch_distance 0x1
	.p2align	6
.LBB86_526:                             ; =>This Inner Loop Header: Depth=1
	ds_load_2addr_b64 v[193:196], v185 offset1:1
	s_waitcnt lgkmcnt(1)
	v_cmp_gt_f64_e32 vcc_lo, 0, v[176:177]
	v_xor_b32_e32 v197, 0x80000000, v177
	v_cmp_gt_f64_e64 s2, 0, v[178:179]
	v_xor_b32_e32 v199, 0x80000000, v179
	v_add_nc_u32_e32 v185, 16, v185
	s_waitcnt lgkmcnt(0)
	v_cmp_gt_f64_e64 s3, 0, v[193:194]
	v_mov_b32_e32 v201, v193
	v_dual_mov_b32 v203, v195 :: v_dual_cndmask_b32 v198, v177, v197
	v_xor_b32_e32 v197, 0x80000000, v194
	v_cndmask_b32_e64 v200, v179, v199, s2
	v_xor_b32_e32 v199, 0x80000000, v196
	s_delay_alu instid0(VALU_DEP_3) | instskip(SKIP_2) | instid1(VALU_DEP_2)
	v_cndmask_b32_e64 v202, v194, v197, s3
	v_cmp_gt_f64_e64 s3, 0, v[195:196]
	v_cndmask_b32_e32 v197, v176, v176, vcc_lo
	v_cndmask_b32_e64 v204, v196, v199, s3
	v_cndmask_b32_e64 v199, v178, v178, s2
	s_delay_alu instid0(VALU_DEP_2) | instskip(NEXT) | instid1(VALU_DEP_2)
	v_add_f64 v[201:202], v[201:202], v[203:204]
	v_add_f64 v[197:198], v[197:198], v[199:200]
	s_delay_alu instid0(VALU_DEP_1) | instskip(SKIP_4) | instid1(SALU_CYCLE_1)
	v_cmp_lt_f64_e32 vcc_lo, v[197:198], v[201:202]
	v_dual_cndmask_b32 v178, v178, v195 :: v_dual_cndmask_b32 v177, v177, v194
	v_dual_cndmask_b32 v176, v176, v193 :: v_dual_cndmask_b32 v179, v179, v196
	v_cndmask_b32_e64 v184, v184, s6, vcc_lo
	s_add_i32 s6, s6, 1
	s_cmp_lg_u32 s5, s6
	s_cbranch_scc1 .LBB86_526
.LBB86_527:
	s_set_inst_prefetch_distance 0x2
	s_waitcnt lgkmcnt(0)
	v_cmp_eq_f64_e32 vcc_lo, 0, v[176:177]
	v_cmp_eq_f64_e64 s2, 0, v[178:179]
	s_delay_alu instid0(VALU_DEP_1) | instskip(NEXT) | instid1(SALU_CYCLE_1)
	s_and_b32 s2, vcc_lo, s2
	s_and_saveexec_b32 s3, s2
	s_delay_alu instid0(SALU_CYCLE_1)
	s_xor_b32 s2, exec_lo, s3
; %bb.528:
	v_cmp_ne_u32_e32 vcc_lo, 0, v189
	v_cndmask_b32_e32 v189, 26, v189, vcc_lo
; %bb.529:
	s_and_not1_saveexec_b32 s3, s2
	s_cbranch_execz .LBB86_535
; %bb.530:
	v_cmp_gt_f64_e32 vcc_lo, 0, v[176:177]
	v_cmp_gt_f64_e64 s2, 0, v[178:179]
	v_xor_b32_e32 v185, 0x80000000, v177
	v_xor_b32_e32 v193, 0x80000000, v179
	s_delay_alu instid0(VALU_DEP_2) | instskip(NEXT) | instid1(VALU_DEP_2)
	v_cndmask_b32_e32 v194, v177, v185, vcc_lo
	v_cndmask_b32_e64 v196, v179, v193, s2
	v_cndmask_b32_e32 v193, v176, v176, vcc_lo
	v_cndmask_b32_e64 v195, v178, v178, s2
	s_mov_b32 s2, exec_lo
	s_delay_alu instid0(VALU_DEP_1)
	v_cmpx_ngt_f64_e32 v[193:194], v[195:196]
	s_xor_b32 s2, exec_lo, s2
	s_cbranch_execz .LBB86_532
; %bb.531:
	v_div_scale_f64 v[193:194], null, v[178:179], v[178:179], v[176:177]
	v_div_scale_f64 v[199:200], vcc_lo, v[176:177], v[178:179], v[176:177]
	s_delay_alu instid0(VALU_DEP_2) | instskip(SKIP_2) | instid1(VALU_DEP_1)
	v_rcp_f64_e32 v[195:196], v[193:194]
	s_waitcnt_depctr 0xfff
	v_fma_f64 v[197:198], -v[193:194], v[195:196], 1.0
	v_fma_f64 v[195:196], v[195:196], v[197:198], v[195:196]
	s_delay_alu instid0(VALU_DEP_1) | instskip(NEXT) | instid1(VALU_DEP_1)
	v_fma_f64 v[197:198], -v[193:194], v[195:196], 1.0
	v_fma_f64 v[195:196], v[195:196], v[197:198], v[195:196]
	s_delay_alu instid0(VALU_DEP_1) | instskip(NEXT) | instid1(VALU_DEP_1)
	v_mul_f64 v[197:198], v[199:200], v[195:196]
	v_fma_f64 v[193:194], -v[193:194], v[197:198], v[199:200]
	s_delay_alu instid0(VALU_DEP_1) | instskip(NEXT) | instid1(VALU_DEP_1)
	v_div_fmas_f64 v[193:194], v[193:194], v[195:196], v[197:198]
	v_div_fixup_f64 v[193:194], v[193:194], v[178:179], v[176:177]
	s_delay_alu instid0(VALU_DEP_1) | instskip(NEXT) | instid1(VALU_DEP_1)
	v_fma_f64 v[176:177], v[176:177], v[193:194], v[178:179]
	v_div_scale_f64 v[178:179], null, v[176:177], v[176:177], 1.0
	s_delay_alu instid0(VALU_DEP_1) | instskip(SKIP_2) | instid1(VALU_DEP_1)
	v_rcp_f64_e32 v[195:196], v[178:179]
	s_waitcnt_depctr 0xfff
	v_fma_f64 v[197:198], -v[178:179], v[195:196], 1.0
	v_fma_f64 v[195:196], v[195:196], v[197:198], v[195:196]
	s_delay_alu instid0(VALU_DEP_1) | instskip(NEXT) | instid1(VALU_DEP_1)
	v_fma_f64 v[197:198], -v[178:179], v[195:196], 1.0
	v_fma_f64 v[195:196], v[195:196], v[197:198], v[195:196]
	v_div_scale_f64 v[197:198], vcc_lo, 1.0, v[176:177], 1.0
	s_delay_alu instid0(VALU_DEP_1) | instskip(NEXT) | instid1(VALU_DEP_1)
	v_mul_f64 v[199:200], v[197:198], v[195:196]
	v_fma_f64 v[178:179], -v[178:179], v[199:200], v[197:198]
	s_delay_alu instid0(VALU_DEP_1) | instskip(NEXT) | instid1(VALU_DEP_1)
	v_div_fmas_f64 v[178:179], v[178:179], v[195:196], v[199:200]
	v_div_fixup_f64 v[178:179], v[178:179], v[176:177], 1.0
	s_delay_alu instid0(VALU_DEP_1)
	v_mul_f64 v[176:177], v[193:194], v[178:179]
	v_xor_b32_e32 v179, 0x80000000, v179
.LBB86_532:
	s_and_not1_saveexec_b32 s2, s2
	s_cbranch_execz .LBB86_534
; %bb.533:
	s_delay_alu instid0(VALU_DEP_1) | instskip(SKIP_1) | instid1(VALU_DEP_2)
	v_div_scale_f64 v[193:194], null, v[176:177], v[176:177], v[178:179]
	v_div_scale_f64 v[199:200], vcc_lo, v[178:179], v[176:177], v[178:179]
	v_rcp_f64_e32 v[195:196], v[193:194]
	s_waitcnt_depctr 0xfff
	v_fma_f64 v[197:198], -v[193:194], v[195:196], 1.0
	s_delay_alu instid0(VALU_DEP_1) | instskip(NEXT) | instid1(VALU_DEP_1)
	v_fma_f64 v[195:196], v[195:196], v[197:198], v[195:196]
	v_fma_f64 v[197:198], -v[193:194], v[195:196], 1.0
	s_delay_alu instid0(VALU_DEP_1) | instskip(NEXT) | instid1(VALU_DEP_1)
	v_fma_f64 v[195:196], v[195:196], v[197:198], v[195:196]
	v_mul_f64 v[197:198], v[199:200], v[195:196]
	s_delay_alu instid0(VALU_DEP_1) | instskip(NEXT) | instid1(VALU_DEP_1)
	v_fma_f64 v[193:194], -v[193:194], v[197:198], v[199:200]
	v_div_fmas_f64 v[193:194], v[193:194], v[195:196], v[197:198]
	s_delay_alu instid0(VALU_DEP_1) | instskip(NEXT) | instid1(VALU_DEP_1)
	v_div_fixup_f64 v[193:194], v[193:194], v[176:177], v[178:179]
	v_fma_f64 v[176:177], v[178:179], v[193:194], v[176:177]
	s_delay_alu instid0(VALU_DEP_1) | instskip(NEXT) | instid1(VALU_DEP_1)
	v_div_scale_f64 v[178:179], null, v[176:177], v[176:177], 1.0
	v_rcp_f64_e32 v[195:196], v[178:179]
	s_waitcnt_depctr 0xfff
	v_fma_f64 v[197:198], -v[178:179], v[195:196], 1.0
	s_delay_alu instid0(VALU_DEP_1) | instskip(NEXT) | instid1(VALU_DEP_1)
	v_fma_f64 v[195:196], v[195:196], v[197:198], v[195:196]
	v_fma_f64 v[197:198], -v[178:179], v[195:196], 1.0
	s_delay_alu instid0(VALU_DEP_1) | instskip(SKIP_1) | instid1(VALU_DEP_1)
	v_fma_f64 v[195:196], v[195:196], v[197:198], v[195:196]
	v_div_scale_f64 v[197:198], vcc_lo, 1.0, v[176:177], 1.0
	v_mul_f64 v[199:200], v[197:198], v[195:196]
	s_delay_alu instid0(VALU_DEP_1) | instskip(NEXT) | instid1(VALU_DEP_1)
	v_fma_f64 v[178:179], -v[178:179], v[199:200], v[197:198]
	v_div_fmas_f64 v[178:179], v[178:179], v[195:196], v[199:200]
	s_delay_alu instid0(VALU_DEP_1) | instskip(NEXT) | instid1(VALU_DEP_1)
	v_div_fixup_f64 v[176:177], v[178:179], v[176:177], 1.0
	v_mul_f64 v[178:179], v[193:194], -v[176:177]
.LBB86_534:
	s_or_b32 exec_lo, exec_lo, s2
.LBB86_535:
	s_delay_alu instid0(SALU_CYCLE_1) | instskip(NEXT) | instid1(SALU_CYCLE_1)
	s_or_b32 exec_lo, exec_lo, s3
	s_mov_b32 s2, exec_lo
	v_cmpx_ne_u32_e64 v192, v184
	s_xor_b32 s2, exec_lo, s2
	s_cbranch_execz .LBB86_541
; %bb.536:
	s_mov_b32 s3, exec_lo
	v_cmpx_eq_u32_e32 25, v192
	s_cbranch_execz .LBB86_540
; %bb.537:
	v_cmp_ne_u32_e32 vcc_lo, 25, v184
	s_xor_b32 s6, s4, -1
	s_delay_alu instid0(SALU_CYCLE_1) | instskip(NEXT) | instid1(SALU_CYCLE_1)
	s_and_b32 s7, s6, vcc_lo
	s_and_saveexec_b32 s6, s7
	s_cbranch_execz .LBB86_539
; %bb.538:
	v_ashrrev_i32_e32 v185, 31, v184
	s_delay_alu instid0(VALU_DEP_1) | instskip(NEXT) | instid1(VALU_DEP_1)
	v_lshlrev_b64 v[191:192], 2, v[184:185]
	v_add_co_u32 v191, vcc_lo, v182, v191
	s_delay_alu instid0(VALU_DEP_2)
	v_add_co_ci_u32_e32 v192, vcc_lo, v183, v192, vcc_lo
	s_clause 0x1
	flat_load_b32 v185, v[191:192]
	flat_load_b32 v193, v[182:183] offset:100
	s_waitcnt vmcnt(1) lgkmcnt(1)
	flat_store_b32 v[182:183], v185 offset:100
	s_waitcnt vmcnt(0) lgkmcnt(1)
	flat_store_b32 v[191:192], v193
.LBB86_539:
	s_or_b32 exec_lo, exec_lo, s6
	v_mov_b32_e32 v192, v184
	v_mov_b32_e32 v191, v184
.LBB86_540:
	s_or_b32 exec_lo, exec_lo, s3
.LBB86_541:
	s_and_not1_saveexec_b32 s2, s2
	s_cbranch_execz .LBB86_543
; %bb.542:
	v_mov_b32_e32 v192, 25
	ds_store_2addr_b64 v186, v[68:69], v[70:71] offset0:52 offset1:53
	ds_store_2addr_b64 v186, v[64:65], v[66:67] offset0:54 offset1:55
	;; [unrolled: 1-line block ×18, first 2 shown]
.LBB86_543:
	s_or_b32 exec_lo, exec_lo, s2
	s_delay_alu instid0(SALU_CYCLE_1)
	s_mov_b32 s2, exec_lo
	s_waitcnt lgkmcnt(0)
	s_waitcnt_vscnt null, 0x0
	s_barrier
	buffer_gl0_inv
	v_cmpx_lt_i32_e32 25, v192
	s_cbranch_execz .LBB86_545
; %bb.544:
	v_mul_f64 v[184:185], v[178:179], v[74:75]
	v_mul_f64 v[74:75], v[176:177], v[74:75]
	s_delay_alu instid0(VALU_DEP_2) | instskip(NEXT) | instid1(VALU_DEP_2)
	v_fma_f64 v[184:185], v[176:177], v[72:73], -v[184:185]
	v_fma_f64 v[74:75], v[178:179], v[72:73], v[74:75]
	ds_load_2addr_b64 v[176:179], v186 offset0:52 offset1:53
	s_waitcnt lgkmcnt(0)
	v_mul_f64 v[72:73], v[178:179], v[74:75]
	s_delay_alu instid0(VALU_DEP_1) | instskip(SKIP_1) | instid1(VALU_DEP_2)
	v_fma_f64 v[72:73], v[176:177], v[184:185], -v[72:73]
	v_mul_f64 v[176:177], v[176:177], v[74:75]
	v_add_f64 v[68:69], v[68:69], -v[72:73]
	s_delay_alu instid0(VALU_DEP_2) | instskip(NEXT) | instid1(VALU_DEP_1)
	v_fma_f64 v[176:177], v[178:179], v[184:185], v[176:177]
	v_add_f64 v[70:71], v[70:71], -v[176:177]
	ds_load_2addr_b64 v[176:179], v186 offset0:54 offset1:55
	s_waitcnt lgkmcnt(0)
	v_mul_f64 v[72:73], v[178:179], v[74:75]
	s_delay_alu instid0(VALU_DEP_1) | instskip(SKIP_1) | instid1(VALU_DEP_2)
	v_fma_f64 v[72:73], v[176:177], v[184:185], -v[72:73]
	v_mul_f64 v[176:177], v[176:177], v[74:75]
	v_add_f64 v[64:65], v[64:65], -v[72:73]
	s_delay_alu instid0(VALU_DEP_2) | instskip(NEXT) | instid1(VALU_DEP_1)
	v_fma_f64 v[176:177], v[178:179], v[184:185], v[176:177]
	v_add_f64 v[66:67], v[66:67], -v[176:177]
	;; [unrolled: 10-line block ×17, first 2 shown]
	ds_load_2addr_b64 v[176:179], v186 offset0:86 offset1:87
	s_waitcnt lgkmcnt(0)
	v_mul_f64 v[72:73], v[178:179], v[74:75]
	s_delay_alu instid0(VALU_DEP_1) | instskip(SKIP_1) | instid1(VALU_DEP_2)
	v_fma_f64 v[72:73], v[176:177], v[184:185], -v[72:73]
	v_mul_f64 v[176:177], v[176:177], v[74:75]
	v_add_f64 v[0:1], v[0:1], -v[72:73]
	s_delay_alu instid0(VALU_DEP_2) | instskip(SKIP_1) | instid1(VALU_DEP_2)
	v_fma_f64 v[176:177], v[178:179], v[184:185], v[176:177]
	v_dual_mov_b32 v72, v184 :: v_dual_mov_b32 v73, v185
	v_add_f64 v[2:3], v[2:3], -v[176:177]
.LBB86_545:
	s_or_b32 exec_lo, exec_lo, s2
	v_lshl_add_u32 v176, v192, 4, v186
	s_barrier
	buffer_gl0_inv
	v_mov_b32_e32 v184, 26
	ds_store_2addr_b64 v176, v[68:69], v[70:71] offset1:1
	s_waitcnt lgkmcnt(0)
	s_barrier
	buffer_gl0_inv
	ds_load_2addr_b64 v[176:179], v186 offset0:52 offset1:53
	s_cmp_lt_i32 s5, 28
	s_cbranch_scc1 .LBB86_548
; %bb.546:
	v_add3_u32 v185, v190, 0, 0x1b0
	v_mov_b32_e32 v184, 26
	s_mov_b32 s6, 27
	s_set_inst_prefetch_distance 0x1
	.p2align	6
.LBB86_547:                             ; =>This Inner Loop Header: Depth=1
	ds_load_2addr_b64 v[193:196], v185 offset1:1
	s_waitcnt lgkmcnt(1)
	v_cmp_gt_f64_e32 vcc_lo, 0, v[176:177]
	v_xor_b32_e32 v197, 0x80000000, v177
	v_cmp_gt_f64_e64 s2, 0, v[178:179]
	v_xor_b32_e32 v199, 0x80000000, v179
	v_add_nc_u32_e32 v185, 16, v185
	s_waitcnt lgkmcnt(0)
	v_cmp_gt_f64_e64 s3, 0, v[193:194]
	v_mov_b32_e32 v201, v193
	v_dual_mov_b32 v203, v195 :: v_dual_cndmask_b32 v198, v177, v197
	v_xor_b32_e32 v197, 0x80000000, v194
	v_cndmask_b32_e64 v200, v179, v199, s2
	v_xor_b32_e32 v199, 0x80000000, v196
	s_delay_alu instid0(VALU_DEP_3) | instskip(SKIP_2) | instid1(VALU_DEP_2)
	v_cndmask_b32_e64 v202, v194, v197, s3
	v_cmp_gt_f64_e64 s3, 0, v[195:196]
	v_cndmask_b32_e32 v197, v176, v176, vcc_lo
	v_cndmask_b32_e64 v204, v196, v199, s3
	v_cndmask_b32_e64 v199, v178, v178, s2
	s_delay_alu instid0(VALU_DEP_2) | instskip(NEXT) | instid1(VALU_DEP_2)
	v_add_f64 v[201:202], v[201:202], v[203:204]
	v_add_f64 v[197:198], v[197:198], v[199:200]
	s_delay_alu instid0(VALU_DEP_1) | instskip(SKIP_4) | instid1(SALU_CYCLE_1)
	v_cmp_lt_f64_e32 vcc_lo, v[197:198], v[201:202]
	v_dual_cndmask_b32 v178, v178, v195 :: v_dual_cndmask_b32 v177, v177, v194
	v_dual_cndmask_b32 v176, v176, v193 :: v_dual_cndmask_b32 v179, v179, v196
	v_cndmask_b32_e64 v184, v184, s6, vcc_lo
	s_add_i32 s6, s6, 1
	s_cmp_lg_u32 s5, s6
	s_cbranch_scc1 .LBB86_547
.LBB86_548:
	s_set_inst_prefetch_distance 0x2
	s_waitcnt lgkmcnt(0)
	v_cmp_eq_f64_e32 vcc_lo, 0, v[176:177]
	v_cmp_eq_f64_e64 s2, 0, v[178:179]
	s_delay_alu instid0(VALU_DEP_1) | instskip(NEXT) | instid1(SALU_CYCLE_1)
	s_and_b32 s2, vcc_lo, s2
	s_and_saveexec_b32 s3, s2
	s_delay_alu instid0(SALU_CYCLE_1)
	s_xor_b32 s2, exec_lo, s3
; %bb.549:
	v_cmp_ne_u32_e32 vcc_lo, 0, v189
	v_cndmask_b32_e32 v189, 27, v189, vcc_lo
; %bb.550:
	s_and_not1_saveexec_b32 s3, s2
	s_cbranch_execz .LBB86_556
; %bb.551:
	v_cmp_gt_f64_e32 vcc_lo, 0, v[176:177]
	v_cmp_gt_f64_e64 s2, 0, v[178:179]
	v_xor_b32_e32 v185, 0x80000000, v177
	v_xor_b32_e32 v193, 0x80000000, v179
	s_delay_alu instid0(VALU_DEP_2) | instskip(NEXT) | instid1(VALU_DEP_2)
	v_cndmask_b32_e32 v194, v177, v185, vcc_lo
	v_cndmask_b32_e64 v196, v179, v193, s2
	v_cndmask_b32_e32 v193, v176, v176, vcc_lo
	v_cndmask_b32_e64 v195, v178, v178, s2
	s_mov_b32 s2, exec_lo
	s_delay_alu instid0(VALU_DEP_1)
	v_cmpx_ngt_f64_e32 v[193:194], v[195:196]
	s_xor_b32 s2, exec_lo, s2
	s_cbranch_execz .LBB86_553
; %bb.552:
	v_div_scale_f64 v[193:194], null, v[178:179], v[178:179], v[176:177]
	v_div_scale_f64 v[199:200], vcc_lo, v[176:177], v[178:179], v[176:177]
	s_delay_alu instid0(VALU_DEP_2) | instskip(SKIP_2) | instid1(VALU_DEP_1)
	v_rcp_f64_e32 v[195:196], v[193:194]
	s_waitcnt_depctr 0xfff
	v_fma_f64 v[197:198], -v[193:194], v[195:196], 1.0
	v_fma_f64 v[195:196], v[195:196], v[197:198], v[195:196]
	s_delay_alu instid0(VALU_DEP_1) | instskip(NEXT) | instid1(VALU_DEP_1)
	v_fma_f64 v[197:198], -v[193:194], v[195:196], 1.0
	v_fma_f64 v[195:196], v[195:196], v[197:198], v[195:196]
	s_delay_alu instid0(VALU_DEP_1) | instskip(NEXT) | instid1(VALU_DEP_1)
	v_mul_f64 v[197:198], v[199:200], v[195:196]
	v_fma_f64 v[193:194], -v[193:194], v[197:198], v[199:200]
	s_delay_alu instid0(VALU_DEP_1) | instskip(NEXT) | instid1(VALU_DEP_1)
	v_div_fmas_f64 v[193:194], v[193:194], v[195:196], v[197:198]
	v_div_fixup_f64 v[193:194], v[193:194], v[178:179], v[176:177]
	s_delay_alu instid0(VALU_DEP_1) | instskip(NEXT) | instid1(VALU_DEP_1)
	v_fma_f64 v[176:177], v[176:177], v[193:194], v[178:179]
	v_div_scale_f64 v[178:179], null, v[176:177], v[176:177], 1.0
	s_delay_alu instid0(VALU_DEP_1) | instskip(SKIP_2) | instid1(VALU_DEP_1)
	v_rcp_f64_e32 v[195:196], v[178:179]
	s_waitcnt_depctr 0xfff
	v_fma_f64 v[197:198], -v[178:179], v[195:196], 1.0
	v_fma_f64 v[195:196], v[195:196], v[197:198], v[195:196]
	s_delay_alu instid0(VALU_DEP_1) | instskip(NEXT) | instid1(VALU_DEP_1)
	v_fma_f64 v[197:198], -v[178:179], v[195:196], 1.0
	v_fma_f64 v[195:196], v[195:196], v[197:198], v[195:196]
	v_div_scale_f64 v[197:198], vcc_lo, 1.0, v[176:177], 1.0
	s_delay_alu instid0(VALU_DEP_1) | instskip(NEXT) | instid1(VALU_DEP_1)
	v_mul_f64 v[199:200], v[197:198], v[195:196]
	v_fma_f64 v[178:179], -v[178:179], v[199:200], v[197:198]
	s_delay_alu instid0(VALU_DEP_1) | instskip(NEXT) | instid1(VALU_DEP_1)
	v_div_fmas_f64 v[178:179], v[178:179], v[195:196], v[199:200]
	v_div_fixup_f64 v[178:179], v[178:179], v[176:177], 1.0
	s_delay_alu instid0(VALU_DEP_1)
	v_mul_f64 v[176:177], v[193:194], v[178:179]
	v_xor_b32_e32 v179, 0x80000000, v179
.LBB86_553:
	s_and_not1_saveexec_b32 s2, s2
	s_cbranch_execz .LBB86_555
; %bb.554:
	s_delay_alu instid0(VALU_DEP_1) | instskip(SKIP_1) | instid1(VALU_DEP_2)
	v_div_scale_f64 v[193:194], null, v[176:177], v[176:177], v[178:179]
	v_div_scale_f64 v[199:200], vcc_lo, v[178:179], v[176:177], v[178:179]
	v_rcp_f64_e32 v[195:196], v[193:194]
	s_waitcnt_depctr 0xfff
	v_fma_f64 v[197:198], -v[193:194], v[195:196], 1.0
	s_delay_alu instid0(VALU_DEP_1) | instskip(NEXT) | instid1(VALU_DEP_1)
	v_fma_f64 v[195:196], v[195:196], v[197:198], v[195:196]
	v_fma_f64 v[197:198], -v[193:194], v[195:196], 1.0
	s_delay_alu instid0(VALU_DEP_1) | instskip(NEXT) | instid1(VALU_DEP_1)
	v_fma_f64 v[195:196], v[195:196], v[197:198], v[195:196]
	v_mul_f64 v[197:198], v[199:200], v[195:196]
	s_delay_alu instid0(VALU_DEP_1) | instskip(NEXT) | instid1(VALU_DEP_1)
	v_fma_f64 v[193:194], -v[193:194], v[197:198], v[199:200]
	v_div_fmas_f64 v[193:194], v[193:194], v[195:196], v[197:198]
	s_delay_alu instid0(VALU_DEP_1) | instskip(NEXT) | instid1(VALU_DEP_1)
	v_div_fixup_f64 v[193:194], v[193:194], v[176:177], v[178:179]
	v_fma_f64 v[176:177], v[178:179], v[193:194], v[176:177]
	s_delay_alu instid0(VALU_DEP_1) | instskip(NEXT) | instid1(VALU_DEP_1)
	v_div_scale_f64 v[178:179], null, v[176:177], v[176:177], 1.0
	v_rcp_f64_e32 v[195:196], v[178:179]
	s_waitcnt_depctr 0xfff
	v_fma_f64 v[197:198], -v[178:179], v[195:196], 1.0
	s_delay_alu instid0(VALU_DEP_1) | instskip(NEXT) | instid1(VALU_DEP_1)
	v_fma_f64 v[195:196], v[195:196], v[197:198], v[195:196]
	v_fma_f64 v[197:198], -v[178:179], v[195:196], 1.0
	s_delay_alu instid0(VALU_DEP_1) | instskip(SKIP_1) | instid1(VALU_DEP_1)
	v_fma_f64 v[195:196], v[195:196], v[197:198], v[195:196]
	v_div_scale_f64 v[197:198], vcc_lo, 1.0, v[176:177], 1.0
	v_mul_f64 v[199:200], v[197:198], v[195:196]
	s_delay_alu instid0(VALU_DEP_1) | instskip(NEXT) | instid1(VALU_DEP_1)
	v_fma_f64 v[178:179], -v[178:179], v[199:200], v[197:198]
	v_div_fmas_f64 v[178:179], v[178:179], v[195:196], v[199:200]
	s_delay_alu instid0(VALU_DEP_1) | instskip(NEXT) | instid1(VALU_DEP_1)
	v_div_fixup_f64 v[176:177], v[178:179], v[176:177], 1.0
	v_mul_f64 v[178:179], v[193:194], -v[176:177]
.LBB86_555:
	s_or_b32 exec_lo, exec_lo, s2
.LBB86_556:
	s_delay_alu instid0(SALU_CYCLE_1) | instskip(NEXT) | instid1(SALU_CYCLE_1)
	s_or_b32 exec_lo, exec_lo, s3
	s_mov_b32 s2, exec_lo
	v_cmpx_ne_u32_e64 v192, v184
	s_xor_b32 s2, exec_lo, s2
	s_cbranch_execz .LBB86_562
; %bb.557:
	s_mov_b32 s3, exec_lo
	v_cmpx_eq_u32_e32 26, v192
	s_cbranch_execz .LBB86_561
; %bb.558:
	v_cmp_ne_u32_e32 vcc_lo, 26, v184
	s_xor_b32 s6, s4, -1
	s_delay_alu instid0(SALU_CYCLE_1) | instskip(NEXT) | instid1(SALU_CYCLE_1)
	s_and_b32 s7, s6, vcc_lo
	s_and_saveexec_b32 s6, s7
	s_cbranch_execz .LBB86_560
; %bb.559:
	v_ashrrev_i32_e32 v185, 31, v184
	s_delay_alu instid0(VALU_DEP_1) | instskip(NEXT) | instid1(VALU_DEP_1)
	v_lshlrev_b64 v[191:192], 2, v[184:185]
	v_add_co_u32 v191, vcc_lo, v182, v191
	s_delay_alu instid0(VALU_DEP_2)
	v_add_co_ci_u32_e32 v192, vcc_lo, v183, v192, vcc_lo
	s_clause 0x1
	flat_load_b32 v185, v[191:192]
	flat_load_b32 v193, v[182:183] offset:104
	s_waitcnt vmcnt(1) lgkmcnt(1)
	flat_store_b32 v[182:183], v185 offset:104
	s_waitcnt vmcnt(0) lgkmcnt(1)
	flat_store_b32 v[191:192], v193
.LBB86_560:
	s_or_b32 exec_lo, exec_lo, s6
	v_mov_b32_e32 v192, v184
	v_mov_b32_e32 v191, v184
.LBB86_561:
	s_or_b32 exec_lo, exec_lo, s3
.LBB86_562:
	s_and_not1_saveexec_b32 s2, s2
	s_cbranch_execz .LBB86_564
; %bb.563:
	v_mov_b32_e32 v192, 26
	ds_store_2addr_b64 v186, v[64:65], v[66:67] offset0:54 offset1:55
	ds_store_2addr_b64 v186, v[60:61], v[62:63] offset0:56 offset1:57
	ds_store_2addr_b64 v186, v[56:57], v[58:59] offset0:58 offset1:59
	ds_store_2addr_b64 v186, v[52:53], v[54:55] offset0:60 offset1:61
	ds_store_2addr_b64 v186, v[48:49], v[50:51] offset0:62 offset1:63
	ds_store_2addr_b64 v186, v[44:45], v[46:47] offset0:64 offset1:65
	ds_store_2addr_b64 v186, v[40:41], v[42:43] offset0:66 offset1:67
	ds_store_2addr_b64 v186, v[36:37], v[38:39] offset0:68 offset1:69
	ds_store_2addr_b64 v186, v[32:33], v[34:35] offset0:70 offset1:71
	ds_store_2addr_b64 v186, v[28:29], v[30:31] offset0:72 offset1:73
	ds_store_2addr_b64 v186, v[24:25], v[26:27] offset0:74 offset1:75
	ds_store_2addr_b64 v186, v[20:21], v[22:23] offset0:76 offset1:77
	ds_store_2addr_b64 v186, v[16:17], v[18:19] offset0:78 offset1:79
	ds_store_2addr_b64 v186, v[12:13], v[14:15] offset0:80 offset1:81
	ds_store_2addr_b64 v186, v[8:9], v[10:11] offset0:82 offset1:83
	ds_store_2addr_b64 v186, v[4:5], v[6:7] offset0:84 offset1:85
	ds_store_2addr_b64 v186, v[0:1], v[2:3] offset0:86 offset1:87
.LBB86_564:
	s_or_b32 exec_lo, exec_lo, s2
	s_delay_alu instid0(SALU_CYCLE_1)
	s_mov_b32 s2, exec_lo
	s_waitcnt lgkmcnt(0)
	s_waitcnt_vscnt null, 0x0
	s_barrier
	buffer_gl0_inv
	v_cmpx_lt_i32_e32 26, v192
	s_cbranch_execz .LBB86_566
; %bb.565:
	v_mul_f64 v[184:185], v[178:179], v[70:71]
	v_mul_f64 v[70:71], v[176:177], v[70:71]
	s_delay_alu instid0(VALU_DEP_2) | instskip(NEXT) | instid1(VALU_DEP_2)
	v_fma_f64 v[184:185], v[176:177], v[68:69], -v[184:185]
	v_fma_f64 v[70:71], v[178:179], v[68:69], v[70:71]
	ds_load_2addr_b64 v[176:179], v186 offset0:54 offset1:55
	s_waitcnt lgkmcnt(0)
	v_mul_f64 v[68:69], v[178:179], v[70:71]
	s_delay_alu instid0(VALU_DEP_1) | instskip(SKIP_1) | instid1(VALU_DEP_2)
	v_fma_f64 v[68:69], v[176:177], v[184:185], -v[68:69]
	v_mul_f64 v[176:177], v[176:177], v[70:71]
	v_add_f64 v[64:65], v[64:65], -v[68:69]
	s_delay_alu instid0(VALU_DEP_2) | instskip(NEXT) | instid1(VALU_DEP_1)
	v_fma_f64 v[176:177], v[178:179], v[184:185], v[176:177]
	v_add_f64 v[66:67], v[66:67], -v[176:177]
	ds_load_2addr_b64 v[176:179], v186 offset0:56 offset1:57
	s_waitcnt lgkmcnt(0)
	v_mul_f64 v[68:69], v[178:179], v[70:71]
	s_delay_alu instid0(VALU_DEP_1) | instskip(SKIP_1) | instid1(VALU_DEP_2)
	v_fma_f64 v[68:69], v[176:177], v[184:185], -v[68:69]
	v_mul_f64 v[176:177], v[176:177], v[70:71]
	v_add_f64 v[60:61], v[60:61], -v[68:69]
	s_delay_alu instid0(VALU_DEP_2) | instskip(NEXT) | instid1(VALU_DEP_1)
	v_fma_f64 v[176:177], v[178:179], v[184:185], v[176:177]
	v_add_f64 v[62:63], v[62:63], -v[176:177]
	;; [unrolled: 10-line block ×16, first 2 shown]
	ds_load_2addr_b64 v[176:179], v186 offset0:86 offset1:87
	s_waitcnt lgkmcnt(0)
	v_mul_f64 v[68:69], v[178:179], v[70:71]
	s_delay_alu instid0(VALU_DEP_1) | instskip(SKIP_1) | instid1(VALU_DEP_2)
	v_fma_f64 v[68:69], v[176:177], v[184:185], -v[68:69]
	v_mul_f64 v[176:177], v[176:177], v[70:71]
	v_add_f64 v[0:1], v[0:1], -v[68:69]
	s_delay_alu instid0(VALU_DEP_2) | instskip(SKIP_1) | instid1(VALU_DEP_2)
	v_fma_f64 v[176:177], v[178:179], v[184:185], v[176:177]
	v_dual_mov_b32 v68, v184 :: v_dual_mov_b32 v69, v185
	v_add_f64 v[2:3], v[2:3], -v[176:177]
.LBB86_566:
	s_or_b32 exec_lo, exec_lo, s2
	v_lshl_add_u32 v176, v192, 4, v186
	s_barrier
	buffer_gl0_inv
	v_mov_b32_e32 v184, 27
	ds_store_2addr_b64 v176, v[64:65], v[66:67] offset1:1
	s_waitcnt lgkmcnt(0)
	s_barrier
	buffer_gl0_inv
	ds_load_2addr_b64 v[176:179], v186 offset0:54 offset1:55
	s_cmp_lt_i32 s5, 29
	s_cbranch_scc1 .LBB86_569
; %bb.567:
	v_add3_u32 v185, v190, 0, 0x1c0
	v_mov_b32_e32 v184, 27
	s_mov_b32 s6, 28
	s_set_inst_prefetch_distance 0x1
	.p2align	6
.LBB86_568:                             ; =>This Inner Loop Header: Depth=1
	ds_load_2addr_b64 v[193:196], v185 offset1:1
	s_waitcnt lgkmcnt(1)
	v_cmp_gt_f64_e32 vcc_lo, 0, v[176:177]
	v_xor_b32_e32 v197, 0x80000000, v177
	v_cmp_gt_f64_e64 s2, 0, v[178:179]
	v_xor_b32_e32 v199, 0x80000000, v179
	v_add_nc_u32_e32 v185, 16, v185
	s_waitcnt lgkmcnt(0)
	v_cmp_gt_f64_e64 s3, 0, v[193:194]
	v_mov_b32_e32 v201, v193
	v_dual_mov_b32 v203, v195 :: v_dual_cndmask_b32 v198, v177, v197
	v_xor_b32_e32 v197, 0x80000000, v194
	v_cndmask_b32_e64 v200, v179, v199, s2
	v_xor_b32_e32 v199, 0x80000000, v196
	s_delay_alu instid0(VALU_DEP_3) | instskip(SKIP_2) | instid1(VALU_DEP_2)
	v_cndmask_b32_e64 v202, v194, v197, s3
	v_cmp_gt_f64_e64 s3, 0, v[195:196]
	v_cndmask_b32_e32 v197, v176, v176, vcc_lo
	v_cndmask_b32_e64 v204, v196, v199, s3
	v_cndmask_b32_e64 v199, v178, v178, s2
	s_delay_alu instid0(VALU_DEP_2) | instskip(NEXT) | instid1(VALU_DEP_2)
	v_add_f64 v[201:202], v[201:202], v[203:204]
	v_add_f64 v[197:198], v[197:198], v[199:200]
	s_delay_alu instid0(VALU_DEP_1) | instskip(SKIP_4) | instid1(SALU_CYCLE_1)
	v_cmp_lt_f64_e32 vcc_lo, v[197:198], v[201:202]
	v_dual_cndmask_b32 v178, v178, v195 :: v_dual_cndmask_b32 v177, v177, v194
	v_dual_cndmask_b32 v176, v176, v193 :: v_dual_cndmask_b32 v179, v179, v196
	v_cndmask_b32_e64 v184, v184, s6, vcc_lo
	s_add_i32 s6, s6, 1
	s_cmp_lg_u32 s5, s6
	s_cbranch_scc1 .LBB86_568
.LBB86_569:
	s_set_inst_prefetch_distance 0x2
	s_waitcnt lgkmcnt(0)
	v_cmp_eq_f64_e32 vcc_lo, 0, v[176:177]
	v_cmp_eq_f64_e64 s2, 0, v[178:179]
	s_delay_alu instid0(VALU_DEP_1) | instskip(NEXT) | instid1(SALU_CYCLE_1)
	s_and_b32 s2, vcc_lo, s2
	s_and_saveexec_b32 s3, s2
	s_delay_alu instid0(SALU_CYCLE_1)
	s_xor_b32 s2, exec_lo, s3
; %bb.570:
	v_cmp_ne_u32_e32 vcc_lo, 0, v189
	v_cndmask_b32_e32 v189, 28, v189, vcc_lo
; %bb.571:
	s_and_not1_saveexec_b32 s3, s2
	s_cbranch_execz .LBB86_577
; %bb.572:
	v_cmp_gt_f64_e32 vcc_lo, 0, v[176:177]
	v_cmp_gt_f64_e64 s2, 0, v[178:179]
	v_xor_b32_e32 v185, 0x80000000, v177
	v_xor_b32_e32 v193, 0x80000000, v179
	s_delay_alu instid0(VALU_DEP_2) | instskip(NEXT) | instid1(VALU_DEP_2)
	v_cndmask_b32_e32 v194, v177, v185, vcc_lo
	v_cndmask_b32_e64 v196, v179, v193, s2
	v_cndmask_b32_e32 v193, v176, v176, vcc_lo
	v_cndmask_b32_e64 v195, v178, v178, s2
	s_mov_b32 s2, exec_lo
	s_delay_alu instid0(VALU_DEP_1)
	v_cmpx_ngt_f64_e32 v[193:194], v[195:196]
	s_xor_b32 s2, exec_lo, s2
	s_cbranch_execz .LBB86_574
; %bb.573:
	v_div_scale_f64 v[193:194], null, v[178:179], v[178:179], v[176:177]
	v_div_scale_f64 v[199:200], vcc_lo, v[176:177], v[178:179], v[176:177]
	s_delay_alu instid0(VALU_DEP_2) | instskip(SKIP_2) | instid1(VALU_DEP_1)
	v_rcp_f64_e32 v[195:196], v[193:194]
	s_waitcnt_depctr 0xfff
	v_fma_f64 v[197:198], -v[193:194], v[195:196], 1.0
	v_fma_f64 v[195:196], v[195:196], v[197:198], v[195:196]
	s_delay_alu instid0(VALU_DEP_1) | instskip(NEXT) | instid1(VALU_DEP_1)
	v_fma_f64 v[197:198], -v[193:194], v[195:196], 1.0
	v_fma_f64 v[195:196], v[195:196], v[197:198], v[195:196]
	s_delay_alu instid0(VALU_DEP_1) | instskip(NEXT) | instid1(VALU_DEP_1)
	v_mul_f64 v[197:198], v[199:200], v[195:196]
	v_fma_f64 v[193:194], -v[193:194], v[197:198], v[199:200]
	s_delay_alu instid0(VALU_DEP_1) | instskip(NEXT) | instid1(VALU_DEP_1)
	v_div_fmas_f64 v[193:194], v[193:194], v[195:196], v[197:198]
	v_div_fixup_f64 v[193:194], v[193:194], v[178:179], v[176:177]
	s_delay_alu instid0(VALU_DEP_1) | instskip(NEXT) | instid1(VALU_DEP_1)
	v_fma_f64 v[176:177], v[176:177], v[193:194], v[178:179]
	v_div_scale_f64 v[178:179], null, v[176:177], v[176:177], 1.0
	s_delay_alu instid0(VALU_DEP_1) | instskip(SKIP_2) | instid1(VALU_DEP_1)
	v_rcp_f64_e32 v[195:196], v[178:179]
	s_waitcnt_depctr 0xfff
	v_fma_f64 v[197:198], -v[178:179], v[195:196], 1.0
	v_fma_f64 v[195:196], v[195:196], v[197:198], v[195:196]
	s_delay_alu instid0(VALU_DEP_1) | instskip(NEXT) | instid1(VALU_DEP_1)
	v_fma_f64 v[197:198], -v[178:179], v[195:196], 1.0
	v_fma_f64 v[195:196], v[195:196], v[197:198], v[195:196]
	v_div_scale_f64 v[197:198], vcc_lo, 1.0, v[176:177], 1.0
	s_delay_alu instid0(VALU_DEP_1) | instskip(NEXT) | instid1(VALU_DEP_1)
	v_mul_f64 v[199:200], v[197:198], v[195:196]
	v_fma_f64 v[178:179], -v[178:179], v[199:200], v[197:198]
	s_delay_alu instid0(VALU_DEP_1) | instskip(NEXT) | instid1(VALU_DEP_1)
	v_div_fmas_f64 v[178:179], v[178:179], v[195:196], v[199:200]
	v_div_fixup_f64 v[178:179], v[178:179], v[176:177], 1.0
	s_delay_alu instid0(VALU_DEP_1)
	v_mul_f64 v[176:177], v[193:194], v[178:179]
	v_xor_b32_e32 v179, 0x80000000, v179
.LBB86_574:
	s_and_not1_saveexec_b32 s2, s2
	s_cbranch_execz .LBB86_576
; %bb.575:
	s_delay_alu instid0(VALU_DEP_1) | instskip(SKIP_1) | instid1(VALU_DEP_2)
	v_div_scale_f64 v[193:194], null, v[176:177], v[176:177], v[178:179]
	v_div_scale_f64 v[199:200], vcc_lo, v[178:179], v[176:177], v[178:179]
	v_rcp_f64_e32 v[195:196], v[193:194]
	s_waitcnt_depctr 0xfff
	v_fma_f64 v[197:198], -v[193:194], v[195:196], 1.0
	s_delay_alu instid0(VALU_DEP_1) | instskip(NEXT) | instid1(VALU_DEP_1)
	v_fma_f64 v[195:196], v[195:196], v[197:198], v[195:196]
	v_fma_f64 v[197:198], -v[193:194], v[195:196], 1.0
	s_delay_alu instid0(VALU_DEP_1) | instskip(NEXT) | instid1(VALU_DEP_1)
	v_fma_f64 v[195:196], v[195:196], v[197:198], v[195:196]
	v_mul_f64 v[197:198], v[199:200], v[195:196]
	s_delay_alu instid0(VALU_DEP_1) | instskip(NEXT) | instid1(VALU_DEP_1)
	v_fma_f64 v[193:194], -v[193:194], v[197:198], v[199:200]
	v_div_fmas_f64 v[193:194], v[193:194], v[195:196], v[197:198]
	s_delay_alu instid0(VALU_DEP_1) | instskip(NEXT) | instid1(VALU_DEP_1)
	v_div_fixup_f64 v[193:194], v[193:194], v[176:177], v[178:179]
	v_fma_f64 v[176:177], v[178:179], v[193:194], v[176:177]
	s_delay_alu instid0(VALU_DEP_1) | instskip(NEXT) | instid1(VALU_DEP_1)
	v_div_scale_f64 v[178:179], null, v[176:177], v[176:177], 1.0
	v_rcp_f64_e32 v[195:196], v[178:179]
	s_waitcnt_depctr 0xfff
	v_fma_f64 v[197:198], -v[178:179], v[195:196], 1.0
	s_delay_alu instid0(VALU_DEP_1) | instskip(NEXT) | instid1(VALU_DEP_1)
	v_fma_f64 v[195:196], v[195:196], v[197:198], v[195:196]
	v_fma_f64 v[197:198], -v[178:179], v[195:196], 1.0
	s_delay_alu instid0(VALU_DEP_1) | instskip(SKIP_1) | instid1(VALU_DEP_1)
	v_fma_f64 v[195:196], v[195:196], v[197:198], v[195:196]
	v_div_scale_f64 v[197:198], vcc_lo, 1.0, v[176:177], 1.0
	v_mul_f64 v[199:200], v[197:198], v[195:196]
	s_delay_alu instid0(VALU_DEP_1) | instskip(NEXT) | instid1(VALU_DEP_1)
	v_fma_f64 v[178:179], -v[178:179], v[199:200], v[197:198]
	v_div_fmas_f64 v[178:179], v[178:179], v[195:196], v[199:200]
	s_delay_alu instid0(VALU_DEP_1) | instskip(NEXT) | instid1(VALU_DEP_1)
	v_div_fixup_f64 v[176:177], v[178:179], v[176:177], 1.0
	v_mul_f64 v[178:179], v[193:194], -v[176:177]
.LBB86_576:
	s_or_b32 exec_lo, exec_lo, s2
.LBB86_577:
	s_delay_alu instid0(SALU_CYCLE_1) | instskip(NEXT) | instid1(SALU_CYCLE_1)
	s_or_b32 exec_lo, exec_lo, s3
	s_mov_b32 s2, exec_lo
	v_cmpx_ne_u32_e64 v192, v184
	s_xor_b32 s2, exec_lo, s2
	s_cbranch_execz .LBB86_583
; %bb.578:
	s_mov_b32 s3, exec_lo
	v_cmpx_eq_u32_e32 27, v192
	s_cbranch_execz .LBB86_582
; %bb.579:
	v_cmp_ne_u32_e32 vcc_lo, 27, v184
	s_xor_b32 s6, s4, -1
	s_delay_alu instid0(SALU_CYCLE_1) | instskip(NEXT) | instid1(SALU_CYCLE_1)
	s_and_b32 s7, s6, vcc_lo
	s_and_saveexec_b32 s6, s7
	s_cbranch_execz .LBB86_581
; %bb.580:
	v_ashrrev_i32_e32 v185, 31, v184
	s_delay_alu instid0(VALU_DEP_1) | instskip(NEXT) | instid1(VALU_DEP_1)
	v_lshlrev_b64 v[191:192], 2, v[184:185]
	v_add_co_u32 v191, vcc_lo, v182, v191
	s_delay_alu instid0(VALU_DEP_2)
	v_add_co_ci_u32_e32 v192, vcc_lo, v183, v192, vcc_lo
	s_clause 0x1
	flat_load_b32 v185, v[191:192]
	flat_load_b32 v193, v[182:183] offset:108
	s_waitcnt vmcnt(1) lgkmcnt(1)
	flat_store_b32 v[182:183], v185 offset:108
	s_waitcnt vmcnt(0) lgkmcnt(1)
	flat_store_b32 v[191:192], v193
.LBB86_581:
	s_or_b32 exec_lo, exec_lo, s6
	v_mov_b32_e32 v192, v184
	v_mov_b32_e32 v191, v184
.LBB86_582:
	s_or_b32 exec_lo, exec_lo, s3
.LBB86_583:
	s_and_not1_saveexec_b32 s2, s2
	s_cbranch_execz .LBB86_585
; %bb.584:
	v_mov_b32_e32 v192, 27
	ds_store_2addr_b64 v186, v[60:61], v[62:63] offset0:56 offset1:57
	ds_store_2addr_b64 v186, v[56:57], v[58:59] offset0:58 offset1:59
	ds_store_2addr_b64 v186, v[52:53], v[54:55] offset0:60 offset1:61
	ds_store_2addr_b64 v186, v[48:49], v[50:51] offset0:62 offset1:63
	ds_store_2addr_b64 v186, v[44:45], v[46:47] offset0:64 offset1:65
	ds_store_2addr_b64 v186, v[40:41], v[42:43] offset0:66 offset1:67
	ds_store_2addr_b64 v186, v[36:37], v[38:39] offset0:68 offset1:69
	ds_store_2addr_b64 v186, v[32:33], v[34:35] offset0:70 offset1:71
	ds_store_2addr_b64 v186, v[28:29], v[30:31] offset0:72 offset1:73
	ds_store_2addr_b64 v186, v[24:25], v[26:27] offset0:74 offset1:75
	ds_store_2addr_b64 v186, v[20:21], v[22:23] offset0:76 offset1:77
	ds_store_2addr_b64 v186, v[16:17], v[18:19] offset0:78 offset1:79
	ds_store_2addr_b64 v186, v[12:13], v[14:15] offset0:80 offset1:81
	ds_store_2addr_b64 v186, v[8:9], v[10:11] offset0:82 offset1:83
	ds_store_2addr_b64 v186, v[4:5], v[6:7] offset0:84 offset1:85
	ds_store_2addr_b64 v186, v[0:1], v[2:3] offset0:86 offset1:87
.LBB86_585:
	s_or_b32 exec_lo, exec_lo, s2
	s_delay_alu instid0(SALU_CYCLE_1)
	s_mov_b32 s2, exec_lo
	s_waitcnt lgkmcnt(0)
	s_waitcnt_vscnt null, 0x0
	s_barrier
	buffer_gl0_inv
	v_cmpx_lt_i32_e32 27, v192
	s_cbranch_execz .LBB86_587
; %bb.586:
	v_mul_f64 v[184:185], v[176:177], v[66:67]
	v_mul_f64 v[66:67], v[178:179], v[66:67]
	s_delay_alu instid0(VALU_DEP_2) | instskip(NEXT) | instid1(VALU_DEP_2)
	v_fma_f64 v[184:185], v[178:179], v[64:65], v[184:185]
	v_fma_f64 v[64:65], v[176:177], v[64:65], -v[66:67]
	ds_load_2addr_b64 v[176:179], v186 offset0:56 offset1:57
	s_waitcnt lgkmcnt(0)
	v_mul_f64 v[66:67], v[178:179], v[184:185]
	s_delay_alu instid0(VALU_DEP_1) | instskip(SKIP_1) | instid1(VALU_DEP_2)
	v_fma_f64 v[66:67], v[176:177], v[64:65], -v[66:67]
	v_mul_f64 v[176:177], v[176:177], v[184:185]
	v_add_f64 v[60:61], v[60:61], -v[66:67]
	s_delay_alu instid0(VALU_DEP_2) | instskip(NEXT) | instid1(VALU_DEP_1)
	v_fma_f64 v[176:177], v[178:179], v[64:65], v[176:177]
	v_add_f64 v[62:63], v[62:63], -v[176:177]
	ds_load_2addr_b64 v[176:179], v186 offset0:58 offset1:59
	s_waitcnt lgkmcnt(0)
	v_mul_f64 v[66:67], v[178:179], v[184:185]
	s_delay_alu instid0(VALU_DEP_1) | instskip(SKIP_1) | instid1(VALU_DEP_2)
	v_fma_f64 v[66:67], v[176:177], v[64:65], -v[66:67]
	v_mul_f64 v[176:177], v[176:177], v[184:185]
	v_add_f64 v[56:57], v[56:57], -v[66:67]
	s_delay_alu instid0(VALU_DEP_2) | instskip(NEXT) | instid1(VALU_DEP_1)
	v_fma_f64 v[176:177], v[178:179], v[64:65], v[176:177]
	v_add_f64 v[58:59], v[58:59], -v[176:177]
	;; [unrolled: 10-line block ×15, first 2 shown]
	ds_load_2addr_b64 v[176:179], v186 offset0:86 offset1:87
	s_waitcnt lgkmcnt(0)
	v_mul_f64 v[66:67], v[178:179], v[184:185]
	s_delay_alu instid0(VALU_DEP_1) | instskip(SKIP_1) | instid1(VALU_DEP_2)
	v_fma_f64 v[66:67], v[176:177], v[64:65], -v[66:67]
	v_mul_f64 v[176:177], v[176:177], v[184:185]
	v_add_f64 v[0:1], v[0:1], -v[66:67]
	s_delay_alu instid0(VALU_DEP_2) | instskip(SKIP_1) | instid1(VALU_DEP_2)
	v_fma_f64 v[176:177], v[178:179], v[64:65], v[176:177]
	v_dual_mov_b32 v66, v184 :: v_dual_mov_b32 v67, v185
	v_add_f64 v[2:3], v[2:3], -v[176:177]
.LBB86_587:
	s_or_b32 exec_lo, exec_lo, s2
	v_lshl_add_u32 v176, v192, 4, v186
	s_barrier
	buffer_gl0_inv
	v_mov_b32_e32 v184, 28
	ds_store_2addr_b64 v176, v[60:61], v[62:63] offset1:1
	s_waitcnt lgkmcnt(0)
	s_barrier
	buffer_gl0_inv
	ds_load_2addr_b64 v[176:179], v186 offset0:56 offset1:57
	s_cmp_lt_i32 s5, 30
	s_cbranch_scc1 .LBB86_590
; %bb.588:
	v_add3_u32 v185, v190, 0, 0x1d0
	v_mov_b32_e32 v184, 28
	s_mov_b32 s6, 29
	s_set_inst_prefetch_distance 0x1
	.p2align	6
.LBB86_589:                             ; =>This Inner Loop Header: Depth=1
	ds_load_2addr_b64 v[193:196], v185 offset1:1
	s_waitcnt lgkmcnt(1)
	v_cmp_gt_f64_e32 vcc_lo, 0, v[176:177]
	v_xor_b32_e32 v197, 0x80000000, v177
	v_cmp_gt_f64_e64 s2, 0, v[178:179]
	v_xor_b32_e32 v199, 0x80000000, v179
	v_add_nc_u32_e32 v185, 16, v185
	s_waitcnt lgkmcnt(0)
	v_cmp_gt_f64_e64 s3, 0, v[193:194]
	v_mov_b32_e32 v201, v193
	v_dual_mov_b32 v203, v195 :: v_dual_cndmask_b32 v198, v177, v197
	v_xor_b32_e32 v197, 0x80000000, v194
	v_cndmask_b32_e64 v200, v179, v199, s2
	v_xor_b32_e32 v199, 0x80000000, v196
	s_delay_alu instid0(VALU_DEP_3) | instskip(SKIP_2) | instid1(VALU_DEP_2)
	v_cndmask_b32_e64 v202, v194, v197, s3
	v_cmp_gt_f64_e64 s3, 0, v[195:196]
	v_cndmask_b32_e32 v197, v176, v176, vcc_lo
	v_cndmask_b32_e64 v204, v196, v199, s3
	v_cndmask_b32_e64 v199, v178, v178, s2
	s_delay_alu instid0(VALU_DEP_2) | instskip(NEXT) | instid1(VALU_DEP_2)
	v_add_f64 v[201:202], v[201:202], v[203:204]
	v_add_f64 v[197:198], v[197:198], v[199:200]
	s_delay_alu instid0(VALU_DEP_1) | instskip(SKIP_4) | instid1(SALU_CYCLE_1)
	v_cmp_lt_f64_e32 vcc_lo, v[197:198], v[201:202]
	v_dual_cndmask_b32 v178, v178, v195 :: v_dual_cndmask_b32 v177, v177, v194
	v_dual_cndmask_b32 v176, v176, v193 :: v_dual_cndmask_b32 v179, v179, v196
	v_cndmask_b32_e64 v184, v184, s6, vcc_lo
	s_add_i32 s6, s6, 1
	s_cmp_lg_u32 s5, s6
	s_cbranch_scc1 .LBB86_589
.LBB86_590:
	s_set_inst_prefetch_distance 0x2
	s_waitcnt lgkmcnt(0)
	v_cmp_eq_f64_e32 vcc_lo, 0, v[176:177]
	v_cmp_eq_f64_e64 s2, 0, v[178:179]
	s_delay_alu instid0(VALU_DEP_1) | instskip(NEXT) | instid1(SALU_CYCLE_1)
	s_and_b32 s2, vcc_lo, s2
	s_and_saveexec_b32 s3, s2
	s_delay_alu instid0(SALU_CYCLE_1)
	s_xor_b32 s2, exec_lo, s3
; %bb.591:
	v_cmp_ne_u32_e32 vcc_lo, 0, v189
	v_cndmask_b32_e32 v189, 29, v189, vcc_lo
; %bb.592:
	s_and_not1_saveexec_b32 s3, s2
	s_cbranch_execz .LBB86_598
; %bb.593:
	v_cmp_gt_f64_e32 vcc_lo, 0, v[176:177]
	v_cmp_gt_f64_e64 s2, 0, v[178:179]
	v_xor_b32_e32 v185, 0x80000000, v177
	v_xor_b32_e32 v193, 0x80000000, v179
	s_delay_alu instid0(VALU_DEP_2) | instskip(NEXT) | instid1(VALU_DEP_2)
	v_cndmask_b32_e32 v194, v177, v185, vcc_lo
	v_cndmask_b32_e64 v196, v179, v193, s2
	v_cndmask_b32_e32 v193, v176, v176, vcc_lo
	v_cndmask_b32_e64 v195, v178, v178, s2
	s_mov_b32 s2, exec_lo
	s_delay_alu instid0(VALU_DEP_1)
	v_cmpx_ngt_f64_e32 v[193:194], v[195:196]
	s_xor_b32 s2, exec_lo, s2
	s_cbranch_execz .LBB86_595
; %bb.594:
	v_div_scale_f64 v[193:194], null, v[178:179], v[178:179], v[176:177]
	v_div_scale_f64 v[199:200], vcc_lo, v[176:177], v[178:179], v[176:177]
	s_delay_alu instid0(VALU_DEP_2) | instskip(SKIP_2) | instid1(VALU_DEP_1)
	v_rcp_f64_e32 v[195:196], v[193:194]
	s_waitcnt_depctr 0xfff
	v_fma_f64 v[197:198], -v[193:194], v[195:196], 1.0
	v_fma_f64 v[195:196], v[195:196], v[197:198], v[195:196]
	s_delay_alu instid0(VALU_DEP_1) | instskip(NEXT) | instid1(VALU_DEP_1)
	v_fma_f64 v[197:198], -v[193:194], v[195:196], 1.0
	v_fma_f64 v[195:196], v[195:196], v[197:198], v[195:196]
	s_delay_alu instid0(VALU_DEP_1) | instskip(NEXT) | instid1(VALU_DEP_1)
	v_mul_f64 v[197:198], v[199:200], v[195:196]
	v_fma_f64 v[193:194], -v[193:194], v[197:198], v[199:200]
	s_delay_alu instid0(VALU_DEP_1) | instskip(NEXT) | instid1(VALU_DEP_1)
	v_div_fmas_f64 v[193:194], v[193:194], v[195:196], v[197:198]
	v_div_fixup_f64 v[193:194], v[193:194], v[178:179], v[176:177]
	s_delay_alu instid0(VALU_DEP_1) | instskip(NEXT) | instid1(VALU_DEP_1)
	v_fma_f64 v[176:177], v[176:177], v[193:194], v[178:179]
	v_div_scale_f64 v[178:179], null, v[176:177], v[176:177], 1.0
	s_delay_alu instid0(VALU_DEP_1) | instskip(SKIP_2) | instid1(VALU_DEP_1)
	v_rcp_f64_e32 v[195:196], v[178:179]
	s_waitcnt_depctr 0xfff
	v_fma_f64 v[197:198], -v[178:179], v[195:196], 1.0
	v_fma_f64 v[195:196], v[195:196], v[197:198], v[195:196]
	s_delay_alu instid0(VALU_DEP_1) | instskip(NEXT) | instid1(VALU_DEP_1)
	v_fma_f64 v[197:198], -v[178:179], v[195:196], 1.0
	v_fma_f64 v[195:196], v[195:196], v[197:198], v[195:196]
	v_div_scale_f64 v[197:198], vcc_lo, 1.0, v[176:177], 1.0
	s_delay_alu instid0(VALU_DEP_1) | instskip(NEXT) | instid1(VALU_DEP_1)
	v_mul_f64 v[199:200], v[197:198], v[195:196]
	v_fma_f64 v[178:179], -v[178:179], v[199:200], v[197:198]
	s_delay_alu instid0(VALU_DEP_1) | instskip(NEXT) | instid1(VALU_DEP_1)
	v_div_fmas_f64 v[178:179], v[178:179], v[195:196], v[199:200]
	v_div_fixup_f64 v[178:179], v[178:179], v[176:177], 1.0
	s_delay_alu instid0(VALU_DEP_1)
	v_mul_f64 v[176:177], v[193:194], v[178:179]
	v_xor_b32_e32 v179, 0x80000000, v179
.LBB86_595:
	s_and_not1_saveexec_b32 s2, s2
	s_cbranch_execz .LBB86_597
; %bb.596:
	s_delay_alu instid0(VALU_DEP_1) | instskip(SKIP_1) | instid1(VALU_DEP_2)
	v_div_scale_f64 v[193:194], null, v[176:177], v[176:177], v[178:179]
	v_div_scale_f64 v[199:200], vcc_lo, v[178:179], v[176:177], v[178:179]
	v_rcp_f64_e32 v[195:196], v[193:194]
	s_waitcnt_depctr 0xfff
	v_fma_f64 v[197:198], -v[193:194], v[195:196], 1.0
	s_delay_alu instid0(VALU_DEP_1) | instskip(NEXT) | instid1(VALU_DEP_1)
	v_fma_f64 v[195:196], v[195:196], v[197:198], v[195:196]
	v_fma_f64 v[197:198], -v[193:194], v[195:196], 1.0
	s_delay_alu instid0(VALU_DEP_1) | instskip(NEXT) | instid1(VALU_DEP_1)
	v_fma_f64 v[195:196], v[195:196], v[197:198], v[195:196]
	v_mul_f64 v[197:198], v[199:200], v[195:196]
	s_delay_alu instid0(VALU_DEP_1) | instskip(NEXT) | instid1(VALU_DEP_1)
	v_fma_f64 v[193:194], -v[193:194], v[197:198], v[199:200]
	v_div_fmas_f64 v[193:194], v[193:194], v[195:196], v[197:198]
	s_delay_alu instid0(VALU_DEP_1) | instskip(NEXT) | instid1(VALU_DEP_1)
	v_div_fixup_f64 v[193:194], v[193:194], v[176:177], v[178:179]
	v_fma_f64 v[176:177], v[178:179], v[193:194], v[176:177]
	s_delay_alu instid0(VALU_DEP_1) | instskip(NEXT) | instid1(VALU_DEP_1)
	v_div_scale_f64 v[178:179], null, v[176:177], v[176:177], 1.0
	v_rcp_f64_e32 v[195:196], v[178:179]
	s_waitcnt_depctr 0xfff
	v_fma_f64 v[197:198], -v[178:179], v[195:196], 1.0
	s_delay_alu instid0(VALU_DEP_1) | instskip(NEXT) | instid1(VALU_DEP_1)
	v_fma_f64 v[195:196], v[195:196], v[197:198], v[195:196]
	v_fma_f64 v[197:198], -v[178:179], v[195:196], 1.0
	s_delay_alu instid0(VALU_DEP_1) | instskip(SKIP_1) | instid1(VALU_DEP_1)
	v_fma_f64 v[195:196], v[195:196], v[197:198], v[195:196]
	v_div_scale_f64 v[197:198], vcc_lo, 1.0, v[176:177], 1.0
	v_mul_f64 v[199:200], v[197:198], v[195:196]
	s_delay_alu instid0(VALU_DEP_1) | instskip(NEXT) | instid1(VALU_DEP_1)
	v_fma_f64 v[178:179], -v[178:179], v[199:200], v[197:198]
	v_div_fmas_f64 v[178:179], v[178:179], v[195:196], v[199:200]
	s_delay_alu instid0(VALU_DEP_1) | instskip(NEXT) | instid1(VALU_DEP_1)
	v_div_fixup_f64 v[176:177], v[178:179], v[176:177], 1.0
	v_mul_f64 v[178:179], v[193:194], -v[176:177]
.LBB86_597:
	s_or_b32 exec_lo, exec_lo, s2
.LBB86_598:
	s_delay_alu instid0(SALU_CYCLE_1) | instskip(NEXT) | instid1(SALU_CYCLE_1)
	s_or_b32 exec_lo, exec_lo, s3
	s_mov_b32 s2, exec_lo
	v_cmpx_ne_u32_e64 v192, v184
	s_xor_b32 s2, exec_lo, s2
	s_cbranch_execz .LBB86_604
; %bb.599:
	s_mov_b32 s3, exec_lo
	v_cmpx_eq_u32_e32 28, v192
	s_cbranch_execz .LBB86_603
; %bb.600:
	v_cmp_ne_u32_e32 vcc_lo, 28, v184
	s_xor_b32 s6, s4, -1
	s_delay_alu instid0(SALU_CYCLE_1) | instskip(NEXT) | instid1(SALU_CYCLE_1)
	s_and_b32 s7, s6, vcc_lo
	s_and_saveexec_b32 s6, s7
	s_cbranch_execz .LBB86_602
; %bb.601:
	v_ashrrev_i32_e32 v185, 31, v184
	s_delay_alu instid0(VALU_DEP_1) | instskip(NEXT) | instid1(VALU_DEP_1)
	v_lshlrev_b64 v[191:192], 2, v[184:185]
	v_add_co_u32 v191, vcc_lo, v182, v191
	s_delay_alu instid0(VALU_DEP_2)
	v_add_co_ci_u32_e32 v192, vcc_lo, v183, v192, vcc_lo
	s_clause 0x1
	flat_load_b32 v185, v[191:192]
	flat_load_b32 v193, v[182:183] offset:112
	s_waitcnt vmcnt(1) lgkmcnt(1)
	flat_store_b32 v[182:183], v185 offset:112
	s_waitcnt vmcnt(0) lgkmcnt(1)
	flat_store_b32 v[191:192], v193
.LBB86_602:
	s_or_b32 exec_lo, exec_lo, s6
	v_mov_b32_e32 v192, v184
	v_mov_b32_e32 v191, v184
.LBB86_603:
	s_or_b32 exec_lo, exec_lo, s3
.LBB86_604:
	s_and_not1_saveexec_b32 s2, s2
	s_cbranch_execz .LBB86_606
; %bb.605:
	v_mov_b32_e32 v192, 28
	ds_store_2addr_b64 v186, v[56:57], v[58:59] offset0:58 offset1:59
	ds_store_2addr_b64 v186, v[52:53], v[54:55] offset0:60 offset1:61
	;; [unrolled: 1-line block ×15, first 2 shown]
.LBB86_606:
	s_or_b32 exec_lo, exec_lo, s2
	s_delay_alu instid0(SALU_CYCLE_1)
	s_mov_b32 s2, exec_lo
	s_waitcnt lgkmcnt(0)
	s_waitcnt_vscnt null, 0x0
	s_barrier
	buffer_gl0_inv
	v_cmpx_lt_i32_e32 28, v192
	s_cbranch_execz .LBB86_608
; %bb.607:
	v_mul_f64 v[184:185], v[176:177], v[62:63]
	v_mul_f64 v[62:63], v[178:179], v[62:63]
	s_delay_alu instid0(VALU_DEP_2) | instskip(NEXT) | instid1(VALU_DEP_2)
	v_fma_f64 v[184:185], v[178:179], v[60:61], v[184:185]
	v_fma_f64 v[60:61], v[176:177], v[60:61], -v[62:63]
	ds_load_2addr_b64 v[176:179], v186 offset0:58 offset1:59
	s_waitcnt lgkmcnt(0)
	v_mul_f64 v[62:63], v[178:179], v[184:185]
	s_delay_alu instid0(VALU_DEP_1) | instskip(SKIP_1) | instid1(VALU_DEP_2)
	v_fma_f64 v[62:63], v[176:177], v[60:61], -v[62:63]
	v_mul_f64 v[176:177], v[176:177], v[184:185]
	v_add_f64 v[56:57], v[56:57], -v[62:63]
	s_delay_alu instid0(VALU_DEP_2) | instskip(NEXT) | instid1(VALU_DEP_1)
	v_fma_f64 v[176:177], v[178:179], v[60:61], v[176:177]
	v_add_f64 v[58:59], v[58:59], -v[176:177]
	ds_load_2addr_b64 v[176:179], v186 offset0:60 offset1:61
	s_waitcnt lgkmcnt(0)
	v_mul_f64 v[62:63], v[178:179], v[184:185]
	s_delay_alu instid0(VALU_DEP_1) | instskip(SKIP_1) | instid1(VALU_DEP_2)
	v_fma_f64 v[62:63], v[176:177], v[60:61], -v[62:63]
	v_mul_f64 v[176:177], v[176:177], v[184:185]
	v_add_f64 v[52:53], v[52:53], -v[62:63]
	s_delay_alu instid0(VALU_DEP_2) | instskip(NEXT) | instid1(VALU_DEP_1)
	v_fma_f64 v[176:177], v[178:179], v[60:61], v[176:177]
	v_add_f64 v[54:55], v[54:55], -v[176:177]
	;; [unrolled: 10-line block ×14, first 2 shown]
	ds_load_2addr_b64 v[176:179], v186 offset0:86 offset1:87
	s_waitcnt lgkmcnt(0)
	v_mul_f64 v[62:63], v[178:179], v[184:185]
	s_delay_alu instid0(VALU_DEP_1) | instskip(SKIP_1) | instid1(VALU_DEP_2)
	v_fma_f64 v[62:63], v[176:177], v[60:61], -v[62:63]
	v_mul_f64 v[176:177], v[176:177], v[184:185]
	v_add_f64 v[0:1], v[0:1], -v[62:63]
	s_delay_alu instid0(VALU_DEP_2) | instskip(SKIP_1) | instid1(VALU_DEP_2)
	v_fma_f64 v[176:177], v[178:179], v[60:61], v[176:177]
	v_dual_mov_b32 v62, v184 :: v_dual_mov_b32 v63, v185
	v_add_f64 v[2:3], v[2:3], -v[176:177]
.LBB86_608:
	s_or_b32 exec_lo, exec_lo, s2
	v_lshl_add_u32 v176, v192, 4, v186
	s_barrier
	buffer_gl0_inv
	v_mov_b32_e32 v184, 29
	ds_store_2addr_b64 v176, v[56:57], v[58:59] offset1:1
	s_waitcnt lgkmcnt(0)
	s_barrier
	buffer_gl0_inv
	ds_load_2addr_b64 v[176:179], v186 offset0:58 offset1:59
	s_cmp_lt_i32 s5, 31
	s_cbranch_scc1 .LBB86_611
; %bb.609:
	v_add3_u32 v185, v190, 0, 0x1e0
	v_mov_b32_e32 v184, 29
	s_mov_b32 s6, 30
	s_set_inst_prefetch_distance 0x1
	.p2align	6
.LBB86_610:                             ; =>This Inner Loop Header: Depth=1
	ds_load_2addr_b64 v[193:196], v185 offset1:1
	s_waitcnt lgkmcnt(1)
	v_cmp_gt_f64_e32 vcc_lo, 0, v[176:177]
	v_xor_b32_e32 v197, 0x80000000, v177
	v_cmp_gt_f64_e64 s2, 0, v[178:179]
	v_xor_b32_e32 v199, 0x80000000, v179
	v_add_nc_u32_e32 v185, 16, v185
	s_waitcnt lgkmcnt(0)
	v_cmp_gt_f64_e64 s3, 0, v[193:194]
	v_mov_b32_e32 v201, v193
	v_dual_mov_b32 v203, v195 :: v_dual_cndmask_b32 v198, v177, v197
	v_xor_b32_e32 v197, 0x80000000, v194
	v_cndmask_b32_e64 v200, v179, v199, s2
	v_xor_b32_e32 v199, 0x80000000, v196
	s_delay_alu instid0(VALU_DEP_3) | instskip(SKIP_2) | instid1(VALU_DEP_2)
	v_cndmask_b32_e64 v202, v194, v197, s3
	v_cmp_gt_f64_e64 s3, 0, v[195:196]
	v_cndmask_b32_e32 v197, v176, v176, vcc_lo
	v_cndmask_b32_e64 v204, v196, v199, s3
	v_cndmask_b32_e64 v199, v178, v178, s2
	s_delay_alu instid0(VALU_DEP_2) | instskip(NEXT) | instid1(VALU_DEP_2)
	v_add_f64 v[201:202], v[201:202], v[203:204]
	v_add_f64 v[197:198], v[197:198], v[199:200]
	s_delay_alu instid0(VALU_DEP_1) | instskip(SKIP_4) | instid1(SALU_CYCLE_1)
	v_cmp_lt_f64_e32 vcc_lo, v[197:198], v[201:202]
	v_dual_cndmask_b32 v178, v178, v195 :: v_dual_cndmask_b32 v177, v177, v194
	v_dual_cndmask_b32 v176, v176, v193 :: v_dual_cndmask_b32 v179, v179, v196
	v_cndmask_b32_e64 v184, v184, s6, vcc_lo
	s_add_i32 s6, s6, 1
	s_cmp_lg_u32 s5, s6
	s_cbranch_scc1 .LBB86_610
.LBB86_611:
	s_set_inst_prefetch_distance 0x2
	s_waitcnt lgkmcnt(0)
	v_cmp_eq_f64_e32 vcc_lo, 0, v[176:177]
	v_cmp_eq_f64_e64 s2, 0, v[178:179]
	s_delay_alu instid0(VALU_DEP_1) | instskip(NEXT) | instid1(SALU_CYCLE_1)
	s_and_b32 s2, vcc_lo, s2
	s_and_saveexec_b32 s3, s2
	s_delay_alu instid0(SALU_CYCLE_1)
	s_xor_b32 s2, exec_lo, s3
; %bb.612:
	v_cmp_ne_u32_e32 vcc_lo, 0, v189
	v_cndmask_b32_e32 v189, 30, v189, vcc_lo
; %bb.613:
	s_and_not1_saveexec_b32 s3, s2
	s_cbranch_execz .LBB86_619
; %bb.614:
	v_cmp_gt_f64_e32 vcc_lo, 0, v[176:177]
	v_cmp_gt_f64_e64 s2, 0, v[178:179]
	v_xor_b32_e32 v185, 0x80000000, v177
	v_xor_b32_e32 v193, 0x80000000, v179
	s_delay_alu instid0(VALU_DEP_2) | instskip(NEXT) | instid1(VALU_DEP_2)
	v_cndmask_b32_e32 v194, v177, v185, vcc_lo
	v_cndmask_b32_e64 v196, v179, v193, s2
	v_cndmask_b32_e32 v193, v176, v176, vcc_lo
	v_cndmask_b32_e64 v195, v178, v178, s2
	s_mov_b32 s2, exec_lo
	s_delay_alu instid0(VALU_DEP_1)
	v_cmpx_ngt_f64_e32 v[193:194], v[195:196]
	s_xor_b32 s2, exec_lo, s2
	s_cbranch_execz .LBB86_616
; %bb.615:
	v_div_scale_f64 v[193:194], null, v[178:179], v[178:179], v[176:177]
	v_div_scale_f64 v[199:200], vcc_lo, v[176:177], v[178:179], v[176:177]
	s_delay_alu instid0(VALU_DEP_2) | instskip(SKIP_2) | instid1(VALU_DEP_1)
	v_rcp_f64_e32 v[195:196], v[193:194]
	s_waitcnt_depctr 0xfff
	v_fma_f64 v[197:198], -v[193:194], v[195:196], 1.0
	v_fma_f64 v[195:196], v[195:196], v[197:198], v[195:196]
	s_delay_alu instid0(VALU_DEP_1) | instskip(NEXT) | instid1(VALU_DEP_1)
	v_fma_f64 v[197:198], -v[193:194], v[195:196], 1.0
	v_fma_f64 v[195:196], v[195:196], v[197:198], v[195:196]
	s_delay_alu instid0(VALU_DEP_1) | instskip(NEXT) | instid1(VALU_DEP_1)
	v_mul_f64 v[197:198], v[199:200], v[195:196]
	v_fma_f64 v[193:194], -v[193:194], v[197:198], v[199:200]
	s_delay_alu instid0(VALU_DEP_1) | instskip(NEXT) | instid1(VALU_DEP_1)
	v_div_fmas_f64 v[193:194], v[193:194], v[195:196], v[197:198]
	v_div_fixup_f64 v[193:194], v[193:194], v[178:179], v[176:177]
	s_delay_alu instid0(VALU_DEP_1) | instskip(NEXT) | instid1(VALU_DEP_1)
	v_fma_f64 v[176:177], v[176:177], v[193:194], v[178:179]
	v_div_scale_f64 v[178:179], null, v[176:177], v[176:177], 1.0
	s_delay_alu instid0(VALU_DEP_1) | instskip(SKIP_2) | instid1(VALU_DEP_1)
	v_rcp_f64_e32 v[195:196], v[178:179]
	s_waitcnt_depctr 0xfff
	v_fma_f64 v[197:198], -v[178:179], v[195:196], 1.0
	v_fma_f64 v[195:196], v[195:196], v[197:198], v[195:196]
	s_delay_alu instid0(VALU_DEP_1) | instskip(NEXT) | instid1(VALU_DEP_1)
	v_fma_f64 v[197:198], -v[178:179], v[195:196], 1.0
	v_fma_f64 v[195:196], v[195:196], v[197:198], v[195:196]
	v_div_scale_f64 v[197:198], vcc_lo, 1.0, v[176:177], 1.0
	s_delay_alu instid0(VALU_DEP_1) | instskip(NEXT) | instid1(VALU_DEP_1)
	v_mul_f64 v[199:200], v[197:198], v[195:196]
	v_fma_f64 v[178:179], -v[178:179], v[199:200], v[197:198]
	s_delay_alu instid0(VALU_DEP_1) | instskip(NEXT) | instid1(VALU_DEP_1)
	v_div_fmas_f64 v[178:179], v[178:179], v[195:196], v[199:200]
	v_div_fixup_f64 v[178:179], v[178:179], v[176:177], 1.0
	s_delay_alu instid0(VALU_DEP_1)
	v_mul_f64 v[176:177], v[193:194], v[178:179]
	v_xor_b32_e32 v179, 0x80000000, v179
.LBB86_616:
	s_and_not1_saveexec_b32 s2, s2
	s_cbranch_execz .LBB86_618
; %bb.617:
	s_delay_alu instid0(VALU_DEP_1) | instskip(SKIP_1) | instid1(VALU_DEP_2)
	v_div_scale_f64 v[193:194], null, v[176:177], v[176:177], v[178:179]
	v_div_scale_f64 v[199:200], vcc_lo, v[178:179], v[176:177], v[178:179]
	v_rcp_f64_e32 v[195:196], v[193:194]
	s_waitcnt_depctr 0xfff
	v_fma_f64 v[197:198], -v[193:194], v[195:196], 1.0
	s_delay_alu instid0(VALU_DEP_1) | instskip(NEXT) | instid1(VALU_DEP_1)
	v_fma_f64 v[195:196], v[195:196], v[197:198], v[195:196]
	v_fma_f64 v[197:198], -v[193:194], v[195:196], 1.0
	s_delay_alu instid0(VALU_DEP_1) | instskip(NEXT) | instid1(VALU_DEP_1)
	v_fma_f64 v[195:196], v[195:196], v[197:198], v[195:196]
	v_mul_f64 v[197:198], v[199:200], v[195:196]
	s_delay_alu instid0(VALU_DEP_1) | instskip(NEXT) | instid1(VALU_DEP_1)
	v_fma_f64 v[193:194], -v[193:194], v[197:198], v[199:200]
	v_div_fmas_f64 v[193:194], v[193:194], v[195:196], v[197:198]
	s_delay_alu instid0(VALU_DEP_1) | instskip(NEXT) | instid1(VALU_DEP_1)
	v_div_fixup_f64 v[193:194], v[193:194], v[176:177], v[178:179]
	v_fma_f64 v[176:177], v[178:179], v[193:194], v[176:177]
	s_delay_alu instid0(VALU_DEP_1) | instskip(NEXT) | instid1(VALU_DEP_1)
	v_div_scale_f64 v[178:179], null, v[176:177], v[176:177], 1.0
	v_rcp_f64_e32 v[195:196], v[178:179]
	s_waitcnt_depctr 0xfff
	v_fma_f64 v[197:198], -v[178:179], v[195:196], 1.0
	s_delay_alu instid0(VALU_DEP_1) | instskip(NEXT) | instid1(VALU_DEP_1)
	v_fma_f64 v[195:196], v[195:196], v[197:198], v[195:196]
	v_fma_f64 v[197:198], -v[178:179], v[195:196], 1.0
	s_delay_alu instid0(VALU_DEP_1) | instskip(SKIP_1) | instid1(VALU_DEP_1)
	v_fma_f64 v[195:196], v[195:196], v[197:198], v[195:196]
	v_div_scale_f64 v[197:198], vcc_lo, 1.0, v[176:177], 1.0
	v_mul_f64 v[199:200], v[197:198], v[195:196]
	s_delay_alu instid0(VALU_DEP_1) | instskip(NEXT) | instid1(VALU_DEP_1)
	v_fma_f64 v[178:179], -v[178:179], v[199:200], v[197:198]
	v_div_fmas_f64 v[178:179], v[178:179], v[195:196], v[199:200]
	s_delay_alu instid0(VALU_DEP_1) | instskip(NEXT) | instid1(VALU_DEP_1)
	v_div_fixup_f64 v[176:177], v[178:179], v[176:177], 1.0
	v_mul_f64 v[178:179], v[193:194], -v[176:177]
.LBB86_618:
	s_or_b32 exec_lo, exec_lo, s2
.LBB86_619:
	s_delay_alu instid0(SALU_CYCLE_1) | instskip(NEXT) | instid1(SALU_CYCLE_1)
	s_or_b32 exec_lo, exec_lo, s3
	s_mov_b32 s2, exec_lo
	v_cmpx_ne_u32_e64 v192, v184
	s_xor_b32 s2, exec_lo, s2
	s_cbranch_execz .LBB86_625
; %bb.620:
	s_mov_b32 s3, exec_lo
	v_cmpx_eq_u32_e32 29, v192
	s_cbranch_execz .LBB86_624
; %bb.621:
	v_cmp_ne_u32_e32 vcc_lo, 29, v184
	s_xor_b32 s6, s4, -1
	s_delay_alu instid0(SALU_CYCLE_1) | instskip(NEXT) | instid1(SALU_CYCLE_1)
	s_and_b32 s7, s6, vcc_lo
	s_and_saveexec_b32 s6, s7
	s_cbranch_execz .LBB86_623
; %bb.622:
	v_ashrrev_i32_e32 v185, 31, v184
	s_delay_alu instid0(VALU_DEP_1) | instskip(NEXT) | instid1(VALU_DEP_1)
	v_lshlrev_b64 v[191:192], 2, v[184:185]
	v_add_co_u32 v191, vcc_lo, v182, v191
	s_delay_alu instid0(VALU_DEP_2)
	v_add_co_ci_u32_e32 v192, vcc_lo, v183, v192, vcc_lo
	s_clause 0x1
	flat_load_b32 v185, v[191:192]
	flat_load_b32 v193, v[182:183] offset:116
	s_waitcnt vmcnt(1) lgkmcnt(1)
	flat_store_b32 v[182:183], v185 offset:116
	s_waitcnt vmcnt(0) lgkmcnt(1)
	flat_store_b32 v[191:192], v193
.LBB86_623:
	s_or_b32 exec_lo, exec_lo, s6
	v_mov_b32_e32 v192, v184
	v_mov_b32_e32 v191, v184
.LBB86_624:
	s_or_b32 exec_lo, exec_lo, s3
.LBB86_625:
	s_and_not1_saveexec_b32 s2, s2
	s_cbranch_execz .LBB86_627
; %bb.626:
	v_mov_b32_e32 v192, 29
	ds_store_2addr_b64 v186, v[52:53], v[54:55] offset0:60 offset1:61
	ds_store_2addr_b64 v186, v[48:49], v[50:51] offset0:62 offset1:63
	;; [unrolled: 1-line block ×14, first 2 shown]
.LBB86_627:
	s_or_b32 exec_lo, exec_lo, s2
	s_delay_alu instid0(SALU_CYCLE_1)
	s_mov_b32 s2, exec_lo
	s_waitcnt lgkmcnt(0)
	s_waitcnt_vscnt null, 0x0
	s_barrier
	buffer_gl0_inv
	v_cmpx_lt_i32_e32 29, v192
	s_cbranch_execz .LBB86_629
; %bb.628:
	v_mul_f64 v[184:185], v[176:177], v[58:59]
	v_mul_f64 v[58:59], v[178:179], v[58:59]
	s_delay_alu instid0(VALU_DEP_2) | instskip(NEXT) | instid1(VALU_DEP_2)
	v_fma_f64 v[184:185], v[178:179], v[56:57], v[184:185]
	v_fma_f64 v[56:57], v[176:177], v[56:57], -v[58:59]
	ds_load_2addr_b64 v[176:179], v186 offset0:60 offset1:61
	s_waitcnt lgkmcnt(0)
	v_mul_f64 v[58:59], v[178:179], v[184:185]
	s_delay_alu instid0(VALU_DEP_1) | instskip(SKIP_1) | instid1(VALU_DEP_2)
	v_fma_f64 v[58:59], v[176:177], v[56:57], -v[58:59]
	v_mul_f64 v[176:177], v[176:177], v[184:185]
	v_add_f64 v[52:53], v[52:53], -v[58:59]
	s_delay_alu instid0(VALU_DEP_2) | instskip(NEXT) | instid1(VALU_DEP_1)
	v_fma_f64 v[176:177], v[178:179], v[56:57], v[176:177]
	v_add_f64 v[54:55], v[54:55], -v[176:177]
	ds_load_2addr_b64 v[176:179], v186 offset0:62 offset1:63
	s_waitcnt lgkmcnt(0)
	v_mul_f64 v[58:59], v[178:179], v[184:185]
	s_delay_alu instid0(VALU_DEP_1) | instskip(SKIP_1) | instid1(VALU_DEP_2)
	v_fma_f64 v[58:59], v[176:177], v[56:57], -v[58:59]
	v_mul_f64 v[176:177], v[176:177], v[184:185]
	v_add_f64 v[48:49], v[48:49], -v[58:59]
	s_delay_alu instid0(VALU_DEP_2) | instskip(NEXT) | instid1(VALU_DEP_1)
	v_fma_f64 v[176:177], v[178:179], v[56:57], v[176:177]
	v_add_f64 v[50:51], v[50:51], -v[176:177]
	ds_load_2addr_b64 v[176:179], v186 offset0:64 offset1:65
	s_waitcnt lgkmcnt(0)
	v_mul_f64 v[58:59], v[178:179], v[184:185]
	s_delay_alu instid0(VALU_DEP_1) | instskip(SKIP_1) | instid1(VALU_DEP_2)
	v_fma_f64 v[58:59], v[176:177], v[56:57], -v[58:59]
	v_mul_f64 v[176:177], v[176:177], v[184:185]
	v_add_f64 v[44:45], v[44:45], -v[58:59]
	s_delay_alu instid0(VALU_DEP_2) | instskip(NEXT) | instid1(VALU_DEP_1)
	v_fma_f64 v[176:177], v[178:179], v[56:57], v[176:177]
	v_add_f64 v[46:47], v[46:47], -v[176:177]
	ds_load_2addr_b64 v[176:179], v186 offset0:66 offset1:67
	s_waitcnt lgkmcnt(0)
	v_mul_f64 v[58:59], v[178:179], v[184:185]
	s_delay_alu instid0(VALU_DEP_1) | instskip(SKIP_1) | instid1(VALU_DEP_2)
	v_fma_f64 v[58:59], v[176:177], v[56:57], -v[58:59]
	v_mul_f64 v[176:177], v[176:177], v[184:185]
	v_add_f64 v[40:41], v[40:41], -v[58:59]
	s_delay_alu instid0(VALU_DEP_2) | instskip(NEXT) | instid1(VALU_DEP_1)
	v_fma_f64 v[176:177], v[178:179], v[56:57], v[176:177]
	v_add_f64 v[42:43], v[42:43], -v[176:177]
	ds_load_2addr_b64 v[176:179], v186 offset0:68 offset1:69
	s_waitcnt lgkmcnt(0)
	v_mul_f64 v[58:59], v[178:179], v[184:185]
	s_delay_alu instid0(VALU_DEP_1) | instskip(SKIP_1) | instid1(VALU_DEP_2)
	v_fma_f64 v[58:59], v[176:177], v[56:57], -v[58:59]
	v_mul_f64 v[176:177], v[176:177], v[184:185]
	v_add_f64 v[36:37], v[36:37], -v[58:59]
	s_delay_alu instid0(VALU_DEP_2) | instskip(NEXT) | instid1(VALU_DEP_1)
	v_fma_f64 v[176:177], v[178:179], v[56:57], v[176:177]
	v_add_f64 v[38:39], v[38:39], -v[176:177]
	ds_load_2addr_b64 v[176:179], v186 offset0:70 offset1:71
	s_waitcnt lgkmcnt(0)
	v_mul_f64 v[58:59], v[178:179], v[184:185]
	s_delay_alu instid0(VALU_DEP_1) | instskip(SKIP_1) | instid1(VALU_DEP_2)
	v_fma_f64 v[58:59], v[176:177], v[56:57], -v[58:59]
	v_mul_f64 v[176:177], v[176:177], v[184:185]
	v_add_f64 v[32:33], v[32:33], -v[58:59]
	s_delay_alu instid0(VALU_DEP_2) | instskip(NEXT) | instid1(VALU_DEP_1)
	v_fma_f64 v[176:177], v[178:179], v[56:57], v[176:177]
	v_add_f64 v[34:35], v[34:35], -v[176:177]
	ds_load_2addr_b64 v[176:179], v186 offset0:72 offset1:73
	s_waitcnt lgkmcnt(0)
	v_mul_f64 v[58:59], v[178:179], v[184:185]
	s_delay_alu instid0(VALU_DEP_1) | instskip(SKIP_1) | instid1(VALU_DEP_2)
	v_fma_f64 v[58:59], v[176:177], v[56:57], -v[58:59]
	v_mul_f64 v[176:177], v[176:177], v[184:185]
	v_add_f64 v[28:29], v[28:29], -v[58:59]
	s_delay_alu instid0(VALU_DEP_2) | instskip(NEXT) | instid1(VALU_DEP_1)
	v_fma_f64 v[176:177], v[178:179], v[56:57], v[176:177]
	v_add_f64 v[30:31], v[30:31], -v[176:177]
	ds_load_2addr_b64 v[176:179], v186 offset0:74 offset1:75
	s_waitcnt lgkmcnt(0)
	v_mul_f64 v[58:59], v[178:179], v[184:185]
	s_delay_alu instid0(VALU_DEP_1) | instskip(SKIP_1) | instid1(VALU_DEP_2)
	v_fma_f64 v[58:59], v[176:177], v[56:57], -v[58:59]
	v_mul_f64 v[176:177], v[176:177], v[184:185]
	v_add_f64 v[24:25], v[24:25], -v[58:59]
	s_delay_alu instid0(VALU_DEP_2) | instskip(NEXT) | instid1(VALU_DEP_1)
	v_fma_f64 v[176:177], v[178:179], v[56:57], v[176:177]
	v_add_f64 v[26:27], v[26:27], -v[176:177]
	ds_load_2addr_b64 v[176:179], v186 offset0:76 offset1:77
	s_waitcnt lgkmcnt(0)
	v_mul_f64 v[58:59], v[178:179], v[184:185]
	s_delay_alu instid0(VALU_DEP_1) | instskip(SKIP_1) | instid1(VALU_DEP_2)
	v_fma_f64 v[58:59], v[176:177], v[56:57], -v[58:59]
	v_mul_f64 v[176:177], v[176:177], v[184:185]
	v_add_f64 v[20:21], v[20:21], -v[58:59]
	s_delay_alu instid0(VALU_DEP_2) | instskip(NEXT) | instid1(VALU_DEP_1)
	v_fma_f64 v[176:177], v[178:179], v[56:57], v[176:177]
	v_add_f64 v[22:23], v[22:23], -v[176:177]
	ds_load_2addr_b64 v[176:179], v186 offset0:78 offset1:79
	s_waitcnt lgkmcnt(0)
	v_mul_f64 v[58:59], v[178:179], v[184:185]
	s_delay_alu instid0(VALU_DEP_1) | instskip(SKIP_1) | instid1(VALU_DEP_2)
	v_fma_f64 v[58:59], v[176:177], v[56:57], -v[58:59]
	v_mul_f64 v[176:177], v[176:177], v[184:185]
	v_add_f64 v[16:17], v[16:17], -v[58:59]
	s_delay_alu instid0(VALU_DEP_2) | instskip(NEXT) | instid1(VALU_DEP_1)
	v_fma_f64 v[176:177], v[178:179], v[56:57], v[176:177]
	v_add_f64 v[18:19], v[18:19], -v[176:177]
	ds_load_2addr_b64 v[176:179], v186 offset0:80 offset1:81
	s_waitcnt lgkmcnt(0)
	v_mul_f64 v[58:59], v[178:179], v[184:185]
	s_delay_alu instid0(VALU_DEP_1) | instskip(SKIP_1) | instid1(VALU_DEP_2)
	v_fma_f64 v[58:59], v[176:177], v[56:57], -v[58:59]
	v_mul_f64 v[176:177], v[176:177], v[184:185]
	v_add_f64 v[12:13], v[12:13], -v[58:59]
	s_delay_alu instid0(VALU_DEP_2) | instskip(NEXT) | instid1(VALU_DEP_1)
	v_fma_f64 v[176:177], v[178:179], v[56:57], v[176:177]
	v_add_f64 v[14:15], v[14:15], -v[176:177]
	ds_load_2addr_b64 v[176:179], v186 offset0:82 offset1:83
	s_waitcnt lgkmcnt(0)
	v_mul_f64 v[58:59], v[178:179], v[184:185]
	s_delay_alu instid0(VALU_DEP_1) | instskip(SKIP_1) | instid1(VALU_DEP_2)
	v_fma_f64 v[58:59], v[176:177], v[56:57], -v[58:59]
	v_mul_f64 v[176:177], v[176:177], v[184:185]
	v_add_f64 v[8:9], v[8:9], -v[58:59]
	s_delay_alu instid0(VALU_DEP_2) | instskip(NEXT) | instid1(VALU_DEP_1)
	v_fma_f64 v[176:177], v[178:179], v[56:57], v[176:177]
	v_add_f64 v[10:11], v[10:11], -v[176:177]
	ds_load_2addr_b64 v[176:179], v186 offset0:84 offset1:85
	s_waitcnt lgkmcnt(0)
	v_mul_f64 v[58:59], v[178:179], v[184:185]
	s_delay_alu instid0(VALU_DEP_1) | instskip(SKIP_1) | instid1(VALU_DEP_2)
	v_fma_f64 v[58:59], v[176:177], v[56:57], -v[58:59]
	v_mul_f64 v[176:177], v[176:177], v[184:185]
	v_add_f64 v[4:5], v[4:5], -v[58:59]
	s_delay_alu instid0(VALU_DEP_2) | instskip(NEXT) | instid1(VALU_DEP_1)
	v_fma_f64 v[176:177], v[178:179], v[56:57], v[176:177]
	v_add_f64 v[6:7], v[6:7], -v[176:177]
	ds_load_2addr_b64 v[176:179], v186 offset0:86 offset1:87
	s_waitcnt lgkmcnt(0)
	v_mul_f64 v[58:59], v[178:179], v[184:185]
	s_delay_alu instid0(VALU_DEP_1) | instskip(SKIP_1) | instid1(VALU_DEP_2)
	v_fma_f64 v[58:59], v[176:177], v[56:57], -v[58:59]
	v_mul_f64 v[176:177], v[176:177], v[184:185]
	v_add_f64 v[0:1], v[0:1], -v[58:59]
	s_delay_alu instid0(VALU_DEP_2) | instskip(SKIP_1) | instid1(VALU_DEP_2)
	v_fma_f64 v[176:177], v[178:179], v[56:57], v[176:177]
	v_dual_mov_b32 v58, v184 :: v_dual_mov_b32 v59, v185
	v_add_f64 v[2:3], v[2:3], -v[176:177]
.LBB86_629:
	s_or_b32 exec_lo, exec_lo, s2
	v_lshl_add_u32 v176, v192, 4, v186
	s_barrier
	buffer_gl0_inv
	v_mov_b32_e32 v184, 30
	ds_store_2addr_b64 v176, v[52:53], v[54:55] offset1:1
	s_waitcnt lgkmcnt(0)
	s_barrier
	buffer_gl0_inv
	ds_load_2addr_b64 v[176:179], v186 offset0:60 offset1:61
	s_cmp_lt_i32 s5, 32
	s_cbranch_scc1 .LBB86_632
; %bb.630:
	v_add3_u32 v185, v190, 0, 0x1f0
	v_mov_b32_e32 v184, 30
	s_mov_b32 s6, 31
	s_set_inst_prefetch_distance 0x1
	.p2align	6
.LBB86_631:                             ; =>This Inner Loop Header: Depth=1
	ds_load_2addr_b64 v[193:196], v185 offset1:1
	s_waitcnt lgkmcnt(1)
	v_cmp_gt_f64_e32 vcc_lo, 0, v[176:177]
	v_xor_b32_e32 v197, 0x80000000, v177
	v_cmp_gt_f64_e64 s2, 0, v[178:179]
	v_xor_b32_e32 v199, 0x80000000, v179
	v_add_nc_u32_e32 v185, 16, v185
	s_waitcnt lgkmcnt(0)
	v_cmp_gt_f64_e64 s3, 0, v[193:194]
	v_mov_b32_e32 v201, v193
	v_dual_mov_b32 v203, v195 :: v_dual_cndmask_b32 v198, v177, v197
	v_xor_b32_e32 v197, 0x80000000, v194
	v_cndmask_b32_e64 v200, v179, v199, s2
	v_xor_b32_e32 v199, 0x80000000, v196
	s_delay_alu instid0(VALU_DEP_3) | instskip(SKIP_2) | instid1(VALU_DEP_2)
	v_cndmask_b32_e64 v202, v194, v197, s3
	v_cmp_gt_f64_e64 s3, 0, v[195:196]
	v_cndmask_b32_e32 v197, v176, v176, vcc_lo
	v_cndmask_b32_e64 v204, v196, v199, s3
	v_cndmask_b32_e64 v199, v178, v178, s2
	s_delay_alu instid0(VALU_DEP_2) | instskip(NEXT) | instid1(VALU_DEP_2)
	v_add_f64 v[201:202], v[201:202], v[203:204]
	v_add_f64 v[197:198], v[197:198], v[199:200]
	s_delay_alu instid0(VALU_DEP_1) | instskip(SKIP_4) | instid1(SALU_CYCLE_1)
	v_cmp_lt_f64_e32 vcc_lo, v[197:198], v[201:202]
	v_dual_cndmask_b32 v178, v178, v195 :: v_dual_cndmask_b32 v177, v177, v194
	v_dual_cndmask_b32 v176, v176, v193 :: v_dual_cndmask_b32 v179, v179, v196
	v_cndmask_b32_e64 v184, v184, s6, vcc_lo
	s_add_i32 s6, s6, 1
	s_cmp_lg_u32 s5, s6
	s_cbranch_scc1 .LBB86_631
.LBB86_632:
	s_set_inst_prefetch_distance 0x2
	s_waitcnt lgkmcnt(0)
	v_cmp_eq_f64_e32 vcc_lo, 0, v[176:177]
	v_cmp_eq_f64_e64 s2, 0, v[178:179]
	s_delay_alu instid0(VALU_DEP_1) | instskip(NEXT) | instid1(SALU_CYCLE_1)
	s_and_b32 s2, vcc_lo, s2
	s_and_saveexec_b32 s3, s2
	s_delay_alu instid0(SALU_CYCLE_1)
	s_xor_b32 s2, exec_lo, s3
; %bb.633:
	v_cmp_ne_u32_e32 vcc_lo, 0, v189
	v_cndmask_b32_e32 v189, 31, v189, vcc_lo
; %bb.634:
	s_and_not1_saveexec_b32 s3, s2
	s_cbranch_execz .LBB86_640
; %bb.635:
	v_cmp_gt_f64_e32 vcc_lo, 0, v[176:177]
	v_cmp_gt_f64_e64 s2, 0, v[178:179]
	v_xor_b32_e32 v185, 0x80000000, v177
	v_xor_b32_e32 v193, 0x80000000, v179
	s_delay_alu instid0(VALU_DEP_2) | instskip(NEXT) | instid1(VALU_DEP_2)
	v_cndmask_b32_e32 v194, v177, v185, vcc_lo
	v_cndmask_b32_e64 v196, v179, v193, s2
	v_cndmask_b32_e32 v193, v176, v176, vcc_lo
	v_cndmask_b32_e64 v195, v178, v178, s2
	s_mov_b32 s2, exec_lo
	s_delay_alu instid0(VALU_DEP_1)
	v_cmpx_ngt_f64_e32 v[193:194], v[195:196]
	s_xor_b32 s2, exec_lo, s2
	s_cbranch_execz .LBB86_637
; %bb.636:
	v_div_scale_f64 v[193:194], null, v[178:179], v[178:179], v[176:177]
	v_div_scale_f64 v[199:200], vcc_lo, v[176:177], v[178:179], v[176:177]
	s_delay_alu instid0(VALU_DEP_2) | instskip(SKIP_2) | instid1(VALU_DEP_1)
	v_rcp_f64_e32 v[195:196], v[193:194]
	s_waitcnt_depctr 0xfff
	v_fma_f64 v[197:198], -v[193:194], v[195:196], 1.0
	v_fma_f64 v[195:196], v[195:196], v[197:198], v[195:196]
	s_delay_alu instid0(VALU_DEP_1) | instskip(NEXT) | instid1(VALU_DEP_1)
	v_fma_f64 v[197:198], -v[193:194], v[195:196], 1.0
	v_fma_f64 v[195:196], v[195:196], v[197:198], v[195:196]
	s_delay_alu instid0(VALU_DEP_1) | instskip(NEXT) | instid1(VALU_DEP_1)
	v_mul_f64 v[197:198], v[199:200], v[195:196]
	v_fma_f64 v[193:194], -v[193:194], v[197:198], v[199:200]
	s_delay_alu instid0(VALU_DEP_1) | instskip(NEXT) | instid1(VALU_DEP_1)
	v_div_fmas_f64 v[193:194], v[193:194], v[195:196], v[197:198]
	v_div_fixup_f64 v[193:194], v[193:194], v[178:179], v[176:177]
	s_delay_alu instid0(VALU_DEP_1) | instskip(NEXT) | instid1(VALU_DEP_1)
	v_fma_f64 v[176:177], v[176:177], v[193:194], v[178:179]
	v_div_scale_f64 v[178:179], null, v[176:177], v[176:177], 1.0
	s_delay_alu instid0(VALU_DEP_1) | instskip(SKIP_2) | instid1(VALU_DEP_1)
	v_rcp_f64_e32 v[195:196], v[178:179]
	s_waitcnt_depctr 0xfff
	v_fma_f64 v[197:198], -v[178:179], v[195:196], 1.0
	v_fma_f64 v[195:196], v[195:196], v[197:198], v[195:196]
	s_delay_alu instid0(VALU_DEP_1) | instskip(NEXT) | instid1(VALU_DEP_1)
	v_fma_f64 v[197:198], -v[178:179], v[195:196], 1.0
	v_fma_f64 v[195:196], v[195:196], v[197:198], v[195:196]
	v_div_scale_f64 v[197:198], vcc_lo, 1.0, v[176:177], 1.0
	s_delay_alu instid0(VALU_DEP_1) | instskip(NEXT) | instid1(VALU_DEP_1)
	v_mul_f64 v[199:200], v[197:198], v[195:196]
	v_fma_f64 v[178:179], -v[178:179], v[199:200], v[197:198]
	s_delay_alu instid0(VALU_DEP_1) | instskip(NEXT) | instid1(VALU_DEP_1)
	v_div_fmas_f64 v[178:179], v[178:179], v[195:196], v[199:200]
	v_div_fixup_f64 v[178:179], v[178:179], v[176:177], 1.0
	s_delay_alu instid0(VALU_DEP_1)
	v_mul_f64 v[176:177], v[193:194], v[178:179]
	v_xor_b32_e32 v179, 0x80000000, v179
.LBB86_637:
	s_and_not1_saveexec_b32 s2, s2
	s_cbranch_execz .LBB86_639
; %bb.638:
	s_delay_alu instid0(VALU_DEP_1) | instskip(SKIP_1) | instid1(VALU_DEP_2)
	v_div_scale_f64 v[193:194], null, v[176:177], v[176:177], v[178:179]
	v_div_scale_f64 v[199:200], vcc_lo, v[178:179], v[176:177], v[178:179]
	v_rcp_f64_e32 v[195:196], v[193:194]
	s_waitcnt_depctr 0xfff
	v_fma_f64 v[197:198], -v[193:194], v[195:196], 1.0
	s_delay_alu instid0(VALU_DEP_1) | instskip(NEXT) | instid1(VALU_DEP_1)
	v_fma_f64 v[195:196], v[195:196], v[197:198], v[195:196]
	v_fma_f64 v[197:198], -v[193:194], v[195:196], 1.0
	s_delay_alu instid0(VALU_DEP_1) | instskip(NEXT) | instid1(VALU_DEP_1)
	v_fma_f64 v[195:196], v[195:196], v[197:198], v[195:196]
	v_mul_f64 v[197:198], v[199:200], v[195:196]
	s_delay_alu instid0(VALU_DEP_1) | instskip(NEXT) | instid1(VALU_DEP_1)
	v_fma_f64 v[193:194], -v[193:194], v[197:198], v[199:200]
	v_div_fmas_f64 v[193:194], v[193:194], v[195:196], v[197:198]
	s_delay_alu instid0(VALU_DEP_1) | instskip(NEXT) | instid1(VALU_DEP_1)
	v_div_fixup_f64 v[193:194], v[193:194], v[176:177], v[178:179]
	v_fma_f64 v[176:177], v[178:179], v[193:194], v[176:177]
	s_delay_alu instid0(VALU_DEP_1) | instskip(NEXT) | instid1(VALU_DEP_1)
	v_div_scale_f64 v[178:179], null, v[176:177], v[176:177], 1.0
	v_rcp_f64_e32 v[195:196], v[178:179]
	s_waitcnt_depctr 0xfff
	v_fma_f64 v[197:198], -v[178:179], v[195:196], 1.0
	s_delay_alu instid0(VALU_DEP_1) | instskip(NEXT) | instid1(VALU_DEP_1)
	v_fma_f64 v[195:196], v[195:196], v[197:198], v[195:196]
	v_fma_f64 v[197:198], -v[178:179], v[195:196], 1.0
	s_delay_alu instid0(VALU_DEP_1) | instskip(SKIP_1) | instid1(VALU_DEP_1)
	v_fma_f64 v[195:196], v[195:196], v[197:198], v[195:196]
	v_div_scale_f64 v[197:198], vcc_lo, 1.0, v[176:177], 1.0
	v_mul_f64 v[199:200], v[197:198], v[195:196]
	s_delay_alu instid0(VALU_DEP_1) | instskip(NEXT) | instid1(VALU_DEP_1)
	v_fma_f64 v[178:179], -v[178:179], v[199:200], v[197:198]
	v_div_fmas_f64 v[178:179], v[178:179], v[195:196], v[199:200]
	s_delay_alu instid0(VALU_DEP_1) | instskip(NEXT) | instid1(VALU_DEP_1)
	v_div_fixup_f64 v[176:177], v[178:179], v[176:177], 1.0
	v_mul_f64 v[178:179], v[193:194], -v[176:177]
.LBB86_639:
	s_or_b32 exec_lo, exec_lo, s2
.LBB86_640:
	s_delay_alu instid0(SALU_CYCLE_1) | instskip(NEXT) | instid1(SALU_CYCLE_1)
	s_or_b32 exec_lo, exec_lo, s3
	s_mov_b32 s2, exec_lo
	v_cmpx_ne_u32_e64 v192, v184
	s_xor_b32 s2, exec_lo, s2
	s_cbranch_execz .LBB86_646
; %bb.641:
	s_mov_b32 s3, exec_lo
	v_cmpx_eq_u32_e32 30, v192
	s_cbranch_execz .LBB86_645
; %bb.642:
	v_cmp_ne_u32_e32 vcc_lo, 30, v184
	s_xor_b32 s6, s4, -1
	s_delay_alu instid0(SALU_CYCLE_1) | instskip(NEXT) | instid1(SALU_CYCLE_1)
	s_and_b32 s7, s6, vcc_lo
	s_and_saveexec_b32 s6, s7
	s_cbranch_execz .LBB86_644
; %bb.643:
	v_ashrrev_i32_e32 v185, 31, v184
	s_delay_alu instid0(VALU_DEP_1) | instskip(NEXT) | instid1(VALU_DEP_1)
	v_lshlrev_b64 v[191:192], 2, v[184:185]
	v_add_co_u32 v191, vcc_lo, v182, v191
	s_delay_alu instid0(VALU_DEP_2)
	v_add_co_ci_u32_e32 v192, vcc_lo, v183, v192, vcc_lo
	s_clause 0x1
	flat_load_b32 v185, v[191:192]
	flat_load_b32 v193, v[182:183] offset:120
	s_waitcnt vmcnt(1) lgkmcnt(1)
	flat_store_b32 v[182:183], v185 offset:120
	s_waitcnt vmcnt(0) lgkmcnt(1)
	flat_store_b32 v[191:192], v193
.LBB86_644:
	s_or_b32 exec_lo, exec_lo, s6
	v_mov_b32_e32 v192, v184
	v_mov_b32_e32 v191, v184
.LBB86_645:
	s_or_b32 exec_lo, exec_lo, s3
.LBB86_646:
	s_and_not1_saveexec_b32 s2, s2
	s_cbranch_execz .LBB86_648
; %bb.647:
	v_mov_b32_e32 v192, 30
	ds_store_2addr_b64 v186, v[48:49], v[50:51] offset0:62 offset1:63
	ds_store_2addr_b64 v186, v[44:45], v[46:47] offset0:64 offset1:65
	;; [unrolled: 1-line block ×13, first 2 shown]
.LBB86_648:
	s_or_b32 exec_lo, exec_lo, s2
	s_delay_alu instid0(SALU_CYCLE_1)
	s_mov_b32 s2, exec_lo
	s_waitcnt lgkmcnt(0)
	s_waitcnt_vscnt null, 0x0
	s_barrier
	buffer_gl0_inv
	v_cmpx_lt_i32_e32 30, v192
	s_cbranch_execz .LBB86_650
; %bb.649:
	v_mul_f64 v[184:185], v[176:177], v[54:55]
	v_mul_f64 v[54:55], v[178:179], v[54:55]
	s_delay_alu instid0(VALU_DEP_2) | instskip(NEXT) | instid1(VALU_DEP_2)
	v_fma_f64 v[184:185], v[178:179], v[52:53], v[184:185]
	v_fma_f64 v[52:53], v[176:177], v[52:53], -v[54:55]
	ds_load_2addr_b64 v[176:179], v186 offset0:62 offset1:63
	s_waitcnt lgkmcnt(0)
	v_mul_f64 v[54:55], v[178:179], v[184:185]
	s_delay_alu instid0(VALU_DEP_1) | instskip(SKIP_1) | instid1(VALU_DEP_2)
	v_fma_f64 v[54:55], v[176:177], v[52:53], -v[54:55]
	v_mul_f64 v[176:177], v[176:177], v[184:185]
	v_add_f64 v[48:49], v[48:49], -v[54:55]
	s_delay_alu instid0(VALU_DEP_2) | instskip(NEXT) | instid1(VALU_DEP_1)
	v_fma_f64 v[176:177], v[178:179], v[52:53], v[176:177]
	v_add_f64 v[50:51], v[50:51], -v[176:177]
	ds_load_2addr_b64 v[176:179], v186 offset0:64 offset1:65
	s_waitcnt lgkmcnt(0)
	v_mul_f64 v[54:55], v[178:179], v[184:185]
	s_delay_alu instid0(VALU_DEP_1) | instskip(SKIP_1) | instid1(VALU_DEP_2)
	v_fma_f64 v[54:55], v[176:177], v[52:53], -v[54:55]
	v_mul_f64 v[176:177], v[176:177], v[184:185]
	v_add_f64 v[44:45], v[44:45], -v[54:55]
	s_delay_alu instid0(VALU_DEP_2) | instskip(NEXT) | instid1(VALU_DEP_1)
	v_fma_f64 v[176:177], v[178:179], v[52:53], v[176:177]
	v_add_f64 v[46:47], v[46:47], -v[176:177]
	;; [unrolled: 10-line block ×12, first 2 shown]
	ds_load_2addr_b64 v[176:179], v186 offset0:86 offset1:87
	s_waitcnt lgkmcnt(0)
	v_mul_f64 v[54:55], v[178:179], v[184:185]
	s_delay_alu instid0(VALU_DEP_1) | instskip(SKIP_1) | instid1(VALU_DEP_2)
	v_fma_f64 v[54:55], v[176:177], v[52:53], -v[54:55]
	v_mul_f64 v[176:177], v[176:177], v[184:185]
	v_add_f64 v[0:1], v[0:1], -v[54:55]
	s_delay_alu instid0(VALU_DEP_2) | instskip(SKIP_1) | instid1(VALU_DEP_2)
	v_fma_f64 v[176:177], v[178:179], v[52:53], v[176:177]
	v_dual_mov_b32 v54, v184 :: v_dual_mov_b32 v55, v185
	v_add_f64 v[2:3], v[2:3], -v[176:177]
.LBB86_650:
	s_or_b32 exec_lo, exec_lo, s2
	v_lshl_add_u32 v176, v192, 4, v186
	s_barrier
	buffer_gl0_inv
	v_mov_b32_e32 v184, 31
	ds_store_2addr_b64 v176, v[48:49], v[50:51] offset1:1
	s_waitcnt lgkmcnt(0)
	s_barrier
	buffer_gl0_inv
	ds_load_2addr_b64 v[176:179], v186 offset0:62 offset1:63
	s_cmp_lt_i32 s5, 33
	s_cbranch_scc1 .LBB86_653
; %bb.651:
	v_add3_u32 v185, v190, 0, 0x200
	v_mov_b32_e32 v184, 31
	s_mov_b32 s6, 32
	s_set_inst_prefetch_distance 0x1
	.p2align	6
.LBB86_652:                             ; =>This Inner Loop Header: Depth=1
	ds_load_2addr_b64 v[193:196], v185 offset1:1
	s_waitcnt lgkmcnt(1)
	v_cmp_gt_f64_e32 vcc_lo, 0, v[176:177]
	v_xor_b32_e32 v197, 0x80000000, v177
	v_cmp_gt_f64_e64 s2, 0, v[178:179]
	v_xor_b32_e32 v199, 0x80000000, v179
	v_add_nc_u32_e32 v185, 16, v185
	s_waitcnt lgkmcnt(0)
	v_cmp_gt_f64_e64 s3, 0, v[193:194]
	v_mov_b32_e32 v201, v193
	v_dual_mov_b32 v203, v195 :: v_dual_cndmask_b32 v198, v177, v197
	v_xor_b32_e32 v197, 0x80000000, v194
	v_cndmask_b32_e64 v200, v179, v199, s2
	v_xor_b32_e32 v199, 0x80000000, v196
	s_delay_alu instid0(VALU_DEP_3) | instskip(SKIP_2) | instid1(VALU_DEP_2)
	v_cndmask_b32_e64 v202, v194, v197, s3
	v_cmp_gt_f64_e64 s3, 0, v[195:196]
	v_cndmask_b32_e32 v197, v176, v176, vcc_lo
	v_cndmask_b32_e64 v204, v196, v199, s3
	v_cndmask_b32_e64 v199, v178, v178, s2
	s_delay_alu instid0(VALU_DEP_2) | instskip(NEXT) | instid1(VALU_DEP_2)
	v_add_f64 v[201:202], v[201:202], v[203:204]
	v_add_f64 v[197:198], v[197:198], v[199:200]
	s_delay_alu instid0(VALU_DEP_1) | instskip(SKIP_4) | instid1(SALU_CYCLE_1)
	v_cmp_lt_f64_e32 vcc_lo, v[197:198], v[201:202]
	v_dual_cndmask_b32 v178, v178, v195 :: v_dual_cndmask_b32 v177, v177, v194
	v_dual_cndmask_b32 v176, v176, v193 :: v_dual_cndmask_b32 v179, v179, v196
	v_cndmask_b32_e64 v184, v184, s6, vcc_lo
	s_add_i32 s6, s6, 1
	s_cmp_lg_u32 s5, s6
	s_cbranch_scc1 .LBB86_652
.LBB86_653:
	s_set_inst_prefetch_distance 0x2
	s_waitcnt lgkmcnt(0)
	v_cmp_eq_f64_e32 vcc_lo, 0, v[176:177]
	v_cmp_eq_f64_e64 s2, 0, v[178:179]
	s_delay_alu instid0(VALU_DEP_1) | instskip(NEXT) | instid1(SALU_CYCLE_1)
	s_and_b32 s2, vcc_lo, s2
	s_and_saveexec_b32 s3, s2
	s_delay_alu instid0(SALU_CYCLE_1)
	s_xor_b32 s2, exec_lo, s3
; %bb.654:
	v_cmp_ne_u32_e32 vcc_lo, 0, v189
	v_cndmask_b32_e32 v189, 32, v189, vcc_lo
; %bb.655:
	s_and_not1_saveexec_b32 s3, s2
	s_cbranch_execz .LBB86_661
; %bb.656:
	v_cmp_gt_f64_e32 vcc_lo, 0, v[176:177]
	v_cmp_gt_f64_e64 s2, 0, v[178:179]
	v_xor_b32_e32 v185, 0x80000000, v177
	v_xor_b32_e32 v193, 0x80000000, v179
	s_delay_alu instid0(VALU_DEP_2) | instskip(NEXT) | instid1(VALU_DEP_2)
	v_cndmask_b32_e32 v194, v177, v185, vcc_lo
	v_cndmask_b32_e64 v196, v179, v193, s2
	v_cndmask_b32_e32 v193, v176, v176, vcc_lo
	v_cndmask_b32_e64 v195, v178, v178, s2
	s_mov_b32 s2, exec_lo
	s_delay_alu instid0(VALU_DEP_1)
	v_cmpx_ngt_f64_e32 v[193:194], v[195:196]
	s_xor_b32 s2, exec_lo, s2
	s_cbranch_execz .LBB86_658
; %bb.657:
	v_div_scale_f64 v[193:194], null, v[178:179], v[178:179], v[176:177]
	v_div_scale_f64 v[199:200], vcc_lo, v[176:177], v[178:179], v[176:177]
	s_delay_alu instid0(VALU_DEP_2) | instskip(SKIP_2) | instid1(VALU_DEP_1)
	v_rcp_f64_e32 v[195:196], v[193:194]
	s_waitcnt_depctr 0xfff
	v_fma_f64 v[197:198], -v[193:194], v[195:196], 1.0
	v_fma_f64 v[195:196], v[195:196], v[197:198], v[195:196]
	s_delay_alu instid0(VALU_DEP_1) | instskip(NEXT) | instid1(VALU_DEP_1)
	v_fma_f64 v[197:198], -v[193:194], v[195:196], 1.0
	v_fma_f64 v[195:196], v[195:196], v[197:198], v[195:196]
	s_delay_alu instid0(VALU_DEP_1) | instskip(NEXT) | instid1(VALU_DEP_1)
	v_mul_f64 v[197:198], v[199:200], v[195:196]
	v_fma_f64 v[193:194], -v[193:194], v[197:198], v[199:200]
	s_delay_alu instid0(VALU_DEP_1) | instskip(NEXT) | instid1(VALU_DEP_1)
	v_div_fmas_f64 v[193:194], v[193:194], v[195:196], v[197:198]
	v_div_fixup_f64 v[193:194], v[193:194], v[178:179], v[176:177]
	s_delay_alu instid0(VALU_DEP_1) | instskip(NEXT) | instid1(VALU_DEP_1)
	v_fma_f64 v[176:177], v[176:177], v[193:194], v[178:179]
	v_div_scale_f64 v[178:179], null, v[176:177], v[176:177], 1.0
	s_delay_alu instid0(VALU_DEP_1) | instskip(SKIP_2) | instid1(VALU_DEP_1)
	v_rcp_f64_e32 v[195:196], v[178:179]
	s_waitcnt_depctr 0xfff
	v_fma_f64 v[197:198], -v[178:179], v[195:196], 1.0
	v_fma_f64 v[195:196], v[195:196], v[197:198], v[195:196]
	s_delay_alu instid0(VALU_DEP_1) | instskip(NEXT) | instid1(VALU_DEP_1)
	v_fma_f64 v[197:198], -v[178:179], v[195:196], 1.0
	v_fma_f64 v[195:196], v[195:196], v[197:198], v[195:196]
	v_div_scale_f64 v[197:198], vcc_lo, 1.0, v[176:177], 1.0
	s_delay_alu instid0(VALU_DEP_1) | instskip(NEXT) | instid1(VALU_DEP_1)
	v_mul_f64 v[199:200], v[197:198], v[195:196]
	v_fma_f64 v[178:179], -v[178:179], v[199:200], v[197:198]
	s_delay_alu instid0(VALU_DEP_1) | instskip(NEXT) | instid1(VALU_DEP_1)
	v_div_fmas_f64 v[178:179], v[178:179], v[195:196], v[199:200]
	v_div_fixup_f64 v[178:179], v[178:179], v[176:177], 1.0
	s_delay_alu instid0(VALU_DEP_1)
	v_mul_f64 v[176:177], v[193:194], v[178:179]
	v_xor_b32_e32 v179, 0x80000000, v179
.LBB86_658:
	s_and_not1_saveexec_b32 s2, s2
	s_cbranch_execz .LBB86_660
; %bb.659:
	s_delay_alu instid0(VALU_DEP_1) | instskip(SKIP_1) | instid1(VALU_DEP_2)
	v_div_scale_f64 v[193:194], null, v[176:177], v[176:177], v[178:179]
	v_div_scale_f64 v[199:200], vcc_lo, v[178:179], v[176:177], v[178:179]
	v_rcp_f64_e32 v[195:196], v[193:194]
	s_waitcnt_depctr 0xfff
	v_fma_f64 v[197:198], -v[193:194], v[195:196], 1.0
	s_delay_alu instid0(VALU_DEP_1) | instskip(NEXT) | instid1(VALU_DEP_1)
	v_fma_f64 v[195:196], v[195:196], v[197:198], v[195:196]
	v_fma_f64 v[197:198], -v[193:194], v[195:196], 1.0
	s_delay_alu instid0(VALU_DEP_1) | instskip(NEXT) | instid1(VALU_DEP_1)
	v_fma_f64 v[195:196], v[195:196], v[197:198], v[195:196]
	v_mul_f64 v[197:198], v[199:200], v[195:196]
	s_delay_alu instid0(VALU_DEP_1) | instskip(NEXT) | instid1(VALU_DEP_1)
	v_fma_f64 v[193:194], -v[193:194], v[197:198], v[199:200]
	v_div_fmas_f64 v[193:194], v[193:194], v[195:196], v[197:198]
	s_delay_alu instid0(VALU_DEP_1) | instskip(NEXT) | instid1(VALU_DEP_1)
	v_div_fixup_f64 v[193:194], v[193:194], v[176:177], v[178:179]
	v_fma_f64 v[176:177], v[178:179], v[193:194], v[176:177]
	s_delay_alu instid0(VALU_DEP_1) | instskip(NEXT) | instid1(VALU_DEP_1)
	v_div_scale_f64 v[178:179], null, v[176:177], v[176:177], 1.0
	v_rcp_f64_e32 v[195:196], v[178:179]
	s_waitcnt_depctr 0xfff
	v_fma_f64 v[197:198], -v[178:179], v[195:196], 1.0
	s_delay_alu instid0(VALU_DEP_1) | instskip(NEXT) | instid1(VALU_DEP_1)
	v_fma_f64 v[195:196], v[195:196], v[197:198], v[195:196]
	v_fma_f64 v[197:198], -v[178:179], v[195:196], 1.0
	s_delay_alu instid0(VALU_DEP_1) | instskip(SKIP_1) | instid1(VALU_DEP_1)
	v_fma_f64 v[195:196], v[195:196], v[197:198], v[195:196]
	v_div_scale_f64 v[197:198], vcc_lo, 1.0, v[176:177], 1.0
	v_mul_f64 v[199:200], v[197:198], v[195:196]
	s_delay_alu instid0(VALU_DEP_1) | instskip(NEXT) | instid1(VALU_DEP_1)
	v_fma_f64 v[178:179], -v[178:179], v[199:200], v[197:198]
	v_div_fmas_f64 v[178:179], v[178:179], v[195:196], v[199:200]
	s_delay_alu instid0(VALU_DEP_1) | instskip(NEXT) | instid1(VALU_DEP_1)
	v_div_fixup_f64 v[176:177], v[178:179], v[176:177], 1.0
	v_mul_f64 v[178:179], v[193:194], -v[176:177]
.LBB86_660:
	s_or_b32 exec_lo, exec_lo, s2
.LBB86_661:
	s_delay_alu instid0(SALU_CYCLE_1) | instskip(NEXT) | instid1(SALU_CYCLE_1)
	s_or_b32 exec_lo, exec_lo, s3
	s_mov_b32 s2, exec_lo
	v_cmpx_ne_u32_e64 v192, v184
	s_xor_b32 s2, exec_lo, s2
	s_cbranch_execz .LBB86_667
; %bb.662:
	s_mov_b32 s3, exec_lo
	v_cmpx_eq_u32_e32 31, v192
	s_cbranch_execz .LBB86_666
; %bb.663:
	v_cmp_ne_u32_e32 vcc_lo, 31, v184
	s_xor_b32 s6, s4, -1
	s_delay_alu instid0(SALU_CYCLE_1) | instskip(NEXT) | instid1(SALU_CYCLE_1)
	s_and_b32 s7, s6, vcc_lo
	s_and_saveexec_b32 s6, s7
	s_cbranch_execz .LBB86_665
; %bb.664:
	v_ashrrev_i32_e32 v185, 31, v184
	s_delay_alu instid0(VALU_DEP_1) | instskip(NEXT) | instid1(VALU_DEP_1)
	v_lshlrev_b64 v[191:192], 2, v[184:185]
	v_add_co_u32 v191, vcc_lo, v182, v191
	s_delay_alu instid0(VALU_DEP_2)
	v_add_co_ci_u32_e32 v192, vcc_lo, v183, v192, vcc_lo
	s_clause 0x1
	flat_load_b32 v185, v[191:192]
	flat_load_b32 v193, v[182:183] offset:124
	s_waitcnt vmcnt(1) lgkmcnt(1)
	flat_store_b32 v[182:183], v185 offset:124
	s_waitcnt vmcnt(0) lgkmcnt(1)
	flat_store_b32 v[191:192], v193
.LBB86_665:
	s_or_b32 exec_lo, exec_lo, s6
	v_mov_b32_e32 v192, v184
	v_mov_b32_e32 v191, v184
.LBB86_666:
	s_or_b32 exec_lo, exec_lo, s3
.LBB86_667:
	s_and_not1_saveexec_b32 s2, s2
	s_cbranch_execz .LBB86_669
; %bb.668:
	v_mov_b32_e32 v192, 31
	ds_store_2addr_b64 v186, v[44:45], v[46:47] offset0:64 offset1:65
	ds_store_2addr_b64 v186, v[40:41], v[42:43] offset0:66 offset1:67
	ds_store_2addr_b64 v186, v[36:37], v[38:39] offset0:68 offset1:69
	ds_store_2addr_b64 v186, v[32:33], v[34:35] offset0:70 offset1:71
	ds_store_2addr_b64 v186, v[28:29], v[30:31] offset0:72 offset1:73
	ds_store_2addr_b64 v186, v[24:25], v[26:27] offset0:74 offset1:75
	ds_store_2addr_b64 v186, v[20:21], v[22:23] offset0:76 offset1:77
	ds_store_2addr_b64 v186, v[16:17], v[18:19] offset0:78 offset1:79
	ds_store_2addr_b64 v186, v[12:13], v[14:15] offset0:80 offset1:81
	ds_store_2addr_b64 v186, v[8:9], v[10:11] offset0:82 offset1:83
	ds_store_2addr_b64 v186, v[4:5], v[6:7] offset0:84 offset1:85
	ds_store_2addr_b64 v186, v[0:1], v[2:3] offset0:86 offset1:87
.LBB86_669:
	s_or_b32 exec_lo, exec_lo, s2
	s_delay_alu instid0(SALU_CYCLE_1)
	s_mov_b32 s2, exec_lo
	s_waitcnt lgkmcnt(0)
	s_waitcnt_vscnt null, 0x0
	s_barrier
	buffer_gl0_inv
	v_cmpx_lt_i32_e32 31, v192
	s_cbranch_execz .LBB86_671
; %bb.670:
	v_mul_f64 v[184:185], v[176:177], v[50:51]
	v_mul_f64 v[50:51], v[178:179], v[50:51]
	s_delay_alu instid0(VALU_DEP_2) | instskip(NEXT) | instid1(VALU_DEP_2)
	v_fma_f64 v[184:185], v[178:179], v[48:49], v[184:185]
	v_fma_f64 v[48:49], v[176:177], v[48:49], -v[50:51]
	ds_load_2addr_b64 v[176:179], v186 offset0:64 offset1:65
	s_waitcnt lgkmcnt(0)
	v_mul_f64 v[50:51], v[178:179], v[184:185]
	s_delay_alu instid0(VALU_DEP_1) | instskip(SKIP_1) | instid1(VALU_DEP_2)
	v_fma_f64 v[50:51], v[176:177], v[48:49], -v[50:51]
	v_mul_f64 v[176:177], v[176:177], v[184:185]
	v_add_f64 v[44:45], v[44:45], -v[50:51]
	s_delay_alu instid0(VALU_DEP_2) | instskip(NEXT) | instid1(VALU_DEP_1)
	v_fma_f64 v[176:177], v[178:179], v[48:49], v[176:177]
	v_add_f64 v[46:47], v[46:47], -v[176:177]
	ds_load_2addr_b64 v[176:179], v186 offset0:66 offset1:67
	s_waitcnt lgkmcnt(0)
	v_mul_f64 v[50:51], v[178:179], v[184:185]
	s_delay_alu instid0(VALU_DEP_1) | instskip(SKIP_1) | instid1(VALU_DEP_2)
	v_fma_f64 v[50:51], v[176:177], v[48:49], -v[50:51]
	v_mul_f64 v[176:177], v[176:177], v[184:185]
	v_add_f64 v[40:41], v[40:41], -v[50:51]
	s_delay_alu instid0(VALU_DEP_2) | instskip(NEXT) | instid1(VALU_DEP_1)
	v_fma_f64 v[176:177], v[178:179], v[48:49], v[176:177]
	v_add_f64 v[42:43], v[42:43], -v[176:177]
	;; [unrolled: 10-line block ×11, first 2 shown]
	ds_load_2addr_b64 v[176:179], v186 offset0:86 offset1:87
	s_waitcnt lgkmcnt(0)
	v_mul_f64 v[50:51], v[178:179], v[184:185]
	s_delay_alu instid0(VALU_DEP_1) | instskip(SKIP_1) | instid1(VALU_DEP_2)
	v_fma_f64 v[50:51], v[176:177], v[48:49], -v[50:51]
	v_mul_f64 v[176:177], v[176:177], v[184:185]
	v_add_f64 v[0:1], v[0:1], -v[50:51]
	s_delay_alu instid0(VALU_DEP_2) | instskip(SKIP_1) | instid1(VALU_DEP_2)
	v_fma_f64 v[176:177], v[178:179], v[48:49], v[176:177]
	v_dual_mov_b32 v50, v184 :: v_dual_mov_b32 v51, v185
	v_add_f64 v[2:3], v[2:3], -v[176:177]
.LBB86_671:
	s_or_b32 exec_lo, exec_lo, s2
	v_lshl_add_u32 v176, v192, 4, v186
	s_barrier
	buffer_gl0_inv
	v_mov_b32_e32 v184, 32
	ds_store_2addr_b64 v176, v[44:45], v[46:47] offset1:1
	s_waitcnt lgkmcnt(0)
	s_barrier
	buffer_gl0_inv
	ds_load_2addr_b64 v[176:179], v186 offset0:64 offset1:65
	s_cmp_lt_i32 s5, 34
	s_cbranch_scc1 .LBB86_674
; %bb.672:
	v_add3_u32 v185, v190, 0, 0x210
	v_mov_b32_e32 v184, 32
	s_mov_b32 s6, 33
	s_set_inst_prefetch_distance 0x1
	.p2align	6
.LBB86_673:                             ; =>This Inner Loop Header: Depth=1
	ds_load_2addr_b64 v[193:196], v185 offset1:1
	s_waitcnt lgkmcnt(1)
	v_cmp_gt_f64_e32 vcc_lo, 0, v[176:177]
	v_xor_b32_e32 v197, 0x80000000, v177
	v_cmp_gt_f64_e64 s2, 0, v[178:179]
	v_xor_b32_e32 v199, 0x80000000, v179
	v_add_nc_u32_e32 v185, 16, v185
	s_waitcnt lgkmcnt(0)
	v_cmp_gt_f64_e64 s3, 0, v[193:194]
	v_mov_b32_e32 v201, v193
	v_dual_mov_b32 v203, v195 :: v_dual_cndmask_b32 v198, v177, v197
	v_xor_b32_e32 v197, 0x80000000, v194
	v_cndmask_b32_e64 v200, v179, v199, s2
	v_xor_b32_e32 v199, 0x80000000, v196
	s_delay_alu instid0(VALU_DEP_3) | instskip(SKIP_2) | instid1(VALU_DEP_2)
	v_cndmask_b32_e64 v202, v194, v197, s3
	v_cmp_gt_f64_e64 s3, 0, v[195:196]
	v_cndmask_b32_e32 v197, v176, v176, vcc_lo
	v_cndmask_b32_e64 v204, v196, v199, s3
	v_cndmask_b32_e64 v199, v178, v178, s2
	s_delay_alu instid0(VALU_DEP_2) | instskip(NEXT) | instid1(VALU_DEP_2)
	v_add_f64 v[201:202], v[201:202], v[203:204]
	v_add_f64 v[197:198], v[197:198], v[199:200]
	s_delay_alu instid0(VALU_DEP_1) | instskip(SKIP_4) | instid1(SALU_CYCLE_1)
	v_cmp_lt_f64_e32 vcc_lo, v[197:198], v[201:202]
	v_dual_cndmask_b32 v178, v178, v195 :: v_dual_cndmask_b32 v177, v177, v194
	v_dual_cndmask_b32 v176, v176, v193 :: v_dual_cndmask_b32 v179, v179, v196
	v_cndmask_b32_e64 v184, v184, s6, vcc_lo
	s_add_i32 s6, s6, 1
	s_cmp_lg_u32 s5, s6
	s_cbranch_scc1 .LBB86_673
.LBB86_674:
	s_set_inst_prefetch_distance 0x2
	s_waitcnt lgkmcnt(0)
	v_cmp_eq_f64_e32 vcc_lo, 0, v[176:177]
	v_cmp_eq_f64_e64 s2, 0, v[178:179]
	s_delay_alu instid0(VALU_DEP_1) | instskip(NEXT) | instid1(SALU_CYCLE_1)
	s_and_b32 s2, vcc_lo, s2
	s_and_saveexec_b32 s3, s2
	s_delay_alu instid0(SALU_CYCLE_1)
	s_xor_b32 s2, exec_lo, s3
; %bb.675:
	v_cmp_ne_u32_e32 vcc_lo, 0, v189
	v_cndmask_b32_e32 v189, 33, v189, vcc_lo
; %bb.676:
	s_and_not1_saveexec_b32 s3, s2
	s_cbranch_execz .LBB86_682
; %bb.677:
	v_cmp_gt_f64_e32 vcc_lo, 0, v[176:177]
	v_cmp_gt_f64_e64 s2, 0, v[178:179]
	v_xor_b32_e32 v185, 0x80000000, v177
	v_xor_b32_e32 v193, 0x80000000, v179
	s_delay_alu instid0(VALU_DEP_2) | instskip(NEXT) | instid1(VALU_DEP_2)
	v_cndmask_b32_e32 v194, v177, v185, vcc_lo
	v_cndmask_b32_e64 v196, v179, v193, s2
	v_cndmask_b32_e32 v193, v176, v176, vcc_lo
	v_cndmask_b32_e64 v195, v178, v178, s2
	s_mov_b32 s2, exec_lo
	s_delay_alu instid0(VALU_DEP_1)
	v_cmpx_ngt_f64_e32 v[193:194], v[195:196]
	s_xor_b32 s2, exec_lo, s2
	s_cbranch_execz .LBB86_679
; %bb.678:
	v_div_scale_f64 v[193:194], null, v[178:179], v[178:179], v[176:177]
	v_div_scale_f64 v[199:200], vcc_lo, v[176:177], v[178:179], v[176:177]
	s_delay_alu instid0(VALU_DEP_2) | instskip(SKIP_2) | instid1(VALU_DEP_1)
	v_rcp_f64_e32 v[195:196], v[193:194]
	s_waitcnt_depctr 0xfff
	v_fma_f64 v[197:198], -v[193:194], v[195:196], 1.0
	v_fma_f64 v[195:196], v[195:196], v[197:198], v[195:196]
	s_delay_alu instid0(VALU_DEP_1) | instskip(NEXT) | instid1(VALU_DEP_1)
	v_fma_f64 v[197:198], -v[193:194], v[195:196], 1.0
	v_fma_f64 v[195:196], v[195:196], v[197:198], v[195:196]
	s_delay_alu instid0(VALU_DEP_1) | instskip(NEXT) | instid1(VALU_DEP_1)
	v_mul_f64 v[197:198], v[199:200], v[195:196]
	v_fma_f64 v[193:194], -v[193:194], v[197:198], v[199:200]
	s_delay_alu instid0(VALU_DEP_1) | instskip(NEXT) | instid1(VALU_DEP_1)
	v_div_fmas_f64 v[193:194], v[193:194], v[195:196], v[197:198]
	v_div_fixup_f64 v[193:194], v[193:194], v[178:179], v[176:177]
	s_delay_alu instid0(VALU_DEP_1) | instskip(NEXT) | instid1(VALU_DEP_1)
	v_fma_f64 v[176:177], v[176:177], v[193:194], v[178:179]
	v_div_scale_f64 v[178:179], null, v[176:177], v[176:177], 1.0
	s_delay_alu instid0(VALU_DEP_1) | instskip(SKIP_2) | instid1(VALU_DEP_1)
	v_rcp_f64_e32 v[195:196], v[178:179]
	s_waitcnt_depctr 0xfff
	v_fma_f64 v[197:198], -v[178:179], v[195:196], 1.0
	v_fma_f64 v[195:196], v[195:196], v[197:198], v[195:196]
	s_delay_alu instid0(VALU_DEP_1) | instskip(NEXT) | instid1(VALU_DEP_1)
	v_fma_f64 v[197:198], -v[178:179], v[195:196], 1.0
	v_fma_f64 v[195:196], v[195:196], v[197:198], v[195:196]
	v_div_scale_f64 v[197:198], vcc_lo, 1.0, v[176:177], 1.0
	s_delay_alu instid0(VALU_DEP_1) | instskip(NEXT) | instid1(VALU_DEP_1)
	v_mul_f64 v[199:200], v[197:198], v[195:196]
	v_fma_f64 v[178:179], -v[178:179], v[199:200], v[197:198]
	s_delay_alu instid0(VALU_DEP_1) | instskip(NEXT) | instid1(VALU_DEP_1)
	v_div_fmas_f64 v[178:179], v[178:179], v[195:196], v[199:200]
	v_div_fixup_f64 v[178:179], v[178:179], v[176:177], 1.0
	s_delay_alu instid0(VALU_DEP_1)
	v_mul_f64 v[176:177], v[193:194], v[178:179]
	v_xor_b32_e32 v179, 0x80000000, v179
.LBB86_679:
	s_and_not1_saveexec_b32 s2, s2
	s_cbranch_execz .LBB86_681
; %bb.680:
	s_delay_alu instid0(VALU_DEP_1) | instskip(SKIP_1) | instid1(VALU_DEP_2)
	v_div_scale_f64 v[193:194], null, v[176:177], v[176:177], v[178:179]
	v_div_scale_f64 v[199:200], vcc_lo, v[178:179], v[176:177], v[178:179]
	v_rcp_f64_e32 v[195:196], v[193:194]
	s_waitcnt_depctr 0xfff
	v_fma_f64 v[197:198], -v[193:194], v[195:196], 1.0
	s_delay_alu instid0(VALU_DEP_1) | instskip(NEXT) | instid1(VALU_DEP_1)
	v_fma_f64 v[195:196], v[195:196], v[197:198], v[195:196]
	v_fma_f64 v[197:198], -v[193:194], v[195:196], 1.0
	s_delay_alu instid0(VALU_DEP_1) | instskip(NEXT) | instid1(VALU_DEP_1)
	v_fma_f64 v[195:196], v[195:196], v[197:198], v[195:196]
	v_mul_f64 v[197:198], v[199:200], v[195:196]
	s_delay_alu instid0(VALU_DEP_1) | instskip(NEXT) | instid1(VALU_DEP_1)
	v_fma_f64 v[193:194], -v[193:194], v[197:198], v[199:200]
	v_div_fmas_f64 v[193:194], v[193:194], v[195:196], v[197:198]
	s_delay_alu instid0(VALU_DEP_1) | instskip(NEXT) | instid1(VALU_DEP_1)
	v_div_fixup_f64 v[193:194], v[193:194], v[176:177], v[178:179]
	v_fma_f64 v[176:177], v[178:179], v[193:194], v[176:177]
	s_delay_alu instid0(VALU_DEP_1) | instskip(NEXT) | instid1(VALU_DEP_1)
	v_div_scale_f64 v[178:179], null, v[176:177], v[176:177], 1.0
	v_rcp_f64_e32 v[195:196], v[178:179]
	s_waitcnt_depctr 0xfff
	v_fma_f64 v[197:198], -v[178:179], v[195:196], 1.0
	s_delay_alu instid0(VALU_DEP_1) | instskip(NEXT) | instid1(VALU_DEP_1)
	v_fma_f64 v[195:196], v[195:196], v[197:198], v[195:196]
	v_fma_f64 v[197:198], -v[178:179], v[195:196], 1.0
	s_delay_alu instid0(VALU_DEP_1) | instskip(SKIP_1) | instid1(VALU_DEP_1)
	v_fma_f64 v[195:196], v[195:196], v[197:198], v[195:196]
	v_div_scale_f64 v[197:198], vcc_lo, 1.0, v[176:177], 1.0
	v_mul_f64 v[199:200], v[197:198], v[195:196]
	s_delay_alu instid0(VALU_DEP_1) | instskip(NEXT) | instid1(VALU_DEP_1)
	v_fma_f64 v[178:179], -v[178:179], v[199:200], v[197:198]
	v_div_fmas_f64 v[178:179], v[178:179], v[195:196], v[199:200]
	s_delay_alu instid0(VALU_DEP_1) | instskip(NEXT) | instid1(VALU_DEP_1)
	v_div_fixup_f64 v[176:177], v[178:179], v[176:177], 1.0
	v_mul_f64 v[178:179], v[193:194], -v[176:177]
.LBB86_681:
	s_or_b32 exec_lo, exec_lo, s2
.LBB86_682:
	s_delay_alu instid0(SALU_CYCLE_1) | instskip(NEXT) | instid1(SALU_CYCLE_1)
	s_or_b32 exec_lo, exec_lo, s3
	s_mov_b32 s2, exec_lo
	v_cmpx_ne_u32_e64 v192, v184
	s_xor_b32 s2, exec_lo, s2
	s_cbranch_execz .LBB86_688
; %bb.683:
	s_mov_b32 s3, exec_lo
	v_cmpx_eq_u32_e32 32, v192
	s_cbranch_execz .LBB86_687
; %bb.684:
	v_cmp_ne_u32_e32 vcc_lo, 32, v184
	s_xor_b32 s6, s4, -1
	s_delay_alu instid0(SALU_CYCLE_1) | instskip(NEXT) | instid1(SALU_CYCLE_1)
	s_and_b32 s7, s6, vcc_lo
	s_and_saveexec_b32 s6, s7
	s_cbranch_execz .LBB86_686
; %bb.685:
	v_ashrrev_i32_e32 v185, 31, v184
	s_delay_alu instid0(VALU_DEP_1) | instskip(NEXT) | instid1(VALU_DEP_1)
	v_lshlrev_b64 v[191:192], 2, v[184:185]
	v_add_co_u32 v191, vcc_lo, v182, v191
	s_delay_alu instid0(VALU_DEP_2)
	v_add_co_ci_u32_e32 v192, vcc_lo, v183, v192, vcc_lo
	s_clause 0x1
	flat_load_b32 v185, v[191:192]
	flat_load_b32 v193, v[182:183] offset:128
	s_waitcnt vmcnt(1) lgkmcnt(1)
	flat_store_b32 v[182:183], v185 offset:128
	s_waitcnt vmcnt(0) lgkmcnt(1)
	flat_store_b32 v[191:192], v193
.LBB86_686:
	s_or_b32 exec_lo, exec_lo, s6
	v_mov_b32_e32 v192, v184
	v_mov_b32_e32 v191, v184
.LBB86_687:
	s_or_b32 exec_lo, exec_lo, s3
.LBB86_688:
	s_and_not1_saveexec_b32 s2, s2
	s_cbranch_execz .LBB86_690
; %bb.689:
	v_mov_b32_e32 v192, 32
	ds_store_2addr_b64 v186, v[40:41], v[42:43] offset0:66 offset1:67
	ds_store_2addr_b64 v186, v[36:37], v[38:39] offset0:68 offset1:69
	;; [unrolled: 1-line block ×11, first 2 shown]
.LBB86_690:
	s_or_b32 exec_lo, exec_lo, s2
	s_delay_alu instid0(SALU_CYCLE_1)
	s_mov_b32 s2, exec_lo
	s_waitcnt lgkmcnt(0)
	s_waitcnt_vscnt null, 0x0
	s_barrier
	buffer_gl0_inv
	v_cmpx_lt_i32_e32 32, v192
	s_cbranch_execz .LBB86_692
; %bb.691:
	v_mul_f64 v[184:185], v[176:177], v[46:47]
	v_mul_f64 v[46:47], v[178:179], v[46:47]
	s_delay_alu instid0(VALU_DEP_2) | instskip(NEXT) | instid1(VALU_DEP_2)
	v_fma_f64 v[184:185], v[178:179], v[44:45], v[184:185]
	v_fma_f64 v[44:45], v[176:177], v[44:45], -v[46:47]
	ds_load_2addr_b64 v[176:179], v186 offset0:66 offset1:67
	s_waitcnt lgkmcnt(0)
	v_mul_f64 v[46:47], v[178:179], v[184:185]
	s_delay_alu instid0(VALU_DEP_1) | instskip(SKIP_1) | instid1(VALU_DEP_2)
	v_fma_f64 v[46:47], v[176:177], v[44:45], -v[46:47]
	v_mul_f64 v[176:177], v[176:177], v[184:185]
	v_add_f64 v[40:41], v[40:41], -v[46:47]
	s_delay_alu instid0(VALU_DEP_2) | instskip(NEXT) | instid1(VALU_DEP_1)
	v_fma_f64 v[176:177], v[178:179], v[44:45], v[176:177]
	v_add_f64 v[42:43], v[42:43], -v[176:177]
	ds_load_2addr_b64 v[176:179], v186 offset0:68 offset1:69
	s_waitcnt lgkmcnt(0)
	v_mul_f64 v[46:47], v[178:179], v[184:185]
	s_delay_alu instid0(VALU_DEP_1) | instskip(SKIP_1) | instid1(VALU_DEP_2)
	v_fma_f64 v[46:47], v[176:177], v[44:45], -v[46:47]
	v_mul_f64 v[176:177], v[176:177], v[184:185]
	v_add_f64 v[36:37], v[36:37], -v[46:47]
	s_delay_alu instid0(VALU_DEP_2) | instskip(NEXT) | instid1(VALU_DEP_1)
	v_fma_f64 v[176:177], v[178:179], v[44:45], v[176:177]
	v_add_f64 v[38:39], v[38:39], -v[176:177]
	;; [unrolled: 10-line block ×10, first 2 shown]
	ds_load_2addr_b64 v[176:179], v186 offset0:86 offset1:87
	s_waitcnt lgkmcnt(0)
	v_mul_f64 v[46:47], v[178:179], v[184:185]
	s_delay_alu instid0(VALU_DEP_1) | instskip(SKIP_1) | instid1(VALU_DEP_2)
	v_fma_f64 v[46:47], v[176:177], v[44:45], -v[46:47]
	v_mul_f64 v[176:177], v[176:177], v[184:185]
	v_add_f64 v[0:1], v[0:1], -v[46:47]
	s_delay_alu instid0(VALU_DEP_2) | instskip(SKIP_1) | instid1(VALU_DEP_2)
	v_fma_f64 v[176:177], v[178:179], v[44:45], v[176:177]
	v_dual_mov_b32 v46, v184 :: v_dual_mov_b32 v47, v185
	v_add_f64 v[2:3], v[2:3], -v[176:177]
.LBB86_692:
	s_or_b32 exec_lo, exec_lo, s2
	v_lshl_add_u32 v176, v192, 4, v186
	s_barrier
	buffer_gl0_inv
	v_mov_b32_e32 v184, 33
	ds_store_2addr_b64 v176, v[40:41], v[42:43] offset1:1
	s_waitcnt lgkmcnt(0)
	s_barrier
	buffer_gl0_inv
	ds_load_2addr_b64 v[176:179], v186 offset0:66 offset1:67
	s_cmp_lt_i32 s5, 35
	s_cbranch_scc1 .LBB86_695
; %bb.693:
	v_add3_u32 v185, v190, 0, 0x220
	v_mov_b32_e32 v184, 33
	s_mov_b32 s6, 34
	s_set_inst_prefetch_distance 0x1
	.p2align	6
.LBB86_694:                             ; =>This Inner Loop Header: Depth=1
	ds_load_2addr_b64 v[193:196], v185 offset1:1
	s_waitcnt lgkmcnt(1)
	v_cmp_gt_f64_e32 vcc_lo, 0, v[176:177]
	v_xor_b32_e32 v197, 0x80000000, v177
	v_cmp_gt_f64_e64 s2, 0, v[178:179]
	v_xor_b32_e32 v199, 0x80000000, v179
	v_add_nc_u32_e32 v185, 16, v185
	s_waitcnt lgkmcnt(0)
	v_cmp_gt_f64_e64 s3, 0, v[193:194]
	v_mov_b32_e32 v201, v193
	v_dual_mov_b32 v203, v195 :: v_dual_cndmask_b32 v198, v177, v197
	v_xor_b32_e32 v197, 0x80000000, v194
	v_cndmask_b32_e64 v200, v179, v199, s2
	v_xor_b32_e32 v199, 0x80000000, v196
	s_delay_alu instid0(VALU_DEP_3) | instskip(SKIP_2) | instid1(VALU_DEP_2)
	v_cndmask_b32_e64 v202, v194, v197, s3
	v_cmp_gt_f64_e64 s3, 0, v[195:196]
	v_cndmask_b32_e32 v197, v176, v176, vcc_lo
	v_cndmask_b32_e64 v204, v196, v199, s3
	v_cndmask_b32_e64 v199, v178, v178, s2
	s_delay_alu instid0(VALU_DEP_2) | instskip(NEXT) | instid1(VALU_DEP_2)
	v_add_f64 v[201:202], v[201:202], v[203:204]
	v_add_f64 v[197:198], v[197:198], v[199:200]
	s_delay_alu instid0(VALU_DEP_1) | instskip(SKIP_4) | instid1(SALU_CYCLE_1)
	v_cmp_lt_f64_e32 vcc_lo, v[197:198], v[201:202]
	v_dual_cndmask_b32 v178, v178, v195 :: v_dual_cndmask_b32 v177, v177, v194
	v_dual_cndmask_b32 v176, v176, v193 :: v_dual_cndmask_b32 v179, v179, v196
	v_cndmask_b32_e64 v184, v184, s6, vcc_lo
	s_add_i32 s6, s6, 1
	s_cmp_lg_u32 s5, s6
	s_cbranch_scc1 .LBB86_694
.LBB86_695:
	s_set_inst_prefetch_distance 0x2
	s_waitcnt lgkmcnt(0)
	v_cmp_eq_f64_e32 vcc_lo, 0, v[176:177]
	v_cmp_eq_f64_e64 s2, 0, v[178:179]
	s_delay_alu instid0(VALU_DEP_1) | instskip(NEXT) | instid1(SALU_CYCLE_1)
	s_and_b32 s2, vcc_lo, s2
	s_and_saveexec_b32 s3, s2
	s_delay_alu instid0(SALU_CYCLE_1)
	s_xor_b32 s2, exec_lo, s3
; %bb.696:
	v_cmp_ne_u32_e32 vcc_lo, 0, v189
	v_cndmask_b32_e32 v189, 34, v189, vcc_lo
; %bb.697:
	s_and_not1_saveexec_b32 s3, s2
	s_cbranch_execz .LBB86_703
; %bb.698:
	v_cmp_gt_f64_e32 vcc_lo, 0, v[176:177]
	v_cmp_gt_f64_e64 s2, 0, v[178:179]
	v_xor_b32_e32 v185, 0x80000000, v177
	v_xor_b32_e32 v193, 0x80000000, v179
	s_delay_alu instid0(VALU_DEP_2) | instskip(NEXT) | instid1(VALU_DEP_2)
	v_cndmask_b32_e32 v194, v177, v185, vcc_lo
	v_cndmask_b32_e64 v196, v179, v193, s2
	v_cndmask_b32_e32 v193, v176, v176, vcc_lo
	v_cndmask_b32_e64 v195, v178, v178, s2
	s_mov_b32 s2, exec_lo
	s_delay_alu instid0(VALU_DEP_1)
	v_cmpx_ngt_f64_e32 v[193:194], v[195:196]
	s_xor_b32 s2, exec_lo, s2
	s_cbranch_execz .LBB86_700
; %bb.699:
	v_div_scale_f64 v[193:194], null, v[178:179], v[178:179], v[176:177]
	v_div_scale_f64 v[199:200], vcc_lo, v[176:177], v[178:179], v[176:177]
	s_delay_alu instid0(VALU_DEP_2) | instskip(SKIP_2) | instid1(VALU_DEP_1)
	v_rcp_f64_e32 v[195:196], v[193:194]
	s_waitcnt_depctr 0xfff
	v_fma_f64 v[197:198], -v[193:194], v[195:196], 1.0
	v_fma_f64 v[195:196], v[195:196], v[197:198], v[195:196]
	s_delay_alu instid0(VALU_DEP_1) | instskip(NEXT) | instid1(VALU_DEP_1)
	v_fma_f64 v[197:198], -v[193:194], v[195:196], 1.0
	v_fma_f64 v[195:196], v[195:196], v[197:198], v[195:196]
	s_delay_alu instid0(VALU_DEP_1) | instskip(NEXT) | instid1(VALU_DEP_1)
	v_mul_f64 v[197:198], v[199:200], v[195:196]
	v_fma_f64 v[193:194], -v[193:194], v[197:198], v[199:200]
	s_delay_alu instid0(VALU_DEP_1) | instskip(NEXT) | instid1(VALU_DEP_1)
	v_div_fmas_f64 v[193:194], v[193:194], v[195:196], v[197:198]
	v_div_fixup_f64 v[193:194], v[193:194], v[178:179], v[176:177]
	s_delay_alu instid0(VALU_DEP_1) | instskip(NEXT) | instid1(VALU_DEP_1)
	v_fma_f64 v[176:177], v[176:177], v[193:194], v[178:179]
	v_div_scale_f64 v[178:179], null, v[176:177], v[176:177], 1.0
	s_delay_alu instid0(VALU_DEP_1) | instskip(SKIP_2) | instid1(VALU_DEP_1)
	v_rcp_f64_e32 v[195:196], v[178:179]
	s_waitcnt_depctr 0xfff
	v_fma_f64 v[197:198], -v[178:179], v[195:196], 1.0
	v_fma_f64 v[195:196], v[195:196], v[197:198], v[195:196]
	s_delay_alu instid0(VALU_DEP_1) | instskip(NEXT) | instid1(VALU_DEP_1)
	v_fma_f64 v[197:198], -v[178:179], v[195:196], 1.0
	v_fma_f64 v[195:196], v[195:196], v[197:198], v[195:196]
	v_div_scale_f64 v[197:198], vcc_lo, 1.0, v[176:177], 1.0
	s_delay_alu instid0(VALU_DEP_1) | instskip(NEXT) | instid1(VALU_DEP_1)
	v_mul_f64 v[199:200], v[197:198], v[195:196]
	v_fma_f64 v[178:179], -v[178:179], v[199:200], v[197:198]
	s_delay_alu instid0(VALU_DEP_1) | instskip(NEXT) | instid1(VALU_DEP_1)
	v_div_fmas_f64 v[178:179], v[178:179], v[195:196], v[199:200]
	v_div_fixup_f64 v[178:179], v[178:179], v[176:177], 1.0
	s_delay_alu instid0(VALU_DEP_1)
	v_mul_f64 v[176:177], v[193:194], v[178:179]
	v_xor_b32_e32 v179, 0x80000000, v179
.LBB86_700:
	s_and_not1_saveexec_b32 s2, s2
	s_cbranch_execz .LBB86_702
; %bb.701:
	s_delay_alu instid0(VALU_DEP_1) | instskip(SKIP_1) | instid1(VALU_DEP_2)
	v_div_scale_f64 v[193:194], null, v[176:177], v[176:177], v[178:179]
	v_div_scale_f64 v[199:200], vcc_lo, v[178:179], v[176:177], v[178:179]
	v_rcp_f64_e32 v[195:196], v[193:194]
	s_waitcnt_depctr 0xfff
	v_fma_f64 v[197:198], -v[193:194], v[195:196], 1.0
	s_delay_alu instid0(VALU_DEP_1) | instskip(NEXT) | instid1(VALU_DEP_1)
	v_fma_f64 v[195:196], v[195:196], v[197:198], v[195:196]
	v_fma_f64 v[197:198], -v[193:194], v[195:196], 1.0
	s_delay_alu instid0(VALU_DEP_1) | instskip(NEXT) | instid1(VALU_DEP_1)
	v_fma_f64 v[195:196], v[195:196], v[197:198], v[195:196]
	v_mul_f64 v[197:198], v[199:200], v[195:196]
	s_delay_alu instid0(VALU_DEP_1) | instskip(NEXT) | instid1(VALU_DEP_1)
	v_fma_f64 v[193:194], -v[193:194], v[197:198], v[199:200]
	v_div_fmas_f64 v[193:194], v[193:194], v[195:196], v[197:198]
	s_delay_alu instid0(VALU_DEP_1) | instskip(NEXT) | instid1(VALU_DEP_1)
	v_div_fixup_f64 v[193:194], v[193:194], v[176:177], v[178:179]
	v_fma_f64 v[176:177], v[178:179], v[193:194], v[176:177]
	s_delay_alu instid0(VALU_DEP_1) | instskip(NEXT) | instid1(VALU_DEP_1)
	v_div_scale_f64 v[178:179], null, v[176:177], v[176:177], 1.0
	v_rcp_f64_e32 v[195:196], v[178:179]
	s_waitcnt_depctr 0xfff
	v_fma_f64 v[197:198], -v[178:179], v[195:196], 1.0
	s_delay_alu instid0(VALU_DEP_1) | instskip(NEXT) | instid1(VALU_DEP_1)
	v_fma_f64 v[195:196], v[195:196], v[197:198], v[195:196]
	v_fma_f64 v[197:198], -v[178:179], v[195:196], 1.0
	s_delay_alu instid0(VALU_DEP_1) | instskip(SKIP_1) | instid1(VALU_DEP_1)
	v_fma_f64 v[195:196], v[195:196], v[197:198], v[195:196]
	v_div_scale_f64 v[197:198], vcc_lo, 1.0, v[176:177], 1.0
	v_mul_f64 v[199:200], v[197:198], v[195:196]
	s_delay_alu instid0(VALU_DEP_1) | instskip(NEXT) | instid1(VALU_DEP_1)
	v_fma_f64 v[178:179], -v[178:179], v[199:200], v[197:198]
	v_div_fmas_f64 v[178:179], v[178:179], v[195:196], v[199:200]
	s_delay_alu instid0(VALU_DEP_1) | instskip(NEXT) | instid1(VALU_DEP_1)
	v_div_fixup_f64 v[176:177], v[178:179], v[176:177], 1.0
	v_mul_f64 v[178:179], v[193:194], -v[176:177]
.LBB86_702:
	s_or_b32 exec_lo, exec_lo, s2
.LBB86_703:
	s_delay_alu instid0(SALU_CYCLE_1) | instskip(NEXT) | instid1(SALU_CYCLE_1)
	s_or_b32 exec_lo, exec_lo, s3
	s_mov_b32 s2, exec_lo
	v_cmpx_ne_u32_e64 v192, v184
	s_xor_b32 s2, exec_lo, s2
	s_cbranch_execz .LBB86_709
; %bb.704:
	s_mov_b32 s3, exec_lo
	v_cmpx_eq_u32_e32 33, v192
	s_cbranch_execz .LBB86_708
; %bb.705:
	v_cmp_ne_u32_e32 vcc_lo, 33, v184
	s_xor_b32 s6, s4, -1
	s_delay_alu instid0(SALU_CYCLE_1) | instskip(NEXT) | instid1(SALU_CYCLE_1)
	s_and_b32 s7, s6, vcc_lo
	s_and_saveexec_b32 s6, s7
	s_cbranch_execz .LBB86_707
; %bb.706:
	v_ashrrev_i32_e32 v185, 31, v184
	s_delay_alu instid0(VALU_DEP_1) | instskip(NEXT) | instid1(VALU_DEP_1)
	v_lshlrev_b64 v[191:192], 2, v[184:185]
	v_add_co_u32 v191, vcc_lo, v182, v191
	s_delay_alu instid0(VALU_DEP_2)
	v_add_co_ci_u32_e32 v192, vcc_lo, v183, v192, vcc_lo
	s_clause 0x1
	flat_load_b32 v185, v[191:192]
	flat_load_b32 v193, v[182:183] offset:132
	s_waitcnt vmcnt(1) lgkmcnt(1)
	flat_store_b32 v[182:183], v185 offset:132
	s_waitcnt vmcnt(0) lgkmcnt(1)
	flat_store_b32 v[191:192], v193
.LBB86_707:
	s_or_b32 exec_lo, exec_lo, s6
	v_mov_b32_e32 v192, v184
	v_mov_b32_e32 v191, v184
.LBB86_708:
	s_or_b32 exec_lo, exec_lo, s3
.LBB86_709:
	s_and_not1_saveexec_b32 s2, s2
	s_cbranch_execz .LBB86_711
; %bb.710:
	v_mov_b32_e32 v192, 33
	ds_store_2addr_b64 v186, v[36:37], v[38:39] offset0:68 offset1:69
	ds_store_2addr_b64 v186, v[32:33], v[34:35] offset0:70 offset1:71
	;; [unrolled: 1-line block ×10, first 2 shown]
.LBB86_711:
	s_or_b32 exec_lo, exec_lo, s2
	s_delay_alu instid0(SALU_CYCLE_1)
	s_mov_b32 s2, exec_lo
	s_waitcnt lgkmcnt(0)
	s_waitcnt_vscnt null, 0x0
	s_barrier
	buffer_gl0_inv
	v_cmpx_lt_i32_e32 33, v192
	s_cbranch_execz .LBB86_713
; %bb.712:
	v_mul_f64 v[184:185], v[176:177], v[42:43]
	v_mul_f64 v[42:43], v[178:179], v[42:43]
	s_delay_alu instid0(VALU_DEP_2) | instskip(NEXT) | instid1(VALU_DEP_2)
	v_fma_f64 v[184:185], v[178:179], v[40:41], v[184:185]
	v_fma_f64 v[40:41], v[176:177], v[40:41], -v[42:43]
	ds_load_2addr_b64 v[176:179], v186 offset0:68 offset1:69
	s_waitcnt lgkmcnt(0)
	v_mul_f64 v[42:43], v[178:179], v[184:185]
	s_delay_alu instid0(VALU_DEP_1) | instskip(SKIP_1) | instid1(VALU_DEP_2)
	v_fma_f64 v[42:43], v[176:177], v[40:41], -v[42:43]
	v_mul_f64 v[176:177], v[176:177], v[184:185]
	v_add_f64 v[36:37], v[36:37], -v[42:43]
	s_delay_alu instid0(VALU_DEP_2) | instskip(NEXT) | instid1(VALU_DEP_1)
	v_fma_f64 v[176:177], v[178:179], v[40:41], v[176:177]
	v_add_f64 v[38:39], v[38:39], -v[176:177]
	ds_load_2addr_b64 v[176:179], v186 offset0:70 offset1:71
	s_waitcnt lgkmcnt(0)
	v_mul_f64 v[42:43], v[178:179], v[184:185]
	s_delay_alu instid0(VALU_DEP_1) | instskip(SKIP_1) | instid1(VALU_DEP_2)
	v_fma_f64 v[42:43], v[176:177], v[40:41], -v[42:43]
	v_mul_f64 v[176:177], v[176:177], v[184:185]
	v_add_f64 v[32:33], v[32:33], -v[42:43]
	s_delay_alu instid0(VALU_DEP_2) | instskip(NEXT) | instid1(VALU_DEP_1)
	v_fma_f64 v[176:177], v[178:179], v[40:41], v[176:177]
	v_add_f64 v[34:35], v[34:35], -v[176:177]
	ds_load_2addr_b64 v[176:179], v186 offset0:72 offset1:73
	s_waitcnt lgkmcnt(0)
	v_mul_f64 v[42:43], v[178:179], v[184:185]
	s_delay_alu instid0(VALU_DEP_1) | instskip(SKIP_1) | instid1(VALU_DEP_2)
	v_fma_f64 v[42:43], v[176:177], v[40:41], -v[42:43]
	v_mul_f64 v[176:177], v[176:177], v[184:185]
	v_add_f64 v[28:29], v[28:29], -v[42:43]
	s_delay_alu instid0(VALU_DEP_2) | instskip(NEXT) | instid1(VALU_DEP_1)
	v_fma_f64 v[176:177], v[178:179], v[40:41], v[176:177]
	v_add_f64 v[30:31], v[30:31], -v[176:177]
	ds_load_2addr_b64 v[176:179], v186 offset0:74 offset1:75
	s_waitcnt lgkmcnt(0)
	v_mul_f64 v[42:43], v[178:179], v[184:185]
	s_delay_alu instid0(VALU_DEP_1) | instskip(SKIP_1) | instid1(VALU_DEP_2)
	v_fma_f64 v[42:43], v[176:177], v[40:41], -v[42:43]
	v_mul_f64 v[176:177], v[176:177], v[184:185]
	v_add_f64 v[24:25], v[24:25], -v[42:43]
	s_delay_alu instid0(VALU_DEP_2) | instskip(NEXT) | instid1(VALU_DEP_1)
	v_fma_f64 v[176:177], v[178:179], v[40:41], v[176:177]
	v_add_f64 v[26:27], v[26:27], -v[176:177]
	ds_load_2addr_b64 v[176:179], v186 offset0:76 offset1:77
	s_waitcnt lgkmcnt(0)
	v_mul_f64 v[42:43], v[178:179], v[184:185]
	s_delay_alu instid0(VALU_DEP_1) | instskip(SKIP_1) | instid1(VALU_DEP_2)
	v_fma_f64 v[42:43], v[176:177], v[40:41], -v[42:43]
	v_mul_f64 v[176:177], v[176:177], v[184:185]
	v_add_f64 v[20:21], v[20:21], -v[42:43]
	s_delay_alu instid0(VALU_DEP_2) | instskip(NEXT) | instid1(VALU_DEP_1)
	v_fma_f64 v[176:177], v[178:179], v[40:41], v[176:177]
	v_add_f64 v[22:23], v[22:23], -v[176:177]
	ds_load_2addr_b64 v[176:179], v186 offset0:78 offset1:79
	s_waitcnt lgkmcnt(0)
	v_mul_f64 v[42:43], v[178:179], v[184:185]
	s_delay_alu instid0(VALU_DEP_1) | instskip(SKIP_1) | instid1(VALU_DEP_2)
	v_fma_f64 v[42:43], v[176:177], v[40:41], -v[42:43]
	v_mul_f64 v[176:177], v[176:177], v[184:185]
	v_add_f64 v[16:17], v[16:17], -v[42:43]
	s_delay_alu instid0(VALU_DEP_2) | instskip(NEXT) | instid1(VALU_DEP_1)
	v_fma_f64 v[176:177], v[178:179], v[40:41], v[176:177]
	v_add_f64 v[18:19], v[18:19], -v[176:177]
	ds_load_2addr_b64 v[176:179], v186 offset0:80 offset1:81
	s_waitcnt lgkmcnt(0)
	v_mul_f64 v[42:43], v[178:179], v[184:185]
	s_delay_alu instid0(VALU_DEP_1) | instskip(SKIP_1) | instid1(VALU_DEP_2)
	v_fma_f64 v[42:43], v[176:177], v[40:41], -v[42:43]
	v_mul_f64 v[176:177], v[176:177], v[184:185]
	v_add_f64 v[12:13], v[12:13], -v[42:43]
	s_delay_alu instid0(VALU_DEP_2) | instskip(NEXT) | instid1(VALU_DEP_1)
	v_fma_f64 v[176:177], v[178:179], v[40:41], v[176:177]
	v_add_f64 v[14:15], v[14:15], -v[176:177]
	ds_load_2addr_b64 v[176:179], v186 offset0:82 offset1:83
	s_waitcnt lgkmcnt(0)
	v_mul_f64 v[42:43], v[178:179], v[184:185]
	s_delay_alu instid0(VALU_DEP_1) | instskip(SKIP_1) | instid1(VALU_DEP_2)
	v_fma_f64 v[42:43], v[176:177], v[40:41], -v[42:43]
	v_mul_f64 v[176:177], v[176:177], v[184:185]
	v_add_f64 v[8:9], v[8:9], -v[42:43]
	s_delay_alu instid0(VALU_DEP_2) | instskip(NEXT) | instid1(VALU_DEP_1)
	v_fma_f64 v[176:177], v[178:179], v[40:41], v[176:177]
	v_add_f64 v[10:11], v[10:11], -v[176:177]
	ds_load_2addr_b64 v[176:179], v186 offset0:84 offset1:85
	s_waitcnt lgkmcnt(0)
	v_mul_f64 v[42:43], v[178:179], v[184:185]
	s_delay_alu instid0(VALU_DEP_1) | instskip(SKIP_1) | instid1(VALU_DEP_2)
	v_fma_f64 v[42:43], v[176:177], v[40:41], -v[42:43]
	v_mul_f64 v[176:177], v[176:177], v[184:185]
	v_add_f64 v[4:5], v[4:5], -v[42:43]
	s_delay_alu instid0(VALU_DEP_2) | instskip(NEXT) | instid1(VALU_DEP_1)
	v_fma_f64 v[176:177], v[178:179], v[40:41], v[176:177]
	v_add_f64 v[6:7], v[6:7], -v[176:177]
	ds_load_2addr_b64 v[176:179], v186 offset0:86 offset1:87
	s_waitcnt lgkmcnt(0)
	v_mul_f64 v[42:43], v[178:179], v[184:185]
	s_delay_alu instid0(VALU_DEP_1) | instskip(SKIP_1) | instid1(VALU_DEP_2)
	v_fma_f64 v[42:43], v[176:177], v[40:41], -v[42:43]
	v_mul_f64 v[176:177], v[176:177], v[184:185]
	v_add_f64 v[0:1], v[0:1], -v[42:43]
	s_delay_alu instid0(VALU_DEP_2) | instskip(SKIP_1) | instid1(VALU_DEP_2)
	v_fma_f64 v[176:177], v[178:179], v[40:41], v[176:177]
	v_dual_mov_b32 v42, v184 :: v_dual_mov_b32 v43, v185
	v_add_f64 v[2:3], v[2:3], -v[176:177]
.LBB86_713:
	s_or_b32 exec_lo, exec_lo, s2
	v_lshl_add_u32 v176, v192, 4, v186
	s_barrier
	buffer_gl0_inv
	v_mov_b32_e32 v184, 34
	ds_store_2addr_b64 v176, v[36:37], v[38:39] offset1:1
	s_waitcnt lgkmcnt(0)
	s_barrier
	buffer_gl0_inv
	ds_load_2addr_b64 v[176:179], v186 offset0:68 offset1:69
	s_cmp_lt_i32 s5, 36
	s_cbranch_scc1 .LBB86_716
; %bb.714:
	v_add3_u32 v185, v190, 0, 0x230
	v_mov_b32_e32 v184, 34
	s_mov_b32 s6, 35
	s_set_inst_prefetch_distance 0x1
	.p2align	6
.LBB86_715:                             ; =>This Inner Loop Header: Depth=1
	ds_load_2addr_b64 v[193:196], v185 offset1:1
	s_waitcnt lgkmcnt(1)
	v_cmp_gt_f64_e32 vcc_lo, 0, v[176:177]
	v_xor_b32_e32 v197, 0x80000000, v177
	v_cmp_gt_f64_e64 s2, 0, v[178:179]
	v_xor_b32_e32 v199, 0x80000000, v179
	v_add_nc_u32_e32 v185, 16, v185
	s_waitcnt lgkmcnt(0)
	v_cmp_gt_f64_e64 s3, 0, v[193:194]
	v_mov_b32_e32 v201, v193
	v_dual_mov_b32 v203, v195 :: v_dual_cndmask_b32 v198, v177, v197
	v_xor_b32_e32 v197, 0x80000000, v194
	v_cndmask_b32_e64 v200, v179, v199, s2
	v_xor_b32_e32 v199, 0x80000000, v196
	s_delay_alu instid0(VALU_DEP_3) | instskip(SKIP_2) | instid1(VALU_DEP_2)
	v_cndmask_b32_e64 v202, v194, v197, s3
	v_cmp_gt_f64_e64 s3, 0, v[195:196]
	v_cndmask_b32_e32 v197, v176, v176, vcc_lo
	v_cndmask_b32_e64 v204, v196, v199, s3
	v_cndmask_b32_e64 v199, v178, v178, s2
	s_delay_alu instid0(VALU_DEP_2) | instskip(NEXT) | instid1(VALU_DEP_2)
	v_add_f64 v[201:202], v[201:202], v[203:204]
	v_add_f64 v[197:198], v[197:198], v[199:200]
	s_delay_alu instid0(VALU_DEP_1) | instskip(SKIP_4) | instid1(SALU_CYCLE_1)
	v_cmp_lt_f64_e32 vcc_lo, v[197:198], v[201:202]
	v_dual_cndmask_b32 v178, v178, v195 :: v_dual_cndmask_b32 v177, v177, v194
	v_dual_cndmask_b32 v176, v176, v193 :: v_dual_cndmask_b32 v179, v179, v196
	v_cndmask_b32_e64 v184, v184, s6, vcc_lo
	s_add_i32 s6, s6, 1
	s_cmp_lg_u32 s5, s6
	s_cbranch_scc1 .LBB86_715
.LBB86_716:
	s_set_inst_prefetch_distance 0x2
	s_waitcnt lgkmcnt(0)
	v_cmp_eq_f64_e32 vcc_lo, 0, v[176:177]
	v_cmp_eq_f64_e64 s2, 0, v[178:179]
	s_delay_alu instid0(VALU_DEP_1) | instskip(NEXT) | instid1(SALU_CYCLE_1)
	s_and_b32 s2, vcc_lo, s2
	s_and_saveexec_b32 s3, s2
	s_delay_alu instid0(SALU_CYCLE_1)
	s_xor_b32 s2, exec_lo, s3
; %bb.717:
	v_cmp_ne_u32_e32 vcc_lo, 0, v189
	v_cndmask_b32_e32 v189, 35, v189, vcc_lo
; %bb.718:
	s_and_not1_saveexec_b32 s3, s2
	s_cbranch_execz .LBB86_724
; %bb.719:
	v_cmp_gt_f64_e32 vcc_lo, 0, v[176:177]
	v_cmp_gt_f64_e64 s2, 0, v[178:179]
	v_xor_b32_e32 v185, 0x80000000, v177
	v_xor_b32_e32 v193, 0x80000000, v179
	s_delay_alu instid0(VALU_DEP_2) | instskip(NEXT) | instid1(VALU_DEP_2)
	v_cndmask_b32_e32 v194, v177, v185, vcc_lo
	v_cndmask_b32_e64 v196, v179, v193, s2
	v_cndmask_b32_e32 v193, v176, v176, vcc_lo
	v_cndmask_b32_e64 v195, v178, v178, s2
	s_mov_b32 s2, exec_lo
	s_delay_alu instid0(VALU_DEP_1)
	v_cmpx_ngt_f64_e32 v[193:194], v[195:196]
	s_xor_b32 s2, exec_lo, s2
	s_cbranch_execz .LBB86_721
; %bb.720:
	v_div_scale_f64 v[193:194], null, v[178:179], v[178:179], v[176:177]
	v_div_scale_f64 v[199:200], vcc_lo, v[176:177], v[178:179], v[176:177]
	s_delay_alu instid0(VALU_DEP_2) | instskip(SKIP_2) | instid1(VALU_DEP_1)
	v_rcp_f64_e32 v[195:196], v[193:194]
	s_waitcnt_depctr 0xfff
	v_fma_f64 v[197:198], -v[193:194], v[195:196], 1.0
	v_fma_f64 v[195:196], v[195:196], v[197:198], v[195:196]
	s_delay_alu instid0(VALU_DEP_1) | instskip(NEXT) | instid1(VALU_DEP_1)
	v_fma_f64 v[197:198], -v[193:194], v[195:196], 1.0
	v_fma_f64 v[195:196], v[195:196], v[197:198], v[195:196]
	s_delay_alu instid0(VALU_DEP_1) | instskip(NEXT) | instid1(VALU_DEP_1)
	v_mul_f64 v[197:198], v[199:200], v[195:196]
	v_fma_f64 v[193:194], -v[193:194], v[197:198], v[199:200]
	s_delay_alu instid0(VALU_DEP_1) | instskip(NEXT) | instid1(VALU_DEP_1)
	v_div_fmas_f64 v[193:194], v[193:194], v[195:196], v[197:198]
	v_div_fixup_f64 v[193:194], v[193:194], v[178:179], v[176:177]
	s_delay_alu instid0(VALU_DEP_1) | instskip(NEXT) | instid1(VALU_DEP_1)
	v_fma_f64 v[176:177], v[176:177], v[193:194], v[178:179]
	v_div_scale_f64 v[178:179], null, v[176:177], v[176:177], 1.0
	s_delay_alu instid0(VALU_DEP_1) | instskip(SKIP_2) | instid1(VALU_DEP_1)
	v_rcp_f64_e32 v[195:196], v[178:179]
	s_waitcnt_depctr 0xfff
	v_fma_f64 v[197:198], -v[178:179], v[195:196], 1.0
	v_fma_f64 v[195:196], v[195:196], v[197:198], v[195:196]
	s_delay_alu instid0(VALU_DEP_1) | instskip(NEXT) | instid1(VALU_DEP_1)
	v_fma_f64 v[197:198], -v[178:179], v[195:196], 1.0
	v_fma_f64 v[195:196], v[195:196], v[197:198], v[195:196]
	v_div_scale_f64 v[197:198], vcc_lo, 1.0, v[176:177], 1.0
	s_delay_alu instid0(VALU_DEP_1) | instskip(NEXT) | instid1(VALU_DEP_1)
	v_mul_f64 v[199:200], v[197:198], v[195:196]
	v_fma_f64 v[178:179], -v[178:179], v[199:200], v[197:198]
	s_delay_alu instid0(VALU_DEP_1) | instskip(NEXT) | instid1(VALU_DEP_1)
	v_div_fmas_f64 v[178:179], v[178:179], v[195:196], v[199:200]
	v_div_fixup_f64 v[178:179], v[178:179], v[176:177], 1.0
	s_delay_alu instid0(VALU_DEP_1)
	v_mul_f64 v[176:177], v[193:194], v[178:179]
	v_xor_b32_e32 v179, 0x80000000, v179
.LBB86_721:
	s_and_not1_saveexec_b32 s2, s2
	s_cbranch_execz .LBB86_723
; %bb.722:
	s_delay_alu instid0(VALU_DEP_1) | instskip(SKIP_1) | instid1(VALU_DEP_2)
	v_div_scale_f64 v[193:194], null, v[176:177], v[176:177], v[178:179]
	v_div_scale_f64 v[199:200], vcc_lo, v[178:179], v[176:177], v[178:179]
	v_rcp_f64_e32 v[195:196], v[193:194]
	s_waitcnt_depctr 0xfff
	v_fma_f64 v[197:198], -v[193:194], v[195:196], 1.0
	s_delay_alu instid0(VALU_DEP_1) | instskip(NEXT) | instid1(VALU_DEP_1)
	v_fma_f64 v[195:196], v[195:196], v[197:198], v[195:196]
	v_fma_f64 v[197:198], -v[193:194], v[195:196], 1.0
	s_delay_alu instid0(VALU_DEP_1) | instskip(NEXT) | instid1(VALU_DEP_1)
	v_fma_f64 v[195:196], v[195:196], v[197:198], v[195:196]
	v_mul_f64 v[197:198], v[199:200], v[195:196]
	s_delay_alu instid0(VALU_DEP_1) | instskip(NEXT) | instid1(VALU_DEP_1)
	v_fma_f64 v[193:194], -v[193:194], v[197:198], v[199:200]
	v_div_fmas_f64 v[193:194], v[193:194], v[195:196], v[197:198]
	s_delay_alu instid0(VALU_DEP_1) | instskip(NEXT) | instid1(VALU_DEP_1)
	v_div_fixup_f64 v[193:194], v[193:194], v[176:177], v[178:179]
	v_fma_f64 v[176:177], v[178:179], v[193:194], v[176:177]
	s_delay_alu instid0(VALU_DEP_1) | instskip(NEXT) | instid1(VALU_DEP_1)
	v_div_scale_f64 v[178:179], null, v[176:177], v[176:177], 1.0
	v_rcp_f64_e32 v[195:196], v[178:179]
	s_waitcnt_depctr 0xfff
	v_fma_f64 v[197:198], -v[178:179], v[195:196], 1.0
	s_delay_alu instid0(VALU_DEP_1) | instskip(NEXT) | instid1(VALU_DEP_1)
	v_fma_f64 v[195:196], v[195:196], v[197:198], v[195:196]
	v_fma_f64 v[197:198], -v[178:179], v[195:196], 1.0
	s_delay_alu instid0(VALU_DEP_1) | instskip(SKIP_1) | instid1(VALU_DEP_1)
	v_fma_f64 v[195:196], v[195:196], v[197:198], v[195:196]
	v_div_scale_f64 v[197:198], vcc_lo, 1.0, v[176:177], 1.0
	v_mul_f64 v[199:200], v[197:198], v[195:196]
	s_delay_alu instid0(VALU_DEP_1) | instskip(NEXT) | instid1(VALU_DEP_1)
	v_fma_f64 v[178:179], -v[178:179], v[199:200], v[197:198]
	v_div_fmas_f64 v[178:179], v[178:179], v[195:196], v[199:200]
	s_delay_alu instid0(VALU_DEP_1) | instskip(NEXT) | instid1(VALU_DEP_1)
	v_div_fixup_f64 v[176:177], v[178:179], v[176:177], 1.0
	v_mul_f64 v[178:179], v[193:194], -v[176:177]
.LBB86_723:
	s_or_b32 exec_lo, exec_lo, s2
.LBB86_724:
	s_delay_alu instid0(SALU_CYCLE_1) | instskip(NEXT) | instid1(SALU_CYCLE_1)
	s_or_b32 exec_lo, exec_lo, s3
	s_mov_b32 s2, exec_lo
	v_cmpx_ne_u32_e64 v192, v184
	s_xor_b32 s2, exec_lo, s2
	s_cbranch_execz .LBB86_730
; %bb.725:
	s_mov_b32 s3, exec_lo
	v_cmpx_eq_u32_e32 34, v192
	s_cbranch_execz .LBB86_729
; %bb.726:
	v_cmp_ne_u32_e32 vcc_lo, 34, v184
	s_xor_b32 s6, s4, -1
	s_delay_alu instid0(SALU_CYCLE_1) | instskip(NEXT) | instid1(SALU_CYCLE_1)
	s_and_b32 s7, s6, vcc_lo
	s_and_saveexec_b32 s6, s7
	s_cbranch_execz .LBB86_728
; %bb.727:
	v_ashrrev_i32_e32 v185, 31, v184
	s_delay_alu instid0(VALU_DEP_1) | instskip(NEXT) | instid1(VALU_DEP_1)
	v_lshlrev_b64 v[191:192], 2, v[184:185]
	v_add_co_u32 v191, vcc_lo, v182, v191
	s_delay_alu instid0(VALU_DEP_2)
	v_add_co_ci_u32_e32 v192, vcc_lo, v183, v192, vcc_lo
	s_clause 0x1
	flat_load_b32 v185, v[191:192]
	flat_load_b32 v193, v[182:183] offset:136
	s_waitcnt vmcnt(1) lgkmcnt(1)
	flat_store_b32 v[182:183], v185 offset:136
	s_waitcnt vmcnt(0) lgkmcnt(1)
	flat_store_b32 v[191:192], v193
.LBB86_728:
	s_or_b32 exec_lo, exec_lo, s6
	v_mov_b32_e32 v192, v184
	v_mov_b32_e32 v191, v184
.LBB86_729:
	s_or_b32 exec_lo, exec_lo, s3
.LBB86_730:
	s_and_not1_saveexec_b32 s2, s2
	s_cbranch_execz .LBB86_732
; %bb.731:
	v_mov_b32_e32 v192, 34
	ds_store_2addr_b64 v186, v[32:33], v[34:35] offset0:70 offset1:71
	ds_store_2addr_b64 v186, v[28:29], v[30:31] offset0:72 offset1:73
	;; [unrolled: 1-line block ×9, first 2 shown]
.LBB86_732:
	s_or_b32 exec_lo, exec_lo, s2
	s_delay_alu instid0(SALU_CYCLE_1)
	s_mov_b32 s2, exec_lo
	s_waitcnt lgkmcnt(0)
	s_waitcnt_vscnt null, 0x0
	s_barrier
	buffer_gl0_inv
	v_cmpx_lt_i32_e32 34, v192
	s_cbranch_execz .LBB86_734
; %bb.733:
	v_mul_f64 v[184:185], v[176:177], v[38:39]
	v_mul_f64 v[38:39], v[178:179], v[38:39]
	s_delay_alu instid0(VALU_DEP_2) | instskip(NEXT) | instid1(VALU_DEP_2)
	v_fma_f64 v[184:185], v[178:179], v[36:37], v[184:185]
	v_fma_f64 v[36:37], v[176:177], v[36:37], -v[38:39]
	ds_load_2addr_b64 v[176:179], v186 offset0:70 offset1:71
	s_waitcnt lgkmcnt(0)
	v_mul_f64 v[38:39], v[178:179], v[184:185]
	s_delay_alu instid0(VALU_DEP_1) | instskip(SKIP_1) | instid1(VALU_DEP_2)
	v_fma_f64 v[38:39], v[176:177], v[36:37], -v[38:39]
	v_mul_f64 v[176:177], v[176:177], v[184:185]
	v_add_f64 v[32:33], v[32:33], -v[38:39]
	s_delay_alu instid0(VALU_DEP_2) | instskip(NEXT) | instid1(VALU_DEP_1)
	v_fma_f64 v[176:177], v[178:179], v[36:37], v[176:177]
	v_add_f64 v[34:35], v[34:35], -v[176:177]
	ds_load_2addr_b64 v[176:179], v186 offset0:72 offset1:73
	s_waitcnt lgkmcnt(0)
	v_mul_f64 v[38:39], v[178:179], v[184:185]
	s_delay_alu instid0(VALU_DEP_1) | instskip(SKIP_1) | instid1(VALU_DEP_2)
	v_fma_f64 v[38:39], v[176:177], v[36:37], -v[38:39]
	v_mul_f64 v[176:177], v[176:177], v[184:185]
	v_add_f64 v[28:29], v[28:29], -v[38:39]
	s_delay_alu instid0(VALU_DEP_2) | instskip(NEXT) | instid1(VALU_DEP_1)
	v_fma_f64 v[176:177], v[178:179], v[36:37], v[176:177]
	v_add_f64 v[30:31], v[30:31], -v[176:177]
	;; [unrolled: 10-line block ×8, first 2 shown]
	ds_load_2addr_b64 v[176:179], v186 offset0:86 offset1:87
	s_waitcnt lgkmcnt(0)
	v_mul_f64 v[38:39], v[178:179], v[184:185]
	s_delay_alu instid0(VALU_DEP_1) | instskip(SKIP_1) | instid1(VALU_DEP_2)
	v_fma_f64 v[38:39], v[176:177], v[36:37], -v[38:39]
	v_mul_f64 v[176:177], v[176:177], v[184:185]
	v_add_f64 v[0:1], v[0:1], -v[38:39]
	s_delay_alu instid0(VALU_DEP_2) | instskip(SKIP_1) | instid1(VALU_DEP_2)
	v_fma_f64 v[176:177], v[178:179], v[36:37], v[176:177]
	v_dual_mov_b32 v38, v184 :: v_dual_mov_b32 v39, v185
	v_add_f64 v[2:3], v[2:3], -v[176:177]
.LBB86_734:
	s_or_b32 exec_lo, exec_lo, s2
	v_lshl_add_u32 v176, v192, 4, v186
	s_barrier
	buffer_gl0_inv
	v_mov_b32_e32 v184, 35
	ds_store_2addr_b64 v176, v[32:33], v[34:35] offset1:1
	s_waitcnt lgkmcnt(0)
	s_barrier
	buffer_gl0_inv
	ds_load_2addr_b64 v[176:179], v186 offset0:70 offset1:71
	s_cmp_lt_i32 s5, 37
	s_cbranch_scc1 .LBB86_737
; %bb.735:
	v_add3_u32 v185, v190, 0, 0x240
	v_mov_b32_e32 v184, 35
	s_mov_b32 s6, 36
	s_set_inst_prefetch_distance 0x1
	.p2align	6
.LBB86_736:                             ; =>This Inner Loop Header: Depth=1
	ds_load_2addr_b64 v[193:196], v185 offset1:1
	s_waitcnt lgkmcnt(1)
	v_cmp_gt_f64_e32 vcc_lo, 0, v[176:177]
	v_xor_b32_e32 v197, 0x80000000, v177
	v_cmp_gt_f64_e64 s2, 0, v[178:179]
	v_xor_b32_e32 v199, 0x80000000, v179
	v_add_nc_u32_e32 v185, 16, v185
	s_waitcnt lgkmcnt(0)
	v_cmp_gt_f64_e64 s3, 0, v[193:194]
	v_mov_b32_e32 v201, v193
	v_dual_mov_b32 v203, v195 :: v_dual_cndmask_b32 v198, v177, v197
	v_xor_b32_e32 v197, 0x80000000, v194
	v_cndmask_b32_e64 v200, v179, v199, s2
	v_xor_b32_e32 v199, 0x80000000, v196
	s_delay_alu instid0(VALU_DEP_3) | instskip(SKIP_2) | instid1(VALU_DEP_2)
	v_cndmask_b32_e64 v202, v194, v197, s3
	v_cmp_gt_f64_e64 s3, 0, v[195:196]
	v_cndmask_b32_e32 v197, v176, v176, vcc_lo
	v_cndmask_b32_e64 v204, v196, v199, s3
	v_cndmask_b32_e64 v199, v178, v178, s2
	s_delay_alu instid0(VALU_DEP_2) | instskip(NEXT) | instid1(VALU_DEP_2)
	v_add_f64 v[201:202], v[201:202], v[203:204]
	v_add_f64 v[197:198], v[197:198], v[199:200]
	s_delay_alu instid0(VALU_DEP_1) | instskip(SKIP_4) | instid1(SALU_CYCLE_1)
	v_cmp_lt_f64_e32 vcc_lo, v[197:198], v[201:202]
	v_dual_cndmask_b32 v178, v178, v195 :: v_dual_cndmask_b32 v177, v177, v194
	v_dual_cndmask_b32 v176, v176, v193 :: v_dual_cndmask_b32 v179, v179, v196
	v_cndmask_b32_e64 v184, v184, s6, vcc_lo
	s_add_i32 s6, s6, 1
	s_cmp_lg_u32 s5, s6
	s_cbranch_scc1 .LBB86_736
.LBB86_737:
	s_set_inst_prefetch_distance 0x2
	s_waitcnt lgkmcnt(0)
	v_cmp_eq_f64_e32 vcc_lo, 0, v[176:177]
	v_cmp_eq_f64_e64 s2, 0, v[178:179]
	s_delay_alu instid0(VALU_DEP_1) | instskip(NEXT) | instid1(SALU_CYCLE_1)
	s_and_b32 s2, vcc_lo, s2
	s_and_saveexec_b32 s3, s2
	s_delay_alu instid0(SALU_CYCLE_1)
	s_xor_b32 s2, exec_lo, s3
; %bb.738:
	v_cmp_ne_u32_e32 vcc_lo, 0, v189
	v_cndmask_b32_e32 v189, 36, v189, vcc_lo
; %bb.739:
	s_and_not1_saveexec_b32 s3, s2
	s_cbranch_execz .LBB86_745
; %bb.740:
	v_cmp_gt_f64_e32 vcc_lo, 0, v[176:177]
	v_cmp_gt_f64_e64 s2, 0, v[178:179]
	v_xor_b32_e32 v185, 0x80000000, v177
	v_xor_b32_e32 v193, 0x80000000, v179
	s_delay_alu instid0(VALU_DEP_2) | instskip(NEXT) | instid1(VALU_DEP_2)
	v_cndmask_b32_e32 v194, v177, v185, vcc_lo
	v_cndmask_b32_e64 v196, v179, v193, s2
	v_cndmask_b32_e32 v193, v176, v176, vcc_lo
	v_cndmask_b32_e64 v195, v178, v178, s2
	s_mov_b32 s2, exec_lo
	s_delay_alu instid0(VALU_DEP_1)
	v_cmpx_ngt_f64_e32 v[193:194], v[195:196]
	s_xor_b32 s2, exec_lo, s2
	s_cbranch_execz .LBB86_742
; %bb.741:
	v_div_scale_f64 v[193:194], null, v[178:179], v[178:179], v[176:177]
	v_div_scale_f64 v[199:200], vcc_lo, v[176:177], v[178:179], v[176:177]
	s_delay_alu instid0(VALU_DEP_2) | instskip(SKIP_2) | instid1(VALU_DEP_1)
	v_rcp_f64_e32 v[195:196], v[193:194]
	s_waitcnt_depctr 0xfff
	v_fma_f64 v[197:198], -v[193:194], v[195:196], 1.0
	v_fma_f64 v[195:196], v[195:196], v[197:198], v[195:196]
	s_delay_alu instid0(VALU_DEP_1) | instskip(NEXT) | instid1(VALU_DEP_1)
	v_fma_f64 v[197:198], -v[193:194], v[195:196], 1.0
	v_fma_f64 v[195:196], v[195:196], v[197:198], v[195:196]
	s_delay_alu instid0(VALU_DEP_1) | instskip(NEXT) | instid1(VALU_DEP_1)
	v_mul_f64 v[197:198], v[199:200], v[195:196]
	v_fma_f64 v[193:194], -v[193:194], v[197:198], v[199:200]
	s_delay_alu instid0(VALU_DEP_1) | instskip(NEXT) | instid1(VALU_DEP_1)
	v_div_fmas_f64 v[193:194], v[193:194], v[195:196], v[197:198]
	v_div_fixup_f64 v[193:194], v[193:194], v[178:179], v[176:177]
	s_delay_alu instid0(VALU_DEP_1) | instskip(NEXT) | instid1(VALU_DEP_1)
	v_fma_f64 v[176:177], v[176:177], v[193:194], v[178:179]
	v_div_scale_f64 v[178:179], null, v[176:177], v[176:177], 1.0
	s_delay_alu instid0(VALU_DEP_1) | instskip(SKIP_2) | instid1(VALU_DEP_1)
	v_rcp_f64_e32 v[195:196], v[178:179]
	s_waitcnt_depctr 0xfff
	v_fma_f64 v[197:198], -v[178:179], v[195:196], 1.0
	v_fma_f64 v[195:196], v[195:196], v[197:198], v[195:196]
	s_delay_alu instid0(VALU_DEP_1) | instskip(NEXT) | instid1(VALU_DEP_1)
	v_fma_f64 v[197:198], -v[178:179], v[195:196], 1.0
	v_fma_f64 v[195:196], v[195:196], v[197:198], v[195:196]
	v_div_scale_f64 v[197:198], vcc_lo, 1.0, v[176:177], 1.0
	s_delay_alu instid0(VALU_DEP_1) | instskip(NEXT) | instid1(VALU_DEP_1)
	v_mul_f64 v[199:200], v[197:198], v[195:196]
	v_fma_f64 v[178:179], -v[178:179], v[199:200], v[197:198]
	s_delay_alu instid0(VALU_DEP_1) | instskip(NEXT) | instid1(VALU_DEP_1)
	v_div_fmas_f64 v[178:179], v[178:179], v[195:196], v[199:200]
	v_div_fixup_f64 v[178:179], v[178:179], v[176:177], 1.0
	s_delay_alu instid0(VALU_DEP_1)
	v_mul_f64 v[176:177], v[193:194], v[178:179]
	v_xor_b32_e32 v179, 0x80000000, v179
.LBB86_742:
	s_and_not1_saveexec_b32 s2, s2
	s_cbranch_execz .LBB86_744
; %bb.743:
	s_delay_alu instid0(VALU_DEP_1) | instskip(SKIP_1) | instid1(VALU_DEP_2)
	v_div_scale_f64 v[193:194], null, v[176:177], v[176:177], v[178:179]
	v_div_scale_f64 v[199:200], vcc_lo, v[178:179], v[176:177], v[178:179]
	v_rcp_f64_e32 v[195:196], v[193:194]
	s_waitcnt_depctr 0xfff
	v_fma_f64 v[197:198], -v[193:194], v[195:196], 1.0
	s_delay_alu instid0(VALU_DEP_1) | instskip(NEXT) | instid1(VALU_DEP_1)
	v_fma_f64 v[195:196], v[195:196], v[197:198], v[195:196]
	v_fma_f64 v[197:198], -v[193:194], v[195:196], 1.0
	s_delay_alu instid0(VALU_DEP_1) | instskip(NEXT) | instid1(VALU_DEP_1)
	v_fma_f64 v[195:196], v[195:196], v[197:198], v[195:196]
	v_mul_f64 v[197:198], v[199:200], v[195:196]
	s_delay_alu instid0(VALU_DEP_1) | instskip(NEXT) | instid1(VALU_DEP_1)
	v_fma_f64 v[193:194], -v[193:194], v[197:198], v[199:200]
	v_div_fmas_f64 v[193:194], v[193:194], v[195:196], v[197:198]
	s_delay_alu instid0(VALU_DEP_1) | instskip(NEXT) | instid1(VALU_DEP_1)
	v_div_fixup_f64 v[193:194], v[193:194], v[176:177], v[178:179]
	v_fma_f64 v[176:177], v[178:179], v[193:194], v[176:177]
	s_delay_alu instid0(VALU_DEP_1) | instskip(NEXT) | instid1(VALU_DEP_1)
	v_div_scale_f64 v[178:179], null, v[176:177], v[176:177], 1.0
	v_rcp_f64_e32 v[195:196], v[178:179]
	s_waitcnt_depctr 0xfff
	v_fma_f64 v[197:198], -v[178:179], v[195:196], 1.0
	s_delay_alu instid0(VALU_DEP_1) | instskip(NEXT) | instid1(VALU_DEP_1)
	v_fma_f64 v[195:196], v[195:196], v[197:198], v[195:196]
	v_fma_f64 v[197:198], -v[178:179], v[195:196], 1.0
	s_delay_alu instid0(VALU_DEP_1) | instskip(SKIP_1) | instid1(VALU_DEP_1)
	v_fma_f64 v[195:196], v[195:196], v[197:198], v[195:196]
	v_div_scale_f64 v[197:198], vcc_lo, 1.0, v[176:177], 1.0
	v_mul_f64 v[199:200], v[197:198], v[195:196]
	s_delay_alu instid0(VALU_DEP_1) | instskip(NEXT) | instid1(VALU_DEP_1)
	v_fma_f64 v[178:179], -v[178:179], v[199:200], v[197:198]
	v_div_fmas_f64 v[178:179], v[178:179], v[195:196], v[199:200]
	s_delay_alu instid0(VALU_DEP_1) | instskip(NEXT) | instid1(VALU_DEP_1)
	v_div_fixup_f64 v[176:177], v[178:179], v[176:177], 1.0
	v_mul_f64 v[178:179], v[193:194], -v[176:177]
.LBB86_744:
	s_or_b32 exec_lo, exec_lo, s2
.LBB86_745:
	s_delay_alu instid0(SALU_CYCLE_1) | instskip(NEXT) | instid1(SALU_CYCLE_1)
	s_or_b32 exec_lo, exec_lo, s3
	s_mov_b32 s2, exec_lo
	v_cmpx_ne_u32_e64 v192, v184
	s_xor_b32 s2, exec_lo, s2
	s_cbranch_execz .LBB86_751
; %bb.746:
	s_mov_b32 s3, exec_lo
	v_cmpx_eq_u32_e32 35, v192
	s_cbranch_execz .LBB86_750
; %bb.747:
	v_cmp_ne_u32_e32 vcc_lo, 35, v184
	s_xor_b32 s6, s4, -1
	s_delay_alu instid0(SALU_CYCLE_1) | instskip(NEXT) | instid1(SALU_CYCLE_1)
	s_and_b32 s7, s6, vcc_lo
	s_and_saveexec_b32 s6, s7
	s_cbranch_execz .LBB86_749
; %bb.748:
	v_ashrrev_i32_e32 v185, 31, v184
	s_delay_alu instid0(VALU_DEP_1) | instskip(NEXT) | instid1(VALU_DEP_1)
	v_lshlrev_b64 v[191:192], 2, v[184:185]
	v_add_co_u32 v191, vcc_lo, v182, v191
	s_delay_alu instid0(VALU_DEP_2)
	v_add_co_ci_u32_e32 v192, vcc_lo, v183, v192, vcc_lo
	s_clause 0x1
	flat_load_b32 v185, v[191:192]
	flat_load_b32 v193, v[182:183] offset:140
	s_waitcnt vmcnt(1) lgkmcnt(1)
	flat_store_b32 v[182:183], v185 offset:140
	s_waitcnt vmcnt(0) lgkmcnt(1)
	flat_store_b32 v[191:192], v193
.LBB86_749:
	s_or_b32 exec_lo, exec_lo, s6
	v_mov_b32_e32 v192, v184
	v_mov_b32_e32 v191, v184
.LBB86_750:
	s_or_b32 exec_lo, exec_lo, s3
.LBB86_751:
	s_and_not1_saveexec_b32 s2, s2
	s_cbranch_execz .LBB86_753
; %bb.752:
	v_mov_b32_e32 v192, 35
	ds_store_2addr_b64 v186, v[28:29], v[30:31] offset0:72 offset1:73
	ds_store_2addr_b64 v186, v[24:25], v[26:27] offset0:74 offset1:75
	;; [unrolled: 1-line block ×8, first 2 shown]
.LBB86_753:
	s_or_b32 exec_lo, exec_lo, s2
	s_delay_alu instid0(SALU_CYCLE_1)
	s_mov_b32 s2, exec_lo
	s_waitcnt lgkmcnt(0)
	s_waitcnt_vscnt null, 0x0
	s_barrier
	buffer_gl0_inv
	v_cmpx_lt_i32_e32 35, v192
	s_cbranch_execz .LBB86_755
; %bb.754:
	v_mul_f64 v[184:185], v[176:177], v[34:35]
	v_mul_f64 v[34:35], v[178:179], v[34:35]
	ds_load_2addr_b64 v[193:196], v186 offset0:72 offset1:73
	ds_load_2addr_b64 v[197:200], v186 offset0:74 offset1:75
	;; [unrolled: 1-line block ×8, first 2 shown]
	v_fma_f64 v[178:179], v[178:179], v[32:33], v[184:185]
	v_fma_f64 v[32:33], v[176:177], v[32:33], -v[34:35]
	s_waitcnt lgkmcnt(7)
	s_delay_alu instid0(VALU_DEP_2)
	v_mul_f64 v[34:35], v[195:196], v[178:179]
	v_mul_f64 v[176:177], v[193:194], v[178:179]
	s_waitcnt lgkmcnt(6)
	v_mul_f64 v[184:185], v[199:200], v[178:179]
	v_mul_f64 v[225:226], v[197:198], v[178:179]
	s_waitcnt lgkmcnt(5)
	;; [unrolled: 3-line block ×7, first 2 shown]
	v_mul_f64 v[247:248], v[223:224], v[178:179]
	v_mul_f64 v[249:250], v[221:222], v[178:179]
	v_fma_f64 v[34:35], v[193:194], v[32:33], -v[34:35]
	v_fma_f64 v[176:177], v[195:196], v[32:33], v[176:177]
	v_fma_f64 v[184:185], v[197:198], v[32:33], -v[184:185]
	v_fma_f64 v[193:194], v[199:200], v[32:33], v[225:226]
	;; [unrolled: 2-line block ×8, first 2 shown]
	v_add_f64 v[28:29], v[28:29], -v[34:35]
	v_add_f64 v[30:31], v[30:31], -v[176:177]
	;; [unrolled: 1-line block ×16, first 2 shown]
	v_dual_mov_b32 v34, v178 :: v_dual_mov_b32 v35, v179
.LBB86_755:
	s_or_b32 exec_lo, exec_lo, s2
	v_lshl_add_u32 v176, v192, 4, v186
	s_barrier
	buffer_gl0_inv
	v_mov_b32_e32 v184, 36
	ds_store_2addr_b64 v176, v[28:29], v[30:31] offset1:1
	s_waitcnt lgkmcnt(0)
	s_barrier
	buffer_gl0_inv
	ds_load_2addr_b64 v[176:179], v186 offset0:72 offset1:73
	s_cmp_lt_i32 s5, 38
	s_cbranch_scc1 .LBB86_758
; %bb.756:
	v_add3_u32 v185, v190, 0, 0x250
	v_mov_b32_e32 v184, 36
	s_mov_b32 s6, 37
	s_set_inst_prefetch_distance 0x1
	.p2align	6
.LBB86_757:                             ; =>This Inner Loop Header: Depth=1
	ds_load_2addr_b64 v[193:196], v185 offset1:1
	s_waitcnt lgkmcnt(1)
	v_cmp_gt_f64_e32 vcc_lo, 0, v[176:177]
	v_xor_b32_e32 v197, 0x80000000, v177
	v_cmp_gt_f64_e64 s2, 0, v[178:179]
	v_xor_b32_e32 v199, 0x80000000, v179
	v_add_nc_u32_e32 v185, 16, v185
	s_waitcnt lgkmcnt(0)
	v_cmp_gt_f64_e64 s3, 0, v[193:194]
	v_mov_b32_e32 v201, v193
	v_dual_mov_b32 v203, v195 :: v_dual_cndmask_b32 v198, v177, v197
	v_xor_b32_e32 v197, 0x80000000, v194
	v_cndmask_b32_e64 v200, v179, v199, s2
	v_xor_b32_e32 v199, 0x80000000, v196
	s_delay_alu instid0(VALU_DEP_3) | instskip(SKIP_2) | instid1(VALU_DEP_2)
	v_cndmask_b32_e64 v202, v194, v197, s3
	v_cmp_gt_f64_e64 s3, 0, v[195:196]
	v_cndmask_b32_e32 v197, v176, v176, vcc_lo
	v_cndmask_b32_e64 v204, v196, v199, s3
	v_cndmask_b32_e64 v199, v178, v178, s2
	s_delay_alu instid0(VALU_DEP_2) | instskip(NEXT) | instid1(VALU_DEP_2)
	v_add_f64 v[201:202], v[201:202], v[203:204]
	v_add_f64 v[197:198], v[197:198], v[199:200]
	s_delay_alu instid0(VALU_DEP_1) | instskip(SKIP_4) | instid1(SALU_CYCLE_1)
	v_cmp_lt_f64_e32 vcc_lo, v[197:198], v[201:202]
	v_dual_cndmask_b32 v178, v178, v195 :: v_dual_cndmask_b32 v177, v177, v194
	v_dual_cndmask_b32 v176, v176, v193 :: v_dual_cndmask_b32 v179, v179, v196
	v_cndmask_b32_e64 v184, v184, s6, vcc_lo
	s_add_i32 s6, s6, 1
	s_cmp_lg_u32 s5, s6
	s_cbranch_scc1 .LBB86_757
.LBB86_758:
	s_set_inst_prefetch_distance 0x2
	s_waitcnt lgkmcnt(0)
	v_cmp_eq_f64_e32 vcc_lo, 0, v[176:177]
	v_cmp_eq_f64_e64 s2, 0, v[178:179]
	s_delay_alu instid0(VALU_DEP_1) | instskip(NEXT) | instid1(SALU_CYCLE_1)
	s_and_b32 s2, vcc_lo, s2
	s_and_saveexec_b32 s3, s2
	s_delay_alu instid0(SALU_CYCLE_1)
	s_xor_b32 s2, exec_lo, s3
; %bb.759:
	v_cmp_ne_u32_e32 vcc_lo, 0, v189
	v_cndmask_b32_e32 v189, 37, v189, vcc_lo
; %bb.760:
	s_and_not1_saveexec_b32 s3, s2
	s_cbranch_execz .LBB86_766
; %bb.761:
	v_cmp_gt_f64_e32 vcc_lo, 0, v[176:177]
	v_cmp_gt_f64_e64 s2, 0, v[178:179]
	v_xor_b32_e32 v185, 0x80000000, v177
	v_xor_b32_e32 v193, 0x80000000, v179
	s_delay_alu instid0(VALU_DEP_2) | instskip(NEXT) | instid1(VALU_DEP_2)
	v_cndmask_b32_e32 v194, v177, v185, vcc_lo
	v_cndmask_b32_e64 v196, v179, v193, s2
	v_cndmask_b32_e32 v193, v176, v176, vcc_lo
	v_cndmask_b32_e64 v195, v178, v178, s2
	s_mov_b32 s2, exec_lo
	s_delay_alu instid0(VALU_DEP_1)
	v_cmpx_ngt_f64_e32 v[193:194], v[195:196]
	s_xor_b32 s2, exec_lo, s2
	s_cbranch_execz .LBB86_763
; %bb.762:
	v_div_scale_f64 v[193:194], null, v[178:179], v[178:179], v[176:177]
	v_div_scale_f64 v[199:200], vcc_lo, v[176:177], v[178:179], v[176:177]
	s_delay_alu instid0(VALU_DEP_2) | instskip(SKIP_2) | instid1(VALU_DEP_1)
	v_rcp_f64_e32 v[195:196], v[193:194]
	s_waitcnt_depctr 0xfff
	v_fma_f64 v[197:198], -v[193:194], v[195:196], 1.0
	v_fma_f64 v[195:196], v[195:196], v[197:198], v[195:196]
	s_delay_alu instid0(VALU_DEP_1) | instskip(NEXT) | instid1(VALU_DEP_1)
	v_fma_f64 v[197:198], -v[193:194], v[195:196], 1.0
	v_fma_f64 v[195:196], v[195:196], v[197:198], v[195:196]
	s_delay_alu instid0(VALU_DEP_1) | instskip(NEXT) | instid1(VALU_DEP_1)
	v_mul_f64 v[197:198], v[199:200], v[195:196]
	v_fma_f64 v[193:194], -v[193:194], v[197:198], v[199:200]
	s_delay_alu instid0(VALU_DEP_1) | instskip(NEXT) | instid1(VALU_DEP_1)
	v_div_fmas_f64 v[193:194], v[193:194], v[195:196], v[197:198]
	v_div_fixup_f64 v[193:194], v[193:194], v[178:179], v[176:177]
	s_delay_alu instid0(VALU_DEP_1) | instskip(NEXT) | instid1(VALU_DEP_1)
	v_fma_f64 v[176:177], v[176:177], v[193:194], v[178:179]
	v_div_scale_f64 v[178:179], null, v[176:177], v[176:177], 1.0
	s_delay_alu instid0(VALU_DEP_1) | instskip(SKIP_2) | instid1(VALU_DEP_1)
	v_rcp_f64_e32 v[195:196], v[178:179]
	s_waitcnt_depctr 0xfff
	v_fma_f64 v[197:198], -v[178:179], v[195:196], 1.0
	v_fma_f64 v[195:196], v[195:196], v[197:198], v[195:196]
	s_delay_alu instid0(VALU_DEP_1) | instskip(NEXT) | instid1(VALU_DEP_1)
	v_fma_f64 v[197:198], -v[178:179], v[195:196], 1.0
	v_fma_f64 v[195:196], v[195:196], v[197:198], v[195:196]
	v_div_scale_f64 v[197:198], vcc_lo, 1.0, v[176:177], 1.0
	s_delay_alu instid0(VALU_DEP_1) | instskip(NEXT) | instid1(VALU_DEP_1)
	v_mul_f64 v[199:200], v[197:198], v[195:196]
	v_fma_f64 v[178:179], -v[178:179], v[199:200], v[197:198]
	s_delay_alu instid0(VALU_DEP_1) | instskip(NEXT) | instid1(VALU_DEP_1)
	v_div_fmas_f64 v[178:179], v[178:179], v[195:196], v[199:200]
	v_div_fixup_f64 v[178:179], v[178:179], v[176:177], 1.0
	s_delay_alu instid0(VALU_DEP_1)
	v_mul_f64 v[176:177], v[193:194], v[178:179]
	v_xor_b32_e32 v179, 0x80000000, v179
.LBB86_763:
	s_and_not1_saveexec_b32 s2, s2
	s_cbranch_execz .LBB86_765
; %bb.764:
	s_delay_alu instid0(VALU_DEP_1) | instskip(SKIP_1) | instid1(VALU_DEP_2)
	v_div_scale_f64 v[193:194], null, v[176:177], v[176:177], v[178:179]
	v_div_scale_f64 v[199:200], vcc_lo, v[178:179], v[176:177], v[178:179]
	v_rcp_f64_e32 v[195:196], v[193:194]
	s_waitcnt_depctr 0xfff
	v_fma_f64 v[197:198], -v[193:194], v[195:196], 1.0
	s_delay_alu instid0(VALU_DEP_1) | instskip(NEXT) | instid1(VALU_DEP_1)
	v_fma_f64 v[195:196], v[195:196], v[197:198], v[195:196]
	v_fma_f64 v[197:198], -v[193:194], v[195:196], 1.0
	s_delay_alu instid0(VALU_DEP_1) | instskip(NEXT) | instid1(VALU_DEP_1)
	v_fma_f64 v[195:196], v[195:196], v[197:198], v[195:196]
	v_mul_f64 v[197:198], v[199:200], v[195:196]
	s_delay_alu instid0(VALU_DEP_1) | instskip(NEXT) | instid1(VALU_DEP_1)
	v_fma_f64 v[193:194], -v[193:194], v[197:198], v[199:200]
	v_div_fmas_f64 v[193:194], v[193:194], v[195:196], v[197:198]
	s_delay_alu instid0(VALU_DEP_1) | instskip(NEXT) | instid1(VALU_DEP_1)
	v_div_fixup_f64 v[193:194], v[193:194], v[176:177], v[178:179]
	v_fma_f64 v[176:177], v[178:179], v[193:194], v[176:177]
	s_delay_alu instid0(VALU_DEP_1) | instskip(NEXT) | instid1(VALU_DEP_1)
	v_div_scale_f64 v[178:179], null, v[176:177], v[176:177], 1.0
	v_rcp_f64_e32 v[195:196], v[178:179]
	s_waitcnt_depctr 0xfff
	v_fma_f64 v[197:198], -v[178:179], v[195:196], 1.0
	s_delay_alu instid0(VALU_DEP_1) | instskip(NEXT) | instid1(VALU_DEP_1)
	v_fma_f64 v[195:196], v[195:196], v[197:198], v[195:196]
	v_fma_f64 v[197:198], -v[178:179], v[195:196], 1.0
	s_delay_alu instid0(VALU_DEP_1) | instskip(SKIP_1) | instid1(VALU_DEP_1)
	v_fma_f64 v[195:196], v[195:196], v[197:198], v[195:196]
	v_div_scale_f64 v[197:198], vcc_lo, 1.0, v[176:177], 1.0
	v_mul_f64 v[199:200], v[197:198], v[195:196]
	s_delay_alu instid0(VALU_DEP_1) | instskip(NEXT) | instid1(VALU_DEP_1)
	v_fma_f64 v[178:179], -v[178:179], v[199:200], v[197:198]
	v_div_fmas_f64 v[178:179], v[178:179], v[195:196], v[199:200]
	s_delay_alu instid0(VALU_DEP_1) | instskip(NEXT) | instid1(VALU_DEP_1)
	v_div_fixup_f64 v[176:177], v[178:179], v[176:177], 1.0
	v_mul_f64 v[178:179], v[193:194], -v[176:177]
.LBB86_765:
	s_or_b32 exec_lo, exec_lo, s2
.LBB86_766:
	s_delay_alu instid0(SALU_CYCLE_1) | instskip(NEXT) | instid1(SALU_CYCLE_1)
	s_or_b32 exec_lo, exec_lo, s3
	s_mov_b32 s2, exec_lo
	v_cmpx_ne_u32_e64 v192, v184
	s_xor_b32 s2, exec_lo, s2
	s_cbranch_execz .LBB86_772
; %bb.767:
	s_mov_b32 s3, exec_lo
	v_cmpx_eq_u32_e32 36, v192
	s_cbranch_execz .LBB86_771
; %bb.768:
	v_cmp_ne_u32_e32 vcc_lo, 36, v184
	s_xor_b32 s6, s4, -1
	s_delay_alu instid0(SALU_CYCLE_1) | instskip(NEXT) | instid1(SALU_CYCLE_1)
	s_and_b32 s7, s6, vcc_lo
	s_and_saveexec_b32 s6, s7
	s_cbranch_execz .LBB86_770
; %bb.769:
	v_ashrrev_i32_e32 v185, 31, v184
	s_delay_alu instid0(VALU_DEP_1) | instskip(NEXT) | instid1(VALU_DEP_1)
	v_lshlrev_b64 v[191:192], 2, v[184:185]
	v_add_co_u32 v191, vcc_lo, v182, v191
	s_delay_alu instid0(VALU_DEP_2)
	v_add_co_ci_u32_e32 v192, vcc_lo, v183, v192, vcc_lo
	s_clause 0x1
	flat_load_b32 v185, v[191:192]
	flat_load_b32 v193, v[182:183] offset:144
	s_waitcnt vmcnt(1) lgkmcnt(1)
	flat_store_b32 v[182:183], v185 offset:144
	s_waitcnt vmcnt(0) lgkmcnt(1)
	flat_store_b32 v[191:192], v193
.LBB86_770:
	s_or_b32 exec_lo, exec_lo, s6
	v_mov_b32_e32 v192, v184
	v_mov_b32_e32 v191, v184
.LBB86_771:
	s_or_b32 exec_lo, exec_lo, s3
.LBB86_772:
	s_and_not1_saveexec_b32 s2, s2
	s_cbranch_execz .LBB86_774
; %bb.773:
	v_mov_b32_e32 v192, 36
	ds_store_2addr_b64 v186, v[24:25], v[26:27] offset0:74 offset1:75
	ds_store_2addr_b64 v186, v[20:21], v[22:23] offset0:76 offset1:77
	;; [unrolled: 1-line block ×7, first 2 shown]
.LBB86_774:
	s_or_b32 exec_lo, exec_lo, s2
	s_delay_alu instid0(SALU_CYCLE_1)
	s_mov_b32 s2, exec_lo
	s_waitcnt lgkmcnt(0)
	s_waitcnt_vscnt null, 0x0
	s_barrier
	buffer_gl0_inv
	v_cmpx_lt_i32_e32 36, v192
	s_cbranch_execz .LBB86_776
; %bb.775:
	v_mul_f64 v[184:185], v[176:177], v[30:31]
	v_mul_f64 v[30:31], v[178:179], v[30:31]
	ds_load_2addr_b64 v[193:196], v186 offset0:74 offset1:75
	ds_load_2addr_b64 v[197:200], v186 offset0:76 offset1:77
	;; [unrolled: 1-line block ×7, first 2 shown]
	v_fma_f64 v[178:179], v[178:179], v[28:29], v[184:185]
	v_fma_f64 v[28:29], v[176:177], v[28:29], -v[30:31]
	s_waitcnt lgkmcnt(6)
	s_delay_alu instid0(VALU_DEP_2)
	v_mul_f64 v[30:31], v[195:196], v[178:179]
	v_mul_f64 v[176:177], v[193:194], v[178:179]
	s_waitcnt lgkmcnt(5)
	v_mul_f64 v[184:185], v[199:200], v[178:179]
	v_mul_f64 v[221:222], v[197:198], v[178:179]
	s_waitcnt lgkmcnt(4)
	;; [unrolled: 3-line block ×6, first 2 shown]
	v_mul_f64 v[239:240], v[219:220], v[178:179]
	v_mul_f64 v[241:242], v[217:218], v[178:179]
	v_fma_f64 v[30:31], v[193:194], v[28:29], -v[30:31]
	v_fma_f64 v[176:177], v[195:196], v[28:29], v[176:177]
	v_fma_f64 v[184:185], v[197:198], v[28:29], -v[184:185]
	v_fma_f64 v[193:194], v[199:200], v[28:29], v[221:222]
	;; [unrolled: 2-line block ×7, first 2 shown]
	v_add_f64 v[24:25], v[24:25], -v[30:31]
	v_add_f64 v[26:27], v[26:27], -v[176:177]
	;; [unrolled: 1-line block ×14, first 2 shown]
	v_dual_mov_b32 v30, v178 :: v_dual_mov_b32 v31, v179
.LBB86_776:
	s_or_b32 exec_lo, exec_lo, s2
	v_lshl_add_u32 v176, v192, 4, v186
	s_barrier
	buffer_gl0_inv
	v_mov_b32_e32 v184, 37
	ds_store_2addr_b64 v176, v[24:25], v[26:27] offset1:1
	s_waitcnt lgkmcnt(0)
	s_barrier
	buffer_gl0_inv
	ds_load_2addr_b64 v[176:179], v186 offset0:74 offset1:75
	s_cmp_lt_i32 s5, 39
	s_cbranch_scc1 .LBB86_779
; %bb.777:
	v_add3_u32 v185, v190, 0, 0x260
	v_mov_b32_e32 v184, 37
	s_mov_b32 s6, 38
	s_set_inst_prefetch_distance 0x1
	.p2align	6
.LBB86_778:                             ; =>This Inner Loop Header: Depth=1
	ds_load_2addr_b64 v[193:196], v185 offset1:1
	s_waitcnt lgkmcnt(1)
	v_cmp_gt_f64_e32 vcc_lo, 0, v[176:177]
	v_xor_b32_e32 v197, 0x80000000, v177
	v_cmp_gt_f64_e64 s2, 0, v[178:179]
	v_xor_b32_e32 v199, 0x80000000, v179
	v_add_nc_u32_e32 v185, 16, v185
	s_waitcnt lgkmcnt(0)
	v_cmp_gt_f64_e64 s3, 0, v[193:194]
	v_mov_b32_e32 v201, v193
	v_dual_mov_b32 v203, v195 :: v_dual_cndmask_b32 v198, v177, v197
	v_xor_b32_e32 v197, 0x80000000, v194
	v_cndmask_b32_e64 v200, v179, v199, s2
	v_xor_b32_e32 v199, 0x80000000, v196
	s_delay_alu instid0(VALU_DEP_3) | instskip(SKIP_2) | instid1(VALU_DEP_2)
	v_cndmask_b32_e64 v202, v194, v197, s3
	v_cmp_gt_f64_e64 s3, 0, v[195:196]
	v_cndmask_b32_e32 v197, v176, v176, vcc_lo
	v_cndmask_b32_e64 v204, v196, v199, s3
	v_cndmask_b32_e64 v199, v178, v178, s2
	s_delay_alu instid0(VALU_DEP_2) | instskip(NEXT) | instid1(VALU_DEP_2)
	v_add_f64 v[201:202], v[201:202], v[203:204]
	v_add_f64 v[197:198], v[197:198], v[199:200]
	s_delay_alu instid0(VALU_DEP_1) | instskip(SKIP_4) | instid1(SALU_CYCLE_1)
	v_cmp_lt_f64_e32 vcc_lo, v[197:198], v[201:202]
	v_dual_cndmask_b32 v178, v178, v195 :: v_dual_cndmask_b32 v177, v177, v194
	v_dual_cndmask_b32 v176, v176, v193 :: v_dual_cndmask_b32 v179, v179, v196
	v_cndmask_b32_e64 v184, v184, s6, vcc_lo
	s_add_i32 s6, s6, 1
	s_cmp_lg_u32 s5, s6
	s_cbranch_scc1 .LBB86_778
.LBB86_779:
	s_set_inst_prefetch_distance 0x2
	s_waitcnt lgkmcnt(0)
	v_cmp_eq_f64_e32 vcc_lo, 0, v[176:177]
	v_cmp_eq_f64_e64 s2, 0, v[178:179]
	s_delay_alu instid0(VALU_DEP_1) | instskip(NEXT) | instid1(SALU_CYCLE_1)
	s_and_b32 s2, vcc_lo, s2
	s_and_saveexec_b32 s3, s2
	s_delay_alu instid0(SALU_CYCLE_1)
	s_xor_b32 s2, exec_lo, s3
; %bb.780:
	v_cmp_ne_u32_e32 vcc_lo, 0, v189
	v_cndmask_b32_e32 v189, 38, v189, vcc_lo
; %bb.781:
	s_and_not1_saveexec_b32 s3, s2
	s_cbranch_execz .LBB86_787
; %bb.782:
	v_cmp_gt_f64_e32 vcc_lo, 0, v[176:177]
	v_cmp_gt_f64_e64 s2, 0, v[178:179]
	v_xor_b32_e32 v185, 0x80000000, v177
	v_xor_b32_e32 v193, 0x80000000, v179
	s_delay_alu instid0(VALU_DEP_2) | instskip(NEXT) | instid1(VALU_DEP_2)
	v_cndmask_b32_e32 v194, v177, v185, vcc_lo
	v_cndmask_b32_e64 v196, v179, v193, s2
	v_cndmask_b32_e32 v193, v176, v176, vcc_lo
	v_cndmask_b32_e64 v195, v178, v178, s2
	s_mov_b32 s2, exec_lo
	s_delay_alu instid0(VALU_DEP_1)
	v_cmpx_ngt_f64_e32 v[193:194], v[195:196]
	s_xor_b32 s2, exec_lo, s2
	s_cbranch_execz .LBB86_784
; %bb.783:
	v_div_scale_f64 v[193:194], null, v[178:179], v[178:179], v[176:177]
	v_div_scale_f64 v[199:200], vcc_lo, v[176:177], v[178:179], v[176:177]
	s_delay_alu instid0(VALU_DEP_2) | instskip(SKIP_2) | instid1(VALU_DEP_1)
	v_rcp_f64_e32 v[195:196], v[193:194]
	s_waitcnt_depctr 0xfff
	v_fma_f64 v[197:198], -v[193:194], v[195:196], 1.0
	v_fma_f64 v[195:196], v[195:196], v[197:198], v[195:196]
	s_delay_alu instid0(VALU_DEP_1) | instskip(NEXT) | instid1(VALU_DEP_1)
	v_fma_f64 v[197:198], -v[193:194], v[195:196], 1.0
	v_fma_f64 v[195:196], v[195:196], v[197:198], v[195:196]
	s_delay_alu instid0(VALU_DEP_1) | instskip(NEXT) | instid1(VALU_DEP_1)
	v_mul_f64 v[197:198], v[199:200], v[195:196]
	v_fma_f64 v[193:194], -v[193:194], v[197:198], v[199:200]
	s_delay_alu instid0(VALU_DEP_1) | instskip(NEXT) | instid1(VALU_DEP_1)
	v_div_fmas_f64 v[193:194], v[193:194], v[195:196], v[197:198]
	v_div_fixup_f64 v[193:194], v[193:194], v[178:179], v[176:177]
	s_delay_alu instid0(VALU_DEP_1) | instskip(NEXT) | instid1(VALU_DEP_1)
	v_fma_f64 v[176:177], v[176:177], v[193:194], v[178:179]
	v_div_scale_f64 v[178:179], null, v[176:177], v[176:177], 1.0
	s_delay_alu instid0(VALU_DEP_1) | instskip(SKIP_2) | instid1(VALU_DEP_1)
	v_rcp_f64_e32 v[195:196], v[178:179]
	s_waitcnt_depctr 0xfff
	v_fma_f64 v[197:198], -v[178:179], v[195:196], 1.0
	v_fma_f64 v[195:196], v[195:196], v[197:198], v[195:196]
	s_delay_alu instid0(VALU_DEP_1) | instskip(NEXT) | instid1(VALU_DEP_1)
	v_fma_f64 v[197:198], -v[178:179], v[195:196], 1.0
	v_fma_f64 v[195:196], v[195:196], v[197:198], v[195:196]
	v_div_scale_f64 v[197:198], vcc_lo, 1.0, v[176:177], 1.0
	s_delay_alu instid0(VALU_DEP_1) | instskip(NEXT) | instid1(VALU_DEP_1)
	v_mul_f64 v[199:200], v[197:198], v[195:196]
	v_fma_f64 v[178:179], -v[178:179], v[199:200], v[197:198]
	s_delay_alu instid0(VALU_DEP_1) | instskip(NEXT) | instid1(VALU_DEP_1)
	v_div_fmas_f64 v[178:179], v[178:179], v[195:196], v[199:200]
	v_div_fixup_f64 v[178:179], v[178:179], v[176:177], 1.0
	s_delay_alu instid0(VALU_DEP_1)
	v_mul_f64 v[176:177], v[193:194], v[178:179]
	v_xor_b32_e32 v179, 0x80000000, v179
.LBB86_784:
	s_and_not1_saveexec_b32 s2, s2
	s_cbranch_execz .LBB86_786
; %bb.785:
	s_delay_alu instid0(VALU_DEP_1) | instskip(SKIP_1) | instid1(VALU_DEP_2)
	v_div_scale_f64 v[193:194], null, v[176:177], v[176:177], v[178:179]
	v_div_scale_f64 v[199:200], vcc_lo, v[178:179], v[176:177], v[178:179]
	v_rcp_f64_e32 v[195:196], v[193:194]
	s_waitcnt_depctr 0xfff
	v_fma_f64 v[197:198], -v[193:194], v[195:196], 1.0
	s_delay_alu instid0(VALU_DEP_1) | instskip(NEXT) | instid1(VALU_DEP_1)
	v_fma_f64 v[195:196], v[195:196], v[197:198], v[195:196]
	v_fma_f64 v[197:198], -v[193:194], v[195:196], 1.0
	s_delay_alu instid0(VALU_DEP_1) | instskip(NEXT) | instid1(VALU_DEP_1)
	v_fma_f64 v[195:196], v[195:196], v[197:198], v[195:196]
	v_mul_f64 v[197:198], v[199:200], v[195:196]
	s_delay_alu instid0(VALU_DEP_1) | instskip(NEXT) | instid1(VALU_DEP_1)
	v_fma_f64 v[193:194], -v[193:194], v[197:198], v[199:200]
	v_div_fmas_f64 v[193:194], v[193:194], v[195:196], v[197:198]
	s_delay_alu instid0(VALU_DEP_1) | instskip(NEXT) | instid1(VALU_DEP_1)
	v_div_fixup_f64 v[193:194], v[193:194], v[176:177], v[178:179]
	v_fma_f64 v[176:177], v[178:179], v[193:194], v[176:177]
	s_delay_alu instid0(VALU_DEP_1) | instskip(NEXT) | instid1(VALU_DEP_1)
	v_div_scale_f64 v[178:179], null, v[176:177], v[176:177], 1.0
	v_rcp_f64_e32 v[195:196], v[178:179]
	s_waitcnt_depctr 0xfff
	v_fma_f64 v[197:198], -v[178:179], v[195:196], 1.0
	s_delay_alu instid0(VALU_DEP_1) | instskip(NEXT) | instid1(VALU_DEP_1)
	v_fma_f64 v[195:196], v[195:196], v[197:198], v[195:196]
	v_fma_f64 v[197:198], -v[178:179], v[195:196], 1.0
	s_delay_alu instid0(VALU_DEP_1) | instskip(SKIP_1) | instid1(VALU_DEP_1)
	v_fma_f64 v[195:196], v[195:196], v[197:198], v[195:196]
	v_div_scale_f64 v[197:198], vcc_lo, 1.0, v[176:177], 1.0
	v_mul_f64 v[199:200], v[197:198], v[195:196]
	s_delay_alu instid0(VALU_DEP_1) | instskip(NEXT) | instid1(VALU_DEP_1)
	v_fma_f64 v[178:179], -v[178:179], v[199:200], v[197:198]
	v_div_fmas_f64 v[178:179], v[178:179], v[195:196], v[199:200]
	s_delay_alu instid0(VALU_DEP_1) | instskip(NEXT) | instid1(VALU_DEP_1)
	v_div_fixup_f64 v[176:177], v[178:179], v[176:177], 1.0
	v_mul_f64 v[178:179], v[193:194], -v[176:177]
.LBB86_786:
	s_or_b32 exec_lo, exec_lo, s2
.LBB86_787:
	s_delay_alu instid0(SALU_CYCLE_1) | instskip(NEXT) | instid1(SALU_CYCLE_1)
	s_or_b32 exec_lo, exec_lo, s3
	s_mov_b32 s2, exec_lo
	v_cmpx_ne_u32_e64 v192, v184
	s_xor_b32 s2, exec_lo, s2
	s_cbranch_execz .LBB86_793
; %bb.788:
	s_mov_b32 s3, exec_lo
	v_cmpx_eq_u32_e32 37, v192
	s_cbranch_execz .LBB86_792
; %bb.789:
	v_cmp_ne_u32_e32 vcc_lo, 37, v184
	s_xor_b32 s6, s4, -1
	s_delay_alu instid0(SALU_CYCLE_1) | instskip(NEXT) | instid1(SALU_CYCLE_1)
	s_and_b32 s7, s6, vcc_lo
	s_and_saveexec_b32 s6, s7
	s_cbranch_execz .LBB86_791
; %bb.790:
	v_ashrrev_i32_e32 v185, 31, v184
	s_delay_alu instid0(VALU_DEP_1) | instskip(NEXT) | instid1(VALU_DEP_1)
	v_lshlrev_b64 v[191:192], 2, v[184:185]
	v_add_co_u32 v191, vcc_lo, v182, v191
	s_delay_alu instid0(VALU_DEP_2)
	v_add_co_ci_u32_e32 v192, vcc_lo, v183, v192, vcc_lo
	s_clause 0x1
	flat_load_b32 v185, v[191:192]
	flat_load_b32 v193, v[182:183] offset:148
	s_waitcnt vmcnt(1) lgkmcnt(1)
	flat_store_b32 v[182:183], v185 offset:148
	s_waitcnt vmcnt(0) lgkmcnt(1)
	flat_store_b32 v[191:192], v193
.LBB86_791:
	s_or_b32 exec_lo, exec_lo, s6
	v_mov_b32_e32 v192, v184
	v_mov_b32_e32 v191, v184
.LBB86_792:
	s_or_b32 exec_lo, exec_lo, s3
.LBB86_793:
	s_and_not1_saveexec_b32 s2, s2
	s_cbranch_execz .LBB86_795
; %bb.794:
	v_mov_b32_e32 v192, 37
	ds_store_2addr_b64 v186, v[20:21], v[22:23] offset0:76 offset1:77
	ds_store_2addr_b64 v186, v[16:17], v[18:19] offset0:78 offset1:79
	;; [unrolled: 1-line block ×6, first 2 shown]
.LBB86_795:
	s_or_b32 exec_lo, exec_lo, s2
	s_delay_alu instid0(SALU_CYCLE_1)
	s_mov_b32 s2, exec_lo
	s_waitcnt lgkmcnt(0)
	s_waitcnt_vscnt null, 0x0
	s_barrier
	buffer_gl0_inv
	v_cmpx_lt_i32_e32 37, v192
	s_cbranch_execz .LBB86_797
; %bb.796:
	v_mul_f64 v[184:185], v[176:177], v[26:27]
	v_mul_f64 v[26:27], v[178:179], v[26:27]
	ds_load_2addr_b64 v[193:196], v186 offset0:76 offset1:77
	ds_load_2addr_b64 v[197:200], v186 offset0:78 offset1:79
	;; [unrolled: 1-line block ×6, first 2 shown]
	v_fma_f64 v[178:179], v[178:179], v[24:25], v[184:185]
	v_fma_f64 v[24:25], v[176:177], v[24:25], -v[26:27]
	s_waitcnt lgkmcnt(5)
	s_delay_alu instid0(VALU_DEP_2)
	v_mul_f64 v[26:27], v[195:196], v[178:179]
	v_mul_f64 v[176:177], v[193:194], v[178:179]
	s_waitcnt lgkmcnt(4)
	v_mul_f64 v[184:185], v[199:200], v[178:179]
	v_mul_f64 v[217:218], v[197:198], v[178:179]
	s_waitcnt lgkmcnt(3)
	;; [unrolled: 3-line block ×5, first 2 shown]
	v_mul_f64 v[231:232], v[215:216], v[178:179]
	v_mul_f64 v[233:234], v[213:214], v[178:179]
	v_fma_f64 v[26:27], v[193:194], v[24:25], -v[26:27]
	v_fma_f64 v[176:177], v[195:196], v[24:25], v[176:177]
	v_fma_f64 v[184:185], v[197:198], v[24:25], -v[184:185]
	v_fma_f64 v[193:194], v[199:200], v[24:25], v[217:218]
	;; [unrolled: 2-line block ×6, first 2 shown]
	v_add_f64 v[20:21], v[20:21], -v[26:27]
	v_add_f64 v[22:23], v[22:23], -v[176:177]
	;; [unrolled: 1-line block ×12, first 2 shown]
	v_dual_mov_b32 v26, v178 :: v_dual_mov_b32 v27, v179
.LBB86_797:
	s_or_b32 exec_lo, exec_lo, s2
	v_lshl_add_u32 v176, v192, 4, v186
	s_barrier
	buffer_gl0_inv
	v_mov_b32_e32 v184, 38
	ds_store_2addr_b64 v176, v[20:21], v[22:23] offset1:1
	s_waitcnt lgkmcnt(0)
	s_barrier
	buffer_gl0_inv
	ds_load_2addr_b64 v[176:179], v186 offset0:76 offset1:77
	s_cmp_lt_i32 s5, 40
	s_cbranch_scc1 .LBB86_800
; %bb.798:
	v_add3_u32 v185, v190, 0, 0x270
	v_mov_b32_e32 v184, 38
	s_mov_b32 s6, 39
	s_set_inst_prefetch_distance 0x1
	.p2align	6
.LBB86_799:                             ; =>This Inner Loop Header: Depth=1
	ds_load_2addr_b64 v[193:196], v185 offset1:1
	s_waitcnt lgkmcnt(1)
	v_cmp_gt_f64_e32 vcc_lo, 0, v[176:177]
	v_xor_b32_e32 v197, 0x80000000, v177
	v_cmp_gt_f64_e64 s2, 0, v[178:179]
	v_xor_b32_e32 v199, 0x80000000, v179
	v_add_nc_u32_e32 v185, 16, v185
	s_waitcnt lgkmcnt(0)
	v_cmp_gt_f64_e64 s3, 0, v[193:194]
	v_mov_b32_e32 v201, v193
	v_dual_mov_b32 v203, v195 :: v_dual_cndmask_b32 v198, v177, v197
	v_xor_b32_e32 v197, 0x80000000, v194
	v_cndmask_b32_e64 v200, v179, v199, s2
	v_xor_b32_e32 v199, 0x80000000, v196
	s_delay_alu instid0(VALU_DEP_3) | instskip(SKIP_2) | instid1(VALU_DEP_2)
	v_cndmask_b32_e64 v202, v194, v197, s3
	v_cmp_gt_f64_e64 s3, 0, v[195:196]
	v_cndmask_b32_e32 v197, v176, v176, vcc_lo
	v_cndmask_b32_e64 v204, v196, v199, s3
	v_cndmask_b32_e64 v199, v178, v178, s2
	s_delay_alu instid0(VALU_DEP_2) | instskip(NEXT) | instid1(VALU_DEP_2)
	v_add_f64 v[201:202], v[201:202], v[203:204]
	v_add_f64 v[197:198], v[197:198], v[199:200]
	s_delay_alu instid0(VALU_DEP_1) | instskip(SKIP_4) | instid1(SALU_CYCLE_1)
	v_cmp_lt_f64_e32 vcc_lo, v[197:198], v[201:202]
	v_dual_cndmask_b32 v178, v178, v195 :: v_dual_cndmask_b32 v177, v177, v194
	v_dual_cndmask_b32 v176, v176, v193 :: v_dual_cndmask_b32 v179, v179, v196
	v_cndmask_b32_e64 v184, v184, s6, vcc_lo
	s_add_i32 s6, s6, 1
	s_cmp_lg_u32 s5, s6
	s_cbranch_scc1 .LBB86_799
.LBB86_800:
	s_set_inst_prefetch_distance 0x2
	s_waitcnt lgkmcnt(0)
	v_cmp_eq_f64_e32 vcc_lo, 0, v[176:177]
	v_cmp_eq_f64_e64 s2, 0, v[178:179]
	s_delay_alu instid0(VALU_DEP_1) | instskip(NEXT) | instid1(SALU_CYCLE_1)
	s_and_b32 s2, vcc_lo, s2
	s_and_saveexec_b32 s3, s2
	s_delay_alu instid0(SALU_CYCLE_1)
	s_xor_b32 s2, exec_lo, s3
; %bb.801:
	v_cmp_ne_u32_e32 vcc_lo, 0, v189
	v_cndmask_b32_e32 v189, 39, v189, vcc_lo
; %bb.802:
	s_and_not1_saveexec_b32 s3, s2
	s_cbranch_execz .LBB86_808
; %bb.803:
	v_cmp_gt_f64_e32 vcc_lo, 0, v[176:177]
	v_cmp_gt_f64_e64 s2, 0, v[178:179]
	v_xor_b32_e32 v185, 0x80000000, v177
	v_xor_b32_e32 v193, 0x80000000, v179
	s_delay_alu instid0(VALU_DEP_2) | instskip(NEXT) | instid1(VALU_DEP_2)
	v_cndmask_b32_e32 v194, v177, v185, vcc_lo
	v_cndmask_b32_e64 v196, v179, v193, s2
	v_cndmask_b32_e32 v193, v176, v176, vcc_lo
	v_cndmask_b32_e64 v195, v178, v178, s2
	s_mov_b32 s2, exec_lo
	s_delay_alu instid0(VALU_DEP_1)
	v_cmpx_ngt_f64_e32 v[193:194], v[195:196]
	s_xor_b32 s2, exec_lo, s2
	s_cbranch_execz .LBB86_805
; %bb.804:
	v_div_scale_f64 v[193:194], null, v[178:179], v[178:179], v[176:177]
	v_div_scale_f64 v[199:200], vcc_lo, v[176:177], v[178:179], v[176:177]
	s_delay_alu instid0(VALU_DEP_2) | instskip(SKIP_2) | instid1(VALU_DEP_1)
	v_rcp_f64_e32 v[195:196], v[193:194]
	s_waitcnt_depctr 0xfff
	v_fma_f64 v[197:198], -v[193:194], v[195:196], 1.0
	v_fma_f64 v[195:196], v[195:196], v[197:198], v[195:196]
	s_delay_alu instid0(VALU_DEP_1) | instskip(NEXT) | instid1(VALU_DEP_1)
	v_fma_f64 v[197:198], -v[193:194], v[195:196], 1.0
	v_fma_f64 v[195:196], v[195:196], v[197:198], v[195:196]
	s_delay_alu instid0(VALU_DEP_1) | instskip(NEXT) | instid1(VALU_DEP_1)
	v_mul_f64 v[197:198], v[199:200], v[195:196]
	v_fma_f64 v[193:194], -v[193:194], v[197:198], v[199:200]
	s_delay_alu instid0(VALU_DEP_1) | instskip(NEXT) | instid1(VALU_DEP_1)
	v_div_fmas_f64 v[193:194], v[193:194], v[195:196], v[197:198]
	v_div_fixup_f64 v[193:194], v[193:194], v[178:179], v[176:177]
	s_delay_alu instid0(VALU_DEP_1) | instskip(NEXT) | instid1(VALU_DEP_1)
	v_fma_f64 v[176:177], v[176:177], v[193:194], v[178:179]
	v_div_scale_f64 v[178:179], null, v[176:177], v[176:177], 1.0
	s_delay_alu instid0(VALU_DEP_1) | instskip(SKIP_2) | instid1(VALU_DEP_1)
	v_rcp_f64_e32 v[195:196], v[178:179]
	s_waitcnt_depctr 0xfff
	v_fma_f64 v[197:198], -v[178:179], v[195:196], 1.0
	v_fma_f64 v[195:196], v[195:196], v[197:198], v[195:196]
	s_delay_alu instid0(VALU_DEP_1) | instskip(NEXT) | instid1(VALU_DEP_1)
	v_fma_f64 v[197:198], -v[178:179], v[195:196], 1.0
	v_fma_f64 v[195:196], v[195:196], v[197:198], v[195:196]
	v_div_scale_f64 v[197:198], vcc_lo, 1.0, v[176:177], 1.0
	s_delay_alu instid0(VALU_DEP_1) | instskip(NEXT) | instid1(VALU_DEP_1)
	v_mul_f64 v[199:200], v[197:198], v[195:196]
	v_fma_f64 v[178:179], -v[178:179], v[199:200], v[197:198]
	s_delay_alu instid0(VALU_DEP_1) | instskip(NEXT) | instid1(VALU_DEP_1)
	v_div_fmas_f64 v[178:179], v[178:179], v[195:196], v[199:200]
	v_div_fixup_f64 v[178:179], v[178:179], v[176:177], 1.0
	s_delay_alu instid0(VALU_DEP_1)
	v_mul_f64 v[176:177], v[193:194], v[178:179]
	v_xor_b32_e32 v179, 0x80000000, v179
.LBB86_805:
	s_and_not1_saveexec_b32 s2, s2
	s_cbranch_execz .LBB86_807
; %bb.806:
	s_delay_alu instid0(VALU_DEP_1) | instskip(SKIP_1) | instid1(VALU_DEP_2)
	v_div_scale_f64 v[193:194], null, v[176:177], v[176:177], v[178:179]
	v_div_scale_f64 v[199:200], vcc_lo, v[178:179], v[176:177], v[178:179]
	v_rcp_f64_e32 v[195:196], v[193:194]
	s_waitcnt_depctr 0xfff
	v_fma_f64 v[197:198], -v[193:194], v[195:196], 1.0
	s_delay_alu instid0(VALU_DEP_1) | instskip(NEXT) | instid1(VALU_DEP_1)
	v_fma_f64 v[195:196], v[195:196], v[197:198], v[195:196]
	v_fma_f64 v[197:198], -v[193:194], v[195:196], 1.0
	s_delay_alu instid0(VALU_DEP_1) | instskip(NEXT) | instid1(VALU_DEP_1)
	v_fma_f64 v[195:196], v[195:196], v[197:198], v[195:196]
	v_mul_f64 v[197:198], v[199:200], v[195:196]
	s_delay_alu instid0(VALU_DEP_1) | instskip(NEXT) | instid1(VALU_DEP_1)
	v_fma_f64 v[193:194], -v[193:194], v[197:198], v[199:200]
	v_div_fmas_f64 v[193:194], v[193:194], v[195:196], v[197:198]
	s_delay_alu instid0(VALU_DEP_1) | instskip(NEXT) | instid1(VALU_DEP_1)
	v_div_fixup_f64 v[193:194], v[193:194], v[176:177], v[178:179]
	v_fma_f64 v[176:177], v[178:179], v[193:194], v[176:177]
	s_delay_alu instid0(VALU_DEP_1) | instskip(NEXT) | instid1(VALU_DEP_1)
	v_div_scale_f64 v[178:179], null, v[176:177], v[176:177], 1.0
	v_rcp_f64_e32 v[195:196], v[178:179]
	s_waitcnt_depctr 0xfff
	v_fma_f64 v[197:198], -v[178:179], v[195:196], 1.0
	s_delay_alu instid0(VALU_DEP_1) | instskip(NEXT) | instid1(VALU_DEP_1)
	v_fma_f64 v[195:196], v[195:196], v[197:198], v[195:196]
	v_fma_f64 v[197:198], -v[178:179], v[195:196], 1.0
	s_delay_alu instid0(VALU_DEP_1) | instskip(SKIP_1) | instid1(VALU_DEP_1)
	v_fma_f64 v[195:196], v[195:196], v[197:198], v[195:196]
	v_div_scale_f64 v[197:198], vcc_lo, 1.0, v[176:177], 1.0
	v_mul_f64 v[199:200], v[197:198], v[195:196]
	s_delay_alu instid0(VALU_DEP_1) | instskip(NEXT) | instid1(VALU_DEP_1)
	v_fma_f64 v[178:179], -v[178:179], v[199:200], v[197:198]
	v_div_fmas_f64 v[178:179], v[178:179], v[195:196], v[199:200]
	s_delay_alu instid0(VALU_DEP_1) | instskip(NEXT) | instid1(VALU_DEP_1)
	v_div_fixup_f64 v[176:177], v[178:179], v[176:177], 1.0
	v_mul_f64 v[178:179], v[193:194], -v[176:177]
.LBB86_807:
	s_or_b32 exec_lo, exec_lo, s2
.LBB86_808:
	s_delay_alu instid0(SALU_CYCLE_1) | instskip(NEXT) | instid1(SALU_CYCLE_1)
	s_or_b32 exec_lo, exec_lo, s3
	s_mov_b32 s2, exec_lo
	v_cmpx_ne_u32_e64 v192, v184
	s_xor_b32 s2, exec_lo, s2
	s_cbranch_execz .LBB86_814
; %bb.809:
	s_mov_b32 s3, exec_lo
	v_cmpx_eq_u32_e32 38, v192
	s_cbranch_execz .LBB86_813
; %bb.810:
	v_cmp_ne_u32_e32 vcc_lo, 38, v184
	s_xor_b32 s6, s4, -1
	s_delay_alu instid0(SALU_CYCLE_1) | instskip(NEXT) | instid1(SALU_CYCLE_1)
	s_and_b32 s7, s6, vcc_lo
	s_and_saveexec_b32 s6, s7
	s_cbranch_execz .LBB86_812
; %bb.811:
	v_ashrrev_i32_e32 v185, 31, v184
	s_delay_alu instid0(VALU_DEP_1) | instskip(NEXT) | instid1(VALU_DEP_1)
	v_lshlrev_b64 v[191:192], 2, v[184:185]
	v_add_co_u32 v191, vcc_lo, v182, v191
	s_delay_alu instid0(VALU_DEP_2)
	v_add_co_ci_u32_e32 v192, vcc_lo, v183, v192, vcc_lo
	s_clause 0x1
	flat_load_b32 v185, v[191:192]
	flat_load_b32 v193, v[182:183] offset:152
	s_waitcnt vmcnt(1) lgkmcnt(1)
	flat_store_b32 v[182:183], v185 offset:152
	s_waitcnt vmcnt(0) lgkmcnt(1)
	flat_store_b32 v[191:192], v193
.LBB86_812:
	s_or_b32 exec_lo, exec_lo, s6
	v_mov_b32_e32 v192, v184
	v_mov_b32_e32 v191, v184
.LBB86_813:
	s_or_b32 exec_lo, exec_lo, s3
.LBB86_814:
	s_and_not1_saveexec_b32 s2, s2
	s_cbranch_execz .LBB86_816
; %bb.815:
	v_mov_b32_e32 v192, 38
	ds_store_2addr_b64 v186, v[16:17], v[18:19] offset0:78 offset1:79
	ds_store_2addr_b64 v186, v[12:13], v[14:15] offset0:80 offset1:81
	;; [unrolled: 1-line block ×5, first 2 shown]
.LBB86_816:
	s_or_b32 exec_lo, exec_lo, s2
	s_delay_alu instid0(SALU_CYCLE_1)
	s_mov_b32 s2, exec_lo
	s_waitcnt lgkmcnt(0)
	s_waitcnt_vscnt null, 0x0
	s_barrier
	buffer_gl0_inv
	v_cmpx_lt_i32_e32 38, v192
	s_cbranch_execz .LBB86_818
; %bb.817:
	v_mul_f64 v[184:185], v[176:177], v[22:23]
	v_mul_f64 v[22:23], v[178:179], v[22:23]
	ds_load_2addr_b64 v[193:196], v186 offset0:78 offset1:79
	ds_load_2addr_b64 v[197:200], v186 offset0:80 offset1:81
	;; [unrolled: 1-line block ×5, first 2 shown]
	v_fma_f64 v[178:179], v[178:179], v[20:21], v[184:185]
	v_fma_f64 v[20:21], v[176:177], v[20:21], -v[22:23]
	s_waitcnt lgkmcnt(4)
	s_delay_alu instid0(VALU_DEP_2)
	v_mul_f64 v[22:23], v[195:196], v[178:179]
	v_mul_f64 v[176:177], v[193:194], v[178:179]
	s_waitcnt lgkmcnt(3)
	v_mul_f64 v[184:185], v[199:200], v[178:179]
	v_mul_f64 v[213:214], v[197:198], v[178:179]
	s_waitcnt lgkmcnt(2)
	v_mul_f64 v[215:216], v[203:204], v[178:179]
	v_mul_f64 v[217:218], v[201:202], v[178:179]
	s_waitcnt lgkmcnt(1)
	v_mul_f64 v[219:220], v[207:208], v[178:179]
	v_mul_f64 v[221:222], v[205:206], v[178:179]
	s_waitcnt lgkmcnt(0)
	v_mul_f64 v[223:224], v[211:212], v[178:179]
	v_mul_f64 v[225:226], v[209:210], v[178:179]
	v_fma_f64 v[22:23], v[193:194], v[20:21], -v[22:23]
	v_fma_f64 v[176:177], v[195:196], v[20:21], v[176:177]
	v_fma_f64 v[184:185], v[197:198], v[20:21], -v[184:185]
	v_fma_f64 v[193:194], v[199:200], v[20:21], v[213:214]
	;; [unrolled: 2-line block ×5, first 2 shown]
	v_add_f64 v[16:17], v[16:17], -v[22:23]
	v_add_f64 v[18:19], v[18:19], -v[176:177]
	;; [unrolled: 1-line block ×10, first 2 shown]
	v_dual_mov_b32 v22, v178 :: v_dual_mov_b32 v23, v179
.LBB86_818:
	s_or_b32 exec_lo, exec_lo, s2
	v_lshl_add_u32 v176, v192, 4, v186
	s_barrier
	buffer_gl0_inv
	v_mov_b32_e32 v184, 39
	ds_store_2addr_b64 v176, v[16:17], v[18:19] offset1:1
	s_waitcnt lgkmcnt(0)
	s_barrier
	buffer_gl0_inv
	ds_load_2addr_b64 v[176:179], v186 offset0:78 offset1:79
	s_cmp_lt_i32 s5, 41
	s_cbranch_scc1 .LBB86_821
; %bb.819:
	v_add3_u32 v185, v190, 0, 0x280
	v_mov_b32_e32 v184, 39
	s_mov_b32 s6, 40
	s_set_inst_prefetch_distance 0x1
	.p2align	6
.LBB86_820:                             ; =>This Inner Loop Header: Depth=1
	ds_load_2addr_b64 v[193:196], v185 offset1:1
	s_waitcnt lgkmcnt(1)
	v_cmp_gt_f64_e32 vcc_lo, 0, v[176:177]
	v_xor_b32_e32 v197, 0x80000000, v177
	v_cmp_gt_f64_e64 s2, 0, v[178:179]
	v_xor_b32_e32 v199, 0x80000000, v179
	v_add_nc_u32_e32 v185, 16, v185
	s_waitcnt lgkmcnt(0)
	v_cmp_gt_f64_e64 s3, 0, v[193:194]
	v_mov_b32_e32 v201, v193
	v_dual_mov_b32 v203, v195 :: v_dual_cndmask_b32 v198, v177, v197
	v_xor_b32_e32 v197, 0x80000000, v194
	v_cndmask_b32_e64 v200, v179, v199, s2
	v_xor_b32_e32 v199, 0x80000000, v196
	s_delay_alu instid0(VALU_DEP_3) | instskip(SKIP_2) | instid1(VALU_DEP_2)
	v_cndmask_b32_e64 v202, v194, v197, s3
	v_cmp_gt_f64_e64 s3, 0, v[195:196]
	v_cndmask_b32_e32 v197, v176, v176, vcc_lo
	v_cndmask_b32_e64 v204, v196, v199, s3
	v_cndmask_b32_e64 v199, v178, v178, s2
	s_delay_alu instid0(VALU_DEP_2) | instskip(NEXT) | instid1(VALU_DEP_2)
	v_add_f64 v[201:202], v[201:202], v[203:204]
	v_add_f64 v[197:198], v[197:198], v[199:200]
	s_delay_alu instid0(VALU_DEP_1) | instskip(SKIP_4) | instid1(SALU_CYCLE_1)
	v_cmp_lt_f64_e32 vcc_lo, v[197:198], v[201:202]
	v_dual_cndmask_b32 v178, v178, v195 :: v_dual_cndmask_b32 v177, v177, v194
	v_dual_cndmask_b32 v176, v176, v193 :: v_dual_cndmask_b32 v179, v179, v196
	v_cndmask_b32_e64 v184, v184, s6, vcc_lo
	s_add_i32 s6, s6, 1
	s_cmp_lg_u32 s5, s6
	s_cbranch_scc1 .LBB86_820
.LBB86_821:
	s_set_inst_prefetch_distance 0x2
	s_waitcnt lgkmcnt(0)
	v_cmp_eq_f64_e32 vcc_lo, 0, v[176:177]
	v_cmp_eq_f64_e64 s2, 0, v[178:179]
	s_delay_alu instid0(VALU_DEP_1) | instskip(NEXT) | instid1(SALU_CYCLE_1)
	s_and_b32 s2, vcc_lo, s2
	s_and_saveexec_b32 s3, s2
	s_delay_alu instid0(SALU_CYCLE_1)
	s_xor_b32 s2, exec_lo, s3
; %bb.822:
	v_cmp_ne_u32_e32 vcc_lo, 0, v189
	v_cndmask_b32_e32 v189, 40, v189, vcc_lo
; %bb.823:
	s_and_not1_saveexec_b32 s3, s2
	s_cbranch_execz .LBB86_829
; %bb.824:
	v_cmp_gt_f64_e32 vcc_lo, 0, v[176:177]
	v_cmp_gt_f64_e64 s2, 0, v[178:179]
	v_xor_b32_e32 v185, 0x80000000, v177
	v_xor_b32_e32 v193, 0x80000000, v179
	s_delay_alu instid0(VALU_DEP_2) | instskip(NEXT) | instid1(VALU_DEP_2)
	v_cndmask_b32_e32 v194, v177, v185, vcc_lo
	v_cndmask_b32_e64 v196, v179, v193, s2
	v_cndmask_b32_e32 v193, v176, v176, vcc_lo
	v_cndmask_b32_e64 v195, v178, v178, s2
	s_mov_b32 s2, exec_lo
	s_delay_alu instid0(VALU_DEP_1)
	v_cmpx_ngt_f64_e32 v[193:194], v[195:196]
	s_xor_b32 s2, exec_lo, s2
	s_cbranch_execz .LBB86_826
; %bb.825:
	v_div_scale_f64 v[193:194], null, v[178:179], v[178:179], v[176:177]
	v_div_scale_f64 v[199:200], vcc_lo, v[176:177], v[178:179], v[176:177]
	s_delay_alu instid0(VALU_DEP_2) | instskip(SKIP_2) | instid1(VALU_DEP_1)
	v_rcp_f64_e32 v[195:196], v[193:194]
	s_waitcnt_depctr 0xfff
	v_fma_f64 v[197:198], -v[193:194], v[195:196], 1.0
	v_fma_f64 v[195:196], v[195:196], v[197:198], v[195:196]
	s_delay_alu instid0(VALU_DEP_1) | instskip(NEXT) | instid1(VALU_DEP_1)
	v_fma_f64 v[197:198], -v[193:194], v[195:196], 1.0
	v_fma_f64 v[195:196], v[195:196], v[197:198], v[195:196]
	s_delay_alu instid0(VALU_DEP_1) | instskip(NEXT) | instid1(VALU_DEP_1)
	v_mul_f64 v[197:198], v[199:200], v[195:196]
	v_fma_f64 v[193:194], -v[193:194], v[197:198], v[199:200]
	s_delay_alu instid0(VALU_DEP_1) | instskip(NEXT) | instid1(VALU_DEP_1)
	v_div_fmas_f64 v[193:194], v[193:194], v[195:196], v[197:198]
	v_div_fixup_f64 v[193:194], v[193:194], v[178:179], v[176:177]
	s_delay_alu instid0(VALU_DEP_1) | instskip(NEXT) | instid1(VALU_DEP_1)
	v_fma_f64 v[176:177], v[176:177], v[193:194], v[178:179]
	v_div_scale_f64 v[178:179], null, v[176:177], v[176:177], 1.0
	s_delay_alu instid0(VALU_DEP_1) | instskip(SKIP_2) | instid1(VALU_DEP_1)
	v_rcp_f64_e32 v[195:196], v[178:179]
	s_waitcnt_depctr 0xfff
	v_fma_f64 v[197:198], -v[178:179], v[195:196], 1.0
	v_fma_f64 v[195:196], v[195:196], v[197:198], v[195:196]
	s_delay_alu instid0(VALU_DEP_1) | instskip(NEXT) | instid1(VALU_DEP_1)
	v_fma_f64 v[197:198], -v[178:179], v[195:196], 1.0
	v_fma_f64 v[195:196], v[195:196], v[197:198], v[195:196]
	v_div_scale_f64 v[197:198], vcc_lo, 1.0, v[176:177], 1.0
	s_delay_alu instid0(VALU_DEP_1) | instskip(NEXT) | instid1(VALU_DEP_1)
	v_mul_f64 v[199:200], v[197:198], v[195:196]
	v_fma_f64 v[178:179], -v[178:179], v[199:200], v[197:198]
	s_delay_alu instid0(VALU_DEP_1) | instskip(NEXT) | instid1(VALU_DEP_1)
	v_div_fmas_f64 v[178:179], v[178:179], v[195:196], v[199:200]
	v_div_fixup_f64 v[178:179], v[178:179], v[176:177], 1.0
	s_delay_alu instid0(VALU_DEP_1)
	v_mul_f64 v[176:177], v[193:194], v[178:179]
	v_xor_b32_e32 v179, 0x80000000, v179
.LBB86_826:
	s_and_not1_saveexec_b32 s2, s2
	s_cbranch_execz .LBB86_828
; %bb.827:
	s_delay_alu instid0(VALU_DEP_1) | instskip(SKIP_1) | instid1(VALU_DEP_2)
	v_div_scale_f64 v[193:194], null, v[176:177], v[176:177], v[178:179]
	v_div_scale_f64 v[199:200], vcc_lo, v[178:179], v[176:177], v[178:179]
	v_rcp_f64_e32 v[195:196], v[193:194]
	s_waitcnt_depctr 0xfff
	v_fma_f64 v[197:198], -v[193:194], v[195:196], 1.0
	s_delay_alu instid0(VALU_DEP_1) | instskip(NEXT) | instid1(VALU_DEP_1)
	v_fma_f64 v[195:196], v[195:196], v[197:198], v[195:196]
	v_fma_f64 v[197:198], -v[193:194], v[195:196], 1.0
	s_delay_alu instid0(VALU_DEP_1) | instskip(NEXT) | instid1(VALU_DEP_1)
	v_fma_f64 v[195:196], v[195:196], v[197:198], v[195:196]
	v_mul_f64 v[197:198], v[199:200], v[195:196]
	s_delay_alu instid0(VALU_DEP_1) | instskip(NEXT) | instid1(VALU_DEP_1)
	v_fma_f64 v[193:194], -v[193:194], v[197:198], v[199:200]
	v_div_fmas_f64 v[193:194], v[193:194], v[195:196], v[197:198]
	s_delay_alu instid0(VALU_DEP_1) | instskip(NEXT) | instid1(VALU_DEP_1)
	v_div_fixup_f64 v[193:194], v[193:194], v[176:177], v[178:179]
	v_fma_f64 v[176:177], v[178:179], v[193:194], v[176:177]
	s_delay_alu instid0(VALU_DEP_1) | instskip(NEXT) | instid1(VALU_DEP_1)
	v_div_scale_f64 v[178:179], null, v[176:177], v[176:177], 1.0
	v_rcp_f64_e32 v[195:196], v[178:179]
	s_waitcnt_depctr 0xfff
	v_fma_f64 v[197:198], -v[178:179], v[195:196], 1.0
	s_delay_alu instid0(VALU_DEP_1) | instskip(NEXT) | instid1(VALU_DEP_1)
	v_fma_f64 v[195:196], v[195:196], v[197:198], v[195:196]
	v_fma_f64 v[197:198], -v[178:179], v[195:196], 1.0
	s_delay_alu instid0(VALU_DEP_1) | instskip(SKIP_1) | instid1(VALU_DEP_1)
	v_fma_f64 v[195:196], v[195:196], v[197:198], v[195:196]
	v_div_scale_f64 v[197:198], vcc_lo, 1.0, v[176:177], 1.0
	v_mul_f64 v[199:200], v[197:198], v[195:196]
	s_delay_alu instid0(VALU_DEP_1) | instskip(NEXT) | instid1(VALU_DEP_1)
	v_fma_f64 v[178:179], -v[178:179], v[199:200], v[197:198]
	v_div_fmas_f64 v[178:179], v[178:179], v[195:196], v[199:200]
	s_delay_alu instid0(VALU_DEP_1) | instskip(NEXT) | instid1(VALU_DEP_1)
	v_div_fixup_f64 v[176:177], v[178:179], v[176:177], 1.0
	v_mul_f64 v[178:179], v[193:194], -v[176:177]
.LBB86_828:
	s_or_b32 exec_lo, exec_lo, s2
.LBB86_829:
	s_delay_alu instid0(SALU_CYCLE_1) | instskip(NEXT) | instid1(SALU_CYCLE_1)
	s_or_b32 exec_lo, exec_lo, s3
	s_mov_b32 s2, exec_lo
	v_cmpx_ne_u32_e64 v192, v184
	s_xor_b32 s2, exec_lo, s2
	s_cbranch_execz .LBB86_835
; %bb.830:
	s_mov_b32 s3, exec_lo
	v_cmpx_eq_u32_e32 39, v192
	s_cbranch_execz .LBB86_834
; %bb.831:
	v_cmp_ne_u32_e32 vcc_lo, 39, v184
	s_xor_b32 s6, s4, -1
	s_delay_alu instid0(SALU_CYCLE_1) | instskip(NEXT) | instid1(SALU_CYCLE_1)
	s_and_b32 s7, s6, vcc_lo
	s_and_saveexec_b32 s6, s7
	s_cbranch_execz .LBB86_833
; %bb.832:
	v_ashrrev_i32_e32 v185, 31, v184
	s_delay_alu instid0(VALU_DEP_1) | instskip(NEXT) | instid1(VALU_DEP_1)
	v_lshlrev_b64 v[191:192], 2, v[184:185]
	v_add_co_u32 v191, vcc_lo, v182, v191
	s_delay_alu instid0(VALU_DEP_2)
	v_add_co_ci_u32_e32 v192, vcc_lo, v183, v192, vcc_lo
	s_clause 0x1
	flat_load_b32 v185, v[191:192]
	flat_load_b32 v193, v[182:183] offset:156
	s_waitcnt vmcnt(1) lgkmcnt(1)
	flat_store_b32 v[182:183], v185 offset:156
	s_waitcnt vmcnt(0) lgkmcnt(1)
	flat_store_b32 v[191:192], v193
.LBB86_833:
	s_or_b32 exec_lo, exec_lo, s6
	v_mov_b32_e32 v192, v184
	v_mov_b32_e32 v191, v184
.LBB86_834:
	s_or_b32 exec_lo, exec_lo, s3
.LBB86_835:
	s_and_not1_saveexec_b32 s2, s2
	s_cbranch_execz .LBB86_837
; %bb.836:
	v_mov_b32_e32 v192, 39
	ds_store_2addr_b64 v186, v[12:13], v[14:15] offset0:80 offset1:81
	ds_store_2addr_b64 v186, v[8:9], v[10:11] offset0:82 offset1:83
	;; [unrolled: 1-line block ×4, first 2 shown]
.LBB86_837:
	s_or_b32 exec_lo, exec_lo, s2
	s_delay_alu instid0(SALU_CYCLE_1)
	s_mov_b32 s2, exec_lo
	s_waitcnt lgkmcnt(0)
	s_waitcnt_vscnt null, 0x0
	s_barrier
	buffer_gl0_inv
	v_cmpx_lt_i32_e32 39, v192
	s_cbranch_execz .LBB86_839
; %bb.838:
	v_mul_f64 v[184:185], v[176:177], v[18:19]
	v_mul_f64 v[18:19], v[178:179], v[18:19]
	ds_load_2addr_b64 v[193:196], v186 offset0:80 offset1:81
	ds_load_2addr_b64 v[197:200], v186 offset0:82 offset1:83
	;; [unrolled: 1-line block ×4, first 2 shown]
	v_fma_f64 v[178:179], v[178:179], v[16:17], v[184:185]
	v_fma_f64 v[16:17], v[176:177], v[16:17], -v[18:19]
	s_waitcnt lgkmcnt(3)
	s_delay_alu instid0(VALU_DEP_2)
	v_mul_f64 v[18:19], v[195:196], v[178:179]
	v_mul_f64 v[176:177], v[193:194], v[178:179]
	s_waitcnt lgkmcnt(2)
	v_mul_f64 v[184:185], v[199:200], v[178:179]
	v_mul_f64 v[209:210], v[197:198], v[178:179]
	s_waitcnt lgkmcnt(1)
	;; [unrolled: 3-line block ×3, first 2 shown]
	v_mul_f64 v[215:216], v[207:208], v[178:179]
	v_mul_f64 v[217:218], v[205:206], v[178:179]
	v_fma_f64 v[18:19], v[193:194], v[16:17], -v[18:19]
	v_fma_f64 v[176:177], v[195:196], v[16:17], v[176:177]
	v_fma_f64 v[184:185], v[197:198], v[16:17], -v[184:185]
	v_fma_f64 v[193:194], v[199:200], v[16:17], v[209:210]
	v_fma_f64 v[195:196], v[201:202], v[16:17], -v[211:212]
	v_fma_f64 v[197:198], v[203:204], v[16:17], v[213:214]
	v_fma_f64 v[199:200], v[205:206], v[16:17], -v[215:216]
	v_fma_f64 v[201:202], v[207:208], v[16:17], v[217:218]
	v_add_f64 v[12:13], v[12:13], -v[18:19]
	v_add_f64 v[14:15], v[14:15], -v[176:177]
	;; [unrolled: 1-line block ×8, first 2 shown]
	v_dual_mov_b32 v18, v178 :: v_dual_mov_b32 v19, v179
.LBB86_839:
	s_or_b32 exec_lo, exec_lo, s2
	v_lshl_add_u32 v176, v192, 4, v186
	s_barrier
	buffer_gl0_inv
	v_mov_b32_e32 v184, 40
	ds_store_2addr_b64 v176, v[12:13], v[14:15] offset1:1
	s_waitcnt lgkmcnt(0)
	s_barrier
	buffer_gl0_inv
	ds_load_2addr_b64 v[176:179], v186 offset0:80 offset1:81
	s_cmp_lt_i32 s5, 42
	s_cbranch_scc1 .LBB86_842
; %bb.840:
	v_add3_u32 v185, v190, 0, 0x290
	v_mov_b32_e32 v184, 40
	s_mov_b32 s6, 41
	s_set_inst_prefetch_distance 0x1
	.p2align	6
.LBB86_841:                             ; =>This Inner Loop Header: Depth=1
	ds_load_2addr_b64 v[193:196], v185 offset1:1
	s_waitcnt lgkmcnt(1)
	v_cmp_gt_f64_e32 vcc_lo, 0, v[176:177]
	v_xor_b32_e32 v197, 0x80000000, v177
	v_cmp_gt_f64_e64 s2, 0, v[178:179]
	v_xor_b32_e32 v199, 0x80000000, v179
	v_add_nc_u32_e32 v185, 16, v185
	s_waitcnt lgkmcnt(0)
	v_cmp_gt_f64_e64 s3, 0, v[193:194]
	v_mov_b32_e32 v201, v193
	v_dual_mov_b32 v203, v195 :: v_dual_cndmask_b32 v198, v177, v197
	v_xor_b32_e32 v197, 0x80000000, v194
	v_cndmask_b32_e64 v200, v179, v199, s2
	v_xor_b32_e32 v199, 0x80000000, v196
	s_delay_alu instid0(VALU_DEP_3) | instskip(SKIP_2) | instid1(VALU_DEP_2)
	v_cndmask_b32_e64 v202, v194, v197, s3
	v_cmp_gt_f64_e64 s3, 0, v[195:196]
	v_cndmask_b32_e32 v197, v176, v176, vcc_lo
	v_cndmask_b32_e64 v204, v196, v199, s3
	v_cndmask_b32_e64 v199, v178, v178, s2
	s_delay_alu instid0(VALU_DEP_2) | instskip(NEXT) | instid1(VALU_DEP_2)
	v_add_f64 v[201:202], v[201:202], v[203:204]
	v_add_f64 v[197:198], v[197:198], v[199:200]
	s_delay_alu instid0(VALU_DEP_1) | instskip(SKIP_4) | instid1(SALU_CYCLE_1)
	v_cmp_lt_f64_e32 vcc_lo, v[197:198], v[201:202]
	v_dual_cndmask_b32 v178, v178, v195 :: v_dual_cndmask_b32 v177, v177, v194
	v_dual_cndmask_b32 v176, v176, v193 :: v_dual_cndmask_b32 v179, v179, v196
	v_cndmask_b32_e64 v184, v184, s6, vcc_lo
	s_add_i32 s6, s6, 1
	s_cmp_lg_u32 s5, s6
	s_cbranch_scc1 .LBB86_841
.LBB86_842:
	s_set_inst_prefetch_distance 0x2
	s_waitcnt lgkmcnt(0)
	v_cmp_eq_f64_e32 vcc_lo, 0, v[176:177]
	v_cmp_eq_f64_e64 s2, 0, v[178:179]
	s_delay_alu instid0(VALU_DEP_1) | instskip(NEXT) | instid1(SALU_CYCLE_1)
	s_and_b32 s2, vcc_lo, s2
	s_and_saveexec_b32 s3, s2
	s_delay_alu instid0(SALU_CYCLE_1)
	s_xor_b32 s2, exec_lo, s3
; %bb.843:
	v_cmp_ne_u32_e32 vcc_lo, 0, v189
	v_cndmask_b32_e32 v189, 41, v189, vcc_lo
; %bb.844:
	s_and_not1_saveexec_b32 s3, s2
	s_cbranch_execz .LBB86_850
; %bb.845:
	v_cmp_gt_f64_e32 vcc_lo, 0, v[176:177]
	v_cmp_gt_f64_e64 s2, 0, v[178:179]
	v_xor_b32_e32 v185, 0x80000000, v177
	v_xor_b32_e32 v193, 0x80000000, v179
	s_delay_alu instid0(VALU_DEP_2) | instskip(NEXT) | instid1(VALU_DEP_2)
	v_cndmask_b32_e32 v194, v177, v185, vcc_lo
	v_cndmask_b32_e64 v196, v179, v193, s2
	v_cndmask_b32_e32 v193, v176, v176, vcc_lo
	v_cndmask_b32_e64 v195, v178, v178, s2
	s_mov_b32 s2, exec_lo
	s_delay_alu instid0(VALU_DEP_1)
	v_cmpx_ngt_f64_e32 v[193:194], v[195:196]
	s_xor_b32 s2, exec_lo, s2
	s_cbranch_execz .LBB86_847
; %bb.846:
	v_div_scale_f64 v[193:194], null, v[178:179], v[178:179], v[176:177]
	v_div_scale_f64 v[199:200], vcc_lo, v[176:177], v[178:179], v[176:177]
	s_delay_alu instid0(VALU_DEP_2) | instskip(SKIP_2) | instid1(VALU_DEP_1)
	v_rcp_f64_e32 v[195:196], v[193:194]
	s_waitcnt_depctr 0xfff
	v_fma_f64 v[197:198], -v[193:194], v[195:196], 1.0
	v_fma_f64 v[195:196], v[195:196], v[197:198], v[195:196]
	s_delay_alu instid0(VALU_DEP_1) | instskip(NEXT) | instid1(VALU_DEP_1)
	v_fma_f64 v[197:198], -v[193:194], v[195:196], 1.0
	v_fma_f64 v[195:196], v[195:196], v[197:198], v[195:196]
	s_delay_alu instid0(VALU_DEP_1) | instskip(NEXT) | instid1(VALU_DEP_1)
	v_mul_f64 v[197:198], v[199:200], v[195:196]
	v_fma_f64 v[193:194], -v[193:194], v[197:198], v[199:200]
	s_delay_alu instid0(VALU_DEP_1) | instskip(NEXT) | instid1(VALU_DEP_1)
	v_div_fmas_f64 v[193:194], v[193:194], v[195:196], v[197:198]
	v_div_fixup_f64 v[193:194], v[193:194], v[178:179], v[176:177]
	s_delay_alu instid0(VALU_DEP_1) | instskip(NEXT) | instid1(VALU_DEP_1)
	v_fma_f64 v[176:177], v[176:177], v[193:194], v[178:179]
	v_div_scale_f64 v[178:179], null, v[176:177], v[176:177], 1.0
	s_delay_alu instid0(VALU_DEP_1) | instskip(SKIP_2) | instid1(VALU_DEP_1)
	v_rcp_f64_e32 v[195:196], v[178:179]
	s_waitcnt_depctr 0xfff
	v_fma_f64 v[197:198], -v[178:179], v[195:196], 1.0
	v_fma_f64 v[195:196], v[195:196], v[197:198], v[195:196]
	s_delay_alu instid0(VALU_DEP_1) | instskip(NEXT) | instid1(VALU_DEP_1)
	v_fma_f64 v[197:198], -v[178:179], v[195:196], 1.0
	v_fma_f64 v[195:196], v[195:196], v[197:198], v[195:196]
	v_div_scale_f64 v[197:198], vcc_lo, 1.0, v[176:177], 1.0
	s_delay_alu instid0(VALU_DEP_1) | instskip(NEXT) | instid1(VALU_DEP_1)
	v_mul_f64 v[199:200], v[197:198], v[195:196]
	v_fma_f64 v[178:179], -v[178:179], v[199:200], v[197:198]
	s_delay_alu instid0(VALU_DEP_1) | instskip(NEXT) | instid1(VALU_DEP_1)
	v_div_fmas_f64 v[178:179], v[178:179], v[195:196], v[199:200]
	v_div_fixup_f64 v[178:179], v[178:179], v[176:177], 1.0
	s_delay_alu instid0(VALU_DEP_1)
	v_mul_f64 v[176:177], v[193:194], v[178:179]
	v_xor_b32_e32 v179, 0x80000000, v179
.LBB86_847:
	s_and_not1_saveexec_b32 s2, s2
	s_cbranch_execz .LBB86_849
; %bb.848:
	s_delay_alu instid0(VALU_DEP_1) | instskip(SKIP_1) | instid1(VALU_DEP_2)
	v_div_scale_f64 v[193:194], null, v[176:177], v[176:177], v[178:179]
	v_div_scale_f64 v[199:200], vcc_lo, v[178:179], v[176:177], v[178:179]
	v_rcp_f64_e32 v[195:196], v[193:194]
	s_waitcnt_depctr 0xfff
	v_fma_f64 v[197:198], -v[193:194], v[195:196], 1.0
	s_delay_alu instid0(VALU_DEP_1) | instskip(NEXT) | instid1(VALU_DEP_1)
	v_fma_f64 v[195:196], v[195:196], v[197:198], v[195:196]
	v_fma_f64 v[197:198], -v[193:194], v[195:196], 1.0
	s_delay_alu instid0(VALU_DEP_1) | instskip(NEXT) | instid1(VALU_DEP_1)
	v_fma_f64 v[195:196], v[195:196], v[197:198], v[195:196]
	v_mul_f64 v[197:198], v[199:200], v[195:196]
	s_delay_alu instid0(VALU_DEP_1) | instskip(NEXT) | instid1(VALU_DEP_1)
	v_fma_f64 v[193:194], -v[193:194], v[197:198], v[199:200]
	v_div_fmas_f64 v[193:194], v[193:194], v[195:196], v[197:198]
	s_delay_alu instid0(VALU_DEP_1) | instskip(NEXT) | instid1(VALU_DEP_1)
	v_div_fixup_f64 v[193:194], v[193:194], v[176:177], v[178:179]
	v_fma_f64 v[176:177], v[178:179], v[193:194], v[176:177]
	s_delay_alu instid0(VALU_DEP_1) | instskip(NEXT) | instid1(VALU_DEP_1)
	v_div_scale_f64 v[178:179], null, v[176:177], v[176:177], 1.0
	v_rcp_f64_e32 v[195:196], v[178:179]
	s_waitcnt_depctr 0xfff
	v_fma_f64 v[197:198], -v[178:179], v[195:196], 1.0
	s_delay_alu instid0(VALU_DEP_1) | instskip(NEXT) | instid1(VALU_DEP_1)
	v_fma_f64 v[195:196], v[195:196], v[197:198], v[195:196]
	v_fma_f64 v[197:198], -v[178:179], v[195:196], 1.0
	s_delay_alu instid0(VALU_DEP_1) | instskip(SKIP_1) | instid1(VALU_DEP_1)
	v_fma_f64 v[195:196], v[195:196], v[197:198], v[195:196]
	v_div_scale_f64 v[197:198], vcc_lo, 1.0, v[176:177], 1.0
	v_mul_f64 v[199:200], v[197:198], v[195:196]
	s_delay_alu instid0(VALU_DEP_1) | instskip(NEXT) | instid1(VALU_DEP_1)
	v_fma_f64 v[178:179], -v[178:179], v[199:200], v[197:198]
	v_div_fmas_f64 v[178:179], v[178:179], v[195:196], v[199:200]
	s_delay_alu instid0(VALU_DEP_1) | instskip(NEXT) | instid1(VALU_DEP_1)
	v_div_fixup_f64 v[176:177], v[178:179], v[176:177], 1.0
	v_mul_f64 v[178:179], v[193:194], -v[176:177]
.LBB86_849:
	s_or_b32 exec_lo, exec_lo, s2
.LBB86_850:
	s_delay_alu instid0(SALU_CYCLE_1) | instskip(NEXT) | instid1(SALU_CYCLE_1)
	s_or_b32 exec_lo, exec_lo, s3
	s_mov_b32 s2, exec_lo
	v_cmpx_ne_u32_e64 v192, v184
	s_xor_b32 s2, exec_lo, s2
	s_cbranch_execz .LBB86_856
; %bb.851:
	s_mov_b32 s3, exec_lo
	v_cmpx_eq_u32_e32 40, v192
	s_cbranch_execz .LBB86_855
; %bb.852:
	v_cmp_ne_u32_e32 vcc_lo, 40, v184
	s_xor_b32 s6, s4, -1
	s_delay_alu instid0(SALU_CYCLE_1) | instskip(NEXT) | instid1(SALU_CYCLE_1)
	s_and_b32 s7, s6, vcc_lo
	s_and_saveexec_b32 s6, s7
	s_cbranch_execz .LBB86_854
; %bb.853:
	v_ashrrev_i32_e32 v185, 31, v184
	s_delay_alu instid0(VALU_DEP_1) | instskip(NEXT) | instid1(VALU_DEP_1)
	v_lshlrev_b64 v[191:192], 2, v[184:185]
	v_add_co_u32 v191, vcc_lo, v182, v191
	s_delay_alu instid0(VALU_DEP_2)
	v_add_co_ci_u32_e32 v192, vcc_lo, v183, v192, vcc_lo
	s_clause 0x1
	flat_load_b32 v185, v[191:192]
	flat_load_b32 v193, v[182:183] offset:160
	s_waitcnt vmcnt(1) lgkmcnt(1)
	flat_store_b32 v[182:183], v185 offset:160
	s_waitcnt vmcnt(0) lgkmcnt(1)
	flat_store_b32 v[191:192], v193
.LBB86_854:
	s_or_b32 exec_lo, exec_lo, s6
	v_mov_b32_e32 v192, v184
	v_mov_b32_e32 v191, v184
.LBB86_855:
	s_or_b32 exec_lo, exec_lo, s3
.LBB86_856:
	s_and_not1_saveexec_b32 s2, s2
	s_cbranch_execz .LBB86_858
; %bb.857:
	v_mov_b32_e32 v192, 40
	ds_store_2addr_b64 v186, v[8:9], v[10:11] offset0:82 offset1:83
	ds_store_2addr_b64 v186, v[4:5], v[6:7] offset0:84 offset1:85
	;; [unrolled: 1-line block ×3, first 2 shown]
.LBB86_858:
	s_or_b32 exec_lo, exec_lo, s2
	s_delay_alu instid0(SALU_CYCLE_1)
	s_mov_b32 s2, exec_lo
	s_waitcnt lgkmcnt(0)
	s_waitcnt_vscnt null, 0x0
	s_barrier
	buffer_gl0_inv
	v_cmpx_lt_i32_e32 40, v192
	s_cbranch_execz .LBB86_860
; %bb.859:
	v_mul_f64 v[184:185], v[176:177], v[14:15]
	v_mul_f64 v[14:15], v[178:179], v[14:15]
	ds_load_2addr_b64 v[193:196], v186 offset0:82 offset1:83
	ds_load_2addr_b64 v[197:200], v186 offset0:84 offset1:85
	;; [unrolled: 1-line block ×3, first 2 shown]
	v_fma_f64 v[178:179], v[178:179], v[12:13], v[184:185]
	v_fma_f64 v[12:13], v[176:177], v[12:13], -v[14:15]
	s_waitcnt lgkmcnt(2)
	s_delay_alu instid0(VALU_DEP_2)
	v_mul_f64 v[14:15], v[195:196], v[178:179]
	v_mul_f64 v[176:177], v[193:194], v[178:179]
	s_waitcnt lgkmcnt(1)
	v_mul_f64 v[184:185], v[199:200], v[178:179]
	v_mul_f64 v[205:206], v[197:198], v[178:179]
	s_waitcnt lgkmcnt(0)
	v_mul_f64 v[207:208], v[203:204], v[178:179]
	v_mul_f64 v[209:210], v[201:202], v[178:179]
	v_fma_f64 v[14:15], v[193:194], v[12:13], -v[14:15]
	v_fma_f64 v[176:177], v[195:196], v[12:13], v[176:177]
	v_fma_f64 v[184:185], v[197:198], v[12:13], -v[184:185]
	v_fma_f64 v[193:194], v[199:200], v[12:13], v[205:206]
	;; [unrolled: 2-line block ×3, first 2 shown]
	v_add_f64 v[8:9], v[8:9], -v[14:15]
	v_add_f64 v[10:11], v[10:11], -v[176:177]
	;; [unrolled: 1-line block ×6, first 2 shown]
	v_dual_mov_b32 v14, v178 :: v_dual_mov_b32 v15, v179
.LBB86_860:
	s_or_b32 exec_lo, exec_lo, s2
	v_lshl_add_u32 v176, v192, 4, v186
	s_barrier
	buffer_gl0_inv
	v_mov_b32_e32 v184, 41
	ds_store_2addr_b64 v176, v[8:9], v[10:11] offset1:1
	s_waitcnt lgkmcnt(0)
	s_barrier
	buffer_gl0_inv
	ds_load_2addr_b64 v[176:179], v186 offset0:82 offset1:83
	s_cmp_lt_i32 s5, 43
	s_cbranch_scc1 .LBB86_863
; %bb.861:
	v_add3_u32 v185, v190, 0, 0x2a0
	v_mov_b32_e32 v184, 41
	s_mov_b32 s6, 42
	s_set_inst_prefetch_distance 0x1
	.p2align	6
.LBB86_862:                             ; =>This Inner Loop Header: Depth=1
	ds_load_2addr_b64 v[193:196], v185 offset1:1
	s_waitcnt lgkmcnt(1)
	v_cmp_gt_f64_e32 vcc_lo, 0, v[176:177]
	v_xor_b32_e32 v197, 0x80000000, v177
	v_cmp_gt_f64_e64 s2, 0, v[178:179]
	v_xor_b32_e32 v199, 0x80000000, v179
	v_add_nc_u32_e32 v185, 16, v185
	s_waitcnt lgkmcnt(0)
	v_cmp_gt_f64_e64 s3, 0, v[193:194]
	v_mov_b32_e32 v201, v193
	v_dual_mov_b32 v203, v195 :: v_dual_cndmask_b32 v198, v177, v197
	v_xor_b32_e32 v197, 0x80000000, v194
	v_cndmask_b32_e64 v200, v179, v199, s2
	v_xor_b32_e32 v199, 0x80000000, v196
	s_delay_alu instid0(VALU_DEP_3) | instskip(SKIP_2) | instid1(VALU_DEP_2)
	v_cndmask_b32_e64 v202, v194, v197, s3
	v_cmp_gt_f64_e64 s3, 0, v[195:196]
	v_cndmask_b32_e32 v197, v176, v176, vcc_lo
	v_cndmask_b32_e64 v204, v196, v199, s3
	v_cndmask_b32_e64 v199, v178, v178, s2
	s_delay_alu instid0(VALU_DEP_2) | instskip(NEXT) | instid1(VALU_DEP_2)
	v_add_f64 v[201:202], v[201:202], v[203:204]
	v_add_f64 v[197:198], v[197:198], v[199:200]
	s_delay_alu instid0(VALU_DEP_1) | instskip(SKIP_4) | instid1(SALU_CYCLE_1)
	v_cmp_lt_f64_e32 vcc_lo, v[197:198], v[201:202]
	v_dual_cndmask_b32 v178, v178, v195 :: v_dual_cndmask_b32 v177, v177, v194
	v_dual_cndmask_b32 v176, v176, v193 :: v_dual_cndmask_b32 v179, v179, v196
	v_cndmask_b32_e64 v184, v184, s6, vcc_lo
	s_add_i32 s6, s6, 1
	s_cmp_lg_u32 s5, s6
	s_cbranch_scc1 .LBB86_862
.LBB86_863:
	s_set_inst_prefetch_distance 0x2
	s_waitcnt lgkmcnt(0)
	v_cmp_eq_f64_e32 vcc_lo, 0, v[176:177]
	v_cmp_eq_f64_e64 s2, 0, v[178:179]
	s_delay_alu instid0(VALU_DEP_1) | instskip(NEXT) | instid1(SALU_CYCLE_1)
	s_and_b32 s2, vcc_lo, s2
	s_and_saveexec_b32 s3, s2
	s_delay_alu instid0(SALU_CYCLE_1)
	s_xor_b32 s2, exec_lo, s3
; %bb.864:
	v_cmp_ne_u32_e32 vcc_lo, 0, v189
	v_cndmask_b32_e32 v189, 42, v189, vcc_lo
; %bb.865:
	s_and_not1_saveexec_b32 s3, s2
	s_cbranch_execz .LBB86_871
; %bb.866:
	v_cmp_gt_f64_e32 vcc_lo, 0, v[176:177]
	v_cmp_gt_f64_e64 s2, 0, v[178:179]
	v_xor_b32_e32 v185, 0x80000000, v177
	v_xor_b32_e32 v193, 0x80000000, v179
	s_delay_alu instid0(VALU_DEP_2) | instskip(NEXT) | instid1(VALU_DEP_2)
	v_cndmask_b32_e32 v194, v177, v185, vcc_lo
	v_cndmask_b32_e64 v196, v179, v193, s2
	v_cndmask_b32_e32 v193, v176, v176, vcc_lo
	v_cndmask_b32_e64 v195, v178, v178, s2
	s_mov_b32 s2, exec_lo
	s_delay_alu instid0(VALU_DEP_1)
	v_cmpx_ngt_f64_e32 v[193:194], v[195:196]
	s_xor_b32 s2, exec_lo, s2
	s_cbranch_execz .LBB86_868
; %bb.867:
	v_div_scale_f64 v[193:194], null, v[178:179], v[178:179], v[176:177]
	v_div_scale_f64 v[199:200], vcc_lo, v[176:177], v[178:179], v[176:177]
	s_delay_alu instid0(VALU_DEP_2) | instskip(SKIP_2) | instid1(VALU_DEP_1)
	v_rcp_f64_e32 v[195:196], v[193:194]
	s_waitcnt_depctr 0xfff
	v_fma_f64 v[197:198], -v[193:194], v[195:196], 1.0
	v_fma_f64 v[195:196], v[195:196], v[197:198], v[195:196]
	s_delay_alu instid0(VALU_DEP_1) | instskip(NEXT) | instid1(VALU_DEP_1)
	v_fma_f64 v[197:198], -v[193:194], v[195:196], 1.0
	v_fma_f64 v[195:196], v[195:196], v[197:198], v[195:196]
	s_delay_alu instid0(VALU_DEP_1) | instskip(NEXT) | instid1(VALU_DEP_1)
	v_mul_f64 v[197:198], v[199:200], v[195:196]
	v_fma_f64 v[193:194], -v[193:194], v[197:198], v[199:200]
	s_delay_alu instid0(VALU_DEP_1) | instskip(NEXT) | instid1(VALU_DEP_1)
	v_div_fmas_f64 v[193:194], v[193:194], v[195:196], v[197:198]
	v_div_fixup_f64 v[193:194], v[193:194], v[178:179], v[176:177]
	s_delay_alu instid0(VALU_DEP_1) | instskip(NEXT) | instid1(VALU_DEP_1)
	v_fma_f64 v[176:177], v[176:177], v[193:194], v[178:179]
	v_div_scale_f64 v[178:179], null, v[176:177], v[176:177], 1.0
	s_delay_alu instid0(VALU_DEP_1) | instskip(SKIP_2) | instid1(VALU_DEP_1)
	v_rcp_f64_e32 v[195:196], v[178:179]
	s_waitcnt_depctr 0xfff
	v_fma_f64 v[197:198], -v[178:179], v[195:196], 1.0
	v_fma_f64 v[195:196], v[195:196], v[197:198], v[195:196]
	s_delay_alu instid0(VALU_DEP_1) | instskip(NEXT) | instid1(VALU_DEP_1)
	v_fma_f64 v[197:198], -v[178:179], v[195:196], 1.0
	v_fma_f64 v[195:196], v[195:196], v[197:198], v[195:196]
	v_div_scale_f64 v[197:198], vcc_lo, 1.0, v[176:177], 1.0
	s_delay_alu instid0(VALU_DEP_1) | instskip(NEXT) | instid1(VALU_DEP_1)
	v_mul_f64 v[199:200], v[197:198], v[195:196]
	v_fma_f64 v[178:179], -v[178:179], v[199:200], v[197:198]
	s_delay_alu instid0(VALU_DEP_1) | instskip(NEXT) | instid1(VALU_DEP_1)
	v_div_fmas_f64 v[178:179], v[178:179], v[195:196], v[199:200]
	v_div_fixup_f64 v[178:179], v[178:179], v[176:177], 1.0
	s_delay_alu instid0(VALU_DEP_1)
	v_mul_f64 v[176:177], v[193:194], v[178:179]
	v_xor_b32_e32 v179, 0x80000000, v179
.LBB86_868:
	s_and_not1_saveexec_b32 s2, s2
	s_cbranch_execz .LBB86_870
; %bb.869:
	s_delay_alu instid0(VALU_DEP_1) | instskip(SKIP_1) | instid1(VALU_DEP_2)
	v_div_scale_f64 v[193:194], null, v[176:177], v[176:177], v[178:179]
	v_div_scale_f64 v[199:200], vcc_lo, v[178:179], v[176:177], v[178:179]
	v_rcp_f64_e32 v[195:196], v[193:194]
	s_waitcnt_depctr 0xfff
	v_fma_f64 v[197:198], -v[193:194], v[195:196], 1.0
	s_delay_alu instid0(VALU_DEP_1) | instskip(NEXT) | instid1(VALU_DEP_1)
	v_fma_f64 v[195:196], v[195:196], v[197:198], v[195:196]
	v_fma_f64 v[197:198], -v[193:194], v[195:196], 1.0
	s_delay_alu instid0(VALU_DEP_1) | instskip(NEXT) | instid1(VALU_DEP_1)
	v_fma_f64 v[195:196], v[195:196], v[197:198], v[195:196]
	v_mul_f64 v[197:198], v[199:200], v[195:196]
	s_delay_alu instid0(VALU_DEP_1) | instskip(NEXT) | instid1(VALU_DEP_1)
	v_fma_f64 v[193:194], -v[193:194], v[197:198], v[199:200]
	v_div_fmas_f64 v[193:194], v[193:194], v[195:196], v[197:198]
	s_delay_alu instid0(VALU_DEP_1) | instskip(NEXT) | instid1(VALU_DEP_1)
	v_div_fixup_f64 v[193:194], v[193:194], v[176:177], v[178:179]
	v_fma_f64 v[176:177], v[178:179], v[193:194], v[176:177]
	s_delay_alu instid0(VALU_DEP_1) | instskip(NEXT) | instid1(VALU_DEP_1)
	v_div_scale_f64 v[178:179], null, v[176:177], v[176:177], 1.0
	v_rcp_f64_e32 v[195:196], v[178:179]
	s_waitcnt_depctr 0xfff
	v_fma_f64 v[197:198], -v[178:179], v[195:196], 1.0
	s_delay_alu instid0(VALU_DEP_1) | instskip(NEXT) | instid1(VALU_DEP_1)
	v_fma_f64 v[195:196], v[195:196], v[197:198], v[195:196]
	v_fma_f64 v[197:198], -v[178:179], v[195:196], 1.0
	s_delay_alu instid0(VALU_DEP_1) | instskip(SKIP_1) | instid1(VALU_DEP_1)
	v_fma_f64 v[195:196], v[195:196], v[197:198], v[195:196]
	v_div_scale_f64 v[197:198], vcc_lo, 1.0, v[176:177], 1.0
	v_mul_f64 v[199:200], v[197:198], v[195:196]
	s_delay_alu instid0(VALU_DEP_1) | instskip(NEXT) | instid1(VALU_DEP_1)
	v_fma_f64 v[178:179], -v[178:179], v[199:200], v[197:198]
	v_div_fmas_f64 v[178:179], v[178:179], v[195:196], v[199:200]
	s_delay_alu instid0(VALU_DEP_1) | instskip(NEXT) | instid1(VALU_DEP_1)
	v_div_fixup_f64 v[176:177], v[178:179], v[176:177], 1.0
	v_mul_f64 v[178:179], v[193:194], -v[176:177]
.LBB86_870:
	s_or_b32 exec_lo, exec_lo, s2
.LBB86_871:
	s_delay_alu instid0(SALU_CYCLE_1) | instskip(NEXT) | instid1(SALU_CYCLE_1)
	s_or_b32 exec_lo, exec_lo, s3
	s_mov_b32 s2, exec_lo
	v_cmpx_ne_u32_e64 v192, v184
	s_xor_b32 s2, exec_lo, s2
	s_cbranch_execz .LBB86_877
; %bb.872:
	s_mov_b32 s3, exec_lo
	v_cmpx_eq_u32_e32 41, v192
	s_cbranch_execz .LBB86_876
; %bb.873:
	v_cmp_ne_u32_e32 vcc_lo, 41, v184
	s_xor_b32 s6, s4, -1
	s_delay_alu instid0(SALU_CYCLE_1) | instskip(NEXT) | instid1(SALU_CYCLE_1)
	s_and_b32 s7, s6, vcc_lo
	s_and_saveexec_b32 s6, s7
	s_cbranch_execz .LBB86_875
; %bb.874:
	v_ashrrev_i32_e32 v185, 31, v184
	s_delay_alu instid0(VALU_DEP_1) | instskip(NEXT) | instid1(VALU_DEP_1)
	v_lshlrev_b64 v[191:192], 2, v[184:185]
	v_add_co_u32 v191, vcc_lo, v182, v191
	s_delay_alu instid0(VALU_DEP_2)
	v_add_co_ci_u32_e32 v192, vcc_lo, v183, v192, vcc_lo
	s_clause 0x1
	flat_load_b32 v185, v[191:192]
	flat_load_b32 v193, v[182:183] offset:164
	s_waitcnt vmcnt(1) lgkmcnt(1)
	flat_store_b32 v[182:183], v185 offset:164
	s_waitcnt vmcnt(0) lgkmcnt(1)
	flat_store_b32 v[191:192], v193
.LBB86_875:
	s_or_b32 exec_lo, exec_lo, s6
	v_mov_b32_e32 v192, v184
	v_mov_b32_e32 v191, v184
.LBB86_876:
	s_or_b32 exec_lo, exec_lo, s3
.LBB86_877:
	s_and_not1_saveexec_b32 s2, s2
	s_cbranch_execz .LBB86_879
; %bb.878:
	v_mov_b32_e32 v192, 41
	ds_store_2addr_b64 v186, v[4:5], v[6:7] offset0:84 offset1:85
	ds_store_2addr_b64 v186, v[0:1], v[2:3] offset0:86 offset1:87
.LBB86_879:
	s_or_b32 exec_lo, exec_lo, s2
	s_delay_alu instid0(SALU_CYCLE_1)
	s_mov_b32 s2, exec_lo
	s_waitcnt lgkmcnt(0)
	s_waitcnt_vscnt null, 0x0
	s_barrier
	buffer_gl0_inv
	v_cmpx_lt_i32_e32 41, v192
	s_cbranch_execz .LBB86_881
; %bb.880:
	v_mul_f64 v[184:185], v[176:177], v[10:11]
	v_mul_f64 v[10:11], v[178:179], v[10:11]
	ds_load_2addr_b64 v[193:196], v186 offset0:84 offset1:85
	ds_load_2addr_b64 v[197:200], v186 offset0:86 offset1:87
	v_fma_f64 v[178:179], v[178:179], v[8:9], v[184:185]
	v_fma_f64 v[8:9], v[176:177], v[8:9], -v[10:11]
	s_waitcnt lgkmcnt(1)
	s_delay_alu instid0(VALU_DEP_2) | instskip(SKIP_4) | instid1(VALU_DEP_4)
	v_mul_f64 v[10:11], v[195:196], v[178:179]
	v_mul_f64 v[176:177], v[193:194], v[178:179]
	s_waitcnt lgkmcnt(0)
	v_mul_f64 v[184:185], v[199:200], v[178:179]
	v_mul_f64 v[201:202], v[197:198], v[178:179]
	v_fma_f64 v[10:11], v[193:194], v[8:9], -v[10:11]
	s_delay_alu instid0(VALU_DEP_4) | instskip(NEXT) | instid1(VALU_DEP_4)
	v_fma_f64 v[176:177], v[195:196], v[8:9], v[176:177]
	v_fma_f64 v[184:185], v[197:198], v[8:9], -v[184:185]
	s_delay_alu instid0(VALU_DEP_4) | instskip(NEXT) | instid1(VALU_DEP_4)
	v_fma_f64 v[193:194], v[199:200], v[8:9], v[201:202]
	v_add_f64 v[4:5], v[4:5], -v[10:11]
	s_delay_alu instid0(VALU_DEP_4) | instskip(NEXT) | instid1(VALU_DEP_4)
	v_add_f64 v[6:7], v[6:7], -v[176:177]
	v_add_f64 v[0:1], v[0:1], -v[184:185]
	s_delay_alu instid0(VALU_DEP_4)
	v_add_f64 v[2:3], v[2:3], -v[193:194]
	v_dual_mov_b32 v10, v178 :: v_dual_mov_b32 v11, v179
.LBB86_881:
	s_or_b32 exec_lo, exec_lo, s2
	v_lshl_add_u32 v176, v192, 4, v186
	s_barrier
	buffer_gl0_inv
	v_mov_b32_e32 v184, 42
	ds_store_2addr_b64 v176, v[4:5], v[6:7] offset1:1
	s_waitcnt lgkmcnt(0)
	s_barrier
	buffer_gl0_inv
	ds_load_2addr_b64 v[176:179], v186 offset0:84 offset1:85
	s_cmp_lt_i32 s5, 44
	s_cbranch_scc1 .LBB86_884
; %bb.882:
	v_add3_u32 v185, v190, 0, 0x2b0
	v_mov_b32_e32 v184, 42
	s_mov_b32 s6, 43
	s_set_inst_prefetch_distance 0x1
	.p2align	6
.LBB86_883:                             ; =>This Inner Loop Header: Depth=1
	ds_load_2addr_b64 v[193:196], v185 offset1:1
	s_waitcnt lgkmcnt(1)
	v_cmp_gt_f64_e32 vcc_lo, 0, v[176:177]
	v_xor_b32_e32 v197, 0x80000000, v177
	v_cmp_gt_f64_e64 s2, 0, v[178:179]
	v_xor_b32_e32 v199, 0x80000000, v179
	v_add_nc_u32_e32 v185, 16, v185
	s_waitcnt lgkmcnt(0)
	v_cmp_gt_f64_e64 s3, 0, v[193:194]
	v_mov_b32_e32 v201, v193
	v_dual_mov_b32 v203, v195 :: v_dual_cndmask_b32 v198, v177, v197
	v_xor_b32_e32 v197, 0x80000000, v194
	v_cndmask_b32_e64 v200, v179, v199, s2
	v_xor_b32_e32 v199, 0x80000000, v196
	s_delay_alu instid0(VALU_DEP_3) | instskip(SKIP_2) | instid1(VALU_DEP_2)
	v_cndmask_b32_e64 v202, v194, v197, s3
	v_cmp_gt_f64_e64 s3, 0, v[195:196]
	v_cndmask_b32_e32 v197, v176, v176, vcc_lo
	v_cndmask_b32_e64 v204, v196, v199, s3
	v_cndmask_b32_e64 v199, v178, v178, s2
	s_delay_alu instid0(VALU_DEP_2) | instskip(NEXT) | instid1(VALU_DEP_2)
	v_add_f64 v[201:202], v[201:202], v[203:204]
	v_add_f64 v[197:198], v[197:198], v[199:200]
	s_delay_alu instid0(VALU_DEP_1) | instskip(SKIP_4) | instid1(SALU_CYCLE_1)
	v_cmp_lt_f64_e32 vcc_lo, v[197:198], v[201:202]
	v_dual_cndmask_b32 v178, v178, v195 :: v_dual_cndmask_b32 v177, v177, v194
	v_dual_cndmask_b32 v176, v176, v193 :: v_dual_cndmask_b32 v179, v179, v196
	v_cndmask_b32_e64 v184, v184, s6, vcc_lo
	s_add_i32 s6, s6, 1
	s_cmp_lg_u32 s5, s6
	s_cbranch_scc1 .LBB86_883
.LBB86_884:
	s_set_inst_prefetch_distance 0x2
	s_waitcnt lgkmcnt(0)
	v_cmp_eq_f64_e32 vcc_lo, 0, v[176:177]
	v_cmp_eq_f64_e64 s2, 0, v[178:179]
	s_delay_alu instid0(VALU_DEP_1) | instskip(NEXT) | instid1(SALU_CYCLE_1)
	s_and_b32 s2, vcc_lo, s2
	s_and_saveexec_b32 s3, s2
	s_delay_alu instid0(SALU_CYCLE_1)
	s_xor_b32 s2, exec_lo, s3
; %bb.885:
	v_cmp_ne_u32_e32 vcc_lo, 0, v189
	v_cndmask_b32_e32 v189, 43, v189, vcc_lo
; %bb.886:
	s_and_not1_saveexec_b32 s3, s2
	s_cbranch_execz .LBB86_892
; %bb.887:
	v_cmp_gt_f64_e32 vcc_lo, 0, v[176:177]
	v_cmp_gt_f64_e64 s2, 0, v[178:179]
	v_xor_b32_e32 v185, 0x80000000, v177
	v_xor_b32_e32 v193, 0x80000000, v179
	s_delay_alu instid0(VALU_DEP_2) | instskip(NEXT) | instid1(VALU_DEP_2)
	v_cndmask_b32_e32 v194, v177, v185, vcc_lo
	v_cndmask_b32_e64 v196, v179, v193, s2
	v_cndmask_b32_e32 v193, v176, v176, vcc_lo
	v_cndmask_b32_e64 v195, v178, v178, s2
	s_mov_b32 s2, exec_lo
	s_delay_alu instid0(VALU_DEP_1)
	v_cmpx_ngt_f64_e32 v[193:194], v[195:196]
	s_xor_b32 s2, exec_lo, s2
	s_cbranch_execz .LBB86_889
; %bb.888:
	v_div_scale_f64 v[193:194], null, v[178:179], v[178:179], v[176:177]
	v_div_scale_f64 v[199:200], vcc_lo, v[176:177], v[178:179], v[176:177]
	s_delay_alu instid0(VALU_DEP_2) | instskip(SKIP_2) | instid1(VALU_DEP_1)
	v_rcp_f64_e32 v[195:196], v[193:194]
	s_waitcnt_depctr 0xfff
	v_fma_f64 v[197:198], -v[193:194], v[195:196], 1.0
	v_fma_f64 v[195:196], v[195:196], v[197:198], v[195:196]
	s_delay_alu instid0(VALU_DEP_1) | instskip(NEXT) | instid1(VALU_DEP_1)
	v_fma_f64 v[197:198], -v[193:194], v[195:196], 1.0
	v_fma_f64 v[195:196], v[195:196], v[197:198], v[195:196]
	s_delay_alu instid0(VALU_DEP_1) | instskip(NEXT) | instid1(VALU_DEP_1)
	v_mul_f64 v[197:198], v[199:200], v[195:196]
	v_fma_f64 v[193:194], -v[193:194], v[197:198], v[199:200]
	s_delay_alu instid0(VALU_DEP_1) | instskip(NEXT) | instid1(VALU_DEP_1)
	v_div_fmas_f64 v[193:194], v[193:194], v[195:196], v[197:198]
	v_div_fixup_f64 v[193:194], v[193:194], v[178:179], v[176:177]
	s_delay_alu instid0(VALU_DEP_1) | instskip(NEXT) | instid1(VALU_DEP_1)
	v_fma_f64 v[176:177], v[176:177], v[193:194], v[178:179]
	v_div_scale_f64 v[178:179], null, v[176:177], v[176:177], 1.0
	s_delay_alu instid0(VALU_DEP_1) | instskip(SKIP_2) | instid1(VALU_DEP_1)
	v_rcp_f64_e32 v[195:196], v[178:179]
	s_waitcnt_depctr 0xfff
	v_fma_f64 v[197:198], -v[178:179], v[195:196], 1.0
	v_fma_f64 v[195:196], v[195:196], v[197:198], v[195:196]
	s_delay_alu instid0(VALU_DEP_1) | instskip(NEXT) | instid1(VALU_DEP_1)
	v_fma_f64 v[197:198], -v[178:179], v[195:196], 1.0
	v_fma_f64 v[195:196], v[195:196], v[197:198], v[195:196]
	v_div_scale_f64 v[197:198], vcc_lo, 1.0, v[176:177], 1.0
	s_delay_alu instid0(VALU_DEP_1) | instskip(NEXT) | instid1(VALU_DEP_1)
	v_mul_f64 v[199:200], v[197:198], v[195:196]
	v_fma_f64 v[178:179], -v[178:179], v[199:200], v[197:198]
	s_delay_alu instid0(VALU_DEP_1) | instskip(NEXT) | instid1(VALU_DEP_1)
	v_div_fmas_f64 v[178:179], v[178:179], v[195:196], v[199:200]
	v_div_fixup_f64 v[178:179], v[178:179], v[176:177], 1.0
	s_delay_alu instid0(VALU_DEP_1)
	v_mul_f64 v[176:177], v[193:194], v[178:179]
	v_xor_b32_e32 v179, 0x80000000, v179
.LBB86_889:
	s_and_not1_saveexec_b32 s2, s2
	s_cbranch_execz .LBB86_891
; %bb.890:
	s_delay_alu instid0(VALU_DEP_1) | instskip(SKIP_1) | instid1(VALU_DEP_2)
	v_div_scale_f64 v[193:194], null, v[176:177], v[176:177], v[178:179]
	v_div_scale_f64 v[199:200], vcc_lo, v[178:179], v[176:177], v[178:179]
	v_rcp_f64_e32 v[195:196], v[193:194]
	s_waitcnt_depctr 0xfff
	v_fma_f64 v[197:198], -v[193:194], v[195:196], 1.0
	s_delay_alu instid0(VALU_DEP_1) | instskip(NEXT) | instid1(VALU_DEP_1)
	v_fma_f64 v[195:196], v[195:196], v[197:198], v[195:196]
	v_fma_f64 v[197:198], -v[193:194], v[195:196], 1.0
	s_delay_alu instid0(VALU_DEP_1) | instskip(NEXT) | instid1(VALU_DEP_1)
	v_fma_f64 v[195:196], v[195:196], v[197:198], v[195:196]
	v_mul_f64 v[197:198], v[199:200], v[195:196]
	s_delay_alu instid0(VALU_DEP_1) | instskip(NEXT) | instid1(VALU_DEP_1)
	v_fma_f64 v[193:194], -v[193:194], v[197:198], v[199:200]
	v_div_fmas_f64 v[193:194], v[193:194], v[195:196], v[197:198]
	s_delay_alu instid0(VALU_DEP_1) | instskip(NEXT) | instid1(VALU_DEP_1)
	v_div_fixup_f64 v[193:194], v[193:194], v[176:177], v[178:179]
	v_fma_f64 v[176:177], v[178:179], v[193:194], v[176:177]
	s_delay_alu instid0(VALU_DEP_1) | instskip(NEXT) | instid1(VALU_DEP_1)
	v_div_scale_f64 v[178:179], null, v[176:177], v[176:177], 1.0
	v_rcp_f64_e32 v[195:196], v[178:179]
	s_waitcnt_depctr 0xfff
	v_fma_f64 v[197:198], -v[178:179], v[195:196], 1.0
	s_delay_alu instid0(VALU_DEP_1) | instskip(NEXT) | instid1(VALU_DEP_1)
	v_fma_f64 v[195:196], v[195:196], v[197:198], v[195:196]
	v_fma_f64 v[197:198], -v[178:179], v[195:196], 1.0
	s_delay_alu instid0(VALU_DEP_1) | instskip(SKIP_1) | instid1(VALU_DEP_1)
	v_fma_f64 v[195:196], v[195:196], v[197:198], v[195:196]
	v_div_scale_f64 v[197:198], vcc_lo, 1.0, v[176:177], 1.0
	v_mul_f64 v[199:200], v[197:198], v[195:196]
	s_delay_alu instid0(VALU_DEP_1) | instskip(NEXT) | instid1(VALU_DEP_1)
	v_fma_f64 v[178:179], -v[178:179], v[199:200], v[197:198]
	v_div_fmas_f64 v[178:179], v[178:179], v[195:196], v[199:200]
	s_delay_alu instid0(VALU_DEP_1) | instskip(NEXT) | instid1(VALU_DEP_1)
	v_div_fixup_f64 v[176:177], v[178:179], v[176:177], 1.0
	v_mul_f64 v[178:179], v[193:194], -v[176:177]
.LBB86_891:
	s_or_b32 exec_lo, exec_lo, s2
.LBB86_892:
	s_delay_alu instid0(SALU_CYCLE_1) | instskip(NEXT) | instid1(SALU_CYCLE_1)
	s_or_b32 exec_lo, exec_lo, s3
	s_mov_b32 s2, exec_lo
	v_cmpx_ne_u32_e64 v192, v184
	s_xor_b32 s2, exec_lo, s2
	s_cbranch_execz .LBB86_898
; %bb.893:
	s_mov_b32 s3, exec_lo
	v_cmpx_eq_u32_e32 42, v192
	s_cbranch_execz .LBB86_897
; %bb.894:
	v_cmp_ne_u32_e32 vcc_lo, 42, v184
	s_xor_b32 s6, s4, -1
	s_delay_alu instid0(SALU_CYCLE_1) | instskip(NEXT) | instid1(SALU_CYCLE_1)
	s_and_b32 s7, s6, vcc_lo
	s_and_saveexec_b32 s6, s7
	s_cbranch_execz .LBB86_896
; %bb.895:
	v_ashrrev_i32_e32 v185, 31, v184
	s_delay_alu instid0(VALU_DEP_1) | instskip(NEXT) | instid1(VALU_DEP_1)
	v_lshlrev_b64 v[191:192], 2, v[184:185]
	v_add_co_u32 v191, vcc_lo, v182, v191
	s_delay_alu instid0(VALU_DEP_2)
	v_add_co_ci_u32_e32 v192, vcc_lo, v183, v192, vcc_lo
	s_clause 0x1
	flat_load_b32 v185, v[191:192]
	flat_load_b32 v193, v[182:183] offset:168
	s_waitcnt vmcnt(1) lgkmcnt(1)
	flat_store_b32 v[182:183], v185 offset:168
	s_waitcnt vmcnt(0) lgkmcnt(1)
	flat_store_b32 v[191:192], v193
.LBB86_896:
	s_or_b32 exec_lo, exec_lo, s6
	v_mov_b32_e32 v192, v184
	v_mov_b32_e32 v191, v184
.LBB86_897:
	s_or_b32 exec_lo, exec_lo, s3
.LBB86_898:
	s_and_not1_saveexec_b32 s2, s2
	s_cbranch_execz .LBB86_900
; %bb.899:
	v_mov_b32_e32 v192, 42
	ds_store_2addr_b64 v186, v[0:1], v[2:3] offset0:86 offset1:87
.LBB86_900:
	s_or_b32 exec_lo, exec_lo, s2
	s_delay_alu instid0(SALU_CYCLE_1)
	s_mov_b32 s2, exec_lo
	s_waitcnt lgkmcnt(0)
	s_waitcnt_vscnt null, 0x0
	s_barrier
	buffer_gl0_inv
	v_cmpx_lt_i32_e32 42, v192
	s_cbranch_execz .LBB86_902
; %bb.901:
	v_mul_f64 v[184:185], v[176:177], v[6:7]
	v_mul_f64 v[6:7], v[178:179], v[6:7]
	ds_load_2addr_b64 v[193:196], v186 offset0:86 offset1:87
	v_fma_f64 v[178:179], v[178:179], v[4:5], v[184:185]
	v_fma_f64 v[4:5], v[176:177], v[4:5], -v[6:7]
	s_waitcnt lgkmcnt(0)
	s_delay_alu instid0(VALU_DEP_2) | instskip(SKIP_1) | instid1(VALU_DEP_2)
	v_mul_f64 v[6:7], v[195:196], v[178:179]
	v_mul_f64 v[176:177], v[193:194], v[178:179]
	v_fma_f64 v[6:7], v[193:194], v[4:5], -v[6:7]
	s_delay_alu instid0(VALU_DEP_2) | instskip(NEXT) | instid1(VALU_DEP_2)
	v_fma_f64 v[176:177], v[195:196], v[4:5], v[176:177]
	v_add_f64 v[0:1], v[0:1], -v[6:7]
	s_delay_alu instid0(VALU_DEP_2)
	v_add_f64 v[2:3], v[2:3], -v[176:177]
	v_dual_mov_b32 v6, v178 :: v_dual_mov_b32 v7, v179
.LBB86_902:
	s_or_b32 exec_lo, exec_lo, s2
	v_lshl_add_u32 v176, v192, 4, v186
	s_barrier
	buffer_gl0_inv
	v_mov_b32_e32 v184, 43
	ds_store_2addr_b64 v176, v[0:1], v[2:3] offset1:1
	s_waitcnt lgkmcnt(0)
	s_barrier
	buffer_gl0_inv
	ds_load_2addr_b64 v[176:179], v186 offset0:86 offset1:87
	s_cmp_lt_i32 s5, 45
	s_cbranch_scc1 .LBB86_905
; %bb.903:
	v_add3_u32 v185, v190, 0, 0x2c0
	v_mov_b32_e32 v184, 43
	s_mov_b32 s6, 44
	s_set_inst_prefetch_distance 0x1
	.p2align	6
.LBB86_904:                             ; =>This Inner Loop Header: Depth=1
	ds_load_2addr_b64 v[193:196], v185 offset1:1
	s_waitcnt lgkmcnt(1)
	v_cmp_gt_f64_e32 vcc_lo, 0, v[176:177]
	v_xor_b32_e32 v186, 0x80000000, v177
	v_cmp_gt_f64_e64 s2, 0, v[178:179]
	v_xor_b32_e32 v190, 0x80000000, v179
	v_add_nc_u32_e32 v185, 16, v185
	s_waitcnt lgkmcnt(0)
	v_cmp_gt_f64_e64 s3, 0, v[193:194]
	v_mov_b32_e32 v201, v193
	v_dual_mov_b32 v203, v195 :: v_dual_cndmask_b32 v198, v177, v186
	v_xor_b32_e32 v186, 0x80000000, v194
	v_cndmask_b32_e64 v200, v179, v190, s2
	v_xor_b32_e32 v190, 0x80000000, v196
	v_cndmask_b32_e32 v197, v176, v176, vcc_lo
	v_cndmask_b32_e64 v199, v178, v178, s2
	s_delay_alu instid0(VALU_DEP_1) | instskip(SKIP_2) | instid1(VALU_DEP_1)
	v_add_f64 v[197:198], v[197:198], v[199:200]
	v_cndmask_b32_e64 v202, v194, v186, s3
	v_cmp_gt_f64_e64 s3, 0, v[195:196]
	v_cndmask_b32_e64 v204, v196, v190, s3
	s_delay_alu instid0(VALU_DEP_1) | instskip(NEXT) | instid1(VALU_DEP_1)
	v_add_f64 v[201:202], v[201:202], v[203:204]
	v_cmp_lt_f64_e32 vcc_lo, v[197:198], v[201:202]
	v_dual_cndmask_b32 v178, v178, v195 :: v_dual_cndmask_b32 v177, v177, v194
	v_dual_cndmask_b32 v176, v176, v193 :: v_dual_cndmask_b32 v179, v179, v196
	v_cndmask_b32_e64 v184, v184, s6, vcc_lo
	s_add_i32 s6, s6, 1
	s_delay_alu instid0(SALU_CYCLE_1)
	s_cmp_lg_u32 s5, s6
	s_cbranch_scc1 .LBB86_904
.LBB86_905:
	s_set_inst_prefetch_distance 0x2
	s_waitcnt lgkmcnt(0)
	v_cmp_eq_f64_e32 vcc_lo, 0, v[176:177]
	v_cmp_eq_f64_e64 s2, 0, v[178:179]
	s_delay_alu instid0(VALU_DEP_1) | instskip(NEXT) | instid1(SALU_CYCLE_1)
	s_and_b32 s2, vcc_lo, s2
	s_and_saveexec_b32 s3, s2
	s_delay_alu instid0(SALU_CYCLE_1)
	s_xor_b32 s2, exec_lo, s3
; %bb.906:
	v_cmp_ne_u32_e32 vcc_lo, 0, v189
	v_cndmask_b32_e32 v189, 44, v189, vcc_lo
; %bb.907:
	s_and_not1_saveexec_b32 s3, s2
	s_cbranch_execz .LBB86_913
; %bb.908:
	v_cmp_gt_f64_e32 vcc_lo, 0, v[176:177]
	v_cmp_gt_f64_e64 s2, 0, v[178:179]
	v_xor_b32_e32 v185, 0x80000000, v177
	v_xor_b32_e32 v190, 0x80000000, v179
	s_delay_alu instid0(VALU_DEP_2) | instskip(NEXT) | instid1(VALU_DEP_2)
	v_dual_cndmask_b32 v186, v177, v185 :: v_dual_cndmask_b32 v185, v176, v176
	v_cndmask_b32_e64 v194, v179, v190, s2
	v_cndmask_b32_e64 v193, v178, v178, s2
	s_mov_b32 s2, exec_lo
	s_delay_alu instid0(VALU_DEP_1)
	v_cmpx_ngt_f64_e32 v[185:186], v[193:194]
	s_xor_b32 s2, exec_lo, s2
	s_cbranch_execz .LBB86_910
; %bb.909:
	v_div_scale_f64 v[185:186], null, v[178:179], v[178:179], v[176:177]
	v_div_scale_f64 v[197:198], vcc_lo, v[176:177], v[178:179], v[176:177]
	s_delay_alu instid0(VALU_DEP_2) | instskip(SKIP_2) | instid1(VALU_DEP_1)
	v_rcp_f64_e32 v[193:194], v[185:186]
	s_waitcnt_depctr 0xfff
	v_fma_f64 v[195:196], -v[185:186], v[193:194], 1.0
	v_fma_f64 v[193:194], v[193:194], v[195:196], v[193:194]
	s_delay_alu instid0(VALU_DEP_1) | instskip(NEXT) | instid1(VALU_DEP_1)
	v_fma_f64 v[195:196], -v[185:186], v[193:194], 1.0
	v_fma_f64 v[193:194], v[193:194], v[195:196], v[193:194]
	s_delay_alu instid0(VALU_DEP_1) | instskip(NEXT) | instid1(VALU_DEP_1)
	v_mul_f64 v[195:196], v[197:198], v[193:194]
	v_fma_f64 v[185:186], -v[185:186], v[195:196], v[197:198]
	s_delay_alu instid0(VALU_DEP_1) | instskip(NEXT) | instid1(VALU_DEP_1)
	v_div_fmas_f64 v[185:186], v[185:186], v[193:194], v[195:196]
	v_div_fixup_f64 v[185:186], v[185:186], v[178:179], v[176:177]
	s_delay_alu instid0(VALU_DEP_1) | instskip(NEXT) | instid1(VALU_DEP_1)
	v_fma_f64 v[176:177], v[176:177], v[185:186], v[178:179]
	v_div_scale_f64 v[178:179], null, v[176:177], v[176:177], 1.0
	s_delay_alu instid0(VALU_DEP_1) | instskip(SKIP_2) | instid1(VALU_DEP_1)
	v_rcp_f64_e32 v[193:194], v[178:179]
	s_waitcnt_depctr 0xfff
	v_fma_f64 v[195:196], -v[178:179], v[193:194], 1.0
	v_fma_f64 v[193:194], v[193:194], v[195:196], v[193:194]
	s_delay_alu instid0(VALU_DEP_1) | instskip(NEXT) | instid1(VALU_DEP_1)
	v_fma_f64 v[195:196], -v[178:179], v[193:194], 1.0
	v_fma_f64 v[193:194], v[193:194], v[195:196], v[193:194]
	v_div_scale_f64 v[195:196], vcc_lo, 1.0, v[176:177], 1.0
	s_delay_alu instid0(VALU_DEP_1) | instskip(NEXT) | instid1(VALU_DEP_1)
	v_mul_f64 v[197:198], v[195:196], v[193:194]
	v_fma_f64 v[178:179], -v[178:179], v[197:198], v[195:196]
	s_delay_alu instid0(VALU_DEP_1) | instskip(NEXT) | instid1(VALU_DEP_1)
	v_div_fmas_f64 v[178:179], v[178:179], v[193:194], v[197:198]
	v_div_fixup_f64 v[178:179], v[178:179], v[176:177], 1.0
	s_delay_alu instid0(VALU_DEP_1)
	v_mul_f64 v[176:177], v[185:186], v[178:179]
	v_xor_b32_e32 v179, 0x80000000, v179
.LBB86_910:
	s_and_not1_saveexec_b32 s2, s2
	s_cbranch_execz .LBB86_912
; %bb.911:
	s_delay_alu instid0(VALU_DEP_1) | instskip(SKIP_1) | instid1(VALU_DEP_2)
	v_div_scale_f64 v[185:186], null, v[176:177], v[176:177], v[178:179]
	v_div_scale_f64 v[197:198], vcc_lo, v[178:179], v[176:177], v[178:179]
	v_rcp_f64_e32 v[193:194], v[185:186]
	s_waitcnt_depctr 0xfff
	v_fma_f64 v[195:196], -v[185:186], v[193:194], 1.0
	s_delay_alu instid0(VALU_DEP_1) | instskip(NEXT) | instid1(VALU_DEP_1)
	v_fma_f64 v[193:194], v[193:194], v[195:196], v[193:194]
	v_fma_f64 v[195:196], -v[185:186], v[193:194], 1.0
	s_delay_alu instid0(VALU_DEP_1) | instskip(NEXT) | instid1(VALU_DEP_1)
	v_fma_f64 v[193:194], v[193:194], v[195:196], v[193:194]
	v_mul_f64 v[195:196], v[197:198], v[193:194]
	s_delay_alu instid0(VALU_DEP_1) | instskip(NEXT) | instid1(VALU_DEP_1)
	v_fma_f64 v[185:186], -v[185:186], v[195:196], v[197:198]
	v_div_fmas_f64 v[185:186], v[185:186], v[193:194], v[195:196]
	s_delay_alu instid0(VALU_DEP_1) | instskip(NEXT) | instid1(VALU_DEP_1)
	v_div_fixup_f64 v[185:186], v[185:186], v[176:177], v[178:179]
	v_fma_f64 v[176:177], v[178:179], v[185:186], v[176:177]
	s_delay_alu instid0(VALU_DEP_1) | instskip(NEXT) | instid1(VALU_DEP_1)
	v_div_scale_f64 v[178:179], null, v[176:177], v[176:177], 1.0
	v_rcp_f64_e32 v[193:194], v[178:179]
	s_waitcnt_depctr 0xfff
	v_fma_f64 v[195:196], -v[178:179], v[193:194], 1.0
	s_delay_alu instid0(VALU_DEP_1) | instskip(NEXT) | instid1(VALU_DEP_1)
	v_fma_f64 v[193:194], v[193:194], v[195:196], v[193:194]
	v_fma_f64 v[195:196], -v[178:179], v[193:194], 1.0
	s_delay_alu instid0(VALU_DEP_1) | instskip(SKIP_1) | instid1(VALU_DEP_1)
	v_fma_f64 v[193:194], v[193:194], v[195:196], v[193:194]
	v_div_scale_f64 v[195:196], vcc_lo, 1.0, v[176:177], 1.0
	v_mul_f64 v[197:198], v[195:196], v[193:194]
	s_delay_alu instid0(VALU_DEP_1) | instskip(NEXT) | instid1(VALU_DEP_1)
	v_fma_f64 v[178:179], -v[178:179], v[197:198], v[195:196]
	v_div_fmas_f64 v[178:179], v[178:179], v[193:194], v[197:198]
	s_delay_alu instid0(VALU_DEP_1) | instskip(NEXT) | instid1(VALU_DEP_1)
	v_div_fixup_f64 v[176:177], v[178:179], v[176:177], 1.0
	v_mul_f64 v[178:179], v[185:186], -v[176:177]
.LBB86_912:
	s_or_b32 exec_lo, exec_lo, s2
.LBB86_913:
	s_delay_alu instid0(SALU_CYCLE_1)
	s_or_b32 exec_lo, exec_lo, s3
	v_mov_b32_e32 v185, 43
	s_mov_b32 s2, exec_lo
	v_cmpx_ne_u32_e64 v192, v184
	s_cbranch_execz .LBB86_919
; %bb.914:
	s_mov_b32 s3, exec_lo
	v_cmpx_eq_u32_e32 43, v192
	s_cbranch_execz .LBB86_918
; %bb.915:
	v_cmp_ne_u32_e32 vcc_lo, 43, v184
	s_xor_b32 s4, s4, -1
	s_delay_alu instid0(SALU_CYCLE_1) | instskip(NEXT) | instid1(SALU_CYCLE_1)
	s_and_b32 s5, s4, vcc_lo
	s_and_saveexec_b32 s4, s5
	s_cbranch_execz .LBB86_917
; %bb.916:
	v_ashrrev_i32_e32 v185, 31, v184
	s_delay_alu instid0(VALU_DEP_1) | instskip(NEXT) | instid1(VALU_DEP_1)
	v_lshlrev_b64 v[185:186], 2, v[184:185]
	v_add_co_u32 v185, vcc_lo, v182, v185
	s_delay_alu instid0(VALU_DEP_2)
	v_add_co_ci_u32_e32 v186, vcc_lo, v183, v186, vcc_lo
	s_clause 0x1
	flat_load_b32 v190, v[185:186]
	flat_load_b32 v191, v[182:183] offset:172
	s_waitcnt vmcnt(1) lgkmcnt(1)
	flat_store_b32 v[182:183], v190 offset:172
	s_waitcnt vmcnt(0) lgkmcnt(1)
	flat_store_b32 v[185:186], v191
.LBB86_917:
	s_or_b32 exec_lo, exec_lo, s4
	v_mov_b32_e32 v192, v184
	v_mov_b32_e32 v191, v184
.LBB86_918:
	s_or_b32 exec_lo, exec_lo, s3
	s_delay_alu instid0(VALU_DEP_2)
	v_mov_b32_e32 v185, v192
.LBB86_919:
	s_or_b32 exec_lo, exec_lo, s2
	s_delay_alu instid0(SALU_CYCLE_1)
	s_mov_b32 s2, exec_lo
	s_waitcnt lgkmcnt(0)
	s_waitcnt_vscnt null, 0x0
	s_barrier
	buffer_gl0_inv
	v_cmpx_lt_i32_e32 43, v185
; %bb.920:
	v_mul_f64 v[182:183], v[178:179], v[2:3]
	v_mul_f64 v[2:3], v[176:177], v[2:3]
	s_delay_alu instid0(VALU_DEP_2) | instskip(NEXT) | instid1(VALU_DEP_2)
	v_fma_f64 v[176:177], v[176:177], v[0:1], -v[182:183]
	v_fma_f64 v[2:3], v[178:179], v[0:1], v[2:3]
	s_delay_alu instid0(VALU_DEP_2)
	v_dual_mov_b32 v0, v176 :: v_dual_mov_b32 v1, v177
; %bb.921:
	s_or_b32 exec_lo, exec_lo, s2
	s_load_b256 s[0:7], s[0:1], 0x28
	v_ashrrev_i32_e32 v186, 31, v185
	s_mov_b32 s9, exec_lo
	s_waitcnt lgkmcnt(0)
	s_barrier
	buffer_gl0_inv
	v_cmpx_gt_i32_e32 44, v185
	s_cbranch_execz .LBB86_923
; %bb.922:
	v_mul_lo_u32 v178, v181, s4
	v_mul_lo_u32 v179, v180, s5
	v_mad_u64_u32 v[176:177], null, v180, s4, 0
	s_lshl_b64 s[2:3], s[2:3], 2
	s_delay_alu instid0(SALU_CYCLE_1) | instskip(SKIP_1) | instid1(VALU_DEP_1)
	s_add_u32 s0, s2, s0
	s_addc_u32 s1, s3, s1
	v_add3_u32 v177, v177, v179, v178
	v_lshlrev_b64 v[178:179], 2, v[185:186]
	s_delay_alu instid0(VALU_DEP_2) | instskip(NEXT) | instid1(VALU_DEP_1)
	v_lshlrev_b64 v[176:177], 2, v[176:177]
	v_add_co_u32 v176, vcc_lo, s0, v176
	s_delay_alu instid0(VALU_DEP_2) | instskip(NEXT) | instid1(VALU_DEP_2)
	v_add_co_ci_u32_e32 v177, vcc_lo, s1, v177, vcc_lo
	v_add_co_u32 v176, vcc_lo, v176, v178
	s_delay_alu instid0(VALU_DEP_2)
	v_add_co_ci_u32_e32 v177, vcc_lo, v177, v179, vcc_lo
	v_add3_u32 v178, v191, s13, 1
	global_store_b32 v[176:177], v178, off
.LBB86_923:
	s_or_b32 exec_lo, exec_lo, s9
	s_delay_alu instid0(SALU_CYCLE_1)
	s_mov_b32 s1, exec_lo
	v_cmpx_eq_u32_e32 0, v185
	s_cbranch_execz .LBB86_926
; %bb.924:
	v_lshlrev_b64 v[176:177], 2, v[180:181]
	v_cmp_lt_i32_e64 s0, 0, v189
	s_delay_alu instid0(VALU_DEP_2) | instskip(NEXT) | instid1(VALU_DEP_3)
	v_add_co_u32 v176, vcc_lo, s6, v176
	v_add_co_ci_u32_e32 v177, vcc_lo, s7, v177, vcc_lo
	global_load_b32 v178, v[176:177], off
	s_waitcnt vmcnt(0)
	v_cmp_eq_u32_e32 vcc_lo, 0, v178
	s_and_b32 s0, vcc_lo, s0
	s_delay_alu instid0(SALU_CYCLE_1)
	s_and_b32 exec_lo, exec_lo, s0
	s_cbranch_execz .LBB86_926
; %bb.925:
	v_add_nc_u32_e32 v178, s13, v189
	global_store_b32 v[176:177], v178, off
.LBB86_926:
	s_or_b32 exec_lo, exec_lo, s1
	v_lshlrev_b64 v[178:179], 4, v[185:186]
	v_add3_u32 v176, s8, s8, v185
	s_delay_alu instid0(VALU_DEP_1) | instskip(NEXT) | instid1(VALU_DEP_3)
	v_add_nc_u32_e32 v180, s8, v176
	v_add_co_u32 v178, vcc_lo, v187, v178
	s_delay_alu instid0(VALU_DEP_4) | instskip(SKIP_1) | instid1(VALU_DEP_3)
	v_add_co_ci_u32_e32 v179, vcc_lo, v188, v179, vcc_lo
	v_ashrrev_i32_e32 v177, 31, v176
	v_add_co_u32 v182, vcc_lo, v178, s10
	s_delay_alu instid0(VALU_DEP_3)
	v_add_co_ci_u32_e32 v183, vcc_lo, s11, v179, vcc_lo
	v_ashrrev_i32_e32 v181, 31, v180
	global_store_b128 v[178:179], v[172:175], off
	v_lshlrev_b64 v[176:177], 4, v[176:177]
	global_store_b128 v[182:183], v[168:171], off
	v_add_nc_u32_e32 v168, s8, v180
	v_lshlrev_b64 v[172:173], 4, v[180:181]
	v_add_co_u32 v170, vcc_lo, v187, v176
	s_delay_alu instid0(VALU_DEP_3) | instskip(SKIP_3) | instid1(VALU_DEP_4)
	v_add_nc_u32_e32 v174, s8, v168
	v_ashrrev_i32_e32 v169, 31, v168
	v_add_co_ci_u32_e32 v171, vcc_lo, v188, v177, vcc_lo
	v_add_co_u32 v172, vcc_lo, v187, v172
	v_add_nc_u32_e32 v176, s8, v174
	v_ashrrev_i32_e32 v175, 31, v174
	v_add_co_ci_u32_e32 v173, vcc_lo, v188, v173, vcc_lo
	v_lshlrev_b64 v[168:169], 4, v[168:169]
	s_delay_alu instid0(VALU_DEP_4)
	v_ashrrev_i32_e32 v177, 31, v176
	s_clause 0x1
	global_store_b128 v[170:171], v[164:167], off
	global_store_b128 v[172:173], v[160:163], off
	v_lshlrev_b64 v[160:161], 4, v[174:175]
	v_add_nc_u32_e32 v166, s8, v176
	v_add_co_u32 v162, vcc_lo, v187, v168
	v_lshlrev_b64 v[164:165], 4, v[176:177]
	v_add_co_ci_u32_e32 v163, vcc_lo, v188, v169, vcc_lo
	v_add_co_u32 v160, vcc_lo, v187, v160
	v_add_co_ci_u32_e32 v161, vcc_lo, v188, v161, vcc_lo
	s_delay_alu instid0(VALU_DEP_4)
	v_add_co_u32 v164, vcc_lo, v187, v164
	v_add_nc_u32_e32 v168, s8, v166
	v_add_co_ci_u32_e32 v165, vcc_lo, v188, v165, vcc_lo
	v_ashrrev_i32_e32 v167, 31, v166
	global_store_b128 v[162:163], v[156:159], off
	v_ashrrev_i32_e32 v169, 31, v168
	s_clause 0x1
	global_store_b128 v[160:161], v[152:155], off
	global_store_b128 v[164:165], v[148:151], off
	v_add_nc_u32_e32 v150, s8, v168
	v_lshlrev_b64 v[156:157], 4, v[166:167]
	v_lshlrev_b64 v[148:149], 4, v[168:169]
	s_delay_alu instid0(VALU_DEP_3) | instskip(SKIP_1) | instid1(VALU_DEP_4)
	v_add_nc_u32_e32 v154, s8, v150
	v_ashrrev_i32_e32 v151, 31, v150
	v_add_co_u32 v152, vcc_lo, v187, v156
	v_add_co_ci_u32_e32 v153, vcc_lo, v188, v157, vcc_lo
	s_delay_alu instid0(VALU_DEP_4)
	v_add_nc_u32_e32 v156, s8, v154
	v_add_co_u32 v148, vcc_lo, v187, v148
	v_ashrrev_i32_e32 v155, 31, v154
	v_add_co_ci_u32_e32 v149, vcc_lo, v188, v149, vcc_lo
	v_lshlrev_b64 v[150:151], 4, v[150:151]
	v_ashrrev_i32_e32 v157, 31, v156
	s_clause 0x1
	global_store_b128 v[152:153], v[144:147], off
	global_store_b128 v[148:149], v[140:143], off
	v_lshlrev_b64 v[140:141], 4, v[154:155]
	v_add_nc_u32_e32 v146, s8, v156
	v_add_co_u32 v142, vcc_lo, v187, v150
	v_lshlrev_b64 v[144:145], 4, v[156:157]
	v_add_co_ci_u32_e32 v143, vcc_lo, v188, v151, vcc_lo
	v_add_co_u32 v140, vcc_lo, v187, v140
	v_add_co_ci_u32_e32 v141, vcc_lo, v188, v141, vcc_lo
	s_delay_alu instid0(VALU_DEP_4)
	v_add_co_u32 v144, vcc_lo, v187, v144
	v_add_nc_u32_e32 v148, s8, v146
	v_add_co_ci_u32_e32 v145, vcc_lo, v188, v145, vcc_lo
	v_ashrrev_i32_e32 v147, 31, v146
	global_store_b128 v[142:143], v[136:139], off
	v_ashrrev_i32_e32 v149, 31, v148
	s_clause 0x1
	global_store_b128 v[140:141], v[132:135], off
	global_store_b128 v[144:145], v[128:131], off
	v_add_nc_u32_e32 v130, s8, v148
	v_lshlrev_b64 v[136:137], 4, v[146:147]
	v_lshlrev_b64 v[128:129], 4, v[148:149]
	s_delay_alu instid0(VALU_DEP_3) | instskip(SKIP_1) | instid1(VALU_DEP_4)
	v_add_nc_u32_e32 v134, s8, v130
	v_ashrrev_i32_e32 v131, 31, v130
	v_add_co_u32 v132, vcc_lo, v187, v136
	v_add_co_ci_u32_e32 v133, vcc_lo, v188, v137, vcc_lo
	s_delay_alu instid0(VALU_DEP_4)
	v_add_nc_u32_e32 v136, s8, v134
	v_add_co_u32 v128, vcc_lo, v187, v128
	v_ashrrev_i32_e32 v135, 31, v134
	v_add_co_ci_u32_e32 v129, vcc_lo, v188, v129, vcc_lo
	v_lshlrev_b64 v[130:131], 4, v[130:131]
	;; [unrolled: 35-line block ×6, first 2 shown]
	v_ashrrev_i32_e32 v57, 31, v56
	s_clause 0x1
	global_store_b128 v[52:53], v[44:47], off
	global_store_b128 v[48:49], v[40:43], off
	v_lshlrev_b64 v[40:41], 4, v[54:55]
	v_add_nc_u32_e32 v46, s8, v56
	v_add_co_u32 v42, vcc_lo, v187, v50
	v_lshlrev_b64 v[44:45], 4, v[56:57]
	v_add_co_ci_u32_e32 v43, vcc_lo, v188, v51, vcc_lo
	v_add_co_u32 v40, vcc_lo, v187, v40
	v_add_nc_u32_e32 v48, s8, v46
	v_add_co_ci_u32_e32 v41, vcc_lo, v188, v41, vcc_lo
	v_ashrrev_i32_e32 v47, 31, v46
	v_add_co_u32 v44, vcc_lo, v187, v44
	v_add_co_ci_u32_e32 v45, vcc_lo, v188, v45, vcc_lo
	v_ashrrev_i32_e32 v49, 31, v48
	global_store_b128 v[42:43], v[36:39], off
	v_lshlrev_b64 v[36:37], 4, v[46:47]
	s_clause 0x1
	global_store_b128 v[40:41], v[32:35], off
	global_store_b128 v[44:45], v[28:31], off
	v_add_nc_u32_e32 v30, s8, v48
	v_lshlrev_b64 v[28:29], 4, v[48:49]
	v_add_co_u32 v32, vcc_lo, v187, v36
	s_delay_alu instid0(VALU_DEP_3) | instskip(SKIP_1) | instid1(VALU_DEP_4)
	v_add_nc_u32_e32 v34, s8, v30
	v_add_co_ci_u32_e32 v33, vcc_lo, v188, v37, vcc_lo
	v_add_co_u32 v28, vcc_lo, v187, v28
	v_add_co_ci_u32_e32 v29, vcc_lo, v188, v29, vcc_lo
	s_delay_alu instid0(VALU_DEP_4)
	v_add_nc_u32_e32 v36, s8, v34
	v_ashrrev_i32_e32 v31, 31, v30
	s_clause 0x1
	global_store_b128 v[32:33], v[24:27], off
	global_store_b128 v[28:29], v[20:23], off
	v_ashrrev_i32_e32 v35, 31, v34
	v_add_nc_u32_e32 v22, s8, v36
	v_lshlrev_b64 v[24:25], 4, v[30:31]
	v_ashrrev_i32_e32 v37, 31, v36
	s_delay_alu instid0(VALU_DEP_4) | instskip(NEXT) | instid1(VALU_DEP_4)
	v_lshlrev_b64 v[20:21], 4, v[34:35]
	v_add_nc_u32_e32 v28, s8, v22
	v_ashrrev_i32_e32 v23, 31, v22
	v_add_co_u32 v24, vcc_lo, v187, v24
	v_lshlrev_b64 v[26:27], 4, v[36:37]
	s_delay_alu instid0(VALU_DEP_4)
	v_ashrrev_i32_e32 v29, 31, v28
	v_add_co_ci_u32_e32 v25, vcc_lo, v188, v25, vcc_lo
	v_add_co_u32 v20, vcc_lo, v187, v20
	v_lshlrev_b64 v[22:23], 4, v[22:23]
	v_add_co_ci_u32_e32 v21, vcc_lo, v188, v21, vcc_lo
	v_add_co_u32 v26, vcc_lo, v187, v26
	v_lshlrev_b64 v[28:29], 4, v[28:29]
	v_add_co_ci_u32_e32 v27, vcc_lo, v188, v27, vcc_lo
	v_add_co_u32 v22, vcc_lo, v187, v22
	v_add_co_ci_u32_e32 v23, vcc_lo, v188, v23, vcc_lo
	s_delay_alu instid0(VALU_DEP_4)
	v_add_co_u32 v28, vcc_lo, v187, v28
	v_add_co_ci_u32_e32 v29, vcc_lo, v188, v29, vcc_lo
	s_clause 0x4
	global_store_b128 v[24:25], v[16:19], off
	global_store_b128 v[20:21], v[12:15], off
	;; [unrolled: 1-line block ×5, first 2 shown]
.LBB86_927:
	s_nop 0
	s_sendmsg sendmsg(MSG_DEALLOC_VGPRS)
	s_endpgm
	.section	.rodata,"a",@progbits
	.p2align	6, 0x0
	.amdhsa_kernel _ZN9rocsolver6v33100L18getf2_small_kernelILi44E19rocblas_complex_numIdEiiPKPS3_EEvT1_T3_lS7_lPS7_llPT2_S7_S7_S9_l
		.amdhsa_group_segment_fixed_size 0
		.amdhsa_private_segment_fixed_size 0
		.amdhsa_kernarg_size 352
		.amdhsa_user_sgpr_count 14
		.amdhsa_user_sgpr_dispatch_ptr 0
		.amdhsa_user_sgpr_queue_ptr 0
		.amdhsa_user_sgpr_kernarg_segment_ptr 1
		.amdhsa_user_sgpr_dispatch_id 0
		.amdhsa_user_sgpr_private_segment_size 0
		.amdhsa_wavefront_size32 1
		.amdhsa_uses_dynamic_stack 0
		.amdhsa_enable_private_segment 0
		.amdhsa_system_sgpr_workgroup_id_x 1
		.amdhsa_system_sgpr_workgroup_id_y 1
		.amdhsa_system_sgpr_workgroup_id_z 0
		.amdhsa_system_sgpr_workgroup_info 0
		.amdhsa_system_vgpr_workitem_id 1
		.amdhsa_next_free_vgpr 251
		.amdhsa_next_free_sgpr 16
		.amdhsa_reserve_vcc 1
		.amdhsa_float_round_mode_32 0
		.amdhsa_float_round_mode_16_64 0
		.amdhsa_float_denorm_mode_32 3
		.amdhsa_float_denorm_mode_16_64 3
		.amdhsa_dx10_clamp 1
		.amdhsa_ieee_mode 1
		.amdhsa_fp16_overflow 0
		.amdhsa_workgroup_processor_mode 1
		.amdhsa_memory_ordered 1
		.amdhsa_forward_progress 0
		.amdhsa_shared_vgpr_count 0
		.amdhsa_exception_fp_ieee_invalid_op 0
		.amdhsa_exception_fp_denorm_src 0
		.amdhsa_exception_fp_ieee_div_zero 0
		.amdhsa_exception_fp_ieee_overflow 0
		.amdhsa_exception_fp_ieee_underflow 0
		.amdhsa_exception_fp_ieee_inexact 0
		.amdhsa_exception_int_div_zero 0
	.end_amdhsa_kernel
	.section	.text._ZN9rocsolver6v33100L18getf2_small_kernelILi44E19rocblas_complex_numIdEiiPKPS3_EEvT1_T3_lS7_lPS7_llPT2_S7_S7_S9_l,"axG",@progbits,_ZN9rocsolver6v33100L18getf2_small_kernelILi44E19rocblas_complex_numIdEiiPKPS3_EEvT1_T3_lS7_lPS7_llPT2_S7_S7_S9_l,comdat
.Lfunc_end86:
	.size	_ZN9rocsolver6v33100L18getf2_small_kernelILi44E19rocblas_complex_numIdEiiPKPS3_EEvT1_T3_lS7_lPS7_llPT2_S7_S7_S9_l, .Lfunc_end86-_ZN9rocsolver6v33100L18getf2_small_kernelILi44E19rocblas_complex_numIdEiiPKPS3_EEvT1_T3_lS7_lPS7_llPT2_S7_S7_S9_l
                                        ; -- End function
	.section	.AMDGPU.csdata,"",@progbits
; Kernel info:
; codeLenInByte = 126460
; NumSgprs: 18
; NumVgprs: 251
; ScratchSize: 0
; MemoryBound: 0
; FloatMode: 240
; IeeeMode: 1
; LDSByteSize: 0 bytes/workgroup (compile time only)
; SGPRBlocks: 2
; VGPRBlocks: 31
; NumSGPRsForWavesPerEU: 18
; NumVGPRsForWavesPerEU: 251
; Occupancy: 5
; WaveLimiterHint : 1
; COMPUTE_PGM_RSRC2:SCRATCH_EN: 0
; COMPUTE_PGM_RSRC2:USER_SGPR: 14
; COMPUTE_PGM_RSRC2:TRAP_HANDLER: 0
; COMPUTE_PGM_RSRC2:TGID_X_EN: 1
; COMPUTE_PGM_RSRC2:TGID_Y_EN: 1
; COMPUTE_PGM_RSRC2:TGID_Z_EN: 0
; COMPUTE_PGM_RSRC2:TIDIG_COMP_CNT: 1
	.section	.text._ZN9rocsolver6v33100L23getf2_npvt_small_kernelILi44E19rocblas_complex_numIdEiiPKPS3_EEvT1_T3_lS7_lPT2_S7_S7_,"axG",@progbits,_ZN9rocsolver6v33100L23getf2_npvt_small_kernelILi44E19rocblas_complex_numIdEiiPKPS3_EEvT1_T3_lS7_lPT2_S7_S7_,comdat
	.globl	_ZN9rocsolver6v33100L23getf2_npvt_small_kernelILi44E19rocblas_complex_numIdEiiPKPS3_EEvT1_T3_lS7_lPT2_S7_S7_ ; -- Begin function _ZN9rocsolver6v33100L23getf2_npvt_small_kernelILi44E19rocblas_complex_numIdEiiPKPS3_EEvT1_T3_lS7_lPT2_S7_S7_
	.p2align	8
	.type	_ZN9rocsolver6v33100L23getf2_npvt_small_kernelILi44E19rocblas_complex_numIdEiiPKPS3_EEvT1_T3_lS7_lPT2_S7_S7_,@function
_ZN9rocsolver6v33100L23getf2_npvt_small_kernelILi44E19rocblas_complex_numIdEiiPKPS3_EEvT1_T3_lS7_lPT2_S7_S7_: ; @_ZN9rocsolver6v33100L23getf2_npvt_small_kernelILi44E19rocblas_complex_numIdEiiPKPS3_EEvT1_T3_lS7_lPT2_S7_S7_
; %bb.0:
	s_clause 0x1
	s_load_b32 s2, s[0:1], 0x44
	s_load_b64 s[10:11], s[0:1], 0x30
	v_bfe_u32 v1, v0, 10, 10
	s_waitcnt lgkmcnt(0)
	s_lshr_b32 s9, s2, 16
	s_mov_b32 s2, exec_lo
	s_delay_alu instid0(VALU_DEP_1) | instskip(NEXT) | instid1(VALU_DEP_1)
	v_mad_u64_u32 v[201:202], null, s15, s9, v[1:2]
	v_cmpx_gt_i32_e64 s10, v201
	s_cbranch_execz .LBB87_401
; %bb.1:
	s_clause 0x1
	s_load_b128 s[4:7], s[0:1], 0x8
	s_load_b32 s8, s[0:1], 0x18
	v_ashrrev_i32_e32 v202, 31, v201
	v_and_b32_e32 v194, 0x3ff, v0
	v_mad_u32_u24 v196, 0x2c0, v1, 0
	s_mulk_i32 s9, 0x2c0
	s_delay_alu instid0(VALU_DEP_3) | instskip(SKIP_1) | instid1(VALU_DEP_1)
	v_lshlrev_b64 v[2:3], 3, v[201:202]
	s_waitcnt lgkmcnt(0)
	v_add_co_u32 v2, vcc_lo, s4, v2
	s_delay_alu instid0(VALU_DEP_2)
	v_add_co_ci_u32_e32 v3, vcc_lo, s5, v3, vcc_lo
	v_add3_u32 v4, s8, s8, v194
	s_lshl_b64 s[2:3], s[6:7], 4
	global_load_b64 v[2:3], v[2:3], off
	v_add_nc_u32_e32 v6, s8, v4
	v_ashrrev_i32_e32 v5, 31, v4
	s_delay_alu instid0(VALU_DEP_2) | instskip(NEXT) | instid1(VALU_DEP_2)
	v_add_nc_u32_e32 v10, s8, v6
	v_lshlrev_b64 v[8:9], 4, v[4:5]
	v_ashrrev_i32_e32 v7, 31, v6
	s_delay_alu instid0(VALU_DEP_3) | instskip(SKIP_1) | instid1(VALU_DEP_3)
	v_add_nc_u32_e32 v12, s8, v10
	v_ashrrev_i32_e32 v11, 31, v10
	v_lshlrev_b64 v[6:7], 4, v[6:7]
	s_delay_alu instid0(VALU_DEP_3) | instskip(SKIP_1) | instid1(VALU_DEP_4)
	v_add_nc_u32_e32 v14, s8, v12
	v_ashrrev_i32_e32 v13, 31, v12
	v_lshlrev_b64 v[4:5], 4, v[10:11]
	s_delay_alu instid0(VALU_DEP_3) | instskip(NEXT) | instid1(VALU_DEP_3)
	v_add_nc_u32_e32 v16, s8, v14
	v_lshlrev_b64 v[10:11], 4, v[12:13]
	v_ashrrev_i32_e32 v15, 31, v14
	s_delay_alu instid0(VALU_DEP_3) | instskip(SKIP_1) | instid1(VALU_DEP_3)
	v_add_nc_u32_e32 v18, s8, v16
	v_ashrrev_i32_e32 v17, 31, v16
	v_lshlrev_b64 v[14:15], 4, v[14:15]
	s_delay_alu instid0(VALU_DEP_3) | instskip(SKIP_1) | instid1(VALU_DEP_4)
	v_add_nc_u32_e32 v20, s8, v18
	v_ashrrev_i32_e32 v19, 31, v18
	v_lshlrev_b64 v[16:17], 4, v[16:17]
	s_delay_alu instid0(VALU_DEP_3) | instskip(SKIP_1) | instid1(VALU_DEP_4)
	;; [unrolled: 4-line block ×22, first 2 shown]
	v_ashrrev_i32_e32 v59, 31, v58
	v_add_nc_u32_e32 v60, s8, v58
	v_lshlrev_b64 v[56:57], 4, v[56:57]
	s_delay_alu instid0(VALU_DEP_2) | instskip(SKIP_4) | instid1(VALU_DEP_3)
	v_ashrrev_i32_e32 v61, 31, v60
	s_waitcnt vmcnt(0)
	v_add_co_u32 v0, vcc_lo, v2, s2
	v_add_co_ci_u32_e32 v62, vcc_lo, s3, v3, vcc_lo
	v_lshlrev_b64 v[2:3], 4, v[58:59]
	v_add_co_u32 v81, vcc_lo, v0, v8
	s_delay_alu instid0(VALU_DEP_3)
	v_add_co_ci_u32_e32 v82, vcc_lo, v62, v9, vcc_lo
	v_add_co_u32 v79, vcc_lo, v0, v6
	v_add_co_ci_u32_e32 v80, vcc_lo, v62, v7, vcc_lo
	v_add_co_u32 v77, vcc_lo, v0, v4
	;; [unrolled: 2-line block ×27, first 2 shown]
	v_add_co_ci_u32_e32 v228, vcc_lo, v62, v3, vcc_lo
	v_lshlrev_b64 v[2:3], 4, v[60:61]
	s_clause 0x4
	scratch_store_b64 off, v[81:82], off offset:200
	scratch_store_b64 off, v[79:80], off offset:192
	;; [unrolled: 1-line block ×5, first 2 shown]
	v_add_co_u32 v223, vcc_lo, v0, v2
	v_add_nc_u32_e32 v2, s8, v60
	v_add_co_ci_u32_e32 v224, vcc_lo, v62, v3, vcc_lo
	s_clause 0x3
	scratch_store_b64 off, v[71:72], off offset:160
	scratch_store_b64 off, v[69:70], off offset:152
	;; [unrolled: 1-line block ×4, first 2 shown]
	v_ashrrev_i32_e32 v3, 31, v2
	s_clause 0x3
	scratch_store_b64 off, v[63:64], off offset:128
	scratch_store_b64 off, v[58:59], off offset:120
	;; [unrolled: 1-line block ×4, first 2 shown]
	v_lshlrev_b64 v[3:4], 4, v[2:3]
	v_add_nc_u32_e32 v2, s8, v2
	s_clause 0x3
	scratch_store_b64 off, v[22:23], off offset:96
	scratch_store_b64 off, v[20:21], off offset:88
	scratch_store_b64 off, v[18:19], off offset:80
	scratch_store_b64 off, v[16:17], off offset:72
	v_add_co_u32 v225, vcc_lo, v0, v3
	v_ashrrev_i32_e32 v3, 31, v2
	v_add_co_ci_u32_e32 v226, vcc_lo, v62, v4, vcc_lo
	s_clause 0x3
	scratch_store_b64 off, v[14:15], off offset:64
	scratch_store_b64 off, v[11:12], off offset:56
	scratch_store_b64 off, v[9:10], off offset:48
	scratch_store_b64 off, v[7:8], off offset:40
	v_lshlrev_b64 v[3:4], 4, v[2:3]
	v_add_nc_u32_e32 v2, s8, v2
	s_clause 0x3
	global_load_b128 v[164:167], v[81:82], off
	global_load_b128 v[160:163], v[79:80], off
	global_load_b128 v[156:159], v[77:78], off
	global_load_b128 v[152:155], v[75:76], off
	v_add_co_u32 v219, vcc_lo, v0, v3
	v_ashrrev_i32_e32 v3, 31, v2
	v_add_co_ci_u32_e32 v220, vcc_lo, v62, v4, vcc_lo
	s_clause 0x1
	global_load_b128 v[148:151], v[73:74], off
	global_load_b128 v[144:147], v[71:72], off
	v_lshlrev_b64 v[3:4], 4, v[2:3]
	v_add_nc_u32_e32 v2, s8, v2
	s_clause 0x3
	global_load_b128 v[140:143], v[69:70], off
	global_load_b128 v[136:139], v[67:68], off
	global_load_b128 v[132:135], v[65:66], off
	global_load_b128 v[128:131], v[63:64], off
	v_add_co_u32 v221, vcc_lo, v0, v3
	v_ashrrev_i32_e32 v3, 31, v2
	v_add_co_ci_u32_e32 v222, vcc_lo, v62, v4, vcc_lo
	s_clause 0x1
	global_load_b128 v[124:127], v[58:59], off
	global_load_b128 v[120:123], v[26:27], off
	v_lshlrev_b64 v[3:4], 4, v[2:3]
	v_add_nc_u32_e32 v2, s8, v2
	s_clause 0x3
	global_load_b128 v[116:119], v[24:25], off
	global_load_b128 v[112:115], v[22:23], off
	global_load_b128 v[108:111], v[20:21], off
	global_load_b128 v[104:107], v[18:19], off
	v_add_co_u32 v215, vcc_lo, v0, v3
	v_ashrrev_i32_e32 v3, 31, v2
	v_add_co_ci_u32_e32 v216, vcc_lo, v62, v4, vcc_lo
	s_clause 0x1
	global_load_b128 v[100:103], v[16:17], off
	global_load_b128 v[96:99], v[14:15], off
	v_lshlrev_b64 v[3:4], 4, v[2:3]
	v_add_nc_u32_e32 v2, s8, v2
	s_clause 0x5
	global_load_b128 v[92:95], v[11:12], off
	global_load_b128 v[88:91], v[9:10], off
	;; [unrolled: 1-line block ×6, first 2 shown]
	scratch_store_b64 off, v[5:6], off offset:32 ; 8-byte Folded Spill
	v_add_co_u32 v217, vcc_lo, v0, v3
	v_ashrrev_i32_e32 v3, 31, v2
	v_add_co_ci_u32_e32 v218, vcc_lo, v62, v4, vcc_lo
	v_cmp_ne_u32_e64 s3, 0, v194
	v_cmp_eq_u32_e64 s2, 0, v194
	s_delay_alu instid0(VALU_DEP_4) | instskip(SKIP_1) | instid1(VALU_DEP_2)
	v_lshlrev_b64 v[3:4], 4, v[2:3]
	v_add_nc_u32_e32 v2, s8, v2
	v_add_co_u32 v211, vcc_lo, v0, v3
	s_delay_alu instid0(VALU_DEP_2) | instskip(NEXT) | instid1(VALU_DEP_4)
	v_ashrrev_i32_e32 v3, 31, v2
	v_add_co_ci_u32_e32 v212, vcc_lo, v62, v4, vcc_lo
	s_delay_alu instid0(VALU_DEP_2) | instskip(SKIP_1) | instid1(VALU_DEP_2)
	v_lshlrev_b64 v[3:4], 4, v[2:3]
	v_add_nc_u32_e32 v2, s8, v2
	v_add_co_u32 v213, vcc_lo, v0, v3
	s_delay_alu instid0(VALU_DEP_2) | instskip(NEXT) | instid1(VALU_DEP_4)
	v_ashrrev_i32_e32 v3, 31, v2
	v_add_co_ci_u32_e32 v214, vcc_lo, v62, v4, vcc_lo
	s_delay_alu instid0(VALU_DEP_2) | instskip(SKIP_1) | instid1(VALU_DEP_2)
	;; [unrolled: 7-line block ×6, first 2 shown]
	v_lshlrev_b64 v[3:4], 4, v[2:3]
	v_add_nc_u32_e32 v2, s8, v2
	v_add_co_u32 v205, vcc_lo, v0, v3
	s_delay_alu instid0(VALU_DEP_2) | instskip(NEXT) | instid1(VALU_DEP_4)
	v_ashrrev_i32_e32 v3, 31, v2
	v_add_co_ci_u32_e32 v206, vcc_lo, v62, v4, vcc_lo
	s_delay_alu instid0(VALU_DEP_2) | instskip(NEXT) | instid1(VALU_DEP_1)
	v_lshlrev_b64 v[2:3], 4, v[2:3]
	v_add_co_u32 v229, vcc_lo, v0, v2
	v_lshlrev_b32_e32 v2, 4, v1
	v_lshlrev_b32_e32 v1, 4, v194
	s_delay_alu instid0(VALU_DEP_4) | instskip(NEXT) | instid1(VALU_DEP_3)
	v_add_co_ci_u32_e32 v230, vcc_lo, v62, v3, vcc_lo
	v_add3_u32 v195, 0, s9, v2
	s_delay_alu instid0(VALU_DEP_3)
	v_add_co_u32 v0, vcc_lo, v0, v1
	v_add_co_ci_u32_e32 v1, vcc_lo, 0, v62, vcc_lo
	s_clause 0x7
	global_load_b128 v[68:71], v[5:6], off
	global_load_b128 v[64:67], v[231:232], off
	;; [unrolled: 1-line block ×8, first 2 shown]
	s_ashr_i32 s9, s8, 31
	global_load_b128 v[4:7], v[0:1], off
	s_lshl_b64 s[4:5], s[8:9], 4
	scratch_store_b64 off, v[0:1], off offset:208 ; 8-byte Folded Spill
	v_add_co_u32 v2, vcc_lo, v0, s4
	v_add_co_ci_u32_e32 v3, vcc_lo, s5, v1, vcc_lo
	s_waitcnt vmcnt(0)
	s_clause 0x1
	scratch_store_b128 off, v[4:7], off offset:16
	scratch_store_b64 off, v[2:3], off offset:216
	global_load_b128 v[0:3], v[2:3], off
	s_waitcnt vmcnt(0)
	scratch_store_b128 off, v[0:3], off     ; 16-byte Folded Spill
	s_clause 0x6
	global_load_b128 v[36:39], v[215:216], off
	global_load_b128 v[32:35], v[217:218], off
	;; [unrolled: 1-line block ×7, first 2 shown]
	scratch_store_b64 off, v[168:169], off offset:512 ; 8-byte Folded Spill
	s_clause 0x2
	global_load_b128 v[8:11], v[168:169], off
	global_load_b128 v[4:7], v[205:206], off
	;; [unrolled: 1-line block ×3, first 2 shown]
	s_and_saveexec_b32 s5, s2
	s_cbranch_execz .LBB87_8
; %bb.2:
	scratch_load_b128 v[176:179], off, off offset:16 ; 16-byte Folded Reload
	s_waitcnt vmcnt(0)
	ds_store_2addr_b64 v195, v[176:177], v[178:179] offset1:1
	scratch_load_b128 v[176:179], off, off  ; 16-byte Folded Reload
	s_waitcnt vmcnt(0)
	ds_store_2addr_b64 v196, v[176:177], v[178:179] offset0:2 offset1:3
	ds_store_2addr_b64 v196, v[164:165], v[166:167] offset0:4 offset1:5
	;; [unrolled: 1-line block ×43, first 2 shown]
	ds_load_2addr_b64 v[176:179], v195 offset1:1
	s_waitcnt lgkmcnt(0)
	v_cmp_neq_f64_e32 vcc_lo, 0, v[176:177]
	v_cmp_neq_f64_e64 s4, 0, v[178:179]
	s_delay_alu instid0(VALU_DEP_1) | instskip(NEXT) | instid1(SALU_CYCLE_1)
	s_or_b32 s4, vcc_lo, s4
	s_and_b32 exec_lo, exec_lo, s4
	s_cbranch_execz .LBB87_8
; %bb.3:
	v_cmp_gt_f64_e32 vcc_lo, 0, v[176:177]
	v_cmp_gt_f64_e64 s4, 0, v[178:179]
	v_xor_b32_e32 v180, 0x80000000, v177
	v_xor_b32_e32 v182, 0x80000000, v179
                                        ; implicit-def: $vgpr184_vgpr185
	s_delay_alu instid0(VALU_DEP_2) | instskip(NEXT) | instid1(VALU_DEP_2)
	v_cndmask_b32_e32 v181, v177, v180, vcc_lo
	v_cndmask_b32_e64 v183, v179, v182, s4
	v_cndmask_b32_e32 v180, v176, v176, vcc_lo
	v_cndmask_b32_e64 v182, v178, v178, s4
	s_mov_b32 s4, exec_lo
	s_delay_alu instid0(VALU_DEP_1)
	v_cmpx_ngt_f64_e32 v[180:181], v[182:183]
	s_xor_b32 s4, exec_lo, s4
                                        ; implicit-def: $vgpr180_vgpr181_vgpr182_vgpr183
	s_cbranch_execz .LBB87_5
; %bb.4:
	v_div_scale_f64 v[180:181], null, v[178:179], v[178:179], v[176:177]
	v_div_scale_f64 v[186:187], vcc_lo, v[176:177], v[178:179], v[176:177]
	s_delay_alu instid0(VALU_DEP_2) | instskip(SKIP_2) | instid1(VALU_DEP_1)
	v_rcp_f64_e32 v[182:183], v[180:181]
	s_waitcnt_depctr 0xfff
	v_fma_f64 v[184:185], -v[180:181], v[182:183], 1.0
	v_fma_f64 v[182:183], v[182:183], v[184:185], v[182:183]
	s_delay_alu instid0(VALU_DEP_1) | instskip(NEXT) | instid1(VALU_DEP_1)
	v_fma_f64 v[184:185], -v[180:181], v[182:183], 1.0
	v_fma_f64 v[182:183], v[182:183], v[184:185], v[182:183]
	s_delay_alu instid0(VALU_DEP_1) | instskip(NEXT) | instid1(VALU_DEP_1)
	v_mul_f64 v[184:185], v[186:187], v[182:183]
	v_fma_f64 v[180:181], -v[180:181], v[184:185], v[186:187]
	s_delay_alu instid0(VALU_DEP_1) | instskip(NEXT) | instid1(VALU_DEP_1)
	v_div_fmas_f64 v[180:181], v[180:181], v[182:183], v[184:185]
	v_div_fixup_f64 v[180:181], v[180:181], v[178:179], v[176:177]
	s_delay_alu instid0(VALU_DEP_1) | instskip(NEXT) | instid1(VALU_DEP_1)
	v_fma_f64 v[176:177], v[176:177], v[180:181], v[178:179]
	v_div_scale_f64 v[178:179], null, v[176:177], v[176:177], 1.0
	s_delay_alu instid0(VALU_DEP_1) | instskip(SKIP_2) | instid1(VALU_DEP_1)
	v_rcp_f64_e32 v[182:183], v[178:179]
	s_waitcnt_depctr 0xfff
	v_fma_f64 v[184:185], -v[178:179], v[182:183], 1.0
	v_fma_f64 v[182:183], v[182:183], v[184:185], v[182:183]
	s_delay_alu instid0(VALU_DEP_1) | instskip(NEXT) | instid1(VALU_DEP_1)
	v_fma_f64 v[184:185], -v[178:179], v[182:183], 1.0
	v_fma_f64 v[182:183], v[182:183], v[184:185], v[182:183]
	v_div_scale_f64 v[184:185], vcc_lo, 1.0, v[176:177], 1.0
	s_delay_alu instid0(VALU_DEP_1) | instskip(NEXT) | instid1(VALU_DEP_1)
	v_mul_f64 v[186:187], v[184:185], v[182:183]
	v_fma_f64 v[178:179], -v[178:179], v[186:187], v[184:185]
	s_delay_alu instid0(VALU_DEP_1) | instskip(NEXT) | instid1(VALU_DEP_1)
	v_div_fmas_f64 v[178:179], v[178:179], v[182:183], v[186:187]
	v_div_fixup_f64 v[182:183], v[178:179], v[176:177], 1.0
                                        ; implicit-def: $vgpr176_vgpr177
	s_delay_alu instid0(VALU_DEP_1)
	v_mul_f64 v[184:185], v[180:181], v[182:183]
	v_xor_b32_e32 v183, 0x80000000, v183
.LBB87_5:
	s_and_not1_saveexec_b32 s4, s4
	s_cbranch_execz .LBB87_7
; %bb.6:
	v_div_scale_f64 v[180:181], null, v[176:177], v[176:177], v[178:179]
	v_div_scale_f64 v[186:187], vcc_lo, v[178:179], v[176:177], v[178:179]
	s_delay_alu instid0(VALU_DEP_2) | instskip(SKIP_2) | instid1(VALU_DEP_1)
	v_rcp_f64_e32 v[182:183], v[180:181]
	s_waitcnt_depctr 0xfff
	v_fma_f64 v[184:185], -v[180:181], v[182:183], 1.0
	v_fma_f64 v[182:183], v[182:183], v[184:185], v[182:183]
	s_delay_alu instid0(VALU_DEP_1) | instskip(NEXT) | instid1(VALU_DEP_1)
	v_fma_f64 v[184:185], -v[180:181], v[182:183], 1.0
	v_fma_f64 v[182:183], v[182:183], v[184:185], v[182:183]
	s_delay_alu instid0(VALU_DEP_1) | instskip(NEXT) | instid1(VALU_DEP_1)
	v_mul_f64 v[184:185], v[186:187], v[182:183]
	v_fma_f64 v[180:181], -v[180:181], v[184:185], v[186:187]
	s_delay_alu instid0(VALU_DEP_1) | instskip(NEXT) | instid1(VALU_DEP_1)
	v_div_fmas_f64 v[180:181], v[180:181], v[182:183], v[184:185]
	v_div_fixup_f64 v[180:181], v[180:181], v[176:177], v[178:179]
	s_delay_alu instid0(VALU_DEP_1) | instskip(NEXT) | instid1(VALU_DEP_1)
	v_fma_f64 v[176:177], v[178:179], v[180:181], v[176:177]
	v_div_scale_f64 v[178:179], null, v[176:177], v[176:177], 1.0
	s_delay_alu instid0(VALU_DEP_1) | instskip(SKIP_2) | instid1(VALU_DEP_1)
	v_rcp_f64_e32 v[182:183], v[178:179]
	s_waitcnt_depctr 0xfff
	v_fma_f64 v[184:185], -v[178:179], v[182:183], 1.0
	v_fma_f64 v[182:183], v[182:183], v[184:185], v[182:183]
	s_delay_alu instid0(VALU_DEP_1) | instskip(NEXT) | instid1(VALU_DEP_1)
	v_fma_f64 v[184:185], -v[178:179], v[182:183], 1.0
	v_fma_f64 v[182:183], v[182:183], v[184:185], v[182:183]
	v_div_scale_f64 v[184:185], vcc_lo, 1.0, v[176:177], 1.0
	s_delay_alu instid0(VALU_DEP_1) | instskip(NEXT) | instid1(VALU_DEP_1)
	v_mul_f64 v[186:187], v[184:185], v[182:183]
	v_fma_f64 v[178:179], -v[178:179], v[186:187], v[184:185]
	s_delay_alu instid0(VALU_DEP_1) | instskip(NEXT) | instid1(VALU_DEP_1)
	v_div_fmas_f64 v[178:179], v[178:179], v[182:183], v[186:187]
	v_div_fixup_f64 v[184:185], v[178:179], v[176:177], 1.0
	s_delay_alu instid0(VALU_DEP_1)
	v_mul_f64 v[182:183], v[180:181], -v[184:185]
.LBB87_7:
	s_or_b32 exec_lo, exec_lo, s4
	ds_store_2addr_b64 v195, v[184:185], v[182:183] offset1:1
.LBB87_8:
	s_or_b32 exec_lo, exec_lo, s5
	s_waitcnt vmcnt(0) lgkmcnt(0)
	s_waitcnt_vscnt null, 0x0
	s_barrier
	buffer_gl0_inv
	ds_load_2addr_b64 v[176:179], v195 offset1:1
	s_waitcnt lgkmcnt(0)
	scratch_store_b128 off, v[176:179], off offset:224 ; 16-byte Folded Spill
	s_and_saveexec_b32 s4, s3
	s_cbranch_execz .LBB87_10
; %bb.9:
	s_clause 0x1
	scratch_load_b128 v[182:185], off, off offset:16
	scratch_load_b128 v[178:181], off, off offset:224
	v_dual_mov_b32 v168, v174 :: v_dual_mov_b32 v169, v175
	s_waitcnt vmcnt(0)
	v_mul_f64 v[174:175], v[178:179], v[184:185]
	v_mul_f64 v[176:177], v[180:181], v[184:185]
	s_delay_alu instid0(VALU_DEP_2) | instskip(NEXT) | instid1(VALU_DEP_2)
	v_fma_f64 v[184:185], v[180:181], v[182:183], v[174:175]
	v_fma_f64 v[176:177], v[178:179], v[182:183], -v[176:177]
	ds_load_2addr_b64 v[178:181], v196 offset0:2 offset1:3
	v_dual_mov_b32 v175, v169 :: v_dual_mov_b32 v174, v168
	s_waitcnt lgkmcnt(0)
	v_mul_f64 v[172:173], v[180:181], v[184:185]
	s_delay_alu instid0(VALU_DEP_1) | instskip(SKIP_1) | instid1(VALU_DEP_1)
	v_fma_f64 v[172:173], v[178:179], v[176:177], -v[172:173]
	v_mul_f64 v[178:179], v[178:179], v[184:185]
	v_fma_f64 v[178:179], v[180:181], v[176:177], v[178:179]
	scratch_load_b128 v[180:183], off, off  ; 16-byte Folded Reload
	s_waitcnt vmcnt(0)
	v_add_f64 v[180:181], v[180:181], -v[172:173]
	v_add_f64 v[182:183], v[182:183], -v[178:179]
	scratch_store_b128 off, v[180:183], off ; 16-byte Folded Spill
	ds_load_2addr_b64 v[178:181], v196 offset0:4 offset1:5
	v_dual_mov_b32 v183, v177 :: v_dual_mov_b32 v182, v176
	scratch_store_b128 off, v[182:185], off offset:16 ; 16-byte Folded Spill
	s_waitcnt lgkmcnt(0)
	v_mul_f64 v[172:173], v[180:181], v[184:185]
	s_delay_alu instid0(VALU_DEP_1) | instskip(SKIP_1) | instid1(VALU_DEP_2)
	v_fma_f64 v[172:173], v[178:179], v[176:177], -v[172:173]
	v_mul_f64 v[178:179], v[178:179], v[184:185]
	v_add_f64 v[164:165], v[164:165], -v[172:173]
	s_delay_alu instid0(VALU_DEP_2) | instskip(NEXT) | instid1(VALU_DEP_1)
	v_fma_f64 v[178:179], v[180:181], v[176:177], v[178:179]
	v_add_f64 v[166:167], v[166:167], -v[178:179]
	ds_load_2addr_b64 v[178:181], v196 offset0:6 offset1:7
	s_waitcnt lgkmcnt(0)
	v_mul_f64 v[172:173], v[180:181], v[184:185]
	s_delay_alu instid0(VALU_DEP_1) | instskip(SKIP_1) | instid1(VALU_DEP_2)
	v_fma_f64 v[172:173], v[178:179], v[176:177], -v[172:173]
	v_mul_f64 v[178:179], v[178:179], v[184:185]
	v_add_f64 v[160:161], v[160:161], -v[172:173]
	s_delay_alu instid0(VALU_DEP_2) | instskip(NEXT) | instid1(VALU_DEP_1)
	v_fma_f64 v[178:179], v[180:181], v[176:177], v[178:179]
	v_add_f64 v[162:163], v[162:163], -v[178:179]
	ds_load_2addr_b64 v[178:181], v196 offset0:8 offset1:9
	s_waitcnt lgkmcnt(0)
	v_mul_f64 v[172:173], v[180:181], v[184:185]
	s_delay_alu instid0(VALU_DEP_1) | instskip(SKIP_1) | instid1(VALU_DEP_2)
	v_fma_f64 v[172:173], v[178:179], v[176:177], -v[172:173]
	v_mul_f64 v[178:179], v[178:179], v[184:185]
	v_add_f64 v[156:157], v[156:157], -v[172:173]
	s_delay_alu instid0(VALU_DEP_2) | instskip(NEXT) | instid1(VALU_DEP_1)
	v_fma_f64 v[178:179], v[180:181], v[176:177], v[178:179]
	v_add_f64 v[158:159], v[158:159], -v[178:179]
	ds_load_2addr_b64 v[178:181], v196 offset0:10 offset1:11
	s_waitcnt lgkmcnt(0)
	v_mul_f64 v[172:173], v[180:181], v[184:185]
	s_delay_alu instid0(VALU_DEP_1) | instskip(SKIP_1) | instid1(VALU_DEP_2)
	v_fma_f64 v[172:173], v[178:179], v[176:177], -v[172:173]
	v_mul_f64 v[178:179], v[178:179], v[184:185]
	v_add_f64 v[152:153], v[152:153], -v[172:173]
	s_delay_alu instid0(VALU_DEP_2) | instskip(NEXT) | instid1(VALU_DEP_1)
	v_fma_f64 v[178:179], v[180:181], v[176:177], v[178:179]
	v_add_f64 v[154:155], v[154:155], -v[178:179]
	ds_load_2addr_b64 v[178:181], v196 offset0:12 offset1:13
	s_waitcnt lgkmcnt(0)
	v_mul_f64 v[172:173], v[180:181], v[184:185]
	s_delay_alu instid0(VALU_DEP_1) | instskip(SKIP_1) | instid1(VALU_DEP_2)
	v_fma_f64 v[172:173], v[178:179], v[176:177], -v[172:173]
	v_mul_f64 v[178:179], v[178:179], v[184:185]
	v_add_f64 v[148:149], v[148:149], -v[172:173]
	s_delay_alu instid0(VALU_DEP_2) | instskip(NEXT) | instid1(VALU_DEP_1)
	v_fma_f64 v[178:179], v[180:181], v[176:177], v[178:179]
	v_add_f64 v[150:151], v[150:151], -v[178:179]
	ds_load_2addr_b64 v[178:181], v196 offset0:14 offset1:15
	s_waitcnt lgkmcnt(0)
	v_mul_f64 v[172:173], v[180:181], v[184:185]
	s_delay_alu instid0(VALU_DEP_1) | instskip(SKIP_1) | instid1(VALU_DEP_2)
	v_fma_f64 v[172:173], v[178:179], v[176:177], -v[172:173]
	v_mul_f64 v[178:179], v[178:179], v[184:185]
	v_add_f64 v[144:145], v[144:145], -v[172:173]
	s_delay_alu instid0(VALU_DEP_2) | instskip(NEXT) | instid1(VALU_DEP_1)
	v_fma_f64 v[178:179], v[180:181], v[176:177], v[178:179]
	v_add_f64 v[146:147], v[146:147], -v[178:179]
	ds_load_2addr_b64 v[178:181], v196 offset0:16 offset1:17
	s_waitcnt lgkmcnt(0)
	v_mul_f64 v[172:173], v[180:181], v[184:185]
	s_delay_alu instid0(VALU_DEP_1) | instskip(SKIP_1) | instid1(VALU_DEP_2)
	v_fma_f64 v[172:173], v[178:179], v[176:177], -v[172:173]
	v_mul_f64 v[178:179], v[178:179], v[184:185]
	v_add_f64 v[140:141], v[140:141], -v[172:173]
	s_delay_alu instid0(VALU_DEP_2) | instskip(NEXT) | instid1(VALU_DEP_1)
	v_fma_f64 v[178:179], v[180:181], v[176:177], v[178:179]
	v_add_f64 v[142:143], v[142:143], -v[178:179]
	ds_load_2addr_b64 v[178:181], v196 offset0:18 offset1:19
	s_waitcnt lgkmcnt(0)
	v_mul_f64 v[172:173], v[180:181], v[184:185]
	s_delay_alu instid0(VALU_DEP_1) | instskip(SKIP_1) | instid1(VALU_DEP_2)
	v_fma_f64 v[172:173], v[178:179], v[176:177], -v[172:173]
	v_mul_f64 v[178:179], v[178:179], v[184:185]
	v_add_f64 v[136:137], v[136:137], -v[172:173]
	s_delay_alu instid0(VALU_DEP_2) | instskip(NEXT) | instid1(VALU_DEP_1)
	v_fma_f64 v[178:179], v[180:181], v[176:177], v[178:179]
	v_add_f64 v[138:139], v[138:139], -v[178:179]
	ds_load_2addr_b64 v[178:181], v196 offset0:20 offset1:21
	s_waitcnt lgkmcnt(0)
	v_mul_f64 v[172:173], v[180:181], v[184:185]
	s_delay_alu instid0(VALU_DEP_1) | instskip(SKIP_1) | instid1(VALU_DEP_2)
	v_fma_f64 v[172:173], v[178:179], v[176:177], -v[172:173]
	v_mul_f64 v[178:179], v[178:179], v[184:185]
	v_add_f64 v[132:133], v[132:133], -v[172:173]
	s_delay_alu instid0(VALU_DEP_2) | instskip(NEXT) | instid1(VALU_DEP_1)
	v_fma_f64 v[178:179], v[180:181], v[176:177], v[178:179]
	v_add_f64 v[134:135], v[134:135], -v[178:179]
	ds_load_2addr_b64 v[178:181], v196 offset0:22 offset1:23
	s_waitcnt lgkmcnt(0)
	v_mul_f64 v[172:173], v[180:181], v[184:185]
	s_delay_alu instid0(VALU_DEP_1) | instskip(SKIP_1) | instid1(VALU_DEP_2)
	v_fma_f64 v[172:173], v[178:179], v[176:177], -v[172:173]
	v_mul_f64 v[178:179], v[178:179], v[184:185]
	v_add_f64 v[128:129], v[128:129], -v[172:173]
	s_delay_alu instid0(VALU_DEP_2) | instskip(NEXT) | instid1(VALU_DEP_1)
	v_fma_f64 v[178:179], v[180:181], v[176:177], v[178:179]
	v_add_f64 v[130:131], v[130:131], -v[178:179]
	ds_load_2addr_b64 v[178:181], v196 offset0:24 offset1:25
	s_waitcnt lgkmcnt(0)
	v_mul_f64 v[172:173], v[180:181], v[184:185]
	s_delay_alu instid0(VALU_DEP_1) | instskip(SKIP_1) | instid1(VALU_DEP_2)
	v_fma_f64 v[172:173], v[178:179], v[176:177], -v[172:173]
	v_mul_f64 v[178:179], v[178:179], v[184:185]
	v_add_f64 v[124:125], v[124:125], -v[172:173]
	s_delay_alu instid0(VALU_DEP_2) | instskip(NEXT) | instid1(VALU_DEP_1)
	v_fma_f64 v[178:179], v[180:181], v[176:177], v[178:179]
	v_add_f64 v[126:127], v[126:127], -v[178:179]
	ds_load_2addr_b64 v[178:181], v196 offset0:26 offset1:27
	s_waitcnt lgkmcnt(0)
	v_mul_f64 v[172:173], v[180:181], v[184:185]
	s_delay_alu instid0(VALU_DEP_1) | instskip(SKIP_1) | instid1(VALU_DEP_2)
	v_fma_f64 v[172:173], v[178:179], v[176:177], -v[172:173]
	v_mul_f64 v[178:179], v[178:179], v[184:185]
	v_add_f64 v[120:121], v[120:121], -v[172:173]
	s_delay_alu instid0(VALU_DEP_2) | instskip(NEXT) | instid1(VALU_DEP_1)
	v_fma_f64 v[178:179], v[180:181], v[176:177], v[178:179]
	v_add_f64 v[122:123], v[122:123], -v[178:179]
	ds_load_2addr_b64 v[178:181], v196 offset0:28 offset1:29
	s_waitcnt lgkmcnt(0)
	v_mul_f64 v[172:173], v[180:181], v[184:185]
	s_delay_alu instid0(VALU_DEP_1) | instskip(SKIP_1) | instid1(VALU_DEP_2)
	v_fma_f64 v[172:173], v[178:179], v[176:177], -v[172:173]
	v_mul_f64 v[178:179], v[178:179], v[184:185]
	v_add_f64 v[116:117], v[116:117], -v[172:173]
	s_delay_alu instid0(VALU_DEP_2) | instskip(NEXT) | instid1(VALU_DEP_1)
	v_fma_f64 v[178:179], v[180:181], v[176:177], v[178:179]
	v_add_f64 v[118:119], v[118:119], -v[178:179]
	ds_load_2addr_b64 v[178:181], v196 offset0:30 offset1:31
	s_waitcnt lgkmcnt(0)
	v_mul_f64 v[172:173], v[180:181], v[184:185]
	s_delay_alu instid0(VALU_DEP_1) | instskip(SKIP_1) | instid1(VALU_DEP_2)
	v_fma_f64 v[172:173], v[178:179], v[176:177], -v[172:173]
	v_mul_f64 v[178:179], v[178:179], v[184:185]
	v_add_f64 v[112:113], v[112:113], -v[172:173]
	s_delay_alu instid0(VALU_DEP_2) | instskip(NEXT) | instid1(VALU_DEP_1)
	v_fma_f64 v[178:179], v[180:181], v[176:177], v[178:179]
	v_add_f64 v[114:115], v[114:115], -v[178:179]
	ds_load_2addr_b64 v[178:181], v196 offset0:32 offset1:33
	s_waitcnt lgkmcnt(0)
	v_mul_f64 v[172:173], v[180:181], v[184:185]
	s_delay_alu instid0(VALU_DEP_1) | instskip(SKIP_1) | instid1(VALU_DEP_2)
	v_fma_f64 v[172:173], v[178:179], v[176:177], -v[172:173]
	v_mul_f64 v[178:179], v[178:179], v[184:185]
	v_add_f64 v[108:109], v[108:109], -v[172:173]
	s_delay_alu instid0(VALU_DEP_2) | instskip(NEXT) | instid1(VALU_DEP_1)
	v_fma_f64 v[178:179], v[180:181], v[176:177], v[178:179]
	v_add_f64 v[110:111], v[110:111], -v[178:179]
	ds_load_2addr_b64 v[178:181], v196 offset0:34 offset1:35
	s_waitcnt lgkmcnt(0)
	v_mul_f64 v[172:173], v[180:181], v[184:185]
	s_delay_alu instid0(VALU_DEP_1) | instskip(SKIP_1) | instid1(VALU_DEP_2)
	v_fma_f64 v[172:173], v[178:179], v[176:177], -v[172:173]
	v_mul_f64 v[178:179], v[178:179], v[184:185]
	v_add_f64 v[104:105], v[104:105], -v[172:173]
	s_delay_alu instid0(VALU_DEP_2) | instskip(NEXT) | instid1(VALU_DEP_1)
	v_fma_f64 v[178:179], v[180:181], v[176:177], v[178:179]
	v_add_f64 v[106:107], v[106:107], -v[178:179]
	ds_load_2addr_b64 v[178:181], v196 offset0:36 offset1:37
	s_waitcnt lgkmcnt(0)
	v_mul_f64 v[172:173], v[180:181], v[184:185]
	s_delay_alu instid0(VALU_DEP_1) | instskip(SKIP_1) | instid1(VALU_DEP_2)
	v_fma_f64 v[172:173], v[178:179], v[176:177], -v[172:173]
	v_mul_f64 v[178:179], v[178:179], v[184:185]
	v_add_f64 v[100:101], v[100:101], -v[172:173]
	s_delay_alu instid0(VALU_DEP_2) | instskip(NEXT) | instid1(VALU_DEP_1)
	v_fma_f64 v[178:179], v[180:181], v[176:177], v[178:179]
	v_add_f64 v[102:103], v[102:103], -v[178:179]
	ds_load_2addr_b64 v[178:181], v196 offset0:38 offset1:39
	s_waitcnt lgkmcnt(0)
	v_mul_f64 v[172:173], v[180:181], v[184:185]
	s_delay_alu instid0(VALU_DEP_1) | instskip(SKIP_1) | instid1(VALU_DEP_2)
	v_fma_f64 v[172:173], v[178:179], v[176:177], -v[172:173]
	v_mul_f64 v[178:179], v[178:179], v[184:185]
	v_add_f64 v[96:97], v[96:97], -v[172:173]
	s_delay_alu instid0(VALU_DEP_2) | instskip(NEXT) | instid1(VALU_DEP_1)
	v_fma_f64 v[178:179], v[180:181], v[176:177], v[178:179]
	v_add_f64 v[98:99], v[98:99], -v[178:179]
	ds_load_2addr_b64 v[178:181], v196 offset0:40 offset1:41
	s_waitcnt lgkmcnt(0)
	v_mul_f64 v[172:173], v[180:181], v[184:185]
	s_delay_alu instid0(VALU_DEP_1) | instskip(SKIP_1) | instid1(VALU_DEP_2)
	v_fma_f64 v[172:173], v[178:179], v[176:177], -v[172:173]
	v_mul_f64 v[178:179], v[178:179], v[184:185]
	v_add_f64 v[92:93], v[92:93], -v[172:173]
	s_delay_alu instid0(VALU_DEP_2) | instskip(NEXT) | instid1(VALU_DEP_1)
	v_fma_f64 v[178:179], v[180:181], v[176:177], v[178:179]
	v_add_f64 v[94:95], v[94:95], -v[178:179]
	ds_load_2addr_b64 v[178:181], v196 offset0:42 offset1:43
	s_waitcnt lgkmcnt(0)
	v_mul_f64 v[172:173], v[180:181], v[184:185]
	s_delay_alu instid0(VALU_DEP_1) | instskip(SKIP_1) | instid1(VALU_DEP_2)
	v_fma_f64 v[172:173], v[178:179], v[176:177], -v[172:173]
	v_mul_f64 v[178:179], v[178:179], v[184:185]
	v_add_f64 v[88:89], v[88:89], -v[172:173]
	s_delay_alu instid0(VALU_DEP_2) | instskip(NEXT) | instid1(VALU_DEP_1)
	v_fma_f64 v[178:179], v[180:181], v[176:177], v[178:179]
	v_add_f64 v[90:91], v[90:91], -v[178:179]
	ds_load_2addr_b64 v[178:181], v196 offset0:44 offset1:45
	s_waitcnt lgkmcnt(0)
	v_mul_f64 v[172:173], v[180:181], v[184:185]
	s_delay_alu instid0(VALU_DEP_1) | instskip(SKIP_1) | instid1(VALU_DEP_2)
	v_fma_f64 v[172:173], v[178:179], v[176:177], -v[172:173]
	v_mul_f64 v[178:179], v[178:179], v[184:185]
	v_add_f64 v[84:85], v[84:85], -v[172:173]
	s_delay_alu instid0(VALU_DEP_2) | instskip(NEXT) | instid1(VALU_DEP_1)
	v_fma_f64 v[178:179], v[180:181], v[176:177], v[178:179]
	v_add_f64 v[86:87], v[86:87], -v[178:179]
	ds_load_2addr_b64 v[178:181], v196 offset0:46 offset1:47
	s_waitcnt lgkmcnt(0)
	v_mul_f64 v[172:173], v[180:181], v[184:185]
	s_delay_alu instid0(VALU_DEP_1) | instskip(SKIP_1) | instid1(VALU_DEP_2)
	v_fma_f64 v[172:173], v[178:179], v[176:177], -v[172:173]
	v_mul_f64 v[178:179], v[178:179], v[184:185]
	v_add_f64 v[80:81], v[80:81], -v[172:173]
	s_delay_alu instid0(VALU_DEP_2) | instskip(NEXT) | instid1(VALU_DEP_1)
	v_fma_f64 v[178:179], v[180:181], v[176:177], v[178:179]
	v_add_f64 v[82:83], v[82:83], -v[178:179]
	ds_load_2addr_b64 v[178:181], v196 offset0:48 offset1:49
	s_waitcnt lgkmcnt(0)
	v_mul_f64 v[172:173], v[180:181], v[184:185]
	s_delay_alu instid0(VALU_DEP_1) | instskip(SKIP_1) | instid1(VALU_DEP_2)
	v_fma_f64 v[172:173], v[178:179], v[176:177], -v[172:173]
	v_mul_f64 v[178:179], v[178:179], v[184:185]
	v_add_f64 v[76:77], v[76:77], -v[172:173]
	s_delay_alu instid0(VALU_DEP_2) | instskip(NEXT) | instid1(VALU_DEP_1)
	v_fma_f64 v[178:179], v[180:181], v[176:177], v[178:179]
	v_add_f64 v[78:79], v[78:79], -v[178:179]
	ds_load_2addr_b64 v[178:181], v196 offset0:50 offset1:51
	s_waitcnt lgkmcnt(0)
	v_mul_f64 v[172:173], v[180:181], v[184:185]
	s_delay_alu instid0(VALU_DEP_1) | instskip(SKIP_1) | instid1(VALU_DEP_2)
	v_fma_f64 v[172:173], v[178:179], v[176:177], -v[172:173]
	v_mul_f64 v[178:179], v[178:179], v[184:185]
	v_add_f64 v[72:73], v[72:73], -v[172:173]
	s_delay_alu instid0(VALU_DEP_2) | instskip(NEXT) | instid1(VALU_DEP_1)
	v_fma_f64 v[178:179], v[180:181], v[176:177], v[178:179]
	v_add_f64 v[74:75], v[74:75], -v[178:179]
	ds_load_2addr_b64 v[178:181], v196 offset0:52 offset1:53
	s_waitcnt lgkmcnt(0)
	v_mul_f64 v[172:173], v[180:181], v[184:185]
	s_delay_alu instid0(VALU_DEP_1) | instskip(SKIP_1) | instid1(VALU_DEP_2)
	v_fma_f64 v[172:173], v[178:179], v[176:177], -v[172:173]
	v_mul_f64 v[178:179], v[178:179], v[184:185]
	v_add_f64 v[68:69], v[68:69], -v[172:173]
	s_delay_alu instid0(VALU_DEP_2) | instskip(NEXT) | instid1(VALU_DEP_1)
	v_fma_f64 v[178:179], v[180:181], v[176:177], v[178:179]
	v_add_f64 v[70:71], v[70:71], -v[178:179]
	ds_load_2addr_b64 v[178:181], v196 offset0:54 offset1:55
	s_waitcnt lgkmcnt(0)
	v_mul_f64 v[172:173], v[180:181], v[184:185]
	s_delay_alu instid0(VALU_DEP_1) | instskip(SKIP_1) | instid1(VALU_DEP_2)
	v_fma_f64 v[172:173], v[178:179], v[176:177], -v[172:173]
	v_mul_f64 v[178:179], v[178:179], v[184:185]
	v_add_f64 v[64:65], v[64:65], -v[172:173]
	s_delay_alu instid0(VALU_DEP_2) | instskip(NEXT) | instid1(VALU_DEP_1)
	v_fma_f64 v[178:179], v[180:181], v[176:177], v[178:179]
	v_add_f64 v[66:67], v[66:67], -v[178:179]
	ds_load_2addr_b64 v[178:181], v196 offset0:56 offset1:57
	s_waitcnt lgkmcnt(0)
	v_mul_f64 v[172:173], v[180:181], v[184:185]
	s_delay_alu instid0(VALU_DEP_1) | instskip(SKIP_1) | instid1(VALU_DEP_2)
	v_fma_f64 v[172:173], v[178:179], v[176:177], -v[172:173]
	v_mul_f64 v[178:179], v[178:179], v[184:185]
	v_add_f64 v[60:61], v[60:61], -v[172:173]
	s_delay_alu instid0(VALU_DEP_2) | instskip(NEXT) | instid1(VALU_DEP_1)
	v_fma_f64 v[178:179], v[180:181], v[176:177], v[178:179]
	v_add_f64 v[62:63], v[62:63], -v[178:179]
	ds_load_2addr_b64 v[178:181], v196 offset0:58 offset1:59
	s_waitcnt lgkmcnt(0)
	v_mul_f64 v[172:173], v[180:181], v[184:185]
	s_delay_alu instid0(VALU_DEP_1) | instskip(SKIP_1) | instid1(VALU_DEP_2)
	v_fma_f64 v[172:173], v[178:179], v[176:177], -v[172:173]
	v_mul_f64 v[178:179], v[178:179], v[184:185]
	v_add_f64 v[56:57], v[56:57], -v[172:173]
	s_delay_alu instid0(VALU_DEP_2) | instskip(NEXT) | instid1(VALU_DEP_1)
	v_fma_f64 v[178:179], v[180:181], v[176:177], v[178:179]
	v_add_f64 v[58:59], v[58:59], -v[178:179]
	ds_load_2addr_b64 v[178:181], v196 offset0:60 offset1:61
	s_waitcnt lgkmcnt(0)
	v_mul_f64 v[172:173], v[180:181], v[184:185]
	s_delay_alu instid0(VALU_DEP_1) | instskip(SKIP_1) | instid1(VALU_DEP_2)
	v_fma_f64 v[172:173], v[178:179], v[176:177], -v[172:173]
	v_mul_f64 v[178:179], v[178:179], v[184:185]
	v_add_f64 v[52:53], v[52:53], -v[172:173]
	s_delay_alu instid0(VALU_DEP_2) | instskip(NEXT) | instid1(VALU_DEP_1)
	v_fma_f64 v[178:179], v[180:181], v[176:177], v[178:179]
	v_add_f64 v[54:55], v[54:55], -v[178:179]
	ds_load_2addr_b64 v[178:181], v196 offset0:62 offset1:63
	s_waitcnt lgkmcnt(0)
	v_mul_f64 v[172:173], v[180:181], v[184:185]
	s_delay_alu instid0(VALU_DEP_1) | instskip(SKIP_1) | instid1(VALU_DEP_2)
	v_fma_f64 v[172:173], v[178:179], v[176:177], -v[172:173]
	v_mul_f64 v[178:179], v[178:179], v[184:185]
	v_add_f64 v[48:49], v[48:49], -v[172:173]
	s_delay_alu instid0(VALU_DEP_2) | instskip(NEXT) | instid1(VALU_DEP_1)
	v_fma_f64 v[178:179], v[180:181], v[176:177], v[178:179]
	v_add_f64 v[50:51], v[50:51], -v[178:179]
	ds_load_2addr_b64 v[178:181], v196 offset0:64 offset1:65
	s_waitcnt lgkmcnt(0)
	v_mul_f64 v[172:173], v[180:181], v[184:185]
	s_delay_alu instid0(VALU_DEP_1) | instskip(SKIP_1) | instid1(VALU_DEP_2)
	v_fma_f64 v[172:173], v[178:179], v[176:177], -v[172:173]
	v_mul_f64 v[178:179], v[178:179], v[184:185]
	v_add_f64 v[44:45], v[44:45], -v[172:173]
	s_delay_alu instid0(VALU_DEP_2) | instskip(NEXT) | instid1(VALU_DEP_1)
	v_fma_f64 v[178:179], v[180:181], v[176:177], v[178:179]
	v_add_f64 v[46:47], v[46:47], -v[178:179]
	ds_load_2addr_b64 v[178:181], v196 offset0:66 offset1:67
	s_waitcnt lgkmcnt(0)
	v_mul_f64 v[172:173], v[180:181], v[184:185]
	s_delay_alu instid0(VALU_DEP_1) | instskip(SKIP_1) | instid1(VALU_DEP_2)
	v_fma_f64 v[172:173], v[178:179], v[176:177], -v[172:173]
	v_mul_f64 v[178:179], v[178:179], v[184:185]
	v_add_f64 v[40:41], v[40:41], -v[172:173]
	s_delay_alu instid0(VALU_DEP_2) | instskip(NEXT) | instid1(VALU_DEP_1)
	v_fma_f64 v[178:179], v[180:181], v[176:177], v[178:179]
	v_add_f64 v[42:43], v[42:43], -v[178:179]
	ds_load_2addr_b64 v[178:181], v196 offset0:68 offset1:69
	s_waitcnt lgkmcnt(0)
	v_mul_f64 v[172:173], v[180:181], v[184:185]
	s_delay_alu instid0(VALU_DEP_1) | instskip(SKIP_1) | instid1(VALU_DEP_2)
	v_fma_f64 v[172:173], v[178:179], v[176:177], -v[172:173]
	v_mul_f64 v[178:179], v[178:179], v[184:185]
	v_add_f64 v[36:37], v[36:37], -v[172:173]
	s_delay_alu instid0(VALU_DEP_2) | instskip(NEXT) | instid1(VALU_DEP_1)
	v_fma_f64 v[178:179], v[180:181], v[176:177], v[178:179]
	v_add_f64 v[38:39], v[38:39], -v[178:179]
	ds_load_2addr_b64 v[178:181], v196 offset0:70 offset1:71
	s_waitcnt lgkmcnt(0)
	v_mul_f64 v[172:173], v[180:181], v[184:185]
	s_delay_alu instid0(VALU_DEP_1) | instskip(SKIP_1) | instid1(VALU_DEP_2)
	v_fma_f64 v[172:173], v[178:179], v[176:177], -v[172:173]
	v_mul_f64 v[178:179], v[178:179], v[184:185]
	v_add_f64 v[32:33], v[32:33], -v[172:173]
	s_delay_alu instid0(VALU_DEP_2) | instskip(NEXT) | instid1(VALU_DEP_1)
	v_fma_f64 v[178:179], v[180:181], v[176:177], v[178:179]
	v_add_f64 v[34:35], v[34:35], -v[178:179]
	ds_load_2addr_b64 v[178:181], v196 offset0:72 offset1:73
	s_waitcnt lgkmcnt(0)
	v_mul_f64 v[172:173], v[180:181], v[184:185]
	s_delay_alu instid0(VALU_DEP_1) | instskip(SKIP_1) | instid1(VALU_DEP_2)
	v_fma_f64 v[172:173], v[178:179], v[176:177], -v[172:173]
	v_mul_f64 v[178:179], v[178:179], v[184:185]
	v_add_f64 v[28:29], v[28:29], -v[172:173]
	s_delay_alu instid0(VALU_DEP_2) | instskip(NEXT) | instid1(VALU_DEP_1)
	v_fma_f64 v[178:179], v[180:181], v[176:177], v[178:179]
	v_add_f64 v[30:31], v[30:31], -v[178:179]
	ds_load_2addr_b64 v[178:181], v196 offset0:74 offset1:75
	s_waitcnt lgkmcnt(0)
	v_mul_f64 v[172:173], v[180:181], v[184:185]
	s_delay_alu instid0(VALU_DEP_1) | instskip(SKIP_1) | instid1(VALU_DEP_2)
	v_fma_f64 v[172:173], v[178:179], v[176:177], -v[172:173]
	v_mul_f64 v[178:179], v[178:179], v[184:185]
	v_add_f64 v[24:25], v[24:25], -v[172:173]
	s_delay_alu instid0(VALU_DEP_2) | instskip(NEXT) | instid1(VALU_DEP_1)
	v_fma_f64 v[178:179], v[180:181], v[176:177], v[178:179]
	v_add_f64 v[26:27], v[26:27], -v[178:179]
	ds_load_2addr_b64 v[178:181], v196 offset0:76 offset1:77
	s_waitcnt lgkmcnt(0)
	v_mul_f64 v[172:173], v[180:181], v[184:185]
	s_delay_alu instid0(VALU_DEP_1) | instskip(SKIP_1) | instid1(VALU_DEP_2)
	v_fma_f64 v[172:173], v[178:179], v[176:177], -v[172:173]
	v_mul_f64 v[178:179], v[178:179], v[184:185]
	v_add_f64 v[20:21], v[20:21], -v[172:173]
	s_delay_alu instid0(VALU_DEP_2) | instskip(NEXT) | instid1(VALU_DEP_1)
	v_fma_f64 v[178:179], v[180:181], v[176:177], v[178:179]
	v_add_f64 v[22:23], v[22:23], -v[178:179]
	ds_load_2addr_b64 v[178:181], v196 offset0:78 offset1:79
	s_waitcnt lgkmcnt(0)
	v_mul_f64 v[172:173], v[180:181], v[184:185]
	s_delay_alu instid0(VALU_DEP_1) | instskip(SKIP_1) | instid1(VALU_DEP_2)
	v_fma_f64 v[172:173], v[178:179], v[176:177], -v[172:173]
	v_mul_f64 v[178:179], v[178:179], v[184:185]
	v_add_f64 v[16:17], v[16:17], -v[172:173]
	s_delay_alu instid0(VALU_DEP_2) | instskip(NEXT) | instid1(VALU_DEP_1)
	v_fma_f64 v[178:179], v[180:181], v[176:177], v[178:179]
	v_add_f64 v[18:19], v[18:19], -v[178:179]
	ds_load_2addr_b64 v[178:181], v196 offset0:80 offset1:81
	s_waitcnt lgkmcnt(0)
	v_mul_f64 v[172:173], v[180:181], v[184:185]
	s_delay_alu instid0(VALU_DEP_1) | instskip(SKIP_1) | instid1(VALU_DEP_2)
	v_fma_f64 v[172:173], v[178:179], v[176:177], -v[172:173]
	v_mul_f64 v[178:179], v[178:179], v[184:185]
	v_add_f64 v[12:13], v[12:13], -v[172:173]
	s_delay_alu instid0(VALU_DEP_2) | instskip(NEXT) | instid1(VALU_DEP_1)
	v_fma_f64 v[178:179], v[180:181], v[176:177], v[178:179]
	v_add_f64 v[14:15], v[14:15], -v[178:179]
	ds_load_2addr_b64 v[178:181], v196 offset0:82 offset1:83
	s_waitcnt lgkmcnt(0)
	v_mul_f64 v[172:173], v[180:181], v[184:185]
	s_delay_alu instid0(VALU_DEP_1) | instskip(SKIP_1) | instid1(VALU_DEP_2)
	v_fma_f64 v[172:173], v[178:179], v[176:177], -v[172:173]
	v_mul_f64 v[178:179], v[178:179], v[184:185]
	v_add_f64 v[8:9], v[8:9], -v[172:173]
	s_delay_alu instid0(VALU_DEP_2) | instskip(NEXT) | instid1(VALU_DEP_1)
	v_fma_f64 v[178:179], v[180:181], v[176:177], v[178:179]
	v_add_f64 v[10:11], v[10:11], -v[178:179]
	ds_load_2addr_b64 v[178:181], v196 offset0:84 offset1:85
	s_waitcnt lgkmcnt(0)
	v_mul_f64 v[172:173], v[180:181], v[184:185]
	s_delay_alu instid0(VALU_DEP_1) | instskip(SKIP_1) | instid1(VALU_DEP_2)
	v_fma_f64 v[172:173], v[178:179], v[176:177], -v[172:173]
	v_mul_f64 v[178:179], v[178:179], v[184:185]
	v_add_f64 v[4:5], v[4:5], -v[172:173]
	s_delay_alu instid0(VALU_DEP_2) | instskip(NEXT) | instid1(VALU_DEP_1)
	v_fma_f64 v[178:179], v[180:181], v[176:177], v[178:179]
	v_add_f64 v[6:7], v[6:7], -v[178:179]
	ds_load_2addr_b64 v[178:181], v196 offset0:86 offset1:87
	s_waitcnt lgkmcnt(0)
	v_mul_f64 v[172:173], v[180:181], v[184:185]
	s_delay_alu instid0(VALU_DEP_1) | instskip(SKIP_1) | instid1(VALU_DEP_2)
	v_fma_f64 v[172:173], v[178:179], v[176:177], -v[172:173]
	v_mul_f64 v[178:179], v[178:179], v[184:185]
	v_add_f64 v[0:1], v[0:1], -v[172:173]
	s_delay_alu instid0(VALU_DEP_2) | instskip(NEXT) | instid1(VALU_DEP_1)
	v_fma_f64 v[178:179], v[180:181], v[176:177], v[178:179]
	v_add_f64 v[2:3], v[2:3], -v[178:179]
.LBB87_10:
	s_or_b32 exec_lo, exec_lo, s4
	s_delay_alu instid0(SALU_CYCLE_1)
	s_mov_b32 s4, exec_lo
	s_waitcnt_vscnt null, 0x0
	s_barrier
	buffer_gl0_inv
	v_cmpx_eq_u32_e32 1, v194
	s_cbranch_execz .LBB87_17
; %bb.11:
	scratch_load_b128 v[176:179], off, off  ; 16-byte Folded Reload
	s_waitcnt vmcnt(0)
	ds_store_2addr_b64 v195, v[176:177], v[178:179] offset1:1
	ds_store_2addr_b64 v196, v[164:165], v[166:167] offset0:4 offset1:5
	ds_store_2addr_b64 v196, v[160:161], v[162:163] offset0:6 offset1:7
	;; [unrolled: 1-line block ×42, first 2 shown]
	ds_load_2addr_b64 v[176:179], v195 offset1:1
	s_waitcnt lgkmcnt(0)
	v_cmp_neq_f64_e32 vcc_lo, 0, v[176:177]
	v_cmp_neq_f64_e64 s3, 0, v[178:179]
	s_delay_alu instid0(VALU_DEP_1) | instskip(NEXT) | instid1(SALU_CYCLE_1)
	s_or_b32 s3, vcc_lo, s3
	s_and_b32 exec_lo, exec_lo, s3
	s_cbranch_execz .LBB87_17
; %bb.12:
	v_cmp_gt_f64_e32 vcc_lo, 0, v[176:177]
	v_cmp_gt_f64_e64 s3, 0, v[178:179]
	v_xor_b32_e32 v180, 0x80000000, v177
	v_xor_b32_e32 v182, 0x80000000, v179
                                        ; implicit-def: $vgpr184_vgpr185
	s_delay_alu instid0(VALU_DEP_2) | instskip(NEXT) | instid1(VALU_DEP_2)
	v_cndmask_b32_e32 v181, v177, v180, vcc_lo
	v_cndmask_b32_e64 v183, v179, v182, s3
	v_cndmask_b32_e32 v180, v176, v176, vcc_lo
	v_cndmask_b32_e64 v182, v178, v178, s3
	s_mov_b32 s3, exec_lo
	s_delay_alu instid0(VALU_DEP_1)
	v_cmpx_ngt_f64_e32 v[180:181], v[182:183]
	s_xor_b32 s3, exec_lo, s3
                                        ; implicit-def: $vgpr180_vgpr181_vgpr182_vgpr183
	s_cbranch_execz .LBB87_14
; %bb.13:
	v_div_scale_f64 v[180:181], null, v[178:179], v[178:179], v[176:177]
	v_div_scale_f64 v[186:187], vcc_lo, v[176:177], v[178:179], v[176:177]
	s_delay_alu instid0(VALU_DEP_2) | instskip(SKIP_2) | instid1(VALU_DEP_1)
	v_rcp_f64_e32 v[182:183], v[180:181]
	s_waitcnt_depctr 0xfff
	v_fma_f64 v[184:185], -v[180:181], v[182:183], 1.0
	v_fma_f64 v[182:183], v[182:183], v[184:185], v[182:183]
	s_delay_alu instid0(VALU_DEP_1) | instskip(NEXT) | instid1(VALU_DEP_1)
	v_fma_f64 v[184:185], -v[180:181], v[182:183], 1.0
	v_fma_f64 v[182:183], v[182:183], v[184:185], v[182:183]
	s_delay_alu instid0(VALU_DEP_1) | instskip(NEXT) | instid1(VALU_DEP_1)
	v_mul_f64 v[184:185], v[186:187], v[182:183]
	v_fma_f64 v[180:181], -v[180:181], v[184:185], v[186:187]
	s_delay_alu instid0(VALU_DEP_1) | instskip(NEXT) | instid1(VALU_DEP_1)
	v_div_fmas_f64 v[180:181], v[180:181], v[182:183], v[184:185]
	v_div_fixup_f64 v[180:181], v[180:181], v[178:179], v[176:177]
	s_delay_alu instid0(VALU_DEP_1) | instskip(NEXT) | instid1(VALU_DEP_1)
	v_fma_f64 v[176:177], v[176:177], v[180:181], v[178:179]
	v_div_scale_f64 v[178:179], null, v[176:177], v[176:177], 1.0
	s_delay_alu instid0(VALU_DEP_1) | instskip(SKIP_2) | instid1(VALU_DEP_1)
	v_rcp_f64_e32 v[182:183], v[178:179]
	s_waitcnt_depctr 0xfff
	v_fma_f64 v[184:185], -v[178:179], v[182:183], 1.0
	v_fma_f64 v[182:183], v[182:183], v[184:185], v[182:183]
	s_delay_alu instid0(VALU_DEP_1) | instskip(NEXT) | instid1(VALU_DEP_1)
	v_fma_f64 v[184:185], -v[178:179], v[182:183], 1.0
	v_fma_f64 v[182:183], v[182:183], v[184:185], v[182:183]
	v_div_scale_f64 v[184:185], vcc_lo, 1.0, v[176:177], 1.0
	s_delay_alu instid0(VALU_DEP_1) | instskip(NEXT) | instid1(VALU_DEP_1)
	v_mul_f64 v[186:187], v[184:185], v[182:183]
	v_fma_f64 v[178:179], -v[178:179], v[186:187], v[184:185]
	s_delay_alu instid0(VALU_DEP_1) | instskip(NEXT) | instid1(VALU_DEP_1)
	v_div_fmas_f64 v[178:179], v[178:179], v[182:183], v[186:187]
	v_div_fixup_f64 v[182:183], v[178:179], v[176:177], 1.0
                                        ; implicit-def: $vgpr176_vgpr177
	s_delay_alu instid0(VALU_DEP_1)
	v_mul_f64 v[184:185], v[180:181], v[182:183]
	v_xor_b32_e32 v183, 0x80000000, v183
.LBB87_14:
	s_and_not1_saveexec_b32 s3, s3
	s_cbranch_execz .LBB87_16
; %bb.15:
	v_div_scale_f64 v[180:181], null, v[176:177], v[176:177], v[178:179]
	v_div_scale_f64 v[186:187], vcc_lo, v[178:179], v[176:177], v[178:179]
	s_delay_alu instid0(VALU_DEP_2) | instskip(SKIP_2) | instid1(VALU_DEP_1)
	v_rcp_f64_e32 v[182:183], v[180:181]
	s_waitcnt_depctr 0xfff
	v_fma_f64 v[184:185], -v[180:181], v[182:183], 1.0
	v_fma_f64 v[182:183], v[182:183], v[184:185], v[182:183]
	s_delay_alu instid0(VALU_DEP_1) | instskip(NEXT) | instid1(VALU_DEP_1)
	v_fma_f64 v[184:185], -v[180:181], v[182:183], 1.0
	v_fma_f64 v[182:183], v[182:183], v[184:185], v[182:183]
	s_delay_alu instid0(VALU_DEP_1) | instskip(NEXT) | instid1(VALU_DEP_1)
	v_mul_f64 v[184:185], v[186:187], v[182:183]
	v_fma_f64 v[180:181], -v[180:181], v[184:185], v[186:187]
	s_delay_alu instid0(VALU_DEP_1) | instskip(NEXT) | instid1(VALU_DEP_1)
	v_div_fmas_f64 v[180:181], v[180:181], v[182:183], v[184:185]
	v_div_fixup_f64 v[180:181], v[180:181], v[176:177], v[178:179]
	s_delay_alu instid0(VALU_DEP_1) | instskip(NEXT) | instid1(VALU_DEP_1)
	v_fma_f64 v[176:177], v[178:179], v[180:181], v[176:177]
	v_div_scale_f64 v[178:179], null, v[176:177], v[176:177], 1.0
	s_delay_alu instid0(VALU_DEP_1) | instskip(SKIP_2) | instid1(VALU_DEP_1)
	v_rcp_f64_e32 v[182:183], v[178:179]
	s_waitcnt_depctr 0xfff
	v_fma_f64 v[184:185], -v[178:179], v[182:183], 1.0
	v_fma_f64 v[182:183], v[182:183], v[184:185], v[182:183]
	s_delay_alu instid0(VALU_DEP_1) | instskip(NEXT) | instid1(VALU_DEP_1)
	v_fma_f64 v[184:185], -v[178:179], v[182:183], 1.0
	v_fma_f64 v[182:183], v[182:183], v[184:185], v[182:183]
	v_div_scale_f64 v[184:185], vcc_lo, 1.0, v[176:177], 1.0
	s_delay_alu instid0(VALU_DEP_1) | instskip(NEXT) | instid1(VALU_DEP_1)
	v_mul_f64 v[186:187], v[184:185], v[182:183]
	v_fma_f64 v[178:179], -v[178:179], v[186:187], v[184:185]
	s_delay_alu instid0(VALU_DEP_1) | instskip(NEXT) | instid1(VALU_DEP_1)
	v_div_fmas_f64 v[178:179], v[178:179], v[182:183], v[186:187]
	v_div_fixup_f64 v[184:185], v[178:179], v[176:177], 1.0
	s_delay_alu instid0(VALU_DEP_1)
	v_mul_f64 v[182:183], v[180:181], -v[184:185]
.LBB87_16:
	s_or_b32 exec_lo, exec_lo, s3
	ds_store_2addr_b64 v195, v[184:185], v[182:183] offset1:1
.LBB87_17:
	s_or_b32 exec_lo, exec_lo, s4
	s_waitcnt lgkmcnt(0)
	s_barrier
	buffer_gl0_inv
	ds_load_2addr_b64 v[176:179], v195 offset1:1
	s_mov_b32 s3, exec_lo
	s_waitcnt lgkmcnt(0)
	scratch_store_b128 off, v[176:179], off offset:240 ; 16-byte Folded Spill
	v_cmpx_lt_u32_e32 1, v194
	s_cbranch_execz .LBB87_19
; %bb.18:
	s_clause 0x1
	scratch_load_b128 v[180:183], off, off
	scratch_load_b128 v[184:187], off, off offset:240
	v_dual_mov_b32 v168, v170 :: v_dual_mov_b32 v169, v171
	s_waitcnt vmcnt(0)
	v_mul_f64 v[170:171], v[184:185], v[182:183]
	v_mul_f64 v[176:177], v[186:187], v[182:183]
	s_delay_alu instid0(VALU_DEP_2) | instskip(NEXT) | instid1(VALU_DEP_2)
	v_fma_f64 v[182:183], v[186:187], v[180:181], v[170:171]
	v_fma_f64 v[176:177], v[184:185], v[180:181], -v[176:177]
	ds_load_2addr_b64 v[178:181], v196 offset0:4 offset1:5
	v_dual_mov_b32 v171, v169 :: v_dual_mov_b32 v170, v168
	s_waitcnt lgkmcnt(0)
	v_mul_f64 v[168:169], v[180:181], v[182:183]
	s_delay_alu instid0(VALU_DEP_1) | instskip(SKIP_1) | instid1(VALU_DEP_2)
	v_fma_f64 v[168:169], v[178:179], v[176:177], -v[168:169]
	v_mul_f64 v[178:179], v[178:179], v[182:183]
	v_add_f64 v[164:165], v[164:165], -v[168:169]
	s_delay_alu instid0(VALU_DEP_2) | instskip(NEXT) | instid1(VALU_DEP_1)
	v_fma_f64 v[178:179], v[180:181], v[176:177], v[178:179]
	v_add_f64 v[166:167], v[166:167], -v[178:179]
	ds_load_2addr_b64 v[178:181], v196 offset0:6 offset1:7
	s_waitcnt lgkmcnt(0)
	v_mul_f64 v[168:169], v[180:181], v[182:183]
	s_delay_alu instid0(VALU_DEP_1) | instskip(SKIP_1) | instid1(VALU_DEP_2)
	v_fma_f64 v[168:169], v[178:179], v[176:177], -v[168:169]
	v_mul_f64 v[178:179], v[178:179], v[182:183]
	v_add_f64 v[160:161], v[160:161], -v[168:169]
	s_delay_alu instid0(VALU_DEP_2) | instskip(NEXT) | instid1(VALU_DEP_1)
	v_fma_f64 v[178:179], v[180:181], v[176:177], v[178:179]
	v_add_f64 v[162:163], v[162:163], -v[178:179]
	ds_load_2addr_b64 v[178:181], v196 offset0:8 offset1:9
	;; [unrolled: 10-line block ×41, first 2 shown]
	s_waitcnt lgkmcnt(0)
	v_mul_f64 v[168:169], v[180:181], v[182:183]
	s_delay_alu instid0(VALU_DEP_1) | instskip(SKIP_1) | instid1(VALU_DEP_2)
	v_fma_f64 v[168:169], v[178:179], v[176:177], -v[168:169]
	v_mul_f64 v[178:179], v[178:179], v[182:183]
	v_add_f64 v[0:1], v[0:1], -v[168:169]
	s_delay_alu instid0(VALU_DEP_2)
	v_fma_f64 v[178:179], v[180:181], v[176:177], v[178:179]
	v_dual_mov_b32 v181, v177 :: v_dual_mov_b32 v180, v176
	scratch_store_b128 off, v[180:183], off ; 16-byte Folded Spill
	v_add_f64 v[2:3], v[2:3], -v[178:179]
.LBB87_19:
	s_or_b32 exec_lo, exec_lo, s3
	s_delay_alu instid0(SALU_CYCLE_1)
	s_mov_b32 s4, exec_lo
	s_waitcnt_vscnt null, 0x0
	s_barrier
	buffer_gl0_inv
	v_cmpx_eq_u32_e32 2, v194
	s_cbranch_execz .LBB87_26
; %bb.20:
	ds_store_2addr_b64 v195, v[164:165], v[166:167] offset1:1
	ds_store_2addr_b64 v196, v[160:161], v[162:163] offset0:6 offset1:7
	ds_store_2addr_b64 v196, v[156:157], v[158:159] offset0:8 offset1:9
	;; [unrolled: 1-line block ×41, first 2 shown]
	ds_load_2addr_b64 v[176:179], v195 offset1:1
	s_waitcnt lgkmcnt(0)
	v_cmp_neq_f64_e32 vcc_lo, 0, v[176:177]
	v_cmp_neq_f64_e64 s3, 0, v[178:179]
	s_delay_alu instid0(VALU_DEP_1) | instskip(NEXT) | instid1(SALU_CYCLE_1)
	s_or_b32 s3, vcc_lo, s3
	s_and_b32 exec_lo, exec_lo, s3
	s_cbranch_execz .LBB87_26
; %bb.21:
	v_cmp_gt_f64_e32 vcc_lo, 0, v[176:177]
	v_cmp_gt_f64_e64 s3, 0, v[178:179]
	v_xor_b32_e32 v180, 0x80000000, v177
	v_xor_b32_e32 v182, 0x80000000, v179
                                        ; implicit-def: $vgpr184_vgpr185
	s_delay_alu instid0(VALU_DEP_2) | instskip(NEXT) | instid1(VALU_DEP_2)
	v_cndmask_b32_e32 v181, v177, v180, vcc_lo
	v_cndmask_b32_e64 v183, v179, v182, s3
	v_cndmask_b32_e32 v180, v176, v176, vcc_lo
	v_cndmask_b32_e64 v182, v178, v178, s3
	s_mov_b32 s3, exec_lo
	s_delay_alu instid0(VALU_DEP_1)
	v_cmpx_ngt_f64_e32 v[180:181], v[182:183]
	s_xor_b32 s3, exec_lo, s3
                                        ; implicit-def: $vgpr180_vgpr181_vgpr182_vgpr183
	s_cbranch_execz .LBB87_23
; %bb.22:
	v_div_scale_f64 v[180:181], null, v[178:179], v[178:179], v[176:177]
	v_div_scale_f64 v[186:187], vcc_lo, v[176:177], v[178:179], v[176:177]
	s_delay_alu instid0(VALU_DEP_2) | instskip(SKIP_2) | instid1(VALU_DEP_1)
	v_rcp_f64_e32 v[182:183], v[180:181]
	s_waitcnt_depctr 0xfff
	v_fma_f64 v[184:185], -v[180:181], v[182:183], 1.0
	v_fma_f64 v[182:183], v[182:183], v[184:185], v[182:183]
	s_delay_alu instid0(VALU_DEP_1) | instskip(NEXT) | instid1(VALU_DEP_1)
	v_fma_f64 v[184:185], -v[180:181], v[182:183], 1.0
	v_fma_f64 v[182:183], v[182:183], v[184:185], v[182:183]
	s_delay_alu instid0(VALU_DEP_1) | instskip(NEXT) | instid1(VALU_DEP_1)
	v_mul_f64 v[184:185], v[186:187], v[182:183]
	v_fma_f64 v[180:181], -v[180:181], v[184:185], v[186:187]
	s_delay_alu instid0(VALU_DEP_1) | instskip(NEXT) | instid1(VALU_DEP_1)
	v_div_fmas_f64 v[180:181], v[180:181], v[182:183], v[184:185]
	v_div_fixup_f64 v[180:181], v[180:181], v[178:179], v[176:177]
	s_delay_alu instid0(VALU_DEP_1) | instskip(NEXT) | instid1(VALU_DEP_1)
	v_fma_f64 v[176:177], v[176:177], v[180:181], v[178:179]
	v_div_scale_f64 v[178:179], null, v[176:177], v[176:177], 1.0
	s_delay_alu instid0(VALU_DEP_1) | instskip(SKIP_2) | instid1(VALU_DEP_1)
	v_rcp_f64_e32 v[182:183], v[178:179]
	s_waitcnt_depctr 0xfff
	v_fma_f64 v[184:185], -v[178:179], v[182:183], 1.0
	v_fma_f64 v[182:183], v[182:183], v[184:185], v[182:183]
	s_delay_alu instid0(VALU_DEP_1) | instskip(NEXT) | instid1(VALU_DEP_1)
	v_fma_f64 v[184:185], -v[178:179], v[182:183], 1.0
	v_fma_f64 v[182:183], v[182:183], v[184:185], v[182:183]
	v_div_scale_f64 v[184:185], vcc_lo, 1.0, v[176:177], 1.0
	s_delay_alu instid0(VALU_DEP_1) | instskip(NEXT) | instid1(VALU_DEP_1)
	v_mul_f64 v[186:187], v[184:185], v[182:183]
	v_fma_f64 v[178:179], -v[178:179], v[186:187], v[184:185]
	s_delay_alu instid0(VALU_DEP_1) | instskip(NEXT) | instid1(VALU_DEP_1)
	v_div_fmas_f64 v[178:179], v[178:179], v[182:183], v[186:187]
	v_div_fixup_f64 v[182:183], v[178:179], v[176:177], 1.0
                                        ; implicit-def: $vgpr176_vgpr177
	s_delay_alu instid0(VALU_DEP_1)
	v_mul_f64 v[184:185], v[180:181], v[182:183]
	v_xor_b32_e32 v183, 0x80000000, v183
.LBB87_23:
	s_and_not1_saveexec_b32 s3, s3
	s_cbranch_execz .LBB87_25
; %bb.24:
	v_div_scale_f64 v[180:181], null, v[176:177], v[176:177], v[178:179]
	v_div_scale_f64 v[186:187], vcc_lo, v[178:179], v[176:177], v[178:179]
	s_delay_alu instid0(VALU_DEP_2) | instskip(SKIP_2) | instid1(VALU_DEP_1)
	v_rcp_f64_e32 v[182:183], v[180:181]
	s_waitcnt_depctr 0xfff
	v_fma_f64 v[184:185], -v[180:181], v[182:183], 1.0
	v_fma_f64 v[182:183], v[182:183], v[184:185], v[182:183]
	s_delay_alu instid0(VALU_DEP_1) | instskip(NEXT) | instid1(VALU_DEP_1)
	v_fma_f64 v[184:185], -v[180:181], v[182:183], 1.0
	v_fma_f64 v[182:183], v[182:183], v[184:185], v[182:183]
	s_delay_alu instid0(VALU_DEP_1) | instskip(NEXT) | instid1(VALU_DEP_1)
	v_mul_f64 v[184:185], v[186:187], v[182:183]
	v_fma_f64 v[180:181], -v[180:181], v[184:185], v[186:187]
	s_delay_alu instid0(VALU_DEP_1) | instskip(NEXT) | instid1(VALU_DEP_1)
	v_div_fmas_f64 v[180:181], v[180:181], v[182:183], v[184:185]
	v_div_fixup_f64 v[180:181], v[180:181], v[176:177], v[178:179]
	s_delay_alu instid0(VALU_DEP_1) | instskip(NEXT) | instid1(VALU_DEP_1)
	v_fma_f64 v[176:177], v[178:179], v[180:181], v[176:177]
	v_div_scale_f64 v[178:179], null, v[176:177], v[176:177], 1.0
	s_delay_alu instid0(VALU_DEP_1) | instskip(SKIP_2) | instid1(VALU_DEP_1)
	v_rcp_f64_e32 v[182:183], v[178:179]
	s_waitcnt_depctr 0xfff
	v_fma_f64 v[184:185], -v[178:179], v[182:183], 1.0
	v_fma_f64 v[182:183], v[182:183], v[184:185], v[182:183]
	s_delay_alu instid0(VALU_DEP_1) | instskip(NEXT) | instid1(VALU_DEP_1)
	v_fma_f64 v[184:185], -v[178:179], v[182:183], 1.0
	v_fma_f64 v[182:183], v[182:183], v[184:185], v[182:183]
	v_div_scale_f64 v[184:185], vcc_lo, 1.0, v[176:177], 1.0
	s_delay_alu instid0(VALU_DEP_1) | instskip(NEXT) | instid1(VALU_DEP_1)
	v_mul_f64 v[186:187], v[184:185], v[182:183]
	v_fma_f64 v[178:179], -v[178:179], v[186:187], v[184:185]
	s_delay_alu instid0(VALU_DEP_1) | instskip(NEXT) | instid1(VALU_DEP_1)
	v_div_fmas_f64 v[178:179], v[178:179], v[182:183], v[186:187]
	v_div_fixup_f64 v[184:185], v[178:179], v[176:177], 1.0
	s_delay_alu instid0(VALU_DEP_1)
	v_mul_f64 v[182:183], v[180:181], -v[184:185]
.LBB87_25:
	s_or_b32 exec_lo, exec_lo, s3
	ds_store_2addr_b64 v195, v[184:185], v[182:183] offset1:1
.LBB87_26:
	s_or_b32 exec_lo, exec_lo, s4
	s_waitcnt lgkmcnt(0)
	s_barrier
	buffer_gl0_inv
	ds_load_2addr_b64 v[176:179], v195 offset1:1
	s_mov_b32 s3, exec_lo
	s_waitcnt lgkmcnt(0)
	scratch_store_b128 off, v[176:179], off offset:256 ; 16-byte Folded Spill
	v_cmpx_lt_u32_e32 2, v194
	s_cbranch_execz .LBB87_28
; %bb.27:
	scratch_load_b128 v[178:181], off, off offset:256 ; 16-byte Folded Reload
	s_waitcnt vmcnt(0)
	v_mul_f64 v[176:177], v[180:181], v[166:167]
	v_mul_f64 v[166:167], v[178:179], v[166:167]
	s_delay_alu instid0(VALU_DEP_2) | instskip(NEXT) | instid1(VALU_DEP_2)
	v_fma_f64 v[176:177], v[178:179], v[164:165], -v[176:177]
	v_fma_f64 v[166:167], v[180:181], v[164:165], v[166:167]
	ds_load_2addr_b64 v[178:181], v196 offset0:6 offset1:7
	s_waitcnt lgkmcnt(0)
	v_mul_f64 v[164:165], v[180:181], v[166:167]
	s_delay_alu instid0(VALU_DEP_1) | instskip(SKIP_1) | instid1(VALU_DEP_2)
	v_fma_f64 v[164:165], v[178:179], v[176:177], -v[164:165]
	v_mul_f64 v[178:179], v[178:179], v[166:167]
	v_add_f64 v[160:161], v[160:161], -v[164:165]
	s_delay_alu instid0(VALU_DEP_2) | instskip(NEXT) | instid1(VALU_DEP_1)
	v_fma_f64 v[178:179], v[180:181], v[176:177], v[178:179]
	v_add_f64 v[162:163], v[162:163], -v[178:179]
	ds_load_2addr_b64 v[178:181], v196 offset0:8 offset1:9
	s_waitcnt lgkmcnt(0)
	v_mul_f64 v[164:165], v[180:181], v[166:167]
	s_delay_alu instid0(VALU_DEP_1) | instskip(SKIP_1) | instid1(VALU_DEP_2)
	v_fma_f64 v[164:165], v[178:179], v[176:177], -v[164:165]
	v_mul_f64 v[178:179], v[178:179], v[166:167]
	v_add_f64 v[156:157], v[156:157], -v[164:165]
	s_delay_alu instid0(VALU_DEP_2) | instskip(NEXT) | instid1(VALU_DEP_1)
	v_fma_f64 v[178:179], v[180:181], v[176:177], v[178:179]
	v_add_f64 v[158:159], v[158:159], -v[178:179]
	;; [unrolled: 10-line block ×40, first 2 shown]
	ds_load_2addr_b64 v[178:181], v196 offset0:86 offset1:87
	s_waitcnt lgkmcnt(0)
	v_mul_f64 v[164:165], v[180:181], v[166:167]
	s_delay_alu instid0(VALU_DEP_1) | instskip(SKIP_1) | instid1(VALU_DEP_2)
	v_fma_f64 v[164:165], v[178:179], v[176:177], -v[164:165]
	v_mul_f64 v[178:179], v[178:179], v[166:167]
	v_add_f64 v[0:1], v[0:1], -v[164:165]
	s_delay_alu instid0(VALU_DEP_2) | instskip(SKIP_1) | instid1(VALU_DEP_2)
	v_fma_f64 v[178:179], v[180:181], v[176:177], v[178:179]
	v_dual_mov_b32 v164, v176 :: v_dual_mov_b32 v165, v177
	v_add_f64 v[2:3], v[2:3], -v[178:179]
.LBB87_28:
	s_or_b32 exec_lo, exec_lo, s3
	s_delay_alu instid0(SALU_CYCLE_1)
	s_mov_b32 s4, exec_lo
	s_waitcnt_vscnt null, 0x0
	s_barrier
	buffer_gl0_inv
	v_cmpx_eq_u32_e32 3, v194
	s_cbranch_execz .LBB87_35
; %bb.29:
	ds_store_2addr_b64 v195, v[160:161], v[162:163] offset1:1
	ds_store_2addr_b64 v196, v[156:157], v[158:159] offset0:8 offset1:9
	ds_store_2addr_b64 v196, v[152:153], v[154:155] offset0:10 offset1:11
	;; [unrolled: 1-line block ×40, first 2 shown]
	ds_load_2addr_b64 v[176:179], v195 offset1:1
	s_waitcnt lgkmcnt(0)
	v_cmp_neq_f64_e32 vcc_lo, 0, v[176:177]
	v_cmp_neq_f64_e64 s3, 0, v[178:179]
	s_delay_alu instid0(VALU_DEP_1) | instskip(NEXT) | instid1(SALU_CYCLE_1)
	s_or_b32 s3, vcc_lo, s3
	s_and_b32 exec_lo, exec_lo, s3
	s_cbranch_execz .LBB87_35
; %bb.30:
	v_cmp_gt_f64_e32 vcc_lo, 0, v[176:177]
	v_xor_b32_e32 v180, 0x80000000, v177
	v_xor_b32_e32 v182, 0x80000000, v179
	s_mov_b32 s3, exec_lo
                                        ; implicit-def: $vgpr184_vgpr185
	s_delay_alu instid0(VALU_DEP_2) | instskip(SKIP_4) | instid1(VALU_DEP_1)
	v_cndmask_b32_e32 v181, v177, v180, vcc_lo
	v_cndmask_b32_e32 v180, v176, v176, vcc_lo
	v_cmp_gt_f64_e32 vcc_lo, 0, v[178:179]
	v_cndmask_b32_e32 v183, v179, v182, vcc_lo
	v_cndmask_b32_e32 v182, v178, v178, vcc_lo
	v_cmpx_ngt_f64_e32 v[180:181], v[182:183]
	s_xor_b32 s3, exec_lo, s3
                                        ; implicit-def: $vgpr180_vgpr181_vgpr182_vgpr183
	s_cbranch_execz .LBB87_32
; %bb.31:
	v_div_scale_f64 v[180:181], null, v[178:179], v[178:179], v[176:177]
	v_div_scale_f64 v[186:187], vcc_lo, v[176:177], v[178:179], v[176:177]
	s_delay_alu instid0(VALU_DEP_2) | instskip(SKIP_2) | instid1(VALU_DEP_1)
	v_rcp_f64_e32 v[182:183], v[180:181]
	s_waitcnt_depctr 0xfff
	v_fma_f64 v[184:185], -v[180:181], v[182:183], 1.0
	v_fma_f64 v[182:183], v[182:183], v[184:185], v[182:183]
	s_delay_alu instid0(VALU_DEP_1) | instskip(NEXT) | instid1(VALU_DEP_1)
	v_fma_f64 v[184:185], -v[180:181], v[182:183], 1.0
	v_fma_f64 v[182:183], v[182:183], v[184:185], v[182:183]
	s_delay_alu instid0(VALU_DEP_1) | instskip(NEXT) | instid1(VALU_DEP_1)
	v_mul_f64 v[184:185], v[186:187], v[182:183]
	v_fma_f64 v[180:181], -v[180:181], v[184:185], v[186:187]
	s_delay_alu instid0(VALU_DEP_1) | instskip(NEXT) | instid1(VALU_DEP_1)
	v_div_fmas_f64 v[180:181], v[180:181], v[182:183], v[184:185]
	v_div_fixup_f64 v[180:181], v[180:181], v[178:179], v[176:177]
	s_delay_alu instid0(VALU_DEP_1) | instskip(NEXT) | instid1(VALU_DEP_1)
	v_fma_f64 v[176:177], v[176:177], v[180:181], v[178:179]
	v_div_scale_f64 v[178:179], null, v[176:177], v[176:177], 1.0
	s_delay_alu instid0(VALU_DEP_1) | instskip(SKIP_2) | instid1(VALU_DEP_1)
	v_rcp_f64_e32 v[182:183], v[178:179]
	s_waitcnt_depctr 0xfff
	v_fma_f64 v[184:185], -v[178:179], v[182:183], 1.0
	v_fma_f64 v[182:183], v[182:183], v[184:185], v[182:183]
	s_delay_alu instid0(VALU_DEP_1) | instskip(NEXT) | instid1(VALU_DEP_1)
	v_fma_f64 v[184:185], -v[178:179], v[182:183], 1.0
	v_fma_f64 v[182:183], v[182:183], v[184:185], v[182:183]
	v_div_scale_f64 v[184:185], vcc_lo, 1.0, v[176:177], 1.0
	s_delay_alu instid0(VALU_DEP_1) | instskip(NEXT) | instid1(VALU_DEP_1)
	v_mul_f64 v[186:187], v[184:185], v[182:183]
	v_fma_f64 v[178:179], -v[178:179], v[186:187], v[184:185]
	s_delay_alu instid0(VALU_DEP_1) | instskip(NEXT) | instid1(VALU_DEP_1)
	v_div_fmas_f64 v[178:179], v[178:179], v[182:183], v[186:187]
	v_div_fixup_f64 v[182:183], v[178:179], v[176:177], 1.0
                                        ; implicit-def: $vgpr176_vgpr177
	s_delay_alu instid0(VALU_DEP_1)
	v_mul_f64 v[184:185], v[180:181], v[182:183]
	v_xor_b32_e32 v183, 0x80000000, v183
.LBB87_32:
	s_and_not1_saveexec_b32 s3, s3
	s_cbranch_execz .LBB87_34
; %bb.33:
	v_div_scale_f64 v[180:181], null, v[176:177], v[176:177], v[178:179]
	v_div_scale_f64 v[186:187], vcc_lo, v[178:179], v[176:177], v[178:179]
	s_delay_alu instid0(VALU_DEP_2) | instskip(SKIP_2) | instid1(VALU_DEP_1)
	v_rcp_f64_e32 v[182:183], v[180:181]
	s_waitcnt_depctr 0xfff
	v_fma_f64 v[184:185], -v[180:181], v[182:183], 1.0
	v_fma_f64 v[182:183], v[182:183], v[184:185], v[182:183]
	s_delay_alu instid0(VALU_DEP_1) | instskip(NEXT) | instid1(VALU_DEP_1)
	v_fma_f64 v[184:185], -v[180:181], v[182:183], 1.0
	v_fma_f64 v[182:183], v[182:183], v[184:185], v[182:183]
	s_delay_alu instid0(VALU_DEP_1) | instskip(NEXT) | instid1(VALU_DEP_1)
	v_mul_f64 v[184:185], v[186:187], v[182:183]
	v_fma_f64 v[180:181], -v[180:181], v[184:185], v[186:187]
	s_delay_alu instid0(VALU_DEP_1) | instskip(NEXT) | instid1(VALU_DEP_1)
	v_div_fmas_f64 v[180:181], v[180:181], v[182:183], v[184:185]
	v_div_fixup_f64 v[180:181], v[180:181], v[176:177], v[178:179]
	s_delay_alu instid0(VALU_DEP_1) | instskip(NEXT) | instid1(VALU_DEP_1)
	v_fma_f64 v[176:177], v[178:179], v[180:181], v[176:177]
	v_div_scale_f64 v[178:179], null, v[176:177], v[176:177], 1.0
	s_delay_alu instid0(VALU_DEP_1) | instskip(SKIP_2) | instid1(VALU_DEP_1)
	v_rcp_f64_e32 v[182:183], v[178:179]
	s_waitcnt_depctr 0xfff
	v_fma_f64 v[184:185], -v[178:179], v[182:183], 1.0
	v_fma_f64 v[182:183], v[182:183], v[184:185], v[182:183]
	s_delay_alu instid0(VALU_DEP_1) | instskip(NEXT) | instid1(VALU_DEP_1)
	v_fma_f64 v[184:185], -v[178:179], v[182:183], 1.0
	v_fma_f64 v[182:183], v[182:183], v[184:185], v[182:183]
	v_div_scale_f64 v[184:185], vcc_lo, 1.0, v[176:177], 1.0
	s_delay_alu instid0(VALU_DEP_1) | instskip(NEXT) | instid1(VALU_DEP_1)
	v_mul_f64 v[186:187], v[184:185], v[182:183]
	v_fma_f64 v[178:179], -v[178:179], v[186:187], v[184:185]
	s_delay_alu instid0(VALU_DEP_1) | instskip(NEXT) | instid1(VALU_DEP_1)
	v_div_fmas_f64 v[178:179], v[178:179], v[182:183], v[186:187]
	v_div_fixup_f64 v[184:185], v[178:179], v[176:177], 1.0
	s_delay_alu instid0(VALU_DEP_1)
	v_mul_f64 v[182:183], v[180:181], -v[184:185]
.LBB87_34:
	s_or_b32 exec_lo, exec_lo, s3
	ds_store_2addr_b64 v195, v[184:185], v[182:183] offset1:1
.LBB87_35:
	s_or_b32 exec_lo, exec_lo, s4
	s_waitcnt lgkmcnt(0)
	s_barrier
	buffer_gl0_inv
	ds_load_2addr_b64 v[176:179], v195 offset1:1
	s_mov_b32 s3, exec_lo
	s_waitcnt lgkmcnt(0)
	scratch_store_b128 off, v[176:179], off offset:272 ; 16-byte Folded Spill
	v_cmpx_lt_u32_e32 3, v194
	s_cbranch_execz .LBB87_37
; %bb.36:
	scratch_load_b128 v[178:181], off, off offset:272 ; 16-byte Folded Reload
	s_waitcnt vmcnt(0)
	v_mul_f64 v[176:177], v[180:181], v[162:163]
	v_mul_f64 v[162:163], v[178:179], v[162:163]
	s_delay_alu instid0(VALU_DEP_2) | instskip(NEXT) | instid1(VALU_DEP_2)
	v_fma_f64 v[176:177], v[178:179], v[160:161], -v[176:177]
	v_fma_f64 v[162:163], v[180:181], v[160:161], v[162:163]
	ds_load_2addr_b64 v[178:181], v196 offset0:8 offset1:9
	s_waitcnt lgkmcnt(0)
	v_mul_f64 v[160:161], v[180:181], v[162:163]
	s_delay_alu instid0(VALU_DEP_1) | instskip(SKIP_1) | instid1(VALU_DEP_2)
	v_fma_f64 v[160:161], v[178:179], v[176:177], -v[160:161]
	v_mul_f64 v[178:179], v[178:179], v[162:163]
	v_add_f64 v[156:157], v[156:157], -v[160:161]
	s_delay_alu instid0(VALU_DEP_2) | instskip(NEXT) | instid1(VALU_DEP_1)
	v_fma_f64 v[178:179], v[180:181], v[176:177], v[178:179]
	v_add_f64 v[158:159], v[158:159], -v[178:179]
	ds_load_2addr_b64 v[178:181], v196 offset0:10 offset1:11
	s_waitcnt lgkmcnt(0)
	v_mul_f64 v[160:161], v[180:181], v[162:163]
	s_delay_alu instid0(VALU_DEP_1) | instskip(SKIP_1) | instid1(VALU_DEP_2)
	v_fma_f64 v[160:161], v[178:179], v[176:177], -v[160:161]
	v_mul_f64 v[178:179], v[178:179], v[162:163]
	v_add_f64 v[152:153], v[152:153], -v[160:161]
	s_delay_alu instid0(VALU_DEP_2) | instskip(NEXT) | instid1(VALU_DEP_1)
	v_fma_f64 v[178:179], v[180:181], v[176:177], v[178:179]
	v_add_f64 v[154:155], v[154:155], -v[178:179]
	;; [unrolled: 10-line block ×39, first 2 shown]
	ds_load_2addr_b64 v[178:181], v196 offset0:86 offset1:87
	s_waitcnt lgkmcnt(0)
	v_mul_f64 v[160:161], v[180:181], v[162:163]
	s_delay_alu instid0(VALU_DEP_1) | instskip(SKIP_1) | instid1(VALU_DEP_2)
	v_fma_f64 v[160:161], v[178:179], v[176:177], -v[160:161]
	v_mul_f64 v[178:179], v[178:179], v[162:163]
	v_add_f64 v[0:1], v[0:1], -v[160:161]
	s_delay_alu instid0(VALU_DEP_2) | instskip(SKIP_1) | instid1(VALU_DEP_2)
	v_fma_f64 v[178:179], v[180:181], v[176:177], v[178:179]
	v_dual_mov_b32 v160, v176 :: v_dual_mov_b32 v161, v177
	v_add_f64 v[2:3], v[2:3], -v[178:179]
.LBB87_37:
	s_or_b32 exec_lo, exec_lo, s3
	s_delay_alu instid0(SALU_CYCLE_1)
	s_mov_b32 s4, exec_lo
	s_waitcnt_vscnt null, 0x0
	s_barrier
	buffer_gl0_inv
	v_cmpx_eq_u32_e32 4, v194
	s_cbranch_execz .LBB87_44
; %bb.38:
	ds_store_2addr_b64 v195, v[156:157], v[158:159] offset1:1
	ds_store_2addr_b64 v196, v[152:153], v[154:155] offset0:10 offset1:11
	ds_store_2addr_b64 v196, v[148:149], v[150:151] offset0:12 offset1:13
	;; [unrolled: 1-line block ×39, first 2 shown]
	ds_load_2addr_b64 v[176:179], v195 offset1:1
	s_waitcnt lgkmcnt(0)
	v_cmp_neq_f64_e32 vcc_lo, 0, v[176:177]
	v_cmp_neq_f64_e64 s3, 0, v[178:179]
	s_delay_alu instid0(VALU_DEP_1) | instskip(NEXT) | instid1(SALU_CYCLE_1)
	s_or_b32 s3, vcc_lo, s3
	s_and_b32 exec_lo, exec_lo, s3
	s_cbranch_execz .LBB87_44
; %bb.39:
	v_cmp_gt_f64_e32 vcc_lo, 0, v[176:177]
	v_xor_b32_e32 v180, 0x80000000, v177
	v_xor_b32_e32 v182, 0x80000000, v179
	s_mov_b32 s3, exec_lo
                                        ; implicit-def: $vgpr184_vgpr185
	s_delay_alu instid0(VALU_DEP_2) | instskip(SKIP_4) | instid1(VALU_DEP_1)
	v_cndmask_b32_e32 v181, v177, v180, vcc_lo
	v_cndmask_b32_e32 v180, v176, v176, vcc_lo
	v_cmp_gt_f64_e32 vcc_lo, 0, v[178:179]
	v_cndmask_b32_e32 v183, v179, v182, vcc_lo
	v_cndmask_b32_e32 v182, v178, v178, vcc_lo
	v_cmpx_ngt_f64_e32 v[180:181], v[182:183]
	s_xor_b32 s3, exec_lo, s3
                                        ; implicit-def: $vgpr180_vgpr181_vgpr182_vgpr183
	s_cbranch_execz .LBB87_41
; %bb.40:
	v_div_scale_f64 v[180:181], null, v[178:179], v[178:179], v[176:177]
	v_div_scale_f64 v[186:187], vcc_lo, v[176:177], v[178:179], v[176:177]
	s_delay_alu instid0(VALU_DEP_2) | instskip(SKIP_2) | instid1(VALU_DEP_1)
	v_rcp_f64_e32 v[182:183], v[180:181]
	s_waitcnt_depctr 0xfff
	v_fma_f64 v[184:185], -v[180:181], v[182:183], 1.0
	v_fma_f64 v[182:183], v[182:183], v[184:185], v[182:183]
	s_delay_alu instid0(VALU_DEP_1) | instskip(NEXT) | instid1(VALU_DEP_1)
	v_fma_f64 v[184:185], -v[180:181], v[182:183], 1.0
	v_fma_f64 v[182:183], v[182:183], v[184:185], v[182:183]
	s_delay_alu instid0(VALU_DEP_1) | instskip(NEXT) | instid1(VALU_DEP_1)
	v_mul_f64 v[184:185], v[186:187], v[182:183]
	v_fma_f64 v[180:181], -v[180:181], v[184:185], v[186:187]
	s_delay_alu instid0(VALU_DEP_1) | instskip(NEXT) | instid1(VALU_DEP_1)
	v_div_fmas_f64 v[180:181], v[180:181], v[182:183], v[184:185]
	v_div_fixup_f64 v[180:181], v[180:181], v[178:179], v[176:177]
	s_delay_alu instid0(VALU_DEP_1) | instskip(NEXT) | instid1(VALU_DEP_1)
	v_fma_f64 v[176:177], v[176:177], v[180:181], v[178:179]
	v_div_scale_f64 v[178:179], null, v[176:177], v[176:177], 1.0
	s_delay_alu instid0(VALU_DEP_1) | instskip(SKIP_2) | instid1(VALU_DEP_1)
	v_rcp_f64_e32 v[182:183], v[178:179]
	s_waitcnt_depctr 0xfff
	v_fma_f64 v[184:185], -v[178:179], v[182:183], 1.0
	v_fma_f64 v[182:183], v[182:183], v[184:185], v[182:183]
	s_delay_alu instid0(VALU_DEP_1) | instskip(NEXT) | instid1(VALU_DEP_1)
	v_fma_f64 v[184:185], -v[178:179], v[182:183], 1.0
	v_fma_f64 v[182:183], v[182:183], v[184:185], v[182:183]
	v_div_scale_f64 v[184:185], vcc_lo, 1.0, v[176:177], 1.0
	s_delay_alu instid0(VALU_DEP_1) | instskip(NEXT) | instid1(VALU_DEP_1)
	v_mul_f64 v[186:187], v[184:185], v[182:183]
	v_fma_f64 v[178:179], -v[178:179], v[186:187], v[184:185]
	s_delay_alu instid0(VALU_DEP_1) | instskip(NEXT) | instid1(VALU_DEP_1)
	v_div_fmas_f64 v[178:179], v[178:179], v[182:183], v[186:187]
	v_div_fixup_f64 v[182:183], v[178:179], v[176:177], 1.0
                                        ; implicit-def: $vgpr176_vgpr177
	s_delay_alu instid0(VALU_DEP_1)
	v_mul_f64 v[184:185], v[180:181], v[182:183]
	v_xor_b32_e32 v183, 0x80000000, v183
.LBB87_41:
	s_and_not1_saveexec_b32 s3, s3
	s_cbranch_execz .LBB87_43
; %bb.42:
	v_div_scale_f64 v[180:181], null, v[176:177], v[176:177], v[178:179]
	v_div_scale_f64 v[186:187], vcc_lo, v[178:179], v[176:177], v[178:179]
	s_delay_alu instid0(VALU_DEP_2) | instskip(SKIP_2) | instid1(VALU_DEP_1)
	v_rcp_f64_e32 v[182:183], v[180:181]
	s_waitcnt_depctr 0xfff
	v_fma_f64 v[184:185], -v[180:181], v[182:183], 1.0
	v_fma_f64 v[182:183], v[182:183], v[184:185], v[182:183]
	s_delay_alu instid0(VALU_DEP_1) | instskip(NEXT) | instid1(VALU_DEP_1)
	v_fma_f64 v[184:185], -v[180:181], v[182:183], 1.0
	v_fma_f64 v[182:183], v[182:183], v[184:185], v[182:183]
	s_delay_alu instid0(VALU_DEP_1) | instskip(NEXT) | instid1(VALU_DEP_1)
	v_mul_f64 v[184:185], v[186:187], v[182:183]
	v_fma_f64 v[180:181], -v[180:181], v[184:185], v[186:187]
	s_delay_alu instid0(VALU_DEP_1) | instskip(NEXT) | instid1(VALU_DEP_1)
	v_div_fmas_f64 v[180:181], v[180:181], v[182:183], v[184:185]
	v_div_fixup_f64 v[180:181], v[180:181], v[176:177], v[178:179]
	s_delay_alu instid0(VALU_DEP_1) | instskip(NEXT) | instid1(VALU_DEP_1)
	v_fma_f64 v[176:177], v[178:179], v[180:181], v[176:177]
	v_div_scale_f64 v[178:179], null, v[176:177], v[176:177], 1.0
	s_delay_alu instid0(VALU_DEP_1) | instskip(SKIP_2) | instid1(VALU_DEP_1)
	v_rcp_f64_e32 v[182:183], v[178:179]
	s_waitcnt_depctr 0xfff
	v_fma_f64 v[184:185], -v[178:179], v[182:183], 1.0
	v_fma_f64 v[182:183], v[182:183], v[184:185], v[182:183]
	s_delay_alu instid0(VALU_DEP_1) | instskip(NEXT) | instid1(VALU_DEP_1)
	v_fma_f64 v[184:185], -v[178:179], v[182:183], 1.0
	v_fma_f64 v[182:183], v[182:183], v[184:185], v[182:183]
	v_div_scale_f64 v[184:185], vcc_lo, 1.0, v[176:177], 1.0
	s_delay_alu instid0(VALU_DEP_1) | instskip(NEXT) | instid1(VALU_DEP_1)
	v_mul_f64 v[186:187], v[184:185], v[182:183]
	v_fma_f64 v[178:179], -v[178:179], v[186:187], v[184:185]
	s_delay_alu instid0(VALU_DEP_1) | instskip(NEXT) | instid1(VALU_DEP_1)
	v_div_fmas_f64 v[178:179], v[178:179], v[182:183], v[186:187]
	v_div_fixup_f64 v[184:185], v[178:179], v[176:177], 1.0
	s_delay_alu instid0(VALU_DEP_1)
	v_mul_f64 v[182:183], v[180:181], -v[184:185]
.LBB87_43:
	s_or_b32 exec_lo, exec_lo, s3
	ds_store_2addr_b64 v195, v[184:185], v[182:183] offset1:1
.LBB87_44:
	s_or_b32 exec_lo, exec_lo, s4
	s_waitcnt lgkmcnt(0)
	s_barrier
	buffer_gl0_inv
	ds_load_2addr_b64 v[176:179], v195 offset1:1
	s_mov_b32 s3, exec_lo
	s_waitcnt lgkmcnt(0)
	scratch_store_b128 off, v[176:179], off offset:288 ; 16-byte Folded Spill
	v_cmpx_lt_u32_e32 4, v194
	s_cbranch_execz .LBB87_46
; %bb.45:
	scratch_load_b128 v[178:181], off, off offset:288 ; 16-byte Folded Reload
	s_waitcnt vmcnt(0)
	v_mul_f64 v[176:177], v[180:181], v[158:159]
	v_mul_f64 v[158:159], v[178:179], v[158:159]
	s_delay_alu instid0(VALU_DEP_2) | instskip(NEXT) | instid1(VALU_DEP_2)
	v_fma_f64 v[176:177], v[178:179], v[156:157], -v[176:177]
	v_fma_f64 v[158:159], v[180:181], v[156:157], v[158:159]
	ds_load_2addr_b64 v[178:181], v196 offset0:10 offset1:11
	s_waitcnt lgkmcnt(0)
	v_mul_f64 v[156:157], v[180:181], v[158:159]
	s_delay_alu instid0(VALU_DEP_1) | instskip(SKIP_1) | instid1(VALU_DEP_2)
	v_fma_f64 v[156:157], v[178:179], v[176:177], -v[156:157]
	v_mul_f64 v[178:179], v[178:179], v[158:159]
	v_add_f64 v[152:153], v[152:153], -v[156:157]
	s_delay_alu instid0(VALU_DEP_2) | instskip(NEXT) | instid1(VALU_DEP_1)
	v_fma_f64 v[178:179], v[180:181], v[176:177], v[178:179]
	v_add_f64 v[154:155], v[154:155], -v[178:179]
	ds_load_2addr_b64 v[178:181], v196 offset0:12 offset1:13
	s_waitcnt lgkmcnt(0)
	v_mul_f64 v[156:157], v[180:181], v[158:159]
	s_delay_alu instid0(VALU_DEP_1) | instskip(SKIP_1) | instid1(VALU_DEP_2)
	v_fma_f64 v[156:157], v[178:179], v[176:177], -v[156:157]
	v_mul_f64 v[178:179], v[178:179], v[158:159]
	v_add_f64 v[148:149], v[148:149], -v[156:157]
	s_delay_alu instid0(VALU_DEP_2) | instskip(NEXT) | instid1(VALU_DEP_1)
	v_fma_f64 v[178:179], v[180:181], v[176:177], v[178:179]
	v_add_f64 v[150:151], v[150:151], -v[178:179]
	;; [unrolled: 10-line block ×38, first 2 shown]
	ds_load_2addr_b64 v[178:181], v196 offset0:86 offset1:87
	s_waitcnt lgkmcnt(0)
	v_mul_f64 v[156:157], v[180:181], v[158:159]
	s_delay_alu instid0(VALU_DEP_1) | instskip(SKIP_1) | instid1(VALU_DEP_2)
	v_fma_f64 v[156:157], v[178:179], v[176:177], -v[156:157]
	v_mul_f64 v[178:179], v[178:179], v[158:159]
	v_add_f64 v[0:1], v[0:1], -v[156:157]
	s_delay_alu instid0(VALU_DEP_2) | instskip(SKIP_1) | instid1(VALU_DEP_2)
	v_fma_f64 v[178:179], v[180:181], v[176:177], v[178:179]
	v_dual_mov_b32 v156, v176 :: v_dual_mov_b32 v157, v177
	v_add_f64 v[2:3], v[2:3], -v[178:179]
.LBB87_46:
	s_or_b32 exec_lo, exec_lo, s3
	s_delay_alu instid0(SALU_CYCLE_1)
	s_mov_b32 s4, exec_lo
	s_waitcnt_vscnt null, 0x0
	s_barrier
	buffer_gl0_inv
	v_cmpx_eq_u32_e32 5, v194
	s_cbranch_execz .LBB87_53
; %bb.47:
	ds_store_2addr_b64 v195, v[152:153], v[154:155] offset1:1
	ds_store_2addr_b64 v196, v[148:149], v[150:151] offset0:12 offset1:13
	ds_store_2addr_b64 v196, v[144:145], v[146:147] offset0:14 offset1:15
	;; [unrolled: 1-line block ×38, first 2 shown]
	ds_load_2addr_b64 v[176:179], v195 offset1:1
	s_waitcnt lgkmcnt(0)
	v_cmp_neq_f64_e32 vcc_lo, 0, v[176:177]
	v_cmp_neq_f64_e64 s3, 0, v[178:179]
	s_delay_alu instid0(VALU_DEP_1) | instskip(NEXT) | instid1(SALU_CYCLE_1)
	s_or_b32 s3, vcc_lo, s3
	s_and_b32 exec_lo, exec_lo, s3
	s_cbranch_execz .LBB87_53
; %bb.48:
	v_cmp_gt_f64_e32 vcc_lo, 0, v[176:177]
	v_xor_b32_e32 v180, 0x80000000, v177
	v_xor_b32_e32 v182, 0x80000000, v179
	s_mov_b32 s3, exec_lo
                                        ; implicit-def: $vgpr184_vgpr185
	s_delay_alu instid0(VALU_DEP_2) | instskip(SKIP_4) | instid1(VALU_DEP_1)
	v_cndmask_b32_e32 v181, v177, v180, vcc_lo
	v_cndmask_b32_e32 v180, v176, v176, vcc_lo
	v_cmp_gt_f64_e32 vcc_lo, 0, v[178:179]
	v_cndmask_b32_e32 v183, v179, v182, vcc_lo
	v_cndmask_b32_e32 v182, v178, v178, vcc_lo
	v_cmpx_ngt_f64_e32 v[180:181], v[182:183]
	s_xor_b32 s3, exec_lo, s3
                                        ; implicit-def: $vgpr180_vgpr181_vgpr182_vgpr183
	s_cbranch_execz .LBB87_50
; %bb.49:
	v_div_scale_f64 v[180:181], null, v[178:179], v[178:179], v[176:177]
	v_div_scale_f64 v[186:187], vcc_lo, v[176:177], v[178:179], v[176:177]
	s_delay_alu instid0(VALU_DEP_2) | instskip(SKIP_2) | instid1(VALU_DEP_1)
	v_rcp_f64_e32 v[182:183], v[180:181]
	s_waitcnt_depctr 0xfff
	v_fma_f64 v[184:185], -v[180:181], v[182:183], 1.0
	v_fma_f64 v[182:183], v[182:183], v[184:185], v[182:183]
	s_delay_alu instid0(VALU_DEP_1) | instskip(NEXT) | instid1(VALU_DEP_1)
	v_fma_f64 v[184:185], -v[180:181], v[182:183], 1.0
	v_fma_f64 v[182:183], v[182:183], v[184:185], v[182:183]
	s_delay_alu instid0(VALU_DEP_1) | instskip(NEXT) | instid1(VALU_DEP_1)
	v_mul_f64 v[184:185], v[186:187], v[182:183]
	v_fma_f64 v[180:181], -v[180:181], v[184:185], v[186:187]
	s_delay_alu instid0(VALU_DEP_1) | instskip(NEXT) | instid1(VALU_DEP_1)
	v_div_fmas_f64 v[180:181], v[180:181], v[182:183], v[184:185]
	v_div_fixup_f64 v[180:181], v[180:181], v[178:179], v[176:177]
	s_delay_alu instid0(VALU_DEP_1) | instskip(NEXT) | instid1(VALU_DEP_1)
	v_fma_f64 v[176:177], v[176:177], v[180:181], v[178:179]
	v_div_scale_f64 v[178:179], null, v[176:177], v[176:177], 1.0
	s_delay_alu instid0(VALU_DEP_1) | instskip(SKIP_2) | instid1(VALU_DEP_1)
	v_rcp_f64_e32 v[182:183], v[178:179]
	s_waitcnt_depctr 0xfff
	v_fma_f64 v[184:185], -v[178:179], v[182:183], 1.0
	v_fma_f64 v[182:183], v[182:183], v[184:185], v[182:183]
	s_delay_alu instid0(VALU_DEP_1) | instskip(NEXT) | instid1(VALU_DEP_1)
	v_fma_f64 v[184:185], -v[178:179], v[182:183], 1.0
	v_fma_f64 v[182:183], v[182:183], v[184:185], v[182:183]
	v_div_scale_f64 v[184:185], vcc_lo, 1.0, v[176:177], 1.0
	s_delay_alu instid0(VALU_DEP_1) | instskip(NEXT) | instid1(VALU_DEP_1)
	v_mul_f64 v[186:187], v[184:185], v[182:183]
	v_fma_f64 v[178:179], -v[178:179], v[186:187], v[184:185]
	s_delay_alu instid0(VALU_DEP_1) | instskip(NEXT) | instid1(VALU_DEP_1)
	v_div_fmas_f64 v[178:179], v[178:179], v[182:183], v[186:187]
	v_div_fixup_f64 v[182:183], v[178:179], v[176:177], 1.0
                                        ; implicit-def: $vgpr176_vgpr177
	s_delay_alu instid0(VALU_DEP_1)
	v_mul_f64 v[184:185], v[180:181], v[182:183]
	v_xor_b32_e32 v183, 0x80000000, v183
.LBB87_50:
	s_and_not1_saveexec_b32 s3, s3
	s_cbranch_execz .LBB87_52
; %bb.51:
	v_div_scale_f64 v[180:181], null, v[176:177], v[176:177], v[178:179]
	v_div_scale_f64 v[186:187], vcc_lo, v[178:179], v[176:177], v[178:179]
	s_delay_alu instid0(VALU_DEP_2) | instskip(SKIP_2) | instid1(VALU_DEP_1)
	v_rcp_f64_e32 v[182:183], v[180:181]
	s_waitcnt_depctr 0xfff
	v_fma_f64 v[184:185], -v[180:181], v[182:183], 1.0
	v_fma_f64 v[182:183], v[182:183], v[184:185], v[182:183]
	s_delay_alu instid0(VALU_DEP_1) | instskip(NEXT) | instid1(VALU_DEP_1)
	v_fma_f64 v[184:185], -v[180:181], v[182:183], 1.0
	v_fma_f64 v[182:183], v[182:183], v[184:185], v[182:183]
	s_delay_alu instid0(VALU_DEP_1) | instskip(NEXT) | instid1(VALU_DEP_1)
	v_mul_f64 v[184:185], v[186:187], v[182:183]
	v_fma_f64 v[180:181], -v[180:181], v[184:185], v[186:187]
	s_delay_alu instid0(VALU_DEP_1) | instskip(NEXT) | instid1(VALU_DEP_1)
	v_div_fmas_f64 v[180:181], v[180:181], v[182:183], v[184:185]
	v_div_fixup_f64 v[180:181], v[180:181], v[176:177], v[178:179]
	s_delay_alu instid0(VALU_DEP_1) | instskip(NEXT) | instid1(VALU_DEP_1)
	v_fma_f64 v[176:177], v[178:179], v[180:181], v[176:177]
	v_div_scale_f64 v[178:179], null, v[176:177], v[176:177], 1.0
	s_delay_alu instid0(VALU_DEP_1) | instskip(SKIP_2) | instid1(VALU_DEP_1)
	v_rcp_f64_e32 v[182:183], v[178:179]
	s_waitcnt_depctr 0xfff
	v_fma_f64 v[184:185], -v[178:179], v[182:183], 1.0
	v_fma_f64 v[182:183], v[182:183], v[184:185], v[182:183]
	s_delay_alu instid0(VALU_DEP_1) | instskip(NEXT) | instid1(VALU_DEP_1)
	v_fma_f64 v[184:185], -v[178:179], v[182:183], 1.0
	v_fma_f64 v[182:183], v[182:183], v[184:185], v[182:183]
	v_div_scale_f64 v[184:185], vcc_lo, 1.0, v[176:177], 1.0
	s_delay_alu instid0(VALU_DEP_1) | instskip(NEXT) | instid1(VALU_DEP_1)
	v_mul_f64 v[186:187], v[184:185], v[182:183]
	v_fma_f64 v[178:179], -v[178:179], v[186:187], v[184:185]
	s_delay_alu instid0(VALU_DEP_1) | instskip(NEXT) | instid1(VALU_DEP_1)
	v_div_fmas_f64 v[178:179], v[178:179], v[182:183], v[186:187]
	v_div_fixup_f64 v[184:185], v[178:179], v[176:177], 1.0
	s_delay_alu instid0(VALU_DEP_1)
	v_mul_f64 v[182:183], v[180:181], -v[184:185]
.LBB87_52:
	s_or_b32 exec_lo, exec_lo, s3
	ds_store_2addr_b64 v195, v[184:185], v[182:183] offset1:1
.LBB87_53:
	s_or_b32 exec_lo, exec_lo, s4
	s_waitcnt lgkmcnt(0)
	s_barrier
	buffer_gl0_inv
	ds_load_2addr_b64 v[176:179], v195 offset1:1
	s_mov_b32 s3, exec_lo
	s_waitcnt lgkmcnt(0)
	scratch_store_b128 off, v[176:179], off offset:304 ; 16-byte Folded Spill
	v_cmpx_lt_u32_e32 5, v194
	s_cbranch_execz .LBB87_55
; %bb.54:
	scratch_load_b128 v[178:181], off, off offset:304 ; 16-byte Folded Reload
	s_waitcnt vmcnt(0)
	v_mul_f64 v[176:177], v[180:181], v[154:155]
	v_mul_f64 v[154:155], v[178:179], v[154:155]
	s_delay_alu instid0(VALU_DEP_2) | instskip(NEXT) | instid1(VALU_DEP_2)
	v_fma_f64 v[176:177], v[178:179], v[152:153], -v[176:177]
	v_fma_f64 v[154:155], v[180:181], v[152:153], v[154:155]
	ds_load_2addr_b64 v[178:181], v196 offset0:12 offset1:13
	s_waitcnt lgkmcnt(0)
	v_mul_f64 v[152:153], v[180:181], v[154:155]
	s_delay_alu instid0(VALU_DEP_1) | instskip(SKIP_1) | instid1(VALU_DEP_2)
	v_fma_f64 v[152:153], v[178:179], v[176:177], -v[152:153]
	v_mul_f64 v[178:179], v[178:179], v[154:155]
	v_add_f64 v[148:149], v[148:149], -v[152:153]
	s_delay_alu instid0(VALU_DEP_2) | instskip(NEXT) | instid1(VALU_DEP_1)
	v_fma_f64 v[178:179], v[180:181], v[176:177], v[178:179]
	v_add_f64 v[150:151], v[150:151], -v[178:179]
	ds_load_2addr_b64 v[178:181], v196 offset0:14 offset1:15
	s_waitcnt lgkmcnt(0)
	v_mul_f64 v[152:153], v[180:181], v[154:155]
	s_delay_alu instid0(VALU_DEP_1) | instskip(SKIP_1) | instid1(VALU_DEP_2)
	v_fma_f64 v[152:153], v[178:179], v[176:177], -v[152:153]
	v_mul_f64 v[178:179], v[178:179], v[154:155]
	v_add_f64 v[144:145], v[144:145], -v[152:153]
	s_delay_alu instid0(VALU_DEP_2) | instskip(NEXT) | instid1(VALU_DEP_1)
	v_fma_f64 v[178:179], v[180:181], v[176:177], v[178:179]
	v_add_f64 v[146:147], v[146:147], -v[178:179]
	;; [unrolled: 10-line block ×37, first 2 shown]
	ds_load_2addr_b64 v[178:181], v196 offset0:86 offset1:87
	s_waitcnt lgkmcnt(0)
	v_mul_f64 v[152:153], v[180:181], v[154:155]
	s_delay_alu instid0(VALU_DEP_1) | instskip(SKIP_1) | instid1(VALU_DEP_2)
	v_fma_f64 v[152:153], v[178:179], v[176:177], -v[152:153]
	v_mul_f64 v[178:179], v[178:179], v[154:155]
	v_add_f64 v[0:1], v[0:1], -v[152:153]
	s_delay_alu instid0(VALU_DEP_2) | instskip(SKIP_1) | instid1(VALU_DEP_2)
	v_fma_f64 v[178:179], v[180:181], v[176:177], v[178:179]
	v_dual_mov_b32 v152, v176 :: v_dual_mov_b32 v153, v177
	v_add_f64 v[2:3], v[2:3], -v[178:179]
.LBB87_55:
	s_or_b32 exec_lo, exec_lo, s3
	s_delay_alu instid0(SALU_CYCLE_1)
	s_mov_b32 s4, exec_lo
	s_waitcnt_vscnt null, 0x0
	s_barrier
	buffer_gl0_inv
	v_cmpx_eq_u32_e32 6, v194
	s_cbranch_execz .LBB87_62
; %bb.56:
	ds_store_2addr_b64 v195, v[148:149], v[150:151] offset1:1
	ds_store_2addr_b64 v196, v[144:145], v[146:147] offset0:14 offset1:15
	ds_store_2addr_b64 v196, v[140:141], v[142:143] offset0:16 offset1:17
	;; [unrolled: 1-line block ×37, first 2 shown]
	ds_load_2addr_b64 v[176:179], v195 offset1:1
	s_waitcnt lgkmcnt(0)
	v_cmp_neq_f64_e32 vcc_lo, 0, v[176:177]
	v_cmp_neq_f64_e64 s3, 0, v[178:179]
	s_delay_alu instid0(VALU_DEP_1) | instskip(NEXT) | instid1(SALU_CYCLE_1)
	s_or_b32 s3, vcc_lo, s3
	s_and_b32 exec_lo, exec_lo, s3
	s_cbranch_execz .LBB87_62
; %bb.57:
	v_cmp_gt_f64_e32 vcc_lo, 0, v[176:177]
	v_xor_b32_e32 v180, 0x80000000, v177
	v_xor_b32_e32 v182, 0x80000000, v179
	s_mov_b32 s3, exec_lo
                                        ; implicit-def: $vgpr184_vgpr185
	s_delay_alu instid0(VALU_DEP_2) | instskip(SKIP_4) | instid1(VALU_DEP_1)
	v_cndmask_b32_e32 v181, v177, v180, vcc_lo
	v_cndmask_b32_e32 v180, v176, v176, vcc_lo
	v_cmp_gt_f64_e32 vcc_lo, 0, v[178:179]
	v_cndmask_b32_e32 v183, v179, v182, vcc_lo
	v_cndmask_b32_e32 v182, v178, v178, vcc_lo
	v_cmpx_ngt_f64_e32 v[180:181], v[182:183]
	s_xor_b32 s3, exec_lo, s3
                                        ; implicit-def: $vgpr180_vgpr181_vgpr182_vgpr183
	s_cbranch_execz .LBB87_59
; %bb.58:
	v_div_scale_f64 v[180:181], null, v[178:179], v[178:179], v[176:177]
	v_div_scale_f64 v[186:187], vcc_lo, v[176:177], v[178:179], v[176:177]
	s_delay_alu instid0(VALU_DEP_2) | instskip(SKIP_2) | instid1(VALU_DEP_1)
	v_rcp_f64_e32 v[182:183], v[180:181]
	s_waitcnt_depctr 0xfff
	v_fma_f64 v[184:185], -v[180:181], v[182:183], 1.0
	v_fma_f64 v[182:183], v[182:183], v[184:185], v[182:183]
	s_delay_alu instid0(VALU_DEP_1) | instskip(NEXT) | instid1(VALU_DEP_1)
	v_fma_f64 v[184:185], -v[180:181], v[182:183], 1.0
	v_fma_f64 v[182:183], v[182:183], v[184:185], v[182:183]
	s_delay_alu instid0(VALU_DEP_1) | instskip(NEXT) | instid1(VALU_DEP_1)
	v_mul_f64 v[184:185], v[186:187], v[182:183]
	v_fma_f64 v[180:181], -v[180:181], v[184:185], v[186:187]
	s_delay_alu instid0(VALU_DEP_1) | instskip(NEXT) | instid1(VALU_DEP_1)
	v_div_fmas_f64 v[180:181], v[180:181], v[182:183], v[184:185]
	v_div_fixup_f64 v[180:181], v[180:181], v[178:179], v[176:177]
	s_delay_alu instid0(VALU_DEP_1) | instskip(NEXT) | instid1(VALU_DEP_1)
	v_fma_f64 v[176:177], v[176:177], v[180:181], v[178:179]
	v_div_scale_f64 v[178:179], null, v[176:177], v[176:177], 1.0
	s_delay_alu instid0(VALU_DEP_1) | instskip(SKIP_2) | instid1(VALU_DEP_1)
	v_rcp_f64_e32 v[182:183], v[178:179]
	s_waitcnt_depctr 0xfff
	v_fma_f64 v[184:185], -v[178:179], v[182:183], 1.0
	v_fma_f64 v[182:183], v[182:183], v[184:185], v[182:183]
	s_delay_alu instid0(VALU_DEP_1) | instskip(NEXT) | instid1(VALU_DEP_1)
	v_fma_f64 v[184:185], -v[178:179], v[182:183], 1.0
	v_fma_f64 v[182:183], v[182:183], v[184:185], v[182:183]
	v_div_scale_f64 v[184:185], vcc_lo, 1.0, v[176:177], 1.0
	s_delay_alu instid0(VALU_DEP_1) | instskip(NEXT) | instid1(VALU_DEP_1)
	v_mul_f64 v[186:187], v[184:185], v[182:183]
	v_fma_f64 v[178:179], -v[178:179], v[186:187], v[184:185]
	s_delay_alu instid0(VALU_DEP_1) | instskip(NEXT) | instid1(VALU_DEP_1)
	v_div_fmas_f64 v[178:179], v[178:179], v[182:183], v[186:187]
	v_div_fixup_f64 v[182:183], v[178:179], v[176:177], 1.0
                                        ; implicit-def: $vgpr176_vgpr177
	s_delay_alu instid0(VALU_DEP_1)
	v_mul_f64 v[184:185], v[180:181], v[182:183]
	v_xor_b32_e32 v183, 0x80000000, v183
.LBB87_59:
	s_and_not1_saveexec_b32 s3, s3
	s_cbranch_execz .LBB87_61
; %bb.60:
	v_div_scale_f64 v[180:181], null, v[176:177], v[176:177], v[178:179]
	v_div_scale_f64 v[186:187], vcc_lo, v[178:179], v[176:177], v[178:179]
	s_delay_alu instid0(VALU_DEP_2) | instskip(SKIP_2) | instid1(VALU_DEP_1)
	v_rcp_f64_e32 v[182:183], v[180:181]
	s_waitcnt_depctr 0xfff
	v_fma_f64 v[184:185], -v[180:181], v[182:183], 1.0
	v_fma_f64 v[182:183], v[182:183], v[184:185], v[182:183]
	s_delay_alu instid0(VALU_DEP_1) | instskip(NEXT) | instid1(VALU_DEP_1)
	v_fma_f64 v[184:185], -v[180:181], v[182:183], 1.0
	v_fma_f64 v[182:183], v[182:183], v[184:185], v[182:183]
	s_delay_alu instid0(VALU_DEP_1) | instskip(NEXT) | instid1(VALU_DEP_1)
	v_mul_f64 v[184:185], v[186:187], v[182:183]
	v_fma_f64 v[180:181], -v[180:181], v[184:185], v[186:187]
	s_delay_alu instid0(VALU_DEP_1) | instskip(NEXT) | instid1(VALU_DEP_1)
	v_div_fmas_f64 v[180:181], v[180:181], v[182:183], v[184:185]
	v_div_fixup_f64 v[180:181], v[180:181], v[176:177], v[178:179]
	s_delay_alu instid0(VALU_DEP_1) | instskip(NEXT) | instid1(VALU_DEP_1)
	v_fma_f64 v[176:177], v[178:179], v[180:181], v[176:177]
	v_div_scale_f64 v[178:179], null, v[176:177], v[176:177], 1.0
	s_delay_alu instid0(VALU_DEP_1) | instskip(SKIP_2) | instid1(VALU_DEP_1)
	v_rcp_f64_e32 v[182:183], v[178:179]
	s_waitcnt_depctr 0xfff
	v_fma_f64 v[184:185], -v[178:179], v[182:183], 1.0
	v_fma_f64 v[182:183], v[182:183], v[184:185], v[182:183]
	s_delay_alu instid0(VALU_DEP_1) | instskip(NEXT) | instid1(VALU_DEP_1)
	v_fma_f64 v[184:185], -v[178:179], v[182:183], 1.0
	v_fma_f64 v[182:183], v[182:183], v[184:185], v[182:183]
	v_div_scale_f64 v[184:185], vcc_lo, 1.0, v[176:177], 1.0
	s_delay_alu instid0(VALU_DEP_1) | instskip(NEXT) | instid1(VALU_DEP_1)
	v_mul_f64 v[186:187], v[184:185], v[182:183]
	v_fma_f64 v[178:179], -v[178:179], v[186:187], v[184:185]
	s_delay_alu instid0(VALU_DEP_1) | instskip(NEXT) | instid1(VALU_DEP_1)
	v_div_fmas_f64 v[178:179], v[178:179], v[182:183], v[186:187]
	v_div_fixup_f64 v[184:185], v[178:179], v[176:177], 1.0
	s_delay_alu instid0(VALU_DEP_1)
	v_mul_f64 v[182:183], v[180:181], -v[184:185]
.LBB87_61:
	s_or_b32 exec_lo, exec_lo, s3
	ds_store_2addr_b64 v195, v[184:185], v[182:183] offset1:1
.LBB87_62:
	s_or_b32 exec_lo, exec_lo, s4
	s_waitcnt lgkmcnt(0)
	s_barrier
	buffer_gl0_inv
	ds_load_2addr_b64 v[176:179], v195 offset1:1
	s_mov_b32 s3, exec_lo
	s_waitcnt lgkmcnt(0)
	scratch_store_b128 off, v[176:179], off offset:320 ; 16-byte Folded Spill
	v_cmpx_lt_u32_e32 6, v194
	s_cbranch_execz .LBB87_64
; %bb.63:
	scratch_load_b128 v[178:181], off, off offset:320 ; 16-byte Folded Reload
	s_waitcnt vmcnt(0)
	v_mul_f64 v[176:177], v[180:181], v[150:151]
	v_mul_f64 v[150:151], v[178:179], v[150:151]
	s_delay_alu instid0(VALU_DEP_2) | instskip(NEXT) | instid1(VALU_DEP_2)
	v_fma_f64 v[176:177], v[178:179], v[148:149], -v[176:177]
	v_fma_f64 v[150:151], v[180:181], v[148:149], v[150:151]
	ds_load_2addr_b64 v[178:181], v196 offset0:14 offset1:15
	s_waitcnt lgkmcnt(0)
	v_mul_f64 v[148:149], v[180:181], v[150:151]
	s_delay_alu instid0(VALU_DEP_1) | instskip(SKIP_1) | instid1(VALU_DEP_2)
	v_fma_f64 v[148:149], v[178:179], v[176:177], -v[148:149]
	v_mul_f64 v[178:179], v[178:179], v[150:151]
	v_add_f64 v[144:145], v[144:145], -v[148:149]
	s_delay_alu instid0(VALU_DEP_2) | instskip(NEXT) | instid1(VALU_DEP_1)
	v_fma_f64 v[178:179], v[180:181], v[176:177], v[178:179]
	v_add_f64 v[146:147], v[146:147], -v[178:179]
	ds_load_2addr_b64 v[178:181], v196 offset0:16 offset1:17
	s_waitcnt lgkmcnt(0)
	v_mul_f64 v[148:149], v[180:181], v[150:151]
	s_delay_alu instid0(VALU_DEP_1) | instskip(SKIP_1) | instid1(VALU_DEP_2)
	v_fma_f64 v[148:149], v[178:179], v[176:177], -v[148:149]
	v_mul_f64 v[178:179], v[178:179], v[150:151]
	v_add_f64 v[140:141], v[140:141], -v[148:149]
	s_delay_alu instid0(VALU_DEP_2) | instskip(NEXT) | instid1(VALU_DEP_1)
	v_fma_f64 v[178:179], v[180:181], v[176:177], v[178:179]
	v_add_f64 v[142:143], v[142:143], -v[178:179]
	;; [unrolled: 10-line block ×36, first 2 shown]
	ds_load_2addr_b64 v[178:181], v196 offset0:86 offset1:87
	s_waitcnt lgkmcnt(0)
	v_mul_f64 v[148:149], v[180:181], v[150:151]
	s_delay_alu instid0(VALU_DEP_1) | instskip(SKIP_1) | instid1(VALU_DEP_2)
	v_fma_f64 v[148:149], v[178:179], v[176:177], -v[148:149]
	v_mul_f64 v[178:179], v[178:179], v[150:151]
	v_add_f64 v[0:1], v[0:1], -v[148:149]
	s_delay_alu instid0(VALU_DEP_2) | instskip(SKIP_1) | instid1(VALU_DEP_2)
	v_fma_f64 v[178:179], v[180:181], v[176:177], v[178:179]
	v_dual_mov_b32 v148, v176 :: v_dual_mov_b32 v149, v177
	v_add_f64 v[2:3], v[2:3], -v[178:179]
.LBB87_64:
	s_or_b32 exec_lo, exec_lo, s3
	s_delay_alu instid0(SALU_CYCLE_1)
	s_mov_b32 s4, exec_lo
	s_waitcnt_vscnt null, 0x0
	s_barrier
	buffer_gl0_inv
	v_cmpx_eq_u32_e32 7, v194
	s_cbranch_execz .LBB87_71
; %bb.65:
	ds_store_2addr_b64 v195, v[144:145], v[146:147] offset1:1
	ds_store_2addr_b64 v196, v[140:141], v[142:143] offset0:16 offset1:17
	ds_store_2addr_b64 v196, v[136:137], v[138:139] offset0:18 offset1:19
	;; [unrolled: 1-line block ×36, first 2 shown]
	ds_load_2addr_b64 v[176:179], v195 offset1:1
	s_waitcnt lgkmcnt(0)
	v_cmp_neq_f64_e32 vcc_lo, 0, v[176:177]
	v_cmp_neq_f64_e64 s3, 0, v[178:179]
	s_delay_alu instid0(VALU_DEP_1) | instskip(NEXT) | instid1(SALU_CYCLE_1)
	s_or_b32 s3, vcc_lo, s3
	s_and_b32 exec_lo, exec_lo, s3
	s_cbranch_execz .LBB87_71
; %bb.66:
	v_cmp_gt_f64_e32 vcc_lo, 0, v[176:177]
	v_xor_b32_e32 v180, 0x80000000, v177
	v_xor_b32_e32 v182, 0x80000000, v179
	s_mov_b32 s3, exec_lo
                                        ; implicit-def: $vgpr184_vgpr185
	s_delay_alu instid0(VALU_DEP_2) | instskip(SKIP_4) | instid1(VALU_DEP_1)
	v_cndmask_b32_e32 v181, v177, v180, vcc_lo
	v_cndmask_b32_e32 v180, v176, v176, vcc_lo
	v_cmp_gt_f64_e32 vcc_lo, 0, v[178:179]
	v_cndmask_b32_e32 v183, v179, v182, vcc_lo
	v_cndmask_b32_e32 v182, v178, v178, vcc_lo
	v_cmpx_ngt_f64_e32 v[180:181], v[182:183]
	s_xor_b32 s3, exec_lo, s3
                                        ; implicit-def: $vgpr180_vgpr181_vgpr182_vgpr183
	s_cbranch_execz .LBB87_68
; %bb.67:
	v_div_scale_f64 v[180:181], null, v[178:179], v[178:179], v[176:177]
	v_div_scale_f64 v[186:187], vcc_lo, v[176:177], v[178:179], v[176:177]
	s_delay_alu instid0(VALU_DEP_2) | instskip(SKIP_2) | instid1(VALU_DEP_1)
	v_rcp_f64_e32 v[182:183], v[180:181]
	s_waitcnt_depctr 0xfff
	v_fma_f64 v[184:185], -v[180:181], v[182:183], 1.0
	v_fma_f64 v[182:183], v[182:183], v[184:185], v[182:183]
	s_delay_alu instid0(VALU_DEP_1) | instskip(NEXT) | instid1(VALU_DEP_1)
	v_fma_f64 v[184:185], -v[180:181], v[182:183], 1.0
	v_fma_f64 v[182:183], v[182:183], v[184:185], v[182:183]
	s_delay_alu instid0(VALU_DEP_1) | instskip(NEXT) | instid1(VALU_DEP_1)
	v_mul_f64 v[184:185], v[186:187], v[182:183]
	v_fma_f64 v[180:181], -v[180:181], v[184:185], v[186:187]
	s_delay_alu instid0(VALU_DEP_1) | instskip(NEXT) | instid1(VALU_DEP_1)
	v_div_fmas_f64 v[180:181], v[180:181], v[182:183], v[184:185]
	v_div_fixup_f64 v[180:181], v[180:181], v[178:179], v[176:177]
	s_delay_alu instid0(VALU_DEP_1) | instskip(NEXT) | instid1(VALU_DEP_1)
	v_fma_f64 v[176:177], v[176:177], v[180:181], v[178:179]
	v_div_scale_f64 v[178:179], null, v[176:177], v[176:177], 1.0
	s_delay_alu instid0(VALU_DEP_1) | instskip(SKIP_2) | instid1(VALU_DEP_1)
	v_rcp_f64_e32 v[182:183], v[178:179]
	s_waitcnt_depctr 0xfff
	v_fma_f64 v[184:185], -v[178:179], v[182:183], 1.0
	v_fma_f64 v[182:183], v[182:183], v[184:185], v[182:183]
	s_delay_alu instid0(VALU_DEP_1) | instskip(NEXT) | instid1(VALU_DEP_1)
	v_fma_f64 v[184:185], -v[178:179], v[182:183], 1.0
	v_fma_f64 v[182:183], v[182:183], v[184:185], v[182:183]
	v_div_scale_f64 v[184:185], vcc_lo, 1.0, v[176:177], 1.0
	s_delay_alu instid0(VALU_DEP_1) | instskip(NEXT) | instid1(VALU_DEP_1)
	v_mul_f64 v[186:187], v[184:185], v[182:183]
	v_fma_f64 v[178:179], -v[178:179], v[186:187], v[184:185]
	s_delay_alu instid0(VALU_DEP_1) | instskip(NEXT) | instid1(VALU_DEP_1)
	v_div_fmas_f64 v[178:179], v[178:179], v[182:183], v[186:187]
	v_div_fixup_f64 v[182:183], v[178:179], v[176:177], 1.0
                                        ; implicit-def: $vgpr176_vgpr177
	s_delay_alu instid0(VALU_DEP_1)
	v_mul_f64 v[184:185], v[180:181], v[182:183]
	v_xor_b32_e32 v183, 0x80000000, v183
.LBB87_68:
	s_and_not1_saveexec_b32 s3, s3
	s_cbranch_execz .LBB87_70
; %bb.69:
	v_div_scale_f64 v[180:181], null, v[176:177], v[176:177], v[178:179]
	v_div_scale_f64 v[186:187], vcc_lo, v[178:179], v[176:177], v[178:179]
	s_delay_alu instid0(VALU_DEP_2) | instskip(SKIP_2) | instid1(VALU_DEP_1)
	v_rcp_f64_e32 v[182:183], v[180:181]
	s_waitcnt_depctr 0xfff
	v_fma_f64 v[184:185], -v[180:181], v[182:183], 1.0
	v_fma_f64 v[182:183], v[182:183], v[184:185], v[182:183]
	s_delay_alu instid0(VALU_DEP_1) | instskip(NEXT) | instid1(VALU_DEP_1)
	v_fma_f64 v[184:185], -v[180:181], v[182:183], 1.0
	v_fma_f64 v[182:183], v[182:183], v[184:185], v[182:183]
	s_delay_alu instid0(VALU_DEP_1) | instskip(NEXT) | instid1(VALU_DEP_1)
	v_mul_f64 v[184:185], v[186:187], v[182:183]
	v_fma_f64 v[180:181], -v[180:181], v[184:185], v[186:187]
	s_delay_alu instid0(VALU_DEP_1) | instskip(NEXT) | instid1(VALU_DEP_1)
	v_div_fmas_f64 v[180:181], v[180:181], v[182:183], v[184:185]
	v_div_fixup_f64 v[180:181], v[180:181], v[176:177], v[178:179]
	s_delay_alu instid0(VALU_DEP_1) | instskip(NEXT) | instid1(VALU_DEP_1)
	v_fma_f64 v[176:177], v[178:179], v[180:181], v[176:177]
	v_div_scale_f64 v[178:179], null, v[176:177], v[176:177], 1.0
	s_delay_alu instid0(VALU_DEP_1) | instskip(SKIP_2) | instid1(VALU_DEP_1)
	v_rcp_f64_e32 v[182:183], v[178:179]
	s_waitcnt_depctr 0xfff
	v_fma_f64 v[184:185], -v[178:179], v[182:183], 1.0
	v_fma_f64 v[182:183], v[182:183], v[184:185], v[182:183]
	s_delay_alu instid0(VALU_DEP_1) | instskip(NEXT) | instid1(VALU_DEP_1)
	v_fma_f64 v[184:185], -v[178:179], v[182:183], 1.0
	v_fma_f64 v[182:183], v[182:183], v[184:185], v[182:183]
	v_div_scale_f64 v[184:185], vcc_lo, 1.0, v[176:177], 1.0
	s_delay_alu instid0(VALU_DEP_1) | instskip(NEXT) | instid1(VALU_DEP_1)
	v_mul_f64 v[186:187], v[184:185], v[182:183]
	v_fma_f64 v[178:179], -v[178:179], v[186:187], v[184:185]
	s_delay_alu instid0(VALU_DEP_1) | instskip(NEXT) | instid1(VALU_DEP_1)
	v_div_fmas_f64 v[178:179], v[178:179], v[182:183], v[186:187]
	v_div_fixup_f64 v[184:185], v[178:179], v[176:177], 1.0
	s_delay_alu instid0(VALU_DEP_1)
	v_mul_f64 v[182:183], v[180:181], -v[184:185]
.LBB87_70:
	s_or_b32 exec_lo, exec_lo, s3
	ds_store_2addr_b64 v195, v[184:185], v[182:183] offset1:1
.LBB87_71:
	s_or_b32 exec_lo, exec_lo, s4
	s_waitcnt lgkmcnt(0)
	s_barrier
	buffer_gl0_inv
	ds_load_2addr_b64 v[176:179], v195 offset1:1
	s_mov_b32 s3, exec_lo
	s_waitcnt lgkmcnt(0)
	scratch_store_b128 off, v[176:179], off offset:336 ; 16-byte Folded Spill
	v_cmpx_lt_u32_e32 7, v194
	s_cbranch_execz .LBB87_73
; %bb.72:
	scratch_load_b128 v[178:181], off, off offset:336 ; 16-byte Folded Reload
	s_waitcnt vmcnt(0)
	v_mul_f64 v[176:177], v[180:181], v[146:147]
	v_mul_f64 v[146:147], v[178:179], v[146:147]
	s_delay_alu instid0(VALU_DEP_2) | instskip(NEXT) | instid1(VALU_DEP_2)
	v_fma_f64 v[176:177], v[178:179], v[144:145], -v[176:177]
	v_fma_f64 v[146:147], v[180:181], v[144:145], v[146:147]
	ds_load_2addr_b64 v[178:181], v196 offset0:16 offset1:17
	s_waitcnt lgkmcnt(0)
	v_mul_f64 v[144:145], v[180:181], v[146:147]
	s_delay_alu instid0(VALU_DEP_1) | instskip(SKIP_1) | instid1(VALU_DEP_2)
	v_fma_f64 v[144:145], v[178:179], v[176:177], -v[144:145]
	v_mul_f64 v[178:179], v[178:179], v[146:147]
	v_add_f64 v[140:141], v[140:141], -v[144:145]
	s_delay_alu instid0(VALU_DEP_2) | instskip(NEXT) | instid1(VALU_DEP_1)
	v_fma_f64 v[178:179], v[180:181], v[176:177], v[178:179]
	v_add_f64 v[142:143], v[142:143], -v[178:179]
	ds_load_2addr_b64 v[178:181], v196 offset0:18 offset1:19
	s_waitcnt lgkmcnt(0)
	v_mul_f64 v[144:145], v[180:181], v[146:147]
	s_delay_alu instid0(VALU_DEP_1) | instskip(SKIP_1) | instid1(VALU_DEP_2)
	v_fma_f64 v[144:145], v[178:179], v[176:177], -v[144:145]
	v_mul_f64 v[178:179], v[178:179], v[146:147]
	v_add_f64 v[136:137], v[136:137], -v[144:145]
	s_delay_alu instid0(VALU_DEP_2) | instskip(NEXT) | instid1(VALU_DEP_1)
	v_fma_f64 v[178:179], v[180:181], v[176:177], v[178:179]
	v_add_f64 v[138:139], v[138:139], -v[178:179]
	;; [unrolled: 10-line block ×35, first 2 shown]
	ds_load_2addr_b64 v[178:181], v196 offset0:86 offset1:87
	s_waitcnt lgkmcnt(0)
	v_mul_f64 v[144:145], v[180:181], v[146:147]
	s_delay_alu instid0(VALU_DEP_1) | instskip(SKIP_1) | instid1(VALU_DEP_2)
	v_fma_f64 v[144:145], v[178:179], v[176:177], -v[144:145]
	v_mul_f64 v[178:179], v[178:179], v[146:147]
	v_add_f64 v[0:1], v[0:1], -v[144:145]
	s_delay_alu instid0(VALU_DEP_2) | instskip(SKIP_1) | instid1(VALU_DEP_2)
	v_fma_f64 v[178:179], v[180:181], v[176:177], v[178:179]
	v_dual_mov_b32 v144, v176 :: v_dual_mov_b32 v145, v177
	v_add_f64 v[2:3], v[2:3], -v[178:179]
.LBB87_73:
	s_or_b32 exec_lo, exec_lo, s3
	s_delay_alu instid0(SALU_CYCLE_1)
	s_mov_b32 s4, exec_lo
	s_waitcnt_vscnt null, 0x0
	s_barrier
	buffer_gl0_inv
	v_cmpx_eq_u32_e32 8, v194
	s_cbranch_execz .LBB87_80
; %bb.74:
	ds_store_2addr_b64 v195, v[140:141], v[142:143] offset1:1
	ds_store_2addr_b64 v196, v[136:137], v[138:139] offset0:18 offset1:19
	ds_store_2addr_b64 v196, v[132:133], v[134:135] offset0:20 offset1:21
	;; [unrolled: 1-line block ×35, first 2 shown]
	ds_load_2addr_b64 v[176:179], v195 offset1:1
	s_waitcnt lgkmcnt(0)
	v_cmp_neq_f64_e32 vcc_lo, 0, v[176:177]
	v_cmp_neq_f64_e64 s3, 0, v[178:179]
	s_delay_alu instid0(VALU_DEP_1) | instskip(NEXT) | instid1(SALU_CYCLE_1)
	s_or_b32 s3, vcc_lo, s3
	s_and_b32 exec_lo, exec_lo, s3
	s_cbranch_execz .LBB87_80
; %bb.75:
	v_cmp_gt_f64_e32 vcc_lo, 0, v[176:177]
	v_xor_b32_e32 v180, 0x80000000, v177
	v_xor_b32_e32 v182, 0x80000000, v179
	s_mov_b32 s3, exec_lo
                                        ; implicit-def: $vgpr184_vgpr185
	s_delay_alu instid0(VALU_DEP_2) | instskip(SKIP_4) | instid1(VALU_DEP_1)
	v_cndmask_b32_e32 v181, v177, v180, vcc_lo
	v_cndmask_b32_e32 v180, v176, v176, vcc_lo
	v_cmp_gt_f64_e32 vcc_lo, 0, v[178:179]
	v_cndmask_b32_e32 v183, v179, v182, vcc_lo
	v_cndmask_b32_e32 v182, v178, v178, vcc_lo
	v_cmpx_ngt_f64_e32 v[180:181], v[182:183]
	s_xor_b32 s3, exec_lo, s3
                                        ; implicit-def: $vgpr180_vgpr181_vgpr182_vgpr183
	s_cbranch_execz .LBB87_77
; %bb.76:
	v_div_scale_f64 v[180:181], null, v[178:179], v[178:179], v[176:177]
	v_div_scale_f64 v[186:187], vcc_lo, v[176:177], v[178:179], v[176:177]
	s_delay_alu instid0(VALU_DEP_2) | instskip(SKIP_2) | instid1(VALU_DEP_1)
	v_rcp_f64_e32 v[182:183], v[180:181]
	s_waitcnt_depctr 0xfff
	v_fma_f64 v[184:185], -v[180:181], v[182:183], 1.0
	v_fma_f64 v[182:183], v[182:183], v[184:185], v[182:183]
	s_delay_alu instid0(VALU_DEP_1) | instskip(NEXT) | instid1(VALU_DEP_1)
	v_fma_f64 v[184:185], -v[180:181], v[182:183], 1.0
	v_fma_f64 v[182:183], v[182:183], v[184:185], v[182:183]
	s_delay_alu instid0(VALU_DEP_1) | instskip(NEXT) | instid1(VALU_DEP_1)
	v_mul_f64 v[184:185], v[186:187], v[182:183]
	v_fma_f64 v[180:181], -v[180:181], v[184:185], v[186:187]
	s_delay_alu instid0(VALU_DEP_1) | instskip(NEXT) | instid1(VALU_DEP_1)
	v_div_fmas_f64 v[180:181], v[180:181], v[182:183], v[184:185]
	v_div_fixup_f64 v[180:181], v[180:181], v[178:179], v[176:177]
	s_delay_alu instid0(VALU_DEP_1) | instskip(NEXT) | instid1(VALU_DEP_1)
	v_fma_f64 v[176:177], v[176:177], v[180:181], v[178:179]
	v_div_scale_f64 v[178:179], null, v[176:177], v[176:177], 1.0
	s_delay_alu instid0(VALU_DEP_1) | instskip(SKIP_2) | instid1(VALU_DEP_1)
	v_rcp_f64_e32 v[182:183], v[178:179]
	s_waitcnt_depctr 0xfff
	v_fma_f64 v[184:185], -v[178:179], v[182:183], 1.0
	v_fma_f64 v[182:183], v[182:183], v[184:185], v[182:183]
	s_delay_alu instid0(VALU_DEP_1) | instskip(NEXT) | instid1(VALU_DEP_1)
	v_fma_f64 v[184:185], -v[178:179], v[182:183], 1.0
	v_fma_f64 v[182:183], v[182:183], v[184:185], v[182:183]
	v_div_scale_f64 v[184:185], vcc_lo, 1.0, v[176:177], 1.0
	s_delay_alu instid0(VALU_DEP_1) | instskip(NEXT) | instid1(VALU_DEP_1)
	v_mul_f64 v[186:187], v[184:185], v[182:183]
	v_fma_f64 v[178:179], -v[178:179], v[186:187], v[184:185]
	s_delay_alu instid0(VALU_DEP_1) | instskip(NEXT) | instid1(VALU_DEP_1)
	v_div_fmas_f64 v[178:179], v[178:179], v[182:183], v[186:187]
	v_div_fixup_f64 v[182:183], v[178:179], v[176:177], 1.0
                                        ; implicit-def: $vgpr176_vgpr177
	s_delay_alu instid0(VALU_DEP_1)
	v_mul_f64 v[184:185], v[180:181], v[182:183]
	v_xor_b32_e32 v183, 0x80000000, v183
.LBB87_77:
	s_and_not1_saveexec_b32 s3, s3
	s_cbranch_execz .LBB87_79
; %bb.78:
	v_div_scale_f64 v[180:181], null, v[176:177], v[176:177], v[178:179]
	v_div_scale_f64 v[186:187], vcc_lo, v[178:179], v[176:177], v[178:179]
	s_delay_alu instid0(VALU_DEP_2) | instskip(SKIP_2) | instid1(VALU_DEP_1)
	v_rcp_f64_e32 v[182:183], v[180:181]
	s_waitcnt_depctr 0xfff
	v_fma_f64 v[184:185], -v[180:181], v[182:183], 1.0
	v_fma_f64 v[182:183], v[182:183], v[184:185], v[182:183]
	s_delay_alu instid0(VALU_DEP_1) | instskip(NEXT) | instid1(VALU_DEP_1)
	v_fma_f64 v[184:185], -v[180:181], v[182:183], 1.0
	v_fma_f64 v[182:183], v[182:183], v[184:185], v[182:183]
	s_delay_alu instid0(VALU_DEP_1) | instskip(NEXT) | instid1(VALU_DEP_1)
	v_mul_f64 v[184:185], v[186:187], v[182:183]
	v_fma_f64 v[180:181], -v[180:181], v[184:185], v[186:187]
	s_delay_alu instid0(VALU_DEP_1) | instskip(NEXT) | instid1(VALU_DEP_1)
	v_div_fmas_f64 v[180:181], v[180:181], v[182:183], v[184:185]
	v_div_fixup_f64 v[180:181], v[180:181], v[176:177], v[178:179]
	s_delay_alu instid0(VALU_DEP_1) | instskip(NEXT) | instid1(VALU_DEP_1)
	v_fma_f64 v[176:177], v[178:179], v[180:181], v[176:177]
	v_div_scale_f64 v[178:179], null, v[176:177], v[176:177], 1.0
	s_delay_alu instid0(VALU_DEP_1) | instskip(SKIP_2) | instid1(VALU_DEP_1)
	v_rcp_f64_e32 v[182:183], v[178:179]
	s_waitcnt_depctr 0xfff
	v_fma_f64 v[184:185], -v[178:179], v[182:183], 1.0
	v_fma_f64 v[182:183], v[182:183], v[184:185], v[182:183]
	s_delay_alu instid0(VALU_DEP_1) | instskip(NEXT) | instid1(VALU_DEP_1)
	v_fma_f64 v[184:185], -v[178:179], v[182:183], 1.0
	v_fma_f64 v[182:183], v[182:183], v[184:185], v[182:183]
	v_div_scale_f64 v[184:185], vcc_lo, 1.0, v[176:177], 1.0
	s_delay_alu instid0(VALU_DEP_1) | instskip(NEXT) | instid1(VALU_DEP_1)
	v_mul_f64 v[186:187], v[184:185], v[182:183]
	v_fma_f64 v[178:179], -v[178:179], v[186:187], v[184:185]
	s_delay_alu instid0(VALU_DEP_1) | instskip(NEXT) | instid1(VALU_DEP_1)
	v_div_fmas_f64 v[178:179], v[178:179], v[182:183], v[186:187]
	v_div_fixup_f64 v[184:185], v[178:179], v[176:177], 1.0
	s_delay_alu instid0(VALU_DEP_1)
	v_mul_f64 v[182:183], v[180:181], -v[184:185]
.LBB87_79:
	s_or_b32 exec_lo, exec_lo, s3
	ds_store_2addr_b64 v195, v[184:185], v[182:183] offset1:1
.LBB87_80:
	s_or_b32 exec_lo, exec_lo, s4
	s_waitcnt lgkmcnt(0)
	s_barrier
	buffer_gl0_inv
	ds_load_2addr_b64 v[176:179], v195 offset1:1
	s_mov_b32 s3, exec_lo
	s_waitcnt lgkmcnt(0)
	scratch_store_b128 off, v[176:179], off offset:352 ; 16-byte Folded Spill
	v_cmpx_lt_u32_e32 8, v194
	s_cbranch_execz .LBB87_82
; %bb.81:
	scratch_load_b128 v[178:181], off, off offset:352 ; 16-byte Folded Reload
	s_waitcnt vmcnt(0)
	v_mul_f64 v[176:177], v[180:181], v[142:143]
	v_mul_f64 v[142:143], v[178:179], v[142:143]
	s_delay_alu instid0(VALU_DEP_2) | instskip(NEXT) | instid1(VALU_DEP_2)
	v_fma_f64 v[176:177], v[178:179], v[140:141], -v[176:177]
	v_fma_f64 v[142:143], v[180:181], v[140:141], v[142:143]
	ds_load_2addr_b64 v[178:181], v196 offset0:18 offset1:19
	s_waitcnt lgkmcnt(0)
	v_mul_f64 v[140:141], v[180:181], v[142:143]
	s_delay_alu instid0(VALU_DEP_1) | instskip(SKIP_1) | instid1(VALU_DEP_2)
	v_fma_f64 v[140:141], v[178:179], v[176:177], -v[140:141]
	v_mul_f64 v[178:179], v[178:179], v[142:143]
	v_add_f64 v[136:137], v[136:137], -v[140:141]
	s_delay_alu instid0(VALU_DEP_2) | instskip(NEXT) | instid1(VALU_DEP_1)
	v_fma_f64 v[178:179], v[180:181], v[176:177], v[178:179]
	v_add_f64 v[138:139], v[138:139], -v[178:179]
	ds_load_2addr_b64 v[178:181], v196 offset0:20 offset1:21
	s_waitcnt lgkmcnt(0)
	v_mul_f64 v[140:141], v[180:181], v[142:143]
	s_delay_alu instid0(VALU_DEP_1) | instskip(SKIP_1) | instid1(VALU_DEP_2)
	v_fma_f64 v[140:141], v[178:179], v[176:177], -v[140:141]
	v_mul_f64 v[178:179], v[178:179], v[142:143]
	v_add_f64 v[132:133], v[132:133], -v[140:141]
	s_delay_alu instid0(VALU_DEP_2) | instskip(NEXT) | instid1(VALU_DEP_1)
	v_fma_f64 v[178:179], v[180:181], v[176:177], v[178:179]
	v_add_f64 v[134:135], v[134:135], -v[178:179]
	ds_load_2addr_b64 v[178:181], v196 offset0:22 offset1:23
	s_waitcnt lgkmcnt(0)
	v_mul_f64 v[140:141], v[180:181], v[142:143]
	s_delay_alu instid0(VALU_DEP_1) | instskip(SKIP_1) | instid1(VALU_DEP_2)
	v_fma_f64 v[140:141], v[178:179], v[176:177], -v[140:141]
	v_mul_f64 v[178:179], v[178:179], v[142:143]
	v_add_f64 v[128:129], v[128:129], -v[140:141]
	s_delay_alu instid0(VALU_DEP_2) | instskip(NEXT) | instid1(VALU_DEP_1)
	v_fma_f64 v[178:179], v[180:181], v[176:177], v[178:179]
	v_add_f64 v[130:131], v[130:131], -v[178:179]
	ds_load_2addr_b64 v[178:181], v196 offset0:24 offset1:25
	s_waitcnt lgkmcnt(0)
	v_mul_f64 v[140:141], v[180:181], v[142:143]
	s_delay_alu instid0(VALU_DEP_1) | instskip(SKIP_1) | instid1(VALU_DEP_2)
	v_fma_f64 v[140:141], v[178:179], v[176:177], -v[140:141]
	v_mul_f64 v[178:179], v[178:179], v[142:143]
	v_add_f64 v[124:125], v[124:125], -v[140:141]
	s_delay_alu instid0(VALU_DEP_2) | instskip(NEXT) | instid1(VALU_DEP_1)
	v_fma_f64 v[178:179], v[180:181], v[176:177], v[178:179]
	v_add_f64 v[126:127], v[126:127], -v[178:179]
	ds_load_2addr_b64 v[178:181], v196 offset0:26 offset1:27
	s_waitcnt lgkmcnt(0)
	v_mul_f64 v[140:141], v[180:181], v[142:143]
	s_delay_alu instid0(VALU_DEP_1) | instskip(SKIP_1) | instid1(VALU_DEP_2)
	v_fma_f64 v[140:141], v[178:179], v[176:177], -v[140:141]
	v_mul_f64 v[178:179], v[178:179], v[142:143]
	v_add_f64 v[120:121], v[120:121], -v[140:141]
	s_delay_alu instid0(VALU_DEP_2) | instskip(NEXT) | instid1(VALU_DEP_1)
	v_fma_f64 v[178:179], v[180:181], v[176:177], v[178:179]
	v_add_f64 v[122:123], v[122:123], -v[178:179]
	ds_load_2addr_b64 v[178:181], v196 offset0:28 offset1:29
	s_waitcnt lgkmcnt(0)
	v_mul_f64 v[140:141], v[180:181], v[142:143]
	s_delay_alu instid0(VALU_DEP_1) | instskip(SKIP_1) | instid1(VALU_DEP_2)
	v_fma_f64 v[140:141], v[178:179], v[176:177], -v[140:141]
	v_mul_f64 v[178:179], v[178:179], v[142:143]
	v_add_f64 v[116:117], v[116:117], -v[140:141]
	s_delay_alu instid0(VALU_DEP_2) | instskip(NEXT) | instid1(VALU_DEP_1)
	v_fma_f64 v[178:179], v[180:181], v[176:177], v[178:179]
	v_add_f64 v[118:119], v[118:119], -v[178:179]
	ds_load_2addr_b64 v[178:181], v196 offset0:30 offset1:31
	s_waitcnt lgkmcnt(0)
	v_mul_f64 v[140:141], v[180:181], v[142:143]
	s_delay_alu instid0(VALU_DEP_1) | instskip(SKIP_1) | instid1(VALU_DEP_2)
	v_fma_f64 v[140:141], v[178:179], v[176:177], -v[140:141]
	v_mul_f64 v[178:179], v[178:179], v[142:143]
	v_add_f64 v[112:113], v[112:113], -v[140:141]
	s_delay_alu instid0(VALU_DEP_2) | instskip(NEXT) | instid1(VALU_DEP_1)
	v_fma_f64 v[178:179], v[180:181], v[176:177], v[178:179]
	v_add_f64 v[114:115], v[114:115], -v[178:179]
	ds_load_2addr_b64 v[178:181], v196 offset0:32 offset1:33
	s_waitcnt lgkmcnt(0)
	v_mul_f64 v[140:141], v[180:181], v[142:143]
	s_delay_alu instid0(VALU_DEP_1) | instskip(SKIP_1) | instid1(VALU_DEP_2)
	v_fma_f64 v[140:141], v[178:179], v[176:177], -v[140:141]
	v_mul_f64 v[178:179], v[178:179], v[142:143]
	v_add_f64 v[108:109], v[108:109], -v[140:141]
	s_delay_alu instid0(VALU_DEP_2) | instskip(NEXT) | instid1(VALU_DEP_1)
	v_fma_f64 v[178:179], v[180:181], v[176:177], v[178:179]
	v_add_f64 v[110:111], v[110:111], -v[178:179]
	ds_load_2addr_b64 v[178:181], v196 offset0:34 offset1:35
	s_waitcnt lgkmcnt(0)
	v_mul_f64 v[140:141], v[180:181], v[142:143]
	s_delay_alu instid0(VALU_DEP_1) | instskip(SKIP_1) | instid1(VALU_DEP_2)
	v_fma_f64 v[140:141], v[178:179], v[176:177], -v[140:141]
	v_mul_f64 v[178:179], v[178:179], v[142:143]
	v_add_f64 v[104:105], v[104:105], -v[140:141]
	s_delay_alu instid0(VALU_DEP_2) | instskip(NEXT) | instid1(VALU_DEP_1)
	v_fma_f64 v[178:179], v[180:181], v[176:177], v[178:179]
	v_add_f64 v[106:107], v[106:107], -v[178:179]
	ds_load_2addr_b64 v[178:181], v196 offset0:36 offset1:37
	s_waitcnt lgkmcnt(0)
	v_mul_f64 v[140:141], v[180:181], v[142:143]
	s_delay_alu instid0(VALU_DEP_1) | instskip(SKIP_1) | instid1(VALU_DEP_2)
	v_fma_f64 v[140:141], v[178:179], v[176:177], -v[140:141]
	v_mul_f64 v[178:179], v[178:179], v[142:143]
	v_add_f64 v[100:101], v[100:101], -v[140:141]
	s_delay_alu instid0(VALU_DEP_2) | instskip(NEXT) | instid1(VALU_DEP_1)
	v_fma_f64 v[178:179], v[180:181], v[176:177], v[178:179]
	v_add_f64 v[102:103], v[102:103], -v[178:179]
	ds_load_2addr_b64 v[178:181], v196 offset0:38 offset1:39
	s_waitcnt lgkmcnt(0)
	v_mul_f64 v[140:141], v[180:181], v[142:143]
	s_delay_alu instid0(VALU_DEP_1) | instskip(SKIP_1) | instid1(VALU_DEP_2)
	v_fma_f64 v[140:141], v[178:179], v[176:177], -v[140:141]
	v_mul_f64 v[178:179], v[178:179], v[142:143]
	v_add_f64 v[96:97], v[96:97], -v[140:141]
	s_delay_alu instid0(VALU_DEP_2) | instskip(NEXT) | instid1(VALU_DEP_1)
	v_fma_f64 v[178:179], v[180:181], v[176:177], v[178:179]
	v_add_f64 v[98:99], v[98:99], -v[178:179]
	ds_load_2addr_b64 v[178:181], v196 offset0:40 offset1:41
	s_waitcnt lgkmcnt(0)
	v_mul_f64 v[140:141], v[180:181], v[142:143]
	s_delay_alu instid0(VALU_DEP_1) | instskip(SKIP_1) | instid1(VALU_DEP_2)
	v_fma_f64 v[140:141], v[178:179], v[176:177], -v[140:141]
	v_mul_f64 v[178:179], v[178:179], v[142:143]
	v_add_f64 v[92:93], v[92:93], -v[140:141]
	s_delay_alu instid0(VALU_DEP_2) | instskip(NEXT) | instid1(VALU_DEP_1)
	v_fma_f64 v[178:179], v[180:181], v[176:177], v[178:179]
	v_add_f64 v[94:95], v[94:95], -v[178:179]
	ds_load_2addr_b64 v[178:181], v196 offset0:42 offset1:43
	s_waitcnt lgkmcnt(0)
	v_mul_f64 v[140:141], v[180:181], v[142:143]
	s_delay_alu instid0(VALU_DEP_1) | instskip(SKIP_1) | instid1(VALU_DEP_2)
	v_fma_f64 v[140:141], v[178:179], v[176:177], -v[140:141]
	v_mul_f64 v[178:179], v[178:179], v[142:143]
	v_add_f64 v[88:89], v[88:89], -v[140:141]
	s_delay_alu instid0(VALU_DEP_2) | instskip(NEXT) | instid1(VALU_DEP_1)
	v_fma_f64 v[178:179], v[180:181], v[176:177], v[178:179]
	v_add_f64 v[90:91], v[90:91], -v[178:179]
	ds_load_2addr_b64 v[178:181], v196 offset0:44 offset1:45
	s_waitcnt lgkmcnt(0)
	v_mul_f64 v[140:141], v[180:181], v[142:143]
	s_delay_alu instid0(VALU_DEP_1) | instskip(SKIP_1) | instid1(VALU_DEP_2)
	v_fma_f64 v[140:141], v[178:179], v[176:177], -v[140:141]
	v_mul_f64 v[178:179], v[178:179], v[142:143]
	v_add_f64 v[84:85], v[84:85], -v[140:141]
	s_delay_alu instid0(VALU_DEP_2) | instskip(NEXT) | instid1(VALU_DEP_1)
	v_fma_f64 v[178:179], v[180:181], v[176:177], v[178:179]
	v_add_f64 v[86:87], v[86:87], -v[178:179]
	ds_load_2addr_b64 v[178:181], v196 offset0:46 offset1:47
	s_waitcnt lgkmcnt(0)
	v_mul_f64 v[140:141], v[180:181], v[142:143]
	s_delay_alu instid0(VALU_DEP_1) | instskip(SKIP_1) | instid1(VALU_DEP_2)
	v_fma_f64 v[140:141], v[178:179], v[176:177], -v[140:141]
	v_mul_f64 v[178:179], v[178:179], v[142:143]
	v_add_f64 v[80:81], v[80:81], -v[140:141]
	s_delay_alu instid0(VALU_DEP_2) | instskip(NEXT) | instid1(VALU_DEP_1)
	v_fma_f64 v[178:179], v[180:181], v[176:177], v[178:179]
	v_add_f64 v[82:83], v[82:83], -v[178:179]
	ds_load_2addr_b64 v[178:181], v196 offset0:48 offset1:49
	s_waitcnt lgkmcnt(0)
	v_mul_f64 v[140:141], v[180:181], v[142:143]
	s_delay_alu instid0(VALU_DEP_1) | instskip(SKIP_1) | instid1(VALU_DEP_2)
	v_fma_f64 v[140:141], v[178:179], v[176:177], -v[140:141]
	v_mul_f64 v[178:179], v[178:179], v[142:143]
	v_add_f64 v[76:77], v[76:77], -v[140:141]
	s_delay_alu instid0(VALU_DEP_2) | instskip(NEXT) | instid1(VALU_DEP_1)
	v_fma_f64 v[178:179], v[180:181], v[176:177], v[178:179]
	v_add_f64 v[78:79], v[78:79], -v[178:179]
	ds_load_2addr_b64 v[178:181], v196 offset0:50 offset1:51
	s_waitcnt lgkmcnt(0)
	v_mul_f64 v[140:141], v[180:181], v[142:143]
	s_delay_alu instid0(VALU_DEP_1) | instskip(SKIP_1) | instid1(VALU_DEP_2)
	v_fma_f64 v[140:141], v[178:179], v[176:177], -v[140:141]
	v_mul_f64 v[178:179], v[178:179], v[142:143]
	v_add_f64 v[72:73], v[72:73], -v[140:141]
	s_delay_alu instid0(VALU_DEP_2) | instskip(NEXT) | instid1(VALU_DEP_1)
	v_fma_f64 v[178:179], v[180:181], v[176:177], v[178:179]
	v_add_f64 v[74:75], v[74:75], -v[178:179]
	ds_load_2addr_b64 v[178:181], v196 offset0:52 offset1:53
	s_waitcnt lgkmcnt(0)
	v_mul_f64 v[140:141], v[180:181], v[142:143]
	s_delay_alu instid0(VALU_DEP_1) | instskip(SKIP_1) | instid1(VALU_DEP_2)
	v_fma_f64 v[140:141], v[178:179], v[176:177], -v[140:141]
	v_mul_f64 v[178:179], v[178:179], v[142:143]
	v_add_f64 v[68:69], v[68:69], -v[140:141]
	s_delay_alu instid0(VALU_DEP_2) | instskip(NEXT) | instid1(VALU_DEP_1)
	v_fma_f64 v[178:179], v[180:181], v[176:177], v[178:179]
	v_add_f64 v[70:71], v[70:71], -v[178:179]
	ds_load_2addr_b64 v[178:181], v196 offset0:54 offset1:55
	s_waitcnt lgkmcnt(0)
	v_mul_f64 v[140:141], v[180:181], v[142:143]
	s_delay_alu instid0(VALU_DEP_1) | instskip(SKIP_1) | instid1(VALU_DEP_2)
	v_fma_f64 v[140:141], v[178:179], v[176:177], -v[140:141]
	v_mul_f64 v[178:179], v[178:179], v[142:143]
	v_add_f64 v[64:65], v[64:65], -v[140:141]
	s_delay_alu instid0(VALU_DEP_2) | instskip(NEXT) | instid1(VALU_DEP_1)
	v_fma_f64 v[178:179], v[180:181], v[176:177], v[178:179]
	v_add_f64 v[66:67], v[66:67], -v[178:179]
	ds_load_2addr_b64 v[178:181], v196 offset0:56 offset1:57
	s_waitcnt lgkmcnt(0)
	v_mul_f64 v[140:141], v[180:181], v[142:143]
	s_delay_alu instid0(VALU_DEP_1) | instskip(SKIP_1) | instid1(VALU_DEP_2)
	v_fma_f64 v[140:141], v[178:179], v[176:177], -v[140:141]
	v_mul_f64 v[178:179], v[178:179], v[142:143]
	v_add_f64 v[60:61], v[60:61], -v[140:141]
	s_delay_alu instid0(VALU_DEP_2) | instskip(NEXT) | instid1(VALU_DEP_1)
	v_fma_f64 v[178:179], v[180:181], v[176:177], v[178:179]
	v_add_f64 v[62:63], v[62:63], -v[178:179]
	ds_load_2addr_b64 v[178:181], v196 offset0:58 offset1:59
	s_waitcnt lgkmcnt(0)
	v_mul_f64 v[140:141], v[180:181], v[142:143]
	s_delay_alu instid0(VALU_DEP_1) | instskip(SKIP_1) | instid1(VALU_DEP_2)
	v_fma_f64 v[140:141], v[178:179], v[176:177], -v[140:141]
	v_mul_f64 v[178:179], v[178:179], v[142:143]
	v_add_f64 v[56:57], v[56:57], -v[140:141]
	s_delay_alu instid0(VALU_DEP_2) | instskip(NEXT) | instid1(VALU_DEP_1)
	v_fma_f64 v[178:179], v[180:181], v[176:177], v[178:179]
	v_add_f64 v[58:59], v[58:59], -v[178:179]
	ds_load_2addr_b64 v[178:181], v196 offset0:60 offset1:61
	s_waitcnt lgkmcnt(0)
	v_mul_f64 v[140:141], v[180:181], v[142:143]
	s_delay_alu instid0(VALU_DEP_1) | instskip(SKIP_1) | instid1(VALU_DEP_2)
	v_fma_f64 v[140:141], v[178:179], v[176:177], -v[140:141]
	v_mul_f64 v[178:179], v[178:179], v[142:143]
	v_add_f64 v[52:53], v[52:53], -v[140:141]
	s_delay_alu instid0(VALU_DEP_2) | instskip(NEXT) | instid1(VALU_DEP_1)
	v_fma_f64 v[178:179], v[180:181], v[176:177], v[178:179]
	v_add_f64 v[54:55], v[54:55], -v[178:179]
	ds_load_2addr_b64 v[178:181], v196 offset0:62 offset1:63
	s_waitcnt lgkmcnt(0)
	v_mul_f64 v[140:141], v[180:181], v[142:143]
	s_delay_alu instid0(VALU_DEP_1) | instskip(SKIP_1) | instid1(VALU_DEP_2)
	v_fma_f64 v[140:141], v[178:179], v[176:177], -v[140:141]
	v_mul_f64 v[178:179], v[178:179], v[142:143]
	v_add_f64 v[48:49], v[48:49], -v[140:141]
	s_delay_alu instid0(VALU_DEP_2) | instskip(NEXT) | instid1(VALU_DEP_1)
	v_fma_f64 v[178:179], v[180:181], v[176:177], v[178:179]
	v_add_f64 v[50:51], v[50:51], -v[178:179]
	ds_load_2addr_b64 v[178:181], v196 offset0:64 offset1:65
	s_waitcnt lgkmcnt(0)
	v_mul_f64 v[140:141], v[180:181], v[142:143]
	s_delay_alu instid0(VALU_DEP_1) | instskip(SKIP_1) | instid1(VALU_DEP_2)
	v_fma_f64 v[140:141], v[178:179], v[176:177], -v[140:141]
	v_mul_f64 v[178:179], v[178:179], v[142:143]
	v_add_f64 v[44:45], v[44:45], -v[140:141]
	s_delay_alu instid0(VALU_DEP_2) | instskip(NEXT) | instid1(VALU_DEP_1)
	v_fma_f64 v[178:179], v[180:181], v[176:177], v[178:179]
	v_add_f64 v[46:47], v[46:47], -v[178:179]
	ds_load_2addr_b64 v[178:181], v196 offset0:66 offset1:67
	s_waitcnt lgkmcnt(0)
	v_mul_f64 v[140:141], v[180:181], v[142:143]
	s_delay_alu instid0(VALU_DEP_1) | instskip(SKIP_1) | instid1(VALU_DEP_2)
	v_fma_f64 v[140:141], v[178:179], v[176:177], -v[140:141]
	v_mul_f64 v[178:179], v[178:179], v[142:143]
	v_add_f64 v[40:41], v[40:41], -v[140:141]
	s_delay_alu instid0(VALU_DEP_2) | instskip(NEXT) | instid1(VALU_DEP_1)
	v_fma_f64 v[178:179], v[180:181], v[176:177], v[178:179]
	v_add_f64 v[42:43], v[42:43], -v[178:179]
	ds_load_2addr_b64 v[178:181], v196 offset0:68 offset1:69
	s_waitcnt lgkmcnt(0)
	v_mul_f64 v[140:141], v[180:181], v[142:143]
	s_delay_alu instid0(VALU_DEP_1) | instskip(SKIP_1) | instid1(VALU_DEP_2)
	v_fma_f64 v[140:141], v[178:179], v[176:177], -v[140:141]
	v_mul_f64 v[178:179], v[178:179], v[142:143]
	v_add_f64 v[36:37], v[36:37], -v[140:141]
	s_delay_alu instid0(VALU_DEP_2) | instskip(NEXT) | instid1(VALU_DEP_1)
	v_fma_f64 v[178:179], v[180:181], v[176:177], v[178:179]
	v_add_f64 v[38:39], v[38:39], -v[178:179]
	ds_load_2addr_b64 v[178:181], v196 offset0:70 offset1:71
	s_waitcnt lgkmcnt(0)
	v_mul_f64 v[140:141], v[180:181], v[142:143]
	s_delay_alu instid0(VALU_DEP_1) | instskip(SKIP_1) | instid1(VALU_DEP_2)
	v_fma_f64 v[140:141], v[178:179], v[176:177], -v[140:141]
	v_mul_f64 v[178:179], v[178:179], v[142:143]
	v_add_f64 v[32:33], v[32:33], -v[140:141]
	s_delay_alu instid0(VALU_DEP_2) | instskip(NEXT) | instid1(VALU_DEP_1)
	v_fma_f64 v[178:179], v[180:181], v[176:177], v[178:179]
	v_add_f64 v[34:35], v[34:35], -v[178:179]
	ds_load_2addr_b64 v[178:181], v196 offset0:72 offset1:73
	s_waitcnt lgkmcnt(0)
	v_mul_f64 v[140:141], v[180:181], v[142:143]
	s_delay_alu instid0(VALU_DEP_1) | instskip(SKIP_1) | instid1(VALU_DEP_2)
	v_fma_f64 v[140:141], v[178:179], v[176:177], -v[140:141]
	v_mul_f64 v[178:179], v[178:179], v[142:143]
	v_add_f64 v[28:29], v[28:29], -v[140:141]
	s_delay_alu instid0(VALU_DEP_2) | instskip(NEXT) | instid1(VALU_DEP_1)
	v_fma_f64 v[178:179], v[180:181], v[176:177], v[178:179]
	v_add_f64 v[30:31], v[30:31], -v[178:179]
	ds_load_2addr_b64 v[178:181], v196 offset0:74 offset1:75
	s_waitcnt lgkmcnt(0)
	v_mul_f64 v[140:141], v[180:181], v[142:143]
	s_delay_alu instid0(VALU_DEP_1) | instskip(SKIP_1) | instid1(VALU_DEP_2)
	v_fma_f64 v[140:141], v[178:179], v[176:177], -v[140:141]
	v_mul_f64 v[178:179], v[178:179], v[142:143]
	v_add_f64 v[24:25], v[24:25], -v[140:141]
	s_delay_alu instid0(VALU_DEP_2) | instskip(NEXT) | instid1(VALU_DEP_1)
	v_fma_f64 v[178:179], v[180:181], v[176:177], v[178:179]
	v_add_f64 v[26:27], v[26:27], -v[178:179]
	ds_load_2addr_b64 v[178:181], v196 offset0:76 offset1:77
	s_waitcnt lgkmcnt(0)
	v_mul_f64 v[140:141], v[180:181], v[142:143]
	s_delay_alu instid0(VALU_DEP_1) | instskip(SKIP_1) | instid1(VALU_DEP_2)
	v_fma_f64 v[140:141], v[178:179], v[176:177], -v[140:141]
	v_mul_f64 v[178:179], v[178:179], v[142:143]
	v_add_f64 v[20:21], v[20:21], -v[140:141]
	s_delay_alu instid0(VALU_DEP_2) | instskip(NEXT) | instid1(VALU_DEP_1)
	v_fma_f64 v[178:179], v[180:181], v[176:177], v[178:179]
	v_add_f64 v[22:23], v[22:23], -v[178:179]
	ds_load_2addr_b64 v[178:181], v196 offset0:78 offset1:79
	s_waitcnt lgkmcnt(0)
	v_mul_f64 v[140:141], v[180:181], v[142:143]
	s_delay_alu instid0(VALU_DEP_1) | instskip(SKIP_1) | instid1(VALU_DEP_2)
	v_fma_f64 v[140:141], v[178:179], v[176:177], -v[140:141]
	v_mul_f64 v[178:179], v[178:179], v[142:143]
	v_add_f64 v[16:17], v[16:17], -v[140:141]
	s_delay_alu instid0(VALU_DEP_2) | instskip(NEXT) | instid1(VALU_DEP_1)
	v_fma_f64 v[178:179], v[180:181], v[176:177], v[178:179]
	v_add_f64 v[18:19], v[18:19], -v[178:179]
	ds_load_2addr_b64 v[178:181], v196 offset0:80 offset1:81
	s_waitcnt lgkmcnt(0)
	v_mul_f64 v[140:141], v[180:181], v[142:143]
	s_delay_alu instid0(VALU_DEP_1) | instskip(SKIP_1) | instid1(VALU_DEP_2)
	v_fma_f64 v[140:141], v[178:179], v[176:177], -v[140:141]
	v_mul_f64 v[178:179], v[178:179], v[142:143]
	v_add_f64 v[12:13], v[12:13], -v[140:141]
	s_delay_alu instid0(VALU_DEP_2) | instskip(NEXT) | instid1(VALU_DEP_1)
	v_fma_f64 v[178:179], v[180:181], v[176:177], v[178:179]
	v_add_f64 v[14:15], v[14:15], -v[178:179]
	ds_load_2addr_b64 v[178:181], v196 offset0:82 offset1:83
	s_waitcnt lgkmcnt(0)
	v_mul_f64 v[140:141], v[180:181], v[142:143]
	s_delay_alu instid0(VALU_DEP_1) | instskip(SKIP_1) | instid1(VALU_DEP_2)
	v_fma_f64 v[140:141], v[178:179], v[176:177], -v[140:141]
	v_mul_f64 v[178:179], v[178:179], v[142:143]
	v_add_f64 v[8:9], v[8:9], -v[140:141]
	s_delay_alu instid0(VALU_DEP_2) | instskip(NEXT) | instid1(VALU_DEP_1)
	v_fma_f64 v[178:179], v[180:181], v[176:177], v[178:179]
	v_add_f64 v[10:11], v[10:11], -v[178:179]
	ds_load_2addr_b64 v[178:181], v196 offset0:84 offset1:85
	s_waitcnt lgkmcnt(0)
	v_mul_f64 v[140:141], v[180:181], v[142:143]
	s_delay_alu instid0(VALU_DEP_1) | instskip(SKIP_1) | instid1(VALU_DEP_2)
	v_fma_f64 v[140:141], v[178:179], v[176:177], -v[140:141]
	v_mul_f64 v[178:179], v[178:179], v[142:143]
	v_add_f64 v[4:5], v[4:5], -v[140:141]
	s_delay_alu instid0(VALU_DEP_2) | instskip(NEXT) | instid1(VALU_DEP_1)
	v_fma_f64 v[178:179], v[180:181], v[176:177], v[178:179]
	v_add_f64 v[6:7], v[6:7], -v[178:179]
	ds_load_2addr_b64 v[178:181], v196 offset0:86 offset1:87
	s_waitcnt lgkmcnt(0)
	v_mul_f64 v[140:141], v[180:181], v[142:143]
	s_delay_alu instid0(VALU_DEP_1) | instskip(SKIP_1) | instid1(VALU_DEP_2)
	v_fma_f64 v[140:141], v[178:179], v[176:177], -v[140:141]
	v_mul_f64 v[178:179], v[178:179], v[142:143]
	v_add_f64 v[0:1], v[0:1], -v[140:141]
	s_delay_alu instid0(VALU_DEP_2) | instskip(SKIP_1) | instid1(VALU_DEP_2)
	v_fma_f64 v[178:179], v[180:181], v[176:177], v[178:179]
	v_dual_mov_b32 v140, v176 :: v_dual_mov_b32 v141, v177
	v_add_f64 v[2:3], v[2:3], -v[178:179]
.LBB87_82:
	s_or_b32 exec_lo, exec_lo, s3
	s_delay_alu instid0(SALU_CYCLE_1)
	s_mov_b32 s4, exec_lo
	s_waitcnt_vscnt null, 0x0
	s_barrier
	buffer_gl0_inv
	v_cmpx_eq_u32_e32 9, v194
	s_cbranch_execz .LBB87_89
; %bb.83:
	ds_store_2addr_b64 v195, v[136:137], v[138:139] offset1:1
	ds_store_2addr_b64 v196, v[132:133], v[134:135] offset0:20 offset1:21
	ds_store_2addr_b64 v196, v[128:129], v[130:131] offset0:22 offset1:23
	;; [unrolled: 1-line block ×34, first 2 shown]
	ds_load_2addr_b64 v[176:179], v195 offset1:1
	s_waitcnt lgkmcnt(0)
	v_cmp_neq_f64_e32 vcc_lo, 0, v[176:177]
	v_cmp_neq_f64_e64 s3, 0, v[178:179]
	s_delay_alu instid0(VALU_DEP_1) | instskip(NEXT) | instid1(SALU_CYCLE_1)
	s_or_b32 s3, vcc_lo, s3
	s_and_b32 exec_lo, exec_lo, s3
	s_cbranch_execz .LBB87_89
; %bb.84:
	v_cmp_gt_f64_e32 vcc_lo, 0, v[176:177]
	v_xor_b32_e32 v180, 0x80000000, v177
	v_xor_b32_e32 v182, 0x80000000, v179
	s_mov_b32 s3, exec_lo
                                        ; implicit-def: $vgpr184_vgpr185
	s_delay_alu instid0(VALU_DEP_2) | instskip(SKIP_4) | instid1(VALU_DEP_1)
	v_cndmask_b32_e32 v181, v177, v180, vcc_lo
	v_cndmask_b32_e32 v180, v176, v176, vcc_lo
	v_cmp_gt_f64_e32 vcc_lo, 0, v[178:179]
	v_cndmask_b32_e32 v183, v179, v182, vcc_lo
	v_cndmask_b32_e32 v182, v178, v178, vcc_lo
	v_cmpx_ngt_f64_e32 v[180:181], v[182:183]
	s_xor_b32 s3, exec_lo, s3
                                        ; implicit-def: $vgpr180_vgpr181_vgpr182_vgpr183
	s_cbranch_execz .LBB87_86
; %bb.85:
	v_div_scale_f64 v[180:181], null, v[178:179], v[178:179], v[176:177]
	v_div_scale_f64 v[186:187], vcc_lo, v[176:177], v[178:179], v[176:177]
	s_delay_alu instid0(VALU_DEP_2) | instskip(SKIP_2) | instid1(VALU_DEP_1)
	v_rcp_f64_e32 v[182:183], v[180:181]
	s_waitcnt_depctr 0xfff
	v_fma_f64 v[184:185], -v[180:181], v[182:183], 1.0
	v_fma_f64 v[182:183], v[182:183], v[184:185], v[182:183]
	s_delay_alu instid0(VALU_DEP_1) | instskip(NEXT) | instid1(VALU_DEP_1)
	v_fma_f64 v[184:185], -v[180:181], v[182:183], 1.0
	v_fma_f64 v[182:183], v[182:183], v[184:185], v[182:183]
	s_delay_alu instid0(VALU_DEP_1) | instskip(NEXT) | instid1(VALU_DEP_1)
	v_mul_f64 v[184:185], v[186:187], v[182:183]
	v_fma_f64 v[180:181], -v[180:181], v[184:185], v[186:187]
	s_delay_alu instid0(VALU_DEP_1) | instskip(NEXT) | instid1(VALU_DEP_1)
	v_div_fmas_f64 v[180:181], v[180:181], v[182:183], v[184:185]
	v_div_fixup_f64 v[180:181], v[180:181], v[178:179], v[176:177]
	s_delay_alu instid0(VALU_DEP_1) | instskip(NEXT) | instid1(VALU_DEP_1)
	v_fma_f64 v[176:177], v[176:177], v[180:181], v[178:179]
	v_div_scale_f64 v[178:179], null, v[176:177], v[176:177], 1.0
	s_delay_alu instid0(VALU_DEP_1) | instskip(SKIP_2) | instid1(VALU_DEP_1)
	v_rcp_f64_e32 v[182:183], v[178:179]
	s_waitcnt_depctr 0xfff
	v_fma_f64 v[184:185], -v[178:179], v[182:183], 1.0
	v_fma_f64 v[182:183], v[182:183], v[184:185], v[182:183]
	s_delay_alu instid0(VALU_DEP_1) | instskip(NEXT) | instid1(VALU_DEP_1)
	v_fma_f64 v[184:185], -v[178:179], v[182:183], 1.0
	v_fma_f64 v[182:183], v[182:183], v[184:185], v[182:183]
	v_div_scale_f64 v[184:185], vcc_lo, 1.0, v[176:177], 1.0
	s_delay_alu instid0(VALU_DEP_1) | instskip(NEXT) | instid1(VALU_DEP_1)
	v_mul_f64 v[186:187], v[184:185], v[182:183]
	v_fma_f64 v[178:179], -v[178:179], v[186:187], v[184:185]
	s_delay_alu instid0(VALU_DEP_1) | instskip(NEXT) | instid1(VALU_DEP_1)
	v_div_fmas_f64 v[178:179], v[178:179], v[182:183], v[186:187]
	v_div_fixup_f64 v[182:183], v[178:179], v[176:177], 1.0
                                        ; implicit-def: $vgpr176_vgpr177
	s_delay_alu instid0(VALU_DEP_1)
	v_mul_f64 v[184:185], v[180:181], v[182:183]
	v_xor_b32_e32 v183, 0x80000000, v183
.LBB87_86:
	s_and_not1_saveexec_b32 s3, s3
	s_cbranch_execz .LBB87_88
; %bb.87:
	v_div_scale_f64 v[180:181], null, v[176:177], v[176:177], v[178:179]
	v_div_scale_f64 v[186:187], vcc_lo, v[178:179], v[176:177], v[178:179]
	s_delay_alu instid0(VALU_DEP_2) | instskip(SKIP_2) | instid1(VALU_DEP_1)
	v_rcp_f64_e32 v[182:183], v[180:181]
	s_waitcnt_depctr 0xfff
	v_fma_f64 v[184:185], -v[180:181], v[182:183], 1.0
	v_fma_f64 v[182:183], v[182:183], v[184:185], v[182:183]
	s_delay_alu instid0(VALU_DEP_1) | instskip(NEXT) | instid1(VALU_DEP_1)
	v_fma_f64 v[184:185], -v[180:181], v[182:183], 1.0
	v_fma_f64 v[182:183], v[182:183], v[184:185], v[182:183]
	s_delay_alu instid0(VALU_DEP_1) | instskip(NEXT) | instid1(VALU_DEP_1)
	v_mul_f64 v[184:185], v[186:187], v[182:183]
	v_fma_f64 v[180:181], -v[180:181], v[184:185], v[186:187]
	s_delay_alu instid0(VALU_DEP_1) | instskip(NEXT) | instid1(VALU_DEP_1)
	v_div_fmas_f64 v[180:181], v[180:181], v[182:183], v[184:185]
	v_div_fixup_f64 v[180:181], v[180:181], v[176:177], v[178:179]
	s_delay_alu instid0(VALU_DEP_1) | instskip(NEXT) | instid1(VALU_DEP_1)
	v_fma_f64 v[176:177], v[178:179], v[180:181], v[176:177]
	v_div_scale_f64 v[178:179], null, v[176:177], v[176:177], 1.0
	s_delay_alu instid0(VALU_DEP_1) | instskip(SKIP_2) | instid1(VALU_DEP_1)
	v_rcp_f64_e32 v[182:183], v[178:179]
	s_waitcnt_depctr 0xfff
	v_fma_f64 v[184:185], -v[178:179], v[182:183], 1.0
	v_fma_f64 v[182:183], v[182:183], v[184:185], v[182:183]
	s_delay_alu instid0(VALU_DEP_1) | instskip(NEXT) | instid1(VALU_DEP_1)
	v_fma_f64 v[184:185], -v[178:179], v[182:183], 1.0
	v_fma_f64 v[182:183], v[182:183], v[184:185], v[182:183]
	v_div_scale_f64 v[184:185], vcc_lo, 1.0, v[176:177], 1.0
	s_delay_alu instid0(VALU_DEP_1) | instskip(NEXT) | instid1(VALU_DEP_1)
	v_mul_f64 v[186:187], v[184:185], v[182:183]
	v_fma_f64 v[178:179], -v[178:179], v[186:187], v[184:185]
	s_delay_alu instid0(VALU_DEP_1) | instskip(NEXT) | instid1(VALU_DEP_1)
	v_div_fmas_f64 v[178:179], v[178:179], v[182:183], v[186:187]
	v_div_fixup_f64 v[184:185], v[178:179], v[176:177], 1.0
	s_delay_alu instid0(VALU_DEP_1)
	v_mul_f64 v[182:183], v[180:181], -v[184:185]
.LBB87_88:
	s_or_b32 exec_lo, exec_lo, s3
	ds_store_2addr_b64 v195, v[184:185], v[182:183] offset1:1
.LBB87_89:
	s_or_b32 exec_lo, exec_lo, s4
	s_waitcnt lgkmcnt(0)
	s_barrier
	buffer_gl0_inv
	ds_load_2addr_b64 v[176:179], v195 offset1:1
	s_mov_b32 s3, exec_lo
	s_waitcnt lgkmcnt(0)
	scratch_store_b128 off, v[176:179], off offset:368 ; 16-byte Folded Spill
	v_cmpx_lt_u32_e32 9, v194
	s_cbranch_execz .LBB87_91
; %bb.90:
	scratch_load_b128 v[178:181], off, off offset:368 ; 16-byte Folded Reload
	s_waitcnt vmcnt(0)
	v_mul_f64 v[176:177], v[180:181], v[138:139]
	v_mul_f64 v[138:139], v[178:179], v[138:139]
	s_delay_alu instid0(VALU_DEP_2) | instskip(NEXT) | instid1(VALU_DEP_2)
	v_fma_f64 v[176:177], v[178:179], v[136:137], -v[176:177]
	v_fma_f64 v[138:139], v[180:181], v[136:137], v[138:139]
	ds_load_2addr_b64 v[178:181], v196 offset0:20 offset1:21
	s_waitcnt lgkmcnt(0)
	v_mul_f64 v[136:137], v[180:181], v[138:139]
	s_delay_alu instid0(VALU_DEP_1) | instskip(SKIP_1) | instid1(VALU_DEP_2)
	v_fma_f64 v[136:137], v[178:179], v[176:177], -v[136:137]
	v_mul_f64 v[178:179], v[178:179], v[138:139]
	v_add_f64 v[132:133], v[132:133], -v[136:137]
	s_delay_alu instid0(VALU_DEP_2) | instskip(NEXT) | instid1(VALU_DEP_1)
	v_fma_f64 v[178:179], v[180:181], v[176:177], v[178:179]
	v_add_f64 v[134:135], v[134:135], -v[178:179]
	ds_load_2addr_b64 v[178:181], v196 offset0:22 offset1:23
	s_waitcnt lgkmcnt(0)
	v_mul_f64 v[136:137], v[180:181], v[138:139]
	s_delay_alu instid0(VALU_DEP_1) | instskip(SKIP_1) | instid1(VALU_DEP_2)
	v_fma_f64 v[136:137], v[178:179], v[176:177], -v[136:137]
	v_mul_f64 v[178:179], v[178:179], v[138:139]
	v_add_f64 v[128:129], v[128:129], -v[136:137]
	s_delay_alu instid0(VALU_DEP_2) | instskip(NEXT) | instid1(VALU_DEP_1)
	v_fma_f64 v[178:179], v[180:181], v[176:177], v[178:179]
	v_add_f64 v[130:131], v[130:131], -v[178:179]
	;; [unrolled: 10-line block ×33, first 2 shown]
	ds_load_2addr_b64 v[178:181], v196 offset0:86 offset1:87
	s_waitcnt lgkmcnt(0)
	v_mul_f64 v[136:137], v[180:181], v[138:139]
	s_delay_alu instid0(VALU_DEP_1) | instskip(SKIP_1) | instid1(VALU_DEP_2)
	v_fma_f64 v[136:137], v[178:179], v[176:177], -v[136:137]
	v_mul_f64 v[178:179], v[178:179], v[138:139]
	v_add_f64 v[0:1], v[0:1], -v[136:137]
	s_delay_alu instid0(VALU_DEP_2) | instskip(SKIP_1) | instid1(VALU_DEP_2)
	v_fma_f64 v[178:179], v[180:181], v[176:177], v[178:179]
	v_dual_mov_b32 v136, v176 :: v_dual_mov_b32 v137, v177
	v_add_f64 v[2:3], v[2:3], -v[178:179]
.LBB87_91:
	s_or_b32 exec_lo, exec_lo, s3
	s_delay_alu instid0(SALU_CYCLE_1)
	s_mov_b32 s4, exec_lo
	s_waitcnt_vscnt null, 0x0
	s_barrier
	buffer_gl0_inv
	v_cmpx_eq_u32_e32 10, v194
	s_cbranch_execz .LBB87_98
; %bb.92:
	ds_store_2addr_b64 v195, v[132:133], v[134:135] offset1:1
	ds_store_2addr_b64 v196, v[128:129], v[130:131] offset0:22 offset1:23
	ds_store_2addr_b64 v196, v[124:125], v[126:127] offset0:24 offset1:25
	;; [unrolled: 1-line block ×33, first 2 shown]
	ds_load_2addr_b64 v[176:179], v195 offset1:1
	s_waitcnt lgkmcnt(0)
	v_cmp_neq_f64_e32 vcc_lo, 0, v[176:177]
	v_cmp_neq_f64_e64 s3, 0, v[178:179]
	s_delay_alu instid0(VALU_DEP_1) | instskip(NEXT) | instid1(SALU_CYCLE_1)
	s_or_b32 s3, vcc_lo, s3
	s_and_b32 exec_lo, exec_lo, s3
	s_cbranch_execz .LBB87_98
; %bb.93:
	v_cmp_gt_f64_e32 vcc_lo, 0, v[176:177]
	v_xor_b32_e32 v180, 0x80000000, v177
	v_xor_b32_e32 v182, 0x80000000, v179
	s_mov_b32 s3, exec_lo
                                        ; implicit-def: $vgpr184_vgpr185
	s_delay_alu instid0(VALU_DEP_2) | instskip(SKIP_4) | instid1(VALU_DEP_1)
	v_cndmask_b32_e32 v181, v177, v180, vcc_lo
	v_cndmask_b32_e32 v180, v176, v176, vcc_lo
	v_cmp_gt_f64_e32 vcc_lo, 0, v[178:179]
	v_cndmask_b32_e32 v183, v179, v182, vcc_lo
	v_cndmask_b32_e32 v182, v178, v178, vcc_lo
	v_cmpx_ngt_f64_e32 v[180:181], v[182:183]
	s_xor_b32 s3, exec_lo, s3
                                        ; implicit-def: $vgpr180_vgpr181_vgpr182_vgpr183
	s_cbranch_execz .LBB87_95
; %bb.94:
	v_div_scale_f64 v[180:181], null, v[178:179], v[178:179], v[176:177]
	v_div_scale_f64 v[186:187], vcc_lo, v[176:177], v[178:179], v[176:177]
	s_delay_alu instid0(VALU_DEP_2) | instskip(SKIP_2) | instid1(VALU_DEP_1)
	v_rcp_f64_e32 v[182:183], v[180:181]
	s_waitcnt_depctr 0xfff
	v_fma_f64 v[184:185], -v[180:181], v[182:183], 1.0
	v_fma_f64 v[182:183], v[182:183], v[184:185], v[182:183]
	s_delay_alu instid0(VALU_DEP_1) | instskip(NEXT) | instid1(VALU_DEP_1)
	v_fma_f64 v[184:185], -v[180:181], v[182:183], 1.0
	v_fma_f64 v[182:183], v[182:183], v[184:185], v[182:183]
	s_delay_alu instid0(VALU_DEP_1) | instskip(NEXT) | instid1(VALU_DEP_1)
	v_mul_f64 v[184:185], v[186:187], v[182:183]
	v_fma_f64 v[180:181], -v[180:181], v[184:185], v[186:187]
	s_delay_alu instid0(VALU_DEP_1) | instskip(NEXT) | instid1(VALU_DEP_1)
	v_div_fmas_f64 v[180:181], v[180:181], v[182:183], v[184:185]
	v_div_fixup_f64 v[180:181], v[180:181], v[178:179], v[176:177]
	s_delay_alu instid0(VALU_DEP_1) | instskip(NEXT) | instid1(VALU_DEP_1)
	v_fma_f64 v[176:177], v[176:177], v[180:181], v[178:179]
	v_div_scale_f64 v[178:179], null, v[176:177], v[176:177], 1.0
	s_delay_alu instid0(VALU_DEP_1) | instskip(SKIP_2) | instid1(VALU_DEP_1)
	v_rcp_f64_e32 v[182:183], v[178:179]
	s_waitcnt_depctr 0xfff
	v_fma_f64 v[184:185], -v[178:179], v[182:183], 1.0
	v_fma_f64 v[182:183], v[182:183], v[184:185], v[182:183]
	s_delay_alu instid0(VALU_DEP_1) | instskip(NEXT) | instid1(VALU_DEP_1)
	v_fma_f64 v[184:185], -v[178:179], v[182:183], 1.0
	v_fma_f64 v[182:183], v[182:183], v[184:185], v[182:183]
	v_div_scale_f64 v[184:185], vcc_lo, 1.0, v[176:177], 1.0
	s_delay_alu instid0(VALU_DEP_1) | instskip(NEXT) | instid1(VALU_DEP_1)
	v_mul_f64 v[186:187], v[184:185], v[182:183]
	v_fma_f64 v[178:179], -v[178:179], v[186:187], v[184:185]
	s_delay_alu instid0(VALU_DEP_1) | instskip(NEXT) | instid1(VALU_DEP_1)
	v_div_fmas_f64 v[178:179], v[178:179], v[182:183], v[186:187]
	v_div_fixup_f64 v[182:183], v[178:179], v[176:177], 1.0
                                        ; implicit-def: $vgpr176_vgpr177
	s_delay_alu instid0(VALU_DEP_1)
	v_mul_f64 v[184:185], v[180:181], v[182:183]
	v_xor_b32_e32 v183, 0x80000000, v183
.LBB87_95:
	s_and_not1_saveexec_b32 s3, s3
	s_cbranch_execz .LBB87_97
; %bb.96:
	v_div_scale_f64 v[180:181], null, v[176:177], v[176:177], v[178:179]
	v_div_scale_f64 v[186:187], vcc_lo, v[178:179], v[176:177], v[178:179]
	s_delay_alu instid0(VALU_DEP_2) | instskip(SKIP_2) | instid1(VALU_DEP_1)
	v_rcp_f64_e32 v[182:183], v[180:181]
	s_waitcnt_depctr 0xfff
	v_fma_f64 v[184:185], -v[180:181], v[182:183], 1.0
	v_fma_f64 v[182:183], v[182:183], v[184:185], v[182:183]
	s_delay_alu instid0(VALU_DEP_1) | instskip(NEXT) | instid1(VALU_DEP_1)
	v_fma_f64 v[184:185], -v[180:181], v[182:183], 1.0
	v_fma_f64 v[182:183], v[182:183], v[184:185], v[182:183]
	s_delay_alu instid0(VALU_DEP_1) | instskip(NEXT) | instid1(VALU_DEP_1)
	v_mul_f64 v[184:185], v[186:187], v[182:183]
	v_fma_f64 v[180:181], -v[180:181], v[184:185], v[186:187]
	s_delay_alu instid0(VALU_DEP_1) | instskip(NEXT) | instid1(VALU_DEP_1)
	v_div_fmas_f64 v[180:181], v[180:181], v[182:183], v[184:185]
	v_div_fixup_f64 v[180:181], v[180:181], v[176:177], v[178:179]
	s_delay_alu instid0(VALU_DEP_1) | instskip(NEXT) | instid1(VALU_DEP_1)
	v_fma_f64 v[176:177], v[178:179], v[180:181], v[176:177]
	v_div_scale_f64 v[178:179], null, v[176:177], v[176:177], 1.0
	s_delay_alu instid0(VALU_DEP_1) | instskip(SKIP_2) | instid1(VALU_DEP_1)
	v_rcp_f64_e32 v[182:183], v[178:179]
	s_waitcnt_depctr 0xfff
	v_fma_f64 v[184:185], -v[178:179], v[182:183], 1.0
	v_fma_f64 v[182:183], v[182:183], v[184:185], v[182:183]
	s_delay_alu instid0(VALU_DEP_1) | instskip(NEXT) | instid1(VALU_DEP_1)
	v_fma_f64 v[184:185], -v[178:179], v[182:183], 1.0
	v_fma_f64 v[182:183], v[182:183], v[184:185], v[182:183]
	v_div_scale_f64 v[184:185], vcc_lo, 1.0, v[176:177], 1.0
	s_delay_alu instid0(VALU_DEP_1) | instskip(NEXT) | instid1(VALU_DEP_1)
	v_mul_f64 v[186:187], v[184:185], v[182:183]
	v_fma_f64 v[178:179], -v[178:179], v[186:187], v[184:185]
	s_delay_alu instid0(VALU_DEP_1) | instskip(NEXT) | instid1(VALU_DEP_1)
	v_div_fmas_f64 v[178:179], v[178:179], v[182:183], v[186:187]
	v_div_fixup_f64 v[184:185], v[178:179], v[176:177], 1.0
	s_delay_alu instid0(VALU_DEP_1)
	v_mul_f64 v[182:183], v[180:181], -v[184:185]
.LBB87_97:
	s_or_b32 exec_lo, exec_lo, s3
	ds_store_2addr_b64 v195, v[184:185], v[182:183] offset1:1
.LBB87_98:
	s_or_b32 exec_lo, exec_lo, s4
	s_waitcnt lgkmcnt(0)
	s_barrier
	buffer_gl0_inv
	ds_load_2addr_b64 v[176:179], v195 offset1:1
	s_mov_b32 s3, exec_lo
	s_waitcnt lgkmcnt(0)
	scratch_store_b128 off, v[176:179], off offset:384 ; 16-byte Folded Spill
	v_cmpx_lt_u32_e32 10, v194
	s_cbranch_execz .LBB87_100
; %bb.99:
	scratch_load_b128 v[178:181], off, off offset:384 ; 16-byte Folded Reload
	s_waitcnt vmcnt(0)
	v_mul_f64 v[176:177], v[180:181], v[134:135]
	v_mul_f64 v[134:135], v[178:179], v[134:135]
	s_delay_alu instid0(VALU_DEP_2) | instskip(NEXT) | instid1(VALU_DEP_2)
	v_fma_f64 v[176:177], v[178:179], v[132:133], -v[176:177]
	v_fma_f64 v[134:135], v[180:181], v[132:133], v[134:135]
	ds_load_2addr_b64 v[178:181], v196 offset0:22 offset1:23
	s_waitcnt lgkmcnt(0)
	v_mul_f64 v[132:133], v[180:181], v[134:135]
	s_delay_alu instid0(VALU_DEP_1) | instskip(SKIP_1) | instid1(VALU_DEP_2)
	v_fma_f64 v[132:133], v[178:179], v[176:177], -v[132:133]
	v_mul_f64 v[178:179], v[178:179], v[134:135]
	v_add_f64 v[128:129], v[128:129], -v[132:133]
	s_delay_alu instid0(VALU_DEP_2) | instskip(NEXT) | instid1(VALU_DEP_1)
	v_fma_f64 v[178:179], v[180:181], v[176:177], v[178:179]
	v_add_f64 v[130:131], v[130:131], -v[178:179]
	ds_load_2addr_b64 v[178:181], v196 offset0:24 offset1:25
	s_waitcnt lgkmcnt(0)
	v_mul_f64 v[132:133], v[180:181], v[134:135]
	s_delay_alu instid0(VALU_DEP_1) | instskip(SKIP_1) | instid1(VALU_DEP_2)
	v_fma_f64 v[132:133], v[178:179], v[176:177], -v[132:133]
	v_mul_f64 v[178:179], v[178:179], v[134:135]
	v_add_f64 v[124:125], v[124:125], -v[132:133]
	s_delay_alu instid0(VALU_DEP_2) | instskip(NEXT) | instid1(VALU_DEP_1)
	v_fma_f64 v[178:179], v[180:181], v[176:177], v[178:179]
	v_add_f64 v[126:127], v[126:127], -v[178:179]
	;; [unrolled: 10-line block ×32, first 2 shown]
	ds_load_2addr_b64 v[178:181], v196 offset0:86 offset1:87
	s_waitcnt lgkmcnt(0)
	v_mul_f64 v[132:133], v[180:181], v[134:135]
	s_delay_alu instid0(VALU_DEP_1) | instskip(SKIP_1) | instid1(VALU_DEP_2)
	v_fma_f64 v[132:133], v[178:179], v[176:177], -v[132:133]
	v_mul_f64 v[178:179], v[178:179], v[134:135]
	v_add_f64 v[0:1], v[0:1], -v[132:133]
	s_delay_alu instid0(VALU_DEP_2) | instskip(SKIP_1) | instid1(VALU_DEP_2)
	v_fma_f64 v[178:179], v[180:181], v[176:177], v[178:179]
	v_dual_mov_b32 v132, v176 :: v_dual_mov_b32 v133, v177
	v_add_f64 v[2:3], v[2:3], -v[178:179]
.LBB87_100:
	s_or_b32 exec_lo, exec_lo, s3
	s_delay_alu instid0(SALU_CYCLE_1)
	s_mov_b32 s4, exec_lo
	s_waitcnt_vscnt null, 0x0
	s_barrier
	buffer_gl0_inv
	v_cmpx_eq_u32_e32 11, v194
	s_cbranch_execz .LBB87_107
; %bb.101:
	ds_store_2addr_b64 v195, v[128:129], v[130:131] offset1:1
	ds_store_2addr_b64 v196, v[124:125], v[126:127] offset0:24 offset1:25
	ds_store_2addr_b64 v196, v[120:121], v[122:123] offset0:26 offset1:27
	;; [unrolled: 1-line block ×32, first 2 shown]
	ds_load_2addr_b64 v[176:179], v195 offset1:1
	s_waitcnt lgkmcnt(0)
	v_cmp_neq_f64_e32 vcc_lo, 0, v[176:177]
	v_cmp_neq_f64_e64 s3, 0, v[178:179]
	s_delay_alu instid0(VALU_DEP_1) | instskip(NEXT) | instid1(SALU_CYCLE_1)
	s_or_b32 s3, vcc_lo, s3
	s_and_b32 exec_lo, exec_lo, s3
	s_cbranch_execz .LBB87_107
; %bb.102:
	v_cmp_gt_f64_e32 vcc_lo, 0, v[176:177]
	v_xor_b32_e32 v180, 0x80000000, v177
	v_xor_b32_e32 v182, 0x80000000, v179
	s_mov_b32 s3, exec_lo
                                        ; implicit-def: $vgpr184_vgpr185
	s_delay_alu instid0(VALU_DEP_2) | instskip(SKIP_4) | instid1(VALU_DEP_1)
	v_cndmask_b32_e32 v181, v177, v180, vcc_lo
	v_cndmask_b32_e32 v180, v176, v176, vcc_lo
	v_cmp_gt_f64_e32 vcc_lo, 0, v[178:179]
	v_cndmask_b32_e32 v183, v179, v182, vcc_lo
	v_cndmask_b32_e32 v182, v178, v178, vcc_lo
	v_cmpx_ngt_f64_e32 v[180:181], v[182:183]
	s_xor_b32 s3, exec_lo, s3
                                        ; implicit-def: $vgpr180_vgpr181_vgpr182_vgpr183
	s_cbranch_execz .LBB87_104
; %bb.103:
	v_div_scale_f64 v[180:181], null, v[178:179], v[178:179], v[176:177]
	v_div_scale_f64 v[186:187], vcc_lo, v[176:177], v[178:179], v[176:177]
	s_delay_alu instid0(VALU_DEP_2) | instskip(SKIP_2) | instid1(VALU_DEP_1)
	v_rcp_f64_e32 v[182:183], v[180:181]
	s_waitcnt_depctr 0xfff
	v_fma_f64 v[184:185], -v[180:181], v[182:183], 1.0
	v_fma_f64 v[182:183], v[182:183], v[184:185], v[182:183]
	s_delay_alu instid0(VALU_DEP_1) | instskip(NEXT) | instid1(VALU_DEP_1)
	v_fma_f64 v[184:185], -v[180:181], v[182:183], 1.0
	v_fma_f64 v[182:183], v[182:183], v[184:185], v[182:183]
	s_delay_alu instid0(VALU_DEP_1) | instskip(NEXT) | instid1(VALU_DEP_1)
	v_mul_f64 v[184:185], v[186:187], v[182:183]
	v_fma_f64 v[180:181], -v[180:181], v[184:185], v[186:187]
	s_delay_alu instid0(VALU_DEP_1) | instskip(NEXT) | instid1(VALU_DEP_1)
	v_div_fmas_f64 v[180:181], v[180:181], v[182:183], v[184:185]
	v_div_fixup_f64 v[180:181], v[180:181], v[178:179], v[176:177]
	s_delay_alu instid0(VALU_DEP_1) | instskip(NEXT) | instid1(VALU_DEP_1)
	v_fma_f64 v[176:177], v[176:177], v[180:181], v[178:179]
	v_div_scale_f64 v[178:179], null, v[176:177], v[176:177], 1.0
	s_delay_alu instid0(VALU_DEP_1) | instskip(SKIP_2) | instid1(VALU_DEP_1)
	v_rcp_f64_e32 v[182:183], v[178:179]
	s_waitcnt_depctr 0xfff
	v_fma_f64 v[184:185], -v[178:179], v[182:183], 1.0
	v_fma_f64 v[182:183], v[182:183], v[184:185], v[182:183]
	s_delay_alu instid0(VALU_DEP_1) | instskip(NEXT) | instid1(VALU_DEP_1)
	v_fma_f64 v[184:185], -v[178:179], v[182:183], 1.0
	v_fma_f64 v[182:183], v[182:183], v[184:185], v[182:183]
	v_div_scale_f64 v[184:185], vcc_lo, 1.0, v[176:177], 1.0
	s_delay_alu instid0(VALU_DEP_1) | instskip(NEXT) | instid1(VALU_DEP_1)
	v_mul_f64 v[186:187], v[184:185], v[182:183]
	v_fma_f64 v[178:179], -v[178:179], v[186:187], v[184:185]
	s_delay_alu instid0(VALU_DEP_1) | instskip(NEXT) | instid1(VALU_DEP_1)
	v_div_fmas_f64 v[178:179], v[178:179], v[182:183], v[186:187]
	v_div_fixup_f64 v[182:183], v[178:179], v[176:177], 1.0
                                        ; implicit-def: $vgpr176_vgpr177
	s_delay_alu instid0(VALU_DEP_1)
	v_mul_f64 v[184:185], v[180:181], v[182:183]
	v_xor_b32_e32 v183, 0x80000000, v183
.LBB87_104:
	s_and_not1_saveexec_b32 s3, s3
	s_cbranch_execz .LBB87_106
; %bb.105:
	v_div_scale_f64 v[180:181], null, v[176:177], v[176:177], v[178:179]
	v_div_scale_f64 v[186:187], vcc_lo, v[178:179], v[176:177], v[178:179]
	s_delay_alu instid0(VALU_DEP_2) | instskip(SKIP_2) | instid1(VALU_DEP_1)
	v_rcp_f64_e32 v[182:183], v[180:181]
	s_waitcnt_depctr 0xfff
	v_fma_f64 v[184:185], -v[180:181], v[182:183], 1.0
	v_fma_f64 v[182:183], v[182:183], v[184:185], v[182:183]
	s_delay_alu instid0(VALU_DEP_1) | instskip(NEXT) | instid1(VALU_DEP_1)
	v_fma_f64 v[184:185], -v[180:181], v[182:183], 1.0
	v_fma_f64 v[182:183], v[182:183], v[184:185], v[182:183]
	s_delay_alu instid0(VALU_DEP_1) | instskip(NEXT) | instid1(VALU_DEP_1)
	v_mul_f64 v[184:185], v[186:187], v[182:183]
	v_fma_f64 v[180:181], -v[180:181], v[184:185], v[186:187]
	s_delay_alu instid0(VALU_DEP_1) | instskip(NEXT) | instid1(VALU_DEP_1)
	v_div_fmas_f64 v[180:181], v[180:181], v[182:183], v[184:185]
	v_div_fixup_f64 v[180:181], v[180:181], v[176:177], v[178:179]
	s_delay_alu instid0(VALU_DEP_1) | instskip(NEXT) | instid1(VALU_DEP_1)
	v_fma_f64 v[176:177], v[178:179], v[180:181], v[176:177]
	v_div_scale_f64 v[178:179], null, v[176:177], v[176:177], 1.0
	s_delay_alu instid0(VALU_DEP_1) | instskip(SKIP_2) | instid1(VALU_DEP_1)
	v_rcp_f64_e32 v[182:183], v[178:179]
	s_waitcnt_depctr 0xfff
	v_fma_f64 v[184:185], -v[178:179], v[182:183], 1.0
	v_fma_f64 v[182:183], v[182:183], v[184:185], v[182:183]
	s_delay_alu instid0(VALU_DEP_1) | instskip(NEXT) | instid1(VALU_DEP_1)
	v_fma_f64 v[184:185], -v[178:179], v[182:183], 1.0
	v_fma_f64 v[182:183], v[182:183], v[184:185], v[182:183]
	v_div_scale_f64 v[184:185], vcc_lo, 1.0, v[176:177], 1.0
	s_delay_alu instid0(VALU_DEP_1) | instskip(NEXT) | instid1(VALU_DEP_1)
	v_mul_f64 v[186:187], v[184:185], v[182:183]
	v_fma_f64 v[178:179], -v[178:179], v[186:187], v[184:185]
	s_delay_alu instid0(VALU_DEP_1) | instskip(NEXT) | instid1(VALU_DEP_1)
	v_div_fmas_f64 v[178:179], v[178:179], v[182:183], v[186:187]
	v_div_fixup_f64 v[184:185], v[178:179], v[176:177], 1.0
	s_delay_alu instid0(VALU_DEP_1)
	v_mul_f64 v[182:183], v[180:181], -v[184:185]
.LBB87_106:
	s_or_b32 exec_lo, exec_lo, s3
	ds_store_2addr_b64 v195, v[184:185], v[182:183] offset1:1
.LBB87_107:
	s_or_b32 exec_lo, exec_lo, s4
	s_waitcnt lgkmcnt(0)
	s_barrier
	buffer_gl0_inv
	ds_load_2addr_b64 v[176:179], v195 offset1:1
	s_mov_b32 s3, exec_lo
	s_waitcnt lgkmcnt(0)
	scratch_store_b128 off, v[176:179], off offset:400 ; 16-byte Folded Spill
	v_cmpx_lt_u32_e32 11, v194
	s_cbranch_execz .LBB87_109
; %bb.108:
	scratch_load_b128 v[178:181], off, off offset:400 ; 16-byte Folded Reload
	s_waitcnt vmcnt(0)
	v_mul_f64 v[176:177], v[180:181], v[130:131]
	v_mul_f64 v[130:131], v[178:179], v[130:131]
	s_delay_alu instid0(VALU_DEP_2) | instskip(NEXT) | instid1(VALU_DEP_2)
	v_fma_f64 v[176:177], v[178:179], v[128:129], -v[176:177]
	v_fma_f64 v[130:131], v[180:181], v[128:129], v[130:131]
	ds_load_2addr_b64 v[178:181], v196 offset0:24 offset1:25
	s_waitcnt lgkmcnt(0)
	v_mul_f64 v[128:129], v[180:181], v[130:131]
	s_delay_alu instid0(VALU_DEP_1) | instskip(SKIP_1) | instid1(VALU_DEP_2)
	v_fma_f64 v[128:129], v[178:179], v[176:177], -v[128:129]
	v_mul_f64 v[178:179], v[178:179], v[130:131]
	v_add_f64 v[124:125], v[124:125], -v[128:129]
	s_delay_alu instid0(VALU_DEP_2) | instskip(NEXT) | instid1(VALU_DEP_1)
	v_fma_f64 v[178:179], v[180:181], v[176:177], v[178:179]
	v_add_f64 v[126:127], v[126:127], -v[178:179]
	ds_load_2addr_b64 v[178:181], v196 offset0:26 offset1:27
	s_waitcnt lgkmcnt(0)
	v_mul_f64 v[128:129], v[180:181], v[130:131]
	s_delay_alu instid0(VALU_DEP_1) | instskip(SKIP_1) | instid1(VALU_DEP_2)
	v_fma_f64 v[128:129], v[178:179], v[176:177], -v[128:129]
	v_mul_f64 v[178:179], v[178:179], v[130:131]
	v_add_f64 v[120:121], v[120:121], -v[128:129]
	s_delay_alu instid0(VALU_DEP_2) | instskip(NEXT) | instid1(VALU_DEP_1)
	v_fma_f64 v[178:179], v[180:181], v[176:177], v[178:179]
	v_add_f64 v[122:123], v[122:123], -v[178:179]
	;; [unrolled: 10-line block ×31, first 2 shown]
	ds_load_2addr_b64 v[178:181], v196 offset0:86 offset1:87
	s_waitcnt lgkmcnt(0)
	v_mul_f64 v[128:129], v[180:181], v[130:131]
	s_delay_alu instid0(VALU_DEP_1) | instskip(SKIP_1) | instid1(VALU_DEP_2)
	v_fma_f64 v[128:129], v[178:179], v[176:177], -v[128:129]
	v_mul_f64 v[178:179], v[178:179], v[130:131]
	v_add_f64 v[0:1], v[0:1], -v[128:129]
	s_delay_alu instid0(VALU_DEP_2) | instskip(SKIP_1) | instid1(VALU_DEP_2)
	v_fma_f64 v[178:179], v[180:181], v[176:177], v[178:179]
	v_dual_mov_b32 v128, v176 :: v_dual_mov_b32 v129, v177
	v_add_f64 v[2:3], v[2:3], -v[178:179]
.LBB87_109:
	s_or_b32 exec_lo, exec_lo, s3
	s_delay_alu instid0(SALU_CYCLE_1)
	s_mov_b32 s4, exec_lo
	s_waitcnt_vscnt null, 0x0
	s_barrier
	buffer_gl0_inv
	v_cmpx_eq_u32_e32 12, v194
	s_cbranch_execz .LBB87_116
; %bb.110:
	ds_store_2addr_b64 v195, v[124:125], v[126:127] offset1:1
	ds_store_2addr_b64 v196, v[120:121], v[122:123] offset0:26 offset1:27
	ds_store_2addr_b64 v196, v[116:117], v[118:119] offset0:28 offset1:29
	ds_store_2addr_b64 v196, v[112:113], v[114:115] offset0:30 offset1:31
	ds_store_2addr_b64 v196, v[108:109], v[110:111] offset0:32 offset1:33
	ds_store_2addr_b64 v196, v[104:105], v[106:107] offset0:34 offset1:35
	ds_store_2addr_b64 v196, v[100:101], v[102:103] offset0:36 offset1:37
	ds_store_2addr_b64 v196, v[96:97], v[98:99] offset0:38 offset1:39
	ds_store_2addr_b64 v196, v[92:93], v[94:95] offset0:40 offset1:41
	ds_store_2addr_b64 v196, v[88:89], v[90:91] offset0:42 offset1:43
	ds_store_2addr_b64 v196, v[84:85], v[86:87] offset0:44 offset1:45
	ds_store_2addr_b64 v196, v[80:81], v[82:83] offset0:46 offset1:47
	ds_store_2addr_b64 v196, v[76:77], v[78:79] offset0:48 offset1:49
	ds_store_2addr_b64 v196, v[72:73], v[74:75] offset0:50 offset1:51
	ds_store_2addr_b64 v196, v[68:69], v[70:71] offset0:52 offset1:53
	ds_store_2addr_b64 v196, v[64:65], v[66:67] offset0:54 offset1:55
	ds_store_2addr_b64 v196, v[60:61], v[62:63] offset0:56 offset1:57
	ds_store_2addr_b64 v196, v[56:57], v[58:59] offset0:58 offset1:59
	ds_store_2addr_b64 v196, v[52:53], v[54:55] offset0:60 offset1:61
	ds_store_2addr_b64 v196, v[48:49], v[50:51] offset0:62 offset1:63
	ds_store_2addr_b64 v196, v[44:45], v[46:47] offset0:64 offset1:65
	ds_store_2addr_b64 v196, v[40:41], v[42:43] offset0:66 offset1:67
	ds_store_2addr_b64 v196, v[36:37], v[38:39] offset0:68 offset1:69
	ds_store_2addr_b64 v196, v[32:33], v[34:35] offset0:70 offset1:71
	ds_store_2addr_b64 v196, v[28:29], v[30:31] offset0:72 offset1:73
	ds_store_2addr_b64 v196, v[24:25], v[26:27] offset0:74 offset1:75
	ds_store_2addr_b64 v196, v[20:21], v[22:23] offset0:76 offset1:77
	ds_store_2addr_b64 v196, v[16:17], v[18:19] offset0:78 offset1:79
	ds_store_2addr_b64 v196, v[12:13], v[14:15] offset0:80 offset1:81
	ds_store_2addr_b64 v196, v[8:9], v[10:11] offset0:82 offset1:83
	ds_store_2addr_b64 v196, v[4:5], v[6:7] offset0:84 offset1:85
	ds_store_2addr_b64 v196, v[0:1], v[2:3] offset0:86 offset1:87
	ds_load_2addr_b64 v[176:179], v195 offset1:1
	s_waitcnt lgkmcnt(0)
	v_cmp_neq_f64_e32 vcc_lo, 0, v[176:177]
	v_cmp_neq_f64_e64 s3, 0, v[178:179]
	s_delay_alu instid0(VALU_DEP_1) | instskip(NEXT) | instid1(SALU_CYCLE_1)
	s_or_b32 s3, vcc_lo, s3
	s_and_b32 exec_lo, exec_lo, s3
	s_cbranch_execz .LBB87_116
; %bb.111:
	v_cmp_gt_f64_e32 vcc_lo, 0, v[176:177]
	v_xor_b32_e32 v180, 0x80000000, v177
	v_xor_b32_e32 v182, 0x80000000, v179
	s_mov_b32 s3, exec_lo
                                        ; implicit-def: $vgpr184_vgpr185
	s_delay_alu instid0(VALU_DEP_2) | instskip(SKIP_4) | instid1(VALU_DEP_1)
	v_cndmask_b32_e32 v181, v177, v180, vcc_lo
	v_cndmask_b32_e32 v180, v176, v176, vcc_lo
	v_cmp_gt_f64_e32 vcc_lo, 0, v[178:179]
	v_cndmask_b32_e32 v183, v179, v182, vcc_lo
	v_cndmask_b32_e32 v182, v178, v178, vcc_lo
	v_cmpx_ngt_f64_e32 v[180:181], v[182:183]
	s_xor_b32 s3, exec_lo, s3
                                        ; implicit-def: $vgpr180_vgpr181_vgpr182_vgpr183
	s_cbranch_execz .LBB87_113
; %bb.112:
	v_div_scale_f64 v[180:181], null, v[178:179], v[178:179], v[176:177]
	v_div_scale_f64 v[186:187], vcc_lo, v[176:177], v[178:179], v[176:177]
	s_delay_alu instid0(VALU_DEP_2) | instskip(SKIP_2) | instid1(VALU_DEP_1)
	v_rcp_f64_e32 v[182:183], v[180:181]
	s_waitcnt_depctr 0xfff
	v_fma_f64 v[184:185], -v[180:181], v[182:183], 1.0
	v_fma_f64 v[182:183], v[182:183], v[184:185], v[182:183]
	s_delay_alu instid0(VALU_DEP_1) | instskip(NEXT) | instid1(VALU_DEP_1)
	v_fma_f64 v[184:185], -v[180:181], v[182:183], 1.0
	v_fma_f64 v[182:183], v[182:183], v[184:185], v[182:183]
	s_delay_alu instid0(VALU_DEP_1) | instskip(NEXT) | instid1(VALU_DEP_1)
	v_mul_f64 v[184:185], v[186:187], v[182:183]
	v_fma_f64 v[180:181], -v[180:181], v[184:185], v[186:187]
	s_delay_alu instid0(VALU_DEP_1) | instskip(NEXT) | instid1(VALU_DEP_1)
	v_div_fmas_f64 v[180:181], v[180:181], v[182:183], v[184:185]
	v_div_fixup_f64 v[180:181], v[180:181], v[178:179], v[176:177]
	s_delay_alu instid0(VALU_DEP_1) | instskip(NEXT) | instid1(VALU_DEP_1)
	v_fma_f64 v[176:177], v[176:177], v[180:181], v[178:179]
	v_div_scale_f64 v[178:179], null, v[176:177], v[176:177], 1.0
	s_delay_alu instid0(VALU_DEP_1) | instskip(SKIP_2) | instid1(VALU_DEP_1)
	v_rcp_f64_e32 v[182:183], v[178:179]
	s_waitcnt_depctr 0xfff
	v_fma_f64 v[184:185], -v[178:179], v[182:183], 1.0
	v_fma_f64 v[182:183], v[182:183], v[184:185], v[182:183]
	s_delay_alu instid0(VALU_DEP_1) | instskip(NEXT) | instid1(VALU_DEP_1)
	v_fma_f64 v[184:185], -v[178:179], v[182:183], 1.0
	v_fma_f64 v[182:183], v[182:183], v[184:185], v[182:183]
	v_div_scale_f64 v[184:185], vcc_lo, 1.0, v[176:177], 1.0
	s_delay_alu instid0(VALU_DEP_1) | instskip(NEXT) | instid1(VALU_DEP_1)
	v_mul_f64 v[186:187], v[184:185], v[182:183]
	v_fma_f64 v[178:179], -v[178:179], v[186:187], v[184:185]
	s_delay_alu instid0(VALU_DEP_1) | instskip(NEXT) | instid1(VALU_DEP_1)
	v_div_fmas_f64 v[178:179], v[178:179], v[182:183], v[186:187]
	v_div_fixup_f64 v[182:183], v[178:179], v[176:177], 1.0
                                        ; implicit-def: $vgpr176_vgpr177
	s_delay_alu instid0(VALU_DEP_1)
	v_mul_f64 v[184:185], v[180:181], v[182:183]
	v_xor_b32_e32 v183, 0x80000000, v183
.LBB87_113:
	s_and_not1_saveexec_b32 s3, s3
	s_cbranch_execz .LBB87_115
; %bb.114:
	v_div_scale_f64 v[180:181], null, v[176:177], v[176:177], v[178:179]
	v_div_scale_f64 v[186:187], vcc_lo, v[178:179], v[176:177], v[178:179]
	s_delay_alu instid0(VALU_DEP_2) | instskip(SKIP_2) | instid1(VALU_DEP_1)
	v_rcp_f64_e32 v[182:183], v[180:181]
	s_waitcnt_depctr 0xfff
	v_fma_f64 v[184:185], -v[180:181], v[182:183], 1.0
	v_fma_f64 v[182:183], v[182:183], v[184:185], v[182:183]
	s_delay_alu instid0(VALU_DEP_1) | instskip(NEXT) | instid1(VALU_DEP_1)
	v_fma_f64 v[184:185], -v[180:181], v[182:183], 1.0
	v_fma_f64 v[182:183], v[182:183], v[184:185], v[182:183]
	s_delay_alu instid0(VALU_DEP_1) | instskip(NEXT) | instid1(VALU_DEP_1)
	v_mul_f64 v[184:185], v[186:187], v[182:183]
	v_fma_f64 v[180:181], -v[180:181], v[184:185], v[186:187]
	s_delay_alu instid0(VALU_DEP_1) | instskip(NEXT) | instid1(VALU_DEP_1)
	v_div_fmas_f64 v[180:181], v[180:181], v[182:183], v[184:185]
	v_div_fixup_f64 v[180:181], v[180:181], v[176:177], v[178:179]
	s_delay_alu instid0(VALU_DEP_1) | instskip(NEXT) | instid1(VALU_DEP_1)
	v_fma_f64 v[176:177], v[178:179], v[180:181], v[176:177]
	v_div_scale_f64 v[178:179], null, v[176:177], v[176:177], 1.0
	s_delay_alu instid0(VALU_DEP_1) | instskip(SKIP_2) | instid1(VALU_DEP_1)
	v_rcp_f64_e32 v[182:183], v[178:179]
	s_waitcnt_depctr 0xfff
	v_fma_f64 v[184:185], -v[178:179], v[182:183], 1.0
	v_fma_f64 v[182:183], v[182:183], v[184:185], v[182:183]
	s_delay_alu instid0(VALU_DEP_1) | instskip(NEXT) | instid1(VALU_DEP_1)
	v_fma_f64 v[184:185], -v[178:179], v[182:183], 1.0
	v_fma_f64 v[182:183], v[182:183], v[184:185], v[182:183]
	v_div_scale_f64 v[184:185], vcc_lo, 1.0, v[176:177], 1.0
	s_delay_alu instid0(VALU_DEP_1) | instskip(NEXT) | instid1(VALU_DEP_1)
	v_mul_f64 v[186:187], v[184:185], v[182:183]
	v_fma_f64 v[178:179], -v[178:179], v[186:187], v[184:185]
	s_delay_alu instid0(VALU_DEP_1) | instskip(NEXT) | instid1(VALU_DEP_1)
	v_div_fmas_f64 v[178:179], v[178:179], v[182:183], v[186:187]
	v_div_fixup_f64 v[184:185], v[178:179], v[176:177], 1.0
	s_delay_alu instid0(VALU_DEP_1)
	v_mul_f64 v[182:183], v[180:181], -v[184:185]
.LBB87_115:
	s_or_b32 exec_lo, exec_lo, s3
	ds_store_2addr_b64 v195, v[184:185], v[182:183] offset1:1
.LBB87_116:
	s_or_b32 exec_lo, exec_lo, s4
	s_waitcnt lgkmcnt(0)
	s_barrier
	buffer_gl0_inv
	ds_load_2addr_b64 v[176:179], v195 offset1:1
	s_mov_b32 s3, exec_lo
	s_waitcnt lgkmcnt(0)
	scratch_store_b128 off, v[176:179], off offset:416 ; 16-byte Folded Spill
	v_cmpx_lt_u32_e32 12, v194
	s_cbranch_execz .LBB87_118
; %bb.117:
	scratch_load_b128 v[178:181], off, off offset:416 ; 16-byte Folded Reload
	s_waitcnt vmcnt(0)
	v_mul_f64 v[176:177], v[180:181], v[126:127]
	v_mul_f64 v[126:127], v[178:179], v[126:127]
	s_delay_alu instid0(VALU_DEP_2) | instskip(NEXT) | instid1(VALU_DEP_2)
	v_fma_f64 v[176:177], v[178:179], v[124:125], -v[176:177]
	v_fma_f64 v[126:127], v[180:181], v[124:125], v[126:127]
	ds_load_2addr_b64 v[178:181], v196 offset0:26 offset1:27
	s_waitcnt lgkmcnt(0)
	v_mul_f64 v[124:125], v[180:181], v[126:127]
	s_delay_alu instid0(VALU_DEP_1) | instskip(SKIP_1) | instid1(VALU_DEP_2)
	v_fma_f64 v[124:125], v[178:179], v[176:177], -v[124:125]
	v_mul_f64 v[178:179], v[178:179], v[126:127]
	v_add_f64 v[120:121], v[120:121], -v[124:125]
	s_delay_alu instid0(VALU_DEP_2) | instskip(NEXT) | instid1(VALU_DEP_1)
	v_fma_f64 v[178:179], v[180:181], v[176:177], v[178:179]
	v_add_f64 v[122:123], v[122:123], -v[178:179]
	ds_load_2addr_b64 v[178:181], v196 offset0:28 offset1:29
	s_waitcnt lgkmcnt(0)
	v_mul_f64 v[124:125], v[180:181], v[126:127]
	s_delay_alu instid0(VALU_DEP_1) | instskip(SKIP_1) | instid1(VALU_DEP_2)
	v_fma_f64 v[124:125], v[178:179], v[176:177], -v[124:125]
	v_mul_f64 v[178:179], v[178:179], v[126:127]
	v_add_f64 v[116:117], v[116:117], -v[124:125]
	s_delay_alu instid0(VALU_DEP_2) | instskip(NEXT) | instid1(VALU_DEP_1)
	v_fma_f64 v[178:179], v[180:181], v[176:177], v[178:179]
	v_add_f64 v[118:119], v[118:119], -v[178:179]
	;; [unrolled: 10-line block ×30, first 2 shown]
	ds_load_2addr_b64 v[178:181], v196 offset0:86 offset1:87
	s_waitcnt lgkmcnt(0)
	v_mul_f64 v[124:125], v[180:181], v[126:127]
	s_delay_alu instid0(VALU_DEP_1) | instskip(SKIP_1) | instid1(VALU_DEP_2)
	v_fma_f64 v[124:125], v[178:179], v[176:177], -v[124:125]
	v_mul_f64 v[178:179], v[178:179], v[126:127]
	v_add_f64 v[0:1], v[0:1], -v[124:125]
	s_delay_alu instid0(VALU_DEP_2) | instskip(SKIP_1) | instid1(VALU_DEP_2)
	v_fma_f64 v[178:179], v[180:181], v[176:177], v[178:179]
	v_dual_mov_b32 v124, v176 :: v_dual_mov_b32 v125, v177
	v_add_f64 v[2:3], v[2:3], -v[178:179]
.LBB87_118:
	s_or_b32 exec_lo, exec_lo, s3
	s_delay_alu instid0(SALU_CYCLE_1)
	s_mov_b32 s4, exec_lo
	s_waitcnt_vscnt null, 0x0
	s_barrier
	buffer_gl0_inv
	v_cmpx_eq_u32_e32 13, v194
	s_cbranch_execz .LBB87_125
; %bb.119:
	ds_store_2addr_b64 v195, v[120:121], v[122:123] offset1:1
	ds_store_2addr_b64 v196, v[116:117], v[118:119] offset0:28 offset1:29
	ds_store_2addr_b64 v196, v[112:113], v[114:115] offset0:30 offset1:31
	;; [unrolled: 1-line block ×30, first 2 shown]
	ds_load_2addr_b64 v[176:179], v195 offset1:1
	s_waitcnt lgkmcnt(0)
	v_cmp_neq_f64_e32 vcc_lo, 0, v[176:177]
	v_cmp_neq_f64_e64 s3, 0, v[178:179]
	s_delay_alu instid0(VALU_DEP_1) | instskip(NEXT) | instid1(SALU_CYCLE_1)
	s_or_b32 s3, vcc_lo, s3
	s_and_b32 exec_lo, exec_lo, s3
	s_cbranch_execz .LBB87_125
; %bb.120:
	v_cmp_gt_f64_e32 vcc_lo, 0, v[176:177]
	v_xor_b32_e32 v180, 0x80000000, v177
	v_xor_b32_e32 v182, 0x80000000, v179
	s_mov_b32 s3, exec_lo
                                        ; implicit-def: $vgpr184_vgpr185
	s_delay_alu instid0(VALU_DEP_2) | instskip(SKIP_4) | instid1(VALU_DEP_1)
	v_cndmask_b32_e32 v181, v177, v180, vcc_lo
	v_cndmask_b32_e32 v180, v176, v176, vcc_lo
	v_cmp_gt_f64_e32 vcc_lo, 0, v[178:179]
	v_cndmask_b32_e32 v183, v179, v182, vcc_lo
	v_cndmask_b32_e32 v182, v178, v178, vcc_lo
	v_cmpx_ngt_f64_e32 v[180:181], v[182:183]
	s_xor_b32 s3, exec_lo, s3
                                        ; implicit-def: $vgpr180_vgpr181_vgpr182_vgpr183
	s_cbranch_execz .LBB87_122
; %bb.121:
	v_div_scale_f64 v[180:181], null, v[178:179], v[178:179], v[176:177]
	v_div_scale_f64 v[186:187], vcc_lo, v[176:177], v[178:179], v[176:177]
	s_delay_alu instid0(VALU_DEP_2) | instskip(SKIP_2) | instid1(VALU_DEP_1)
	v_rcp_f64_e32 v[182:183], v[180:181]
	s_waitcnt_depctr 0xfff
	v_fma_f64 v[184:185], -v[180:181], v[182:183], 1.0
	v_fma_f64 v[182:183], v[182:183], v[184:185], v[182:183]
	s_delay_alu instid0(VALU_DEP_1) | instskip(NEXT) | instid1(VALU_DEP_1)
	v_fma_f64 v[184:185], -v[180:181], v[182:183], 1.0
	v_fma_f64 v[182:183], v[182:183], v[184:185], v[182:183]
	s_delay_alu instid0(VALU_DEP_1) | instskip(NEXT) | instid1(VALU_DEP_1)
	v_mul_f64 v[184:185], v[186:187], v[182:183]
	v_fma_f64 v[180:181], -v[180:181], v[184:185], v[186:187]
	s_delay_alu instid0(VALU_DEP_1) | instskip(NEXT) | instid1(VALU_DEP_1)
	v_div_fmas_f64 v[180:181], v[180:181], v[182:183], v[184:185]
	v_div_fixup_f64 v[180:181], v[180:181], v[178:179], v[176:177]
	s_delay_alu instid0(VALU_DEP_1) | instskip(NEXT) | instid1(VALU_DEP_1)
	v_fma_f64 v[176:177], v[176:177], v[180:181], v[178:179]
	v_div_scale_f64 v[178:179], null, v[176:177], v[176:177], 1.0
	s_delay_alu instid0(VALU_DEP_1) | instskip(SKIP_2) | instid1(VALU_DEP_1)
	v_rcp_f64_e32 v[182:183], v[178:179]
	s_waitcnt_depctr 0xfff
	v_fma_f64 v[184:185], -v[178:179], v[182:183], 1.0
	v_fma_f64 v[182:183], v[182:183], v[184:185], v[182:183]
	s_delay_alu instid0(VALU_DEP_1) | instskip(NEXT) | instid1(VALU_DEP_1)
	v_fma_f64 v[184:185], -v[178:179], v[182:183], 1.0
	v_fma_f64 v[182:183], v[182:183], v[184:185], v[182:183]
	v_div_scale_f64 v[184:185], vcc_lo, 1.0, v[176:177], 1.0
	s_delay_alu instid0(VALU_DEP_1) | instskip(NEXT) | instid1(VALU_DEP_1)
	v_mul_f64 v[186:187], v[184:185], v[182:183]
	v_fma_f64 v[178:179], -v[178:179], v[186:187], v[184:185]
	s_delay_alu instid0(VALU_DEP_1) | instskip(NEXT) | instid1(VALU_DEP_1)
	v_div_fmas_f64 v[178:179], v[178:179], v[182:183], v[186:187]
	v_div_fixup_f64 v[182:183], v[178:179], v[176:177], 1.0
                                        ; implicit-def: $vgpr176_vgpr177
	s_delay_alu instid0(VALU_DEP_1)
	v_mul_f64 v[184:185], v[180:181], v[182:183]
	v_xor_b32_e32 v183, 0x80000000, v183
.LBB87_122:
	s_and_not1_saveexec_b32 s3, s3
	s_cbranch_execz .LBB87_124
; %bb.123:
	v_div_scale_f64 v[180:181], null, v[176:177], v[176:177], v[178:179]
	v_div_scale_f64 v[186:187], vcc_lo, v[178:179], v[176:177], v[178:179]
	s_delay_alu instid0(VALU_DEP_2) | instskip(SKIP_2) | instid1(VALU_DEP_1)
	v_rcp_f64_e32 v[182:183], v[180:181]
	s_waitcnt_depctr 0xfff
	v_fma_f64 v[184:185], -v[180:181], v[182:183], 1.0
	v_fma_f64 v[182:183], v[182:183], v[184:185], v[182:183]
	s_delay_alu instid0(VALU_DEP_1) | instskip(NEXT) | instid1(VALU_DEP_1)
	v_fma_f64 v[184:185], -v[180:181], v[182:183], 1.0
	v_fma_f64 v[182:183], v[182:183], v[184:185], v[182:183]
	s_delay_alu instid0(VALU_DEP_1) | instskip(NEXT) | instid1(VALU_DEP_1)
	v_mul_f64 v[184:185], v[186:187], v[182:183]
	v_fma_f64 v[180:181], -v[180:181], v[184:185], v[186:187]
	s_delay_alu instid0(VALU_DEP_1) | instskip(NEXT) | instid1(VALU_DEP_1)
	v_div_fmas_f64 v[180:181], v[180:181], v[182:183], v[184:185]
	v_div_fixup_f64 v[180:181], v[180:181], v[176:177], v[178:179]
	s_delay_alu instid0(VALU_DEP_1) | instskip(NEXT) | instid1(VALU_DEP_1)
	v_fma_f64 v[176:177], v[178:179], v[180:181], v[176:177]
	v_div_scale_f64 v[178:179], null, v[176:177], v[176:177], 1.0
	s_delay_alu instid0(VALU_DEP_1) | instskip(SKIP_2) | instid1(VALU_DEP_1)
	v_rcp_f64_e32 v[182:183], v[178:179]
	s_waitcnt_depctr 0xfff
	v_fma_f64 v[184:185], -v[178:179], v[182:183], 1.0
	v_fma_f64 v[182:183], v[182:183], v[184:185], v[182:183]
	s_delay_alu instid0(VALU_DEP_1) | instskip(NEXT) | instid1(VALU_DEP_1)
	v_fma_f64 v[184:185], -v[178:179], v[182:183], 1.0
	v_fma_f64 v[182:183], v[182:183], v[184:185], v[182:183]
	v_div_scale_f64 v[184:185], vcc_lo, 1.0, v[176:177], 1.0
	s_delay_alu instid0(VALU_DEP_1) | instskip(NEXT) | instid1(VALU_DEP_1)
	v_mul_f64 v[186:187], v[184:185], v[182:183]
	v_fma_f64 v[178:179], -v[178:179], v[186:187], v[184:185]
	s_delay_alu instid0(VALU_DEP_1) | instskip(NEXT) | instid1(VALU_DEP_1)
	v_div_fmas_f64 v[178:179], v[178:179], v[182:183], v[186:187]
	v_div_fixup_f64 v[184:185], v[178:179], v[176:177], 1.0
	s_delay_alu instid0(VALU_DEP_1)
	v_mul_f64 v[182:183], v[180:181], -v[184:185]
.LBB87_124:
	s_or_b32 exec_lo, exec_lo, s3
	ds_store_2addr_b64 v195, v[184:185], v[182:183] offset1:1
.LBB87_125:
	s_or_b32 exec_lo, exec_lo, s4
	s_waitcnt lgkmcnt(0)
	s_barrier
	buffer_gl0_inv
	ds_load_2addr_b64 v[176:179], v195 offset1:1
	s_mov_b32 s3, exec_lo
	s_waitcnt lgkmcnt(0)
	scratch_store_b128 off, v[176:179], off offset:432 ; 16-byte Folded Spill
	v_cmpx_lt_u32_e32 13, v194
	s_cbranch_execz .LBB87_127
; %bb.126:
	scratch_load_b128 v[178:181], off, off offset:432 ; 16-byte Folded Reload
	s_waitcnt vmcnt(0)
	v_mul_f64 v[176:177], v[180:181], v[122:123]
	v_mul_f64 v[122:123], v[178:179], v[122:123]
	s_delay_alu instid0(VALU_DEP_2) | instskip(NEXT) | instid1(VALU_DEP_2)
	v_fma_f64 v[176:177], v[178:179], v[120:121], -v[176:177]
	v_fma_f64 v[122:123], v[180:181], v[120:121], v[122:123]
	ds_load_2addr_b64 v[178:181], v196 offset0:28 offset1:29
	s_waitcnt lgkmcnt(0)
	v_mul_f64 v[120:121], v[180:181], v[122:123]
	s_delay_alu instid0(VALU_DEP_1) | instskip(SKIP_1) | instid1(VALU_DEP_2)
	v_fma_f64 v[120:121], v[178:179], v[176:177], -v[120:121]
	v_mul_f64 v[178:179], v[178:179], v[122:123]
	v_add_f64 v[116:117], v[116:117], -v[120:121]
	s_delay_alu instid0(VALU_DEP_2) | instskip(NEXT) | instid1(VALU_DEP_1)
	v_fma_f64 v[178:179], v[180:181], v[176:177], v[178:179]
	v_add_f64 v[118:119], v[118:119], -v[178:179]
	ds_load_2addr_b64 v[178:181], v196 offset0:30 offset1:31
	s_waitcnt lgkmcnt(0)
	v_mul_f64 v[120:121], v[180:181], v[122:123]
	s_delay_alu instid0(VALU_DEP_1) | instskip(SKIP_1) | instid1(VALU_DEP_2)
	v_fma_f64 v[120:121], v[178:179], v[176:177], -v[120:121]
	v_mul_f64 v[178:179], v[178:179], v[122:123]
	v_add_f64 v[112:113], v[112:113], -v[120:121]
	s_delay_alu instid0(VALU_DEP_2) | instskip(NEXT) | instid1(VALU_DEP_1)
	v_fma_f64 v[178:179], v[180:181], v[176:177], v[178:179]
	v_add_f64 v[114:115], v[114:115], -v[178:179]
	;; [unrolled: 10-line block ×29, first 2 shown]
	ds_load_2addr_b64 v[178:181], v196 offset0:86 offset1:87
	s_waitcnt lgkmcnt(0)
	v_mul_f64 v[120:121], v[180:181], v[122:123]
	s_delay_alu instid0(VALU_DEP_1) | instskip(SKIP_1) | instid1(VALU_DEP_2)
	v_fma_f64 v[120:121], v[178:179], v[176:177], -v[120:121]
	v_mul_f64 v[178:179], v[178:179], v[122:123]
	v_add_f64 v[0:1], v[0:1], -v[120:121]
	s_delay_alu instid0(VALU_DEP_2) | instskip(SKIP_1) | instid1(VALU_DEP_2)
	v_fma_f64 v[178:179], v[180:181], v[176:177], v[178:179]
	v_dual_mov_b32 v120, v176 :: v_dual_mov_b32 v121, v177
	v_add_f64 v[2:3], v[2:3], -v[178:179]
.LBB87_127:
	s_or_b32 exec_lo, exec_lo, s3
	s_delay_alu instid0(SALU_CYCLE_1)
	s_mov_b32 s4, exec_lo
	s_waitcnt_vscnt null, 0x0
	s_barrier
	buffer_gl0_inv
	v_cmpx_eq_u32_e32 14, v194
	s_cbranch_execz .LBB87_134
; %bb.128:
	ds_store_2addr_b64 v195, v[116:117], v[118:119] offset1:1
	ds_store_2addr_b64 v196, v[112:113], v[114:115] offset0:30 offset1:31
	ds_store_2addr_b64 v196, v[108:109], v[110:111] offset0:32 offset1:33
	;; [unrolled: 1-line block ×29, first 2 shown]
	ds_load_2addr_b64 v[176:179], v195 offset1:1
	s_waitcnt lgkmcnt(0)
	v_cmp_neq_f64_e32 vcc_lo, 0, v[176:177]
	v_cmp_neq_f64_e64 s3, 0, v[178:179]
	s_delay_alu instid0(VALU_DEP_1) | instskip(NEXT) | instid1(SALU_CYCLE_1)
	s_or_b32 s3, vcc_lo, s3
	s_and_b32 exec_lo, exec_lo, s3
	s_cbranch_execz .LBB87_134
; %bb.129:
	v_cmp_gt_f64_e32 vcc_lo, 0, v[176:177]
	v_xor_b32_e32 v180, 0x80000000, v177
	v_xor_b32_e32 v182, 0x80000000, v179
	s_mov_b32 s3, exec_lo
                                        ; implicit-def: $vgpr184_vgpr185
	s_delay_alu instid0(VALU_DEP_2) | instskip(SKIP_4) | instid1(VALU_DEP_1)
	v_cndmask_b32_e32 v181, v177, v180, vcc_lo
	v_cndmask_b32_e32 v180, v176, v176, vcc_lo
	v_cmp_gt_f64_e32 vcc_lo, 0, v[178:179]
	v_cndmask_b32_e32 v183, v179, v182, vcc_lo
	v_cndmask_b32_e32 v182, v178, v178, vcc_lo
	v_cmpx_ngt_f64_e32 v[180:181], v[182:183]
	s_xor_b32 s3, exec_lo, s3
                                        ; implicit-def: $vgpr180_vgpr181_vgpr182_vgpr183
	s_cbranch_execz .LBB87_131
; %bb.130:
	v_div_scale_f64 v[180:181], null, v[178:179], v[178:179], v[176:177]
	v_div_scale_f64 v[186:187], vcc_lo, v[176:177], v[178:179], v[176:177]
	s_delay_alu instid0(VALU_DEP_2) | instskip(SKIP_2) | instid1(VALU_DEP_1)
	v_rcp_f64_e32 v[182:183], v[180:181]
	s_waitcnt_depctr 0xfff
	v_fma_f64 v[184:185], -v[180:181], v[182:183], 1.0
	v_fma_f64 v[182:183], v[182:183], v[184:185], v[182:183]
	s_delay_alu instid0(VALU_DEP_1) | instskip(NEXT) | instid1(VALU_DEP_1)
	v_fma_f64 v[184:185], -v[180:181], v[182:183], 1.0
	v_fma_f64 v[182:183], v[182:183], v[184:185], v[182:183]
	s_delay_alu instid0(VALU_DEP_1) | instskip(NEXT) | instid1(VALU_DEP_1)
	v_mul_f64 v[184:185], v[186:187], v[182:183]
	v_fma_f64 v[180:181], -v[180:181], v[184:185], v[186:187]
	s_delay_alu instid0(VALU_DEP_1) | instskip(NEXT) | instid1(VALU_DEP_1)
	v_div_fmas_f64 v[180:181], v[180:181], v[182:183], v[184:185]
	v_div_fixup_f64 v[180:181], v[180:181], v[178:179], v[176:177]
	s_delay_alu instid0(VALU_DEP_1) | instskip(NEXT) | instid1(VALU_DEP_1)
	v_fma_f64 v[176:177], v[176:177], v[180:181], v[178:179]
	v_div_scale_f64 v[178:179], null, v[176:177], v[176:177], 1.0
	s_delay_alu instid0(VALU_DEP_1) | instskip(SKIP_2) | instid1(VALU_DEP_1)
	v_rcp_f64_e32 v[182:183], v[178:179]
	s_waitcnt_depctr 0xfff
	v_fma_f64 v[184:185], -v[178:179], v[182:183], 1.0
	v_fma_f64 v[182:183], v[182:183], v[184:185], v[182:183]
	s_delay_alu instid0(VALU_DEP_1) | instskip(NEXT) | instid1(VALU_DEP_1)
	v_fma_f64 v[184:185], -v[178:179], v[182:183], 1.0
	v_fma_f64 v[182:183], v[182:183], v[184:185], v[182:183]
	v_div_scale_f64 v[184:185], vcc_lo, 1.0, v[176:177], 1.0
	s_delay_alu instid0(VALU_DEP_1) | instskip(NEXT) | instid1(VALU_DEP_1)
	v_mul_f64 v[186:187], v[184:185], v[182:183]
	v_fma_f64 v[178:179], -v[178:179], v[186:187], v[184:185]
	s_delay_alu instid0(VALU_DEP_1) | instskip(NEXT) | instid1(VALU_DEP_1)
	v_div_fmas_f64 v[178:179], v[178:179], v[182:183], v[186:187]
	v_div_fixup_f64 v[182:183], v[178:179], v[176:177], 1.0
                                        ; implicit-def: $vgpr176_vgpr177
	s_delay_alu instid0(VALU_DEP_1)
	v_mul_f64 v[184:185], v[180:181], v[182:183]
	v_xor_b32_e32 v183, 0x80000000, v183
.LBB87_131:
	s_and_not1_saveexec_b32 s3, s3
	s_cbranch_execz .LBB87_133
; %bb.132:
	v_div_scale_f64 v[180:181], null, v[176:177], v[176:177], v[178:179]
	v_div_scale_f64 v[186:187], vcc_lo, v[178:179], v[176:177], v[178:179]
	s_delay_alu instid0(VALU_DEP_2) | instskip(SKIP_2) | instid1(VALU_DEP_1)
	v_rcp_f64_e32 v[182:183], v[180:181]
	s_waitcnt_depctr 0xfff
	v_fma_f64 v[184:185], -v[180:181], v[182:183], 1.0
	v_fma_f64 v[182:183], v[182:183], v[184:185], v[182:183]
	s_delay_alu instid0(VALU_DEP_1) | instskip(NEXT) | instid1(VALU_DEP_1)
	v_fma_f64 v[184:185], -v[180:181], v[182:183], 1.0
	v_fma_f64 v[182:183], v[182:183], v[184:185], v[182:183]
	s_delay_alu instid0(VALU_DEP_1) | instskip(NEXT) | instid1(VALU_DEP_1)
	v_mul_f64 v[184:185], v[186:187], v[182:183]
	v_fma_f64 v[180:181], -v[180:181], v[184:185], v[186:187]
	s_delay_alu instid0(VALU_DEP_1) | instskip(NEXT) | instid1(VALU_DEP_1)
	v_div_fmas_f64 v[180:181], v[180:181], v[182:183], v[184:185]
	v_div_fixup_f64 v[180:181], v[180:181], v[176:177], v[178:179]
	s_delay_alu instid0(VALU_DEP_1) | instskip(NEXT) | instid1(VALU_DEP_1)
	v_fma_f64 v[176:177], v[178:179], v[180:181], v[176:177]
	v_div_scale_f64 v[178:179], null, v[176:177], v[176:177], 1.0
	s_delay_alu instid0(VALU_DEP_1) | instskip(SKIP_2) | instid1(VALU_DEP_1)
	v_rcp_f64_e32 v[182:183], v[178:179]
	s_waitcnt_depctr 0xfff
	v_fma_f64 v[184:185], -v[178:179], v[182:183], 1.0
	v_fma_f64 v[182:183], v[182:183], v[184:185], v[182:183]
	s_delay_alu instid0(VALU_DEP_1) | instskip(NEXT) | instid1(VALU_DEP_1)
	v_fma_f64 v[184:185], -v[178:179], v[182:183], 1.0
	v_fma_f64 v[182:183], v[182:183], v[184:185], v[182:183]
	v_div_scale_f64 v[184:185], vcc_lo, 1.0, v[176:177], 1.0
	s_delay_alu instid0(VALU_DEP_1) | instskip(NEXT) | instid1(VALU_DEP_1)
	v_mul_f64 v[186:187], v[184:185], v[182:183]
	v_fma_f64 v[178:179], -v[178:179], v[186:187], v[184:185]
	s_delay_alu instid0(VALU_DEP_1) | instskip(NEXT) | instid1(VALU_DEP_1)
	v_div_fmas_f64 v[178:179], v[178:179], v[182:183], v[186:187]
	v_div_fixup_f64 v[184:185], v[178:179], v[176:177], 1.0
	s_delay_alu instid0(VALU_DEP_1)
	v_mul_f64 v[182:183], v[180:181], -v[184:185]
.LBB87_133:
	s_or_b32 exec_lo, exec_lo, s3
	ds_store_2addr_b64 v195, v[184:185], v[182:183] offset1:1
.LBB87_134:
	s_or_b32 exec_lo, exec_lo, s4
	s_waitcnt lgkmcnt(0)
	s_barrier
	buffer_gl0_inv
	ds_load_2addr_b64 v[176:179], v195 offset1:1
	s_mov_b32 s3, exec_lo
	s_waitcnt lgkmcnt(0)
	scratch_store_b128 off, v[176:179], off offset:448 ; 16-byte Folded Spill
	v_cmpx_lt_u32_e32 14, v194
	s_cbranch_execz .LBB87_136
; %bb.135:
	scratch_load_b128 v[178:181], off, off offset:448 ; 16-byte Folded Reload
	s_waitcnt vmcnt(0)
	v_mul_f64 v[176:177], v[180:181], v[118:119]
	v_mul_f64 v[118:119], v[178:179], v[118:119]
	s_delay_alu instid0(VALU_DEP_2) | instskip(NEXT) | instid1(VALU_DEP_2)
	v_fma_f64 v[176:177], v[178:179], v[116:117], -v[176:177]
	v_fma_f64 v[118:119], v[180:181], v[116:117], v[118:119]
	ds_load_2addr_b64 v[178:181], v196 offset0:30 offset1:31
	s_waitcnt lgkmcnt(0)
	v_mul_f64 v[116:117], v[180:181], v[118:119]
	s_delay_alu instid0(VALU_DEP_1) | instskip(SKIP_1) | instid1(VALU_DEP_2)
	v_fma_f64 v[116:117], v[178:179], v[176:177], -v[116:117]
	v_mul_f64 v[178:179], v[178:179], v[118:119]
	v_add_f64 v[112:113], v[112:113], -v[116:117]
	s_delay_alu instid0(VALU_DEP_2) | instskip(NEXT) | instid1(VALU_DEP_1)
	v_fma_f64 v[178:179], v[180:181], v[176:177], v[178:179]
	v_add_f64 v[114:115], v[114:115], -v[178:179]
	ds_load_2addr_b64 v[178:181], v196 offset0:32 offset1:33
	s_waitcnt lgkmcnt(0)
	v_mul_f64 v[116:117], v[180:181], v[118:119]
	s_delay_alu instid0(VALU_DEP_1) | instskip(SKIP_1) | instid1(VALU_DEP_2)
	v_fma_f64 v[116:117], v[178:179], v[176:177], -v[116:117]
	v_mul_f64 v[178:179], v[178:179], v[118:119]
	v_add_f64 v[108:109], v[108:109], -v[116:117]
	s_delay_alu instid0(VALU_DEP_2) | instskip(NEXT) | instid1(VALU_DEP_1)
	v_fma_f64 v[178:179], v[180:181], v[176:177], v[178:179]
	v_add_f64 v[110:111], v[110:111], -v[178:179]
	;; [unrolled: 10-line block ×28, first 2 shown]
	ds_load_2addr_b64 v[178:181], v196 offset0:86 offset1:87
	s_waitcnt lgkmcnt(0)
	v_mul_f64 v[116:117], v[180:181], v[118:119]
	s_delay_alu instid0(VALU_DEP_1) | instskip(SKIP_1) | instid1(VALU_DEP_2)
	v_fma_f64 v[116:117], v[178:179], v[176:177], -v[116:117]
	v_mul_f64 v[178:179], v[178:179], v[118:119]
	v_add_f64 v[0:1], v[0:1], -v[116:117]
	s_delay_alu instid0(VALU_DEP_2) | instskip(SKIP_1) | instid1(VALU_DEP_2)
	v_fma_f64 v[178:179], v[180:181], v[176:177], v[178:179]
	v_dual_mov_b32 v116, v176 :: v_dual_mov_b32 v117, v177
	v_add_f64 v[2:3], v[2:3], -v[178:179]
.LBB87_136:
	s_or_b32 exec_lo, exec_lo, s3
	s_delay_alu instid0(SALU_CYCLE_1)
	s_mov_b32 s4, exec_lo
	s_waitcnt_vscnt null, 0x0
	s_barrier
	buffer_gl0_inv
	v_cmpx_eq_u32_e32 15, v194
	s_cbranch_execz .LBB87_143
; %bb.137:
	ds_store_2addr_b64 v195, v[112:113], v[114:115] offset1:1
	ds_store_2addr_b64 v196, v[108:109], v[110:111] offset0:32 offset1:33
	ds_store_2addr_b64 v196, v[104:105], v[106:107] offset0:34 offset1:35
	;; [unrolled: 1-line block ×28, first 2 shown]
	ds_load_2addr_b64 v[176:179], v195 offset1:1
	s_waitcnt lgkmcnt(0)
	v_cmp_neq_f64_e32 vcc_lo, 0, v[176:177]
	v_cmp_neq_f64_e64 s3, 0, v[178:179]
	s_delay_alu instid0(VALU_DEP_1) | instskip(NEXT) | instid1(SALU_CYCLE_1)
	s_or_b32 s3, vcc_lo, s3
	s_and_b32 exec_lo, exec_lo, s3
	s_cbranch_execz .LBB87_143
; %bb.138:
	v_cmp_gt_f64_e32 vcc_lo, 0, v[176:177]
	v_xor_b32_e32 v180, 0x80000000, v177
	v_xor_b32_e32 v182, 0x80000000, v179
	s_mov_b32 s3, exec_lo
                                        ; implicit-def: $vgpr184_vgpr185
	s_delay_alu instid0(VALU_DEP_2) | instskip(SKIP_4) | instid1(VALU_DEP_1)
	v_cndmask_b32_e32 v181, v177, v180, vcc_lo
	v_cndmask_b32_e32 v180, v176, v176, vcc_lo
	v_cmp_gt_f64_e32 vcc_lo, 0, v[178:179]
	v_cndmask_b32_e32 v183, v179, v182, vcc_lo
	v_cndmask_b32_e32 v182, v178, v178, vcc_lo
	v_cmpx_ngt_f64_e32 v[180:181], v[182:183]
	s_xor_b32 s3, exec_lo, s3
                                        ; implicit-def: $vgpr180_vgpr181_vgpr182_vgpr183
	s_cbranch_execz .LBB87_140
; %bb.139:
	v_div_scale_f64 v[180:181], null, v[178:179], v[178:179], v[176:177]
	v_div_scale_f64 v[186:187], vcc_lo, v[176:177], v[178:179], v[176:177]
	s_delay_alu instid0(VALU_DEP_2) | instskip(SKIP_2) | instid1(VALU_DEP_1)
	v_rcp_f64_e32 v[182:183], v[180:181]
	s_waitcnt_depctr 0xfff
	v_fma_f64 v[184:185], -v[180:181], v[182:183], 1.0
	v_fma_f64 v[182:183], v[182:183], v[184:185], v[182:183]
	s_delay_alu instid0(VALU_DEP_1) | instskip(NEXT) | instid1(VALU_DEP_1)
	v_fma_f64 v[184:185], -v[180:181], v[182:183], 1.0
	v_fma_f64 v[182:183], v[182:183], v[184:185], v[182:183]
	s_delay_alu instid0(VALU_DEP_1) | instskip(NEXT) | instid1(VALU_DEP_1)
	v_mul_f64 v[184:185], v[186:187], v[182:183]
	v_fma_f64 v[180:181], -v[180:181], v[184:185], v[186:187]
	s_delay_alu instid0(VALU_DEP_1) | instskip(NEXT) | instid1(VALU_DEP_1)
	v_div_fmas_f64 v[180:181], v[180:181], v[182:183], v[184:185]
	v_div_fixup_f64 v[180:181], v[180:181], v[178:179], v[176:177]
	s_delay_alu instid0(VALU_DEP_1) | instskip(NEXT) | instid1(VALU_DEP_1)
	v_fma_f64 v[176:177], v[176:177], v[180:181], v[178:179]
	v_div_scale_f64 v[178:179], null, v[176:177], v[176:177], 1.0
	s_delay_alu instid0(VALU_DEP_1) | instskip(SKIP_2) | instid1(VALU_DEP_1)
	v_rcp_f64_e32 v[182:183], v[178:179]
	s_waitcnt_depctr 0xfff
	v_fma_f64 v[184:185], -v[178:179], v[182:183], 1.0
	v_fma_f64 v[182:183], v[182:183], v[184:185], v[182:183]
	s_delay_alu instid0(VALU_DEP_1) | instskip(NEXT) | instid1(VALU_DEP_1)
	v_fma_f64 v[184:185], -v[178:179], v[182:183], 1.0
	v_fma_f64 v[182:183], v[182:183], v[184:185], v[182:183]
	v_div_scale_f64 v[184:185], vcc_lo, 1.0, v[176:177], 1.0
	s_delay_alu instid0(VALU_DEP_1) | instskip(NEXT) | instid1(VALU_DEP_1)
	v_mul_f64 v[186:187], v[184:185], v[182:183]
	v_fma_f64 v[178:179], -v[178:179], v[186:187], v[184:185]
	s_delay_alu instid0(VALU_DEP_1) | instskip(NEXT) | instid1(VALU_DEP_1)
	v_div_fmas_f64 v[178:179], v[178:179], v[182:183], v[186:187]
	v_div_fixup_f64 v[182:183], v[178:179], v[176:177], 1.0
                                        ; implicit-def: $vgpr176_vgpr177
	s_delay_alu instid0(VALU_DEP_1)
	v_mul_f64 v[184:185], v[180:181], v[182:183]
	v_xor_b32_e32 v183, 0x80000000, v183
.LBB87_140:
	s_and_not1_saveexec_b32 s3, s3
	s_cbranch_execz .LBB87_142
; %bb.141:
	v_div_scale_f64 v[180:181], null, v[176:177], v[176:177], v[178:179]
	v_div_scale_f64 v[186:187], vcc_lo, v[178:179], v[176:177], v[178:179]
	s_delay_alu instid0(VALU_DEP_2) | instskip(SKIP_2) | instid1(VALU_DEP_1)
	v_rcp_f64_e32 v[182:183], v[180:181]
	s_waitcnt_depctr 0xfff
	v_fma_f64 v[184:185], -v[180:181], v[182:183], 1.0
	v_fma_f64 v[182:183], v[182:183], v[184:185], v[182:183]
	s_delay_alu instid0(VALU_DEP_1) | instskip(NEXT) | instid1(VALU_DEP_1)
	v_fma_f64 v[184:185], -v[180:181], v[182:183], 1.0
	v_fma_f64 v[182:183], v[182:183], v[184:185], v[182:183]
	s_delay_alu instid0(VALU_DEP_1) | instskip(NEXT) | instid1(VALU_DEP_1)
	v_mul_f64 v[184:185], v[186:187], v[182:183]
	v_fma_f64 v[180:181], -v[180:181], v[184:185], v[186:187]
	s_delay_alu instid0(VALU_DEP_1) | instskip(NEXT) | instid1(VALU_DEP_1)
	v_div_fmas_f64 v[180:181], v[180:181], v[182:183], v[184:185]
	v_div_fixup_f64 v[180:181], v[180:181], v[176:177], v[178:179]
	s_delay_alu instid0(VALU_DEP_1) | instskip(NEXT) | instid1(VALU_DEP_1)
	v_fma_f64 v[176:177], v[178:179], v[180:181], v[176:177]
	v_div_scale_f64 v[178:179], null, v[176:177], v[176:177], 1.0
	s_delay_alu instid0(VALU_DEP_1) | instskip(SKIP_2) | instid1(VALU_DEP_1)
	v_rcp_f64_e32 v[182:183], v[178:179]
	s_waitcnt_depctr 0xfff
	v_fma_f64 v[184:185], -v[178:179], v[182:183], 1.0
	v_fma_f64 v[182:183], v[182:183], v[184:185], v[182:183]
	s_delay_alu instid0(VALU_DEP_1) | instskip(NEXT) | instid1(VALU_DEP_1)
	v_fma_f64 v[184:185], -v[178:179], v[182:183], 1.0
	v_fma_f64 v[182:183], v[182:183], v[184:185], v[182:183]
	v_div_scale_f64 v[184:185], vcc_lo, 1.0, v[176:177], 1.0
	s_delay_alu instid0(VALU_DEP_1) | instskip(NEXT) | instid1(VALU_DEP_1)
	v_mul_f64 v[186:187], v[184:185], v[182:183]
	v_fma_f64 v[178:179], -v[178:179], v[186:187], v[184:185]
	s_delay_alu instid0(VALU_DEP_1) | instskip(NEXT) | instid1(VALU_DEP_1)
	v_div_fmas_f64 v[178:179], v[178:179], v[182:183], v[186:187]
	v_div_fixup_f64 v[184:185], v[178:179], v[176:177], 1.0
	s_delay_alu instid0(VALU_DEP_1)
	v_mul_f64 v[182:183], v[180:181], -v[184:185]
.LBB87_142:
	s_or_b32 exec_lo, exec_lo, s3
	ds_store_2addr_b64 v195, v[184:185], v[182:183] offset1:1
.LBB87_143:
	s_or_b32 exec_lo, exec_lo, s4
	s_waitcnt lgkmcnt(0)
	s_barrier
	buffer_gl0_inv
	ds_load_2addr_b64 v[176:179], v195 offset1:1
	s_mov_b32 s3, exec_lo
	s_waitcnt lgkmcnt(0)
	scratch_store_b128 off, v[176:179], off offset:464 ; 16-byte Folded Spill
	v_cmpx_lt_u32_e32 15, v194
	s_cbranch_execz .LBB87_145
; %bb.144:
	scratch_load_b128 v[178:181], off, off offset:464 ; 16-byte Folded Reload
	s_waitcnt vmcnt(0)
	v_mul_f64 v[176:177], v[180:181], v[114:115]
	v_mul_f64 v[114:115], v[178:179], v[114:115]
	s_delay_alu instid0(VALU_DEP_2) | instskip(NEXT) | instid1(VALU_DEP_2)
	v_fma_f64 v[176:177], v[178:179], v[112:113], -v[176:177]
	v_fma_f64 v[114:115], v[180:181], v[112:113], v[114:115]
	ds_load_2addr_b64 v[178:181], v196 offset0:32 offset1:33
	s_waitcnt lgkmcnt(0)
	v_mul_f64 v[112:113], v[180:181], v[114:115]
	s_delay_alu instid0(VALU_DEP_1) | instskip(SKIP_1) | instid1(VALU_DEP_2)
	v_fma_f64 v[112:113], v[178:179], v[176:177], -v[112:113]
	v_mul_f64 v[178:179], v[178:179], v[114:115]
	v_add_f64 v[108:109], v[108:109], -v[112:113]
	s_delay_alu instid0(VALU_DEP_2) | instskip(NEXT) | instid1(VALU_DEP_1)
	v_fma_f64 v[178:179], v[180:181], v[176:177], v[178:179]
	v_add_f64 v[110:111], v[110:111], -v[178:179]
	ds_load_2addr_b64 v[178:181], v196 offset0:34 offset1:35
	s_waitcnt lgkmcnt(0)
	v_mul_f64 v[112:113], v[180:181], v[114:115]
	s_delay_alu instid0(VALU_DEP_1) | instskip(SKIP_1) | instid1(VALU_DEP_2)
	v_fma_f64 v[112:113], v[178:179], v[176:177], -v[112:113]
	v_mul_f64 v[178:179], v[178:179], v[114:115]
	v_add_f64 v[104:105], v[104:105], -v[112:113]
	s_delay_alu instid0(VALU_DEP_2) | instskip(NEXT) | instid1(VALU_DEP_1)
	v_fma_f64 v[178:179], v[180:181], v[176:177], v[178:179]
	v_add_f64 v[106:107], v[106:107], -v[178:179]
	;; [unrolled: 10-line block ×27, first 2 shown]
	ds_load_2addr_b64 v[178:181], v196 offset0:86 offset1:87
	s_waitcnt lgkmcnt(0)
	v_mul_f64 v[112:113], v[180:181], v[114:115]
	s_delay_alu instid0(VALU_DEP_1) | instskip(SKIP_1) | instid1(VALU_DEP_2)
	v_fma_f64 v[112:113], v[178:179], v[176:177], -v[112:113]
	v_mul_f64 v[178:179], v[178:179], v[114:115]
	v_add_f64 v[0:1], v[0:1], -v[112:113]
	s_delay_alu instid0(VALU_DEP_2) | instskip(SKIP_1) | instid1(VALU_DEP_2)
	v_fma_f64 v[178:179], v[180:181], v[176:177], v[178:179]
	v_dual_mov_b32 v112, v176 :: v_dual_mov_b32 v113, v177
	v_add_f64 v[2:3], v[2:3], -v[178:179]
.LBB87_145:
	s_or_b32 exec_lo, exec_lo, s3
	s_delay_alu instid0(SALU_CYCLE_1)
	s_mov_b32 s4, exec_lo
	s_waitcnt_vscnt null, 0x0
	s_barrier
	buffer_gl0_inv
	v_cmpx_eq_u32_e32 16, v194
	s_cbranch_execz .LBB87_152
; %bb.146:
	ds_store_2addr_b64 v195, v[108:109], v[110:111] offset1:1
	ds_store_2addr_b64 v196, v[104:105], v[106:107] offset0:34 offset1:35
	ds_store_2addr_b64 v196, v[100:101], v[102:103] offset0:36 offset1:37
	;; [unrolled: 1-line block ×27, first 2 shown]
	ds_load_2addr_b64 v[176:179], v195 offset1:1
	s_waitcnt lgkmcnt(0)
	v_cmp_neq_f64_e32 vcc_lo, 0, v[176:177]
	v_cmp_neq_f64_e64 s3, 0, v[178:179]
	s_delay_alu instid0(VALU_DEP_1) | instskip(NEXT) | instid1(SALU_CYCLE_1)
	s_or_b32 s3, vcc_lo, s3
	s_and_b32 exec_lo, exec_lo, s3
	s_cbranch_execz .LBB87_152
; %bb.147:
	v_cmp_gt_f64_e32 vcc_lo, 0, v[176:177]
	v_xor_b32_e32 v180, 0x80000000, v177
	v_xor_b32_e32 v182, 0x80000000, v179
	s_mov_b32 s3, exec_lo
                                        ; implicit-def: $vgpr184_vgpr185
	s_delay_alu instid0(VALU_DEP_2) | instskip(SKIP_4) | instid1(VALU_DEP_1)
	v_cndmask_b32_e32 v181, v177, v180, vcc_lo
	v_cndmask_b32_e32 v180, v176, v176, vcc_lo
	v_cmp_gt_f64_e32 vcc_lo, 0, v[178:179]
	v_cndmask_b32_e32 v183, v179, v182, vcc_lo
	v_cndmask_b32_e32 v182, v178, v178, vcc_lo
	v_cmpx_ngt_f64_e32 v[180:181], v[182:183]
	s_xor_b32 s3, exec_lo, s3
                                        ; implicit-def: $vgpr180_vgpr181_vgpr182_vgpr183
	s_cbranch_execz .LBB87_149
; %bb.148:
	v_div_scale_f64 v[180:181], null, v[178:179], v[178:179], v[176:177]
	v_div_scale_f64 v[186:187], vcc_lo, v[176:177], v[178:179], v[176:177]
	s_delay_alu instid0(VALU_DEP_2) | instskip(SKIP_2) | instid1(VALU_DEP_1)
	v_rcp_f64_e32 v[182:183], v[180:181]
	s_waitcnt_depctr 0xfff
	v_fma_f64 v[184:185], -v[180:181], v[182:183], 1.0
	v_fma_f64 v[182:183], v[182:183], v[184:185], v[182:183]
	s_delay_alu instid0(VALU_DEP_1) | instskip(NEXT) | instid1(VALU_DEP_1)
	v_fma_f64 v[184:185], -v[180:181], v[182:183], 1.0
	v_fma_f64 v[182:183], v[182:183], v[184:185], v[182:183]
	s_delay_alu instid0(VALU_DEP_1) | instskip(NEXT) | instid1(VALU_DEP_1)
	v_mul_f64 v[184:185], v[186:187], v[182:183]
	v_fma_f64 v[180:181], -v[180:181], v[184:185], v[186:187]
	s_delay_alu instid0(VALU_DEP_1) | instskip(NEXT) | instid1(VALU_DEP_1)
	v_div_fmas_f64 v[180:181], v[180:181], v[182:183], v[184:185]
	v_div_fixup_f64 v[180:181], v[180:181], v[178:179], v[176:177]
	s_delay_alu instid0(VALU_DEP_1) | instskip(NEXT) | instid1(VALU_DEP_1)
	v_fma_f64 v[176:177], v[176:177], v[180:181], v[178:179]
	v_div_scale_f64 v[178:179], null, v[176:177], v[176:177], 1.0
	s_delay_alu instid0(VALU_DEP_1) | instskip(SKIP_2) | instid1(VALU_DEP_1)
	v_rcp_f64_e32 v[182:183], v[178:179]
	s_waitcnt_depctr 0xfff
	v_fma_f64 v[184:185], -v[178:179], v[182:183], 1.0
	v_fma_f64 v[182:183], v[182:183], v[184:185], v[182:183]
	s_delay_alu instid0(VALU_DEP_1) | instskip(NEXT) | instid1(VALU_DEP_1)
	v_fma_f64 v[184:185], -v[178:179], v[182:183], 1.0
	v_fma_f64 v[182:183], v[182:183], v[184:185], v[182:183]
	v_div_scale_f64 v[184:185], vcc_lo, 1.0, v[176:177], 1.0
	s_delay_alu instid0(VALU_DEP_1) | instskip(NEXT) | instid1(VALU_DEP_1)
	v_mul_f64 v[186:187], v[184:185], v[182:183]
	v_fma_f64 v[178:179], -v[178:179], v[186:187], v[184:185]
	s_delay_alu instid0(VALU_DEP_1) | instskip(NEXT) | instid1(VALU_DEP_1)
	v_div_fmas_f64 v[178:179], v[178:179], v[182:183], v[186:187]
	v_div_fixup_f64 v[182:183], v[178:179], v[176:177], 1.0
                                        ; implicit-def: $vgpr176_vgpr177
	s_delay_alu instid0(VALU_DEP_1)
	v_mul_f64 v[184:185], v[180:181], v[182:183]
	v_xor_b32_e32 v183, 0x80000000, v183
.LBB87_149:
	s_and_not1_saveexec_b32 s3, s3
	s_cbranch_execz .LBB87_151
; %bb.150:
	v_div_scale_f64 v[180:181], null, v[176:177], v[176:177], v[178:179]
	v_div_scale_f64 v[186:187], vcc_lo, v[178:179], v[176:177], v[178:179]
	s_delay_alu instid0(VALU_DEP_2) | instskip(SKIP_2) | instid1(VALU_DEP_1)
	v_rcp_f64_e32 v[182:183], v[180:181]
	s_waitcnt_depctr 0xfff
	v_fma_f64 v[184:185], -v[180:181], v[182:183], 1.0
	v_fma_f64 v[182:183], v[182:183], v[184:185], v[182:183]
	s_delay_alu instid0(VALU_DEP_1) | instskip(NEXT) | instid1(VALU_DEP_1)
	v_fma_f64 v[184:185], -v[180:181], v[182:183], 1.0
	v_fma_f64 v[182:183], v[182:183], v[184:185], v[182:183]
	s_delay_alu instid0(VALU_DEP_1) | instskip(NEXT) | instid1(VALU_DEP_1)
	v_mul_f64 v[184:185], v[186:187], v[182:183]
	v_fma_f64 v[180:181], -v[180:181], v[184:185], v[186:187]
	s_delay_alu instid0(VALU_DEP_1) | instskip(NEXT) | instid1(VALU_DEP_1)
	v_div_fmas_f64 v[180:181], v[180:181], v[182:183], v[184:185]
	v_div_fixup_f64 v[180:181], v[180:181], v[176:177], v[178:179]
	s_delay_alu instid0(VALU_DEP_1) | instskip(NEXT) | instid1(VALU_DEP_1)
	v_fma_f64 v[176:177], v[178:179], v[180:181], v[176:177]
	v_div_scale_f64 v[178:179], null, v[176:177], v[176:177], 1.0
	s_delay_alu instid0(VALU_DEP_1) | instskip(SKIP_2) | instid1(VALU_DEP_1)
	v_rcp_f64_e32 v[182:183], v[178:179]
	s_waitcnt_depctr 0xfff
	v_fma_f64 v[184:185], -v[178:179], v[182:183], 1.0
	v_fma_f64 v[182:183], v[182:183], v[184:185], v[182:183]
	s_delay_alu instid0(VALU_DEP_1) | instskip(NEXT) | instid1(VALU_DEP_1)
	v_fma_f64 v[184:185], -v[178:179], v[182:183], 1.0
	v_fma_f64 v[182:183], v[182:183], v[184:185], v[182:183]
	v_div_scale_f64 v[184:185], vcc_lo, 1.0, v[176:177], 1.0
	s_delay_alu instid0(VALU_DEP_1) | instskip(NEXT) | instid1(VALU_DEP_1)
	v_mul_f64 v[186:187], v[184:185], v[182:183]
	v_fma_f64 v[178:179], -v[178:179], v[186:187], v[184:185]
	s_delay_alu instid0(VALU_DEP_1) | instskip(NEXT) | instid1(VALU_DEP_1)
	v_div_fmas_f64 v[178:179], v[178:179], v[182:183], v[186:187]
	v_div_fixup_f64 v[184:185], v[178:179], v[176:177], 1.0
	s_delay_alu instid0(VALU_DEP_1)
	v_mul_f64 v[182:183], v[180:181], -v[184:185]
.LBB87_151:
	s_or_b32 exec_lo, exec_lo, s3
	ds_store_2addr_b64 v195, v[184:185], v[182:183] offset1:1
.LBB87_152:
	s_or_b32 exec_lo, exec_lo, s4
	s_waitcnt lgkmcnt(0)
	s_barrier
	buffer_gl0_inv
	ds_load_2addr_b64 v[176:179], v195 offset1:1
	s_mov_b32 s3, exec_lo
	s_waitcnt lgkmcnt(0)
	scratch_store_b128 off, v[176:179], off offset:480 ; 16-byte Folded Spill
	v_cmpx_lt_u32_e32 16, v194
	s_cbranch_execz .LBB87_154
; %bb.153:
	scratch_load_b128 v[178:181], off, off offset:480 ; 16-byte Folded Reload
	s_waitcnt vmcnt(0)
	v_mul_f64 v[176:177], v[180:181], v[110:111]
	v_mul_f64 v[110:111], v[178:179], v[110:111]
	s_delay_alu instid0(VALU_DEP_2) | instskip(NEXT) | instid1(VALU_DEP_2)
	v_fma_f64 v[176:177], v[178:179], v[108:109], -v[176:177]
	v_fma_f64 v[110:111], v[180:181], v[108:109], v[110:111]
	ds_load_2addr_b64 v[178:181], v196 offset0:34 offset1:35
	s_waitcnt lgkmcnt(0)
	v_mul_f64 v[108:109], v[180:181], v[110:111]
	s_delay_alu instid0(VALU_DEP_1) | instskip(SKIP_1) | instid1(VALU_DEP_2)
	v_fma_f64 v[108:109], v[178:179], v[176:177], -v[108:109]
	v_mul_f64 v[178:179], v[178:179], v[110:111]
	v_add_f64 v[104:105], v[104:105], -v[108:109]
	s_delay_alu instid0(VALU_DEP_2) | instskip(NEXT) | instid1(VALU_DEP_1)
	v_fma_f64 v[178:179], v[180:181], v[176:177], v[178:179]
	v_add_f64 v[106:107], v[106:107], -v[178:179]
	ds_load_2addr_b64 v[178:181], v196 offset0:36 offset1:37
	s_waitcnt lgkmcnt(0)
	v_mul_f64 v[108:109], v[180:181], v[110:111]
	s_delay_alu instid0(VALU_DEP_1) | instskip(SKIP_1) | instid1(VALU_DEP_2)
	v_fma_f64 v[108:109], v[178:179], v[176:177], -v[108:109]
	v_mul_f64 v[178:179], v[178:179], v[110:111]
	v_add_f64 v[100:101], v[100:101], -v[108:109]
	s_delay_alu instid0(VALU_DEP_2) | instskip(NEXT) | instid1(VALU_DEP_1)
	v_fma_f64 v[178:179], v[180:181], v[176:177], v[178:179]
	v_add_f64 v[102:103], v[102:103], -v[178:179]
	;; [unrolled: 10-line block ×26, first 2 shown]
	ds_load_2addr_b64 v[178:181], v196 offset0:86 offset1:87
	s_waitcnt lgkmcnt(0)
	v_mul_f64 v[108:109], v[180:181], v[110:111]
	s_delay_alu instid0(VALU_DEP_1) | instskip(SKIP_1) | instid1(VALU_DEP_2)
	v_fma_f64 v[108:109], v[178:179], v[176:177], -v[108:109]
	v_mul_f64 v[178:179], v[178:179], v[110:111]
	v_add_f64 v[0:1], v[0:1], -v[108:109]
	s_delay_alu instid0(VALU_DEP_2) | instskip(SKIP_1) | instid1(VALU_DEP_2)
	v_fma_f64 v[178:179], v[180:181], v[176:177], v[178:179]
	v_dual_mov_b32 v108, v176 :: v_dual_mov_b32 v109, v177
	v_add_f64 v[2:3], v[2:3], -v[178:179]
.LBB87_154:
	s_or_b32 exec_lo, exec_lo, s3
	s_delay_alu instid0(SALU_CYCLE_1)
	s_mov_b32 s4, exec_lo
	s_waitcnt_vscnt null, 0x0
	s_barrier
	buffer_gl0_inv
	v_cmpx_eq_u32_e32 17, v194
	s_cbranch_execz .LBB87_161
; %bb.155:
	ds_store_2addr_b64 v195, v[104:105], v[106:107] offset1:1
	ds_store_2addr_b64 v196, v[100:101], v[102:103] offset0:36 offset1:37
	ds_store_2addr_b64 v196, v[96:97], v[98:99] offset0:38 offset1:39
	;; [unrolled: 1-line block ×26, first 2 shown]
	ds_load_2addr_b64 v[176:179], v195 offset1:1
	s_waitcnt lgkmcnt(0)
	v_cmp_neq_f64_e32 vcc_lo, 0, v[176:177]
	v_cmp_neq_f64_e64 s3, 0, v[178:179]
	s_delay_alu instid0(VALU_DEP_1) | instskip(NEXT) | instid1(SALU_CYCLE_1)
	s_or_b32 s3, vcc_lo, s3
	s_and_b32 exec_lo, exec_lo, s3
	s_cbranch_execz .LBB87_161
; %bb.156:
	v_cmp_gt_f64_e32 vcc_lo, 0, v[176:177]
	v_xor_b32_e32 v180, 0x80000000, v177
	v_xor_b32_e32 v182, 0x80000000, v179
	s_mov_b32 s3, exec_lo
                                        ; implicit-def: $vgpr184_vgpr185
	s_delay_alu instid0(VALU_DEP_2) | instskip(SKIP_4) | instid1(VALU_DEP_1)
	v_cndmask_b32_e32 v181, v177, v180, vcc_lo
	v_cndmask_b32_e32 v180, v176, v176, vcc_lo
	v_cmp_gt_f64_e32 vcc_lo, 0, v[178:179]
	v_cndmask_b32_e32 v183, v179, v182, vcc_lo
	v_cndmask_b32_e32 v182, v178, v178, vcc_lo
	v_cmpx_ngt_f64_e32 v[180:181], v[182:183]
	s_xor_b32 s3, exec_lo, s3
                                        ; implicit-def: $vgpr180_vgpr181_vgpr182_vgpr183
	s_cbranch_execz .LBB87_158
; %bb.157:
	v_div_scale_f64 v[180:181], null, v[178:179], v[178:179], v[176:177]
	v_div_scale_f64 v[186:187], vcc_lo, v[176:177], v[178:179], v[176:177]
	s_delay_alu instid0(VALU_DEP_2) | instskip(SKIP_2) | instid1(VALU_DEP_1)
	v_rcp_f64_e32 v[182:183], v[180:181]
	s_waitcnt_depctr 0xfff
	v_fma_f64 v[184:185], -v[180:181], v[182:183], 1.0
	v_fma_f64 v[182:183], v[182:183], v[184:185], v[182:183]
	s_delay_alu instid0(VALU_DEP_1) | instskip(NEXT) | instid1(VALU_DEP_1)
	v_fma_f64 v[184:185], -v[180:181], v[182:183], 1.0
	v_fma_f64 v[182:183], v[182:183], v[184:185], v[182:183]
	s_delay_alu instid0(VALU_DEP_1) | instskip(NEXT) | instid1(VALU_DEP_1)
	v_mul_f64 v[184:185], v[186:187], v[182:183]
	v_fma_f64 v[180:181], -v[180:181], v[184:185], v[186:187]
	s_delay_alu instid0(VALU_DEP_1) | instskip(NEXT) | instid1(VALU_DEP_1)
	v_div_fmas_f64 v[180:181], v[180:181], v[182:183], v[184:185]
	v_div_fixup_f64 v[180:181], v[180:181], v[178:179], v[176:177]
	s_delay_alu instid0(VALU_DEP_1) | instskip(NEXT) | instid1(VALU_DEP_1)
	v_fma_f64 v[176:177], v[176:177], v[180:181], v[178:179]
	v_div_scale_f64 v[178:179], null, v[176:177], v[176:177], 1.0
	s_delay_alu instid0(VALU_DEP_1) | instskip(SKIP_2) | instid1(VALU_DEP_1)
	v_rcp_f64_e32 v[182:183], v[178:179]
	s_waitcnt_depctr 0xfff
	v_fma_f64 v[184:185], -v[178:179], v[182:183], 1.0
	v_fma_f64 v[182:183], v[182:183], v[184:185], v[182:183]
	s_delay_alu instid0(VALU_DEP_1) | instskip(NEXT) | instid1(VALU_DEP_1)
	v_fma_f64 v[184:185], -v[178:179], v[182:183], 1.0
	v_fma_f64 v[182:183], v[182:183], v[184:185], v[182:183]
	v_div_scale_f64 v[184:185], vcc_lo, 1.0, v[176:177], 1.0
	s_delay_alu instid0(VALU_DEP_1) | instskip(NEXT) | instid1(VALU_DEP_1)
	v_mul_f64 v[186:187], v[184:185], v[182:183]
	v_fma_f64 v[178:179], -v[178:179], v[186:187], v[184:185]
	s_delay_alu instid0(VALU_DEP_1) | instskip(NEXT) | instid1(VALU_DEP_1)
	v_div_fmas_f64 v[178:179], v[178:179], v[182:183], v[186:187]
	v_div_fixup_f64 v[182:183], v[178:179], v[176:177], 1.0
                                        ; implicit-def: $vgpr176_vgpr177
	s_delay_alu instid0(VALU_DEP_1)
	v_mul_f64 v[184:185], v[180:181], v[182:183]
	v_xor_b32_e32 v183, 0x80000000, v183
.LBB87_158:
	s_and_not1_saveexec_b32 s3, s3
	s_cbranch_execz .LBB87_160
; %bb.159:
	v_div_scale_f64 v[180:181], null, v[176:177], v[176:177], v[178:179]
	v_div_scale_f64 v[186:187], vcc_lo, v[178:179], v[176:177], v[178:179]
	s_delay_alu instid0(VALU_DEP_2) | instskip(SKIP_2) | instid1(VALU_DEP_1)
	v_rcp_f64_e32 v[182:183], v[180:181]
	s_waitcnt_depctr 0xfff
	v_fma_f64 v[184:185], -v[180:181], v[182:183], 1.0
	v_fma_f64 v[182:183], v[182:183], v[184:185], v[182:183]
	s_delay_alu instid0(VALU_DEP_1) | instskip(NEXT) | instid1(VALU_DEP_1)
	v_fma_f64 v[184:185], -v[180:181], v[182:183], 1.0
	v_fma_f64 v[182:183], v[182:183], v[184:185], v[182:183]
	s_delay_alu instid0(VALU_DEP_1) | instskip(NEXT) | instid1(VALU_DEP_1)
	v_mul_f64 v[184:185], v[186:187], v[182:183]
	v_fma_f64 v[180:181], -v[180:181], v[184:185], v[186:187]
	s_delay_alu instid0(VALU_DEP_1) | instskip(NEXT) | instid1(VALU_DEP_1)
	v_div_fmas_f64 v[180:181], v[180:181], v[182:183], v[184:185]
	v_div_fixup_f64 v[180:181], v[180:181], v[176:177], v[178:179]
	s_delay_alu instid0(VALU_DEP_1) | instskip(NEXT) | instid1(VALU_DEP_1)
	v_fma_f64 v[176:177], v[178:179], v[180:181], v[176:177]
	v_div_scale_f64 v[178:179], null, v[176:177], v[176:177], 1.0
	s_delay_alu instid0(VALU_DEP_1) | instskip(SKIP_2) | instid1(VALU_DEP_1)
	v_rcp_f64_e32 v[182:183], v[178:179]
	s_waitcnt_depctr 0xfff
	v_fma_f64 v[184:185], -v[178:179], v[182:183], 1.0
	v_fma_f64 v[182:183], v[182:183], v[184:185], v[182:183]
	s_delay_alu instid0(VALU_DEP_1) | instskip(NEXT) | instid1(VALU_DEP_1)
	v_fma_f64 v[184:185], -v[178:179], v[182:183], 1.0
	v_fma_f64 v[182:183], v[182:183], v[184:185], v[182:183]
	v_div_scale_f64 v[184:185], vcc_lo, 1.0, v[176:177], 1.0
	s_delay_alu instid0(VALU_DEP_1) | instskip(NEXT) | instid1(VALU_DEP_1)
	v_mul_f64 v[186:187], v[184:185], v[182:183]
	v_fma_f64 v[178:179], -v[178:179], v[186:187], v[184:185]
	s_delay_alu instid0(VALU_DEP_1) | instskip(NEXT) | instid1(VALU_DEP_1)
	v_div_fmas_f64 v[178:179], v[178:179], v[182:183], v[186:187]
	v_div_fixup_f64 v[184:185], v[178:179], v[176:177], 1.0
	s_delay_alu instid0(VALU_DEP_1)
	v_mul_f64 v[182:183], v[180:181], -v[184:185]
.LBB87_160:
	s_or_b32 exec_lo, exec_lo, s3
	ds_store_2addr_b64 v195, v[184:185], v[182:183] offset1:1
.LBB87_161:
	s_or_b32 exec_lo, exec_lo, s4
	s_waitcnt lgkmcnt(0)
	s_barrier
	buffer_gl0_inv
	ds_load_2addr_b64 v[176:179], v195 offset1:1
	s_mov_b32 s3, exec_lo
	s_waitcnt lgkmcnt(0)
	scratch_store_b128 off, v[176:179], off offset:496 ; 16-byte Folded Spill
	v_cmpx_lt_u32_e32 17, v194
	s_cbranch_execz .LBB87_163
; %bb.162:
	scratch_load_b128 v[178:181], off, off offset:496 ; 16-byte Folded Reload
	s_waitcnt vmcnt(0)
	v_mul_f64 v[176:177], v[180:181], v[106:107]
	v_mul_f64 v[106:107], v[178:179], v[106:107]
	s_delay_alu instid0(VALU_DEP_2) | instskip(NEXT) | instid1(VALU_DEP_2)
	v_fma_f64 v[176:177], v[178:179], v[104:105], -v[176:177]
	v_fma_f64 v[106:107], v[180:181], v[104:105], v[106:107]
	ds_load_2addr_b64 v[178:181], v196 offset0:36 offset1:37
	s_waitcnt lgkmcnt(0)
	v_mul_f64 v[104:105], v[180:181], v[106:107]
	s_delay_alu instid0(VALU_DEP_1) | instskip(SKIP_1) | instid1(VALU_DEP_2)
	v_fma_f64 v[104:105], v[178:179], v[176:177], -v[104:105]
	v_mul_f64 v[178:179], v[178:179], v[106:107]
	v_add_f64 v[100:101], v[100:101], -v[104:105]
	s_delay_alu instid0(VALU_DEP_2) | instskip(NEXT) | instid1(VALU_DEP_1)
	v_fma_f64 v[178:179], v[180:181], v[176:177], v[178:179]
	v_add_f64 v[102:103], v[102:103], -v[178:179]
	ds_load_2addr_b64 v[178:181], v196 offset0:38 offset1:39
	s_waitcnt lgkmcnt(0)
	v_mul_f64 v[104:105], v[180:181], v[106:107]
	s_delay_alu instid0(VALU_DEP_1) | instskip(SKIP_1) | instid1(VALU_DEP_2)
	v_fma_f64 v[104:105], v[178:179], v[176:177], -v[104:105]
	v_mul_f64 v[178:179], v[178:179], v[106:107]
	v_add_f64 v[96:97], v[96:97], -v[104:105]
	s_delay_alu instid0(VALU_DEP_2) | instskip(NEXT) | instid1(VALU_DEP_1)
	v_fma_f64 v[178:179], v[180:181], v[176:177], v[178:179]
	v_add_f64 v[98:99], v[98:99], -v[178:179]
	;; [unrolled: 10-line block ×25, first 2 shown]
	ds_load_2addr_b64 v[178:181], v196 offset0:86 offset1:87
	s_waitcnt lgkmcnt(0)
	v_mul_f64 v[104:105], v[180:181], v[106:107]
	s_delay_alu instid0(VALU_DEP_1) | instskip(SKIP_1) | instid1(VALU_DEP_2)
	v_fma_f64 v[104:105], v[178:179], v[176:177], -v[104:105]
	v_mul_f64 v[178:179], v[178:179], v[106:107]
	v_add_f64 v[0:1], v[0:1], -v[104:105]
	s_delay_alu instid0(VALU_DEP_2) | instskip(SKIP_1) | instid1(VALU_DEP_2)
	v_fma_f64 v[178:179], v[180:181], v[176:177], v[178:179]
	v_dual_mov_b32 v104, v176 :: v_dual_mov_b32 v105, v177
	v_add_f64 v[2:3], v[2:3], -v[178:179]
.LBB87_163:
	s_or_b32 exec_lo, exec_lo, s3
	s_delay_alu instid0(SALU_CYCLE_1)
	s_mov_b32 s4, exec_lo
	s_waitcnt_vscnt null, 0x0
	s_barrier
	buffer_gl0_inv
	v_cmpx_eq_u32_e32 18, v194
	s_cbranch_execz .LBB87_170
; %bb.164:
	ds_store_2addr_b64 v195, v[100:101], v[102:103] offset1:1
	ds_store_2addr_b64 v196, v[96:97], v[98:99] offset0:38 offset1:39
	ds_store_2addr_b64 v196, v[92:93], v[94:95] offset0:40 offset1:41
	;; [unrolled: 1-line block ×25, first 2 shown]
	ds_load_2addr_b64 v[176:179], v195 offset1:1
	s_waitcnt lgkmcnt(0)
	v_cmp_neq_f64_e32 vcc_lo, 0, v[176:177]
	v_cmp_neq_f64_e64 s3, 0, v[178:179]
	s_delay_alu instid0(VALU_DEP_1) | instskip(NEXT) | instid1(SALU_CYCLE_1)
	s_or_b32 s3, vcc_lo, s3
	s_and_b32 exec_lo, exec_lo, s3
	s_cbranch_execz .LBB87_170
; %bb.165:
	v_cmp_gt_f64_e32 vcc_lo, 0, v[176:177]
	v_xor_b32_e32 v180, 0x80000000, v177
	v_xor_b32_e32 v182, 0x80000000, v179
	s_mov_b32 s3, exec_lo
                                        ; implicit-def: $vgpr184_vgpr185
	s_delay_alu instid0(VALU_DEP_2) | instskip(SKIP_4) | instid1(VALU_DEP_1)
	v_cndmask_b32_e32 v181, v177, v180, vcc_lo
	v_cndmask_b32_e32 v180, v176, v176, vcc_lo
	v_cmp_gt_f64_e32 vcc_lo, 0, v[178:179]
	v_cndmask_b32_e32 v183, v179, v182, vcc_lo
	v_cndmask_b32_e32 v182, v178, v178, vcc_lo
	v_cmpx_ngt_f64_e32 v[180:181], v[182:183]
	s_xor_b32 s3, exec_lo, s3
                                        ; implicit-def: $vgpr180_vgpr181_vgpr182_vgpr183
	s_cbranch_execz .LBB87_167
; %bb.166:
	v_div_scale_f64 v[180:181], null, v[178:179], v[178:179], v[176:177]
	v_div_scale_f64 v[186:187], vcc_lo, v[176:177], v[178:179], v[176:177]
	s_delay_alu instid0(VALU_DEP_2) | instskip(SKIP_2) | instid1(VALU_DEP_1)
	v_rcp_f64_e32 v[182:183], v[180:181]
	s_waitcnt_depctr 0xfff
	v_fma_f64 v[184:185], -v[180:181], v[182:183], 1.0
	v_fma_f64 v[182:183], v[182:183], v[184:185], v[182:183]
	s_delay_alu instid0(VALU_DEP_1) | instskip(NEXT) | instid1(VALU_DEP_1)
	v_fma_f64 v[184:185], -v[180:181], v[182:183], 1.0
	v_fma_f64 v[182:183], v[182:183], v[184:185], v[182:183]
	s_delay_alu instid0(VALU_DEP_1) | instskip(NEXT) | instid1(VALU_DEP_1)
	v_mul_f64 v[184:185], v[186:187], v[182:183]
	v_fma_f64 v[180:181], -v[180:181], v[184:185], v[186:187]
	s_delay_alu instid0(VALU_DEP_1) | instskip(NEXT) | instid1(VALU_DEP_1)
	v_div_fmas_f64 v[180:181], v[180:181], v[182:183], v[184:185]
	v_div_fixup_f64 v[180:181], v[180:181], v[178:179], v[176:177]
	s_delay_alu instid0(VALU_DEP_1) | instskip(NEXT) | instid1(VALU_DEP_1)
	v_fma_f64 v[176:177], v[176:177], v[180:181], v[178:179]
	v_div_scale_f64 v[178:179], null, v[176:177], v[176:177], 1.0
	s_delay_alu instid0(VALU_DEP_1) | instskip(SKIP_2) | instid1(VALU_DEP_1)
	v_rcp_f64_e32 v[182:183], v[178:179]
	s_waitcnt_depctr 0xfff
	v_fma_f64 v[184:185], -v[178:179], v[182:183], 1.0
	v_fma_f64 v[182:183], v[182:183], v[184:185], v[182:183]
	s_delay_alu instid0(VALU_DEP_1) | instskip(NEXT) | instid1(VALU_DEP_1)
	v_fma_f64 v[184:185], -v[178:179], v[182:183], 1.0
	v_fma_f64 v[182:183], v[182:183], v[184:185], v[182:183]
	v_div_scale_f64 v[184:185], vcc_lo, 1.0, v[176:177], 1.0
	s_delay_alu instid0(VALU_DEP_1) | instskip(NEXT) | instid1(VALU_DEP_1)
	v_mul_f64 v[186:187], v[184:185], v[182:183]
	v_fma_f64 v[178:179], -v[178:179], v[186:187], v[184:185]
	s_delay_alu instid0(VALU_DEP_1) | instskip(NEXT) | instid1(VALU_DEP_1)
	v_div_fmas_f64 v[178:179], v[178:179], v[182:183], v[186:187]
	v_div_fixup_f64 v[182:183], v[178:179], v[176:177], 1.0
                                        ; implicit-def: $vgpr176_vgpr177
	s_delay_alu instid0(VALU_DEP_1)
	v_mul_f64 v[184:185], v[180:181], v[182:183]
	v_xor_b32_e32 v183, 0x80000000, v183
.LBB87_167:
	s_and_not1_saveexec_b32 s3, s3
	s_cbranch_execz .LBB87_169
; %bb.168:
	v_div_scale_f64 v[180:181], null, v[176:177], v[176:177], v[178:179]
	v_div_scale_f64 v[186:187], vcc_lo, v[178:179], v[176:177], v[178:179]
	s_delay_alu instid0(VALU_DEP_2) | instskip(SKIP_2) | instid1(VALU_DEP_1)
	v_rcp_f64_e32 v[182:183], v[180:181]
	s_waitcnt_depctr 0xfff
	v_fma_f64 v[184:185], -v[180:181], v[182:183], 1.0
	v_fma_f64 v[182:183], v[182:183], v[184:185], v[182:183]
	s_delay_alu instid0(VALU_DEP_1) | instskip(NEXT) | instid1(VALU_DEP_1)
	v_fma_f64 v[184:185], -v[180:181], v[182:183], 1.0
	v_fma_f64 v[182:183], v[182:183], v[184:185], v[182:183]
	s_delay_alu instid0(VALU_DEP_1) | instskip(NEXT) | instid1(VALU_DEP_1)
	v_mul_f64 v[184:185], v[186:187], v[182:183]
	v_fma_f64 v[180:181], -v[180:181], v[184:185], v[186:187]
	s_delay_alu instid0(VALU_DEP_1) | instskip(NEXT) | instid1(VALU_DEP_1)
	v_div_fmas_f64 v[180:181], v[180:181], v[182:183], v[184:185]
	v_div_fixup_f64 v[180:181], v[180:181], v[176:177], v[178:179]
	s_delay_alu instid0(VALU_DEP_1) | instskip(NEXT) | instid1(VALU_DEP_1)
	v_fma_f64 v[176:177], v[178:179], v[180:181], v[176:177]
	v_div_scale_f64 v[178:179], null, v[176:177], v[176:177], 1.0
	s_delay_alu instid0(VALU_DEP_1) | instskip(SKIP_2) | instid1(VALU_DEP_1)
	v_rcp_f64_e32 v[182:183], v[178:179]
	s_waitcnt_depctr 0xfff
	v_fma_f64 v[184:185], -v[178:179], v[182:183], 1.0
	v_fma_f64 v[182:183], v[182:183], v[184:185], v[182:183]
	s_delay_alu instid0(VALU_DEP_1) | instskip(NEXT) | instid1(VALU_DEP_1)
	v_fma_f64 v[184:185], -v[178:179], v[182:183], 1.0
	v_fma_f64 v[182:183], v[182:183], v[184:185], v[182:183]
	v_div_scale_f64 v[184:185], vcc_lo, 1.0, v[176:177], 1.0
	s_delay_alu instid0(VALU_DEP_1) | instskip(NEXT) | instid1(VALU_DEP_1)
	v_mul_f64 v[186:187], v[184:185], v[182:183]
	v_fma_f64 v[178:179], -v[178:179], v[186:187], v[184:185]
	s_delay_alu instid0(VALU_DEP_1) | instskip(NEXT) | instid1(VALU_DEP_1)
	v_div_fmas_f64 v[178:179], v[178:179], v[182:183], v[186:187]
	v_div_fixup_f64 v[184:185], v[178:179], v[176:177], 1.0
	s_delay_alu instid0(VALU_DEP_1)
	v_mul_f64 v[182:183], v[180:181], -v[184:185]
.LBB87_169:
	s_or_b32 exec_lo, exec_lo, s3
	ds_store_2addr_b64 v195, v[184:185], v[182:183] offset1:1
.LBB87_170:
	s_or_b32 exec_lo, exec_lo, s4
	s_waitcnt lgkmcnt(0)
	s_barrier
	buffer_gl0_inv
	ds_load_2addr_b64 v[176:179], v195 offset1:1
	s_mov_b32 s3, exec_lo
	s_waitcnt lgkmcnt(0)
	scratch_store_b128 off, v[176:179], off offset:520 ; 16-byte Folded Spill
	v_cmpx_lt_u32_e32 18, v194
	s_cbranch_execz .LBB87_172
; %bb.171:
	scratch_load_b128 v[178:181], off, off offset:520 ; 16-byte Folded Reload
	s_waitcnt vmcnt(0)
	v_mul_f64 v[176:177], v[180:181], v[102:103]
	v_mul_f64 v[102:103], v[178:179], v[102:103]
	s_delay_alu instid0(VALU_DEP_2) | instskip(NEXT) | instid1(VALU_DEP_2)
	v_fma_f64 v[176:177], v[178:179], v[100:101], -v[176:177]
	v_fma_f64 v[102:103], v[180:181], v[100:101], v[102:103]
	ds_load_2addr_b64 v[178:181], v196 offset0:38 offset1:39
	s_waitcnt lgkmcnt(0)
	v_mul_f64 v[100:101], v[180:181], v[102:103]
	s_delay_alu instid0(VALU_DEP_1) | instskip(SKIP_1) | instid1(VALU_DEP_2)
	v_fma_f64 v[100:101], v[178:179], v[176:177], -v[100:101]
	v_mul_f64 v[178:179], v[178:179], v[102:103]
	v_add_f64 v[96:97], v[96:97], -v[100:101]
	s_delay_alu instid0(VALU_DEP_2) | instskip(NEXT) | instid1(VALU_DEP_1)
	v_fma_f64 v[178:179], v[180:181], v[176:177], v[178:179]
	v_add_f64 v[98:99], v[98:99], -v[178:179]
	ds_load_2addr_b64 v[178:181], v196 offset0:40 offset1:41
	s_waitcnt lgkmcnt(0)
	v_mul_f64 v[100:101], v[180:181], v[102:103]
	s_delay_alu instid0(VALU_DEP_1) | instskip(SKIP_1) | instid1(VALU_DEP_2)
	v_fma_f64 v[100:101], v[178:179], v[176:177], -v[100:101]
	v_mul_f64 v[178:179], v[178:179], v[102:103]
	v_add_f64 v[92:93], v[92:93], -v[100:101]
	s_delay_alu instid0(VALU_DEP_2) | instskip(NEXT) | instid1(VALU_DEP_1)
	v_fma_f64 v[178:179], v[180:181], v[176:177], v[178:179]
	v_add_f64 v[94:95], v[94:95], -v[178:179]
	;; [unrolled: 10-line block ×24, first 2 shown]
	ds_load_2addr_b64 v[178:181], v196 offset0:86 offset1:87
	s_waitcnt lgkmcnt(0)
	v_mul_f64 v[100:101], v[180:181], v[102:103]
	s_delay_alu instid0(VALU_DEP_1) | instskip(SKIP_1) | instid1(VALU_DEP_2)
	v_fma_f64 v[100:101], v[178:179], v[176:177], -v[100:101]
	v_mul_f64 v[178:179], v[178:179], v[102:103]
	v_add_f64 v[0:1], v[0:1], -v[100:101]
	s_delay_alu instid0(VALU_DEP_2) | instskip(SKIP_1) | instid1(VALU_DEP_2)
	v_fma_f64 v[178:179], v[180:181], v[176:177], v[178:179]
	v_dual_mov_b32 v100, v176 :: v_dual_mov_b32 v101, v177
	v_add_f64 v[2:3], v[2:3], -v[178:179]
.LBB87_172:
	s_or_b32 exec_lo, exec_lo, s3
	s_delay_alu instid0(SALU_CYCLE_1)
	s_mov_b32 s4, exec_lo
	s_waitcnt_vscnt null, 0x0
	s_barrier
	buffer_gl0_inv
	v_cmpx_eq_u32_e32 19, v194
	s_cbranch_execz .LBB87_179
; %bb.173:
	ds_store_2addr_b64 v195, v[96:97], v[98:99] offset1:1
	ds_store_2addr_b64 v196, v[92:93], v[94:95] offset0:40 offset1:41
	ds_store_2addr_b64 v196, v[88:89], v[90:91] offset0:42 offset1:43
	;; [unrolled: 1-line block ×24, first 2 shown]
	ds_load_2addr_b64 v[176:179], v195 offset1:1
	s_waitcnt lgkmcnt(0)
	v_cmp_neq_f64_e32 vcc_lo, 0, v[176:177]
	v_cmp_neq_f64_e64 s3, 0, v[178:179]
	s_delay_alu instid0(VALU_DEP_1) | instskip(NEXT) | instid1(SALU_CYCLE_1)
	s_or_b32 s3, vcc_lo, s3
	s_and_b32 exec_lo, exec_lo, s3
	s_cbranch_execz .LBB87_179
; %bb.174:
	v_cmp_gt_f64_e32 vcc_lo, 0, v[176:177]
	v_xor_b32_e32 v180, 0x80000000, v177
	v_xor_b32_e32 v182, 0x80000000, v179
	s_mov_b32 s3, exec_lo
                                        ; implicit-def: $vgpr184_vgpr185
	s_delay_alu instid0(VALU_DEP_2) | instskip(SKIP_4) | instid1(VALU_DEP_1)
	v_cndmask_b32_e32 v181, v177, v180, vcc_lo
	v_cndmask_b32_e32 v180, v176, v176, vcc_lo
	v_cmp_gt_f64_e32 vcc_lo, 0, v[178:179]
	v_cndmask_b32_e32 v183, v179, v182, vcc_lo
	v_cndmask_b32_e32 v182, v178, v178, vcc_lo
	v_cmpx_ngt_f64_e32 v[180:181], v[182:183]
	s_xor_b32 s3, exec_lo, s3
                                        ; implicit-def: $vgpr180_vgpr181_vgpr182_vgpr183
	s_cbranch_execz .LBB87_176
; %bb.175:
	v_div_scale_f64 v[180:181], null, v[178:179], v[178:179], v[176:177]
	v_div_scale_f64 v[186:187], vcc_lo, v[176:177], v[178:179], v[176:177]
	s_delay_alu instid0(VALU_DEP_2) | instskip(SKIP_2) | instid1(VALU_DEP_1)
	v_rcp_f64_e32 v[182:183], v[180:181]
	s_waitcnt_depctr 0xfff
	v_fma_f64 v[184:185], -v[180:181], v[182:183], 1.0
	v_fma_f64 v[182:183], v[182:183], v[184:185], v[182:183]
	s_delay_alu instid0(VALU_DEP_1) | instskip(NEXT) | instid1(VALU_DEP_1)
	v_fma_f64 v[184:185], -v[180:181], v[182:183], 1.0
	v_fma_f64 v[182:183], v[182:183], v[184:185], v[182:183]
	s_delay_alu instid0(VALU_DEP_1) | instskip(NEXT) | instid1(VALU_DEP_1)
	v_mul_f64 v[184:185], v[186:187], v[182:183]
	v_fma_f64 v[180:181], -v[180:181], v[184:185], v[186:187]
	s_delay_alu instid0(VALU_DEP_1) | instskip(NEXT) | instid1(VALU_DEP_1)
	v_div_fmas_f64 v[180:181], v[180:181], v[182:183], v[184:185]
	v_div_fixup_f64 v[180:181], v[180:181], v[178:179], v[176:177]
	s_delay_alu instid0(VALU_DEP_1) | instskip(NEXT) | instid1(VALU_DEP_1)
	v_fma_f64 v[176:177], v[176:177], v[180:181], v[178:179]
	v_div_scale_f64 v[178:179], null, v[176:177], v[176:177], 1.0
	s_delay_alu instid0(VALU_DEP_1) | instskip(SKIP_2) | instid1(VALU_DEP_1)
	v_rcp_f64_e32 v[182:183], v[178:179]
	s_waitcnt_depctr 0xfff
	v_fma_f64 v[184:185], -v[178:179], v[182:183], 1.0
	v_fma_f64 v[182:183], v[182:183], v[184:185], v[182:183]
	s_delay_alu instid0(VALU_DEP_1) | instskip(NEXT) | instid1(VALU_DEP_1)
	v_fma_f64 v[184:185], -v[178:179], v[182:183], 1.0
	v_fma_f64 v[182:183], v[182:183], v[184:185], v[182:183]
	v_div_scale_f64 v[184:185], vcc_lo, 1.0, v[176:177], 1.0
	s_delay_alu instid0(VALU_DEP_1) | instskip(NEXT) | instid1(VALU_DEP_1)
	v_mul_f64 v[186:187], v[184:185], v[182:183]
	v_fma_f64 v[178:179], -v[178:179], v[186:187], v[184:185]
	s_delay_alu instid0(VALU_DEP_1) | instskip(NEXT) | instid1(VALU_DEP_1)
	v_div_fmas_f64 v[178:179], v[178:179], v[182:183], v[186:187]
	v_div_fixup_f64 v[182:183], v[178:179], v[176:177], 1.0
                                        ; implicit-def: $vgpr176_vgpr177
	s_delay_alu instid0(VALU_DEP_1)
	v_mul_f64 v[184:185], v[180:181], v[182:183]
	v_xor_b32_e32 v183, 0x80000000, v183
.LBB87_176:
	s_and_not1_saveexec_b32 s3, s3
	s_cbranch_execz .LBB87_178
; %bb.177:
	v_div_scale_f64 v[180:181], null, v[176:177], v[176:177], v[178:179]
	v_div_scale_f64 v[186:187], vcc_lo, v[178:179], v[176:177], v[178:179]
	s_delay_alu instid0(VALU_DEP_2) | instskip(SKIP_2) | instid1(VALU_DEP_1)
	v_rcp_f64_e32 v[182:183], v[180:181]
	s_waitcnt_depctr 0xfff
	v_fma_f64 v[184:185], -v[180:181], v[182:183], 1.0
	v_fma_f64 v[182:183], v[182:183], v[184:185], v[182:183]
	s_delay_alu instid0(VALU_DEP_1) | instskip(NEXT) | instid1(VALU_DEP_1)
	v_fma_f64 v[184:185], -v[180:181], v[182:183], 1.0
	v_fma_f64 v[182:183], v[182:183], v[184:185], v[182:183]
	s_delay_alu instid0(VALU_DEP_1) | instskip(NEXT) | instid1(VALU_DEP_1)
	v_mul_f64 v[184:185], v[186:187], v[182:183]
	v_fma_f64 v[180:181], -v[180:181], v[184:185], v[186:187]
	s_delay_alu instid0(VALU_DEP_1) | instskip(NEXT) | instid1(VALU_DEP_1)
	v_div_fmas_f64 v[180:181], v[180:181], v[182:183], v[184:185]
	v_div_fixup_f64 v[180:181], v[180:181], v[176:177], v[178:179]
	s_delay_alu instid0(VALU_DEP_1) | instskip(NEXT) | instid1(VALU_DEP_1)
	v_fma_f64 v[176:177], v[178:179], v[180:181], v[176:177]
	v_div_scale_f64 v[178:179], null, v[176:177], v[176:177], 1.0
	s_delay_alu instid0(VALU_DEP_1) | instskip(SKIP_2) | instid1(VALU_DEP_1)
	v_rcp_f64_e32 v[182:183], v[178:179]
	s_waitcnt_depctr 0xfff
	v_fma_f64 v[184:185], -v[178:179], v[182:183], 1.0
	v_fma_f64 v[182:183], v[182:183], v[184:185], v[182:183]
	s_delay_alu instid0(VALU_DEP_1) | instskip(NEXT) | instid1(VALU_DEP_1)
	v_fma_f64 v[184:185], -v[178:179], v[182:183], 1.0
	v_fma_f64 v[182:183], v[182:183], v[184:185], v[182:183]
	v_div_scale_f64 v[184:185], vcc_lo, 1.0, v[176:177], 1.0
	s_delay_alu instid0(VALU_DEP_1) | instskip(NEXT) | instid1(VALU_DEP_1)
	v_mul_f64 v[186:187], v[184:185], v[182:183]
	v_fma_f64 v[178:179], -v[178:179], v[186:187], v[184:185]
	s_delay_alu instid0(VALU_DEP_1) | instskip(NEXT) | instid1(VALU_DEP_1)
	v_div_fmas_f64 v[178:179], v[178:179], v[182:183], v[186:187]
	v_div_fixup_f64 v[184:185], v[178:179], v[176:177], 1.0
	s_delay_alu instid0(VALU_DEP_1)
	v_mul_f64 v[182:183], v[180:181], -v[184:185]
.LBB87_178:
	s_or_b32 exec_lo, exec_lo, s3
	ds_store_2addr_b64 v195, v[184:185], v[182:183] offset1:1
.LBB87_179:
	s_or_b32 exec_lo, exec_lo, s4
	s_waitcnt lgkmcnt(0)
	s_barrier
	buffer_gl0_inv
	ds_load_2addr_b64 v[176:179], v195 offset1:1
	s_mov_b32 s3, exec_lo
	s_waitcnt lgkmcnt(0)
	scratch_store_b128 off, v[176:179], off offset:536 ; 16-byte Folded Spill
	v_cmpx_lt_u32_e32 19, v194
	s_cbranch_execz .LBB87_181
; %bb.180:
	scratch_load_b128 v[178:181], off, off offset:536 ; 16-byte Folded Reload
	s_waitcnt vmcnt(0)
	v_mul_f64 v[176:177], v[180:181], v[98:99]
	v_mul_f64 v[98:99], v[178:179], v[98:99]
	s_delay_alu instid0(VALU_DEP_2) | instskip(NEXT) | instid1(VALU_DEP_2)
	v_fma_f64 v[176:177], v[178:179], v[96:97], -v[176:177]
	v_fma_f64 v[98:99], v[180:181], v[96:97], v[98:99]
	ds_load_2addr_b64 v[178:181], v196 offset0:40 offset1:41
	s_waitcnt lgkmcnt(0)
	v_mul_f64 v[96:97], v[180:181], v[98:99]
	s_delay_alu instid0(VALU_DEP_1) | instskip(SKIP_1) | instid1(VALU_DEP_2)
	v_fma_f64 v[96:97], v[178:179], v[176:177], -v[96:97]
	v_mul_f64 v[178:179], v[178:179], v[98:99]
	v_add_f64 v[92:93], v[92:93], -v[96:97]
	s_delay_alu instid0(VALU_DEP_2) | instskip(NEXT) | instid1(VALU_DEP_1)
	v_fma_f64 v[178:179], v[180:181], v[176:177], v[178:179]
	v_add_f64 v[94:95], v[94:95], -v[178:179]
	ds_load_2addr_b64 v[178:181], v196 offset0:42 offset1:43
	s_waitcnt lgkmcnt(0)
	v_mul_f64 v[96:97], v[180:181], v[98:99]
	s_delay_alu instid0(VALU_DEP_1) | instskip(SKIP_1) | instid1(VALU_DEP_2)
	v_fma_f64 v[96:97], v[178:179], v[176:177], -v[96:97]
	v_mul_f64 v[178:179], v[178:179], v[98:99]
	v_add_f64 v[88:89], v[88:89], -v[96:97]
	s_delay_alu instid0(VALU_DEP_2) | instskip(NEXT) | instid1(VALU_DEP_1)
	v_fma_f64 v[178:179], v[180:181], v[176:177], v[178:179]
	v_add_f64 v[90:91], v[90:91], -v[178:179]
	;; [unrolled: 10-line block ×23, first 2 shown]
	ds_load_2addr_b64 v[178:181], v196 offset0:86 offset1:87
	s_waitcnt lgkmcnt(0)
	v_mul_f64 v[96:97], v[180:181], v[98:99]
	s_delay_alu instid0(VALU_DEP_1) | instskip(SKIP_1) | instid1(VALU_DEP_2)
	v_fma_f64 v[96:97], v[178:179], v[176:177], -v[96:97]
	v_mul_f64 v[178:179], v[178:179], v[98:99]
	v_add_f64 v[0:1], v[0:1], -v[96:97]
	s_delay_alu instid0(VALU_DEP_2) | instskip(SKIP_1) | instid1(VALU_DEP_2)
	v_fma_f64 v[178:179], v[180:181], v[176:177], v[178:179]
	v_dual_mov_b32 v96, v176 :: v_dual_mov_b32 v97, v177
	v_add_f64 v[2:3], v[2:3], -v[178:179]
.LBB87_181:
	s_or_b32 exec_lo, exec_lo, s3
	s_delay_alu instid0(SALU_CYCLE_1)
	s_mov_b32 s4, exec_lo
	s_waitcnt_vscnt null, 0x0
	s_barrier
	buffer_gl0_inv
	v_cmpx_eq_u32_e32 20, v194
	s_cbranch_execz .LBB87_188
; %bb.182:
	ds_store_2addr_b64 v195, v[92:93], v[94:95] offset1:1
	ds_store_2addr_b64 v196, v[88:89], v[90:91] offset0:42 offset1:43
	ds_store_2addr_b64 v196, v[84:85], v[86:87] offset0:44 offset1:45
	;; [unrolled: 1-line block ×23, first 2 shown]
	ds_load_2addr_b64 v[176:179], v195 offset1:1
	s_waitcnt lgkmcnt(0)
	v_cmp_neq_f64_e32 vcc_lo, 0, v[176:177]
	v_cmp_neq_f64_e64 s3, 0, v[178:179]
	s_delay_alu instid0(VALU_DEP_1) | instskip(NEXT) | instid1(SALU_CYCLE_1)
	s_or_b32 s3, vcc_lo, s3
	s_and_b32 exec_lo, exec_lo, s3
	s_cbranch_execz .LBB87_188
; %bb.183:
	v_cmp_gt_f64_e32 vcc_lo, 0, v[176:177]
	v_xor_b32_e32 v180, 0x80000000, v177
	v_xor_b32_e32 v182, 0x80000000, v179
	s_mov_b32 s3, exec_lo
                                        ; implicit-def: $vgpr184_vgpr185
	s_delay_alu instid0(VALU_DEP_2) | instskip(SKIP_4) | instid1(VALU_DEP_1)
	v_cndmask_b32_e32 v181, v177, v180, vcc_lo
	v_cndmask_b32_e32 v180, v176, v176, vcc_lo
	v_cmp_gt_f64_e32 vcc_lo, 0, v[178:179]
	v_cndmask_b32_e32 v183, v179, v182, vcc_lo
	v_cndmask_b32_e32 v182, v178, v178, vcc_lo
	v_cmpx_ngt_f64_e32 v[180:181], v[182:183]
	s_xor_b32 s3, exec_lo, s3
                                        ; implicit-def: $vgpr180_vgpr181_vgpr182_vgpr183
	s_cbranch_execz .LBB87_185
; %bb.184:
	v_div_scale_f64 v[180:181], null, v[178:179], v[178:179], v[176:177]
	v_div_scale_f64 v[186:187], vcc_lo, v[176:177], v[178:179], v[176:177]
	s_delay_alu instid0(VALU_DEP_2) | instskip(SKIP_2) | instid1(VALU_DEP_1)
	v_rcp_f64_e32 v[182:183], v[180:181]
	s_waitcnt_depctr 0xfff
	v_fma_f64 v[184:185], -v[180:181], v[182:183], 1.0
	v_fma_f64 v[182:183], v[182:183], v[184:185], v[182:183]
	s_delay_alu instid0(VALU_DEP_1) | instskip(NEXT) | instid1(VALU_DEP_1)
	v_fma_f64 v[184:185], -v[180:181], v[182:183], 1.0
	v_fma_f64 v[182:183], v[182:183], v[184:185], v[182:183]
	s_delay_alu instid0(VALU_DEP_1) | instskip(NEXT) | instid1(VALU_DEP_1)
	v_mul_f64 v[184:185], v[186:187], v[182:183]
	v_fma_f64 v[180:181], -v[180:181], v[184:185], v[186:187]
	s_delay_alu instid0(VALU_DEP_1) | instskip(NEXT) | instid1(VALU_DEP_1)
	v_div_fmas_f64 v[180:181], v[180:181], v[182:183], v[184:185]
	v_div_fixup_f64 v[180:181], v[180:181], v[178:179], v[176:177]
	s_delay_alu instid0(VALU_DEP_1) | instskip(NEXT) | instid1(VALU_DEP_1)
	v_fma_f64 v[176:177], v[176:177], v[180:181], v[178:179]
	v_div_scale_f64 v[178:179], null, v[176:177], v[176:177], 1.0
	s_delay_alu instid0(VALU_DEP_1) | instskip(SKIP_2) | instid1(VALU_DEP_1)
	v_rcp_f64_e32 v[182:183], v[178:179]
	s_waitcnt_depctr 0xfff
	v_fma_f64 v[184:185], -v[178:179], v[182:183], 1.0
	v_fma_f64 v[182:183], v[182:183], v[184:185], v[182:183]
	s_delay_alu instid0(VALU_DEP_1) | instskip(NEXT) | instid1(VALU_DEP_1)
	v_fma_f64 v[184:185], -v[178:179], v[182:183], 1.0
	v_fma_f64 v[182:183], v[182:183], v[184:185], v[182:183]
	v_div_scale_f64 v[184:185], vcc_lo, 1.0, v[176:177], 1.0
	s_delay_alu instid0(VALU_DEP_1) | instskip(NEXT) | instid1(VALU_DEP_1)
	v_mul_f64 v[186:187], v[184:185], v[182:183]
	v_fma_f64 v[178:179], -v[178:179], v[186:187], v[184:185]
	s_delay_alu instid0(VALU_DEP_1) | instskip(NEXT) | instid1(VALU_DEP_1)
	v_div_fmas_f64 v[178:179], v[178:179], v[182:183], v[186:187]
	v_div_fixup_f64 v[182:183], v[178:179], v[176:177], 1.0
                                        ; implicit-def: $vgpr176_vgpr177
	s_delay_alu instid0(VALU_DEP_1)
	v_mul_f64 v[184:185], v[180:181], v[182:183]
	v_xor_b32_e32 v183, 0x80000000, v183
.LBB87_185:
	s_and_not1_saveexec_b32 s3, s3
	s_cbranch_execz .LBB87_187
; %bb.186:
	v_div_scale_f64 v[180:181], null, v[176:177], v[176:177], v[178:179]
	v_div_scale_f64 v[186:187], vcc_lo, v[178:179], v[176:177], v[178:179]
	s_delay_alu instid0(VALU_DEP_2) | instskip(SKIP_2) | instid1(VALU_DEP_1)
	v_rcp_f64_e32 v[182:183], v[180:181]
	s_waitcnt_depctr 0xfff
	v_fma_f64 v[184:185], -v[180:181], v[182:183], 1.0
	v_fma_f64 v[182:183], v[182:183], v[184:185], v[182:183]
	s_delay_alu instid0(VALU_DEP_1) | instskip(NEXT) | instid1(VALU_DEP_1)
	v_fma_f64 v[184:185], -v[180:181], v[182:183], 1.0
	v_fma_f64 v[182:183], v[182:183], v[184:185], v[182:183]
	s_delay_alu instid0(VALU_DEP_1) | instskip(NEXT) | instid1(VALU_DEP_1)
	v_mul_f64 v[184:185], v[186:187], v[182:183]
	v_fma_f64 v[180:181], -v[180:181], v[184:185], v[186:187]
	s_delay_alu instid0(VALU_DEP_1) | instskip(NEXT) | instid1(VALU_DEP_1)
	v_div_fmas_f64 v[180:181], v[180:181], v[182:183], v[184:185]
	v_div_fixup_f64 v[180:181], v[180:181], v[176:177], v[178:179]
	s_delay_alu instid0(VALU_DEP_1) | instskip(NEXT) | instid1(VALU_DEP_1)
	v_fma_f64 v[176:177], v[178:179], v[180:181], v[176:177]
	v_div_scale_f64 v[178:179], null, v[176:177], v[176:177], 1.0
	s_delay_alu instid0(VALU_DEP_1) | instskip(SKIP_2) | instid1(VALU_DEP_1)
	v_rcp_f64_e32 v[182:183], v[178:179]
	s_waitcnt_depctr 0xfff
	v_fma_f64 v[184:185], -v[178:179], v[182:183], 1.0
	v_fma_f64 v[182:183], v[182:183], v[184:185], v[182:183]
	s_delay_alu instid0(VALU_DEP_1) | instskip(NEXT) | instid1(VALU_DEP_1)
	v_fma_f64 v[184:185], -v[178:179], v[182:183], 1.0
	v_fma_f64 v[182:183], v[182:183], v[184:185], v[182:183]
	v_div_scale_f64 v[184:185], vcc_lo, 1.0, v[176:177], 1.0
	s_delay_alu instid0(VALU_DEP_1) | instskip(NEXT) | instid1(VALU_DEP_1)
	v_mul_f64 v[186:187], v[184:185], v[182:183]
	v_fma_f64 v[178:179], -v[178:179], v[186:187], v[184:185]
	s_delay_alu instid0(VALU_DEP_1) | instskip(NEXT) | instid1(VALU_DEP_1)
	v_div_fmas_f64 v[178:179], v[178:179], v[182:183], v[186:187]
	v_div_fixup_f64 v[184:185], v[178:179], v[176:177], 1.0
	s_delay_alu instid0(VALU_DEP_1)
	v_mul_f64 v[182:183], v[180:181], -v[184:185]
.LBB87_187:
	s_or_b32 exec_lo, exec_lo, s3
	ds_store_2addr_b64 v195, v[184:185], v[182:183] offset1:1
.LBB87_188:
	s_or_b32 exec_lo, exec_lo, s4
	s_waitcnt lgkmcnt(0)
	s_barrier
	buffer_gl0_inv
	ds_load_2addr_b64 v[176:179], v195 offset1:1
	s_mov_b32 s3, exec_lo
	s_waitcnt lgkmcnt(0)
	scratch_store_b128 off, v[176:179], off offset:552 ; 16-byte Folded Spill
	v_cmpx_lt_u32_e32 20, v194
	s_cbranch_execz .LBB87_190
; %bb.189:
	scratch_load_b128 v[178:181], off, off offset:552 ; 16-byte Folded Reload
	s_waitcnt vmcnt(0)
	v_mul_f64 v[176:177], v[180:181], v[94:95]
	v_mul_f64 v[94:95], v[178:179], v[94:95]
	s_delay_alu instid0(VALU_DEP_2) | instskip(NEXT) | instid1(VALU_DEP_2)
	v_fma_f64 v[176:177], v[178:179], v[92:93], -v[176:177]
	v_fma_f64 v[94:95], v[180:181], v[92:93], v[94:95]
	ds_load_2addr_b64 v[178:181], v196 offset0:42 offset1:43
	s_waitcnt lgkmcnt(0)
	v_mul_f64 v[92:93], v[180:181], v[94:95]
	s_delay_alu instid0(VALU_DEP_1) | instskip(SKIP_1) | instid1(VALU_DEP_2)
	v_fma_f64 v[92:93], v[178:179], v[176:177], -v[92:93]
	v_mul_f64 v[178:179], v[178:179], v[94:95]
	v_add_f64 v[88:89], v[88:89], -v[92:93]
	s_delay_alu instid0(VALU_DEP_2) | instskip(NEXT) | instid1(VALU_DEP_1)
	v_fma_f64 v[178:179], v[180:181], v[176:177], v[178:179]
	v_add_f64 v[90:91], v[90:91], -v[178:179]
	ds_load_2addr_b64 v[178:181], v196 offset0:44 offset1:45
	s_waitcnt lgkmcnt(0)
	v_mul_f64 v[92:93], v[180:181], v[94:95]
	s_delay_alu instid0(VALU_DEP_1) | instskip(SKIP_1) | instid1(VALU_DEP_2)
	v_fma_f64 v[92:93], v[178:179], v[176:177], -v[92:93]
	v_mul_f64 v[178:179], v[178:179], v[94:95]
	v_add_f64 v[84:85], v[84:85], -v[92:93]
	s_delay_alu instid0(VALU_DEP_2) | instskip(NEXT) | instid1(VALU_DEP_1)
	v_fma_f64 v[178:179], v[180:181], v[176:177], v[178:179]
	v_add_f64 v[86:87], v[86:87], -v[178:179]
	;; [unrolled: 10-line block ×22, first 2 shown]
	ds_load_2addr_b64 v[178:181], v196 offset0:86 offset1:87
	s_waitcnt lgkmcnt(0)
	v_mul_f64 v[92:93], v[180:181], v[94:95]
	s_delay_alu instid0(VALU_DEP_1) | instskip(SKIP_1) | instid1(VALU_DEP_2)
	v_fma_f64 v[92:93], v[178:179], v[176:177], -v[92:93]
	v_mul_f64 v[178:179], v[178:179], v[94:95]
	v_add_f64 v[0:1], v[0:1], -v[92:93]
	s_delay_alu instid0(VALU_DEP_2) | instskip(SKIP_1) | instid1(VALU_DEP_2)
	v_fma_f64 v[178:179], v[180:181], v[176:177], v[178:179]
	v_dual_mov_b32 v92, v176 :: v_dual_mov_b32 v93, v177
	v_add_f64 v[2:3], v[2:3], -v[178:179]
.LBB87_190:
	s_or_b32 exec_lo, exec_lo, s3
	s_delay_alu instid0(SALU_CYCLE_1)
	s_mov_b32 s4, exec_lo
	s_waitcnt_vscnt null, 0x0
	s_barrier
	buffer_gl0_inv
	v_cmpx_eq_u32_e32 21, v194
	s_cbranch_execz .LBB87_197
; %bb.191:
	ds_store_2addr_b64 v195, v[88:89], v[90:91] offset1:1
	ds_store_2addr_b64 v196, v[84:85], v[86:87] offset0:44 offset1:45
	ds_store_2addr_b64 v196, v[80:81], v[82:83] offset0:46 offset1:47
	;; [unrolled: 1-line block ×22, first 2 shown]
	ds_load_2addr_b64 v[176:179], v195 offset1:1
	s_waitcnt lgkmcnt(0)
	v_cmp_neq_f64_e32 vcc_lo, 0, v[176:177]
	v_cmp_neq_f64_e64 s3, 0, v[178:179]
	s_delay_alu instid0(VALU_DEP_1) | instskip(NEXT) | instid1(SALU_CYCLE_1)
	s_or_b32 s3, vcc_lo, s3
	s_and_b32 exec_lo, exec_lo, s3
	s_cbranch_execz .LBB87_197
; %bb.192:
	v_cmp_gt_f64_e32 vcc_lo, 0, v[176:177]
	v_xor_b32_e32 v180, 0x80000000, v177
	v_xor_b32_e32 v182, 0x80000000, v179
	s_mov_b32 s3, exec_lo
                                        ; implicit-def: $vgpr184_vgpr185
	s_delay_alu instid0(VALU_DEP_2) | instskip(SKIP_4) | instid1(VALU_DEP_1)
	v_cndmask_b32_e32 v181, v177, v180, vcc_lo
	v_cndmask_b32_e32 v180, v176, v176, vcc_lo
	v_cmp_gt_f64_e32 vcc_lo, 0, v[178:179]
	v_cndmask_b32_e32 v183, v179, v182, vcc_lo
	v_cndmask_b32_e32 v182, v178, v178, vcc_lo
	v_cmpx_ngt_f64_e32 v[180:181], v[182:183]
	s_xor_b32 s3, exec_lo, s3
                                        ; implicit-def: $vgpr180_vgpr181_vgpr182_vgpr183
	s_cbranch_execz .LBB87_194
; %bb.193:
	v_div_scale_f64 v[180:181], null, v[178:179], v[178:179], v[176:177]
	v_div_scale_f64 v[186:187], vcc_lo, v[176:177], v[178:179], v[176:177]
	s_delay_alu instid0(VALU_DEP_2) | instskip(SKIP_2) | instid1(VALU_DEP_1)
	v_rcp_f64_e32 v[182:183], v[180:181]
	s_waitcnt_depctr 0xfff
	v_fma_f64 v[184:185], -v[180:181], v[182:183], 1.0
	v_fma_f64 v[182:183], v[182:183], v[184:185], v[182:183]
	s_delay_alu instid0(VALU_DEP_1) | instskip(NEXT) | instid1(VALU_DEP_1)
	v_fma_f64 v[184:185], -v[180:181], v[182:183], 1.0
	v_fma_f64 v[182:183], v[182:183], v[184:185], v[182:183]
	s_delay_alu instid0(VALU_DEP_1) | instskip(NEXT) | instid1(VALU_DEP_1)
	v_mul_f64 v[184:185], v[186:187], v[182:183]
	v_fma_f64 v[180:181], -v[180:181], v[184:185], v[186:187]
	s_delay_alu instid0(VALU_DEP_1) | instskip(NEXT) | instid1(VALU_DEP_1)
	v_div_fmas_f64 v[180:181], v[180:181], v[182:183], v[184:185]
	v_div_fixup_f64 v[180:181], v[180:181], v[178:179], v[176:177]
	s_delay_alu instid0(VALU_DEP_1) | instskip(NEXT) | instid1(VALU_DEP_1)
	v_fma_f64 v[176:177], v[176:177], v[180:181], v[178:179]
	v_div_scale_f64 v[178:179], null, v[176:177], v[176:177], 1.0
	s_delay_alu instid0(VALU_DEP_1) | instskip(SKIP_2) | instid1(VALU_DEP_1)
	v_rcp_f64_e32 v[182:183], v[178:179]
	s_waitcnt_depctr 0xfff
	v_fma_f64 v[184:185], -v[178:179], v[182:183], 1.0
	v_fma_f64 v[182:183], v[182:183], v[184:185], v[182:183]
	s_delay_alu instid0(VALU_DEP_1) | instskip(NEXT) | instid1(VALU_DEP_1)
	v_fma_f64 v[184:185], -v[178:179], v[182:183], 1.0
	v_fma_f64 v[182:183], v[182:183], v[184:185], v[182:183]
	v_div_scale_f64 v[184:185], vcc_lo, 1.0, v[176:177], 1.0
	s_delay_alu instid0(VALU_DEP_1) | instskip(NEXT) | instid1(VALU_DEP_1)
	v_mul_f64 v[186:187], v[184:185], v[182:183]
	v_fma_f64 v[178:179], -v[178:179], v[186:187], v[184:185]
	s_delay_alu instid0(VALU_DEP_1) | instskip(NEXT) | instid1(VALU_DEP_1)
	v_div_fmas_f64 v[178:179], v[178:179], v[182:183], v[186:187]
	v_div_fixup_f64 v[182:183], v[178:179], v[176:177], 1.0
                                        ; implicit-def: $vgpr176_vgpr177
	s_delay_alu instid0(VALU_DEP_1)
	v_mul_f64 v[184:185], v[180:181], v[182:183]
	v_xor_b32_e32 v183, 0x80000000, v183
.LBB87_194:
	s_and_not1_saveexec_b32 s3, s3
	s_cbranch_execz .LBB87_196
; %bb.195:
	v_div_scale_f64 v[180:181], null, v[176:177], v[176:177], v[178:179]
	v_div_scale_f64 v[186:187], vcc_lo, v[178:179], v[176:177], v[178:179]
	s_delay_alu instid0(VALU_DEP_2) | instskip(SKIP_2) | instid1(VALU_DEP_1)
	v_rcp_f64_e32 v[182:183], v[180:181]
	s_waitcnt_depctr 0xfff
	v_fma_f64 v[184:185], -v[180:181], v[182:183], 1.0
	v_fma_f64 v[182:183], v[182:183], v[184:185], v[182:183]
	s_delay_alu instid0(VALU_DEP_1) | instskip(NEXT) | instid1(VALU_DEP_1)
	v_fma_f64 v[184:185], -v[180:181], v[182:183], 1.0
	v_fma_f64 v[182:183], v[182:183], v[184:185], v[182:183]
	s_delay_alu instid0(VALU_DEP_1) | instskip(NEXT) | instid1(VALU_DEP_1)
	v_mul_f64 v[184:185], v[186:187], v[182:183]
	v_fma_f64 v[180:181], -v[180:181], v[184:185], v[186:187]
	s_delay_alu instid0(VALU_DEP_1) | instskip(NEXT) | instid1(VALU_DEP_1)
	v_div_fmas_f64 v[180:181], v[180:181], v[182:183], v[184:185]
	v_div_fixup_f64 v[180:181], v[180:181], v[176:177], v[178:179]
	s_delay_alu instid0(VALU_DEP_1) | instskip(NEXT) | instid1(VALU_DEP_1)
	v_fma_f64 v[176:177], v[178:179], v[180:181], v[176:177]
	v_div_scale_f64 v[178:179], null, v[176:177], v[176:177], 1.0
	s_delay_alu instid0(VALU_DEP_1) | instskip(SKIP_2) | instid1(VALU_DEP_1)
	v_rcp_f64_e32 v[182:183], v[178:179]
	s_waitcnt_depctr 0xfff
	v_fma_f64 v[184:185], -v[178:179], v[182:183], 1.0
	v_fma_f64 v[182:183], v[182:183], v[184:185], v[182:183]
	s_delay_alu instid0(VALU_DEP_1) | instskip(NEXT) | instid1(VALU_DEP_1)
	v_fma_f64 v[184:185], -v[178:179], v[182:183], 1.0
	v_fma_f64 v[182:183], v[182:183], v[184:185], v[182:183]
	v_div_scale_f64 v[184:185], vcc_lo, 1.0, v[176:177], 1.0
	s_delay_alu instid0(VALU_DEP_1) | instskip(NEXT) | instid1(VALU_DEP_1)
	v_mul_f64 v[186:187], v[184:185], v[182:183]
	v_fma_f64 v[178:179], -v[178:179], v[186:187], v[184:185]
	s_delay_alu instid0(VALU_DEP_1) | instskip(NEXT) | instid1(VALU_DEP_1)
	v_div_fmas_f64 v[178:179], v[178:179], v[182:183], v[186:187]
	v_div_fixup_f64 v[184:185], v[178:179], v[176:177], 1.0
	s_delay_alu instid0(VALU_DEP_1)
	v_mul_f64 v[182:183], v[180:181], -v[184:185]
.LBB87_196:
	s_or_b32 exec_lo, exec_lo, s3
	ds_store_2addr_b64 v195, v[184:185], v[182:183] offset1:1
.LBB87_197:
	s_or_b32 exec_lo, exec_lo, s4
	s_waitcnt lgkmcnt(0)
	s_barrier
	buffer_gl0_inv
	ds_load_2addr_b64 v[176:179], v195 offset1:1
	s_mov_b32 s3, exec_lo
	s_waitcnt lgkmcnt(0)
	scratch_store_b128 off, v[176:179], off offset:568 ; 16-byte Folded Spill
	v_cmpx_lt_u32_e32 21, v194
	s_cbranch_execz .LBB87_199
; %bb.198:
	scratch_load_b128 v[178:181], off, off offset:568 ; 16-byte Folded Reload
	s_waitcnt vmcnt(0)
	v_mul_f64 v[176:177], v[180:181], v[90:91]
	v_mul_f64 v[90:91], v[178:179], v[90:91]
	s_delay_alu instid0(VALU_DEP_2) | instskip(NEXT) | instid1(VALU_DEP_2)
	v_fma_f64 v[176:177], v[178:179], v[88:89], -v[176:177]
	v_fma_f64 v[90:91], v[180:181], v[88:89], v[90:91]
	ds_load_2addr_b64 v[178:181], v196 offset0:44 offset1:45
	s_waitcnt lgkmcnt(0)
	v_mul_f64 v[88:89], v[180:181], v[90:91]
	s_delay_alu instid0(VALU_DEP_1) | instskip(SKIP_1) | instid1(VALU_DEP_2)
	v_fma_f64 v[88:89], v[178:179], v[176:177], -v[88:89]
	v_mul_f64 v[178:179], v[178:179], v[90:91]
	v_add_f64 v[84:85], v[84:85], -v[88:89]
	s_delay_alu instid0(VALU_DEP_2) | instskip(NEXT) | instid1(VALU_DEP_1)
	v_fma_f64 v[178:179], v[180:181], v[176:177], v[178:179]
	v_add_f64 v[86:87], v[86:87], -v[178:179]
	ds_load_2addr_b64 v[178:181], v196 offset0:46 offset1:47
	s_waitcnt lgkmcnt(0)
	v_mul_f64 v[88:89], v[180:181], v[90:91]
	s_delay_alu instid0(VALU_DEP_1) | instskip(SKIP_1) | instid1(VALU_DEP_2)
	v_fma_f64 v[88:89], v[178:179], v[176:177], -v[88:89]
	v_mul_f64 v[178:179], v[178:179], v[90:91]
	v_add_f64 v[80:81], v[80:81], -v[88:89]
	s_delay_alu instid0(VALU_DEP_2) | instskip(NEXT) | instid1(VALU_DEP_1)
	v_fma_f64 v[178:179], v[180:181], v[176:177], v[178:179]
	v_add_f64 v[82:83], v[82:83], -v[178:179]
	;; [unrolled: 10-line block ×21, first 2 shown]
	ds_load_2addr_b64 v[178:181], v196 offset0:86 offset1:87
	s_waitcnt lgkmcnt(0)
	v_mul_f64 v[88:89], v[180:181], v[90:91]
	s_delay_alu instid0(VALU_DEP_1) | instskip(SKIP_1) | instid1(VALU_DEP_2)
	v_fma_f64 v[88:89], v[178:179], v[176:177], -v[88:89]
	v_mul_f64 v[178:179], v[178:179], v[90:91]
	v_add_f64 v[0:1], v[0:1], -v[88:89]
	s_delay_alu instid0(VALU_DEP_2) | instskip(SKIP_1) | instid1(VALU_DEP_2)
	v_fma_f64 v[178:179], v[180:181], v[176:177], v[178:179]
	v_dual_mov_b32 v88, v176 :: v_dual_mov_b32 v89, v177
	v_add_f64 v[2:3], v[2:3], -v[178:179]
.LBB87_199:
	s_or_b32 exec_lo, exec_lo, s3
	s_delay_alu instid0(SALU_CYCLE_1)
	s_mov_b32 s4, exec_lo
	s_waitcnt_vscnt null, 0x0
	s_barrier
	buffer_gl0_inv
	v_cmpx_eq_u32_e32 22, v194
	s_cbranch_execz .LBB87_206
; %bb.200:
	ds_store_2addr_b64 v195, v[84:85], v[86:87] offset1:1
	ds_store_2addr_b64 v196, v[80:81], v[82:83] offset0:46 offset1:47
	ds_store_2addr_b64 v196, v[76:77], v[78:79] offset0:48 offset1:49
	;; [unrolled: 1-line block ×21, first 2 shown]
	ds_load_2addr_b64 v[176:179], v195 offset1:1
	s_waitcnt lgkmcnt(0)
	v_cmp_neq_f64_e32 vcc_lo, 0, v[176:177]
	v_cmp_neq_f64_e64 s3, 0, v[178:179]
	s_delay_alu instid0(VALU_DEP_1) | instskip(NEXT) | instid1(SALU_CYCLE_1)
	s_or_b32 s3, vcc_lo, s3
	s_and_b32 exec_lo, exec_lo, s3
	s_cbranch_execz .LBB87_206
; %bb.201:
	v_cmp_gt_f64_e32 vcc_lo, 0, v[176:177]
	v_xor_b32_e32 v180, 0x80000000, v177
	v_xor_b32_e32 v182, 0x80000000, v179
	s_mov_b32 s3, exec_lo
                                        ; implicit-def: $vgpr184_vgpr185
	s_delay_alu instid0(VALU_DEP_2) | instskip(SKIP_4) | instid1(VALU_DEP_1)
	v_cndmask_b32_e32 v181, v177, v180, vcc_lo
	v_cndmask_b32_e32 v180, v176, v176, vcc_lo
	v_cmp_gt_f64_e32 vcc_lo, 0, v[178:179]
	v_cndmask_b32_e32 v183, v179, v182, vcc_lo
	v_cndmask_b32_e32 v182, v178, v178, vcc_lo
	v_cmpx_ngt_f64_e32 v[180:181], v[182:183]
	s_xor_b32 s3, exec_lo, s3
                                        ; implicit-def: $vgpr180_vgpr181_vgpr182_vgpr183
	s_cbranch_execz .LBB87_203
; %bb.202:
	v_div_scale_f64 v[180:181], null, v[178:179], v[178:179], v[176:177]
	v_div_scale_f64 v[186:187], vcc_lo, v[176:177], v[178:179], v[176:177]
	s_delay_alu instid0(VALU_DEP_2) | instskip(SKIP_2) | instid1(VALU_DEP_1)
	v_rcp_f64_e32 v[182:183], v[180:181]
	s_waitcnt_depctr 0xfff
	v_fma_f64 v[184:185], -v[180:181], v[182:183], 1.0
	v_fma_f64 v[182:183], v[182:183], v[184:185], v[182:183]
	s_delay_alu instid0(VALU_DEP_1) | instskip(NEXT) | instid1(VALU_DEP_1)
	v_fma_f64 v[184:185], -v[180:181], v[182:183], 1.0
	v_fma_f64 v[182:183], v[182:183], v[184:185], v[182:183]
	s_delay_alu instid0(VALU_DEP_1) | instskip(NEXT) | instid1(VALU_DEP_1)
	v_mul_f64 v[184:185], v[186:187], v[182:183]
	v_fma_f64 v[180:181], -v[180:181], v[184:185], v[186:187]
	s_delay_alu instid0(VALU_DEP_1) | instskip(NEXT) | instid1(VALU_DEP_1)
	v_div_fmas_f64 v[180:181], v[180:181], v[182:183], v[184:185]
	v_div_fixup_f64 v[180:181], v[180:181], v[178:179], v[176:177]
	s_delay_alu instid0(VALU_DEP_1) | instskip(NEXT) | instid1(VALU_DEP_1)
	v_fma_f64 v[176:177], v[176:177], v[180:181], v[178:179]
	v_div_scale_f64 v[178:179], null, v[176:177], v[176:177], 1.0
	s_delay_alu instid0(VALU_DEP_1) | instskip(SKIP_2) | instid1(VALU_DEP_1)
	v_rcp_f64_e32 v[182:183], v[178:179]
	s_waitcnt_depctr 0xfff
	v_fma_f64 v[184:185], -v[178:179], v[182:183], 1.0
	v_fma_f64 v[182:183], v[182:183], v[184:185], v[182:183]
	s_delay_alu instid0(VALU_DEP_1) | instskip(NEXT) | instid1(VALU_DEP_1)
	v_fma_f64 v[184:185], -v[178:179], v[182:183], 1.0
	v_fma_f64 v[182:183], v[182:183], v[184:185], v[182:183]
	v_div_scale_f64 v[184:185], vcc_lo, 1.0, v[176:177], 1.0
	s_delay_alu instid0(VALU_DEP_1) | instskip(NEXT) | instid1(VALU_DEP_1)
	v_mul_f64 v[186:187], v[184:185], v[182:183]
	v_fma_f64 v[178:179], -v[178:179], v[186:187], v[184:185]
	s_delay_alu instid0(VALU_DEP_1) | instskip(NEXT) | instid1(VALU_DEP_1)
	v_div_fmas_f64 v[178:179], v[178:179], v[182:183], v[186:187]
	v_div_fixup_f64 v[182:183], v[178:179], v[176:177], 1.0
                                        ; implicit-def: $vgpr176_vgpr177
	s_delay_alu instid0(VALU_DEP_1)
	v_mul_f64 v[184:185], v[180:181], v[182:183]
	v_xor_b32_e32 v183, 0x80000000, v183
.LBB87_203:
	s_and_not1_saveexec_b32 s3, s3
	s_cbranch_execz .LBB87_205
; %bb.204:
	v_div_scale_f64 v[180:181], null, v[176:177], v[176:177], v[178:179]
	v_div_scale_f64 v[186:187], vcc_lo, v[178:179], v[176:177], v[178:179]
	s_delay_alu instid0(VALU_DEP_2) | instskip(SKIP_2) | instid1(VALU_DEP_1)
	v_rcp_f64_e32 v[182:183], v[180:181]
	s_waitcnt_depctr 0xfff
	v_fma_f64 v[184:185], -v[180:181], v[182:183], 1.0
	v_fma_f64 v[182:183], v[182:183], v[184:185], v[182:183]
	s_delay_alu instid0(VALU_DEP_1) | instskip(NEXT) | instid1(VALU_DEP_1)
	v_fma_f64 v[184:185], -v[180:181], v[182:183], 1.0
	v_fma_f64 v[182:183], v[182:183], v[184:185], v[182:183]
	s_delay_alu instid0(VALU_DEP_1) | instskip(NEXT) | instid1(VALU_DEP_1)
	v_mul_f64 v[184:185], v[186:187], v[182:183]
	v_fma_f64 v[180:181], -v[180:181], v[184:185], v[186:187]
	s_delay_alu instid0(VALU_DEP_1) | instskip(NEXT) | instid1(VALU_DEP_1)
	v_div_fmas_f64 v[180:181], v[180:181], v[182:183], v[184:185]
	v_div_fixup_f64 v[180:181], v[180:181], v[176:177], v[178:179]
	s_delay_alu instid0(VALU_DEP_1) | instskip(NEXT) | instid1(VALU_DEP_1)
	v_fma_f64 v[176:177], v[178:179], v[180:181], v[176:177]
	v_div_scale_f64 v[178:179], null, v[176:177], v[176:177], 1.0
	s_delay_alu instid0(VALU_DEP_1) | instskip(SKIP_2) | instid1(VALU_DEP_1)
	v_rcp_f64_e32 v[182:183], v[178:179]
	s_waitcnt_depctr 0xfff
	v_fma_f64 v[184:185], -v[178:179], v[182:183], 1.0
	v_fma_f64 v[182:183], v[182:183], v[184:185], v[182:183]
	s_delay_alu instid0(VALU_DEP_1) | instskip(NEXT) | instid1(VALU_DEP_1)
	v_fma_f64 v[184:185], -v[178:179], v[182:183], 1.0
	v_fma_f64 v[182:183], v[182:183], v[184:185], v[182:183]
	v_div_scale_f64 v[184:185], vcc_lo, 1.0, v[176:177], 1.0
	s_delay_alu instid0(VALU_DEP_1) | instskip(NEXT) | instid1(VALU_DEP_1)
	v_mul_f64 v[186:187], v[184:185], v[182:183]
	v_fma_f64 v[178:179], -v[178:179], v[186:187], v[184:185]
	s_delay_alu instid0(VALU_DEP_1) | instskip(NEXT) | instid1(VALU_DEP_1)
	v_div_fmas_f64 v[178:179], v[178:179], v[182:183], v[186:187]
	v_div_fixup_f64 v[184:185], v[178:179], v[176:177], 1.0
	s_delay_alu instid0(VALU_DEP_1)
	v_mul_f64 v[182:183], v[180:181], -v[184:185]
.LBB87_205:
	s_or_b32 exec_lo, exec_lo, s3
	ds_store_2addr_b64 v195, v[184:185], v[182:183] offset1:1
.LBB87_206:
	s_or_b32 exec_lo, exec_lo, s4
	s_waitcnt lgkmcnt(0)
	s_barrier
	buffer_gl0_inv
	ds_load_2addr_b64 v[176:179], v195 offset1:1
	s_mov_b32 s3, exec_lo
	s_waitcnt lgkmcnt(0)
	scratch_store_b128 off, v[176:179], off offset:584 ; 16-byte Folded Spill
	v_cmpx_lt_u32_e32 22, v194
	s_cbranch_execz .LBB87_208
; %bb.207:
	scratch_load_b128 v[178:181], off, off offset:584 ; 16-byte Folded Reload
	s_waitcnt vmcnt(0)
	v_mul_f64 v[176:177], v[180:181], v[86:87]
	v_mul_f64 v[86:87], v[178:179], v[86:87]
	s_delay_alu instid0(VALU_DEP_2) | instskip(NEXT) | instid1(VALU_DEP_2)
	v_fma_f64 v[176:177], v[178:179], v[84:85], -v[176:177]
	v_fma_f64 v[86:87], v[180:181], v[84:85], v[86:87]
	ds_load_2addr_b64 v[178:181], v196 offset0:46 offset1:47
	s_waitcnt lgkmcnt(0)
	v_mul_f64 v[84:85], v[180:181], v[86:87]
	s_delay_alu instid0(VALU_DEP_1) | instskip(SKIP_1) | instid1(VALU_DEP_2)
	v_fma_f64 v[84:85], v[178:179], v[176:177], -v[84:85]
	v_mul_f64 v[178:179], v[178:179], v[86:87]
	v_add_f64 v[80:81], v[80:81], -v[84:85]
	s_delay_alu instid0(VALU_DEP_2) | instskip(NEXT) | instid1(VALU_DEP_1)
	v_fma_f64 v[178:179], v[180:181], v[176:177], v[178:179]
	v_add_f64 v[82:83], v[82:83], -v[178:179]
	ds_load_2addr_b64 v[178:181], v196 offset0:48 offset1:49
	s_waitcnt lgkmcnt(0)
	v_mul_f64 v[84:85], v[180:181], v[86:87]
	s_delay_alu instid0(VALU_DEP_1) | instskip(SKIP_1) | instid1(VALU_DEP_2)
	v_fma_f64 v[84:85], v[178:179], v[176:177], -v[84:85]
	v_mul_f64 v[178:179], v[178:179], v[86:87]
	v_add_f64 v[76:77], v[76:77], -v[84:85]
	s_delay_alu instid0(VALU_DEP_2) | instskip(NEXT) | instid1(VALU_DEP_1)
	v_fma_f64 v[178:179], v[180:181], v[176:177], v[178:179]
	v_add_f64 v[78:79], v[78:79], -v[178:179]
	;; [unrolled: 10-line block ×20, first 2 shown]
	ds_load_2addr_b64 v[178:181], v196 offset0:86 offset1:87
	s_waitcnt lgkmcnt(0)
	v_mul_f64 v[84:85], v[180:181], v[86:87]
	s_delay_alu instid0(VALU_DEP_1) | instskip(SKIP_1) | instid1(VALU_DEP_2)
	v_fma_f64 v[84:85], v[178:179], v[176:177], -v[84:85]
	v_mul_f64 v[178:179], v[178:179], v[86:87]
	v_add_f64 v[0:1], v[0:1], -v[84:85]
	s_delay_alu instid0(VALU_DEP_2) | instskip(SKIP_1) | instid1(VALU_DEP_2)
	v_fma_f64 v[178:179], v[180:181], v[176:177], v[178:179]
	v_dual_mov_b32 v84, v176 :: v_dual_mov_b32 v85, v177
	v_add_f64 v[2:3], v[2:3], -v[178:179]
.LBB87_208:
	s_or_b32 exec_lo, exec_lo, s3
	s_delay_alu instid0(SALU_CYCLE_1)
	s_mov_b32 s4, exec_lo
	s_waitcnt_vscnt null, 0x0
	s_barrier
	buffer_gl0_inv
	v_cmpx_eq_u32_e32 23, v194
	s_cbranch_execz .LBB87_215
; %bb.209:
	ds_store_2addr_b64 v195, v[80:81], v[82:83] offset1:1
	ds_store_2addr_b64 v196, v[76:77], v[78:79] offset0:48 offset1:49
	ds_store_2addr_b64 v196, v[72:73], v[74:75] offset0:50 offset1:51
	;; [unrolled: 1-line block ×20, first 2 shown]
	ds_load_2addr_b64 v[176:179], v195 offset1:1
	s_waitcnt lgkmcnt(0)
	v_cmp_neq_f64_e32 vcc_lo, 0, v[176:177]
	v_cmp_neq_f64_e64 s3, 0, v[178:179]
	s_delay_alu instid0(VALU_DEP_1) | instskip(NEXT) | instid1(SALU_CYCLE_1)
	s_or_b32 s3, vcc_lo, s3
	s_and_b32 exec_lo, exec_lo, s3
	s_cbranch_execz .LBB87_215
; %bb.210:
	v_cmp_gt_f64_e32 vcc_lo, 0, v[176:177]
	v_xor_b32_e32 v180, 0x80000000, v177
	v_xor_b32_e32 v182, 0x80000000, v179
	s_mov_b32 s3, exec_lo
                                        ; implicit-def: $vgpr184_vgpr185
	s_delay_alu instid0(VALU_DEP_2) | instskip(SKIP_4) | instid1(VALU_DEP_1)
	v_cndmask_b32_e32 v181, v177, v180, vcc_lo
	v_cndmask_b32_e32 v180, v176, v176, vcc_lo
	v_cmp_gt_f64_e32 vcc_lo, 0, v[178:179]
	v_cndmask_b32_e32 v183, v179, v182, vcc_lo
	v_cndmask_b32_e32 v182, v178, v178, vcc_lo
	v_cmpx_ngt_f64_e32 v[180:181], v[182:183]
	s_xor_b32 s3, exec_lo, s3
                                        ; implicit-def: $vgpr180_vgpr181_vgpr182_vgpr183
	s_cbranch_execz .LBB87_212
; %bb.211:
	v_div_scale_f64 v[180:181], null, v[178:179], v[178:179], v[176:177]
	v_div_scale_f64 v[186:187], vcc_lo, v[176:177], v[178:179], v[176:177]
	s_delay_alu instid0(VALU_DEP_2) | instskip(SKIP_2) | instid1(VALU_DEP_1)
	v_rcp_f64_e32 v[182:183], v[180:181]
	s_waitcnt_depctr 0xfff
	v_fma_f64 v[184:185], -v[180:181], v[182:183], 1.0
	v_fma_f64 v[182:183], v[182:183], v[184:185], v[182:183]
	s_delay_alu instid0(VALU_DEP_1) | instskip(NEXT) | instid1(VALU_DEP_1)
	v_fma_f64 v[184:185], -v[180:181], v[182:183], 1.0
	v_fma_f64 v[182:183], v[182:183], v[184:185], v[182:183]
	s_delay_alu instid0(VALU_DEP_1) | instskip(NEXT) | instid1(VALU_DEP_1)
	v_mul_f64 v[184:185], v[186:187], v[182:183]
	v_fma_f64 v[180:181], -v[180:181], v[184:185], v[186:187]
	s_delay_alu instid0(VALU_DEP_1) | instskip(NEXT) | instid1(VALU_DEP_1)
	v_div_fmas_f64 v[180:181], v[180:181], v[182:183], v[184:185]
	v_div_fixup_f64 v[180:181], v[180:181], v[178:179], v[176:177]
	s_delay_alu instid0(VALU_DEP_1) | instskip(NEXT) | instid1(VALU_DEP_1)
	v_fma_f64 v[176:177], v[176:177], v[180:181], v[178:179]
	v_div_scale_f64 v[178:179], null, v[176:177], v[176:177], 1.0
	s_delay_alu instid0(VALU_DEP_1) | instskip(SKIP_2) | instid1(VALU_DEP_1)
	v_rcp_f64_e32 v[182:183], v[178:179]
	s_waitcnt_depctr 0xfff
	v_fma_f64 v[184:185], -v[178:179], v[182:183], 1.0
	v_fma_f64 v[182:183], v[182:183], v[184:185], v[182:183]
	s_delay_alu instid0(VALU_DEP_1) | instskip(NEXT) | instid1(VALU_DEP_1)
	v_fma_f64 v[184:185], -v[178:179], v[182:183], 1.0
	v_fma_f64 v[182:183], v[182:183], v[184:185], v[182:183]
	v_div_scale_f64 v[184:185], vcc_lo, 1.0, v[176:177], 1.0
	s_delay_alu instid0(VALU_DEP_1) | instskip(NEXT) | instid1(VALU_DEP_1)
	v_mul_f64 v[186:187], v[184:185], v[182:183]
	v_fma_f64 v[178:179], -v[178:179], v[186:187], v[184:185]
	s_delay_alu instid0(VALU_DEP_1) | instskip(NEXT) | instid1(VALU_DEP_1)
	v_div_fmas_f64 v[178:179], v[178:179], v[182:183], v[186:187]
	v_div_fixup_f64 v[182:183], v[178:179], v[176:177], 1.0
                                        ; implicit-def: $vgpr176_vgpr177
	s_delay_alu instid0(VALU_DEP_1)
	v_mul_f64 v[184:185], v[180:181], v[182:183]
	v_xor_b32_e32 v183, 0x80000000, v183
.LBB87_212:
	s_and_not1_saveexec_b32 s3, s3
	s_cbranch_execz .LBB87_214
; %bb.213:
	v_div_scale_f64 v[180:181], null, v[176:177], v[176:177], v[178:179]
	v_div_scale_f64 v[186:187], vcc_lo, v[178:179], v[176:177], v[178:179]
	s_delay_alu instid0(VALU_DEP_2) | instskip(SKIP_2) | instid1(VALU_DEP_1)
	v_rcp_f64_e32 v[182:183], v[180:181]
	s_waitcnt_depctr 0xfff
	v_fma_f64 v[184:185], -v[180:181], v[182:183], 1.0
	v_fma_f64 v[182:183], v[182:183], v[184:185], v[182:183]
	s_delay_alu instid0(VALU_DEP_1) | instskip(NEXT) | instid1(VALU_DEP_1)
	v_fma_f64 v[184:185], -v[180:181], v[182:183], 1.0
	v_fma_f64 v[182:183], v[182:183], v[184:185], v[182:183]
	s_delay_alu instid0(VALU_DEP_1) | instskip(NEXT) | instid1(VALU_DEP_1)
	v_mul_f64 v[184:185], v[186:187], v[182:183]
	v_fma_f64 v[180:181], -v[180:181], v[184:185], v[186:187]
	s_delay_alu instid0(VALU_DEP_1) | instskip(NEXT) | instid1(VALU_DEP_1)
	v_div_fmas_f64 v[180:181], v[180:181], v[182:183], v[184:185]
	v_div_fixup_f64 v[180:181], v[180:181], v[176:177], v[178:179]
	s_delay_alu instid0(VALU_DEP_1) | instskip(NEXT) | instid1(VALU_DEP_1)
	v_fma_f64 v[176:177], v[178:179], v[180:181], v[176:177]
	v_div_scale_f64 v[178:179], null, v[176:177], v[176:177], 1.0
	s_delay_alu instid0(VALU_DEP_1) | instskip(SKIP_2) | instid1(VALU_DEP_1)
	v_rcp_f64_e32 v[182:183], v[178:179]
	s_waitcnt_depctr 0xfff
	v_fma_f64 v[184:185], -v[178:179], v[182:183], 1.0
	v_fma_f64 v[182:183], v[182:183], v[184:185], v[182:183]
	s_delay_alu instid0(VALU_DEP_1) | instskip(NEXT) | instid1(VALU_DEP_1)
	v_fma_f64 v[184:185], -v[178:179], v[182:183], 1.0
	v_fma_f64 v[182:183], v[182:183], v[184:185], v[182:183]
	v_div_scale_f64 v[184:185], vcc_lo, 1.0, v[176:177], 1.0
	s_delay_alu instid0(VALU_DEP_1) | instskip(NEXT) | instid1(VALU_DEP_1)
	v_mul_f64 v[186:187], v[184:185], v[182:183]
	v_fma_f64 v[178:179], -v[178:179], v[186:187], v[184:185]
	s_delay_alu instid0(VALU_DEP_1) | instskip(NEXT) | instid1(VALU_DEP_1)
	v_div_fmas_f64 v[178:179], v[178:179], v[182:183], v[186:187]
	v_div_fixup_f64 v[184:185], v[178:179], v[176:177], 1.0
	s_delay_alu instid0(VALU_DEP_1)
	v_mul_f64 v[182:183], v[180:181], -v[184:185]
.LBB87_214:
	s_or_b32 exec_lo, exec_lo, s3
	ds_store_2addr_b64 v195, v[184:185], v[182:183] offset1:1
.LBB87_215:
	s_or_b32 exec_lo, exec_lo, s4
	s_waitcnt lgkmcnt(0)
	s_barrier
	buffer_gl0_inv
	ds_load_2addr_b64 v[176:179], v195 offset1:1
	s_mov_b32 s3, exec_lo
	s_waitcnt lgkmcnt(0)
	scratch_store_b128 off, v[176:179], off offset:600 ; 16-byte Folded Spill
	v_cmpx_lt_u32_e32 23, v194
	s_cbranch_execz .LBB87_217
; %bb.216:
	scratch_load_b128 v[178:181], off, off offset:600 ; 16-byte Folded Reload
	s_waitcnt vmcnt(0)
	v_mul_f64 v[176:177], v[180:181], v[82:83]
	v_mul_f64 v[82:83], v[178:179], v[82:83]
	s_delay_alu instid0(VALU_DEP_2) | instskip(NEXT) | instid1(VALU_DEP_2)
	v_fma_f64 v[176:177], v[178:179], v[80:81], -v[176:177]
	v_fma_f64 v[82:83], v[180:181], v[80:81], v[82:83]
	ds_load_2addr_b64 v[178:181], v196 offset0:48 offset1:49
	s_waitcnt lgkmcnt(0)
	v_mul_f64 v[80:81], v[180:181], v[82:83]
	s_delay_alu instid0(VALU_DEP_1) | instskip(SKIP_1) | instid1(VALU_DEP_2)
	v_fma_f64 v[80:81], v[178:179], v[176:177], -v[80:81]
	v_mul_f64 v[178:179], v[178:179], v[82:83]
	v_add_f64 v[76:77], v[76:77], -v[80:81]
	s_delay_alu instid0(VALU_DEP_2) | instskip(NEXT) | instid1(VALU_DEP_1)
	v_fma_f64 v[178:179], v[180:181], v[176:177], v[178:179]
	v_add_f64 v[78:79], v[78:79], -v[178:179]
	ds_load_2addr_b64 v[178:181], v196 offset0:50 offset1:51
	s_waitcnt lgkmcnt(0)
	v_mul_f64 v[80:81], v[180:181], v[82:83]
	s_delay_alu instid0(VALU_DEP_1) | instskip(SKIP_1) | instid1(VALU_DEP_2)
	v_fma_f64 v[80:81], v[178:179], v[176:177], -v[80:81]
	v_mul_f64 v[178:179], v[178:179], v[82:83]
	v_add_f64 v[72:73], v[72:73], -v[80:81]
	s_delay_alu instid0(VALU_DEP_2) | instskip(NEXT) | instid1(VALU_DEP_1)
	v_fma_f64 v[178:179], v[180:181], v[176:177], v[178:179]
	v_add_f64 v[74:75], v[74:75], -v[178:179]
	ds_load_2addr_b64 v[178:181], v196 offset0:52 offset1:53
	s_waitcnt lgkmcnt(0)
	v_mul_f64 v[80:81], v[180:181], v[82:83]
	s_delay_alu instid0(VALU_DEP_1) | instskip(SKIP_1) | instid1(VALU_DEP_2)
	v_fma_f64 v[80:81], v[178:179], v[176:177], -v[80:81]
	v_mul_f64 v[178:179], v[178:179], v[82:83]
	v_add_f64 v[68:69], v[68:69], -v[80:81]
	s_delay_alu instid0(VALU_DEP_2) | instskip(NEXT) | instid1(VALU_DEP_1)
	v_fma_f64 v[178:179], v[180:181], v[176:177], v[178:179]
	v_add_f64 v[70:71], v[70:71], -v[178:179]
	ds_load_2addr_b64 v[178:181], v196 offset0:54 offset1:55
	s_waitcnt lgkmcnt(0)
	v_mul_f64 v[80:81], v[180:181], v[82:83]
	s_delay_alu instid0(VALU_DEP_1) | instskip(SKIP_1) | instid1(VALU_DEP_2)
	v_fma_f64 v[80:81], v[178:179], v[176:177], -v[80:81]
	v_mul_f64 v[178:179], v[178:179], v[82:83]
	v_add_f64 v[64:65], v[64:65], -v[80:81]
	s_delay_alu instid0(VALU_DEP_2) | instskip(NEXT) | instid1(VALU_DEP_1)
	v_fma_f64 v[178:179], v[180:181], v[176:177], v[178:179]
	v_add_f64 v[66:67], v[66:67], -v[178:179]
	ds_load_2addr_b64 v[178:181], v196 offset0:56 offset1:57
	s_waitcnt lgkmcnt(0)
	v_mul_f64 v[80:81], v[180:181], v[82:83]
	s_delay_alu instid0(VALU_DEP_1) | instskip(SKIP_1) | instid1(VALU_DEP_2)
	v_fma_f64 v[80:81], v[178:179], v[176:177], -v[80:81]
	v_mul_f64 v[178:179], v[178:179], v[82:83]
	v_add_f64 v[60:61], v[60:61], -v[80:81]
	s_delay_alu instid0(VALU_DEP_2) | instskip(NEXT) | instid1(VALU_DEP_1)
	v_fma_f64 v[178:179], v[180:181], v[176:177], v[178:179]
	v_add_f64 v[62:63], v[62:63], -v[178:179]
	ds_load_2addr_b64 v[178:181], v196 offset0:58 offset1:59
	s_waitcnt lgkmcnt(0)
	v_mul_f64 v[80:81], v[180:181], v[82:83]
	s_delay_alu instid0(VALU_DEP_1) | instskip(SKIP_1) | instid1(VALU_DEP_2)
	v_fma_f64 v[80:81], v[178:179], v[176:177], -v[80:81]
	v_mul_f64 v[178:179], v[178:179], v[82:83]
	v_add_f64 v[56:57], v[56:57], -v[80:81]
	s_delay_alu instid0(VALU_DEP_2) | instskip(NEXT) | instid1(VALU_DEP_1)
	v_fma_f64 v[178:179], v[180:181], v[176:177], v[178:179]
	v_add_f64 v[58:59], v[58:59], -v[178:179]
	ds_load_2addr_b64 v[178:181], v196 offset0:60 offset1:61
	s_waitcnt lgkmcnt(0)
	v_mul_f64 v[80:81], v[180:181], v[82:83]
	s_delay_alu instid0(VALU_DEP_1) | instskip(SKIP_1) | instid1(VALU_DEP_2)
	v_fma_f64 v[80:81], v[178:179], v[176:177], -v[80:81]
	v_mul_f64 v[178:179], v[178:179], v[82:83]
	v_add_f64 v[52:53], v[52:53], -v[80:81]
	s_delay_alu instid0(VALU_DEP_2) | instskip(NEXT) | instid1(VALU_DEP_1)
	v_fma_f64 v[178:179], v[180:181], v[176:177], v[178:179]
	v_add_f64 v[54:55], v[54:55], -v[178:179]
	ds_load_2addr_b64 v[178:181], v196 offset0:62 offset1:63
	s_waitcnt lgkmcnt(0)
	v_mul_f64 v[80:81], v[180:181], v[82:83]
	s_delay_alu instid0(VALU_DEP_1) | instskip(SKIP_1) | instid1(VALU_DEP_2)
	v_fma_f64 v[80:81], v[178:179], v[176:177], -v[80:81]
	v_mul_f64 v[178:179], v[178:179], v[82:83]
	v_add_f64 v[48:49], v[48:49], -v[80:81]
	s_delay_alu instid0(VALU_DEP_2) | instskip(NEXT) | instid1(VALU_DEP_1)
	v_fma_f64 v[178:179], v[180:181], v[176:177], v[178:179]
	v_add_f64 v[50:51], v[50:51], -v[178:179]
	ds_load_2addr_b64 v[178:181], v196 offset0:64 offset1:65
	s_waitcnt lgkmcnt(0)
	v_mul_f64 v[80:81], v[180:181], v[82:83]
	s_delay_alu instid0(VALU_DEP_1) | instskip(SKIP_1) | instid1(VALU_DEP_2)
	v_fma_f64 v[80:81], v[178:179], v[176:177], -v[80:81]
	v_mul_f64 v[178:179], v[178:179], v[82:83]
	v_add_f64 v[44:45], v[44:45], -v[80:81]
	s_delay_alu instid0(VALU_DEP_2) | instskip(NEXT) | instid1(VALU_DEP_1)
	v_fma_f64 v[178:179], v[180:181], v[176:177], v[178:179]
	v_add_f64 v[46:47], v[46:47], -v[178:179]
	ds_load_2addr_b64 v[178:181], v196 offset0:66 offset1:67
	s_waitcnt lgkmcnt(0)
	v_mul_f64 v[80:81], v[180:181], v[82:83]
	s_delay_alu instid0(VALU_DEP_1) | instskip(SKIP_1) | instid1(VALU_DEP_2)
	v_fma_f64 v[80:81], v[178:179], v[176:177], -v[80:81]
	v_mul_f64 v[178:179], v[178:179], v[82:83]
	v_add_f64 v[40:41], v[40:41], -v[80:81]
	s_delay_alu instid0(VALU_DEP_2) | instskip(NEXT) | instid1(VALU_DEP_1)
	v_fma_f64 v[178:179], v[180:181], v[176:177], v[178:179]
	v_add_f64 v[42:43], v[42:43], -v[178:179]
	ds_load_2addr_b64 v[178:181], v196 offset0:68 offset1:69
	s_waitcnt lgkmcnt(0)
	v_mul_f64 v[80:81], v[180:181], v[82:83]
	s_delay_alu instid0(VALU_DEP_1) | instskip(SKIP_1) | instid1(VALU_DEP_2)
	v_fma_f64 v[80:81], v[178:179], v[176:177], -v[80:81]
	v_mul_f64 v[178:179], v[178:179], v[82:83]
	v_add_f64 v[36:37], v[36:37], -v[80:81]
	s_delay_alu instid0(VALU_DEP_2) | instskip(NEXT) | instid1(VALU_DEP_1)
	v_fma_f64 v[178:179], v[180:181], v[176:177], v[178:179]
	v_add_f64 v[38:39], v[38:39], -v[178:179]
	ds_load_2addr_b64 v[178:181], v196 offset0:70 offset1:71
	s_waitcnt lgkmcnt(0)
	v_mul_f64 v[80:81], v[180:181], v[82:83]
	s_delay_alu instid0(VALU_DEP_1) | instskip(SKIP_1) | instid1(VALU_DEP_2)
	v_fma_f64 v[80:81], v[178:179], v[176:177], -v[80:81]
	v_mul_f64 v[178:179], v[178:179], v[82:83]
	v_add_f64 v[32:33], v[32:33], -v[80:81]
	s_delay_alu instid0(VALU_DEP_2) | instskip(NEXT) | instid1(VALU_DEP_1)
	v_fma_f64 v[178:179], v[180:181], v[176:177], v[178:179]
	v_add_f64 v[34:35], v[34:35], -v[178:179]
	ds_load_2addr_b64 v[178:181], v196 offset0:72 offset1:73
	s_waitcnt lgkmcnt(0)
	v_mul_f64 v[80:81], v[180:181], v[82:83]
	s_delay_alu instid0(VALU_DEP_1) | instskip(SKIP_1) | instid1(VALU_DEP_2)
	v_fma_f64 v[80:81], v[178:179], v[176:177], -v[80:81]
	v_mul_f64 v[178:179], v[178:179], v[82:83]
	v_add_f64 v[28:29], v[28:29], -v[80:81]
	s_delay_alu instid0(VALU_DEP_2) | instskip(NEXT) | instid1(VALU_DEP_1)
	v_fma_f64 v[178:179], v[180:181], v[176:177], v[178:179]
	v_add_f64 v[30:31], v[30:31], -v[178:179]
	ds_load_2addr_b64 v[178:181], v196 offset0:74 offset1:75
	s_waitcnt lgkmcnt(0)
	v_mul_f64 v[80:81], v[180:181], v[82:83]
	s_delay_alu instid0(VALU_DEP_1) | instskip(SKIP_1) | instid1(VALU_DEP_2)
	v_fma_f64 v[80:81], v[178:179], v[176:177], -v[80:81]
	v_mul_f64 v[178:179], v[178:179], v[82:83]
	v_add_f64 v[24:25], v[24:25], -v[80:81]
	s_delay_alu instid0(VALU_DEP_2) | instskip(NEXT) | instid1(VALU_DEP_1)
	v_fma_f64 v[178:179], v[180:181], v[176:177], v[178:179]
	v_add_f64 v[26:27], v[26:27], -v[178:179]
	ds_load_2addr_b64 v[178:181], v196 offset0:76 offset1:77
	s_waitcnt lgkmcnt(0)
	v_mul_f64 v[80:81], v[180:181], v[82:83]
	s_delay_alu instid0(VALU_DEP_1) | instskip(SKIP_1) | instid1(VALU_DEP_2)
	v_fma_f64 v[80:81], v[178:179], v[176:177], -v[80:81]
	v_mul_f64 v[178:179], v[178:179], v[82:83]
	v_add_f64 v[20:21], v[20:21], -v[80:81]
	s_delay_alu instid0(VALU_DEP_2) | instskip(NEXT) | instid1(VALU_DEP_1)
	v_fma_f64 v[178:179], v[180:181], v[176:177], v[178:179]
	v_add_f64 v[22:23], v[22:23], -v[178:179]
	ds_load_2addr_b64 v[178:181], v196 offset0:78 offset1:79
	s_waitcnt lgkmcnt(0)
	v_mul_f64 v[80:81], v[180:181], v[82:83]
	s_delay_alu instid0(VALU_DEP_1) | instskip(SKIP_1) | instid1(VALU_DEP_2)
	v_fma_f64 v[80:81], v[178:179], v[176:177], -v[80:81]
	v_mul_f64 v[178:179], v[178:179], v[82:83]
	v_add_f64 v[16:17], v[16:17], -v[80:81]
	s_delay_alu instid0(VALU_DEP_2) | instskip(NEXT) | instid1(VALU_DEP_1)
	v_fma_f64 v[178:179], v[180:181], v[176:177], v[178:179]
	v_add_f64 v[18:19], v[18:19], -v[178:179]
	ds_load_2addr_b64 v[178:181], v196 offset0:80 offset1:81
	s_waitcnt lgkmcnt(0)
	v_mul_f64 v[80:81], v[180:181], v[82:83]
	s_delay_alu instid0(VALU_DEP_1) | instskip(SKIP_1) | instid1(VALU_DEP_2)
	v_fma_f64 v[80:81], v[178:179], v[176:177], -v[80:81]
	v_mul_f64 v[178:179], v[178:179], v[82:83]
	v_add_f64 v[12:13], v[12:13], -v[80:81]
	s_delay_alu instid0(VALU_DEP_2) | instskip(NEXT) | instid1(VALU_DEP_1)
	v_fma_f64 v[178:179], v[180:181], v[176:177], v[178:179]
	v_add_f64 v[14:15], v[14:15], -v[178:179]
	ds_load_2addr_b64 v[178:181], v196 offset0:82 offset1:83
	s_waitcnt lgkmcnt(0)
	v_mul_f64 v[80:81], v[180:181], v[82:83]
	s_delay_alu instid0(VALU_DEP_1) | instskip(SKIP_1) | instid1(VALU_DEP_2)
	v_fma_f64 v[80:81], v[178:179], v[176:177], -v[80:81]
	v_mul_f64 v[178:179], v[178:179], v[82:83]
	v_add_f64 v[8:9], v[8:9], -v[80:81]
	s_delay_alu instid0(VALU_DEP_2) | instskip(NEXT) | instid1(VALU_DEP_1)
	v_fma_f64 v[178:179], v[180:181], v[176:177], v[178:179]
	v_add_f64 v[10:11], v[10:11], -v[178:179]
	ds_load_2addr_b64 v[178:181], v196 offset0:84 offset1:85
	s_waitcnt lgkmcnt(0)
	v_mul_f64 v[80:81], v[180:181], v[82:83]
	s_delay_alu instid0(VALU_DEP_1) | instskip(SKIP_1) | instid1(VALU_DEP_2)
	v_fma_f64 v[80:81], v[178:179], v[176:177], -v[80:81]
	v_mul_f64 v[178:179], v[178:179], v[82:83]
	v_add_f64 v[4:5], v[4:5], -v[80:81]
	s_delay_alu instid0(VALU_DEP_2) | instskip(NEXT) | instid1(VALU_DEP_1)
	v_fma_f64 v[178:179], v[180:181], v[176:177], v[178:179]
	v_add_f64 v[6:7], v[6:7], -v[178:179]
	ds_load_2addr_b64 v[178:181], v196 offset0:86 offset1:87
	s_waitcnt lgkmcnt(0)
	v_mul_f64 v[80:81], v[180:181], v[82:83]
	s_delay_alu instid0(VALU_DEP_1) | instskip(SKIP_1) | instid1(VALU_DEP_2)
	v_fma_f64 v[80:81], v[178:179], v[176:177], -v[80:81]
	v_mul_f64 v[178:179], v[178:179], v[82:83]
	v_add_f64 v[0:1], v[0:1], -v[80:81]
	s_delay_alu instid0(VALU_DEP_2) | instskip(SKIP_1) | instid1(VALU_DEP_2)
	v_fma_f64 v[178:179], v[180:181], v[176:177], v[178:179]
	v_dual_mov_b32 v80, v176 :: v_dual_mov_b32 v81, v177
	v_add_f64 v[2:3], v[2:3], -v[178:179]
.LBB87_217:
	s_or_b32 exec_lo, exec_lo, s3
	s_delay_alu instid0(SALU_CYCLE_1)
	s_mov_b32 s4, exec_lo
	s_waitcnt_vscnt null, 0x0
	s_barrier
	buffer_gl0_inv
	v_cmpx_eq_u32_e32 24, v194
	s_cbranch_execz .LBB87_224
; %bb.218:
	ds_store_2addr_b64 v195, v[76:77], v[78:79] offset1:1
	ds_store_2addr_b64 v196, v[72:73], v[74:75] offset0:50 offset1:51
	ds_store_2addr_b64 v196, v[68:69], v[70:71] offset0:52 offset1:53
	;; [unrolled: 1-line block ×19, first 2 shown]
	ds_load_2addr_b64 v[176:179], v195 offset1:1
	s_waitcnt lgkmcnt(0)
	v_cmp_neq_f64_e32 vcc_lo, 0, v[176:177]
	v_cmp_neq_f64_e64 s3, 0, v[178:179]
	s_delay_alu instid0(VALU_DEP_1) | instskip(NEXT) | instid1(SALU_CYCLE_1)
	s_or_b32 s3, vcc_lo, s3
	s_and_b32 exec_lo, exec_lo, s3
	s_cbranch_execz .LBB87_224
; %bb.219:
	v_cmp_gt_f64_e32 vcc_lo, 0, v[176:177]
	v_xor_b32_e32 v180, 0x80000000, v177
	v_xor_b32_e32 v182, 0x80000000, v179
	s_mov_b32 s3, exec_lo
                                        ; implicit-def: $vgpr184_vgpr185
	s_delay_alu instid0(VALU_DEP_2) | instskip(SKIP_4) | instid1(VALU_DEP_1)
	v_cndmask_b32_e32 v181, v177, v180, vcc_lo
	v_cndmask_b32_e32 v180, v176, v176, vcc_lo
	v_cmp_gt_f64_e32 vcc_lo, 0, v[178:179]
	v_cndmask_b32_e32 v183, v179, v182, vcc_lo
	v_cndmask_b32_e32 v182, v178, v178, vcc_lo
	v_cmpx_ngt_f64_e32 v[180:181], v[182:183]
	s_xor_b32 s3, exec_lo, s3
                                        ; implicit-def: $vgpr180_vgpr181_vgpr182_vgpr183
	s_cbranch_execz .LBB87_221
; %bb.220:
	v_div_scale_f64 v[180:181], null, v[178:179], v[178:179], v[176:177]
	v_div_scale_f64 v[186:187], vcc_lo, v[176:177], v[178:179], v[176:177]
	s_delay_alu instid0(VALU_DEP_2) | instskip(SKIP_2) | instid1(VALU_DEP_1)
	v_rcp_f64_e32 v[182:183], v[180:181]
	s_waitcnt_depctr 0xfff
	v_fma_f64 v[184:185], -v[180:181], v[182:183], 1.0
	v_fma_f64 v[182:183], v[182:183], v[184:185], v[182:183]
	s_delay_alu instid0(VALU_DEP_1) | instskip(NEXT) | instid1(VALU_DEP_1)
	v_fma_f64 v[184:185], -v[180:181], v[182:183], 1.0
	v_fma_f64 v[182:183], v[182:183], v[184:185], v[182:183]
	s_delay_alu instid0(VALU_DEP_1) | instskip(NEXT) | instid1(VALU_DEP_1)
	v_mul_f64 v[184:185], v[186:187], v[182:183]
	v_fma_f64 v[180:181], -v[180:181], v[184:185], v[186:187]
	s_delay_alu instid0(VALU_DEP_1) | instskip(NEXT) | instid1(VALU_DEP_1)
	v_div_fmas_f64 v[180:181], v[180:181], v[182:183], v[184:185]
	v_div_fixup_f64 v[180:181], v[180:181], v[178:179], v[176:177]
	s_delay_alu instid0(VALU_DEP_1) | instskip(NEXT) | instid1(VALU_DEP_1)
	v_fma_f64 v[176:177], v[176:177], v[180:181], v[178:179]
	v_div_scale_f64 v[178:179], null, v[176:177], v[176:177], 1.0
	s_delay_alu instid0(VALU_DEP_1) | instskip(SKIP_2) | instid1(VALU_DEP_1)
	v_rcp_f64_e32 v[182:183], v[178:179]
	s_waitcnt_depctr 0xfff
	v_fma_f64 v[184:185], -v[178:179], v[182:183], 1.0
	v_fma_f64 v[182:183], v[182:183], v[184:185], v[182:183]
	s_delay_alu instid0(VALU_DEP_1) | instskip(NEXT) | instid1(VALU_DEP_1)
	v_fma_f64 v[184:185], -v[178:179], v[182:183], 1.0
	v_fma_f64 v[182:183], v[182:183], v[184:185], v[182:183]
	v_div_scale_f64 v[184:185], vcc_lo, 1.0, v[176:177], 1.0
	s_delay_alu instid0(VALU_DEP_1) | instskip(NEXT) | instid1(VALU_DEP_1)
	v_mul_f64 v[186:187], v[184:185], v[182:183]
	v_fma_f64 v[178:179], -v[178:179], v[186:187], v[184:185]
	s_delay_alu instid0(VALU_DEP_1) | instskip(NEXT) | instid1(VALU_DEP_1)
	v_div_fmas_f64 v[178:179], v[178:179], v[182:183], v[186:187]
	v_div_fixup_f64 v[182:183], v[178:179], v[176:177], 1.0
                                        ; implicit-def: $vgpr176_vgpr177
	s_delay_alu instid0(VALU_DEP_1)
	v_mul_f64 v[184:185], v[180:181], v[182:183]
	v_xor_b32_e32 v183, 0x80000000, v183
.LBB87_221:
	s_and_not1_saveexec_b32 s3, s3
	s_cbranch_execz .LBB87_223
; %bb.222:
	v_div_scale_f64 v[180:181], null, v[176:177], v[176:177], v[178:179]
	v_div_scale_f64 v[186:187], vcc_lo, v[178:179], v[176:177], v[178:179]
	s_delay_alu instid0(VALU_DEP_2) | instskip(SKIP_2) | instid1(VALU_DEP_1)
	v_rcp_f64_e32 v[182:183], v[180:181]
	s_waitcnt_depctr 0xfff
	v_fma_f64 v[184:185], -v[180:181], v[182:183], 1.0
	v_fma_f64 v[182:183], v[182:183], v[184:185], v[182:183]
	s_delay_alu instid0(VALU_DEP_1) | instskip(NEXT) | instid1(VALU_DEP_1)
	v_fma_f64 v[184:185], -v[180:181], v[182:183], 1.0
	v_fma_f64 v[182:183], v[182:183], v[184:185], v[182:183]
	s_delay_alu instid0(VALU_DEP_1) | instskip(NEXT) | instid1(VALU_DEP_1)
	v_mul_f64 v[184:185], v[186:187], v[182:183]
	v_fma_f64 v[180:181], -v[180:181], v[184:185], v[186:187]
	s_delay_alu instid0(VALU_DEP_1) | instskip(NEXT) | instid1(VALU_DEP_1)
	v_div_fmas_f64 v[180:181], v[180:181], v[182:183], v[184:185]
	v_div_fixup_f64 v[180:181], v[180:181], v[176:177], v[178:179]
	s_delay_alu instid0(VALU_DEP_1) | instskip(NEXT) | instid1(VALU_DEP_1)
	v_fma_f64 v[176:177], v[178:179], v[180:181], v[176:177]
	v_div_scale_f64 v[178:179], null, v[176:177], v[176:177], 1.0
	s_delay_alu instid0(VALU_DEP_1) | instskip(SKIP_2) | instid1(VALU_DEP_1)
	v_rcp_f64_e32 v[182:183], v[178:179]
	s_waitcnt_depctr 0xfff
	v_fma_f64 v[184:185], -v[178:179], v[182:183], 1.0
	v_fma_f64 v[182:183], v[182:183], v[184:185], v[182:183]
	s_delay_alu instid0(VALU_DEP_1) | instskip(NEXT) | instid1(VALU_DEP_1)
	v_fma_f64 v[184:185], -v[178:179], v[182:183], 1.0
	v_fma_f64 v[182:183], v[182:183], v[184:185], v[182:183]
	v_div_scale_f64 v[184:185], vcc_lo, 1.0, v[176:177], 1.0
	s_delay_alu instid0(VALU_DEP_1) | instskip(NEXT) | instid1(VALU_DEP_1)
	v_mul_f64 v[186:187], v[184:185], v[182:183]
	v_fma_f64 v[178:179], -v[178:179], v[186:187], v[184:185]
	s_delay_alu instid0(VALU_DEP_1) | instskip(NEXT) | instid1(VALU_DEP_1)
	v_div_fmas_f64 v[178:179], v[178:179], v[182:183], v[186:187]
	v_div_fixup_f64 v[184:185], v[178:179], v[176:177], 1.0
	s_delay_alu instid0(VALU_DEP_1)
	v_mul_f64 v[182:183], v[180:181], -v[184:185]
.LBB87_223:
	s_or_b32 exec_lo, exec_lo, s3
	ds_store_2addr_b64 v195, v[184:185], v[182:183] offset1:1
.LBB87_224:
	s_or_b32 exec_lo, exec_lo, s4
	s_waitcnt lgkmcnt(0)
	s_barrier
	buffer_gl0_inv
	ds_load_2addr_b64 v[176:179], v195 offset1:1
	s_mov_b32 s3, exec_lo
	s_waitcnt lgkmcnt(0)
	scratch_store_b128 off, v[176:179], off offset:616 ; 16-byte Folded Spill
	v_cmpx_lt_u32_e32 24, v194
	s_cbranch_execz .LBB87_226
; %bb.225:
	scratch_load_b128 v[178:181], off, off offset:616 ; 16-byte Folded Reload
	s_waitcnt vmcnt(0)
	v_mul_f64 v[176:177], v[180:181], v[78:79]
	v_mul_f64 v[78:79], v[178:179], v[78:79]
	s_delay_alu instid0(VALU_DEP_2) | instskip(NEXT) | instid1(VALU_DEP_2)
	v_fma_f64 v[176:177], v[178:179], v[76:77], -v[176:177]
	v_fma_f64 v[78:79], v[180:181], v[76:77], v[78:79]
	ds_load_2addr_b64 v[178:181], v196 offset0:50 offset1:51
	s_waitcnt lgkmcnt(0)
	v_mul_f64 v[76:77], v[180:181], v[78:79]
	s_delay_alu instid0(VALU_DEP_1) | instskip(SKIP_1) | instid1(VALU_DEP_2)
	v_fma_f64 v[76:77], v[178:179], v[176:177], -v[76:77]
	v_mul_f64 v[178:179], v[178:179], v[78:79]
	v_add_f64 v[72:73], v[72:73], -v[76:77]
	s_delay_alu instid0(VALU_DEP_2) | instskip(NEXT) | instid1(VALU_DEP_1)
	v_fma_f64 v[178:179], v[180:181], v[176:177], v[178:179]
	v_add_f64 v[74:75], v[74:75], -v[178:179]
	ds_load_2addr_b64 v[178:181], v196 offset0:52 offset1:53
	s_waitcnt lgkmcnt(0)
	v_mul_f64 v[76:77], v[180:181], v[78:79]
	s_delay_alu instid0(VALU_DEP_1) | instskip(SKIP_1) | instid1(VALU_DEP_2)
	v_fma_f64 v[76:77], v[178:179], v[176:177], -v[76:77]
	v_mul_f64 v[178:179], v[178:179], v[78:79]
	v_add_f64 v[68:69], v[68:69], -v[76:77]
	s_delay_alu instid0(VALU_DEP_2) | instskip(NEXT) | instid1(VALU_DEP_1)
	v_fma_f64 v[178:179], v[180:181], v[176:177], v[178:179]
	v_add_f64 v[70:71], v[70:71], -v[178:179]
	;; [unrolled: 10-line block ×18, first 2 shown]
	ds_load_2addr_b64 v[178:181], v196 offset0:86 offset1:87
	s_waitcnt lgkmcnt(0)
	v_mul_f64 v[76:77], v[180:181], v[78:79]
	s_delay_alu instid0(VALU_DEP_1) | instskip(SKIP_1) | instid1(VALU_DEP_2)
	v_fma_f64 v[76:77], v[178:179], v[176:177], -v[76:77]
	v_mul_f64 v[178:179], v[178:179], v[78:79]
	v_add_f64 v[0:1], v[0:1], -v[76:77]
	s_delay_alu instid0(VALU_DEP_2) | instskip(SKIP_1) | instid1(VALU_DEP_2)
	v_fma_f64 v[178:179], v[180:181], v[176:177], v[178:179]
	v_dual_mov_b32 v76, v176 :: v_dual_mov_b32 v77, v177
	v_add_f64 v[2:3], v[2:3], -v[178:179]
.LBB87_226:
	s_or_b32 exec_lo, exec_lo, s3
	s_delay_alu instid0(SALU_CYCLE_1)
	s_mov_b32 s4, exec_lo
	s_waitcnt_vscnt null, 0x0
	s_barrier
	buffer_gl0_inv
	v_cmpx_eq_u32_e32 25, v194
	s_cbranch_execz .LBB87_233
; %bb.227:
	ds_store_2addr_b64 v195, v[72:73], v[74:75] offset1:1
	ds_store_2addr_b64 v196, v[68:69], v[70:71] offset0:52 offset1:53
	ds_store_2addr_b64 v196, v[64:65], v[66:67] offset0:54 offset1:55
	;; [unrolled: 1-line block ×18, first 2 shown]
	ds_load_2addr_b64 v[176:179], v195 offset1:1
	s_waitcnt lgkmcnt(0)
	v_cmp_neq_f64_e32 vcc_lo, 0, v[176:177]
	v_cmp_neq_f64_e64 s3, 0, v[178:179]
	s_delay_alu instid0(VALU_DEP_1) | instskip(NEXT) | instid1(SALU_CYCLE_1)
	s_or_b32 s3, vcc_lo, s3
	s_and_b32 exec_lo, exec_lo, s3
	s_cbranch_execz .LBB87_233
; %bb.228:
	v_cmp_gt_f64_e32 vcc_lo, 0, v[176:177]
	v_xor_b32_e32 v180, 0x80000000, v177
	v_xor_b32_e32 v182, 0x80000000, v179
	s_mov_b32 s3, exec_lo
                                        ; implicit-def: $vgpr184_vgpr185
	s_delay_alu instid0(VALU_DEP_2) | instskip(SKIP_4) | instid1(VALU_DEP_1)
	v_cndmask_b32_e32 v181, v177, v180, vcc_lo
	v_cndmask_b32_e32 v180, v176, v176, vcc_lo
	v_cmp_gt_f64_e32 vcc_lo, 0, v[178:179]
	v_cndmask_b32_e32 v183, v179, v182, vcc_lo
	v_cndmask_b32_e32 v182, v178, v178, vcc_lo
	v_cmpx_ngt_f64_e32 v[180:181], v[182:183]
	s_xor_b32 s3, exec_lo, s3
                                        ; implicit-def: $vgpr180_vgpr181_vgpr182_vgpr183
	s_cbranch_execz .LBB87_230
; %bb.229:
	v_div_scale_f64 v[180:181], null, v[178:179], v[178:179], v[176:177]
	v_div_scale_f64 v[186:187], vcc_lo, v[176:177], v[178:179], v[176:177]
	s_delay_alu instid0(VALU_DEP_2) | instskip(SKIP_2) | instid1(VALU_DEP_1)
	v_rcp_f64_e32 v[182:183], v[180:181]
	s_waitcnt_depctr 0xfff
	v_fma_f64 v[184:185], -v[180:181], v[182:183], 1.0
	v_fma_f64 v[182:183], v[182:183], v[184:185], v[182:183]
	s_delay_alu instid0(VALU_DEP_1) | instskip(NEXT) | instid1(VALU_DEP_1)
	v_fma_f64 v[184:185], -v[180:181], v[182:183], 1.0
	v_fma_f64 v[182:183], v[182:183], v[184:185], v[182:183]
	s_delay_alu instid0(VALU_DEP_1) | instskip(NEXT) | instid1(VALU_DEP_1)
	v_mul_f64 v[184:185], v[186:187], v[182:183]
	v_fma_f64 v[180:181], -v[180:181], v[184:185], v[186:187]
	s_delay_alu instid0(VALU_DEP_1) | instskip(NEXT) | instid1(VALU_DEP_1)
	v_div_fmas_f64 v[180:181], v[180:181], v[182:183], v[184:185]
	v_div_fixup_f64 v[180:181], v[180:181], v[178:179], v[176:177]
	s_delay_alu instid0(VALU_DEP_1) | instskip(NEXT) | instid1(VALU_DEP_1)
	v_fma_f64 v[176:177], v[176:177], v[180:181], v[178:179]
	v_div_scale_f64 v[178:179], null, v[176:177], v[176:177], 1.0
	s_delay_alu instid0(VALU_DEP_1) | instskip(SKIP_2) | instid1(VALU_DEP_1)
	v_rcp_f64_e32 v[182:183], v[178:179]
	s_waitcnt_depctr 0xfff
	v_fma_f64 v[184:185], -v[178:179], v[182:183], 1.0
	v_fma_f64 v[182:183], v[182:183], v[184:185], v[182:183]
	s_delay_alu instid0(VALU_DEP_1) | instskip(NEXT) | instid1(VALU_DEP_1)
	v_fma_f64 v[184:185], -v[178:179], v[182:183], 1.0
	v_fma_f64 v[182:183], v[182:183], v[184:185], v[182:183]
	v_div_scale_f64 v[184:185], vcc_lo, 1.0, v[176:177], 1.0
	s_delay_alu instid0(VALU_DEP_1) | instskip(NEXT) | instid1(VALU_DEP_1)
	v_mul_f64 v[186:187], v[184:185], v[182:183]
	v_fma_f64 v[178:179], -v[178:179], v[186:187], v[184:185]
	s_delay_alu instid0(VALU_DEP_1) | instskip(NEXT) | instid1(VALU_DEP_1)
	v_div_fmas_f64 v[178:179], v[178:179], v[182:183], v[186:187]
	v_div_fixup_f64 v[182:183], v[178:179], v[176:177], 1.0
                                        ; implicit-def: $vgpr176_vgpr177
	s_delay_alu instid0(VALU_DEP_1)
	v_mul_f64 v[184:185], v[180:181], v[182:183]
	v_xor_b32_e32 v183, 0x80000000, v183
.LBB87_230:
	s_and_not1_saveexec_b32 s3, s3
	s_cbranch_execz .LBB87_232
; %bb.231:
	v_div_scale_f64 v[180:181], null, v[176:177], v[176:177], v[178:179]
	v_div_scale_f64 v[186:187], vcc_lo, v[178:179], v[176:177], v[178:179]
	s_delay_alu instid0(VALU_DEP_2) | instskip(SKIP_2) | instid1(VALU_DEP_1)
	v_rcp_f64_e32 v[182:183], v[180:181]
	s_waitcnt_depctr 0xfff
	v_fma_f64 v[184:185], -v[180:181], v[182:183], 1.0
	v_fma_f64 v[182:183], v[182:183], v[184:185], v[182:183]
	s_delay_alu instid0(VALU_DEP_1) | instskip(NEXT) | instid1(VALU_DEP_1)
	v_fma_f64 v[184:185], -v[180:181], v[182:183], 1.0
	v_fma_f64 v[182:183], v[182:183], v[184:185], v[182:183]
	s_delay_alu instid0(VALU_DEP_1) | instskip(NEXT) | instid1(VALU_DEP_1)
	v_mul_f64 v[184:185], v[186:187], v[182:183]
	v_fma_f64 v[180:181], -v[180:181], v[184:185], v[186:187]
	s_delay_alu instid0(VALU_DEP_1) | instskip(NEXT) | instid1(VALU_DEP_1)
	v_div_fmas_f64 v[180:181], v[180:181], v[182:183], v[184:185]
	v_div_fixup_f64 v[180:181], v[180:181], v[176:177], v[178:179]
	s_delay_alu instid0(VALU_DEP_1) | instskip(NEXT) | instid1(VALU_DEP_1)
	v_fma_f64 v[176:177], v[178:179], v[180:181], v[176:177]
	v_div_scale_f64 v[178:179], null, v[176:177], v[176:177], 1.0
	s_delay_alu instid0(VALU_DEP_1) | instskip(SKIP_2) | instid1(VALU_DEP_1)
	v_rcp_f64_e32 v[182:183], v[178:179]
	s_waitcnt_depctr 0xfff
	v_fma_f64 v[184:185], -v[178:179], v[182:183], 1.0
	v_fma_f64 v[182:183], v[182:183], v[184:185], v[182:183]
	s_delay_alu instid0(VALU_DEP_1) | instskip(NEXT) | instid1(VALU_DEP_1)
	v_fma_f64 v[184:185], -v[178:179], v[182:183], 1.0
	v_fma_f64 v[182:183], v[182:183], v[184:185], v[182:183]
	v_div_scale_f64 v[184:185], vcc_lo, 1.0, v[176:177], 1.0
	s_delay_alu instid0(VALU_DEP_1) | instskip(NEXT) | instid1(VALU_DEP_1)
	v_mul_f64 v[186:187], v[184:185], v[182:183]
	v_fma_f64 v[178:179], -v[178:179], v[186:187], v[184:185]
	s_delay_alu instid0(VALU_DEP_1) | instskip(NEXT) | instid1(VALU_DEP_1)
	v_div_fmas_f64 v[178:179], v[178:179], v[182:183], v[186:187]
	v_div_fixup_f64 v[184:185], v[178:179], v[176:177], 1.0
	s_delay_alu instid0(VALU_DEP_1)
	v_mul_f64 v[182:183], v[180:181], -v[184:185]
.LBB87_232:
	s_or_b32 exec_lo, exec_lo, s3
	ds_store_2addr_b64 v195, v[184:185], v[182:183] offset1:1
.LBB87_233:
	s_or_b32 exec_lo, exec_lo, s4
	s_waitcnt lgkmcnt(0)
	s_barrier
	buffer_gl0_inv
	ds_load_2addr_b64 v[176:179], v195 offset1:1
	s_mov_b32 s3, exec_lo
	s_waitcnt lgkmcnt(0)
	scratch_store_b128 off, v[176:179], off offset:632 ; 16-byte Folded Spill
	v_cmpx_lt_u32_e32 25, v194
	s_cbranch_execz .LBB87_235
; %bb.234:
	scratch_load_b128 v[178:181], off, off offset:632 ; 16-byte Folded Reload
	s_waitcnt vmcnt(0)
	v_mul_f64 v[176:177], v[180:181], v[74:75]
	v_mul_f64 v[74:75], v[178:179], v[74:75]
	s_delay_alu instid0(VALU_DEP_2) | instskip(NEXT) | instid1(VALU_DEP_2)
	v_fma_f64 v[176:177], v[178:179], v[72:73], -v[176:177]
	v_fma_f64 v[74:75], v[180:181], v[72:73], v[74:75]
	ds_load_2addr_b64 v[178:181], v196 offset0:52 offset1:53
	s_waitcnt lgkmcnt(0)
	v_mul_f64 v[72:73], v[180:181], v[74:75]
	s_delay_alu instid0(VALU_DEP_1) | instskip(SKIP_1) | instid1(VALU_DEP_2)
	v_fma_f64 v[72:73], v[178:179], v[176:177], -v[72:73]
	v_mul_f64 v[178:179], v[178:179], v[74:75]
	v_add_f64 v[68:69], v[68:69], -v[72:73]
	s_delay_alu instid0(VALU_DEP_2) | instskip(NEXT) | instid1(VALU_DEP_1)
	v_fma_f64 v[178:179], v[180:181], v[176:177], v[178:179]
	v_add_f64 v[70:71], v[70:71], -v[178:179]
	ds_load_2addr_b64 v[178:181], v196 offset0:54 offset1:55
	s_waitcnt lgkmcnt(0)
	v_mul_f64 v[72:73], v[180:181], v[74:75]
	s_delay_alu instid0(VALU_DEP_1) | instskip(SKIP_1) | instid1(VALU_DEP_2)
	v_fma_f64 v[72:73], v[178:179], v[176:177], -v[72:73]
	v_mul_f64 v[178:179], v[178:179], v[74:75]
	v_add_f64 v[64:65], v[64:65], -v[72:73]
	s_delay_alu instid0(VALU_DEP_2) | instskip(NEXT) | instid1(VALU_DEP_1)
	v_fma_f64 v[178:179], v[180:181], v[176:177], v[178:179]
	v_add_f64 v[66:67], v[66:67], -v[178:179]
	ds_load_2addr_b64 v[178:181], v196 offset0:56 offset1:57
	s_waitcnt lgkmcnt(0)
	v_mul_f64 v[72:73], v[180:181], v[74:75]
	s_delay_alu instid0(VALU_DEP_1) | instskip(SKIP_1) | instid1(VALU_DEP_2)
	v_fma_f64 v[72:73], v[178:179], v[176:177], -v[72:73]
	v_mul_f64 v[178:179], v[178:179], v[74:75]
	v_add_f64 v[60:61], v[60:61], -v[72:73]
	s_delay_alu instid0(VALU_DEP_2) | instskip(NEXT) | instid1(VALU_DEP_1)
	v_fma_f64 v[178:179], v[180:181], v[176:177], v[178:179]
	v_add_f64 v[62:63], v[62:63], -v[178:179]
	ds_load_2addr_b64 v[178:181], v196 offset0:58 offset1:59
	s_waitcnt lgkmcnt(0)
	v_mul_f64 v[72:73], v[180:181], v[74:75]
	s_delay_alu instid0(VALU_DEP_1) | instskip(SKIP_1) | instid1(VALU_DEP_2)
	v_fma_f64 v[72:73], v[178:179], v[176:177], -v[72:73]
	v_mul_f64 v[178:179], v[178:179], v[74:75]
	v_add_f64 v[56:57], v[56:57], -v[72:73]
	s_delay_alu instid0(VALU_DEP_2) | instskip(NEXT) | instid1(VALU_DEP_1)
	v_fma_f64 v[178:179], v[180:181], v[176:177], v[178:179]
	v_add_f64 v[58:59], v[58:59], -v[178:179]
	ds_load_2addr_b64 v[178:181], v196 offset0:60 offset1:61
	s_waitcnt lgkmcnt(0)
	v_mul_f64 v[72:73], v[180:181], v[74:75]
	s_delay_alu instid0(VALU_DEP_1) | instskip(SKIP_1) | instid1(VALU_DEP_2)
	v_fma_f64 v[72:73], v[178:179], v[176:177], -v[72:73]
	v_mul_f64 v[178:179], v[178:179], v[74:75]
	v_add_f64 v[52:53], v[52:53], -v[72:73]
	s_delay_alu instid0(VALU_DEP_2) | instskip(NEXT) | instid1(VALU_DEP_1)
	v_fma_f64 v[178:179], v[180:181], v[176:177], v[178:179]
	v_add_f64 v[54:55], v[54:55], -v[178:179]
	ds_load_2addr_b64 v[178:181], v196 offset0:62 offset1:63
	s_waitcnt lgkmcnt(0)
	v_mul_f64 v[72:73], v[180:181], v[74:75]
	s_delay_alu instid0(VALU_DEP_1) | instskip(SKIP_1) | instid1(VALU_DEP_2)
	v_fma_f64 v[72:73], v[178:179], v[176:177], -v[72:73]
	v_mul_f64 v[178:179], v[178:179], v[74:75]
	v_add_f64 v[48:49], v[48:49], -v[72:73]
	s_delay_alu instid0(VALU_DEP_2) | instskip(NEXT) | instid1(VALU_DEP_1)
	v_fma_f64 v[178:179], v[180:181], v[176:177], v[178:179]
	v_add_f64 v[50:51], v[50:51], -v[178:179]
	ds_load_2addr_b64 v[178:181], v196 offset0:64 offset1:65
	s_waitcnt lgkmcnt(0)
	v_mul_f64 v[72:73], v[180:181], v[74:75]
	s_delay_alu instid0(VALU_DEP_1) | instskip(SKIP_1) | instid1(VALU_DEP_2)
	v_fma_f64 v[72:73], v[178:179], v[176:177], -v[72:73]
	v_mul_f64 v[178:179], v[178:179], v[74:75]
	v_add_f64 v[44:45], v[44:45], -v[72:73]
	s_delay_alu instid0(VALU_DEP_2) | instskip(NEXT) | instid1(VALU_DEP_1)
	v_fma_f64 v[178:179], v[180:181], v[176:177], v[178:179]
	v_add_f64 v[46:47], v[46:47], -v[178:179]
	ds_load_2addr_b64 v[178:181], v196 offset0:66 offset1:67
	s_waitcnt lgkmcnt(0)
	v_mul_f64 v[72:73], v[180:181], v[74:75]
	s_delay_alu instid0(VALU_DEP_1) | instskip(SKIP_1) | instid1(VALU_DEP_2)
	v_fma_f64 v[72:73], v[178:179], v[176:177], -v[72:73]
	v_mul_f64 v[178:179], v[178:179], v[74:75]
	v_add_f64 v[40:41], v[40:41], -v[72:73]
	s_delay_alu instid0(VALU_DEP_2) | instskip(NEXT) | instid1(VALU_DEP_1)
	v_fma_f64 v[178:179], v[180:181], v[176:177], v[178:179]
	v_add_f64 v[42:43], v[42:43], -v[178:179]
	ds_load_2addr_b64 v[178:181], v196 offset0:68 offset1:69
	s_waitcnt lgkmcnt(0)
	v_mul_f64 v[72:73], v[180:181], v[74:75]
	s_delay_alu instid0(VALU_DEP_1) | instskip(SKIP_1) | instid1(VALU_DEP_2)
	v_fma_f64 v[72:73], v[178:179], v[176:177], -v[72:73]
	v_mul_f64 v[178:179], v[178:179], v[74:75]
	v_add_f64 v[36:37], v[36:37], -v[72:73]
	s_delay_alu instid0(VALU_DEP_2) | instskip(NEXT) | instid1(VALU_DEP_1)
	v_fma_f64 v[178:179], v[180:181], v[176:177], v[178:179]
	v_add_f64 v[38:39], v[38:39], -v[178:179]
	ds_load_2addr_b64 v[178:181], v196 offset0:70 offset1:71
	s_waitcnt lgkmcnt(0)
	v_mul_f64 v[72:73], v[180:181], v[74:75]
	s_delay_alu instid0(VALU_DEP_1) | instskip(SKIP_1) | instid1(VALU_DEP_2)
	v_fma_f64 v[72:73], v[178:179], v[176:177], -v[72:73]
	v_mul_f64 v[178:179], v[178:179], v[74:75]
	v_add_f64 v[32:33], v[32:33], -v[72:73]
	s_delay_alu instid0(VALU_DEP_2) | instskip(NEXT) | instid1(VALU_DEP_1)
	v_fma_f64 v[178:179], v[180:181], v[176:177], v[178:179]
	v_add_f64 v[34:35], v[34:35], -v[178:179]
	ds_load_2addr_b64 v[178:181], v196 offset0:72 offset1:73
	s_waitcnt lgkmcnt(0)
	v_mul_f64 v[72:73], v[180:181], v[74:75]
	s_delay_alu instid0(VALU_DEP_1) | instskip(SKIP_1) | instid1(VALU_DEP_2)
	v_fma_f64 v[72:73], v[178:179], v[176:177], -v[72:73]
	v_mul_f64 v[178:179], v[178:179], v[74:75]
	v_add_f64 v[28:29], v[28:29], -v[72:73]
	s_delay_alu instid0(VALU_DEP_2) | instskip(NEXT) | instid1(VALU_DEP_1)
	v_fma_f64 v[178:179], v[180:181], v[176:177], v[178:179]
	v_add_f64 v[30:31], v[30:31], -v[178:179]
	ds_load_2addr_b64 v[178:181], v196 offset0:74 offset1:75
	s_waitcnt lgkmcnt(0)
	v_mul_f64 v[72:73], v[180:181], v[74:75]
	s_delay_alu instid0(VALU_DEP_1) | instskip(SKIP_1) | instid1(VALU_DEP_2)
	v_fma_f64 v[72:73], v[178:179], v[176:177], -v[72:73]
	v_mul_f64 v[178:179], v[178:179], v[74:75]
	v_add_f64 v[24:25], v[24:25], -v[72:73]
	s_delay_alu instid0(VALU_DEP_2) | instskip(NEXT) | instid1(VALU_DEP_1)
	v_fma_f64 v[178:179], v[180:181], v[176:177], v[178:179]
	v_add_f64 v[26:27], v[26:27], -v[178:179]
	ds_load_2addr_b64 v[178:181], v196 offset0:76 offset1:77
	s_waitcnt lgkmcnt(0)
	v_mul_f64 v[72:73], v[180:181], v[74:75]
	s_delay_alu instid0(VALU_DEP_1) | instskip(SKIP_1) | instid1(VALU_DEP_2)
	v_fma_f64 v[72:73], v[178:179], v[176:177], -v[72:73]
	v_mul_f64 v[178:179], v[178:179], v[74:75]
	v_add_f64 v[20:21], v[20:21], -v[72:73]
	s_delay_alu instid0(VALU_DEP_2) | instskip(NEXT) | instid1(VALU_DEP_1)
	v_fma_f64 v[178:179], v[180:181], v[176:177], v[178:179]
	v_add_f64 v[22:23], v[22:23], -v[178:179]
	ds_load_2addr_b64 v[178:181], v196 offset0:78 offset1:79
	s_waitcnt lgkmcnt(0)
	v_mul_f64 v[72:73], v[180:181], v[74:75]
	s_delay_alu instid0(VALU_DEP_1) | instskip(SKIP_1) | instid1(VALU_DEP_2)
	v_fma_f64 v[72:73], v[178:179], v[176:177], -v[72:73]
	v_mul_f64 v[178:179], v[178:179], v[74:75]
	v_add_f64 v[16:17], v[16:17], -v[72:73]
	s_delay_alu instid0(VALU_DEP_2) | instskip(NEXT) | instid1(VALU_DEP_1)
	v_fma_f64 v[178:179], v[180:181], v[176:177], v[178:179]
	v_add_f64 v[18:19], v[18:19], -v[178:179]
	ds_load_2addr_b64 v[178:181], v196 offset0:80 offset1:81
	s_waitcnt lgkmcnt(0)
	v_mul_f64 v[72:73], v[180:181], v[74:75]
	s_delay_alu instid0(VALU_DEP_1) | instskip(SKIP_1) | instid1(VALU_DEP_2)
	v_fma_f64 v[72:73], v[178:179], v[176:177], -v[72:73]
	v_mul_f64 v[178:179], v[178:179], v[74:75]
	v_add_f64 v[12:13], v[12:13], -v[72:73]
	s_delay_alu instid0(VALU_DEP_2) | instskip(NEXT) | instid1(VALU_DEP_1)
	v_fma_f64 v[178:179], v[180:181], v[176:177], v[178:179]
	v_add_f64 v[14:15], v[14:15], -v[178:179]
	ds_load_2addr_b64 v[178:181], v196 offset0:82 offset1:83
	s_waitcnt lgkmcnt(0)
	v_mul_f64 v[72:73], v[180:181], v[74:75]
	s_delay_alu instid0(VALU_DEP_1) | instskip(SKIP_1) | instid1(VALU_DEP_2)
	v_fma_f64 v[72:73], v[178:179], v[176:177], -v[72:73]
	v_mul_f64 v[178:179], v[178:179], v[74:75]
	v_add_f64 v[8:9], v[8:9], -v[72:73]
	s_delay_alu instid0(VALU_DEP_2) | instskip(NEXT) | instid1(VALU_DEP_1)
	v_fma_f64 v[178:179], v[180:181], v[176:177], v[178:179]
	v_add_f64 v[10:11], v[10:11], -v[178:179]
	ds_load_2addr_b64 v[178:181], v196 offset0:84 offset1:85
	s_waitcnt lgkmcnt(0)
	v_mul_f64 v[72:73], v[180:181], v[74:75]
	s_delay_alu instid0(VALU_DEP_1) | instskip(SKIP_1) | instid1(VALU_DEP_2)
	v_fma_f64 v[72:73], v[178:179], v[176:177], -v[72:73]
	v_mul_f64 v[178:179], v[178:179], v[74:75]
	v_add_f64 v[4:5], v[4:5], -v[72:73]
	s_delay_alu instid0(VALU_DEP_2) | instskip(NEXT) | instid1(VALU_DEP_1)
	v_fma_f64 v[178:179], v[180:181], v[176:177], v[178:179]
	v_add_f64 v[6:7], v[6:7], -v[178:179]
	ds_load_2addr_b64 v[178:181], v196 offset0:86 offset1:87
	s_waitcnt lgkmcnt(0)
	v_mul_f64 v[72:73], v[180:181], v[74:75]
	s_delay_alu instid0(VALU_DEP_1) | instskip(SKIP_1) | instid1(VALU_DEP_2)
	v_fma_f64 v[72:73], v[178:179], v[176:177], -v[72:73]
	v_mul_f64 v[178:179], v[178:179], v[74:75]
	v_add_f64 v[0:1], v[0:1], -v[72:73]
	s_delay_alu instid0(VALU_DEP_2) | instskip(SKIP_1) | instid1(VALU_DEP_2)
	v_fma_f64 v[178:179], v[180:181], v[176:177], v[178:179]
	v_dual_mov_b32 v72, v176 :: v_dual_mov_b32 v73, v177
	v_add_f64 v[2:3], v[2:3], -v[178:179]
.LBB87_235:
	s_or_b32 exec_lo, exec_lo, s3
	s_delay_alu instid0(SALU_CYCLE_1)
	s_mov_b32 s4, exec_lo
	s_waitcnt_vscnt null, 0x0
	s_barrier
	buffer_gl0_inv
	v_cmpx_eq_u32_e32 26, v194
	s_cbranch_execz .LBB87_242
; %bb.236:
	ds_store_2addr_b64 v195, v[68:69], v[70:71] offset1:1
	ds_store_2addr_b64 v196, v[64:65], v[66:67] offset0:54 offset1:55
	ds_store_2addr_b64 v196, v[60:61], v[62:63] offset0:56 offset1:57
	;; [unrolled: 1-line block ×17, first 2 shown]
	ds_load_2addr_b64 v[176:179], v195 offset1:1
	s_waitcnt lgkmcnt(0)
	v_cmp_neq_f64_e32 vcc_lo, 0, v[176:177]
	v_cmp_neq_f64_e64 s3, 0, v[178:179]
	s_delay_alu instid0(VALU_DEP_1) | instskip(NEXT) | instid1(SALU_CYCLE_1)
	s_or_b32 s3, vcc_lo, s3
	s_and_b32 exec_lo, exec_lo, s3
	s_cbranch_execz .LBB87_242
; %bb.237:
	v_cmp_gt_f64_e32 vcc_lo, 0, v[176:177]
	v_xor_b32_e32 v180, 0x80000000, v177
	v_xor_b32_e32 v182, 0x80000000, v179
	s_mov_b32 s3, exec_lo
                                        ; implicit-def: $vgpr184_vgpr185
	s_delay_alu instid0(VALU_DEP_2) | instskip(SKIP_4) | instid1(VALU_DEP_1)
	v_cndmask_b32_e32 v181, v177, v180, vcc_lo
	v_cndmask_b32_e32 v180, v176, v176, vcc_lo
	v_cmp_gt_f64_e32 vcc_lo, 0, v[178:179]
	v_cndmask_b32_e32 v183, v179, v182, vcc_lo
	v_cndmask_b32_e32 v182, v178, v178, vcc_lo
	v_cmpx_ngt_f64_e32 v[180:181], v[182:183]
	s_xor_b32 s3, exec_lo, s3
                                        ; implicit-def: $vgpr180_vgpr181_vgpr182_vgpr183
	s_cbranch_execz .LBB87_239
; %bb.238:
	v_div_scale_f64 v[180:181], null, v[178:179], v[178:179], v[176:177]
	v_div_scale_f64 v[186:187], vcc_lo, v[176:177], v[178:179], v[176:177]
	s_delay_alu instid0(VALU_DEP_2) | instskip(SKIP_2) | instid1(VALU_DEP_1)
	v_rcp_f64_e32 v[182:183], v[180:181]
	s_waitcnt_depctr 0xfff
	v_fma_f64 v[184:185], -v[180:181], v[182:183], 1.0
	v_fma_f64 v[182:183], v[182:183], v[184:185], v[182:183]
	s_delay_alu instid0(VALU_DEP_1) | instskip(NEXT) | instid1(VALU_DEP_1)
	v_fma_f64 v[184:185], -v[180:181], v[182:183], 1.0
	v_fma_f64 v[182:183], v[182:183], v[184:185], v[182:183]
	s_delay_alu instid0(VALU_DEP_1) | instskip(NEXT) | instid1(VALU_DEP_1)
	v_mul_f64 v[184:185], v[186:187], v[182:183]
	v_fma_f64 v[180:181], -v[180:181], v[184:185], v[186:187]
	s_delay_alu instid0(VALU_DEP_1) | instskip(NEXT) | instid1(VALU_DEP_1)
	v_div_fmas_f64 v[180:181], v[180:181], v[182:183], v[184:185]
	v_div_fixup_f64 v[180:181], v[180:181], v[178:179], v[176:177]
	s_delay_alu instid0(VALU_DEP_1) | instskip(NEXT) | instid1(VALU_DEP_1)
	v_fma_f64 v[176:177], v[176:177], v[180:181], v[178:179]
	v_div_scale_f64 v[178:179], null, v[176:177], v[176:177], 1.0
	s_delay_alu instid0(VALU_DEP_1) | instskip(SKIP_2) | instid1(VALU_DEP_1)
	v_rcp_f64_e32 v[182:183], v[178:179]
	s_waitcnt_depctr 0xfff
	v_fma_f64 v[184:185], -v[178:179], v[182:183], 1.0
	v_fma_f64 v[182:183], v[182:183], v[184:185], v[182:183]
	s_delay_alu instid0(VALU_DEP_1) | instskip(NEXT) | instid1(VALU_DEP_1)
	v_fma_f64 v[184:185], -v[178:179], v[182:183], 1.0
	v_fma_f64 v[182:183], v[182:183], v[184:185], v[182:183]
	v_div_scale_f64 v[184:185], vcc_lo, 1.0, v[176:177], 1.0
	s_delay_alu instid0(VALU_DEP_1) | instskip(NEXT) | instid1(VALU_DEP_1)
	v_mul_f64 v[186:187], v[184:185], v[182:183]
	v_fma_f64 v[178:179], -v[178:179], v[186:187], v[184:185]
	s_delay_alu instid0(VALU_DEP_1) | instskip(NEXT) | instid1(VALU_DEP_1)
	v_div_fmas_f64 v[178:179], v[178:179], v[182:183], v[186:187]
	v_div_fixup_f64 v[182:183], v[178:179], v[176:177], 1.0
                                        ; implicit-def: $vgpr176_vgpr177
	s_delay_alu instid0(VALU_DEP_1)
	v_mul_f64 v[184:185], v[180:181], v[182:183]
	v_xor_b32_e32 v183, 0x80000000, v183
.LBB87_239:
	s_and_not1_saveexec_b32 s3, s3
	s_cbranch_execz .LBB87_241
; %bb.240:
	v_div_scale_f64 v[180:181], null, v[176:177], v[176:177], v[178:179]
	v_div_scale_f64 v[186:187], vcc_lo, v[178:179], v[176:177], v[178:179]
	s_delay_alu instid0(VALU_DEP_2) | instskip(SKIP_2) | instid1(VALU_DEP_1)
	v_rcp_f64_e32 v[182:183], v[180:181]
	s_waitcnt_depctr 0xfff
	v_fma_f64 v[184:185], -v[180:181], v[182:183], 1.0
	v_fma_f64 v[182:183], v[182:183], v[184:185], v[182:183]
	s_delay_alu instid0(VALU_DEP_1) | instskip(NEXT) | instid1(VALU_DEP_1)
	v_fma_f64 v[184:185], -v[180:181], v[182:183], 1.0
	v_fma_f64 v[182:183], v[182:183], v[184:185], v[182:183]
	s_delay_alu instid0(VALU_DEP_1) | instskip(NEXT) | instid1(VALU_DEP_1)
	v_mul_f64 v[184:185], v[186:187], v[182:183]
	v_fma_f64 v[180:181], -v[180:181], v[184:185], v[186:187]
	s_delay_alu instid0(VALU_DEP_1) | instskip(NEXT) | instid1(VALU_DEP_1)
	v_div_fmas_f64 v[180:181], v[180:181], v[182:183], v[184:185]
	v_div_fixup_f64 v[180:181], v[180:181], v[176:177], v[178:179]
	s_delay_alu instid0(VALU_DEP_1) | instskip(NEXT) | instid1(VALU_DEP_1)
	v_fma_f64 v[176:177], v[178:179], v[180:181], v[176:177]
	v_div_scale_f64 v[178:179], null, v[176:177], v[176:177], 1.0
	s_delay_alu instid0(VALU_DEP_1) | instskip(SKIP_2) | instid1(VALU_DEP_1)
	v_rcp_f64_e32 v[182:183], v[178:179]
	s_waitcnt_depctr 0xfff
	v_fma_f64 v[184:185], -v[178:179], v[182:183], 1.0
	v_fma_f64 v[182:183], v[182:183], v[184:185], v[182:183]
	s_delay_alu instid0(VALU_DEP_1) | instskip(NEXT) | instid1(VALU_DEP_1)
	v_fma_f64 v[184:185], -v[178:179], v[182:183], 1.0
	v_fma_f64 v[182:183], v[182:183], v[184:185], v[182:183]
	v_div_scale_f64 v[184:185], vcc_lo, 1.0, v[176:177], 1.0
	s_delay_alu instid0(VALU_DEP_1) | instskip(NEXT) | instid1(VALU_DEP_1)
	v_mul_f64 v[186:187], v[184:185], v[182:183]
	v_fma_f64 v[178:179], -v[178:179], v[186:187], v[184:185]
	s_delay_alu instid0(VALU_DEP_1) | instskip(NEXT) | instid1(VALU_DEP_1)
	v_div_fmas_f64 v[178:179], v[178:179], v[182:183], v[186:187]
	v_div_fixup_f64 v[184:185], v[178:179], v[176:177], 1.0
	s_delay_alu instid0(VALU_DEP_1)
	v_mul_f64 v[182:183], v[180:181], -v[184:185]
.LBB87_241:
	s_or_b32 exec_lo, exec_lo, s3
	ds_store_2addr_b64 v195, v[184:185], v[182:183] offset1:1
.LBB87_242:
	s_or_b32 exec_lo, exec_lo, s4
	s_waitcnt lgkmcnt(0)
	s_barrier
	buffer_gl0_inv
	ds_load_2addr_b64 v[176:179], v195 offset1:1
	s_mov_b32 s3, exec_lo
	s_waitcnt lgkmcnt(0)
	scratch_store_b128 off, v[176:179], off offset:648 ; 16-byte Folded Spill
	v_cmpx_lt_u32_e32 26, v194
	s_cbranch_execz .LBB87_244
; %bb.243:
	scratch_load_b128 v[178:181], off, off offset:648 ; 16-byte Folded Reload
	s_waitcnt vmcnt(0)
	v_mul_f64 v[176:177], v[180:181], v[70:71]
	v_mul_f64 v[70:71], v[178:179], v[70:71]
	s_delay_alu instid0(VALU_DEP_2) | instskip(NEXT) | instid1(VALU_DEP_2)
	v_fma_f64 v[176:177], v[178:179], v[68:69], -v[176:177]
	v_fma_f64 v[70:71], v[180:181], v[68:69], v[70:71]
	ds_load_2addr_b64 v[178:181], v196 offset0:54 offset1:55
	s_waitcnt lgkmcnt(0)
	v_mul_f64 v[68:69], v[180:181], v[70:71]
	s_delay_alu instid0(VALU_DEP_1) | instskip(SKIP_1) | instid1(VALU_DEP_2)
	v_fma_f64 v[68:69], v[178:179], v[176:177], -v[68:69]
	v_mul_f64 v[178:179], v[178:179], v[70:71]
	v_add_f64 v[64:65], v[64:65], -v[68:69]
	s_delay_alu instid0(VALU_DEP_2) | instskip(NEXT) | instid1(VALU_DEP_1)
	v_fma_f64 v[178:179], v[180:181], v[176:177], v[178:179]
	v_add_f64 v[66:67], v[66:67], -v[178:179]
	ds_load_2addr_b64 v[178:181], v196 offset0:56 offset1:57
	s_waitcnt lgkmcnt(0)
	v_mul_f64 v[68:69], v[180:181], v[70:71]
	s_delay_alu instid0(VALU_DEP_1) | instskip(SKIP_1) | instid1(VALU_DEP_2)
	v_fma_f64 v[68:69], v[178:179], v[176:177], -v[68:69]
	v_mul_f64 v[178:179], v[178:179], v[70:71]
	v_add_f64 v[60:61], v[60:61], -v[68:69]
	s_delay_alu instid0(VALU_DEP_2) | instskip(NEXT) | instid1(VALU_DEP_1)
	v_fma_f64 v[178:179], v[180:181], v[176:177], v[178:179]
	v_add_f64 v[62:63], v[62:63], -v[178:179]
	;; [unrolled: 10-line block ×16, first 2 shown]
	ds_load_2addr_b64 v[178:181], v196 offset0:86 offset1:87
	s_waitcnt lgkmcnt(0)
	v_mul_f64 v[68:69], v[180:181], v[70:71]
	s_delay_alu instid0(VALU_DEP_1) | instskip(SKIP_1) | instid1(VALU_DEP_2)
	v_fma_f64 v[68:69], v[178:179], v[176:177], -v[68:69]
	v_mul_f64 v[178:179], v[178:179], v[70:71]
	v_add_f64 v[0:1], v[0:1], -v[68:69]
	s_delay_alu instid0(VALU_DEP_2) | instskip(SKIP_1) | instid1(VALU_DEP_2)
	v_fma_f64 v[178:179], v[180:181], v[176:177], v[178:179]
	v_dual_mov_b32 v68, v176 :: v_dual_mov_b32 v69, v177
	v_add_f64 v[2:3], v[2:3], -v[178:179]
.LBB87_244:
	s_or_b32 exec_lo, exec_lo, s3
	s_delay_alu instid0(SALU_CYCLE_1)
	s_mov_b32 s4, exec_lo
	s_waitcnt_vscnt null, 0x0
	s_barrier
	buffer_gl0_inv
	v_cmpx_eq_u32_e32 27, v194
	s_cbranch_execz .LBB87_251
; %bb.245:
	ds_store_2addr_b64 v195, v[64:65], v[66:67] offset1:1
	ds_store_2addr_b64 v196, v[60:61], v[62:63] offset0:56 offset1:57
	ds_store_2addr_b64 v196, v[56:57], v[58:59] offset0:58 offset1:59
	;; [unrolled: 1-line block ×16, first 2 shown]
	ds_load_2addr_b64 v[176:179], v195 offset1:1
	s_waitcnt lgkmcnt(0)
	v_cmp_neq_f64_e32 vcc_lo, 0, v[176:177]
	v_cmp_neq_f64_e64 s3, 0, v[178:179]
	s_delay_alu instid0(VALU_DEP_1) | instskip(NEXT) | instid1(SALU_CYCLE_1)
	s_or_b32 s3, vcc_lo, s3
	s_and_b32 exec_lo, exec_lo, s3
	s_cbranch_execz .LBB87_251
; %bb.246:
	v_cmp_gt_f64_e32 vcc_lo, 0, v[176:177]
	v_xor_b32_e32 v180, 0x80000000, v177
	v_xor_b32_e32 v182, 0x80000000, v179
	s_mov_b32 s3, exec_lo
                                        ; implicit-def: $vgpr184_vgpr185
	s_delay_alu instid0(VALU_DEP_2) | instskip(SKIP_4) | instid1(VALU_DEP_1)
	v_cndmask_b32_e32 v181, v177, v180, vcc_lo
	v_cndmask_b32_e32 v180, v176, v176, vcc_lo
	v_cmp_gt_f64_e32 vcc_lo, 0, v[178:179]
	v_cndmask_b32_e32 v183, v179, v182, vcc_lo
	v_cndmask_b32_e32 v182, v178, v178, vcc_lo
	v_cmpx_ngt_f64_e32 v[180:181], v[182:183]
	s_xor_b32 s3, exec_lo, s3
                                        ; implicit-def: $vgpr180_vgpr181_vgpr182_vgpr183
	s_cbranch_execz .LBB87_248
; %bb.247:
	v_div_scale_f64 v[180:181], null, v[178:179], v[178:179], v[176:177]
	v_div_scale_f64 v[186:187], vcc_lo, v[176:177], v[178:179], v[176:177]
	s_delay_alu instid0(VALU_DEP_2) | instskip(SKIP_2) | instid1(VALU_DEP_1)
	v_rcp_f64_e32 v[182:183], v[180:181]
	s_waitcnt_depctr 0xfff
	v_fma_f64 v[184:185], -v[180:181], v[182:183], 1.0
	v_fma_f64 v[182:183], v[182:183], v[184:185], v[182:183]
	s_delay_alu instid0(VALU_DEP_1) | instskip(NEXT) | instid1(VALU_DEP_1)
	v_fma_f64 v[184:185], -v[180:181], v[182:183], 1.0
	v_fma_f64 v[182:183], v[182:183], v[184:185], v[182:183]
	s_delay_alu instid0(VALU_DEP_1) | instskip(NEXT) | instid1(VALU_DEP_1)
	v_mul_f64 v[184:185], v[186:187], v[182:183]
	v_fma_f64 v[180:181], -v[180:181], v[184:185], v[186:187]
	s_delay_alu instid0(VALU_DEP_1) | instskip(NEXT) | instid1(VALU_DEP_1)
	v_div_fmas_f64 v[180:181], v[180:181], v[182:183], v[184:185]
	v_div_fixup_f64 v[180:181], v[180:181], v[178:179], v[176:177]
	s_delay_alu instid0(VALU_DEP_1) | instskip(NEXT) | instid1(VALU_DEP_1)
	v_fma_f64 v[176:177], v[176:177], v[180:181], v[178:179]
	v_div_scale_f64 v[178:179], null, v[176:177], v[176:177], 1.0
	s_delay_alu instid0(VALU_DEP_1) | instskip(SKIP_2) | instid1(VALU_DEP_1)
	v_rcp_f64_e32 v[182:183], v[178:179]
	s_waitcnt_depctr 0xfff
	v_fma_f64 v[184:185], -v[178:179], v[182:183], 1.0
	v_fma_f64 v[182:183], v[182:183], v[184:185], v[182:183]
	s_delay_alu instid0(VALU_DEP_1) | instskip(NEXT) | instid1(VALU_DEP_1)
	v_fma_f64 v[184:185], -v[178:179], v[182:183], 1.0
	v_fma_f64 v[182:183], v[182:183], v[184:185], v[182:183]
	v_div_scale_f64 v[184:185], vcc_lo, 1.0, v[176:177], 1.0
	s_delay_alu instid0(VALU_DEP_1) | instskip(NEXT) | instid1(VALU_DEP_1)
	v_mul_f64 v[186:187], v[184:185], v[182:183]
	v_fma_f64 v[178:179], -v[178:179], v[186:187], v[184:185]
	s_delay_alu instid0(VALU_DEP_1) | instskip(NEXT) | instid1(VALU_DEP_1)
	v_div_fmas_f64 v[178:179], v[178:179], v[182:183], v[186:187]
	v_div_fixup_f64 v[182:183], v[178:179], v[176:177], 1.0
                                        ; implicit-def: $vgpr176_vgpr177
	s_delay_alu instid0(VALU_DEP_1)
	v_mul_f64 v[184:185], v[180:181], v[182:183]
	v_xor_b32_e32 v183, 0x80000000, v183
.LBB87_248:
	s_and_not1_saveexec_b32 s3, s3
	s_cbranch_execz .LBB87_250
; %bb.249:
	v_div_scale_f64 v[180:181], null, v[176:177], v[176:177], v[178:179]
	v_div_scale_f64 v[186:187], vcc_lo, v[178:179], v[176:177], v[178:179]
	s_delay_alu instid0(VALU_DEP_2) | instskip(SKIP_2) | instid1(VALU_DEP_1)
	v_rcp_f64_e32 v[182:183], v[180:181]
	s_waitcnt_depctr 0xfff
	v_fma_f64 v[184:185], -v[180:181], v[182:183], 1.0
	v_fma_f64 v[182:183], v[182:183], v[184:185], v[182:183]
	s_delay_alu instid0(VALU_DEP_1) | instskip(NEXT) | instid1(VALU_DEP_1)
	v_fma_f64 v[184:185], -v[180:181], v[182:183], 1.0
	v_fma_f64 v[182:183], v[182:183], v[184:185], v[182:183]
	s_delay_alu instid0(VALU_DEP_1) | instskip(NEXT) | instid1(VALU_DEP_1)
	v_mul_f64 v[184:185], v[186:187], v[182:183]
	v_fma_f64 v[180:181], -v[180:181], v[184:185], v[186:187]
	s_delay_alu instid0(VALU_DEP_1) | instskip(NEXT) | instid1(VALU_DEP_1)
	v_div_fmas_f64 v[180:181], v[180:181], v[182:183], v[184:185]
	v_div_fixup_f64 v[180:181], v[180:181], v[176:177], v[178:179]
	s_delay_alu instid0(VALU_DEP_1) | instskip(NEXT) | instid1(VALU_DEP_1)
	v_fma_f64 v[176:177], v[178:179], v[180:181], v[176:177]
	v_div_scale_f64 v[178:179], null, v[176:177], v[176:177], 1.0
	s_delay_alu instid0(VALU_DEP_1) | instskip(SKIP_2) | instid1(VALU_DEP_1)
	v_rcp_f64_e32 v[182:183], v[178:179]
	s_waitcnt_depctr 0xfff
	v_fma_f64 v[184:185], -v[178:179], v[182:183], 1.0
	v_fma_f64 v[182:183], v[182:183], v[184:185], v[182:183]
	s_delay_alu instid0(VALU_DEP_1) | instskip(NEXT) | instid1(VALU_DEP_1)
	v_fma_f64 v[184:185], -v[178:179], v[182:183], 1.0
	v_fma_f64 v[182:183], v[182:183], v[184:185], v[182:183]
	v_div_scale_f64 v[184:185], vcc_lo, 1.0, v[176:177], 1.0
	s_delay_alu instid0(VALU_DEP_1) | instskip(NEXT) | instid1(VALU_DEP_1)
	v_mul_f64 v[186:187], v[184:185], v[182:183]
	v_fma_f64 v[178:179], -v[178:179], v[186:187], v[184:185]
	s_delay_alu instid0(VALU_DEP_1) | instskip(NEXT) | instid1(VALU_DEP_1)
	v_div_fmas_f64 v[178:179], v[178:179], v[182:183], v[186:187]
	v_div_fixup_f64 v[184:185], v[178:179], v[176:177], 1.0
	s_delay_alu instid0(VALU_DEP_1)
	v_mul_f64 v[182:183], v[180:181], -v[184:185]
.LBB87_250:
	s_or_b32 exec_lo, exec_lo, s3
	ds_store_2addr_b64 v195, v[184:185], v[182:183] offset1:1
.LBB87_251:
	s_or_b32 exec_lo, exec_lo, s4
	s_waitcnt lgkmcnt(0)
	s_barrier
	buffer_gl0_inv
	ds_load_2addr_b64 v[176:179], v195 offset1:1
	s_mov_b32 s3, exec_lo
	s_waitcnt lgkmcnt(0)
	scratch_store_b128 off, v[176:179], off offset:664 ; 16-byte Folded Spill
	v_cmpx_lt_u32_e32 27, v194
	s_cbranch_execz .LBB87_253
; %bb.252:
	scratch_load_b128 v[178:181], off, off offset:664 ; 16-byte Folded Reload
	s_waitcnt vmcnt(0)
	v_mul_f64 v[176:177], v[178:179], v[66:67]
	v_mul_f64 v[66:67], v[180:181], v[66:67]
	s_delay_alu instid0(VALU_DEP_2) | instskip(NEXT) | instid1(VALU_DEP_2)
	v_fma_f64 v[176:177], v[180:181], v[64:65], v[176:177]
	v_fma_f64 v[64:65], v[178:179], v[64:65], -v[66:67]
	ds_load_2addr_b64 v[178:181], v196 offset0:56 offset1:57
	s_waitcnt lgkmcnt(0)
	v_mul_f64 v[66:67], v[180:181], v[176:177]
	s_delay_alu instid0(VALU_DEP_1) | instskip(SKIP_1) | instid1(VALU_DEP_2)
	v_fma_f64 v[66:67], v[178:179], v[64:65], -v[66:67]
	v_mul_f64 v[178:179], v[178:179], v[176:177]
	v_add_f64 v[60:61], v[60:61], -v[66:67]
	s_delay_alu instid0(VALU_DEP_2) | instskip(NEXT) | instid1(VALU_DEP_1)
	v_fma_f64 v[178:179], v[180:181], v[64:65], v[178:179]
	v_add_f64 v[62:63], v[62:63], -v[178:179]
	ds_load_2addr_b64 v[178:181], v196 offset0:58 offset1:59
	s_waitcnt lgkmcnt(0)
	v_mul_f64 v[66:67], v[180:181], v[176:177]
	s_delay_alu instid0(VALU_DEP_1) | instskip(SKIP_1) | instid1(VALU_DEP_2)
	v_fma_f64 v[66:67], v[178:179], v[64:65], -v[66:67]
	v_mul_f64 v[178:179], v[178:179], v[176:177]
	v_add_f64 v[56:57], v[56:57], -v[66:67]
	s_delay_alu instid0(VALU_DEP_2) | instskip(NEXT) | instid1(VALU_DEP_1)
	v_fma_f64 v[178:179], v[180:181], v[64:65], v[178:179]
	v_add_f64 v[58:59], v[58:59], -v[178:179]
	;; [unrolled: 10-line block ×15, first 2 shown]
	ds_load_2addr_b64 v[178:181], v196 offset0:86 offset1:87
	s_waitcnt lgkmcnt(0)
	v_mul_f64 v[66:67], v[180:181], v[176:177]
	s_delay_alu instid0(VALU_DEP_1) | instskip(SKIP_1) | instid1(VALU_DEP_2)
	v_fma_f64 v[66:67], v[178:179], v[64:65], -v[66:67]
	v_mul_f64 v[178:179], v[178:179], v[176:177]
	v_add_f64 v[0:1], v[0:1], -v[66:67]
	s_delay_alu instid0(VALU_DEP_2) | instskip(SKIP_1) | instid1(VALU_DEP_2)
	v_fma_f64 v[178:179], v[180:181], v[64:65], v[178:179]
	v_dual_mov_b32 v66, v176 :: v_dual_mov_b32 v67, v177
	v_add_f64 v[2:3], v[2:3], -v[178:179]
.LBB87_253:
	s_or_b32 exec_lo, exec_lo, s3
	s_delay_alu instid0(SALU_CYCLE_1)
	s_mov_b32 s4, exec_lo
	s_waitcnt_vscnt null, 0x0
	s_barrier
	buffer_gl0_inv
	v_cmpx_eq_u32_e32 28, v194
	s_cbranch_execz .LBB87_260
; %bb.254:
	ds_store_2addr_b64 v195, v[60:61], v[62:63] offset1:1
	ds_store_2addr_b64 v196, v[56:57], v[58:59] offset0:58 offset1:59
	ds_store_2addr_b64 v196, v[52:53], v[54:55] offset0:60 offset1:61
	;; [unrolled: 1-line block ×15, first 2 shown]
	ds_load_2addr_b64 v[176:179], v195 offset1:1
	s_waitcnt lgkmcnt(0)
	v_cmp_neq_f64_e32 vcc_lo, 0, v[176:177]
	v_cmp_neq_f64_e64 s3, 0, v[178:179]
	s_delay_alu instid0(VALU_DEP_1) | instskip(NEXT) | instid1(SALU_CYCLE_1)
	s_or_b32 s3, vcc_lo, s3
	s_and_b32 exec_lo, exec_lo, s3
	s_cbranch_execz .LBB87_260
; %bb.255:
	v_cmp_gt_f64_e32 vcc_lo, 0, v[176:177]
	v_xor_b32_e32 v180, 0x80000000, v177
	v_xor_b32_e32 v182, 0x80000000, v179
	s_mov_b32 s3, exec_lo
                                        ; implicit-def: $vgpr184_vgpr185
	s_delay_alu instid0(VALU_DEP_2) | instskip(SKIP_4) | instid1(VALU_DEP_1)
	v_cndmask_b32_e32 v181, v177, v180, vcc_lo
	v_cndmask_b32_e32 v180, v176, v176, vcc_lo
	v_cmp_gt_f64_e32 vcc_lo, 0, v[178:179]
	v_cndmask_b32_e32 v183, v179, v182, vcc_lo
	v_cndmask_b32_e32 v182, v178, v178, vcc_lo
	v_cmpx_ngt_f64_e32 v[180:181], v[182:183]
	s_xor_b32 s3, exec_lo, s3
                                        ; implicit-def: $vgpr180_vgpr181_vgpr182_vgpr183
	s_cbranch_execz .LBB87_257
; %bb.256:
	v_div_scale_f64 v[180:181], null, v[178:179], v[178:179], v[176:177]
	v_div_scale_f64 v[186:187], vcc_lo, v[176:177], v[178:179], v[176:177]
	s_delay_alu instid0(VALU_DEP_2) | instskip(SKIP_2) | instid1(VALU_DEP_1)
	v_rcp_f64_e32 v[182:183], v[180:181]
	s_waitcnt_depctr 0xfff
	v_fma_f64 v[184:185], -v[180:181], v[182:183], 1.0
	v_fma_f64 v[182:183], v[182:183], v[184:185], v[182:183]
	s_delay_alu instid0(VALU_DEP_1) | instskip(NEXT) | instid1(VALU_DEP_1)
	v_fma_f64 v[184:185], -v[180:181], v[182:183], 1.0
	v_fma_f64 v[182:183], v[182:183], v[184:185], v[182:183]
	s_delay_alu instid0(VALU_DEP_1) | instskip(NEXT) | instid1(VALU_DEP_1)
	v_mul_f64 v[184:185], v[186:187], v[182:183]
	v_fma_f64 v[180:181], -v[180:181], v[184:185], v[186:187]
	s_delay_alu instid0(VALU_DEP_1) | instskip(NEXT) | instid1(VALU_DEP_1)
	v_div_fmas_f64 v[180:181], v[180:181], v[182:183], v[184:185]
	v_div_fixup_f64 v[180:181], v[180:181], v[178:179], v[176:177]
	s_delay_alu instid0(VALU_DEP_1) | instskip(NEXT) | instid1(VALU_DEP_1)
	v_fma_f64 v[176:177], v[176:177], v[180:181], v[178:179]
	v_div_scale_f64 v[178:179], null, v[176:177], v[176:177], 1.0
	s_delay_alu instid0(VALU_DEP_1) | instskip(SKIP_2) | instid1(VALU_DEP_1)
	v_rcp_f64_e32 v[182:183], v[178:179]
	s_waitcnt_depctr 0xfff
	v_fma_f64 v[184:185], -v[178:179], v[182:183], 1.0
	v_fma_f64 v[182:183], v[182:183], v[184:185], v[182:183]
	s_delay_alu instid0(VALU_DEP_1) | instskip(NEXT) | instid1(VALU_DEP_1)
	v_fma_f64 v[184:185], -v[178:179], v[182:183], 1.0
	v_fma_f64 v[182:183], v[182:183], v[184:185], v[182:183]
	v_div_scale_f64 v[184:185], vcc_lo, 1.0, v[176:177], 1.0
	s_delay_alu instid0(VALU_DEP_1) | instskip(NEXT) | instid1(VALU_DEP_1)
	v_mul_f64 v[186:187], v[184:185], v[182:183]
	v_fma_f64 v[178:179], -v[178:179], v[186:187], v[184:185]
	s_delay_alu instid0(VALU_DEP_1) | instskip(NEXT) | instid1(VALU_DEP_1)
	v_div_fmas_f64 v[178:179], v[178:179], v[182:183], v[186:187]
	v_div_fixup_f64 v[182:183], v[178:179], v[176:177], 1.0
                                        ; implicit-def: $vgpr176_vgpr177
	s_delay_alu instid0(VALU_DEP_1)
	v_mul_f64 v[184:185], v[180:181], v[182:183]
	v_xor_b32_e32 v183, 0x80000000, v183
.LBB87_257:
	s_and_not1_saveexec_b32 s3, s3
	s_cbranch_execz .LBB87_259
; %bb.258:
	v_div_scale_f64 v[180:181], null, v[176:177], v[176:177], v[178:179]
	v_div_scale_f64 v[186:187], vcc_lo, v[178:179], v[176:177], v[178:179]
	s_delay_alu instid0(VALU_DEP_2) | instskip(SKIP_2) | instid1(VALU_DEP_1)
	v_rcp_f64_e32 v[182:183], v[180:181]
	s_waitcnt_depctr 0xfff
	v_fma_f64 v[184:185], -v[180:181], v[182:183], 1.0
	v_fma_f64 v[182:183], v[182:183], v[184:185], v[182:183]
	s_delay_alu instid0(VALU_DEP_1) | instskip(NEXT) | instid1(VALU_DEP_1)
	v_fma_f64 v[184:185], -v[180:181], v[182:183], 1.0
	v_fma_f64 v[182:183], v[182:183], v[184:185], v[182:183]
	s_delay_alu instid0(VALU_DEP_1) | instskip(NEXT) | instid1(VALU_DEP_1)
	v_mul_f64 v[184:185], v[186:187], v[182:183]
	v_fma_f64 v[180:181], -v[180:181], v[184:185], v[186:187]
	s_delay_alu instid0(VALU_DEP_1) | instskip(NEXT) | instid1(VALU_DEP_1)
	v_div_fmas_f64 v[180:181], v[180:181], v[182:183], v[184:185]
	v_div_fixup_f64 v[180:181], v[180:181], v[176:177], v[178:179]
	s_delay_alu instid0(VALU_DEP_1) | instskip(NEXT) | instid1(VALU_DEP_1)
	v_fma_f64 v[176:177], v[178:179], v[180:181], v[176:177]
	v_div_scale_f64 v[178:179], null, v[176:177], v[176:177], 1.0
	s_delay_alu instid0(VALU_DEP_1) | instskip(SKIP_2) | instid1(VALU_DEP_1)
	v_rcp_f64_e32 v[182:183], v[178:179]
	s_waitcnt_depctr 0xfff
	v_fma_f64 v[184:185], -v[178:179], v[182:183], 1.0
	v_fma_f64 v[182:183], v[182:183], v[184:185], v[182:183]
	s_delay_alu instid0(VALU_DEP_1) | instskip(NEXT) | instid1(VALU_DEP_1)
	v_fma_f64 v[184:185], -v[178:179], v[182:183], 1.0
	v_fma_f64 v[182:183], v[182:183], v[184:185], v[182:183]
	v_div_scale_f64 v[184:185], vcc_lo, 1.0, v[176:177], 1.0
	s_delay_alu instid0(VALU_DEP_1) | instskip(NEXT) | instid1(VALU_DEP_1)
	v_mul_f64 v[186:187], v[184:185], v[182:183]
	v_fma_f64 v[178:179], -v[178:179], v[186:187], v[184:185]
	s_delay_alu instid0(VALU_DEP_1) | instskip(NEXT) | instid1(VALU_DEP_1)
	v_div_fmas_f64 v[178:179], v[178:179], v[182:183], v[186:187]
	v_div_fixup_f64 v[184:185], v[178:179], v[176:177], 1.0
	s_delay_alu instid0(VALU_DEP_1)
	v_mul_f64 v[182:183], v[180:181], -v[184:185]
.LBB87_259:
	s_or_b32 exec_lo, exec_lo, s3
	ds_store_2addr_b64 v195, v[184:185], v[182:183] offset1:1
.LBB87_260:
	s_or_b32 exec_lo, exec_lo, s4
	s_waitcnt lgkmcnt(0)
	s_barrier
	buffer_gl0_inv
	ds_load_2addr_b64 v[176:179], v195 offset1:1
	s_mov_b32 s3, exec_lo
	s_waitcnt lgkmcnt(0)
	scratch_store_b128 off, v[176:179], off offset:680 ; 16-byte Folded Spill
	v_cmpx_lt_u32_e32 28, v194
	s_cbranch_execz .LBB87_262
; %bb.261:
	scratch_load_b128 v[178:181], off, off offset:680 ; 16-byte Folded Reload
	s_waitcnt vmcnt(0)
	v_mul_f64 v[176:177], v[178:179], v[62:63]
	v_mul_f64 v[62:63], v[180:181], v[62:63]
	s_delay_alu instid0(VALU_DEP_2) | instskip(NEXT) | instid1(VALU_DEP_2)
	v_fma_f64 v[176:177], v[180:181], v[60:61], v[176:177]
	v_fma_f64 v[60:61], v[178:179], v[60:61], -v[62:63]
	ds_load_2addr_b64 v[178:181], v196 offset0:58 offset1:59
	s_waitcnt lgkmcnt(0)
	v_mul_f64 v[62:63], v[180:181], v[176:177]
	s_delay_alu instid0(VALU_DEP_1) | instskip(SKIP_1) | instid1(VALU_DEP_2)
	v_fma_f64 v[62:63], v[178:179], v[60:61], -v[62:63]
	v_mul_f64 v[178:179], v[178:179], v[176:177]
	v_add_f64 v[56:57], v[56:57], -v[62:63]
	s_delay_alu instid0(VALU_DEP_2) | instskip(NEXT) | instid1(VALU_DEP_1)
	v_fma_f64 v[178:179], v[180:181], v[60:61], v[178:179]
	v_add_f64 v[58:59], v[58:59], -v[178:179]
	ds_load_2addr_b64 v[178:181], v196 offset0:60 offset1:61
	s_waitcnt lgkmcnt(0)
	v_mul_f64 v[62:63], v[180:181], v[176:177]
	s_delay_alu instid0(VALU_DEP_1) | instskip(SKIP_1) | instid1(VALU_DEP_2)
	v_fma_f64 v[62:63], v[178:179], v[60:61], -v[62:63]
	v_mul_f64 v[178:179], v[178:179], v[176:177]
	v_add_f64 v[52:53], v[52:53], -v[62:63]
	s_delay_alu instid0(VALU_DEP_2) | instskip(NEXT) | instid1(VALU_DEP_1)
	v_fma_f64 v[178:179], v[180:181], v[60:61], v[178:179]
	v_add_f64 v[54:55], v[54:55], -v[178:179]
	;; [unrolled: 10-line block ×14, first 2 shown]
	ds_load_2addr_b64 v[178:181], v196 offset0:86 offset1:87
	s_waitcnt lgkmcnt(0)
	v_mul_f64 v[62:63], v[180:181], v[176:177]
	s_delay_alu instid0(VALU_DEP_1) | instskip(SKIP_1) | instid1(VALU_DEP_2)
	v_fma_f64 v[62:63], v[178:179], v[60:61], -v[62:63]
	v_mul_f64 v[178:179], v[178:179], v[176:177]
	v_add_f64 v[0:1], v[0:1], -v[62:63]
	s_delay_alu instid0(VALU_DEP_2) | instskip(SKIP_1) | instid1(VALU_DEP_2)
	v_fma_f64 v[178:179], v[180:181], v[60:61], v[178:179]
	v_dual_mov_b32 v62, v176 :: v_dual_mov_b32 v63, v177
	v_add_f64 v[2:3], v[2:3], -v[178:179]
.LBB87_262:
	s_or_b32 exec_lo, exec_lo, s3
	s_delay_alu instid0(SALU_CYCLE_1)
	s_mov_b32 s4, exec_lo
	s_waitcnt_vscnt null, 0x0
	s_barrier
	buffer_gl0_inv
	v_cmpx_eq_u32_e32 29, v194
	s_cbranch_execz .LBB87_269
; %bb.263:
	ds_store_2addr_b64 v195, v[56:57], v[58:59] offset1:1
	ds_store_2addr_b64 v196, v[52:53], v[54:55] offset0:60 offset1:61
	ds_store_2addr_b64 v196, v[48:49], v[50:51] offset0:62 offset1:63
	;; [unrolled: 1-line block ×14, first 2 shown]
	ds_load_2addr_b64 v[176:179], v195 offset1:1
	s_waitcnt lgkmcnt(0)
	v_cmp_neq_f64_e32 vcc_lo, 0, v[176:177]
	v_cmp_neq_f64_e64 s3, 0, v[178:179]
	s_delay_alu instid0(VALU_DEP_1) | instskip(NEXT) | instid1(SALU_CYCLE_1)
	s_or_b32 s3, vcc_lo, s3
	s_and_b32 exec_lo, exec_lo, s3
	s_cbranch_execz .LBB87_269
; %bb.264:
	v_cmp_gt_f64_e32 vcc_lo, 0, v[176:177]
	v_xor_b32_e32 v180, 0x80000000, v177
	v_xor_b32_e32 v182, 0x80000000, v179
	s_mov_b32 s3, exec_lo
                                        ; implicit-def: $vgpr184_vgpr185
	s_delay_alu instid0(VALU_DEP_2) | instskip(SKIP_4) | instid1(VALU_DEP_1)
	v_cndmask_b32_e32 v181, v177, v180, vcc_lo
	v_cndmask_b32_e32 v180, v176, v176, vcc_lo
	v_cmp_gt_f64_e32 vcc_lo, 0, v[178:179]
	v_cndmask_b32_e32 v183, v179, v182, vcc_lo
	v_cndmask_b32_e32 v182, v178, v178, vcc_lo
	v_cmpx_ngt_f64_e32 v[180:181], v[182:183]
	s_xor_b32 s3, exec_lo, s3
                                        ; implicit-def: $vgpr180_vgpr181_vgpr182_vgpr183
	s_cbranch_execz .LBB87_266
; %bb.265:
	v_div_scale_f64 v[180:181], null, v[178:179], v[178:179], v[176:177]
	v_div_scale_f64 v[186:187], vcc_lo, v[176:177], v[178:179], v[176:177]
	s_delay_alu instid0(VALU_DEP_2) | instskip(SKIP_2) | instid1(VALU_DEP_1)
	v_rcp_f64_e32 v[182:183], v[180:181]
	s_waitcnt_depctr 0xfff
	v_fma_f64 v[184:185], -v[180:181], v[182:183], 1.0
	v_fma_f64 v[182:183], v[182:183], v[184:185], v[182:183]
	s_delay_alu instid0(VALU_DEP_1) | instskip(NEXT) | instid1(VALU_DEP_1)
	v_fma_f64 v[184:185], -v[180:181], v[182:183], 1.0
	v_fma_f64 v[182:183], v[182:183], v[184:185], v[182:183]
	s_delay_alu instid0(VALU_DEP_1) | instskip(NEXT) | instid1(VALU_DEP_1)
	v_mul_f64 v[184:185], v[186:187], v[182:183]
	v_fma_f64 v[180:181], -v[180:181], v[184:185], v[186:187]
	s_delay_alu instid0(VALU_DEP_1) | instskip(NEXT) | instid1(VALU_DEP_1)
	v_div_fmas_f64 v[180:181], v[180:181], v[182:183], v[184:185]
	v_div_fixup_f64 v[180:181], v[180:181], v[178:179], v[176:177]
	s_delay_alu instid0(VALU_DEP_1) | instskip(NEXT) | instid1(VALU_DEP_1)
	v_fma_f64 v[176:177], v[176:177], v[180:181], v[178:179]
	v_div_scale_f64 v[178:179], null, v[176:177], v[176:177], 1.0
	s_delay_alu instid0(VALU_DEP_1) | instskip(SKIP_2) | instid1(VALU_DEP_1)
	v_rcp_f64_e32 v[182:183], v[178:179]
	s_waitcnt_depctr 0xfff
	v_fma_f64 v[184:185], -v[178:179], v[182:183], 1.0
	v_fma_f64 v[182:183], v[182:183], v[184:185], v[182:183]
	s_delay_alu instid0(VALU_DEP_1) | instskip(NEXT) | instid1(VALU_DEP_1)
	v_fma_f64 v[184:185], -v[178:179], v[182:183], 1.0
	v_fma_f64 v[182:183], v[182:183], v[184:185], v[182:183]
	v_div_scale_f64 v[184:185], vcc_lo, 1.0, v[176:177], 1.0
	s_delay_alu instid0(VALU_DEP_1) | instskip(NEXT) | instid1(VALU_DEP_1)
	v_mul_f64 v[186:187], v[184:185], v[182:183]
	v_fma_f64 v[178:179], -v[178:179], v[186:187], v[184:185]
	s_delay_alu instid0(VALU_DEP_1) | instskip(NEXT) | instid1(VALU_DEP_1)
	v_div_fmas_f64 v[178:179], v[178:179], v[182:183], v[186:187]
	v_div_fixup_f64 v[182:183], v[178:179], v[176:177], 1.0
                                        ; implicit-def: $vgpr176_vgpr177
	s_delay_alu instid0(VALU_DEP_1)
	v_mul_f64 v[184:185], v[180:181], v[182:183]
	v_xor_b32_e32 v183, 0x80000000, v183
.LBB87_266:
	s_and_not1_saveexec_b32 s3, s3
	s_cbranch_execz .LBB87_268
; %bb.267:
	v_div_scale_f64 v[180:181], null, v[176:177], v[176:177], v[178:179]
	v_div_scale_f64 v[186:187], vcc_lo, v[178:179], v[176:177], v[178:179]
	s_delay_alu instid0(VALU_DEP_2) | instskip(SKIP_2) | instid1(VALU_DEP_1)
	v_rcp_f64_e32 v[182:183], v[180:181]
	s_waitcnt_depctr 0xfff
	v_fma_f64 v[184:185], -v[180:181], v[182:183], 1.0
	v_fma_f64 v[182:183], v[182:183], v[184:185], v[182:183]
	s_delay_alu instid0(VALU_DEP_1) | instskip(NEXT) | instid1(VALU_DEP_1)
	v_fma_f64 v[184:185], -v[180:181], v[182:183], 1.0
	v_fma_f64 v[182:183], v[182:183], v[184:185], v[182:183]
	s_delay_alu instid0(VALU_DEP_1) | instskip(NEXT) | instid1(VALU_DEP_1)
	v_mul_f64 v[184:185], v[186:187], v[182:183]
	v_fma_f64 v[180:181], -v[180:181], v[184:185], v[186:187]
	s_delay_alu instid0(VALU_DEP_1) | instskip(NEXT) | instid1(VALU_DEP_1)
	v_div_fmas_f64 v[180:181], v[180:181], v[182:183], v[184:185]
	v_div_fixup_f64 v[180:181], v[180:181], v[176:177], v[178:179]
	s_delay_alu instid0(VALU_DEP_1) | instskip(NEXT) | instid1(VALU_DEP_1)
	v_fma_f64 v[176:177], v[178:179], v[180:181], v[176:177]
	v_div_scale_f64 v[178:179], null, v[176:177], v[176:177], 1.0
	s_delay_alu instid0(VALU_DEP_1) | instskip(SKIP_2) | instid1(VALU_DEP_1)
	v_rcp_f64_e32 v[182:183], v[178:179]
	s_waitcnt_depctr 0xfff
	v_fma_f64 v[184:185], -v[178:179], v[182:183], 1.0
	v_fma_f64 v[182:183], v[182:183], v[184:185], v[182:183]
	s_delay_alu instid0(VALU_DEP_1) | instskip(NEXT) | instid1(VALU_DEP_1)
	v_fma_f64 v[184:185], -v[178:179], v[182:183], 1.0
	v_fma_f64 v[182:183], v[182:183], v[184:185], v[182:183]
	v_div_scale_f64 v[184:185], vcc_lo, 1.0, v[176:177], 1.0
	s_delay_alu instid0(VALU_DEP_1) | instskip(NEXT) | instid1(VALU_DEP_1)
	v_mul_f64 v[186:187], v[184:185], v[182:183]
	v_fma_f64 v[178:179], -v[178:179], v[186:187], v[184:185]
	s_delay_alu instid0(VALU_DEP_1) | instskip(NEXT) | instid1(VALU_DEP_1)
	v_div_fmas_f64 v[178:179], v[178:179], v[182:183], v[186:187]
	v_div_fixup_f64 v[184:185], v[178:179], v[176:177], 1.0
	s_delay_alu instid0(VALU_DEP_1)
	v_mul_f64 v[182:183], v[180:181], -v[184:185]
.LBB87_268:
	s_or_b32 exec_lo, exec_lo, s3
	ds_store_2addr_b64 v195, v[184:185], v[182:183] offset1:1
.LBB87_269:
	s_or_b32 exec_lo, exec_lo, s4
	s_waitcnt lgkmcnt(0)
	s_barrier
	buffer_gl0_inv
	ds_load_2addr_b64 v[176:179], v195 offset1:1
	s_mov_b32 s3, exec_lo
	s_waitcnt lgkmcnt(0)
	scratch_store_b128 off, v[176:179], off offset:696 ; 16-byte Folded Spill
	v_cmpx_lt_u32_e32 29, v194
	s_cbranch_execz .LBB87_271
; %bb.270:
	scratch_load_b128 v[178:181], off, off offset:696 ; 16-byte Folded Reload
	s_waitcnt vmcnt(0)
	v_mul_f64 v[176:177], v[178:179], v[58:59]
	v_mul_f64 v[58:59], v[180:181], v[58:59]
	s_delay_alu instid0(VALU_DEP_2) | instskip(NEXT) | instid1(VALU_DEP_2)
	v_fma_f64 v[176:177], v[180:181], v[56:57], v[176:177]
	v_fma_f64 v[56:57], v[178:179], v[56:57], -v[58:59]
	ds_load_2addr_b64 v[178:181], v196 offset0:60 offset1:61
	s_waitcnt lgkmcnt(0)
	v_mul_f64 v[58:59], v[180:181], v[176:177]
	s_delay_alu instid0(VALU_DEP_1) | instskip(SKIP_1) | instid1(VALU_DEP_2)
	v_fma_f64 v[58:59], v[178:179], v[56:57], -v[58:59]
	v_mul_f64 v[178:179], v[178:179], v[176:177]
	v_add_f64 v[52:53], v[52:53], -v[58:59]
	s_delay_alu instid0(VALU_DEP_2) | instskip(NEXT) | instid1(VALU_DEP_1)
	v_fma_f64 v[178:179], v[180:181], v[56:57], v[178:179]
	v_add_f64 v[54:55], v[54:55], -v[178:179]
	ds_load_2addr_b64 v[178:181], v196 offset0:62 offset1:63
	s_waitcnt lgkmcnt(0)
	v_mul_f64 v[58:59], v[180:181], v[176:177]
	s_delay_alu instid0(VALU_DEP_1) | instskip(SKIP_1) | instid1(VALU_DEP_2)
	v_fma_f64 v[58:59], v[178:179], v[56:57], -v[58:59]
	v_mul_f64 v[178:179], v[178:179], v[176:177]
	v_add_f64 v[48:49], v[48:49], -v[58:59]
	s_delay_alu instid0(VALU_DEP_2) | instskip(NEXT) | instid1(VALU_DEP_1)
	v_fma_f64 v[178:179], v[180:181], v[56:57], v[178:179]
	v_add_f64 v[50:51], v[50:51], -v[178:179]
	;; [unrolled: 10-line block ×13, first 2 shown]
	ds_load_2addr_b64 v[178:181], v196 offset0:86 offset1:87
	s_waitcnt lgkmcnt(0)
	v_mul_f64 v[58:59], v[180:181], v[176:177]
	s_delay_alu instid0(VALU_DEP_1) | instskip(SKIP_1) | instid1(VALU_DEP_2)
	v_fma_f64 v[58:59], v[178:179], v[56:57], -v[58:59]
	v_mul_f64 v[178:179], v[178:179], v[176:177]
	v_add_f64 v[0:1], v[0:1], -v[58:59]
	s_delay_alu instid0(VALU_DEP_2) | instskip(SKIP_1) | instid1(VALU_DEP_2)
	v_fma_f64 v[178:179], v[180:181], v[56:57], v[178:179]
	v_dual_mov_b32 v58, v176 :: v_dual_mov_b32 v59, v177
	v_add_f64 v[2:3], v[2:3], -v[178:179]
.LBB87_271:
	s_or_b32 exec_lo, exec_lo, s3
	s_delay_alu instid0(SALU_CYCLE_1)
	s_mov_b32 s4, exec_lo
	s_waitcnt_vscnt null, 0x0
	s_barrier
	buffer_gl0_inv
	v_cmpx_eq_u32_e32 30, v194
	s_cbranch_execz .LBB87_278
; %bb.272:
	ds_store_2addr_b64 v195, v[52:53], v[54:55] offset1:1
	ds_store_2addr_b64 v196, v[48:49], v[50:51] offset0:62 offset1:63
	ds_store_2addr_b64 v196, v[44:45], v[46:47] offset0:64 offset1:65
	;; [unrolled: 1-line block ×13, first 2 shown]
	ds_load_2addr_b64 v[176:179], v195 offset1:1
	s_waitcnt lgkmcnt(0)
	v_cmp_neq_f64_e32 vcc_lo, 0, v[176:177]
	v_cmp_neq_f64_e64 s3, 0, v[178:179]
	s_delay_alu instid0(VALU_DEP_1) | instskip(NEXT) | instid1(SALU_CYCLE_1)
	s_or_b32 s3, vcc_lo, s3
	s_and_b32 exec_lo, exec_lo, s3
	s_cbranch_execz .LBB87_278
; %bb.273:
	v_cmp_gt_f64_e32 vcc_lo, 0, v[176:177]
	v_xor_b32_e32 v180, 0x80000000, v177
	v_xor_b32_e32 v182, 0x80000000, v179
	s_mov_b32 s3, exec_lo
                                        ; implicit-def: $vgpr184_vgpr185
	s_delay_alu instid0(VALU_DEP_2) | instskip(SKIP_4) | instid1(VALU_DEP_1)
	v_cndmask_b32_e32 v181, v177, v180, vcc_lo
	v_cndmask_b32_e32 v180, v176, v176, vcc_lo
	v_cmp_gt_f64_e32 vcc_lo, 0, v[178:179]
	v_cndmask_b32_e32 v183, v179, v182, vcc_lo
	v_cndmask_b32_e32 v182, v178, v178, vcc_lo
	v_cmpx_ngt_f64_e32 v[180:181], v[182:183]
	s_xor_b32 s3, exec_lo, s3
                                        ; implicit-def: $vgpr180_vgpr181_vgpr182_vgpr183
	s_cbranch_execz .LBB87_275
; %bb.274:
	v_div_scale_f64 v[180:181], null, v[178:179], v[178:179], v[176:177]
	v_div_scale_f64 v[186:187], vcc_lo, v[176:177], v[178:179], v[176:177]
	s_delay_alu instid0(VALU_DEP_2) | instskip(SKIP_2) | instid1(VALU_DEP_1)
	v_rcp_f64_e32 v[182:183], v[180:181]
	s_waitcnt_depctr 0xfff
	v_fma_f64 v[184:185], -v[180:181], v[182:183], 1.0
	v_fma_f64 v[182:183], v[182:183], v[184:185], v[182:183]
	s_delay_alu instid0(VALU_DEP_1) | instskip(NEXT) | instid1(VALU_DEP_1)
	v_fma_f64 v[184:185], -v[180:181], v[182:183], 1.0
	v_fma_f64 v[182:183], v[182:183], v[184:185], v[182:183]
	s_delay_alu instid0(VALU_DEP_1) | instskip(NEXT) | instid1(VALU_DEP_1)
	v_mul_f64 v[184:185], v[186:187], v[182:183]
	v_fma_f64 v[180:181], -v[180:181], v[184:185], v[186:187]
	s_delay_alu instid0(VALU_DEP_1) | instskip(NEXT) | instid1(VALU_DEP_1)
	v_div_fmas_f64 v[180:181], v[180:181], v[182:183], v[184:185]
	v_div_fixup_f64 v[180:181], v[180:181], v[178:179], v[176:177]
	s_delay_alu instid0(VALU_DEP_1) | instskip(NEXT) | instid1(VALU_DEP_1)
	v_fma_f64 v[176:177], v[176:177], v[180:181], v[178:179]
	v_div_scale_f64 v[178:179], null, v[176:177], v[176:177], 1.0
	s_delay_alu instid0(VALU_DEP_1) | instskip(SKIP_2) | instid1(VALU_DEP_1)
	v_rcp_f64_e32 v[182:183], v[178:179]
	s_waitcnt_depctr 0xfff
	v_fma_f64 v[184:185], -v[178:179], v[182:183], 1.0
	v_fma_f64 v[182:183], v[182:183], v[184:185], v[182:183]
	s_delay_alu instid0(VALU_DEP_1) | instskip(NEXT) | instid1(VALU_DEP_1)
	v_fma_f64 v[184:185], -v[178:179], v[182:183], 1.0
	v_fma_f64 v[182:183], v[182:183], v[184:185], v[182:183]
	v_div_scale_f64 v[184:185], vcc_lo, 1.0, v[176:177], 1.0
	s_delay_alu instid0(VALU_DEP_1) | instskip(NEXT) | instid1(VALU_DEP_1)
	v_mul_f64 v[186:187], v[184:185], v[182:183]
	v_fma_f64 v[178:179], -v[178:179], v[186:187], v[184:185]
	s_delay_alu instid0(VALU_DEP_1) | instskip(NEXT) | instid1(VALU_DEP_1)
	v_div_fmas_f64 v[178:179], v[178:179], v[182:183], v[186:187]
	v_div_fixup_f64 v[182:183], v[178:179], v[176:177], 1.0
                                        ; implicit-def: $vgpr176_vgpr177
	s_delay_alu instid0(VALU_DEP_1)
	v_mul_f64 v[184:185], v[180:181], v[182:183]
	v_xor_b32_e32 v183, 0x80000000, v183
.LBB87_275:
	s_and_not1_saveexec_b32 s3, s3
	s_cbranch_execz .LBB87_277
; %bb.276:
	v_div_scale_f64 v[180:181], null, v[176:177], v[176:177], v[178:179]
	v_div_scale_f64 v[186:187], vcc_lo, v[178:179], v[176:177], v[178:179]
	s_delay_alu instid0(VALU_DEP_2) | instskip(SKIP_2) | instid1(VALU_DEP_1)
	v_rcp_f64_e32 v[182:183], v[180:181]
	s_waitcnt_depctr 0xfff
	v_fma_f64 v[184:185], -v[180:181], v[182:183], 1.0
	v_fma_f64 v[182:183], v[182:183], v[184:185], v[182:183]
	s_delay_alu instid0(VALU_DEP_1) | instskip(NEXT) | instid1(VALU_DEP_1)
	v_fma_f64 v[184:185], -v[180:181], v[182:183], 1.0
	v_fma_f64 v[182:183], v[182:183], v[184:185], v[182:183]
	s_delay_alu instid0(VALU_DEP_1) | instskip(NEXT) | instid1(VALU_DEP_1)
	v_mul_f64 v[184:185], v[186:187], v[182:183]
	v_fma_f64 v[180:181], -v[180:181], v[184:185], v[186:187]
	s_delay_alu instid0(VALU_DEP_1) | instskip(NEXT) | instid1(VALU_DEP_1)
	v_div_fmas_f64 v[180:181], v[180:181], v[182:183], v[184:185]
	v_div_fixup_f64 v[180:181], v[180:181], v[176:177], v[178:179]
	s_delay_alu instid0(VALU_DEP_1) | instskip(NEXT) | instid1(VALU_DEP_1)
	v_fma_f64 v[176:177], v[178:179], v[180:181], v[176:177]
	v_div_scale_f64 v[178:179], null, v[176:177], v[176:177], 1.0
	s_delay_alu instid0(VALU_DEP_1) | instskip(SKIP_2) | instid1(VALU_DEP_1)
	v_rcp_f64_e32 v[182:183], v[178:179]
	s_waitcnt_depctr 0xfff
	v_fma_f64 v[184:185], -v[178:179], v[182:183], 1.0
	v_fma_f64 v[182:183], v[182:183], v[184:185], v[182:183]
	s_delay_alu instid0(VALU_DEP_1) | instskip(NEXT) | instid1(VALU_DEP_1)
	v_fma_f64 v[184:185], -v[178:179], v[182:183], 1.0
	v_fma_f64 v[182:183], v[182:183], v[184:185], v[182:183]
	v_div_scale_f64 v[184:185], vcc_lo, 1.0, v[176:177], 1.0
	s_delay_alu instid0(VALU_DEP_1) | instskip(NEXT) | instid1(VALU_DEP_1)
	v_mul_f64 v[186:187], v[184:185], v[182:183]
	v_fma_f64 v[178:179], -v[178:179], v[186:187], v[184:185]
	s_delay_alu instid0(VALU_DEP_1) | instskip(NEXT) | instid1(VALU_DEP_1)
	v_div_fmas_f64 v[178:179], v[178:179], v[182:183], v[186:187]
	v_div_fixup_f64 v[184:185], v[178:179], v[176:177], 1.0
	s_delay_alu instid0(VALU_DEP_1)
	v_mul_f64 v[182:183], v[180:181], -v[184:185]
.LBB87_277:
	s_or_b32 exec_lo, exec_lo, s3
	ds_store_2addr_b64 v195, v[184:185], v[182:183] offset1:1
.LBB87_278:
	s_or_b32 exec_lo, exec_lo, s4
	s_waitcnt lgkmcnt(0)
	s_barrier
	buffer_gl0_inv
	ds_load_2addr_b64 v[176:179], v195 offset1:1
	s_mov_b32 s3, exec_lo
	s_waitcnt lgkmcnt(0)
	scratch_store_b128 off, v[176:179], off offset:712 ; 16-byte Folded Spill
	v_cmpx_lt_u32_e32 30, v194
	s_cbranch_execz .LBB87_280
; %bb.279:
	scratch_load_b128 v[178:181], off, off offset:712 ; 16-byte Folded Reload
	s_waitcnt vmcnt(0)
	v_mul_f64 v[176:177], v[178:179], v[54:55]
	v_mul_f64 v[54:55], v[180:181], v[54:55]
	s_delay_alu instid0(VALU_DEP_2) | instskip(NEXT) | instid1(VALU_DEP_2)
	v_fma_f64 v[176:177], v[180:181], v[52:53], v[176:177]
	v_fma_f64 v[52:53], v[178:179], v[52:53], -v[54:55]
	ds_load_2addr_b64 v[178:181], v196 offset0:62 offset1:63
	s_waitcnt lgkmcnt(0)
	v_mul_f64 v[54:55], v[180:181], v[176:177]
	s_delay_alu instid0(VALU_DEP_1) | instskip(SKIP_1) | instid1(VALU_DEP_2)
	v_fma_f64 v[54:55], v[178:179], v[52:53], -v[54:55]
	v_mul_f64 v[178:179], v[178:179], v[176:177]
	v_add_f64 v[48:49], v[48:49], -v[54:55]
	s_delay_alu instid0(VALU_DEP_2) | instskip(NEXT) | instid1(VALU_DEP_1)
	v_fma_f64 v[178:179], v[180:181], v[52:53], v[178:179]
	v_add_f64 v[50:51], v[50:51], -v[178:179]
	ds_load_2addr_b64 v[178:181], v196 offset0:64 offset1:65
	s_waitcnt lgkmcnt(0)
	v_mul_f64 v[54:55], v[180:181], v[176:177]
	s_delay_alu instid0(VALU_DEP_1) | instskip(SKIP_1) | instid1(VALU_DEP_2)
	v_fma_f64 v[54:55], v[178:179], v[52:53], -v[54:55]
	v_mul_f64 v[178:179], v[178:179], v[176:177]
	v_add_f64 v[44:45], v[44:45], -v[54:55]
	s_delay_alu instid0(VALU_DEP_2) | instskip(NEXT) | instid1(VALU_DEP_1)
	v_fma_f64 v[178:179], v[180:181], v[52:53], v[178:179]
	v_add_f64 v[46:47], v[46:47], -v[178:179]
	;; [unrolled: 10-line block ×12, first 2 shown]
	ds_load_2addr_b64 v[178:181], v196 offset0:86 offset1:87
	s_waitcnt lgkmcnt(0)
	v_mul_f64 v[54:55], v[180:181], v[176:177]
	s_delay_alu instid0(VALU_DEP_1) | instskip(SKIP_1) | instid1(VALU_DEP_2)
	v_fma_f64 v[54:55], v[178:179], v[52:53], -v[54:55]
	v_mul_f64 v[178:179], v[178:179], v[176:177]
	v_add_f64 v[0:1], v[0:1], -v[54:55]
	s_delay_alu instid0(VALU_DEP_2) | instskip(SKIP_1) | instid1(VALU_DEP_2)
	v_fma_f64 v[178:179], v[180:181], v[52:53], v[178:179]
	v_dual_mov_b32 v54, v176 :: v_dual_mov_b32 v55, v177
	v_add_f64 v[2:3], v[2:3], -v[178:179]
.LBB87_280:
	s_or_b32 exec_lo, exec_lo, s3
	s_delay_alu instid0(SALU_CYCLE_1)
	s_mov_b32 s4, exec_lo
	s_waitcnt_vscnt null, 0x0
	s_barrier
	buffer_gl0_inv
	v_cmpx_eq_u32_e32 31, v194
	s_cbranch_execz .LBB87_287
; %bb.281:
	ds_store_2addr_b64 v195, v[48:49], v[50:51] offset1:1
	ds_store_2addr_b64 v196, v[44:45], v[46:47] offset0:64 offset1:65
	ds_store_2addr_b64 v196, v[40:41], v[42:43] offset0:66 offset1:67
	;; [unrolled: 1-line block ×12, first 2 shown]
	ds_load_2addr_b64 v[176:179], v195 offset1:1
	s_waitcnt lgkmcnt(0)
	v_cmp_neq_f64_e32 vcc_lo, 0, v[176:177]
	v_cmp_neq_f64_e64 s3, 0, v[178:179]
	s_delay_alu instid0(VALU_DEP_1) | instskip(NEXT) | instid1(SALU_CYCLE_1)
	s_or_b32 s3, vcc_lo, s3
	s_and_b32 exec_lo, exec_lo, s3
	s_cbranch_execz .LBB87_287
; %bb.282:
	v_cmp_gt_f64_e32 vcc_lo, 0, v[176:177]
	v_xor_b32_e32 v180, 0x80000000, v177
	v_xor_b32_e32 v182, 0x80000000, v179
	s_mov_b32 s3, exec_lo
                                        ; implicit-def: $vgpr184_vgpr185
	s_delay_alu instid0(VALU_DEP_2) | instskip(SKIP_4) | instid1(VALU_DEP_1)
	v_cndmask_b32_e32 v181, v177, v180, vcc_lo
	v_cndmask_b32_e32 v180, v176, v176, vcc_lo
	v_cmp_gt_f64_e32 vcc_lo, 0, v[178:179]
	v_cndmask_b32_e32 v183, v179, v182, vcc_lo
	v_cndmask_b32_e32 v182, v178, v178, vcc_lo
	v_cmpx_ngt_f64_e32 v[180:181], v[182:183]
	s_xor_b32 s3, exec_lo, s3
                                        ; implicit-def: $vgpr180_vgpr181_vgpr182_vgpr183
	s_cbranch_execz .LBB87_284
; %bb.283:
	v_div_scale_f64 v[180:181], null, v[178:179], v[178:179], v[176:177]
	v_div_scale_f64 v[186:187], vcc_lo, v[176:177], v[178:179], v[176:177]
	s_delay_alu instid0(VALU_DEP_2) | instskip(SKIP_2) | instid1(VALU_DEP_1)
	v_rcp_f64_e32 v[182:183], v[180:181]
	s_waitcnt_depctr 0xfff
	v_fma_f64 v[184:185], -v[180:181], v[182:183], 1.0
	v_fma_f64 v[182:183], v[182:183], v[184:185], v[182:183]
	s_delay_alu instid0(VALU_DEP_1) | instskip(NEXT) | instid1(VALU_DEP_1)
	v_fma_f64 v[184:185], -v[180:181], v[182:183], 1.0
	v_fma_f64 v[182:183], v[182:183], v[184:185], v[182:183]
	s_delay_alu instid0(VALU_DEP_1) | instskip(NEXT) | instid1(VALU_DEP_1)
	v_mul_f64 v[184:185], v[186:187], v[182:183]
	v_fma_f64 v[180:181], -v[180:181], v[184:185], v[186:187]
	s_delay_alu instid0(VALU_DEP_1) | instskip(NEXT) | instid1(VALU_DEP_1)
	v_div_fmas_f64 v[180:181], v[180:181], v[182:183], v[184:185]
	v_div_fixup_f64 v[180:181], v[180:181], v[178:179], v[176:177]
	s_delay_alu instid0(VALU_DEP_1) | instskip(NEXT) | instid1(VALU_DEP_1)
	v_fma_f64 v[176:177], v[176:177], v[180:181], v[178:179]
	v_div_scale_f64 v[178:179], null, v[176:177], v[176:177], 1.0
	s_delay_alu instid0(VALU_DEP_1) | instskip(SKIP_2) | instid1(VALU_DEP_1)
	v_rcp_f64_e32 v[182:183], v[178:179]
	s_waitcnt_depctr 0xfff
	v_fma_f64 v[184:185], -v[178:179], v[182:183], 1.0
	v_fma_f64 v[182:183], v[182:183], v[184:185], v[182:183]
	s_delay_alu instid0(VALU_DEP_1) | instskip(NEXT) | instid1(VALU_DEP_1)
	v_fma_f64 v[184:185], -v[178:179], v[182:183], 1.0
	v_fma_f64 v[182:183], v[182:183], v[184:185], v[182:183]
	v_div_scale_f64 v[184:185], vcc_lo, 1.0, v[176:177], 1.0
	s_delay_alu instid0(VALU_DEP_1) | instskip(NEXT) | instid1(VALU_DEP_1)
	v_mul_f64 v[186:187], v[184:185], v[182:183]
	v_fma_f64 v[178:179], -v[178:179], v[186:187], v[184:185]
	s_delay_alu instid0(VALU_DEP_1) | instskip(NEXT) | instid1(VALU_DEP_1)
	v_div_fmas_f64 v[178:179], v[178:179], v[182:183], v[186:187]
	v_div_fixup_f64 v[182:183], v[178:179], v[176:177], 1.0
                                        ; implicit-def: $vgpr176_vgpr177
	s_delay_alu instid0(VALU_DEP_1)
	v_mul_f64 v[184:185], v[180:181], v[182:183]
	v_xor_b32_e32 v183, 0x80000000, v183
.LBB87_284:
	s_and_not1_saveexec_b32 s3, s3
	s_cbranch_execz .LBB87_286
; %bb.285:
	v_div_scale_f64 v[180:181], null, v[176:177], v[176:177], v[178:179]
	v_div_scale_f64 v[186:187], vcc_lo, v[178:179], v[176:177], v[178:179]
	s_delay_alu instid0(VALU_DEP_2) | instskip(SKIP_2) | instid1(VALU_DEP_1)
	v_rcp_f64_e32 v[182:183], v[180:181]
	s_waitcnt_depctr 0xfff
	v_fma_f64 v[184:185], -v[180:181], v[182:183], 1.0
	v_fma_f64 v[182:183], v[182:183], v[184:185], v[182:183]
	s_delay_alu instid0(VALU_DEP_1) | instskip(NEXT) | instid1(VALU_DEP_1)
	v_fma_f64 v[184:185], -v[180:181], v[182:183], 1.0
	v_fma_f64 v[182:183], v[182:183], v[184:185], v[182:183]
	s_delay_alu instid0(VALU_DEP_1) | instskip(NEXT) | instid1(VALU_DEP_1)
	v_mul_f64 v[184:185], v[186:187], v[182:183]
	v_fma_f64 v[180:181], -v[180:181], v[184:185], v[186:187]
	s_delay_alu instid0(VALU_DEP_1) | instskip(NEXT) | instid1(VALU_DEP_1)
	v_div_fmas_f64 v[180:181], v[180:181], v[182:183], v[184:185]
	v_div_fixup_f64 v[180:181], v[180:181], v[176:177], v[178:179]
	s_delay_alu instid0(VALU_DEP_1) | instskip(NEXT) | instid1(VALU_DEP_1)
	v_fma_f64 v[176:177], v[178:179], v[180:181], v[176:177]
	v_div_scale_f64 v[178:179], null, v[176:177], v[176:177], 1.0
	s_delay_alu instid0(VALU_DEP_1) | instskip(SKIP_2) | instid1(VALU_DEP_1)
	v_rcp_f64_e32 v[182:183], v[178:179]
	s_waitcnt_depctr 0xfff
	v_fma_f64 v[184:185], -v[178:179], v[182:183], 1.0
	v_fma_f64 v[182:183], v[182:183], v[184:185], v[182:183]
	s_delay_alu instid0(VALU_DEP_1) | instskip(NEXT) | instid1(VALU_DEP_1)
	v_fma_f64 v[184:185], -v[178:179], v[182:183], 1.0
	v_fma_f64 v[182:183], v[182:183], v[184:185], v[182:183]
	v_div_scale_f64 v[184:185], vcc_lo, 1.0, v[176:177], 1.0
	s_delay_alu instid0(VALU_DEP_1) | instskip(NEXT) | instid1(VALU_DEP_1)
	v_mul_f64 v[186:187], v[184:185], v[182:183]
	v_fma_f64 v[178:179], -v[178:179], v[186:187], v[184:185]
	s_delay_alu instid0(VALU_DEP_1) | instskip(NEXT) | instid1(VALU_DEP_1)
	v_div_fmas_f64 v[178:179], v[178:179], v[182:183], v[186:187]
	v_div_fixup_f64 v[184:185], v[178:179], v[176:177], 1.0
	s_delay_alu instid0(VALU_DEP_1)
	v_mul_f64 v[182:183], v[180:181], -v[184:185]
.LBB87_286:
	s_or_b32 exec_lo, exec_lo, s3
	ds_store_2addr_b64 v195, v[184:185], v[182:183] offset1:1
.LBB87_287:
	s_or_b32 exec_lo, exec_lo, s4
	s_waitcnt lgkmcnt(0)
	s_barrier
	buffer_gl0_inv
	ds_load_2addr_b64 v[176:179], v195 offset1:1
	s_mov_b32 s3, exec_lo
	s_waitcnt lgkmcnt(0)
	scratch_store_b128 off, v[176:179], off offset:728 ; 16-byte Folded Spill
	v_cmpx_lt_u32_e32 31, v194
	s_cbranch_execz .LBB87_289
; %bb.288:
	scratch_load_b128 v[182:185], off, off offset:728 ; 16-byte Folded Reload
	s_waitcnt vmcnt(0)
	v_mul_f64 v[176:177], v[182:183], v[50:51]
	v_mul_f64 v[50:51], v[184:185], v[50:51]
	s_delay_alu instid0(VALU_DEP_2) | instskip(SKIP_4) | instid1(VALU_DEP_1)
	v_fma_f64 v[180:181], v[184:185], v[48:49], v[176:177]
	ds_load_2addr_b64 v[176:179], v196 offset0:64 offset1:65
	v_fma_f64 v[48:49], v[182:183], v[48:49], -v[50:51]
	s_waitcnt lgkmcnt(0)
	v_mul_f64 v[50:51], v[178:179], v[180:181]
	v_fma_f64 v[50:51], v[176:177], v[48:49], -v[50:51]
	v_mul_f64 v[176:177], v[176:177], v[180:181]
	s_delay_alu instid0(VALU_DEP_2) | instskip(NEXT) | instid1(VALU_DEP_2)
	v_add_f64 v[44:45], v[44:45], -v[50:51]
	v_fma_f64 v[176:177], v[178:179], v[48:49], v[176:177]
	s_delay_alu instid0(VALU_DEP_1) | instskip(SKIP_3) | instid1(VALU_DEP_1)
	v_add_f64 v[46:47], v[46:47], -v[176:177]
	ds_load_2addr_b64 v[176:179], v196 offset0:66 offset1:67
	s_waitcnt lgkmcnt(0)
	v_mul_f64 v[50:51], v[178:179], v[180:181]
	v_fma_f64 v[50:51], v[176:177], v[48:49], -v[50:51]
	v_mul_f64 v[176:177], v[176:177], v[180:181]
	s_delay_alu instid0(VALU_DEP_2) | instskip(NEXT) | instid1(VALU_DEP_2)
	v_add_f64 v[40:41], v[40:41], -v[50:51]
	v_fma_f64 v[176:177], v[178:179], v[48:49], v[176:177]
	s_delay_alu instid0(VALU_DEP_1) | instskip(SKIP_3) | instid1(VALU_DEP_1)
	v_add_f64 v[42:43], v[42:43], -v[176:177]
	ds_load_2addr_b64 v[176:179], v196 offset0:68 offset1:69
	;; [unrolled: 10-line block ×11, first 2 shown]
	s_waitcnt lgkmcnt(0)
	v_mul_f64 v[50:51], v[178:179], v[180:181]
	v_fma_f64 v[50:51], v[176:177], v[48:49], -v[50:51]
	v_mul_f64 v[176:177], v[176:177], v[180:181]
	s_delay_alu instid0(VALU_DEP_2) | instskip(NEXT) | instid1(VALU_DEP_2)
	v_add_f64 v[0:1], v[0:1], -v[50:51]
	v_fma_f64 v[176:177], v[178:179], v[48:49], v[176:177]
	v_dual_mov_b32 v50, v180 :: v_dual_mov_b32 v51, v181
	s_delay_alu instid0(VALU_DEP_2)
	v_add_f64 v[2:3], v[2:3], -v[176:177]
.LBB87_289:
	s_or_b32 exec_lo, exec_lo, s3
	s_delay_alu instid0(SALU_CYCLE_1)
	s_mov_b32 s4, exec_lo
	s_waitcnt_vscnt null, 0x0
	s_barrier
	buffer_gl0_inv
	v_cmpx_eq_u32_e32 32, v194
	s_cbranch_execz .LBB87_296
; %bb.290:
	ds_store_2addr_b64 v195, v[44:45], v[46:47] offset1:1
	ds_store_2addr_b64 v196, v[40:41], v[42:43] offset0:66 offset1:67
	ds_store_2addr_b64 v196, v[36:37], v[38:39] offset0:68 offset1:69
	;; [unrolled: 1-line block ×11, first 2 shown]
	ds_load_2addr_b64 v[176:179], v195 offset1:1
	s_waitcnt lgkmcnt(0)
	v_cmp_neq_f64_e32 vcc_lo, 0, v[176:177]
	v_cmp_neq_f64_e64 s3, 0, v[178:179]
	s_delay_alu instid0(VALU_DEP_1) | instskip(NEXT) | instid1(SALU_CYCLE_1)
	s_or_b32 s3, vcc_lo, s3
	s_and_b32 exec_lo, exec_lo, s3
	s_cbranch_execz .LBB87_296
; %bb.291:
	v_cmp_gt_f64_e32 vcc_lo, 0, v[176:177]
	v_xor_b32_e32 v180, 0x80000000, v177
	v_xor_b32_e32 v182, 0x80000000, v179
	s_mov_b32 s3, exec_lo
                                        ; implicit-def: $vgpr184_vgpr185
	s_delay_alu instid0(VALU_DEP_2) | instskip(SKIP_4) | instid1(VALU_DEP_1)
	v_cndmask_b32_e32 v181, v177, v180, vcc_lo
	v_cndmask_b32_e32 v180, v176, v176, vcc_lo
	v_cmp_gt_f64_e32 vcc_lo, 0, v[178:179]
	v_cndmask_b32_e32 v183, v179, v182, vcc_lo
	v_cndmask_b32_e32 v182, v178, v178, vcc_lo
	v_cmpx_ngt_f64_e32 v[180:181], v[182:183]
	s_xor_b32 s3, exec_lo, s3
                                        ; implicit-def: $vgpr180_vgpr181_vgpr182_vgpr183
	s_cbranch_execz .LBB87_293
; %bb.292:
	v_div_scale_f64 v[180:181], null, v[178:179], v[178:179], v[176:177]
	v_div_scale_f64 v[186:187], vcc_lo, v[176:177], v[178:179], v[176:177]
	s_delay_alu instid0(VALU_DEP_2) | instskip(SKIP_2) | instid1(VALU_DEP_1)
	v_rcp_f64_e32 v[182:183], v[180:181]
	s_waitcnt_depctr 0xfff
	v_fma_f64 v[184:185], -v[180:181], v[182:183], 1.0
	v_fma_f64 v[182:183], v[182:183], v[184:185], v[182:183]
	s_delay_alu instid0(VALU_DEP_1) | instskip(NEXT) | instid1(VALU_DEP_1)
	v_fma_f64 v[184:185], -v[180:181], v[182:183], 1.0
	v_fma_f64 v[182:183], v[182:183], v[184:185], v[182:183]
	s_delay_alu instid0(VALU_DEP_1) | instskip(NEXT) | instid1(VALU_DEP_1)
	v_mul_f64 v[184:185], v[186:187], v[182:183]
	v_fma_f64 v[180:181], -v[180:181], v[184:185], v[186:187]
	s_delay_alu instid0(VALU_DEP_1) | instskip(NEXT) | instid1(VALU_DEP_1)
	v_div_fmas_f64 v[180:181], v[180:181], v[182:183], v[184:185]
	v_div_fixup_f64 v[180:181], v[180:181], v[178:179], v[176:177]
	s_delay_alu instid0(VALU_DEP_1) | instskip(NEXT) | instid1(VALU_DEP_1)
	v_fma_f64 v[176:177], v[176:177], v[180:181], v[178:179]
	v_div_scale_f64 v[178:179], null, v[176:177], v[176:177], 1.0
	s_delay_alu instid0(VALU_DEP_1) | instskip(SKIP_2) | instid1(VALU_DEP_1)
	v_rcp_f64_e32 v[182:183], v[178:179]
	s_waitcnt_depctr 0xfff
	v_fma_f64 v[184:185], -v[178:179], v[182:183], 1.0
	v_fma_f64 v[182:183], v[182:183], v[184:185], v[182:183]
	s_delay_alu instid0(VALU_DEP_1) | instskip(NEXT) | instid1(VALU_DEP_1)
	v_fma_f64 v[184:185], -v[178:179], v[182:183], 1.0
	v_fma_f64 v[182:183], v[182:183], v[184:185], v[182:183]
	v_div_scale_f64 v[184:185], vcc_lo, 1.0, v[176:177], 1.0
	s_delay_alu instid0(VALU_DEP_1) | instskip(NEXT) | instid1(VALU_DEP_1)
	v_mul_f64 v[186:187], v[184:185], v[182:183]
	v_fma_f64 v[178:179], -v[178:179], v[186:187], v[184:185]
	s_delay_alu instid0(VALU_DEP_1) | instskip(NEXT) | instid1(VALU_DEP_1)
	v_div_fmas_f64 v[178:179], v[178:179], v[182:183], v[186:187]
	v_div_fixup_f64 v[182:183], v[178:179], v[176:177], 1.0
                                        ; implicit-def: $vgpr176_vgpr177
	s_delay_alu instid0(VALU_DEP_1)
	v_mul_f64 v[184:185], v[180:181], v[182:183]
	v_xor_b32_e32 v183, 0x80000000, v183
.LBB87_293:
	s_and_not1_saveexec_b32 s3, s3
	s_cbranch_execz .LBB87_295
; %bb.294:
	v_div_scale_f64 v[180:181], null, v[176:177], v[176:177], v[178:179]
	v_div_scale_f64 v[186:187], vcc_lo, v[178:179], v[176:177], v[178:179]
	s_delay_alu instid0(VALU_DEP_2) | instskip(SKIP_2) | instid1(VALU_DEP_1)
	v_rcp_f64_e32 v[182:183], v[180:181]
	s_waitcnt_depctr 0xfff
	v_fma_f64 v[184:185], -v[180:181], v[182:183], 1.0
	v_fma_f64 v[182:183], v[182:183], v[184:185], v[182:183]
	s_delay_alu instid0(VALU_DEP_1) | instskip(NEXT) | instid1(VALU_DEP_1)
	v_fma_f64 v[184:185], -v[180:181], v[182:183], 1.0
	v_fma_f64 v[182:183], v[182:183], v[184:185], v[182:183]
	s_delay_alu instid0(VALU_DEP_1) | instskip(NEXT) | instid1(VALU_DEP_1)
	v_mul_f64 v[184:185], v[186:187], v[182:183]
	v_fma_f64 v[180:181], -v[180:181], v[184:185], v[186:187]
	s_delay_alu instid0(VALU_DEP_1) | instskip(NEXT) | instid1(VALU_DEP_1)
	v_div_fmas_f64 v[180:181], v[180:181], v[182:183], v[184:185]
	v_div_fixup_f64 v[180:181], v[180:181], v[176:177], v[178:179]
	s_delay_alu instid0(VALU_DEP_1) | instskip(NEXT) | instid1(VALU_DEP_1)
	v_fma_f64 v[176:177], v[178:179], v[180:181], v[176:177]
	v_div_scale_f64 v[178:179], null, v[176:177], v[176:177], 1.0
	s_delay_alu instid0(VALU_DEP_1) | instskip(SKIP_2) | instid1(VALU_DEP_1)
	v_rcp_f64_e32 v[182:183], v[178:179]
	s_waitcnt_depctr 0xfff
	v_fma_f64 v[184:185], -v[178:179], v[182:183], 1.0
	v_fma_f64 v[182:183], v[182:183], v[184:185], v[182:183]
	s_delay_alu instid0(VALU_DEP_1) | instskip(NEXT) | instid1(VALU_DEP_1)
	v_fma_f64 v[184:185], -v[178:179], v[182:183], 1.0
	v_fma_f64 v[182:183], v[182:183], v[184:185], v[182:183]
	v_div_scale_f64 v[184:185], vcc_lo, 1.0, v[176:177], 1.0
	s_delay_alu instid0(VALU_DEP_1) | instskip(NEXT) | instid1(VALU_DEP_1)
	v_mul_f64 v[186:187], v[184:185], v[182:183]
	v_fma_f64 v[178:179], -v[178:179], v[186:187], v[184:185]
	s_delay_alu instid0(VALU_DEP_1) | instskip(NEXT) | instid1(VALU_DEP_1)
	v_div_fmas_f64 v[178:179], v[178:179], v[182:183], v[186:187]
	v_div_fixup_f64 v[184:185], v[178:179], v[176:177], 1.0
	s_delay_alu instid0(VALU_DEP_1)
	v_mul_f64 v[182:183], v[180:181], -v[184:185]
.LBB87_295:
	s_or_b32 exec_lo, exec_lo, s3
	ds_store_2addr_b64 v195, v[184:185], v[182:183] offset1:1
.LBB87_296:
	s_or_b32 exec_lo, exec_lo, s4
	s_waitcnt lgkmcnt(0)
	s_barrier
	buffer_gl0_inv
	ds_load_2addr_b64 v[176:179], v195 offset1:1
	s_mov_b32 s3, exec_lo
	s_waitcnt lgkmcnt(0)
	scratch_store_b128 off, v[176:179], off offset:744 ; 16-byte Folded Spill
	v_cmpx_lt_u32_e32 32, v194
	s_cbranch_execz .LBB87_298
; %bb.297:
	scratch_load_b128 v[182:185], off, off offset:744 ; 16-byte Folded Reload
	s_waitcnt vmcnt(0)
	v_mul_f64 v[176:177], v[182:183], v[46:47]
	v_mul_f64 v[46:47], v[184:185], v[46:47]
	s_delay_alu instid0(VALU_DEP_2) | instskip(SKIP_4) | instid1(VALU_DEP_1)
	v_fma_f64 v[180:181], v[184:185], v[44:45], v[176:177]
	ds_load_2addr_b64 v[176:179], v196 offset0:66 offset1:67
	v_fma_f64 v[44:45], v[182:183], v[44:45], -v[46:47]
	s_waitcnt lgkmcnt(0)
	v_mul_f64 v[46:47], v[178:179], v[180:181]
	v_fma_f64 v[46:47], v[176:177], v[44:45], -v[46:47]
	v_mul_f64 v[176:177], v[176:177], v[180:181]
	s_delay_alu instid0(VALU_DEP_2) | instskip(NEXT) | instid1(VALU_DEP_2)
	v_add_f64 v[40:41], v[40:41], -v[46:47]
	v_fma_f64 v[176:177], v[178:179], v[44:45], v[176:177]
	s_delay_alu instid0(VALU_DEP_1) | instskip(SKIP_3) | instid1(VALU_DEP_1)
	v_add_f64 v[42:43], v[42:43], -v[176:177]
	ds_load_2addr_b64 v[176:179], v196 offset0:68 offset1:69
	s_waitcnt lgkmcnt(0)
	v_mul_f64 v[46:47], v[178:179], v[180:181]
	v_fma_f64 v[46:47], v[176:177], v[44:45], -v[46:47]
	v_mul_f64 v[176:177], v[176:177], v[180:181]
	s_delay_alu instid0(VALU_DEP_2) | instskip(NEXT) | instid1(VALU_DEP_2)
	v_add_f64 v[36:37], v[36:37], -v[46:47]
	v_fma_f64 v[176:177], v[178:179], v[44:45], v[176:177]
	s_delay_alu instid0(VALU_DEP_1) | instskip(SKIP_3) | instid1(VALU_DEP_1)
	v_add_f64 v[38:39], v[38:39], -v[176:177]
	ds_load_2addr_b64 v[176:179], v196 offset0:70 offset1:71
	;; [unrolled: 10-line block ×10, first 2 shown]
	s_waitcnt lgkmcnt(0)
	v_mul_f64 v[46:47], v[178:179], v[180:181]
	v_fma_f64 v[46:47], v[176:177], v[44:45], -v[46:47]
	v_mul_f64 v[176:177], v[176:177], v[180:181]
	s_delay_alu instid0(VALU_DEP_2) | instskip(NEXT) | instid1(VALU_DEP_2)
	v_add_f64 v[0:1], v[0:1], -v[46:47]
	v_fma_f64 v[176:177], v[178:179], v[44:45], v[176:177]
	v_dual_mov_b32 v46, v180 :: v_dual_mov_b32 v47, v181
	s_delay_alu instid0(VALU_DEP_2)
	v_add_f64 v[2:3], v[2:3], -v[176:177]
.LBB87_298:
	s_or_b32 exec_lo, exec_lo, s3
	s_delay_alu instid0(SALU_CYCLE_1)
	s_mov_b32 s4, exec_lo
	s_waitcnt_vscnt null, 0x0
	s_barrier
	buffer_gl0_inv
	v_cmpx_eq_u32_e32 33, v194
	s_cbranch_execz .LBB87_305
; %bb.299:
	ds_store_2addr_b64 v195, v[40:41], v[42:43] offset1:1
	ds_store_2addr_b64 v196, v[36:37], v[38:39] offset0:68 offset1:69
	ds_store_2addr_b64 v196, v[32:33], v[34:35] offset0:70 offset1:71
	;; [unrolled: 1-line block ×10, first 2 shown]
	ds_load_2addr_b64 v[176:179], v195 offset1:1
	s_waitcnt lgkmcnt(0)
	v_cmp_neq_f64_e32 vcc_lo, 0, v[176:177]
	v_cmp_neq_f64_e64 s3, 0, v[178:179]
	s_delay_alu instid0(VALU_DEP_1) | instskip(NEXT) | instid1(SALU_CYCLE_1)
	s_or_b32 s3, vcc_lo, s3
	s_and_b32 exec_lo, exec_lo, s3
	s_cbranch_execz .LBB87_305
; %bb.300:
	v_cmp_gt_f64_e32 vcc_lo, 0, v[176:177]
	v_xor_b32_e32 v180, 0x80000000, v177
	v_xor_b32_e32 v182, 0x80000000, v179
	s_mov_b32 s3, exec_lo
                                        ; implicit-def: $vgpr184_vgpr185
	s_delay_alu instid0(VALU_DEP_2) | instskip(SKIP_4) | instid1(VALU_DEP_1)
	v_cndmask_b32_e32 v181, v177, v180, vcc_lo
	v_cndmask_b32_e32 v180, v176, v176, vcc_lo
	v_cmp_gt_f64_e32 vcc_lo, 0, v[178:179]
	v_cndmask_b32_e32 v183, v179, v182, vcc_lo
	v_cndmask_b32_e32 v182, v178, v178, vcc_lo
	v_cmpx_ngt_f64_e32 v[180:181], v[182:183]
	s_xor_b32 s3, exec_lo, s3
                                        ; implicit-def: $vgpr180_vgpr181_vgpr182_vgpr183
	s_cbranch_execz .LBB87_302
; %bb.301:
	v_div_scale_f64 v[180:181], null, v[178:179], v[178:179], v[176:177]
	v_div_scale_f64 v[186:187], vcc_lo, v[176:177], v[178:179], v[176:177]
	s_delay_alu instid0(VALU_DEP_2) | instskip(SKIP_2) | instid1(VALU_DEP_1)
	v_rcp_f64_e32 v[182:183], v[180:181]
	s_waitcnt_depctr 0xfff
	v_fma_f64 v[184:185], -v[180:181], v[182:183], 1.0
	v_fma_f64 v[182:183], v[182:183], v[184:185], v[182:183]
	s_delay_alu instid0(VALU_DEP_1) | instskip(NEXT) | instid1(VALU_DEP_1)
	v_fma_f64 v[184:185], -v[180:181], v[182:183], 1.0
	v_fma_f64 v[182:183], v[182:183], v[184:185], v[182:183]
	s_delay_alu instid0(VALU_DEP_1) | instskip(NEXT) | instid1(VALU_DEP_1)
	v_mul_f64 v[184:185], v[186:187], v[182:183]
	v_fma_f64 v[180:181], -v[180:181], v[184:185], v[186:187]
	s_delay_alu instid0(VALU_DEP_1) | instskip(NEXT) | instid1(VALU_DEP_1)
	v_div_fmas_f64 v[180:181], v[180:181], v[182:183], v[184:185]
	v_div_fixup_f64 v[180:181], v[180:181], v[178:179], v[176:177]
	s_delay_alu instid0(VALU_DEP_1) | instskip(NEXT) | instid1(VALU_DEP_1)
	v_fma_f64 v[176:177], v[176:177], v[180:181], v[178:179]
	v_div_scale_f64 v[178:179], null, v[176:177], v[176:177], 1.0
	s_delay_alu instid0(VALU_DEP_1) | instskip(SKIP_2) | instid1(VALU_DEP_1)
	v_rcp_f64_e32 v[182:183], v[178:179]
	s_waitcnt_depctr 0xfff
	v_fma_f64 v[184:185], -v[178:179], v[182:183], 1.0
	v_fma_f64 v[182:183], v[182:183], v[184:185], v[182:183]
	s_delay_alu instid0(VALU_DEP_1) | instskip(NEXT) | instid1(VALU_DEP_1)
	v_fma_f64 v[184:185], -v[178:179], v[182:183], 1.0
	v_fma_f64 v[182:183], v[182:183], v[184:185], v[182:183]
	v_div_scale_f64 v[184:185], vcc_lo, 1.0, v[176:177], 1.0
	s_delay_alu instid0(VALU_DEP_1) | instskip(NEXT) | instid1(VALU_DEP_1)
	v_mul_f64 v[186:187], v[184:185], v[182:183]
	v_fma_f64 v[178:179], -v[178:179], v[186:187], v[184:185]
	s_delay_alu instid0(VALU_DEP_1) | instskip(NEXT) | instid1(VALU_DEP_1)
	v_div_fmas_f64 v[178:179], v[178:179], v[182:183], v[186:187]
	v_div_fixup_f64 v[182:183], v[178:179], v[176:177], 1.0
                                        ; implicit-def: $vgpr176_vgpr177
	s_delay_alu instid0(VALU_DEP_1)
	v_mul_f64 v[184:185], v[180:181], v[182:183]
	v_xor_b32_e32 v183, 0x80000000, v183
.LBB87_302:
	s_and_not1_saveexec_b32 s3, s3
	s_cbranch_execz .LBB87_304
; %bb.303:
	v_div_scale_f64 v[180:181], null, v[176:177], v[176:177], v[178:179]
	v_div_scale_f64 v[186:187], vcc_lo, v[178:179], v[176:177], v[178:179]
	s_delay_alu instid0(VALU_DEP_2) | instskip(SKIP_2) | instid1(VALU_DEP_1)
	v_rcp_f64_e32 v[182:183], v[180:181]
	s_waitcnt_depctr 0xfff
	v_fma_f64 v[184:185], -v[180:181], v[182:183], 1.0
	v_fma_f64 v[182:183], v[182:183], v[184:185], v[182:183]
	s_delay_alu instid0(VALU_DEP_1) | instskip(NEXT) | instid1(VALU_DEP_1)
	v_fma_f64 v[184:185], -v[180:181], v[182:183], 1.0
	v_fma_f64 v[182:183], v[182:183], v[184:185], v[182:183]
	s_delay_alu instid0(VALU_DEP_1) | instskip(NEXT) | instid1(VALU_DEP_1)
	v_mul_f64 v[184:185], v[186:187], v[182:183]
	v_fma_f64 v[180:181], -v[180:181], v[184:185], v[186:187]
	s_delay_alu instid0(VALU_DEP_1) | instskip(NEXT) | instid1(VALU_DEP_1)
	v_div_fmas_f64 v[180:181], v[180:181], v[182:183], v[184:185]
	v_div_fixup_f64 v[180:181], v[180:181], v[176:177], v[178:179]
	s_delay_alu instid0(VALU_DEP_1) | instskip(NEXT) | instid1(VALU_DEP_1)
	v_fma_f64 v[176:177], v[178:179], v[180:181], v[176:177]
	v_div_scale_f64 v[178:179], null, v[176:177], v[176:177], 1.0
	s_delay_alu instid0(VALU_DEP_1) | instskip(SKIP_2) | instid1(VALU_DEP_1)
	v_rcp_f64_e32 v[182:183], v[178:179]
	s_waitcnt_depctr 0xfff
	v_fma_f64 v[184:185], -v[178:179], v[182:183], 1.0
	v_fma_f64 v[182:183], v[182:183], v[184:185], v[182:183]
	s_delay_alu instid0(VALU_DEP_1) | instskip(NEXT) | instid1(VALU_DEP_1)
	v_fma_f64 v[184:185], -v[178:179], v[182:183], 1.0
	v_fma_f64 v[182:183], v[182:183], v[184:185], v[182:183]
	v_div_scale_f64 v[184:185], vcc_lo, 1.0, v[176:177], 1.0
	s_delay_alu instid0(VALU_DEP_1) | instskip(NEXT) | instid1(VALU_DEP_1)
	v_mul_f64 v[186:187], v[184:185], v[182:183]
	v_fma_f64 v[178:179], -v[178:179], v[186:187], v[184:185]
	s_delay_alu instid0(VALU_DEP_1) | instskip(NEXT) | instid1(VALU_DEP_1)
	v_div_fmas_f64 v[178:179], v[178:179], v[182:183], v[186:187]
	v_div_fixup_f64 v[184:185], v[178:179], v[176:177], 1.0
	s_delay_alu instid0(VALU_DEP_1)
	v_mul_f64 v[182:183], v[180:181], -v[184:185]
.LBB87_304:
	s_or_b32 exec_lo, exec_lo, s3
	ds_store_2addr_b64 v195, v[184:185], v[182:183] offset1:1
.LBB87_305:
	s_or_b32 exec_lo, exec_lo, s4
	s_waitcnt lgkmcnt(0)
	s_barrier
	buffer_gl0_inv
	ds_load_2addr_b64 v[176:179], v195 offset1:1
	s_mov_b32 s3, exec_lo
	s_waitcnt lgkmcnt(0)
	scratch_store_b128 off, v[176:179], off offset:760 ; 16-byte Folded Spill
	v_cmpx_lt_u32_e32 33, v194
	s_cbranch_execz .LBB87_307
; %bb.306:
	scratch_load_b128 v[182:185], off, off offset:760 ; 16-byte Folded Reload
	s_waitcnt vmcnt(0)
	v_mul_f64 v[176:177], v[182:183], v[42:43]
	v_mul_f64 v[42:43], v[184:185], v[42:43]
	s_delay_alu instid0(VALU_DEP_2) | instskip(SKIP_4) | instid1(VALU_DEP_1)
	v_fma_f64 v[180:181], v[184:185], v[40:41], v[176:177]
	ds_load_2addr_b64 v[176:179], v196 offset0:68 offset1:69
	v_fma_f64 v[40:41], v[182:183], v[40:41], -v[42:43]
	s_waitcnt lgkmcnt(0)
	v_mul_f64 v[42:43], v[178:179], v[180:181]
	v_fma_f64 v[42:43], v[176:177], v[40:41], -v[42:43]
	v_mul_f64 v[176:177], v[176:177], v[180:181]
	s_delay_alu instid0(VALU_DEP_2) | instskip(NEXT) | instid1(VALU_DEP_2)
	v_add_f64 v[36:37], v[36:37], -v[42:43]
	v_fma_f64 v[176:177], v[178:179], v[40:41], v[176:177]
	s_delay_alu instid0(VALU_DEP_1) | instskip(SKIP_3) | instid1(VALU_DEP_1)
	v_add_f64 v[38:39], v[38:39], -v[176:177]
	ds_load_2addr_b64 v[176:179], v196 offset0:70 offset1:71
	s_waitcnt lgkmcnt(0)
	v_mul_f64 v[42:43], v[178:179], v[180:181]
	v_fma_f64 v[42:43], v[176:177], v[40:41], -v[42:43]
	v_mul_f64 v[176:177], v[176:177], v[180:181]
	s_delay_alu instid0(VALU_DEP_2) | instskip(NEXT) | instid1(VALU_DEP_2)
	v_add_f64 v[32:33], v[32:33], -v[42:43]
	v_fma_f64 v[176:177], v[178:179], v[40:41], v[176:177]
	s_delay_alu instid0(VALU_DEP_1) | instskip(SKIP_3) | instid1(VALU_DEP_1)
	v_add_f64 v[34:35], v[34:35], -v[176:177]
	ds_load_2addr_b64 v[176:179], v196 offset0:72 offset1:73
	;; [unrolled: 10-line block ×9, first 2 shown]
	s_waitcnt lgkmcnt(0)
	v_mul_f64 v[42:43], v[178:179], v[180:181]
	v_fma_f64 v[42:43], v[176:177], v[40:41], -v[42:43]
	v_mul_f64 v[176:177], v[176:177], v[180:181]
	s_delay_alu instid0(VALU_DEP_2) | instskip(NEXT) | instid1(VALU_DEP_2)
	v_add_f64 v[0:1], v[0:1], -v[42:43]
	v_fma_f64 v[176:177], v[178:179], v[40:41], v[176:177]
	v_dual_mov_b32 v42, v180 :: v_dual_mov_b32 v43, v181
	s_delay_alu instid0(VALU_DEP_2)
	v_add_f64 v[2:3], v[2:3], -v[176:177]
.LBB87_307:
	s_or_b32 exec_lo, exec_lo, s3
	s_delay_alu instid0(SALU_CYCLE_1)
	s_mov_b32 s4, exec_lo
	s_waitcnt_vscnt null, 0x0
	s_barrier
	buffer_gl0_inv
	v_cmpx_eq_u32_e32 34, v194
	s_cbranch_execz .LBB87_314
; %bb.308:
	ds_store_2addr_b64 v195, v[36:37], v[38:39] offset1:1
	ds_store_2addr_b64 v196, v[32:33], v[34:35] offset0:70 offset1:71
	ds_store_2addr_b64 v196, v[28:29], v[30:31] offset0:72 offset1:73
	;; [unrolled: 1-line block ×9, first 2 shown]
	ds_load_2addr_b64 v[176:179], v195 offset1:1
	s_waitcnt lgkmcnt(0)
	v_cmp_neq_f64_e32 vcc_lo, 0, v[176:177]
	v_cmp_neq_f64_e64 s3, 0, v[178:179]
	s_delay_alu instid0(VALU_DEP_1) | instskip(NEXT) | instid1(SALU_CYCLE_1)
	s_or_b32 s3, vcc_lo, s3
	s_and_b32 exec_lo, exec_lo, s3
	s_cbranch_execz .LBB87_314
; %bb.309:
	v_cmp_gt_f64_e32 vcc_lo, 0, v[176:177]
	v_xor_b32_e32 v180, 0x80000000, v177
	v_xor_b32_e32 v182, 0x80000000, v179
	s_mov_b32 s3, exec_lo
                                        ; implicit-def: $vgpr184_vgpr185
	s_delay_alu instid0(VALU_DEP_2) | instskip(SKIP_4) | instid1(VALU_DEP_1)
	v_cndmask_b32_e32 v181, v177, v180, vcc_lo
	v_cndmask_b32_e32 v180, v176, v176, vcc_lo
	v_cmp_gt_f64_e32 vcc_lo, 0, v[178:179]
	v_cndmask_b32_e32 v183, v179, v182, vcc_lo
	v_cndmask_b32_e32 v182, v178, v178, vcc_lo
	v_cmpx_ngt_f64_e32 v[180:181], v[182:183]
	s_xor_b32 s3, exec_lo, s3
                                        ; implicit-def: $vgpr180_vgpr181_vgpr182_vgpr183
	s_cbranch_execz .LBB87_311
; %bb.310:
	v_div_scale_f64 v[180:181], null, v[178:179], v[178:179], v[176:177]
	v_div_scale_f64 v[186:187], vcc_lo, v[176:177], v[178:179], v[176:177]
	s_delay_alu instid0(VALU_DEP_2) | instskip(SKIP_2) | instid1(VALU_DEP_1)
	v_rcp_f64_e32 v[182:183], v[180:181]
	s_waitcnt_depctr 0xfff
	v_fma_f64 v[184:185], -v[180:181], v[182:183], 1.0
	v_fma_f64 v[182:183], v[182:183], v[184:185], v[182:183]
	s_delay_alu instid0(VALU_DEP_1) | instskip(NEXT) | instid1(VALU_DEP_1)
	v_fma_f64 v[184:185], -v[180:181], v[182:183], 1.0
	v_fma_f64 v[182:183], v[182:183], v[184:185], v[182:183]
	s_delay_alu instid0(VALU_DEP_1) | instskip(NEXT) | instid1(VALU_DEP_1)
	v_mul_f64 v[184:185], v[186:187], v[182:183]
	v_fma_f64 v[180:181], -v[180:181], v[184:185], v[186:187]
	s_delay_alu instid0(VALU_DEP_1) | instskip(NEXT) | instid1(VALU_DEP_1)
	v_div_fmas_f64 v[180:181], v[180:181], v[182:183], v[184:185]
	v_div_fixup_f64 v[180:181], v[180:181], v[178:179], v[176:177]
	s_delay_alu instid0(VALU_DEP_1) | instskip(NEXT) | instid1(VALU_DEP_1)
	v_fma_f64 v[176:177], v[176:177], v[180:181], v[178:179]
	v_div_scale_f64 v[178:179], null, v[176:177], v[176:177], 1.0
	s_delay_alu instid0(VALU_DEP_1) | instskip(SKIP_2) | instid1(VALU_DEP_1)
	v_rcp_f64_e32 v[182:183], v[178:179]
	s_waitcnt_depctr 0xfff
	v_fma_f64 v[184:185], -v[178:179], v[182:183], 1.0
	v_fma_f64 v[182:183], v[182:183], v[184:185], v[182:183]
	s_delay_alu instid0(VALU_DEP_1) | instskip(NEXT) | instid1(VALU_DEP_1)
	v_fma_f64 v[184:185], -v[178:179], v[182:183], 1.0
	v_fma_f64 v[182:183], v[182:183], v[184:185], v[182:183]
	v_div_scale_f64 v[184:185], vcc_lo, 1.0, v[176:177], 1.0
	s_delay_alu instid0(VALU_DEP_1) | instskip(NEXT) | instid1(VALU_DEP_1)
	v_mul_f64 v[186:187], v[184:185], v[182:183]
	v_fma_f64 v[178:179], -v[178:179], v[186:187], v[184:185]
	s_delay_alu instid0(VALU_DEP_1) | instskip(NEXT) | instid1(VALU_DEP_1)
	v_div_fmas_f64 v[178:179], v[178:179], v[182:183], v[186:187]
	v_div_fixup_f64 v[182:183], v[178:179], v[176:177], 1.0
                                        ; implicit-def: $vgpr176_vgpr177
	s_delay_alu instid0(VALU_DEP_1)
	v_mul_f64 v[184:185], v[180:181], v[182:183]
	v_xor_b32_e32 v183, 0x80000000, v183
.LBB87_311:
	s_and_not1_saveexec_b32 s3, s3
	s_cbranch_execz .LBB87_313
; %bb.312:
	v_div_scale_f64 v[180:181], null, v[176:177], v[176:177], v[178:179]
	v_div_scale_f64 v[186:187], vcc_lo, v[178:179], v[176:177], v[178:179]
	s_delay_alu instid0(VALU_DEP_2) | instskip(SKIP_2) | instid1(VALU_DEP_1)
	v_rcp_f64_e32 v[182:183], v[180:181]
	s_waitcnt_depctr 0xfff
	v_fma_f64 v[184:185], -v[180:181], v[182:183], 1.0
	v_fma_f64 v[182:183], v[182:183], v[184:185], v[182:183]
	s_delay_alu instid0(VALU_DEP_1) | instskip(NEXT) | instid1(VALU_DEP_1)
	v_fma_f64 v[184:185], -v[180:181], v[182:183], 1.0
	v_fma_f64 v[182:183], v[182:183], v[184:185], v[182:183]
	s_delay_alu instid0(VALU_DEP_1) | instskip(NEXT) | instid1(VALU_DEP_1)
	v_mul_f64 v[184:185], v[186:187], v[182:183]
	v_fma_f64 v[180:181], -v[180:181], v[184:185], v[186:187]
	s_delay_alu instid0(VALU_DEP_1) | instskip(NEXT) | instid1(VALU_DEP_1)
	v_div_fmas_f64 v[180:181], v[180:181], v[182:183], v[184:185]
	v_div_fixup_f64 v[180:181], v[180:181], v[176:177], v[178:179]
	s_delay_alu instid0(VALU_DEP_1) | instskip(NEXT) | instid1(VALU_DEP_1)
	v_fma_f64 v[176:177], v[178:179], v[180:181], v[176:177]
	v_div_scale_f64 v[178:179], null, v[176:177], v[176:177], 1.0
	s_delay_alu instid0(VALU_DEP_1) | instskip(SKIP_2) | instid1(VALU_DEP_1)
	v_rcp_f64_e32 v[182:183], v[178:179]
	s_waitcnt_depctr 0xfff
	v_fma_f64 v[184:185], -v[178:179], v[182:183], 1.0
	v_fma_f64 v[182:183], v[182:183], v[184:185], v[182:183]
	s_delay_alu instid0(VALU_DEP_1) | instskip(NEXT) | instid1(VALU_DEP_1)
	v_fma_f64 v[184:185], -v[178:179], v[182:183], 1.0
	v_fma_f64 v[182:183], v[182:183], v[184:185], v[182:183]
	v_div_scale_f64 v[184:185], vcc_lo, 1.0, v[176:177], 1.0
	s_delay_alu instid0(VALU_DEP_1) | instskip(NEXT) | instid1(VALU_DEP_1)
	v_mul_f64 v[186:187], v[184:185], v[182:183]
	v_fma_f64 v[178:179], -v[178:179], v[186:187], v[184:185]
	s_delay_alu instid0(VALU_DEP_1) | instskip(NEXT) | instid1(VALU_DEP_1)
	v_div_fmas_f64 v[178:179], v[178:179], v[182:183], v[186:187]
	v_div_fixup_f64 v[184:185], v[178:179], v[176:177], 1.0
	s_delay_alu instid0(VALU_DEP_1)
	v_mul_f64 v[182:183], v[180:181], -v[184:185]
.LBB87_313:
	s_or_b32 exec_lo, exec_lo, s3
	ds_store_2addr_b64 v195, v[184:185], v[182:183] offset1:1
.LBB87_314:
	s_or_b32 exec_lo, exec_lo, s4
	s_waitcnt lgkmcnt(0)
	s_barrier
	buffer_gl0_inv
	ds_load_2addr_b64 v[176:179], v195 offset1:1
	s_mov_b32 s3, exec_lo
	s_waitcnt lgkmcnt(0)
	scratch_store_b128 off, v[176:179], off offset:776 ; 16-byte Folded Spill
	v_cmpx_lt_u32_e32 34, v194
	s_cbranch_execz .LBB87_316
; %bb.315:
	scratch_load_b128 v[182:185], off, off offset:776 ; 16-byte Folded Reload
	s_waitcnt vmcnt(0)
	v_mul_f64 v[176:177], v[182:183], v[38:39]
	v_mul_f64 v[38:39], v[184:185], v[38:39]
	s_delay_alu instid0(VALU_DEP_2) | instskip(SKIP_4) | instid1(VALU_DEP_1)
	v_fma_f64 v[180:181], v[184:185], v[36:37], v[176:177]
	ds_load_2addr_b64 v[176:179], v196 offset0:70 offset1:71
	v_fma_f64 v[36:37], v[182:183], v[36:37], -v[38:39]
	s_waitcnt lgkmcnt(0)
	v_mul_f64 v[38:39], v[178:179], v[180:181]
	v_fma_f64 v[38:39], v[176:177], v[36:37], -v[38:39]
	v_mul_f64 v[176:177], v[176:177], v[180:181]
	s_delay_alu instid0(VALU_DEP_2) | instskip(NEXT) | instid1(VALU_DEP_2)
	v_add_f64 v[32:33], v[32:33], -v[38:39]
	v_fma_f64 v[176:177], v[178:179], v[36:37], v[176:177]
	s_delay_alu instid0(VALU_DEP_1) | instskip(SKIP_3) | instid1(VALU_DEP_1)
	v_add_f64 v[34:35], v[34:35], -v[176:177]
	ds_load_2addr_b64 v[176:179], v196 offset0:72 offset1:73
	s_waitcnt lgkmcnt(0)
	v_mul_f64 v[38:39], v[178:179], v[180:181]
	v_fma_f64 v[38:39], v[176:177], v[36:37], -v[38:39]
	v_mul_f64 v[176:177], v[176:177], v[180:181]
	s_delay_alu instid0(VALU_DEP_2) | instskip(NEXT) | instid1(VALU_DEP_2)
	v_add_f64 v[28:29], v[28:29], -v[38:39]
	v_fma_f64 v[176:177], v[178:179], v[36:37], v[176:177]
	s_delay_alu instid0(VALU_DEP_1) | instskip(SKIP_3) | instid1(VALU_DEP_1)
	v_add_f64 v[30:31], v[30:31], -v[176:177]
	ds_load_2addr_b64 v[176:179], v196 offset0:74 offset1:75
	;; [unrolled: 10-line block ×8, first 2 shown]
	s_waitcnt lgkmcnt(0)
	v_mul_f64 v[38:39], v[178:179], v[180:181]
	v_fma_f64 v[38:39], v[176:177], v[36:37], -v[38:39]
	v_mul_f64 v[176:177], v[176:177], v[180:181]
	s_delay_alu instid0(VALU_DEP_2) | instskip(NEXT) | instid1(VALU_DEP_2)
	v_add_f64 v[0:1], v[0:1], -v[38:39]
	v_fma_f64 v[176:177], v[178:179], v[36:37], v[176:177]
	v_dual_mov_b32 v38, v180 :: v_dual_mov_b32 v39, v181
	s_delay_alu instid0(VALU_DEP_2)
	v_add_f64 v[2:3], v[2:3], -v[176:177]
.LBB87_316:
	s_or_b32 exec_lo, exec_lo, s3
	s_delay_alu instid0(SALU_CYCLE_1)
	s_mov_b32 s4, exec_lo
	s_waitcnt_vscnt null, 0x0
	s_barrier
	buffer_gl0_inv
	v_cmpx_eq_u32_e32 35, v194
	s_cbranch_execz .LBB87_323
; %bb.317:
	ds_store_2addr_b64 v195, v[32:33], v[34:35] offset1:1
	ds_store_2addr_b64 v196, v[28:29], v[30:31] offset0:72 offset1:73
	ds_store_2addr_b64 v196, v[24:25], v[26:27] offset0:74 offset1:75
	;; [unrolled: 1-line block ×8, first 2 shown]
	ds_load_2addr_b64 v[176:179], v195 offset1:1
	s_waitcnt lgkmcnt(0)
	v_cmp_neq_f64_e32 vcc_lo, 0, v[176:177]
	v_cmp_neq_f64_e64 s3, 0, v[178:179]
	s_delay_alu instid0(VALU_DEP_1) | instskip(NEXT) | instid1(SALU_CYCLE_1)
	s_or_b32 s3, vcc_lo, s3
	s_and_b32 exec_lo, exec_lo, s3
	s_cbranch_execz .LBB87_323
; %bb.318:
	v_cmp_gt_f64_e32 vcc_lo, 0, v[176:177]
	v_xor_b32_e32 v180, 0x80000000, v177
	v_xor_b32_e32 v182, 0x80000000, v179
	s_mov_b32 s3, exec_lo
                                        ; implicit-def: $vgpr184_vgpr185
	s_delay_alu instid0(VALU_DEP_2) | instskip(SKIP_4) | instid1(VALU_DEP_1)
	v_cndmask_b32_e32 v181, v177, v180, vcc_lo
	v_cndmask_b32_e32 v180, v176, v176, vcc_lo
	v_cmp_gt_f64_e32 vcc_lo, 0, v[178:179]
	v_cndmask_b32_e32 v183, v179, v182, vcc_lo
	v_cndmask_b32_e32 v182, v178, v178, vcc_lo
	v_cmpx_ngt_f64_e32 v[180:181], v[182:183]
	s_xor_b32 s3, exec_lo, s3
                                        ; implicit-def: $vgpr180_vgpr181_vgpr182_vgpr183
	s_cbranch_execz .LBB87_320
; %bb.319:
	v_div_scale_f64 v[180:181], null, v[178:179], v[178:179], v[176:177]
	v_div_scale_f64 v[186:187], vcc_lo, v[176:177], v[178:179], v[176:177]
	s_delay_alu instid0(VALU_DEP_2) | instskip(SKIP_2) | instid1(VALU_DEP_1)
	v_rcp_f64_e32 v[182:183], v[180:181]
	s_waitcnt_depctr 0xfff
	v_fma_f64 v[184:185], -v[180:181], v[182:183], 1.0
	v_fma_f64 v[182:183], v[182:183], v[184:185], v[182:183]
	s_delay_alu instid0(VALU_DEP_1) | instskip(NEXT) | instid1(VALU_DEP_1)
	v_fma_f64 v[184:185], -v[180:181], v[182:183], 1.0
	v_fma_f64 v[182:183], v[182:183], v[184:185], v[182:183]
	s_delay_alu instid0(VALU_DEP_1) | instskip(NEXT) | instid1(VALU_DEP_1)
	v_mul_f64 v[184:185], v[186:187], v[182:183]
	v_fma_f64 v[180:181], -v[180:181], v[184:185], v[186:187]
	s_delay_alu instid0(VALU_DEP_1) | instskip(NEXT) | instid1(VALU_DEP_1)
	v_div_fmas_f64 v[180:181], v[180:181], v[182:183], v[184:185]
	v_div_fixup_f64 v[180:181], v[180:181], v[178:179], v[176:177]
	s_delay_alu instid0(VALU_DEP_1) | instskip(NEXT) | instid1(VALU_DEP_1)
	v_fma_f64 v[176:177], v[176:177], v[180:181], v[178:179]
	v_div_scale_f64 v[178:179], null, v[176:177], v[176:177], 1.0
	s_delay_alu instid0(VALU_DEP_1) | instskip(SKIP_2) | instid1(VALU_DEP_1)
	v_rcp_f64_e32 v[182:183], v[178:179]
	s_waitcnt_depctr 0xfff
	v_fma_f64 v[184:185], -v[178:179], v[182:183], 1.0
	v_fma_f64 v[182:183], v[182:183], v[184:185], v[182:183]
	s_delay_alu instid0(VALU_DEP_1) | instskip(NEXT) | instid1(VALU_DEP_1)
	v_fma_f64 v[184:185], -v[178:179], v[182:183], 1.0
	v_fma_f64 v[182:183], v[182:183], v[184:185], v[182:183]
	v_div_scale_f64 v[184:185], vcc_lo, 1.0, v[176:177], 1.0
	s_delay_alu instid0(VALU_DEP_1) | instskip(NEXT) | instid1(VALU_DEP_1)
	v_mul_f64 v[186:187], v[184:185], v[182:183]
	v_fma_f64 v[178:179], -v[178:179], v[186:187], v[184:185]
	s_delay_alu instid0(VALU_DEP_1) | instskip(NEXT) | instid1(VALU_DEP_1)
	v_div_fmas_f64 v[178:179], v[178:179], v[182:183], v[186:187]
	v_div_fixup_f64 v[182:183], v[178:179], v[176:177], 1.0
                                        ; implicit-def: $vgpr176_vgpr177
	s_delay_alu instid0(VALU_DEP_1)
	v_mul_f64 v[184:185], v[180:181], v[182:183]
	v_xor_b32_e32 v183, 0x80000000, v183
.LBB87_320:
	s_and_not1_saveexec_b32 s3, s3
	s_cbranch_execz .LBB87_322
; %bb.321:
	v_div_scale_f64 v[180:181], null, v[176:177], v[176:177], v[178:179]
	v_div_scale_f64 v[186:187], vcc_lo, v[178:179], v[176:177], v[178:179]
	s_delay_alu instid0(VALU_DEP_2) | instskip(SKIP_2) | instid1(VALU_DEP_1)
	v_rcp_f64_e32 v[182:183], v[180:181]
	s_waitcnt_depctr 0xfff
	v_fma_f64 v[184:185], -v[180:181], v[182:183], 1.0
	v_fma_f64 v[182:183], v[182:183], v[184:185], v[182:183]
	s_delay_alu instid0(VALU_DEP_1) | instskip(NEXT) | instid1(VALU_DEP_1)
	v_fma_f64 v[184:185], -v[180:181], v[182:183], 1.0
	v_fma_f64 v[182:183], v[182:183], v[184:185], v[182:183]
	s_delay_alu instid0(VALU_DEP_1) | instskip(NEXT) | instid1(VALU_DEP_1)
	v_mul_f64 v[184:185], v[186:187], v[182:183]
	v_fma_f64 v[180:181], -v[180:181], v[184:185], v[186:187]
	s_delay_alu instid0(VALU_DEP_1) | instskip(NEXT) | instid1(VALU_DEP_1)
	v_div_fmas_f64 v[180:181], v[180:181], v[182:183], v[184:185]
	v_div_fixup_f64 v[180:181], v[180:181], v[176:177], v[178:179]
	s_delay_alu instid0(VALU_DEP_1) | instskip(NEXT) | instid1(VALU_DEP_1)
	v_fma_f64 v[176:177], v[178:179], v[180:181], v[176:177]
	v_div_scale_f64 v[178:179], null, v[176:177], v[176:177], 1.0
	s_delay_alu instid0(VALU_DEP_1) | instskip(SKIP_2) | instid1(VALU_DEP_1)
	v_rcp_f64_e32 v[182:183], v[178:179]
	s_waitcnt_depctr 0xfff
	v_fma_f64 v[184:185], -v[178:179], v[182:183], 1.0
	v_fma_f64 v[182:183], v[182:183], v[184:185], v[182:183]
	s_delay_alu instid0(VALU_DEP_1) | instskip(NEXT) | instid1(VALU_DEP_1)
	v_fma_f64 v[184:185], -v[178:179], v[182:183], 1.0
	v_fma_f64 v[182:183], v[182:183], v[184:185], v[182:183]
	v_div_scale_f64 v[184:185], vcc_lo, 1.0, v[176:177], 1.0
	s_delay_alu instid0(VALU_DEP_1) | instskip(NEXT) | instid1(VALU_DEP_1)
	v_mul_f64 v[186:187], v[184:185], v[182:183]
	v_fma_f64 v[178:179], -v[178:179], v[186:187], v[184:185]
	s_delay_alu instid0(VALU_DEP_1) | instskip(NEXT) | instid1(VALU_DEP_1)
	v_div_fmas_f64 v[178:179], v[178:179], v[182:183], v[186:187]
	v_div_fixup_f64 v[184:185], v[178:179], v[176:177], 1.0
	s_delay_alu instid0(VALU_DEP_1)
	v_mul_f64 v[182:183], v[180:181], -v[184:185]
.LBB87_322:
	s_or_b32 exec_lo, exec_lo, s3
	ds_store_2addr_b64 v195, v[184:185], v[182:183] offset1:1
.LBB87_323:
	s_or_b32 exec_lo, exec_lo, s4
	s_waitcnt lgkmcnt(0)
	s_barrier
	buffer_gl0_inv
	ds_load_2addr_b64 v[236:239], v195 offset1:1
	s_mov_b32 s3, exec_lo
	v_cmpx_lt_u32_e32 35, v194
	s_cbranch_execz .LBB87_325
; %bb.324:
	s_waitcnt lgkmcnt(0)
	v_mul_f64 v[176:177], v[236:237], v[34:35]
	v_mul_f64 v[34:35], v[238:239], v[34:35]
	s_delay_alu instid0(VALU_DEP_2) | instskip(SKIP_4) | instid1(VALU_DEP_1)
	v_fma_f64 v[180:181], v[238:239], v[32:33], v[176:177]
	ds_load_2addr_b64 v[176:179], v196 offset0:72 offset1:73
	v_fma_f64 v[32:33], v[236:237], v[32:33], -v[34:35]
	s_waitcnt lgkmcnt(0)
	v_mul_f64 v[34:35], v[178:179], v[180:181]
	v_fma_f64 v[34:35], v[176:177], v[32:33], -v[34:35]
	v_mul_f64 v[176:177], v[176:177], v[180:181]
	s_delay_alu instid0(VALU_DEP_2) | instskip(NEXT) | instid1(VALU_DEP_2)
	v_add_f64 v[28:29], v[28:29], -v[34:35]
	v_fma_f64 v[176:177], v[178:179], v[32:33], v[176:177]
	s_delay_alu instid0(VALU_DEP_1) | instskip(SKIP_3) | instid1(VALU_DEP_1)
	v_add_f64 v[30:31], v[30:31], -v[176:177]
	ds_load_2addr_b64 v[176:179], v196 offset0:74 offset1:75
	s_waitcnt lgkmcnt(0)
	v_mul_f64 v[34:35], v[178:179], v[180:181]
	v_fma_f64 v[34:35], v[176:177], v[32:33], -v[34:35]
	v_mul_f64 v[176:177], v[176:177], v[180:181]
	s_delay_alu instid0(VALU_DEP_2) | instskip(NEXT) | instid1(VALU_DEP_2)
	v_add_f64 v[24:25], v[24:25], -v[34:35]
	v_fma_f64 v[176:177], v[178:179], v[32:33], v[176:177]
	s_delay_alu instid0(VALU_DEP_1) | instskip(SKIP_3) | instid1(VALU_DEP_1)
	v_add_f64 v[26:27], v[26:27], -v[176:177]
	ds_load_2addr_b64 v[176:179], v196 offset0:76 offset1:77
	;; [unrolled: 10-line block ×7, first 2 shown]
	s_waitcnt lgkmcnt(0)
	v_mul_f64 v[34:35], v[178:179], v[180:181]
	v_fma_f64 v[34:35], v[176:177], v[32:33], -v[34:35]
	v_mul_f64 v[176:177], v[176:177], v[180:181]
	s_delay_alu instid0(VALU_DEP_2) | instskip(NEXT) | instid1(VALU_DEP_2)
	v_add_f64 v[0:1], v[0:1], -v[34:35]
	v_fma_f64 v[176:177], v[178:179], v[32:33], v[176:177]
	v_dual_mov_b32 v34, v180 :: v_dual_mov_b32 v35, v181
	s_delay_alu instid0(VALU_DEP_2)
	v_add_f64 v[2:3], v[2:3], -v[176:177]
.LBB87_325:
	s_or_b32 exec_lo, exec_lo, s3
	s_delay_alu instid0(SALU_CYCLE_1)
	s_mov_b32 s4, exec_lo
	s_waitcnt lgkmcnt(0)
	s_barrier
	buffer_gl0_inv
	v_cmpx_eq_u32_e32 36, v194
	s_cbranch_execz .LBB87_332
; %bb.326:
	ds_store_2addr_b64 v195, v[28:29], v[30:31] offset1:1
	ds_store_2addr_b64 v196, v[24:25], v[26:27] offset0:74 offset1:75
	ds_store_2addr_b64 v196, v[20:21], v[22:23] offset0:76 offset1:77
	;; [unrolled: 1-line block ×7, first 2 shown]
	ds_load_2addr_b64 v[176:179], v195 offset1:1
	s_waitcnt lgkmcnt(0)
	v_cmp_neq_f64_e32 vcc_lo, 0, v[176:177]
	v_cmp_neq_f64_e64 s3, 0, v[178:179]
	s_delay_alu instid0(VALU_DEP_1) | instskip(NEXT) | instid1(SALU_CYCLE_1)
	s_or_b32 s3, vcc_lo, s3
	s_and_b32 exec_lo, exec_lo, s3
	s_cbranch_execz .LBB87_332
; %bb.327:
	v_cmp_gt_f64_e32 vcc_lo, 0, v[176:177]
	v_xor_b32_e32 v180, 0x80000000, v177
	v_xor_b32_e32 v182, 0x80000000, v179
	s_mov_b32 s3, exec_lo
                                        ; implicit-def: $vgpr184_vgpr185
	s_delay_alu instid0(VALU_DEP_2) | instskip(SKIP_4) | instid1(VALU_DEP_1)
	v_cndmask_b32_e32 v181, v177, v180, vcc_lo
	v_cndmask_b32_e32 v180, v176, v176, vcc_lo
	v_cmp_gt_f64_e32 vcc_lo, 0, v[178:179]
	v_cndmask_b32_e32 v183, v179, v182, vcc_lo
	v_cndmask_b32_e32 v182, v178, v178, vcc_lo
	v_cmpx_ngt_f64_e32 v[180:181], v[182:183]
	s_xor_b32 s3, exec_lo, s3
                                        ; implicit-def: $vgpr180_vgpr181_vgpr182_vgpr183
	s_cbranch_execz .LBB87_329
; %bb.328:
	v_div_scale_f64 v[180:181], null, v[178:179], v[178:179], v[176:177]
	v_div_scale_f64 v[186:187], vcc_lo, v[176:177], v[178:179], v[176:177]
	s_delay_alu instid0(VALU_DEP_2) | instskip(SKIP_2) | instid1(VALU_DEP_1)
	v_rcp_f64_e32 v[182:183], v[180:181]
	s_waitcnt_depctr 0xfff
	v_fma_f64 v[184:185], -v[180:181], v[182:183], 1.0
	v_fma_f64 v[182:183], v[182:183], v[184:185], v[182:183]
	s_delay_alu instid0(VALU_DEP_1) | instskip(NEXT) | instid1(VALU_DEP_1)
	v_fma_f64 v[184:185], -v[180:181], v[182:183], 1.0
	v_fma_f64 v[182:183], v[182:183], v[184:185], v[182:183]
	s_delay_alu instid0(VALU_DEP_1) | instskip(NEXT) | instid1(VALU_DEP_1)
	v_mul_f64 v[184:185], v[186:187], v[182:183]
	v_fma_f64 v[180:181], -v[180:181], v[184:185], v[186:187]
	s_delay_alu instid0(VALU_DEP_1) | instskip(NEXT) | instid1(VALU_DEP_1)
	v_div_fmas_f64 v[180:181], v[180:181], v[182:183], v[184:185]
	v_div_fixup_f64 v[180:181], v[180:181], v[178:179], v[176:177]
	s_delay_alu instid0(VALU_DEP_1) | instskip(NEXT) | instid1(VALU_DEP_1)
	v_fma_f64 v[176:177], v[176:177], v[180:181], v[178:179]
	v_div_scale_f64 v[178:179], null, v[176:177], v[176:177], 1.0
	s_delay_alu instid0(VALU_DEP_1) | instskip(SKIP_2) | instid1(VALU_DEP_1)
	v_rcp_f64_e32 v[182:183], v[178:179]
	s_waitcnt_depctr 0xfff
	v_fma_f64 v[184:185], -v[178:179], v[182:183], 1.0
	v_fma_f64 v[182:183], v[182:183], v[184:185], v[182:183]
	s_delay_alu instid0(VALU_DEP_1) | instskip(NEXT) | instid1(VALU_DEP_1)
	v_fma_f64 v[184:185], -v[178:179], v[182:183], 1.0
	v_fma_f64 v[182:183], v[182:183], v[184:185], v[182:183]
	v_div_scale_f64 v[184:185], vcc_lo, 1.0, v[176:177], 1.0
	s_delay_alu instid0(VALU_DEP_1) | instskip(NEXT) | instid1(VALU_DEP_1)
	v_mul_f64 v[186:187], v[184:185], v[182:183]
	v_fma_f64 v[178:179], -v[178:179], v[186:187], v[184:185]
	s_delay_alu instid0(VALU_DEP_1) | instskip(NEXT) | instid1(VALU_DEP_1)
	v_div_fmas_f64 v[178:179], v[178:179], v[182:183], v[186:187]
	v_div_fixup_f64 v[182:183], v[178:179], v[176:177], 1.0
                                        ; implicit-def: $vgpr176_vgpr177
	s_delay_alu instid0(VALU_DEP_1)
	v_mul_f64 v[184:185], v[180:181], v[182:183]
	v_xor_b32_e32 v183, 0x80000000, v183
.LBB87_329:
	s_and_not1_saveexec_b32 s3, s3
	s_cbranch_execz .LBB87_331
; %bb.330:
	v_div_scale_f64 v[180:181], null, v[176:177], v[176:177], v[178:179]
	v_div_scale_f64 v[186:187], vcc_lo, v[178:179], v[176:177], v[178:179]
	s_delay_alu instid0(VALU_DEP_2) | instskip(SKIP_2) | instid1(VALU_DEP_1)
	v_rcp_f64_e32 v[182:183], v[180:181]
	s_waitcnt_depctr 0xfff
	v_fma_f64 v[184:185], -v[180:181], v[182:183], 1.0
	v_fma_f64 v[182:183], v[182:183], v[184:185], v[182:183]
	s_delay_alu instid0(VALU_DEP_1) | instskip(NEXT) | instid1(VALU_DEP_1)
	v_fma_f64 v[184:185], -v[180:181], v[182:183], 1.0
	v_fma_f64 v[182:183], v[182:183], v[184:185], v[182:183]
	s_delay_alu instid0(VALU_DEP_1) | instskip(NEXT) | instid1(VALU_DEP_1)
	v_mul_f64 v[184:185], v[186:187], v[182:183]
	v_fma_f64 v[180:181], -v[180:181], v[184:185], v[186:187]
	s_delay_alu instid0(VALU_DEP_1) | instskip(NEXT) | instid1(VALU_DEP_1)
	v_div_fmas_f64 v[180:181], v[180:181], v[182:183], v[184:185]
	v_div_fixup_f64 v[180:181], v[180:181], v[176:177], v[178:179]
	s_delay_alu instid0(VALU_DEP_1) | instskip(NEXT) | instid1(VALU_DEP_1)
	v_fma_f64 v[176:177], v[178:179], v[180:181], v[176:177]
	v_div_scale_f64 v[178:179], null, v[176:177], v[176:177], 1.0
	s_delay_alu instid0(VALU_DEP_1) | instskip(SKIP_2) | instid1(VALU_DEP_1)
	v_rcp_f64_e32 v[182:183], v[178:179]
	s_waitcnt_depctr 0xfff
	v_fma_f64 v[184:185], -v[178:179], v[182:183], 1.0
	v_fma_f64 v[182:183], v[182:183], v[184:185], v[182:183]
	s_delay_alu instid0(VALU_DEP_1) | instskip(NEXT) | instid1(VALU_DEP_1)
	v_fma_f64 v[184:185], -v[178:179], v[182:183], 1.0
	v_fma_f64 v[182:183], v[182:183], v[184:185], v[182:183]
	v_div_scale_f64 v[184:185], vcc_lo, 1.0, v[176:177], 1.0
	s_delay_alu instid0(VALU_DEP_1) | instskip(NEXT) | instid1(VALU_DEP_1)
	v_mul_f64 v[186:187], v[184:185], v[182:183]
	v_fma_f64 v[178:179], -v[178:179], v[186:187], v[184:185]
	s_delay_alu instid0(VALU_DEP_1) | instskip(NEXT) | instid1(VALU_DEP_1)
	v_div_fmas_f64 v[178:179], v[178:179], v[182:183], v[186:187]
	v_div_fixup_f64 v[184:185], v[178:179], v[176:177], 1.0
	s_delay_alu instid0(VALU_DEP_1)
	v_mul_f64 v[182:183], v[180:181], -v[184:185]
.LBB87_331:
	s_or_b32 exec_lo, exec_lo, s3
	ds_store_2addr_b64 v195, v[184:185], v[182:183] offset1:1
.LBB87_332:
	s_or_b32 exec_lo, exec_lo, s4
	s_waitcnt lgkmcnt(0)
	s_barrier
	buffer_gl0_inv
	ds_load_2addr_b64 v[240:243], v195 offset1:1
	s_mov_b32 s3, exec_lo
	v_cmpx_lt_u32_e32 36, v194
	s_cbranch_execz .LBB87_334
; %bb.333:
	s_waitcnt lgkmcnt(0)
	v_mul_f64 v[176:177], v[240:241], v[30:31]
	v_mul_f64 v[30:31], v[242:243], v[30:31]
	s_delay_alu instid0(VALU_DEP_2) | instskip(SKIP_4) | instid1(VALU_DEP_1)
	v_fma_f64 v[180:181], v[242:243], v[28:29], v[176:177]
	ds_load_2addr_b64 v[176:179], v196 offset0:74 offset1:75
	v_fma_f64 v[28:29], v[240:241], v[28:29], -v[30:31]
	s_waitcnt lgkmcnt(0)
	v_mul_f64 v[30:31], v[178:179], v[180:181]
	v_fma_f64 v[30:31], v[176:177], v[28:29], -v[30:31]
	v_mul_f64 v[176:177], v[176:177], v[180:181]
	s_delay_alu instid0(VALU_DEP_2) | instskip(NEXT) | instid1(VALU_DEP_2)
	v_add_f64 v[24:25], v[24:25], -v[30:31]
	v_fma_f64 v[176:177], v[178:179], v[28:29], v[176:177]
	s_delay_alu instid0(VALU_DEP_1) | instskip(SKIP_3) | instid1(VALU_DEP_1)
	v_add_f64 v[26:27], v[26:27], -v[176:177]
	ds_load_2addr_b64 v[176:179], v196 offset0:76 offset1:77
	s_waitcnt lgkmcnt(0)
	v_mul_f64 v[30:31], v[178:179], v[180:181]
	v_fma_f64 v[30:31], v[176:177], v[28:29], -v[30:31]
	v_mul_f64 v[176:177], v[176:177], v[180:181]
	s_delay_alu instid0(VALU_DEP_2) | instskip(NEXT) | instid1(VALU_DEP_2)
	v_add_f64 v[20:21], v[20:21], -v[30:31]
	v_fma_f64 v[176:177], v[178:179], v[28:29], v[176:177]
	s_delay_alu instid0(VALU_DEP_1) | instskip(SKIP_3) | instid1(VALU_DEP_1)
	v_add_f64 v[22:23], v[22:23], -v[176:177]
	ds_load_2addr_b64 v[176:179], v196 offset0:78 offset1:79
	s_waitcnt lgkmcnt(0)
	v_mul_f64 v[30:31], v[178:179], v[180:181]
	v_fma_f64 v[30:31], v[176:177], v[28:29], -v[30:31]
	v_mul_f64 v[176:177], v[176:177], v[180:181]
	s_delay_alu instid0(VALU_DEP_2) | instskip(NEXT) | instid1(VALU_DEP_2)
	v_add_f64 v[16:17], v[16:17], -v[30:31]
	v_fma_f64 v[176:177], v[178:179], v[28:29], v[176:177]
	s_delay_alu instid0(VALU_DEP_1) | instskip(SKIP_3) | instid1(VALU_DEP_1)
	v_add_f64 v[18:19], v[18:19], -v[176:177]
	ds_load_2addr_b64 v[176:179], v196 offset0:80 offset1:81
	s_waitcnt lgkmcnt(0)
	v_mul_f64 v[30:31], v[178:179], v[180:181]
	v_fma_f64 v[30:31], v[176:177], v[28:29], -v[30:31]
	v_mul_f64 v[176:177], v[176:177], v[180:181]
	s_delay_alu instid0(VALU_DEP_2) | instskip(NEXT) | instid1(VALU_DEP_2)
	v_add_f64 v[12:13], v[12:13], -v[30:31]
	v_fma_f64 v[176:177], v[178:179], v[28:29], v[176:177]
	s_delay_alu instid0(VALU_DEP_1) | instskip(SKIP_3) | instid1(VALU_DEP_1)
	v_add_f64 v[14:15], v[14:15], -v[176:177]
	ds_load_2addr_b64 v[176:179], v196 offset0:82 offset1:83
	s_waitcnt lgkmcnt(0)
	v_mul_f64 v[30:31], v[178:179], v[180:181]
	v_fma_f64 v[30:31], v[176:177], v[28:29], -v[30:31]
	v_mul_f64 v[176:177], v[176:177], v[180:181]
	s_delay_alu instid0(VALU_DEP_2) | instskip(NEXT) | instid1(VALU_DEP_2)
	v_add_f64 v[8:9], v[8:9], -v[30:31]
	v_fma_f64 v[176:177], v[178:179], v[28:29], v[176:177]
	s_delay_alu instid0(VALU_DEP_1) | instskip(SKIP_3) | instid1(VALU_DEP_1)
	v_add_f64 v[10:11], v[10:11], -v[176:177]
	ds_load_2addr_b64 v[176:179], v196 offset0:84 offset1:85
	s_waitcnt lgkmcnt(0)
	v_mul_f64 v[30:31], v[178:179], v[180:181]
	v_fma_f64 v[30:31], v[176:177], v[28:29], -v[30:31]
	v_mul_f64 v[176:177], v[176:177], v[180:181]
	s_delay_alu instid0(VALU_DEP_2) | instskip(NEXT) | instid1(VALU_DEP_2)
	v_add_f64 v[4:5], v[4:5], -v[30:31]
	v_fma_f64 v[176:177], v[178:179], v[28:29], v[176:177]
	s_delay_alu instid0(VALU_DEP_1) | instskip(SKIP_3) | instid1(VALU_DEP_1)
	v_add_f64 v[6:7], v[6:7], -v[176:177]
	ds_load_2addr_b64 v[176:179], v196 offset0:86 offset1:87
	s_waitcnt lgkmcnt(0)
	v_mul_f64 v[30:31], v[178:179], v[180:181]
	v_fma_f64 v[30:31], v[176:177], v[28:29], -v[30:31]
	v_mul_f64 v[176:177], v[176:177], v[180:181]
	s_delay_alu instid0(VALU_DEP_2) | instskip(NEXT) | instid1(VALU_DEP_2)
	v_add_f64 v[0:1], v[0:1], -v[30:31]
	v_fma_f64 v[176:177], v[178:179], v[28:29], v[176:177]
	v_dual_mov_b32 v30, v180 :: v_dual_mov_b32 v31, v181
	s_delay_alu instid0(VALU_DEP_2)
	v_add_f64 v[2:3], v[2:3], -v[176:177]
.LBB87_334:
	s_or_b32 exec_lo, exec_lo, s3
	s_delay_alu instid0(SALU_CYCLE_1)
	s_mov_b32 s4, exec_lo
	s_waitcnt lgkmcnt(0)
	s_barrier
	buffer_gl0_inv
	v_cmpx_eq_u32_e32 37, v194
	s_cbranch_execz .LBB87_341
; %bb.335:
	ds_store_2addr_b64 v195, v[24:25], v[26:27] offset1:1
	ds_store_2addr_b64 v196, v[20:21], v[22:23] offset0:76 offset1:77
	ds_store_2addr_b64 v196, v[16:17], v[18:19] offset0:78 offset1:79
	;; [unrolled: 1-line block ×6, first 2 shown]
	ds_load_2addr_b64 v[176:179], v195 offset1:1
	s_waitcnt lgkmcnt(0)
	v_cmp_neq_f64_e32 vcc_lo, 0, v[176:177]
	v_cmp_neq_f64_e64 s3, 0, v[178:179]
	s_delay_alu instid0(VALU_DEP_1) | instskip(NEXT) | instid1(SALU_CYCLE_1)
	s_or_b32 s3, vcc_lo, s3
	s_and_b32 exec_lo, exec_lo, s3
	s_cbranch_execz .LBB87_341
; %bb.336:
	v_cmp_gt_f64_e32 vcc_lo, 0, v[176:177]
	v_xor_b32_e32 v180, 0x80000000, v177
	v_xor_b32_e32 v182, 0x80000000, v179
	s_mov_b32 s3, exec_lo
                                        ; implicit-def: $vgpr184_vgpr185
	s_delay_alu instid0(VALU_DEP_2) | instskip(SKIP_4) | instid1(VALU_DEP_1)
	v_cndmask_b32_e32 v181, v177, v180, vcc_lo
	v_cndmask_b32_e32 v180, v176, v176, vcc_lo
	v_cmp_gt_f64_e32 vcc_lo, 0, v[178:179]
	v_cndmask_b32_e32 v183, v179, v182, vcc_lo
	v_cndmask_b32_e32 v182, v178, v178, vcc_lo
	v_cmpx_ngt_f64_e32 v[180:181], v[182:183]
	s_xor_b32 s3, exec_lo, s3
                                        ; implicit-def: $vgpr180_vgpr181_vgpr182_vgpr183
	s_cbranch_execz .LBB87_338
; %bb.337:
	v_div_scale_f64 v[180:181], null, v[178:179], v[178:179], v[176:177]
	v_div_scale_f64 v[186:187], vcc_lo, v[176:177], v[178:179], v[176:177]
	s_delay_alu instid0(VALU_DEP_2) | instskip(SKIP_2) | instid1(VALU_DEP_1)
	v_rcp_f64_e32 v[182:183], v[180:181]
	s_waitcnt_depctr 0xfff
	v_fma_f64 v[184:185], -v[180:181], v[182:183], 1.0
	v_fma_f64 v[182:183], v[182:183], v[184:185], v[182:183]
	s_delay_alu instid0(VALU_DEP_1) | instskip(NEXT) | instid1(VALU_DEP_1)
	v_fma_f64 v[184:185], -v[180:181], v[182:183], 1.0
	v_fma_f64 v[182:183], v[182:183], v[184:185], v[182:183]
	s_delay_alu instid0(VALU_DEP_1) | instskip(NEXT) | instid1(VALU_DEP_1)
	v_mul_f64 v[184:185], v[186:187], v[182:183]
	v_fma_f64 v[180:181], -v[180:181], v[184:185], v[186:187]
	s_delay_alu instid0(VALU_DEP_1) | instskip(NEXT) | instid1(VALU_DEP_1)
	v_div_fmas_f64 v[180:181], v[180:181], v[182:183], v[184:185]
	v_div_fixup_f64 v[180:181], v[180:181], v[178:179], v[176:177]
	s_delay_alu instid0(VALU_DEP_1) | instskip(NEXT) | instid1(VALU_DEP_1)
	v_fma_f64 v[176:177], v[176:177], v[180:181], v[178:179]
	v_div_scale_f64 v[178:179], null, v[176:177], v[176:177], 1.0
	s_delay_alu instid0(VALU_DEP_1) | instskip(SKIP_2) | instid1(VALU_DEP_1)
	v_rcp_f64_e32 v[182:183], v[178:179]
	s_waitcnt_depctr 0xfff
	v_fma_f64 v[184:185], -v[178:179], v[182:183], 1.0
	v_fma_f64 v[182:183], v[182:183], v[184:185], v[182:183]
	s_delay_alu instid0(VALU_DEP_1) | instskip(NEXT) | instid1(VALU_DEP_1)
	v_fma_f64 v[184:185], -v[178:179], v[182:183], 1.0
	v_fma_f64 v[182:183], v[182:183], v[184:185], v[182:183]
	v_div_scale_f64 v[184:185], vcc_lo, 1.0, v[176:177], 1.0
	s_delay_alu instid0(VALU_DEP_1) | instskip(NEXT) | instid1(VALU_DEP_1)
	v_mul_f64 v[186:187], v[184:185], v[182:183]
	v_fma_f64 v[178:179], -v[178:179], v[186:187], v[184:185]
	s_delay_alu instid0(VALU_DEP_1) | instskip(NEXT) | instid1(VALU_DEP_1)
	v_div_fmas_f64 v[178:179], v[178:179], v[182:183], v[186:187]
	v_div_fixup_f64 v[182:183], v[178:179], v[176:177], 1.0
                                        ; implicit-def: $vgpr176_vgpr177
	s_delay_alu instid0(VALU_DEP_1)
	v_mul_f64 v[184:185], v[180:181], v[182:183]
	v_xor_b32_e32 v183, 0x80000000, v183
.LBB87_338:
	s_and_not1_saveexec_b32 s3, s3
	s_cbranch_execz .LBB87_340
; %bb.339:
	v_div_scale_f64 v[180:181], null, v[176:177], v[176:177], v[178:179]
	v_div_scale_f64 v[186:187], vcc_lo, v[178:179], v[176:177], v[178:179]
	s_delay_alu instid0(VALU_DEP_2) | instskip(SKIP_2) | instid1(VALU_DEP_1)
	v_rcp_f64_e32 v[182:183], v[180:181]
	s_waitcnt_depctr 0xfff
	v_fma_f64 v[184:185], -v[180:181], v[182:183], 1.0
	v_fma_f64 v[182:183], v[182:183], v[184:185], v[182:183]
	s_delay_alu instid0(VALU_DEP_1) | instskip(NEXT) | instid1(VALU_DEP_1)
	v_fma_f64 v[184:185], -v[180:181], v[182:183], 1.0
	v_fma_f64 v[182:183], v[182:183], v[184:185], v[182:183]
	s_delay_alu instid0(VALU_DEP_1) | instskip(NEXT) | instid1(VALU_DEP_1)
	v_mul_f64 v[184:185], v[186:187], v[182:183]
	v_fma_f64 v[180:181], -v[180:181], v[184:185], v[186:187]
	s_delay_alu instid0(VALU_DEP_1) | instskip(NEXT) | instid1(VALU_DEP_1)
	v_div_fmas_f64 v[180:181], v[180:181], v[182:183], v[184:185]
	v_div_fixup_f64 v[180:181], v[180:181], v[176:177], v[178:179]
	s_delay_alu instid0(VALU_DEP_1) | instskip(NEXT) | instid1(VALU_DEP_1)
	v_fma_f64 v[176:177], v[178:179], v[180:181], v[176:177]
	v_div_scale_f64 v[178:179], null, v[176:177], v[176:177], 1.0
	s_delay_alu instid0(VALU_DEP_1) | instskip(SKIP_2) | instid1(VALU_DEP_1)
	v_rcp_f64_e32 v[182:183], v[178:179]
	s_waitcnt_depctr 0xfff
	v_fma_f64 v[184:185], -v[178:179], v[182:183], 1.0
	v_fma_f64 v[182:183], v[182:183], v[184:185], v[182:183]
	s_delay_alu instid0(VALU_DEP_1) | instskip(NEXT) | instid1(VALU_DEP_1)
	v_fma_f64 v[184:185], -v[178:179], v[182:183], 1.0
	v_fma_f64 v[182:183], v[182:183], v[184:185], v[182:183]
	v_div_scale_f64 v[184:185], vcc_lo, 1.0, v[176:177], 1.0
	s_delay_alu instid0(VALU_DEP_1) | instskip(NEXT) | instid1(VALU_DEP_1)
	v_mul_f64 v[186:187], v[184:185], v[182:183]
	v_fma_f64 v[178:179], -v[178:179], v[186:187], v[184:185]
	s_delay_alu instid0(VALU_DEP_1) | instskip(NEXT) | instid1(VALU_DEP_1)
	v_div_fmas_f64 v[178:179], v[178:179], v[182:183], v[186:187]
	v_div_fixup_f64 v[184:185], v[178:179], v[176:177], 1.0
	s_delay_alu instid0(VALU_DEP_1)
	v_mul_f64 v[182:183], v[180:181], -v[184:185]
.LBB87_340:
	s_or_b32 exec_lo, exec_lo, s3
	ds_store_2addr_b64 v195, v[184:185], v[182:183] offset1:1
.LBB87_341:
	s_or_b32 exec_lo, exec_lo, s4
	s_waitcnt lgkmcnt(0)
	s_barrier
	buffer_gl0_inv
	ds_load_2addr_b64 v[244:247], v195 offset1:1
	s_mov_b32 s3, exec_lo
	v_cmpx_lt_u32_e32 37, v194
	s_cbranch_execz .LBB87_343
; %bb.342:
	s_waitcnt lgkmcnt(0)
	v_mul_f64 v[176:177], v[244:245], v[26:27]
	v_mul_f64 v[26:27], v[246:247], v[26:27]
	s_delay_alu instid0(VALU_DEP_2) | instskip(SKIP_4) | instid1(VALU_DEP_1)
	v_fma_f64 v[180:181], v[246:247], v[24:25], v[176:177]
	ds_load_2addr_b64 v[176:179], v196 offset0:76 offset1:77
	v_fma_f64 v[24:25], v[244:245], v[24:25], -v[26:27]
	s_waitcnt lgkmcnt(0)
	v_mul_f64 v[26:27], v[178:179], v[180:181]
	v_fma_f64 v[26:27], v[176:177], v[24:25], -v[26:27]
	v_mul_f64 v[176:177], v[176:177], v[180:181]
	s_delay_alu instid0(VALU_DEP_2) | instskip(NEXT) | instid1(VALU_DEP_2)
	v_add_f64 v[20:21], v[20:21], -v[26:27]
	v_fma_f64 v[176:177], v[178:179], v[24:25], v[176:177]
	s_delay_alu instid0(VALU_DEP_1) | instskip(SKIP_3) | instid1(VALU_DEP_1)
	v_add_f64 v[22:23], v[22:23], -v[176:177]
	ds_load_2addr_b64 v[176:179], v196 offset0:78 offset1:79
	s_waitcnt lgkmcnt(0)
	v_mul_f64 v[26:27], v[178:179], v[180:181]
	v_fma_f64 v[26:27], v[176:177], v[24:25], -v[26:27]
	v_mul_f64 v[176:177], v[176:177], v[180:181]
	s_delay_alu instid0(VALU_DEP_2) | instskip(NEXT) | instid1(VALU_DEP_2)
	v_add_f64 v[16:17], v[16:17], -v[26:27]
	v_fma_f64 v[176:177], v[178:179], v[24:25], v[176:177]
	s_delay_alu instid0(VALU_DEP_1) | instskip(SKIP_3) | instid1(VALU_DEP_1)
	v_add_f64 v[18:19], v[18:19], -v[176:177]
	ds_load_2addr_b64 v[176:179], v196 offset0:80 offset1:81
	;; [unrolled: 10-line block ×5, first 2 shown]
	s_waitcnt lgkmcnt(0)
	v_mul_f64 v[26:27], v[178:179], v[180:181]
	v_fma_f64 v[26:27], v[176:177], v[24:25], -v[26:27]
	v_mul_f64 v[176:177], v[176:177], v[180:181]
	s_delay_alu instid0(VALU_DEP_2) | instskip(NEXT) | instid1(VALU_DEP_2)
	v_add_f64 v[0:1], v[0:1], -v[26:27]
	v_fma_f64 v[176:177], v[178:179], v[24:25], v[176:177]
	v_dual_mov_b32 v26, v180 :: v_dual_mov_b32 v27, v181
	s_delay_alu instid0(VALU_DEP_2)
	v_add_f64 v[2:3], v[2:3], -v[176:177]
.LBB87_343:
	s_or_b32 exec_lo, exec_lo, s3
	s_delay_alu instid0(SALU_CYCLE_1)
	s_mov_b32 s4, exec_lo
	s_waitcnt lgkmcnt(0)
	s_barrier
	buffer_gl0_inv
	v_cmpx_eq_u32_e32 38, v194
	s_cbranch_execz .LBB87_350
; %bb.344:
	ds_store_2addr_b64 v195, v[20:21], v[22:23] offset1:1
	ds_store_2addr_b64 v196, v[16:17], v[18:19] offset0:78 offset1:79
	ds_store_2addr_b64 v196, v[12:13], v[14:15] offset0:80 offset1:81
	;; [unrolled: 1-line block ×5, first 2 shown]
	ds_load_2addr_b64 v[176:179], v195 offset1:1
	s_waitcnt lgkmcnt(0)
	v_cmp_neq_f64_e32 vcc_lo, 0, v[176:177]
	v_cmp_neq_f64_e64 s3, 0, v[178:179]
	s_delay_alu instid0(VALU_DEP_1) | instskip(NEXT) | instid1(SALU_CYCLE_1)
	s_or_b32 s3, vcc_lo, s3
	s_and_b32 exec_lo, exec_lo, s3
	s_cbranch_execz .LBB87_350
; %bb.345:
	v_cmp_gt_f64_e32 vcc_lo, 0, v[176:177]
	v_xor_b32_e32 v180, 0x80000000, v177
	v_xor_b32_e32 v182, 0x80000000, v179
	s_mov_b32 s3, exec_lo
                                        ; implicit-def: $vgpr184_vgpr185
	s_delay_alu instid0(VALU_DEP_2) | instskip(SKIP_4) | instid1(VALU_DEP_1)
	v_cndmask_b32_e32 v181, v177, v180, vcc_lo
	v_cndmask_b32_e32 v180, v176, v176, vcc_lo
	v_cmp_gt_f64_e32 vcc_lo, 0, v[178:179]
	v_cndmask_b32_e32 v183, v179, v182, vcc_lo
	v_cndmask_b32_e32 v182, v178, v178, vcc_lo
	v_cmpx_ngt_f64_e32 v[180:181], v[182:183]
	s_xor_b32 s3, exec_lo, s3
                                        ; implicit-def: $vgpr180_vgpr181_vgpr182_vgpr183
	s_cbranch_execz .LBB87_347
; %bb.346:
	v_div_scale_f64 v[180:181], null, v[178:179], v[178:179], v[176:177]
	v_div_scale_f64 v[186:187], vcc_lo, v[176:177], v[178:179], v[176:177]
	s_delay_alu instid0(VALU_DEP_2) | instskip(SKIP_2) | instid1(VALU_DEP_1)
	v_rcp_f64_e32 v[182:183], v[180:181]
	s_waitcnt_depctr 0xfff
	v_fma_f64 v[184:185], -v[180:181], v[182:183], 1.0
	v_fma_f64 v[182:183], v[182:183], v[184:185], v[182:183]
	s_delay_alu instid0(VALU_DEP_1) | instskip(NEXT) | instid1(VALU_DEP_1)
	v_fma_f64 v[184:185], -v[180:181], v[182:183], 1.0
	v_fma_f64 v[182:183], v[182:183], v[184:185], v[182:183]
	s_delay_alu instid0(VALU_DEP_1) | instskip(NEXT) | instid1(VALU_DEP_1)
	v_mul_f64 v[184:185], v[186:187], v[182:183]
	v_fma_f64 v[180:181], -v[180:181], v[184:185], v[186:187]
	s_delay_alu instid0(VALU_DEP_1) | instskip(NEXT) | instid1(VALU_DEP_1)
	v_div_fmas_f64 v[180:181], v[180:181], v[182:183], v[184:185]
	v_div_fixup_f64 v[180:181], v[180:181], v[178:179], v[176:177]
	s_delay_alu instid0(VALU_DEP_1) | instskip(NEXT) | instid1(VALU_DEP_1)
	v_fma_f64 v[176:177], v[176:177], v[180:181], v[178:179]
	v_div_scale_f64 v[178:179], null, v[176:177], v[176:177], 1.0
	s_delay_alu instid0(VALU_DEP_1) | instskip(SKIP_2) | instid1(VALU_DEP_1)
	v_rcp_f64_e32 v[182:183], v[178:179]
	s_waitcnt_depctr 0xfff
	v_fma_f64 v[184:185], -v[178:179], v[182:183], 1.0
	v_fma_f64 v[182:183], v[182:183], v[184:185], v[182:183]
	s_delay_alu instid0(VALU_DEP_1) | instskip(NEXT) | instid1(VALU_DEP_1)
	v_fma_f64 v[184:185], -v[178:179], v[182:183], 1.0
	v_fma_f64 v[182:183], v[182:183], v[184:185], v[182:183]
	v_div_scale_f64 v[184:185], vcc_lo, 1.0, v[176:177], 1.0
	s_delay_alu instid0(VALU_DEP_1) | instskip(NEXT) | instid1(VALU_DEP_1)
	v_mul_f64 v[186:187], v[184:185], v[182:183]
	v_fma_f64 v[178:179], -v[178:179], v[186:187], v[184:185]
	s_delay_alu instid0(VALU_DEP_1) | instskip(NEXT) | instid1(VALU_DEP_1)
	v_div_fmas_f64 v[178:179], v[178:179], v[182:183], v[186:187]
	v_div_fixup_f64 v[182:183], v[178:179], v[176:177], 1.0
                                        ; implicit-def: $vgpr176_vgpr177
	s_delay_alu instid0(VALU_DEP_1)
	v_mul_f64 v[184:185], v[180:181], v[182:183]
	v_xor_b32_e32 v183, 0x80000000, v183
.LBB87_347:
	s_and_not1_saveexec_b32 s3, s3
	s_cbranch_execz .LBB87_349
; %bb.348:
	v_div_scale_f64 v[180:181], null, v[176:177], v[176:177], v[178:179]
	v_div_scale_f64 v[186:187], vcc_lo, v[178:179], v[176:177], v[178:179]
	s_delay_alu instid0(VALU_DEP_2) | instskip(SKIP_2) | instid1(VALU_DEP_1)
	v_rcp_f64_e32 v[182:183], v[180:181]
	s_waitcnt_depctr 0xfff
	v_fma_f64 v[184:185], -v[180:181], v[182:183], 1.0
	v_fma_f64 v[182:183], v[182:183], v[184:185], v[182:183]
	s_delay_alu instid0(VALU_DEP_1) | instskip(NEXT) | instid1(VALU_DEP_1)
	v_fma_f64 v[184:185], -v[180:181], v[182:183], 1.0
	v_fma_f64 v[182:183], v[182:183], v[184:185], v[182:183]
	s_delay_alu instid0(VALU_DEP_1) | instskip(NEXT) | instid1(VALU_DEP_1)
	v_mul_f64 v[184:185], v[186:187], v[182:183]
	v_fma_f64 v[180:181], -v[180:181], v[184:185], v[186:187]
	s_delay_alu instid0(VALU_DEP_1) | instskip(NEXT) | instid1(VALU_DEP_1)
	v_div_fmas_f64 v[180:181], v[180:181], v[182:183], v[184:185]
	v_div_fixup_f64 v[180:181], v[180:181], v[176:177], v[178:179]
	s_delay_alu instid0(VALU_DEP_1) | instskip(NEXT) | instid1(VALU_DEP_1)
	v_fma_f64 v[176:177], v[178:179], v[180:181], v[176:177]
	v_div_scale_f64 v[178:179], null, v[176:177], v[176:177], 1.0
	s_delay_alu instid0(VALU_DEP_1) | instskip(SKIP_2) | instid1(VALU_DEP_1)
	v_rcp_f64_e32 v[182:183], v[178:179]
	s_waitcnt_depctr 0xfff
	v_fma_f64 v[184:185], -v[178:179], v[182:183], 1.0
	v_fma_f64 v[182:183], v[182:183], v[184:185], v[182:183]
	s_delay_alu instid0(VALU_DEP_1) | instskip(NEXT) | instid1(VALU_DEP_1)
	v_fma_f64 v[184:185], -v[178:179], v[182:183], 1.0
	v_fma_f64 v[182:183], v[182:183], v[184:185], v[182:183]
	v_div_scale_f64 v[184:185], vcc_lo, 1.0, v[176:177], 1.0
	s_delay_alu instid0(VALU_DEP_1) | instskip(NEXT) | instid1(VALU_DEP_1)
	v_mul_f64 v[186:187], v[184:185], v[182:183]
	v_fma_f64 v[178:179], -v[178:179], v[186:187], v[184:185]
	s_delay_alu instid0(VALU_DEP_1) | instskip(NEXT) | instid1(VALU_DEP_1)
	v_div_fmas_f64 v[178:179], v[178:179], v[182:183], v[186:187]
	v_div_fixup_f64 v[184:185], v[178:179], v[176:177], 1.0
	s_delay_alu instid0(VALU_DEP_1)
	v_mul_f64 v[182:183], v[180:181], -v[184:185]
.LBB87_349:
	s_or_b32 exec_lo, exec_lo, s3
	ds_store_2addr_b64 v195, v[184:185], v[182:183] offset1:1
.LBB87_350:
	s_or_b32 exec_lo, exec_lo, s4
	s_waitcnt lgkmcnt(0)
	s_barrier
	buffer_gl0_inv
	ds_load_2addr_b64 v[248:251], v195 offset1:1
	s_mov_b32 s3, exec_lo
	v_cmpx_lt_u32_e32 38, v194
	s_cbranch_execz .LBB87_352
; %bb.351:
	s_waitcnt lgkmcnt(0)
	v_mul_f64 v[176:177], v[248:249], v[22:23]
	v_mul_f64 v[22:23], v[250:251], v[22:23]
	s_delay_alu instid0(VALU_DEP_2) | instskip(SKIP_4) | instid1(VALU_DEP_1)
	v_fma_f64 v[180:181], v[250:251], v[20:21], v[176:177]
	ds_load_2addr_b64 v[176:179], v196 offset0:78 offset1:79
	v_fma_f64 v[20:21], v[248:249], v[20:21], -v[22:23]
	s_waitcnt lgkmcnt(0)
	v_mul_f64 v[22:23], v[178:179], v[180:181]
	v_fma_f64 v[22:23], v[176:177], v[20:21], -v[22:23]
	v_mul_f64 v[176:177], v[176:177], v[180:181]
	s_delay_alu instid0(VALU_DEP_2) | instskip(NEXT) | instid1(VALU_DEP_2)
	v_add_f64 v[16:17], v[16:17], -v[22:23]
	v_fma_f64 v[176:177], v[178:179], v[20:21], v[176:177]
	s_delay_alu instid0(VALU_DEP_1) | instskip(SKIP_3) | instid1(VALU_DEP_1)
	v_add_f64 v[18:19], v[18:19], -v[176:177]
	ds_load_2addr_b64 v[176:179], v196 offset0:80 offset1:81
	s_waitcnt lgkmcnt(0)
	v_mul_f64 v[22:23], v[178:179], v[180:181]
	v_fma_f64 v[22:23], v[176:177], v[20:21], -v[22:23]
	v_mul_f64 v[176:177], v[176:177], v[180:181]
	s_delay_alu instid0(VALU_DEP_2) | instskip(NEXT) | instid1(VALU_DEP_2)
	v_add_f64 v[12:13], v[12:13], -v[22:23]
	v_fma_f64 v[176:177], v[178:179], v[20:21], v[176:177]
	s_delay_alu instid0(VALU_DEP_1) | instskip(SKIP_3) | instid1(VALU_DEP_1)
	v_add_f64 v[14:15], v[14:15], -v[176:177]
	ds_load_2addr_b64 v[176:179], v196 offset0:82 offset1:83
	;; [unrolled: 10-line block ×4, first 2 shown]
	s_waitcnt lgkmcnt(0)
	v_mul_f64 v[22:23], v[178:179], v[180:181]
	v_fma_f64 v[22:23], v[176:177], v[20:21], -v[22:23]
	v_mul_f64 v[176:177], v[176:177], v[180:181]
	s_delay_alu instid0(VALU_DEP_2) | instskip(NEXT) | instid1(VALU_DEP_2)
	v_add_f64 v[0:1], v[0:1], -v[22:23]
	v_fma_f64 v[176:177], v[178:179], v[20:21], v[176:177]
	v_dual_mov_b32 v22, v180 :: v_dual_mov_b32 v23, v181
	s_delay_alu instid0(VALU_DEP_2)
	v_add_f64 v[2:3], v[2:3], -v[176:177]
.LBB87_352:
	s_or_b32 exec_lo, exec_lo, s3
	s_delay_alu instid0(SALU_CYCLE_1)
	s_mov_b32 s4, exec_lo
	s_waitcnt lgkmcnt(0)
	s_barrier
	buffer_gl0_inv
	v_cmpx_eq_u32_e32 39, v194
	s_cbranch_execz .LBB87_359
; %bb.353:
	ds_store_2addr_b64 v195, v[16:17], v[18:19] offset1:1
	ds_store_2addr_b64 v196, v[12:13], v[14:15] offset0:80 offset1:81
	ds_store_2addr_b64 v196, v[8:9], v[10:11] offset0:82 offset1:83
	;; [unrolled: 1-line block ×4, first 2 shown]
	ds_load_2addr_b64 v[176:179], v195 offset1:1
	s_waitcnt lgkmcnt(0)
	v_cmp_neq_f64_e32 vcc_lo, 0, v[176:177]
	v_cmp_neq_f64_e64 s3, 0, v[178:179]
	s_delay_alu instid0(VALU_DEP_1) | instskip(NEXT) | instid1(SALU_CYCLE_1)
	s_or_b32 s3, vcc_lo, s3
	s_and_b32 exec_lo, exec_lo, s3
	s_cbranch_execz .LBB87_359
; %bb.354:
	v_cmp_gt_f64_e32 vcc_lo, 0, v[176:177]
	v_xor_b32_e32 v180, 0x80000000, v177
	v_xor_b32_e32 v182, 0x80000000, v179
	s_mov_b32 s3, exec_lo
                                        ; implicit-def: $vgpr184_vgpr185
	s_delay_alu instid0(VALU_DEP_2) | instskip(SKIP_4) | instid1(VALU_DEP_1)
	v_cndmask_b32_e32 v181, v177, v180, vcc_lo
	v_cndmask_b32_e32 v180, v176, v176, vcc_lo
	v_cmp_gt_f64_e32 vcc_lo, 0, v[178:179]
	v_cndmask_b32_e32 v183, v179, v182, vcc_lo
	v_cndmask_b32_e32 v182, v178, v178, vcc_lo
	v_cmpx_ngt_f64_e32 v[180:181], v[182:183]
	s_xor_b32 s3, exec_lo, s3
                                        ; implicit-def: $vgpr180_vgpr181_vgpr182_vgpr183
	s_cbranch_execz .LBB87_356
; %bb.355:
	v_div_scale_f64 v[180:181], null, v[178:179], v[178:179], v[176:177]
	v_div_scale_f64 v[186:187], vcc_lo, v[176:177], v[178:179], v[176:177]
	s_delay_alu instid0(VALU_DEP_2) | instskip(SKIP_2) | instid1(VALU_DEP_1)
	v_rcp_f64_e32 v[182:183], v[180:181]
	s_waitcnt_depctr 0xfff
	v_fma_f64 v[184:185], -v[180:181], v[182:183], 1.0
	v_fma_f64 v[182:183], v[182:183], v[184:185], v[182:183]
	s_delay_alu instid0(VALU_DEP_1) | instskip(NEXT) | instid1(VALU_DEP_1)
	v_fma_f64 v[184:185], -v[180:181], v[182:183], 1.0
	v_fma_f64 v[182:183], v[182:183], v[184:185], v[182:183]
	s_delay_alu instid0(VALU_DEP_1) | instskip(NEXT) | instid1(VALU_DEP_1)
	v_mul_f64 v[184:185], v[186:187], v[182:183]
	v_fma_f64 v[180:181], -v[180:181], v[184:185], v[186:187]
	s_delay_alu instid0(VALU_DEP_1) | instskip(NEXT) | instid1(VALU_DEP_1)
	v_div_fmas_f64 v[180:181], v[180:181], v[182:183], v[184:185]
	v_div_fixup_f64 v[180:181], v[180:181], v[178:179], v[176:177]
	s_delay_alu instid0(VALU_DEP_1) | instskip(NEXT) | instid1(VALU_DEP_1)
	v_fma_f64 v[176:177], v[176:177], v[180:181], v[178:179]
	v_div_scale_f64 v[178:179], null, v[176:177], v[176:177], 1.0
	s_delay_alu instid0(VALU_DEP_1) | instskip(SKIP_2) | instid1(VALU_DEP_1)
	v_rcp_f64_e32 v[182:183], v[178:179]
	s_waitcnt_depctr 0xfff
	v_fma_f64 v[184:185], -v[178:179], v[182:183], 1.0
	v_fma_f64 v[182:183], v[182:183], v[184:185], v[182:183]
	s_delay_alu instid0(VALU_DEP_1) | instskip(NEXT) | instid1(VALU_DEP_1)
	v_fma_f64 v[184:185], -v[178:179], v[182:183], 1.0
	v_fma_f64 v[182:183], v[182:183], v[184:185], v[182:183]
	v_div_scale_f64 v[184:185], vcc_lo, 1.0, v[176:177], 1.0
	s_delay_alu instid0(VALU_DEP_1) | instskip(NEXT) | instid1(VALU_DEP_1)
	v_mul_f64 v[186:187], v[184:185], v[182:183]
	v_fma_f64 v[178:179], -v[178:179], v[186:187], v[184:185]
	s_delay_alu instid0(VALU_DEP_1) | instskip(NEXT) | instid1(VALU_DEP_1)
	v_div_fmas_f64 v[178:179], v[178:179], v[182:183], v[186:187]
	v_div_fixup_f64 v[182:183], v[178:179], v[176:177], 1.0
                                        ; implicit-def: $vgpr176_vgpr177
	s_delay_alu instid0(VALU_DEP_1)
	v_mul_f64 v[184:185], v[180:181], v[182:183]
	v_xor_b32_e32 v183, 0x80000000, v183
.LBB87_356:
	s_and_not1_saveexec_b32 s3, s3
	s_cbranch_execz .LBB87_358
; %bb.357:
	v_div_scale_f64 v[180:181], null, v[176:177], v[176:177], v[178:179]
	v_div_scale_f64 v[186:187], vcc_lo, v[178:179], v[176:177], v[178:179]
	s_delay_alu instid0(VALU_DEP_2) | instskip(SKIP_2) | instid1(VALU_DEP_1)
	v_rcp_f64_e32 v[182:183], v[180:181]
	s_waitcnt_depctr 0xfff
	v_fma_f64 v[184:185], -v[180:181], v[182:183], 1.0
	v_fma_f64 v[182:183], v[182:183], v[184:185], v[182:183]
	s_delay_alu instid0(VALU_DEP_1) | instskip(NEXT) | instid1(VALU_DEP_1)
	v_fma_f64 v[184:185], -v[180:181], v[182:183], 1.0
	v_fma_f64 v[182:183], v[182:183], v[184:185], v[182:183]
	s_delay_alu instid0(VALU_DEP_1) | instskip(NEXT) | instid1(VALU_DEP_1)
	v_mul_f64 v[184:185], v[186:187], v[182:183]
	v_fma_f64 v[180:181], -v[180:181], v[184:185], v[186:187]
	s_delay_alu instid0(VALU_DEP_1) | instskip(NEXT) | instid1(VALU_DEP_1)
	v_div_fmas_f64 v[180:181], v[180:181], v[182:183], v[184:185]
	v_div_fixup_f64 v[180:181], v[180:181], v[176:177], v[178:179]
	s_delay_alu instid0(VALU_DEP_1) | instskip(NEXT) | instid1(VALU_DEP_1)
	v_fma_f64 v[176:177], v[178:179], v[180:181], v[176:177]
	v_div_scale_f64 v[178:179], null, v[176:177], v[176:177], 1.0
	s_delay_alu instid0(VALU_DEP_1) | instskip(SKIP_2) | instid1(VALU_DEP_1)
	v_rcp_f64_e32 v[182:183], v[178:179]
	s_waitcnt_depctr 0xfff
	v_fma_f64 v[184:185], -v[178:179], v[182:183], 1.0
	v_fma_f64 v[182:183], v[182:183], v[184:185], v[182:183]
	s_delay_alu instid0(VALU_DEP_1) | instskip(NEXT) | instid1(VALU_DEP_1)
	v_fma_f64 v[184:185], -v[178:179], v[182:183], 1.0
	v_fma_f64 v[182:183], v[182:183], v[184:185], v[182:183]
	v_div_scale_f64 v[184:185], vcc_lo, 1.0, v[176:177], 1.0
	s_delay_alu instid0(VALU_DEP_1) | instskip(NEXT) | instid1(VALU_DEP_1)
	v_mul_f64 v[186:187], v[184:185], v[182:183]
	v_fma_f64 v[178:179], -v[178:179], v[186:187], v[184:185]
	s_delay_alu instid0(VALU_DEP_1) | instskip(NEXT) | instid1(VALU_DEP_1)
	v_div_fmas_f64 v[178:179], v[178:179], v[182:183], v[186:187]
	v_div_fixup_f64 v[184:185], v[178:179], v[176:177], 1.0
	s_delay_alu instid0(VALU_DEP_1)
	v_mul_f64 v[182:183], v[180:181], -v[184:185]
.LBB87_358:
	s_or_b32 exec_lo, exec_lo, s3
	ds_store_2addr_b64 v195, v[184:185], v[182:183] offset1:1
.LBB87_359:
	s_or_b32 exec_lo, exec_lo, s4
	s_waitcnt lgkmcnt(0)
	s_barrier
	buffer_gl0_inv
	ds_load_2addr_b64 v[252:255], v195 offset1:1
	s_mov_b32 s3, exec_lo
	v_cmpx_lt_u32_e32 39, v194
	s_cbranch_execz .LBB87_361
; %bb.360:
	s_waitcnt lgkmcnt(0)
	v_mul_f64 v[176:177], v[252:253], v[18:19]
	v_mul_f64 v[18:19], v[254:255], v[18:19]
	s_delay_alu instid0(VALU_DEP_2) | instskip(SKIP_4) | instid1(VALU_DEP_1)
	v_fma_f64 v[180:181], v[254:255], v[16:17], v[176:177]
	ds_load_2addr_b64 v[176:179], v196 offset0:80 offset1:81
	v_fma_f64 v[16:17], v[252:253], v[16:17], -v[18:19]
	s_waitcnt lgkmcnt(0)
	v_mul_f64 v[18:19], v[178:179], v[180:181]
	v_fma_f64 v[18:19], v[176:177], v[16:17], -v[18:19]
	v_mul_f64 v[176:177], v[176:177], v[180:181]
	s_delay_alu instid0(VALU_DEP_2) | instskip(NEXT) | instid1(VALU_DEP_2)
	v_add_f64 v[12:13], v[12:13], -v[18:19]
	v_fma_f64 v[176:177], v[178:179], v[16:17], v[176:177]
	s_delay_alu instid0(VALU_DEP_1) | instskip(SKIP_3) | instid1(VALU_DEP_1)
	v_add_f64 v[14:15], v[14:15], -v[176:177]
	ds_load_2addr_b64 v[176:179], v196 offset0:82 offset1:83
	s_waitcnt lgkmcnt(0)
	v_mul_f64 v[18:19], v[178:179], v[180:181]
	v_fma_f64 v[18:19], v[176:177], v[16:17], -v[18:19]
	v_mul_f64 v[176:177], v[176:177], v[180:181]
	s_delay_alu instid0(VALU_DEP_2) | instskip(NEXT) | instid1(VALU_DEP_2)
	v_add_f64 v[8:9], v[8:9], -v[18:19]
	v_fma_f64 v[176:177], v[178:179], v[16:17], v[176:177]
	s_delay_alu instid0(VALU_DEP_1) | instskip(SKIP_3) | instid1(VALU_DEP_1)
	v_add_f64 v[10:11], v[10:11], -v[176:177]
	ds_load_2addr_b64 v[176:179], v196 offset0:84 offset1:85
	;; [unrolled: 10-line block ×3, first 2 shown]
	s_waitcnt lgkmcnt(0)
	v_mul_f64 v[18:19], v[178:179], v[180:181]
	v_fma_f64 v[18:19], v[176:177], v[16:17], -v[18:19]
	v_mul_f64 v[176:177], v[176:177], v[180:181]
	s_delay_alu instid0(VALU_DEP_2) | instskip(NEXT) | instid1(VALU_DEP_2)
	v_add_f64 v[0:1], v[0:1], -v[18:19]
	v_fma_f64 v[176:177], v[178:179], v[16:17], v[176:177]
	v_dual_mov_b32 v18, v180 :: v_dual_mov_b32 v19, v181
	s_delay_alu instid0(VALU_DEP_2)
	v_add_f64 v[2:3], v[2:3], -v[176:177]
.LBB87_361:
	s_or_b32 exec_lo, exec_lo, s3
	s_delay_alu instid0(SALU_CYCLE_1)
	s_mov_b32 s4, exec_lo
	s_waitcnt lgkmcnt(0)
	s_barrier
	buffer_gl0_inv
	v_cmpx_eq_u32_e32 40, v194
	s_cbranch_execz .LBB87_368
; %bb.362:
	ds_store_2addr_b64 v195, v[12:13], v[14:15] offset1:1
	ds_store_2addr_b64 v196, v[8:9], v[10:11] offset0:82 offset1:83
	ds_store_2addr_b64 v196, v[4:5], v[6:7] offset0:84 offset1:85
	;; [unrolled: 1-line block ×3, first 2 shown]
	ds_load_2addr_b64 v[176:179], v195 offset1:1
	s_waitcnt lgkmcnt(0)
	v_cmp_neq_f64_e32 vcc_lo, 0, v[176:177]
	v_cmp_neq_f64_e64 s3, 0, v[178:179]
	s_delay_alu instid0(VALU_DEP_1) | instskip(NEXT) | instid1(SALU_CYCLE_1)
	s_or_b32 s3, vcc_lo, s3
	s_and_b32 exec_lo, exec_lo, s3
	s_cbranch_execz .LBB87_368
; %bb.363:
	v_cmp_gt_f64_e32 vcc_lo, 0, v[176:177]
	v_xor_b32_e32 v180, 0x80000000, v177
	v_xor_b32_e32 v182, 0x80000000, v179
	s_mov_b32 s3, exec_lo
                                        ; implicit-def: $vgpr184_vgpr185
	s_delay_alu instid0(VALU_DEP_2) | instskip(SKIP_4) | instid1(VALU_DEP_1)
	v_cndmask_b32_e32 v181, v177, v180, vcc_lo
	v_cndmask_b32_e32 v180, v176, v176, vcc_lo
	v_cmp_gt_f64_e32 vcc_lo, 0, v[178:179]
	v_cndmask_b32_e32 v183, v179, v182, vcc_lo
	v_cndmask_b32_e32 v182, v178, v178, vcc_lo
	v_cmpx_ngt_f64_e32 v[180:181], v[182:183]
	s_xor_b32 s3, exec_lo, s3
                                        ; implicit-def: $vgpr180_vgpr181_vgpr182_vgpr183
	s_cbranch_execz .LBB87_365
; %bb.364:
	v_div_scale_f64 v[180:181], null, v[178:179], v[178:179], v[176:177]
	v_div_scale_f64 v[186:187], vcc_lo, v[176:177], v[178:179], v[176:177]
	s_delay_alu instid0(VALU_DEP_2) | instskip(SKIP_2) | instid1(VALU_DEP_1)
	v_rcp_f64_e32 v[182:183], v[180:181]
	s_waitcnt_depctr 0xfff
	v_fma_f64 v[184:185], -v[180:181], v[182:183], 1.0
	v_fma_f64 v[182:183], v[182:183], v[184:185], v[182:183]
	s_delay_alu instid0(VALU_DEP_1) | instskip(NEXT) | instid1(VALU_DEP_1)
	v_fma_f64 v[184:185], -v[180:181], v[182:183], 1.0
	v_fma_f64 v[182:183], v[182:183], v[184:185], v[182:183]
	s_delay_alu instid0(VALU_DEP_1) | instskip(NEXT) | instid1(VALU_DEP_1)
	v_mul_f64 v[184:185], v[186:187], v[182:183]
	v_fma_f64 v[180:181], -v[180:181], v[184:185], v[186:187]
	s_delay_alu instid0(VALU_DEP_1) | instskip(NEXT) | instid1(VALU_DEP_1)
	v_div_fmas_f64 v[180:181], v[180:181], v[182:183], v[184:185]
	v_div_fixup_f64 v[180:181], v[180:181], v[178:179], v[176:177]
	s_delay_alu instid0(VALU_DEP_1) | instskip(NEXT) | instid1(VALU_DEP_1)
	v_fma_f64 v[176:177], v[176:177], v[180:181], v[178:179]
	v_div_scale_f64 v[178:179], null, v[176:177], v[176:177], 1.0
	s_delay_alu instid0(VALU_DEP_1) | instskip(SKIP_2) | instid1(VALU_DEP_1)
	v_rcp_f64_e32 v[182:183], v[178:179]
	s_waitcnt_depctr 0xfff
	v_fma_f64 v[184:185], -v[178:179], v[182:183], 1.0
	v_fma_f64 v[182:183], v[182:183], v[184:185], v[182:183]
	s_delay_alu instid0(VALU_DEP_1) | instskip(NEXT) | instid1(VALU_DEP_1)
	v_fma_f64 v[184:185], -v[178:179], v[182:183], 1.0
	v_fma_f64 v[182:183], v[182:183], v[184:185], v[182:183]
	v_div_scale_f64 v[184:185], vcc_lo, 1.0, v[176:177], 1.0
	s_delay_alu instid0(VALU_DEP_1) | instskip(NEXT) | instid1(VALU_DEP_1)
	v_mul_f64 v[186:187], v[184:185], v[182:183]
	v_fma_f64 v[178:179], -v[178:179], v[186:187], v[184:185]
	s_delay_alu instid0(VALU_DEP_1) | instskip(NEXT) | instid1(VALU_DEP_1)
	v_div_fmas_f64 v[178:179], v[178:179], v[182:183], v[186:187]
	v_div_fixup_f64 v[182:183], v[178:179], v[176:177], 1.0
                                        ; implicit-def: $vgpr176_vgpr177
	s_delay_alu instid0(VALU_DEP_1)
	v_mul_f64 v[184:185], v[180:181], v[182:183]
	v_xor_b32_e32 v183, 0x80000000, v183
.LBB87_365:
	s_and_not1_saveexec_b32 s3, s3
	s_cbranch_execz .LBB87_367
; %bb.366:
	v_div_scale_f64 v[180:181], null, v[176:177], v[176:177], v[178:179]
	v_div_scale_f64 v[186:187], vcc_lo, v[178:179], v[176:177], v[178:179]
	s_delay_alu instid0(VALU_DEP_2) | instskip(SKIP_2) | instid1(VALU_DEP_1)
	v_rcp_f64_e32 v[182:183], v[180:181]
	s_waitcnt_depctr 0xfff
	v_fma_f64 v[184:185], -v[180:181], v[182:183], 1.0
	v_fma_f64 v[182:183], v[182:183], v[184:185], v[182:183]
	s_delay_alu instid0(VALU_DEP_1) | instskip(NEXT) | instid1(VALU_DEP_1)
	v_fma_f64 v[184:185], -v[180:181], v[182:183], 1.0
	v_fma_f64 v[182:183], v[182:183], v[184:185], v[182:183]
	s_delay_alu instid0(VALU_DEP_1) | instskip(NEXT) | instid1(VALU_DEP_1)
	v_mul_f64 v[184:185], v[186:187], v[182:183]
	v_fma_f64 v[180:181], -v[180:181], v[184:185], v[186:187]
	s_delay_alu instid0(VALU_DEP_1) | instskip(NEXT) | instid1(VALU_DEP_1)
	v_div_fmas_f64 v[180:181], v[180:181], v[182:183], v[184:185]
	v_div_fixup_f64 v[180:181], v[180:181], v[176:177], v[178:179]
	s_delay_alu instid0(VALU_DEP_1) | instskip(NEXT) | instid1(VALU_DEP_1)
	v_fma_f64 v[176:177], v[178:179], v[180:181], v[176:177]
	v_div_scale_f64 v[178:179], null, v[176:177], v[176:177], 1.0
	s_delay_alu instid0(VALU_DEP_1) | instskip(SKIP_2) | instid1(VALU_DEP_1)
	v_rcp_f64_e32 v[182:183], v[178:179]
	s_waitcnt_depctr 0xfff
	v_fma_f64 v[184:185], -v[178:179], v[182:183], 1.0
	v_fma_f64 v[182:183], v[182:183], v[184:185], v[182:183]
	s_delay_alu instid0(VALU_DEP_1) | instskip(NEXT) | instid1(VALU_DEP_1)
	v_fma_f64 v[184:185], -v[178:179], v[182:183], 1.0
	v_fma_f64 v[182:183], v[182:183], v[184:185], v[182:183]
	v_div_scale_f64 v[184:185], vcc_lo, 1.0, v[176:177], 1.0
	s_delay_alu instid0(VALU_DEP_1) | instskip(NEXT) | instid1(VALU_DEP_1)
	v_mul_f64 v[186:187], v[184:185], v[182:183]
	v_fma_f64 v[178:179], -v[178:179], v[186:187], v[184:185]
	s_delay_alu instid0(VALU_DEP_1) | instskip(NEXT) | instid1(VALU_DEP_1)
	v_div_fmas_f64 v[178:179], v[178:179], v[182:183], v[186:187]
	v_div_fixup_f64 v[184:185], v[178:179], v[176:177], 1.0
	s_delay_alu instid0(VALU_DEP_1)
	v_mul_f64 v[182:183], v[180:181], -v[184:185]
.LBB87_367:
	s_or_b32 exec_lo, exec_lo, s3
	ds_store_2addr_b64 v195, v[184:185], v[182:183] offset1:1
.LBB87_368:
	s_or_b32 exec_lo, exec_lo, s4
	s_waitcnt lgkmcnt(0)
	s_barrier
	buffer_gl0_inv
	ds_load_2addr_b64 v[176:179], v195 offset1:1
	s_mov_b32 s3, exec_lo
	v_cmpx_lt_u32_e32 40, v194
	s_cbranch_execz .LBB87_370
; %bb.369:
	s_waitcnt lgkmcnt(0)
	v_mul_f64 v[180:181], v[176:177], v[14:15]
	v_mul_f64 v[14:15], v[178:179], v[14:15]
	s_delay_alu instid0(VALU_DEP_2) | instskip(SKIP_4) | instid1(VALU_DEP_1)
	v_fma_f64 v[184:185], v[178:179], v[12:13], v[180:181]
	ds_load_2addr_b64 v[180:183], v196 offset0:82 offset1:83
	v_fma_f64 v[12:13], v[176:177], v[12:13], -v[14:15]
	s_waitcnt lgkmcnt(0)
	v_mul_f64 v[14:15], v[182:183], v[184:185]
	v_fma_f64 v[14:15], v[180:181], v[12:13], -v[14:15]
	v_mul_f64 v[180:181], v[180:181], v[184:185]
	s_delay_alu instid0(VALU_DEP_2) | instskip(NEXT) | instid1(VALU_DEP_2)
	v_add_f64 v[8:9], v[8:9], -v[14:15]
	v_fma_f64 v[180:181], v[182:183], v[12:13], v[180:181]
	s_delay_alu instid0(VALU_DEP_1) | instskip(SKIP_3) | instid1(VALU_DEP_1)
	v_add_f64 v[10:11], v[10:11], -v[180:181]
	ds_load_2addr_b64 v[180:183], v196 offset0:84 offset1:85
	s_waitcnt lgkmcnt(0)
	v_mul_f64 v[14:15], v[182:183], v[184:185]
	v_fma_f64 v[14:15], v[180:181], v[12:13], -v[14:15]
	v_mul_f64 v[180:181], v[180:181], v[184:185]
	s_delay_alu instid0(VALU_DEP_2) | instskip(NEXT) | instid1(VALU_DEP_2)
	v_add_f64 v[4:5], v[4:5], -v[14:15]
	v_fma_f64 v[180:181], v[182:183], v[12:13], v[180:181]
	s_delay_alu instid0(VALU_DEP_1) | instskip(SKIP_3) | instid1(VALU_DEP_1)
	v_add_f64 v[6:7], v[6:7], -v[180:181]
	ds_load_2addr_b64 v[180:183], v196 offset0:86 offset1:87
	s_waitcnt lgkmcnt(0)
	v_mul_f64 v[14:15], v[182:183], v[184:185]
	v_fma_f64 v[14:15], v[180:181], v[12:13], -v[14:15]
	v_mul_f64 v[180:181], v[180:181], v[184:185]
	s_delay_alu instid0(VALU_DEP_2) | instskip(NEXT) | instid1(VALU_DEP_2)
	v_add_f64 v[0:1], v[0:1], -v[14:15]
	v_fma_f64 v[180:181], v[182:183], v[12:13], v[180:181]
	v_dual_mov_b32 v14, v184 :: v_dual_mov_b32 v15, v185
	s_delay_alu instid0(VALU_DEP_2)
	v_add_f64 v[2:3], v[2:3], -v[180:181]
.LBB87_370:
	s_or_b32 exec_lo, exec_lo, s3
	s_delay_alu instid0(SALU_CYCLE_1)
	s_mov_b32 s4, exec_lo
	s_waitcnt lgkmcnt(0)
	s_barrier
	buffer_gl0_inv
	v_cmpx_eq_u32_e32 41, v194
	s_cbranch_execz .LBB87_377
; %bb.371:
	ds_store_2addr_b64 v195, v[8:9], v[10:11] offset1:1
	ds_store_2addr_b64 v196, v[4:5], v[6:7] offset0:84 offset1:85
	ds_store_2addr_b64 v196, v[0:1], v[2:3] offset0:86 offset1:87
	ds_load_2addr_b64 v[180:183], v195 offset1:1
	s_waitcnt lgkmcnt(0)
	v_cmp_neq_f64_e32 vcc_lo, 0, v[180:181]
	v_cmp_neq_f64_e64 s3, 0, v[182:183]
	s_delay_alu instid0(VALU_DEP_1) | instskip(NEXT) | instid1(SALU_CYCLE_1)
	s_or_b32 s3, vcc_lo, s3
	s_and_b32 exec_lo, exec_lo, s3
	s_cbranch_execz .LBB87_377
; %bb.372:
	v_cmp_gt_f64_e32 vcc_lo, 0, v[180:181]
	v_xor_b32_e32 v184, 0x80000000, v181
	v_xor_b32_e32 v186, 0x80000000, v183
	s_mov_b32 s3, exec_lo
                                        ; implicit-def: $vgpr188_vgpr189
	s_delay_alu instid0(VALU_DEP_2) | instskip(SKIP_4) | instid1(VALU_DEP_1)
	v_cndmask_b32_e32 v185, v181, v184, vcc_lo
	v_cndmask_b32_e32 v184, v180, v180, vcc_lo
	v_cmp_gt_f64_e32 vcc_lo, 0, v[182:183]
	v_cndmask_b32_e32 v187, v183, v186, vcc_lo
	v_cndmask_b32_e32 v186, v182, v182, vcc_lo
	v_cmpx_ngt_f64_e32 v[184:185], v[186:187]
	s_xor_b32 s3, exec_lo, s3
                                        ; implicit-def: $vgpr184_vgpr185_vgpr186_vgpr187
	s_cbranch_execz .LBB87_374
; %bb.373:
	v_div_scale_f64 v[184:185], null, v[182:183], v[182:183], v[180:181]
	v_div_scale_f64 v[190:191], vcc_lo, v[180:181], v[182:183], v[180:181]
	s_delay_alu instid0(VALU_DEP_2) | instskip(SKIP_2) | instid1(VALU_DEP_1)
	v_rcp_f64_e32 v[186:187], v[184:185]
	s_waitcnt_depctr 0xfff
	v_fma_f64 v[188:189], -v[184:185], v[186:187], 1.0
	v_fma_f64 v[186:187], v[186:187], v[188:189], v[186:187]
	s_delay_alu instid0(VALU_DEP_1) | instskip(NEXT) | instid1(VALU_DEP_1)
	v_fma_f64 v[188:189], -v[184:185], v[186:187], 1.0
	v_fma_f64 v[186:187], v[186:187], v[188:189], v[186:187]
	s_delay_alu instid0(VALU_DEP_1) | instskip(NEXT) | instid1(VALU_DEP_1)
	v_mul_f64 v[188:189], v[190:191], v[186:187]
	v_fma_f64 v[184:185], -v[184:185], v[188:189], v[190:191]
	s_delay_alu instid0(VALU_DEP_1) | instskip(NEXT) | instid1(VALU_DEP_1)
	v_div_fmas_f64 v[184:185], v[184:185], v[186:187], v[188:189]
	v_div_fixup_f64 v[184:185], v[184:185], v[182:183], v[180:181]
	s_delay_alu instid0(VALU_DEP_1) | instskip(NEXT) | instid1(VALU_DEP_1)
	v_fma_f64 v[180:181], v[180:181], v[184:185], v[182:183]
	v_div_scale_f64 v[182:183], null, v[180:181], v[180:181], 1.0
	s_delay_alu instid0(VALU_DEP_1) | instskip(SKIP_2) | instid1(VALU_DEP_1)
	v_rcp_f64_e32 v[186:187], v[182:183]
	s_waitcnt_depctr 0xfff
	v_fma_f64 v[188:189], -v[182:183], v[186:187], 1.0
	v_fma_f64 v[186:187], v[186:187], v[188:189], v[186:187]
	s_delay_alu instid0(VALU_DEP_1) | instskip(NEXT) | instid1(VALU_DEP_1)
	v_fma_f64 v[188:189], -v[182:183], v[186:187], 1.0
	v_fma_f64 v[186:187], v[186:187], v[188:189], v[186:187]
	v_div_scale_f64 v[188:189], vcc_lo, 1.0, v[180:181], 1.0
	s_delay_alu instid0(VALU_DEP_1) | instskip(NEXT) | instid1(VALU_DEP_1)
	v_mul_f64 v[190:191], v[188:189], v[186:187]
	v_fma_f64 v[182:183], -v[182:183], v[190:191], v[188:189]
	s_delay_alu instid0(VALU_DEP_1) | instskip(NEXT) | instid1(VALU_DEP_1)
	v_div_fmas_f64 v[182:183], v[182:183], v[186:187], v[190:191]
	v_div_fixup_f64 v[186:187], v[182:183], v[180:181], 1.0
                                        ; implicit-def: $vgpr180_vgpr181
	s_delay_alu instid0(VALU_DEP_1)
	v_mul_f64 v[188:189], v[184:185], v[186:187]
	v_xor_b32_e32 v187, 0x80000000, v187
.LBB87_374:
	s_and_not1_saveexec_b32 s3, s3
	s_cbranch_execz .LBB87_376
; %bb.375:
	v_div_scale_f64 v[184:185], null, v[180:181], v[180:181], v[182:183]
	v_div_scale_f64 v[190:191], vcc_lo, v[182:183], v[180:181], v[182:183]
	s_delay_alu instid0(VALU_DEP_2) | instskip(SKIP_2) | instid1(VALU_DEP_1)
	v_rcp_f64_e32 v[186:187], v[184:185]
	s_waitcnt_depctr 0xfff
	v_fma_f64 v[188:189], -v[184:185], v[186:187], 1.0
	v_fma_f64 v[186:187], v[186:187], v[188:189], v[186:187]
	s_delay_alu instid0(VALU_DEP_1) | instskip(NEXT) | instid1(VALU_DEP_1)
	v_fma_f64 v[188:189], -v[184:185], v[186:187], 1.0
	v_fma_f64 v[186:187], v[186:187], v[188:189], v[186:187]
	s_delay_alu instid0(VALU_DEP_1) | instskip(NEXT) | instid1(VALU_DEP_1)
	v_mul_f64 v[188:189], v[190:191], v[186:187]
	v_fma_f64 v[184:185], -v[184:185], v[188:189], v[190:191]
	s_delay_alu instid0(VALU_DEP_1) | instskip(NEXT) | instid1(VALU_DEP_1)
	v_div_fmas_f64 v[184:185], v[184:185], v[186:187], v[188:189]
	v_div_fixup_f64 v[184:185], v[184:185], v[180:181], v[182:183]
	s_delay_alu instid0(VALU_DEP_1) | instskip(NEXT) | instid1(VALU_DEP_1)
	v_fma_f64 v[180:181], v[182:183], v[184:185], v[180:181]
	v_div_scale_f64 v[182:183], null, v[180:181], v[180:181], 1.0
	s_delay_alu instid0(VALU_DEP_1) | instskip(SKIP_2) | instid1(VALU_DEP_1)
	v_rcp_f64_e32 v[186:187], v[182:183]
	s_waitcnt_depctr 0xfff
	v_fma_f64 v[188:189], -v[182:183], v[186:187], 1.0
	v_fma_f64 v[186:187], v[186:187], v[188:189], v[186:187]
	s_delay_alu instid0(VALU_DEP_1) | instskip(NEXT) | instid1(VALU_DEP_1)
	v_fma_f64 v[188:189], -v[182:183], v[186:187], 1.0
	v_fma_f64 v[186:187], v[186:187], v[188:189], v[186:187]
	v_div_scale_f64 v[188:189], vcc_lo, 1.0, v[180:181], 1.0
	s_delay_alu instid0(VALU_DEP_1) | instskip(NEXT) | instid1(VALU_DEP_1)
	v_mul_f64 v[190:191], v[188:189], v[186:187]
	v_fma_f64 v[182:183], -v[182:183], v[190:191], v[188:189]
	s_delay_alu instid0(VALU_DEP_1) | instskip(NEXT) | instid1(VALU_DEP_1)
	v_div_fmas_f64 v[182:183], v[182:183], v[186:187], v[190:191]
	v_div_fixup_f64 v[188:189], v[182:183], v[180:181], 1.0
	s_delay_alu instid0(VALU_DEP_1)
	v_mul_f64 v[186:187], v[184:185], -v[188:189]
.LBB87_376:
	s_or_b32 exec_lo, exec_lo, s3
	ds_store_2addr_b64 v195, v[188:189], v[186:187] offset1:1
.LBB87_377:
	s_or_b32 exec_lo, exec_lo, s4
	s_waitcnt lgkmcnt(0)
	s_barrier
	buffer_gl0_inv
	ds_load_2addr_b64 v[180:183], v195 offset1:1
	s_mov_b32 s3, exec_lo
	v_cmpx_lt_u32_e32 41, v194
	s_cbranch_execz .LBB87_379
; %bb.378:
	s_waitcnt lgkmcnt(0)
	v_mul_f64 v[184:185], v[180:181], v[10:11]
	v_mul_f64 v[10:11], v[182:183], v[10:11]
	s_delay_alu instid0(VALU_DEP_2) | instskip(SKIP_4) | instid1(VALU_DEP_1)
	v_fma_f64 v[188:189], v[182:183], v[8:9], v[184:185]
	ds_load_2addr_b64 v[184:187], v196 offset0:84 offset1:85
	v_fma_f64 v[8:9], v[180:181], v[8:9], -v[10:11]
	s_waitcnt lgkmcnt(0)
	v_mul_f64 v[10:11], v[186:187], v[188:189]
	v_fma_f64 v[10:11], v[184:185], v[8:9], -v[10:11]
	v_mul_f64 v[184:185], v[184:185], v[188:189]
	s_delay_alu instid0(VALU_DEP_2) | instskip(NEXT) | instid1(VALU_DEP_2)
	v_add_f64 v[4:5], v[4:5], -v[10:11]
	v_fma_f64 v[184:185], v[186:187], v[8:9], v[184:185]
	s_delay_alu instid0(VALU_DEP_1) | instskip(SKIP_3) | instid1(VALU_DEP_1)
	v_add_f64 v[6:7], v[6:7], -v[184:185]
	ds_load_2addr_b64 v[184:187], v196 offset0:86 offset1:87
	s_waitcnt lgkmcnt(0)
	v_mul_f64 v[10:11], v[186:187], v[188:189]
	v_fma_f64 v[10:11], v[184:185], v[8:9], -v[10:11]
	v_mul_f64 v[184:185], v[184:185], v[188:189]
	s_delay_alu instid0(VALU_DEP_2) | instskip(NEXT) | instid1(VALU_DEP_2)
	v_add_f64 v[0:1], v[0:1], -v[10:11]
	v_fma_f64 v[184:185], v[186:187], v[8:9], v[184:185]
	v_dual_mov_b32 v10, v188 :: v_dual_mov_b32 v11, v189
	s_delay_alu instid0(VALU_DEP_2)
	v_add_f64 v[2:3], v[2:3], -v[184:185]
.LBB87_379:
	s_or_b32 exec_lo, exec_lo, s3
	s_delay_alu instid0(SALU_CYCLE_1)
	s_mov_b32 s4, exec_lo
	s_waitcnt lgkmcnt(0)
	s_barrier
	buffer_gl0_inv
	v_cmpx_eq_u32_e32 42, v194
	s_cbranch_execz .LBB87_386
; %bb.380:
	ds_store_2addr_b64 v195, v[4:5], v[6:7] offset1:1
	ds_store_2addr_b64 v196, v[0:1], v[2:3] offset0:86 offset1:87
	ds_load_2addr_b64 v[184:187], v195 offset1:1
	s_waitcnt lgkmcnt(0)
	v_cmp_neq_f64_e32 vcc_lo, 0, v[184:185]
	v_cmp_neq_f64_e64 s3, 0, v[186:187]
	s_delay_alu instid0(VALU_DEP_1) | instskip(NEXT) | instid1(SALU_CYCLE_1)
	s_or_b32 s3, vcc_lo, s3
	s_and_b32 exec_lo, exec_lo, s3
	s_cbranch_execz .LBB87_386
; %bb.381:
	v_cmp_gt_f64_e32 vcc_lo, 0, v[184:185]
	v_xor_b32_e32 v188, 0x80000000, v185
	v_xor_b32_e32 v190, 0x80000000, v187
	s_mov_b32 s3, exec_lo
                                        ; implicit-def: $vgpr192_vgpr193
	s_delay_alu instid0(VALU_DEP_2) | instskip(SKIP_4) | instid1(VALU_DEP_1)
	v_cndmask_b32_e32 v189, v185, v188, vcc_lo
	v_cndmask_b32_e32 v188, v184, v184, vcc_lo
	v_cmp_gt_f64_e32 vcc_lo, 0, v[186:187]
	v_cndmask_b32_e32 v191, v187, v190, vcc_lo
	v_cndmask_b32_e32 v190, v186, v186, vcc_lo
	v_cmpx_ngt_f64_e32 v[188:189], v[190:191]
	s_xor_b32 s3, exec_lo, s3
                                        ; implicit-def: $vgpr188_vgpr189_vgpr190_vgpr191
	s_cbranch_execz .LBB87_383
; %bb.382:
	v_div_scale_f64 v[188:189], null, v[186:187], v[186:187], v[184:185]
	v_dual_mov_b32 v172, v197 :: v_dual_mov_b32 v173, v198
	v_div_scale_f64 v[197:198], vcc_lo, v[184:185], v[186:187], v[184:185]
	s_delay_alu instid0(VALU_DEP_3) | instskip(SKIP_2) | instid1(VALU_DEP_1)
	v_rcp_f64_e32 v[190:191], v[188:189]
	s_waitcnt_depctr 0xfff
	v_fma_f64 v[192:193], -v[188:189], v[190:191], 1.0
	v_fma_f64 v[190:191], v[190:191], v[192:193], v[190:191]
	s_delay_alu instid0(VALU_DEP_1) | instskip(NEXT) | instid1(VALU_DEP_1)
	v_fma_f64 v[192:193], -v[188:189], v[190:191], 1.0
	v_fma_f64 v[190:191], v[190:191], v[192:193], v[190:191]
	s_delay_alu instid0(VALU_DEP_1) | instskip(NEXT) | instid1(VALU_DEP_1)
	v_mul_f64 v[192:193], v[197:198], v[190:191]
	v_fma_f64 v[188:189], -v[188:189], v[192:193], v[197:198]
	s_delay_alu instid0(VALU_DEP_1) | instskip(NEXT) | instid1(VALU_DEP_1)
	v_div_fmas_f64 v[188:189], v[188:189], v[190:191], v[192:193]
	v_div_fixup_f64 v[188:189], v[188:189], v[186:187], v[184:185]
	s_delay_alu instid0(VALU_DEP_1) | instskip(NEXT) | instid1(VALU_DEP_1)
	v_fma_f64 v[184:185], v[184:185], v[188:189], v[186:187]
	v_div_scale_f64 v[186:187], null, v[184:185], v[184:185], 1.0
	s_delay_alu instid0(VALU_DEP_1) | instskip(SKIP_2) | instid1(VALU_DEP_1)
	v_rcp_f64_e32 v[190:191], v[186:187]
	s_waitcnt_depctr 0xfff
	v_fma_f64 v[192:193], -v[186:187], v[190:191], 1.0
	v_fma_f64 v[190:191], v[190:191], v[192:193], v[190:191]
	s_delay_alu instid0(VALU_DEP_1) | instskip(NEXT) | instid1(VALU_DEP_1)
	v_fma_f64 v[192:193], -v[186:187], v[190:191], 1.0
	v_fma_f64 v[190:191], v[190:191], v[192:193], v[190:191]
	v_div_scale_f64 v[192:193], vcc_lo, 1.0, v[184:185], 1.0
	s_delay_alu instid0(VALU_DEP_1) | instskip(NEXT) | instid1(VALU_DEP_1)
	v_mul_f64 v[197:198], v[192:193], v[190:191]
	v_fma_f64 v[186:187], -v[186:187], v[197:198], v[192:193]
	s_delay_alu instid0(VALU_DEP_1) | instskip(SKIP_1) | instid1(VALU_DEP_2)
	v_div_fmas_f64 v[186:187], v[186:187], v[190:191], v[197:198]
	v_dual_mov_b32 v198, v173 :: v_dual_mov_b32 v197, v172
	v_div_fixup_f64 v[190:191], v[186:187], v[184:185], 1.0
                                        ; implicit-def: $vgpr184_vgpr185
	s_delay_alu instid0(VALU_DEP_1)
	v_mul_f64 v[192:193], v[188:189], v[190:191]
	v_xor_b32_e32 v191, 0x80000000, v191
.LBB87_383:
	s_and_not1_saveexec_b32 s3, s3
	s_cbranch_execz .LBB87_385
; %bb.384:
	v_div_scale_f64 v[188:189], null, v[184:185], v[184:185], v[186:187]
	v_dual_mov_b32 v172, v197 :: v_dual_mov_b32 v173, v198
	v_div_scale_f64 v[197:198], vcc_lo, v[186:187], v[184:185], v[186:187]
	s_delay_alu instid0(VALU_DEP_3) | instskip(SKIP_2) | instid1(VALU_DEP_1)
	v_rcp_f64_e32 v[190:191], v[188:189]
	s_waitcnt_depctr 0xfff
	v_fma_f64 v[192:193], -v[188:189], v[190:191], 1.0
	v_fma_f64 v[190:191], v[190:191], v[192:193], v[190:191]
	s_delay_alu instid0(VALU_DEP_1) | instskip(NEXT) | instid1(VALU_DEP_1)
	v_fma_f64 v[192:193], -v[188:189], v[190:191], 1.0
	v_fma_f64 v[190:191], v[190:191], v[192:193], v[190:191]
	s_delay_alu instid0(VALU_DEP_1) | instskip(NEXT) | instid1(VALU_DEP_1)
	v_mul_f64 v[192:193], v[197:198], v[190:191]
	v_fma_f64 v[188:189], -v[188:189], v[192:193], v[197:198]
	s_delay_alu instid0(VALU_DEP_1) | instskip(NEXT) | instid1(VALU_DEP_1)
	v_div_fmas_f64 v[188:189], v[188:189], v[190:191], v[192:193]
	v_div_fixup_f64 v[188:189], v[188:189], v[184:185], v[186:187]
	s_delay_alu instid0(VALU_DEP_1) | instskip(NEXT) | instid1(VALU_DEP_1)
	v_fma_f64 v[184:185], v[186:187], v[188:189], v[184:185]
	v_div_scale_f64 v[186:187], null, v[184:185], v[184:185], 1.0
	s_delay_alu instid0(VALU_DEP_1) | instskip(SKIP_2) | instid1(VALU_DEP_1)
	v_rcp_f64_e32 v[190:191], v[186:187]
	s_waitcnt_depctr 0xfff
	v_fma_f64 v[192:193], -v[186:187], v[190:191], 1.0
	v_fma_f64 v[190:191], v[190:191], v[192:193], v[190:191]
	s_delay_alu instid0(VALU_DEP_1) | instskip(NEXT) | instid1(VALU_DEP_1)
	v_fma_f64 v[192:193], -v[186:187], v[190:191], 1.0
	v_fma_f64 v[190:191], v[190:191], v[192:193], v[190:191]
	v_div_scale_f64 v[192:193], vcc_lo, 1.0, v[184:185], 1.0
	s_delay_alu instid0(VALU_DEP_1) | instskip(NEXT) | instid1(VALU_DEP_1)
	v_mul_f64 v[197:198], v[192:193], v[190:191]
	v_fma_f64 v[186:187], -v[186:187], v[197:198], v[192:193]
	s_delay_alu instid0(VALU_DEP_1) | instskip(SKIP_1) | instid1(VALU_DEP_2)
	v_div_fmas_f64 v[186:187], v[186:187], v[190:191], v[197:198]
	v_dual_mov_b32 v198, v173 :: v_dual_mov_b32 v197, v172
	v_div_fixup_f64 v[192:193], v[186:187], v[184:185], 1.0
	s_delay_alu instid0(VALU_DEP_1)
	v_mul_f64 v[190:191], v[188:189], -v[192:193]
.LBB87_385:
	s_or_b32 exec_lo, exec_lo, s3
	ds_store_2addr_b64 v195, v[192:193], v[190:191] offset1:1
.LBB87_386:
	s_or_b32 exec_lo, exec_lo, s4
	s_waitcnt lgkmcnt(0)
	s_barrier
	buffer_gl0_inv
	ds_load_2addr_b64 v[184:187], v195 offset1:1
	s_mov_b32 s3, exec_lo
	v_cmpx_lt_u32_e32 42, v194
	s_cbranch_execz .LBB87_388
; %bb.387:
	s_waitcnt lgkmcnt(0)
	v_mul_f64 v[188:189], v[184:185], v[6:7]
	v_mul_f64 v[6:7], v[186:187], v[6:7]
	s_delay_alu instid0(VALU_DEP_2) | instskip(SKIP_4) | instid1(VALU_DEP_1)
	v_fma_f64 v[192:193], v[186:187], v[4:5], v[188:189]
	ds_load_2addr_b64 v[188:191], v196 offset0:86 offset1:87
	v_fma_f64 v[4:5], v[184:185], v[4:5], -v[6:7]
	s_waitcnt lgkmcnt(0)
	v_mul_f64 v[6:7], v[190:191], v[192:193]
	v_fma_f64 v[6:7], v[188:189], v[4:5], -v[6:7]
	v_mul_f64 v[188:189], v[188:189], v[192:193]
	s_delay_alu instid0(VALU_DEP_2) | instskip(NEXT) | instid1(VALU_DEP_2)
	v_add_f64 v[0:1], v[0:1], -v[6:7]
	v_fma_f64 v[188:189], v[190:191], v[4:5], v[188:189]
	v_dual_mov_b32 v6, v192 :: v_dual_mov_b32 v7, v193
	s_delay_alu instid0(VALU_DEP_2)
	v_add_f64 v[2:3], v[2:3], -v[188:189]
.LBB87_388:
	s_or_b32 exec_lo, exec_lo, s3
	s_delay_alu instid0(SALU_CYCLE_1)
	s_mov_b32 s4, exec_lo
	s_waitcnt lgkmcnt(0)
	s_barrier
	buffer_gl0_inv
	v_cmpx_eq_u32_e32 43, v194
	s_cbranch_execz .LBB87_395
; %bb.389:
	v_cmp_neq_f64_e32 vcc_lo, 0, v[0:1]
	v_cmp_neq_f64_e64 s3, 0, v[2:3]
	ds_store_2addr_b64 v195, v[0:1], v[2:3] offset1:1
	s_or_b32 s3, vcc_lo, s3
	s_delay_alu instid0(SALU_CYCLE_1)
	s_and_b32 exec_lo, exec_lo, s3
	s_cbranch_execz .LBB87_395
; %bb.390:
	v_cmp_gt_f64_e32 vcc_lo, 0, v[0:1]
	v_xor_b32_e32 v188, 0x80000000, v1
	v_xor_b32_e32 v190, 0x80000000, v3
	s_mov_b32 s3, exec_lo
                                        ; implicit-def: $vgpr192_vgpr193
	s_delay_alu instid0(VALU_DEP_2) | instskip(SKIP_4) | instid1(VALU_DEP_1)
	v_cndmask_b32_e32 v189, v1, v188, vcc_lo
	v_cndmask_b32_e32 v188, v0, v0, vcc_lo
	v_cmp_gt_f64_e32 vcc_lo, 0, v[2:3]
	v_cndmask_b32_e32 v191, v3, v190, vcc_lo
	v_cndmask_b32_e32 v190, v2, v2, vcc_lo
	v_cmpx_ngt_f64_e32 v[188:189], v[190:191]
	s_xor_b32 s3, exec_lo, s3
                                        ; implicit-def: $vgpr188_vgpr189_vgpr190_vgpr191
	s_cbranch_execz .LBB87_392
; %bb.391:
	v_div_scale_f64 v[188:189], null, v[2:3], v[2:3], v[0:1]
	v_dual_mov_b32 v168, v174 :: v_dual_mov_b32 v169, v175
	v_dual_mov_b32 v174, v197 :: v_dual_mov_b32 v175, v198
	v_div_scale_f64 v[196:197], vcc_lo, v[0:1], v[2:3], v[0:1]
	v_dual_mov_b32 v172, v233 :: v_dual_mov_b32 v173, v234
	v_dual_mov_b32 v235, v232 :: v_dual_mov_b32 v234, v231
	;; [unrolled: 1-line block ×15, first 2 shown]
	v_rcp_f64_e32 v[190:191], v[188:189]
	v_dual_mov_b32 v207, v204 :: v_dual_mov_b32 v206, v203
	v_dual_mov_b32 v205, v202 :: v_dual_mov_b32 v204, v201
	s_waitcnt_depctr 0xfff
	v_fma_f64 v[192:193], -v[188:189], v[190:191], 1.0
	s_delay_alu instid0(VALU_DEP_1) | instskip(NEXT) | instid1(VALU_DEP_1)
	v_fma_f64 v[190:191], v[190:191], v[192:193], v[190:191]
	v_fma_f64 v[192:193], -v[188:189], v[190:191], 1.0
	s_delay_alu instid0(VALU_DEP_1) | instskip(NEXT) | instid1(VALU_DEP_1)
	v_fma_f64 v[190:191], v[190:191], v[192:193], v[190:191]
	v_mul_f64 v[192:193], v[196:197], v[190:191]
	s_delay_alu instid0(VALU_DEP_1) | instskip(NEXT) | instid1(VALU_DEP_1)
	v_fma_f64 v[188:189], -v[188:189], v[192:193], v[196:197]
	v_div_fmas_f64 v[188:189], v[188:189], v[190:191], v[192:193]
	s_delay_alu instid0(VALU_DEP_1) | instskip(NEXT) | instid1(VALU_DEP_1)
	v_div_fixup_f64 v[188:189], v[188:189], v[2:3], v[0:1]
	v_fma_f64 v[190:191], v[0:1], v[188:189], v[2:3]
	s_delay_alu instid0(VALU_DEP_1) | instskip(NEXT) | instid1(VALU_DEP_1)
	v_div_scale_f64 v[192:193], null, v[190:191], v[190:191], 1.0
	v_rcp_f64_e32 v[196:197], v[192:193]
	s_waitcnt_depctr 0xfff
	v_fma_f64 v[198:199], -v[192:193], v[196:197], 1.0
	s_delay_alu instid0(VALU_DEP_1) | instskip(NEXT) | instid1(VALU_DEP_1)
	v_fma_f64 v[196:197], v[196:197], v[198:199], v[196:197]
	v_fma_f64 v[198:199], -v[192:193], v[196:197], 1.0
	s_delay_alu instid0(VALU_DEP_1) | instskip(SKIP_1) | instid1(VALU_DEP_1)
	v_fma_f64 v[196:197], v[196:197], v[198:199], v[196:197]
	v_div_scale_f64 v[198:199], vcc_lo, 1.0, v[190:191], 1.0
	v_mul_f64 v[200:201], v[198:199], v[196:197]
	s_delay_alu instid0(VALU_DEP_1) | instskip(NEXT) | instid1(VALU_DEP_1)
	v_fma_f64 v[192:193], -v[192:193], v[200:201], v[198:199]
	v_div_fmas_f64 v[192:193], v[192:193], v[196:197], v[200:201]
	v_dual_mov_b32 v198, v175 :: v_dual_mov_b32 v197, v174
	v_dual_mov_b32 v175, v169 :: v_dual_mov_b32 v174, v168
	;; [unrolled: 1-line block ×19, first 2 shown]
	v_div_fixup_f64 v[190:191], v[192:193], v[190:191], 1.0
	s_delay_alu instid0(VALU_DEP_1)
	v_mul_f64 v[192:193], v[188:189], v[190:191]
	v_xor_b32_e32 v191, 0x80000000, v191
.LBB87_392:
	s_and_not1_saveexec_b32 s3, s3
	s_cbranch_execz .LBB87_394
; %bb.393:
	v_div_scale_f64 v[188:189], null, v[0:1], v[0:1], v[2:3]
	v_dual_mov_b32 v168, v174 :: v_dual_mov_b32 v169, v175
	v_dual_mov_b32 v174, v197 :: v_dual_mov_b32 v175, v198
	v_div_scale_f64 v[196:197], vcc_lo, v[2:3], v[0:1], v[2:3]
	v_dual_mov_b32 v172, v233 :: v_dual_mov_b32 v173, v234
	v_dual_mov_b32 v235, v232 :: v_dual_mov_b32 v234, v231
	;; [unrolled: 1-line block ×15, first 2 shown]
	v_rcp_f64_e32 v[190:191], v[188:189]
	v_dual_mov_b32 v207, v204 :: v_dual_mov_b32 v206, v203
	v_dual_mov_b32 v205, v202 :: v_dual_mov_b32 v204, v201
	s_waitcnt_depctr 0xfff
	v_fma_f64 v[192:193], -v[188:189], v[190:191], 1.0
	s_delay_alu instid0(VALU_DEP_1) | instskip(NEXT) | instid1(VALU_DEP_1)
	v_fma_f64 v[190:191], v[190:191], v[192:193], v[190:191]
	v_fma_f64 v[192:193], -v[188:189], v[190:191], 1.0
	s_delay_alu instid0(VALU_DEP_1) | instskip(NEXT) | instid1(VALU_DEP_1)
	v_fma_f64 v[190:191], v[190:191], v[192:193], v[190:191]
	v_mul_f64 v[192:193], v[196:197], v[190:191]
	s_delay_alu instid0(VALU_DEP_1) | instskip(NEXT) | instid1(VALU_DEP_1)
	v_fma_f64 v[188:189], -v[188:189], v[192:193], v[196:197]
	v_div_fmas_f64 v[188:189], v[188:189], v[190:191], v[192:193]
	s_delay_alu instid0(VALU_DEP_1) | instskip(NEXT) | instid1(VALU_DEP_1)
	v_div_fixup_f64 v[188:189], v[188:189], v[0:1], v[2:3]
	v_fma_f64 v[190:191], v[2:3], v[188:189], v[0:1]
	s_delay_alu instid0(VALU_DEP_1) | instskip(NEXT) | instid1(VALU_DEP_1)
	v_div_scale_f64 v[192:193], null, v[190:191], v[190:191], 1.0
	v_rcp_f64_e32 v[196:197], v[192:193]
	s_waitcnt_depctr 0xfff
	v_fma_f64 v[198:199], -v[192:193], v[196:197], 1.0
	s_delay_alu instid0(VALU_DEP_1) | instskip(NEXT) | instid1(VALU_DEP_1)
	v_fma_f64 v[196:197], v[196:197], v[198:199], v[196:197]
	v_fma_f64 v[198:199], -v[192:193], v[196:197], 1.0
	s_delay_alu instid0(VALU_DEP_1) | instskip(SKIP_1) | instid1(VALU_DEP_1)
	v_fma_f64 v[196:197], v[196:197], v[198:199], v[196:197]
	v_div_scale_f64 v[198:199], vcc_lo, 1.0, v[190:191], 1.0
	v_mul_f64 v[200:201], v[198:199], v[196:197]
	s_delay_alu instid0(VALU_DEP_1) | instskip(NEXT) | instid1(VALU_DEP_1)
	v_fma_f64 v[192:193], -v[192:193], v[200:201], v[198:199]
	v_div_fmas_f64 v[192:193], v[192:193], v[196:197], v[200:201]
	v_dual_mov_b32 v198, v175 :: v_dual_mov_b32 v197, v174
	v_dual_mov_b32 v175, v169 :: v_dual_mov_b32 v174, v168
	v_dual_mov_b32 v201, v204 :: v_dual_mov_b32 v202, v205
	v_dual_mov_b32 v203, v206 :: v_dual_mov_b32 v204, v207
	v_dual_mov_b32 v205, v208 :: v_dual_mov_b32 v206, v209
	v_dual_mov_b32 v207, v210 :: v_dual_mov_b32 v208, v211
	v_dual_mov_b32 v209, v212 :: v_dual_mov_b32 v210, v213
	v_dual_mov_b32 v211, v214 :: v_dual_mov_b32 v212, v215
	v_dual_mov_b32 v213, v216 :: v_dual_mov_b32 v214, v217
	v_dual_mov_b32 v215, v218 :: v_dual_mov_b32 v216, v219
	v_dual_mov_b32 v217, v220 :: v_dual_mov_b32 v218, v221
	v_dual_mov_b32 v219, v222 :: v_dual_mov_b32 v220, v223
	v_dual_mov_b32 v221, v224 :: v_dual_mov_b32 v222, v225
	v_dual_mov_b32 v223, v226 :: v_dual_mov_b32 v224, v227
	v_dual_mov_b32 v225, v228 :: v_dual_mov_b32 v226, v229
	v_dual_mov_b32 v227, v230 :: v_dual_mov_b32 v228, v231
	v_dual_mov_b32 v229, v232 :: v_dual_mov_b32 v230, v233
	v_dual_mov_b32 v231, v234 :: v_dual_mov_b32 v232, v235
	v_dual_mov_b32 v234, v173 :: v_dual_mov_b32 v233, v172
	v_div_fixup_f64 v[192:193], v[192:193], v[190:191], 1.0
	s_delay_alu instid0(VALU_DEP_1)
	v_mul_f64 v[190:191], v[188:189], -v[192:193]
.LBB87_394:
	s_or_b32 exec_lo, exec_lo, s3
	ds_store_2addr_b64 v195, v[192:193], v[190:191] offset1:1
.LBB87_395:
	s_or_b32 exec_lo, exec_lo, s4
	s_waitcnt lgkmcnt(0)
	s_barrier
	buffer_gl0_inv
	ds_load_2addr_b64 v[188:191], v195 offset1:1
	s_mov_b32 s3, exec_lo
	v_cmpx_lt_u32_e32 43, v194
	s_cbranch_execz .LBB87_397
; %bb.396:
	s_waitcnt lgkmcnt(0)
	v_mul_f64 v[192:193], v[190:191], v[2:3]
	v_mul_f64 v[2:3], v[188:189], v[2:3]
	s_delay_alu instid0(VALU_DEP_2) | instskip(NEXT) | instid1(VALU_DEP_2)
	v_fma_f64 v[192:193], v[188:189], v[0:1], -v[192:193]
	v_fma_f64 v[2:3], v[190:191], v[0:1], v[2:3]
	s_delay_alu instid0(VALU_DEP_2)
	v_dual_mov_b32 v0, v192 :: v_dual_mov_b32 v1, v193
.LBB87_397:
	s_or_b32 exec_lo, exec_lo, s3
	s_waitcnt lgkmcnt(0)
	s_barrier
	buffer_gl0_inv
	s_and_saveexec_b32 s12, s2
	s_cbranch_execz .LBB87_400
; %bb.398:
	scratch_load_b128 v[192:195], off, off offset:224 ; 16-byte Folded Reload
	s_waitcnt vmcnt(0)
	v_cmp_eq_f64_e32 vcc_lo, 0, v[192:193]
	v_cmp_eq_f64_e64 s2, 0, v[194:195]
	scratch_load_b128 v[192:195], off, off offset:240 ; 16-byte Folded Reload
	s_and_b32 s2, vcc_lo, s2
	s_waitcnt vmcnt(0)
	v_cmp_neq_f64_e64 s3, 0, v[192:193]
	v_cmp_neq_f64_e64 s4, 0, v[194:195]
	scratch_load_b128 v[192:195], off, off offset:256 ; 16-byte Folded Reload
	s_or_b32 s3, s3, s4
	s_delay_alu instid0(SALU_CYCLE_1)
	s_or_b32 vcc_lo, s3, s2
	s_waitcnt vmcnt(0)
	v_cmp_eq_f64_e64 s5, 0, v[192:193]
	v_cmp_eq_f64_e64 s6, 0, v[194:195]
	scratch_load_b128 v[192:195], off, off offset:272 ; 16-byte Folded Reload
	s_and_b32 s4, s5, s6
	s_waitcnt vmcnt(0)
	v_cmp_eq_f64_e64 s7, 0, v[192:193]
	v_cmp_eq_f64_e64 s8, 0, v[194:195]
	scratch_load_b128 v[192:195], off, off offset:288 ; 16-byte Folded Reload
	s_and_b32 s6, s7, s8
	s_waitcnt vmcnt(0)
	v_cmp_eq_f64_e64 s9, 0, v[192:193]
	v_cmp_eq_f64_e64 s10, 0, v[194:195]
	scratch_load_b128 v[193:196], off, off offset:304 ; 16-byte Folded Reload
	v_cndmask_b32_e64 v192, 0, 1, s2
	s_delay_alu instid0(VALU_DEP_1) | instskip(NEXT) | instid1(VALU_DEP_1)
	v_cndmask_b32_e32 v192, 2, v192, vcc_lo
	v_cmp_eq_u32_e64 s3, 0, v192
	s_delay_alu instid0(VALU_DEP_1) | instskip(NEXT) | instid1(SALU_CYCLE_1)
	s_and_b32 s3, s4, s3
	v_cndmask_b32_e64 v192, v192, 3, s3
	s_delay_alu instid0(VALU_DEP_1) | instskip(NEXT) | instid1(VALU_DEP_1)
	v_cmp_eq_u32_e64 s5, 0, v192
	s_and_b32 s5, s6, s5
	s_delay_alu instid0(SALU_CYCLE_1) | instskip(NEXT) | instid1(VALU_DEP_1)
	v_cndmask_b32_e64 v192, v192, 4, s5
	v_cmp_eq_u32_e64 s7, 0, v192
	s_and_b32 s8, s9, s10
	s_delay_alu instid0(VALU_DEP_1) | instid1(SALU_CYCLE_1)
	s_and_b32 s7, s8, s7
	s_delay_alu instid0(SALU_CYCLE_1) | instskip(NEXT) | instid1(VALU_DEP_1)
	v_cndmask_b32_e64 v192, v192, 5, s7
	v_cmp_eq_u32_e64 s9, 0, v192
	s_waitcnt vmcnt(0)
	v_cmp_eq_f64_e32 vcc_lo, 0, v[193:194]
	v_cmp_eq_f64_e64 s2, 0, v[195:196]
	scratch_load_b128 v[193:196], off, off offset:320 ; 16-byte Folded Reload
	s_and_b32 s2, vcc_lo, s2
	s_delay_alu instid0(SALU_CYCLE_1) | instskip(NEXT) | instid1(SALU_CYCLE_1)
	s_and_b32 s2, s2, s9
	v_cndmask_b32_e64 v192, v192, 6, s2
	s_delay_alu instid0(VALU_DEP_1)
	v_cmp_eq_u32_e64 s9, 0, v192
	s_waitcnt vmcnt(0)
	v_cmp_eq_f64_e64 s3, 0, v[193:194]
	v_cmp_eq_f64_e64 s4, 0, v[195:196]
	scratch_load_b128 v[193:196], off, off offset:336 ; 16-byte Folded Reload
	s_and_b32 s3, s3, s4
	s_delay_alu instid0(SALU_CYCLE_1) | instskip(NEXT) | instid1(SALU_CYCLE_1)
	s_and_b32 s3, s3, s9
	v_cndmask_b32_e64 v192, v192, 7, s3
	s_delay_alu instid0(VALU_DEP_1)
	v_cmp_eq_u32_e64 s9, 0, v192
	s_waitcnt vmcnt(0)
	v_cmp_eq_f64_e64 s5, 0, v[193:194]
	v_cmp_eq_f64_e64 s6, 0, v[195:196]
	scratch_load_b128 v[193:196], off, off offset:352 ; 16-byte Folded Reload
	s_and_b32 s5, s5, s6
	;; [unrolled: 10-line block ×3, first 2 shown]
	s_delay_alu instid0(SALU_CYCLE_1) | instskip(NEXT) | instid1(SALU_CYCLE_1)
	s_and_b32 s7, s7, s9
	v_cndmask_b32_e64 v192, v192, 9, s7
	s_delay_alu instid0(VALU_DEP_1)
	v_cmp_eq_u32_e64 s9, 0, v192
	s_waitcnt vmcnt(0)
	v_cmp_eq_f64_e32 vcc_lo, 0, v[193:194]
	v_cmp_eq_f64_e64 s2, 0, v[195:196]
	scratch_load_b128 v[193:196], off, off offset:384 ; 16-byte Folded Reload
	s_and_b32 s2, vcc_lo, s2
	s_delay_alu instid0(SALU_CYCLE_1) | instskip(NEXT) | instid1(SALU_CYCLE_1)
	s_and_b32 s2, s2, s9
	v_cndmask_b32_e64 v192, v192, 10, s2
	s_delay_alu instid0(VALU_DEP_1)
	v_cmp_eq_u32_e32 vcc_lo, 0, v192
	s_waitcnt vmcnt(0)
	v_cmp_eq_f64_e64 s3, 0, v[193:194]
	v_cmp_eq_f64_e64 s4, 0, v[195:196]
	scratch_load_b128 v[193:196], off, off offset:400 ; 16-byte Folded Reload
	s_and_b32 s4, s3, s4
	s_delay_alu instid0(SALU_CYCLE_1) | instskip(NEXT) | instid1(SALU_CYCLE_1)
	s_and_b32 s4, s4, vcc_lo
	v_cndmask_b32_e64 v192, v192, 11, s4
	s_delay_alu instid0(VALU_DEP_1)
	v_cmp_eq_u32_e32 vcc_lo, 0, v192
	s_waitcnt vmcnt(0)
	v_cmp_eq_f64_e64 s5, 0, v[193:194]
	v_cmp_eq_f64_e64 s6, 0, v[195:196]
	scratch_load_b128 v[193:196], off, off offset:416 ; 16-byte Folded Reload
	s_and_b32 s4, s5, s6
	s_delay_alu instid0(SALU_CYCLE_1) | instskip(NEXT) | instid1(SALU_CYCLE_1)
	s_and_b32 s4, s4, vcc_lo
	v_cndmask_b32_e64 v192, v192, 12, s4
	s_delay_alu instid0(VALU_DEP_1)
	v_cmp_eq_u32_e32 vcc_lo, 0, v192
	s_waitcnt vmcnt(0)
	v_cmp_eq_f64_e64 s7, 0, v[193:194]
	v_cmp_eq_f64_e64 s8, 0, v[195:196]
	scratch_load_b128 v[193:196], off, off offset:432 ; 16-byte Folded Reload
	s_and_b32 s8, s7, s8
	s_load_b64 s[6:7], s[0:1], 0x28
	s_and_b32 s0, s8, vcc_lo
	s_delay_alu instid0(SALU_CYCLE_1) | instskip(NEXT) | instid1(VALU_DEP_1)
	v_cndmask_b32_e64 v192, v192, 13, s0
	v_cmp_eq_u32_e64 s1, 0, v192
	s_waitcnt vmcnt(0)
	v_cmp_eq_f64_e64 s2, 0, v[193:194]
	v_cmp_eq_f64_e64 s9, 0, v[195:196]
	scratch_load_b128 v[193:196], off, off offset:448 ; 16-byte Folded Reload
	s_and_b32 s2, s2, s9
	s_delay_alu instid0(SALU_CYCLE_1)
	s_and_b32 s1, s2, s1
	s_waitcnt vmcnt(0)
	v_cmp_eq_f64_e64 s10, 0, v[193:194]
	v_cmp_eq_f64_e64 s3, 0, v[195:196]
	scratch_load_b128 v[193:196], off, off offset:464 ; 16-byte Folded Reload
	s_and_b32 s8, s10, s3
	s_waitcnt vmcnt(0)
	v_cmp_eq_f64_e64 s4, 0, v[193:194]
	v_cmp_eq_f64_e64 s5, 0, v[195:196]
	scratch_load_b128 v[193:196], off, off offset:480 ; 16-byte Folded Reload
	s_and_b32 s4, s4, s5
	s_waitcnt vmcnt(0)
	v_cmp_eq_f64_e32 vcc_lo, 0, v[193:194]
	v_cndmask_b32_e64 v194, v192, 14, s1
	v_lshlrev_b64 v[192:193], 2, v[201:202]
	scratch_load_b128 v[199:202], off, off offset:496 ; 16-byte Folded Reload
	v_cmp_eq_f64_e64 s0, 0, v[195:196]
	v_cmp_eq_u32_e64 s3, 0, v194
	s_waitcnt lgkmcnt(0)
	v_add_co_u32 v192, s6, s6, v192
	s_delay_alu instid0(VALU_DEP_1) | instskip(NEXT) | instid1(VALU_DEP_3)
	v_add_co_ci_u32_e64 v193, s6, s7, v193, s6
	s_and_b32 s3, s8, s3
	s_delay_alu instid0(SALU_CYCLE_1) | instskip(SKIP_2) | instid1(VALU_DEP_1)
	v_cndmask_b32_e64 v195, v194, 15, s3
	global_load_b32 v194, v[192:193], off
	v_cmp_eq_u32_e64 s7, 0, v195
	s_and_b32 s4, s4, s7
	s_delay_alu instid0(SALU_CYCLE_1) | instskip(NEXT) | instid1(VALU_DEP_1)
	v_cndmask_b32_e64 v195, v195, 16, s4
	v_cmp_eq_u32_e64 s7, 0, v195
	s_and_b32 s0, vcc_lo, s0
	s_delay_alu instid0(VALU_DEP_1) | instid1(SALU_CYCLE_1)
	s_and_b32 s0, s0, s7
	s_delay_alu instid0(SALU_CYCLE_1) | instskip(NEXT) | instid1(VALU_DEP_1)
	v_cndmask_b32_e64 v195, v195, 17, s0
	v_cmp_eq_u32_e64 s7, 0, v195
	s_waitcnt vmcnt(1)
	v_cmp_eq_f64_e64 s1, 0, v[199:200]
	v_cmp_eq_f64_e64 s2, 0, v[201:202]
	scratch_load_b128 v[199:202], off, off offset:520 ; 16-byte Folded Reload
	s_and_b32 s1, s1, s2
	s_delay_alu instid0(SALU_CYCLE_1) | instskip(NEXT) | instid1(SALU_CYCLE_1)
	s_and_b32 s1, s1, s7
	v_cndmask_b32_e64 v195, v195, 18, s1
	s_delay_alu instid0(VALU_DEP_1)
	v_cmp_eq_u32_e64 s7, 0, v195
	s_waitcnt vmcnt(0)
	v_cmp_eq_f64_e64 s3, 0, v[199:200]
	v_cmp_eq_f64_e64 s6, 0, v[201:202]
	scratch_load_b128 v[199:202], off, off offset:536 ; 16-byte Folded Reload
	s_and_b32 s3, s3, s6
	s_delay_alu instid0(SALU_CYCLE_1) | instskip(NEXT) | instid1(SALU_CYCLE_1)
	s_and_b32 s3, s3, s7
	v_cndmask_b32_e64 v195, v195, 19, s3
	s_delay_alu instid0(VALU_DEP_1)
	;; [unrolled: 10-line block ×3, first 2 shown]
	v_cmp_eq_u32_e64 s7, 0, v195
	s_waitcnt vmcnt(0)
	v_cmp_eq_f64_e32 vcc_lo, 0, v[199:200]
	v_cmp_eq_f64_e64 s0, 0, v[201:202]
	scratch_load_b128 v[199:202], off, off offset:568 ; 16-byte Folded Reload
	s_and_b32 s0, vcc_lo, s0
	s_delay_alu instid0(SALU_CYCLE_1) | instskip(NEXT) | instid1(SALU_CYCLE_1)
	s_and_b32 s0, s0, s7
	v_cndmask_b32_e64 v195, v195, 21, s0
	s_delay_alu instid0(VALU_DEP_1)
	v_cmp_eq_u32_e32 vcc_lo, 0, v195
	s_waitcnt vmcnt(0)
	v_cmp_eq_f64_e64 s1, 0, v[199:200]
	v_cmp_eq_f64_e64 s2, 0, v[201:202]
	scratch_load_b128 v[199:202], off, off offset:584 ; 16-byte Folded Reload
	s_and_b32 s0, s1, s2
	s_delay_alu instid0(SALU_CYCLE_1) | instskip(NEXT) | instid1(SALU_CYCLE_1)
	s_and_b32 s0, s0, vcc_lo
	v_cndmask_b32_e64 v195, v195, 22, s0
	s_delay_alu instid0(VALU_DEP_1)
	v_cmp_eq_u32_e32 vcc_lo, 0, v195
	s_waitcnt vmcnt(0)
	v_cmp_eq_f64_e64 s3, 0, v[199:200]
	v_cmp_eq_f64_e64 s6, 0, v[201:202]
	scratch_load_b128 v[199:202], off, off offset:600 ; 16-byte Folded Reload
	s_and_b32 s0, s3, s6
	s_delay_alu instid0(SALU_CYCLE_1) | instskip(NEXT) | instid1(SALU_CYCLE_1)
	s_and_b32 s0, s0, vcc_lo
	v_cndmask_b32_e64 v195, v195, 23, s0
	s_delay_alu instid0(VALU_DEP_1)
	v_cmp_eq_u32_e64 s1, 0, v195
	s_waitcnt vmcnt(0)
	v_cmp_eq_f64_e64 s4, 0, v[199:200]
	v_cmp_eq_f64_e64 s5, 0, v[201:202]
	scratch_load_b128 v[199:202], off, off offset:616 ; 16-byte Folded Reload
	s_and_b32 s2, s4, s5
	s_delay_alu instid0(SALU_CYCLE_1) | instskip(NEXT) | instid1(SALU_CYCLE_1)
	s_and_b32 s1, s2, s1
	v_cndmask_b32_e64 v195, v195, 24, s1
	s_delay_alu instid0(VALU_DEP_1)
	v_cmp_eq_u32_e64 s3, 0, v195
	s_waitcnt vmcnt(0)
	v_cmp_eq_f64_e64 s7, 0, v[199:200]
	v_cmp_eq_f64_e64 s8, 0, v[201:202]
	scratch_load_b128 v[199:202], off, off offset:632 ; 16-byte Folded Reload
	s_and_b32 s4, s7, s8
	s_delay_alu instid0(SALU_CYCLE_1) | instskip(NEXT) | instid1(SALU_CYCLE_1)
	s_and_b32 s3, s4, s3
	;; [unrolled: 10-line block ×3, first 2 shown]
	v_cndmask_b32_e64 v195, v195, 26, s5
	s_delay_alu instid0(VALU_DEP_1)
	v_cmp_eq_u32_e64 s7, 0, v195
	s_waitcnt vmcnt(0)
	v_cmp_eq_f64_e32 vcc_lo, 0, v[199:200]
	v_cmp_eq_f64_e64 s0, 0, v[201:202]
	scratch_load_b128 v[199:202], off, off offset:664 ; 16-byte Folded Reload
	s_and_b32 s0, vcc_lo, s0
	s_delay_alu instid0(SALU_CYCLE_1) | instskip(NEXT) | instid1(SALU_CYCLE_1)
	s_and_b32 s0, s0, s7
	v_cndmask_b32_e64 v195, v195, 27, s0
	s_delay_alu instid0(VALU_DEP_1)
	v_cmp_eq_u32_e64 s7, 0, v195
	s_waitcnt vmcnt(0)
	v_cmp_eq_f64_e64 s1, 0, v[199:200]
	v_cmp_eq_f64_e64 s2, 0, v[201:202]
	scratch_load_b128 v[199:202], off, off offset:680 ; 16-byte Folded Reload
	s_and_b32 s1, s1, s2
	s_delay_alu instid0(SALU_CYCLE_1) | instskip(NEXT) | instid1(SALU_CYCLE_1)
	s_and_b32 s1, s1, s7
	v_cndmask_b32_e64 v195, v195, 28, s1
	s_delay_alu instid0(VALU_DEP_1)
	v_cmp_eq_u32_e64 s7, 0, v195
	s_waitcnt vmcnt(0)
	v_cmp_eq_f64_e64 s3, 0, v[199:200]
	v_cmp_eq_f64_e64 s4, 0, v[201:202]
	scratch_load_b128 v[199:202], off, off offset:696 ; 16-byte Folded Reload
	s_and_b32 s3, s3, s4
	s_delay_alu instid0(SALU_CYCLE_1) | instskip(NEXT) | instid1(SALU_CYCLE_1)
	s_and_b32 s3, s3, s7
	v_cndmask_b32_e64 v195, v195, 29, s3
	s_delay_alu instid0(VALU_DEP_1)
	v_cmp_eq_u32_e64 s7, 0, v195
	s_waitcnt vmcnt(0)
	v_cmp_eq_f64_e64 s5, 0, v[199:200]
	v_cmp_eq_f64_e64 s6, 0, v[201:202]
	scratch_load_b128 v[199:202], off, off offset:712 ; 16-byte Folded Reload
	s_and_b32 s5, s5, s6
	s_delay_alu instid0(SALU_CYCLE_1) | instskip(NEXT) | instid1(SALU_CYCLE_1)
	s_and_b32 s5, s5, s7
	v_cndmask_b32_e64 v195, v195, 30, s5
	s_delay_alu instid0(VALU_DEP_1)
	v_cmp_eq_u32_e64 s7, 0, v195
	s_waitcnt vmcnt(0)
	v_cmp_eq_f64_e32 vcc_lo, 0, v[199:200]
	v_cmp_eq_f64_e64 s0, 0, v[201:202]
	scratch_load_b128 v[199:202], off, off offset:728 ; 16-byte Folded Reload
	s_and_b32 s0, vcc_lo, s0
	s_delay_alu instid0(SALU_CYCLE_1) | instskip(NEXT) | instid1(SALU_CYCLE_1)
	s_and_b32 s0, s0, s7
	v_cndmask_b32_e64 v195, v195, 31, s0
	s_delay_alu instid0(VALU_DEP_1)
	v_cmp_eq_u32_e64 s7, 0, v195
	s_waitcnt vmcnt(0)
	v_cmp_eq_f64_e64 s1, 0, v[199:200]
	v_cmp_eq_f64_e64 s2, 0, v[201:202]
	scratch_load_b128 v[199:202], off, off offset:744 ; 16-byte Folded Reload
	s_and_b32 s1, s1, s2
	v_cmp_eq_f64_e64 s2, 0, v[238:239]
	s_and_b32 s1, s1, s7
	s_delay_alu instid0(SALU_CYCLE_1) | instskip(SKIP_1) | instid1(VALU_DEP_2)
	v_cndmask_b32_e64 v195, v195, 32, s1
	v_cmp_eq_f64_e64 s1, 0, v[236:237]
	v_cmp_eq_u32_e64 s7, 0, v195
	s_delay_alu instid0(VALU_DEP_2)
	s_and_b32 s1, s1, s2
	v_cmp_eq_f64_e64 s2, 0, v[254:255]
	s_waitcnt vmcnt(0)
	v_cmp_eq_f64_e64 s3, 0, v[199:200]
	v_cmp_eq_f64_e64 s4, 0, v[201:202]
	scratch_load_b128 v[199:202], off, off offset:760 ; 16-byte Folded Reload
	s_and_b32 s3, s3, s4
	v_cmp_eq_f64_e64 s4, 0, v[242:243]
	s_and_b32 s3, s3, s7
	s_delay_alu instid0(SALU_CYCLE_1) | instskip(SKIP_1) | instid1(VALU_DEP_2)
	v_cndmask_b32_e64 v195, v195, 33, s3
	v_cmp_eq_f64_e64 s3, 0, v[240:241]
	v_cmp_eq_u32_e64 s7, 0, v195
	s_delay_alu instid0(VALU_DEP_2)
	s_and_b32 s3, s3, s4
	v_cmp_eq_f64_e64 s4, 0, v[178:179]
	s_waitcnt vmcnt(0)
	v_cmp_eq_f64_e64 s5, 0, v[199:200]
	v_cmp_eq_f64_e64 s6, 0, v[201:202]
	scratch_load_b128 v[199:202], off, off offset:776 ; 16-byte Folded Reload
	s_and_b32 s5, s5, s6
	v_cmp_eq_f64_e64 s6, 0, v[246:247]
	s_and_b32 s5, s5, s7
	s_delay_alu instid0(SALU_CYCLE_1) | instskip(SKIP_1) | instid1(VALU_DEP_2)
	v_cndmask_b32_e64 v195, v195, 34, s5
	v_cmp_eq_f64_e64 s5, 0, v[244:245]
	v_cmp_eq_u32_e64 s7, 0, v195
	s_delay_alu instid0(VALU_DEP_2) | instskip(SKIP_4) | instid1(VALU_DEP_1)
	s_and_b32 s5, s5, s6
	v_cmp_eq_f64_e64 s6, 0, v[182:183]
	s_waitcnt vmcnt(0)
	v_cmp_eq_f64_e32 vcc_lo, 0, v[199:200]
	v_cmp_eq_f64_e64 s0, 0, v[201:202]
	s_and_b32 s0, vcc_lo, s0
	v_cmp_eq_f64_e32 vcc_lo, 0, v[248:249]
	s_and_b32 s0, s0, s7
	s_delay_alu instid0(SALU_CYCLE_1) | instskip(SKIP_1) | instid1(VALU_DEP_2)
	v_cndmask_b32_e64 v195, v195, 35, s0
	v_cmp_eq_f64_e64 s0, 0, v[250:251]
	v_cmp_eq_u32_e64 s7, 0, v195
	s_delay_alu instid0(VALU_DEP_1) | instskip(NEXT) | instid1(SALU_CYCLE_1)
	s_and_b32 s1, s1, s7
	v_cndmask_b32_e64 v195, v195, 36, s1
	v_cmp_eq_f64_e64 s1, 0, v[252:253]
	s_delay_alu instid0(VALU_DEP_2) | instskip(NEXT) | instid1(VALU_DEP_1)
	v_cmp_eq_u32_e64 s7, 0, v195
	s_and_b32 s3, s3, s7
	s_delay_alu instid0(SALU_CYCLE_1) | instskip(SKIP_1) | instid1(VALU_DEP_2)
	v_cndmask_b32_e64 v195, v195, 37, s3
	v_cmp_eq_f64_e64 s3, 0, v[176:177]
	v_cmp_eq_u32_e64 s7, 0, v195
	s_delay_alu instid0(VALU_DEP_1) | instskip(NEXT) | instid1(SALU_CYCLE_1)
	s_and_b32 s5, s5, s7
	v_cndmask_b32_e64 v176, v195, 38, s5
	v_cmp_eq_f64_e64 s5, 0, v[180:181]
	s_and_b32 s0, vcc_lo, s0
	v_cmp_eq_f64_e32 vcc_lo, 0, v[184:185]
	s_delay_alu instid0(VALU_DEP_3) | instskip(NEXT) | instid1(VALU_DEP_1)
	v_cmp_eq_u32_e64 s7, 0, v176
	s_and_b32 s0, s0, s7
	s_delay_alu instid0(SALU_CYCLE_1) | instskip(SKIP_3) | instid1(VALU_DEP_3)
	v_cndmask_b32_e64 v176, v176, 39, s0
	v_cmp_eq_f64_e64 s0, 0, v[186:187]
	s_and_b32 s1, s1, s2
	v_cmp_eq_f64_e64 s2, 0, v[190:191]
	v_cmp_eq_u32_e64 s7, 0, v176
	s_delay_alu instid0(VALU_DEP_1) | instskip(NEXT) | instid1(SALU_CYCLE_1)
	s_and_b32 s1, s1, s7
	v_cndmask_b32_e64 v176, v176, 40, s1
	v_cmp_eq_f64_e64 s1, 0, v[188:189]
	s_and_b32 s3, s3, s4
	s_delay_alu instid0(VALU_DEP_2) | instskip(NEXT) | instid1(VALU_DEP_1)
	v_cmp_eq_u32_e64 s7, 0, v176
	s_and_b32 s3, s3, s7
	s_delay_alu instid0(SALU_CYCLE_1) | instskip(SKIP_1) | instid1(VALU_DEP_1)
	v_cndmask_b32_e64 v176, v176, 41, s3
	s_and_b32 s4, s5, s6
	v_cmp_eq_u32_e64 s3, 0, v176
	s_delay_alu instid0(VALU_DEP_1) | instskip(NEXT) | instid1(SALU_CYCLE_1)
	s_and_b32 s3, s4, s3
	v_cndmask_b32_e64 v176, v176, 42, s3
	s_and_b32 s0, vcc_lo, s0
	s_delay_alu instid0(VALU_DEP_1) | instskip(NEXT) | instid1(VALU_DEP_1)
	v_cmp_eq_u32_e64 s3, 0, v176
	s_and_b32 s0, s0, s3
	s_delay_alu instid0(SALU_CYCLE_1) | instskip(SKIP_1) | instid1(VALU_DEP_1)
	v_cndmask_b32_e64 v176, v176, 43, s0
	s_and_b32 s0, s1, s2
	v_cmp_eq_u32_e32 vcc_lo, 0, v176
	s_and_b32 s0, s0, vcc_lo
	v_cmp_eq_u32_e32 vcc_lo, 0, v194
	v_cndmask_b32_e64 v176, v176, 44, s0
	s_delay_alu instid0(VALU_DEP_1) | instskip(NEXT) | instid1(VALU_DEP_1)
	v_cmp_ne_u32_e64 s0, 0, v176
	s_and_b32 s0, vcc_lo, s0
	s_delay_alu instid0(SALU_CYCLE_1)
	s_and_b32 exec_lo, exec_lo, s0
	s_cbranch_execz .LBB87_400
; %bb.399:
	v_add_nc_u32_e32 v176, s11, v176
	global_store_b32 v[192:193], v176, off
.LBB87_400:
	s_or_b32 exec_lo, exec_lo, s12
	s_clause 0x1
	scratch_load_b64 v[168:169], off, off offset:208
	scratch_load_b128 v[176:179], off, off offset:16
	s_waitcnt vmcnt(0)
	global_store_b128 v[168:169], v[176:179], off
	s_clause 0x1
	scratch_load_b64 v[168:169], off, off offset:216
	scratch_load_b128 v[176:179], off, off
	s_waitcnt vmcnt(0)
	global_store_b128 v[168:169], v[176:179], off
	scratch_load_b64 v[168:169], off, off offset:200 ; 8-byte Folded Reload
	s_waitcnt vmcnt(0)
	global_store_b128 v[168:169], v[164:167], off
	scratch_load_b64 v[164:165], off, off offset:192 ; 8-byte Folded Reload
	s_waitcnt vmcnt(0)
	global_store_b128 v[164:165], v[160:163], off
	scratch_load_b64 v[160:161], off, off offset:184 ; 8-byte Folded Reload
	s_waitcnt vmcnt(0)
	global_store_b128 v[160:161], v[156:159], off
	scratch_load_b64 v[156:157], off, off offset:176 ; 8-byte Folded Reload
	s_waitcnt vmcnt(0)
	global_store_b128 v[156:157], v[152:155], off
	scratch_load_b64 v[152:153], off, off offset:168 ; 8-byte Folded Reload
	s_waitcnt vmcnt(0)
	global_store_b128 v[152:153], v[148:151], off
	scratch_load_b64 v[148:149], off, off offset:160 ; 8-byte Folded Reload
	s_waitcnt vmcnt(0)
	global_store_b128 v[148:149], v[144:147], off
	scratch_load_b64 v[144:145], off, off offset:152 ; 8-byte Folded Reload
	s_waitcnt vmcnt(0)
	global_store_b128 v[144:145], v[140:143], off
	scratch_load_b64 v[140:141], off, off offset:144 ; 8-byte Folded Reload
	s_waitcnt vmcnt(0)
	global_store_b128 v[140:141], v[136:139], off
	scratch_load_b64 v[136:137], off, off offset:136 ; 8-byte Folded Reload
	s_waitcnt vmcnt(0)
	global_store_b128 v[136:137], v[132:135], off
	scratch_load_b64 v[132:133], off, off offset:128 ; 8-byte Folded Reload
	s_waitcnt vmcnt(0)
	global_store_b128 v[132:133], v[128:131], off
	scratch_load_b64 v[128:129], off, off offset:120 ; 8-byte Folded Reload
	s_waitcnt vmcnt(0)
	global_store_b128 v[128:129], v[124:127], off
	scratch_load_b64 v[124:125], off, off offset:112 ; 8-byte Folded Reload
	s_waitcnt vmcnt(0)
	global_store_b128 v[124:125], v[120:123], off
	scratch_load_b64 v[120:121], off, off offset:104 ; 8-byte Folded Reload
	s_waitcnt vmcnt(0)
	global_store_b128 v[120:121], v[116:119], off
	scratch_load_b64 v[116:117], off, off offset:96 ; 8-byte Folded Reload
	s_waitcnt vmcnt(0)
	global_store_b128 v[116:117], v[112:115], off
	scratch_load_b64 v[112:113], off, off offset:88 ; 8-byte Folded Reload
	s_waitcnt vmcnt(0)
	global_store_b128 v[112:113], v[108:111], off
	scratch_load_b64 v[108:109], off, off offset:80 ; 8-byte Folded Reload
	s_waitcnt vmcnt(0)
	global_store_b128 v[108:109], v[104:107], off
	scratch_load_b64 v[104:105], off, off offset:72 ; 8-byte Folded Reload
	s_waitcnt vmcnt(0)
	global_store_b128 v[104:105], v[100:103], off
	scratch_load_b64 v[100:101], off, off offset:64 ; 8-byte Folded Reload
	s_waitcnt vmcnt(0)
	global_store_b128 v[100:101], v[96:99], off
	scratch_load_b64 v[96:97], off, off offset:56 ; 8-byte Folded Reload
	s_waitcnt vmcnt(0)
	global_store_b128 v[96:97], v[92:95], off
	scratch_load_b64 v[92:93], off, off offset:48 ; 8-byte Folded Reload
	s_waitcnt vmcnt(0)
	global_store_b128 v[92:93], v[88:91], off
	scratch_load_b64 v[88:89], off, off offset:40 ; 8-byte Folded Reload
	s_waitcnt vmcnt(0)
	s_clause 0x3
	global_store_b128 v[88:89], v[84:87], off
	global_store_b128 v[170:171], v[80:83], off
	;; [unrolled: 1-line block ×4, first 2 shown]
	scratch_load_b64 v[72:73], off, off offset:32 ; 8-byte Folded Reload
	s_waitcnt vmcnt(0)
	s_clause 0xe
	global_store_b128 v[72:73], v[68:71], off
	global_store_b128 v[231:232], v[64:67], off
	global_store_b128 v[233:234], v[60:63], off
	global_store_b128 v[227:228], v[56:59], off
	global_store_b128 v[223:224], v[52:55], off
	global_store_b128 v[225:226], v[48:51], off
	global_store_b128 v[219:220], v[44:47], off
	global_store_b128 v[221:222], v[40:43], off
	global_store_b128 v[215:216], v[36:39], off
	global_store_b128 v[217:218], v[32:35], off
	global_store_b128 v[211:212], v[28:31], off
	global_store_b128 v[213:214], v[24:27], off
	global_store_b128 v[207:208], v[20:23], off
	global_store_b128 v[209:210], v[16:19], off
	global_store_b128 v[203:204], v[12:15], off
	scratch_load_b64 v[12:13], off, off offset:512 ; 8-byte Folded Reload
	s_waitcnt vmcnt(0)
	s_clause 0x2
	global_store_b128 v[12:13], v[8:11], off
	global_store_b128 v[205:206], v[4:7], off
	;; [unrolled: 1-line block ×3, first 2 shown]
.LBB87_401:
	s_nop 0
	s_sendmsg sendmsg(MSG_DEALLOC_VGPRS)
	s_endpgm
	.section	.rodata,"a",@progbits
	.p2align	6, 0x0
	.amdhsa_kernel _ZN9rocsolver6v33100L23getf2_npvt_small_kernelILi44E19rocblas_complex_numIdEiiPKPS3_EEvT1_T3_lS7_lPT2_S7_S7_
		.amdhsa_group_segment_fixed_size 0
		.amdhsa_private_segment_fixed_size 796
		.amdhsa_kernarg_size 312
		.amdhsa_user_sgpr_count 14
		.amdhsa_user_sgpr_dispatch_ptr 0
		.amdhsa_user_sgpr_queue_ptr 0
		.amdhsa_user_sgpr_kernarg_segment_ptr 1
		.amdhsa_user_sgpr_dispatch_id 0
		.amdhsa_user_sgpr_private_segment_size 0
		.amdhsa_wavefront_size32 1
		.amdhsa_uses_dynamic_stack 0
		.amdhsa_enable_private_segment 1
		.amdhsa_system_sgpr_workgroup_id_x 1
		.amdhsa_system_sgpr_workgroup_id_y 1
		.amdhsa_system_sgpr_workgroup_id_z 0
		.amdhsa_system_sgpr_workgroup_info 0
		.amdhsa_system_vgpr_workitem_id 1
		.amdhsa_next_free_vgpr 256
		.amdhsa_next_free_sgpr 16
		.amdhsa_reserve_vcc 1
		.amdhsa_float_round_mode_32 0
		.amdhsa_float_round_mode_16_64 0
		.amdhsa_float_denorm_mode_32 3
		.amdhsa_float_denorm_mode_16_64 3
		.amdhsa_dx10_clamp 1
		.amdhsa_ieee_mode 1
		.amdhsa_fp16_overflow 0
		.amdhsa_workgroup_processor_mode 1
		.amdhsa_memory_ordered 1
		.amdhsa_forward_progress 0
		.amdhsa_shared_vgpr_count 0
		.amdhsa_exception_fp_ieee_invalid_op 0
		.amdhsa_exception_fp_denorm_src 0
		.amdhsa_exception_fp_ieee_div_zero 0
		.amdhsa_exception_fp_ieee_overflow 0
		.amdhsa_exception_fp_ieee_underflow 0
		.amdhsa_exception_fp_ieee_inexact 0
		.amdhsa_exception_int_div_zero 0
	.end_amdhsa_kernel
	.section	.text._ZN9rocsolver6v33100L23getf2_npvt_small_kernelILi44E19rocblas_complex_numIdEiiPKPS3_EEvT1_T3_lS7_lPT2_S7_S7_,"axG",@progbits,_ZN9rocsolver6v33100L23getf2_npvt_small_kernelILi44E19rocblas_complex_numIdEiiPKPS3_EEvT1_T3_lS7_lPT2_S7_S7_,comdat
.Lfunc_end87:
	.size	_ZN9rocsolver6v33100L23getf2_npvt_small_kernelILi44E19rocblas_complex_numIdEiiPKPS3_EEvT1_T3_lS7_lPT2_S7_S7_, .Lfunc_end87-_ZN9rocsolver6v33100L23getf2_npvt_small_kernelILi44E19rocblas_complex_numIdEiiPKPS3_EEvT1_T3_lS7_lPT2_S7_S7_
                                        ; -- End function
	.section	.AMDGPU.csdata,"",@progbits
; Kernel info:
; codeLenInByte = 110672
; NumSgprs: 18
; NumVgprs: 256
; ScratchSize: 796
; MemoryBound: 1
; FloatMode: 240
; IeeeMode: 1
; LDSByteSize: 0 bytes/workgroup (compile time only)
; SGPRBlocks: 2
; VGPRBlocks: 31
; NumSGPRsForWavesPerEU: 18
; NumVGPRsForWavesPerEU: 256
; Occupancy: 5
; WaveLimiterHint : 1
; COMPUTE_PGM_RSRC2:SCRATCH_EN: 1
; COMPUTE_PGM_RSRC2:USER_SGPR: 14
; COMPUTE_PGM_RSRC2:TRAP_HANDLER: 0
; COMPUTE_PGM_RSRC2:TGID_X_EN: 1
; COMPUTE_PGM_RSRC2:TGID_Y_EN: 1
; COMPUTE_PGM_RSRC2:TGID_Z_EN: 0
; COMPUTE_PGM_RSRC2:TIDIG_COMP_CNT: 1
	.section	.text._ZN9rocsolver6v33100L18getf2_small_kernelILi45E19rocblas_complex_numIdEiiPKPS3_EEvT1_T3_lS7_lPS7_llPT2_S7_S7_S9_l,"axG",@progbits,_ZN9rocsolver6v33100L18getf2_small_kernelILi45E19rocblas_complex_numIdEiiPKPS3_EEvT1_T3_lS7_lPS7_llPT2_S7_S7_S9_l,comdat
	.globl	_ZN9rocsolver6v33100L18getf2_small_kernelILi45E19rocblas_complex_numIdEiiPKPS3_EEvT1_T3_lS7_lPS7_llPT2_S7_S7_S9_l ; -- Begin function _ZN9rocsolver6v33100L18getf2_small_kernelILi45E19rocblas_complex_numIdEiiPKPS3_EEvT1_T3_lS7_lPS7_llPT2_S7_S7_S9_l
	.p2align	8
	.type	_ZN9rocsolver6v33100L18getf2_small_kernelILi45E19rocblas_complex_numIdEiiPKPS3_EEvT1_T3_lS7_lPS7_llPT2_S7_S7_S9_l,@function
_ZN9rocsolver6v33100L18getf2_small_kernelILi45E19rocblas_complex_numIdEiiPKPS3_EEvT1_T3_lS7_lPS7_llPT2_S7_S7_S9_l: ; @_ZN9rocsolver6v33100L18getf2_small_kernelILi45E19rocblas_complex_numIdEiiPKPS3_EEvT1_T3_lS7_lPS7_llPT2_S7_S7_S9_l
; %bb.0:
	s_clause 0x1
	s_load_b32 s2, s[0:1], 0x6c
	s_load_b64 s[12:13], s[0:1], 0x48
	v_bfe_u32 v180, v0, 10, 10
	s_waitcnt lgkmcnt(0)
	s_lshr_b32 s2, s2, 16
	s_delay_alu instid0(VALU_DEP_1) | instid1(SALU_CYCLE_1)
	v_mad_u64_u32 v[184:185], null, s15, s2, v[180:181]
	s_mov_b32 s2, exec_lo
	s_delay_alu instid0(VALU_DEP_1)
	v_cmpx_gt_i32_e64 s12, v184
	s_cbranch_execnz .LBB88_1
; %bb.949:
	s_getpc_b64 s[16:17]
.Lpost_getpc0:
	s_add_u32 s16, s16, (.LBB88_948-.Lpost_getpc0)&4294967295
	s_addc_u32 s17, s17, (.LBB88_948-.Lpost_getpc0)>>32
	s_setpc_b64 s[16:17]
.LBB88_1:
	s_clause 0x1
	s_load_b128 s[4:7], s[0:1], 0x8
	s_load_b128 s[8:11], s[0:1], 0x50
	v_ashrrev_i32_e32 v185, 31, v184
	v_mov_b32_e32 v186, 0
	v_mov_b32_e32 v187, 0
	s_delay_alu instid0(VALU_DEP_3) | instskip(SKIP_1) | instid1(VALU_DEP_1)
	v_lshlrev_b64 v[1:2], 3, v[184:185]
	s_waitcnt lgkmcnt(0)
	v_add_co_u32 v1, vcc_lo, s4, v1
	s_delay_alu instid0(VALU_DEP_2)
	v_add_co_ci_u32_e32 v2, vcc_lo, s5, v2, vcc_lo
	s_cmp_eq_u64 s[8:9], 0
	s_cselect_b32 s4, -1, 0
	global_load_b64 v[1:2], v[1:2], off
	s_and_b32 vcc_lo, exec_lo, s4
	s_cbranch_vccnz .LBB88_3
; %bb.2:
	v_mul_lo_u32 v5, v185, s10
	v_mul_lo_u32 v6, v184, s11
	v_mad_u64_u32 v[3:4], null, v184, s10, 0
	s_delay_alu instid0(VALU_DEP_1) | instskip(NEXT) | instid1(VALU_DEP_1)
	v_add3_u32 v4, v4, v6, v5
	v_lshlrev_b64 v[3:4], 2, v[3:4]
	s_delay_alu instid0(VALU_DEP_1) | instskip(NEXT) | instid1(VALU_DEP_2)
	v_add_co_u32 v186, vcc_lo, s8, v3
	v_add_co_ci_u32_e32 v187, vcc_lo, s9, v4, vcc_lo
.LBB88_3:
	s_clause 0x1
	s_load_b32 s8, s[0:1], 0x18
	s_load_b32 s5, s[0:1], 0x0
	v_and_b32_e32 v194, 0x3ff, v0
	s_lshl_b64 s[2:3], s[6:7], 4
	s_waitcnt vmcnt(0)
	v_add_co_u32 v191, vcc_lo, v1, s2
	v_add_co_ci_u32_e32 v192, vcc_lo, s3, v2, vcc_lo
	v_lshlrev_b32_e32 v183, 4, v194
	s_waitcnt lgkmcnt(0)
	v_add3_u32 v3, s8, s8, v194
	s_ashr_i32 s9, s8, 31
	s_max_i32 s2, s5, 45
	s_lshl_b64 s[10:11], s[8:9], 4
	s_cmp_lt_i32 s5, 2
	v_add_nc_u32_e32 v5, s8, v3
	v_ashrrev_i32_e32 v4, 31, v3
	s_delay_alu instid0(VALU_DEP_2) | instskip(NEXT) | instid1(VALU_DEP_2)
	v_add_nc_u32_e32 v0, s8, v5
	v_lshlrev_b64 v[3:4], 4, v[3:4]
	v_ashrrev_i32_e32 v6, 31, v5
	s_delay_alu instid0(VALU_DEP_3) | instskip(SKIP_1) | instid1(VALU_DEP_4)
	v_add_nc_u32_e32 v2, s8, v0
	v_ashrrev_i32_e32 v1, 31, v0
	v_add_co_u32 v7, vcc_lo, v191, v3
	v_add_co_ci_u32_e32 v8, vcc_lo, v192, v4, vcc_lo
	s_delay_alu instid0(VALU_DEP_4) | instskip(SKIP_3) | instid1(VALU_DEP_4)
	v_add_nc_u32_e32 v4, s8, v2
	v_lshlrev_b64 v[5:6], 4, v[5:6]
	v_ashrrev_i32_e32 v3, 31, v2
	v_lshlrev_b64 v[0:1], 4, v[0:1]
	v_add_nc_u32_e32 v11, s8, v4
	s_delay_alu instid0(VALU_DEP_4) | instskip(SKIP_1) | instid1(VALU_DEP_3)
	v_add_co_u32 v9, vcc_lo, v191, v5
	v_ashrrev_i32_e32 v5, 31, v4
	v_add_nc_u32_e32 v13, s8, v11
	v_lshlrev_b64 v[2:3], 4, v[2:3]
	v_ashrrev_i32_e32 v12, 31, v11
	v_add_co_ci_u32_e32 v10, vcc_lo, v192, v6, vcc_lo
	s_delay_alu instid0(VALU_DEP_4) | instskip(SKIP_3) | instid1(VALU_DEP_4)
	v_add_nc_u32_e32 v15, s8, v13
	v_add_co_u32 v0, vcc_lo, v191, v0
	v_lshlrev_b64 v[4:5], 4, v[4:5]
	v_ashrrev_i32_e32 v14, 31, v13
	v_add_nc_u32_e32 v17, s8, v15
	v_add_co_ci_u32_e32 v1, vcc_lo, v192, v1, vcc_lo
	v_add_co_u32 v2, vcc_lo, v191, v2
	s_delay_alu instid0(VALU_DEP_3) | instskip(SKIP_3) | instid1(VALU_DEP_4)
	v_add_nc_u32_e32 v19, s8, v17
	v_lshlrev_b64 v[11:12], 4, v[11:12]
	v_ashrrev_i32_e32 v16, 31, v15
	v_add_co_ci_u32_e32 v3, vcc_lo, v192, v3, vcc_lo
	v_add_nc_u32_e32 v21, s8, v19
	v_add_co_u32 v4, vcc_lo, v191, v4
	v_lshlrev_b64 v[13:14], 4, v[13:14]
	v_ashrrev_i32_e32 v18, 31, v17
	s_delay_alu instid0(VALU_DEP_4) | instskip(SKIP_2) | instid1(VALU_DEP_3)
	v_add_nc_u32_e32 v23, s8, v21
	v_add_co_ci_u32_e32 v5, vcc_lo, v192, v5, vcc_lo
	v_add_co_u32 v11, vcc_lo, v191, v11
	v_add_nc_u32_e32 v25, s8, v23
	v_lshlrev_b64 v[15:16], 4, v[15:16]
	v_ashrrev_i32_e32 v20, 31, v19
	v_add_co_ci_u32_e32 v12, vcc_lo, v192, v12, vcc_lo
	s_delay_alu instid0(VALU_DEP_4) | instskip(SKIP_3) | instid1(VALU_DEP_4)
	v_add_nc_u32_e32 v27, s8, v25
	v_add_co_u32 v13, vcc_lo, v191, v13
	v_lshlrev_b64 v[17:18], 4, v[17:18]
	v_ashrrev_i32_e32 v22, 31, v21
	v_add_nc_u32_e32 v29, s8, v27
	v_add_co_ci_u32_e32 v14, vcc_lo, v192, v14, vcc_lo
	v_add_co_u32 v15, vcc_lo, v191, v15
	s_delay_alu instid0(VALU_DEP_3) | instskip(SKIP_3) | instid1(VALU_DEP_4)
	v_add_nc_u32_e32 v31, s8, v29
	v_lshlrev_b64 v[19:20], 4, v[19:20]
	v_ashrrev_i32_e32 v24, 31, v23
	v_add_co_ci_u32_e32 v16, vcc_lo, v192, v16, vcc_lo
	v_add_nc_u32_e32 v33, s8, v31
	v_add_co_u32 v17, vcc_lo, v191, v17
	v_lshlrev_b64 v[21:22], 4, v[21:22]
	v_ashrrev_i32_e32 v26, 31, v25
	s_delay_alu instid0(VALU_DEP_4) | instskip(SKIP_2) | instid1(VALU_DEP_3)
	v_add_nc_u32_e32 v35, s8, v33
	v_add_co_ci_u32_e32 v18, vcc_lo, v192, v18, vcc_lo
	v_add_co_u32 v19, vcc_lo, v191, v19
	v_add_nc_u32_e32 v37, s8, v35
	v_lshlrev_b64 v[23:24], 4, v[23:24]
	v_ashrrev_i32_e32 v28, 31, v27
	v_add_co_ci_u32_e32 v20, vcc_lo, v192, v20, vcc_lo
	s_delay_alu instid0(VALU_DEP_4) | instskip(SKIP_3) | instid1(VALU_DEP_4)
	v_add_nc_u32_e32 v39, s8, v37
	v_add_co_u32 v21, vcc_lo, v191, v21
	v_lshlrev_b64 v[25:26], 4, v[25:26]
	v_ashrrev_i32_e32 v30, 31, v29
	v_add_nc_u32_e32 v41, s8, v39
	v_add_co_ci_u32_e32 v22, vcc_lo, v192, v22, vcc_lo
	v_add_co_u32 v23, vcc_lo, v191, v23
	s_delay_alu instid0(VALU_DEP_3) | instskip(SKIP_3) | instid1(VALU_DEP_4)
	v_add_nc_u32_e32 v43, s8, v41
	v_lshlrev_b64 v[27:28], 4, v[27:28]
	v_ashrrev_i32_e32 v32, 31, v31
	v_add_co_ci_u32_e32 v24, vcc_lo, v192, v24, vcc_lo
	v_add_nc_u32_e32 v45, s8, v43
	v_add_co_u32 v25, vcc_lo, v191, v25
	v_lshlrev_b64 v[29:30], 4, v[29:30]
	v_ashrrev_i32_e32 v34, 31, v33
	v_add_co_ci_u32_e32 v26, vcc_lo, v192, v26, vcc_lo
	v_add_co_u32 v27, vcc_lo, v191, v27
	v_lshlrev_b64 v[31:32], 4, v[31:32]
	v_add_nc_u32_e32 v47, s8, v45
	v_ashrrev_i32_e32 v36, 31, v35
	v_add_co_ci_u32_e32 v28, vcc_lo, v192, v28, vcc_lo
	v_add_co_u32 v29, vcc_lo, v191, v29
	v_lshlrev_b64 v[33:34], 4, v[33:34]
	v_ashrrev_i32_e32 v38, 31, v37
	v_add_co_ci_u32_e32 v30, vcc_lo, v192, v30, vcc_lo
	v_add_nc_u32_e32 v49, s8, v47
	v_add_co_u32 v31, vcc_lo, v191, v31
	v_lshlrev_b64 v[35:36], 4, v[35:36]
	v_ashrrev_i32_e32 v40, 31, v39
	v_add_co_ci_u32_e32 v32, vcc_lo, v192, v32, vcc_lo
	v_add_co_u32 v33, vcc_lo, v191, v33
	v_lshlrev_b64 v[37:38], 4, v[37:38]
	v_ashrrev_i32_e32 v42, 31, v41
	v_add_nc_u32_e32 v51, s8, v49
	v_add_co_ci_u32_e32 v34, vcc_lo, v192, v34, vcc_lo
	v_add_co_u32 v35, vcc_lo, v191, v35
	v_lshlrev_b64 v[39:40], 4, v[39:40]
	v_ashrrev_i32_e32 v44, 31, v43
	v_add_co_ci_u32_e32 v36, vcc_lo, v192, v36, vcc_lo
	v_add_co_u32 v37, vcc_lo, v191, v37
	v_lshlrev_b64 v[41:42], 4, v[41:42]
	v_add_nc_u32_e32 v53, s8, v51
	v_ashrrev_i32_e32 v46, 31, v45
	v_add_co_ci_u32_e32 v38, vcc_lo, v192, v38, vcc_lo
	v_add_co_u32 v39, vcc_lo, v191, v39
	v_lshlrev_b64 v[43:44], 4, v[43:44]
	v_ashrrev_i32_e32 v48, 31, v47
	v_add_co_ci_u32_e32 v40, vcc_lo, v192, v40, vcc_lo
	v_add_nc_u32_e32 v55, s8, v53
	v_add_co_u32 v41, vcc_lo, v191, v41
	v_lshlrev_b64 v[45:46], 4, v[45:46]
	v_ashrrev_i32_e32 v50, 31, v49
	v_add_co_ci_u32_e32 v42, vcc_lo, v192, v42, vcc_lo
	v_add_co_u32 v43, vcc_lo, v191, v43
	v_lshlrev_b64 v[47:48], 4, v[47:48]
	v_ashrrev_i32_e32 v52, 31, v51
	v_add_nc_u32_e32 v57, s8, v55
	v_add_co_ci_u32_e32 v44, vcc_lo, v192, v44, vcc_lo
	v_add_co_u32 v45, vcc_lo, v191, v45
	v_lshlrev_b64 v[49:50], 4, v[49:50]
	v_ashrrev_i32_e32 v54, 31, v53
	v_add_co_ci_u32_e32 v46, vcc_lo, v192, v46, vcc_lo
	v_add_co_u32 v47, vcc_lo, v191, v47
	v_lshlrev_b64 v[51:52], 4, v[51:52]
	v_add_nc_u32_e32 v59, s8, v57
	v_ashrrev_i32_e32 v56, 31, v55
	v_add_co_ci_u32_e32 v48, vcc_lo, v192, v48, vcc_lo
	v_add_co_u32 v49, vcc_lo, v191, v49
	v_lshlrev_b64 v[53:54], 4, v[53:54]
	v_ashrrev_i32_e32 v58, 31, v57
	v_add_co_ci_u32_e32 v50, vcc_lo, v192, v50, vcc_lo
	v_add_nc_u32_e32 v61, s8, v59
	v_add_co_u32 v51, vcc_lo, v191, v51
	v_lshlrev_b64 v[55:56], 4, v[55:56]
	v_ashrrev_i32_e32 v60, 31, v59
	v_add_co_ci_u32_e32 v52, vcc_lo, v192, v52, vcc_lo
	v_add_co_u32 v53, vcc_lo, v191, v53
	v_lshlrev_b64 v[57:58], 4, v[57:58]
	v_add_nc_u32_e32 v63, s8, v61
	v_add_co_ci_u32_e32 v54, vcc_lo, v192, v54, vcc_lo
	v_add_co_u32 v55, vcc_lo, v191, v55
	v_lshlrev_b64 v[59:60], 4, v[59:60]
	v_ashrrev_i32_e32 v62, 31, v61
	v_add_co_ci_u32_e32 v56, vcc_lo, v192, v56, vcc_lo
	v_add_co_u32 v57, vcc_lo, v191, v57
	v_ashrrev_i32_e32 v64, 31, v63
	v_add_nc_u32_e32 v65, s8, v63
	v_add_co_ci_u32_e32 v58, vcc_lo, v192, v58, vcc_lo
	v_lshlrev_b64 v[61:62], 4, v[61:62]
	v_add_co_u32 v181, vcc_lo, v191, v59
	v_add_co_ci_u32_e32 v182, vcc_lo, v192, v60, vcc_lo
	v_lshlrev_b64 v[59:60], 4, v[63:64]
	v_ashrrev_i32_e32 v66, 31, v65
	v_add_nc_u32_e32 v63, s8, v65
	v_add_co_u32 v188, vcc_lo, v191, v61
	v_add_co_ci_u32_e32 v189, vcc_lo, v192, v62, vcc_lo
	s_delay_alu instid0(VALU_DEP_4) | instskip(NEXT) | instid1(VALU_DEP_4)
	v_lshlrev_b64 v[61:62], 4, v[65:66]
	v_ashrrev_i32_e32 v64, 31, v63
	v_add_nc_u32_e32 v65, s8, v63
	v_add_co_u32 v195, vcc_lo, v191, v59
	v_add_co_ci_u32_e32 v196, vcc_lo, v192, v60, vcc_lo
	s_delay_alu instid0(VALU_DEP_4) | instskip(NEXT) | instid1(VALU_DEP_4)
	;; [unrolled: 6-line block ×8, first 2 shown]
	v_lshlrev_b64 v[59:60], 4, v[63:64]
	v_add_nc_u32_e32 v63, s8, v65
	v_ashrrev_i32_e32 v66, 31, v65
	v_add_co_u32 v209, vcc_lo, v191, v61
	v_add_co_ci_u32_e32 v210, vcc_lo, v192, v62, vcc_lo
	s_delay_alu instid0(VALU_DEP_4) | instskip(NEXT) | instid1(VALU_DEP_4)
	v_ashrrev_i32_e32 v64, 31, v63
	v_lshlrev_b64 v[61:62], 4, v[65:66]
	v_add_co_u32 v211, vcc_lo, v191, v59
	v_add_co_ci_u32_e32 v212, vcc_lo, v192, v60, vcc_lo
	s_delay_alu instid0(VALU_DEP_4) | instskip(SKIP_3) | instid1(VALU_DEP_4)
	v_lshlrev_b64 v[59:60], 4, v[63:64]
	v_add_nc_u32_e32 v63, s8, v63
	v_add_co_u32 v213, vcc_lo, v191, v61
	v_add_co_ci_u32_e32 v214, vcc_lo, v192, v62, vcc_lo
	v_add_co_u32 v215, vcc_lo, v191, v59
	s_delay_alu instid0(VALU_DEP_4) | instskip(SKIP_3) | instid1(VALU_DEP_4)
	v_ashrrev_i32_e32 v64, 31, v63
	v_add_co_ci_u32_e32 v216, vcc_lo, v192, v60, vcc_lo
	v_add_co_u32 v61, vcc_lo, v191, v183
	v_add_co_ci_u32_e32 v62, vcc_lo, 0, v192, vcc_lo
	v_lshlrev_b64 v[59:60], 4, v[63:64]
	s_delay_alu instid0(VALU_DEP_3) | instskip(NEXT) | instid1(VALU_DEP_3)
	v_add_co_u32 v63, vcc_lo, v61, s10
	v_add_co_ci_u32_e32 v64, vcc_lo, s11, v62, vcc_lo
	s_delay_alu instid0(VALU_DEP_3) | instskip(NEXT) | instid1(VALU_DEP_4)
	v_add_co_u32 v217, vcc_lo, v191, v59
	v_add_co_ci_u32_e32 v218, vcc_lo, v192, v60, vcc_lo
	s_clause 0x1f
	global_load_b128 v[172:175], v[61:62], off
	global_load_b128 v[168:171], v[63:64], off
	;; [unrolled: 1-line block ×32, first 2 shown]
	s_clause 0xc
	global_load_b128 v[48:51], v[188:189], off
	global_load_b128 v[44:47], v[195:196], off
	;; [unrolled: 1-line block ×13, first 2 shown]
	v_mul_lo_u32 v188, s2, v180
	s_delay_alu instid0(VALU_DEP_1) | instskip(SKIP_1) | instid1(VALU_DEP_2)
	v_lshl_add_u32 v190, v188, 4, 0
	v_dual_mov_b32 v188, 0 :: v_dual_lshlrev_b32 v195, 4, v188
	v_add_nc_u32_e32 v180, v190, v183
	s_waitcnt vmcnt(44)
	ds_store_2addr_b64 v180, v[172:173], v[174:175] offset1:1
	s_waitcnt vmcnt(0) lgkmcnt(0)
	s_barrier
	buffer_gl0_inv
	ds_load_2addr_b64 v[180:183], v190 offset1:1
	s_cbranch_scc1 .LBB88_6
; %bb.4:
	v_add3_u32 v189, v195, 0, 16
	v_mov_b32_e32 v188, 0
	s_mov_b32 s6, 1
	s_set_inst_prefetch_distance 0x1
	.p2align	6
.LBB88_5:                               ; =>This Inner Loop Header: Depth=1
	ds_load_2addr_b64 v[196:199], v189 offset1:1
	s_waitcnt lgkmcnt(1)
	v_cmp_gt_f64_e32 vcc_lo, 0, v[180:181]
	v_xor_b32_e32 v193, 0x80000000, v181
	v_cmp_gt_f64_e64 s2, 0, v[182:183]
	v_xor_b32_e32 v200, 0x80000000, v183
	v_add_nc_u32_e32 v189, 16, v189
	s_waitcnt lgkmcnt(0)
	v_cmp_gt_f64_e64 s3, 0, v[196:197]
	v_mov_b32_e32 v204, v196
	v_dual_mov_b32 v206, v198 :: v_dual_cndmask_b32 v201, v181, v193
	v_xor_b32_e32 v193, 0x80000000, v197
	v_cndmask_b32_e64 v203, v183, v200, s2
	v_xor_b32_e32 v200, 0x80000000, v199
	v_cndmask_b32_e64 v202, v182, v182, s2
	s_delay_alu instid0(VALU_DEP_4) | instskip(SKIP_1) | instid1(VALU_DEP_1)
	v_cndmask_b32_e64 v205, v197, v193, s3
	v_cmp_gt_f64_e64 s3, 0, v[198:199]
	v_cndmask_b32_e64 v207, v199, v200, s3
	v_cndmask_b32_e32 v200, v180, v180, vcc_lo
	s_delay_alu instid0(VALU_DEP_2) | instskip(NEXT) | instid1(VALU_DEP_2)
	v_add_f64 v[204:205], v[204:205], v[206:207]
	v_add_f64 v[200:201], v[200:201], v[202:203]
	s_delay_alu instid0(VALU_DEP_1)
	v_cmp_lt_f64_e32 vcc_lo, v[200:201], v[204:205]
	v_cndmask_b32_e32 v183, v183, v199, vcc_lo
	v_dual_cndmask_b32 v181, v181, v197 :: v_dual_cndmask_b32 v180, v180, v196
	v_cndmask_b32_e32 v182, v182, v198, vcc_lo
	v_cndmask_b32_e64 v188, v188, s6, vcc_lo
	s_add_i32 s6, s6, 1
	s_delay_alu instid0(SALU_CYCLE_1)
	s_cmp_eq_u32 s5, s6
	s_cbranch_scc0 .LBB88_5
.LBB88_6:
	s_set_inst_prefetch_distance 0x2
	s_waitcnt lgkmcnt(0)
	v_cmp_neq_f64_e32 vcc_lo, 0, v[180:181]
	v_cmp_neq_f64_e64 s2, 0, v[182:183]
	v_mov_b32_e32 v193, 1
	v_mov_b32_e32 v197, 1
	s_delay_alu instid0(VALU_DEP_3) | instskip(NEXT) | instid1(SALU_CYCLE_1)
	s_or_b32 s2, vcc_lo, s2
	s_and_saveexec_b32 s3, s2
	s_cbranch_execz .LBB88_12
; %bb.7:
	v_cmp_gt_f64_e32 vcc_lo, 0, v[180:181]
	v_cmp_gt_f64_e64 s2, 0, v[182:183]
	v_xor_b32_e32 v189, 0x80000000, v181
	v_xor_b32_e32 v193, 0x80000000, v183
                                        ; implicit-def: $sgpr6
                                        ; implicit-def: $sgpr7
	s_delay_alu instid0(VALU_DEP_2) | instskip(NEXT) | instid1(VALU_DEP_2)
	v_dual_cndmask_b32 v197, v181, v189 :: v_dual_cndmask_b32 v196, v180, v180
	v_cndmask_b32_e64 v199, v183, v193, s2
	v_cndmask_b32_e64 v198, v182, v182, s2
	s_mov_b32 s2, exec_lo
	s_delay_alu instid0(VALU_DEP_1)
	v_cmpx_ngt_f64_e32 v[196:197], v[198:199]
	s_xor_b32 s2, exec_lo, s2
	s_cbranch_execz .LBB88_9
; %bb.8:
	v_div_scale_f64 v[196:197], null, v[182:183], v[182:183], v[180:181]
	v_div_scale_f64 v[202:203], vcc_lo, v[180:181], v[182:183], v[180:181]
	s_mov_b32 s7, 2
	s_mov_b32 s6, 0
	s_delay_alu instid0(VALU_DEP_2) | instskip(SKIP_2) | instid1(VALU_DEP_1)
	v_rcp_f64_e32 v[198:199], v[196:197]
	s_waitcnt_depctr 0xfff
	v_fma_f64 v[200:201], -v[196:197], v[198:199], 1.0
	v_fma_f64 v[198:199], v[198:199], v[200:201], v[198:199]
	s_delay_alu instid0(VALU_DEP_1) | instskip(NEXT) | instid1(VALU_DEP_1)
	v_fma_f64 v[200:201], -v[196:197], v[198:199], 1.0
	v_fma_f64 v[198:199], v[198:199], v[200:201], v[198:199]
	s_delay_alu instid0(VALU_DEP_1) | instskip(NEXT) | instid1(VALU_DEP_1)
	v_mul_f64 v[200:201], v[202:203], v[198:199]
	v_fma_f64 v[196:197], -v[196:197], v[200:201], v[202:203]
	s_delay_alu instid0(VALU_DEP_1) | instskip(NEXT) | instid1(VALU_DEP_1)
	v_div_fmas_f64 v[196:197], v[196:197], v[198:199], v[200:201]
	v_div_fixup_f64 v[196:197], v[196:197], v[182:183], v[180:181]
	s_delay_alu instid0(VALU_DEP_1) | instskip(NEXT) | instid1(VALU_DEP_1)
	v_fma_f64 v[180:181], v[180:181], v[196:197], v[182:183]
	v_div_scale_f64 v[182:183], null, v[180:181], v[180:181], 1.0
	s_delay_alu instid0(VALU_DEP_1) | instskip(SKIP_2) | instid1(VALU_DEP_1)
	v_rcp_f64_e32 v[198:199], v[182:183]
	s_waitcnt_depctr 0xfff
	v_fma_f64 v[200:201], -v[182:183], v[198:199], 1.0
	v_fma_f64 v[198:199], v[198:199], v[200:201], v[198:199]
	s_delay_alu instid0(VALU_DEP_1) | instskip(NEXT) | instid1(VALU_DEP_1)
	v_fma_f64 v[200:201], -v[182:183], v[198:199], 1.0
	v_fma_f64 v[198:199], v[198:199], v[200:201], v[198:199]
	v_div_scale_f64 v[200:201], vcc_lo, 1.0, v[180:181], 1.0
	s_delay_alu instid0(VALU_DEP_1) | instskip(NEXT) | instid1(VALU_DEP_1)
	v_mul_f64 v[202:203], v[200:201], v[198:199]
	v_fma_f64 v[182:183], -v[182:183], v[202:203], v[200:201]
	s_delay_alu instid0(VALU_DEP_1) | instskip(NEXT) | instid1(VALU_DEP_1)
	v_div_fmas_f64 v[182:183], v[182:183], v[198:199], v[202:203]
	v_div_fixup_f64 v[182:183], v[182:183], v[180:181], 1.0
	s_delay_alu instid0(VALU_DEP_1)
	v_mul_f64 v[180:181], v[196:197], v[182:183]
	v_xor_b32_e32 v183, 0x80000000, v183
.LBB88_9:
	s_or_saveexec_b32 s2, s2
	v_mov_b32_e32 v197, s6
	v_mov_b32_e32 v193, s7
	s_xor_b32 exec_lo, exec_lo, s2
	s_cbranch_execz .LBB88_11
; %bb.10:
	s_delay_alu instid0(VALU_DEP_4) | instskip(SKIP_2) | instid1(VALU_DEP_3)
	v_div_scale_f64 v[196:197], null, v[180:181], v[180:181], v[182:183]
	v_div_scale_f64 v[202:203], vcc_lo, v[182:183], v[180:181], v[182:183]
	v_mov_b32_e32 v193, 2
	v_rcp_f64_e32 v[198:199], v[196:197]
	s_waitcnt_depctr 0xfff
	v_fma_f64 v[200:201], -v[196:197], v[198:199], 1.0
	s_delay_alu instid0(VALU_DEP_1) | instskip(NEXT) | instid1(VALU_DEP_1)
	v_fma_f64 v[198:199], v[198:199], v[200:201], v[198:199]
	v_fma_f64 v[200:201], -v[196:197], v[198:199], 1.0
	s_delay_alu instid0(VALU_DEP_1) | instskip(NEXT) | instid1(VALU_DEP_1)
	v_fma_f64 v[198:199], v[198:199], v[200:201], v[198:199]
	v_mul_f64 v[200:201], v[202:203], v[198:199]
	s_delay_alu instid0(VALU_DEP_1) | instskip(NEXT) | instid1(VALU_DEP_1)
	v_fma_f64 v[196:197], -v[196:197], v[200:201], v[202:203]
	v_div_fmas_f64 v[196:197], v[196:197], v[198:199], v[200:201]
	s_delay_alu instid0(VALU_DEP_1) | instskip(NEXT) | instid1(VALU_DEP_1)
	v_div_fixup_f64 v[196:197], v[196:197], v[180:181], v[182:183]
	v_fma_f64 v[180:181], v[182:183], v[196:197], v[180:181]
	s_delay_alu instid0(VALU_DEP_1) | instskip(NEXT) | instid1(VALU_DEP_1)
	v_div_scale_f64 v[182:183], null, v[180:181], v[180:181], 1.0
	v_rcp_f64_e32 v[198:199], v[182:183]
	s_waitcnt_depctr 0xfff
	v_fma_f64 v[200:201], -v[182:183], v[198:199], 1.0
	s_delay_alu instid0(VALU_DEP_1) | instskip(NEXT) | instid1(VALU_DEP_1)
	v_fma_f64 v[198:199], v[198:199], v[200:201], v[198:199]
	v_fma_f64 v[200:201], -v[182:183], v[198:199], 1.0
	s_delay_alu instid0(VALU_DEP_1) | instskip(SKIP_1) | instid1(VALU_DEP_1)
	v_fma_f64 v[198:199], v[198:199], v[200:201], v[198:199]
	v_div_scale_f64 v[200:201], vcc_lo, 1.0, v[180:181], 1.0
	v_mul_f64 v[202:203], v[200:201], v[198:199]
	s_delay_alu instid0(VALU_DEP_1) | instskip(NEXT) | instid1(VALU_DEP_1)
	v_fma_f64 v[182:183], -v[182:183], v[202:203], v[200:201]
	v_div_fmas_f64 v[182:183], v[182:183], v[198:199], v[202:203]
	s_delay_alu instid0(VALU_DEP_1) | instskip(NEXT) | instid1(VALU_DEP_1)
	v_div_fixup_f64 v[180:181], v[182:183], v[180:181], 1.0
	v_mul_f64 v[182:183], v[196:197], -v[180:181]
	v_mov_b32_e32 v197, 0
.LBB88_11:
	s_or_b32 exec_lo, exec_lo, s2
.LBB88_12:
	s_delay_alu instid0(SALU_CYCLE_1) | instskip(NEXT) | instid1(SALU_CYCLE_1)
	s_or_b32 exec_lo, exec_lo, s3
	s_mov_b32 s2, exec_lo
	v_cmpx_ne_u32_e64 v194, v188
	s_xor_b32 s2, exec_lo, s2
	s_cbranch_execz .LBB88_18
; %bb.13:
	s_mov_b32 s3, exec_lo
	v_cmpx_eq_u32_e32 0, v194
	s_cbranch_execz .LBB88_17
; %bb.14:
	v_cmp_ne_u32_e32 vcc_lo, 0, v188
	s_xor_b32 s6, s4, -1
	s_delay_alu instid0(SALU_CYCLE_1) | instskip(NEXT) | instid1(SALU_CYCLE_1)
	s_and_b32 s7, s6, vcc_lo
	s_and_saveexec_b32 s6, s7
	s_cbranch_execz .LBB88_16
; %bb.15:
	v_ashrrev_i32_e32 v189, 31, v188
	s_delay_alu instid0(VALU_DEP_1) | instskip(NEXT) | instid1(VALU_DEP_1)
	v_lshlrev_b64 v[198:199], 2, v[188:189]
	v_add_co_u32 v198, vcc_lo, v186, v198
	s_delay_alu instid0(VALU_DEP_2)
	v_add_co_ci_u32_e32 v199, vcc_lo, v187, v199, vcc_lo
	s_clause 0x1
	flat_load_b32 v189, v[198:199]
	flat_load_b32 v194, v[186:187]
	s_waitcnt vmcnt(1) lgkmcnt(1)
	flat_store_b32 v[186:187], v189
	s_waitcnt vmcnt(0) lgkmcnt(1)
	flat_store_b32 v[198:199], v194
.LBB88_16:
	s_or_b32 exec_lo, exec_lo, s6
	v_mov_b32_e32 v194, v188
.LBB88_17:
	s_or_b32 exec_lo, exec_lo, s3
.LBB88_18:
	s_or_saveexec_b32 s2, s2
	s_delay_alu instid0(VALU_DEP_1)
	v_mov_b32_e32 v196, v194
	s_xor_b32 exec_lo, exec_lo, s2
	s_cbranch_execz .LBB88_20
; %bb.19:
	v_mov_b32_e32 v196, 0
	ds_store_2addr_b64 v190, v[168:169], v[170:171] offset0:2 offset1:3
	ds_store_2addr_b64 v190, v[176:177], v[178:179] offset0:4 offset1:5
	;; [unrolled: 1-line block ×44, first 2 shown]
.LBB88_20:
	s_or_b32 exec_lo, exec_lo, s2
	s_delay_alu instid0(SALU_CYCLE_1)
	s_mov_b32 s2, exec_lo
	s_waitcnt lgkmcnt(0)
	s_waitcnt_vscnt null, 0x0
	s_barrier
	buffer_gl0_inv
	v_cmpx_lt_i32_e32 0, v196
	s_cbranch_execz .LBB88_22
; %bb.21:
	v_mul_f64 v[188:189], v[182:183], v[174:175]
	v_mul_f64 v[174:175], v[180:181], v[174:175]
	s_delay_alu instid0(VALU_DEP_2) | instskip(NEXT) | instid1(VALU_DEP_2)
	v_fma_f64 v[188:189], v[180:181], v[172:173], -v[188:189]
	v_fma_f64 v[174:175], v[182:183], v[172:173], v[174:175]
	ds_load_2addr_b64 v[180:183], v190 offset0:2 offset1:3
	s_waitcnt lgkmcnt(0)
	v_mul_f64 v[172:173], v[182:183], v[174:175]
	s_delay_alu instid0(VALU_DEP_1) | instskip(SKIP_1) | instid1(VALU_DEP_2)
	v_fma_f64 v[172:173], v[180:181], v[188:189], -v[172:173]
	v_mul_f64 v[180:181], v[180:181], v[174:175]
	v_add_f64 v[168:169], v[168:169], -v[172:173]
	s_delay_alu instid0(VALU_DEP_2) | instskip(NEXT) | instid1(VALU_DEP_1)
	v_fma_f64 v[180:181], v[182:183], v[188:189], v[180:181]
	v_add_f64 v[170:171], v[170:171], -v[180:181]
	ds_load_2addr_b64 v[180:183], v190 offset0:4 offset1:5
	s_waitcnt lgkmcnt(0)
	v_mul_f64 v[172:173], v[182:183], v[174:175]
	s_delay_alu instid0(VALU_DEP_1) | instskip(SKIP_1) | instid1(VALU_DEP_2)
	v_fma_f64 v[172:173], v[180:181], v[188:189], -v[172:173]
	v_mul_f64 v[180:181], v[180:181], v[174:175]
	v_add_f64 v[176:177], v[176:177], -v[172:173]
	s_delay_alu instid0(VALU_DEP_2) | instskip(NEXT) | instid1(VALU_DEP_1)
	v_fma_f64 v[180:181], v[182:183], v[188:189], v[180:181]
	v_add_f64 v[178:179], v[178:179], -v[180:181]
	;; [unrolled: 10-line block ×43, first 2 shown]
	ds_load_2addr_b64 v[180:183], v190 offset0:88 offset1:89
	s_waitcnt lgkmcnt(0)
	v_mul_f64 v[172:173], v[182:183], v[174:175]
	s_delay_alu instid0(VALU_DEP_1) | instskip(SKIP_1) | instid1(VALU_DEP_2)
	v_fma_f64 v[172:173], v[180:181], v[188:189], -v[172:173]
	v_mul_f64 v[180:181], v[180:181], v[174:175]
	v_add_f64 v[0:1], v[0:1], -v[172:173]
	s_delay_alu instid0(VALU_DEP_2) | instskip(SKIP_1) | instid1(VALU_DEP_2)
	v_fma_f64 v[180:181], v[182:183], v[188:189], v[180:181]
	v_dual_mov_b32 v172, v188 :: v_dual_mov_b32 v173, v189
	v_add_f64 v[2:3], v[2:3], -v[180:181]
.LBB88_22:
	s_or_b32 exec_lo, exec_lo, s2
	v_lshl_add_u32 v180, v196, 4, v190
	s_barrier
	buffer_gl0_inv
	v_mov_b32_e32 v188, 1
	ds_store_2addr_b64 v180, v[168:169], v[170:171] offset1:1
	s_waitcnt lgkmcnt(0)
	s_barrier
	buffer_gl0_inv
	ds_load_2addr_b64 v[180:183], v190 offset0:2 offset1:3
	s_cmp_lt_i32 s5, 3
	s_cbranch_scc1 .LBB88_25
; %bb.23:
	v_add3_u32 v189, v195, 0, 32
	v_mov_b32_e32 v188, 1
	s_mov_b32 s6, 2
	s_set_inst_prefetch_distance 0x1
	.p2align	6
.LBB88_24:                              ; =>This Inner Loop Header: Depth=1
	ds_load_2addr_b64 v[198:201], v189 offset1:1
	s_waitcnt lgkmcnt(1)
	v_cmp_gt_f64_e32 vcc_lo, 0, v[180:181]
	v_xor_b32_e32 v202, 0x80000000, v181
	v_cmp_gt_f64_e64 s2, 0, v[182:183]
	v_xor_b32_e32 v204, 0x80000000, v183
	v_add_nc_u32_e32 v189, 16, v189
	s_waitcnt lgkmcnt(0)
	v_cmp_gt_f64_e64 s3, 0, v[198:199]
	v_mov_b32_e32 v206, v198
	v_dual_mov_b32 v208, v200 :: v_dual_cndmask_b32 v203, v181, v202
	v_xor_b32_e32 v202, 0x80000000, v199
	v_cndmask_b32_e64 v205, v183, v204, s2
	v_xor_b32_e32 v204, 0x80000000, v201
	s_delay_alu instid0(VALU_DEP_3) | instskip(SKIP_2) | instid1(VALU_DEP_2)
	v_cndmask_b32_e64 v207, v199, v202, s3
	v_cmp_gt_f64_e64 s3, 0, v[200:201]
	v_cndmask_b32_e32 v202, v180, v180, vcc_lo
	v_cndmask_b32_e64 v209, v201, v204, s3
	v_cndmask_b32_e64 v204, v182, v182, s2
	s_delay_alu instid0(VALU_DEP_2) | instskip(NEXT) | instid1(VALU_DEP_2)
	v_add_f64 v[206:207], v[206:207], v[208:209]
	v_add_f64 v[202:203], v[202:203], v[204:205]
	s_delay_alu instid0(VALU_DEP_1)
	v_cmp_lt_f64_e32 vcc_lo, v[202:203], v[206:207]
	v_cndmask_b32_e32 v183, v183, v201, vcc_lo
	v_dual_cndmask_b32 v181, v181, v199 :: v_dual_cndmask_b32 v180, v180, v198
	v_cndmask_b32_e32 v182, v182, v200, vcc_lo
	v_cndmask_b32_e64 v188, v188, s6, vcc_lo
	s_add_i32 s6, s6, 1
	s_delay_alu instid0(SALU_CYCLE_1)
	s_cmp_lg_u32 s5, s6
	s_cbranch_scc1 .LBB88_24
.LBB88_25:
	s_set_inst_prefetch_distance 0x2
	s_waitcnt lgkmcnt(0)
	v_cmp_neq_f64_e32 vcc_lo, 0, v[180:181]
	v_cmp_neq_f64_e64 s2, 0, v[182:183]
	s_delay_alu instid0(VALU_DEP_1) | instskip(NEXT) | instid1(SALU_CYCLE_1)
	s_or_b32 s2, vcc_lo, s2
	s_and_saveexec_b32 s3, s2
	s_cbranch_execz .LBB88_31
; %bb.26:
	v_cmp_gt_f64_e32 vcc_lo, 0, v[180:181]
	v_cmp_gt_f64_e64 s2, 0, v[182:183]
	v_xor_b32_e32 v189, 0x80000000, v181
	v_xor_b32_e32 v193, 0x80000000, v183
	s_delay_alu instid0(VALU_DEP_2) | instskip(NEXT) | instid1(VALU_DEP_2)
	v_dual_cndmask_b32 v199, v181, v189 :: v_dual_cndmask_b32 v198, v180, v180
	v_cndmask_b32_e64 v201, v183, v193, s2
	v_cndmask_b32_e64 v200, v182, v182, s2
	s_mov_b32 s2, exec_lo
	s_delay_alu instid0(VALU_DEP_1)
	v_cmpx_ngt_f64_e32 v[198:199], v[200:201]
	s_xor_b32 s2, exec_lo, s2
	s_cbranch_execz .LBB88_28
; %bb.27:
	v_div_scale_f64 v[198:199], null, v[182:183], v[182:183], v[180:181]
	v_div_scale_f64 v[204:205], vcc_lo, v[180:181], v[182:183], v[180:181]
	s_delay_alu instid0(VALU_DEP_2) | instskip(SKIP_2) | instid1(VALU_DEP_1)
	v_rcp_f64_e32 v[200:201], v[198:199]
	s_waitcnt_depctr 0xfff
	v_fma_f64 v[202:203], -v[198:199], v[200:201], 1.0
	v_fma_f64 v[200:201], v[200:201], v[202:203], v[200:201]
	s_delay_alu instid0(VALU_DEP_1) | instskip(NEXT) | instid1(VALU_DEP_1)
	v_fma_f64 v[202:203], -v[198:199], v[200:201], 1.0
	v_fma_f64 v[200:201], v[200:201], v[202:203], v[200:201]
	s_delay_alu instid0(VALU_DEP_1) | instskip(NEXT) | instid1(VALU_DEP_1)
	v_mul_f64 v[202:203], v[204:205], v[200:201]
	v_fma_f64 v[198:199], -v[198:199], v[202:203], v[204:205]
	s_delay_alu instid0(VALU_DEP_1) | instskip(NEXT) | instid1(VALU_DEP_1)
	v_div_fmas_f64 v[198:199], v[198:199], v[200:201], v[202:203]
	v_div_fixup_f64 v[198:199], v[198:199], v[182:183], v[180:181]
	s_delay_alu instid0(VALU_DEP_1) | instskip(NEXT) | instid1(VALU_DEP_1)
	v_fma_f64 v[180:181], v[180:181], v[198:199], v[182:183]
	v_div_scale_f64 v[182:183], null, v[180:181], v[180:181], 1.0
	s_delay_alu instid0(VALU_DEP_1) | instskip(SKIP_2) | instid1(VALU_DEP_1)
	v_rcp_f64_e32 v[200:201], v[182:183]
	s_waitcnt_depctr 0xfff
	v_fma_f64 v[202:203], -v[182:183], v[200:201], 1.0
	v_fma_f64 v[200:201], v[200:201], v[202:203], v[200:201]
	s_delay_alu instid0(VALU_DEP_1) | instskip(NEXT) | instid1(VALU_DEP_1)
	v_fma_f64 v[202:203], -v[182:183], v[200:201], 1.0
	v_fma_f64 v[200:201], v[200:201], v[202:203], v[200:201]
	v_div_scale_f64 v[202:203], vcc_lo, 1.0, v[180:181], 1.0
	s_delay_alu instid0(VALU_DEP_1) | instskip(NEXT) | instid1(VALU_DEP_1)
	v_mul_f64 v[204:205], v[202:203], v[200:201]
	v_fma_f64 v[182:183], -v[182:183], v[204:205], v[202:203]
	s_delay_alu instid0(VALU_DEP_1) | instskip(NEXT) | instid1(VALU_DEP_1)
	v_div_fmas_f64 v[182:183], v[182:183], v[200:201], v[204:205]
	v_div_fixup_f64 v[182:183], v[182:183], v[180:181], 1.0
	s_delay_alu instid0(VALU_DEP_1)
	v_mul_f64 v[180:181], v[198:199], v[182:183]
	v_xor_b32_e32 v183, 0x80000000, v183
.LBB88_28:
	s_and_not1_saveexec_b32 s2, s2
	s_cbranch_execz .LBB88_30
; %bb.29:
	s_delay_alu instid0(VALU_DEP_1) | instskip(SKIP_1) | instid1(VALU_DEP_2)
	v_div_scale_f64 v[198:199], null, v[180:181], v[180:181], v[182:183]
	v_div_scale_f64 v[204:205], vcc_lo, v[182:183], v[180:181], v[182:183]
	v_rcp_f64_e32 v[200:201], v[198:199]
	s_waitcnt_depctr 0xfff
	v_fma_f64 v[202:203], -v[198:199], v[200:201], 1.0
	s_delay_alu instid0(VALU_DEP_1) | instskip(NEXT) | instid1(VALU_DEP_1)
	v_fma_f64 v[200:201], v[200:201], v[202:203], v[200:201]
	v_fma_f64 v[202:203], -v[198:199], v[200:201], 1.0
	s_delay_alu instid0(VALU_DEP_1) | instskip(NEXT) | instid1(VALU_DEP_1)
	v_fma_f64 v[200:201], v[200:201], v[202:203], v[200:201]
	v_mul_f64 v[202:203], v[204:205], v[200:201]
	s_delay_alu instid0(VALU_DEP_1) | instskip(NEXT) | instid1(VALU_DEP_1)
	v_fma_f64 v[198:199], -v[198:199], v[202:203], v[204:205]
	v_div_fmas_f64 v[198:199], v[198:199], v[200:201], v[202:203]
	s_delay_alu instid0(VALU_DEP_1) | instskip(NEXT) | instid1(VALU_DEP_1)
	v_div_fixup_f64 v[198:199], v[198:199], v[180:181], v[182:183]
	v_fma_f64 v[180:181], v[182:183], v[198:199], v[180:181]
	s_delay_alu instid0(VALU_DEP_1) | instskip(NEXT) | instid1(VALU_DEP_1)
	v_div_scale_f64 v[182:183], null, v[180:181], v[180:181], 1.0
	v_rcp_f64_e32 v[200:201], v[182:183]
	s_waitcnt_depctr 0xfff
	v_fma_f64 v[202:203], -v[182:183], v[200:201], 1.0
	s_delay_alu instid0(VALU_DEP_1) | instskip(NEXT) | instid1(VALU_DEP_1)
	v_fma_f64 v[200:201], v[200:201], v[202:203], v[200:201]
	v_fma_f64 v[202:203], -v[182:183], v[200:201], 1.0
	s_delay_alu instid0(VALU_DEP_1) | instskip(SKIP_1) | instid1(VALU_DEP_1)
	v_fma_f64 v[200:201], v[200:201], v[202:203], v[200:201]
	v_div_scale_f64 v[202:203], vcc_lo, 1.0, v[180:181], 1.0
	v_mul_f64 v[204:205], v[202:203], v[200:201]
	s_delay_alu instid0(VALU_DEP_1) | instskip(NEXT) | instid1(VALU_DEP_1)
	v_fma_f64 v[182:183], -v[182:183], v[204:205], v[202:203]
	v_div_fmas_f64 v[182:183], v[182:183], v[200:201], v[204:205]
	s_delay_alu instid0(VALU_DEP_1) | instskip(NEXT) | instid1(VALU_DEP_1)
	v_div_fixup_f64 v[180:181], v[182:183], v[180:181], 1.0
	v_mul_f64 v[182:183], v[198:199], -v[180:181]
.LBB88_30:
	s_or_b32 exec_lo, exec_lo, s2
	v_mov_b32_e32 v193, v197
.LBB88_31:
	s_or_b32 exec_lo, exec_lo, s3
	s_delay_alu instid0(SALU_CYCLE_1)
	s_mov_b32 s2, exec_lo
	v_cmpx_ne_u32_e64 v196, v188
	s_xor_b32 s2, exec_lo, s2
	s_cbranch_execz .LBB88_37
; %bb.32:
	s_mov_b32 s3, exec_lo
	v_cmpx_eq_u32_e32 1, v196
	s_cbranch_execz .LBB88_36
; %bb.33:
	v_cmp_ne_u32_e32 vcc_lo, 1, v188
	s_xor_b32 s6, s4, -1
	s_delay_alu instid0(SALU_CYCLE_1) | instskip(NEXT) | instid1(SALU_CYCLE_1)
	s_and_b32 s7, s6, vcc_lo
	s_and_saveexec_b32 s6, s7
	s_cbranch_execz .LBB88_35
; %bb.34:
	v_ashrrev_i32_e32 v189, 31, v188
	s_delay_alu instid0(VALU_DEP_1) | instskip(NEXT) | instid1(VALU_DEP_1)
	v_lshlrev_b64 v[196:197], 2, v[188:189]
	v_add_co_u32 v196, vcc_lo, v186, v196
	s_delay_alu instid0(VALU_DEP_2)
	v_add_co_ci_u32_e32 v197, vcc_lo, v187, v197, vcc_lo
	s_clause 0x1
	flat_load_b32 v189, v[196:197]
	flat_load_b32 v194, v[186:187] offset:4
	s_waitcnt vmcnt(1) lgkmcnt(1)
	flat_store_b32 v[186:187], v189 offset:4
	s_waitcnt vmcnt(0) lgkmcnt(1)
	flat_store_b32 v[196:197], v194
.LBB88_35:
	s_or_b32 exec_lo, exec_lo, s6
	v_mov_b32_e32 v196, v188
	v_mov_b32_e32 v194, v188
.LBB88_36:
	s_or_b32 exec_lo, exec_lo, s3
.LBB88_37:
	s_and_not1_saveexec_b32 s2, s2
	s_cbranch_execz .LBB88_39
; %bb.38:
	v_mov_b32_e32 v196, 1
	ds_store_2addr_b64 v190, v[176:177], v[178:179] offset0:4 offset1:5
	ds_store_2addr_b64 v190, v[164:165], v[166:167] offset0:6 offset1:7
	ds_store_2addr_b64 v190, v[160:161], v[162:163] offset0:8 offset1:9
	ds_store_2addr_b64 v190, v[156:157], v[158:159] offset0:10 offset1:11
	ds_store_2addr_b64 v190, v[152:153], v[154:155] offset0:12 offset1:13
	ds_store_2addr_b64 v190, v[148:149], v[150:151] offset0:14 offset1:15
	ds_store_2addr_b64 v190, v[144:145], v[146:147] offset0:16 offset1:17
	ds_store_2addr_b64 v190, v[140:141], v[142:143] offset0:18 offset1:19
	ds_store_2addr_b64 v190, v[136:137], v[138:139] offset0:20 offset1:21
	ds_store_2addr_b64 v190, v[132:133], v[134:135] offset0:22 offset1:23
	ds_store_2addr_b64 v190, v[128:129], v[130:131] offset0:24 offset1:25
	ds_store_2addr_b64 v190, v[124:125], v[126:127] offset0:26 offset1:27
	ds_store_2addr_b64 v190, v[120:121], v[122:123] offset0:28 offset1:29
	ds_store_2addr_b64 v190, v[116:117], v[118:119] offset0:30 offset1:31
	ds_store_2addr_b64 v190, v[112:113], v[114:115] offset0:32 offset1:33
	ds_store_2addr_b64 v190, v[108:109], v[110:111] offset0:34 offset1:35
	ds_store_2addr_b64 v190, v[104:105], v[106:107] offset0:36 offset1:37
	ds_store_2addr_b64 v190, v[100:101], v[102:103] offset0:38 offset1:39
	ds_store_2addr_b64 v190, v[96:97], v[98:99] offset0:40 offset1:41
	ds_store_2addr_b64 v190, v[92:93], v[94:95] offset0:42 offset1:43
	ds_store_2addr_b64 v190, v[88:89], v[90:91] offset0:44 offset1:45
	ds_store_2addr_b64 v190, v[84:85], v[86:87] offset0:46 offset1:47
	ds_store_2addr_b64 v190, v[80:81], v[82:83] offset0:48 offset1:49
	ds_store_2addr_b64 v190, v[76:77], v[78:79] offset0:50 offset1:51
	ds_store_2addr_b64 v190, v[72:73], v[74:75] offset0:52 offset1:53
	ds_store_2addr_b64 v190, v[68:69], v[70:71] offset0:54 offset1:55
	ds_store_2addr_b64 v190, v[64:65], v[66:67] offset0:56 offset1:57
	ds_store_2addr_b64 v190, v[60:61], v[62:63] offset0:58 offset1:59
	ds_store_2addr_b64 v190, v[56:57], v[58:59] offset0:60 offset1:61
	ds_store_2addr_b64 v190, v[52:53], v[54:55] offset0:62 offset1:63
	ds_store_2addr_b64 v190, v[48:49], v[50:51] offset0:64 offset1:65
	ds_store_2addr_b64 v190, v[44:45], v[46:47] offset0:66 offset1:67
	ds_store_2addr_b64 v190, v[40:41], v[42:43] offset0:68 offset1:69
	ds_store_2addr_b64 v190, v[36:37], v[38:39] offset0:70 offset1:71
	ds_store_2addr_b64 v190, v[32:33], v[34:35] offset0:72 offset1:73
	ds_store_2addr_b64 v190, v[28:29], v[30:31] offset0:74 offset1:75
	ds_store_2addr_b64 v190, v[24:25], v[26:27] offset0:76 offset1:77
	ds_store_2addr_b64 v190, v[20:21], v[22:23] offset0:78 offset1:79
	ds_store_2addr_b64 v190, v[16:17], v[18:19] offset0:80 offset1:81
	ds_store_2addr_b64 v190, v[12:13], v[14:15] offset0:82 offset1:83
	ds_store_2addr_b64 v190, v[8:9], v[10:11] offset0:84 offset1:85
	ds_store_2addr_b64 v190, v[4:5], v[6:7] offset0:86 offset1:87
	ds_store_2addr_b64 v190, v[0:1], v[2:3] offset0:88 offset1:89
.LBB88_39:
	s_or_b32 exec_lo, exec_lo, s2
	s_delay_alu instid0(SALU_CYCLE_1)
	s_mov_b32 s2, exec_lo
	s_waitcnt lgkmcnt(0)
	s_waitcnt_vscnt null, 0x0
	s_barrier
	buffer_gl0_inv
	v_cmpx_lt_i32_e32 1, v196
	s_cbranch_execz .LBB88_41
; %bb.40:
	v_mul_f64 v[188:189], v[182:183], v[170:171]
	v_mul_f64 v[170:171], v[180:181], v[170:171]
	s_delay_alu instid0(VALU_DEP_2) | instskip(NEXT) | instid1(VALU_DEP_2)
	v_fma_f64 v[188:189], v[180:181], v[168:169], -v[188:189]
	v_fma_f64 v[170:171], v[182:183], v[168:169], v[170:171]
	ds_load_2addr_b64 v[180:183], v190 offset0:4 offset1:5
	s_waitcnt lgkmcnt(0)
	v_mul_f64 v[168:169], v[182:183], v[170:171]
	s_delay_alu instid0(VALU_DEP_1) | instskip(SKIP_1) | instid1(VALU_DEP_2)
	v_fma_f64 v[168:169], v[180:181], v[188:189], -v[168:169]
	v_mul_f64 v[180:181], v[180:181], v[170:171]
	v_add_f64 v[176:177], v[176:177], -v[168:169]
	s_delay_alu instid0(VALU_DEP_2) | instskip(NEXT) | instid1(VALU_DEP_1)
	v_fma_f64 v[180:181], v[182:183], v[188:189], v[180:181]
	v_add_f64 v[178:179], v[178:179], -v[180:181]
	ds_load_2addr_b64 v[180:183], v190 offset0:6 offset1:7
	s_waitcnt lgkmcnt(0)
	v_mul_f64 v[168:169], v[182:183], v[170:171]
	s_delay_alu instid0(VALU_DEP_1) | instskip(SKIP_1) | instid1(VALU_DEP_2)
	v_fma_f64 v[168:169], v[180:181], v[188:189], -v[168:169]
	v_mul_f64 v[180:181], v[180:181], v[170:171]
	v_add_f64 v[164:165], v[164:165], -v[168:169]
	s_delay_alu instid0(VALU_DEP_2) | instskip(NEXT) | instid1(VALU_DEP_1)
	v_fma_f64 v[180:181], v[182:183], v[188:189], v[180:181]
	v_add_f64 v[166:167], v[166:167], -v[180:181]
	;; [unrolled: 10-line block ×42, first 2 shown]
	ds_load_2addr_b64 v[180:183], v190 offset0:88 offset1:89
	s_waitcnt lgkmcnt(0)
	v_mul_f64 v[168:169], v[182:183], v[170:171]
	s_delay_alu instid0(VALU_DEP_1) | instskip(SKIP_1) | instid1(VALU_DEP_2)
	v_fma_f64 v[168:169], v[180:181], v[188:189], -v[168:169]
	v_mul_f64 v[180:181], v[180:181], v[170:171]
	v_add_f64 v[0:1], v[0:1], -v[168:169]
	s_delay_alu instid0(VALU_DEP_2) | instskip(SKIP_1) | instid1(VALU_DEP_2)
	v_fma_f64 v[180:181], v[182:183], v[188:189], v[180:181]
	v_dual_mov_b32 v168, v188 :: v_dual_mov_b32 v169, v189
	v_add_f64 v[2:3], v[2:3], -v[180:181]
.LBB88_41:
	s_or_b32 exec_lo, exec_lo, s2
	v_lshl_add_u32 v180, v196, 4, v190
	s_barrier
	buffer_gl0_inv
	v_mov_b32_e32 v188, 2
	ds_store_2addr_b64 v180, v[176:177], v[178:179] offset1:1
	s_waitcnt lgkmcnt(0)
	s_barrier
	buffer_gl0_inv
	ds_load_2addr_b64 v[180:183], v190 offset0:4 offset1:5
	s_cmp_lt_i32 s5, 4
	s_cbranch_scc1 .LBB88_44
; %bb.42:
	v_add3_u32 v189, v195, 0, 48
	v_mov_b32_e32 v188, 2
	s_mov_b32 s6, 3
	s_set_inst_prefetch_distance 0x1
	.p2align	6
.LBB88_43:                              ; =>This Inner Loop Header: Depth=1
	ds_load_2addr_b64 v[197:200], v189 offset1:1
	s_waitcnt lgkmcnt(1)
	v_cmp_gt_f64_e32 vcc_lo, 0, v[180:181]
	v_xor_b32_e32 v201, 0x80000000, v181
	v_cmp_gt_f64_e64 s2, 0, v[182:183]
	v_xor_b32_e32 v203, 0x80000000, v183
	v_add_nc_u32_e32 v189, 16, v189
	s_waitcnt lgkmcnt(0)
	v_cmp_gt_f64_e64 s3, 0, v[197:198]
	v_mov_b32_e32 v205, v197
	v_dual_mov_b32 v207, v199 :: v_dual_cndmask_b32 v202, v181, v201
	v_xor_b32_e32 v201, 0x80000000, v198
	v_cndmask_b32_e64 v204, v183, v203, s2
	v_xor_b32_e32 v203, 0x80000000, v200
	s_delay_alu instid0(VALU_DEP_3) | instskip(SKIP_2) | instid1(VALU_DEP_2)
	v_cndmask_b32_e64 v206, v198, v201, s3
	v_cmp_gt_f64_e64 s3, 0, v[199:200]
	v_cndmask_b32_e32 v201, v180, v180, vcc_lo
	v_cndmask_b32_e64 v208, v200, v203, s3
	v_cndmask_b32_e64 v203, v182, v182, s2
	s_delay_alu instid0(VALU_DEP_2) | instskip(NEXT) | instid1(VALU_DEP_2)
	v_add_f64 v[205:206], v[205:206], v[207:208]
	v_add_f64 v[201:202], v[201:202], v[203:204]
	s_delay_alu instid0(VALU_DEP_1) | instskip(SKIP_4) | instid1(SALU_CYCLE_1)
	v_cmp_lt_f64_e32 vcc_lo, v[201:202], v[205:206]
	v_dual_cndmask_b32 v182, v182, v199 :: v_dual_cndmask_b32 v181, v181, v198
	v_dual_cndmask_b32 v180, v180, v197 :: v_dual_cndmask_b32 v183, v183, v200
	v_cndmask_b32_e64 v188, v188, s6, vcc_lo
	s_add_i32 s6, s6, 1
	s_cmp_lg_u32 s5, s6
	s_cbranch_scc1 .LBB88_43
.LBB88_44:
	s_set_inst_prefetch_distance 0x2
	s_waitcnt lgkmcnt(0)
	v_cmp_eq_f64_e32 vcc_lo, 0, v[180:181]
	v_cmp_eq_f64_e64 s2, 0, v[182:183]
	s_delay_alu instid0(VALU_DEP_1) | instskip(NEXT) | instid1(SALU_CYCLE_1)
	s_and_b32 s2, vcc_lo, s2
	s_and_saveexec_b32 s3, s2
	s_delay_alu instid0(SALU_CYCLE_1)
	s_xor_b32 s2, exec_lo, s3
; %bb.45:
	v_cmp_ne_u32_e32 vcc_lo, 0, v193
	v_cndmask_b32_e32 v193, 3, v193, vcc_lo
; %bb.46:
	s_and_not1_saveexec_b32 s3, s2
	s_cbranch_execz .LBB88_52
; %bb.47:
	v_cmp_gt_f64_e32 vcc_lo, 0, v[180:181]
	v_cmp_gt_f64_e64 s2, 0, v[182:183]
	v_xor_b32_e32 v189, 0x80000000, v181
	v_xor_b32_e32 v197, 0x80000000, v183
	s_delay_alu instid0(VALU_DEP_2) | instskip(NEXT) | instid1(VALU_DEP_2)
	v_cndmask_b32_e32 v198, v181, v189, vcc_lo
	v_cndmask_b32_e64 v200, v183, v197, s2
	v_cndmask_b32_e32 v197, v180, v180, vcc_lo
	v_cndmask_b32_e64 v199, v182, v182, s2
	s_mov_b32 s2, exec_lo
	s_delay_alu instid0(VALU_DEP_1)
	v_cmpx_ngt_f64_e32 v[197:198], v[199:200]
	s_xor_b32 s2, exec_lo, s2
	s_cbranch_execz .LBB88_49
; %bb.48:
	v_div_scale_f64 v[197:198], null, v[182:183], v[182:183], v[180:181]
	v_div_scale_f64 v[203:204], vcc_lo, v[180:181], v[182:183], v[180:181]
	s_delay_alu instid0(VALU_DEP_2) | instskip(SKIP_2) | instid1(VALU_DEP_1)
	v_rcp_f64_e32 v[199:200], v[197:198]
	s_waitcnt_depctr 0xfff
	v_fma_f64 v[201:202], -v[197:198], v[199:200], 1.0
	v_fma_f64 v[199:200], v[199:200], v[201:202], v[199:200]
	s_delay_alu instid0(VALU_DEP_1) | instskip(NEXT) | instid1(VALU_DEP_1)
	v_fma_f64 v[201:202], -v[197:198], v[199:200], 1.0
	v_fma_f64 v[199:200], v[199:200], v[201:202], v[199:200]
	s_delay_alu instid0(VALU_DEP_1) | instskip(NEXT) | instid1(VALU_DEP_1)
	v_mul_f64 v[201:202], v[203:204], v[199:200]
	v_fma_f64 v[197:198], -v[197:198], v[201:202], v[203:204]
	s_delay_alu instid0(VALU_DEP_1) | instskip(NEXT) | instid1(VALU_DEP_1)
	v_div_fmas_f64 v[197:198], v[197:198], v[199:200], v[201:202]
	v_div_fixup_f64 v[197:198], v[197:198], v[182:183], v[180:181]
	s_delay_alu instid0(VALU_DEP_1) | instskip(NEXT) | instid1(VALU_DEP_1)
	v_fma_f64 v[180:181], v[180:181], v[197:198], v[182:183]
	v_div_scale_f64 v[182:183], null, v[180:181], v[180:181], 1.0
	s_delay_alu instid0(VALU_DEP_1) | instskip(SKIP_2) | instid1(VALU_DEP_1)
	v_rcp_f64_e32 v[199:200], v[182:183]
	s_waitcnt_depctr 0xfff
	v_fma_f64 v[201:202], -v[182:183], v[199:200], 1.0
	v_fma_f64 v[199:200], v[199:200], v[201:202], v[199:200]
	s_delay_alu instid0(VALU_DEP_1) | instskip(NEXT) | instid1(VALU_DEP_1)
	v_fma_f64 v[201:202], -v[182:183], v[199:200], 1.0
	v_fma_f64 v[199:200], v[199:200], v[201:202], v[199:200]
	v_div_scale_f64 v[201:202], vcc_lo, 1.0, v[180:181], 1.0
	s_delay_alu instid0(VALU_DEP_1) | instskip(NEXT) | instid1(VALU_DEP_1)
	v_mul_f64 v[203:204], v[201:202], v[199:200]
	v_fma_f64 v[182:183], -v[182:183], v[203:204], v[201:202]
	s_delay_alu instid0(VALU_DEP_1) | instskip(NEXT) | instid1(VALU_DEP_1)
	v_div_fmas_f64 v[182:183], v[182:183], v[199:200], v[203:204]
	v_div_fixup_f64 v[182:183], v[182:183], v[180:181], 1.0
	s_delay_alu instid0(VALU_DEP_1)
	v_mul_f64 v[180:181], v[197:198], v[182:183]
	v_xor_b32_e32 v183, 0x80000000, v183
.LBB88_49:
	s_and_not1_saveexec_b32 s2, s2
	s_cbranch_execz .LBB88_51
; %bb.50:
	s_delay_alu instid0(VALU_DEP_1) | instskip(SKIP_1) | instid1(VALU_DEP_2)
	v_div_scale_f64 v[197:198], null, v[180:181], v[180:181], v[182:183]
	v_div_scale_f64 v[203:204], vcc_lo, v[182:183], v[180:181], v[182:183]
	v_rcp_f64_e32 v[199:200], v[197:198]
	s_waitcnt_depctr 0xfff
	v_fma_f64 v[201:202], -v[197:198], v[199:200], 1.0
	s_delay_alu instid0(VALU_DEP_1) | instskip(NEXT) | instid1(VALU_DEP_1)
	v_fma_f64 v[199:200], v[199:200], v[201:202], v[199:200]
	v_fma_f64 v[201:202], -v[197:198], v[199:200], 1.0
	s_delay_alu instid0(VALU_DEP_1) | instskip(NEXT) | instid1(VALU_DEP_1)
	v_fma_f64 v[199:200], v[199:200], v[201:202], v[199:200]
	v_mul_f64 v[201:202], v[203:204], v[199:200]
	s_delay_alu instid0(VALU_DEP_1) | instskip(NEXT) | instid1(VALU_DEP_1)
	v_fma_f64 v[197:198], -v[197:198], v[201:202], v[203:204]
	v_div_fmas_f64 v[197:198], v[197:198], v[199:200], v[201:202]
	s_delay_alu instid0(VALU_DEP_1) | instskip(NEXT) | instid1(VALU_DEP_1)
	v_div_fixup_f64 v[197:198], v[197:198], v[180:181], v[182:183]
	v_fma_f64 v[180:181], v[182:183], v[197:198], v[180:181]
	s_delay_alu instid0(VALU_DEP_1) | instskip(NEXT) | instid1(VALU_DEP_1)
	v_div_scale_f64 v[182:183], null, v[180:181], v[180:181], 1.0
	v_rcp_f64_e32 v[199:200], v[182:183]
	s_waitcnt_depctr 0xfff
	v_fma_f64 v[201:202], -v[182:183], v[199:200], 1.0
	s_delay_alu instid0(VALU_DEP_1) | instskip(NEXT) | instid1(VALU_DEP_1)
	v_fma_f64 v[199:200], v[199:200], v[201:202], v[199:200]
	v_fma_f64 v[201:202], -v[182:183], v[199:200], 1.0
	s_delay_alu instid0(VALU_DEP_1) | instskip(SKIP_1) | instid1(VALU_DEP_1)
	v_fma_f64 v[199:200], v[199:200], v[201:202], v[199:200]
	v_div_scale_f64 v[201:202], vcc_lo, 1.0, v[180:181], 1.0
	v_mul_f64 v[203:204], v[201:202], v[199:200]
	s_delay_alu instid0(VALU_DEP_1) | instskip(NEXT) | instid1(VALU_DEP_1)
	v_fma_f64 v[182:183], -v[182:183], v[203:204], v[201:202]
	v_div_fmas_f64 v[182:183], v[182:183], v[199:200], v[203:204]
	s_delay_alu instid0(VALU_DEP_1) | instskip(NEXT) | instid1(VALU_DEP_1)
	v_div_fixup_f64 v[180:181], v[182:183], v[180:181], 1.0
	v_mul_f64 v[182:183], v[197:198], -v[180:181]
.LBB88_51:
	s_or_b32 exec_lo, exec_lo, s2
.LBB88_52:
	s_delay_alu instid0(SALU_CYCLE_1) | instskip(NEXT) | instid1(SALU_CYCLE_1)
	s_or_b32 exec_lo, exec_lo, s3
	s_mov_b32 s2, exec_lo
	v_cmpx_ne_u32_e64 v196, v188
	s_xor_b32 s2, exec_lo, s2
	s_cbranch_execz .LBB88_58
; %bb.53:
	s_mov_b32 s3, exec_lo
	v_cmpx_eq_u32_e32 2, v196
	s_cbranch_execz .LBB88_57
; %bb.54:
	v_cmp_ne_u32_e32 vcc_lo, 2, v188
	s_xor_b32 s6, s4, -1
	s_delay_alu instid0(SALU_CYCLE_1) | instskip(NEXT) | instid1(SALU_CYCLE_1)
	s_and_b32 s7, s6, vcc_lo
	s_and_saveexec_b32 s6, s7
	s_cbranch_execz .LBB88_56
; %bb.55:
	v_ashrrev_i32_e32 v189, 31, v188
	s_delay_alu instid0(VALU_DEP_1) | instskip(NEXT) | instid1(VALU_DEP_1)
	v_lshlrev_b64 v[196:197], 2, v[188:189]
	v_add_co_u32 v196, vcc_lo, v186, v196
	s_delay_alu instid0(VALU_DEP_2)
	v_add_co_ci_u32_e32 v197, vcc_lo, v187, v197, vcc_lo
	s_clause 0x1
	flat_load_b32 v189, v[196:197]
	flat_load_b32 v194, v[186:187] offset:8
	s_waitcnt vmcnt(1) lgkmcnt(1)
	flat_store_b32 v[186:187], v189 offset:8
	s_waitcnt vmcnt(0) lgkmcnt(1)
	flat_store_b32 v[196:197], v194
.LBB88_56:
	s_or_b32 exec_lo, exec_lo, s6
	v_mov_b32_e32 v196, v188
	v_mov_b32_e32 v194, v188
.LBB88_57:
	s_or_b32 exec_lo, exec_lo, s3
.LBB88_58:
	s_and_not1_saveexec_b32 s2, s2
	s_cbranch_execz .LBB88_60
; %bb.59:
	v_mov_b32_e32 v196, 2
	ds_store_2addr_b64 v190, v[164:165], v[166:167] offset0:6 offset1:7
	ds_store_2addr_b64 v190, v[160:161], v[162:163] offset0:8 offset1:9
	;; [unrolled: 1-line block ×42, first 2 shown]
.LBB88_60:
	s_or_b32 exec_lo, exec_lo, s2
	s_delay_alu instid0(SALU_CYCLE_1)
	s_mov_b32 s2, exec_lo
	s_waitcnt lgkmcnt(0)
	s_waitcnt_vscnt null, 0x0
	s_barrier
	buffer_gl0_inv
	v_cmpx_lt_i32_e32 2, v196
	s_cbranch_execz .LBB88_62
; %bb.61:
	v_mul_f64 v[188:189], v[182:183], v[178:179]
	v_mul_f64 v[178:179], v[180:181], v[178:179]
	s_delay_alu instid0(VALU_DEP_2) | instskip(NEXT) | instid1(VALU_DEP_2)
	v_fma_f64 v[188:189], v[180:181], v[176:177], -v[188:189]
	v_fma_f64 v[178:179], v[182:183], v[176:177], v[178:179]
	ds_load_2addr_b64 v[180:183], v190 offset0:6 offset1:7
	s_waitcnt lgkmcnt(0)
	v_mul_f64 v[176:177], v[182:183], v[178:179]
	s_delay_alu instid0(VALU_DEP_1) | instskip(SKIP_1) | instid1(VALU_DEP_2)
	v_fma_f64 v[176:177], v[180:181], v[188:189], -v[176:177]
	v_mul_f64 v[180:181], v[180:181], v[178:179]
	v_add_f64 v[164:165], v[164:165], -v[176:177]
	s_delay_alu instid0(VALU_DEP_2) | instskip(NEXT) | instid1(VALU_DEP_1)
	v_fma_f64 v[180:181], v[182:183], v[188:189], v[180:181]
	v_add_f64 v[166:167], v[166:167], -v[180:181]
	ds_load_2addr_b64 v[180:183], v190 offset0:8 offset1:9
	s_waitcnt lgkmcnt(0)
	v_mul_f64 v[176:177], v[182:183], v[178:179]
	s_delay_alu instid0(VALU_DEP_1) | instskip(SKIP_1) | instid1(VALU_DEP_2)
	v_fma_f64 v[176:177], v[180:181], v[188:189], -v[176:177]
	v_mul_f64 v[180:181], v[180:181], v[178:179]
	v_add_f64 v[160:161], v[160:161], -v[176:177]
	s_delay_alu instid0(VALU_DEP_2) | instskip(NEXT) | instid1(VALU_DEP_1)
	v_fma_f64 v[180:181], v[182:183], v[188:189], v[180:181]
	v_add_f64 v[162:163], v[162:163], -v[180:181]
	ds_load_2addr_b64 v[180:183], v190 offset0:10 offset1:11
	s_waitcnt lgkmcnt(0)
	v_mul_f64 v[176:177], v[182:183], v[178:179]
	s_delay_alu instid0(VALU_DEP_1) | instskip(SKIP_1) | instid1(VALU_DEP_2)
	v_fma_f64 v[176:177], v[180:181], v[188:189], -v[176:177]
	v_mul_f64 v[180:181], v[180:181], v[178:179]
	v_add_f64 v[156:157], v[156:157], -v[176:177]
	s_delay_alu instid0(VALU_DEP_2) | instskip(NEXT) | instid1(VALU_DEP_1)
	v_fma_f64 v[180:181], v[182:183], v[188:189], v[180:181]
	v_add_f64 v[158:159], v[158:159], -v[180:181]
	ds_load_2addr_b64 v[180:183], v190 offset0:12 offset1:13
	s_waitcnt lgkmcnt(0)
	v_mul_f64 v[176:177], v[182:183], v[178:179]
	s_delay_alu instid0(VALU_DEP_1) | instskip(SKIP_1) | instid1(VALU_DEP_2)
	v_fma_f64 v[176:177], v[180:181], v[188:189], -v[176:177]
	v_mul_f64 v[180:181], v[180:181], v[178:179]
	v_add_f64 v[152:153], v[152:153], -v[176:177]
	s_delay_alu instid0(VALU_DEP_2) | instskip(NEXT) | instid1(VALU_DEP_1)
	v_fma_f64 v[180:181], v[182:183], v[188:189], v[180:181]
	v_add_f64 v[154:155], v[154:155], -v[180:181]
	ds_load_2addr_b64 v[180:183], v190 offset0:14 offset1:15
	s_waitcnt lgkmcnt(0)
	v_mul_f64 v[176:177], v[182:183], v[178:179]
	s_delay_alu instid0(VALU_DEP_1) | instskip(SKIP_1) | instid1(VALU_DEP_2)
	v_fma_f64 v[176:177], v[180:181], v[188:189], -v[176:177]
	v_mul_f64 v[180:181], v[180:181], v[178:179]
	v_add_f64 v[148:149], v[148:149], -v[176:177]
	s_delay_alu instid0(VALU_DEP_2) | instskip(NEXT) | instid1(VALU_DEP_1)
	v_fma_f64 v[180:181], v[182:183], v[188:189], v[180:181]
	v_add_f64 v[150:151], v[150:151], -v[180:181]
	ds_load_2addr_b64 v[180:183], v190 offset0:16 offset1:17
	s_waitcnt lgkmcnt(0)
	v_mul_f64 v[176:177], v[182:183], v[178:179]
	s_delay_alu instid0(VALU_DEP_1) | instskip(SKIP_1) | instid1(VALU_DEP_2)
	v_fma_f64 v[176:177], v[180:181], v[188:189], -v[176:177]
	v_mul_f64 v[180:181], v[180:181], v[178:179]
	v_add_f64 v[144:145], v[144:145], -v[176:177]
	s_delay_alu instid0(VALU_DEP_2) | instskip(NEXT) | instid1(VALU_DEP_1)
	v_fma_f64 v[180:181], v[182:183], v[188:189], v[180:181]
	v_add_f64 v[146:147], v[146:147], -v[180:181]
	ds_load_2addr_b64 v[180:183], v190 offset0:18 offset1:19
	s_waitcnt lgkmcnt(0)
	v_mul_f64 v[176:177], v[182:183], v[178:179]
	s_delay_alu instid0(VALU_DEP_1) | instskip(SKIP_1) | instid1(VALU_DEP_2)
	v_fma_f64 v[176:177], v[180:181], v[188:189], -v[176:177]
	v_mul_f64 v[180:181], v[180:181], v[178:179]
	v_add_f64 v[140:141], v[140:141], -v[176:177]
	s_delay_alu instid0(VALU_DEP_2) | instskip(NEXT) | instid1(VALU_DEP_1)
	v_fma_f64 v[180:181], v[182:183], v[188:189], v[180:181]
	v_add_f64 v[142:143], v[142:143], -v[180:181]
	ds_load_2addr_b64 v[180:183], v190 offset0:20 offset1:21
	s_waitcnt lgkmcnt(0)
	v_mul_f64 v[176:177], v[182:183], v[178:179]
	s_delay_alu instid0(VALU_DEP_1) | instskip(SKIP_1) | instid1(VALU_DEP_2)
	v_fma_f64 v[176:177], v[180:181], v[188:189], -v[176:177]
	v_mul_f64 v[180:181], v[180:181], v[178:179]
	v_add_f64 v[136:137], v[136:137], -v[176:177]
	s_delay_alu instid0(VALU_DEP_2) | instskip(NEXT) | instid1(VALU_DEP_1)
	v_fma_f64 v[180:181], v[182:183], v[188:189], v[180:181]
	v_add_f64 v[138:139], v[138:139], -v[180:181]
	ds_load_2addr_b64 v[180:183], v190 offset0:22 offset1:23
	s_waitcnt lgkmcnt(0)
	v_mul_f64 v[176:177], v[182:183], v[178:179]
	s_delay_alu instid0(VALU_DEP_1) | instskip(SKIP_1) | instid1(VALU_DEP_2)
	v_fma_f64 v[176:177], v[180:181], v[188:189], -v[176:177]
	v_mul_f64 v[180:181], v[180:181], v[178:179]
	v_add_f64 v[132:133], v[132:133], -v[176:177]
	s_delay_alu instid0(VALU_DEP_2) | instskip(NEXT) | instid1(VALU_DEP_1)
	v_fma_f64 v[180:181], v[182:183], v[188:189], v[180:181]
	v_add_f64 v[134:135], v[134:135], -v[180:181]
	ds_load_2addr_b64 v[180:183], v190 offset0:24 offset1:25
	s_waitcnt lgkmcnt(0)
	v_mul_f64 v[176:177], v[182:183], v[178:179]
	s_delay_alu instid0(VALU_DEP_1) | instskip(SKIP_1) | instid1(VALU_DEP_2)
	v_fma_f64 v[176:177], v[180:181], v[188:189], -v[176:177]
	v_mul_f64 v[180:181], v[180:181], v[178:179]
	v_add_f64 v[128:129], v[128:129], -v[176:177]
	s_delay_alu instid0(VALU_DEP_2) | instskip(NEXT) | instid1(VALU_DEP_1)
	v_fma_f64 v[180:181], v[182:183], v[188:189], v[180:181]
	v_add_f64 v[130:131], v[130:131], -v[180:181]
	ds_load_2addr_b64 v[180:183], v190 offset0:26 offset1:27
	s_waitcnt lgkmcnt(0)
	v_mul_f64 v[176:177], v[182:183], v[178:179]
	s_delay_alu instid0(VALU_DEP_1) | instskip(SKIP_1) | instid1(VALU_DEP_2)
	v_fma_f64 v[176:177], v[180:181], v[188:189], -v[176:177]
	v_mul_f64 v[180:181], v[180:181], v[178:179]
	v_add_f64 v[124:125], v[124:125], -v[176:177]
	s_delay_alu instid0(VALU_DEP_2) | instskip(NEXT) | instid1(VALU_DEP_1)
	v_fma_f64 v[180:181], v[182:183], v[188:189], v[180:181]
	v_add_f64 v[126:127], v[126:127], -v[180:181]
	ds_load_2addr_b64 v[180:183], v190 offset0:28 offset1:29
	s_waitcnt lgkmcnt(0)
	v_mul_f64 v[176:177], v[182:183], v[178:179]
	s_delay_alu instid0(VALU_DEP_1) | instskip(SKIP_1) | instid1(VALU_DEP_2)
	v_fma_f64 v[176:177], v[180:181], v[188:189], -v[176:177]
	v_mul_f64 v[180:181], v[180:181], v[178:179]
	v_add_f64 v[120:121], v[120:121], -v[176:177]
	s_delay_alu instid0(VALU_DEP_2) | instskip(NEXT) | instid1(VALU_DEP_1)
	v_fma_f64 v[180:181], v[182:183], v[188:189], v[180:181]
	v_add_f64 v[122:123], v[122:123], -v[180:181]
	ds_load_2addr_b64 v[180:183], v190 offset0:30 offset1:31
	s_waitcnt lgkmcnt(0)
	v_mul_f64 v[176:177], v[182:183], v[178:179]
	s_delay_alu instid0(VALU_DEP_1) | instskip(SKIP_1) | instid1(VALU_DEP_2)
	v_fma_f64 v[176:177], v[180:181], v[188:189], -v[176:177]
	v_mul_f64 v[180:181], v[180:181], v[178:179]
	v_add_f64 v[116:117], v[116:117], -v[176:177]
	s_delay_alu instid0(VALU_DEP_2) | instskip(NEXT) | instid1(VALU_DEP_1)
	v_fma_f64 v[180:181], v[182:183], v[188:189], v[180:181]
	v_add_f64 v[118:119], v[118:119], -v[180:181]
	ds_load_2addr_b64 v[180:183], v190 offset0:32 offset1:33
	s_waitcnt lgkmcnt(0)
	v_mul_f64 v[176:177], v[182:183], v[178:179]
	s_delay_alu instid0(VALU_DEP_1) | instskip(SKIP_1) | instid1(VALU_DEP_2)
	v_fma_f64 v[176:177], v[180:181], v[188:189], -v[176:177]
	v_mul_f64 v[180:181], v[180:181], v[178:179]
	v_add_f64 v[112:113], v[112:113], -v[176:177]
	s_delay_alu instid0(VALU_DEP_2) | instskip(NEXT) | instid1(VALU_DEP_1)
	v_fma_f64 v[180:181], v[182:183], v[188:189], v[180:181]
	v_add_f64 v[114:115], v[114:115], -v[180:181]
	ds_load_2addr_b64 v[180:183], v190 offset0:34 offset1:35
	s_waitcnt lgkmcnt(0)
	v_mul_f64 v[176:177], v[182:183], v[178:179]
	s_delay_alu instid0(VALU_DEP_1) | instskip(SKIP_1) | instid1(VALU_DEP_2)
	v_fma_f64 v[176:177], v[180:181], v[188:189], -v[176:177]
	v_mul_f64 v[180:181], v[180:181], v[178:179]
	v_add_f64 v[108:109], v[108:109], -v[176:177]
	s_delay_alu instid0(VALU_DEP_2) | instskip(NEXT) | instid1(VALU_DEP_1)
	v_fma_f64 v[180:181], v[182:183], v[188:189], v[180:181]
	v_add_f64 v[110:111], v[110:111], -v[180:181]
	ds_load_2addr_b64 v[180:183], v190 offset0:36 offset1:37
	s_waitcnt lgkmcnt(0)
	v_mul_f64 v[176:177], v[182:183], v[178:179]
	s_delay_alu instid0(VALU_DEP_1) | instskip(SKIP_1) | instid1(VALU_DEP_2)
	v_fma_f64 v[176:177], v[180:181], v[188:189], -v[176:177]
	v_mul_f64 v[180:181], v[180:181], v[178:179]
	v_add_f64 v[104:105], v[104:105], -v[176:177]
	s_delay_alu instid0(VALU_DEP_2) | instskip(NEXT) | instid1(VALU_DEP_1)
	v_fma_f64 v[180:181], v[182:183], v[188:189], v[180:181]
	v_add_f64 v[106:107], v[106:107], -v[180:181]
	ds_load_2addr_b64 v[180:183], v190 offset0:38 offset1:39
	s_waitcnt lgkmcnt(0)
	v_mul_f64 v[176:177], v[182:183], v[178:179]
	s_delay_alu instid0(VALU_DEP_1) | instskip(SKIP_1) | instid1(VALU_DEP_2)
	v_fma_f64 v[176:177], v[180:181], v[188:189], -v[176:177]
	v_mul_f64 v[180:181], v[180:181], v[178:179]
	v_add_f64 v[100:101], v[100:101], -v[176:177]
	s_delay_alu instid0(VALU_DEP_2) | instskip(NEXT) | instid1(VALU_DEP_1)
	v_fma_f64 v[180:181], v[182:183], v[188:189], v[180:181]
	v_add_f64 v[102:103], v[102:103], -v[180:181]
	ds_load_2addr_b64 v[180:183], v190 offset0:40 offset1:41
	s_waitcnt lgkmcnt(0)
	v_mul_f64 v[176:177], v[182:183], v[178:179]
	s_delay_alu instid0(VALU_DEP_1) | instskip(SKIP_1) | instid1(VALU_DEP_2)
	v_fma_f64 v[176:177], v[180:181], v[188:189], -v[176:177]
	v_mul_f64 v[180:181], v[180:181], v[178:179]
	v_add_f64 v[96:97], v[96:97], -v[176:177]
	s_delay_alu instid0(VALU_DEP_2) | instskip(NEXT) | instid1(VALU_DEP_1)
	v_fma_f64 v[180:181], v[182:183], v[188:189], v[180:181]
	v_add_f64 v[98:99], v[98:99], -v[180:181]
	ds_load_2addr_b64 v[180:183], v190 offset0:42 offset1:43
	s_waitcnt lgkmcnt(0)
	v_mul_f64 v[176:177], v[182:183], v[178:179]
	s_delay_alu instid0(VALU_DEP_1) | instskip(SKIP_1) | instid1(VALU_DEP_2)
	v_fma_f64 v[176:177], v[180:181], v[188:189], -v[176:177]
	v_mul_f64 v[180:181], v[180:181], v[178:179]
	v_add_f64 v[92:93], v[92:93], -v[176:177]
	s_delay_alu instid0(VALU_DEP_2) | instskip(NEXT) | instid1(VALU_DEP_1)
	v_fma_f64 v[180:181], v[182:183], v[188:189], v[180:181]
	v_add_f64 v[94:95], v[94:95], -v[180:181]
	ds_load_2addr_b64 v[180:183], v190 offset0:44 offset1:45
	s_waitcnt lgkmcnt(0)
	v_mul_f64 v[176:177], v[182:183], v[178:179]
	s_delay_alu instid0(VALU_DEP_1) | instskip(SKIP_1) | instid1(VALU_DEP_2)
	v_fma_f64 v[176:177], v[180:181], v[188:189], -v[176:177]
	v_mul_f64 v[180:181], v[180:181], v[178:179]
	v_add_f64 v[88:89], v[88:89], -v[176:177]
	s_delay_alu instid0(VALU_DEP_2) | instskip(NEXT) | instid1(VALU_DEP_1)
	v_fma_f64 v[180:181], v[182:183], v[188:189], v[180:181]
	v_add_f64 v[90:91], v[90:91], -v[180:181]
	ds_load_2addr_b64 v[180:183], v190 offset0:46 offset1:47
	s_waitcnt lgkmcnt(0)
	v_mul_f64 v[176:177], v[182:183], v[178:179]
	s_delay_alu instid0(VALU_DEP_1) | instskip(SKIP_1) | instid1(VALU_DEP_2)
	v_fma_f64 v[176:177], v[180:181], v[188:189], -v[176:177]
	v_mul_f64 v[180:181], v[180:181], v[178:179]
	v_add_f64 v[84:85], v[84:85], -v[176:177]
	s_delay_alu instid0(VALU_DEP_2) | instskip(NEXT) | instid1(VALU_DEP_1)
	v_fma_f64 v[180:181], v[182:183], v[188:189], v[180:181]
	v_add_f64 v[86:87], v[86:87], -v[180:181]
	ds_load_2addr_b64 v[180:183], v190 offset0:48 offset1:49
	s_waitcnt lgkmcnt(0)
	v_mul_f64 v[176:177], v[182:183], v[178:179]
	s_delay_alu instid0(VALU_DEP_1) | instskip(SKIP_1) | instid1(VALU_DEP_2)
	v_fma_f64 v[176:177], v[180:181], v[188:189], -v[176:177]
	v_mul_f64 v[180:181], v[180:181], v[178:179]
	v_add_f64 v[80:81], v[80:81], -v[176:177]
	s_delay_alu instid0(VALU_DEP_2) | instskip(NEXT) | instid1(VALU_DEP_1)
	v_fma_f64 v[180:181], v[182:183], v[188:189], v[180:181]
	v_add_f64 v[82:83], v[82:83], -v[180:181]
	ds_load_2addr_b64 v[180:183], v190 offset0:50 offset1:51
	s_waitcnt lgkmcnt(0)
	v_mul_f64 v[176:177], v[182:183], v[178:179]
	s_delay_alu instid0(VALU_DEP_1) | instskip(SKIP_1) | instid1(VALU_DEP_2)
	v_fma_f64 v[176:177], v[180:181], v[188:189], -v[176:177]
	v_mul_f64 v[180:181], v[180:181], v[178:179]
	v_add_f64 v[76:77], v[76:77], -v[176:177]
	s_delay_alu instid0(VALU_DEP_2) | instskip(NEXT) | instid1(VALU_DEP_1)
	v_fma_f64 v[180:181], v[182:183], v[188:189], v[180:181]
	v_add_f64 v[78:79], v[78:79], -v[180:181]
	ds_load_2addr_b64 v[180:183], v190 offset0:52 offset1:53
	s_waitcnt lgkmcnt(0)
	v_mul_f64 v[176:177], v[182:183], v[178:179]
	s_delay_alu instid0(VALU_DEP_1) | instskip(SKIP_1) | instid1(VALU_DEP_2)
	v_fma_f64 v[176:177], v[180:181], v[188:189], -v[176:177]
	v_mul_f64 v[180:181], v[180:181], v[178:179]
	v_add_f64 v[72:73], v[72:73], -v[176:177]
	s_delay_alu instid0(VALU_DEP_2) | instskip(NEXT) | instid1(VALU_DEP_1)
	v_fma_f64 v[180:181], v[182:183], v[188:189], v[180:181]
	v_add_f64 v[74:75], v[74:75], -v[180:181]
	ds_load_2addr_b64 v[180:183], v190 offset0:54 offset1:55
	s_waitcnt lgkmcnt(0)
	v_mul_f64 v[176:177], v[182:183], v[178:179]
	s_delay_alu instid0(VALU_DEP_1) | instskip(SKIP_1) | instid1(VALU_DEP_2)
	v_fma_f64 v[176:177], v[180:181], v[188:189], -v[176:177]
	v_mul_f64 v[180:181], v[180:181], v[178:179]
	v_add_f64 v[68:69], v[68:69], -v[176:177]
	s_delay_alu instid0(VALU_DEP_2) | instskip(NEXT) | instid1(VALU_DEP_1)
	v_fma_f64 v[180:181], v[182:183], v[188:189], v[180:181]
	v_add_f64 v[70:71], v[70:71], -v[180:181]
	ds_load_2addr_b64 v[180:183], v190 offset0:56 offset1:57
	s_waitcnt lgkmcnt(0)
	v_mul_f64 v[176:177], v[182:183], v[178:179]
	s_delay_alu instid0(VALU_DEP_1) | instskip(SKIP_1) | instid1(VALU_DEP_2)
	v_fma_f64 v[176:177], v[180:181], v[188:189], -v[176:177]
	v_mul_f64 v[180:181], v[180:181], v[178:179]
	v_add_f64 v[64:65], v[64:65], -v[176:177]
	s_delay_alu instid0(VALU_DEP_2) | instskip(NEXT) | instid1(VALU_DEP_1)
	v_fma_f64 v[180:181], v[182:183], v[188:189], v[180:181]
	v_add_f64 v[66:67], v[66:67], -v[180:181]
	ds_load_2addr_b64 v[180:183], v190 offset0:58 offset1:59
	s_waitcnt lgkmcnt(0)
	v_mul_f64 v[176:177], v[182:183], v[178:179]
	s_delay_alu instid0(VALU_DEP_1) | instskip(SKIP_1) | instid1(VALU_DEP_2)
	v_fma_f64 v[176:177], v[180:181], v[188:189], -v[176:177]
	v_mul_f64 v[180:181], v[180:181], v[178:179]
	v_add_f64 v[60:61], v[60:61], -v[176:177]
	s_delay_alu instid0(VALU_DEP_2) | instskip(NEXT) | instid1(VALU_DEP_1)
	v_fma_f64 v[180:181], v[182:183], v[188:189], v[180:181]
	v_add_f64 v[62:63], v[62:63], -v[180:181]
	ds_load_2addr_b64 v[180:183], v190 offset0:60 offset1:61
	s_waitcnt lgkmcnt(0)
	v_mul_f64 v[176:177], v[182:183], v[178:179]
	s_delay_alu instid0(VALU_DEP_1) | instskip(SKIP_1) | instid1(VALU_DEP_2)
	v_fma_f64 v[176:177], v[180:181], v[188:189], -v[176:177]
	v_mul_f64 v[180:181], v[180:181], v[178:179]
	v_add_f64 v[56:57], v[56:57], -v[176:177]
	s_delay_alu instid0(VALU_DEP_2) | instskip(NEXT) | instid1(VALU_DEP_1)
	v_fma_f64 v[180:181], v[182:183], v[188:189], v[180:181]
	v_add_f64 v[58:59], v[58:59], -v[180:181]
	ds_load_2addr_b64 v[180:183], v190 offset0:62 offset1:63
	s_waitcnt lgkmcnt(0)
	v_mul_f64 v[176:177], v[182:183], v[178:179]
	s_delay_alu instid0(VALU_DEP_1) | instskip(SKIP_1) | instid1(VALU_DEP_2)
	v_fma_f64 v[176:177], v[180:181], v[188:189], -v[176:177]
	v_mul_f64 v[180:181], v[180:181], v[178:179]
	v_add_f64 v[52:53], v[52:53], -v[176:177]
	s_delay_alu instid0(VALU_DEP_2) | instskip(NEXT) | instid1(VALU_DEP_1)
	v_fma_f64 v[180:181], v[182:183], v[188:189], v[180:181]
	v_add_f64 v[54:55], v[54:55], -v[180:181]
	ds_load_2addr_b64 v[180:183], v190 offset0:64 offset1:65
	s_waitcnt lgkmcnt(0)
	v_mul_f64 v[176:177], v[182:183], v[178:179]
	s_delay_alu instid0(VALU_DEP_1) | instskip(SKIP_1) | instid1(VALU_DEP_2)
	v_fma_f64 v[176:177], v[180:181], v[188:189], -v[176:177]
	v_mul_f64 v[180:181], v[180:181], v[178:179]
	v_add_f64 v[48:49], v[48:49], -v[176:177]
	s_delay_alu instid0(VALU_DEP_2) | instskip(NEXT) | instid1(VALU_DEP_1)
	v_fma_f64 v[180:181], v[182:183], v[188:189], v[180:181]
	v_add_f64 v[50:51], v[50:51], -v[180:181]
	ds_load_2addr_b64 v[180:183], v190 offset0:66 offset1:67
	s_waitcnt lgkmcnt(0)
	v_mul_f64 v[176:177], v[182:183], v[178:179]
	s_delay_alu instid0(VALU_DEP_1) | instskip(SKIP_1) | instid1(VALU_DEP_2)
	v_fma_f64 v[176:177], v[180:181], v[188:189], -v[176:177]
	v_mul_f64 v[180:181], v[180:181], v[178:179]
	v_add_f64 v[44:45], v[44:45], -v[176:177]
	s_delay_alu instid0(VALU_DEP_2) | instskip(NEXT) | instid1(VALU_DEP_1)
	v_fma_f64 v[180:181], v[182:183], v[188:189], v[180:181]
	v_add_f64 v[46:47], v[46:47], -v[180:181]
	ds_load_2addr_b64 v[180:183], v190 offset0:68 offset1:69
	s_waitcnt lgkmcnt(0)
	v_mul_f64 v[176:177], v[182:183], v[178:179]
	s_delay_alu instid0(VALU_DEP_1) | instskip(SKIP_1) | instid1(VALU_DEP_2)
	v_fma_f64 v[176:177], v[180:181], v[188:189], -v[176:177]
	v_mul_f64 v[180:181], v[180:181], v[178:179]
	v_add_f64 v[40:41], v[40:41], -v[176:177]
	s_delay_alu instid0(VALU_DEP_2) | instskip(NEXT) | instid1(VALU_DEP_1)
	v_fma_f64 v[180:181], v[182:183], v[188:189], v[180:181]
	v_add_f64 v[42:43], v[42:43], -v[180:181]
	ds_load_2addr_b64 v[180:183], v190 offset0:70 offset1:71
	s_waitcnt lgkmcnt(0)
	v_mul_f64 v[176:177], v[182:183], v[178:179]
	s_delay_alu instid0(VALU_DEP_1) | instskip(SKIP_1) | instid1(VALU_DEP_2)
	v_fma_f64 v[176:177], v[180:181], v[188:189], -v[176:177]
	v_mul_f64 v[180:181], v[180:181], v[178:179]
	v_add_f64 v[36:37], v[36:37], -v[176:177]
	s_delay_alu instid0(VALU_DEP_2) | instskip(NEXT) | instid1(VALU_DEP_1)
	v_fma_f64 v[180:181], v[182:183], v[188:189], v[180:181]
	v_add_f64 v[38:39], v[38:39], -v[180:181]
	ds_load_2addr_b64 v[180:183], v190 offset0:72 offset1:73
	s_waitcnt lgkmcnt(0)
	v_mul_f64 v[176:177], v[182:183], v[178:179]
	s_delay_alu instid0(VALU_DEP_1) | instskip(SKIP_1) | instid1(VALU_DEP_2)
	v_fma_f64 v[176:177], v[180:181], v[188:189], -v[176:177]
	v_mul_f64 v[180:181], v[180:181], v[178:179]
	v_add_f64 v[32:33], v[32:33], -v[176:177]
	s_delay_alu instid0(VALU_DEP_2) | instskip(NEXT) | instid1(VALU_DEP_1)
	v_fma_f64 v[180:181], v[182:183], v[188:189], v[180:181]
	v_add_f64 v[34:35], v[34:35], -v[180:181]
	ds_load_2addr_b64 v[180:183], v190 offset0:74 offset1:75
	s_waitcnt lgkmcnt(0)
	v_mul_f64 v[176:177], v[182:183], v[178:179]
	s_delay_alu instid0(VALU_DEP_1) | instskip(SKIP_1) | instid1(VALU_DEP_2)
	v_fma_f64 v[176:177], v[180:181], v[188:189], -v[176:177]
	v_mul_f64 v[180:181], v[180:181], v[178:179]
	v_add_f64 v[28:29], v[28:29], -v[176:177]
	s_delay_alu instid0(VALU_DEP_2) | instskip(NEXT) | instid1(VALU_DEP_1)
	v_fma_f64 v[180:181], v[182:183], v[188:189], v[180:181]
	v_add_f64 v[30:31], v[30:31], -v[180:181]
	ds_load_2addr_b64 v[180:183], v190 offset0:76 offset1:77
	s_waitcnt lgkmcnt(0)
	v_mul_f64 v[176:177], v[182:183], v[178:179]
	s_delay_alu instid0(VALU_DEP_1) | instskip(SKIP_1) | instid1(VALU_DEP_2)
	v_fma_f64 v[176:177], v[180:181], v[188:189], -v[176:177]
	v_mul_f64 v[180:181], v[180:181], v[178:179]
	v_add_f64 v[24:25], v[24:25], -v[176:177]
	s_delay_alu instid0(VALU_DEP_2) | instskip(NEXT) | instid1(VALU_DEP_1)
	v_fma_f64 v[180:181], v[182:183], v[188:189], v[180:181]
	v_add_f64 v[26:27], v[26:27], -v[180:181]
	ds_load_2addr_b64 v[180:183], v190 offset0:78 offset1:79
	s_waitcnt lgkmcnt(0)
	v_mul_f64 v[176:177], v[182:183], v[178:179]
	s_delay_alu instid0(VALU_DEP_1) | instskip(SKIP_1) | instid1(VALU_DEP_2)
	v_fma_f64 v[176:177], v[180:181], v[188:189], -v[176:177]
	v_mul_f64 v[180:181], v[180:181], v[178:179]
	v_add_f64 v[20:21], v[20:21], -v[176:177]
	s_delay_alu instid0(VALU_DEP_2) | instskip(NEXT) | instid1(VALU_DEP_1)
	v_fma_f64 v[180:181], v[182:183], v[188:189], v[180:181]
	v_add_f64 v[22:23], v[22:23], -v[180:181]
	ds_load_2addr_b64 v[180:183], v190 offset0:80 offset1:81
	s_waitcnt lgkmcnt(0)
	v_mul_f64 v[176:177], v[182:183], v[178:179]
	s_delay_alu instid0(VALU_DEP_1) | instskip(SKIP_1) | instid1(VALU_DEP_2)
	v_fma_f64 v[176:177], v[180:181], v[188:189], -v[176:177]
	v_mul_f64 v[180:181], v[180:181], v[178:179]
	v_add_f64 v[16:17], v[16:17], -v[176:177]
	s_delay_alu instid0(VALU_DEP_2) | instskip(NEXT) | instid1(VALU_DEP_1)
	v_fma_f64 v[180:181], v[182:183], v[188:189], v[180:181]
	v_add_f64 v[18:19], v[18:19], -v[180:181]
	ds_load_2addr_b64 v[180:183], v190 offset0:82 offset1:83
	s_waitcnt lgkmcnt(0)
	v_mul_f64 v[176:177], v[182:183], v[178:179]
	s_delay_alu instid0(VALU_DEP_1) | instskip(SKIP_1) | instid1(VALU_DEP_2)
	v_fma_f64 v[176:177], v[180:181], v[188:189], -v[176:177]
	v_mul_f64 v[180:181], v[180:181], v[178:179]
	v_add_f64 v[12:13], v[12:13], -v[176:177]
	s_delay_alu instid0(VALU_DEP_2) | instskip(NEXT) | instid1(VALU_DEP_1)
	v_fma_f64 v[180:181], v[182:183], v[188:189], v[180:181]
	v_add_f64 v[14:15], v[14:15], -v[180:181]
	ds_load_2addr_b64 v[180:183], v190 offset0:84 offset1:85
	s_waitcnt lgkmcnt(0)
	v_mul_f64 v[176:177], v[182:183], v[178:179]
	s_delay_alu instid0(VALU_DEP_1) | instskip(SKIP_1) | instid1(VALU_DEP_2)
	v_fma_f64 v[176:177], v[180:181], v[188:189], -v[176:177]
	v_mul_f64 v[180:181], v[180:181], v[178:179]
	v_add_f64 v[8:9], v[8:9], -v[176:177]
	s_delay_alu instid0(VALU_DEP_2) | instskip(NEXT) | instid1(VALU_DEP_1)
	v_fma_f64 v[180:181], v[182:183], v[188:189], v[180:181]
	v_add_f64 v[10:11], v[10:11], -v[180:181]
	ds_load_2addr_b64 v[180:183], v190 offset0:86 offset1:87
	s_waitcnt lgkmcnt(0)
	v_mul_f64 v[176:177], v[182:183], v[178:179]
	s_delay_alu instid0(VALU_DEP_1) | instskip(SKIP_1) | instid1(VALU_DEP_2)
	v_fma_f64 v[176:177], v[180:181], v[188:189], -v[176:177]
	v_mul_f64 v[180:181], v[180:181], v[178:179]
	v_add_f64 v[4:5], v[4:5], -v[176:177]
	s_delay_alu instid0(VALU_DEP_2) | instskip(NEXT) | instid1(VALU_DEP_1)
	v_fma_f64 v[180:181], v[182:183], v[188:189], v[180:181]
	v_add_f64 v[6:7], v[6:7], -v[180:181]
	ds_load_2addr_b64 v[180:183], v190 offset0:88 offset1:89
	s_waitcnt lgkmcnt(0)
	v_mul_f64 v[176:177], v[182:183], v[178:179]
	s_delay_alu instid0(VALU_DEP_1) | instskip(SKIP_1) | instid1(VALU_DEP_2)
	v_fma_f64 v[176:177], v[180:181], v[188:189], -v[176:177]
	v_mul_f64 v[180:181], v[180:181], v[178:179]
	v_add_f64 v[0:1], v[0:1], -v[176:177]
	s_delay_alu instid0(VALU_DEP_2) | instskip(SKIP_1) | instid1(VALU_DEP_2)
	v_fma_f64 v[180:181], v[182:183], v[188:189], v[180:181]
	v_dual_mov_b32 v176, v188 :: v_dual_mov_b32 v177, v189
	v_add_f64 v[2:3], v[2:3], -v[180:181]
.LBB88_62:
	s_or_b32 exec_lo, exec_lo, s2
	v_lshl_add_u32 v180, v196, 4, v190
	s_barrier
	buffer_gl0_inv
	v_mov_b32_e32 v188, 3
	ds_store_2addr_b64 v180, v[164:165], v[166:167] offset1:1
	s_waitcnt lgkmcnt(0)
	s_barrier
	buffer_gl0_inv
	ds_load_2addr_b64 v[180:183], v190 offset0:6 offset1:7
	s_cmp_lt_i32 s5, 5
	s_mov_b32 s6, 4
	s_cbranch_scc1 .LBB88_65
; %bb.63:
	v_add3_u32 v189, v195, 0, 64
	v_mov_b32_e32 v188, 3
	s_set_inst_prefetch_distance 0x1
	.p2align	6
.LBB88_64:                              ; =>This Inner Loop Header: Depth=1
	ds_load_2addr_b64 v[197:200], v189 offset1:1
	s_waitcnt lgkmcnt(1)
	v_cmp_gt_f64_e32 vcc_lo, 0, v[180:181]
	v_xor_b32_e32 v201, 0x80000000, v181
	v_cmp_gt_f64_e64 s2, 0, v[182:183]
	v_xor_b32_e32 v203, 0x80000000, v183
	v_add_nc_u32_e32 v189, 16, v189
	s_waitcnt lgkmcnt(0)
	v_cmp_gt_f64_e64 s3, 0, v[197:198]
	v_mov_b32_e32 v205, v197
	v_dual_mov_b32 v207, v199 :: v_dual_cndmask_b32 v202, v181, v201
	v_xor_b32_e32 v201, 0x80000000, v198
	v_cndmask_b32_e64 v204, v183, v203, s2
	v_xor_b32_e32 v203, 0x80000000, v200
	s_delay_alu instid0(VALU_DEP_3) | instskip(SKIP_2) | instid1(VALU_DEP_2)
	v_cndmask_b32_e64 v206, v198, v201, s3
	v_cmp_gt_f64_e64 s3, 0, v[199:200]
	v_cndmask_b32_e32 v201, v180, v180, vcc_lo
	v_cndmask_b32_e64 v208, v200, v203, s3
	v_cndmask_b32_e64 v203, v182, v182, s2
	s_delay_alu instid0(VALU_DEP_2) | instskip(NEXT) | instid1(VALU_DEP_2)
	v_add_f64 v[205:206], v[205:206], v[207:208]
	v_add_f64 v[201:202], v[201:202], v[203:204]
	s_delay_alu instid0(VALU_DEP_1) | instskip(SKIP_4) | instid1(SALU_CYCLE_1)
	v_cmp_lt_f64_e32 vcc_lo, v[201:202], v[205:206]
	v_dual_cndmask_b32 v182, v182, v199 :: v_dual_cndmask_b32 v181, v181, v198
	v_dual_cndmask_b32 v180, v180, v197 :: v_dual_cndmask_b32 v183, v183, v200
	v_cndmask_b32_e64 v188, v188, s6, vcc_lo
	s_add_i32 s6, s6, 1
	s_cmp_lg_u32 s5, s6
	s_cbranch_scc1 .LBB88_64
.LBB88_65:
	s_set_inst_prefetch_distance 0x2
	s_waitcnt lgkmcnt(0)
	v_cmp_eq_f64_e32 vcc_lo, 0, v[180:181]
	v_cmp_eq_f64_e64 s2, 0, v[182:183]
	s_delay_alu instid0(VALU_DEP_1) | instskip(NEXT) | instid1(SALU_CYCLE_1)
	s_and_b32 s2, vcc_lo, s2
	s_and_saveexec_b32 s3, s2
	s_delay_alu instid0(SALU_CYCLE_1)
	s_xor_b32 s2, exec_lo, s3
; %bb.66:
	v_cmp_ne_u32_e32 vcc_lo, 0, v193
	v_cndmask_b32_e32 v193, 4, v193, vcc_lo
; %bb.67:
	s_and_not1_saveexec_b32 s3, s2
	s_cbranch_execz .LBB88_73
; %bb.68:
	v_cmp_gt_f64_e32 vcc_lo, 0, v[180:181]
	v_cmp_gt_f64_e64 s2, 0, v[182:183]
	v_xor_b32_e32 v189, 0x80000000, v181
	v_xor_b32_e32 v197, 0x80000000, v183
	s_delay_alu instid0(VALU_DEP_2) | instskip(NEXT) | instid1(VALU_DEP_2)
	v_cndmask_b32_e32 v198, v181, v189, vcc_lo
	v_cndmask_b32_e64 v200, v183, v197, s2
	v_cndmask_b32_e32 v197, v180, v180, vcc_lo
	v_cndmask_b32_e64 v199, v182, v182, s2
	s_mov_b32 s2, exec_lo
	s_delay_alu instid0(VALU_DEP_1)
	v_cmpx_ngt_f64_e32 v[197:198], v[199:200]
	s_xor_b32 s2, exec_lo, s2
	s_cbranch_execz .LBB88_70
; %bb.69:
	v_div_scale_f64 v[197:198], null, v[182:183], v[182:183], v[180:181]
	v_div_scale_f64 v[203:204], vcc_lo, v[180:181], v[182:183], v[180:181]
	s_delay_alu instid0(VALU_DEP_2) | instskip(SKIP_2) | instid1(VALU_DEP_1)
	v_rcp_f64_e32 v[199:200], v[197:198]
	s_waitcnt_depctr 0xfff
	v_fma_f64 v[201:202], -v[197:198], v[199:200], 1.0
	v_fma_f64 v[199:200], v[199:200], v[201:202], v[199:200]
	s_delay_alu instid0(VALU_DEP_1) | instskip(NEXT) | instid1(VALU_DEP_1)
	v_fma_f64 v[201:202], -v[197:198], v[199:200], 1.0
	v_fma_f64 v[199:200], v[199:200], v[201:202], v[199:200]
	s_delay_alu instid0(VALU_DEP_1) | instskip(NEXT) | instid1(VALU_DEP_1)
	v_mul_f64 v[201:202], v[203:204], v[199:200]
	v_fma_f64 v[197:198], -v[197:198], v[201:202], v[203:204]
	s_delay_alu instid0(VALU_DEP_1) | instskip(NEXT) | instid1(VALU_DEP_1)
	v_div_fmas_f64 v[197:198], v[197:198], v[199:200], v[201:202]
	v_div_fixup_f64 v[197:198], v[197:198], v[182:183], v[180:181]
	s_delay_alu instid0(VALU_DEP_1) | instskip(NEXT) | instid1(VALU_DEP_1)
	v_fma_f64 v[180:181], v[180:181], v[197:198], v[182:183]
	v_div_scale_f64 v[182:183], null, v[180:181], v[180:181], 1.0
	s_delay_alu instid0(VALU_DEP_1) | instskip(SKIP_2) | instid1(VALU_DEP_1)
	v_rcp_f64_e32 v[199:200], v[182:183]
	s_waitcnt_depctr 0xfff
	v_fma_f64 v[201:202], -v[182:183], v[199:200], 1.0
	v_fma_f64 v[199:200], v[199:200], v[201:202], v[199:200]
	s_delay_alu instid0(VALU_DEP_1) | instskip(NEXT) | instid1(VALU_DEP_1)
	v_fma_f64 v[201:202], -v[182:183], v[199:200], 1.0
	v_fma_f64 v[199:200], v[199:200], v[201:202], v[199:200]
	v_div_scale_f64 v[201:202], vcc_lo, 1.0, v[180:181], 1.0
	s_delay_alu instid0(VALU_DEP_1) | instskip(NEXT) | instid1(VALU_DEP_1)
	v_mul_f64 v[203:204], v[201:202], v[199:200]
	v_fma_f64 v[182:183], -v[182:183], v[203:204], v[201:202]
	s_delay_alu instid0(VALU_DEP_1) | instskip(NEXT) | instid1(VALU_DEP_1)
	v_div_fmas_f64 v[182:183], v[182:183], v[199:200], v[203:204]
	v_div_fixup_f64 v[182:183], v[182:183], v[180:181], 1.0
	s_delay_alu instid0(VALU_DEP_1)
	v_mul_f64 v[180:181], v[197:198], v[182:183]
	v_xor_b32_e32 v183, 0x80000000, v183
.LBB88_70:
	s_and_not1_saveexec_b32 s2, s2
	s_cbranch_execz .LBB88_72
; %bb.71:
	s_delay_alu instid0(VALU_DEP_1) | instskip(SKIP_1) | instid1(VALU_DEP_2)
	v_div_scale_f64 v[197:198], null, v[180:181], v[180:181], v[182:183]
	v_div_scale_f64 v[203:204], vcc_lo, v[182:183], v[180:181], v[182:183]
	v_rcp_f64_e32 v[199:200], v[197:198]
	s_waitcnt_depctr 0xfff
	v_fma_f64 v[201:202], -v[197:198], v[199:200], 1.0
	s_delay_alu instid0(VALU_DEP_1) | instskip(NEXT) | instid1(VALU_DEP_1)
	v_fma_f64 v[199:200], v[199:200], v[201:202], v[199:200]
	v_fma_f64 v[201:202], -v[197:198], v[199:200], 1.0
	s_delay_alu instid0(VALU_DEP_1) | instskip(NEXT) | instid1(VALU_DEP_1)
	v_fma_f64 v[199:200], v[199:200], v[201:202], v[199:200]
	v_mul_f64 v[201:202], v[203:204], v[199:200]
	s_delay_alu instid0(VALU_DEP_1) | instskip(NEXT) | instid1(VALU_DEP_1)
	v_fma_f64 v[197:198], -v[197:198], v[201:202], v[203:204]
	v_div_fmas_f64 v[197:198], v[197:198], v[199:200], v[201:202]
	s_delay_alu instid0(VALU_DEP_1) | instskip(NEXT) | instid1(VALU_DEP_1)
	v_div_fixup_f64 v[197:198], v[197:198], v[180:181], v[182:183]
	v_fma_f64 v[180:181], v[182:183], v[197:198], v[180:181]
	s_delay_alu instid0(VALU_DEP_1) | instskip(NEXT) | instid1(VALU_DEP_1)
	v_div_scale_f64 v[182:183], null, v[180:181], v[180:181], 1.0
	v_rcp_f64_e32 v[199:200], v[182:183]
	s_waitcnt_depctr 0xfff
	v_fma_f64 v[201:202], -v[182:183], v[199:200], 1.0
	s_delay_alu instid0(VALU_DEP_1) | instskip(NEXT) | instid1(VALU_DEP_1)
	v_fma_f64 v[199:200], v[199:200], v[201:202], v[199:200]
	v_fma_f64 v[201:202], -v[182:183], v[199:200], 1.0
	s_delay_alu instid0(VALU_DEP_1) | instskip(SKIP_1) | instid1(VALU_DEP_1)
	v_fma_f64 v[199:200], v[199:200], v[201:202], v[199:200]
	v_div_scale_f64 v[201:202], vcc_lo, 1.0, v[180:181], 1.0
	v_mul_f64 v[203:204], v[201:202], v[199:200]
	s_delay_alu instid0(VALU_DEP_1) | instskip(NEXT) | instid1(VALU_DEP_1)
	v_fma_f64 v[182:183], -v[182:183], v[203:204], v[201:202]
	v_div_fmas_f64 v[182:183], v[182:183], v[199:200], v[203:204]
	s_delay_alu instid0(VALU_DEP_1) | instskip(NEXT) | instid1(VALU_DEP_1)
	v_div_fixup_f64 v[180:181], v[182:183], v[180:181], 1.0
	v_mul_f64 v[182:183], v[197:198], -v[180:181]
.LBB88_72:
	s_or_b32 exec_lo, exec_lo, s2
.LBB88_73:
	s_delay_alu instid0(SALU_CYCLE_1) | instskip(NEXT) | instid1(SALU_CYCLE_1)
	s_or_b32 exec_lo, exec_lo, s3
	s_mov_b32 s2, exec_lo
	v_cmpx_ne_u32_e64 v196, v188
	s_xor_b32 s2, exec_lo, s2
	s_cbranch_execz .LBB88_79
; %bb.74:
	s_mov_b32 s3, exec_lo
	v_cmpx_eq_u32_e32 3, v196
	s_cbranch_execz .LBB88_78
; %bb.75:
	v_cmp_ne_u32_e32 vcc_lo, 3, v188
	s_xor_b32 s6, s4, -1
	s_delay_alu instid0(SALU_CYCLE_1) | instskip(NEXT) | instid1(SALU_CYCLE_1)
	s_and_b32 s7, s6, vcc_lo
	s_and_saveexec_b32 s6, s7
	s_cbranch_execz .LBB88_77
; %bb.76:
	v_ashrrev_i32_e32 v189, 31, v188
	s_delay_alu instid0(VALU_DEP_1) | instskip(NEXT) | instid1(VALU_DEP_1)
	v_lshlrev_b64 v[196:197], 2, v[188:189]
	v_add_co_u32 v196, vcc_lo, v186, v196
	s_delay_alu instid0(VALU_DEP_2)
	v_add_co_ci_u32_e32 v197, vcc_lo, v187, v197, vcc_lo
	s_clause 0x1
	flat_load_b32 v189, v[196:197]
	flat_load_b32 v194, v[186:187] offset:12
	s_waitcnt vmcnt(1) lgkmcnt(1)
	flat_store_b32 v[186:187], v189 offset:12
	s_waitcnt vmcnt(0) lgkmcnt(1)
	flat_store_b32 v[196:197], v194
.LBB88_77:
	s_or_b32 exec_lo, exec_lo, s6
	v_mov_b32_e32 v196, v188
	v_mov_b32_e32 v194, v188
.LBB88_78:
	s_or_b32 exec_lo, exec_lo, s3
.LBB88_79:
	s_and_not1_saveexec_b32 s2, s2
	s_cbranch_execz .LBB88_81
; %bb.80:
	v_mov_b32_e32 v196, 3
	ds_store_2addr_b64 v190, v[160:161], v[162:163] offset0:8 offset1:9
	ds_store_2addr_b64 v190, v[156:157], v[158:159] offset0:10 offset1:11
	;; [unrolled: 1-line block ×41, first 2 shown]
.LBB88_81:
	s_or_b32 exec_lo, exec_lo, s2
	s_delay_alu instid0(SALU_CYCLE_1)
	s_mov_b32 s2, exec_lo
	s_waitcnt lgkmcnt(0)
	s_waitcnt_vscnt null, 0x0
	s_barrier
	buffer_gl0_inv
	v_cmpx_lt_i32_e32 3, v196
	s_cbranch_execz .LBB88_83
; %bb.82:
	v_mul_f64 v[188:189], v[182:183], v[166:167]
	v_mul_f64 v[166:167], v[180:181], v[166:167]
	s_delay_alu instid0(VALU_DEP_2) | instskip(NEXT) | instid1(VALU_DEP_2)
	v_fma_f64 v[188:189], v[180:181], v[164:165], -v[188:189]
	v_fma_f64 v[166:167], v[182:183], v[164:165], v[166:167]
	ds_load_2addr_b64 v[180:183], v190 offset0:8 offset1:9
	s_waitcnt lgkmcnt(0)
	v_mul_f64 v[164:165], v[182:183], v[166:167]
	s_delay_alu instid0(VALU_DEP_1) | instskip(SKIP_1) | instid1(VALU_DEP_2)
	v_fma_f64 v[164:165], v[180:181], v[188:189], -v[164:165]
	v_mul_f64 v[180:181], v[180:181], v[166:167]
	v_add_f64 v[160:161], v[160:161], -v[164:165]
	s_delay_alu instid0(VALU_DEP_2) | instskip(NEXT) | instid1(VALU_DEP_1)
	v_fma_f64 v[180:181], v[182:183], v[188:189], v[180:181]
	v_add_f64 v[162:163], v[162:163], -v[180:181]
	ds_load_2addr_b64 v[180:183], v190 offset0:10 offset1:11
	s_waitcnt lgkmcnt(0)
	v_mul_f64 v[164:165], v[182:183], v[166:167]
	s_delay_alu instid0(VALU_DEP_1) | instskip(SKIP_1) | instid1(VALU_DEP_2)
	v_fma_f64 v[164:165], v[180:181], v[188:189], -v[164:165]
	v_mul_f64 v[180:181], v[180:181], v[166:167]
	v_add_f64 v[156:157], v[156:157], -v[164:165]
	s_delay_alu instid0(VALU_DEP_2) | instskip(NEXT) | instid1(VALU_DEP_1)
	v_fma_f64 v[180:181], v[182:183], v[188:189], v[180:181]
	v_add_f64 v[158:159], v[158:159], -v[180:181]
	;; [unrolled: 10-line block ×40, first 2 shown]
	ds_load_2addr_b64 v[180:183], v190 offset0:88 offset1:89
	s_waitcnt lgkmcnt(0)
	v_mul_f64 v[164:165], v[182:183], v[166:167]
	s_delay_alu instid0(VALU_DEP_1) | instskip(SKIP_1) | instid1(VALU_DEP_2)
	v_fma_f64 v[164:165], v[180:181], v[188:189], -v[164:165]
	v_mul_f64 v[180:181], v[180:181], v[166:167]
	v_add_f64 v[0:1], v[0:1], -v[164:165]
	s_delay_alu instid0(VALU_DEP_2) | instskip(SKIP_1) | instid1(VALU_DEP_2)
	v_fma_f64 v[180:181], v[182:183], v[188:189], v[180:181]
	v_dual_mov_b32 v164, v188 :: v_dual_mov_b32 v165, v189
	v_add_f64 v[2:3], v[2:3], -v[180:181]
.LBB88_83:
	s_or_b32 exec_lo, exec_lo, s2
	v_lshl_add_u32 v180, v196, 4, v190
	s_barrier
	buffer_gl0_inv
	v_mov_b32_e32 v188, 4
	ds_store_2addr_b64 v180, v[160:161], v[162:163] offset1:1
	s_waitcnt lgkmcnt(0)
	s_barrier
	buffer_gl0_inv
	ds_load_2addr_b64 v[180:183], v190 offset0:8 offset1:9
	s_cmp_lt_i32 s5, 6
	s_cbranch_scc1 .LBB88_86
; %bb.84:
	v_add3_u32 v189, v195, 0, 0x50
	v_mov_b32_e32 v188, 4
	s_mov_b32 s6, 5
	s_set_inst_prefetch_distance 0x1
	.p2align	6
.LBB88_85:                              ; =>This Inner Loop Header: Depth=1
	ds_load_2addr_b64 v[197:200], v189 offset1:1
	s_waitcnt lgkmcnt(1)
	v_cmp_gt_f64_e32 vcc_lo, 0, v[180:181]
	v_xor_b32_e32 v201, 0x80000000, v181
	v_cmp_gt_f64_e64 s2, 0, v[182:183]
	v_xor_b32_e32 v203, 0x80000000, v183
	v_add_nc_u32_e32 v189, 16, v189
	s_waitcnt lgkmcnt(0)
	v_cmp_gt_f64_e64 s3, 0, v[197:198]
	v_mov_b32_e32 v205, v197
	v_dual_mov_b32 v207, v199 :: v_dual_cndmask_b32 v202, v181, v201
	v_xor_b32_e32 v201, 0x80000000, v198
	v_cndmask_b32_e64 v204, v183, v203, s2
	v_xor_b32_e32 v203, 0x80000000, v200
	s_delay_alu instid0(VALU_DEP_3) | instskip(SKIP_2) | instid1(VALU_DEP_2)
	v_cndmask_b32_e64 v206, v198, v201, s3
	v_cmp_gt_f64_e64 s3, 0, v[199:200]
	v_cndmask_b32_e32 v201, v180, v180, vcc_lo
	v_cndmask_b32_e64 v208, v200, v203, s3
	v_cndmask_b32_e64 v203, v182, v182, s2
	s_delay_alu instid0(VALU_DEP_2) | instskip(NEXT) | instid1(VALU_DEP_2)
	v_add_f64 v[205:206], v[205:206], v[207:208]
	v_add_f64 v[201:202], v[201:202], v[203:204]
	s_delay_alu instid0(VALU_DEP_1) | instskip(SKIP_4) | instid1(SALU_CYCLE_1)
	v_cmp_lt_f64_e32 vcc_lo, v[201:202], v[205:206]
	v_dual_cndmask_b32 v182, v182, v199 :: v_dual_cndmask_b32 v181, v181, v198
	v_dual_cndmask_b32 v180, v180, v197 :: v_dual_cndmask_b32 v183, v183, v200
	v_cndmask_b32_e64 v188, v188, s6, vcc_lo
	s_add_i32 s6, s6, 1
	s_cmp_lg_u32 s5, s6
	s_cbranch_scc1 .LBB88_85
.LBB88_86:
	s_set_inst_prefetch_distance 0x2
	s_waitcnt lgkmcnt(0)
	v_cmp_eq_f64_e32 vcc_lo, 0, v[180:181]
	v_cmp_eq_f64_e64 s2, 0, v[182:183]
	s_delay_alu instid0(VALU_DEP_1) | instskip(NEXT) | instid1(SALU_CYCLE_1)
	s_and_b32 s2, vcc_lo, s2
	s_and_saveexec_b32 s3, s2
	s_delay_alu instid0(SALU_CYCLE_1)
	s_xor_b32 s2, exec_lo, s3
; %bb.87:
	v_cmp_ne_u32_e32 vcc_lo, 0, v193
	v_cndmask_b32_e32 v193, 5, v193, vcc_lo
; %bb.88:
	s_and_not1_saveexec_b32 s3, s2
	s_cbranch_execz .LBB88_94
; %bb.89:
	v_cmp_gt_f64_e32 vcc_lo, 0, v[180:181]
	v_cmp_gt_f64_e64 s2, 0, v[182:183]
	v_xor_b32_e32 v189, 0x80000000, v181
	v_xor_b32_e32 v197, 0x80000000, v183
	s_delay_alu instid0(VALU_DEP_2) | instskip(NEXT) | instid1(VALU_DEP_2)
	v_cndmask_b32_e32 v198, v181, v189, vcc_lo
	v_cndmask_b32_e64 v200, v183, v197, s2
	v_cndmask_b32_e32 v197, v180, v180, vcc_lo
	v_cndmask_b32_e64 v199, v182, v182, s2
	s_mov_b32 s2, exec_lo
	s_delay_alu instid0(VALU_DEP_1)
	v_cmpx_ngt_f64_e32 v[197:198], v[199:200]
	s_xor_b32 s2, exec_lo, s2
	s_cbranch_execz .LBB88_91
; %bb.90:
	v_div_scale_f64 v[197:198], null, v[182:183], v[182:183], v[180:181]
	v_div_scale_f64 v[203:204], vcc_lo, v[180:181], v[182:183], v[180:181]
	s_delay_alu instid0(VALU_DEP_2) | instskip(SKIP_2) | instid1(VALU_DEP_1)
	v_rcp_f64_e32 v[199:200], v[197:198]
	s_waitcnt_depctr 0xfff
	v_fma_f64 v[201:202], -v[197:198], v[199:200], 1.0
	v_fma_f64 v[199:200], v[199:200], v[201:202], v[199:200]
	s_delay_alu instid0(VALU_DEP_1) | instskip(NEXT) | instid1(VALU_DEP_1)
	v_fma_f64 v[201:202], -v[197:198], v[199:200], 1.0
	v_fma_f64 v[199:200], v[199:200], v[201:202], v[199:200]
	s_delay_alu instid0(VALU_DEP_1) | instskip(NEXT) | instid1(VALU_DEP_1)
	v_mul_f64 v[201:202], v[203:204], v[199:200]
	v_fma_f64 v[197:198], -v[197:198], v[201:202], v[203:204]
	s_delay_alu instid0(VALU_DEP_1) | instskip(NEXT) | instid1(VALU_DEP_1)
	v_div_fmas_f64 v[197:198], v[197:198], v[199:200], v[201:202]
	v_div_fixup_f64 v[197:198], v[197:198], v[182:183], v[180:181]
	s_delay_alu instid0(VALU_DEP_1) | instskip(NEXT) | instid1(VALU_DEP_1)
	v_fma_f64 v[180:181], v[180:181], v[197:198], v[182:183]
	v_div_scale_f64 v[182:183], null, v[180:181], v[180:181], 1.0
	s_delay_alu instid0(VALU_DEP_1) | instskip(SKIP_2) | instid1(VALU_DEP_1)
	v_rcp_f64_e32 v[199:200], v[182:183]
	s_waitcnt_depctr 0xfff
	v_fma_f64 v[201:202], -v[182:183], v[199:200], 1.0
	v_fma_f64 v[199:200], v[199:200], v[201:202], v[199:200]
	s_delay_alu instid0(VALU_DEP_1) | instskip(NEXT) | instid1(VALU_DEP_1)
	v_fma_f64 v[201:202], -v[182:183], v[199:200], 1.0
	v_fma_f64 v[199:200], v[199:200], v[201:202], v[199:200]
	v_div_scale_f64 v[201:202], vcc_lo, 1.0, v[180:181], 1.0
	s_delay_alu instid0(VALU_DEP_1) | instskip(NEXT) | instid1(VALU_DEP_1)
	v_mul_f64 v[203:204], v[201:202], v[199:200]
	v_fma_f64 v[182:183], -v[182:183], v[203:204], v[201:202]
	s_delay_alu instid0(VALU_DEP_1) | instskip(NEXT) | instid1(VALU_DEP_1)
	v_div_fmas_f64 v[182:183], v[182:183], v[199:200], v[203:204]
	v_div_fixup_f64 v[182:183], v[182:183], v[180:181], 1.0
	s_delay_alu instid0(VALU_DEP_1)
	v_mul_f64 v[180:181], v[197:198], v[182:183]
	v_xor_b32_e32 v183, 0x80000000, v183
.LBB88_91:
	s_and_not1_saveexec_b32 s2, s2
	s_cbranch_execz .LBB88_93
; %bb.92:
	s_delay_alu instid0(VALU_DEP_1) | instskip(SKIP_1) | instid1(VALU_DEP_2)
	v_div_scale_f64 v[197:198], null, v[180:181], v[180:181], v[182:183]
	v_div_scale_f64 v[203:204], vcc_lo, v[182:183], v[180:181], v[182:183]
	v_rcp_f64_e32 v[199:200], v[197:198]
	s_waitcnt_depctr 0xfff
	v_fma_f64 v[201:202], -v[197:198], v[199:200], 1.0
	s_delay_alu instid0(VALU_DEP_1) | instskip(NEXT) | instid1(VALU_DEP_1)
	v_fma_f64 v[199:200], v[199:200], v[201:202], v[199:200]
	v_fma_f64 v[201:202], -v[197:198], v[199:200], 1.0
	s_delay_alu instid0(VALU_DEP_1) | instskip(NEXT) | instid1(VALU_DEP_1)
	v_fma_f64 v[199:200], v[199:200], v[201:202], v[199:200]
	v_mul_f64 v[201:202], v[203:204], v[199:200]
	s_delay_alu instid0(VALU_DEP_1) | instskip(NEXT) | instid1(VALU_DEP_1)
	v_fma_f64 v[197:198], -v[197:198], v[201:202], v[203:204]
	v_div_fmas_f64 v[197:198], v[197:198], v[199:200], v[201:202]
	s_delay_alu instid0(VALU_DEP_1) | instskip(NEXT) | instid1(VALU_DEP_1)
	v_div_fixup_f64 v[197:198], v[197:198], v[180:181], v[182:183]
	v_fma_f64 v[180:181], v[182:183], v[197:198], v[180:181]
	s_delay_alu instid0(VALU_DEP_1) | instskip(NEXT) | instid1(VALU_DEP_1)
	v_div_scale_f64 v[182:183], null, v[180:181], v[180:181], 1.0
	v_rcp_f64_e32 v[199:200], v[182:183]
	s_waitcnt_depctr 0xfff
	v_fma_f64 v[201:202], -v[182:183], v[199:200], 1.0
	s_delay_alu instid0(VALU_DEP_1) | instskip(NEXT) | instid1(VALU_DEP_1)
	v_fma_f64 v[199:200], v[199:200], v[201:202], v[199:200]
	v_fma_f64 v[201:202], -v[182:183], v[199:200], 1.0
	s_delay_alu instid0(VALU_DEP_1) | instskip(SKIP_1) | instid1(VALU_DEP_1)
	v_fma_f64 v[199:200], v[199:200], v[201:202], v[199:200]
	v_div_scale_f64 v[201:202], vcc_lo, 1.0, v[180:181], 1.0
	v_mul_f64 v[203:204], v[201:202], v[199:200]
	s_delay_alu instid0(VALU_DEP_1) | instskip(NEXT) | instid1(VALU_DEP_1)
	v_fma_f64 v[182:183], -v[182:183], v[203:204], v[201:202]
	v_div_fmas_f64 v[182:183], v[182:183], v[199:200], v[203:204]
	s_delay_alu instid0(VALU_DEP_1) | instskip(NEXT) | instid1(VALU_DEP_1)
	v_div_fixup_f64 v[180:181], v[182:183], v[180:181], 1.0
	v_mul_f64 v[182:183], v[197:198], -v[180:181]
.LBB88_93:
	s_or_b32 exec_lo, exec_lo, s2
.LBB88_94:
	s_delay_alu instid0(SALU_CYCLE_1) | instskip(NEXT) | instid1(SALU_CYCLE_1)
	s_or_b32 exec_lo, exec_lo, s3
	s_mov_b32 s2, exec_lo
	v_cmpx_ne_u32_e64 v196, v188
	s_xor_b32 s2, exec_lo, s2
	s_cbranch_execz .LBB88_100
; %bb.95:
	s_mov_b32 s3, exec_lo
	v_cmpx_eq_u32_e32 4, v196
	s_cbranch_execz .LBB88_99
; %bb.96:
	v_cmp_ne_u32_e32 vcc_lo, 4, v188
	s_xor_b32 s6, s4, -1
	s_delay_alu instid0(SALU_CYCLE_1) | instskip(NEXT) | instid1(SALU_CYCLE_1)
	s_and_b32 s7, s6, vcc_lo
	s_and_saveexec_b32 s6, s7
	s_cbranch_execz .LBB88_98
; %bb.97:
	v_ashrrev_i32_e32 v189, 31, v188
	s_delay_alu instid0(VALU_DEP_1) | instskip(NEXT) | instid1(VALU_DEP_1)
	v_lshlrev_b64 v[196:197], 2, v[188:189]
	v_add_co_u32 v196, vcc_lo, v186, v196
	s_delay_alu instid0(VALU_DEP_2)
	v_add_co_ci_u32_e32 v197, vcc_lo, v187, v197, vcc_lo
	s_clause 0x1
	flat_load_b32 v189, v[196:197]
	flat_load_b32 v194, v[186:187] offset:16
	s_waitcnt vmcnt(1) lgkmcnt(1)
	flat_store_b32 v[186:187], v189 offset:16
	s_waitcnt vmcnt(0) lgkmcnt(1)
	flat_store_b32 v[196:197], v194
.LBB88_98:
	s_or_b32 exec_lo, exec_lo, s6
	v_mov_b32_e32 v196, v188
	v_mov_b32_e32 v194, v188
.LBB88_99:
	s_or_b32 exec_lo, exec_lo, s3
.LBB88_100:
	s_and_not1_saveexec_b32 s2, s2
	s_cbranch_execz .LBB88_102
; %bb.101:
	v_mov_b32_e32 v196, 4
	ds_store_2addr_b64 v190, v[156:157], v[158:159] offset0:10 offset1:11
	ds_store_2addr_b64 v190, v[152:153], v[154:155] offset0:12 offset1:13
	;; [unrolled: 1-line block ×40, first 2 shown]
.LBB88_102:
	s_or_b32 exec_lo, exec_lo, s2
	s_delay_alu instid0(SALU_CYCLE_1)
	s_mov_b32 s2, exec_lo
	s_waitcnt lgkmcnt(0)
	s_waitcnt_vscnt null, 0x0
	s_barrier
	buffer_gl0_inv
	v_cmpx_lt_i32_e32 4, v196
	s_cbranch_execz .LBB88_104
; %bb.103:
	v_mul_f64 v[188:189], v[182:183], v[162:163]
	v_mul_f64 v[162:163], v[180:181], v[162:163]
	s_delay_alu instid0(VALU_DEP_2) | instskip(NEXT) | instid1(VALU_DEP_2)
	v_fma_f64 v[188:189], v[180:181], v[160:161], -v[188:189]
	v_fma_f64 v[162:163], v[182:183], v[160:161], v[162:163]
	ds_load_2addr_b64 v[180:183], v190 offset0:10 offset1:11
	s_waitcnt lgkmcnt(0)
	v_mul_f64 v[160:161], v[182:183], v[162:163]
	s_delay_alu instid0(VALU_DEP_1) | instskip(SKIP_1) | instid1(VALU_DEP_2)
	v_fma_f64 v[160:161], v[180:181], v[188:189], -v[160:161]
	v_mul_f64 v[180:181], v[180:181], v[162:163]
	v_add_f64 v[156:157], v[156:157], -v[160:161]
	s_delay_alu instid0(VALU_DEP_2) | instskip(NEXT) | instid1(VALU_DEP_1)
	v_fma_f64 v[180:181], v[182:183], v[188:189], v[180:181]
	v_add_f64 v[158:159], v[158:159], -v[180:181]
	ds_load_2addr_b64 v[180:183], v190 offset0:12 offset1:13
	s_waitcnt lgkmcnt(0)
	v_mul_f64 v[160:161], v[182:183], v[162:163]
	s_delay_alu instid0(VALU_DEP_1) | instskip(SKIP_1) | instid1(VALU_DEP_2)
	v_fma_f64 v[160:161], v[180:181], v[188:189], -v[160:161]
	v_mul_f64 v[180:181], v[180:181], v[162:163]
	v_add_f64 v[152:153], v[152:153], -v[160:161]
	s_delay_alu instid0(VALU_DEP_2) | instskip(NEXT) | instid1(VALU_DEP_1)
	v_fma_f64 v[180:181], v[182:183], v[188:189], v[180:181]
	v_add_f64 v[154:155], v[154:155], -v[180:181]
	;; [unrolled: 10-line block ×39, first 2 shown]
	ds_load_2addr_b64 v[180:183], v190 offset0:88 offset1:89
	s_waitcnt lgkmcnt(0)
	v_mul_f64 v[160:161], v[182:183], v[162:163]
	s_delay_alu instid0(VALU_DEP_1) | instskip(SKIP_1) | instid1(VALU_DEP_2)
	v_fma_f64 v[160:161], v[180:181], v[188:189], -v[160:161]
	v_mul_f64 v[180:181], v[180:181], v[162:163]
	v_add_f64 v[0:1], v[0:1], -v[160:161]
	s_delay_alu instid0(VALU_DEP_2) | instskip(SKIP_1) | instid1(VALU_DEP_2)
	v_fma_f64 v[180:181], v[182:183], v[188:189], v[180:181]
	v_dual_mov_b32 v160, v188 :: v_dual_mov_b32 v161, v189
	v_add_f64 v[2:3], v[2:3], -v[180:181]
.LBB88_104:
	s_or_b32 exec_lo, exec_lo, s2
	v_lshl_add_u32 v180, v196, 4, v190
	s_barrier
	buffer_gl0_inv
	v_mov_b32_e32 v188, 5
	ds_store_2addr_b64 v180, v[156:157], v[158:159] offset1:1
	s_waitcnt lgkmcnt(0)
	s_barrier
	buffer_gl0_inv
	ds_load_2addr_b64 v[180:183], v190 offset0:10 offset1:11
	s_cmp_lt_i32 s5, 7
	s_cbranch_scc1 .LBB88_107
; %bb.105:
	v_add3_u32 v189, v195, 0, 0x60
	v_mov_b32_e32 v188, 5
	s_mov_b32 s6, 6
	s_set_inst_prefetch_distance 0x1
	.p2align	6
.LBB88_106:                             ; =>This Inner Loop Header: Depth=1
	ds_load_2addr_b64 v[197:200], v189 offset1:1
	s_waitcnt lgkmcnt(1)
	v_cmp_gt_f64_e32 vcc_lo, 0, v[180:181]
	v_xor_b32_e32 v201, 0x80000000, v181
	v_cmp_gt_f64_e64 s2, 0, v[182:183]
	v_xor_b32_e32 v203, 0x80000000, v183
	v_add_nc_u32_e32 v189, 16, v189
	s_waitcnt lgkmcnt(0)
	v_cmp_gt_f64_e64 s3, 0, v[197:198]
	v_mov_b32_e32 v205, v197
	v_dual_mov_b32 v207, v199 :: v_dual_cndmask_b32 v202, v181, v201
	v_xor_b32_e32 v201, 0x80000000, v198
	v_cndmask_b32_e64 v204, v183, v203, s2
	v_xor_b32_e32 v203, 0x80000000, v200
	s_delay_alu instid0(VALU_DEP_3) | instskip(SKIP_2) | instid1(VALU_DEP_2)
	v_cndmask_b32_e64 v206, v198, v201, s3
	v_cmp_gt_f64_e64 s3, 0, v[199:200]
	v_cndmask_b32_e32 v201, v180, v180, vcc_lo
	v_cndmask_b32_e64 v208, v200, v203, s3
	v_cndmask_b32_e64 v203, v182, v182, s2
	s_delay_alu instid0(VALU_DEP_2) | instskip(NEXT) | instid1(VALU_DEP_2)
	v_add_f64 v[205:206], v[205:206], v[207:208]
	v_add_f64 v[201:202], v[201:202], v[203:204]
	s_delay_alu instid0(VALU_DEP_1) | instskip(SKIP_4) | instid1(SALU_CYCLE_1)
	v_cmp_lt_f64_e32 vcc_lo, v[201:202], v[205:206]
	v_dual_cndmask_b32 v182, v182, v199 :: v_dual_cndmask_b32 v181, v181, v198
	v_dual_cndmask_b32 v180, v180, v197 :: v_dual_cndmask_b32 v183, v183, v200
	v_cndmask_b32_e64 v188, v188, s6, vcc_lo
	s_add_i32 s6, s6, 1
	s_cmp_lg_u32 s5, s6
	s_cbranch_scc1 .LBB88_106
.LBB88_107:
	s_set_inst_prefetch_distance 0x2
	s_waitcnt lgkmcnt(0)
	v_cmp_eq_f64_e32 vcc_lo, 0, v[180:181]
	v_cmp_eq_f64_e64 s2, 0, v[182:183]
	s_delay_alu instid0(VALU_DEP_1) | instskip(NEXT) | instid1(SALU_CYCLE_1)
	s_and_b32 s2, vcc_lo, s2
	s_and_saveexec_b32 s3, s2
	s_delay_alu instid0(SALU_CYCLE_1)
	s_xor_b32 s2, exec_lo, s3
; %bb.108:
	v_cmp_ne_u32_e32 vcc_lo, 0, v193
	v_cndmask_b32_e32 v193, 6, v193, vcc_lo
; %bb.109:
	s_and_not1_saveexec_b32 s3, s2
	s_cbranch_execz .LBB88_115
; %bb.110:
	v_cmp_gt_f64_e32 vcc_lo, 0, v[180:181]
	v_cmp_gt_f64_e64 s2, 0, v[182:183]
	v_xor_b32_e32 v189, 0x80000000, v181
	v_xor_b32_e32 v197, 0x80000000, v183
	s_delay_alu instid0(VALU_DEP_2) | instskip(NEXT) | instid1(VALU_DEP_2)
	v_cndmask_b32_e32 v198, v181, v189, vcc_lo
	v_cndmask_b32_e64 v200, v183, v197, s2
	v_cndmask_b32_e32 v197, v180, v180, vcc_lo
	v_cndmask_b32_e64 v199, v182, v182, s2
	s_mov_b32 s2, exec_lo
	s_delay_alu instid0(VALU_DEP_1)
	v_cmpx_ngt_f64_e32 v[197:198], v[199:200]
	s_xor_b32 s2, exec_lo, s2
	s_cbranch_execz .LBB88_112
; %bb.111:
	v_div_scale_f64 v[197:198], null, v[182:183], v[182:183], v[180:181]
	v_div_scale_f64 v[203:204], vcc_lo, v[180:181], v[182:183], v[180:181]
	s_delay_alu instid0(VALU_DEP_2) | instskip(SKIP_2) | instid1(VALU_DEP_1)
	v_rcp_f64_e32 v[199:200], v[197:198]
	s_waitcnt_depctr 0xfff
	v_fma_f64 v[201:202], -v[197:198], v[199:200], 1.0
	v_fma_f64 v[199:200], v[199:200], v[201:202], v[199:200]
	s_delay_alu instid0(VALU_DEP_1) | instskip(NEXT) | instid1(VALU_DEP_1)
	v_fma_f64 v[201:202], -v[197:198], v[199:200], 1.0
	v_fma_f64 v[199:200], v[199:200], v[201:202], v[199:200]
	s_delay_alu instid0(VALU_DEP_1) | instskip(NEXT) | instid1(VALU_DEP_1)
	v_mul_f64 v[201:202], v[203:204], v[199:200]
	v_fma_f64 v[197:198], -v[197:198], v[201:202], v[203:204]
	s_delay_alu instid0(VALU_DEP_1) | instskip(NEXT) | instid1(VALU_DEP_1)
	v_div_fmas_f64 v[197:198], v[197:198], v[199:200], v[201:202]
	v_div_fixup_f64 v[197:198], v[197:198], v[182:183], v[180:181]
	s_delay_alu instid0(VALU_DEP_1) | instskip(NEXT) | instid1(VALU_DEP_1)
	v_fma_f64 v[180:181], v[180:181], v[197:198], v[182:183]
	v_div_scale_f64 v[182:183], null, v[180:181], v[180:181], 1.0
	s_delay_alu instid0(VALU_DEP_1) | instskip(SKIP_2) | instid1(VALU_DEP_1)
	v_rcp_f64_e32 v[199:200], v[182:183]
	s_waitcnt_depctr 0xfff
	v_fma_f64 v[201:202], -v[182:183], v[199:200], 1.0
	v_fma_f64 v[199:200], v[199:200], v[201:202], v[199:200]
	s_delay_alu instid0(VALU_DEP_1) | instskip(NEXT) | instid1(VALU_DEP_1)
	v_fma_f64 v[201:202], -v[182:183], v[199:200], 1.0
	v_fma_f64 v[199:200], v[199:200], v[201:202], v[199:200]
	v_div_scale_f64 v[201:202], vcc_lo, 1.0, v[180:181], 1.0
	s_delay_alu instid0(VALU_DEP_1) | instskip(NEXT) | instid1(VALU_DEP_1)
	v_mul_f64 v[203:204], v[201:202], v[199:200]
	v_fma_f64 v[182:183], -v[182:183], v[203:204], v[201:202]
	s_delay_alu instid0(VALU_DEP_1) | instskip(NEXT) | instid1(VALU_DEP_1)
	v_div_fmas_f64 v[182:183], v[182:183], v[199:200], v[203:204]
	v_div_fixup_f64 v[182:183], v[182:183], v[180:181], 1.0
	s_delay_alu instid0(VALU_DEP_1)
	v_mul_f64 v[180:181], v[197:198], v[182:183]
	v_xor_b32_e32 v183, 0x80000000, v183
.LBB88_112:
	s_and_not1_saveexec_b32 s2, s2
	s_cbranch_execz .LBB88_114
; %bb.113:
	s_delay_alu instid0(VALU_DEP_1) | instskip(SKIP_1) | instid1(VALU_DEP_2)
	v_div_scale_f64 v[197:198], null, v[180:181], v[180:181], v[182:183]
	v_div_scale_f64 v[203:204], vcc_lo, v[182:183], v[180:181], v[182:183]
	v_rcp_f64_e32 v[199:200], v[197:198]
	s_waitcnt_depctr 0xfff
	v_fma_f64 v[201:202], -v[197:198], v[199:200], 1.0
	s_delay_alu instid0(VALU_DEP_1) | instskip(NEXT) | instid1(VALU_DEP_1)
	v_fma_f64 v[199:200], v[199:200], v[201:202], v[199:200]
	v_fma_f64 v[201:202], -v[197:198], v[199:200], 1.0
	s_delay_alu instid0(VALU_DEP_1) | instskip(NEXT) | instid1(VALU_DEP_1)
	v_fma_f64 v[199:200], v[199:200], v[201:202], v[199:200]
	v_mul_f64 v[201:202], v[203:204], v[199:200]
	s_delay_alu instid0(VALU_DEP_1) | instskip(NEXT) | instid1(VALU_DEP_1)
	v_fma_f64 v[197:198], -v[197:198], v[201:202], v[203:204]
	v_div_fmas_f64 v[197:198], v[197:198], v[199:200], v[201:202]
	s_delay_alu instid0(VALU_DEP_1) | instskip(NEXT) | instid1(VALU_DEP_1)
	v_div_fixup_f64 v[197:198], v[197:198], v[180:181], v[182:183]
	v_fma_f64 v[180:181], v[182:183], v[197:198], v[180:181]
	s_delay_alu instid0(VALU_DEP_1) | instskip(NEXT) | instid1(VALU_DEP_1)
	v_div_scale_f64 v[182:183], null, v[180:181], v[180:181], 1.0
	v_rcp_f64_e32 v[199:200], v[182:183]
	s_waitcnt_depctr 0xfff
	v_fma_f64 v[201:202], -v[182:183], v[199:200], 1.0
	s_delay_alu instid0(VALU_DEP_1) | instskip(NEXT) | instid1(VALU_DEP_1)
	v_fma_f64 v[199:200], v[199:200], v[201:202], v[199:200]
	v_fma_f64 v[201:202], -v[182:183], v[199:200], 1.0
	s_delay_alu instid0(VALU_DEP_1) | instskip(SKIP_1) | instid1(VALU_DEP_1)
	v_fma_f64 v[199:200], v[199:200], v[201:202], v[199:200]
	v_div_scale_f64 v[201:202], vcc_lo, 1.0, v[180:181], 1.0
	v_mul_f64 v[203:204], v[201:202], v[199:200]
	s_delay_alu instid0(VALU_DEP_1) | instskip(NEXT) | instid1(VALU_DEP_1)
	v_fma_f64 v[182:183], -v[182:183], v[203:204], v[201:202]
	v_div_fmas_f64 v[182:183], v[182:183], v[199:200], v[203:204]
	s_delay_alu instid0(VALU_DEP_1) | instskip(NEXT) | instid1(VALU_DEP_1)
	v_div_fixup_f64 v[180:181], v[182:183], v[180:181], 1.0
	v_mul_f64 v[182:183], v[197:198], -v[180:181]
.LBB88_114:
	s_or_b32 exec_lo, exec_lo, s2
.LBB88_115:
	s_delay_alu instid0(SALU_CYCLE_1) | instskip(NEXT) | instid1(SALU_CYCLE_1)
	s_or_b32 exec_lo, exec_lo, s3
	s_mov_b32 s2, exec_lo
	v_cmpx_ne_u32_e64 v196, v188
	s_xor_b32 s2, exec_lo, s2
	s_cbranch_execz .LBB88_121
; %bb.116:
	s_mov_b32 s3, exec_lo
	v_cmpx_eq_u32_e32 5, v196
	s_cbranch_execz .LBB88_120
; %bb.117:
	v_cmp_ne_u32_e32 vcc_lo, 5, v188
	s_xor_b32 s6, s4, -1
	s_delay_alu instid0(SALU_CYCLE_1) | instskip(NEXT) | instid1(SALU_CYCLE_1)
	s_and_b32 s7, s6, vcc_lo
	s_and_saveexec_b32 s6, s7
	s_cbranch_execz .LBB88_119
; %bb.118:
	v_ashrrev_i32_e32 v189, 31, v188
	s_delay_alu instid0(VALU_DEP_1) | instskip(NEXT) | instid1(VALU_DEP_1)
	v_lshlrev_b64 v[196:197], 2, v[188:189]
	v_add_co_u32 v196, vcc_lo, v186, v196
	s_delay_alu instid0(VALU_DEP_2)
	v_add_co_ci_u32_e32 v197, vcc_lo, v187, v197, vcc_lo
	s_clause 0x1
	flat_load_b32 v189, v[196:197]
	flat_load_b32 v194, v[186:187] offset:20
	s_waitcnt vmcnt(1) lgkmcnt(1)
	flat_store_b32 v[186:187], v189 offset:20
	s_waitcnt vmcnt(0) lgkmcnt(1)
	flat_store_b32 v[196:197], v194
.LBB88_119:
	s_or_b32 exec_lo, exec_lo, s6
	v_mov_b32_e32 v196, v188
	v_mov_b32_e32 v194, v188
.LBB88_120:
	s_or_b32 exec_lo, exec_lo, s3
.LBB88_121:
	s_and_not1_saveexec_b32 s2, s2
	s_cbranch_execz .LBB88_123
; %bb.122:
	v_mov_b32_e32 v196, 5
	ds_store_2addr_b64 v190, v[152:153], v[154:155] offset0:12 offset1:13
	ds_store_2addr_b64 v190, v[148:149], v[150:151] offset0:14 offset1:15
	;; [unrolled: 1-line block ×39, first 2 shown]
.LBB88_123:
	s_or_b32 exec_lo, exec_lo, s2
	s_delay_alu instid0(SALU_CYCLE_1)
	s_mov_b32 s2, exec_lo
	s_waitcnt lgkmcnt(0)
	s_waitcnt_vscnt null, 0x0
	s_barrier
	buffer_gl0_inv
	v_cmpx_lt_i32_e32 5, v196
	s_cbranch_execz .LBB88_125
; %bb.124:
	v_mul_f64 v[188:189], v[182:183], v[158:159]
	v_mul_f64 v[158:159], v[180:181], v[158:159]
	s_delay_alu instid0(VALU_DEP_2) | instskip(NEXT) | instid1(VALU_DEP_2)
	v_fma_f64 v[188:189], v[180:181], v[156:157], -v[188:189]
	v_fma_f64 v[158:159], v[182:183], v[156:157], v[158:159]
	ds_load_2addr_b64 v[180:183], v190 offset0:12 offset1:13
	s_waitcnt lgkmcnt(0)
	v_mul_f64 v[156:157], v[182:183], v[158:159]
	s_delay_alu instid0(VALU_DEP_1) | instskip(SKIP_1) | instid1(VALU_DEP_2)
	v_fma_f64 v[156:157], v[180:181], v[188:189], -v[156:157]
	v_mul_f64 v[180:181], v[180:181], v[158:159]
	v_add_f64 v[152:153], v[152:153], -v[156:157]
	s_delay_alu instid0(VALU_DEP_2) | instskip(NEXT) | instid1(VALU_DEP_1)
	v_fma_f64 v[180:181], v[182:183], v[188:189], v[180:181]
	v_add_f64 v[154:155], v[154:155], -v[180:181]
	ds_load_2addr_b64 v[180:183], v190 offset0:14 offset1:15
	s_waitcnt lgkmcnt(0)
	v_mul_f64 v[156:157], v[182:183], v[158:159]
	s_delay_alu instid0(VALU_DEP_1) | instskip(SKIP_1) | instid1(VALU_DEP_2)
	v_fma_f64 v[156:157], v[180:181], v[188:189], -v[156:157]
	v_mul_f64 v[180:181], v[180:181], v[158:159]
	v_add_f64 v[148:149], v[148:149], -v[156:157]
	s_delay_alu instid0(VALU_DEP_2) | instskip(NEXT) | instid1(VALU_DEP_1)
	v_fma_f64 v[180:181], v[182:183], v[188:189], v[180:181]
	v_add_f64 v[150:151], v[150:151], -v[180:181]
	;; [unrolled: 10-line block ×38, first 2 shown]
	ds_load_2addr_b64 v[180:183], v190 offset0:88 offset1:89
	s_waitcnt lgkmcnt(0)
	v_mul_f64 v[156:157], v[182:183], v[158:159]
	s_delay_alu instid0(VALU_DEP_1) | instskip(SKIP_1) | instid1(VALU_DEP_2)
	v_fma_f64 v[156:157], v[180:181], v[188:189], -v[156:157]
	v_mul_f64 v[180:181], v[180:181], v[158:159]
	v_add_f64 v[0:1], v[0:1], -v[156:157]
	s_delay_alu instid0(VALU_DEP_2) | instskip(SKIP_1) | instid1(VALU_DEP_2)
	v_fma_f64 v[180:181], v[182:183], v[188:189], v[180:181]
	v_dual_mov_b32 v156, v188 :: v_dual_mov_b32 v157, v189
	v_add_f64 v[2:3], v[2:3], -v[180:181]
.LBB88_125:
	s_or_b32 exec_lo, exec_lo, s2
	v_lshl_add_u32 v180, v196, 4, v190
	s_barrier
	buffer_gl0_inv
	v_mov_b32_e32 v188, 6
	ds_store_2addr_b64 v180, v[152:153], v[154:155] offset1:1
	s_waitcnt lgkmcnt(0)
	s_barrier
	buffer_gl0_inv
	ds_load_2addr_b64 v[180:183], v190 offset0:12 offset1:13
	s_cmp_lt_i32 s5, 8
	s_cbranch_scc1 .LBB88_128
; %bb.126:
	v_add3_u32 v189, v195, 0, 0x70
	v_mov_b32_e32 v188, 6
	s_mov_b32 s6, 7
	s_set_inst_prefetch_distance 0x1
	.p2align	6
.LBB88_127:                             ; =>This Inner Loop Header: Depth=1
	ds_load_2addr_b64 v[197:200], v189 offset1:1
	s_waitcnt lgkmcnt(1)
	v_cmp_gt_f64_e32 vcc_lo, 0, v[180:181]
	v_xor_b32_e32 v201, 0x80000000, v181
	v_cmp_gt_f64_e64 s2, 0, v[182:183]
	v_xor_b32_e32 v203, 0x80000000, v183
	v_add_nc_u32_e32 v189, 16, v189
	s_waitcnt lgkmcnt(0)
	v_cmp_gt_f64_e64 s3, 0, v[197:198]
	v_mov_b32_e32 v205, v197
	v_dual_mov_b32 v207, v199 :: v_dual_cndmask_b32 v202, v181, v201
	v_xor_b32_e32 v201, 0x80000000, v198
	v_cndmask_b32_e64 v204, v183, v203, s2
	v_xor_b32_e32 v203, 0x80000000, v200
	s_delay_alu instid0(VALU_DEP_3) | instskip(SKIP_2) | instid1(VALU_DEP_2)
	v_cndmask_b32_e64 v206, v198, v201, s3
	v_cmp_gt_f64_e64 s3, 0, v[199:200]
	v_cndmask_b32_e32 v201, v180, v180, vcc_lo
	v_cndmask_b32_e64 v208, v200, v203, s3
	v_cndmask_b32_e64 v203, v182, v182, s2
	s_delay_alu instid0(VALU_DEP_2) | instskip(NEXT) | instid1(VALU_DEP_2)
	v_add_f64 v[205:206], v[205:206], v[207:208]
	v_add_f64 v[201:202], v[201:202], v[203:204]
	s_delay_alu instid0(VALU_DEP_1) | instskip(SKIP_4) | instid1(SALU_CYCLE_1)
	v_cmp_lt_f64_e32 vcc_lo, v[201:202], v[205:206]
	v_dual_cndmask_b32 v182, v182, v199 :: v_dual_cndmask_b32 v181, v181, v198
	v_dual_cndmask_b32 v180, v180, v197 :: v_dual_cndmask_b32 v183, v183, v200
	v_cndmask_b32_e64 v188, v188, s6, vcc_lo
	s_add_i32 s6, s6, 1
	s_cmp_lg_u32 s5, s6
	s_cbranch_scc1 .LBB88_127
.LBB88_128:
	s_set_inst_prefetch_distance 0x2
	s_waitcnt lgkmcnt(0)
	v_cmp_eq_f64_e32 vcc_lo, 0, v[180:181]
	v_cmp_eq_f64_e64 s2, 0, v[182:183]
	s_delay_alu instid0(VALU_DEP_1) | instskip(NEXT) | instid1(SALU_CYCLE_1)
	s_and_b32 s2, vcc_lo, s2
	s_and_saveexec_b32 s3, s2
	s_delay_alu instid0(SALU_CYCLE_1)
	s_xor_b32 s2, exec_lo, s3
; %bb.129:
	v_cmp_ne_u32_e32 vcc_lo, 0, v193
	v_cndmask_b32_e32 v193, 7, v193, vcc_lo
; %bb.130:
	s_and_not1_saveexec_b32 s3, s2
	s_cbranch_execz .LBB88_136
; %bb.131:
	v_cmp_gt_f64_e32 vcc_lo, 0, v[180:181]
	v_cmp_gt_f64_e64 s2, 0, v[182:183]
	v_xor_b32_e32 v189, 0x80000000, v181
	v_xor_b32_e32 v197, 0x80000000, v183
	s_delay_alu instid0(VALU_DEP_2) | instskip(NEXT) | instid1(VALU_DEP_2)
	v_cndmask_b32_e32 v198, v181, v189, vcc_lo
	v_cndmask_b32_e64 v200, v183, v197, s2
	v_cndmask_b32_e32 v197, v180, v180, vcc_lo
	v_cndmask_b32_e64 v199, v182, v182, s2
	s_mov_b32 s2, exec_lo
	s_delay_alu instid0(VALU_DEP_1)
	v_cmpx_ngt_f64_e32 v[197:198], v[199:200]
	s_xor_b32 s2, exec_lo, s2
	s_cbranch_execz .LBB88_133
; %bb.132:
	v_div_scale_f64 v[197:198], null, v[182:183], v[182:183], v[180:181]
	v_div_scale_f64 v[203:204], vcc_lo, v[180:181], v[182:183], v[180:181]
	s_delay_alu instid0(VALU_DEP_2) | instskip(SKIP_2) | instid1(VALU_DEP_1)
	v_rcp_f64_e32 v[199:200], v[197:198]
	s_waitcnt_depctr 0xfff
	v_fma_f64 v[201:202], -v[197:198], v[199:200], 1.0
	v_fma_f64 v[199:200], v[199:200], v[201:202], v[199:200]
	s_delay_alu instid0(VALU_DEP_1) | instskip(NEXT) | instid1(VALU_DEP_1)
	v_fma_f64 v[201:202], -v[197:198], v[199:200], 1.0
	v_fma_f64 v[199:200], v[199:200], v[201:202], v[199:200]
	s_delay_alu instid0(VALU_DEP_1) | instskip(NEXT) | instid1(VALU_DEP_1)
	v_mul_f64 v[201:202], v[203:204], v[199:200]
	v_fma_f64 v[197:198], -v[197:198], v[201:202], v[203:204]
	s_delay_alu instid0(VALU_DEP_1) | instskip(NEXT) | instid1(VALU_DEP_1)
	v_div_fmas_f64 v[197:198], v[197:198], v[199:200], v[201:202]
	v_div_fixup_f64 v[197:198], v[197:198], v[182:183], v[180:181]
	s_delay_alu instid0(VALU_DEP_1) | instskip(NEXT) | instid1(VALU_DEP_1)
	v_fma_f64 v[180:181], v[180:181], v[197:198], v[182:183]
	v_div_scale_f64 v[182:183], null, v[180:181], v[180:181], 1.0
	s_delay_alu instid0(VALU_DEP_1) | instskip(SKIP_2) | instid1(VALU_DEP_1)
	v_rcp_f64_e32 v[199:200], v[182:183]
	s_waitcnt_depctr 0xfff
	v_fma_f64 v[201:202], -v[182:183], v[199:200], 1.0
	v_fma_f64 v[199:200], v[199:200], v[201:202], v[199:200]
	s_delay_alu instid0(VALU_DEP_1) | instskip(NEXT) | instid1(VALU_DEP_1)
	v_fma_f64 v[201:202], -v[182:183], v[199:200], 1.0
	v_fma_f64 v[199:200], v[199:200], v[201:202], v[199:200]
	v_div_scale_f64 v[201:202], vcc_lo, 1.0, v[180:181], 1.0
	s_delay_alu instid0(VALU_DEP_1) | instskip(NEXT) | instid1(VALU_DEP_1)
	v_mul_f64 v[203:204], v[201:202], v[199:200]
	v_fma_f64 v[182:183], -v[182:183], v[203:204], v[201:202]
	s_delay_alu instid0(VALU_DEP_1) | instskip(NEXT) | instid1(VALU_DEP_1)
	v_div_fmas_f64 v[182:183], v[182:183], v[199:200], v[203:204]
	v_div_fixup_f64 v[182:183], v[182:183], v[180:181], 1.0
	s_delay_alu instid0(VALU_DEP_1)
	v_mul_f64 v[180:181], v[197:198], v[182:183]
	v_xor_b32_e32 v183, 0x80000000, v183
.LBB88_133:
	s_and_not1_saveexec_b32 s2, s2
	s_cbranch_execz .LBB88_135
; %bb.134:
	s_delay_alu instid0(VALU_DEP_1) | instskip(SKIP_1) | instid1(VALU_DEP_2)
	v_div_scale_f64 v[197:198], null, v[180:181], v[180:181], v[182:183]
	v_div_scale_f64 v[203:204], vcc_lo, v[182:183], v[180:181], v[182:183]
	v_rcp_f64_e32 v[199:200], v[197:198]
	s_waitcnt_depctr 0xfff
	v_fma_f64 v[201:202], -v[197:198], v[199:200], 1.0
	s_delay_alu instid0(VALU_DEP_1) | instskip(NEXT) | instid1(VALU_DEP_1)
	v_fma_f64 v[199:200], v[199:200], v[201:202], v[199:200]
	v_fma_f64 v[201:202], -v[197:198], v[199:200], 1.0
	s_delay_alu instid0(VALU_DEP_1) | instskip(NEXT) | instid1(VALU_DEP_1)
	v_fma_f64 v[199:200], v[199:200], v[201:202], v[199:200]
	v_mul_f64 v[201:202], v[203:204], v[199:200]
	s_delay_alu instid0(VALU_DEP_1) | instskip(NEXT) | instid1(VALU_DEP_1)
	v_fma_f64 v[197:198], -v[197:198], v[201:202], v[203:204]
	v_div_fmas_f64 v[197:198], v[197:198], v[199:200], v[201:202]
	s_delay_alu instid0(VALU_DEP_1) | instskip(NEXT) | instid1(VALU_DEP_1)
	v_div_fixup_f64 v[197:198], v[197:198], v[180:181], v[182:183]
	v_fma_f64 v[180:181], v[182:183], v[197:198], v[180:181]
	s_delay_alu instid0(VALU_DEP_1) | instskip(NEXT) | instid1(VALU_DEP_1)
	v_div_scale_f64 v[182:183], null, v[180:181], v[180:181], 1.0
	v_rcp_f64_e32 v[199:200], v[182:183]
	s_waitcnt_depctr 0xfff
	v_fma_f64 v[201:202], -v[182:183], v[199:200], 1.0
	s_delay_alu instid0(VALU_DEP_1) | instskip(NEXT) | instid1(VALU_DEP_1)
	v_fma_f64 v[199:200], v[199:200], v[201:202], v[199:200]
	v_fma_f64 v[201:202], -v[182:183], v[199:200], 1.0
	s_delay_alu instid0(VALU_DEP_1) | instskip(SKIP_1) | instid1(VALU_DEP_1)
	v_fma_f64 v[199:200], v[199:200], v[201:202], v[199:200]
	v_div_scale_f64 v[201:202], vcc_lo, 1.0, v[180:181], 1.0
	v_mul_f64 v[203:204], v[201:202], v[199:200]
	s_delay_alu instid0(VALU_DEP_1) | instskip(NEXT) | instid1(VALU_DEP_1)
	v_fma_f64 v[182:183], -v[182:183], v[203:204], v[201:202]
	v_div_fmas_f64 v[182:183], v[182:183], v[199:200], v[203:204]
	s_delay_alu instid0(VALU_DEP_1) | instskip(NEXT) | instid1(VALU_DEP_1)
	v_div_fixup_f64 v[180:181], v[182:183], v[180:181], 1.0
	v_mul_f64 v[182:183], v[197:198], -v[180:181]
.LBB88_135:
	s_or_b32 exec_lo, exec_lo, s2
.LBB88_136:
	s_delay_alu instid0(SALU_CYCLE_1) | instskip(NEXT) | instid1(SALU_CYCLE_1)
	s_or_b32 exec_lo, exec_lo, s3
	s_mov_b32 s2, exec_lo
	v_cmpx_ne_u32_e64 v196, v188
	s_xor_b32 s2, exec_lo, s2
	s_cbranch_execz .LBB88_142
; %bb.137:
	s_mov_b32 s3, exec_lo
	v_cmpx_eq_u32_e32 6, v196
	s_cbranch_execz .LBB88_141
; %bb.138:
	v_cmp_ne_u32_e32 vcc_lo, 6, v188
	s_xor_b32 s6, s4, -1
	s_delay_alu instid0(SALU_CYCLE_1) | instskip(NEXT) | instid1(SALU_CYCLE_1)
	s_and_b32 s7, s6, vcc_lo
	s_and_saveexec_b32 s6, s7
	s_cbranch_execz .LBB88_140
; %bb.139:
	v_ashrrev_i32_e32 v189, 31, v188
	s_delay_alu instid0(VALU_DEP_1) | instskip(NEXT) | instid1(VALU_DEP_1)
	v_lshlrev_b64 v[196:197], 2, v[188:189]
	v_add_co_u32 v196, vcc_lo, v186, v196
	s_delay_alu instid0(VALU_DEP_2)
	v_add_co_ci_u32_e32 v197, vcc_lo, v187, v197, vcc_lo
	s_clause 0x1
	flat_load_b32 v189, v[196:197]
	flat_load_b32 v194, v[186:187] offset:24
	s_waitcnt vmcnt(1) lgkmcnt(1)
	flat_store_b32 v[186:187], v189 offset:24
	s_waitcnt vmcnt(0) lgkmcnt(1)
	flat_store_b32 v[196:197], v194
.LBB88_140:
	s_or_b32 exec_lo, exec_lo, s6
	v_mov_b32_e32 v196, v188
	v_mov_b32_e32 v194, v188
.LBB88_141:
	s_or_b32 exec_lo, exec_lo, s3
.LBB88_142:
	s_and_not1_saveexec_b32 s2, s2
	s_cbranch_execz .LBB88_144
; %bb.143:
	v_mov_b32_e32 v196, 6
	ds_store_2addr_b64 v190, v[148:149], v[150:151] offset0:14 offset1:15
	ds_store_2addr_b64 v190, v[144:145], v[146:147] offset0:16 offset1:17
	;; [unrolled: 1-line block ×38, first 2 shown]
.LBB88_144:
	s_or_b32 exec_lo, exec_lo, s2
	s_delay_alu instid0(SALU_CYCLE_1)
	s_mov_b32 s2, exec_lo
	s_waitcnt lgkmcnt(0)
	s_waitcnt_vscnt null, 0x0
	s_barrier
	buffer_gl0_inv
	v_cmpx_lt_i32_e32 6, v196
	s_cbranch_execz .LBB88_146
; %bb.145:
	v_mul_f64 v[188:189], v[182:183], v[154:155]
	v_mul_f64 v[154:155], v[180:181], v[154:155]
	s_delay_alu instid0(VALU_DEP_2) | instskip(NEXT) | instid1(VALU_DEP_2)
	v_fma_f64 v[188:189], v[180:181], v[152:153], -v[188:189]
	v_fma_f64 v[154:155], v[182:183], v[152:153], v[154:155]
	ds_load_2addr_b64 v[180:183], v190 offset0:14 offset1:15
	s_waitcnt lgkmcnt(0)
	v_mul_f64 v[152:153], v[182:183], v[154:155]
	s_delay_alu instid0(VALU_DEP_1) | instskip(SKIP_1) | instid1(VALU_DEP_2)
	v_fma_f64 v[152:153], v[180:181], v[188:189], -v[152:153]
	v_mul_f64 v[180:181], v[180:181], v[154:155]
	v_add_f64 v[148:149], v[148:149], -v[152:153]
	s_delay_alu instid0(VALU_DEP_2) | instskip(NEXT) | instid1(VALU_DEP_1)
	v_fma_f64 v[180:181], v[182:183], v[188:189], v[180:181]
	v_add_f64 v[150:151], v[150:151], -v[180:181]
	ds_load_2addr_b64 v[180:183], v190 offset0:16 offset1:17
	s_waitcnt lgkmcnt(0)
	v_mul_f64 v[152:153], v[182:183], v[154:155]
	s_delay_alu instid0(VALU_DEP_1) | instskip(SKIP_1) | instid1(VALU_DEP_2)
	v_fma_f64 v[152:153], v[180:181], v[188:189], -v[152:153]
	v_mul_f64 v[180:181], v[180:181], v[154:155]
	v_add_f64 v[144:145], v[144:145], -v[152:153]
	s_delay_alu instid0(VALU_DEP_2) | instskip(NEXT) | instid1(VALU_DEP_1)
	v_fma_f64 v[180:181], v[182:183], v[188:189], v[180:181]
	v_add_f64 v[146:147], v[146:147], -v[180:181]
	;; [unrolled: 10-line block ×37, first 2 shown]
	ds_load_2addr_b64 v[180:183], v190 offset0:88 offset1:89
	s_waitcnt lgkmcnt(0)
	v_mul_f64 v[152:153], v[182:183], v[154:155]
	s_delay_alu instid0(VALU_DEP_1) | instskip(SKIP_1) | instid1(VALU_DEP_2)
	v_fma_f64 v[152:153], v[180:181], v[188:189], -v[152:153]
	v_mul_f64 v[180:181], v[180:181], v[154:155]
	v_add_f64 v[0:1], v[0:1], -v[152:153]
	s_delay_alu instid0(VALU_DEP_2) | instskip(SKIP_1) | instid1(VALU_DEP_2)
	v_fma_f64 v[180:181], v[182:183], v[188:189], v[180:181]
	v_dual_mov_b32 v152, v188 :: v_dual_mov_b32 v153, v189
	v_add_f64 v[2:3], v[2:3], -v[180:181]
.LBB88_146:
	s_or_b32 exec_lo, exec_lo, s2
	v_lshl_add_u32 v180, v196, 4, v190
	s_barrier
	buffer_gl0_inv
	v_mov_b32_e32 v188, 7
	ds_store_2addr_b64 v180, v[148:149], v[150:151] offset1:1
	s_waitcnt lgkmcnt(0)
	s_barrier
	buffer_gl0_inv
	ds_load_2addr_b64 v[180:183], v190 offset0:14 offset1:15
	s_cmp_lt_i32 s5, 9
	s_cbranch_scc1 .LBB88_149
; %bb.147:
	v_add3_u32 v189, v195, 0, 0x80
	v_mov_b32_e32 v188, 7
	s_mov_b32 s6, 8
	s_set_inst_prefetch_distance 0x1
	.p2align	6
.LBB88_148:                             ; =>This Inner Loop Header: Depth=1
	ds_load_2addr_b64 v[197:200], v189 offset1:1
	s_waitcnt lgkmcnt(1)
	v_cmp_gt_f64_e32 vcc_lo, 0, v[180:181]
	v_xor_b32_e32 v201, 0x80000000, v181
	v_cmp_gt_f64_e64 s2, 0, v[182:183]
	v_xor_b32_e32 v203, 0x80000000, v183
	v_add_nc_u32_e32 v189, 16, v189
	s_waitcnt lgkmcnt(0)
	v_cmp_gt_f64_e64 s3, 0, v[197:198]
	v_mov_b32_e32 v205, v197
	v_dual_mov_b32 v207, v199 :: v_dual_cndmask_b32 v202, v181, v201
	v_xor_b32_e32 v201, 0x80000000, v198
	v_cndmask_b32_e64 v204, v183, v203, s2
	v_xor_b32_e32 v203, 0x80000000, v200
	s_delay_alu instid0(VALU_DEP_3) | instskip(SKIP_2) | instid1(VALU_DEP_2)
	v_cndmask_b32_e64 v206, v198, v201, s3
	v_cmp_gt_f64_e64 s3, 0, v[199:200]
	v_cndmask_b32_e32 v201, v180, v180, vcc_lo
	v_cndmask_b32_e64 v208, v200, v203, s3
	v_cndmask_b32_e64 v203, v182, v182, s2
	s_delay_alu instid0(VALU_DEP_2) | instskip(NEXT) | instid1(VALU_DEP_2)
	v_add_f64 v[205:206], v[205:206], v[207:208]
	v_add_f64 v[201:202], v[201:202], v[203:204]
	s_delay_alu instid0(VALU_DEP_1) | instskip(SKIP_4) | instid1(SALU_CYCLE_1)
	v_cmp_lt_f64_e32 vcc_lo, v[201:202], v[205:206]
	v_dual_cndmask_b32 v182, v182, v199 :: v_dual_cndmask_b32 v181, v181, v198
	v_dual_cndmask_b32 v180, v180, v197 :: v_dual_cndmask_b32 v183, v183, v200
	v_cndmask_b32_e64 v188, v188, s6, vcc_lo
	s_add_i32 s6, s6, 1
	s_cmp_lg_u32 s5, s6
	s_cbranch_scc1 .LBB88_148
.LBB88_149:
	s_set_inst_prefetch_distance 0x2
	s_waitcnt lgkmcnt(0)
	v_cmp_eq_f64_e32 vcc_lo, 0, v[180:181]
	v_cmp_eq_f64_e64 s2, 0, v[182:183]
	s_delay_alu instid0(VALU_DEP_1) | instskip(NEXT) | instid1(SALU_CYCLE_1)
	s_and_b32 s2, vcc_lo, s2
	s_and_saveexec_b32 s3, s2
	s_delay_alu instid0(SALU_CYCLE_1)
	s_xor_b32 s2, exec_lo, s3
; %bb.150:
	v_cmp_ne_u32_e32 vcc_lo, 0, v193
	v_cndmask_b32_e32 v193, 8, v193, vcc_lo
; %bb.151:
	s_and_not1_saveexec_b32 s3, s2
	s_cbranch_execz .LBB88_157
; %bb.152:
	v_cmp_gt_f64_e32 vcc_lo, 0, v[180:181]
	v_cmp_gt_f64_e64 s2, 0, v[182:183]
	v_xor_b32_e32 v189, 0x80000000, v181
	v_xor_b32_e32 v197, 0x80000000, v183
	s_delay_alu instid0(VALU_DEP_2) | instskip(NEXT) | instid1(VALU_DEP_2)
	v_cndmask_b32_e32 v198, v181, v189, vcc_lo
	v_cndmask_b32_e64 v200, v183, v197, s2
	v_cndmask_b32_e32 v197, v180, v180, vcc_lo
	v_cndmask_b32_e64 v199, v182, v182, s2
	s_mov_b32 s2, exec_lo
	s_delay_alu instid0(VALU_DEP_1)
	v_cmpx_ngt_f64_e32 v[197:198], v[199:200]
	s_xor_b32 s2, exec_lo, s2
	s_cbranch_execz .LBB88_154
; %bb.153:
	v_div_scale_f64 v[197:198], null, v[182:183], v[182:183], v[180:181]
	v_div_scale_f64 v[203:204], vcc_lo, v[180:181], v[182:183], v[180:181]
	s_delay_alu instid0(VALU_DEP_2) | instskip(SKIP_2) | instid1(VALU_DEP_1)
	v_rcp_f64_e32 v[199:200], v[197:198]
	s_waitcnt_depctr 0xfff
	v_fma_f64 v[201:202], -v[197:198], v[199:200], 1.0
	v_fma_f64 v[199:200], v[199:200], v[201:202], v[199:200]
	s_delay_alu instid0(VALU_DEP_1) | instskip(NEXT) | instid1(VALU_DEP_1)
	v_fma_f64 v[201:202], -v[197:198], v[199:200], 1.0
	v_fma_f64 v[199:200], v[199:200], v[201:202], v[199:200]
	s_delay_alu instid0(VALU_DEP_1) | instskip(NEXT) | instid1(VALU_DEP_1)
	v_mul_f64 v[201:202], v[203:204], v[199:200]
	v_fma_f64 v[197:198], -v[197:198], v[201:202], v[203:204]
	s_delay_alu instid0(VALU_DEP_1) | instskip(NEXT) | instid1(VALU_DEP_1)
	v_div_fmas_f64 v[197:198], v[197:198], v[199:200], v[201:202]
	v_div_fixup_f64 v[197:198], v[197:198], v[182:183], v[180:181]
	s_delay_alu instid0(VALU_DEP_1) | instskip(NEXT) | instid1(VALU_DEP_1)
	v_fma_f64 v[180:181], v[180:181], v[197:198], v[182:183]
	v_div_scale_f64 v[182:183], null, v[180:181], v[180:181], 1.0
	s_delay_alu instid0(VALU_DEP_1) | instskip(SKIP_2) | instid1(VALU_DEP_1)
	v_rcp_f64_e32 v[199:200], v[182:183]
	s_waitcnt_depctr 0xfff
	v_fma_f64 v[201:202], -v[182:183], v[199:200], 1.0
	v_fma_f64 v[199:200], v[199:200], v[201:202], v[199:200]
	s_delay_alu instid0(VALU_DEP_1) | instskip(NEXT) | instid1(VALU_DEP_1)
	v_fma_f64 v[201:202], -v[182:183], v[199:200], 1.0
	v_fma_f64 v[199:200], v[199:200], v[201:202], v[199:200]
	v_div_scale_f64 v[201:202], vcc_lo, 1.0, v[180:181], 1.0
	s_delay_alu instid0(VALU_DEP_1) | instskip(NEXT) | instid1(VALU_DEP_1)
	v_mul_f64 v[203:204], v[201:202], v[199:200]
	v_fma_f64 v[182:183], -v[182:183], v[203:204], v[201:202]
	s_delay_alu instid0(VALU_DEP_1) | instskip(NEXT) | instid1(VALU_DEP_1)
	v_div_fmas_f64 v[182:183], v[182:183], v[199:200], v[203:204]
	v_div_fixup_f64 v[182:183], v[182:183], v[180:181], 1.0
	s_delay_alu instid0(VALU_DEP_1)
	v_mul_f64 v[180:181], v[197:198], v[182:183]
	v_xor_b32_e32 v183, 0x80000000, v183
.LBB88_154:
	s_and_not1_saveexec_b32 s2, s2
	s_cbranch_execz .LBB88_156
; %bb.155:
	s_delay_alu instid0(VALU_DEP_1) | instskip(SKIP_1) | instid1(VALU_DEP_2)
	v_div_scale_f64 v[197:198], null, v[180:181], v[180:181], v[182:183]
	v_div_scale_f64 v[203:204], vcc_lo, v[182:183], v[180:181], v[182:183]
	v_rcp_f64_e32 v[199:200], v[197:198]
	s_waitcnt_depctr 0xfff
	v_fma_f64 v[201:202], -v[197:198], v[199:200], 1.0
	s_delay_alu instid0(VALU_DEP_1) | instskip(NEXT) | instid1(VALU_DEP_1)
	v_fma_f64 v[199:200], v[199:200], v[201:202], v[199:200]
	v_fma_f64 v[201:202], -v[197:198], v[199:200], 1.0
	s_delay_alu instid0(VALU_DEP_1) | instskip(NEXT) | instid1(VALU_DEP_1)
	v_fma_f64 v[199:200], v[199:200], v[201:202], v[199:200]
	v_mul_f64 v[201:202], v[203:204], v[199:200]
	s_delay_alu instid0(VALU_DEP_1) | instskip(NEXT) | instid1(VALU_DEP_1)
	v_fma_f64 v[197:198], -v[197:198], v[201:202], v[203:204]
	v_div_fmas_f64 v[197:198], v[197:198], v[199:200], v[201:202]
	s_delay_alu instid0(VALU_DEP_1) | instskip(NEXT) | instid1(VALU_DEP_1)
	v_div_fixup_f64 v[197:198], v[197:198], v[180:181], v[182:183]
	v_fma_f64 v[180:181], v[182:183], v[197:198], v[180:181]
	s_delay_alu instid0(VALU_DEP_1) | instskip(NEXT) | instid1(VALU_DEP_1)
	v_div_scale_f64 v[182:183], null, v[180:181], v[180:181], 1.0
	v_rcp_f64_e32 v[199:200], v[182:183]
	s_waitcnt_depctr 0xfff
	v_fma_f64 v[201:202], -v[182:183], v[199:200], 1.0
	s_delay_alu instid0(VALU_DEP_1) | instskip(NEXT) | instid1(VALU_DEP_1)
	v_fma_f64 v[199:200], v[199:200], v[201:202], v[199:200]
	v_fma_f64 v[201:202], -v[182:183], v[199:200], 1.0
	s_delay_alu instid0(VALU_DEP_1) | instskip(SKIP_1) | instid1(VALU_DEP_1)
	v_fma_f64 v[199:200], v[199:200], v[201:202], v[199:200]
	v_div_scale_f64 v[201:202], vcc_lo, 1.0, v[180:181], 1.0
	v_mul_f64 v[203:204], v[201:202], v[199:200]
	s_delay_alu instid0(VALU_DEP_1) | instskip(NEXT) | instid1(VALU_DEP_1)
	v_fma_f64 v[182:183], -v[182:183], v[203:204], v[201:202]
	v_div_fmas_f64 v[182:183], v[182:183], v[199:200], v[203:204]
	s_delay_alu instid0(VALU_DEP_1) | instskip(NEXT) | instid1(VALU_DEP_1)
	v_div_fixup_f64 v[180:181], v[182:183], v[180:181], 1.0
	v_mul_f64 v[182:183], v[197:198], -v[180:181]
.LBB88_156:
	s_or_b32 exec_lo, exec_lo, s2
.LBB88_157:
	s_delay_alu instid0(SALU_CYCLE_1) | instskip(NEXT) | instid1(SALU_CYCLE_1)
	s_or_b32 exec_lo, exec_lo, s3
	s_mov_b32 s2, exec_lo
	v_cmpx_ne_u32_e64 v196, v188
	s_xor_b32 s2, exec_lo, s2
	s_cbranch_execz .LBB88_163
; %bb.158:
	s_mov_b32 s3, exec_lo
	v_cmpx_eq_u32_e32 7, v196
	s_cbranch_execz .LBB88_162
; %bb.159:
	v_cmp_ne_u32_e32 vcc_lo, 7, v188
	s_xor_b32 s6, s4, -1
	s_delay_alu instid0(SALU_CYCLE_1) | instskip(NEXT) | instid1(SALU_CYCLE_1)
	s_and_b32 s7, s6, vcc_lo
	s_and_saveexec_b32 s6, s7
	s_cbranch_execz .LBB88_161
; %bb.160:
	v_ashrrev_i32_e32 v189, 31, v188
	s_delay_alu instid0(VALU_DEP_1) | instskip(NEXT) | instid1(VALU_DEP_1)
	v_lshlrev_b64 v[196:197], 2, v[188:189]
	v_add_co_u32 v196, vcc_lo, v186, v196
	s_delay_alu instid0(VALU_DEP_2)
	v_add_co_ci_u32_e32 v197, vcc_lo, v187, v197, vcc_lo
	s_clause 0x1
	flat_load_b32 v189, v[196:197]
	flat_load_b32 v194, v[186:187] offset:28
	s_waitcnt vmcnt(1) lgkmcnt(1)
	flat_store_b32 v[186:187], v189 offset:28
	s_waitcnt vmcnt(0) lgkmcnt(1)
	flat_store_b32 v[196:197], v194
.LBB88_161:
	s_or_b32 exec_lo, exec_lo, s6
	v_mov_b32_e32 v196, v188
	v_mov_b32_e32 v194, v188
.LBB88_162:
	s_or_b32 exec_lo, exec_lo, s3
.LBB88_163:
	s_and_not1_saveexec_b32 s2, s2
	s_cbranch_execz .LBB88_165
; %bb.164:
	v_mov_b32_e32 v196, 7
	ds_store_2addr_b64 v190, v[144:145], v[146:147] offset0:16 offset1:17
	ds_store_2addr_b64 v190, v[140:141], v[142:143] offset0:18 offset1:19
	ds_store_2addr_b64 v190, v[136:137], v[138:139] offset0:20 offset1:21
	ds_store_2addr_b64 v190, v[132:133], v[134:135] offset0:22 offset1:23
	ds_store_2addr_b64 v190, v[128:129], v[130:131] offset0:24 offset1:25
	ds_store_2addr_b64 v190, v[124:125], v[126:127] offset0:26 offset1:27
	ds_store_2addr_b64 v190, v[120:121], v[122:123] offset0:28 offset1:29
	ds_store_2addr_b64 v190, v[116:117], v[118:119] offset0:30 offset1:31
	ds_store_2addr_b64 v190, v[112:113], v[114:115] offset0:32 offset1:33
	ds_store_2addr_b64 v190, v[108:109], v[110:111] offset0:34 offset1:35
	ds_store_2addr_b64 v190, v[104:105], v[106:107] offset0:36 offset1:37
	ds_store_2addr_b64 v190, v[100:101], v[102:103] offset0:38 offset1:39
	ds_store_2addr_b64 v190, v[96:97], v[98:99] offset0:40 offset1:41
	ds_store_2addr_b64 v190, v[92:93], v[94:95] offset0:42 offset1:43
	ds_store_2addr_b64 v190, v[88:89], v[90:91] offset0:44 offset1:45
	ds_store_2addr_b64 v190, v[84:85], v[86:87] offset0:46 offset1:47
	ds_store_2addr_b64 v190, v[80:81], v[82:83] offset0:48 offset1:49
	ds_store_2addr_b64 v190, v[76:77], v[78:79] offset0:50 offset1:51
	ds_store_2addr_b64 v190, v[72:73], v[74:75] offset0:52 offset1:53
	ds_store_2addr_b64 v190, v[68:69], v[70:71] offset0:54 offset1:55
	ds_store_2addr_b64 v190, v[64:65], v[66:67] offset0:56 offset1:57
	ds_store_2addr_b64 v190, v[60:61], v[62:63] offset0:58 offset1:59
	ds_store_2addr_b64 v190, v[56:57], v[58:59] offset0:60 offset1:61
	ds_store_2addr_b64 v190, v[52:53], v[54:55] offset0:62 offset1:63
	ds_store_2addr_b64 v190, v[48:49], v[50:51] offset0:64 offset1:65
	ds_store_2addr_b64 v190, v[44:45], v[46:47] offset0:66 offset1:67
	ds_store_2addr_b64 v190, v[40:41], v[42:43] offset0:68 offset1:69
	ds_store_2addr_b64 v190, v[36:37], v[38:39] offset0:70 offset1:71
	ds_store_2addr_b64 v190, v[32:33], v[34:35] offset0:72 offset1:73
	ds_store_2addr_b64 v190, v[28:29], v[30:31] offset0:74 offset1:75
	ds_store_2addr_b64 v190, v[24:25], v[26:27] offset0:76 offset1:77
	ds_store_2addr_b64 v190, v[20:21], v[22:23] offset0:78 offset1:79
	ds_store_2addr_b64 v190, v[16:17], v[18:19] offset0:80 offset1:81
	ds_store_2addr_b64 v190, v[12:13], v[14:15] offset0:82 offset1:83
	ds_store_2addr_b64 v190, v[8:9], v[10:11] offset0:84 offset1:85
	ds_store_2addr_b64 v190, v[4:5], v[6:7] offset0:86 offset1:87
	ds_store_2addr_b64 v190, v[0:1], v[2:3] offset0:88 offset1:89
.LBB88_165:
	s_or_b32 exec_lo, exec_lo, s2
	s_delay_alu instid0(SALU_CYCLE_1)
	s_mov_b32 s2, exec_lo
	s_waitcnt lgkmcnt(0)
	s_waitcnt_vscnt null, 0x0
	s_barrier
	buffer_gl0_inv
	v_cmpx_lt_i32_e32 7, v196
	s_cbranch_execz .LBB88_167
; %bb.166:
	v_mul_f64 v[188:189], v[182:183], v[150:151]
	v_mul_f64 v[150:151], v[180:181], v[150:151]
	s_delay_alu instid0(VALU_DEP_2) | instskip(NEXT) | instid1(VALU_DEP_2)
	v_fma_f64 v[188:189], v[180:181], v[148:149], -v[188:189]
	v_fma_f64 v[150:151], v[182:183], v[148:149], v[150:151]
	ds_load_2addr_b64 v[180:183], v190 offset0:16 offset1:17
	s_waitcnt lgkmcnt(0)
	v_mul_f64 v[148:149], v[182:183], v[150:151]
	s_delay_alu instid0(VALU_DEP_1) | instskip(SKIP_1) | instid1(VALU_DEP_2)
	v_fma_f64 v[148:149], v[180:181], v[188:189], -v[148:149]
	v_mul_f64 v[180:181], v[180:181], v[150:151]
	v_add_f64 v[144:145], v[144:145], -v[148:149]
	s_delay_alu instid0(VALU_DEP_2) | instskip(NEXT) | instid1(VALU_DEP_1)
	v_fma_f64 v[180:181], v[182:183], v[188:189], v[180:181]
	v_add_f64 v[146:147], v[146:147], -v[180:181]
	ds_load_2addr_b64 v[180:183], v190 offset0:18 offset1:19
	s_waitcnt lgkmcnt(0)
	v_mul_f64 v[148:149], v[182:183], v[150:151]
	s_delay_alu instid0(VALU_DEP_1) | instskip(SKIP_1) | instid1(VALU_DEP_2)
	v_fma_f64 v[148:149], v[180:181], v[188:189], -v[148:149]
	v_mul_f64 v[180:181], v[180:181], v[150:151]
	v_add_f64 v[140:141], v[140:141], -v[148:149]
	s_delay_alu instid0(VALU_DEP_2) | instskip(NEXT) | instid1(VALU_DEP_1)
	v_fma_f64 v[180:181], v[182:183], v[188:189], v[180:181]
	v_add_f64 v[142:143], v[142:143], -v[180:181]
	;; [unrolled: 10-line block ×36, first 2 shown]
	ds_load_2addr_b64 v[180:183], v190 offset0:88 offset1:89
	s_waitcnt lgkmcnt(0)
	v_mul_f64 v[148:149], v[182:183], v[150:151]
	s_delay_alu instid0(VALU_DEP_1) | instskip(SKIP_1) | instid1(VALU_DEP_2)
	v_fma_f64 v[148:149], v[180:181], v[188:189], -v[148:149]
	v_mul_f64 v[180:181], v[180:181], v[150:151]
	v_add_f64 v[0:1], v[0:1], -v[148:149]
	s_delay_alu instid0(VALU_DEP_2) | instskip(SKIP_1) | instid1(VALU_DEP_2)
	v_fma_f64 v[180:181], v[182:183], v[188:189], v[180:181]
	v_dual_mov_b32 v148, v188 :: v_dual_mov_b32 v149, v189
	v_add_f64 v[2:3], v[2:3], -v[180:181]
.LBB88_167:
	s_or_b32 exec_lo, exec_lo, s2
	v_lshl_add_u32 v180, v196, 4, v190
	s_barrier
	buffer_gl0_inv
	v_mov_b32_e32 v188, 8
	ds_store_2addr_b64 v180, v[144:145], v[146:147] offset1:1
	s_waitcnt lgkmcnt(0)
	s_barrier
	buffer_gl0_inv
	ds_load_2addr_b64 v[180:183], v190 offset0:16 offset1:17
	s_cmp_lt_i32 s5, 10
	s_cbranch_scc1 .LBB88_170
; %bb.168:
	v_add3_u32 v189, v195, 0, 0x90
	v_mov_b32_e32 v188, 8
	s_mov_b32 s6, 9
	s_set_inst_prefetch_distance 0x1
	.p2align	6
.LBB88_169:                             ; =>This Inner Loop Header: Depth=1
	ds_load_2addr_b64 v[197:200], v189 offset1:1
	s_waitcnt lgkmcnt(1)
	v_cmp_gt_f64_e32 vcc_lo, 0, v[180:181]
	v_xor_b32_e32 v201, 0x80000000, v181
	v_cmp_gt_f64_e64 s2, 0, v[182:183]
	v_xor_b32_e32 v203, 0x80000000, v183
	v_add_nc_u32_e32 v189, 16, v189
	s_waitcnt lgkmcnt(0)
	v_cmp_gt_f64_e64 s3, 0, v[197:198]
	v_mov_b32_e32 v205, v197
	v_dual_mov_b32 v207, v199 :: v_dual_cndmask_b32 v202, v181, v201
	v_xor_b32_e32 v201, 0x80000000, v198
	v_cndmask_b32_e64 v204, v183, v203, s2
	v_xor_b32_e32 v203, 0x80000000, v200
	s_delay_alu instid0(VALU_DEP_3) | instskip(SKIP_2) | instid1(VALU_DEP_2)
	v_cndmask_b32_e64 v206, v198, v201, s3
	v_cmp_gt_f64_e64 s3, 0, v[199:200]
	v_cndmask_b32_e32 v201, v180, v180, vcc_lo
	v_cndmask_b32_e64 v208, v200, v203, s3
	v_cndmask_b32_e64 v203, v182, v182, s2
	s_delay_alu instid0(VALU_DEP_2) | instskip(NEXT) | instid1(VALU_DEP_2)
	v_add_f64 v[205:206], v[205:206], v[207:208]
	v_add_f64 v[201:202], v[201:202], v[203:204]
	s_delay_alu instid0(VALU_DEP_1) | instskip(SKIP_4) | instid1(SALU_CYCLE_1)
	v_cmp_lt_f64_e32 vcc_lo, v[201:202], v[205:206]
	v_dual_cndmask_b32 v182, v182, v199 :: v_dual_cndmask_b32 v181, v181, v198
	v_dual_cndmask_b32 v180, v180, v197 :: v_dual_cndmask_b32 v183, v183, v200
	v_cndmask_b32_e64 v188, v188, s6, vcc_lo
	s_add_i32 s6, s6, 1
	s_cmp_lg_u32 s5, s6
	s_cbranch_scc1 .LBB88_169
.LBB88_170:
	s_set_inst_prefetch_distance 0x2
	s_waitcnt lgkmcnt(0)
	v_cmp_eq_f64_e32 vcc_lo, 0, v[180:181]
	v_cmp_eq_f64_e64 s2, 0, v[182:183]
	s_delay_alu instid0(VALU_DEP_1) | instskip(NEXT) | instid1(SALU_CYCLE_1)
	s_and_b32 s2, vcc_lo, s2
	s_and_saveexec_b32 s3, s2
	s_delay_alu instid0(SALU_CYCLE_1)
	s_xor_b32 s2, exec_lo, s3
; %bb.171:
	v_cmp_ne_u32_e32 vcc_lo, 0, v193
	v_cndmask_b32_e32 v193, 9, v193, vcc_lo
; %bb.172:
	s_and_not1_saveexec_b32 s3, s2
	s_cbranch_execz .LBB88_178
; %bb.173:
	v_cmp_gt_f64_e32 vcc_lo, 0, v[180:181]
	v_cmp_gt_f64_e64 s2, 0, v[182:183]
	v_xor_b32_e32 v189, 0x80000000, v181
	v_xor_b32_e32 v197, 0x80000000, v183
	s_delay_alu instid0(VALU_DEP_2) | instskip(NEXT) | instid1(VALU_DEP_2)
	v_cndmask_b32_e32 v198, v181, v189, vcc_lo
	v_cndmask_b32_e64 v200, v183, v197, s2
	v_cndmask_b32_e32 v197, v180, v180, vcc_lo
	v_cndmask_b32_e64 v199, v182, v182, s2
	s_mov_b32 s2, exec_lo
	s_delay_alu instid0(VALU_DEP_1)
	v_cmpx_ngt_f64_e32 v[197:198], v[199:200]
	s_xor_b32 s2, exec_lo, s2
	s_cbranch_execz .LBB88_175
; %bb.174:
	v_div_scale_f64 v[197:198], null, v[182:183], v[182:183], v[180:181]
	v_div_scale_f64 v[203:204], vcc_lo, v[180:181], v[182:183], v[180:181]
	s_delay_alu instid0(VALU_DEP_2) | instskip(SKIP_2) | instid1(VALU_DEP_1)
	v_rcp_f64_e32 v[199:200], v[197:198]
	s_waitcnt_depctr 0xfff
	v_fma_f64 v[201:202], -v[197:198], v[199:200], 1.0
	v_fma_f64 v[199:200], v[199:200], v[201:202], v[199:200]
	s_delay_alu instid0(VALU_DEP_1) | instskip(NEXT) | instid1(VALU_DEP_1)
	v_fma_f64 v[201:202], -v[197:198], v[199:200], 1.0
	v_fma_f64 v[199:200], v[199:200], v[201:202], v[199:200]
	s_delay_alu instid0(VALU_DEP_1) | instskip(NEXT) | instid1(VALU_DEP_1)
	v_mul_f64 v[201:202], v[203:204], v[199:200]
	v_fma_f64 v[197:198], -v[197:198], v[201:202], v[203:204]
	s_delay_alu instid0(VALU_DEP_1) | instskip(NEXT) | instid1(VALU_DEP_1)
	v_div_fmas_f64 v[197:198], v[197:198], v[199:200], v[201:202]
	v_div_fixup_f64 v[197:198], v[197:198], v[182:183], v[180:181]
	s_delay_alu instid0(VALU_DEP_1) | instskip(NEXT) | instid1(VALU_DEP_1)
	v_fma_f64 v[180:181], v[180:181], v[197:198], v[182:183]
	v_div_scale_f64 v[182:183], null, v[180:181], v[180:181], 1.0
	s_delay_alu instid0(VALU_DEP_1) | instskip(SKIP_2) | instid1(VALU_DEP_1)
	v_rcp_f64_e32 v[199:200], v[182:183]
	s_waitcnt_depctr 0xfff
	v_fma_f64 v[201:202], -v[182:183], v[199:200], 1.0
	v_fma_f64 v[199:200], v[199:200], v[201:202], v[199:200]
	s_delay_alu instid0(VALU_DEP_1) | instskip(NEXT) | instid1(VALU_DEP_1)
	v_fma_f64 v[201:202], -v[182:183], v[199:200], 1.0
	v_fma_f64 v[199:200], v[199:200], v[201:202], v[199:200]
	v_div_scale_f64 v[201:202], vcc_lo, 1.0, v[180:181], 1.0
	s_delay_alu instid0(VALU_DEP_1) | instskip(NEXT) | instid1(VALU_DEP_1)
	v_mul_f64 v[203:204], v[201:202], v[199:200]
	v_fma_f64 v[182:183], -v[182:183], v[203:204], v[201:202]
	s_delay_alu instid0(VALU_DEP_1) | instskip(NEXT) | instid1(VALU_DEP_1)
	v_div_fmas_f64 v[182:183], v[182:183], v[199:200], v[203:204]
	v_div_fixup_f64 v[182:183], v[182:183], v[180:181], 1.0
	s_delay_alu instid0(VALU_DEP_1)
	v_mul_f64 v[180:181], v[197:198], v[182:183]
	v_xor_b32_e32 v183, 0x80000000, v183
.LBB88_175:
	s_and_not1_saveexec_b32 s2, s2
	s_cbranch_execz .LBB88_177
; %bb.176:
	s_delay_alu instid0(VALU_DEP_1) | instskip(SKIP_1) | instid1(VALU_DEP_2)
	v_div_scale_f64 v[197:198], null, v[180:181], v[180:181], v[182:183]
	v_div_scale_f64 v[203:204], vcc_lo, v[182:183], v[180:181], v[182:183]
	v_rcp_f64_e32 v[199:200], v[197:198]
	s_waitcnt_depctr 0xfff
	v_fma_f64 v[201:202], -v[197:198], v[199:200], 1.0
	s_delay_alu instid0(VALU_DEP_1) | instskip(NEXT) | instid1(VALU_DEP_1)
	v_fma_f64 v[199:200], v[199:200], v[201:202], v[199:200]
	v_fma_f64 v[201:202], -v[197:198], v[199:200], 1.0
	s_delay_alu instid0(VALU_DEP_1) | instskip(NEXT) | instid1(VALU_DEP_1)
	v_fma_f64 v[199:200], v[199:200], v[201:202], v[199:200]
	v_mul_f64 v[201:202], v[203:204], v[199:200]
	s_delay_alu instid0(VALU_DEP_1) | instskip(NEXT) | instid1(VALU_DEP_1)
	v_fma_f64 v[197:198], -v[197:198], v[201:202], v[203:204]
	v_div_fmas_f64 v[197:198], v[197:198], v[199:200], v[201:202]
	s_delay_alu instid0(VALU_DEP_1) | instskip(NEXT) | instid1(VALU_DEP_1)
	v_div_fixup_f64 v[197:198], v[197:198], v[180:181], v[182:183]
	v_fma_f64 v[180:181], v[182:183], v[197:198], v[180:181]
	s_delay_alu instid0(VALU_DEP_1) | instskip(NEXT) | instid1(VALU_DEP_1)
	v_div_scale_f64 v[182:183], null, v[180:181], v[180:181], 1.0
	v_rcp_f64_e32 v[199:200], v[182:183]
	s_waitcnt_depctr 0xfff
	v_fma_f64 v[201:202], -v[182:183], v[199:200], 1.0
	s_delay_alu instid0(VALU_DEP_1) | instskip(NEXT) | instid1(VALU_DEP_1)
	v_fma_f64 v[199:200], v[199:200], v[201:202], v[199:200]
	v_fma_f64 v[201:202], -v[182:183], v[199:200], 1.0
	s_delay_alu instid0(VALU_DEP_1) | instskip(SKIP_1) | instid1(VALU_DEP_1)
	v_fma_f64 v[199:200], v[199:200], v[201:202], v[199:200]
	v_div_scale_f64 v[201:202], vcc_lo, 1.0, v[180:181], 1.0
	v_mul_f64 v[203:204], v[201:202], v[199:200]
	s_delay_alu instid0(VALU_DEP_1) | instskip(NEXT) | instid1(VALU_DEP_1)
	v_fma_f64 v[182:183], -v[182:183], v[203:204], v[201:202]
	v_div_fmas_f64 v[182:183], v[182:183], v[199:200], v[203:204]
	s_delay_alu instid0(VALU_DEP_1) | instskip(NEXT) | instid1(VALU_DEP_1)
	v_div_fixup_f64 v[180:181], v[182:183], v[180:181], 1.0
	v_mul_f64 v[182:183], v[197:198], -v[180:181]
.LBB88_177:
	s_or_b32 exec_lo, exec_lo, s2
.LBB88_178:
	s_delay_alu instid0(SALU_CYCLE_1) | instskip(NEXT) | instid1(SALU_CYCLE_1)
	s_or_b32 exec_lo, exec_lo, s3
	s_mov_b32 s2, exec_lo
	v_cmpx_ne_u32_e64 v196, v188
	s_xor_b32 s2, exec_lo, s2
	s_cbranch_execz .LBB88_184
; %bb.179:
	s_mov_b32 s3, exec_lo
	v_cmpx_eq_u32_e32 8, v196
	s_cbranch_execz .LBB88_183
; %bb.180:
	v_cmp_ne_u32_e32 vcc_lo, 8, v188
	s_xor_b32 s6, s4, -1
	s_delay_alu instid0(SALU_CYCLE_1) | instskip(NEXT) | instid1(SALU_CYCLE_1)
	s_and_b32 s7, s6, vcc_lo
	s_and_saveexec_b32 s6, s7
	s_cbranch_execz .LBB88_182
; %bb.181:
	v_ashrrev_i32_e32 v189, 31, v188
	s_delay_alu instid0(VALU_DEP_1) | instskip(NEXT) | instid1(VALU_DEP_1)
	v_lshlrev_b64 v[196:197], 2, v[188:189]
	v_add_co_u32 v196, vcc_lo, v186, v196
	s_delay_alu instid0(VALU_DEP_2)
	v_add_co_ci_u32_e32 v197, vcc_lo, v187, v197, vcc_lo
	s_clause 0x1
	flat_load_b32 v189, v[196:197]
	flat_load_b32 v194, v[186:187] offset:32
	s_waitcnt vmcnt(1) lgkmcnt(1)
	flat_store_b32 v[186:187], v189 offset:32
	s_waitcnt vmcnt(0) lgkmcnt(1)
	flat_store_b32 v[196:197], v194
.LBB88_182:
	s_or_b32 exec_lo, exec_lo, s6
	v_mov_b32_e32 v196, v188
	v_mov_b32_e32 v194, v188
.LBB88_183:
	s_or_b32 exec_lo, exec_lo, s3
.LBB88_184:
	s_and_not1_saveexec_b32 s2, s2
	s_cbranch_execz .LBB88_186
; %bb.185:
	v_mov_b32_e32 v196, 8
	ds_store_2addr_b64 v190, v[140:141], v[142:143] offset0:18 offset1:19
	ds_store_2addr_b64 v190, v[136:137], v[138:139] offset0:20 offset1:21
	;; [unrolled: 1-line block ×36, first 2 shown]
.LBB88_186:
	s_or_b32 exec_lo, exec_lo, s2
	s_delay_alu instid0(SALU_CYCLE_1)
	s_mov_b32 s2, exec_lo
	s_waitcnt lgkmcnt(0)
	s_waitcnt_vscnt null, 0x0
	s_barrier
	buffer_gl0_inv
	v_cmpx_lt_i32_e32 8, v196
	s_cbranch_execz .LBB88_188
; %bb.187:
	v_mul_f64 v[188:189], v[182:183], v[146:147]
	v_mul_f64 v[146:147], v[180:181], v[146:147]
	s_delay_alu instid0(VALU_DEP_2) | instskip(NEXT) | instid1(VALU_DEP_2)
	v_fma_f64 v[188:189], v[180:181], v[144:145], -v[188:189]
	v_fma_f64 v[146:147], v[182:183], v[144:145], v[146:147]
	ds_load_2addr_b64 v[180:183], v190 offset0:18 offset1:19
	s_waitcnt lgkmcnt(0)
	v_mul_f64 v[144:145], v[182:183], v[146:147]
	s_delay_alu instid0(VALU_DEP_1) | instskip(SKIP_1) | instid1(VALU_DEP_2)
	v_fma_f64 v[144:145], v[180:181], v[188:189], -v[144:145]
	v_mul_f64 v[180:181], v[180:181], v[146:147]
	v_add_f64 v[140:141], v[140:141], -v[144:145]
	s_delay_alu instid0(VALU_DEP_2) | instskip(NEXT) | instid1(VALU_DEP_1)
	v_fma_f64 v[180:181], v[182:183], v[188:189], v[180:181]
	v_add_f64 v[142:143], v[142:143], -v[180:181]
	ds_load_2addr_b64 v[180:183], v190 offset0:20 offset1:21
	s_waitcnt lgkmcnt(0)
	v_mul_f64 v[144:145], v[182:183], v[146:147]
	s_delay_alu instid0(VALU_DEP_1) | instskip(SKIP_1) | instid1(VALU_DEP_2)
	v_fma_f64 v[144:145], v[180:181], v[188:189], -v[144:145]
	v_mul_f64 v[180:181], v[180:181], v[146:147]
	v_add_f64 v[136:137], v[136:137], -v[144:145]
	s_delay_alu instid0(VALU_DEP_2) | instskip(NEXT) | instid1(VALU_DEP_1)
	v_fma_f64 v[180:181], v[182:183], v[188:189], v[180:181]
	v_add_f64 v[138:139], v[138:139], -v[180:181]
	;; [unrolled: 10-line block ×35, first 2 shown]
	ds_load_2addr_b64 v[180:183], v190 offset0:88 offset1:89
	s_waitcnt lgkmcnt(0)
	v_mul_f64 v[144:145], v[182:183], v[146:147]
	s_delay_alu instid0(VALU_DEP_1) | instskip(SKIP_1) | instid1(VALU_DEP_2)
	v_fma_f64 v[144:145], v[180:181], v[188:189], -v[144:145]
	v_mul_f64 v[180:181], v[180:181], v[146:147]
	v_add_f64 v[0:1], v[0:1], -v[144:145]
	s_delay_alu instid0(VALU_DEP_2) | instskip(SKIP_1) | instid1(VALU_DEP_2)
	v_fma_f64 v[180:181], v[182:183], v[188:189], v[180:181]
	v_dual_mov_b32 v144, v188 :: v_dual_mov_b32 v145, v189
	v_add_f64 v[2:3], v[2:3], -v[180:181]
.LBB88_188:
	s_or_b32 exec_lo, exec_lo, s2
	v_lshl_add_u32 v180, v196, 4, v190
	s_barrier
	buffer_gl0_inv
	v_mov_b32_e32 v188, 9
	ds_store_2addr_b64 v180, v[140:141], v[142:143] offset1:1
	s_waitcnt lgkmcnt(0)
	s_barrier
	buffer_gl0_inv
	ds_load_2addr_b64 v[180:183], v190 offset0:18 offset1:19
	s_cmp_lt_i32 s5, 11
	s_cbranch_scc1 .LBB88_191
; %bb.189:
	v_add3_u32 v189, v195, 0, 0xa0
	v_mov_b32_e32 v188, 9
	s_mov_b32 s6, 10
	s_set_inst_prefetch_distance 0x1
	.p2align	6
.LBB88_190:                             ; =>This Inner Loop Header: Depth=1
	ds_load_2addr_b64 v[197:200], v189 offset1:1
	s_waitcnt lgkmcnt(1)
	v_cmp_gt_f64_e32 vcc_lo, 0, v[180:181]
	v_xor_b32_e32 v201, 0x80000000, v181
	v_cmp_gt_f64_e64 s2, 0, v[182:183]
	v_xor_b32_e32 v203, 0x80000000, v183
	v_add_nc_u32_e32 v189, 16, v189
	s_waitcnt lgkmcnt(0)
	v_cmp_gt_f64_e64 s3, 0, v[197:198]
	v_mov_b32_e32 v205, v197
	v_dual_mov_b32 v207, v199 :: v_dual_cndmask_b32 v202, v181, v201
	v_xor_b32_e32 v201, 0x80000000, v198
	v_cndmask_b32_e64 v204, v183, v203, s2
	v_xor_b32_e32 v203, 0x80000000, v200
	s_delay_alu instid0(VALU_DEP_3) | instskip(SKIP_2) | instid1(VALU_DEP_2)
	v_cndmask_b32_e64 v206, v198, v201, s3
	v_cmp_gt_f64_e64 s3, 0, v[199:200]
	v_cndmask_b32_e32 v201, v180, v180, vcc_lo
	v_cndmask_b32_e64 v208, v200, v203, s3
	v_cndmask_b32_e64 v203, v182, v182, s2
	s_delay_alu instid0(VALU_DEP_2) | instskip(NEXT) | instid1(VALU_DEP_2)
	v_add_f64 v[205:206], v[205:206], v[207:208]
	v_add_f64 v[201:202], v[201:202], v[203:204]
	s_delay_alu instid0(VALU_DEP_1) | instskip(SKIP_4) | instid1(SALU_CYCLE_1)
	v_cmp_lt_f64_e32 vcc_lo, v[201:202], v[205:206]
	v_dual_cndmask_b32 v182, v182, v199 :: v_dual_cndmask_b32 v181, v181, v198
	v_dual_cndmask_b32 v180, v180, v197 :: v_dual_cndmask_b32 v183, v183, v200
	v_cndmask_b32_e64 v188, v188, s6, vcc_lo
	s_add_i32 s6, s6, 1
	s_cmp_lg_u32 s5, s6
	s_cbranch_scc1 .LBB88_190
.LBB88_191:
	s_set_inst_prefetch_distance 0x2
	s_waitcnt lgkmcnt(0)
	v_cmp_eq_f64_e32 vcc_lo, 0, v[180:181]
	v_cmp_eq_f64_e64 s2, 0, v[182:183]
	s_delay_alu instid0(VALU_DEP_1) | instskip(NEXT) | instid1(SALU_CYCLE_1)
	s_and_b32 s2, vcc_lo, s2
	s_and_saveexec_b32 s3, s2
	s_delay_alu instid0(SALU_CYCLE_1)
	s_xor_b32 s2, exec_lo, s3
; %bb.192:
	v_cmp_ne_u32_e32 vcc_lo, 0, v193
	v_cndmask_b32_e32 v193, 10, v193, vcc_lo
; %bb.193:
	s_and_not1_saveexec_b32 s3, s2
	s_cbranch_execz .LBB88_199
; %bb.194:
	v_cmp_gt_f64_e32 vcc_lo, 0, v[180:181]
	v_cmp_gt_f64_e64 s2, 0, v[182:183]
	v_xor_b32_e32 v189, 0x80000000, v181
	v_xor_b32_e32 v197, 0x80000000, v183
	s_delay_alu instid0(VALU_DEP_2) | instskip(NEXT) | instid1(VALU_DEP_2)
	v_cndmask_b32_e32 v198, v181, v189, vcc_lo
	v_cndmask_b32_e64 v200, v183, v197, s2
	v_cndmask_b32_e32 v197, v180, v180, vcc_lo
	v_cndmask_b32_e64 v199, v182, v182, s2
	s_mov_b32 s2, exec_lo
	s_delay_alu instid0(VALU_DEP_1)
	v_cmpx_ngt_f64_e32 v[197:198], v[199:200]
	s_xor_b32 s2, exec_lo, s2
	s_cbranch_execz .LBB88_196
; %bb.195:
	v_div_scale_f64 v[197:198], null, v[182:183], v[182:183], v[180:181]
	v_div_scale_f64 v[203:204], vcc_lo, v[180:181], v[182:183], v[180:181]
	s_delay_alu instid0(VALU_DEP_2) | instskip(SKIP_2) | instid1(VALU_DEP_1)
	v_rcp_f64_e32 v[199:200], v[197:198]
	s_waitcnt_depctr 0xfff
	v_fma_f64 v[201:202], -v[197:198], v[199:200], 1.0
	v_fma_f64 v[199:200], v[199:200], v[201:202], v[199:200]
	s_delay_alu instid0(VALU_DEP_1) | instskip(NEXT) | instid1(VALU_DEP_1)
	v_fma_f64 v[201:202], -v[197:198], v[199:200], 1.0
	v_fma_f64 v[199:200], v[199:200], v[201:202], v[199:200]
	s_delay_alu instid0(VALU_DEP_1) | instskip(NEXT) | instid1(VALU_DEP_1)
	v_mul_f64 v[201:202], v[203:204], v[199:200]
	v_fma_f64 v[197:198], -v[197:198], v[201:202], v[203:204]
	s_delay_alu instid0(VALU_DEP_1) | instskip(NEXT) | instid1(VALU_DEP_1)
	v_div_fmas_f64 v[197:198], v[197:198], v[199:200], v[201:202]
	v_div_fixup_f64 v[197:198], v[197:198], v[182:183], v[180:181]
	s_delay_alu instid0(VALU_DEP_1) | instskip(NEXT) | instid1(VALU_DEP_1)
	v_fma_f64 v[180:181], v[180:181], v[197:198], v[182:183]
	v_div_scale_f64 v[182:183], null, v[180:181], v[180:181], 1.0
	s_delay_alu instid0(VALU_DEP_1) | instskip(SKIP_2) | instid1(VALU_DEP_1)
	v_rcp_f64_e32 v[199:200], v[182:183]
	s_waitcnt_depctr 0xfff
	v_fma_f64 v[201:202], -v[182:183], v[199:200], 1.0
	v_fma_f64 v[199:200], v[199:200], v[201:202], v[199:200]
	s_delay_alu instid0(VALU_DEP_1) | instskip(NEXT) | instid1(VALU_DEP_1)
	v_fma_f64 v[201:202], -v[182:183], v[199:200], 1.0
	v_fma_f64 v[199:200], v[199:200], v[201:202], v[199:200]
	v_div_scale_f64 v[201:202], vcc_lo, 1.0, v[180:181], 1.0
	s_delay_alu instid0(VALU_DEP_1) | instskip(NEXT) | instid1(VALU_DEP_1)
	v_mul_f64 v[203:204], v[201:202], v[199:200]
	v_fma_f64 v[182:183], -v[182:183], v[203:204], v[201:202]
	s_delay_alu instid0(VALU_DEP_1) | instskip(NEXT) | instid1(VALU_DEP_1)
	v_div_fmas_f64 v[182:183], v[182:183], v[199:200], v[203:204]
	v_div_fixup_f64 v[182:183], v[182:183], v[180:181], 1.0
	s_delay_alu instid0(VALU_DEP_1)
	v_mul_f64 v[180:181], v[197:198], v[182:183]
	v_xor_b32_e32 v183, 0x80000000, v183
.LBB88_196:
	s_and_not1_saveexec_b32 s2, s2
	s_cbranch_execz .LBB88_198
; %bb.197:
	s_delay_alu instid0(VALU_DEP_1) | instskip(SKIP_1) | instid1(VALU_DEP_2)
	v_div_scale_f64 v[197:198], null, v[180:181], v[180:181], v[182:183]
	v_div_scale_f64 v[203:204], vcc_lo, v[182:183], v[180:181], v[182:183]
	v_rcp_f64_e32 v[199:200], v[197:198]
	s_waitcnt_depctr 0xfff
	v_fma_f64 v[201:202], -v[197:198], v[199:200], 1.0
	s_delay_alu instid0(VALU_DEP_1) | instskip(NEXT) | instid1(VALU_DEP_1)
	v_fma_f64 v[199:200], v[199:200], v[201:202], v[199:200]
	v_fma_f64 v[201:202], -v[197:198], v[199:200], 1.0
	s_delay_alu instid0(VALU_DEP_1) | instskip(NEXT) | instid1(VALU_DEP_1)
	v_fma_f64 v[199:200], v[199:200], v[201:202], v[199:200]
	v_mul_f64 v[201:202], v[203:204], v[199:200]
	s_delay_alu instid0(VALU_DEP_1) | instskip(NEXT) | instid1(VALU_DEP_1)
	v_fma_f64 v[197:198], -v[197:198], v[201:202], v[203:204]
	v_div_fmas_f64 v[197:198], v[197:198], v[199:200], v[201:202]
	s_delay_alu instid0(VALU_DEP_1) | instskip(NEXT) | instid1(VALU_DEP_1)
	v_div_fixup_f64 v[197:198], v[197:198], v[180:181], v[182:183]
	v_fma_f64 v[180:181], v[182:183], v[197:198], v[180:181]
	s_delay_alu instid0(VALU_DEP_1) | instskip(NEXT) | instid1(VALU_DEP_1)
	v_div_scale_f64 v[182:183], null, v[180:181], v[180:181], 1.0
	v_rcp_f64_e32 v[199:200], v[182:183]
	s_waitcnt_depctr 0xfff
	v_fma_f64 v[201:202], -v[182:183], v[199:200], 1.0
	s_delay_alu instid0(VALU_DEP_1) | instskip(NEXT) | instid1(VALU_DEP_1)
	v_fma_f64 v[199:200], v[199:200], v[201:202], v[199:200]
	v_fma_f64 v[201:202], -v[182:183], v[199:200], 1.0
	s_delay_alu instid0(VALU_DEP_1) | instskip(SKIP_1) | instid1(VALU_DEP_1)
	v_fma_f64 v[199:200], v[199:200], v[201:202], v[199:200]
	v_div_scale_f64 v[201:202], vcc_lo, 1.0, v[180:181], 1.0
	v_mul_f64 v[203:204], v[201:202], v[199:200]
	s_delay_alu instid0(VALU_DEP_1) | instskip(NEXT) | instid1(VALU_DEP_1)
	v_fma_f64 v[182:183], -v[182:183], v[203:204], v[201:202]
	v_div_fmas_f64 v[182:183], v[182:183], v[199:200], v[203:204]
	s_delay_alu instid0(VALU_DEP_1) | instskip(NEXT) | instid1(VALU_DEP_1)
	v_div_fixup_f64 v[180:181], v[182:183], v[180:181], 1.0
	v_mul_f64 v[182:183], v[197:198], -v[180:181]
.LBB88_198:
	s_or_b32 exec_lo, exec_lo, s2
.LBB88_199:
	s_delay_alu instid0(SALU_CYCLE_1) | instskip(NEXT) | instid1(SALU_CYCLE_1)
	s_or_b32 exec_lo, exec_lo, s3
	s_mov_b32 s2, exec_lo
	v_cmpx_ne_u32_e64 v196, v188
	s_xor_b32 s2, exec_lo, s2
	s_cbranch_execz .LBB88_205
; %bb.200:
	s_mov_b32 s3, exec_lo
	v_cmpx_eq_u32_e32 9, v196
	s_cbranch_execz .LBB88_204
; %bb.201:
	v_cmp_ne_u32_e32 vcc_lo, 9, v188
	s_xor_b32 s6, s4, -1
	s_delay_alu instid0(SALU_CYCLE_1) | instskip(NEXT) | instid1(SALU_CYCLE_1)
	s_and_b32 s7, s6, vcc_lo
	s_and_saveexec_b32 s6, s7
	s_cbranch_execz .LBB88_203
; %bb.202:
	v_ashrrev_i32_e32 v189, 31, v188
	s_delay_alu instid0(VALU_DEP_1) | instskip(NEXT) | instid1(VALU_DEP_1)
	v_lshlrev_b64 v[196:197], 2, v[188:189]
	v_add_co_u32 v196, vcc_lo, v186, v196
	s_delay_alu instid0(VALU_DEP_2)
	v_add_co_ci_u32_e32 v197, vcc_lo, v187, v197, vcc_lo
	s_clause 0x1
	flat_load_b32 v189, v[196:197]
	flat_load_b32 v194, v[186:187] offset:36
	s_waitcnt vmcnt(1) lgkmcnt(1)
	flat_store_b32 v[186:187], v189 offset:36
	s_waitcnt vmcnt(0) lgkmcnt(1)
	flat_store_b32 v[196:197], v194
.LBB88_203:
	s_or_b32 exec_lo, exec_lo, s6
	v_mov_b32_e32 v196, v188
	v_mov_b32_e32 v194, v188
.LBB88_204:
	s_or_b32 exec_lo, exec_lo, s3
.LBB88_205:
	s_and_not1_saveexec_b32 s2, s2
	s_cbranch_execz .LBB88_207
; %bb.206:
	v_mov_b32_e32 v196, 9
	ds_store_2addr_b64 v190, v[136:137], v[138:139] offset0:20 offset1:21
	ds_store_2addr_b64 v190, v[132:133], v[134:135] offset0:22 offset1:23
	;; [unrolled: 1-line block ×35, first 2 shown]
.LBB88_207:
	s_or_b32 exec_lo, exec_lo, s2
	s_delay_alu instid0(SALU_CYCLE_1)
	s_mov_b32 s2, exec_lo
	s_waitcnt lgkmcnt(0)
	s_waitcnt_vscnt null, 0x0
	s_barrier
	buffer_gl0_inv
	v_cmpx_lt_i32_e32 9, v196
	s_cbranch_execz .LBB88_209
; %bb.208:
	v_mul_f64 v[188:189], v[182:183], v[142:143]
	v_mul_f64 v[142:143], v[180:181], v[142:143]
	s_delay_alu instid0(VALU_DEP_2) | instskip(NEXT) | instid1(VALU_DEP_2)
	v_fma_f64 v[188:189], v[180:181], v[140:141], -v[188:189]
	v_fma_f64 v[142:143], v[182:183], v[140:141], v[142:143]
	ds_load_2addr_b64 v[180:183], v190 offset0:20 offset1:21
	s_waitcnt lgkmcnt(0)
	v_mul_f64 v[140:141], v[182:183], v[142:143]
	s_delay_alu instid0(VALU_DEP_1) | instskip(SKIP_1) | instid1(VALU_DEP_2)
	v_fma_f64 v[140:141], v[180:181], v[188:189], -v[140:141]
	v_mul_f64 v[180:181], v[180:181], v[142:143]
	v_add_f64 v[136:137], v[136:137], -v[140:141]
	s_delay_alu instid0(VALU_DEP_2) | instskip(NEXT) | instid1(VALU_DEP_1)
	v_fma_f64 v[180:181], v[182:183], v[188:189], v[180:181]
	v_add_f64 v[138:139], v[138:139], -v[180:181]
	ds_load_2addr_b64 v[180:183], v190 offset0:22 offset1:23
	s_waitcnt lgkmcnt(0)
	v_mul_f64 v[140:141], v[182:183], v[142:143]
	s_delay_alu instid0(VALU_DEP_1) | instskip(SKIP_1) | instid1(VALU_DEP_2)
	v_fma_f64 v[140:141], v[180:181], v[188:189], -v[140:141]
	v_mul_f64 v[180:181], v[180:181], v[142:143]
	v_add_f64 v[132:133], v[132:133], -v[140:141]
	s_delay_alu instid0(VALU_DEP_2) | instskip(NEXT) | instid1(VALU_DEP_1)
	v_fma_f64 v[180:181], v[182:183], v[188:189], v[180:181]
	v_add_f64 v[134:135], v[134:135], -v[180:181]
	ds_load_2addr_b64 v[180:183], v190 offset0:24 offset1:25
	s_waitcnt lgkmcnt(0)
	v_mul_f64 v[140:141], v[182:183], v[142:143]
	s_delay_alu instid0(VALU_DEP_1) | instskip(SKIP_1) | instid1(VALU_DEP_2)
	v_fma_f64 v[140:141], v[180:181], v[188:189], -v[140:141]
	v_mul_f64 v[180:181], v[180:181], v[142:143]
	v_add_f64 v[128:129], v[128:129], -v[140:141]
	s_delay_alu instid0(VALU_DEP_2) | instskip(NEXT) | instid1(VALU_DEP_1)
	v_fma_f64 v[180:181], v[182:183], v[188:189], v[180:181]
	v_add_f64 v[130:131], v[130:131], -v[180:181]
	ds_load_2addr_b64 v[180:183], v190 offset0:26 offset1:27
	s_waitcnt lgkmcnt(0)
	v_mul_f64 v[140:141], v[182:183], v[142:143]
	s_delay_alu instid0(VALU_DEP_1) | instskip(SKIP_1) | instid1(VALU_DEP_2)
	v_fma_f64 v[140:141], v[180:181], v[188:189], -v[140:141]
	v_mul_f64 v[180:181], v[180:181], v[142:143]
	v_add_f64 v[124:125], v[124:125], -v[140:141]
	s_delay_alu instid0(VALU_DEP_2) | instskip(NEXT) | instid1(VALU_DEP_1)
	v_fma_f64 v[180:181], v[182:183], v[188:189], v[180:181]
	v_add_f64 v[126:127], v[126:127], -v[180:181]
	ds_load_2addr_b64 v[180:183], v190 offset0:28 offset1:29
	s_waitcnt lgkmcnt(0)
	v_mul_f64 v[140:141], v[182:183], v[142:143]
	s_delay_alu instid0(VALU_DEP_1) | instskip(SKIP_1) | instid1(VALU_DEP_2)
	v_fma_f64 v[140:141], v[180:181], v[188:189], -v[140:141]
	v_mul_f64 v[180:181], v[180:181], v[142:143]
	v_add_f64 v[120:121], v[120:121], -v[140:141]
	s_delay_alu instid0(VALU_DEP_2) | instskip(NEXT) | instid1(VALU_DEP_1)
	v_fma_f64 v[180:181], v[182:183], v[188:189], v[180:181]
	v_add_f64 v[122:123], v[122:123], -v[180:181]
	ds_load_2addr_b64 v[180:183], v190 offset0:30 offset1:31
	s_waitcnt lgkmcnt(0)
	v_mul_f64 v[140:141], v[182:183], v[142:143]
	s_delay_alu instid0(VALU_DEP_1) | instskip(SKIP_1) | instid1(VALU_DEP_2)
	v_fma_f64 v[140:141], v[180:181], v[188:189], -v[140:141]
	v_mul_f64 v[180:181], v[180:181], v[142:143]
	v_add_f64 v[116:117], v[116:117], -v[140:141]
	s_delay_alu instid0(VALU_DEP_2) | instskip(NEXT) | instid1(VALU_DEP_1)
	v_fma_f64 v[180:181], v[182:183], v[188:189], v[180:181]
	v_add_f64 v[118:119], v[118:119], -v[180:181]
	ds_load_2addr_b64 v[180:183], v190 offset0:32 offset1:33
	s_waitcnt lgkmcnt(0)
	v_mul_f64 v[140:141], v[182:183], v[142:143]
	s_delay_alu instid0(VALU_DEP_1) | instskip(SKIP_1) | instid1(VALU_DEP_2)
	v_fma_f64 v[140:141], v[180:181], v[188:189], -v[140:141]
	v_mul_f64 v[180:181], v[180:181], v[142:143]
	v_add_f64 v[112:113], v[112:113], -v[140:141]
	s_delay_alu instid0(VALU_DEP_2) | instskip(NEXT) | instid1(VALU_DEP_1)
	v_fma_f64 v[180:181], v[182:183], v[188:189], v[180:181]
	v_add_f64 v[114:115], v[114:115], -v[180:181]
	ds_load_2addr_b64 v[180:183], v190 offset0:34 offset1:35
	s_waitcnt lgkmcnt(0)
	v_mul_f64 v[140:141], v[182:183], v[142:143]
	s_delay_alu instid0(VALU_DEP_1) | instskip(SKIP_1) | instid1(VALU_DEP_2)
	v_fma_f64 v[140:141], v[180:181], v[188:189], -v[140:141]
	v_mul_f64 v[180:181], v[180:181], v[142:143]
	v_add_f64 v[108:109], v[108:109], -v[140:141]
	s_delay_alu instid0(VALU_DEP_2) | instskip(NEXT) | instid1(VALU_DEP_1)
	v_fma_f64 v[180:181], v[182:183], v[188:189], v[180:181]
	v_add_f64 v[110:111], v[110:111], -v[180:181]
	ds_load_2addr_b64 v[180:183], v190 offset0:36 offset1:37
	s_waitcnt lgkmcnt(0)
	v_mul_f64 v[140:141], v[182:183], v[142:143]
	s_delay_alu instid0(VALU_DEP_1) | instskip(SKIP_1) | instid1(VALU_DEP_2)
	v_fma_f64 v[140:141], v[180:181], v[188:189], -v[140:141]
	v_mul_f64 v[180:181], v[180:181], v[142:143]
	v_add_f64 v[104:105], v[104:105], -v[140:141]
	s_delay_alu instid0(VALU_DEP_2) | instskip(NEXT) | instid1(VALU_DEP_1)
	v_fma_f64 v[180:181], v[182:183], v[188:189], v[180:181]
	v_add_f64 v[106:107], v[106:107], -v[180:181]
	ds_load_2addr_b64 v[180:183], v190 offset0:38 offset1:39
	s_waitcnt lgkmcnt(0)
	v_mul_f64 v[140:141], v[182:183], v[142:143]
	s_delay_alu instid0(VALU_DEP_1) | instskip(SKIP_1) | instid1(VALU_DEP_2)
	v_fma_f64 v[140:141], v[180:181], v[188:189], -v[140:141]
	v_mul_f64 v[180:181], v[180:181], v[142:143]
	v_add_f64 v[100:101], v[100:101], -v[140:141]
	s_delay_alu instid0(VALU_DEP_2) | instskip(NEXT) | instid1(VALU_DEP_1)
	v_fma_f64 v[180:181], v[182:183], v[188:189], v[180:181]
	v_add_f64 v[102:103], v[102:103], -v[180:181]
	ds_load_2addr_b64 v[180:183], v190 offset0:40 offset1:41
	s_waitcnt lgkmcnt(0)
	v_mul_f64 v[140:141], v[182:183], v[142:143]
	s_delay_alu instid0(VALU_DEP_1) | instskip(SKIP_1) | instid1(VALU_DEP_2)
	v_fma_f64 v[140:141], v[180:181], v[188:189], -v[140:141]
	v_mul_f64 v[180:181], v[180:181], v[142:143]
	v_add_f64 v[96:97], v[96:97], -v[140:141]
	s_delay_alu instid0(VALU_DEP_2) | instskip(NEXT) | instid1(VALU_DEP_1)
	v_fma_f64 v[180:181], v[182:183], v[188:189], v[180:181]
	v_add_f64 v[98:99], v[98:99], -v[180:181]
	ds_load_2addr_b64 v[180:183], v190 offset0:42 offset1:43
	s_waitcnt lgkmcnt(0)
	v_mul_f64 v[140:141], v[182:183], v[142:143]
	s_delay_alu instid0(VALU_DEP_1) | instskip(SKIP_1) | instid1(VALU_DEP_2)
	v_fma_f64 v[140:141], v[180:181], v[188:189], -v[140:141]
	v_mul_f64 v[180:181], v[180:181], v[142:143]
	v_add_f64 v[92:93], v[92:93], -v[140:141]
	s_delay_alu instid0(VALU_DEP_2) | instskip(NEXT) | instid1(VALU_DEP_1)
	v_fma_f64 v[180:181], v[182:183], v[188:189], v[180:181]
	v_add_f64 v[94:95], v[94:95], -v[180:181]
	ds_load_2addr_b64 v[180:183], v190 offset0:44 offset1:45
	s_waitcnt lgkmcnt(0)
	v_mul_f64 v[140:141], v[182:183], v[142:143]
	s_delay_alu instid0(VALU_DEP_1) | instskip(SKIP_1) | instid1(VALU_DEP_2)
	v_fma_f64 v[140:141], v[180:181], v[188:189], -v[140:141]
	v_mul_f64 v[180:181], v[180:181], v[142:143]
	v_add_f64 v[88:89], v[88:89], -v[140:141]
	s_delay_alu instid0(VALU_DEP_2) | instskip(NEXT) | instid1(VALU_DEP_1)
	v_fma_f64 v[180:181], v[182:183], v[188:189], v[180:181]
	v_add_f64 v[90:91], v[90:91], -v[180:181]
	ds_load_2addr_b64 v[180:183], v190 offset0:46 offset1:47
	s_waitcnt lgkmcnt(0)
	v_mul_f64 v[140:141], v[182:183], v[142:143]
	s_delay_alu instid0(VALU_DEP_1) | instskip(SKIP_1) | instid1(VALU_DEP_2)
	v_fma_f64 v[140:141], v[180:181], v[188:189], -v[140:141]
	v_mul_f64 v[180:181], v[180:181], v[142:143]
	v_add_f64 v[84:85], v[84:85], -v[140:141]
	s_delay_alu instid0(VALU_DEP_2) | instskip(NEXT) | instid1(VALU_DEP_1)
	v_fma_f64 v[180:181], v[182:183], v[188:189], v[180:181]
	v_add_f64 v[86:87], v[86:87], -v[180:181]
	ds_load_2addr_b64 v[180:183], v190 offset0:48 offset1:49
	s_waitcnt lgkmcnt(0)
	v_mul_f64 v[140:141], v[182:183], v[142:143]
	s_delay_alu instid0(VALU_DEP_1) | instskip(SKIP_1) | instid1(VALU_DEP_2)
	v_fma_f64 v[140:141], v[180:181], v[188:189], -v[140:141]
	v_mul_f64 v[180:181], v[180:181], v[142:143]
	v_add_f64 v[80:81], v[80:81], -v[140:141]
	s_delay_alu instid0(VALU_DEP_2) | instskip(NEXT) | instid1(VALU_DEP_1)
	v_fma_f64 v[180:181], v[182:183], v[188:189], v[180:181]
	v_add_f64 v[82:83], v[82:83], -v[180:181]
	ds_load_2addr_b64 v[180:183], v190 offset0:50 offset1:51
	s_waitcnt lgkmcnt(0)
	v_mul_f64 v[140:141], v[182:183], v[142:143]
	s_delay_alu instid0(VALU_DEP_1) | instskip(SKIP_1) | instid1(VALU_DEP_2)
	v_fma_f64 v[140:141], v[180:181], v[188:189], -v[140:141]
	v_mul_f64 v[180:181], v[180:181], v[142:143]
	v_add_f64 v[76:77], v[76:77], -v[140:141]
	s_delay_alu instid0(VALU_DEP_2) | instskip(NEXT) | instid1(VALU_DEP_1)
	v_fma_f64 v[180:181], v[182:183], v[188:189], v[180:181]
	v_add_f64 v[78:79], v[78:79], -v[180:181]
	ds_load_2addr_b64 v[180:183], v190 offset0:52 offset1:53
	s_waitcnt lgkmcnt(0)
	v_mul_f64 v[140:141], v[182:183], v[142:143]
	s_delay_alu instid0(VALU_DEP_1) | instskip(SKIP_1) | instid1(VALU_DEP_2)
	v_fma_f64 v[140:141], v[180:181], v[188:189], -v[140:141]
	v_mul_f64 v[180:181], v[180:181], v[142:143]
	v_add_f64 v[72:73], v[72:73], -v[140:141]
	s_delay_alu instid0(VALU_DEP_2) | instskip(NEXT) | instid1(VALU_DEP_1)
	v_fma_f64 v[180:181], v[182:183], v[188:189], v[180:181]
	v_add_f64 v[74:75], v[74:75], -v[180:181]
	ds_load_2addr_b64 v[180:183], v190 offset0:54 offset1:55
	s_waitcnt lgkmcnt(0)
	v_mul_f64 v[140:141], v[182:183], v[142:143]
	s_delay_alu instid0(VALU_DEP_1) | instskip(SKIP_1) | instid1(VALU_DEP_2)
	v_fma_f64 v[140:141], v[180:181], v[188:189], -v[140:141]
	v_mul_f64 v[180:181], v[180:181], v[142:143]
	v_add_f64 v[68:69], v[68:69], -v[140:141]
	s_delay_alu instid0(VALU_DEP_2) | instskip(NEXT) | instid1(VALU_DEP_1)
	v_fma_f64 v[180:181], v[182:183], v[188:189], v[180:181]
	v_add_f64 v[70:71], v[70:71], -v[180:181]
	ds_load_2addr_b64 v[180:183], v190 offset0:56 offset1:57
	s_waitcnt lgkmcnt(0)
	v_mul_f64 v[140:141], v[182:183], v[142:143]
	s_delay_alu instid0(VALU_DEP_1) | instskip(SKIP_1) | instid1(VALU_DEP_2)
	v_fma_f64 v[140:141], v[180:181], v[188:189], -v[140:141]
	v_mul_f64 v[180:181], v[180:181], v[142:143]
	v_add_f64 v[64:65], v[64:65], -v[140:141]
	s_delay_alu instid0(VALU_DEP_2) | instskip(NEXT) | instid1(VALU_DEP_1)
	v_fma_f64 v[180:181], v[182:183], v[188:189], v[180:181]
	v_add_f64 v[66:67], v[66:67], -v[180:181]
	ds_load_2addr_b64 v[180:183], v190 offset0:58 offset1:59
	s_waitcnt lgkmcnt(0)
	v_mul_f64 v[140:141], v[182:183], v[142:143]
	s_delay_alu instid0(VALU_DEP_1) | instskip(SKIP_1) | instid1(VALU_DEP_2)
	v_fma_f64 v[140:141], v[180:181], v[188:189], -v[140:141]
	v_mul_f64 v[180:181], v[180:181], v[142:143]
	v_add_f64 v[60:61], v[60:61], -v[140:141]
	s_delay_alu instid0(VALU_DEP_2) | instskip(NEXT) | instid1(VALU_DEP_1)
	v_fma_f64 v[180:181], v[182:183], v[188:189], v[180:181]
	v_add_f64 v[62:63], v[62:63], -v[180:181]
	ds_load_2addr_b64 v[180:183], v190 offset0:60 offset1:61
	s_waitcnt lgkmcnt(0)
	v_mul_f64 v[140:141], v[182:183], v[142:143]
	s_delay_alu instid0(VALU_DEP_1) | instskip(SKIP_1) | instid1(VALU_DEP_2)
	v_fma_f64 v[140:141], v[180:181], v[188:189], -v[140:141]
	v_mul_f64 v[180:181], v[180:181], v[142:143]
	v_add_f64 v[56:57], v[56:57], -v[140:141]
	s_delay_alu instid0(VALU_DEP_2) | instskip(NEXT) | instid1(VALU_DEP_1)
	v_fma_f64 v[180:181], v[182:183], v[188:189], v[180:181]
	v_add_f64 v[58:59], v[58:59], -v[180:181]
	ds_load_2addr_b64 v[180:183], v190 offset0:62 offset1:63
	s_waitcnt lgkmcnt(0)
	v_mul_f64 v[140:141], v[182:183], v[142:143]
	s_delay_alu instid0(VALU_DEP_1) | instskip(SKIP_1) | instid1(VALU_DEP_2)
	v_fma_f64 v[140:141], v[180:181], v[188:189], -v[140:141]
	v_mul_f64 v[180:181], v[180:181], v[142:143]
	v_add_f64 v[52:53], v[52:53], -v[140:141]
	s_delay_alu instid0(VALU_DEP_2) | instskip(NEXT) | instid1(VALU_DEP_1)
	v_fma_f64 v[180:181], v[182:183], v[188:189], v[180:181]
	v_add_f64 v[54:55], v[54:55], -v[180:181]
	ds_load_2addr_b64 v[180:183], v190 offset0:64 offset1:65
	s_waitcnt lgkmcnt(0)
	v_mul_f64 v[140:141], v[182:183], v[142:143]
	s_delay_alu instid0(VALU_DEP_1) | instskip(SKIP_1) | instid1(VALU_DEP_2)
	v_fma_f64 v[140:141], v[180:181], v[188:189], -v[140:141]
	v_mul_f64 v[180:181], v[180:181], v[142:143]
	v_add_f64 v[48:49], v[48:49], -v[140:141]
	s_delay_alu instid0(VALU_DEP_2) | instskip(NEXT) | instid1(VALU_DEP_1)
	v_fma_f64 v[180:181], v[182:183], v[188:189], v[180:181]
	v_add_f64 v[50:51], v[50:51], -v[180:181]
	ds_load_2addr_b64 v[180:183], v190 offset0:66 offset1:67
	s_waitcnt lgkmcnt(0)
	v_mul_f64 v[140:141], v[182:183], v[142:143]
	s_delay_alu instid0(VALU_DEP_1) | instskip(SKIP_1) | instid1(VALU_DEP_2)
	v_fma_f64 v[140:141], v[180:181], v[188:189], -v[140:141]
	v_mul_f64 v[180:181], v[180:181], v[142:143]
	v_add_f64 v[44:45], v[44:45], -v[140:141]
	s_delay_alu instid0(VALU_DEP_2) | instskip(NEXT) | instid1(VALU_DEP_1)
	v_fma_f64 v[180:181], v[182:183], v[188:189], v[180:181]
	v_add_f64 v[46:47], v[46:47], -v[180:181]
	ds_load_2addr_b64 v[180:183], v190 offset0:68 offset1:69
	s_waitcnt lgkmcnt(0)
	v_mul_f64 v[140:141], v[182:183], v[142:143]
	s_delay_alu instid0(VALU_DEP_1) | instskip(SKIP_1) | instid1(VALU_DEP_2)
	v_fma_f64 v[140:141], v[180:181], v[188:189], -v[140:141]
	v_mul_f64 v[180:181], v[180:181], v[142:143]
	v_add_f64 v[40:41], v[40:41], -v[140:141]
	s_delay_alu instid0(VALU_DEP_2) | instskip(NEXT) | instid1(VALU_DEP_1)
	v_fma_f64 v[180:181], v[182:183], v[188:189], v[180:181]
	v_add_f64 v[42:43], v[42:43], -v[180:181]
	ds_load_2addr_b64 v[180:183], v190 offset0:70 offset1:71
	s_waitcnt lgkmcnt(0)
	v_mul_f64 v[140:141], v[182:183], v[142:143]
	s_delay_alu instid0(VALU_DEP_1) | instskip(SKIP_1) | instid1(VALU_DEP_2)
	v_fma_f64 v[140:141], v[180:181], v[188:189], -v[140:141]
	v_mul_f64 v[180:181], v[180:181], v[142:143]
	v_add_f64 v[36:37], v[36:37], -v[140:141]
	s_delay_alu instid0(VALU_DEP_2) | instskip(NEXT) | instid1(VALU_DEP_1)
	v_fma_f64 v[180:181], v[182:183], v[188:189], v[180:181]
	v_add_f64 v[38:39], v[38:39], -v[180:181]
	ds_load_2addr_b64 v[180:183], v190 offset0:72 offset1:73
	s_waitcnt lgkmcnt(0)
	v_mul_f64 v[140:141], v[182:183], v[142:143]
	s_delay_alu instid0(VALU_DEP_1) | instskip(SKIP_1) | instid1(VALU_DEP_2)
	v_fma_f64 v[140:141], v[180:181], v[188:189], -v[140:141]
	v_mul_f64 v[180:181], v[180:181], v[142:143]
	v_add_f64 v[32:33], v[32:33], -v[140:141]
	s_delay_alu instid0(VALU_DEP_2) | instskip(NEXT) | instid1(VALU_DEP_1)
	v_fma_f64 v[180:181], v[182:183], v[188:189], v[180:181]
	v_add_f64 v[34:35], v[34:35], -v[180:181]
	ds_load_2addr_b64 v[180:183], v190 offset0:74 offset1:75
	s_waitcnt lgkmcnt(0)
	v_mul_f64 v[140:141], v[182:183], v[142:143]
	s_delay_alu instid0(VALU_DEP_1) | instskip(SKIP_1) | instid1(VALU_DEP_2)
	v_fma_f64 v[140:141], v[180:181], v[188:189], -v[140:141]
	v_mul_f64 v[180:181], v[180:181], v[142:143]
	v_add_f64 v[28:29], v[28:29], -v[140:141]
	s_delay_alu instid0(VALU_DEP_2) | instskip(NEXT) | instid1(VALU_DEP_1)
	v_fma_f64 v[180:181], v[182:183], v[188:189], v[180:181]
	v_add_f64 v[30:31], v[30:31], -v[180:181]
	ds_load_2addr_b64 v[180:183], v190 offset0:76 offset1:77
	s_waitcnt lgkmcnt(0)
	v_mul_f64 v[140:141], v[182:183], v[142:143]
	s_delay_alu instid0(VALU_DEP_1) | instskip(SKIP_1) | instid1(VALU_DEP_2)
	v_fma_f64 v[140:141], v[180:181], v[188:189], -v[140:141]
	v_mul_f64 v[180:181], v[180:181], v[142:143]
	v_add_f64 v[24:25], v[24:25], -v[140:141]
	s_delay_alu instid0(VALU_DEP_2) | instskip(NEXT) | instid1(VALU_DEP_1)
	v_fma_f64 v[180:181], v[182:183], v[188:189], v[180:181]
	v_add_f64 v[26:27], v[26:27], -v[180:181]
	ds_load_2addr_b64 v[180:183], v190 offset0:78 offset1:79
	s_waitcnt lgkmcnt(0)
	v_mul_f64 v[140:141], v[182:183], v[142:143]
	s_delay_alu instid0(VALU_DEP_1) | instskip(SKIP_1) | instid1(VALU_DEP_2)
	v_fma_f64 v[140:141], v[180:181], v[188:189], -v[140:141]
	v_mul_f64 v[180:181], v[180:181], v[142:143]
	v_add_f64 v[20:21], v[20:21], -v[140:141]
	s_delay_alu instid0(VALU_DEP_2) | instskip(NEXT) | instid1(VALU_DEP_1)
	v_fma_f64 v[180:181], v[182:183], v[188:189], v[180:181]
	v_add_f64 v[22:23], v[22:23], -v[180:181]
	ds_load_2addr_b64 v[180:183], v190 offset0:80 offset1:81
	s_waitcnt lgkmcnt(0)
	v_mul_f64 v[140:141], v[182:183], v[142:143]
	s_delay_alu instid0(VALU_DEP_1) | instskip(SKIP_1) | instid1(VALU_DEP_2)
	v_fma_f64 v[140:141], v[180:181], v[188:189], -v[140:141]
	v_mul_f64 v[180:181], v[180:181], v[142:143]
	v_add_f64 v[16:17], v[16:17], -v[140:141]
	s_delay_alu instid0(VALU_DEP_2) | instskip(NEXT) | instid1(VALU_DEP_1)
	v_fma_f64 v[180:181], v[182:183], v[188:189], v[180:181]
	v_add_f64 v[18:19], v[18:19], -v[180:181]
	ds_load_2addr_b64 v[180:183], v190 offset0:82 offset1:83
	s_waitcnt lgkmcnt(0)
	v_mul_f64 v[140:141], v[182:183], v[142:143]
	s_delay_alu instid0(VALU_DEP_1) | instskip(SKIP_1) | instid1(VALU_DEP_2)
	v_fma_f64 v[140:141], v[180:181], v[188:189], -v[140:141]
	v_mul_f64 v[180:181], v[180:181], v[142:143]
	v_add_f64 v[12:13], v[12:13], -v[140:141]
	s_delay_alu instid0(VALU_DEP_2) | instskip(NEXT) | instid1(VALU_DEP_1)
	v_fma_f64 v[180:181], v[182:183], v[188:189], v[180:181]
	v_add_f64 v[14:15], v[14:15], -v[180:181]
	ds_load_2addr_b64 v[180:183], v190 offset0:84 offset1:85
	s_waitcnt lgkmcnt(0)
	v_mul_f64 v[140:141], v[182:183], v[142:143]
	s_delay_alu instid0(VALU_DEP_1) | instskip(SKIP_1) | instid1(VALU_DEP_2)
	v_fma_f64 v[140:141], v[180:181], v[188:189], -v[140:141]
	v_mul_f64 v[180:181], v[180:181], v[142:143]
	v_add_f64 v[8:9], v[8:9], -v[140:141]
	s_delay_alu instid0(VALU_DEP_2) | instskip(NEXT) | instid1(VALU_DEP_1)
	v_fma_f64 v[180:181], v[182:183], v[188:189], v[180:181]
	v_add_f64 v[10:11], v[10:11], -v[180:181]
	ds_load_2addr_b64 v[180:183], v190 offset0:86 offset1:87
	s_waitcnt lgkmcnt(0)
	v_mul_f64 v[140:141], v[182:183], v[142:143]
	s_delay_alu instid0(VALU_DEP_1) | instskip(SKIP_1) | instid1(VALU_DEP_2)
	v_fma_f64 v[140:141], v[180:181], v[188:189], -v[140:141]
	v_mul_f64 v[180:181], v[180:181], v[142:143]
	v_add_f64 v[4:5], v[4:5], -v[140:141]
	s_delay_alu instid0(VALU_DEP_2) | instskip(NEXT) | instid1(VALU_DEP_1)
	v_fma_f64 v[180:181], v[182:183], v[188:189], v[180:181]
	v_add_f64 v[6:7], v[6:7], -v[180:181]
	ds_load_2addr_b64 v[180:183], v190 offset0:88 offset1:89
	s_waitcnt lgkmcnt(0)
	v_mul_f64 v[140:141], v[182:183], v[142:143]
	s_delay_alu instid0(VALU_DEP_1) | instskip(SKIP_1) | instid1(VALU_DEP_2)
	v_fma_f64 v[140:141], v[180:181], v[188:189], -v[140:141]
	v_mul_f64 v[180:181], v[180:181], v[142:143]
	v_add_f64 v[0:1], v[0:1], -v[140:141]
	s_delay_alu instid0(VALU_DEP_2) | instskip(SKIP_1) | instid1(VALU_DEP_2)
	v_fma_f64 v[180:181], v[182:183], v[188:189], v[180:181]
	v_dual_mov_b32 v140, v188 :: v_dual_mov_b32 v141, v189
	v_add_f64 v[2:3], v[2:3], -v[180:181]
.LBB88_209:
	s_or_b32 exec_lo, exec_lo, s2
	v_lshl_add_u32 v180, v196, 4, v190
	s_barrier
	buffer_gl0_inv
	v_mov_b32_e32 v188, 10
	ds_store_2addr_b64 v180, v[136:137], v[138:139] offset1:1
	s_waitcnt lgkmcnt(0)
	s_barrier
	buffer_gl0_inv
	ds_load_2addr_b64 v[180:183], v190 offset0:20 offset1:21
	s_cmp_lt_i32 s5, 12
	s_cbranch_scc1 .LBB88_212
; %bb.210:
	v_add3_u32 v189, v195, 0, 0xb0
	v_mov_b32_e32 v188, 10
	s_mov_b32 s6, 11
	s_set_inst_prefetch_distance 0x1
	.p2align	6
.LBB88_211:                             ; =>This Inner Loop Header: Depth=1
	ds_load_2addr_b64 v[197:200], v189 offset1:1
	s_waitcnt lgkmcnt(1)
	v_cmp_gt_f64_e32 vcc_lo, 0, v[180:181]
	v_xor_b32_e32 v201, 0x80000000, v181
	v_cmp_gt_f64_e64 s2, 0, v[182:183]
	v_xor_b32_e32 v203, 0x80000000, v183
	v_add_nc_u32_e32 v189, 16, v189
	s_waitcnt lgkmcnt(0)
	v_cmp_gt_f64_e64 s3, 0, v[197:198]
	v_mov_b32_e32 v205, v197
	v_dual_mov_b32 v207, v199 :: v_dual_cndmask_b32 v202, v181, v201
	v_xor_b32_e32 v201, 0x80000000, v198
	v_cndmask_b32_e64 v204, v183, v203, s2
	v_xor_b32_e32 v203, 0x80000000, v200
	s_delay_alu instid0(VALU_DEP_3) | instskip(SKIP_2) | instid1(VALU_DEP_2)
	v_cndmask_b32_e64 v206, v198, v201, s3
	v_cmp_gt_f64_e64 s3, 0, v[199:200]
	v_cndmask_b32_e32 v201, v180, v180, vcc_lo
	v_cndmask_b32_e64 v208, v200, v203, s3
	v_cndmask_b32_e64 v203, v182, v182, s2
	s_delay_alu instid0(VALU_DEP_2) | instskip(NEXT) | instid1(VALU_DEP_2)
	v_add_f64 v[205:206], v[205:206], v[207:208]
	v_add_f64 v[201:202], v[201:202], v[203:204]
	s_delay_alu instid0(VALU_DEP_1) | instskip(SKIP_4) | instid1(SALU_CYCLE_1)
	v_cmp_lt_f64_e32 vcc_lo, v[201:202], v[205:206]
	v_dual_cndmask_b32 v182, v182, v199 :: v_dual_cndmask_b32 v181, v181, v198
	v_dual_cndmask_b32 v180, v180, v197 :: v_dual_cndmask_b32 v183, v183, v200
	v_cndmask_b32_e64 v188, v188, s6, vcc_lo
	s_add_i32 s6, s6, 1
	s_cmp_lg_u32 s5, s6
	s_cbranch_scc1 .LBB88_211
.LBB88_212:
	s_set_inst_prefetch_distance 0x2
	s_waitcnt lgkmcnt(0)
	v_cmp_eq_f64_e32 vcc_lo, 0, v[180:181]
	v_cmp_eq_f64_e64 s2, 0, v[182:183]
	s_delay_alu instid0(VALU_DEP_1) | instskip(NEXT) | instid1(SALU_CYCLE_1)
	s_and_b32 s2, vcc_lo, s2
	s_and_saveexec_b32 s3, s2
	s_delay_alu instid0(SALU_CYCLE_1)
	s_xor_b32 s2, exec_lo, s3
; %bb.213:
	v_cmp_ne_u32_e32 vcc_lo, 0, v193
	v_cndmask_b32_e32 v193, 11, v193, vcc_lo
; %bb.214:
	s_and_not1_saveexec_b32 s3, s2
	s_cbranch_execz .LBB88_220
; %bb.215:
	v_cmp_gt_f64_e32 vcc_lo, 0, v[180:181]
	v_cmp_gt_f64_e64 s2, 0, v[182:183]
	v_xor_b32_e32 v189, 0x80000000, v181
	v_xor_b32_e32 v197, 0x80000000, v183
	s_delay_alu instid0(VALU_DEP_2) | instskip(NEXT) | instid1(VALU_DEP_2)
	v_cndmask_b32_e32 v198, v181, v189, vcc_lo
	v_cndmask_b32_e64 v200, v183, v197, s2
	v_cndmask_b32_e32 v197, v180, v180, vcc_lo
	v_cndmask_b32_e64 v199, v182, v182, s2
	s_mov_b32 s2, exec_lo
	s_delay_alu instid0(VALU_DEP_1)
	v_cmpx_ngt_f64_e32 v[197:198], v[199:200]
	s_xor_b32 s2, exec_lo, s2
	s_cbranch_execz .LBB88_217
; %bb.216:
	v_div_scale_f64 v[197:198], null, v[182:183], v[182:183], v[180:181]
	v_div_scale_f64 v[203:204], vcc_lo, v[180:181], v[182:183], v[180:181]
	s_delay_alu instid0(VALU_DEP_2) | instskip(SKIP_2) | instid1(VALU_DEP_1)
	v_rcp_f64_e32 v[199:200], v[197:198]
	s_waitcnt_depctr 0xfff
	v_fma_f64 v[201:202], -v[197:198], v[199:200], 1.0
	v_fma_f64 v[199:200], v[199:200], v[201:202], v[199:200]
	s_delay_alu instid0(VALU_DEP_1) | instskip(NEXT) | instid1(VALU_DEP_1)
	v_fma_f64 v[201:202], -v[197:198], v[199:200], 1.0
	v_fma_f64 v[199:200], v[199:200], v[201:202], v[199:200]
	s_delay_alu instid0(VALU_DEP_1) | instskip(NEXT) | instid1(VALU_DEP_1)
	v_mul_f64 v[201:202], v[203:204], v[199:200]
	v_fma_f64 v[197:198], -v[197:198], v[201:202], v[203:204]
	s_delay_alu instid0(VALU_DEP_1) | instskip(NEXT) | instid1(VALU_DEP_1)
	v_div_fmas_f64 v[197:198], v[197:198], v[199:200], v[201:202]
	v_div_fixup_f64 v[197:198], v[197:198], v[182:183], v[180:181]
	s_delay_alu instid0(VALU_DEP_1) | instskip(NEXT) | instid1(VALU_DEP_1)
	v_fma_f64 v[180:181], v[180:181], v[197:198], v[182:183]
	v_div_scale_f64 v[182:183], null, v[180:181], v[180:181], 1.0
	s_delay_alu instid0(VALU_DEP_1) | instskip(SKIP_2) | instid1(VALU_DEP_1)
	v_rcp_f64_e32 v[199:200], v[182:183]
	s_waitcnt_depctr 0xfff
	v_fma_f64 v[201:202], -v[182:183], v[199:200], 1.0
	v_fma_f64 v[199:200], v[199:200], v[201:202], v[199:200]
	s_delay_alu instid0(VALU_DEP_1) | instskip(NEXT) | instid1(VALU_DEP_1)
	v_fma_f64 v[201:202], -v[182:183], v[199:200], 1.0
	v_fma_f64 v[199:200], v[199:200], v[201:202], v[199:200]
	v_div_scale_f64 v[201:202], vcc_lo, 1.0, v[180:181], 1.0
	s_delay_alu instid0(VALU_DEP_1) | instskip(NEXT) | instid1(VALU_DEP_1)
	v_mul_f64 v[203:204], v[201:202], v[199:200]
	v_fma_f64 v[182:183], -v[182:183], v[203:204], v[201:202]
	s_delay_alu instid0(VALU_DEP_1) | instskip(NEXT) | instid1(VALU_DEP_1)
	v_div_fmas_f64 v[182:183], v[182:183], v[199:200], v[203:204]
	v_div_fixup_f64 v[182:183], v[182:183], v[180:181], 1.0
	s_delay_alu instid0(VALU_DEP_1)
	v_mul_f64 v[180:181], v[197:198], v[182:183]
	v_xor_b32_e32 v183, 0x80000000, v183
.LBB88_217:
	s_and_not1_saveexec_b32 s2, s2
	s_cbranch_execz .LBB88_219
; %bb.218:
	s_delay_alu instid0(VALU_DEP_1) | instskip(SKIP_1) | instid1(VALU_DEP_2)
	v_div_scale_f64 v[197:198], null, v[180:181], v[180:181], v[182:183]
	v_div_scale_f64 v[203:204], vcc_lo, v[182:183], v[180:181], v[182:183]
	v_rcp_f64_e32 v[199:200], v[197:198]
	s_waitcnt_depctr 0xfff
	v_fma_f64 v[201:202], -v[197:198], v[199:200], 1.0
	s_delay_alu instid0(VALU_DEP_1) | instskip(NEXT) | instid1(VALU_DEP_1)
	v_fma_f64 v[199:200], v[199:200], v[201:202], v[199:200]
	v_fma_f64 v[201:202], -v[197:198], v[199:200], 1.0
	s_delay_alu instid0(VALU_DEP_1) | instskip(NEXT) | instid1(VALU_DEP_1)
	v_fma_f64 v[199:200], v[199:200], v[201:202], v[199:200]
	v_mul_f64 v[201:202], v[203:204], v[199:200]
	s_delay_alu instid0(VALU_DEP_1) | instskip(NEXT) | instid1(VALU_DEP_1)
	v_fma_f64 v[197:198], -v[197:198], v[201:202], v[203:204]
	v_div_fmas_f64 v[197:198], v[197:198], v[199:200], v[201:202]
	s_delay_alu instid0(VALU_DEP_1) | instskip(NEXT) | instid1(VALU_DEP_1)
	v_div_fixup_f64 v[197:198], v[197:198], v[180:181], v[182:183]
	v_fma_f64 v[180:181], v[182:183], v[197:198], v[180:181]
	s_delay_alu instid0(VALU_DEP_1) | instskip(NEXT) | instid1(VALU_DEP_1)
	v_div_scale_f64 v[182:183], null, v[180:181], v[180:181], 1.0
	v_rcp_f64_e32 v[199:200], v[182:183]
	s_waitcnt_depctr 0xfff
	v_fma_f64 v[201:202], -v[182:183], v[199:200], 1.0
	s_delay_alu instid0(VALU_DEP_1) | instskip(NEXT) | instid1(VALU_DEP_1)
	v_fma_f64 v[199:200], v[199:200], v[201:202], v[199:200]
	v_fma_f64 v[201:202], -v[182:183], v[199:200], 1.0
	s_delay_alu instid0(VALU_DEP_1) | instskip(SKIP_1) | instid1(VALU_DEP_1)
	v_fma_f64 v[199:200], v[199:200], v[201:202], v[199:200]
	v_div_scale_f64 v[201:202], vcc_lo, 1.0, v[180:181], 1.0
	v_mul_f64 v[203:204], v[201:202], v[199:200]
	s_delay_alu instid0(VALU_DEP_1) | instskip(NEXT) | instid1(VALU_DEP_1)
	v_fma_f64 v[182:183], -v[182:183], v[203:204], v[201:202]
	v_div_fmas_f64 v[182:183], v[182:183], v[199:200], v[203:204]
	s_delay_alu instid0(VALU_DEP_1) | instskip(NEXT) | instid1(VALU_DEP_1)
	v_div_fixup_f64 v[180:181], v[182:183], v[180:181], 1.0
	v_mul_f64 v[182:183], v[197:198], -v[180:181]
.LBB88_219:
	s_or_b32 exec_lo, exec_lo, s2
.LBB88_220:
	s_delay_alu instid0(SALU_CYCLE_1) | instskip(NEXT) | instid1(SALU_CYCLE_1)
	s_or_b32 exec_lo, exec_lo, s3
	s_mov_b32 s2, exec_lo
	v_cmpx_ne_u32_e64 v196, v188
	s_xor_b32 s2, exec_lo, s2
	s_cbranch_execz .LBB88_226
; %bb.221:
	s_mov_b32 s3, exec_lo
	v_cmpx_eq_u32_e32 10, v196
	s_cbranch_execz .LBB88_225
; %bb.222:
	v_cmp_ne_u32_e32 vcc_lo, 10, v188
	s_xor_b32 s6, s4, -1
	s_delay_alu instid0(SALU_CYCLE_1) | instskip(NEXT) | instid1(SALU_CYCLE_1)
	s_and_b32 s7, s6, vcc_lo
	s_and_saveexec_b32 s6, s7
	s_cbranch_execz .LBB88_224
; %bb.223:
	v_ashrrev_i32_e32 v189, 31, v188
	s_delay_alu instid0(VALU_DEP_1) | instskip(NEXT) | instid1(VALU_DEP_1)
	v_lshlrev_b64 v[196:197], 2, v[188:189]
	v_add_co_u32 v196, vcc_lo, v186, v196
	s_delay_alu instid0(VALU_DEP_2)
	v_add_co_ci_u32_e32 v197, vcc_lo, v187, v197, vcc_lo
	s_clause 0x1
	flat_load_b32 v189, v[196:197]
	flat_load_b32 v194, v[186:187] offset:40
	s_waitcnt vmcnt(1) lgkmcnt(1)
	flat_store_b32 v[186:187], v189 offset:40
	s_waitcnt vmcnt(0) lgkmcnt(1)
	flat_store_b32 v[196:197], v194
.LBB88_224:
	s_or_b32 exec_lo, exec_lo, s6
	v_mov_b32_e32 v196, v188
	v_mov_b32_e32 v194, v188
.LBB88_225:
	s_or_b32 exec_lo, exec_lo, s3
.LBB88_226:
	s_and_not1_saveexec_b32 s2, s2
	s_cbranch_execz .LBB88_228
; %bb.227:
	v_mov_b32_e32 v196, 10
	ds_store_2addr_b64 v190, v[132:133], v[134:135] offset0:22 offset1:23
	ds_store_2addr_b64 v190, v[128:129], v[130:131] offset0:24 offset1:25
	;; [unrolled: 1-line block ×34, first 2 shown]
.LBB88_228:
	s_or_b32 exec_lo, exec_lo, s2
	s_delay_alu instid0(SALU_CYCLE_1)
	s_mov_b32 s2, exec_lo
	s_waitcnt lgkmcnt(0)
	s_waitcnt_vscnt null, 0x0
	s_barrier
	buffer_gl0_inv
	v_cmpx_lt_i32_e32 10, v196
	s_cbranch_execz .LBB88_230
; %bb.229:
	v_mul_f64 v[188:189], v[182:183], v[138:139]
	v_mul_f64 v[138:139], v[180:181], v[138:139]
	s_delay_alu instid0(VALU_DEP_2) | instskip(NEXT) | instid1(VALU_DEP_2)
	v_fma_f64 v[188:189], v[180:181], v[136:137], -v[188:189]
	v_fma_f64 v[138:139], v[182:183], v[136:137], v[138:139]
	ds_load_2addr_b64 v[180:183], v190 offset0:22 offset1:23
	s_waitcnt lgkmcnt(0)
	v_mul_f64 v[136:137], v[182:183], v[138:139]
	s_delay_alu instid0(VALU_DEP_1) | instskip(SKIP_1) | instid1(VALU_DEP_2)
	v_fma_f64 v[136:137], v[180:181], v[188:189], -v[136:137]
	v_mul_f64 v[180:181], v[180:181], v[138:139]
	v_add_f64 v[132:133], v[132:133], -v[136:137]
	s_delay_alu instid0(VALU_DEP_2) | instskip(NEXT) | instid1(VALU_DEP_1)
	v_fma_f64 v[180:181], v[182:183], v[188:189], v[180:181]
	v_add_f64 v[134:135], v[134:135], -v[180:181]
	ds_load_2addr_b64 v[180:183], v190 offset0:24 offset1:25
	s_waitcnt lgkmcnt(0)
	v_mul_f64 v[136:137], v[182:183], v[138:139]
	s_delay_alu instid0(VALU_DEP_1) | instskip(SKIP_1) | instid1(VALU_DEP_2)
	v_fma_f64 v[136:137], v[180:181], v[188:189], -v[136:137]
	v_mul_f64 v[180:181], v[180:181], v[138:139]
	v_add_f64 v[128:129], v[128:129], -v[136:137]
	s_delay_alu instid0(VALU_DEP_2) | instskip(NEXT) | instid1(VALU_DEP_1)
	v_fma_f64 v[180:181], v[182:183], v[188:189], v[180:181]
	v_add_f64 v[130:131], v[130:131], -v[180:181]
	;; [unrolled: 10-line block ×33, first 2 shown]
	ds_load_2addr_b64 v[180:183], v190 offset0:88 offset1:89
	s_waitcnt lgkmcnt(0)
	v_mul_f64 v[136:137], v[182:183], v[138:139]
	s_delay_alu instid0(VALU_DEP_1) | instskip(SKIP_1) | instid1(VALU_DEP_2)
	v_fma_f64 v[136:137], v[180:181], v[188:189], -v[136:137]
	v_mul_f64 v[180:181], v[180:181], v[138:139]
	v_add_f64 v[0:1], v[0:1], -v[136:137]
	s_delay_alu instid0(VALU_DEP_2) | instskip(SKIP_1) | instid1(VALU_DEP_2)
	v_fma_f64 v[180:181], v[182:183], v[188:189], v[180:181]
	v_dual_mov_b32 v136, v188 :: v_dual_mov_b32 v137, v189
	v_add_f64 v[2:3], v[2:3], -v[180:181]
.LBB88_230:
	s_or_b32 exec_lo, exec_lo, s2
	v_lshl_add_u32 v180, v196, 4, v190
	s_barrier
	buffer_gl0_inv
	v_mov_b32_e32 v188, 11
	ds_store_2addr_b64 v180, v[132:133], v[134:135] offset1:1
	s_waitcnt lgkmcnt(0)
	s_barrier
	buffer_gl0_inv
	ds_load_2addr_b64 v[180:183], v190 offset0:22 offset1:23
	s_cmp_lt_i32 s5, 13
	s_cbranch_scc1 .LBB88_233
; %bb.231:
	v_add3_u32 v189, v195, 0, 0xc0
	v_mov_b32_e32 v188, 11
	s_mov_b32 s6, 12
	s_set_inst_prefetch_distance 0x1
	.p2align	6
.LBB88_232:                             ; =>This Inner Loop Header: Depth=1
	ds_load_2addr_b64 v[197:200], v189 offset1:1
	s_waitcnt lgkmcnt(1)
	v_cmp_gt_f64_e32 vcc_lo, 0, v[180:181]
	v_xor_b32_e32 v201, 0x80000000, v181
	v_cmp_gt_f64_e64 s2, 0, v[182:183]
	v_xor_b32_e32 v203, 0x80000000, v183
	v_add_nc_u32_e32 v189, 16, v189
	s_waitcnt lgkmcnt(0)
	v_cmp_gt_f64_e64 s3, 0, v[197:198]
	v_mov_b32_e32 v205, v197
	v_dual_mov_b32 v207, v199 :: v_dual_cndmask_b32 v202, v181, v201
	v_xor_b32_e32 v201, 0x80000000, v198
	v_cndmask_b32_e64 v204, v183, v203, s2
	v_xor_b32_e32 v203, 0x80000000, v200
	s_delay_alu instid0(VALU_DEP_3) | instskip(SKIP_2) | instid1(VALU_DEP_2)
	v_cndmask_b32_e64 v206, v198, v201, s3
	v_cmp_gt_f64_e64 s3, 0, v[199:200]
	v_cndmask_b32_e32 v201, v180, v180, vcc_lo
	v_cndmask_b32_e64 v208, v200, v203, s3
	v_cndmask_b32_e64 v203, v182, v182, s2
	s_delay_alu instid0(VALU_DEP_2) | instskip(NEXT) | instid1(VALU_DEP_2)
	v_add_f64 v[205:206], v[205:206], v[207:208]
	v_add_f64 v[201:202], v[201:202], v[203:204]
	s_delay_alu instid0(VALU_DEP_1) | instskip(SKIP_4) | instid1(SALU_CYCLE_1)
	v_cmp_lt_f64_e32 vcc_lo, v[201:202], v[205:206]
	v_dual_cndmask_b32 v182, v182, v199 :: v_dual_cndmask_b32 v181, v181, v198
	v_dual_cndmask_b32 v180, v180, v197 :: v_dual_cndmask_b32 v183, v183, v200
	v_cndmask_b32_e64 v188, v188, s6, vcc_lo
	s_add_i32 s6, s6, 1
	s_cmp_lg_u32 s5, s6
	s_cbranch_scc1 .LBB88_232
.LBB88_233:
	s_set_inst_prefetch_distance 0x2
	s_waitcnt lgkmcnt(0)
	v_cmp_eq_f64_e32 vcc_lo, 0, v[180:181]
	v_cmp_eq_f64_e64 s2, 0, v[182:183]
	s_delay_alu instid0(VALU_DEP_1) | instskip(NEXT) | instid1(SALU_CYCLE_1)
	s_and_b32 s2, vcc_lo, s2
	s_and_saveexec_b32 s3, s2
	s_delay_alu instid0(SALU_CYCLE_1)
	s_xor_b32 s2, exec_lo, s3
; %bb.234:
	v_cmp_ne_u32_e32 vcc_lo, 0, v193
	v_cndmask_b32_e32 v193, 12, v193, vcc_lo
; %bb.235:
	s_and_not1_saveexec_b32 s3, s2
	s_cbranch_execz .LBB88_241
; %bb.236:
	v_cmp_gt_f64_e32 vcc_lo, 0, v[180:181]
	v_cmp_gt_f64_e64 s2, 0, v[182:183]
	v_xor_b32_e32 v189, 0x80000000, v181
	v_xor_b32_e32 v197, 0x80000000, v183
	s_delay_alu instid0(VALU_DEP_2) | instskip(NEXT) | instid1(VALU_DEP_2)
	v_cndmask_b32_e32 v198, v181, v189, vcc_lo
	v_cndmask_b32_e64 v200, v183, v197, s2
	v_cndmask_b32_e32 v197, v180, v180, vcc_lo
	v_cndmask_b32_e64 v199, v182, v182, s2
	s_mov_b32 s2, exec_lo
	s_delay_alu instid0(VALU_DEP_1)
	v_cmpx_ngt_f64_e32 v[197:198], v[199:200]
	s_xor_b32 s2, exec_lo, s2
	s_cbranch_execz .LBB88_238
; %bb.237:
	v_div_scale_f64 v[197:198], null, v[182:183], v[182:183], v[180:181]
	v_div_scale_f64 v[203:204], vcc_lo, v[180:181], v[182:183], v[180:181]
	s_delay_alu instid0(VALU_DEP_2) | instskip(SKIP_2) | instid1(VALU_DEP_1)
	v_rcp_f64_e32 v[199:200], v[197:198]
	s_waitcnt_depctr 0xfff
	v_fma_f64 v[201:202], -v[197:198], v[199:200], 1.0
	v_fma_f64 v[199:200], v[199:200], v[201:202], v[199:200]
	s_delay_alu instid0(VALU_DEP_1) | instskip(NEXT) | instid1(VALU_DEP_1)
	v_fma_f64 v[201:202], -v[197:198], v[199:200], 1.0
	v_fma_f64 v[199:200], v[199:200], v[201:202], v[199:200]
	s_delay_alu instid0(VALU_DEP_1) | instskip(NEXT) | instid1(VALU_DEP_1)
	v_mul_f64 v[201:202], v[203:204], v[199:200]
	v_fma_f64 v[197:198], -v[197:198], v[201:202], v[203:204]
	s_delay_alu instid0(VALU_DEP_1) | instskip(NEXT) | instid1(VALU_DEP_1)
	v_div_fmas_f64 v[197:198], v[197:198], v[199:200], v[201:202]
	v_div_fixup_f64 v[197:198], v[197:198], v[182:183], v[180:181]
	s_delay_alu instid0(VALU_DEP_1) | instskip(NEXT) | instid1(VALU_DEP_1)
	v_fma_f64 v[180:181], v[180:181], v[197:198], v[182:183]
	v_div_scale_f64 v[182:183], null, v[180:181], v[180:181], 1.0
	s_delay_alu instid0(VALU_DEP_1) | instskip(SKIP_2) | instid1(VALU_DEP_1)
	v_rcp_f64_e32 v[199:200], v[182:183]
	s_waitcnt_depctr 0xfff
	v_fma_f64 v[201:202], -v[182:183], v[199:200], 1.0
	v_fma_f64 v[199:200], v[199:200], v[201:202], v[199:200]
	s_delay_alu instid0(VALU_DEP_1) | instskip(NEXT) | instid1(VALU_DEP_1)
	v_fma_f64 v[201:202], -v[182:183], v[199:200], 1.0
	v_fma_f64 v[199:200], v[199:200], v[201:202], v[199:200]
	v_div_scale_f64 v[201:202], vcc_lo, 1.0, v[180:181], 1.0
	s_delay_alu instid0(VALU_DEP_1) | instskip(NEXT) | instid1(VALU_DEP_1)
	v_mul_f64 v[203:204], v[201:202], v[199:200]
	v_fma_f64 v[182:183], -v[182:183], v[203:204], v[201:202]
	s_delay_alu instid0(VALU_DEP_1) | instskip(NEXT) | instid1(VALU_DEP_1)
	v_div_fmas_f64 v[182:183], v[182:183], v[199:200], v[203:204]
	v_div_fixup_f64 v[182:183], v[182:183], v[180:181], 1.0
	s_delay_alu instid0(VALU_DEP_1)
	v_mul_f64 v[180:181], v[197:198], v[182:183]
	v_xor_b32_e32 v183, 0x80000000, v183
.LBB88_238:
	s_and_not1_saveexec_b32 s2, s2
	s_cbranch_execz .LBB88_240
; %bb.239:
	s_delay_alu instid0(VALU_DEP_1) | instskip(SKIP_1) | instid1(VALU_DEP_2)
	v_div_scale_f64 v[197:198], null, v[180:181], v[180:181], v[182:183]
	v_div_scale_f64 v[203:204], vcc_lo, v[182:183], v[180:181], v[182:183]
	v_rcp_f64_e32 v[199:200], v[197:198]
	s_waitcnt_depctr 0xfff
	v_fma_f64 v[201:202], -v[197:198], v[199:200], 1.0
	s_delay_alu instid0(VALU_DEP_1) | instskip(NEXT) | instid1(VALU_DEP_1)
	v_fma_f64 v[199:200], v[199:200], v[201:202], v[199:200]
	v_fma_f64 v[201:202], -v[197:198], v[199:200], 1.0
	s_delay_alu instid0(VALU_DEP_1) | instskip(NEXT) | instid1(VALU_DEP_1)
	v_fma_f64 v[199:200], v[199:200], v[201:202], v[199:200]
	v_mul_f64 v[201:202], v[203:204], v[199:200]
	s_delay_alu instid0(VALU_DEP_1) | instskip(NEXT) | instid1(VALU_DEP_1)
	v_fma_f64 v[197:198], -v[197:198], v[201:202], v[203:204]
	v_div_fmas_f64 v[197:198], v[197:198], v[199:200], v[201:202]
	s_delay_alu instid0(VALU_DEP_1) | instskip(NEXT) | instid1(VALU_DEP_1)
	v_div_fixup_f64 v[197:198], v[197:198], v[180:181], v[182:183]
	v_fma_f64 v[180:181], v[182:183], v[197:198], v[180:181]
	s_delay_alu instid0(VALU_DEP_1) | instskip(NEXT) | instid1(VALU_DEP_1)
	v_div_scale_f64 v[182:183], null, v[180:181], v[180:181], 1.0
	v_rcp_f64_e32 v[199:200], v[182:183]
	s_waitcnt_depctr 0xfff
	v_fma_f64 v[201:202], -v[182:183], v[199:200], 1.0
	s_delay_alu instid0(VALU_DEP_1) | instskip(NEXT) | instid1(VALU_DEP_1)
	v_fma_f64 v[199:200], v[199:200], v[201:202], v[199:200]
	v_fma_f64 v[201:202], -v[182:183], v[199:200], 1.0
	s_delay_alu instid0(VALU_DEP_1) | instskip(SKIP_1) | instid1(VALU_DEP_1)
	v_fma_f64 v[199:200], v[199:200], v[201:202], v[199:200]
	v_div_scale_f64 v[201:202], vcc_lo, 1.0, v[180:181], 1.0
	v_mul_f64 v[203:204], v[201:202], v[199:200]
	s_delay_alu instid0(VALU_DEP_1) | instskip(NEXT) | instid1(VALU_DEP_1)
	v_fma_f64 v[182:183], -v[182:183], v[203:204], v[201:202]
	v_div_fmas_f64 v[182:183], v[182:183], v[199:200], v[203:204]
	s_delay_alu instid0(VALU_DEP_1) | instskip(NEXT) | instid1(VALU_DEP_1)
	v_div_fixup_f64 v[180:181], v[182:183], v[180:181], 1.0
	v_mul_f64 v[182:183], v[197:198], -v[180:181]
.LBB88_240:
	s_or_b32 exec_lo, exec_lo, s2
.LBB88_241:
	s_delay_alu instid0(SALU_CYCLE_1) | instskip(NEXT) | instid1(SALU_CYCLE_1)
	s_or_b32 exec_lo, exec_lo, s3
	s_mov_b32 s2, exec_lo
	v_cmpx_ne_u32_e64 v196, v188
	s_xor_b32 s2, exec_lo, s2
	s_cbranch_execz .LBB88_247
; %bb.242:
	s_mov_b32 s3, exec_lo
	v_cmpx_eq_u32_e32 11, v196
	s_cbranch_execz .LBB88_246
; %bb.243:
	v_cmp_ne_u32_e32 vcc_lo, 11, v188
	s_xor_b32 s6, s4, -1
	s_delay_alu instid0(SALU_CYCLE_1) | instskip(NEXT) | instid1(SALU_CYCLE_1)
	s_and_b32 s7, s6, vcc_lo
	s_and_saveexec_b32 s6, s7
	s_cbranch_execz .LBB88_245
; %bb.244:
	v_ashrrev_i32_e32 v189, 31, v188
	s_delay_alu instid0(VALU_DEP_1) | instskip(NEXT) | instid1(VALU_DEP_1)
	v_lshlrev_b64 v[196:197], 2, v[188:189]
	v_add_co_u32 v196, vcc_lo, v186, v196
	s_delay_alu instid0(VALU_DEP_2)
	v_add_co_ci_u32_e32 v197, vcc_lo, v187, v197, vcc_lo
	s_clause 0x1
	flat_load_b32 v189, v[196:197]
	flat_load_b32 v194, v[186:187] offset:44
	s_waitcnt vmcnt(1) lgkmcnt(1)
	flat_store_b32 v[186:187], v189 offset:44
	s_waitcnt vmcnt(0) lgkmcnt(1)
	flat_store_b32 v[196:197], v194
.LBB88_245:
	s_or_b32 exec_lo, exec_lo, s6
	v_mov_b32_e32 v196, v188
	v_mov_b32_e32 v194, v188
.LBB88_246:
	s_or_b32 exec_lo, exec_lo, s3
.LBB88_247:
	s_and_not1_saveexec_b32 s2, s2
	s_cbranch_execz .LBB88_249
; %bb.248:
	v_mov_b32_e32 v196, 11
	ds_store_2addr_b64 v190, v[128:129], v[130:131] offset0:24 offset1:25
	ds_store_2addr_b64 v190, v[124:125], v[126:127] offset0:26 offset1:27
	;; [unrolled: 1-line block ×33, first 2 shown]
.LBB88_249:
	s_or_b32 exec_lo, exec_lo, s2
	s_delay_alu instid0(SALU_CYCLE_1)
	s_mov_b32 s2, exec_lo
	s_waitcnt lgkmcnt(0)
	s_waitcnt_vscnt null, 0x0
	s_barrier
	buffer_gl0_inv
	v_cmpx_lt_i32_e32 11, v196
	s_cbranch_execz .LBB88_251
; %bb.250:
	v_mul_f64 v[188:189], v[182:183], v[134:135]
	v_mul_f64 v[134:135], v[180:181], v[134:135]
	s_delay_alu instid0(VALU_DEP_2) | instskip(NEXT) | instid1(VALU_DEP_2)
	v_fma_f64 v[188:189], v[180:181], v[132:133], -v[188:189]
	v_fma_f64 v[134:135], v[182:183], v[132:133], v[134:135]
	ds_load_2addr_b64 v[180:183], v190 offset0:24 offset1:25
	s_waitcnt lgkmcnt(0)
	v_mul_f64 v[132:133], v[182:183], v[134:135]
	s_delay_alu instid0(VALU_DEP_1) | instskip(SKIP_1) | instid1(VALU_DEP_2)
	v_fma_f64 v[132:133], v[180:181], v[188:189], -v[132:133]
	v_mul_f64 v[180:181], v[180:181], v[134:135]
	v_add_f64 v[128:129], v[128:129], -v[132:133]
	s_delay_alu instid0(VALU_DEP_2) | instskip(NEXT) | instid1(VALU_DEP_1)
	v_fma_f64 v[180:181], v[182:183], v[188:189], v[180:181]
	v_add_f64 v[130:131], v[130:131], -v[180:181]
	ds_load_2addr_b64 v[180:183], v190 offset0:26 offset1:27
	s_waitcnt lgkmcnt(0)
	v_mul_f64 v[132:133], v[182:183], v[134:135]
	s_delay_alu instid0(VALU_DEP_1) | instskip(SKIP_1) | instid1(VALU_DEP_2)
	v_fma_f64 v[132:133], v[180:181], v[188:189], -v[132:133]
	v_mul_f64 v[180:181], v[180:181], v[134:135]
	v_add_f64 v[124:125], v[124:125], -v[132:133]
	s_delay_alu instid0(VALU_DEP_2) | instskip(NEXT) | instid1(VALU_DEP_1)
	v_fma_f64 v[180:181], v[182:183], v[188:189], v[180:181]
	v_add_f64 v[126:127], v[126:127], -v[180:181]
	;; [unrolled: 10-line block ×32, first 2 shown]
	ds_load_2addr_b64 v[180:183], v190 offset0:88 offset1:89
	s_waitcnt lgkmcnt(0)
	v_mul_f64 v[132:133], v[182:183], v[134:135]
	s_delay_alu instid0(VALU_DEP_1) | instskip(SKIP_1) | instid1(VALU_DEP_2)
	v_fma_f64 v[132:133], v[180:181], v[188:189], -v[132:133]
	v_mul_f64 v[180:181], v[180:181], v[134:135]
	v_add_f64 v[0:1], v[0:1], -v[132:133]
	s_delay_alu instid0(VALU_DEP_2) | instskip(SKIP_1) | instid1(VALU_DEP_2)
	v_fma_f64 v[180:181], v[182:183], v[188:189], v[180:181]
	v_dual_mov_b32 v132, v188 :: v_dual_mov_b32 v133, v189
	v_add_f64 v[2:3], v[2:3], -v[180:181]
.LBB88_251:
	s_or_b32 exec_lo, exec_lo, s2
	v_lshl_add_u32 v180, v196, 4, v190
	s_barrier
	buffer_gl0_inv
	v_mov_b32_e32 v188, 12
	ds_store_2addr_b64 v180, v[128:129], v[130:131] offset1:1
	s_waitcnt lgkmcnt(0)
	s_barrier
	buffer_gl0_inv
	ds_load_2addr_b64 v[180:183], v190 offset0:24 offset1:25
	s_cmp_lt_i32 s5, 14
	s_cbranch_scc1 .LBB88_254
; %bb.252:
	v_add3_u32 v189, v195, 0, 0xd0
	v_mov_b32_e32 v188, 12
	s_mov_b32 s6, 13
	s_set_inst_prefetch_distance 0x1
	.p2align	6
.LBB88_253:                             ; =>This Inner Loop Header: Depth=1
	ds_load_2addr_b64 v[197:200], v189 offset1:1
	s_waitcnt lgkmcnt(1)
	v_cmp_gt_f64_e32 vcc_lo, 0, v[180:181]
	v_xor_b32_e32 v201, 0x80000000, v181
	v_cmp_gt_f64_e64 s2, 0, v[182:183]
	v_xor_b32_e32 v203, 0x80000000, v183
	v_add_nc_u32_e32 v189, 16, v189
	s_waitcnt lgkmcnt(0)
	v_cmp_gt_f64_e64 s3, 0, v[197:198]
	v_mov_b32_e32 v205, v197
	v_dual_mov_b32 v207, v199 :: v_dual_cndmask_b32 v202, v181, v201
	v_xor_b32_e32 v201, 0x80000000, v198
	v_cndmask_b32_e64 v204, v183, v203, s2
	v_xor_b32_e32 v203, 0x80000000, v200
	s_delay_alu instid0(VALU_DEP_3) | instskip(SKIP_2) | instid1(VALU_DEP_2)
	v_cndmask_b32_e64 v206, v198, v201, s3
	v_cmp_gt_f64_e64 s3, 0, v[199:200]
	v_cndmask_b32_e32 v201, v180, v180, vcc_lo
	v_cndmask_b32_e64 v208, v200, v203, s3
	v_cndmask_b32_e64 v203, v182, v182, s2
	s_delay_alu instid0(VALU_DEP_2) | instskip(NEXT) | instid1(VALU_DEP_2)
	v_add_f64 v[205:206], v[205:206], v[207:208]
	v_add_f64 v[201:202], v[201:202], v[203:204]
	s_delay_alu instid0(VALU_DEP_1) | instskip(SKIP_4) | instid1(SALU_CYCLE_1)
	v_cmp_lt_f64_e32 vcc_lo, v[201:202], v[205:206]
	v_dual_cndmask_b32 v182, v182, v199 :: v_dual_cndmask_b32 v181, v181, v198
	v_dual_cndmask_b32 v180, v180, v197 :: v_dual_cndmask_b32 v183, v183, v200
	v_cndmask_b32_e64 v188, v188, s6, vcc_lo
	s_add_i32 s6, s6, 1
	s_cmp_lg_u32 s5, s6
	s_cbranch_scc1 .LBB88_253
.LBB88_254:
	s_set_inst_prefetch_distance 0x2
	s_waitcnt lgkmcnt(0)
	v_cmp_eq_f64_e32 vcc_lo, 0, v[180:181]
	v_cmp_eq_f64_e64 s2, 0, v[182:183]
	s_delay_alu instid0(VALU_DEP_1) | instskip(NEXT) | instid1(SALU_CYCLE_1)
	s_and_b32 s2, vcc_lo, s2
	s_and_saveexec_b32 s3, s2
	s_delay_alu instid0(SALU_CYCLE_1)
	s_xor_b32 s2, exec_lo, s3
; %bb.255:
	v_cmp_ne_u32_e32 vcc_lo, 0, v193
	v_cndmask_b32_e32 v193, 13, v193, vcc_lo
; %bb.256:
	s_and_not1_saveexec_b32 s3, s2
	s_cbranch_execz .LBB88_262
; %bb.257:
	v_cmp_gt_f64_e32 vcc_lo, 0, v[180:181]
	v_cmp_gt_f64_e64 s2, 0, v[182:183]
	v_xor_b32_e32 v189, 0x80000000, v181
	v_xor_b32_e32 v197, 0x80000000, v183
	s_delay_alu instid0(VALU_DEP_2) | instskip(NEXT) | instid1(VALU_DEP_2)
	v_cndmask_b32_e32 v198, v181, v189, vcc_lo
	v_cndmask_b32_e64 v200, v183, v197, s2
	v_cndmask_b32_e32 v197, v180, v180, vcc_lo
	v_cndmask_b32_e64 v199, v182, v182, s2
	s_mov_b32 s2, exec_lo
	s_delay_alu instid0(VALU_DEP_1)
	v_cmpx_ngt_f64_e32 v[197:198], v[199:200]
	s_xor_b32 s2, exec_lo, s2
	s_cbranch_execz .LBB88_259
; %bb.258:
	v_div_scale_f64 v[197:198], null, v[182:183], v[182:183], v[180:181]
	v_div_scale_f64 v[203:204], vcc_lo, v[180:181], v[182:183], v[180:181]
	s_delay_alu instid0(VALU_DEP_2) | instskip(SKIP_2) | instid1(VALU_DEP_1)
	v_rcp_f64_e32 v[199:200], v[197:198]
	s_waitcnt_depctr 0xfff
	v_fma_f64 v[201:202], -v[197:198], v[199:200], 1.0
	v_fma_f64 v[199:200], v[199:200], v[201:202], v[199:200]
	s_delay_alu instid0(VALU_DEP_1) | instskip(NEXT) | instid1(VALU_DEP_1)
	v_fma_f64 v[201:202], -v[197:198], v[199:200], 1.0
	v_fma_f64 v[199:200], v[199:200], v[201:202], v[199:200]
	s_delay_alu instid0(VALU_DEP_1) | instskip(NEXT) | instid1(VALU_DEP_1)
	v_mul_f64 v[201:202], v[203:204], v[199:200]
	v_fma_f64 v[197:198], -v[197:198], v[201:202], v[203:204]
	s_delay_alu instid0(VALU_DEP_1) | instskip(NEXT) | instid1(VALU_DEP_1)
	v_div_fmas_f64 v[197:198], v[197:198], v[199:200], v[201:202]
	v_div_fixup_f64 v[197:198], v[197:198], v[182:183], v[180:181]
	s_delay_alu instid0(VALU_DEP_1) | instskip(NEXT) | instid1(VALU_DEP_1)
	v_fma_f64 v[180:181], v[180:181], v[197:198], v[182:183]
	v_div_scale_f64 v[182:183], null, v[180:181], v[180:181], 1.0
	s_delay_alu instid0(VALU_DEP_1) | instskip(SKIP_2) | instid1(VALU_DEP_1)
	v_rcp_f64_e32 v[199:200], v[182:183]
	s_waitcnt_depctr 0xfff
	v_fma_f64 v[201:202], -v[182:183], v[199:200], 1.0
	v_fma_f64 v[199:200], v[199:200], v[201:202], v[199:200]
	s_delay_alu instid0(VALU_DEP_1) | instskip(NEXT) | instid1(VALU_DEP_1)
	v_fma_f64 v[201:202], -v[182:183], v[199:200], 1.0
	v_fma_f64 v[199:200], v[199:200], v[201:202], v[199:200]
	v_div_scale_f64 v[201:202], vcc_lo, 1.0, v[180:181], 1.0
	s_delay_alu instid0(VALU_DEP_1) | instskip(NEXT) | instid1(VALU_DEP_1)
	v_mul_f64 v[203:204], v[201:202], v[199:200]
	v_fma_f64 v[182:183], -v[182:183], v[203:204], v[201:202]
	s_delay_alu instid0(VALU_DEP_1) | instskip(NEXT) | instid1(VALU_DEP_1)
	v_div_fmas_f64 v[182:183], v[182:183], v[199:200], v[203:204]
	v_div_fixup_f64 v[182:183], v[182:183], v[180:181], 1.0
	s_delay_alu instid0(VALU_DEP_1)
	v_mul_f64 v[180:181], v[197:198], v[182:183]
	v_xor_b32_e32 v183, 0x80000000, v183
.LBB88_259:
	s_and_not1_saveexec_b32 s2, s2
	s_cbranch_execz .LBB88_261
; %bb.260:
	s_delay_alu instid0(VALU_DEP_1) | instskip(SKIP_1) | instid1(VALU_DEP_2)
	v_div_scale_f64 v[197:198], null, v[180:181], v[180:181], v[182:183]
	v_div_scale_f64 v[203:204], vcc_lo, v[182:183], v[180:181], v[182:183]
	v_rcp_f64_e32 v[199:200], v[197:198]
	s_waitcnt_depctr 0xfff
	v_fma_f64 v[201:202], -v[197:198], v[199:200], 1.0
	s_delay_alu instid0(VALU_DEP_1) | instskip(NEXT) | instid1(VALU_DEP_1)
	v_fma_f64 v[199:200], v[199:200], v[201:202], v[199:200]
	v_fma_f64 v[201:202], -v[197:198], v[199:200], 1.0
	s_delay_alu instid0(VALU_DEP_1) | instskip(NEXT) | instid1(VALU_DEP_1)
	v_fma_f64 v[199:200], v[199:200], v[201:202], v[199:200]
	v_mul_f64 v[201:202], v[203:204], v[199:200]
	s_delay_alu instid0(VALU_DEP_1) | instskip(NEXT) | instid1(VALU_DEP_1)
	v_fma_f64 v[197:198], -v[197:198], v[201:202], v[203:204]
	v_div_fmas_f64 v[197:198], v[197:198], v[199:200], v[201:202]
	s_delay_alu instid0(VALU_DEP_1) | instskip(NEXT) | instid1(VALU_DEP_1)
	v_div_fixup_f64 v[197:198], v[197:198], v[180:181], v[182:183]
	v_fma_f64 v[180:181], v[182:183], v[197:198], v[180:181]
	s_delay_alu instid0(VALU_DEP_1) | instskip(NEXT) | instid1(VALU_DEP_1)
	v_div_scale_f64 v[182:183], null, v[180:181], v[180:181], 1.0
	v_rcp_f64_e32 v[199:200], v[182:183]
	s_waitcnt_depctr 0xfff
	v_fma_f64 v[201:202], -v[182:183], v[199:200], 1.0
	s_delay_alu instid0(VALU_DEP_1) | instskip(NEXT) | instid1(VALU_DEP_1)
	v_fma_f64 v[199:200], v[199:200], v[201:202], v[199:200]
	v_fma_f64 v[201:202], -v[182:183], v[199:200], 1.0
	s_delay_alu instid0(VALU_DEP_1) | instskip(SKIP_1) | instid1(VALU_DEP_1)
	v_fma_f64 v[199:200], v[199:200], v[201:202], v[199:200]
	v_div_scale_f64 v[201:202], vcc_lo, 1.0, v[180:181], 1.0
	v_mul_f64 v[203:204], v[201:202], v[199:200]
	s_delay_alu instid0(VALU_DEP_1) | instskip(NEXT) | instid1(VALU_DEP_1)
	v_fma_f64 v[182:183], -v[182:183], v[203:204], v[201:202]
	v_div_fmas_f64 v[182:183], v[182:183], v[199:200], v[203:204]
	s_delay_alu instid0(VALU_DEP_1) | instskip(NEXT) | instid1(VALU_DEP_1)
	v_div_fixup_f64 v[180:181], v[182:183], v[180:181], 1.0
	v_mul_f64 v[182:183], v[197:198], -v[180:181]
.LBB88_261:
	s_or_b32 exec_lo, exec_lo, s2
.LBB88_262:
	s_delay_alu instid0(SALU_CYCLE_1) | instskip(NEXT) | instid1(SALU_CYCLE_1)
	s_or_b32 exec_lo, exec_lo, s3
	s_mov_b32 s2, exec_lo
	v_cmpx_ne_u32_e64 v196, v188
	s_xor_b32 s2, exec_lo, s2
	s_cbranch_execz .LBB88_268
; %bb.263:
	s_mov_b32 s3, exec_lo
	v_cmpx_eq_u32_e32 12, v196
	s_cbranch_execz .LBB88_267
; %bb.264:
	v_cmp_ne_u32_e32 vcc_lo, 12, v188
	s_xor_b32 s6, s4, -1
	s_delay_alu instid0(SALU_CYCLE_1) | instskip(NEXT) | instid1(SALU_CYCLE_1)
	s_and_b32 s7, s6, vcc_lo
	s_and_saveexec_b32 s6, s7
	s_cbranch_execz .LBB88_266
; %bb.265:
	v_ashrrev_i32_e32 v189, 31, v188
	s_delay_alu instid0(VALU_DEP_1) | instskip(NEXT) | instid1(VALU_DEP_1)
	v_lshlrev_b64 v[196:197], 2, v[188:189]
	v_add_co_u32 v196, vcc_lo, v186, v196
	s_delay_alu instid0(VALU_DEP_2)
	v_add_co_ci_u32_e32 v197, vcc_lo, v187, v197, vcc_lo
	s_clause 0x1
	flat_load_b32 v189, v[196:197]
	flat_load_b32 v194, v[186:187] offset:48
	s_waitcnt vmcnt(1) lgkmcnt(1)
	flat_store_b32 v[186:187], v189 offset:48
	s_waitcnt vmcnt(0) lgkmcnt(1)
	flat_store_b32 v[196:197], v194
.LBB88_266:
	s_or_b32 exec_lo, exec_lo, s6
	v_mov_b32_e32 v196, v188
	v_mov_b32_e32 v194, v188
.LBB88_267:
	s_or_b32 exec_lo, exec_lo, s3
.LBB88_268:
	s_and_not1_saveexec_b32 s2, s2
	s_cbranch_execz .LBB88_270
; %bb.269:
	v_mov_b32_e32 v196, 12
	ds_store_2addr_b64 v190, v[124:125], v[126:127] offset0:26 offset1:27
	ds_store_2addr_b64 v190, v[120:121], v[122:123] offset0:28 offset1:29
	;; [unrolled: 1-line block ×32, first 2 shown]
.LBB88_270:
	s_or_b32 exec_lo, exec_lo, s2
	s_delay_alu instid0(SALU_CYCLE_1)
	s_mov_b32 s2, exec_lo
	s_waitcnt lgkmcnt(0)
	s_waitcnt_vscnt null, 0x0
	s_barrier
	buffer_gl0_inv
	v_cmpx_lt_i32_e32 12, v196
	s_cbranch_execz .LBB88_272
; %bb.271:
	v_mul_f64 v[188:189], v[182:183], v[130:131]
	v_mul_f64 v[130:131], v[180:181], v[130:131]
	s_delay_alu instid0(VALU_DEP_2) | instskip(NEXT) | instid1(VALU_DEP_2)
	v_fma_f64 v[188:189], v[180:181], v[128:129], -v[188:189]
	v_fma_f64 v[130:131], v[182:183], v[128:129], v[130:131]
	ds_load_2addr_b64 v[180:183], v190 offset0:26 offset1:27
	s_waitcnt lgkmcnt(0)
	v_mul_f64 v[128:129], v[182:183], v[130:131]
	s_delay_alu instid0(VALU_DEP_1) | instskip(SKIP_1) | instid1(VALU_DEP_2)
	v_fma_f64 v[128:129], v[180:181], v[188:189], -v[128:129]
	v_mul_f64 v[180:181], v[180:181], v[130:131]
	v_add_f64 v[124:125], v[124:125], -v[128:129]
	s_delay_alu instid0(VALU_DEP_2) | instskip(NEXT) | instid1(VALU_DEP_1)
	v_fma_f64 v[180:181], v[182:183], v[188:189], v[180:181]
	v_add_f64 v[126:127], v[126:127], -v[180:181]
	ds_load_2addr_b64 v[180:183], v190 offset0:28 offset1:29
	s_waitcnt lgkmcnt(0)
	v_mul_f64 v[128:129], v[182:183], v[130:131]
	s_delay_alu instid0(VALU_DEP_1) | instskip(SKIP_1) | instid1(VALU_DEP_2)
	v_fma_f64 v[128:129], v[180:181], v[188:189], -v[128:129]
	v_mul_f64 v[180:181], v[180:181], v[130:131]
	v_add_f64 v[120:121], v[120:121], -v[128:129]
	s_delay_alu instid0(VALU_DEP_2) | instskip(NEXT) | instid1(VALU_DEP_1)
	v_fma_f64 v[180:181], v[182:183], v[188:189], v[180:181]
	v_add_f64 v[122:123], v[122:123], -v[180:181]
	;; [unrolled: 10-line block ×31, first 2 shown]
	ds_load_2addr_b64 v[180:183], v190 offset0:88 offset1:89
	s_waitcnt lgkmcnt(0)
	v_mul_f64 v[128:129], v[182:183], v[130:131]
	s_delay_alu instid0(VALU_DEP_1) | instskip(SKIP_1) | instid1(VALU_DEP_2)
	v_fma_f64 v[128:129], v[180:181], v[188:189], -v[128:129]
	v_mul_f64 v[180:181], v[180:181], v[130:131]
	v_add_f64 v[0:1], v[0:1], -v[128:129]
	s_delay_alu instid0(VALU_DEP_2) | instskip(SKIP_1) | instid1(VALU_DEP_2)
	v_fma_f64 v[180:181], v[182:183], v[188:189], v[180:181]
	v_dual_mov_b32 v128, v188 :: v_dual_mov_b32 v129, v189
	v_add_f64 v[2:3], v[2:3], -v[180:181]
.LBB88_272:
	s_or_b32 exec_lo, exec_lo, s2
	v_lshl_add_u32 v180, v196, 4, v190
	s_barrier
	buffer_gl0_inv
	v_mov_b32_e32 v188, 13
	ds_store_2addr_b64 v180, v[124:125], v[126:127] offset1:1
	s_waitcnt lgkmcnt(0)
	s_barrier
	buffer_gl0_inv
	ds_load_2addr_b64 v[180:183], v190 offset0:26 offset1:27
	s_cmp_lt_i32 s5, 15
	s_cbranch_scc1 .LBB88_275
; %bb.273:
	v_add3_u32 v189, v195, 0, 0xe0
	v_mov_b32_e32 v188, 13
	s_mov_b32 s6, 14
	s_set_inst_prefetch_distance 0x1
	.p2align	6
.LBB88_274:                             ; =>This Inner Loop Header: Depth=1
	ds_load_2addr_b64 v[197:200], v189 offset1:1
	s_waitcnt lgkmcnt(1)
	v_cmp_gt_f64_e32 vcc_lo, 0, v[180:181]
	v_xor_b32_e32 v201, 0x80000000, v181
	v_cmp_gt_f64_e64 s2, 0, v[182:183]
	v_xor_b32_e32 v203, 0x80000000, v183
	v_add_nc_u32_e32 v189, 16, v189
	s_waitcnt lgkmcnt(0)
	v_cmp_gt_f64_e64 s3, 0, v[197:198]
	v_mov_b32_e32 v205, v197
	v_dual_mov_b32 v207, v199 :: v_dual_cndmask_b32 v202, v181, v201
	v_xor_b32_e32 v201, 0x80000000, v198
	v_cndmask_b32_e64 v204, v183, v203, s2
	v_xor_b32_e32 v203, 0x80000000, v200
	s_delay_alu instid0(VALU_DEP_3) | instskip(SKIP_2) | instid1(VALU_DEP_2)
	v_cndmask_b32_e64 v206, v198, v201, s3
	v_cmp_gt_f64_e64 s3, 0, v[199:200]
	v_cndmask_b32_e32 v201, v180, v180, vcc_lo
	v_cndmask_b32_e64 v208, v200, v203, s3
	v_cndmask_b32_e64 v203, v182, v182, s2
	s_delay_alu instid0(VALU_DEP_2) | instskip(NEXT) | instid1(VALU_DEP_2)
	v_add_f64 v[205:206], v[205:206], v[207:208]
	v_add_f64 v[201:202], v[201:202], v[203:204]
	s_delay_alu instid0(VALU_DEP_1) | instskip(SKIP_4) | instid1(SALU_CYCLE_1)
	v_cmp_lt_f64_e32 vcc_lo, v[201:202], v[205:206]
	v_dual_cndmask_b32 v182, v182, v199 :: v_dual_cndmask_b32 v181, v181, v198
	v_dual_cndmask_b32 v180, v180, v197 :: v_dual_cndmask_b32 v183, v183, v200
	v_cndmask_b32_e64 v188, v188, s6, vcc_lo
	s_add_i32 s6, s6, 1
	s_cmp_lg_u32 s5, s6
	s_cbranch_scc1 .LBB88_274
.LBB88_275:
	s_set_inst_prefetch_distance 0x2
	s_waitcnt lgkmcnt(0)
	v_cmp_eq_f64_e32 vcc_lo, 0, v[180:181]
	v_cmp_eq_f64_e64 s2, 0, v[182:183]
	s_delay_alu instid0(VALU_DEP_1) | instskip(NEXT) | instid1(SALU_CYCLE_1)
	s_and_b32 s2, vcc_lo, s2
	s_and_saveexec_b32 s3, s2
	s_delay_alu instid0(SALU_CYCLE_1)
	s_xor_b32 s2, exec_lo, s3
; %bb.276:
	v_cmp_ne_u32_e32 vcc_lo, 0, v193
	v_cndmask_b32_e32 v193, 14, v193, vcc_lo
; %bb.277:
	s_and_not1_saveexec_b32 s3, s2
	s_cbranch_execz .LBB88_283
; %bb.278:
	v_cmp_gt_f64_e32 vcc_lo, 0, v[180:181]
	v_cmp_gt_f64_e64 s2, 0, v[182:183]
	v_xor_b32_e32 v189, 0x80000000, v181
	v_xor_b32_e32 v197, 0x80000000, v183
	s_delay_alu instid0(VALU_DEP_2) | instskip(NEXT) | instid1(VALU_DEP_2)
	v_cndmask_b32_e32 v198, v181, v189, vcc_lo
	v_cndmask_b32_e64 v200, v183, v197, s2
	v_cndmask_b32_e32 v197, v180, v180, vcc_lo
	v_cndmask_b32_e64 v199, v182, v182, s2
	s_mov_b32 s2, exec_lo
	s_delay_alu instid0(VALU_DEP_1)
	v_cmpx_ngt_f64_e32 v[197:198], v[199:200]
	s_xor_b32 s2, exec_lo, s2
	s_cbranch_execz .LBB88_280
; %bb.279:
	v_div_scale_f64 v[197:198], null, v[182:183], v[182:183], v[180:181]
	v_div_scale_f64 v[203:204], vcc_lo, v[180:181], v[182:183], v[180:181]
	s_delay_alu instid0(VALU_DEP_2) | instskip(SKIP_2) | instid1(VALU_DEP_1)
	v_rcp_f64_e32 v[199:200], v[197:198]
	s_waitcnt_depctr 0xfff
	v_fma_f64 v[201:202], -v[197:198], v[199:200], 1.0
	v_fma_f64 v[199:200], v[199:200], v[201:202], v[199:200]
	s_delay_alu instid0(VALU_DEP_1) | instskip(NEXT) | instid1(VALU_DEP_1)
	v_fma_f64 v[201:202], -v[197:198], v[199:200], 1.0
	v_fma_f64 v[199:200], v[199:200], v[201:202], v[199:200]
	s_delay_alu instid0(VALU_DEP_1) | instskip(NEXT) | instid1(VALU_DEP_1)
	v_mul_f64 v[201:202], v[203:204], v[199:200]
	v_fma_f64 v[197:198], -v[197:198], v[201:202], v[203:204]
	s_delay_alu instid0(VALU_DEP_1) | instskip(NEXT) | instid1(VALU_DEP_1)
	v_div_fmas_f64 v[197:198], v[197:198], v[199:200], v[201:202]
	v_div_fixup_f64 v[197:198], v[197:198], v[182:183], v[180:181]
	s_delay_alu instid0(VALU_DEP_1) | instskip(NEXT) | instid1(VALU_DEP_1)
	v_fma_f64 v[180:181], v[180:181], v[197:198], v[182:183]
	v_div_scale_f64 v[182:183], null, v[180:181], v[180:181], 1.0
	s_delay_alu instid0(VALU_DEP_1) | instskip(SKIP_2) | instid1(VALU_DEP_1)
	v_rcp_f64_e32 v[199:200], v[182:183]
	s_waitcnt_depctr 0xfff
	v_fma_f64 v[201:202], -v[182:183], v[199:200], 1.0
	v_fma_f64 v[199:200], v[199:200], v[201:202], v[199:200]
	s_delay_alu instid0(VALU_DEP_1) | instskip(NEXT) | instid1(VALU_DEP_1)
	v_fma_f64 v[201:202], -v[182:183], v[199:200], 1.0
	v_fma_f64 v[199:200], v[199:200], v[201:202], v[199:200]
	v_div_scale_f64 v[201:202], vcc_lo, 1.0, v[180:181], 1.0
	s_delay_alu instid0(VALU_DEP_1) | instskip(NEXT) | instid1(VALU_DEP_1)
	v_mul_f64 v[203:204], v[201:202], v[199:200]
	v_fma_f64 v[182:183], -v[182:183], v[203:204], v[201:202]
	s_delay_alu instid0(VALU_DEP_1) | instskip(NEXT) | instid1(VALU_DEP_1)
	v_div_fmas_f64 v[182:183], v[182:183], v[199:200], v[203:204]
	v_div_fixup_f64 v[182:183], v[182:183], v[180:181], 1.0
	s_delay_alu instid0(VALU_DEP_1)
	v_mul_f64 v[180:181], v[197:198], v[182:183]
	v_xor_b32_e32 v183, 0x80000000, v183
.LBB88_280:
	s_and_not1_saveexec_b32 s2, s2
	s_cbranch_execz .LBB88_282
; %bb.281:
	s_delay_alu instid0(VALU_DEP_1) | instskip(SKIP_1) | instid1(VALU_DEP_2)
	v_div_scale_f64 v[197:198], null, v[180:181], v[180:181], v[182:183]
	v_div_scale_f64 v[203:204], vcc_lo, v[182:183], v[180:181], v[182:183]
	v_rcp_f64_e32 v[199:200], v[197:198]
	s_waitcnt_depctr 0xfff
	v_fma_f64 v[201:202], -v[197:198], v[199:200], 1.0
	s_delay_alu instid0(VALU_DEP_1) | instskip(NEXT) | instid1(VALU_DEP_1)
	v_fma_f64 v[199:200], v[199:200], v[201:202], v[199:200]
	v_fma_f64 v[201:202], -v[197:198], v[199:200], 1.0
	s_delay_alu instid0(VALU_DEP_1) | instskip(NEXT) | instid1(VALU_DEP_1)
	v_fma_f64 v[199:200], v[199:200], v[201:202], v[199:200]
	v_mul_f64 v[201:202], v[203:204], v[199:200]
	s_delay_alu instid0(VALU_DEP_1) | instskip(NEXT) | instid1(VALU_DEP_1)
	v_fma_f64 v[197:198], -v[197:198], v[201:202], v[203:204]
	v_div_fmas_f64 v[197:198], v[197:198], v[199:200], v[201:202]
	s_delay_alu instid0(VALU_DEP_1) | instskip(NEXT) | instid1(VALU_DEP_1)
	v_div_fixup_f64 v[197:198], v[197:198], v[180:181], v[182:183]
	v_fma_f64 v[180:181], v[182:183], v[197:198], v[180:181]
	s_delay_alu instid0(VALU_DEP_1) | instskip(NEXT) | instid1(VALU_DEP_1)
	v_div_scale_f64 v[182:183], null, v[180:181], v[180:181], 1.0
	v_rcp_f64_e32 v[199:200], v[182:183]
	s_waitcnt_depctr 0xfff
	v_fma_f64 v[201:202], -v[182:183], v[199:200], 1.0
	s_delay_alu instid0(VALU_DEP_1) | instskip(NEXT) | instid1(VALU_DEP_1)
	v_fma_f64 v[199:200], v[199:200], v[201:202], v[199:200]
	v_fma_f64 v[201:202], -v[182:183], v[199:200], 1.0
	s_delay_alu instid0(VALU_DEP_1) | instskip(SKIP_1) | instid1(VALU_DEP_1)
	v_fma_f64 v[199:200], v[199:200], v[201:202], v[199:200]
	v_div_scale_f64 v[201:202], vcc_lo, 1.0, v[180:181], 1.0
	v_mul_f64 v[203:204], v[201:202], v[199:200]
	s_delay_alu instid0(VALU_DEP_1) | instskip(NEXT) | instid1(VALU_DEP_1)
	v_fma_f64 v[182:183], -v[182:183], v[203:204], v[201:202]
	v_div_fmas_f64 v[182:183], v[182:183], v[199:200], v[203:204]
	s_delay_alu instid0(VALU_DEP_1) | instskip(NEXT) | instid1(VALU_DEP_1)
	v_div_fixup_f64 v[180:181], v[182:183], v[180:181], 1.0
	v_mul_f64 v[182:183], v[197:198], -v[180:181]
.LBB88_282:
	s_or_b32 exec_lo, exec_lo, s2
.LBB88_283:
	s_delay_alu instid0(SALU_CYCLE_1) | instskip(NEXT) | instid1(SALU_CYCLE_1)
	s_or_b32 exec_lo, exec_lo, s3
	s_mov_b32 s2, exec_lo
	v_cmpx_ne_u32_e64 v196, v188
	s_xor_b32 s2, exec_lo, s2
	s_cbranch_execz .LBB88_289
; %bb.284:
	s_mov_b32 s3, exec_lo
	v_cmpx_eq_u32_e32 13, v196
	s_cbranch_execz .LBB88_288
; %bb.285:
	v_cmp_ne_u32_e32 vcc_lo, 13, v188
	s_xor_b32 s6, s4, -1
	s_delay_alu instid0(SALU_CYCLE_1) | instskip(NEXT) | instid1(SALU_CYCLE_1)
	s_and_b32 s7, s6, vcc_lo
	s_and_saveexec_b32 s6, s7
	s_cbranch_execz .LBB88_287
; %bb.286:
	v_ashrrev_i32_e32 v189, 31, v188
	s_delay_alu instid0(VALU_DEP_1) | instskip(NEXT) | instid1(VALU_DEP_1)
	v_lshlrev_b64 v[196:197], 2, v[188:189]
	v_add_co_u32 v196, vcc_lo, v186, v196
	s_delay_alu instid0(VALU_DEP_2)
	v_add_co_ci_u32_e32 v197, vcc_lo, v187, v197, vcc_lo
	s_clause 0x1
	flat_load_b32 v189, v[196:197]
	flat_load_b32 v194, v[186:187] offset:52
	s_waitcnt vmcnt(1) lgkmcnt(1)
	flat_store_b32 v[186:187], v189 offset:52
	s_waitcnt vmcnt(0) lgkmcnt(1)
	flat_store_b32 v[196:197], v194
.LBB88_287:
	s_or_b32 exec_lo, exec_lo, s6
	v_mov_b32_e32 v196, v188
	v_mov_b32_e32 v194, v188
.LBB88_288:
	s_or_b32 exec_lo, exec_lo, s3
.LBB88_289:
	s_and_not1_saveexec_b32 s2, s2
	s_cbranch_execz .LBB88_291
; %bb.290:
	v_mov_b32_e32 v196, 13
	ds_store_2addr_b64 v190, v[120:121], v[122:123] offset0:28 offset1:29
	ds_store_2addr_b64 v190, v[116:117], v[118:119] offset0:30 offset1:31
	;; [unrolled: 1-line block ×31, first 2 shown]
.LBB88_291:
	s_or_b32 exec_lo, exec_lo, s2
	s_delay_alu instid0(SALU_CYCLE_1)
	s_mov_b32 s2, exec_lo
	s_waitcnt lgkmcnt(0)
	s_waitcnt_vscnt null, 0x0
	s_barrier
	buffer_gl0_inv
	v_cmpx_lt_i32_e32 13, v196
	s_cbranch_execz .LBB88_293
; %bb.292:
	v_mul_f64 v[188:189], v[182:183], v[126:127]
	v_mul_f64 v[126:127], v[180:181], v[126:127]
	s_delay_alu instid0(VALU_DEP_2) | instskip(NEXT) | instid1(VALU_DEP_2)
	v_fma_f64 v[188:189], v[180:181], v[124:125], -v[188:189]
	v_fma_f64 v[126:127], v[182:183], v[124:125], v[126:127]
	ds_load_2addr_b64 v[180:183], v190 offset0:28 offset1:29
	s_waitcnt lgkmcnt(0)
	v_mul_f64 v[124:125], v[182:183], v[126:127]
	s_delay_alu instid0(VALU_DEP_1) | instskip(SKIP_1) | instid1(VALU_DEP_2)
	v_fma_f64 v[124:125], v[180:181], v[188:189], -v[124:125]
	v_mul_f64 v[180:181], v[180:181], v[126:127]
	v_add_f64 v[120:121], v[120:121], -v[124:125]
	s_delay_alu instid0(VALU_DEP_2) | instskip(NEXT) | instid1(VALU_DEP_1)
	v_fma_f64 v[180:181], v[182:183], v[188:189], v[180:181]
	v_add_f64 v[122:123], v[122:123], -v[180:181]
	ds_load_2addr_b64 v[180:183], v190 offset0:30 offset1:31
	s_waitcnt lgkmcnt(0)
	v_mul_f64 v[124:125], v[182:183], v[126:127]
	s_delay_alu instid0(VALU_DEP_1) | instskip(SKIP_1) | instid1(VALU_DEP_2)
	v_fma_f64 v[124:125], v[180:181], v[188:189], -v[124:125]
	v_mul_f64 v[180:181], v[180:181], v[126:127]
	v_add_f64 v[116:117], v[116:117], -v[124:125]
	s_delay_alu instid0(VALU_DEP_2) | instskip(NEXT) | instid1(VALU_DEP_1)
	v_fma_f64 v[180:181], v[182:183], v[188:189], v[180:181]
	v_add_f64 v[118:119], v[118:119], -v[180:181]
	;; [unrolled: 10-line block ×30, first 2 shown]
	ds_load_2addr_b64 v[180:183], v190 offset0:88 offset1:89
	s_waitcnt lgkmcnt(0)
	v_mul_f64 v[124:125], v[182:183], v[126:127]
	s_delay_alu instid0(VALU_DEP_1) | instskip(SKIP_1) | instid1(VALU_DEP_2)
	v_fma_f64 v[124:125], v[180:181], v[188:189], -v[124:125]
	v_mul_f64 v[180:181], v[180:181], v[126:127]
	v_add_f64 v[0:1], v[0:1], -v[124:125]
	s_delay_alu instid0(VALU_DEP_2) | instskip(SKIP_1) | instid1(VALU_DEP_2)
	v_fma_f64 v[180:181], v[182:183], v[188:189], v[180:181]
	v_dual_mov_b32 v124, v188 :: v_dual_mov_b32 v125, v189
	v_add_f64 v[2:3], v[2:3], -v[180:181]
.LBB88_293:
	s_or_b32 exec_lo, exec_lo, s2
	v_lshl_add_u32 v180, v196, 4, v190
	s_barrier
	buffer_gl0_inv
	v_mov_b32_e32 v188, 14
	ds_store_2addr_b64 v180, v[120:121], v[122:123] offset1:1
	s_waitcnt lgkmcnt(0)
	s_barrier
	buffer_gl0_inv
	ds_load_2addr_b64 v[180:183], v190 offset0:28 offset1:29
	s_cmp_lt_i32 s5, 16
	s_cbranch_scc1 .LBB88_296
; %bb.294:
	v_add3_u32 v189, v195, 0, 0xf0
	v_mov_b32_e32 v188, 14
	s_mov_b32 s6, 15
	s_set_inst_prefetch_distance 0x1
	.p2align	6
.LBB88_295:                             ; =>This Inner Loop Header: Depth=1
	ds_load_2addr_b64 v[197:200], v189 offset1:1
	s_waitcnt lgkmcnt(1)
	v_cmp_gt_f64_e32 vcc_lo, 0, v[180:181]
	v_xor_b32_e32 v201, 0x80000000, v181
	v_cmp_gt_f64_e64 s2, 0, v[182:183]
	v_xor_b32_e32 v203, 0x80000000, v183
	v_add_nc_u32_e32 v189, 16, v189
	s_waitcnt lgkmcnt(0)
	v_cmp_gt_f64_e64 s3, 0, v[197:198]
	v_mov_b32_e32 v205, v197
	v_dual_mov_b32 v207, v199 :: v_dual_cndmask_b32 v202, v181, v201
	v_xor_b32_e32 v201, 0x80000000, v198
	v_cndmask_b32_e64 v204, v183, v203, s2
	v_xor_b32_e32 v203, 0x80000000, v200
	s_delay_alu instid0(VALU_DEP_3) | instskip(SKIP_2) | instid1(VALU_DEP_2)
	v_cndmask_b32_e64 v206, v198, v201, s3
	v_cmp_gt_f64_e64 s3, 0, v[199:200]
	v_cndmask_b32_e32 v201, v180, v180, vcc_lo
	v_cndmask_b32_e64 v208, v200, v203, s3
	v_cndmask_b32_e64 v203, v182, v182, s2
	s_delay_alu instid0(VALU_DEP_2) | instskip(NEXT) | instid1(VALU_DEP_2)
	v_add_f64 v[205:206], v[205:206], v[207:208]
	v_add_f64 v[201:202], v[201:202], v[203:204]
	s_delay_alu instid0(VALU_DEP_1) | instskip(SKIP_4) | instid1(SALU_CYCLE_1)
	v_cmp_lt_f64_e32 vcc_lo, v[201:202], v[205:206]
	v_dual_cndmask_b32 v182, v182, v199 :: v_dual_cndmask_b32 v181, v181, v198
	v_dual_cndmask_b32 v180, v180, v197 :: v_dual_cndmask_b32 v183, v183, v200
	v_cndmask_b32_e64 v188, v188, s6, vcc_lo
	s_add_i32 s6, s6, 1
	s_cmp_lg_u32 s5, s6
	s_cbranch_scc1 .LBB88_295
.LBB88_296:
	s_set_inst_prefetch_distance 0x2
	s_waitcnt lgkmcnt(0)
	v_cmp_eq_f64_e32 vcc_lo, 0, v[180:181]
	v_cmp_eq_f64_e64 s2, 0, v[182:183]
	s_delay_alu instid0(VALU_DEP_1) | instskip(NEXT) | instid1(SALU_CYCLE_1)
	s_and_b32 s2, vcc_lo, s2
	s_and_saveexec_b32 s3, s2
	s_delay_alu instid0(SALU_CYCLE_1)
	s_xor_b32 s2, exec_lo, s3
; %bb.297:
	v_cmp_ne_u32_e32 vcc_lo, 0, v193
	v_cndmask_b32_e32 v193, 15, v193, vcc_lo
; %bb.298:
	s_and_not1_saveexec_b32 s3, s2
	s_cbranch_execz .LBB88_304
; %bb.299:
	v_cmp_gt_f64_e32 vcc_lo, 0, v[180:181]
	v_cmp_gt_f64_e64 s2, 0, v[182:183]
	v_xor_b32_e32 v189, 0x80000000, v181
	v_xor_b32_e32 v197, 0x80000000, v183
	s_delay_alu instid0(VALU_DEP_2) | instskip(NEXT) | instid1(VALU_DEP_2)
	v_cndmask_b32_e32 v198, v181, v189, vcc_lo
	v_cndmask_b32_e64 v200, v183, v197, s2
	v_cndmask_b32_e32 v197, v180, v180, vcc_lo
	v_cndmask_b32_e64 v199, v182, v182, s2
	s_mov_b32 s2, exec_lo
	s_delay_alu instid0(VALU_DEP_1)
	v_cmpx_ngt_f64_e32 v[197:198], v[199:200]
	s_xor_b32 s2, exec_lo, s2
	s_cbranch_execz .LBB88_301
; %bb.300:
	v_div_scale_f64 v[197:198], null, v[182:183], v[182:183], v[180:181]
	v_div_scale_f64 v[203:204], vcc_lo, v[180:181], v[182:183], v[180:181]
	s_delay_alu instid0(VALU_DEP_2) | instskip(SKIP_2) | instid1(VALU_DEP_1)
	v_rcp_f64_e32 v[199:200], v[197:198]
	s_waitcnt_depctr 0xfff
	v_fma_f64 v[201:202], -v[197:198], v[199:200], 1.0
	v_fma_f64 v[199:200], v[199:200], v[201:202], v[199:200]
	s_delay_alu instid0(VALU_DEP_1) | instskip(NEXT) | instid1(VALU_DEP_1)
	v_fma_f64 v[201:202], -v[197:198], v[199:200], 1.0
	v_fma_f64 v[199:200], v[199:200], v[201:202], v[199:200]
	s_delay_alu instid0(VALU_DEP_1) | instskip(NEXT) | instid1(VALU_DEP_1)
	v_mul_f64 v[201:202], v[203:204], v[199:200]
	v_fma_f64 v[197:198], -v[197:198], v[201:202], v[203:204]
	s_delay_alu instid0(VALU_DEP_1) | instskip(NEXT) | instid1(VALU_DEP_1)
	v_div_fmas_f64 v[197:198], v[197:198], v[199:200], v[201:202]
	v_div_fixup_f64 v[197:198], v[197:198], v[182:183], v[180:181]
	s_delay_alu instid0(VALU_DEP_1) | instskip(NEXT) | instid1(VALU_DEP_1)
	v_fma_f64 v[180:181], v[180:181], v[197:198], v[182:183]
	v_div_scale_f64 v[182:183], null, v[180:181], v[180:181], 1.0
	s_delay_alu instid0(VALU_DEP_1) | instskip(SKIP_2) | instid1(VALU_DEP_1)
	v_rcp_f64_e32 v[199:200], v[182:183]
	s_waitcnt_depctr 0xfff
	v_fma_f64 v[201:202], -v[182:183], v[199:200], 1.0
	v_fma_f64 v[199:200], v[199:200], v[201:202], v[199:200]
	s_delay_alu instid0(VALU_DEP_1) | instskip(NEXT) | instid1(VALU_DEP_1)
	v_fma_f64 v[201:202], -v[182:183], v[199:200], 1.0
	v_fma_f64 v[199:200], v[199:200], v[201:202], v[199:200]
	v_div_scale_f64 v[201:202], vcc_lo, 1.0, v[180:181], 1.0
	s_delay_alu instid0(VALU_DEP_1) | instskip(NEXT) | instid1(VALU_DEP_1)
	v_mul_f64 v[203:204], v[201:202], v[199:200]
	v_fma_f64 v[182:183], -v[182:183], v[203:204], v[201:202]
	s_delay_alu instid0(VALU_DEP_1) | instskip(NEXT) | instid1(VALU_DEP_1)
	v_div_fmas_f64 v[182:183], v[182:183], v[199:200], v[203:204]
	v_div_fixup_f64 v[182:183], v[182:183], v[180:181], 1.0
	s_delay_alu instid0(VALU_DEP_1)
	v_mul_f64 v[180:181], v[197:198], v[182:183]
	v_xor_b32_e32 v183, 0x80000000, v183
.LBB88_301:
	s_and_not1_saveexec_b32 s2, s2
	s_cbranch_execz .LBB88_303
; %bb.302:
	s_delay_alu instid0(VALU_DEP_1) | instskip(SKIP_1) | instid1(VALU_DEP_2)
	v_div_scale_f64 v[197:198], null, v[180:181], v[180:181], v[182:183]
	v_div_scale_f64 v[203:204], vcc_lo, v[182:183], v[180:181], v[182:183]
	v_rcp_f64_e32 v[199:200], v[197:198]
	s_waitcnt_depctr 0xfff
	v_fma_f64 v[201:202], -v[197:198], v[199:200], 1.0
	s_delay_alu instid0(VALU_DEP_1) | instskip(NEXT) | instid1(VALU_DEP_1)
	v_fma_f64 v[199:200], v[199:200], v[201:202], v[199:200]
	v_fma_f64 v[201:202], -v[197:198], v[199:200], 1.0
	s_delay_alu instid0(VALU_DEP_1) | instskip(NEXT) | instid1(VALU_DEP_1)
	v_fma_f64 v[199:200], v[199:200], v[201:202], v[199:200]
	v_mul_f64 v[201:202], v[203:204], v[199:200]
	s_delay_alu instid0(VALU_DEP_1) | instskip(NEXT) | instid1(VALU_DEP_1)
	v_fma_f64 v[197:198], -v[197:198], v[201:202], v[203:204]
	v_div_fmas_f64 v[197:198], v[197:198], v[199:200], v[201:202]
	s_delay_alu instid0(VALU_DEP_1) | instskip(NEXT) | instid1(VALU_DEP_1)
	v_div_fixup_f64 v[197:198], v[197:198], v[180:181], v[182:183]
	v_fma_f64 v[180:181], v[182:183], v[197:198], v[180:181]
	s_delay_alu instid0(VALU_DEP_1) | instskip(NEXT) | instid1(VALU_DEP_1)
	v_div_scale_f64 v[182:183], null, v[180:181], v[180:181], 1.0
	v_rcp_f64_e32 v[199:200], v[182:183]
	s_waitcnt_depctr 0xfff
	v_fma_f64 v[201:202], -v[182:183], v[199:200], 1.0
	s_delay_alu instid0(VALU_DEP_1) | instskip(NEXT) | instid1(VALU_DEP_1)
	v_fma_f64 v[199:200], v[199:200], v[201:202], v[199:200]
	v_fma_f64 v[201:202], -v[182:183], v[199:200], 1.0
	s_delay_alu instid0(VALU_DEP_1) | instskip(SKIP_1) | instid1(VALU_DEP_1)
	v_fma_f64 v[199:200], v[199:200], v[201:202], v[199:200]
	v_div_scale_f64 v[201:202], vcc_lo, 1.0, v[180:181], 1.0
	v_mul_f64 v[203:204], v[201:202], v[199:200]
	s_delay_alu instid0(VALU_DEP_1) | instskip(NEXT) | instid1(VALU_DEP_1)
	v_fma_f64 v[182:183], -v[182:183], v[203:204], v[201:202]
	v_div_fmas_f64 v[182:183], v[182:183], v[199:200], v[203:204]
	s_delay_alu instid0(VALU_DEP_1) | instskip(NEXT) | instid1(VALU_DEP_1)
	v_div_fixup_f64 v[180:181], v[182:183], v[180:181], 1.0
	v_mul_f64 v[182:183], v[197:198], -v[180:181]
.LBB88_303:
	s_or_b32 exec_lo, exec_lo, s2
.LBB88_304:
	s_delay_alu instid0(SALU_CYCLE_1) | instskip(NEXT) | instid1(SALU_CYCLE_1)
	s_or_b32 exec_lo, exec_lo, s3
	s_mov_b32 s2, exec_lo
	v_cmpx_ne_u32_e64 v196, v188
	s_xor_b32 s2, exec_lo, s2
	s_cbranch_execz .LBB88_310
; %bb.305:
	s_mov_b32 s3, exec_lo
	v_cmpx_eq_u32_e32 14, v196
	s_cbranch_execz .LBB88_309
; %bb.306:
	v_cmp_ne_u32_e32 vcc_lo, 14, v188
	s_xor_b32 s6, s4, -1
	s_delay_alu instid0(SALU_CYCLE_1) | instskip(NEXT) | instid1(SALU_CYCLE_1)
	s_and_b32 s7, s6, vcc_lo
	s_and_saveexec_b32 s6, s7
	s_cbranch_execz .LBB88_308
; %bb.307:
	v_ashrrev_i32_e32 v189, 31, v188
	s_delay_alu instid0(VALU_DEP_1) | instskip(NEXT) | instid1(VALU_DEP_1)
	v_lshlrev_b64 v[196:197], 2, v[188:189]
	v_add_co_u32 v196, vcc_lo, v186, v196
	s_delay_alu instid0(VALU_DEP_2)
	v_add_co_ci_u32_e32 v197, vcc_lo, v187, v197, vcc_lo
	s_clause 0x1
	flat_load_b32 v189, v[196:197]
	flat_load_b32 v194, v[186:187] offset:56
	s_waitcnt vmcnt(1) lgkmcnt(1)
	flat_store_b32 v[186:187], v189 offset:56
	s_waitcnt vmcnt(0) lgkmcnt(1)
	flat_store_b32 v[196:197], v194
.LBB88_308:
	s_or_b32 exec_lo, exec_lo, s6
	v_mov_b32_e32 v196, v188
	v_mov_b32_e32 v194, v188
.LBB88_309:
	s_or_b32 exec_lo, exec_lo, s3
.LBB88_310:
	s_and_not1_saveexec_b32 s2, s2
	s_cbranch_execz .LBB88_312
; %bb.311:
	v_mov_b32_e32 v196, 14
	ds_store_2addr_b64 v190, v[116:117], v[118:119] offset0:30 offset1:31
	ds_store_2addr_b64 v190, v[112:113], v[114:115] offset0:32 offset1:33
	ds_store_2addr_b64 v190, v[108:109], v[110:111] offset0:34 offset1:35
	ds_store_2addr_b64 v190, v[104:105], v[106:107] offset0:36 offset1:37
	ds_store_2addr_b64 v190, v[100:101], v[102:103] offset0:38 offset1:39
	ds_store_2addr_b64 v190, v[96:97], v[98:99] offset0:40 offset1:41
	ds_store_2addr_b64 v190, v[92:93], v[94:95] offset0:42 offset1:43
	ds_store_2addr_b64 v190, v[88:89], v[90:91] offset0:44 offset1:45
	ds_store_2addr_b64 v190, v[84:85], v[86:87] offset0:46 offset1:47
	ds_store_2addr_b64 v190, v[80:81], v[82:83] offset0:48 offset1:49
	ds_store_2addr_b64 v190, v[76:77], v[78:79] offset0:50 offset1:51
	ds_store_2addr_b64 v190, v[72:73], v[74:75] offset0:52 offset1:53
	ds_store_2addr_b64 v190, v[68:69], v[70:71] offset0:54 offset1:55
	ds_store_2addr_b64 v190, v[64:65], v[66:67] offset0:56 offset1:57
	ds_store_2addr_b64 v190, v[60:61], v[62:63] offset0:58 offset1:59
	ds_store_2addr_b64 v190, v[56:57], v[58:59] offset0:60 offset1:61
	ds_store_2addr_b64 v190, v[52:53], v[54:55] offset0:62 offset1:63
	ds_store_2addr_b64 v190, v[48:49], v[50:51] offset0:64 offset1:65
	ds_store_2addr_b64 v190, v[44:45], v[46:47] offset0:66 offset1:67
	ds_store_2addr_b64 v190, v[40:41], v[42:43] offset0:68 offset1:69
	ds_store_2addr_b64 v190, v[36:37], v[38:39] offset0:70 offset1:71
	ds_store_2addr_b64 v190, v[32:33], v[34:35] offset0:72 offset1:73
	ds_store_2addr_b64 v190, v[28:29], v[30:31] offset0:74 offset1:75
	ds_store_2addr_b64 v190, v[24:25], v[26:27] offset0:76 offset1:77
	ds_store_2addr_b64 v190, v[20:21], v[22:23] offset0:78 offset1:79
	ds_store_2addr_b64 v190, v[16:17], v[18:19] offset0:80 offset1:81
	ds_store_2addr_b64 v190, v[12:13], v[14:15] offset0:82 offset1:83
	ds_store_2addr_b64 v190, v[8:9], v[10:11] offset0:84 offset1:85
	ds_store_2addr_b64 v190, v[4:5], v[6:7] offset0:86 offset1:87
	ds_store_2addr_b64 v190, v[0:1], v[2:3] offset0:88 offset1:89
.LBB88_312:
	s_or_b32 exec_lo, exec_lo, s2
	s_delay_alu instid0(SALU_CYCLE_1)
	s_mov_b32 s2, exec_lo
	s_waitcnt lgkmcnt(0)
	s_waitcnt_vscnt null, 0x0
	s_barrier
	buffer_gl0_inv
	v_cmpx_lt_i32_e32 14, v196
	s_cbranch_execz .LBB88_314
; %bb.313:
	v_mul_f64 v[188:189], v[182:183], v[122:123]
	v_mul_f64 v[122:123], v[180:181], v[122:123]
	s_delay_alu instid0(VALU_DEP_2) | instskip(NEXT) | instid1(VALU_DEP_2)
	v_fma_f64 v[188:189], v[180:181], v[120:121], -v[188:189]
	v_fma_f64 v[122:123], v[182:183], v[120:121], v[122:123]
	ds_load_2addr_b64 v[180:183], v190 offset0:30 offset1:31
	s_waitcnt lgkmcnt(0)
	v_mul_f64 v[120:121], v[182:183], v[122:123]
	s_delay_alu instid0(VALU_DEP_1) | instskip(SKIP_1) | instid1(VALU_DEP_2)
	v_fma_f64 v[120:121], v[180:181], v[188:189], -v[120:121]
	v_mul_f64 v[180:181], v[180:181], v[122:123]
	v_add_f64 v[116:117], v[116:117], -v[120:121]
	s_delay_alu instid0(VALU_DEP_2) | instskip(NEXT) | instid1(VALU_DEP_1)
	v_fma_f64 v[180:181], v[182:183], v[188:189], v[180:181]
	v_add_f64 v[118:119], v[118:119], -v[180:181]
	ds_load_2addr_b64 v[180:183], v190 offset0:32 offset1:33
	s_waitcnt lgkmcnt(0)
	v_mul_f64 v[120:121], v[182:183], v[122:123]
	s_delay_alu instid0(VALU_DEP_1) | instskip(SKIP_1) | instid1(VALU_DEP_2)
	v_fma_f64 v[120:121], v[180:181], v[188:189], -v[120:121]
	v_mul_f64 v[180:181], v[180:181], v[122:123]
	v_add_f64 v[112:113], v[112:113], -v[120:121]
	s_delay_alu instid0(VALU_DEP_2) | instskip(NEXT) | instid1(VALU_DEP_1)
	v_fma_f64 v[180:181], v[182:183], v[188:189], v[180:181]
	v_add_f64 v[114:115], v[114:115], -v[180:181]
	;; [unrolled: 10-line block ×29, first 2 shown]
	ds_load_2addr_b64 v[180:183], v190 offset0:88 offset1:89
	s_waitcnt lgkmcnt(0)
	v_mul_f64 v[120:121], v[182:183], v[122:123]
	s_delay_alu instid0(VALU_DEP_1) | instskip(SKIP_1) | instid1(VALU_DEP_2)
	v_fma_f64 v[120:121], v[180:181], v[188:189], -v[120:121]
	v_mul_f64 v[180:181], v[180:181], v[122:123]
	v_add_f64 v[0:1], v[0:1], -v[120:121]
	s_delay_alu instid0(VALU_DEP_2) | instskip(SKIP_1) | instid1(VALU_DEP_2)
	v_fma_f64 v[180:181], v[182:183], v[188:189], v[180:181]
	v_dual_mov_b32 v120, v188 :: v_dual_mov_b32 v121, v189
	v_add_f64 v[2:3], v[2:3], -v[180:181]
.LBB88_314:
	s_or_b32 exec_lo, exec_lo, s2
	v_lshl_add_u32 v180, v196, 4, v190
	s_barrier
	buffer_gl0_inv
	v_mov_b32_e32 v188, 15
	ds_store_2addr_b64 v180, v[116:117], v[118:119] offset1:1
	s_waitcnt lgkmcnt(0)
	s_barrier
	buffer_gl0_inv
	ds_load_2addr_b64 v[180:183], v190 offset0:30 offset1:31
	s_cmp_lt_i32 s5, 17
	s_cbranch_scc1 .LBB88_317
; %bb.315:
	v_add3_u32 v189, v195, 0, 0x100
	v_mov_b32_e32 v188, 15
	s_mov_b32 s6, 16
	s_set_inst_prefetch_distance 0x1
	.p2align	6
.LBB88_316:                             ; =>This Inner Loop Header: Depth=1
	ds_load_2addr_b64 v[197:200], v189 offset1:1
	s_waitcnt lgkmcnt(1)
	v_cmp_gt_f64_e32 vcc_lo, 0, v[180:181]
	v_xor_b32_e32 v201, 0x80000000, v181
	v_cmp_gt_f64_e64 s2, 0, v[182:183]
	v_xor_b32_e32 v203, 0x80000000, v183
	v_add_nc_u32_e32 v189, 16, v189
	s_waitcnt lgkmcnt(0)
	v_cmp_gt_f64_e64 s3, 0, v[197:198]
	v_mov_b32_e32 v205, v197
	v_dual_mov_b32 v207, v199 :: v_dual_cndmask_b32 v202, v181, v201
	v_xor_b32_e32 v201, 0x80000000, v198
	v_cndmask_b32_e64 v204, v183, v203, s2
	v_xor_b32_e32 v203, 0x80000000, v200
	s_delay_alu instid0(VALU_DEP_3) | instskip(SKIP_2) | instid1(VALU_DEP_2)
	v_cndmask_b32_e64 v206, v198, v201, s3
	v_cmp_gt_f64_e64 s3, 0, v[199:200]
	v_cndmask_b32_e32 v201, v180, v180, vcc_lo
	v_cndmask_b32_e64 v208, v200, v203, s3
	v_cndmask_b32_e64 v203, v182, v182, s2
	s_delay_alu instid0(VALU_DEP_2) | instskip(NEXT) | instid1(VALU_DEP_2)
	v_add_f64 v[205:206], v[205:206], v[207:208]
	v_add_f64 v[201:202], v[201:202], v[203:204]
	s_delay_alu instid0(VALU_DEP_1) | instskip(SKIP_4) | instid1(SALU_CYCLE_1)
	v_cmp_lt_f64_e32 vcc_lo, v[201:202], v[205:206]
	v_dual_cndmask_b32 v182, v182, v199 :: v_dual_cndmask_b32 v181, v181, v198
	v_dual_cndmask_b32 v180, v180, v197 :: v_dual_cndmask_b32 v183, v183, v200
	v_cndmask_b32_e64 v188, v188, s6, vcc_lo
	s_add_i32 s6, s6, 1
	s_cmp_lg_u32 s5, s6
	s_cbranch_scc1 .LBB88_316
.LBB88_317:
	s_set_inst_prefetch_distance 0x2
	s_waitcnt lgkmcnt(0)
	v_cmp_eq_f64_e32 vcc_lo, 0, v[180:181]
	v_cmp_eq_f64_e64 s2, 0, v[182:183]
	s_delay_alu instid0(VALU_DEP_1) | instskip(NEXT) | instid1(SALU_CYCLE_1)
	s_and_b32 s2, vcc_lo, s2
	s_and_saveexec_b32 s3, s2
	s_delay_alu instid0(SALU_CYCLE_1)
	s_xor_b32 s2, exec_lo, s3
; %bb.318:
	v_cmp_ne_u32_e32 vcc_lo, 0, v193
	v_cndmask_b32_e32 v193, 16, v193, vcc_lo
; %bb.319:
	s_and_not1_saveexec_b32 s3, s2
	s_cbranch_execz .LBB88_325
; %bb.320:
	v_cmp_gt_f64_e32 vcc_lo, 0, v[180:181]
	v_cmp_gt_f64_e64 s2, 0, v[182:183]
	v_xor_b32_e32 v189, 0x80000000, v181
	v_xor_b32_e32 v197, 0x80000000, v183
	s_delay_alu instid0(VALU_DEP_2) | instskip(NEXT) | instid1(VALU_DEP_2)
	v_cndmask_b32_e32 v198, v181, v189, vcc_lo
	v_cndmask_b32_e64 v200, v183, v197, s2
	v_cndmask_b32_e32 v197, v180, v180, vcc_lo
	v_cndmask_b32_e64 v199, v182, v182, s2
	s_mov_b32 s2, exec_lo
	s_delay_alu instid0(VALU_DEP_1)
	v_cmpx_ngt_f64_e32 v[197:198], v[199:200]
	s_xor_b32 s2, exec_lo, s2
	s_cbranch_execz .LBB88_322
; %bb.321:
	v_div_scale_f64 v[197:198], null, v[182:183], v[182:183], v[180:181]
	v_div_scale_f64 v[203:204], vcc_lo, v[180:181], v[182:183], v[180:181]
	s_delay_alu instid0(VALU_DEP_2) | instskip(SKIP_2) | instid1(VALU_DEP_1)
	v_rcp_f64_e32 v[199:200], v[197:198]
	s_waitcnt_depctr 0xfff
	v_fma_f64 v[201:202], -v[197:198], v[199:200], 1.0
	v_fma_f64 v[199:200], v[199:200], v[201:202], v[199:200]
	s_delay_alu instid0(VALU_DEP_1) | instskip(NEXT) | instid1(VALU_DEP_1)
	v_fma_f64 v[201:202], -v[197:198], v[199:200], 1.0
	v_fma_f64 v[199:200], v[199:200], v[201:202], v[199:200]
	s_delay_alu instid0(VALU_DEP_1) | instskip(NEXT) | instid1(VALU_DEP_1)
	v_mul_f64 v[201:202], v[203:204], v[199:200]
	v_fma_f64 v[197:198], -v[197:198], v[201:202], v[203:204]
	s_delay_alu instid0(VALU_DEP_1) | instskip(NEXT) | instid1(VALU_DEP_1)
	v_div_fmas_f64 v[197:198], v[197:198], v[199:200], v[201:202]
	v_div_fixup_f64 v[197:198], v[197:198], v[182:183], v[180:181]
	s_delay_alu instid0(VALU_DEP_1) | instskip(NEXT) | instid1(VALU_DEP_1)
	v_fma_f64 v[180:181], v[180:181], v[197:198], v[182:183]
	v_div_scale_f64 v[182:183], null, v[180:181], v[180:181], 1.0
	s_delay_alu instid0(VALU_DEP_1) | instskip(SKIP_2) | instid1(VALU_DEP_1)
	v_rcp_f64_e32 v[199:200], v[182:183]
	s_waitcnt_depctr 0xfff
	v_fma_f64 v[201:202], -v[182:183], v[199:200], 1.0
	v_fma_f64 v[199:200], v[199:200], v[201:202], v[199:200]
	s_delay_alu instid0(VALU_DEP_1) | instskip(NEXT) | instid1(VALU_DEP_1)
	v_fma_f64 v[201:202], -v[182:183], v[199:200], 1.0
	v_fma_f64 v[199:200], v[199:200], v[201:202], v[199:200]
	v_div_scale_f64 v[201:202], vcc_lo, 1.0, v[180:181], 1.0
	s_delay_alu instid0(VALU_DEP_1) | instskip(NEXT) | instid1(VALU_DEP_1)
	v_mul_f64 v[203:204], v[201:202], v[199:200]
	v_fma_f64 v[182:183], -v[182:183], v[203:204], v[201:202]
	s_delay_alu instid0(VALU_DEP_1) | instskip(NEXT) | instid1(VALU_DEP_1)
	v_div_fmas_f64 v[182:183], v[182:183], v[199:200], v[203:204]
	v_div_fixup_f64 v[182:183], v[182:183], v[180:181], 1.0
	s_delay_alu instid0(VALU_DEP_1)
	v_mul_f64 v[180:181], v[197:198], v[182:183]
	v_xor_b32_e32 v183, 0x80000000, v183
.LBB88_322:
	s_and_not1_saveexec_b32 s2, s2
	s_cbranch_execz .LBB88_324
; %bb.323:
	s_delay_alu instid0(VALU_DEP_1) | instskip(SKIP_1) | instid1(VALU_DEP_2)
	v_div_scale_f64 v[197:198], null, v[180:181], v[180:181], v[182:183]
	v_div_scale_f64 v[203:204], vcc_lo, v[182:183], v[180:181], v[182:183]
	v_rcp_f64_e32 v[199:200], v[197:198]
	s_waitcnt_depctr 0xfff
	v_fma_f64 v[201:202], -v[197:198], v[199:200], 1.0
	s_delay_alu instid0(VALU_DEP_1) | instskip(NEXT) | instid1(VALU_DEP_1)
	v_fma_f64 v[199:200], v[199:200], v[201:202], v[199:200]
	v_fma_f64 v[201:202], -v[197:198], v[199:200], 1.0
	s_delay_alu instid0(VALU_DEP_1) | instskip(NEXT) | instid1(VALU_DEP_1)
	v_fma_f64 v[199:200], v[199:200], v[201:202], v[199:200]
	v_mul_f64 v[201:202], v[203:204], v[199:200]
	s_delay_alu instid0(VALU_DEP_1) | instskip(NEXT) | instid1(VALU_DEP_1)
	v_fma_f64 v[197:198], -v[197:198], v[201:202], v[203:204]
	v_div_fmas_f64 v[197:198], v[197:198], v[199:200], v[201:202]
	s_delay_alu instid0(VALU_DEP_1) | instskip(NEXT) | instid1(VALU_DEP_1)
	v_div_fixup_f64 v[197:198], v[197:198], v[180:181], v[182:183]
	v_fma_f64 v[180:181], v[182:183], v[197:198], v[180:181]
	s_delay_alu instid0(VALU_DEP_1) | instskip(NEXT) | instid1(VALU_DEP_1)
	v_div_scale_f64 v[182:183], null, v[180:181], v[180:181], 1.0
	v_rcp_f64_e32 v[199:200], v[182:183]
	s_waitcnt_depctr 0xfff
	v_fma_f64 v[201:202], -v[182:183], v[199:200], 1.0
	s_delay_alu instid0(VALU_DEP_1) | instskip(NEXT) | instid1(VALU_DEP_1)
	v_fma_f64 v[199:200], v[199:200], v[201:202], v[199:200]
	v_fma_f64 v[201:202], -v[182:183], v[199:200], 1.0
	s_delay_alu instid0(VALU_DEP_1) | instskip(SKIP_1) | instid1(VALU_DEP_1)
	v_fma_f64 v[199:200], v[199:200], v[201:202], v[199:200]
	v_div_scale_f64 v[201:202], vcc_lo, 1.0, v[180:181], 1.0
	v_mul_f64 v[203:204], v[201:202], v[199:200]
	s_delay_alu instid0(VALU_DEP_1) | instskip(NEXT) | instid1(VALU_DEP_1)
	v_fma_f64 v[182:183], -v[182:183], v[203:204], v[201:202]
	v_div_fmas_f64 v[182:183], v[182:183], v[199:200], v[203:204]
	s_delay_alu instid0(VALU_DEP_1) | instskip(NEXT) | instid1(VALU_DEP_1)
	v_div_fixup_f64 v[180:181], v[182:183], v[180:181], 1.0
	v_mul_f64 v[182:183], v[197:198], -v[180:181]
.LBB88_324:
	s_or_b32 exec_lo, exec_lo, s2
.LBB88_325:
	s_delay_alu instid0(SALU_CYCLE_1) | instskip(NEXT) | instid1(SALU_CYCLE_1)
	s_or_b32 exec_lo, exec_lo, s3
	s_mov_b32 s2, exec_lo
	v_cmpx_ne_u32_e64 v196, v188
	s_xor_b32 s2, exec_lo, s2
	s_cbranch_execz .LBB88_331
; %bb.326:
	s_mov_b32 s3, exec_lo
	v_cmpx_eq_u32_e32 15, v196
	s_cbranch_execz .LBB88_330
; %bb.327:
	v_cmp_ne_u32_e32 vcc_lo, 15, v188
	s_xor_b32 s6, s4, -1
	s_delay_alu instid0(SALU_CYCLE_1) | instskip(NEXT) | instid1(SALU_CYCLE_1)
	s_and_b32 s7, s6, vcc_lo
	s_and_saveexec_b32 s6, s7
	s_cbranch_execz .LBB88_329
; %bb.328:
	v_ashrrev_i32_e32 v189, 31, v188
	s_delay_alu instid0(VALU_DEP_1) | instskip(NEXT) | instid1(VALU_DEP_1)
	v_lshlrev_b64 v[196:197], 2, v[188:189]
	v_add_co_u32 v196, vcc_lo, v186, v196
	s_delay_alu instid0(VALU_DEP_2)
	v_add_co_ci_u32_e32 v197, vcc_lo, v187, v197, vcc_lo
	s_clause 0x1
	flat_load_b32 v189, v[196:197]
	flat_load_b32 v194, v[186:187] offset:60
	s_waitcnt vmcnt(1) lgkmcnt(1)
	flat_store_b32 v[186:187], v189 offset:60
	s_waitcnt vmcnt(0) lgkmcnt(1)
	flat_store_b32 v[196:197], v194
.LBB88_329:
	s_or_b32 exec_lo, exec_lo, s6
	v_mov_b32_e32 v196, v188
	v_mov_b32_e32 v194, v188
.LBB88_330:
	s_or_b32 exec_lo, exec_lo, s3
.LBB88_331:
	s_and_not1_saveexec_b32 s2, s2
	s_cbranch_execz .LBB88_333
; %bb.332:
	v_mov_b32_e32 v196, 15
	ds_store_2addr_b64 v190, v[112:113], v[114:115] offset0:32 offset1:33
	ds_store_2addr_b64 v190, v[108:109], v[110:111] offset0:34 offset1:35
	;; [unrolled: 1-line block ×29, first 2 shown]
.LBB88_333:
	s_or_b32 exec_lo, exec_lo, s2
	s_delay_alu instid0(SALU_CYCLE_1)
	s_mov_b32 s2, exec_lo
	s_waitcnt lgkmcnt(0)
	s_waitcnt_vscnt null, 0x0
	s_barrier
	buffer_gl0_inv
	v_cmpx_lt_i32_e32 15, v196
	s_cbranch_execz .LBB88_335
; %bb.334:
	v_mul_f64 v[188:189], v[182:183], v[118:119]
	v_mul_f64 v[118:119], v[180:181], v[118:119]
	s_delay_alu instid0(VALU_DEP_2) | instskip(NEXT) | instid1(VALU_DEP_2)
	v_fma_f64 v[188:189], v[180:181], v[116:117], -v[188:189]
	v_fma_f64 v[118:119], v[182:183], v[116:117], v[118:119]
	ds_load_2addr_b64 v[180:183], v190 offset0:32 offset1:33
	s_waitcnt lgkmcnt(0)
	v_mul_f64 v[116:117], v[182:183], v[118:119]
	s_delay_alu instid0(VALU_DEP_1) | instskip(SKIP_1) | instid1(VALU_DEP_2)
	v_fma_f64 v[116:117], v[180:181], v[188:189], -v[116:117]
	v_mul_f64 v[180:181], v[180:181], v[118:119]
	v_add_f64 v[112:113], v[112:113], -v[116:117]
	s_delay_alu instid0(VALU_DEP_2) | instskip(NEXT) | instid1(VALU_DEP_1)
	v_fma_f64 v[180:181], v[182:183], v[188:189], v[180:181]
	v_add_f64 v[114:115], v[114:115], -v[180:181]
	ds_load_2addr_b64 v[180:183], v190 offset0:34 offset1:35
	s_waitcnt lgkmcnt(0)
	v_mul_f64 v[116:117], v[182:183], v[118:119]
	s_delay_alu instid0(VALU_DEP_1) | instskip(SKIP_1) | instid1(VALU_DEP_2)
	v_fma_f64 v[116:117], v[180:181], v[188:189], -v[116:117]
	v_mul_f64 v[180:181], v[180:181], v[118:119]
	v_add_f64 v[108:109], v[108:109], -v[116:117]
	s_delay_alu instid0(VALU_DEP_2) | instskip(NEXT) | instid1(VALU_DEP_1)
	v_fma_f64 v[180:181], v[182:183], v[188:189], v[180:181]
	v_add_f64 v[110:111], v[110:111], -v[180:181]
	;; [unrolled: 10-line block ×28, first 2 shown]
	ds_load_2addr_b64 v[180:183], v190 offset0:88 offset1:89
	s_waitcnt lgkmcnt(0)
	v_mul_f64 v[116:117], v[182:183], v[118:119]
	s_delay_alu instid0(VALU_DEP_1) | instskip(SKIP_1) | instid1(VALU_DEP_2)
	v_fma_f64 v[116:117], v[180:181], v[188:189], -v[116:117]
	v_mul_f64 v[180:181], v[180:181], v[118:119]
	v_add_f64 v[0:1], v[0:1], -v[116:117]
	s_delay_alu instid0(VALU_DEP_2) | instskip(SKIP_1) | instid1(VALU_DEP_2)
	v_fma_f64 v[180:181], v[182:183], v[188:189], v[180:181]
	v_dual_mov_b32 v116, v188 :: v_dual_mov_b32 v117, v189
	v_add_f64 v[2:3], v[2:3], -v[180:181]
.LBB88_335:
	s_or_b32 exec_lo, exec_lo, s2
	v_lshl_add_u32 v180, v196, 4, v190
	s_barrier
	buffer_gl0_inv
	v_mov_b32_e32 v188, 16
	ds_store_2addr_b64 v180, v[112:113], v[114:115] offset1:1
	s_waitcnt lgkmcnt(0)
	s_barrier
	buffer_gl0_inv
	ds_load_2addr_b64 v[180:183], v190 offset0:32 offset1:33
	s_cmp_lt_i32 s5, 18
	s_cbranch_scc1 .LBB88_338
; %bb.336:
	v_add3_u32 v189, v195, 0, 0x110
	v_mov_b32_e32 v188, 16
	s_mov_b32 s6, 17
	s_set_inst_prefetch_distance 0x1
	.p2align	6
.LBB88_337:                             ; =>This Inner Loop Header: Depth=1
	ds_load_2addr_b64 v[197:200], v189 offset1:1
	s_waitcnt lgkmcnt(1)
	v_cmp_gt_f64_e32 vcc_lo, 0, v[180:181]
	v_xor_b32_e32 v201, 0x80000000, v181
	v_cmp_gt_f64_e64 s2, 0, v[182:183]
	v_xor_b32_e32 v203, 0x80000000, v183
	v_add_nc_u32_e32 v189, 16, v189
	s_waitcnt lgkmcnt(0)
	v_cmp_gt_f64_e64 s3, 0, v[197:198]
	v_mov_b32_e32 v205, v197
	v_dual_mov_b32 v207, v199 :: v_dual_cndmask_b32 v202, v181, v201
	v_xor_b32_e32 v201, 0x80000000, v198
	v_cndmask_b32_e64 v204, v183, v203, s2
	v_xor_b32_e32 v203, 0x80000000, v200
	s_delay_alu instid0(VALU_DEP_3) | instskip(SKIP_2) | instid1(VALU_DEP_2)
	v_cndmask_b32_e64 v206, v198, v201, s3
	v_cmp_gt_f64_e64 s3, 0, v[199:200]
	v_cndmask_b32_e32 v201, v180, v180, vcc_lo
	v_cndmask_b32_e64 v208, v200, v203, s3
	v_cndmask_b32_e64 v203, v182, v182, s2
	s_delay_alu instid0(VALU_DEP_2) | instskip(NEXT) | instid1(VALU_DEP_2)
	v_add_f64 v[205:206], v[205:206], v[207:208]
	v_add_f64 v[201:202], v[201:202], v[203:204]
	s_delay_alu instid0(VALU_DEP_1) | instskip(SKIP_4) | instid1(SALU_CYCLE_1)
	v_cmp_lt_f64_e32 vcc_lo, v[201:202], v[205:206]
	v_dual_cndmask_b32 v182, v182, v199 :: v_dual_cndmask_b32 v181, v181, v198
	v_dual_cndmask_b32 v180, v180, v197 :: v_dual_cndmask_b32 v183, v183, v200
	v_cndmask_b32_e64 v188, v188, s6, vcc_lo
	s_add_i32 s6, s6, 1
	s_cmp_lg_u32 s5, s6
	s_cbranch_scc1 .LBB88_337
.LBB88_338:
	s_set_inst_prefetch_distance 0x2
	s_waitcnt lgkmcnt(0)
	v_cmp_eq_f64_e32 vcc_lo, 0, v[180:181]
	v_cmp_eq_f64_e64 s2, 0, v[182:183]
	s_delay_alu instid0(VALU_DEP_1) | instskip(NEXT) | instid1(SALU_CYCLE_1)
	s_and_b32 s2, vcc_lo, s2
	s_and_saveexec_b32 s3, s2
	s_delay_alu instid0(SALU_CYCLE_1)
	s_xor_b32 s2, exec_lo, s3
; %bb.339:
	v_cmp_ne_u32_e32 vcc_lo, 0, v193
	v_cndmask_b32_e32 v193, 17, v193, vcc_lo
; %bb.340:
	s_and_not1_saveexec_b32 s3, s2
	s_cbranch_execz .LBB88_346
; %bb.341:
	v_cmp_gt_f64_e32 vcc_lo, 0, v[180:181]
	v_cmp_gt_f64_e64 s2, 0, v[182:183]
	v_xor_b32_e32 v189, 0x80000000, v181
	v_xor_b32_e32 v197, 0x80000000, v183
	s_delay_alu instid0(VALU_DEP_2) | instskip(NEXT) | instid1(VALU_DEP_2)
	v_cndmask_b32_e32 v198, v181, v189, vcc_lo
	v_cndmask_b32_e64 v200, v183, v197, s2
	v_cndmask_b32_e32 v197, v180, v180, vcc_lo
	v_cndmask_b32_e64 v199, v182, v182, s2
	s_mov_b32 s2, exec_lo
	s_delay_alu instid0(VALU_DEP_1)
	v_cmpx_ngt_f64_e32 v[197:198], v[199:200]
	s_xor_b32 s2, exec_lo, s2
	s_cbranch_execz .LBB88_343
; %bb.342:
	v_div_scale_f64 v[197:198], null, v[182:183], v[182:183], v[180:181]
	v_div_scale_f64 v[203:204], vcc_lo, v[180:181], v[182:183], v[180:181]
	s_delay_alu instid0(VALU_DEP_2) | instskip(SKIP_2) | instid1(VALU_DEP_1)
	v_rcp_f64_e32 v[199:200], v[197:198]
	s_waitcnt_depctr 0xfff
	v_fma_f64 v[201:202], -v[197:198], v[199:200], 1.0
	v_fma_f64 v[199:200], v[199:200], v[201:202], v[199:200]
	s_delay_alu instid0(VALU_DEP_1) | instskip(NEXT) | instid1(VALU_DEP_1)
	v_fma_f64 v[201:202], -v[197:198], v[199:200], 1.0
	v_fma_f64 v[199:200], v[199:200], v[201:202], v[199:200]
	s_delay_alu instid0(VALU_DEP_1) | instskip(NEXT) | instid1(VALU_DEP_1)
	v_mul_f64 v[201:202], v[203:204], v[199:200]
	v_fma_f64 v[197:198], -v[197:198], v[201:202], v[203:204]
	s_delay_alu instid0(VALU_DEP_1) | instskip(NEXT) | instid1(VALU_DEP_1)
	v_div_fmas_f64 v[197:198], v[197:198], v[199:200], v[201:202]
	v_div_fixup_f64 v[197:198], v[197:198], v[182:183], v[180:181]
	s_delay_alu instid0(VALU_DEP_1) | instskip(NEXT) | instid1(VALU_DEP_1)
	v_fma_f64 v[180:181], v[180:181], v[197:198], v[182:183]
	v_div_scale_f64 v[182:183], null, v[180:181], v[180:181], 1.0
	s_delay_alu instid0(VALU_DEP_1) | instskip(SKIP_2) | instid1(VALU_DEP_1)
	v_rcp_f64_e32 v[199:200], v[182:183]
	s_waitcnt_depctr 0xfff
	v_fma_f64 v[201:202], -v[182:183], v[199:200], 1.0
	v_fma_f64 v[199:200], v[199:200], v[201:202], v[199:200]
	s_delay_alu instid0(VALU_DEP_1) | instskip(NEXT) | instid1(VALU_DEP_1)
	v_fma_f64 v[201:202], -v[182:183], v[199:200], 1.0
	v_fma_f64 v[199:200], v[199:200], v[201:202], v[199:200]
	v_div_scale_f64 v[201:202], vcc_lo, 1.0, v[180:181], 1.0
	s_delay_alu instid0(VALU_DEP_1) | instskip(NEXT) | instid1(VALU_DEP_1)
	v_mul_f64 v[203:204], v[201:202], v[199:200]
	v_fma_f64 v[182:183], -v[182:183], v[203:204], v[201:202]
	s_delay_alu instid0(VALU_DEP_1) | instskip(NEXT) | instid1(VALU_DEP_1)
	v_div_fmas_f64 v[182:183], v[182:183], v[199:200], v[203:204]
	v_div_fixup_f64 v[182:183], v[182:183], v[180:181], 1.0
	s_delay_alu instid0(VALU_DEP_1)
	v_mul_f64 v[180:181], v[197:198], v[182:183]
	v_xor_b32_e32 v183, 0x80000000, v183
.LBB88_343:
	s_and_not1_saveexec_b32 s2, s2
	s_cbranch_execz .LBB88_345
; %bb.344:
	s_delay_alu instid0(VALU_DEP_1) | instskip(SKIP_1) | instid1(VALU_DEP_2)
	v_div_scale_f64 v[197:198], null, v[180:181], v[180:181], v[182:183]
	v_div_scale_f64 v[203:204], vcc_lo, v[182:183], v[180:181], v[182:183]
	v_rcp_f64_e32 v[199:200], v[197:198]
	s_waitcnt_depctr 0xfff
	v_fma_f64 v[201:202], -v[197:198], v[199:200], 1.0
	s_delay_alu instid0(VALU_DEP_1) | instskip(NEXT) | instid1(VALU_DEP_1)
	v_fma_f64 v[199:200], v[199:200], v[201:202], v[199:200]
	v_fma_f64 v[201:202], -v[197:198], v[199:200], 1.0
	s_delay_alu instid0(VALU_DEP_1) | instskip(NEXT) | instid1(VALU_DEP_1)
	v_fma_f64 v[199:200], v[199:200], v[201:202], v[199:200]
	v_mul_f64 v[201:202], v[203:204], v[199:200]
	s_delay_alu instid0(VALU_DEP_1) | instskip(NEXT) | instid1(VALU_DEP_1)
	v_fma_f64 v[197:198], -v[197:198], v[201:202], v[203:204]
	v_div_fmas_f64 v[197:198], v[197:198], v[199:200], v[201:202]
	s_delay_alu instid0(VALU_DEP_1) | instskip(NEXT) | instid1(VALU_DEP_1)
	v_div_fixup_f64 v[197:198], v[197:198], v[180:181], v[182:183]
	v_fma_f64 v[180:181], v[182:183], v[197:198], v[180:181]
	s_delay_alu instid0(VALU_DEP_1) | instskip(NEXT) | instid1(VALU_DEP_1)
	v_div_scale_f64 v[182:183], null, v[180:181], v[180:181], 1.0
	v_rcp_f64_e32 v[199:200], v[182:183]
	s_waitcnt_depctr 0xfff
	v_fma_f64 v[201:202], -v[182:183], v[199:200], 1.0
	s_delay_alu instid0(VALU_DEP_1) | instskip(NEXT) | instid1(VALU_DEP_1)
	v_fma_f64 v[199:200], v[199:200], v[201:202], v[199:200]
	v_fma_f64 v[201:202], -v[182:183], v[199:200], 1.0
	s_delay_alu instid0(VALU_DEP_1) | instskip(SKIP_1) | instid1(VALU_DEP_1)
	v_fma_f64 v[199:200], v[199:200], v[201:202], v[199:200]
	v_div_scale_f64 v[201:202], vcc_lo, 1.0, v[180:181], 1.0
	v_mul_f64 v[203:204], v[201:202], v[199:200]
	s_delay_alu instid0(VALU_DEP_1) | instskip(NEXT) | instid1(VALU_DEP_1)
	v_fma_f64 v[182:183], -v[182:183], v[203:204], v[201:202]
	v_div_fmas_f64 v[182:183], v[182:183], v[199:200], v[203:204]
	s_delay_alu instid0(VALU_DEP_1) | instskip(NEXT) | instid1(VALU_DEP_1)
	v_div_fixup_f64 v[180:181], v[182:183], v[180:181], 1.0
	v_mul_f64 v[182:183], v[197:198], -v[180:181]
.LBB88_345:
	s_or_b32 exec_lo, exec_lo, s2
.LBB88_346:
	s_delay_alu instid0(SALU_CYCLE_1) | instskip(NEXT) | instid1(SALU_CYCLE_1)
	s_or_b32 exec_lo, exec_lo, s3
	s_mov_b32 s2, exec_lo
	v_cmpx_ne_u32_e64 v196, v188
	s_xor_b32 s2, exec_lo, s2
	s_cbranch_execz .LBB88_352
; %bb.347:
	s_mov_b32 s3, exec_lo
	v_cmpx_eq_u32_e32 16, v196
	s_cbranch_execz .LBB88_351
; %bb.348:
	v_cmp_ne_u32_e32 vcc_lo, 16, v188
	s_xor_b32 s6, s4, -1
	s_delay_alu instid0(SALU_CYCLE_1) | instskip(NEXT) | instid1(SALU_CYCLE_1)
	s_and_b32 s7, s6, vcc_lo
	s_and_saveexec_b32 s6, s7
	s_cbranch_execz .LBB88_350
; %bb.349:
	v_ashrrev_i32_e32 v189, 31, v188
	s_delay_alu instid0(VALU_DEP_1) | instskip(NEXT) | instid1(VALU_DEP_1)
	v_lshlrev_b64 v[196:197], 2, v[188:189]
	v_add_co_u32 v196, vcc_lo, v186, v196
	s_delay_alu instid0(VALU_DEP_2)
	v_add_co_ci_u32_e32 v197, vcc_lo, v187, v197, vcc_lo
	s_clause 0x1
	flat_load_b32 v189, v[196:197]
	flat_load_b32 v194, v[186:187] offset:64
	s_waitcnt vmcnt(1) lgkmcnt(1)
	flat_store_b32 v[186:187], v189 offset:64
	s_waitcnt vmcnt(0) lgkmcnt(1)
	flat_store_b32 v[196:197], v194
.LBB88_350:
	s_or_b32 exec_lo, exec_lo, s6
	v_mov_b32_e32 v196, v188
	v_mov_b32_e32 v194, v188
.LBB88_351:
	s_or_b32 exec_lo, exec_lo, s3
.LBB88_352:
	s_and_not1_saveexec_b32 s2, s2
	s_cbranch_execz .LBB88_354
; %bb.353:
	v_mov_b32_e32 v196, 16
	ds_store_2addr_b64 v190, v[108:109], v[110:111] offset0:34 offset1:35
	ds_store_2addr_b64 v190, v[104:105], v[106:107] offset0:36 offset1:37
	;; [unrolled: 1-line block ×28, first 2 shown]
.LBB88_354:
	s_or_b32 exec_lo, exec_lo, s2
	s_delay_alu instid0(SALU_CYCLE_1)
	s_mov_b32 s2, exec_lo
	s_waitcnt lgkmcnt(0)
	s_waitcnt_vscnt null, 0x0
	s_barrier
	buffer_gl0_inv
	v_cmpx_lt_i32_e32 16, v196
	s_cbranch_execz .LBB88_356
; %bb.355:
	v_mul_f64 v[188:189], v[182:183], v[114:115]
	v_mul_f64 v[114:115], v[180:181], v[114:115]
	s_delay_alu instid0(VALU_DEP_2) | instskip(NEXT) | instid1(VALU_DEP_2)
	v_fma_f64 v[188:189], v[180:181], v[112:113], -v[188:189]
	v_fma_f64 v[114:115], v[182:183], v[112:113], v[114:115]
	ds_load_2addr_b64 v[180:183], v190 offset0:34 offset1:35
	s_waitcnt lgkmcnt(0)
	v_mul_f64 v[112:113], v[182:183], v[114:115]
	s_delay_alu instid0(VALU_DEP_1) | instskip(SKIP_1) | instid1(VALU_DEP_2)
	v_fma_f64 v[112:113], v[180:181], v[188:189], -v[112:113]
	v_mul_f64 v[180:181], v[180:181], v[114:115]
	v_add_f64 v[108:109], v[108:109], -v[112:113]
	s_delay_alu instid0(VALU_DEP_2) | instskip(NEXT) | instid1(VALU_DEP_1)
	v_fma_f64 v[180:181], v[182:183], v[188:189], v[180:181]
	v_add_f64 v[110:111], v[110:111], -v[180:181]
	ds_load_2addr_b64 v[180:183], v190 offset0:36 offset1:37
	s_waitcnt lgkmcnt(0)
	v_mul_f64 v[112:113], v[182:183], v[114:115]
	s_delay_alu instid0(VALU_DEP_1) | instskip(SKIP_1) | instid1(VALU_DEP_2)
	v_fma_f64 v[112:113], v[180:181], v[188:189], -v[112:113]
	v_mul_f64 v[180:181], v[180:181], v[114:115]
	v_add_f64 v[104:105], v[104:105], -v[112:113]
	s_delay_alu instid0(VALU_DEP_2) | instskip(NEXT) | instid1(VALU_DEP_1)
	v_fma_f64 v[180:181], v[182:183], v[188:189], v[180:181]
	v_add_f64 v[106:107], v[106:107], -v[180:181]
	;; [unrolled: 10-line block ×27, first 2 shown]
	ds_load_2addr_b64 v[180:183], v190 offset0:88 offset1:89
	s_waitcnt lgkmcnt(0)
	v_mul_f64 v[112:113], v[182:183], v[114:115]
	s_delay_alu instid0(VALU_DEP_1) | instskip(SKIP_1) | instid1(VALU_DEP_2)
	v_fma_f64 v[112:113], v[180:181], v[188:189], -v[112:113]
	v_mul_f64 v[180:181], v[180:181], v[114:115]
	v_add_f64 v[0:1], v[0:1], -v[112:113]
	s_delay_alu instid0(VALU_DEP_2) | instskip(SKIP_1) | instid1(VALU_DEP_2)
	v_fma_f64 v[180:181], v[182:183], v[188:189], v[180:181]
	v_dual_mov_b32 v112, v188 :: v_dual_mov_b32 v113, v189
	v_add_f64 v[2:3], v[2:3], -v[180:181]
.LBB88_356:
	s_or_b32 exec_lo, exec_lo, s2
	v_lshl_add_u32 v180, v196, 4, v190
	s_barrier
	buffer_gl0_inv
	v_mov_b32_e32 v188, 17
	ds_store_2addr_b64 v180, v[108:109], v[110:111] offset1:1
	s_waitcnt lgkmcnt(0)
	s_barrier
	buffer_gl0_inv
	ds_load_2addr_b64 v[180:183], v190 offset0:34 offset1:35
	s_cmp_lt_i32 s5, 19
	s_cbranch_scc1 .LBB88_359
; %bb.357:
	v_add3_u32 v189, v195, 0, 0x120
	v_mov_b32_e32 v188, 17
	s_mov_b32 s6, 18
	s_set_inst_prefetch_distance 0x1
	.p2align	6
.LBB88_358:                             ; =>This Inner Loop Header: Depth=1
	ds_load_2addr_b64 v[197:200], v189 offset1:1
	s_waitcnt lgkmcnt(1)
	v_cmp_gt_f64_e32 vcc_lo, 0, v[180:181]
	v_xor_b32_e32 v201, 0x80000000, v181
	v_cmp_gt_f64_e64 s2, 0, v[182:183]
	v_xor_b32_e32 v203, 0x80000000, v183
	v_add_nc_u32_e32 v189, 16, v189
	s_waitcnt lgkmcnt(0)
	v_cmp_gt_f64_e64 s3, 0, v[197:198]
	v_mov_b32_e32 v205, v197
	v_dual_mov_b32 v207, v199 :: v_dual_cndmask_b32 v202, v181, v201
	v_xor_b32_e32 v201, 0x80000000, v198
	v_cndmask_b32_e64 v204, v183, v203, s2
	v_xor_b32_e32 v203, 0x80000000, v200
	s_delay_alu instid0(VALU_DEP_3) | instskip(SKIP_2) | instid1(VALU_DEP_2)
	v_cndmask_b32_e64 v206, v198, v201, s3
	v_cmp_gt_f64_e64 s3, 0, v[199:200]
	v_cndmask_b32_e32 v201, v180, v180, vcc_lo
	v_cndmask_b32_e64 v208, v200, v203, s3
	v_cndmask_b32_e64 v203, v182, v182, s2
	s_delay_alu instid0(VALU_DEP_2) | instskip(NEXT) | instid1(VALU_DEP_2)
	v_add_f64 v[205:206], v[205:206], v[207:208]
	v_add_f64 v[201:202], v[201:202], v[203:204]
	s_delay_alu instid0(VALU_DEP_1) | instskip(SKIP_4) | instid1(SALU_CYCLE_1)
	v_cmp_lt_f64_e32 vcc_lo, v[201:202], v[205:206]
	v_dual_cndmask_b32 v182, v182, v199 :: v_dual_cndmask_b32 v181, v181, v198
	v_dual_cndmask_b32 v180, v180, v197 :: v_dual_cndmask_b32 v183, v183, v200
	v_cndmask_b32_e64 v188, v188, s6, vcc_lo
	s_add_i32 s6, s6, 1
	s_cmp_lg_u32 s5, s6
	s_cbranch_scc1 .LBB88_358
.LBB88_359:
	s_set_inst_prefetch_distance 0x2
	s_waitcnt lgkmcnt(0)
	v_cmp_eq_f64_e32 vcc_lo, 0, v[180:181]
	v_cmp_eq_f64_e64 s2, 0, v[182:183]
	s_delay_alu instid0(VALU_DEP_1) | instskip(NEXT) | instid1(SALU_CYCLE_1)
	s_and_b32 s2, vcc_lo, s2
	s_and_saveexec_b32 s3, s2
	s_delay_alu instid0(SALU_CYCLE_1)
	s_xor_b32 s2, exec_lo, s3
; %bb.360:
	v_cmp_ne_u32_e32 vcc_lo, 0, v193
	v_cndmask_b32_e32 v193, 18, v193, vcc_lo
; %bb.361:
	s_and_not1_saveexec_b32 s3, s2
	s_cbranch_execz .LBB88_367
; %bb.362:
	v_cmp_gt_f64_e32 vcc_lo, 0, v[180:181]
	v_cmp_gt_f64_e64 s2, 0, v[182:183]
	v_xor_b32_e32 v189, 0x80000000, v181
	v_xor_b32_e32 v197, 0x80000000, v183
	s_delay_alu instid0(VALU_DEP_2) | instskip(NEXT) | instid1(VALU_DEP_2)
	v_cndmask_b32_e32 v198, v181, v189, vcc_lo
	v_cndmask_b32_e64 v200, v183, v197, s2
	v_cndmask_b32_e32 v197, v180, v180, vcc_lo
	v_cndmask_b32_e64 v199, v182, v182, s2
	s_mov_b32 s2, exec_lo
	s_delay_alu instid0(VALU_DEP_1)
	v_cmpx_ngt_f64_e32 v[197:198], v[199:200]
	s_xor_b32 s2, exec_lo, s2
	s_cbranch_execz .LBB88_364
; %bb.363:
	v_div_scale_f64 v[197:198], null, v[182:183], v[182:183], v[180:181]
	v_div_scale_f64 v[203:204], vcc_lo, v[180:181], v[182:183], v[180:181]
	s_delay_alu instid0(VALU_DEP_2) | instskip(SKIP_2) | instid1(VALU_DEP_1)
	v_rcp_f64_e32 v[199:200], v[197:198]
	s_waitcnt_depctr 0xfff
	v_fma_f64 v[201:202], -v[197:198], v[199:200], 1.0
	v_fma_f64 v[199:200], v[199:200], v[201:202], v[199:200]
	s_delay_alu instid0(VALU_DEP_1) | instskip(NEXT) | instid1(VALU_DEP_1)
	v_fma_f64 v[201:202], -v[197:198], v[199:200], 1.0
	v_fma_f64 v[199:200], v[199:200], v[201:202], v[199:200]
	s_delay_alu instid0(VALU_DEP_1) | instskip(NEXT) | instid1(VALU_DEP_1)
	v_mul_f64 v[201:202], v[203:204], v[199:200]
	v_fma_f64 v[197:198], -v[197:198], v[201:202], v[203:204]
	s_delay_alu instid0(VALU_DEP_1) | instskip(NEXT) | instid1(VALU_DEP_1)
	v_div_fmas_f64 v[197:198], v[197:198], v[199:200], v[201:202]
	v_div_fixup_f64 v[197:198], v[197:198], v[182:183], v[180:181]
	s_delay_alu instid0(VALU_DEP_1) | instskip(NEXT) | instid1(VALU_DEP_1)
	v_fma_f64 v[180:181], v[180:181], v[197:198], v[182:183]
	v_div_scale_f64 v[182:183], null, v[180:181], v[180:181], 1.0
	s_delay_alu instid0(VALU_DEP_1) | instskip(SKIP_2) | instid1(VALU_DEP_1)
	v_rcp_f64_e32 v[199:200], v[182:183]
	s_waitcnt_depctr 0xfff
	v_fma_f64 v[201:202], -v[182:183], v[199:200], 1.0
	v_fma_f64 v[199:200], v[199:200], v[201:202], v[199:200]
	s_delay_alu instid0(VALU_DEP_1) | instskip(NEXT) | instid1(VALU_DEP_1)
	v_fma_f64 v[201:202], -v[182:183], v[199:200], 1.0
	v_fma_f64 v[199:200], v[199:200], v[201:202], v[199:200]
	v_div_scale_f64 v[201:202], vcc_lo, 1.0, v[180:181], 1.0
	s_delay_alu instid0(VALU_DEP_1) | instskip(NEXT) | instid1(VALU_DEP_1)
	v_mul_f64 v[203:204], v[201:202], v[199:200]
	v_fma_f64 v[182:183], -v[182:183], v[203:204], v[201:202]
	s_delay_alu instid0(VALU_DEP_1) | instskip(NEXT) | instid1(VALU_DEP_1)
	v_div_fmas_f64 v[182:183], v[182:183], v[199:200], v[203:204]
	v_div_fixup_f64 v[182:183], v[182:183], v[180:181], 1.0
	s_delay_alu instid0(VALU_DEP_1)
	v_mul_f64 v[180:181], v[197:198], v[182:183]
	v_xor_b32_e32 v183, 0x80000000, v183
.LBB88_364:
	s_and_not1_saveexec_b32 s2, s2
	s_cbranch_execz .LBB88_366
; %bb.365:
	s_delay_alu instid0(VALU_DEP_1) | instskip(SKIP_1) | instid1(VALU_DEP_2)
	v_div_scale_f64 v[197:198], null, v[180:181], v[180:181], v[182:183]
	v_div_scale_f64 v[203:204], vcc_lo, v[182:183], v[180:181], v[182:183]
	v_rcp_f64_e32 v[199:200], v[197:198]
	s_waitcnt_depctr 0xfff
	v_fma_f64 v[201:202], -v[197:198], v[199:200], 1.0
	s_delay_alu instid0(VALU_DEP_1) | instskip(NEXT) | instid1(VALU_DEP_1)
	v_fma_f64 v[199:200], v[199:200], v[201:202], v[199:200]
	v_fma_f64 v[201:202], -v[197:198], v[199:200], 1.0
	s_delay_alu instid0(VALU_DEP_1) | instskip(NEXT) | instid1(VALU_DEP_1)
	v_fma_f64 v[199:200], v[199:200], v[201:202], v[199:200]
	v_mul_f64 v[201:202], v[203:204], v[199:200]
	s_delay_alu instid0(VALU_DEP_1) | instskip(NEXT) | instid1(VALU_DEP_1)
	v_fma_f64 v[197:198], -v[197:198], v[201:202], v[203:204]
	v_div_fmas_f64 v[197:198], v[197:198], v[199:200], v[201:202]
	s_delay_alu instid0(VALU_DEP_1) | instskip(NEXT) | instid1(VALU_DEP_1)
	v_div_fixup_f64 v[197:198], v[197:198], v[180:181], v[182:183]
	v_fma_f64 v[180:181], v[182:183], v[197:198], v[180:181]
	s_delay_alu instid0(VALU_DEP_1) | instskip(NEXT) | instid1(VALU_DEP_1)
	v_div_scale_f64 v[182:183], null, v[180:181], v[180:181], 1.0
	v_rcp_f64_e32 v[199:200], v[182:183]
	s_waitcnt_depctr 0xfff
	v_fma_f64 v[201:202], -v[182:183], v[199:200], 1.0
	s_delay_alu instid0(VALU_DEP_1) | instskip(NEXT) | instid1(VALU_DEP_1)
	v_fma_f64 v[199:200], v[199:200], v[201:202], v[199:200]
	v_fma_f64 v[201:202], -v[182:183], v[199:200], 1.0
	s_delay_alu instid0(VALU_DEP_1) | instskip(SKIP_1) | instid1(VALU_DEP_1)
	v_fma_f64 v[199:200], v[199:200], v[201:202], v[199:200]
	v_div_scale_f64 v[201:202], vcc_lo, 1.0, v[180:181], 1.0
	v_mul_f64 v[203:204], v[201:202], v[199:200]
	s_delay_alu instid0(VALU_DEP_1) | instskip(NEXT) | instid1(VALU_DEP_1)
	v_fma_f64 v[182:183], -v[182:183], v[203:204], v[201:202]
	v_div_fmas_f64 v[182:183], v[182:183], v[199:200], v[203:204]
	s_delay_alu instid0(VALU_DEP_1) | instskip(NEXT) | instid1(VALU_DEP_1)
	v_div_fixup_f64 v[180:181], v[182:183], v[180:181], 1.0
	v_mul_f64 v[182:183], v[197:198], -v[180:181]
.LBB88_366:
	s_or_b32 exec_lo, exec_lo, s2
.LBB88_367:
	s_delay_alu instid0(SALU_CYCLE_1) | instskip(NEXT) | instid1(SALU_CYCLE_1)
	s_or_b32 exec_lo, exec_lo, s3
	s_mov_b32 s2, exec_lo
	v_cmpx_ne_u32_e64 v196, v188
	s_xor_b32 s2, exec_lo, s2
	s_cbranch_execz .LBB88_373
; %bb.368:
	s_mov_b32 s3, exec_lo
	v_cmpx_eq_u32_e32 17, v196
	s_cbranch_execz .LBB88_372
; %bb.369:
	v_cmp_ne_u32_e32 vcc_lo, 17, v188
	s_xor_b32 s6, s4, -1
	s_delay_alu instid0(SALU_CYCLE_1) | instskip(NEXT) | instid1(SALU_CYCLE_1)
	s_and_b32 s7, s6, vcc_lo
	s_and_saveexec_b32 s6, s7
	s_cbranch_execz .LBB88_371
; %bb.370:
	v_ashrrev_i32_e32 v189, 31, v188
	s_delay_alu instid0(VALU_DEP_1) | instskip(NEXT) | instid1(VALU_DEP_1)
	v_lshlrev_b64 v[196:197], 2, v[188:189]
	v_add_co_u32 v196, vcc_lo, v186, v196
	s_delay_alu instid0(VALU_DEP_2)
	v_add_co_ci_u32_e32 v197, vcc_lo, v187, v197, vcc_lo
	s_clause 0x1
	flat_load_b32 v189, v[196:197]
	flat_load_b32 v194, v[186:187] offset:68
	s_waitcnt vmcnt(1) lgkmcnt(1)
	flat_store_b32 v[186:187], v189 offset:68
	s_waitcnt vmcnt(0) lgkmcnt(1)
	flat_store_b32 v[196:197], v194
.LBB88_371:
	s_or_b32 exec_lo, exec_lo, s6
	v_mov_b32_e32 v196, v188
	v_mov_b32_e32 v194, v188
.LBB88_372:
	s_or_b32 exec_lo, exec_lo, s3
.LBB88_373:
	s_and_not1_saveexec_b32 s2, s2
	s_cbranch_execz .LBB88_375
; %bb.374:
	v_mov_b32_e32 v196, 17
	ds_store_2addr_b64 v190, v[104:105], v[106:107] offset0:36 offset1:37
	ds_store_2addr_b64 v190, v[100:101], v[102:103] offset0:38 offset1:39
	;; [unrolled: 1-line block ×27, first 2 shown]
.LBB88_375:
	s_or_b32 exec_lo, exec_lo, s2
	s_delay_alu instid0(SALU_CYCLE_1)
	s_mov_b32 s2, exec_lo
	s_waitcnt lgkmcnt(0)
	s_waitcnt_vscnt null, 0x0
	s_barrier
	buffer_gl0_inv
	v_cmpx_lt_i32_e32 17, v196
	s_cbranch_execz .LBB88_377
; %bb.376:
	v_mul_f64 v[188:189], v[182:183], v[110:111]
	v_mul_f64 v[110:111], v[180:181], v[110:111]
	s_delay_alu instid0(VALU_DEP_2) | instskip(NEXT) | instid1(VALU_DEP_2)
	v_fma_f64 v[188:189], v[180:181], v[108:109], -v[188:189]
	v_fma_f64 v[110:111], v[182:183], v[108:109], v[110:111]
	ds_load_2addr_b64 v[180:183], v190 offset0:36 offset1:37
	s_waitcnt lgkmcnt(0)
	v_mul_f64 v[108:109], v[182:183], v[110:111]
	s_delay_alu instid0(VALU_DEP_1) | instskip(SKIP_1) | instid1(VALU_DEP_2)
	v_fma_f64 v[108:109], v[180:181], v[188:189], -v[108:109]
	v_mul_f64 v[180:181], v[180:181], v[110:111]
	v_add_f64 v[104:105], v[104:105], -v[108:109]
	s_delay_alu instid0(VALU_DEP_2) | instskip(NEXT) | instid1(VALU_DEP_1)
	v_fma_f64 v[180:181], v[182:183], v[188:189], v[180:181]
	v_add_f64 v[106:107], v[106:107], -v[180:181]
	ds_load_2addr_b64 v[180:183], v190 offset0:38 offset1:39
	s_waitcnt lgkmcnt(0)
	v_mul_f64 v[108:109], v[182:183], v[110:111]
	s_delay_alu instid0(VALU_DEP_1) | instskip(SKIP_1) | instid1(VALU_DEP_2)
	v_fma_f64 v[108:109], v[180:181], v[188:189], -v[108:109]
	v_mul_f64 v[180:181], v[180:181], v[110:111]
	v_add_f64 v[100:101], v[100:101], -v[108:109]
	s_delay_alu instid0(VALU_DEP_2) | instskip(NEXT) | instid1(VALU_DEP_1)
	v_fma_f64 v[180:181], v[182:183], v[188:189], v[180:181]
	v_add_f64 v[102:103], v[102:103], -v[180:181]
	;; [unrolled: 10-line block ×26, first 2 shown]
	ds_load_2addr_b64 v[180:183], v190 offset0:88 offset1:89
	s_waitcnt lgkmcnt(0)
	v_mul_f64 v[108:109], v[182:183], v[110:111]
	s_delay_alu instid0(VALU_DEP_1) | instskip(SKIP_1) | instid1(VALU_DEP_2)
	v_fma_f64 v[108:109], v[180:181], v[188:189], -v[108:109]
	v_mul_f64 v[180:181], v[180:181], v[110:111]
	v_add_f64 v[0:1], v[0:1], -v[108:109]
	s_delay_alu instid0(VALU_DEP_2) | instskip(SKIP_1) | instid1(VALU_DEP_2)
	v_fma_f64 v[180:181], v[182:183], v[188:189], v[180:181]
	v_dual_mov_b32 v108, v188 :: v_dual_mov_b32 v109, v189
	v_add_f64 v[2:3], v[2:3], -v[180:181]
.LBB88_377:
	s_or_b32 exec_lo, exec_lo, s2
	v_lshl_add_u32 v180, v196, 4, v190
	s_barrier
	buffer_gl0_inv
	v_mov_b32_e32 v188, 18
	ds_store_2addr_b64 v180, v[104:105], v[106:107] offset1:1
	s_waitcnt lgkmcnt(0)
	s_barrier
	buffer_gl0_inv
	ds_load_2addr_b64 v[180:183], v190 offset0:36 offset1:37
	s_cmp_lt_i32 s5, 20
	s_cbranch_scc1 .LBB88_380
; %bb.378:
	v_add3_u32 v189, v195, 0, 0x130
	v_mov_b32_e32 v188, 18
	s_mov_b32 s6, 19
	s_set_inst_prefetch_distance 0x1
	.p2align	6
.LBB88_379:                             ; =>This Inner Loop Header: Depth=1
	ds_load_2addr_b64 v[197:200], v189 offset1:1
	s_waitcnt lgkmcnt(1)
	v_cmp_gt_f64_e32 vcc_lo, 0, v[180:181]
	v_xor_b32_e32 v201, 0x80000000, v181
	v_cmp_gt_f64_e64 s2, 0, v[182:183]
	v_xor_b32_e32 v203, 0x80000000, v183
	v_add_nc_u32_e32 v189, 16, v189
	s_waitcnt lgkmcnt(0)
	v_cmp_gt_f64_e64 s3, 0, v[197:198]
	v_mov_b32_e32 v205, v197
	v_dual_mov_b32 v207, v199 :: v_dual_cndmask_b32 v202, v181, v201
	v_xor_b32_e32 v201, 0x80000000, v198
	v_cndmask_b32_e64 v204, v183, v203, s2
	v_xor_b32_e32 v203, 0x80000000, v200
	s_delay_alu instid0(VALU_DEP_3) | instskip(SKIP_2) | instid1(VALU_DEP_2)
	v_cndmask_b32_e64 v206, v198, v201, s3
	v_cmp_gt_f64_e64 s3, 0, v[199:200]
	v_cndmask_b32_e32 v201, v180, v180, vcc_lo
	v_cndmask_b32_e64 v208, v200, v203, s3
	v_cndmask_b32_e64 v203, v182, v182, s2
	s_delay_alu instid0(VALU_DEP_2) | instskip(NEXT) | instid1(VALU_DEP_2)
	v_add_f64 v[205:206], v[205:206], v[207:208]
	v_add_f64 v[201:202], v[201:202], v[203:204]
	s_delay_alu instid0(VALU_DEP_1) | instskip(SKIP_4) | instid1(SALU_CYCLE_1)
	v_cmp_lt_f64_e32 vcc_lo, v[201:202], v[205:206]
	v_dual_cndmask_b32 v182, v182, v199 :: v_dual_cndmask_b32 v181, v181, v198
	v_dual_cndmask_b32 v180, v180, v197 :: v_dual_cndmask_b32 v183, v183, v200
	v_cndmask_b32_e64 v188, v188, s6, vcc_lo
	s_add_i32 s6, s6, 1
	s_cmp_lg_u32 s5, s6
	s_cbranch_scc1 .LBB88_379
.LBB88_380:
	s_set_inst_prefetch_distance 0x2
	s_waitcnt lgkmcnt(0)
	v_cmp_eq_f64_e32 vcc_lo, 0, v[180:181]
	v_cmp_eq_f64_e64 s2, 0, v[182:183]
	s_delay_alu instid0(VALU_DEP_1) | instskip(NEXT) | instid1(SALU_CYCLE_1)
	s_and_b32 s2, vcc_lo, s2
	s_and_saveexec_b32 s3, s2
	s_delay_alu instid0(SALU_CYCLE_1)
	s_xor_b32 s2, exec_lo, s3
; %bb.381:
	v_cmp_ne_u32_e32 vcc_lo, 0, v193
	v_cndmask_b32_e32 v193, 19, v193, vcc_lo
; %bb.382:
	s_and_not1_saveexec_b32 s3, s2
	s_cbranch_execz .LBB88_388
; %bb.383:
	v_cmp_gt_f64_e32 vcc_lo, 0, v[180:181]
	v_cmp_gt_f64_e64 s2, 0, v[182:183]
	v_xor_b32_e32 v189, 0x80000000, v181
	v_xor_b32_e32 v197, 0x80000000, v183
	s_delay_alu instid0(VALU_DEP_2) | instskip(NEXT) | instid1(VALU_DEP_2)
	v_cndmask_b32_e32 v198, v181, v189, vcc_lo
	v_cndmask_b32_e64 v200, v183, v197, s2
	v_cndmask_b32_e32 v197, v180, v180, vcc_lo
	v_cndmask_b32_e64 v199, v182, v182, s2
	s_mov_b32 s2, exec_lo
	s_delay_alu instid0(VALU_DEP_1)
	v_cmpx_ngt_f64_e32 v[197:198], v[199:200]
	s_xor_b32 s2, exec_lo, s2
	s_cbranch_execz .LBB88_385
; %bb.384:
	v_div_scale_f64 v[197:198], null, v[182:183], v[182:183], v[180:181]
	v_div_scale_f64 v[203:204], vcc_lo, v[180:181], v[182:183], v[180:181]
	s_delay_alu instid0(VALU_DEP_2) | instskip(SKIP_2) | instid1(VALU_DEP_1)
	v_rcp_f64_e32 v[199:200], v[197:198]
	s_waitcnt_depctr 0xfff
	v_fma_f64 v[201:202], -v[197:198], v[199:200], 1.0
	v_fma_f64 v[199:200], v[199:200], v[201:202], v[199:200]
	s_delay_alu instid0(VALU_DEP_1) | instskip(NEXT) | instid1(VALU_DEP_1)
	v_fma_f64 v[201:202], -v[197:198], v[199:200], 1.0
	v_fma_f64 v[199:200], v[199:200], v[201:202], v[199:200]
	s_delay_alu instid0(VALU_DEP_1) | instskip(NEXT) | instid1(VALU_DEP_1)
	v_mul_f64 v[201:202], v[203:204], v[199:200]
	v_fma_f64 v[197:198], -v[197:198], v[201:202], v[203:204]
	s_delay_alu instid0(VALU_DEP_1) | instskip(NEXT) | instid1(VALU_DEP_1)
	v_div_fmas_f64 v[197:198], v[197:198], v[199:200], v[201:202]
	v_div_fixup_f64 v[197:198], v[197:198], v[182:183], v[180:181]
	s_delay_alu instid0(VALU_DEP_1) | instskip(NEXT) | instid1(VALU_DEP_1)
	v_fma_f64 v[180:181], v[180:181], v[197:198], v[182:183]
	v_div_scale_f64 v[182:183], null, v[180:181], v[180:181], 1.0
	s_delay_alu instid0(VALU_DEP_1) | instskip(SKIP_2) | instid1(VALU_DEP_1)
	v_rcp_f64_e32 v[199:200], v[182:183]
	s_waitcnt_depctr 0xfff
	v_fma_f64 v[201:202], -v[182:183], v[199:200], 1.0
	v_fma_f64 v[199:200], v[199:200], v[201:202], v[199:200]
	s_delay_alu instid0(VALU_DEP_1) | instskip(NEXT) | instid1(VALU_DEP_1)
	v_fma_f64 v[201:202], -v[182:183], v[199:200], 1.0
	v_fma_f64 v[199:200], v[199:200], v[201:202], v[199:200]
	v_div_scale_f64 v[201:202], vcc_lo, 1.0, v[180:181], 1.0
	s_delay_alu instid0(VALU_DEP_1) | instskip(NEXT) | instid1(VALU_DEP_1)
	v_mul_f64 v[203:204], v[201:202], v[199:200]
	v_fma_f64 v[182:183], -v[182:183], v[203:204], v[201:202]
	s_delay_alu instid0(VALU_DEP_1) | instskip(NEXT) | instid1(VALU_DEP_1)
	v_div_fmas_f64 v[182:183], v[182:183], v[199:200], v[203:204]
	v_div_fixup_f64 v[182:183], v[182:183], v[180:181], 1.0
	s_delay_alu instid0(VALU_DEP_1)
	v_mul_f64 v[180:181], v[197:198], v[182:183]
	v_xor_b32_e32 v183, 0x80000000, v183
.LBB88_385:
	s_and_not1_saveexec_b32 s2, s2
	s_cbranch_execz .LBB88_387
; %bb.386:
	s_delay_alu instid0(VALU_DEP_1) | instskip(SKIP_1) | instid1(VALU_DEP_2)
	v_div_scale_f64 v[197:198], null, v[180:181], v[180:181], v[182:183]
	v_div_scale_f64 v[203:204], vcc_lo, v[182:183], v[180:181], v[182:183]
	v_rcp_f64_e32 v[199:200], v[197:198]
	s_waitcnt_depctr 0xfff
	v_fma_f64 v[201:202], -v[197:198], v[199:200], 1.0
	s_delay_alu instid0(VALU_DEP_1) | instskip(NEXT) | instid1(VALU_DEP_1)
	v_fma_f64 v[199:200], v[199:200], v[201:202], v[199:200]
	v_fma_f64 v[201:202], -v[197:198], v[199:200], 1.0
	s_delay_alu instid0(VALU_DEP_1) | instskip(NEXT) | instid1(VALU_DEP_1)
	v_fma_f64 v[199:200], v[199:200], v[201:202], v[199:200]
	v_mul_f64 v[201:202], v[203:204], v[199:200]
	s_delay_alu instid0(VALU_DEP_1) | instskip(NEXT) | instid1(VALU_DEP_1)
	v_fma_f64 v[197:198], -v[197:198], v[201:202], v[203:204]
	v_div_fmas_f64 v[197:198], v[197:198], v[199:200], v[201:202]
	s_delay_alu instid0(VALU_DEP_1) | instskip(NEXT) | instid1(VALU_DEP_1)
	v_div_fixup_f64 v[197:198], v[197:198], v[180:181], v[182:183]
	v_fma_f64 v[180:181], v[182:183], v[197:198], v[180:181]
	s_delay_alu instid0(VALU_DEP_1) | instskip(NEXT) | instid1(VALU_DEP_1)
	v_div_scale_f64 v[182:183], null, v[180:181], v[180:181], 1.0
	v_rcp_f64_e32 v[199:200], v[182:183]
	s_waitcnt_depctr 0xfff
	v_fma_f64 v[201:202], -v[182:183], v[199:200], 1.0
	s_delay_alu instid0(VALU_DEP_1) | instskip(NEXT) | instid1(VALU_DEP_1)
	v_fma_f64 v[199:200], v[199:200], v[201:202], v[199:200]
	v_fma_f64 v[201:202], -v[182:183], v[199:200], 1.0
	s_delay_alu instid0(VALU_DEP_1) | instskip(SKIP_1) | instid1(VALU_DEP_1)
	v_fma_f64 v[199:200], v[199:200], v[201:202], v[199:200]
	v_div_scale_f64 v[201:202], vcc_lo, 1.0, v[180:181], 1.0
	v_mul_f64 v[203:204], v[201:202], v[199:200]
	s_delay_alu instid0(VALU_DEP_1) | instskip(NEXT) | instid1(VALU_DEP_1)
	v_fma_f64 v[182:183], -v[182:183], v[203:204], v[201:202]
	v_div_fmas_f64 v[182:183], v[182:183], v[199:200], v[203:204]
	s_delay_alu instid0(VALU_DEP_1) | instskip(NEXT) | instid1(VALU_DEP_1)
	v_div_fixup_f64 v[180:181], v[182:183], v[180:181], 1.0
	v_mul_f64 v[182:183], v[197:198], -v[180:181]
.LBB88_387:
	s_or_b32 exec_lo, exec_lo, s2
.LBB88_388:
	s_delay_alu instid0(SALU_CYCLE_1) | instskip(NEXT) | instid1(SALU_CYCLE_1)
	s_or_b32 exec_lo, exec_lo, s3
	s_mov_b32 s2, exec_lo
	v_cmpx_ne_u32_e64 v196, v188
	s_xor_b32 s2, exec_lo, s2
	s_cbranch_execz .LBB88_394
; %bb.389:
	s_mov_b32 s3, exec_lo
	v_cmpx_eq_u32_e32 18, v196
	s_cbranch_execz .LBB88_393
; %bb.390:
	v_cmp_ne_u32_e32 vcc_lo, 18, v188
	s_xor_b32 s6, s4, -1
	s_delay_alu instid0(SALU_CYCLE_1) | instskip(NEXT) | instid1(SALU_CYCLE_1)
	s_and_b32 s7, s6, vcc_lo
	s_and_saveexec_b32 s6, s7
	s_cbranch_execz .LBB88_392
; %bb.391:
	v_ashrrev_i32_e32 v189, 31, v188
	s_delay_alu instid0(VALU_DEP_1) | instskip(NEXT) | instid1(VALU_DEP_1)
	v_lshlrev_b64 v[196:197], 2, v[188:189]
	v_add_co_u32 v196, vcc_lo, v186, v196
	s_delay_alu instid0(VALU_DEP_2)
	v_add_co_ci_u32_e32 v197, vcc_lo, v187, v197, vcc_lo
	s_clause 0x1
	flat_load_b32 v189, v[196:197]
	flat_load_b32 v194, v[186:187] offset:72
	s_waitcnt vmcnt(1) lgkmcnt(1)
	flat_store_b32 v[186:187], v189 offset:72
	s_waitcnt vmcnt(0) lgkmcnt(1)
	flat_store_b32 v[196:197], v194
.LBB88_392:
	s_or_b32 exec_lo, exec_lo, s6
	v_mov_b32_e32 v196, v188
	v_mov_b32_e32 v194, v188
.LBB88_393:
	s_or_b32 exec_lo, exec_lo, s3
.LBB88_394:
	s_and_not1_saveexec_b32 s2, s2
	s_cbranch_execz .LBB88_396
; %bb.395:
	v_mov_b32_e32 v196, 18
	ds_store_2addr_b64 v190, v[100:101], v[102:103] offset0:38 offset1:39
	ds_store_2addr_b64 v190, v[96:97], v[98:99] offset0:40 offset1:41
	;; [unrolled: 1-line block ×26, first 2 shown]
.LBB88_396:
	s_or_b32 exec_lo, exec_lo, s2
	s_delay_alu instid0(SALU_CYCLE_1)
	s_mov_b32 s2, exec_lo
	s_waitcnt lgkmcnt(0)
	s_waitcnt_vscnt null, 0x0
	s_barrier
	buffer_gl0_inv
	v_cmpx_lt_i32_e32 18, v196
	s_cbranch_execz .LBB88_398
; %bb.397:
	v_mul_f64 v[188:189], v[182:183], v[106:107]
	v_mul_f64 v[106:107], v[180:181], v[106:107]
	s_delay_alu instid0(VALU_DEP_2) | instskip(NEXT) | instid1(VALU_DEP_2)
	v_fma_f64 v[188:189], v[180:181], v[104:105], -v[188:189]
	v_fma_f64 v[106:107], v[182:183], v[104:105], v[106:107]
	ds_load_2addr_b64 v[180:183], v190 offset0:38 offset1:39
	s_waitcnt lgkmcnt(0)
	v_mul_f64 v[104:105], v[182:183], v[106:107]
	s_delay_alu instid0(VALU_DEP_1) | instskip(SKIP_1) | instid1(VALU_DEP_2)
	v_fma_f64 v[104:105], v[180:181], v[188:189], -v[104:105]
	v_mul_f64 v[180:181], v[180:181], v[106:107]
	v_add_f64 v[100:101], v[100:101], -v[104:105]
	s_delay_alu instid0(VALU_DEP_2) | instskip(NEXT) | instid1(VALU_DEP_1)
	v_fma_f64 v[180:181], v[182:183], v[188:189], v[180:181]
	v_add_f64 v[102:103], v[102:103], -v[180:181]
	ds_load_2addr_b64 v[180:183], v190 offset0:40 offset1:41
	s_waitcnt lgkmcnt(0)
	v_mul_f64 v[104:105], v[182:183], v[106:107]
	s_delay_alu instid0(VALU_DEP_1) | instskip(SKIP_1) | instid1(VALU_DEP_2)
	v_fma_f64 v[104:105], v[180:181], v[188:189], -v[104:105]
	v_mul_f64 v[180:181], v[180:181], v[106:107]
	v_add_f64 v[96:97], v[96:97], -v[104:105]
	s_delay_alu instid0(VALU_DEP_2) | instskip(NEXT) | instid1(VALU_DEP_1)
	v_fma_f64 v[180:181], v[182:183], v[188:189], v[180:181]
	v_add_f64 v[98:99], v[98:99], -v[180:181]
	;; [unrolled: 10-line block ×25, first 2 shown]
	ds_load_2addr_b64 v[180:183], v190 offset0:88 offset1:89
	s_waitcnt lgkmcnt(0)
	v_mul_f64 v[104:105], v[182:183], v[106:107]
	s_delay_alu instid0(VALU_DEP_1) | instskip(SKIP_1) | instid1(VALU_DEP_2)
	v_fma_f64 v[104:105], v[180:181], v[188:189], -v[104:105]
	v_mul_f64 v[180:181], v[180:181], v[106:107]
	v_add_f64 v[0:1], v[0:1], -v[104:105]
	s_delay_alu instid0(VALU_DEP_2) | instskip(SKIP_1) | instid1(VALU_DEP_2)
	v_fma_f64 v[180:181], v[182:183], v[188:189], v[180:181]
	v_dual_mov_b32 v104, v188 :: v_dual_mov_b32 v105, v189
	v_add_f64 v[2:3], v[2:3], -v[180:181]
.LBB88_398:
	s_or_b32 exec_lo, exec_lo, s2
	v_lshl_add_u32 v180, v196, 4, v190
	s_barrier
	buffer_gl0_inv
	v_mov_b32_e32 v188, 19
	ds_store_2addr_b64 v180, v[100:101], v[102:103] offset1:1
	s_waitcnt lgkmcnt(0)
	s_barrier
	buffer_gl0_inv
	ds_load_2addr_b64 v[180:183], v190 offset0:38 offset1:39
	s_cmp_lt_i32 s5, 21
	s_cbranch_scc1 .LBB88_401
; %bb.399:
	v_add3_u32 v189, v195, 0, 0x140
	v_mov_b32_e32 v188, 19
	s_mov_b32 s6, 20
	s_set_inst_prefetch_distance 0x1
	.p2align	6
.LBB88_400:                             ; =>This Inner Loop Header: Depth=1
	ds_load_2addr_b64 v[197:200], v189 offset1:1
	s_waitcnt lgkmcnt(1)
	v_cmp_gt_f64_e32 vcc_lo, 0, v[180:181]
	v_xor_b32_e32 v201, 0x80000000, v181
	v_cmp_gt_f64_e64 s2, 0, v[182:183]
	v_xor_b32_e32 v203, 0x80000000, v183
	v_add_nc_u32_e32 v189, 16, v189
	s_waitcnt lgkmcnt(0)
	v_cmp_gt_f64_e64 s3, 0, v[197:198]
	v_mov_b32_e32 v205, v197
	v_dual_mov_b32 v207, v199 :: v_dual_cndmask_b32 v202, v181, v201
	v_xor_b32_e32 v201, 0x80000000, v198
	v_cndmask_b32_e64 v204, v183, v203, s2
	v_xor_b32_e32 v203, 0x80000000, v200
	s_delay_alu instid0(VALU_DEP_3) | instskip(SKIP_2) | instid1(VALU_DEP_2)
	v_cndmask_b32_e64 v206, v198, v201, s3
	v_cmp_gt_f64_e64 s3, 0, v[199:200]
	v_cndmask_b32_e32 v201, v180, v180, vcc_lo
	v_cndmask_b32_e64 v208, v200, v203, s3
	v_cndmask_b32_e64 v203, v182, v182, s2
	s_delay_alu instid0(VALU_DEP_2) | instskip(NEXT) | instid1(VALU_DEP_2)
	v_add_f64 v[205:206], v[205:206], v[207:208]
	v_add_f64 v[201:202], v[201:202], v[203:204]
	s_delay_alu instid0(VALU_DEP_1) | instskip(SKIP_4) | instid1(SALU_CYCLE_1)
	v_cmp_lt_f64_e32 vcc_lo, v[201:202], v[205:206]
	v_dual_cndmask_b32 v182, v182, v199 :: v_dual_cndmask_b32 v181, v181, v198
	v_dual_cndmask_b32 v180, v180, v197 :: v_dual_cndmask_b32 v183, v183, v200
	v_cndmask_b32_e64 v188, v188, s6, vcc_lo
	s_add_i32 s6, s6, 1
	s_cmp_lg_u32 s5, s6
	s_cbranch_scc1 .LBB88_400
.LBB88_401:
	s_set_inst_prefetch_distance 0x2
	s_waitcnt lgkmcnt(0)
	v_cmp_eq_f64_e32 vcc_lo, 0, v[180:181]
	v_cmp_eq_f64_e64 s2, 0, v[182:183]
	s_delay_alu instid0(VALU_DEP_1) | instskip(NEXT) | instid1(SALU_CYCLE_1)
	s_and_b32 s2, vcc_lo, s2
	s_and_saveexec_b32 s3, s2
	s_delay_alu instid0(SALU_CYCLE_1)
	s_xor_b32 s2, exec_lo, s3
; %bb.402:
	v_cmp_ne_u32_e32 vcc_lo, 0, v193
	v_cndmask_b32_e32 v193, 20, v193, vcc_lo
; %bb.403:
	s_and_not1_saveexec_b32 s3, s2
	s_cbranch_execz .LBB88_409
; %bb.404:
	v_cmp_gt_f64_e32 vcc_lo, 0, v[180:181]
	v_cmp_gt_f64_e64 s2, 0, v[182:183]
	v_xor_b32_e32 v189, 0x80000000, v181
	v_xor_b32_e32 v197, 0x80000000, v183
	s_delay_alu instid0(VALU_DEP_2) | instskip(NEXT) | instid1(VALU_DEP_2)
	v_cndmask_b32_e32 v198, v181, v189, vcc_lo
	v_cndmask_b32_e64 v200, v183, v197, s2
	v_cndmask_b32_e32 v197, v180, v180, vcc_lo
	v_cndmask_b32_e64 v199, v182, v182, s2
	s_mov_b32 s2, exec_lo
	s_delay_alu instid0(VALU_DEP_1)
	v_cmpx_ngt_f64_e32 v[197:198], v[199:200]
	s_xor_b32 s2, exec_lo, s2
	s_cbranch_execz .LBB88_406
; %bb.405:
	v_div_scale_f64 v[197:198], null, v[182:183], v[182:183], v[180:181]
	v_div_scale_f64 v[203:204], vcc_lo, v[180:181], v[182:183], v[180:181]
	s_delay_alu instid0(VALU_DEP_2) | instskip(SKIP_2) | instid1(VALU_DEP_1)
	v_rcp_f64_e32 v[199:200], v[197:198]
	s_waitcnt_depctr 0xfff
	v_fma_f64 v[201:202], -v[197:198], v[199:200], 1.0
	v_fma_f64 v[199:200], v[199:200], v[201:202], v[199:200]
	s_delay_alu instid0(VALU_DEP_1) | instskip(NEXT) | instid1(VALU_DEP_1)
	v_fma_f64 v[201:202], -v[197:198], v[199:200], 1.0
	v_fma_f64 v[199:200], v[199:200], v[201:202], v[199:200]
	s_delay_alu instid0(VALU_DEP_1) | instskip(NEXT) | instid1(VALU_DEP_1)
	v_mul_f64 v[201:202], v[203:204], v[199:200]
	v_fma_f64 v[197:198], -v[197:198], v[201:202], v[203:204]
	s_delay_alu instid0(VALU_DEP_1) | instskip(NEXT) | instid1(VALU_DEP_1)
	v_div_fmas_f64 v[197:198], v[197:198], v[199:200], v[201:202]
	v_div_fixup_f64 v[197:198], v[197:198], v[182:183], v[180:181]
	s_delay_alu instid0(VALU_DEP_1) | instskip(NEXT) | instid1(VALU_DEP_1)
	v_fma_f64 v[180:181], v[180:181], v[197:198], v[182:183]
	v_div_scale_f64 v[182:183], null, v[180:181], v[180:181], 1.0
	s_delay_alu instid0(VALU_DEP_1) | instskip(SKIP_2) | instid1(VALU_DEP_1)
	v_rcp_f64_e32 v[199:200], v[182:183]
	s_waitcnt_depctr 0xfff
	v_fma_f64 v[201:202], -v[182:183], v[199:200], 1.0
	v_fma_f64 v[199:200], v[199:200], v[201:202], v[199:200]
	s_delay_alu instid0(VALU_DEP_1) | instskip(NEXT) | instid1(VALU_DEP_1)
	v_fma_f64 v[201:202], -v[182:183], v[199:200], 1.0
	v_fma_f64 v[199:200], v[199:200], v[201:202], v[199:200]
	v_div_scale_f64 v[201:202], vcc_lo, 1.0, v[180:181], 1.0
	s_delay_alu instid0(VALU_DEP_1) | instskip(NEXT) | instid1(VALU_DEP_1)
	v_mul_f64 v[203:204], v[201:202], v[199:200]
	v_fma_f64 v[182:183], -v[182:183], v[203:204], v[201:202]
	s_delay_alu instid0(VALU_DEP_1) | instskip(NEXT) | instid1(VALU_DEP_1)
	v_div_fmas_f64 v[182:183], v[182:183], v[199:200], v[203:204]
	v_div_fixup_f64 v[182:183], v[182:183], v[180:181], 1.0
	s_delay_alu instid0(VALU_DEP_1)
	v_mul_f64 v[180:181], v[197:198], v[182:183]
	v_xor_b32_e32 v183, 0x80000000, v183
.LBB88_406:
	s_and_not1_saveexec_b32 s2, s2
	s_cbranch_execz .LBB88_408
; %bb.407:
	s_delay_alu instid0(VALU_DEP_1) | instskip(SKIP_1) | instid1(VALU_DEP_2)
	v_div_scale_f64 v[197:198], null, v[180:181], v[180:181], v[182:183]
	v_div_scale_f64 v[203:204], vcc_lo, v[182:183], v[180:181], v[182:183]
	v_rcp_f64_e32 v[199:200], v[197:198]
	s_waitcnt_depctr 0xfff
	v_fma_f64 v[201:202], -v[197:198], v[199:200], 1.0
	s_delay_alu instid0(VALU_DEP_1) | instskip(NEXT) | instid1(VALU_DEP_1)
	v_fma_f64 v[199:200], v[199:200], v[201:202], v[199:200]
	v_fma_f64 v[201:202], -v[197:198], v[199:200], 1.0
	s_delay_alu instid0(VALU_DEP_1) | instskip(NEXT) | instid1(VALU_DEP_1)
	v_fma_f64 v[199:200], v[199:200], v[201:202], v[199:200]
	v_mul_f64 v[201:202], v[203:204], v[199:200]
	s_delay_alu instid0(VALU_DEP_1) | instskip(NEXT) | instid1(VALU_DEP_1)
	v_fma_f64 v[197:198], -v[197:198], v[201:202], v[203:204]
	v_div_fmas_f64 v[197:198], v[197:198], v[199:200], v[201:202]
	s_delay_alu instid0(VALU_DEP_1) | instskip(NEXT) | instid1(VALU_DEP_1)
	v_div_fixup_f64 v[197:198], v[197:198], v[180:181], v[182:183]
	v_fma_f64 v[180:181], v[182:183], v[197:198], v[180:181]
	s_delay_alu instid0(VALU_DEP_1) | instskip(NEXT) | instid1(VALU_DEP_1)
	v_div_scale_f64 v[182:183], null, v[180:181], v[180:181], 1.0
	v_rcp_f64_e32 v[199:200], v[182:183]
	s_waitcnt_depctr 0xfff
	v_fma_f64 v[201:202], -v[182:183], v[199:200], 1.0
	s_delay_alu instid0(VALU_DEP_1) | instskip(NEXT) | instid1(VALU_DEP_1)
	v_fma_f64 v[199:200], v[199:200], v[201:202], v[199:200]
	v_fma_f64 v[201:202], -v[182:183], v[199:200], 1.0
	s_delay_alu instid0(VALU_DEP_1) | instskip(SKIP_1) | instid1(VALU_DEP_1)
	v_fma_f64 v[199:200], v[199:200], v[201:202], v[199:200]
	v_div_scale_f64 v[201:202], vcc_lo, 1.0, v[180:181], 1.0
	v_mul_f64 v[203:204], v[201:202], v[199:200]
	s_delay_alu instid0(VALU_DEP_1) | instskip(NEXT) | instid1(VALU_DEP_1)
	v_fma_f64 v[182:183], -v[182:183], v[203:204], v[201:202]
	v_div_fmas_f64 v[182:183], v[182:183], v[199:200], v[203:204]
	s_delay_alu instid0(VALU_DEP_1) | instskip(NEXT) | instid1(VALU_DEP_1)
	v_div_fixup_f64 v[180:181], v[182:183], v[180:181], 1.0
	v_mul_f64 v[182:183], v[197:198], -v[180:181]
.LBB88_408:
	s_or_b32 exec_lo, exec_lo, s2
.LBB88_409:
	s_delay_alu instid0(SALU_CYCLE_1) | instskip(NEXT) | instid1(SALU_CYCLE_1)
	s_or_b32 exec_lo, exec_lo, s3
	s_mov_b32 s2, exec_lo
	v_cmpx_ne_u32_e64 v196, v188
	s_xor_b32 s2, exec_lo, s2
	s_cbranch_execz .LBB88_415
; %bb.410:
	s_mov_b32 s3, exec_lo
	v_cmpx_eq_u32_e32 19, v196
	s_cbranch_execz .LBB88_414
; %bb.411:
	v_cmp_ne_u32_e32 vcc_lo, 19, v188
	s_xor_b32 s6, s4, -1
	s_delay_alu instid0(SALU_CYCLE_1) | instskip(NEXT) | instid1(SALU_CYCLE_1)
	s_and_b32 s7, s6, vcc_lo
	s_and_saveexec_b32 s6, s7
	s_cbranch_execz .LBB88_413
; %bb.412:
	v_ashrrev_i32_e32 v189, 31, v188
	s_delay_alu instid0(VALU_DEP_1) | instskip(NEXT) | instid1(VALU_DEP_1)
	v_lshlrev_b64 v[196:197], 2, v[188:189]
	v_add_co_u32 v196, vcc_lo, v186, v196
	s_delay_alu instid0(VALU_DEP_2)
	v_add_co_ci_u32_e32 v197, vcc_lo, v187, v197, vcc_lo
	s_clause 0x1
	flat_load_b32 v189, v[196:197]
	flat_load_b32 v194, v[186:187] offset:76
	s_waitcnt vmcnt(1) lgkmcnt(1)
	flat_store_b32 v[186:187], v189 offset:76
	s_waitcnt vmcnt(0) lgkmcnt(1)
	flat_store_b32 v[196:197], v194
.LBB88_413:
	s_or_b32 exec_lo, exec_lo, s6
	v_mov_b32_e32 v196, v188
	v_mov_b32_e32 v194, v188
.LBB88_414:
	s_or_b32 exec_lo, exec_lo, s3
.LBB88_415:
	s_and_not1_saveexec_b32 s2, s2
	s_cbranch_execz .LBB88_417
; %bb.416:
	v_mov_b32_e32 v196, 19
	ds_store_2addr_b64 v190, v[96:97], v[98:99] offset0:40 offset1:41
	ds_store_2addr_b64 v190, v[92:93], v[94:95] offset0:42 offset1:43
	;; [unrolled: 1-line block ×25, first 2 shown]
.LBB88_417:
	s_or_b32 exec_lo, exec_lo, s2
	s_delay_alu instid0(SALU_CYCLE_1)
	s_mov_b32 s2, exec_lo
	s_waitcnt lgkmcnt(0)
	s_waitcnt_vscnt null, 0x0
	s_barrier
	buffer_gl0_inv
	v_cmpx_lt_i32_e32 19, v196
	s_cbranch_execz .LBB88_419
; %bb.418:
	v_mul_f64 v[188:189], v[182:183], v[102:103]
	v_mul_f64 v[102:103], v[180:181], v[102:103]
	s_delay_alu instid0(VALU_DEP_2) | instskip(NEXT) | instid1(VALU_DEP_2)
	v_fma_f64 v[188:189], v[180:181], v[100:101], -v[188:189]
	v_fma_f64 v[102:103], v[182:183], v[100:101], v[102:103]
	ds_load_2addr_b64 v[180:183], v190 offset0:40 offset1:41
	s_waitcnt lgkmcnt(0)
	v_mul_f64 v[100:101], v[182:183], v[102:103]
	s_delay_alu instid0(VALU_DEP_1) | instskip(SKIP_1) | instid1(VALU_DEP_2)
	v_fma_f64 v[100:101], v[180:181], v[188:189], -v[100:101]
	v_mul_f64 v[180:181], v[180:181], v[102:103]
	v_add_f64 v[96:97], v[96:97], -v[100:101]
	s_delay_alu instid0(VALU_DEP_2) | instskip(NEXT) | instid1(VALU_DEP_1)
	v_fma_f64 v[180:181], v[182:183], v[188:189], v[180:181]
	v_add_f64 v[98:99], v[98:99], -v[180:181]
	ds_load_2addr_b64 v[180:183], v190 offset0:42 offset1:43
	s_waitcnt lgkmcnt(0)
	v_mul_f64 v[100:101], v[182:183], v[102:103]
	s_delay_alu instid0(VALU_DEP_1) | instskip(SKIP_1) | instid1(VALU_DEP_2)
	v_fma_f64 v[100:101], v[180:181], v[188:189], -v[100:101]
	v_mul_f64 v[180:181], v[180:181], v[102:103]
	v_add_f64 v[92:93], v[92:93], -v[100:101]
	s_delay_alu instid0(VALU_DEP_2) | instskip(NEXT) | instid1(VALU_DEP_1)
	v_fma_f64 v[180:181], v[182:183], v[188:189], v[180:181]
	v_add_f64 v[94:95], v[94:95], -v[180:181]
	;; [unrolled: 10-line block ×24, first 2 shown]
	ds_load_2addr_b64 v[180:183], v190 offset0:88 offset1:89
	s_waitcnt lgkmcnt(0)
	v_mul_f64 v[100:101], v[182:183], v[102:103]
	s_delay_alu instid0(VALU_DEP_1) | instskip(SKIP_1) | instid1(VALU_DEP_2)
	v_fma_f64 v[100:101], v[180:181], v[188:189], -v[100:101]
	v_mul_f64 v[180:181], v[180:181], v[102:103]
	v_add_f64 v[0:1], v[0:1], -v[100:101]
	s_delay_alu instid0(VALU_DEP_2) | instskip(SKIP_1) | instid1(VALU_DEP_2)
	v_fma_f64 v[180:181], v[182:183], v[188:189], v[180:181]
	v_dual_mov_b32 v100, v188 :: v_dual_mov_b32 v101, v189
	v_add_f64 v[2:3], v[2:3], -v[180:181]
.LBB88_419:
	s_or_b32 exec_lo, exec_lo, s2
	v_lshl_add_u32 v180, v196, 4, v190
	s_barrier
	buffer_gl0_inv
	v_mov_b32_e32 v188, 20
	ds_store_2addr_b64 v180, v[96:97], v[98:99] offset1:1
	s_waitcnt lgkmcnt(0)
	s_barrier
	buffer_gl0_inv
	ds_load_2addr_b64 v[180:183], v190 offset0:40 offset1:41
	s_cmp_lt_i32 s5, 22
	s_cbranch_scc1 .LBB88_422
; %bb.420:
	v_add3_u32 v189, v195, 0, 0x150
	v_mov_b32_e32 v188, 20
	s_mov_b32 s6, 21
	s_set_inst_prefetch_distance 0x1
	.p2align	6
.LBB88_421:                             ; =>This Inner Loop Header: Depth=1
	ds_load_2addr_b64 v[197:200], v189 offset1:1
	s_waitcnt lgkmcnt(1)
	v_cmp_gt_f64_e32 vcc_lo, 0, v[180:181]
	v_xor_b32_e32 v201, 0x80000000, v181
	v_cmp_gt_f64_e64 s2, 0, v[182:183]
	v_xor_b32_e32 v203, 0x80000000, v183
	v_add_nc_u32_e32 v189, 16, v189
	s_waitcnt lgkmcnt(0)
	v_cmp_gt_f64_e64 s3, 0, v[197:198]
	v_mov_b32_e32 v205, v197
	v_dual_mov_b32 v207, v199 :: v_dual_cndmask_b32 v202, v181, v201
	v_xor_b32_e32 v201, 0x80000000, v198
	v_cndmask_b32_e64 v204, v183, v203, s2
	v_xor_b32_e32 v203, 0x80000000, v200
	s_delay_alu instid0(VALU_DEP_3) | instskip(SKIP_2) | instid1(VALU_DEP_2)
	v_cndmask_b32_e64 v206, v198, v201, s3
	v_cmp_gt_f64_e64 s3, 0, v[199:200]
	v_cndmask_b32_e32 v201, v180, v180, vcc_lo
	v_cndmask_b32_e64 v208, v200, v203, s3
	v_cndmask_b32_e64 v203, v182, v182, s2
	s_delay_alu instid0(VALU_DEP_2) | instskip(NEXT) | instid1(VALU_DEP_2)
	v_add_f64 v[205:206], v[205:206], v[207:208]
	v_add_f64 v[201:202], v[201:202], v[203:204]
	s_delay_alu instid0(VALU_DEP_1) | instskip(SKIP_4) | instid1(SALU_CYCLE_1)
	v_cmp_lt_f64_e32 vcc_lo, v[201:202], v[205:206]
	v_dual_cndmask_b32 v182, v182, v199 :: v_dual_cndmask_b32 v181, v181, v198
	v_dual_cndmask_b32 v180, v180, v197 :: v_dual_cndmask_b32 v183, v183, v200
	v_cndmask_b32_e64 v188, v188, s6, vcc_lo
	s_add_i32 s6, s6, 1
	s_cmp_lg_u32 s5, s6
	s_cbranch_scc1 .LBB88_421
.LBB88_422:
	s_set_inst_prefetch_distance 0x2
	s_waitcnt lgkmcnt(0)
	v_cmp_eq_f64_e32 vcc_lo, 0, v[180:181]
	v_cmp_eq_f64_e64 s2, 0, v[182:183]
	s_delay_alu instid0(VALU_DEP_1) | instskip(NEXT) | instid1(SALU_CYCLE_1)
	s_and_b32 s2, vcc_lo, s2
	s_and_saveexec_b32 s3, s2
	s_delay_alu instid0(SALU_CYCLE_1)
	s_xor_b32 s2, exec_lo, s3
; %bb.423:
	v_cmp_ne_u32_e32 vcc_lo, 0, v193
	v_cndmask_b32_e32 v193, 21, v193, vcc_lo
; %bb.424:
	s_and_not1_saveexec_b32 s3, s2
	s_cbranch_execz .LBB88_430
; %bb.425:
	v_cmp_gt_f64_e32 vcc_lo, 0, v[180:181]
	v_cmp_gt_f64_e64 s2, 0, v[182:183]
	v_xor_b32_e32 v189, 0x80000000, v181
	v_xor_b32_e32 v197, 0x80000000, v183
	s_delay_alu instid0(VALU_DEP_2) | instskip(NEXT) | instid1(VALU_DEP_2)
	v_cndmask_b32_e32 v198, v181, v189, vcc_lo
	v_cndmask_b32_e64 v200, v183, v197, s2
	v_cndmask_b32_e32 v197, v180, v180, vcc_lo
	v_cndmask_b32_e64 v199, v182, v182, s2
	s_mov_b32 s2, exec_lo
	s_delay_alu instid0(VALU_DEP_1)
	v_cmpx_ngt_f64_e32 v[197:198], v[199:200]
	s_xor_b32 s2, exec_lo, s2
	s_cbranch_execz .LBB88_427
; %bb.426:
	v_div_scale_f64 v[197:198], null, v[182:183], v[182:183], v[180:181]
	v_div_scale_f64 v[203:204], vcc_lo, v[180:181], v[182:183], v[180:181]
	s_delay_alu instid0(VALU_DEP_2) | instskip(SKIP_2) | instid1(VALU_DEP_1)
	v_rcp_f64_e32 v[199:200], v[197:198]
	s_waitcnt_depctr 0xfff
	v_fma_f64 v[201:202], -v[197:198], v[199:200], 1.0
	v_fma_f64 v[199:200], v[199:200], v[201:202], v[199:200]
	s_delay_alu instid0(VALU_DEP_1) | instskip(NEXT) | instid1(VALU_DEP_1)
	v_fma_f64 v[201:202], -v[197:198], v[199:200], 1.0
	v_fma_f64 v[199:200], v[199:200], v[201:202], v[199:200]
	s_delay_alu instid0(VALU_DEP_1) | instskip(NEXT) | instid1(VALU_DEP_1)
	v_mul_f64 v[201:202], v[203:204], v[199:200]
	v_fma_f64 v[197:198], -v[197:198], v[201:202], v[203:204]
	s_delay_alu instid0(VALU_DEP_1) | instskip(NEXT) | instid1(VALU_DEP_1)
	v_div_fmas_f64 v[197:198], v[197:198], v[199:200], v[201:202]
	v_div_fixup_f64 v[197:198], v[197:198], v[182:183], v[180:181]
	s_delay_alu instid0(VALU_DEP_1) | instskip(NEXT) | instid1(VALU_DEP_1)
	v_fma_f64 v[180:181], v[180:181], v[197:198], v[182:183]
	v_div_scale_f64 v[182:183], null, v[180:181], v[180:181], 1.0
	s_delay_alu instid0(VALU_DEP_1) | instskip(SKIP_2) | instid1(VALU_DEP_1)
	v_rcp_f64_e32 v[199:200], v[182:183]
	s_waitcnt_depctr 0xfff
	v_fma_f64 v[201:202], -v[182:183], v[199:200], 1.0
	v_fma_f64 v[199:200], v[199:200], v[201:202], v[199:200]
	s_delay_alu instid0(VALU_DEP_1) | instskip(NEXT) | instid1(VALU_DEP_1)
	v_fma_f64 v[201:202], -v[182:183], v[199:200], 1.0
	v_fma_f64 v[199:200], v[199:200], v[201:202], v[199:200]
	v_div_scale_f64 v[201:202], vcc_lo, 1.0, v[180:181], 1.0
	s_delay_alu instid0(VALU_DEP_1) | instskip(NEXT) | instid1(VALU_DEP_1)
	v_mul_f64 v[203:204], v[201:202], v[199:200]
	v_fma_f64 v[182:183], -v[182:183], v[203:204], v[201:202]
	s_delay_alu instid0(VALU_DEP_1) | instskip(NEXT) | instid1(VALU_DEP_1)
	v_div_fmas_f64 v[182:183], v[182:183], v[199:200], v[203:204]
	v_div_fixup_f64 v[182:183], v[182:183], v[180:181], 1.0
	s_delay_alu instid0(VALU_DEP_1)
	v_mul_f64 v[180:181], v[197:198], v[182:183]
	v_xor_b32_e32 v183, 0x80000000, v183
.LBB88_427:
	s_and_not1_saveexec_b32 s2, s2
	s_cbranch_execz .LBB88_429
; %bb.428:
	s_delay_alu instid0(VALU_DEP_1) | instskip(SKIP_1) | instid1(VALU_DEP_2)
	v_div_scale_f64 v[197:198], null, v[180:181], v[180:181], v[182:183]
	v_div_scale_f64 v[203:204], vcc_lo, v[182:183], v[180:181], v[182:183]
	v_rcp_f64_e32 v[199:200], v[197:198]
	s_waitcnt_depctr 0xfff
	v_fma_f64 v[201:202], -v[197:198], v[199:200], 1.0
	s_delay_alu instid0(VALU_DEP_1) | instskip(NEXT) | instid1(VALU_DEP_1)
	v_fma_f64 v[199:200], v[199:200], v[201:202], v[199:200]
	v_fma_f64 v[201:202], -v[197:198], v[199:200], 1.0
	s_delay_alu instid0(VALU_DEP_1) | instskip(NEXT) | instid1(VALU_DEP_1)
	v_fma_f64 v[199:200], v[199:200], v[201:202], v[199:200]
	v_mul_f64 v[201:202], v[203:204], v[199:200]
	s_delay_alu instid0(VALU_DEP_1) | instskip(NEXT) | instid1(VALU_DEP_1)
	v_fma_f64 v[197:198], -v[197:198], v[201:202], v[203:204]
	v_div_fmas_f64 v[197:198], v[197:198], v[199:200], v[201:202]
	s_delay_alu instid0(VALU_DEP_1) | instskip(NEXT) | instid1(VALU_DEP_1)
	v_div_fixup_f64 v[197:198], v[197:198], v[180:181], v[182:183]
	v_fma_f64 v[180:181], v[182:183], v[197:198], v[180:181]
	s_delay_alu instid0(VALU_DEP_1) | instskip(NEXT) | instid1(VALU_DEP_1)
	v_div_scale_f64 v[182:183], null, v[180:181], v[180:181], 1.0
	v_rcp_f64_e32 v[199:200], v[182:183]
	s_waitcnt_depctr 0xfff
	v_fma_f64 v[201:202], -v[182:183], v[199:200], 1.0
	s_delay_alu instid0(VALU_DEP_1) | instskip(NEXT) | instid1(VALU_DEP_1)
	v_fma_f64 v[199:200], v[199:200], v[201:202], v[199:200]
	v_fma_f64 v[201:202], -v[182:183], v[199:200], 1.0
	s_delay_alu instid0(VALU_DEP_1) | instskip(SKIP_1) | instid1(VALU_DEP_1)
	v_fma_f64 v[199:200], v[199:200], v[201:202], v[199:200]
	v_div_scale_f64 v[201:202], vcc_lo, 1.0, v[180:181], 1.0
	v_mul_f64 v[203:204], v[201:202], v[199:200]
	s_delay_alu instid0(VALU_DEP_1) | instskip(NEXT) | instid1(VALU_DEP_1)
	v_fma_f64 v[182:183], -v[182:183], v[203:204], v[201:202]
	v_div_fmas_f64 v[182:183], v[182:183], v[199:200], v[203:204]
	s_delay_alu instid0(VALU_DEP_1) | instskip(NEXT) | instid1(VALU_DEP_1)
	v_div_fixup_f64 v[180:181], v[182:183], v[180:181], 1.0
	v_mul_f64 v[182:183], v[197:198], -v[180:181]
.LBB88_429:
	s_or_b32 exec_lo, exec_lo, s2
.LBB88_430:
	s_delay_alu instid0(SALU_CYCLE_1) | instskip(NEXT) | instid1(SALU_CYCLE_1)
	s_or_b32 exec_lo, exec_lo, s3
	s_mov_b32 s2, exec_lo
	v_cmpx_ne_u32_e64 v196, v188
	s_xor_b32 s2, exec_lo, s2
	s_cbranch_execz .LBB88_436
; %bb.431:
	s_mov_b32 s3, exec_lo
	v_cmpx_eq_u32_e32 20, v196
	s_cbranch_execz .LBB88_435
; %bb.432:
	v_cmp_ne_u32_e32 vcc_lo, 20, v188
	s_xor_b32 s6, s4, -1
	s_delay_alu instid0(SALU_CYCLE_1) | instskip(NEXT) | instid1(SALU_CYCLE_1)
	s_and_b32 s7, s6, vcc_lo
	s_and_saveexec_b32 s6, s7
	s_cbranch_execz .LBB88_434
; %bb.433:
	v_ashrrev_i32_e32 v189, 31, v188
	s_delay_alu instid0(VALU_DEP_1) | instskip(NEXT) | instid1(VALU_DEP_1)
	v_lshlrev_b64 v[196:197], 2, v[188:189]
	v_add_co_u32 v196, vcc_lo, v186, v196
	s_delay_alu instid0(VALU_DEP_2)
	v_add_co_ci_u32_e32 v197, vcc_lo, v187, v197, vcc_lo
	s_clause 0x1
	flat_load_b32 v189, v[196:197]
	flat_load_b32 v194, v[186:187] offset:80
	s_waitcnt vmcnt(1) lgkmcnt(1)
	flat_store_b32 v[186:187], v189 offset:80
	s_waitcnt vmcnt(0) lgkmcnt(1)
	flat_store_b32 v[196:197], v194
.LBB88_434:
	s_or_b32 exec_lo, exec_lo, s6
	v_mov_b32_e32 v196, v188
	v_mov_b32_e32 v194, v188
.LBB88_435:
	s_or_b32 exec_lo, exec_lo, s3
.LBB88_436:
	s_and_not1_saveexec_b32 s2, s2
	s_cbranch_execz .LBB88_438
; %bb.437:
	v_mov_b32_e32 v196, 20
	ds_store_2addr_b64 v190, v[92:93], v[94:95] offset0:42 offset1:43
	ds_store_2addr_b64 v190, v[88:89], v[90:91] offset0:44 offset1:45
	;; [unrolled: 1-line block ×24, first 2 shown]
.LBB88_438:
	s_or_b32 exec_lo, exec_lo, s2
	s_delay_alu instid0(SALU_CYCLE_1)
	s_mov_b32 s2, exec_lo
	s_waitcnt lgkmcnt(0)
	s_waitcnt_vscnt null, 0x0
	s_barrier
	buffer_gl0_inv
	v_cmpx_lt_i32_e32 20, v196
	s_cbranch_execz .LBB88_440
; %bb.439:
	v_mul_f64 v[188:189], v[182:183], v[98:99]
	v_mul_f64 v[98:99], v[180:181], v[98:99]
	s_delay_alu instid0(VALU_DEP_2) | instskip(NEXT) | instid1(VALU_DEP_2)
	v_fma_f64 v[188:189], v[180:181], v[96:97], -v[188:189]
	v_fma_f64 v[98:99], v[182:183], v[96:97], v[98:99]
	ds_load_2addr_b64 v[180:183], v190 offset0:42 offset1:43
	s_waitcnt lgkmcnt(0)
	v_mul_f64 v[96:97], v[182:183], v[98:99]
	s_delay_alu instid0(VALU_DEP_1) | instskip(SKIP_1) | instid1(VALU_DEP_2)
	v_fma_f64 v[96:97], v[180:181], v[188:189], -v[96:97]
	v_mul_f64 v[180:181], v[180:181], v[98:99]
	v_add_f64 v[92:93], v[92:93], -v[96:97]
	s_delay_alu instid0(VALU_DEP_2) | instskip(NEXT) | instid1(VALU_DEP_1)
	v_fma_f64 v[180:181], v[182:183], v[188:189], v[180:181]
	v_add_f64 v[94:95], v[94:95], -v[180:181]
	ds_load_2addr_b64 v[180:183], v190 offset0:44 offset1:45
	s_waitcnt lgkmcnt(0)
	v_mul_f64 v[96:97], v[182:183], v[98:99]
	s_delay_alu instid0(VALU_DEP_1) | instskip(SKIP_1) | instid1(VALU_DEP_2)
	v_fma_f64 v[96:97], v[180:181], v[188:189], -v[96:97]
	v_mul_f64 v[180:181], v[180:181], v[98:99]
	v_add_f64 v[88:89], v[88:89], -v[96:97]
	s_delay_alu instid0(VALU_DEP_2) | instskip(NEXT) | instid1(VALU_DEP_1)
	v_fma_f64 v[180:181], v[182:183], v[188:189], v[180:181]
	v_add_f64 v[90:91], v[90:91], -v[180:181]
	;; [unrolled: 10-line block ×23, first 2 shown]
	ds_load_2addr_b64 v[180:183], v190 offset0:88 offset1:89
	s_waitcnt lgkmcnt(0)
	v_mul_f64 v[96:97], v[182:183], v[98:99]
	s_delay_alu instid0(VALU_DEP_1) | instskip(SKIP_1) | instid1(VALU_DEP_2)
	v_fma_f64 v[96:97], v[180:181], v[188:189], -v[96:97]
	v_mul_f64 v[180:181], v[180:181], v[98:99]
	v_add_f64 v[0:1], v[0:1], -v[96:97]
	s_delay_alu instid0(VALU_DEP_2) | instskip(SKIP_1) | instid1(VALU_DEP_2)
	v_fma_f64 v[180:181], v[182:183], v[188:189], v[180:181]
	v_dual_mov_b32 v96, v188 :: v_dual_mov_b32 v97, v189
	v_add_f64 v[2:3], v[2:3], -v[180:181]
.LBB88_440:
	s_or_b32 exec_lo, exec_lo, s2
	v_lshl_add_u32 v180, v196, 4, v190
	s_barrier
	buffer_gl0_inv
	v_mov_b32_e32 v188, 21
	ds_store_2addr_b64 v180, v[92:93], v[94:95] offset1:1
	s_waitcnt lgkmcnt(0)
	s_barrier
	buffer_gl0_inv
	ds_load_2addr_b64 v[180:183], v190 offset0:42 offset1:43
	s_cmp_lt_i32 s5, 23
	s_cbranch_scc1 .LBB88_443
; %bb.441:
	v_add3_u32 v189, v195, 0, 0x160
	v_mov_b32_e32 v188, 21
	s_mov_b32 s6, 22
	s_set_inst_prefetch_distance 0x1
	.p2align	6
.LBB88_442:                             ; =>This Inner Loop Header: Depth=1
	ds_load_2addr_b64 v[197:200], v189 offset1:1
	s_waitcnt lgkmcnt(1)
	v_cmp_gt_f64_e32 vcc_lo, 0, v[180:181]
	v_xor_b32_e32 v201, 0x80000000, v181
	v_cmp_gt_f64_e64 s2, 0, v[182:183]
	v_xor_b32_e32 v203, 0x80000000, v183
	v_add_nc_u32_e32 v189, 16, v189
	s_waitcnt lgkmcnt(0)
	v_cmp_gt_f64_e64 s3, 0, v[197:198]
	v_mov_b32_e32 v205, v197
	v_dual_mov_b32 v207, v199 :: v_dual_cndmask_b32 v202, v181, v201
	v_xor_b32_e32 v201, 0x80000000, v198
	v_cndmask_b32_e64 v204, v183, v203, s2
	v_xor_b32_e32 v203, 0x80000000, v200
	s_delay_alu instid0(VALU_DEP_3) | instskip(SKIP_2) | instid1(VALU_DEP_2)
	v_cndmask_b32_e64 v206, v198, v201, s3
	v_cmp_gt_f64_e64 s3, 0, v[199:200]
	v_cndmask_b32_e32 v201, v180, v180, vcc_lo
	v_cndmask_b32_e64 v208, v200, v203, s3
	v_cndmask_b32_e64 v203, v182, v182, s2
	s_delay_alu instid0(VALU_DEP_2) | instskip(NEXT) | instid1(VALU_DEP_2)
	v_add_f64 v[205:206], v[205:206], v[207:208]
	v_add_f64 v[201:202], v[201:202], v[203:204]
	s_delay_alu instid0(VALU_DEP_1) | instskip(SKIP_4) | instid1(SALU_CYCLE_1)
	v_cmp_lt_f64_e32 vcc_lo, v[201:202], v[205:206]
	v_dual_cndmask_b32 v182, v182, v199 :: v_dual_cndmask_b32 v181, v181, v198
	v_dual_cndmask_b32 v180, v180, v197 :: v_dual_cndmask_b32 v183, v183, v200
	v_cndmask_b32_e64 v188, v188, s6, vcc_lo
	s_add_i32 s6, s6, 1
	s_cmp_lg_u32 s5, s6
	s_cbranch_scc1 .LBB88_442
.LBB88_443:
	s_set_inst_prefetch_distance 0x2
	s_waitcnt lgkmcnt(0)
	v_cmp_eq_f64_e32 vcc_lo, 0, v[180:181]
	v_cmp_eq_f64_e64 s2, 0, v[182:183]
	s_delay_alu instid0(VALU_DEP_1) | instskip(NEXT) | instid1(SALU_CYCLE_1)
	s_and_b32 s2, vcc_lo, s2
	s_and_saveexec_b32 s3, s2
	s_delay_alu instid0(SALU_CYCLE_1)
	s_xor_b32 s2, exec_lo, s3
; %bb.444:
	v_cmp_ne_u32_e32 vcc_lo, 0, v193
	v_cndmask_b32_e32 v193, 22, v193, vcc_lo
; %bb.445:
	s_and_not1_saveexec_b32 s3, s2
	s_cbranch_execz .LBB88_451
; %bb.446:
	v_cmp_gt_f64_e32 vcc_lo, 0, v[180:181]
	v_cmp_gt_f64_e64 s2, 0, v[182:183]
	v_xor_b32_e32 v189, 0x80000000, v181
	v_xor_b32_e32 v197, 0x80000000, v183
	s_delay_alu instid0(VALU_DEP_2) | instskip(NEXT) | instid1(VALU_DEP_2)
	v_cndmask_b32_e32 v198, v181, v189, vcc_lo
	v_cndmask_b32_e64 v200, v183, v197, s2
	v_cndmask_b32_e32 v197, v180, v180, vcc_lo
	v_cndmask_b32_e64 v199, v182, v182, s2
	s_mov_b32 s2, exec_lo
	s_delay_alu instid0(VALU_DEP_1)
	v_cmpx_ngt_f64_e32 v[197:198], v[199:200]
	s_xor_b32 s2, exec_lo, s2
	s_cbranch_execz .LBB88_448
; %bb.447:
	v_div_scale_f64 v[197:198], null, v[182:183], v[182:183], v[180:181]
	v_div_scale_f64 v[203:204], vcc_lo, v[180:181], v[182:183], v[180:181]
	s_delay_alu instid0(VALU_DEP_2) | instskip(SKIP_2) | instid1(VALU_DEP_1)
	v_rcp_f64_e32 v[199:200], v[197:198]
	s_waitcnt_depctr 0xfff
	v_fma_f64 v[201:202], -v[197:198], v[199:200], 1.0
	v_fma_f64 v[199:200], v[199:200], v[201:202], v[199:200]
	s_delay_alu instid0(VALU_DEP_1) | instskip(NEXT) | instid1(VALU_DEP_1)
	v_fma_f64 v[201:202], -v[197:198], v[199:200], 1.0
	v_fma_f64 v[199:200], v[199:200], v[201:202], v[199:200]
	s_delay_alu instid0(VALU_DEP_1) | instskip(NEXT) | instid1(VALU_DEP_1)
	v_mul_f64 v[201:202], v[203:204], v[199:200]
	v_fma_f64 v[197:198], -v[197:198], v[201:202], v[203:204]
	s_delay_alu instid0(VALU_DEP_1) | instskip(NEXT) | instid1(VALU_DEP_1)
	v_div_fmas_f64 v[197:198], v[197:198], v[199:200], v[201:202]
	v_div_fixup_f64 v[197:198], v[197:198], v[182:183], v[180:181]
	s_delay_alu instid0(VALU_DEP_1) | instskip(NEXT) | instid1(VALU_DEP_1)
	v_fma_f64 v[180:181], v[180:181], v[197:198], v[182:183]
	v_div_scale_f64 v[182:183], null, v[180:181], v[180:181], 1.0
	s_delay_alu instid0(VALU_DEP_1) | instskip(SKIP_2) | instid1(VALU_DEP_1)
	v_rcp_f64_e32 v[199:200], v[182:183]
	s_waitcnt_depctr 0xfff
	v_fma_f64 v[201:202], -v[182:183], v[199:200], 1.0
	v_fma_f64 v[199:200], v[199:200], v[201:202], v[199:200]
	s_delay_alu instid0(VALU_DEP_1) | instskip(NEXT) | instid1(VALU_DEP_1)
	v_fma_f64 v[201:202], -v[182:183], v[199:200], 1.0
	v_fma_f64 v[199:200], v[199:200], v[201:202], v[199:200]
	v_div_scale_f64 v[201:202], vcc_lo, 1.0, v[180:181], 1.0
	s_delay_alu instid0(VALU_DEP_1) | instskip(NEXT) | instid1(VALU_DEP_1)
	v_mul_f64 v[203:204], v[201:202], v[199:200]
	v_fma_f64 v[182:183], -v[182:183], v[203:204], v[201:202]
	s_delay_alu instid0(VALU_DEP_1) | instskip(NEXT) | instid1(VALU_DEP_1)
	v_div_fmas_f64 v[182:183], v[182:183], v[199:200], v[203:204]
	v_div_fixup_f64 v[182:183], v[182:183], v[180:181], 1.0
	s_delay_alu instid0(VALU_DEP_1)
	v_mul_f64 v[180:181], v[197:198], v[182:183]
	v_xor_b32_e32 v183, 0x80000000, v183
.LBB88_448:
	s_and_not1_saveexec_b32 s2, s2
	s_cbranch_execz .LBB88_450
; %bb.449:
	s_delay_alu instid0(VALU_DEP_1) | instskip(SKIP_1) | instid1(VALU_DEP_2)
	v_div_scale_f64 v[197:198], null, v[180:181], v[180:181], v[182:183]
	v_div_scale_f64 v[203:204], vcc_lo, v[182:183], v[180:181], v[182:183]
	v_rcp_f64_e32 v[199:200], v[197:198]
	s_waitcnt_depctr 0xfff
	v_fma_f64 v[201:202], -v[197:198], v[199:200], 1.0
	s_delay_alu instid0(VALU_DEP_1) | instskip(NEXT) | instid1(VALU_DEP_1)
	v_fma_f64 v[199:200], v[199:200], v[201:202], v[199:200]
	v_fma_f64 v[201:202], -v[197:198], v[199:200], 1.0
	s_delay_alu instid0(VALU_DEP_1) | instskip(NEXT) | instid1(VALU_DEP_1)
	v_fma_f64 v[199:200], v[199:200], v[201:202], v[199:200]
	v_mul_f64 v[201:202], v[203:204], v[199:200]
	s_delay_alu instid0(VALU_DEP_1) | instskip(NEXT) | instid1(VALU_DEP_1)
	v_fma_f64 v[197:198], -v[197:198], v[201:202], v[203:204]
	v_div_fmas_f64 v[197:198], v[197:198], v[199:200], v[201:202]
	s_delay_alu instid0(VALU_DEP_1) | instskip(NEXT) | instid1(VALU_DEP_1)
	v_div_fixup_f64 v[197:198], v[197:198], v[180:181], v[182:183]
	v_fma_f64 v[180:181], v[182:183], v[197:198], v[180:181]
	s_delay_alu instid0(VALU_DEP_1) | instskip(NEXT) | instid1(VALU_DEP_1)
	v_div_scale_f64 v[182:183], null, v[180:181], v[180:181], 1.0
	v_rcp_f64_e32 v[199:200], v[182:183]
	s_waitcnt_depctr 0xfff
	v_fma_f64 v[201:202], -v[182:183], v[199:200], 1.0
	s_delay_alu instid0(VALU_DEP_1) | instskip(NEXT) | instid1(VALU_DEP_1)
	v_fma_f64 v[199:200], v[199:200], v[201:202], v[199:200]
	v_fma_f64 v[201:202], -v[182:183], v[199:200], 1.0
	s_delay_alu instid0(VALU_DEP_1) | instskip(SKIP_1) | instid1(VALU_DEP_1)
	v_fma_f64 v[199:200], v[199:200], v[201:202], v[199:200]
	v_div_scale_f64 v[201:202], vcc_lo, 1.0, v[180:181], 1.0
	v_mul_f64 v[203:204], v[201:202], v[199:200]
	s_delay_alu instid0(VALU_DEP_1) | instskip(NEXT) | instid1(VALU_DEP_1)
	v_fma_f64 v[182:183], -v[182:183], v[203:204], v[201:202]
	v_div_fmas_f64 v[182:183], v[182:183], v[199:200], v[203:204]
	s_delay_alu instid0(VALU_DEP_1) | instskip(NEXT) | instid1(VALU_DEP_1)
	v_div_fixup_f64 v[180:181], v[182:183], v[180:181], 1.0
	v_mul_f64 v[182:183], v[197:198], -v[180:181]
.LBB88_450:
	s_or_b32 exec_lo, exec_lo, s2
.LBB88_451:
	s_delay_alu instid0(SALU_CYCLE_1) | instskip(NEXT) | instid1(SALU_CYCLE_1)
	s_or_b32 exec_lo, exec_lo, s3
	s_mov_b32 s2, exec_lo
	v_cmpx_ne_u32_e64 v196, v188
	s_xor_b32 s2, exec_lo, s2
	s_cbranch_execz .LBB88_457
; %bb.452:
	s_mov_b32 s3, exec_lo
	v_cmpx_eq_u32_e32 21, v196
	s_cbranch_execz .LBB88_456
; %bb.453:
	v_cmp_ne_u32_e32 vcc_lo, 21, v188
	s_xor_b32 s6, s4, -1
	s_delay_alu instid0(SALU_CYCLE_1) | instskip(NEXT) | instid1(SALU_CYCLE_1)
	s_and_b32 s7, s6, vcc_lo
	s_and_saveexec_b32 s6, s7
	s_cbranch_execz .LBB88_455
; %bb.454:
	v_ashrrev_i32_e32 v189, 31, v188
	s_delay_alu instid0(VALU_DEP_1) | instskip(NEXT) | instid1(VALU_DEP_1)
	v_lshlrev_b64 v[196:197], 2, v[188:189]
	v_add_co_u32 v196, vcc_lo, v186, v196
	s_delay_alu instid0(VALU_DEP_2)
	v_add_co_ci_u32_e32 v197, vcc_lo, v187, v197, vcc_lo
	s_clause 0x1
	flat_load_b32 v189, v[196:197]
	flat_load_b32 v194, v[186:187] offset:84
	s_waitcnt vmcnt(1) lgkmcnt(1)
	flat_store_b32 v[186:187], v189 offset:84
	s_waitcnt vmcnt(0) lgkmcnt(1)
	flat_store_b32 v[196:197], v194
.LBB88_455:
	s_or_b32 exec_lo, exec_lo, s6
	v_mov_b32_e32 v196, v188
	v_mov_b32_e32 v194, v188
.LBB88_456:
	s_or_b32 exec_lo, exec_lo, s3
.LBB88_457:
	s_and_not1_saveexec_b32 s2, s2
	s_cbranch_execz .LBB88_459
; %bb.458:
	v_mov_b32_e32 v196, 21
	ds_store_2addr_b64 v190, v[88:89], v[90:91] offset0:44 offset1:45
	ds_store_2addr_b64 v190, v[84:85], v[86:87] offset0:46 offset1:47
	;; [unrolled: 1-line block ×23, first 2 shown]
.LBB88_459:
	s_or_b32 exec_lo, exec_lo, s2
	s_delay_alu instid0(SALU_CYCLE_1)
	s_mov_b32 s2, exec_lo
	s_waitcnt lgkmcnt(0)
	s_waitcnt_vscnt null, 0x0
	s_barrier
	buffer_gl0_inv
	v_cmpx_lt_i32_e32 21, v196
	s_cbranch_execz .LBB88_461
; %bb.460:
	v_mul_f64 v[188:189], v[182:183], v[94:95]
	v_mul_f64 v[94:95], v[180:181], v[94:95]
	s_delay_alu instid0(VALU_DEP_2) | instskip(NEXT) | instid1(VALU_DEP_2)
	v_fma_f64 v[188:189], v[180:181], v[92:93], -v[188:189]
	v_fma_f64 v[94:95], v[182:183], v[92:93], v[94:95]
	ds_load_2addr_b64 v[180:183], v190 offset0:44 offset1:45
	s_waitcnt lgkmcnt(0)
	v_mul_f64 v[92:93], v[182:183], v[94:95]
	s_delay_alu instid0(VALU_DEP_1) | instskip(SKIP_1) | instid1(VALU_DEP_2)
	v_fma_f64 v[92:93], v[180:181], v[188:189], -v[92:93]
	v_mul_f64 v[180:181], v[180:181], v[94:95]
	v_add_f64 v[88:89], v[88:89], -v[92:93]
	s_delay_alu instid0(VALU_DEP_2) | instskip(NEXT) | instid1(VALU_DEP_1)
	v_fma_f64 v[180:181], v[182:183], v[188:189], v[180:181]
	v_add_f64 v[90:91], v[90:91], -v[180:181]
	ds_load_2addr_b64 v[180:183], v190 offset0:46 offset1:47
	s_waitcnt lgkmcnt(0)
	v_mul_f64 v[92:93], v[182:183], v[94:95]
	s_delay_alu instid0(VALU_DEP_1) | instskip(SKIP_1) | instid1(VALU_DEP_2)
	v_fma_f64 v[92:93], v[180:181], v[188:189], -v[92:93]
	v_mul_f64 v[180:181], v[180:181], v[94:95]
	v_add_f64 v[84:85], v[84:85], -v[92:93]
	s_delay_alu instid0(VALU_DEP_2) | instskip(NEXT) | instid1(VALU_DEP_1)
	v_fma_f64 v[180:181], v[182:183], v[188:189], v[180:181]
	v_add_f64 v[86:87], v[86:87], -v[180:181]
	;; [unrolled: 10-line block ×22, first 2 shown]
	ds_load_2addr_b64 v[180:183], v190 offset0:88 offset1:89
	s_waitcnt lgkmcnt(0)
	v_mul_f64 v[92:93], v[182:183], v[94:95]
	s_delay_alu instid0(VALU_DEP_1) | instskip(SKIP_1) | instid1(VALU_DEP_2)
	v_fma_f64 v[92:93], v[180:181], v[188:189], -v[92:93]
	v_mul_f64 v[180:181], v[180:181], v[94:95]
	v_add_f64 v[0:1], v[0:1], -v[92:93]
	s_delay_alu instid0(VALU_DEP_2) | instskip(SKIP_1) | instid1(VALU_DEP_2)
	v_fma_f64 v[180:181], v[182:183], v[188:189], v[180:181]
	v_dual_mov_b32 v92, v188 :: v_dual_mov_b32 v93, v189
	v_add_f64 v[2:3], v[2:3], -v[180:181]
.LBB88_461:
	s_or_b32 exec_lo, exec_lo, s2
	v_lshl_add_u32 v180, v196, 4, v190
	s_barrier
	buffer_gl0_inv
	v_mov_b32_e32 v188, 22
	ds_store_2addr_b64 v180, v[88:89], v[90:91] offset1:1
	s_waitcnt lgkmcnt(0)
	s_barrier
	buffer_gl0_inv
	ds_load_2addr_b64 v[180:183], v190 offset0:44 offset1:45
	s_cmp_lt_i32 s5, 24
	s_cbranch_scc1 .LBB88_464
; %bb.462:
	v_add3_u32 v189, v195, 0, 0x170
	v_mov_b32_e32 v188, 22
	s_mov_b32 s6, 23
	s_set_inst_prefetch_distance 0x1
	.p2align	6
.LBB88_463:                             ; =>This Inner Loop Header: Depth=1
	ds_load_2addr_b64 v[197:200], v189 offset1:1
	s_waitcnt lgkmcnt(1)
	v_cmp_gt_f64_e32 vcc_lo, 0, v[180:181]
	v_xor_b32_e32 v201, 0x80000000, v181
	v_cmp_gt_f64_e64 s2, 0, v[182:183]
	v_xor_b32_e32 v203, 0x80000000, v183
	v_add_nc_u32_e32 v189, 16, v189
	s_waitcnt lgkmcnt(0)
	v_cmp_gt_f64_e64 s3, 0, v[197:198]
	v_mov_b32_e32 v205, v197
	v_dual_mov_b32 v207, v199 :: v_dual_cndmask_b32 v202, v181, v201
	v_xor_b32_e32 v201, 0x80000000, v198
	v_cndmask_b32_e64 v204, v183, v203, s2
	v_xor_b32_e32 v203, 0x80000000, v200
	s_delay_alu instid0(VALU_DEP_3) | instskip(SKIP_2) | instid1(VALU_DEP_2)
	v_cndmask_b32_e64 v206, v198, v201, s3
	v_cmp_gt_f64_e64 s3, 0, v[199:200]
	v_cndmask_b32_e32 v201, v180, v180, vcc_lo
	v_cndmask_b32_e64 v208, v200, v203, s3
	v_cndmask_b32_e64 v203, v182, v182, s2
	s_delay_alu instid0(VALU_DEP_2) | instskip(NEXT) | instid1(VALU_DEP_2)
	v_add_f64 v[205:206], v[205:206], v[207:208]
	v_add_f64 v[201:202], v[201:202], v[203:204]
	s_delay_alu instid0(VALU_DEP_1) | instskip(SKIP_4) | instid1(SALU_CYCLE_1)
	v_cmp_lt_f64_e32 vcc_lo, v[201:202], v[205:206]
	v_dual_cndmask_b32 v182, v182, v199 :: v_dual_cndmask_b32 v181, v181, v198
	v_dual_cndmask_b32 v180, v180, v197 :: v_dual_cndmask_b32 v183, v183, v200
	v_cndmask_b32_e64 v188, v188, s6, vcc_lo
	s_add_i32 s6, s6, 1
	s_cmp_lg_u32 s5, s6
	s_cbranch_scc1 .LBB88_463
.LBB88_464:
	s_set_inst_prefetch_distance 0x2
	s_waitcnt lgkmcnt(0)
	v_cmp_eq_f64_e32 vcc_lo, 0, v[180:181]
	v_cmp_eq_f64_e64 s2, 0, v[182:183]
	s_delay_alu instid0(VALU_DEP_1) | instskip(NEXT) | instid1(SALU_CYCLE_1)
	s_and_b32 s2, vcc_lo, s2
	s_and_saveexec_b32 s3, s2
	s_delay_alu instid0(SALU_CYCLE_1)
	s_xor_b32 s2, exec_lo, s3
; %bb.465:
	v_cmp_ne_u32_e32 vcc_lo, 0, v193
	v_cndmask_b32_e32 v193, 23, v193, vcc_lo
; %bb.466:
	s_and_not1_saveexec_b32 s3, s2
	s_cbranch_execz .LBB88_472
; %bb.467:
	v_cmp_gt_f64_e32 vcc_lo, 0, v[180:181]
	v_cmp_gt_f64_e64 s2, 0, v[182:183]
	v_xor_b32_e32 v189, 0x80000000, v181
	v_xor_b32_e32 v197, 0x80000000, v183
	s_delay_alu instid0(VALU_DEP_2) | instskip(NEXT) | instid1(VALU_DEP_2)
	v_cndmask_b32_e32 v198, v181, v189, vcc_lo
	v_cndmask_b32_e64 v200, v183, v197, s2
	v_cndmask_b32_e32 v197, v180, v180, vcc_lo
	v_cndmask_b32_e64 v199, v182, v182, s2
	s_mov_b32 s2, exec_lo
	s_delay_alu instid0(VALU_DEP_1)
	v_cmpx_ngt_f64_e32 v[197:198], v[199:200]
	s_xor_b32 s2, exec_lo, s2
	s_cbranch_execz .LBB88_469
; %bb.468:
	v_div_scale_f64 v[197:198], null, v[182:183], v[182:183], v[180:181]
	v_div_scale_f64 v[203:204], vcc_lo, v[180:181], v[182:183], v[180:181]
	s_delay_alu instid0(VALU_DEP_2) | instskip(SKIP_2) | instid1(VALU_DEP_1)
	v_rcp_f64_e32 v[199:200], v[197:198]
	s_waitcnt_depctr 0xfff
	v_fma_f64 v[201:202], -v[197:198], v[199:200], 1.0
	v_fma_f64 v[199:200], v[199:200], v[201:202], v[199:200]
	s_delay_alu instid0(VALU_DEP_1) | instskip(NEXT) | instid1(VALU_DEP_1)
	v_fma_f64 v[201:202], -v[197:198], v[199:200], 1.0
	v_fma_f64 v[199:200], v[199:200], v[201:202], v[199:200]
	s_delay_alu instid0(VALU_DEP_1) | instskip(NEXT) | instid1(VALU_DEP_1)
	v_mul_f64 v[201:202], v[203:204], v[199:200]
	v_fma_f64 v[197:198], -v[197:198], v[201:202], v[203:204]
	s_delay_alu instid0(VALU_DEP_1) | instskip(NEXT) | instid1(VALU_DEP_1)
	v_div_fmas_f64 v[197:198], v[197:198], v[199:200], v[201:202]
	v_div_fixup_f64 v[197:198], v[197:198], v[182:183], v[180:181]
	s_delay_alu instid0(VALU_DEP_1) | instskip(NEXT) | instid1(VALU_DEP_1)
	v_fma_f64 v[180:181], v[180:181], v[197:198], v[182:183]
	v_div_scale_f64 v[182:183], null, v[180:181], v[180:181], 1.0
	s_delay_alu instid0(VALU_DEP_1) | instskip(SKIP_2) | instid1(VALU_DEP_1)
	v_rcp_f64_e32 v[199:200], v[182:183]
	s_waitcnt_depctr 0xfff
	v_fma_f64 v[201:202], -v[182:183], v[199:200], 1.0
	v_fma_f64 v[199:200], v[199:200], v[201:202], v[199:200]
	s_delay_alu instid0(VALU_DEP_1) | instskip(NEXT) | instid1(VALU_DEP_1)
	v_fma_f64 v[201:202], -v[182:183], v[199:200], 1.0
	v_fma_f64 v[199:200], v[199:200], v[201:202], v[199:200]
	v_div_scale_f64 v[201:202], vcc_lo, 1.0, v[180:181], 1.0
	s_delay_alu instid0(VALU_DEP_1) | instskip(NEXT) | instid1(VALU_DEP_1)
	v_mul_f64 v[203:204], v[201:202], v[199:200]
	v_fma_f64 v[182:183], -v[182:183], v[203:204], v[201:202]
	s_delay_alu instid0(VALU_DEP_1) | instskip(NEXT) | instid1(VALU_DEP_1)
	v_div_fmas_f64 v[182:183], v[182:183], v[199:200], v[203:204]
	v_div_fixup_f64 v[182:183], v[182:183], v[180:181], 1.0
	s_delay_alu instid0(VALU_DEP_1)
	v_mul_f64 v[180:181], v[197:198], v[182:183]
	v_xor_b32_e32 v183, 0x80000000, v183
.LBB88_469:
	s_and_not1_saveexec_b32 s2, s2
	s_cbranch_execz .LBB88_471
; %bb.470:
	s_delay_alu instid0(VALU_DEP_1) | instskip(SKIP_1) | instid1(VALU_DEP_2)
	v_div_scale_f64 v[197:198], null, v[180:181], v[180:181], v[182:183]
	v_div_scale_f64 v[203:204], vcc_lo, v[182:183], v[180:181], v[182:183]
	v_rcp_f64_e32 v[199:200], v[197:198]
	s_waitcnt_depctr 0xfff
	v_fma_f64 v[201:202], -v[197:198], v[199:200], 1.0
	s_delay_alu instid0(VALU_DEP_1) | instskip(NEXT) | instid1(VALU_DEP_1)
	v_fma_f64 v[199:200], v[199:200], v[201:202], v[199:200]
	v_fma_f64 v[201:202], -v[197:198], v[199:200], 1.0
	s_delay_alu instid0(VALU_DEP_1) | instskip(NEXT) | instid1(VALU_DEP_1)
	v_fma_f64 v[199:200], v[199:200], v[201:202], v[199:200]
	v_mul_f64 v[201:202], v[203:204], v[199:200]
	s_delay_alu instid0(VALU_DEP_1) | instskip(NEXT) | instid1(VALU_DEP_1)
	v_fma_f64 v[197:198], -v[197:198], v[201:202], v[203:204]
	v_div_fmas_f64 v[197:198], v[197:198], v[199:200], v[201:202]
	s_delay_alu instid0(VALU_DEP_1) | instskip(NEXT) | instid1(VALU_DEP_1)
	v_div_fixup_f64 v[197:198], v[197:198], v[180:181], v[182:183]
	v_fma_f64 v[180:181], v[182:183], v[197:198], v[180:181]
	s_delay_alu instid0(VALU_DEP_1) | instskip(NEXT) | instid1(VALU_DEP_1)
	v_div_scale_f64 v[182:183], null, v[180:181], v[180:181], 1.0
	v_rcp_f64_e32 v[199:200], v[182:183]
	s_waitcnt_depctr 0xfff
	v_fma_f64 v[201:202], -v[182:183], v[199:200], 1.0
	s_delay_alu instid0(VALU_DEP_1) | instskip(NEXT) | instid1(VALU_DEP_1)
	v_fma_f64 v[199:200], v[199:200], v[201:202], v[199:200]
	v_fma_f64 v[201:202], -v[182:183], v[199:200], 1.0
	s_delay_alu instid0(VALU_DEP_1) | instskip(SKIP_1) | instid1(VALU_DEP_1)
	v_fma_f64 v[199:200], v[199:200], v[201:202], v[199:200]
	v_div_scale_f64 v[201:202], vcc_lo, 1.0, v[180:181], 1.0
	v_mul_f64 v[203:204], v[201:202], v[199:200]
	s_delay_alu instid0(VALU_DEP_1) | instskip(NEXT) | instid1(VALU_DEP_1)
	v_fma_f64 v[182:183], -v[182:183], v[203:204], v[201:202]
	v_div_fmas_f64 v[182:183], v[182:183], v[199:200], v[203:204]
	s_delay_alu instid0(VALU_DEP_1) | instskip(NEXT) | instid1(VALU_DEP_1)
	v_div_fixup_f64 v[180:181], v[182:183], v[180:181], 1.0
	v_mul_f64 v[182:183], v[197:198], -v[180:181]
.LBB88_471:
	s_or_b32 exec_lo, exec_lo, s2
.LBB88_472:
	s_delay_alu instid0(SALU_CYCLE_1) | instskip(NEXT) | instid1(SALU_CYCLE_1)
	s_or_b32 exec_lo, exec_lo, s3
	s_mov_b32 s2, exec_lo
	v_cmpx_ne_u32_e64 v196, v188
	s_xor_b32 s2, exec_lo, s2
	s_cbranch_execz .LBB88_478
; %bb.473:
	s_mov_b32 s3, exec_lo
	v_cmpx_eq_u32_e32 22, v196
	s_cbranch_execz .LBB88_477
; %bb.474:
	v_cmp_ne_u32_e32 vcc_lo, 22, v188
	s_xor_b32 s6, s4, -1
	s_delay_alu instid0(SALU_CYCLE_1) | instskip(NEXT) | instid1(SALU_CYCLE_1)
	s_and_b32 s7, s6, vcc_lo
	s_and_saveexec_b32 s6, s7
	s_cbranch_execz .LBB88_476
; %bb.475:
	v_ashrrev_i32_e32 v189, 31, v188
	s_delay_alu instid0(VALU_DEP_1) | instskip(NEXT) | instid1(VALU_DEP_1)
	v_lshlrev_b64 v[196:197], 2, v[188:189]
	v_add_co_u32 v196, vcc_lo, v186, v196
	s_delay_alu instid0(VALU_DEP_2)
	v_add_co_ci_u32_e32 v197, vcc_lo, v187, v197, vcc_lo
	s_clause 0x1
	flat_load_b32 v189, v[196:197]
	flat_load_b32 v194, v[186:187] offset:88
	s_waitcnt vmcnt(1) lgkmcnt(1)
	flat_store_b32 v[186:187], v189 offset:88
	s_waitcnt vmcnt(0) lgkmcnt(1)
	flat_store_b32 v[196:197], v194
.LBB88_476:
	s_or_b32 exec_lo, exec_lo, s6
	v_mov_b32_e32 v196, v188
	v_mov_b32_e32 v194, v188
.LBB88_477:
	s_or_b32 exec_lo, exec_lo, s3
.LBB88_478:
	s_and_not1_saveexec_b32 s2, s2
	s_cbranch_execz .LBB88_480
; %bb.479:
	v_mov_b32_e32 v196, 22
	ds_store_2addr_b64 v190, v[84:85], v[86:87] offset0:46 offset1:47
	ds_store_2addr_b64 v190, v[80:81], v[82:83] offset0:48 offset1:49
	;; [unrolled: 1-line block ×22, first 2 shown]
.LBB88_480:
	s_or_b32 exec_lo, exec_lo, s2
	s_delay_alu instid0(SALU_CYCLE_1)
	s_mov_b32 s2, exec_lo
	s_waitcnt lgkmcnt(0)
	s_waitcnt_vscnt null, 0x0
	s_barrier
	buffer_gl0_inv
	v_cmpx_lt_i32_e32 22, v196
	s_cbranch_execz .LBB88_482
; %bb.481:
	v_mul_f64 v[188:189], v[182:183], v[90:91]
	v_mul_f64 v[90:91], v[180:181], v[90:91]
	s_delay_alu instid0(VALU_DEP_2) | instskip(NEXT) | instid1(VALU_DEP_2)
	v_fma_f64 v[188:189], v[180:181], v[88:89], -v[188:189]
	v_fma_f64 v[90:91], v[182:183], v[88:89], v[90:91]
	ds_load_2addr_b64 v[180:183], v190 offset0:46 offset1:47
	s_waitcnt lgkmcnt(0)
	v_mul_f64 v[88:89], v[182:183], v[90:91]
	s_delay_alu instid0(VALU_DEP_1) | instskip(SKIP_1) | instid1(VALU_DEP_2)
	v_fma_f64 v[88:89], v[180:181], v[188:189], -v[88:89]
	v_mul_f64 v[180:181], v[180:181], v[90:91]
	v_add_f64 v[84:85], v[84:85], -v[88:89]
	s_delay_alu instid0(VALU_DEP_2) | instskip(NEXT) | instid1(VALU_DEP_1)
	v_fma_f64 v[180:181], v[182:183], v[188:189], v[180:181]
	v_add_f64 v[86:87], v[86:87], -v[180:181]
	ds_load_2addr_b64 v[180:183], v190 offset0:48 offset1:49
	s_waitcnt lgkmcnt(0)
	v_mul_f64 v[88:89], v[182:183], v[90:91]
	s_delay_alu instid0(VALU_DEP_1) | instskip(SKIP_1) | instid1(VALU_DEP_2)
	v_fma_f64 v[88:89], v[180:181], v[188:189], -v[88:89]
	v_mul_f64 v[180:181], v[180:181], v[90:91]
	v_add_f64 v[80:81], v[80:81], -v[88:89]
	s_delay_alu instid0(VALU_DEP_2) | instskip(NEXT) | instid1(VALU_DEP_1)
	v_fma_f64 v[180:181], v[182:183], v[188:189], v[180:181]
	v_add_f64 v[82:83], v[82:83], -v[180:181]
	;; [unrolled: 10-line block ×21, first 2 shown]
	ds_load_2addr_b64 v[180:183], v190 offset0:88 offset1:89
	s_waitcnt lgkmcnt(0)
	v_mul_f64 v[88:89], v[182:183], v[90:91]
	s_delay_alu instid0(VALU_DEP_1) | instskip(SKIP_1) | instid1(VALU_DEP_2)
	v_fma_f64 v[88:89], v[180:181], v[188:189], -v[88:89]
	v_mul_f64 v[180:181], v[180:181], v[90:91]
	v_add_f64 v[0:1], v[0:1], -v[88:89]
	s_delay_alu instid0(VALU_DEP_2) | instskip(SKIP_1) | instid1(VALU_DEP_2)
	v_fma_f64 v[180:181], v[182:183], v[188:189], v[180:181]
	v_dual_mov_b32 v88, v188 :: v_dual_mov_b32 v89, v189
	v_add_f64 v[2:3], v[2:3], -v[180:181]
.LBB88_482:
	s_or_b32 exec_lo, exec_lo, s2
	v_lshl_add_u32 v180, v196, 4, v190
	s_barrier
	buffer_gl0_inv
	v_mov_b32_e32 v188, 23
	ds_store_2addr_b64 v180, v[84:85], v[86:87] offset1:1
	s_waitcnt lgkmcnt(0)
	s_barrier
	buffer_gl0_inv
	ds_load_2addr_b64 v[180:183], v190 offset0:46 offset1:47
	s_cmp_lt_i32 s5, 25
	s_cbranch_scc1 .LBB88_485
; %bb.483:
	v_add3_u32 v189, v195, 0, 0x180
	v_mov_b32_e32 v188, 23
	s_mov_b32 s6, 24
	s_set_inst_prefetch_distance 0x1
	.p2align	6
.LBB88_484:                             ; =>This Inner Loop Header: Depth=1
	ds_load_2addr_b64 v[197:200], v189 offset1:1
	s_waitcnt lgkmcnt(1)
	v_cmp_gt_f64_e32 vcc_lo, 0, v[180:181]
	v_xor_b32_e32 v201, 0x80000000, v181
	v_cmp_gt_f64_e64 s2, 0, v[182:183]
	v_xor_b32_e32 v203, 0x80000000, v183
	v_add_nc_u32_e32 v189, 16, v189
	s_waitcnt lgkmcnt(0)
	v_cmp_gt_f64_e64 s3, 0, v[197:198]
	v_mov_b32_e32 v205, v197
	v_dual_mov_b32 v207, v199 :: v_dual_cndmask_b32 v202, v181, v201
	v_xor_b32_e32 v201, 0x80000000, v198
	v_cndmask_b32_e64 v204, v183, v203, s2
	v_xor_b32_e32 v203, 0x80000000, v200
	s_delay_alu instid0(VALU_DEP_3) | instskip(SKIP_2) | instid1(VALU_DEP_2)
	v_cndmask_b32_e64 v206, v198, v201, s3
	v_cmp_gt_f64_e64 s3, 0, v[199:200]
	v_cndmask_b32_e32 v201, v180, v180, vcc_lo
	v_cndmask_b32_e64 v208, v200, v203, s3
	v_cndmask_b32_e64 v203, v182, v182, s2
	s_delay_alu instid0(VALU_DEP_2) | instskip(NEXT) | instid1(VALU_DEP_2)
	v_add_f64 v[205:206], v[205:206], v[207:208]
	v_add_f64 v[201:202], v[201:202], v[203:204]
	s_delay_alu instid0(VALU_DEP_1) | instskip(SKIP_4) | instid1(SALU_CYCLE_1)
	v_cmp_lt_f64_e32 vcc_lo, v[201:202], v[205:206]
	v_dual_cndmask_b32 v182, v182, v199 :: v_dual_cndmask_b32 v181, v181, v198
	v_dual_cndmask_b32 v180, v180, v197 :: v_dual_cndmask_b32 v183, v183, v200
	v_cndmask_b32_e64 v188, v188, s6, vcc_lo
	s_add_i32 s6, s6, 1
	s_cmp_lg_u32 s5, s6
	s_cbranch_scc1 .LBB88_484
.LBB88_485:
	s_set_inst_prefetch_distance 0x2
	s_waitcnt lgkmcnt(0)
	v_cmp_eq_f64_e32 vcc_lo, 0, v[180:181]
	v_cmp_eq_f64_e64 s2, 0, v[182:183]
	s_delay_alu instid0(VALU_DEP_1) | instskip(NEXT) | instid1(SALU_CYCLE_1)
	s_and_b32 s2, vcc_lo, s2
	s_and_saveexec_b32 s3, s2
	s_delay_alu instid0(SALU_CYCLE_1)
	s_xor_b32 s2, exec_lo, s3
; %bb.486:
	v_cmp_ne_u32_e32 vcc_lo, 0, v193
	v_cndmask_b32_e32 v193, 24, v193, vcc_lo
; %bb.487:
	s_and_not1_saveexec_b32 s3, s2
	s_cbranch_execz .LBB88_493
; %bb.488:
	v_cmp_gt_f64_e32 vcc_lo, 0, v[180:181]
	v_cmp_gt_f64_e64 s2, 0, v[182:183]
	v_xor_b32_e32 v189, 0x80000000, v181
	v_xor_b32_e32 v197, 0x80000000, v183
	s_delay_alu instid0(VALU_DEP_2) | instskip(NEXT) | instid1(VALU_DEP_2)
	v_cndmask_b32_e32 v198, v181, v189, vcc_lo
	v_cndmask_b32_e64 v200, v183, v197, s2
	v_cndmask_b32_e32 v197, v180, v180, vcc_lo
	v_cndmask_b32_e64 v199, v182, v182, s2
	s_mov_b32 s2, exec_lo
	s_delay_alu instid0(VALU_DEP_1)
	v_cmpx_ngt_f64_e32 v[197:198], v[199:200]
	s_xor_b32 s2, exec_lo, s2
	s_cbranch_execz .LBB88_490
; %bb.489:
	v_div_scale_f64 v[197:198], null, v[182:183], v[182:183], v[180:181]
	v_div_scale_f64 v[203:204], vcc_lo, v[180:181], v[182:183], v[180:181]
	s_delay_alu instid0(VALU_DEP_2) | instskip(SKIP_2) | instid1(VALU_DEP_1)
	v_rcp_f64_e32 v[199:200], v[197:198]
	s_waitcnt_depctr 0xfff
	v_fma_f64 v[201:202], -v[197:198], v[199:200], 1.0
	v_fma_f64 v[199:200], v[199:200], v[201:202], v[199:200]
	s_delay_alu instid0(VALU_DEP_1) | instskip(NEXT) | instid1(VALU_DEP_1)
	v_fma_f64 v[201:202], -v[197:198], v[199:200], 1.0
	v_fma_f64 v[199:200], v[199:200], v[201:202], v[199:200]
	s_delay_alu instid0(VALU_DEP_1) | instskip(NEXT) | instid1(VALU_DEP_1)
	v_mul_f64 v[201:202], v[203:204], v[199:200]
	v_fma_f64 v[197:198], -v[197:198], v[201:202], v[203:204]
	s_delay_alu instid0(VALU_DEP_1) | instskip(NEXT) | instid1(VALU_DEP_1)
	v_div_fmas_f64 v[197:198], v[197:198], v[199:200], v[201:202]
	v_div_fixup_f64 v[197:198], v[197:198], v[182:183], v[180:181]
	s_delay_alu instid0(VALU_DEP_1) | instskip(NEXT) | instid1(VALU_DEP_1)
	v_fma_f64 v[180:181], v[180:181], v[197:198], v[182:183]
	v_div_scale_f64 v[182:183], null, v[180:181], v[180:181], 1.0
	s_delay_alu instid0(VALU_DEP_1) | instskip(SKIP_2) | instid1(VALU_DEP_1)
	v_rcp_f64_e32 v[199:200], v[182:183]
	s_waitcnt_depctr 0xfff
	v_fma_f64 v[201:202], -v[182:183], v[199:200], 1.0
	v_fma_f64 v[199:200], v[199:200], v[201:202], v[199:200]
	s_delay_alu instid0(VALU_DEP_1) | instskip(NEXT) | instid1(VALU_DEP_1)
	v_fma_f64 v[201:202], -v[182:183], v[199:200], 1.0
	v_fma_f64 v[199:200], v[199:200], v[201:202], v[199:200]
	v_div_scale_f64 v[201:202], vcc_lo, 1.0, v[180:181], 1.0
	s_delay_alu instid0(VALU_DEP_1) | instskip(NEXT) | instid1(VALU_DEP_1)
	v_mul_f64 v[203:204], v[201:202], v[199:200]
	v_fma_f64 v[182:183], -v[182:183], v[203:204], v[201:202]
	s_delay_alu instid0(VALU_DEP_1) | instskip(NEXT) | instid1(VALU_DEP_1)
	v_div_fmas_f64 v[182:183], v[182:183], v[199:200], v[203:204]
	v_div_fixup_f64 v[182:183], v[182:183], v[180:181], 1.0
	s_delay_alu instid0(VALU_DEP_1)
	v_mul_f64 v[180:181], v[197:198], v[182:183]
	v_xor_b32_e32 v183, 0x80000000, v183
.LBB88_490:
	s_and_not1_saveexec_b32 s2, s2
	s_cbranch_execz .LBB88_492
; %bb.491:
	s_delay_alu instid0(VALU_DEP_1) | instskip(SKIP_1) | instid1(VALU_DEP_2)
	v_div_scale_f64 v[197:198], null, v[180:181], v[180:181], v[182:183]
	v_div_scale_f64 v[203:204], vcc_lo, v[182:183], v[180:181], v[182:183]
	v_rcp_f64_e32 v[199:200], v[197:198]
	s_waitcnt_depctr 0xfff
	v_fma_f64 v[201:202], -v[197:198], v[199:200], 1.0
	s_delay_alu instid0(VALU_DEP_1) | instskip(NEXT) | instid1(VALU_DEP_1)
	v_fma_f64 v[199:200], v[199:200], v[201:202], v[199:200]
	v_fma_f64 v[201:202], -v[197:198], v[199:200], 1.0
	s_delay_alu instid0(VALU_DEP_1) | instskip(NEXT) | instid1(VALU_DEP_1)
	v_fma_f64 v[199:200], v[199:200], v[201:202], v[199:200]
	v_mul_f64 v[201:202], v[203:204], v[199:200]
	s_delay_alu instid0(VALU_DEP_1) | instskip(NEXT) | instid1(VALU_DEP_1)
	v_fma_f64 v[197:198], -v[197:198], v[201:202], v[203:204]
	v_div_fmas_f64 v[197:198], v[197:198], v[199:200], v[201:202]
	s_delay_alu instid0(VALU_DEP_1) | instskip(NEXT) | instid1(VALU_DEP_1)
	v_div_fixup_f64 v[197:198], v[197:198], v[180:181], v[182:183]
	v_fma_f64 v[180:181], v[182:183], v[197:198], v[180:181]
	s_delay_alu instid0(VALU_DEP_1) | instskip(NEXT) | instid1(VALU_DEP_1)
	v_div_scale_f64 v[182:183], null, v[180:181], v[180:181], 1.0
	v_rcp_f64_e32 v[199:200], v[182:183]
	s_waitcnt_depctr 0xfff
	v_fma_f64 v[201:202], -v[182:183], v[199:200], 1.0
	s_delay_alu instid0(VALU_DEP_1) | instskip(NEXT) | instid1(VALU_DEP_1)
	v_fma_f64 v[199:200], v[199:200], v[201:202], v[199:200]
	v_fma_f64 v[201:202], -v[182:183], v[199:200], 1.0
	s_delay_alu instid0(VALU_DEP_1) | instskip(SKIP_1) | instid1(VALU_DEP_1)
	v_fma_f64 v[199:200], v[199:200], v[201:202], v[199:200]
	v_div_scale_f64 v[201:202], vcc_lo, 1.0, v[180:181], 1.0
	v_mul_f64 v[203:204], v[201:202], v[199:200]
	s_delay_alu instid0(VALU_DEP_1) | instskip(NEXT) | instid1(VALU_DEP_1)
	v_fma_f64 v[182:183], -v[182:183], v[203:204], v[201:202]
	v_div_fmas_f64 v[182:183], v[182:183], v[199:200], v[203:204]
	s_delay_alu instid0(VALU_DEP_1) | instskip(NEXT) | instid1(VALU_DEP_1)
	v_div_fixup_f64 v[180:181], v[182:183], v[180:181], 1.0
	v_mul_f64 v[182:183], v[197:198], -v[180:181]
.LBB88_492:
	s_or_b32 exec_lo, exec_lo, s2
.LBB88_493:
	s_delay_alu instid0(SALU_CYCLE_1) | instskip(NEXT) | instid1(SALU_CYCLE_1)
	s_or_b32 exec_lo, exec_lo, s3
	s_mov_b32 s2, exec_lo
	v_cmpx_ne_u32_e64 v196, v188
	s_xor_b32 s2, exec_lo, s2
	s_cbranch_execz .LBB88_499
; %bb.494:
	s_mov_b32 s3, exec_lo
	v_cmpx_eq_u32_e32 23, v196
	s_cbranch_execz .LBB88_498
; %bb.495:
	v_cmp_ne_u32_e32 vcc_lo, 23, v188
	s_xor_b32 s6, s4, -1
	s_delay_alu instid0(SALU_CYCLE_1) | instskip(NEXT) | instid1(SALU_CYCLE_1)
	s_and_b32 s7, s6, vcc_lo
	s_and_saveexec_b32 s6, s7
	s_cbranch_execz .LBB88_497
; %bb.496:
	v_ashrrev_i32_e32 v189, 31, v188
	s_delay_alu instid0(VALU_DEP_1) | instskip(NEXT) | instid1(VALU_DEP_1)
	v_lshlrev_b64 v[196:197], 2, v[188:189]
	v_add_co_u32 v196, vcc_lo, v186, v196
	s_delay_alu instid0(VALU_DEP_2)
	v_add_co_ci_u32_e32 v197, vcc_lo, v187, v197, vcc_lo
	s_clause 0x1
	flat_load_b32 v189, v[196:197]
	flat_load_b32 v194, v[186:187] offset:92
	s_waitcnt vmcnt(1) lgkmcnt(1)
	flat_store_b32 v[186:187], v189 offset:92
	s_waitcnt vmcnt(0) lgkmcnt(1)
	flat_store_b32 v[196:197], v194
.LBB88_497:
	s_or_b32 exec_lo, exec_lo, s6
	v_mov_b32_e32 v196, v188
	v_mov_b32_e32 v194, v188
.LBB88_498:
	s_or_b32 exec_lo, exec_lo, s3
.LBB88_499:
	s_and_not1_saveexec_b32 s2, s2
	s_cbranch_execz .LBB88_501
; %bb.500:
	v_mov_b32_e32 v196, 23
	ds_store_2addr_b64 v190, v[80:81], v[82:83] offset0:48 offset1:49
	ds_store_2addr_b64 v190, v[76:77], v[78:79] offset0:50 offset1:51
	;; [unrolled: 1-line block ×21, first 2 shown]
.LBB88_501:
	s_or_b32 exec_lo, exec_lo, s2
	s_delay_alu instid0(SALU_CYCLE_1)
	s_mov_b32 s2, exec_lo
	s_waitcnt lgkmcnt(0)
	s_waitcnt_vscnt null, 0x0
	s_barrier
	buffer_gl0_inv
	v_cmpx_lt_i32_e32 23, v196
	s_cbranch_execz .LBB88_503
; %bb.502:
	v_mul_f64 v[188:189], v[182:183], v[86:87]
	v_mul_f64 v[86:87], v[180:181], v[86:87]
	s_delay_alu instid0(VALU_DEP_2) | instskip(NEXT) | instid1(VALU_DEP_2)
	v_fma_f64 v[188:189], v[180:181], v[84:85], -v[188:189]
	v_fma_f64 v[86:87], v[182:183], v[84:85], v[86:87]
	ds_load_2addr_b64 v[180:183], v190 offset0:48 offset1:49
	s_waitcnt lgkmcnt(0)
	v_mul_f64 v[84:85], v[182:183], v[86:87]
	s_delay_alu instid0(VALU_DEP_1) | instskip(SKIP_1) | instid1(VALU_DEP_2)
	v_fma_f64 v[84:85], v[180:181], v[188:189], -v[84:85]
	v_mul_f64 v[180:181], v[180:181], v[86:87]
	v_add_f64 v[80:81], v[80:81], -v[84:85]
	s_delay_alu instid0(VALU_DEP_2) | instskip(NEXT) | instid1(VALU_DEP_1)
	v_fma_f64 v[180:181], v[182:183], v[188:189], v[180:181]
	v_add_f64 v[82:83], v[82:83], -v[180:181]
	ds_load_2addr_b64 v[180:183], v190 offset0:50 offset1:51
	s_waitcnt lgkmcnt(0)
	v_mul_f64 v[84:85], v[182:183], v[86:87]
	s_delay_alu instid0(VALU_DEP_1) | instskip(SKIP_1) | instid1(VALU_DEP_2)
	v_fma_f64 v[84:85], v[180:181], v[188:189], -v[84:85]
	v_mul_f64 v[180:181], v[180:181], v[86:87]
	v_add_f64 v[76:77], v[76:77], -v[84:85]
	s_delay_alu instid0(VALU_DEP_2) | instskip(NEXT) | instid1(VALU_DEP_1)
	v_fma_f64 v[180:181], v[182:183], v[188:189], v[180:181]
	v_add_f64 v[78:79], v[78:79], -v[180:181]
	;; [unrolled: 10-line block ×20, first 2 shown]
	ds_load_2addr_b64 v[180:183], v190 offset0:88 offset1:89
	s_waitcnt lgkmcnt(0)
	v_mul_f64 v[84:85], v[182:183], v[86:87]
	s_delay_alu instid0(VALU_DEP_1) | instskip(SKIP_1) | instid1(VALU_DEP_2)
	v_fma_f64 v[84:85], v[180:181], v[188:189], -v[84:85]
	v_mul_f64 v[180:181], v[180:181], v[86:87]
	v_add_f64 v[0:1], v[0:1], -v[84:85]
	s_delay_alu instid0(VALU_DEP_2) | instskip(SKIP_1) | instid1(VALU_DEP_2)
	v_fma_f64 v[180:181], v[182:183], v[188:189], v[180:181]
	v_dual_mov_b32 v84, v188 :: v_dual_mov_b32 v85, v189
	v_add_f64 v[2:3], v[2:3], -v[180:181]
.LBB88_503:
	s_or_b32 exec_lo, exec_lo, s2
	v_lshl_add_u32 v180, v196, 4, v190
	s_barrier
	buffer_gl0_inv
	v_mov_b32_e32 v188, 24
	ds_store_2addr_b64 v180, v[80:81], v[82:83] offset1:1
	s_waitcnt lgkmcnt(0)
	s_barrier
	buffer_gl0_inv
	ds_load_2addr_b64 v[180:183], v190 offset0:48 offset1:49
	s_cmp_lt_i32 s5, 26
	s_cbranch_scc1 .LBB88_506
; %bb.504:
	v_add3_u32 v189, v195, 0, 0x190
	v_mov_b32_e32 v188, 24
	s_mov_b32 s6, 25
	s_set_inst_prefetch_distance 0x1
	.p2align	6
.LBB88_505:                             ; =>This Inner Loop Header: Depth=1
	ds_load_2addr_b64 v[197:200], v189 offset1:1
	s_waitcnt lgkmcnt(1)
	v_cmp_gt_f64_e32 vcc_lo, 0, v[180:181]
	v_xor_b32_e32 v201, 0x80000000, v181
	v_cmp_gt_f64_e64 s2, 0, v[182:183]
	v_xor_b32_e32 v203, 0x80000000, v183
	v_add_nc_u32_e32 v189, 16, v189
	s_waitcnt lgkmcnt(0)
	v_cmp_gt_f64_e64 s3, 0, v[197:198]
	v_mov_b32_e32 v205, v197
	v_dual_mov_b32 v207, v199 :: v_dual_cndmask_b32 v202, v181, v201
	v_xor_b32_e32 v201, 0x80000000, v198
	v_cndmask_b32_e64 v204, v183, v203, s2
	v_xor_b32_e32 v203, 0x80000000, v200
	s_delay_alu instid0(VALU_DEP_3) | instskip(SKIP_2) | instid1(VALU_DEP_2)
	v_cndmask_b32_e64 v206, v198, v201, s3
	v_cmp_gt_f64_e64 s3, 0, v[199:200]
	v_cndmask_b32_e32 v201, v180, v180, vcc_lo
	v_cndmask_b32_e64 v208, v200, v203, s3
	v_cndmask_b32_e64 v203, v182, v182, s2
	s_delay_alu instid0(VALU_DEP_2) | instskip(NEXT) | instid1(VALU_DEP_2)
	v_add_f64 v[205:206], v[205:206], v[207:208]
	v_add_f64 v[201:202], v[201:202], v[203:204]
	s_delay_alu instid0(VALU_DEP_1) | instskip(SKIP_4) | instid1(SALU_CYCLE_1)
	v_cmp_lt_f64_e32 vcc_lo, v[201:202], v[205:206]
	v_dual_cndmask_b32 v182, v182, v199 :: v_dual_cndmask_b32 v181, v181, v198
	v_dual_cndmask_b32 v180, v180, v197 :: v_dual_cndmask_b32 v183, v183, v200
	v_cndmask_b32_e64 v188, v188, s6, vcc_lo
	s_add_i32 s6, s6, 1
	s_cmp_lg_u32 s5, s6
	s_cbranch_scc1 .LBB88_505
.LBB88_506:
	s_set_inst_prefetch_distance 0x2
	s_waitcnt lgkmcnt(0)
	v_cmp_eq_f64_e32 vcc_lo, 0, v[180:181]
	v_cmp_eq_f64_e64 s2, 0, v[182:183]
	s_delay_alu instid0(VALU_DEP_1) | instskip(NEXT) | instid1(SALU_CYCLE_1)
	s_and_b32 s2, vcc_lo, s2
	s_and_saveexec_b32 s3, s2
	s_delay_alu instid0(SALU_CYCLE_1)
	s_xor_b32 s2, exec_lo, s3
; %bb.507:
	v_cmp_ne_u32_e32 vcc_lo, 0, v193
	v_cndmask_b32_e32 v193, 25, v193, vcc_lo
; %bb.508:
	s_and_not1_saveexec_b32 s3, s2
	s_cbranch_execz .LBB88_514
; %bb.509:
	v_cmp_gt_f64_e32 vcc_lo, 0, v[180:181]
	v_cmp_gt_f64_e64 s2, 0, v[182:183]
	v_xor_b32_e32 v189, 0x80000000, v181
	v_xor_b32_e32 v197, 0x80000000, v183
	s_delay_alu instid0(VALU_DEP_2) | instskip(NEXT) | instid1(VALU_DEP_2)
	v_cndmask_b32_e32 v198, v181, v189, vcc_lo
	v_cndmask_b32_e64 v200, v183, v197, s2
	v_cndmask_b32_e32 v197, v180, v180, vcc_lo
	v_cndmask_b32_e64 v199, v182, v182, s2
	s_mov_b32 s2, exec_lo
	s_delay_alu instid0(VALU_DEP_1)
	v_cmpx_ngt_f64_e32 v[197:198], v[199:200]
	s_xor_b32 s2, exec_lo, s2
	s_cbranch_execz .LBB88_511
; %bb.510:
	v_div_scale_f64 v[197:198], null, v[182:183], v[182:183], v[180:181]
	v_div_scale_f64 v[203:204], vcc_lo, v[180:181], v[182:183], v[180:181]
	s_delay_alu instid0(VALU_DEP_2) | instskip(SKIP_2) | instid1(VALU_DEP_1)
	v_rcp_f64_e32 v[199:200], v[197:198]
	s_waitcnt_depctr 0xfff
	v_fma_f64 v[201:202], -v[197:198], v[199:200], 1.0
	v_fma_f64 v[199:200], v[199:200], v[201:202], v[199:200]
	s_delay_alu instid0(VALU_DEP_1) | instskip(NEXT) | instid1(VALU_DEP_1)
	v_fma_f64 v[201:202], -v[197:198], v[199:200], 1.0
	v_fma_f64 v[199:200], v[199:200], v[201:202], v[199:200]
	s_delay_alu instid0(VALU_DEP_1) | instskip(NEXT) | instid1(VALU_DEP_1)
	v_mul_f64 v[201:202], v[203:204], v[199:200]
	v_fma_f64 v[197:198], -v[197:198], v[201:202], v[203:204]
	s_delay_alu instid0(VALU_DEP_1) | instskip(NEXT) | instid1(VALU_DEP_1)
	v_div_fmas_f64 v[197:198], v[197:198], v[199:200], v[201:202]
	v_div_fixup_f64 v[197:198], v[197:198], v[182:183], v[180:181]
	s_delay_alu instid0(VALU_DEP_1) | instskip(NEXT) | instid1(VALU_DEP_1)
	v_fma_f64 v[180:181], v[180:181], v[197:198], v[182:183]
	v_div_scale_f64 v[182:183], null, v[180:181], v[180:181], 1.0
	s_delay_alu instid0(VALU_DEP_1) | instskip(SKIP_2) | instid1(VALU_DEP_1)
	v_rcp_f64_e32 v[199:200], v[182:183]
	s_waitcnt_depctr 0xfff
	v_fma_f64 v[201:202], -v[182:183], v[199:200], 1.0
	v_fma_f64 v[199:200], v[199:200], v[201:202], v[199:200]
	s_delay_alu instid0(VALU_DEP_1) | instskip(NEXT) | instid1(VALU_DEP_1)
	v_fma_f64 v[201:202], -v[182:183], v[199:200], 1.0
	v_fma_f64 v[199:200], v[199:200], v[201:202], v[199:200]
	v_div_scale_f64 v[201:202], vcc_lo, 1.0, v[180:181], 1.0
	s_delay_alu instid0(VALU_DEP_1) | instskip(NEXT) | instid1(VALU_DEP_1)
	v_mul_f64 v[203:204], v[201:202], v[199:200]
	v_fma_f64 v[182:183], -v[182:183], v[203:204], v[201:202]
	s_delay_alu instid0(VALU_DEP_1) | instskip(NEXT) | instid1(VALU_DEP_1)
	v_div_fmas_f64 v[182:183], v[182:183], v[199:200], v[203:204]
	v_div_fixup_f64 v[182:183], v[182:183], v[180:181], 1.0
	s_delay_alu instid0(VALU_DEP_1)
	v_mul_f64 v[180:181], v[197:198], v[182:183]
	v_xor_b32_e32 v183, 0x80000000, v183
.LBB88_511:
	s_and_not1_saveexec_b32 s2, s2
	s_cbranch_execz .LBB88_513
; %bb.512:
	s_delay_alu instid0(VALU_DEP_1) | instskip(SKIP_1) | instid1(VALU_DEP_2)
	v_div_scale_f64 v[197:198], null, v[180:181], v[180:181], v[182:183]
	v_div_scale_f64 v[203:204], vcc_lo, v[182:183], v[180:181], v[182:183]
	v_rcp_f64_e32 v[199:200], v[197:198]
	s_waitcnt_depctr 0xfff
	v_fma_f64 v[201:202], -v[197:198], v[199:200], 1.0
	s_delay_alu instid0(VALU_DEP_1) | instskip(NEXT) | instid1(VALU_DEP_1)
	v_fma_f64 v[199:200], v[199:200], v[201:202], v[199:200]
	v_fma_f64 v[201:202], -v[197:198], v[199:200], 1.0
	s_delay_alu instid0(VALU_DEP_1) | instskip(NEXT) | instid1(VALU_DEP_1)
	v_fma_f64 v[199:200], v[199:200], v[201:202], v[199:200]
	v_mul_f64 v[201:202], v[203:204], v[199:200]
	s_delay_alu instid0(VALU_DEP_1) | instskip(NEXT) | instid1(VALU_DEP_1)
	v_fma_f64 v[197:198], -v[197:198], v[201:202], v[203:204]
	v_div_fmas_f64 v[197:198], v[197:198], v[199:200], v[201:202]
	s_delay_alu instid0(VALU_DEP_1) | instskip(NEXT) | instid1(VALU_DEP_1)
	v_div_fixup_f64 v[197:198], v[197:198], v[180:181], v[182:183]
	v_fma_f64 v[180:181], v[182:183], v[197:198], v[180:181]
	s_delay_alu instid0(VALU_DEP_1) | instskip(NEXT) | instid1(VALU_DEP_1)
	v_div_scale_f64 v[182:183], null, v[180:181], v[180:181], 1.0
	v_rcp_f64_e32 v[199:200], v[182:183]
	s_waitcnt_depctr 0xfff
	v_fma_f64 v[201:202], -v[182:183], v[199:200], 1.0
	s_delay_alu instid0(VALU_DEP_1) | instskip(NEXT) | instid1(VALU_DEP_1)
	v_fma_f64 v[199:200], v[199:200], v[201:202], v[199:200]
	v_fma_f64 v[201:202], -v[182:183], v[199:200], 1.0
	s_delay_alu instid0(VALU_DEP_1) | instskip(SKIP_1) | instid1(VALU_DEP_1)
	v_fma_f64 v[199:200], v[199:200], v[201:202], v[199:200]
	v_div_scale_f64 v[201:202], vcc_lo, 1.0, v[180:181], 1.0
	v_mul_f64 v[203:204], v[201:202], v[199:200]
	s_delay_alu instid0(VALU_DEP_1) | instskip(NEXT) | instid1(VALU_DEP_1)
	v_fma_f64 v[182:183], -v[182:183], v[203:204], v[201:202]
	v_div_fmas_f64 v[182:183], v[182:183], v[199:200], v[203:204]
	s_delay_alu instid0(VALU_DEP_1) | instskip(NEXT) | instid1(VALU_DEP_1)
	v_div_fixup_f64 v[180:181], v[182:183], v[180:181], 1.0
	v_mul_f64 v[182:183], v[197:198], -v[180:181]
.LBB88_513:
	s_or_b32 exec_lo, exec_lo, s2
.LBB88_514:
	s_delay_alu instid0(SALU_CYCLE_1) | instskip(NEXT) | instid1(SALU_CYCLE_1)
	s_or_b32 exec_lo, exec_lo, s3
	s_mov_b32 s2, exec_lo
	v_cmpx_ne_u32_e64 v196, v188
	s_xor_b32 s2, exec_lo, s2
	s_cbranch_execz .LBB88_520
; %bb.515:
	s_mov_b32 s3, exec_lo
	v_cmpx_eq_u32_e32 24, v196
	s_cbranch_execz .LBB88_519
; %bb.516:
	v_cmp_ne_u32_e32 vcc_lo, 24, v188
	s_xor_b32 s6, s4, -1
	s_delay_alu instid0(SALU_CYCLE_1) | instskip(NEXT) | instid1(SALU_CYCLE_1)
	s_and_b32 s7, s6, vcc_lo
	s_and_saveexec_b32 s6, s7
	s_cbranch_execz .LBB88_518
; %bb.517:
	v_ashrrev_i32_e32 v189, 31, v188
	s_delay_alu instid0(VALU_DEP_1) | instskip(NEXT) | instid1(VALU_DEP_1)
	v_lshlrev_b64 v[196:197], 2, v[188:189]
	v_add_co_u32 v196, vcc_lo, v186, v196
	s_delay_alu instid0(VALU_DEP_2)
	v_add_co_ci_u32_e32 v197, vcc_lo, v187, v197, vcc_lo
	s_clause 0x1
	flat_load_b32 v189, v[196:197]
	flat_load_b32 v194, v[186:187] offset:96
	s_waitcnt vmcnt(1) lgkmcnt(1)
	flat_store_b32 v[186:187], v189 offset:96
	s_waitcnt vmcnt(0) lgkmcnt(1)
	flat_store_b32 v[196:197], v194
.LBB88_518:
	s_or_b32 exec_lo, exec_lo, s6
	v_mov_b32_e32 v196, v188
	v_mov_b32_e32 v194, v188
.LBB88_519:
	s_or_b32 exec_lo, exec_lo, s3
.LBB88_520:
	s_and_not1_saveexec_b32 s2, s2
	s_cbranch_execz .LBB88_522
; %bb.521:
	v_mov_b32_e32 v196, 24
	ds_store_2addr_b64 v190, v[76:77], v[78:79] offset0:50 offset1:51
	ds_store_2addr_b64 v190, v[72:73], v[74:75] offset0:52 offset1:53
	;; [unrolled: 1-line block ×20, first 2 shown]
.LBB88_522:
	s_or_b32 exec_lo, exec_lo, s2
	s_delay_alu instid0(SALU_CYCLE_1)
	s_mov_b32 s2, exec_lo
	s_waitcnt lgkmcnt(0)
	s_waitcnt_vscnt null, 0x0
	s_barrier
	buffer_gl0_inv
	v_cmpx_lt_i32_e32 24, v196
	s_cbranch_execz .LBB88_524
; %bb.523:
	v_mul_f64 v[188:189], v[182:183], v[82:83]
	v_mul_f64 v[82:83], v[180:181], v[82:83]
	s_delay_alu instid0(VALU_DEP_2) | instskip(NEXT) | instid1(VALU_DEP_2)
	v_fma_f64 v[188:189], v[180:181], v[80:81], -v[188:189]
	v_fma_f64 v[82:83], v[182:183], v[80:81], v[82:83]
	ds_load_2addr_b64 v[180:183], v190 offset0:50 offset1:51
	s_waitcnt lgkmcnt(0)
	v_mul_f64 v[80:81], v[182:183], v[82:83]
	s_delay_alu instid0(VALU_DEP_1) | instskip(SKIP_1) | instid1(VALU_DEP_2)
	v_fma_f64 v[80:81], v[180:181], v[188:189], -v[80:81]
	v_mul_f64 v[180:181], v[180:181], v[82:83]
	v_add_f64 v[76:77], v[76:77], -v[80:81]
	s_delay_alu instid0(VALU_DEP_2) | instskip(NEXT) | instid1(VALU_DEP_1)
	v_fma_f64 v[180:181], v[182:183], v[188:189], v[180:181]
	v_add_f64 v[78:79], v[78:79], -v[180:181]
	ds_load_2addr_b64 v[180:183], v190 offset0:52 offset1:53
	s_waitcnt lgkmcnt(0)
	v_mul_f64 v[80:81], v[182:183], v[82:83]
	s_delay_alu instid0(VALU_DEP_1) | instskip(SKIP_1) | instid1(VALU_DEP_2)
	v_fma_f64 v[80:81], v[180:181], v[188:189], -v[80:81]
	v_mul_f64 v[180:181], v[180:181], v[82:83]
	v_add_f64 v[72:73], v[72:73], -v[80:81]
	s_delay_alu instid0(VALU_DEP_2) | instskip(NEXT) | instid1(VALU_DEP_1)
	v_fma_f64 v[180:181], v[182:183], v[188:189], v[180:181]
	v_add_f64 v[74:75], v[74:75], -v[180:181]
	;; [unrolled: 10-line block ×19, first 2 shown]
	ds_load_2addr_b64 v[180:183], v190 offset0:88 offset1:89
	s_waitcnt lgkmcnt(0)
	v_mul_f64 v[80:81], v[182:183], v[82:83]
	s_delay_alu instid0(VALU_DEP_1) | instskip(SKIP_1) | instid1(VALU_DEP_2)
	v_fma_f64 v[80:81], v[180:181], v[188:189], -v[80:81]
	v_mul_f64 v[180:181], v[180:181], v[82:83]
	v_add_f64 v[0:1], v[0:1], -v[80:81]
	s_delay_alu instid0(VALU_DEP_2) | instskip(SKIP_1) | instid1(VALU_DEP_2)
	v_fma_f64 v[180:181], v[182:183], v[188:189], v[180:181]
	v_dual_mov_b32 v80, v188 :: v_dual_mov_b32 v81, v189
	v_add_f64 v[2:3], v[2:3], -v[180:181]
.LBB88_524:
	s_or_b32 exec_lo, exec_lo, s2
	v_lshl_add_u32 v180, v196, 4, v190
	s_barrier
	buffer_gl0_inv
	v_mov_b32_e32 v188, 25
	ds_store_2addr_b64 v180, v[76:77], v[78:79] offset1:1
	s_waitcnt lgkmcnt(0)
	s_barrier
	buffer_gl0_inv
	ds_load_2addr_b64 v[180:183], v190 offset0:50 offset1:51
	s_cmp_lt_i32 s5, 27
	s_cbranch_scc1 .LBB88_527
; %bb.525:
	v_add3_u32 v189, v195, 0, 0x1a0
	v_mov_b32_e32 v188, 25
	s_mov_b32 s6, 26
	s_set_inst_prefetch_distance 0x1
	.p2align	6
.LBB88_526:                             ; =>This Inner Loop Header: Depth=1
	ds_load_2addr_b64 v[197:200], v189 offset1:1
	s_waitcnt lgkmcnt(1)
	v_cmp_gt_f64_e32 vcc_lo, 0, v[180:181]
	v_xor_b32_e32 v201, 0x80000000, v181
	v_cmp_gt_f64_e64 s2, 0, v[182:183]
	v_xor_b32_e32 v203, 0x80000000, v183
	v_add_nc_u32_e32 v189, 16, v189
	s_waitcnt lgkmcnt(0)
	v_cmp_gt_f64_e64 s3, 0, v[197:198]
	v_mov_b32_e32 v205, v197
	v_dual_mov_b32 v207, v199 :: v_dual_cndmask_b32 v202, v181, v201
	v_xor_b32_e32 v201, 0x80000000, v198
	v_cndmask_b32_e64 v204, v183, v203, s2
	v_xor_b32_e32 v203, 0x80000000, v200
	s_delay_alu instid0(VALU_DEP_3) | instskip(SKIP_2) | instid1(VALU_DEP_2)
	v_cndmask_b32_e64 v206, v198, v201, s3
	v_cmp_gt_f64_e64 s3, 0, v[199:200]
	v_cndmask_b32_e32 v201, v180, v180, vcc_lo
	v_cndmask_b32_e64 v208, v200, v203, s3
	v_cndmask_b32_e64 v203, v182, v182, s2
	s_delay_alu instid0(VALU_DEP_2) | instskip(NEXT) | instid1(VALU_DEP_2)
	v_add_f64 v[205:206], v[205:206], v[207:208]
	v_add_f64 v[201:202], v[201:202], v[203:204]
	s_delay_alu instid0(VALU_DEP_1) | instskip(SKIP_4) | instid1(SALU_CYCLE_1)
	v_cmp_lt_f64_e32 vcc_lo, v[201:202], v[205:206]
	v_dual_cndmask_b32 v182, v182, v199 :: v_dual_cndmask_b32 v181, v181, v198
	v_dual_cndmask_b32 v180, v180, v197 :: v_dual_cndmask_b32 v183, v183, v200
	v_cndmask_b32_e64 v188, v188, s6, vcc_lo
	s_add_i32 s6, s6, 1
	s_cmp_lg_u32 s5, s6
	s_cbranch_scc1 .LBB88_526
.LBB88_527:
	s_set_inst_prefetch_distance 0x2
	s_waitcnt lgkmcnt(0)
	v_cmp_eq_f64_e32 vcc_lo, 0, v[180:181]
	v_cmp_eq_f64_e64 s2, 0, v[182:183]
	s_delay_alu instid0(VALU_DEP_1) | instskip(NEXT) | instid1(SALU_CYCLE_1)
	s_and_b32 s2, vcc_lo, s2
	s_and_saveexec_b32 s3, s2
	s_delay_alu instid0(SALU_CYCLE_1)
	s_xor_b32 s2, exec_lo, s3
; %bb.528:
	v_cmp_ne_u32_e32 vcc_lo, 0, v193
	v_cndmask_b32_e32 v193, 26, v193, vcc_lo
; %bb.529:
	s_and_not1_saveexec_b32 s3, s2
	s_cbranch_execz .LBB88_535
; %bb.530:
	v_cmp_gt_f64_e32 vcc_lo, 0, v[180:181]
	v_cmp_gt_f64_e64 s2, 0, v[182:183]
	v_xor_b32_e32 v189, 0x80000000, v181
	v_xor_b32_e32 v197, 0x80000000, v183
	s_delay_alu instid0(VALU_DEP_2) | instskip(NEXT) | instid1(VALU_DEP_2)
	v_cndmask_b32_e32 v198, v181, v189, vcc_lo
	v_cndmask_b32_e64 v200, v183, v197, s2
	v_cndmask_b32_e32 v197, v180, v180, vcc_lo
	v_cndmask_b32_e64 v199, v182, v182, s2
	s_mov_b32 s2, exec_lo
	s_delay_alu instid0(VALU_DEP_1)
	v_cmpx_ngt_f64_e32 v[197:198], v[199:200]
	s_xor_b32 s2, exec_lo, s2
	s_cbranch_execz .LBB88_532
; %bb.531:
	v_div_scale_f64 v[197:198], null, v[182:183], v[182:183], v[180:181]
	v_div_scale_f64 v[203:204], vcc_lo, v[180:181], v[182:183], v[180:181]
	s_delay_alu instid0(VALU_DEP_2) | instskip(SKIP_2) | instid1(VALU_DEP_1)
	v_rcp_f64_e32 v[199:200], v[197:198]
	s_waitcnt_depctr 0xfff
	v_fma_f64 v[201:202], -v[197:198], v[199:200], 1.0
	v_fma_f64 v[199:200], v[199:200], v[201:202], v[199:200]
	s_delay_alu instid0(VALU_DEP_1) | instskip(NEXT) | instid1(VALU_DEP_1)
	v_fma_f64 v[201:202], -v[197:198], v[199:200], 1.0
	v_fma_f64 v[199:200], v[199:200], v[201:202], v[199:200]
	s_delay_alu instid0(VALU_DEP_1) | instskip(NEXT) | instid1(VALU_DEP_1)
	v_mul_f64 v[201:202], v[203:204], v[199:200]
	v_fma_f64 v[197:198], -v[197:198], v[201:202], v[203:204]
	s_delay_alu instid0(VALU_DEP_1) | instskip(NEXT) | instid1(VALU_DEP_1)
	v_div_fmas_f64 v[197:198], v[197:198], v[199:200], v[201:202]
	v_div_fixup_f64 v[197:198], v[197:198], v[182:183], v[180:181]
	s_delay_alu instid0(VALU_DEP_1) | instskip(NEXT) | instid1(VALU_DEP_1)
	v_fma_f64 v[180:181], v[180:181], v[197:198], v[182:183]
	v_div_scale_f64 v[182:183], null, v[180:181], v[180:181], 1.0
	s_delay_alu instid0(VALU_DEP_1) | instskip(SKIP_2) | instid1(VALU_DEP_1)
	v_rcp_f64_e32 v[199:200], v[182:183]
	s_waitcnt_depctr 0xfff
	v_fma_f64 v[201:202], -v[182:183], v[199:200], 1.0
	v_fma_f64 v[199:200], v[199:200], v[201:202], v[199:200]
	s_delay_alu instid0(VALU_DEP_1) | instskip(NEXT) | instid1(VALU_DEP_1)
	v_fma_f64 v[201:202], -v[182:183], v[199:200], 1.0
	v_fma_f64 v[199:200], v[199:200], v[201:202], v[199:200]
	v_div_scale_f64 v[201:202], vcc_lo, 1.0, v[180:181], 1.0
	s_delay_alu instid0(VALU_DEP_1) | instskip(NEXT) | instid1(VALU_DEP_1)
	v_mul_f64 v[203:204], v[201:202], v[199:200]
	v_fma_f64 v[182:183], -v[182:183], v[203:204], v[201:202]
	s_delay_alu instid0(VALU_DEP_1) | instskip(NEXT) | instid1(VALU_DEP_1)
	v_div_fmas_f64 v[182:183], v[182:183], v[199:200], v[203:204]
	v_div_fixup_f64 v[182:183], v[182:183], v[180:181], 1.0
	s_delay_alu instid0(VALU_DEP_1)
	v_mul_f64 v[180:181], v[197:198], v[182:183]
	v_xor_b32_e32 v183, 0x80000000, v183
.LBB88_532:
	s_and_not1_saveexec_b32 s2, s2
	s_cbranch_execz .LBB88_534
; %bb.533:
	s_delay_alu instid0(VALU_DEP_1) | instskip(SKIP_1) | instid1(VALU_DEP_2)
	v_div_scale_f64 v[197:198], null, v[180:181], v[180:181], v[182:183]
	v_div_scale_f64 v[203:204], vcc_lo, v[182:183], v[180:181], v[182:183]
	v_rcp_f64_e32 v[199:200], v[197:198]
	s_waitcnt_depctr 0xfff
	v_fma_f64 v[201:202], -v[197:198], v[199:200], 1.0
	s_delay_alu instid0(VALU_DEP_1) | instskip(NEXT) | instid1(VALU_DEP_1)
	v_fma_f64 v[199:200], v[199:200], v[201:202], v[199:200]
	v_fma_f64 v[201:202], -v[197:198], v[199:200], 1.0
	s_delay_alu instid0(VALU_DEP_1) | instskip(NEXT) | instid1(VALU_DEP_1)
	v_fma_f64 v[199:200], v[199:200], v[201:202], v[199:200]
	v_mul_f64 v[201:202], v[203:204], v[199:200]
	s_delay_alu instid0(VALU_DEP_1) | instskip(NEXT) | instid1(VALU_DEP_1)
	v_fma_f64 v[197:198], -v[197:198], v[201:202], v[203:204]
	v_div_fmas_f64 v[197:198], v[197:198], v[199:200], v[201:202]
	s_delay_alu instid0(VALU_DEP_1) | instskip(NEXT) | instid1(VALU_DEP_1)
	v_div_fixup_f64 v[197:198], v[197:198], v[180:181], v[182:183]
	v_fma_f64 v[180:181], v[182:183], v[197:198], v[180:181]
	s_delay_alu instid0(VALU_DEP_1) | instskip(NEXT) | instid1(VALU_DEP_1)
	v_div_scale_f64 v[182:183], null, v[180:181], v[180:181], 1.0
	v_rcp_f64_e32 v[199:200], v[182:183]
	s_waitcnt_depctr 0xfff
	v_fma_f64 v[201:202], -v[182:183], v[199:200], 1.0
	s_delay_alu instid0(VALU_DEP_1) | instskip(NEXT) | instid1(VALU_DEP_1)
	v_fma_f64 v[199:200], v[199:200], v[201:202], v[199:200]
	v_fma_f64 v[201:202], -v[182:183], v[199:200], 1.0
	s_delay_alu instid0(VALU_DEP_1) | instskip(SKIP_1) | instid1(VALU_DEP_1)
	v_fma_f64 v[199:200], v[199:200], v[201:202], v[199:200]
	v_div_scale_f64 v[201:202], vcc_lo, 1.0, v[180:181], 1.0
	v_mul_f64 v[203:204], v[201:202], v[199:200]
	s_delay_alu instid0(VALU_DEP_1) | instskip(NEXT) | instid1(VALU_DEP_1)
	v_fma_f64 v[182:183], -v[182:183], v[203:204], v[201:202]
	v_div_fmas_f64 v[182:183], v[182:183], v[199:200], v[203:204]
	s_delay_alu instid0(VALU_DEP_1) | instskip(NEXT) | instid1(VALU_DEP_1)
	v_div_fixup_f64 v[180:181], v[182:183], v[180:181], 1.0
	v_mul_f64 v[182:183], v[197:198], -v[180:181]
.LBB88_534:
	s_or_b32 exec_lo, exec_lo, s2
.LBB88_535:
	s_delay_alu instid0(SALU_CYCLE_1) | instskip(NEXT) | instid1(SALU_CYCLE_1)
	s_or_b32 exec_lo, exec_lo, s3
	s_mov_b32 s2, exec_lo
	v_cmpx_ne_u32_e64 v196, v188
	s_xor_b32 s2, exec_lo, s2
	s_cbranch_execz .LBB88_541
; %bb.536:
	s_mov_b32 s3, exec_lo
	v_cmpx_eq_u32_e32 25, v196
	s_cbranch_execz .LBB88_540
; %bb.537:
	v_cmp_ne_u32_e32 vcc_lo, 25, v188
	s_xor_b32 s6, s4, -1
	s_delay_alu instid0(SALU_CYCLE_1) | instskip(NEXT) | instid1(SALU_CYCLE_1)
	s_and_b32 s7, s6, vcc_lo
	s_and_saveexec_b32 s6, s7
	s_cbranch_execz .LBB88_539
; %bb.538:
	v_ashrrev_i32_e32 v189, 31, v188
	s_delay_alu instid0(VALU_DEP_1) | instskip(NEXT) | instid1(VALU_DEP_1)
	v_lshlrev_b64 v[196:197], 2, v[188:189]
	v_add_co_u32 v196, vcc_lo, v186, v196
	s_delay_alu instid0(VALU_DEP_2)
	v_add_co_ci_u32_e32 v197, vcc_lo, v187, v197, vcc_lo
	s_clause 0x1
	flat_load_b32 v189, v[196:197]
	flat_load_b32 v194, v[186:187] offset:100
	s_waitcnt vmcnt(1) lgkmcnt(1)
	flat_store_b32 v[186:187], v189 offset:100
	s_waitcnt vmcnt(0) lgkmcnt(1)
	flat_store_b32 v[196:197], v194
.LBB88_539:
	s_or_b32 exec_lo, exec_lo, s6
	v_mov_b32_e32 v196, v188
	v_mov_b32_e32 v194, v188
.LBB88_540:
	s_or_b32 exec_lo, exec_lo, s3
.LBB88_541:
	s_and_not1_saveexec_b32 s2, s2
	s_cbranch_execz .LBB88_543
; %bb.542:
	v_mov_b32_e32 v196, 25
	ds_store_2addr_b64 v190, v[72:73], v[74:75] offset0:52 offset1:53
	ds_store_2addr_b64 v190, v[68:69], v[70:71] offset0:54 offset1:55
	;; [unrolled: 1-line block ×19, first 2 shown]
.LBB88_543:
	s_or_b32 exec_lo, exec_lo, s2
	s_delay_alu instid0(SALU_CYCLE_1)
	s_mov_b32 s2, exec_lo
	s_waitcnt lgkmcnt(0)
	s_waitcnt_vscnt null, 0x0
	s_barrier
	buffer_gl0_inv
	v_cmpx_lt_i32_e32 25, v196
	s_cbranch_execz .LBB88_545
; %bb.544:
	v_mul_f64 v[188:189], v[182:183], v[78:79]
	v_mul_f64 v[78:79], v[180:181], v[78:79]
	s_delay_alu instid0(VALU_DEP_2) | instskip(NEXT) | instid1(VALU_DEP_2)
	v_fma_f64 v[188:189], v[180:181], v[76:77], -v[188:189]
	v_fma_f64 v[78:79], v[182:183], v[76:77], v[78:79]
	ds_load_2addr_b64 v[180:183], v190 offset0:52 offset1:53
	s_waitcnt lgkmcnt(0)
	v_mul_f64 v[76:77], v[182:183], v[78:79]
	s_delay_alu instid0(VALU_DEP_1) | instskip(SKIP_1) | instid1(VALU_DEP_2)
	v_fma_f64 v[76:77], v[180:181], v[188:189], -v[76:77]
	v_mul_f64 v[180:181], v[180:181], v[78:79]
	v_add_f64 v[72:73], v[72:73], -v[76:77]
	s_delay_alu instid0(VALU_DEP_2) | instskip(NEXT) | instid1(VALU_DEP_1)
	v_fma_f64 v[180:181], v[182:183], v[188:189], v[180:181]
	v_add_f64 v[74:75], v[74:75], -v[180:181]
	ds_load_2addr_b64 v[180:183], v190 offset0:54 offset1:55
	s_waitcnt lgkmcnt(0)
	v_mul_f64 v[76:77], v[182:183], v[78:79]
	s_delay_alu instid0(VALU_DEP_1) | instskip(SKIP_1) | instid1(VALU_DEP_2)
	v_fma_f64 v[76:77], v[180:181], v[188:189], -v[76:77]
	v_mul_f64 v[180:181], v[180:181], v[78:79]
	v_add_f64 v[68:69], v[68:69], -v[76:77]
	s_delay_alu instid0(VALU_DEP_2) | instskip(NEXT) | instid1(VALU_DEP_1)
	v_fma_f64 v[180:181], v[182:183], v[188:189], v[180:181]
	v_add_f64 v[70:71], v[70:71], -v[180:181]
	;; [unrolled: 10-line block ×18, first 2 shown]
	ds_load_2addr_b64 v[180:183], v190 offset0:88 offset1:89
	s_waitcnt lgkmcnt(0)
	v_mul_f64 v[76:77], v[182:183], v[78:79]
	s_delay_alu instid0(VALU_DEP_1) | instskip(SKIP_1) | instid1(VALU_DEP_2)
	v_fma_f64 v[76:77], v[180:181], v[188:189], -v[76:77]
	v_mul_f64 v[180:181], v[180:181], v[78:79]
	v_add_f64 v[0:1], v[0:1], -v[76:77]
	s_delay_alu instid0(VALU_DEP_2) | instskip(SKIP_1) | instid1(VALU_DEP_2)
	v_fma_f64 v[180:181], v[182:183], v[188:189], v[180:181]
	v_dual_mov_b32 v76, v188 :: v_dual_mov_b32 v77, v189
	v_add_f64 v[2:3], v[2:3], -v[180:181]
.LBB88_545:
	s_or_b32 exec_lo, exec_lo, s2
	v_lshl_add_u32 v180, v196, 4, v190
	s_barrier
	buffer_gl0_inv
	v_mov_b32_e32 v188, 26
	ds_store_2addr_b64 v180, v[72:73], v[74:75] offset1:1
	s_waitcnt lgkmcnt(0)
	s_barrier
	buffer_gl0_inv
	ds_load_2addr_b64 v[180:183], v190 offset0:52 offset1:53
	s_cmp_lt_i32 s5, 28
	s_cbranch_scc1 .LBB88_548
; %bb.546:
	v_add3_u32 v189, v195, 0, 0x1b0
	v_mov_b32_e32 v188, 26
	s_mov_b32 s6, 27
	s_set_inst_prefetch_distance 0x1
	.p2align	6
.LBB88_547:                             ; =>This Inner Loop Header: Depth=1
	ds_load_2addr_b64 v[197:200], v189 offset1:1
	s_waitcnt lgkmcnt(1)
	v_cmp_gt_f64_e32 vcc_lo, 0, v[180:181]
	v_xor_b32_e32 v201, 0x80000000, v181
	v_cmp_gt_f64_e64 s2, 0, v[182:183]
	v_xor_b32_e32 v203, 0x80000000, v183
	v_add_nc_u32_e32 v189, 16, v189
	s_waitcnt lgkmcnt(0)
	v_cmp_gt_f64_e64 s3, 0, v[197:198]
	v_mov_b32_e32 v205, v197
	v_dual_mov_b32 v207, v199 :: v_dual_cndmask_b32 v202, v181, v201
	v_xor_b32_e32 v201, 0x80000000, v198
	v_cndmask_b32_e64 v204, v183, v203, s2
	v_xor_b32_e32 v203, 0x80000000, v200
	s_delay_alu instid0(VALU_DEP_3) | instskip(SKIP_2) | instid1(VALU_DEP_2)
	v_cndmask_b32_e64 v206, v198, v201, s3
	v_cmp_gt_f64_e64 s3, 0, v[199:200]
	v_cndmask_b32_e32 v201, v180, v180, vcc_lo
	v_cndmask_b32_e64 v208, v200, v203, s3
	v_cndmask_b32_e64 v203, v182, v182, s2
	s_delay_alu instid0(VALU_DEP_2) | instskip(NEXT) | instid1(VALU_DEP_2)
	v_add_f64 v[205:206], v[205:206], v[207:208]
	v_add_f64 v[201:202], v[201:202], v[203:204]
	s_delay_alu instid0(VALU_DEP_1) | instskip(SKIP_4) | instid1(SALU_CYCLE_1)
	v_cmp_lt_f64_e32 vcc_lo, v[201:202], v[205:206]
	v_dual_cndmask_b32 v182, v182, v199 :: v_dual_cndmask_b32 v181, v181, v198
	v_dual_cndmask_b32 v180, v180, v197 :: v_dual_cndmask_b32 v183, v183, v200
	v_cndmask_b32_e64 v188, v188, s6, vcc_lo
	s_add_i32 s6, s6, 1
	s_cmp_lg_u32 s5, s6
	s_cbranch_scc1 .LBB88_547
.LBB88_548:
	s_set_inst_prefetch_distance 0x2
	s_waitcnt lgkmcnt(0)
	v_cmp_eq_f64_e32 vcc_lo, 0, v[180:181]
	v_cmp_eq_f64_e64 s2, 0, v[182:183]
	s_delay_alu instid0(VALU_DEP_1) | instskip(NEXT) | instid1(SALU_CYCLE_1)
	s_and_b32 s2, vcc_lo, s2
	s_and_saveexec_b32 s3, s2
	s_delay_alu instid0(SALU_CYCLE_1)
	s_xor_b32 s2, exec_lo, s3
; %bb.549:
	v_cmp_ne_u32_e32 vcc_lo, 0, v193
	v_cndmask_b32_e32 v193, 27, v193, vcc_lo
; %bb.550:
	s_and_not1_saveexec_b32 s3, s2
	s_cbranch_execz .LBB88_556
; %bb.551:
	v_cmp_gt_f64_e32 vcc_lo, 0, v[180:181]
	v_cmp_gt_f64_e64 s2, 0, v[182:183]
	v_xor_b32_e32 v189, 0x80000000, v181
	v_xor_b32_e32 v197, 0x80000000, v183
	s_delay_alu instid0(VALU_DEP_2) | instskip(NEXT) | instid1(VALU_DEP_2)
	v_cndmask_b32_e32 v198, v181, v189, vcc_lo
	v_cndmask_b32_e64 v200, v183, v197, s2
	v_cndmask_b32_e32 v197, v180, v180, vcc_lo
	v_cndmask_b32_e64 v199, v182, v182, s2
	s_mov_b32 s2, exec_lo
	s_delay_alu instid0(VALU_DEP_1)
	v_cmpx_ngt_f64_e32 v[197:198], v[199:200]
	s_xor_b32 s2, exec_lo, s2
	s_cbranch_execz .LBB88_553
; %bb.552:
	v_div_scale_f64 v[197:198], null, v[182:183], v[182:183], v[180:181]
	v_div_scale_f64 v[203:204], vcc_lo, v[180:181], v[182:183], v[180:181]
	s_delay_alu instid0(VALU_DEP_2) | instskip(SKIP_2) | instid1(VALU_DEP_1)
	v_rcp_f64_e32 v[199:200], v[197:198]
	s_waitcnt_depctr 0xfff
	v_fma_f64 v[201:202], -v[197:198], v[199:200], 1.0
	v_fma_f64 v[199:200], v[199:200], v[201:202], v[199:200]
	s_delay_alu instid0(VALU_DEP_1) | instskip(NEXT) | instid1(VALU_DEP_1)
	v_fma_f64 v[201:202], -v[197:198], v[199:200], 1.0
	v_fma_f64 v[199:200], v[199:200], v[201:202], v[199:200]
	s_delay_alu instid0(VALU_DEP_1) | instskip(NEXT) | instid1(VALU_DEP_1)
	v_mul_f64 v[201:202], v[203:204], v[199:200]
	v_fma_f64 v[197:198], -v[197:198], v[201:202], v[203:204]
	s_delay_alu instid0(VALU_DEP_1) | instskip(NEXT) | instid1(VALU_DEP_1)
	v_div_fmas_f64 v[197:198], v[197:198], v[199:200], v[201:202]
	v_div_fixup_f64 v[197:198], v[197:198], v[182:183], v[180:181]
	s_delay_alu instid0(VALU_DEP_1) | instskip(NEXT) | instid1(VALU_DEP_1)
	v_fma_f64 v[180:181], v[180:181], v[197:198], v[182:183]
	v_div_scale_f64 v[182:183], null, v[180:181], v[180:181], 1.0
	s_delay_alu instid0(VALU_DEP_1) | instskip(SKIP_2) | instid1(VALU_DEP_1)
	v_rcp_f64_e32 v[199:200], v[182:183]
	s_waitcnt_depctr 0xfff
	v_fma_f64 v[201:202], -v[182:183], v[199:200], 1.0
	v_fma_f64 v[199:200], v[199:200], v[201:202], v[199:200]
	s_delay_alu instid0(VALU_DEP_1) | instskip(NEXT) | instid1(VALU_DEP_1)
	v_fma_f64 v[201:202], -v[182:183], v[199:200], 1.0
	v_fma_f64 v[199:200], v[199:200], v[201:202], v[199:200]
	v_div_scale_f64 v[201:202], vcc_lo, 1.0, v[180:181], 1.0
	s_delay_alu instid0(VALU_DEP_1) | instskip(NEXT) | instid1(VALU_DEP_1)
	v_mul_f64 v[203:204], v[201:202], v[199:200]
	v_fma_f64 v[182:183], -v[182:183], v[203:204], v[201:202]
	s_delay_alu instid0(VALU_DEP_1) | instskip(NEXT) | instid1(VALU_DEP_1)
	v_div_fmas_f64 v[182:183], v[182:183], v[199:200], v[203:204]
	v_div_fixup_f64 v[182:183], v[182:183], v[180:181], 1.0
	s_delay_alu instid0(VALU_DEP_1)
	v_mul_f64 v[180:181], v[197:198], v[182:183]
	v_xor_b32_e32 v183, 0x80000000, v183
.LBB88_553:
	s_and_not1_saveexec_b32 s2, s2
	s_cbranch_execz .LBB88_555
; %bb.554:
	s_delay_alu instid0(VALU_DEP_1) | instskip(SKIP_1) | instid1(VALU_DEP_2)
	v_div_scale_f64 v[197:198], null, v[180:181], v[180:181], v[182:183]
	v_div_scale_f64 v[203:204], vcc_lo, v[182:183], v[180:181], v[182:183]
	v_rcp_f64_e32 v[199:200], v[197:198]
	s_waitcnt_depctr 0xfff
	v_fma_f64 v[201:202], -v[197:198], v[199:200], 1.0
	s_delay_alu instid0(VALU_DEP_1) | instskip(NEXT) | instid1(VALU_DEP_1)
	v_fma_f64 v[199:200], v[199:200], v[201:202], v[199:200]
	v_fma_f64 v[201:202], -v[197:198], v[199:200], 1.0
	s_delay_alu instid0(VALU_DEP_1) | instskip(NEXT) | instid1(VALU_DEP_1)
	v_fma_f64 v[199:200], v[199:200], v[201:202], v[199:200]
	v_mul_f64 v[201:202], v[203:204], v[199:200]
	s_delay_alu instid0(VALU_DEP_1) | instskip(NEXT) | instid1(VALU_DEP_1)
	v_fma_f64 v[197:198], -v[197:198], v[201:202], v[203:204]
	v_div_fmas_f64 v[197:198], v[197:198], v[199:200], v[201:202]
	s_delay_alu instid0(VALU_DEP_1) | instskip(NEXT) | instid1(VALU_DEP_1)
	v_div_fixup_f64 v[197:198], v[197:198], v[180:181], v[182:183]
	v_fma_f64 v[180:181], v[182:183], v[197:198], v[180:181]
	s_delay_alu instid0(VALU_DEP_1) | instskip(NEXT) | instid1(VALU_DEP_1)
	v_div_scale_f64 v[182:183], null, v[180:181], v[180:181], 1.0
	v_rcp_f64_e32 v[199:200], v[182:183]
	s_waitcnt_depctr 0xfff
	v_fma_f64 v[201:202], -v[182:183], v[199:200], 1.0
	s_delay_alu instid0(VALU_DEP_1) | instskip(NEXT) | instid1(VALU_DEP_1)
	v_fma_f64 v[199:200], v[199:200], v[201:202], v[199:200]
	v_fma_f64 v[201:202], -v[182:183], v[199:200], 1.0
	s_delay_alu instid0(VALU_DEP_1) | instskip(SKIP_1) | instid1(VALU_DEP_1)
	v_fma_f64 v[199:200], v[199:200], v[201:202], v[199:200]
	v_div_scale_f64 v[201:202], vcc_lo, 1.0, v[180:181], 1.0
	v_mul_f64 v[203:204], v[201:202], v[199:200]
	s_delay_alu instid0(VALU_DEP_1) | instskip(NEXT) | instid1(VALU_DEP_1)
	v_fma_f64 v[182:183], -v[182:183], v[203:204], v[201:202]
	v_div_fmas_f64 v[182:183], v[182:183], v[199:200], v[203:204]
	s_delay_alu instid0(VALU_DEP_1) | instskip(NEXT) | instid1(VALU_DEP_1)
	v_div_fixup_f64 v[180:181], v[182:183], v[180:181], 1.0
	v_mul_f64 v[182:183], v[197:198], -v[180:181]
.LBB88_555:
	s_or_b32 exec_lo, exec_lo, s2
.LBB88_556:
	s_delay_alu instid0(SALU_CYCLE_1) | instskip(NEXT) | instid1(SALU_CYCLE_1)
	s_or_b32 exec_lo, exec_lo, s3
	s_mov_b32 s2, exec_lo
	v_cmpx_ne_u32_e64 v196, v188
	s_xor_b32 s2, exec_lo, s2
	s_cbranch_execz .LBB88_562
; %bb.557:
	s_mov_b32 s3, exec_lo
	v_cmpx_eq_u32_e32 26, v196
	s_cbranch_execz .LBB88_561
; %bb.558:
	v_cmp_ne_u32_e32 vcc_lo, 26, v188
	s_xor_b32 s6, s4, -1
	s_delay_alu instid0(SALU_CYCLE_1) | instskip(NEXT) | instid1(SALU_CYCLE_1)
	s_and_b32 s7, s6, vcc_lo
	s_and_saveexec_b32 s6, s7
	s_cbranch_execz .LBB88_560
; %bb.559:
	v_ashrrev_i32_e32 v189, 31, v188
	s_delay_alu instid0(VALU_DEP_1) | instskip(NEXT) | instid1(VALU_DEP_1)
	v_lshlrev_b64 v[196:197], 2, v[188:189]
	v_add_co_u32 v196, vcc_lo, v186, v196
	s_delay_alu instid0(VALU_DEP_2)
	v_add_co_ci_u32_e32 v197, vcc_lo, v187, v197, vcc_lo
	s_clause 0x1
	flat_load_b32 v189, v[196:197]
	flat_load_b32 v194, v[186:187] offset:104
	s_waitcnt vmcnt(1) lgkmcnt(1)
	flat_store_b32 v[186:187], v189 offset:104
	s_waitcnt vmcnt(0) lgkmcnt(1)
	flat_store_b32 v[196:197], v194
.LBB88_560:
	s_or_b32 exec_lo, exec_lo, s6
	v_mov_b32_e32 v196, v188
	v_mov_b32_e32 v194, v188
.LBB88_561:
	s_or_b32 exec_lo, exec_lo, s3
.LBB88_562:
	s_and_not1_saveexec_b32 s2, s2
	s_cbranch_execz .LBB88_564
; %bb.563:
	v_mov_b32_e32 v196, 26
	ds_store_2addr_b64 v190, v[68:69], v[70:71] offset0:54 offset1:55
	ds_store_2addr_b64 v190, v[64:65], v[66:67] offset0:56 offset1:57
	;; [unrolled: 1-line block ×18, first 2 shown]
.LBB88_564:
	s_or_b32 exec_lo, exec_lo, s2
	s_delay_alu instid0(SALU_CYCLE_1)
	s_mov_b32 s2, exec_lo
	s_waitcnt lgkmcnt(0)
	s_waitcnt_vscnt null, 0x0
	s_barrier
	buffer_gl0_inv
	v_cmpx_lt_i32_e32 26, v196
	s_cbranch_execz .LBB88_566
; %bb.565:
	v_mul_f64 v[188:189], v[182:183], v[74:75]
	v_mul_f64 v[74:75], v[180:181], v[74:75]
	s_delay_alu instid0(VALU_DEP_2) | instskip(NEXT) | instid1(VALU_DEP_2)
	v_fma_f64 v[188:189], v[180:181], v[72:73], -v[188:189]
	v_fma_f64 v[74:75], v[182:183], v[72:73], v[74:75]
	ds_load_2addr_b64 v[180:183], v190 offset0:54 offset1:55
	s_waitcnt lgkmcnt(0)
	v_mul_f64 v[72:73], v[182:183], v[74:75]
	s_delay_alu instid0(VALU_DEP_1) | instskip(SKIP_1) | instid1(VALU_DEP_2)
	v_fma_f64 v[72:73], v[180:181], v[188:189], -v[72:73]
	v_mul_f64 v[180:181], v[180:181], v[74:75]
	v_add_f64 v[68:69], v[68:69], -v[72:73]
	s_delay_alu instid0(VALU_DEP_2) | instskip(NEXT) | instid1(VALU_DEP_1)
	v_fma_f64 v[180:181], v[182:183], v[188:189], v[180:181]
	v_add_f64 v[70:71], v[70:71], -v[180:181]
	ds_load_2addr_b64 v[180:183], v190 offset0:56 offset1:57
	s_waitcnt lgkmcnt(0)
	v_mul_f64 v[72:73], v[182:183], v[74:75]
	s_delay_alu instid0(VALU_DEP_1) | instskip(SKIP_1) | instid1(VALU_DEP_2)
	v_fma_f64 v[72:73], v[180:181], v[188:189], -v[72:73]
	v_mul_f64 v[180:181], v[180:181], v[74:75]
	v_add_f64 v[64:65], v[64:65], -v[72:73]
	s_delay_alu instid0(VALU_DEP_2) | instskip(NEXT) | instid1(VALU_DEP_1)
	v_fma_f64 v[180:181], v[182:183], v[188:189], v[180:181]
	v_add_f64 v[66:67], v[66:67], -v[180:181]
	;; [unrolled: 10-line block ×17, first 2 shown]
	ds_load_2addr_b64 v[180:183], v190 offset0:88 offset1:89
	s_waitcnt lgkmcnt(0)
	v_mul_f64 v[72:73], v[182:183], v[74:75]
	s_delay_alu instid0(VALU_DEP_1) | instskip(SKIP_1) | instid1(VALU_DEP_2)
	v_fma_f64 v[72:73], v[180:181], v[188:189], -v[72:73]
	v_mul_f64 v[180:181], v[180:181], v[74:75]
	v_add_f64 v[0:1], v[0:1], -v[72:73]
	s_delay_alu instid0(VALU_DEP_2) | instskip(SKIP_1) | instid1(VALU_DEP_2)
	v_fma_f64 v[180:181], v[182:183], v[188:189], v[180:181]
	v_dual_mov_b32 v72, v188 :: v_dual_mov_b32 v73, v189
	v_add_f64 v[2:3], v[2:3], -v[180:181]
.LBB88_566:
	s_or_b32 exec_lo, exec_lo, s2
	v_lshl_add_u32 v180, v196, 4, v190
	s_barrier
	buffer_gl0_inv
	v_mov_b32_e32 v188, 27
	ds_store_2addr_b64 v180, v[68:69], v[70:71] offset1:1
	s_waitcnt lgkmcnt(0)
	s_barrier
	buffer_gl0_inv
	ds_load_2addr_b64 v[180:183], v190 offset0:54 offset1:55
	s_cmp_lt_i32 s5, 29
	s_cbranch_scc1 .LBB88_569
; %bb.567:
	v_add3_u32 v189, v195, 0, 0x1c0
	v_mov_b32_e32 v188, 27
	s_mov_b32 s6, 28
	s_set_inst_prefetch_distance 0x1
	.p2align	6
.LBB88_568:                             ; =>This Inner Loop Header: Depth=1
	ds_load_2addr_b64 v[197:200], v189 offset1:1
	s_waitcnt lgkmcnt(1)
	v_cmp_gt_f64_e32 vcc_lo, 0, v[180:181]
	v_xor_b32_e32 v201, 0x80000000, v181
	v_cmp_gt_f64_e64 s2, 0, v[182:183]
	v_xor_b32_e32 v203, 0x80000000, v183
	v_add_nc_u32_e32 v189, 16, v189
	s_waitcnt lgkmcnt(0)
	v_cmp_gt_f64_e64 s3, 0, v[197:198]
	v_mov_b32_e32 v205, v197
	v_dual_mov_b32 v207, v199 :: v_dual_cndmask_b32 v202, v181, v201
	v_xor_b32_e32 v201, 0x80000000, v198
	v_cndmask_b32_e64 v204, v183, v203, s2
	v_xor_b32_e32 v203, 0x80000000, v200
	s_delay_alu instid0(VALU_DEP_3) | instskip(SKIP_2) | instid1(VALU_DEP_2)
	v_cndmask_b32_e64 v206, v198, v201, s3
	v_cmp_gt_f64_e64 s3, 0, v[199:200]
	v_cndmask_b32_e32 v201, v180, v180, vcc_lo
	v_cndmask_b32_e64 v208, v200, v203, s3
	v_cndmask_b32_e64 v203, v182, v182, s2
	s_delay_alu instid0(VALU_DEP_2) | instskip(NEXT) | instid1(VALU_DEP_2)
	v_add_f64 v[205:206], v[205:206], v[207:208]
	v_add_f64 v[201:202], v[201:202], v[203:204]
	s_delay_alu instid0(VALU_DEP_1) | instskip(SKIP_4) | instid1(SALU_CYCLE_1)
	v_cmp_lt_f64_e32 vcc_lo, v[201:202], v[205:206]
	v_dual_cndmask_b32 v182, v182, v199 :: v_dual_cndmask_b32 v181, v181, v198
	v_dual_cndmask_b32 v180, v180, v197 :: v_dual_cndmask_b32 v183, v183, v200
	v_cndmask_b32_e64 v188, v188, s6, vcc_lo
	s_add_i32 s6, s6, 1
	s_cmp_lg_u32 s5, s6
	s_cbranch_scc1 .LBB88_568
.LBB88_569:
	s_set_inst_prefetch_distance 0x2
	s_waitcnt lgkmcnt(0)
	v_cmp_eq_f64_e32 vcc_lo, 0, v[180:181]
	v_cmp_eq_f64_e64 s2, 0, v[182:183]
	s_delay_alu instid0(VALU_DEP_1) | instskip(NEXT) | instid1(SALU_CYCLE_1)
	s_and_b32 s2, vcc_lo, s2
	s_and_saveexec_b32 s3, s2
	s_delay_alu instid0(SALU_CYCLE_1)
	s_xor_b32 s2, exec_lo, s3
; %bb.570:
	v_cmp_ne_u32_e32 vcc_lo, 0, v193
	v_cndmask_b32_e32 v193, 28, v193, vcc_lo
; %bb.571:
	s_and_not1_saveexec_b32 s3, s2
	s_cbranch_execz .LBB88_577
; %bb.572:
	v_cmp_gt_f64_e32 vcc_lo, 0, v[180:181]
	v_cmp_gt_f64_e64 s2, 0, v[182:183]
	v_xor_b32_e32 v189, 0x80000000, v181
	v_xor_b32_e32 v197, 0x80000000, v183
	s_delay_alu instid0(VALU_DEP_2) | instskip(NEXT) | instid1(VALU_DEP_2)
	v_cndmask_b32_e32 v198, v181, v189, vcc_lo
	v_cndmask_b32_e64 v200, v183, v197, s2
	v_cndmask_b32_e32 v197, v180, v180, vcc_lo
	v_cndmask_b32_e64 v199, v182, v182, s2
	s_mov_b32 s2, exec_lo
	s_delay_alu instid0(VALU_DEP_1)
	v_cmpx_ngt_f64_e32 v[197:198], v[199:200]
	s_xor_b32 s2, exec_lo, s2
	s_cbranch_execz .LBB88_574
; %bb.573:
	v_div_scale_f64 v[197:198], null, v[182:183], v[182:183], v[180:181]
	v_div_scale_f64 v[203:204], vcc_lo, v[180:181], v[182:183], v[180:181]
	s_delay_alu instid0(VALU_DEP_2) | instskip(SKIP_2) | instid1(VALU_DEP_1)
	v_rcp_f64_e32 v[199:200], v[197:198]
	s_waitcnt_depctr 0xfff
	v_fma_f64 v[201:202], -v[197:198], v[199:200], 1.0
	v_fma_f64 v[199:200], v[199:200], v[201:202], v[199:200]
	s_delay_alu instid0(VALU_DEP_1) | instskip(NEXT) | instid1(VALU_DEP_1)
	v_fma_f64 v[201:202], -v[197:198], v[199:200], 1.0
	v_fma_f64 v[199:200], v[199:200], v[201:202], v[199:200]
	s_delay_alu instid0(VALU_DEP_1) | instskip(NEXT) | instid1(VALU_DEP_1)
	v_mul_f64 v[201:202], v[203:204], v[199:200]
	v_fma_f64 v[197:198], -v[197:198], v[201:202], v[203:204]
	s_delay_alu instid0(VALU_DEP_1) | instskip(NEXT) | instid1(VALU_DEP_1)
	v_div_fmas_f64 v[197:198], v[197:198], v[199:200], v[201:202]
	v_div_fixup_f64 v[197:198], v[197:198], v[182:183], v[180:181]
	s_delay_alu instid0(VALU_DEP_1) | instskip(NEXT) | instid1(VALU_DEP_1)
	v_fma_f64 v[180:181], v[180:181], v[197:198], v[182:183]
	v_div_scale_f64 v[182:183], null, v[180:181], v[180:181], 1.0
	s_delay_alu instid0(VALU_DEP_1) | instskip(SKIP_2) | instid1(VALU_DEP_1)
	v_rcp_f64_e32 v[199:200], v[182:183]
	s_waitcnt_depctr 0xfff
	v_fma_f64 v[201:202], -v[182:183], v[199:200], 1.0
	v_fma_f64 v[199:200], v[199:200], v[201:202], v[199:200]
	s_delay_alu instid0(VALU_DEP_1) | instskip(NEXT) | instid1(VALU_DEP_1)
	v_fma_f64 v[201:202], -v[182:183], v[199:200], 1.0
	v_fma_f64 v[199:200], v[199:200], v[201:202], v[199:200]
	v_div_scale_f64 v[201:202], vcc_lo, 1.0, v[180:181], 1.0
	s_delay_alu instid0(VALU_DEP_1) | instskip(NEXT) | instid1(VALU_DEP_1)
	v_mul_f64 v[203:204], v[201:202], v[199:200]
	v_fma_f64 v[182:183], -v[182:183], v[203:204], v[201:202]
	s_delay_alu instid0(VALU_DEP_1) | instskip(NEXT) | instid1(VALU_DEP_1)
	v_div_fmas_f64 v[182:183], v[182:183], v[199:200], v[203:204]
	v_div_fixup_f64 v[182:183], v[182:183], v[180:181], 1.0
	s_delay_alu instid0(VALU_DEP_1)
	v_mul_f64 v[180:181], v[197:198], v[182:183]
	v_xor_b32_e32 v183, 0x80000000, v183
.LBB88_574:
	s_and_not1_saveexec_b32 s2, s2
	s_cbranch_execz .LBB88_576
; %bb.575:
	s_delay_alu instid0(VALU_DEP_1) | instskip(SKIP_1) | instid1(VALU_DEP_2)
	v_div_scale_f64 v[197:198], null, v[180:181], v[180:181], v[182:183]
	v_div_scale_f64 v[203:204], vcc_lo, v[182:183], v[180:181], v[182:183]
	v_rcp_f64_e32 v[199:200], v[197:198]
	s_waitcnt_depctr 0xfff
	v_fma_f64 v[201:202], -v[197:198], v[199:200], 1.0
	s_delay_alu instid0(VALU_DEP_1) | instskip(NEXT) | instid1(VALU_DEP_1)
	v_fma_f64 v[199:200], v[199:200], v[201:202], v[199:200]
	v_fma_f64 v[201:202], -v[197:198], v[199:200], 1.0
	s_delay_alu instid0(VALU_DEP_1) | instskip(NEXT) | instid1(VALU_DEP_1)
	v_fma_f64 v[199:200], v[199:200], v[201:202], v[199:200]
	v_mul_f64 v[201:202], v[203:204], v[199:200]
	s_delay_alu instid0(VALU_DEP_1) | instskip(NEXT) | instid1(VALU_DEP_1)
	v_fma_f64 v[197:198], -v[197:198], v[201:202], v[203:204]
	v_div_fmas_f64 v[197:198], v[197:198], v[199:200], v[201:202]
	s_delay_alu instid0(VALU_DEP_1) | instskip(NEXT) | instid1(VALU_DEP_1)
	v_div_fixup_f64 v[197:198], v[197:198], v[180:181], v[182:183]
	v_fma_f64 v[180:181], v[182:183], v[197:198], v[180:181]
	s_delay_alu instid0(VALU_DEP_1) | instskip(NEXT) | instid1(VALU_DEP_1)
	v_div_scale_f64 v[182:183], null, v[180:181], v[180:181], 1.0
	v_rcp_f64_e32 v[199:200], v[182:183]
	s_waitcnt_depctr 0xfff
	v_fma_f64 v[201:202], -v[182:183], v[199:200], 1.0
	s_delay_alu instid0(VALU_DEP_1) | instskip(NEXT) | instid1(VALU_DEP_1)
	v_fma_f64 v[199:200], v[199:200], v[201:202], v[199:200]
	v_fma_f64 v[201:202], -v[182:183], v[199:200], 1.0
	s_delay_alu instid0(VALU_DEP_1) | instskip(SKIP_1) | instid1(VALU_DEP_1)
	v_fma_f64 v[199:200], v[199:200], v[201:202], v[199:200]
	v_div_scale_f64 v[201:202], vcc_lo, 1.0, v[180:181], 1.0
	v_mul_f64 v[203:204], v[201:202], v[199:200]
	s_delay_alu instid0(VALU_DEP_1) | instskip(NEXT) | instid1(VALU_DEP_1)
	v_fma_f64 v[182:183], -v[182:183], v[203:204], v[201:202]
	v_div_fmas_f64 v[182:183], v[182:183], v[199:200], v[203:204]
	s_delay_alu instid0(VALU_DEP_1) | instskip(NEXT) | instid1(VALU_DEP_1)
	v_div_fixup_f64 v[180:181], v[182:183], v[180:181], 1.0
	v_mul_f64 v[182:183], v[197:198], -v[180:181]
.LBB88_576:
	s_or_b32 exec_lo, exec_lo, s2
.LBB88_577:
	s_delay_alu instid0(SALU_CYCLE_1) | instskip(NEXT) | instid1(SALU_CYCLE_1)
	s_or_b32 exec_lo, exec_lo, s3
	s_mov_b32 s2, exec_lo
	v_cmpx_ne_u32_e64 v196, v188
	s_xor_b32 s2, exec_lo, s2
	s_cbranch_execz .LBB88_583
; %bb.578:
	s_mov_b32 s3, exec_lo
	v_cmpx_eq_u32_e32 27, v196
	s_cbranch_execz .LBB88_582
; %bb.579:
	v_cmp_ne_u32_e32 vcc_lo, 27, v188
	s_xor_b32 s6, s4, -1
	s_delay_alu instid0(SALU_CYCLE_1) | instskip(NEXT) | instid1(SALU_CYCLE_1)
	s_and_b32 s7, s6, vcc_lo
	s_and_saveexec_b32 s6, s7
	s_cbranch_execz .LBB88_581
; %bb.580:
	v_ashrrev_i32_e32 v189, 31, v188
	s_delay_alu instid0(VALU_DEP_1) | instskip(NEXT) | instid1(VALU_DEP_1)
	v_lshlrev_b64 v[196:197], 2, v[188:189]
	v_add_co_u32 v196, vcc_lo, v186, v196
	s_delay_alu instid0(VALU_DEP_2)
	v_add_co_ci_u32_e32 v197, vcc_lo, v187, v197, vcc_lo
	s_clause 0x1
	flat_load_b32 v189, v[196:197]
	flat_load_b32 v194, v[186:187] offset:108
	s_waitcnt vmcnt(1) lgkmcnt(1)
	flat_store_b32 v[186:187], v189 offset:108
	s_waitcnt vmcnt(0) lgkmcnt(1)
	flat_store_b32 v[196:197], v194
.LBB88_581:
	s_or_b32 exec_lo, exec_lo, s6
	v_mov_b32_e32 v196, v188
	v_mov_b32_e32 v194, v188
.LBB88_582:
	s_or_b32 exec_lo, exec_lo, s3
.LBB88_583:
	s_and_not1_saveexec_b32 s2, s2
	s_cbranch_execz .LBB88_585
; %bb.584:
	v_mov_b32_e32 v196, 27
	ds_store_2addr_b64 v190, v[64:65], v[66:67] offset0:56 offset1:57
	ds_store_2addr_b64 v190, v[60:61], v[62:63] offset0:58 offset1:59
	;; [unrolled: 1-line block ×17, first 2 shown]
.LBB88_585:
	s_or_b32 exec_lo, exec_lo, s2
	s_delay_alu instid0(SALU_CYCLE_1)
	s_mov_b32 s2, exec_lo
	s_waitcnt lgkmcnt(0)
	s_waitcnt_vscnt null, 0x0
	s_barrier
	buffer_gl0_inv
	v_cmpx_lt_i32_e32 27, v196
	s_cbranch_execz .LBB88_587
; %bb.586:
	v_mul_f64 v[188:189], v[182:183], v[70:71]
	v_mul_f64 v[70:71], v[180:181], v[70:71]
	s_delay_alu instid0(VALU_DEP_2) | instskip(NEXT) | instid1(VALU_DEP_2)
	v_fma_f64 v[188:189], v[180:181], v[68:69], -v[188:189]
	v_fma_f64 v[70:71], v[182:183], v[68:69], v[70:71]
	ds_load_2addr_b64 v[180:183], v190 offset0:56 offset1:57
	s_waitcnt lgkmcnt(0)
	v_mul_f64 v[68:69], v[182:183], v[70:71]
	s_delay_alu instid0(VALU_DEP_1) | instskip(SKIP_1) | instid1(VALU_DEP_2)
	v_fma_f64 v[68:69], v[180:181], v[188:189], -v[68:69]
	v_mul_f64 v[180:181], v[180:181], v[70:71]
	v_add_f64 v[64:65], v[64:65], -v[68:69]
	s_delay_alu instid0(VALU_DEP_2) | instskip(NEXT) | instid1(VALU_DEP_1)
	v_fma_f64 v[180:181], v[182:183], v[188:189], v[180:181]
	v_add_f64 v[66:67], v[66:67], -v[180:181]
	ds_load_2addr_b64 v[180:183], v190 offset0:58 offset1:59
	s_waitcnt lgkmcnt(0)
	v_mul_f64 v[68:69], v[182:183], v[70:71]
	s_delay_alu instid0(VALU_DEP_1) | instskip(SKIP_1) | instid1(VALU_DEP_2)
	v_fma_f64 v[68:69], v[180:181], v[188:189], -v[68:69]
	v_mul_f64 v[180:181], v[180:181], v[70:71]
	v_add_f64 v[60:61], v[60:61], -v[68:69]
	s_delay_alu instid0(VALU_DEP_2) | instskip(NEXT) | instid1(VALU_DEP_1)
	v_fma_f64 v[180:181], v[182:183], v[188:189], v[180:181]
	v_add_f64 v[62:63], v[62:63], -v[180:181]
	;; [unrolled: 10-line block ×16, first 2 shown]
	ds_load_2addr_b64 v[180:183], v190 offset0:88 offset1:89
	s_waitcnt lgkmcnt(0)
	v_mul_f64 v[68:69], v[182:183], v[70:71]
	s_delay_alu instid0(VALU_DEP_1) | instskip(SKIP_1) | instid1(VALU_DEP_2)
	v_fma_f64 v[68:69], v[180:181], v[188:189], -v[68:69]
	v_mul_f64 v[180:181], v[180:181], v[70:71]
	v_add_f64 v[0:1], v[0:1], -v[68:69]
	s_delay_alu instid0(VALU_DEP_2) | instskip(SKIP_1) | instid1(VALU_DEP_2)
	v_fma_f64 v[180:181], v[182:183], v[188:189], v[180:181]
	v_dual_mov_b32 v68, v188 :: v_dual_mov_b32 v69, v189
	v_add_f64 v[2:3], v[2:3], -v[180:181]
.LBB88_587:
	s_or_b32 exec_lo, exec_lo, s2
	v_lshl_add_u32 v180, v196, 4, v190
	s_barrier
	buffer_gl0_inv
	v_mov_b32_e32 v188, 28
	ds_store_2addr_b64 v180, v[64:65], v[66:67] offset1:1
	s_waitcnt lgkmcnt(0)
	s_barrier
	buffer_gl0_inv
	ds_load_2addr_b64 v[180:183], v190 offset0:56 offset1:57
	s_cmp_lt_i32 s5, 30
	s_cbranch_scc1 .LBB88_590
; %bb.588:
	v_add3_u32 v189, v195, 0, 0x1d0
	v_mov_b32_e32 v188, 28
	s_mov_b32 s6, 29
	s_set_inst_prefetch_distance 0x1
	.p2align	6
.LBB88_589:                             ; =>This Inner Loop Header: Depth=1
	ds_load_2addr_b64 v[197:200], v189 offset1:1
	s_waitcnt lgkmcnt(1)
	v_cmp_gt_f64_e32 vcc_lo, 0, v[180:181]
	v_xor_b32_e32 v201, 0x80000000, v181
	v_cmp_gt_f64_e64 s2, 0, v[182:183]
	v_xor_b32_e32 v203, 0x80000000, v183
	v_add_nc_u32_e32 v189, 16, v189
	s_waitcnt lgkmcnt(0)
	v_cmp_gt_f64_e64 s3, 0, v[197:198]
	v_mov_b32_e32 v205, v197
	v_dual_mov_b32 v207, v199 :: v_dual_cndmask_b32 v202, v181, v201
	v_xor_b32_e32 v201, 0x80000000, v198
	v_cndmask_b32_e64 v204, v183, v203, s2
	v_xor_b32_e32 v203, 0x80000000, v200
	s_delay_alu instid0(VALU_DEP_3) | instskip(SKIP_2) | instid1(VALU_DEP_2)
	v_cndmask_b32_e64 v206, v198, v201, s3
	v_cmp_gt_f64_e64 s3, 0, v[199:200]
	v_cndmask_b32_e32 v201, v180, v180, vcc_lo
	v_cndmask_b32_e64 v208, v200, v203, s3
	v_cndmask_b32_e64 v203, v182, v182, s2
	s_delay_alu instid0(VALU_DEP_2) | instskip(NEXT) | instid1(VALU_DEP_2)
	v_add_f64 v[205:206], v[205:206], v[207:208]
	v_add_f64 v[201:202], v[201:202], v[203:204]
	s_delay_alu instid0(VALU_DEP_1) | instskip(SKIP_4) | instid1(SALU_CYCLE_1)
	v_cmp_lt_f64_e32 vcc_lo, v[201:202], v[205:206]
	v_dual_cndmask_b32 v182, v182, v199 :: v_dual_cndmask_b32 v181, v181, v198
	v_dual_cndmask_b32 v180, v180, v197 :: v_dual_cndmask_b32 v183, v183, v200
	v_cndmask_b32_e64 v188, v188, s6, vcc_lo
	s_add_i32 s6, s6, 1
	s_cmp_lg_u32 s5, s6
	s_cbranch_scc1 .LBB88_589
.LBB88_590:
	s_set_inst_prefetch_distance 0x2
	s_waitcnt lgkmcnt(0)
	v_cmp_eq_f64_e32 vcc_lo, 0, v[180:181]
	v_cmp_eq_f64_e64 s2, 0, v[182:183]
	s_delay_alu instid0(VALU_DEP_1) | instskip(NEXT) | instid1(SALU_CYCLE_1)
	s_and_b32 s2, vcc_lo, s2
	s_and_saveexec_b32 s3, s2
	s_delay_alu instid0(SALU_CYCLE_1)
	s_xor_b32 s2, exec_lo, s3
; %bb.591:
	v_cmp_ne_u32_e32 vcc_lo, 0, v193
	v_cndmask_b32_e32 v193, 29, v193, vcc_lo
; %bb.592:
	s_and_not1_saveexec_b32 s3, s2
	s_cbranch_execz .LBB88_598
; %bb.593:
	v_cmp_gt_f64_e32 vcc_lo, 0, v[180:181]
	v_cmp_gt_f64_e64 s2, 0, v[182:183]
	v_xor_b32_e32 v189, 0x80000000, v181
	v_xor_b32_e32 v197, 0x80000000, v183
	s_delay_alu instid0(VALU_DEP_2) | instskip(NEXT) | instid1(VALU_DEP_2)
	v_cndmask_b32_e32 v198, v181, v189, vcc_lo
	v_cndmask_b32_e64 v200, v183, v197, s2
	v_cndmask_b32_e32 v197, v180, v180, vcc_lo
	v_cndmask_b32_e64 v199, v182, v182, s2
	s_mov_b32 s2, exec_lo
	s_delay_alu instid0(VALU_DEP_1)
	v_cmpx_ngt_f64_e32 v[197:198], v[199:200]
	s_xor_b32 s2, exec_lo, s2
	s_cbranch_execz .LBB88_595
; %bb.594:
	v_div_scale_f64 v[197:198], null, v[182:183], v[182:183], v[180:181]
	v_div_scale_f64 v[203:204], vcc_lo, v[180:181], v[182:183], v[180:181]
	s_delay_alu instid0(VALU_DEP_2) | instskip(SKIP_2) | instid1(VALU_DEP_1)
	v_rcp_f64_e32 v[199:200], v[197:198]
	s_waitcnt_depctr 0xfff
	v_fma_f64 v[201:202], -v[197:198], v[199:200], 1.0
	v_fma_f64 v[199:200], v[199:200], v[201:202], v[199:200]
	s_delay_alu instid0(VALU_DEP_1) | instskip(NEXT) | instid1(VALU_DEP_1)
	v_fma_f64 v[201:202], -v[197:198], v[199:200], 1.0
	v_fma_f64 v[199:200], v[199:200], v[201:202], v[199:200]
	s_delay_alu instid0(VALU_DEP_1) | instskip(NEXT) | instid1(VALU_DEP_1)
	v_mul_f64 v[201:202], v[203:204], v[199:200]
	v_fma_f64 v[197:198], -v[197:198], v[201:202], v[203:204]
	s_delay_alu instid0(VALU_DEP_1) | instskip(NEXT) | instid1(VALU_DEP_1)
	v_div_fmas_f64 v[197:198], v[197:198], v[199:200], v[201:202]
	v_div_fixup_f64 v[197:198], v[197:198], v[182:183], v[180:181]
	s_delay_alu instid0(VALU_DEP_1) | instskip(NEXT) | instid1(VALU_DEP_1)
	v_fma_f64 v[180:181], v[180:181], v[197:198], v[182:183]
	v_div_scale_f64 v[182:183], null, v[180:181], v[180:181], 1.0
	s_delay_alu instid0(VALU_DEP_1) | instskip(SKIP_2) | instid1(VALU_DEP_1)
	v_rcp_f64_e32 v[199:200], v[182:183]
	s_waitcnt_depctr 0xfff
	v_fma_f64 v[201:202], -v[182:183], v[199:200], 1.0
	v_fma_f64 v[199:200], v[199:200], v[201:202], v[199:200]
	s_delay_alu instid0(VALU_DEP_1) | instskip(NEXT) | instid1(VALU_DEP_1)
	v_fma_f64 v[201:202], -v[182:183], v[199:200], 1.0
	v_fma_f64 v[199:200], v[199:200], v[201:202], v[199:200]
	v_div_scale_f64 v[201:202], vcc_lo, 1.0, v[180:181], 1.0
	s_delay_alu instid0(VALU_DEP_1) | instskip(NEXT) | instid1(VALU_DEP_1)
	v_mul_f64 v[203:204], v[201:202], v[199:200]
	v_fma_f64 v[182:183], -v[182:183], v[203:204], v[201:202]
	s_delay_alu instid0(VALU_DEP_1) | instskip(NEXT) | instid1(VALU_DEP_1)
	v_div_fmas_f64 v[182:183], v[182:183], v[199:200], v[203:204]
	v_div_fixup_f64 v[182:183], v[182:183], v[180:181], 1.0
	s_delay_alu instid0(VALU_DEP_1)
	v_mul_f64 v[180:181], v[197:198], v[182:183]
	v_xor_b32_e32 v183, 0x80000000, v183
.LBB88_595:
	s_and_not1_saveexec_b32 s2, s2
	s_cbranch_execz .LBB88_597
; %bb.596:
	s_delay_alu instid0(VALU_DEP_1) | instskip(SKIP_1) | instid1(VALU_DEP_2)
	v_div_scale_f64 v[197:198], null, v[180:181], v[180:181], v[182:183]
	v_div_scale_f64 v[203:204], vcc_lo, v[182:183], v[180:181], v[182:183]
	v_rcp_f64_e32 v[199:200], v[197:198]
	s_waitcnt_depctr 0xfff
	v_fma_f64 v[201:202], -v[197:198], v[199:200], 1.0
	s_delay_alu instid0(VALU_DEP_1) | instskip(NEXT) | instid1(VALU_DEP_1)
	v_fma_f64 v[199:200], v[199:200], v[201:202], v[199:200]
	v_fma_f64 v[201:202], -v[197:198], v[199:200], 1.0
	s_delay_alu instid0(VALU_DEP_1) | instskip(NEXT) | instid1(VALU_DEP_1)
	v_fma_f64 v[199:200], v[199:200], v[201:202], v[199:200]
	v_mul_f64 v[201:202], v[203:204], v[199:200]
	s_delay_alu instid0(VALU_DEP_1) | instskip(NEXT) | instid1(VALU_DEP_1)
	v_fma_f64 v[197:198], -v[197:198], v[201:202], v[203:204]
	v_div_fmas_f64 v[197:198], v[197:198], v[199:200], v[201:202]
	s_delay_alu instid0(VALU_DEP_1) | instskip(NEXT) | instid1(VALU_DEP_1)
	v_div_fixup_f64 v[197:198], v[197:198], v[180:181], v[182:183]
	v_fma_f64 v[180:181], v[182:183], v[197:198], v[180:181]
	s_delay_alu instid0(VALU_DEP_1) | instskip(NEXT) | instid1(VALU_DEP_1)
	v_div_scale_f64 v[182:183], null, v[180:181], v[180:181], 1.0
	v_rcp_f64_e32 v[199:200], v[182:183]
	s_waitcnt_depctr 0xfff
	v_fma_f64 v[201:202], -v[182:183], v[199:200], 1.0
	s_delay_alu instid0(VALU_DEP_1) | instskip(NEXT) | instid1(VALU_DEP_1)
	v_fma_f64 v[199:200], v[199:200], v[201:202], v[199:200]
	v_fma_f64 v[201:202], -v[182:183], v[199:200], 1.0
	s_delay_alu instid0(VALU_DEP_1) | instskip(SKIP_1) | instid1(VALU_DEP_1)
	v_fma_f64 v[199:200], v[199:200], v[201:202], v[199:200]
	v_div_scale_f64 v[201:202], vcc_lo, 1.0, v[180:181], 1.0
	v_mul_f64 v[203:204], v[201:202], v[199:200]
	s_delay_alu instid0(VALU_DEP_1) | instskip(NEXT) | instid1(VALU_DEP_1)
	v_fma_f64 v[182:183], -v[182:183], v[203:204], v[201:202]
	v_div_fmas_f64 v[182:183], v[182:183], v[199:200], v[203:204]
	s_delay_alu instid0(VALU_DEP_1) | instskip(NEXT) | instid1(VALU_DEP_1)
	v_div_fixup_f64 v[180:181], v[182:183], v[180:181], 1.0
	v_mul_f64 v[182:183], v[197:198], -v[180:181]
.LBB88_597:
	s_or_b32 exec_lo, exec_lo, s2
.LBB88_598:
	s_delay_alu instid0(SALU_CYCLE_1) | instskip(NEXT) | instid1(SALU_CYCLE_1)
	s_or_b32 exec_lo, exec_lo, s3
	s_mov_b32 s2, exec_lo
	v_cmpx_ne_u32_e64 v196, v188
	s_xor_b32 s2, exec_lo, s2
	s_cbranch_execz .LBB88_604
; %bb.599:
	s_mov_b32 s3, exec_lo
	v_cmpx_eq_u32_e32 28, v196
	s_cbranch_execz .LBB88_603
; %bb.600:
	v_cmp_ne_u32_e32 vcc_lo, 28, v188
	s_xor_b32 s6, s4, -1
	s_delay_alu instid0(SALU_CYCLE_1) | instskip(NEXT) | instid1(SALU_CYCLE_1)
	s_and_b32 s7, s6, vcc_lo
	s_and_saveexec_b32 s6, s7
	s_cbranch_execz .LBB88_602
; %bb.601:
	v_ashrrev_i32_e32 v189, 31, v188
	s_delay_alu instid0(VALU_DEP_1) | instskip(NEXT) | instid1(VALU_DEP_1)
	v_lshlrev_b64 v[196:197], 2, v[188:189]
	v_add_co_u32 v196, vcc_lo, v186, v196
	s_delay_alu instid0(VALU_DEP_2)
	v_add_co_ci_u32_e32 v197, vcc_lo, v187, v197, vcc_lo
	s_clause 0x1
	flat_load_b32 v189, v[196:197]
	flat_load_b32 v194, v[186:187] offset:112
	s_waitcnt vmcnt(1) lgkmcnt(1)
	flat_store_b32 v[186:187], v189 offset:112
	s_waitcnt vmcnt(0) lgkmcnt(1)
	flat_store_b32 v[196:197], v194
.LBB88_602:
	s_or_b32 exec_lo, exec_lo, s6
	v_mov_b32_e32 v196, v188
	v_mov_b32_e32 v194, v188
.LBB88_603:
	s_or_b32 exec_lo, exec_lo, s3
.LBB88_604:
	s_and_not1_saveexec_b32 s2, s2
	s_cbranch_execz .LBB88_606
; %bb.605:
	v_mov_b32_e32 v196, 28
	ds_store_2addr_b64 v190, v[60:61], v[62:63] offset0:58 offset1:59
	ds_store_2addr_b64 v190, v[56:57], v[58:59] offset0:60 offset1:61
	;; [unrolled: 1-line block ×16, first 2 shown]
.LBB88_606:
	s_or_b32 exec_lo, exec_lo, s2
	s_delay_alu instid0(SALU_CYCLE_1)
	s_mov_b32 s2, exec_lo
	s_waitcnt lgkmcnt(0)
	s_waitcnt_vscnt null, 0x0
	s_barrier
	buffer_gl0_inv
	v_cmpx_lt_i32_e32 28, v196
	s_cbranch_execz .LBB88_608
; %bb.607:
	v_mul_f64 v[188:189], v[180:181], v[66:67]
	v_mul_f64 v[66:67], v[182:183], v[66:67]
	s_delay_alu instid0(VALU_DEP_2) | instskip(NEXT) | instid1(VALU_DEP_2)
	v_fma_f64 v[188:189], v[182:183], v[64:65], v[188:189]
	v_fma_f64 v[64:65], v[180:181], v[64:65], -v[66:67]
	ds_load_2addr_b64 v[180:183], v190 offset0:58 offset1:59
	s_waitcnt lgkmcnt(0)
	v_mul_f64 v[66:67], v[182:183], v[188:189]
	s_delay_alu instid0(VALU_DEP_1) | instskip(SKIP_1) | instid1(VALU_DEP_2)
	v_fma_f64 v[66:67], v[180:181], v[64:65], -v[66:67]
	v_mul_f64 v[180:181], v[180:181], v[188:189]
	v_add_f64 v[60:61], v[60:61], -v[66:67]
	s_delay_alu instid0(VALU_DEP_2) | instskip(NEXT) | instid1(VALU_DEP_1)
	v_fma_f64 v[180:181], v[182:183], v[64:65], v[180:181]
	v_add_f64 v[62:63], v[62:63], -v[180:181]
	ds_load_2addr_b64 v[180:183], v190 offset0:60 offset1:61
	s_waitcnt lgkmcnt(0)
	v_mul_f64 v[66:67], v[182:183], v[188:189]
	s_delay_alu instid0(VALU_DEP_1) | instskip(SKIP_1) | instid1(VALU_DEP_2)
	v_fma_f64 v[66:67], v[180:181], v[64:65], -v[66:67]
	v_mul_f64 v[180:181], v[180:181], v[188:189]
	v_add_f64 v[56:57], v[56:57], -v[66:67]
	s_delay_alu instid0(VALU_DEP_2) | instskip(NEXT) | instid1(VALU_DEP_1)
	v_fma_f64 v[180:181], v[182:183], v[64:65], v[180:181]
	v_add_f64 v[58:59], v[58:59], -v[180:181]
	;; [unrolled: 10-line block ×15, first 2 shown]
	ds_load_2addr_b64 v[180:183], v190 offset0:88 offset1:89
	s_waitcnt lgkmcnt(0)
	v_mul_f64 v[66:67], v[182:183], v[188:189]
	s_delay_alu instid0(VALU_DEP_1) | instskip(SKIP_1) | instid1(VALU_DEP_2)
	v_fma_f64 v[66:67], v[180:181], v[64:65], -v[66:67]
	v_mul_f64 v[180:181], v[180:181], v[188:189]
	v_add_f64 v[0:1], v[0:1], -v[66:67]
	s_delay_alu instid0(VALU_DEP_2) | instskip(SKIP_1) | instid1(VALU_DEP_2)
	v_fma_f64 v[180:181], v[182:183], v[64:65], v[180:181]
	v_dual_mov_b32 v66, v188 :: v_dual_mov_b32 v67, v189
	v_add_f64 v[2:3], v[2:3], -v[180:181]
.LBB88_608:
	s_or_b32 exec_lo, exec_lo, s2
	v_lshl_add_u32 v180, v196, 4, v190
	s_barrier
	buffer_gl0_inv
	v_mov_b32_e32 v188, 29
	ds_store_2addr_b64 v180, v[60:61], v[62:63] offset1:1
	s_waitcnt lgkmcnt(0)
	s_barrier
	buffer_gl0_inv
	ds_load_2addr_b64 v[180:183], v190 offset0:58 offset1:59
	s_cmp_lt_i32 s5, 31
	s_cbranch_scc1 .LBB88_611
; %bb.609:
	v_add3_u32 v189, v195, 0, 0x1e0
	v_mov_b32_e32 v188, 29
	s_mov_b32 s6, 30
	s_set_inst_prefetch_distance 0x1
	.p2align	6
.LBB88_610:                             ; =>This Inner Loop Header: Depth=1
	ds_load_2addr_b64 v[197:200], v189 offset1:1
	s_waitcnt lgkmcnt(1)
	v_cmp_gt_f64_e32 vcc_lo, 0, v[180:181]
	v_xor_b32_e32 v201, 0x80000000, v181
	v_cmp_gt_f64_e64 s2, 0, v[182:183]
	v_xor_b32_e32 v203, 0x80000000, v183
	v_add_nc_u32_e32 v189, 16, v189
	s_waitcnt lgkmcnt(0)
	v_cmp_gt_f64_e64 s3, 0, v[197:198]
	v_mov_b32_e32 v205, v197
	v_dual_mov_b32 v207, v199 :: v_dual_cndmask_b32 v202, v181, v201
	v_xor_b32_e32 v201, 0x80000000, v198
	v_cndmask_b32_e64 v204, v183, v203, s2
	v_xor_b32_e32 v203, 0x80000000, v200
	s_delay_alu instid0(VALU_DEP_3) | instskip(SKIP_2) | instid1(VALU_DEP_2)
	v_cndmask_b32_e64 v206, v198, v201, s3
	v_cmp_gt_f64_e64 s3, 0, v[199:200]
	v_cndmask_b32_e32 v201, v180, v180, vcc_lo
	v_cndmask_b32_e64 v208, v200, v203, s3
	v_cndmask_b32_e64 v203, v182, v182, s2
	s_delay_alu instid0(VALU_DEP_2) | instskip(NEXT) | instid1(VALU_DEP_2)
	v_add_f64 v[205:206], v[205:206], v[207:208]
	v_add_f64 v[201:202], v[201:202], v[203:204]
	s_delay_alu instid0(VALU_DEP_1) | instskip(SKIP_4) | instid1(SALU_CYCLE_1)
	v_cmp_lt_f64_e32 vcc_lo, v[201:202], v[205:206]
	v_dual_cndmask_b32 v182, v182, v199 :: v_dual_cndmask_b32 v181, v181, v198
	v_dual_cndmask_b32 v180, v180, v197 :: v_dual_cndmask_b32 v183, v183, v200
	v_cndmask_b32_e64 v188, v188, s6, vcc_lo
	s_add_i32 s6, s6, 1
	s_cmp_lg_u32 s5, s6
	s_cbranch_scc1 .LBB88_610
.LBB88_611:
	s_set_inst_prefetch_distance 0x2
	s_waitcnt lgkmcnt(0)
	v_cmp_eq_f64_e32 vcc_lo, 0, v[180:181]
	v_cmp_eq_f64_e64 s2, 0, v[182:183]
	s_delay_alu instid0(VALU_DEP_1) | instskip(NEXT) | instid1(SALU_CYCLE_1)
	s_and_b32 s2, vcc_lo, s2
	s_and_saveexec_b32 s3, s2
	s_delay_alu instid0(SALU_CYCLE_1)
	s_xor_b32 s2, exec_lo, s3
; %bb.612:
	v_cmp_ne_u32_e32 vcc_lo, 0, v193
	v_cndmask_b32_e32 v193, 30, v193, vcc_lo
; %bb.613:
	s_and_not1_saveexec_b32 s3, s2
	s_cbranch_execz .LBB88_619
; %bb.614:
	v_cmp_gt_f64_e32 vcc_lo, 0, v[180:181]
	v_cmp_gt_f64_e64 s2, 0, v[182:183]
	v_xor_b32_e32 v189, 0x80000000, v181
	v_xor_b32_e32 v197, 0x80000000, v183
	s_delay_alu instid0(VALU_DEP_2) | instskip(NEXT) | instid1(VALU_DEP_2)
	v_cndmask_b32_e32 v198, v181, v189, vcc_lo
	v_cndmask_b32_e64 v200, v183, v197, s2
	v_cndmask_b32_e32 v197, v180, v180, vcc_lo
	v_cndmask_b32_e64 v199, v182, v182, s2
	s_mov_b32 s2, exec_lo
	s_delay_alu instid0(VALU_DEP_1)
	v_cmpx_ngt_f64_e32 v[197:198], v[199:200]
	s_xor_b32 s2, exec_lo, s2
	s_cbranch_execz .LBB88_616
; %bb.615:
	v_div_scale_f64 v[197:198], null, v[182:183], v[182:183], v[180:181]
	v_div_scale_f64 v[203:204], vcc_lo, v[180:181], v[182:183], v[180:181]
	s_delay_alu instid0(VALU_DEP_2) | instskip(SKIP_2) | instid1(VALU_DEP_1)
	v_rcp_f64_e32 v[199:200], v[197:198]
	s_waitcnt_depctr 0xfff
	v_fma_f64 v[201:202], -v[197:198], v[199:200], 1.0
	v_fma_f64 v[199:200], v[199:200], v[201:202], v[199:200]
	s_delay_alu instid0(VALU_DEP_1) | instskip(NEXT) | instid1(VALU_DEP_1)
	v_fma_f64 v[201:202], -v[197:198], v[199:200], 1.0
	v_fma_f64 v[199:200], v[199:200], v[201:202], v[199:200]
	s_delay_alu instid0(VALU_DEP_1) | instskip(NEXT) | instid1(VALU_DEP_1)
	v_mul_f64 v[201:202], v[203:204], v[199:200]
	v_fma_f64 v[197:198], -v[197:198], v[201:202], v[203:204]
	s_delay_alu instid0(VALU_DEP_1) | instskip(NEXT) | instid1(VALU_DEP_1)
	v_div_fmas_f64 v[197:198], v[197:198], v[199:200], v[201:202]
	v_div_fixup_f64 v[197:198], v[197:198], v[182:183], v[180:181]
	s_delay_alu instid0(VALU_DEP_1) | instskip(NEXT) | instid1(VALU_DEP_1)
	v_fma_f64 v[180:181], v[180:181], v[197:198], v[182:183]
	v_div_scale_f64 v[182:183], null, v[180:181], v[180:181], 1.0
	s_delay_alu instid0(VALU_DEP_1) | instskip(SKIP_2) | instid1(VALU_DEP_1)
	v_rcp_f64_e32 v[199:200], v[182:183]
	s_waitcnt_depctr 0xfff
	v_fma_f64 v[201:202], -v[182:183], v[199:200], 1.0
	v_fma_f64 v[199:200], v[199:200], v[201:202], v[199:200]
	s_delay_alu instid0(VALU_DEP_1) | instskip(NEXT) | instid1(VALU_DEP_1)
	v_fma_f64 v[201:202], -v[182:183], v[199:200], 1.0
	v_fma_f64 v[199:200], v[199:200], v[201:202], v[199:200]
	v_div_scale_f64 v[201:202], vcc_lo, 1.0, v[180:181], 1.0
	s_delay_alu instid0(VALU_DEP_1) | instskip(NEXT) | instid1(VALU_DEP_1)
	v_mul_f64 v[203:204], v[201:202], v[199:200]
	v_fma_f64 v[182:183], -v[182:183], v[203:204], v[201:202]
	s_delay_alu instid0(VALU_DEP_1) | instskip(NEXT) | instid1(VALU_DEP_1)
	v_div_fmas_f64 v[182:183], v[182:183], v[199:200], v[203:204]
	v_div_fixup_f64 v[182:183], v[182:183], v[180:181], 1.0
	s_delay_alu instid0(VALU_DEP_1)
	v_mul_f64 v[180:181], v[197:198], v[182:183]
	v_xor_b32_e32 v183, 0x80000000, v183
.LBB88_616:
	s_and_not1_saveexec_b32 s2, s2
	s_cbranch_execz .LBB88_618
; %bb.617:
	s_delay_alu instid0(VALU_DEP_1) | instskip(SKIP_1) | instid1(VALU_DEP_2)
	v_div_scale_f64 v[197:198], null, v[180:181], v[180:181], v[182:183]
	v_div_scale_f64 v[203:204], vcc_lo, v[182:183], v[180:181], v[182:183]
	v_rcp_f64_e32 v[199:200], v[197:198]
	s_waitcnt_depctr 0xfff
	v_fma_f64 v[201:202], -v[197:198], v[199:200], 1.0
	s_delay_alu instid0(VALU_DEP_1) | instskip(NEXT) | instid1(VALU_DEP_1)
	v_fma_f64 v[199:200], v[199:200], v[201:202], v[199:200]
	v_fma_f64 v[201:202], -v[197:198], v[199:200], 1.0
	s_delay_alu instid0(VALU_DEP_1) | instskip(NEXT) | instid1(VALU_DEP_1)
	v_fma_f64 v[199:200], v[199:200], v[201:202], v[199:200]
	v_mul_f64 v[201:202], v[203:204], v[199:200]
	s_delay_alu instid0(VALU_DEP_1) | instskip(NEXT) | instid1(VALU_DEP_1)
	v_fma_f64 v[197:198], -v[197:198], v[201:202], v[203:204]
	v_div_fmas_f64 v[197:198], v[197:198], v[199:200], v[201:202]
	s_delay_alu instid0(VALU_DEP_1) | instskip(NEXT) | instid1(VALU_DEP_1)
	v_div_fixup_f64 v[197:198], v[197:198], v[180:181], v[182:183]
	v_fma_f64 v[180:181], v[182:183], v[197:198], v[180:181]
	s_delay_alu instid0(VALU_DEP_1) | instskip(NEXT) | instid1(VALU_DEP_1)
	v_div_scale_f64 v[182:183], null, v[180:181], v[180:181], 1.0
	v_rcp_f64_e32 v[199:200], v[182:183]
	s_waitcnt_depctr 0xfff
	v_fma_f64 v[201:202], -v[182:183], v[199:200], 1.0
	s_delay_alu instid0(VALU_DEP_1) | instskip(NEXT) | instid1(VALU_DEP_1)
	v_fma_f64 v[199:200], v[199:200], v[201:202], v[199:200]
	v_fma_f64 v[201:202], -v[182:183], v[199:200], 1.0
	s_delay_alu instid0(VALU_DEP_1) | instskip(SKIP_1) | instid1(VALU_DEP_1)
	v_fma_f64 v[199:200], v[199:200], v[201:202], v[199:200]
	v_div_scale_f64 v[201:202], vcc_lo, 1.0, v[180:181], 1.0
	v_mul_f64 v[203:204], v[201:202], v[199:200]
	s_delay_alu instid0(VALU_DEP_1) | instskip(NEXT) | instid1(VALU_DEP_1)
	v_fma_f64 v[182:183], -v[182:183], v[203:204], v[201:202]
	v_div_fmas_f64 v[182:183], v[182:183], v[199:200], v[203:204]
	s_delay_alu instid0(VALU_DEP_1) | instskip(NEXT) | instid1(VALU_DEP_1)
	v_div_fixup_f64 v[180:181], v[182:183], v[180:181], 1.0
	v_mul_f64 v[182:183], v[197:198], -v[180:181]
.LBB88_618:
	s_or_b32 exec_lo, exec_lo, s2
.LBB88_619:
	s_delay_alu instid0(SALU_CYCLE_1) | instskip(NEXT) | instid1(SALU_CYCLE_1)
	s_or_b32 exec_lo, exec_lo, s3
	s_mov_b32 s2, exec_lo
	v_cmpx_ne_u32_e64 v196, v188
	s_xor_b32 s2, exec_lo, s2
	s_cbranch_execz .LBB88_625
; %bb.620:
	s_mov_b32 s3, exec_lo
	v_cmpx_eq_u32_e32 29, v196
	s_cbranch_execz .LBB88_624
; %bb.621:
	v_cmp_ne_u32_e32 vcc_lo, 29, v188
	s_xor_b32 s6, s4, -1
	s_delay_alu instid0(SALU_CYCLE_1) | instskip(NEXT) | instid1(SALU_CYCLE_1)
	s_and_b32 s7, s6, vcc_lo
	s_and_saveexec_b32 s6, s7
	s_cbranch_execz .LBB88_623
; %bb.622:
	v_ashrrev_i32_e32 v189, 31, v188
	s_delay_alu instid0(VALU_DEP_1) | instskip(NEXT) | instid1(VALU_DEP_1)
	v_lshlrev_b64 v[196:197], 2, v[188:189]
	v_add_co_u32 v196, vcc_lo, v186, v196
	s_delay_alu instid0(VALU_DEP_2)
	v_add_co_ci_u32_e32 v197, vcc_lo, v187, v197, vcc_lo
	s_clause 0x1
	flat_load_b32 v189, v[196:197]
	flat_load_b32 v194, v[186:187] offset:116
	s_waitcnt vmcnt(1) lgkmcnt(1)
	flat_store_b32 v[186:187], v189 offset:116
	s_waitcnt vmcnt(0) lgkmcnt(1)
	flat_store_b32 v[196:197], v194
.LBB88_623:
	s_or_b32 exec_lo, exec_lo, s6
	v_mov_b32_e32 v196, v188
	v_mov_b32_e32 v194, v188
.LBB88_624:
	s_or_b32 exec_lo, exec_lo, s3
.LBB88_625:
	s_and_not1_saveexec_b32 s2, s2
	s_cbranch_execz .LBB88_627
; %bb.626:
	v_mov_b32_e32 v196, 29
	ds_store_2addr_b64 v190, v[56:57], v[58:59] offset0:60 offset1:61
	ds_store_2addr_b64 v190, v[52:53], v[54:55] offset0:62 offset1:63
	;; [unrolled: 1-line block ×15, first 2 shown]
.LBB88_627:
	s_or_b32 exec_lo, exec_lo, s2
	s_delay_alu instid0(SALU_CYCLE_1)
	s_mov_b32 s2, exec_lo
	s_waitcnt lgkmcnt(0)
	s_waitcnt_vscnt null, 0x0
	s_barrier
	buffer_gl0_inv
	v_cmpx_lt_i32_e32 29, v196
	s_cbranch_execz .LBB88_629
; %bb.628:
	v_mul_f64 v[188:189], v[180:181], v[62:63]
	v_mul_f64 v[62:63], v[182:183], v[62:63]
	s_delay_alu instid0(VALU_DEP_2) | instskip(NEXT) | instid1(VALU_DEP_2)
	v_fma_f64 v[188:189], v[182:183], v[60:61], v[188:189]
	v_fma_f64 v[60:61], v[180:181], v[60:61], -v[62:63]
	ds_load_2addr_b64 v[180:183], v190 offset0:60 offset1:61
	s_waitcnt lgkmcnt(0)
	v_mul_f64 v[62:63], v[182:183], v[188:189]
	s_delay_alu instid0(VALU_DEP_1) | instskip(SKIP_1) | instid1(VALU_DEP_2)
	v_fma_f64 v[62:63], v[180:181], v[60:61], -v[62:63]
	v_mul_f64 v[180:181], v[180:181], v[188:189]
	v_add_f64 v[56:57], v[56:57], -v[62:63]
	s_delay_alu instid0(VALU_DEP_2) | instskip(NEXT) | instid1(VALU_DEP_1)
	v_fma_f64 v[180:181], v[182:183], v[60:61], v[180:181]
	v_add_f64 v[58:59], v[58:59], -v[180:181]
	ds_load_2addr_b64 v[180:183], v190 offset0:62 offset1:63
	s_waitcnt lgkmcnt(0)
	v_mul_f64 v[62:63], v[182:183], v[188:189]
	s_delay_alu instid0(VALU_DEP_1) | instskip(SKIP_1) | instid1(VALU_DEP_2)
	v_fma_f64 v[62:63], v[180:181], v[60:61], -v[62:63]
	v_mul_f64 v[180:181], v[180:181], v[188:189]
	v_add_f64 v[52:53], v[52:53], -v[62:63]
	s_delay_alu instid0(VALU_DEP_2) | instskip(NEXT) | instid1(VALU_DEP_1)
	v_fma_f64 v[180:181], v[182:183], v[60:61], v[180:181]
	v_add_f64 v[54:55], v[54:55], -v[180:181]
	;; [unrolled: 10-line block ×14, first 2 shown]
	ds_load_2addr_b64 v[180:183], v190 offset0:88 offset1:89
	s_waitcnt lgkmcnt(0)
	v_mul_f64 v[62:63], v[182:183], v[188:189]
	s_delay_alu instid0(VALU_DEP_1) | instskip(SKIP_1) | instid1(VALU_DEP_2)
	v_fma_f64 v[62:63], v[180:181], v[60:61], -v[62:63]
	v_mul_f64 v[180:181], v[180:181], v[188:189]
	v_add_f64 v[0:1], v[0:1], -v[62:63]
	s_delay_alu instid0(VALU_DEP_2) | instskip(SKIP_1) | instid1(VALU_DEP_2)
	v_fma_f64 v[180:181], v[182:183], v[60:61], v[180:181]
	v_dual_mov_b32 v62, v188 :: v_dual_mov_b32 v63, v189
	v_add_f64 v[2:3], v[2:3], -v[180:181]
.LBB88_629:
	s_or_b32 exec_lo, exec_lo, s2
	v_lshl_add_u32 v180, v196, 4, v190
	s_barrier
	buffer_gl0_inv
	v_mov_b32_e32 v188, 30
	ds_store_2addr_b64 v180, v[56:57], v[58:59] offset1:1
	s_waitcnt lgkmcnt(0)
	s_barrier
	buffer_gl0_inv
	ds_load_2addr_b64 v[180:183], v190 offset0:60 offset1:61
	s_cmp_lt_i32 s5, 32
	s_cbranch_scc1 .LBB88_632
; %bb.630:
	v_add3_u32 v189, v195, 0, 0x1f0
	v_mov_b32_e32 v188, 30
	s_mov_b32 s6, 31
	s_set_inst_prefetch_distance 0x1
	.p2align	6
.LBB88_631:                             ; =>This Inner Loop Header: Depth=1
	ds_load_2addr_b64 v[197:200], v189 offset1:1
	s_waitcnt lgkmcnt(1)
	v_cmp_gt_f64_e32 vcc_lo, 0, v[180:181]
	v_xor_b32_e32 v201, 0x80000000, v181
	v_cmp_gt_f64_e64 s2, 0, v[182:183]
	v_xor_b32_e32 v203, 0x80000000, v183
	v_add_nc_u32_e32 v189, 16, v189
	s_waitcnt lgkmcnt(0)
	v_cmp_gt_f64_e64 s3, 0, v[197:198]
	v_mov_b32_e32 v205, v197
	v_dual_mov_b32 v207, v199 :: v_dual_cndmask_b32 v202, v181, v201
	v_xor_b32_e32 v201, 0x80000000, v198
	v_cndmask_b32_e64 v204, v183, v203, s2
	v_xor_b32_e32 v203, 0x80000000, v200
	s_delay_alu instid0(VALU_DEP_3) | instskip(SKIP_2) | instid1(VALU_DEP_2)
	v_cndmask_b32_e64 v206, v198, v201, s3
	v_cmp_gt_f64_e64 s3, 0, v[199:200]
	v_cndmask_b32_e32 v201, v180, v180, vcc_lo
	v_cndmask_b32_e64 v208, v200, v203, s3
	v_cndmask_b32_e64 v203, v182, v182, s2
	s_delay_alu instid0(VALU_DEP_2) | instskip(NEXT) | instid1(VALU_DEP_2)
	v_add_f64 v[205:206], v[205:206], v[207:208]
	v_add_f64 v[201:202], v[201:202], v[203:204]
	s_delay_alu instid0(VALU_DEP_1) | instskip(SKIP_4) | instid1(SALU_CYCLE_1)
	v_cmp_lt_f64_e32 vcc_lo, v[201:202], v[205:206]
	v_dual_cndmask_b32 v182, v182, v199 :: v_dual_cndmask_b32 v181, v181, v198
	v_dual_cndmask_b32 v180, v180, v197 :: v_dual_cndmask_b32 v183, v183, v200
	v_cndmask_b32_e64 v188, v188, s6, vcc_lo
	s_add_i32 s6, s6, 1
	s_cmp_lg_u32 s5, s6
	s_cbranch_scc1 .LBB88_631
.LBB88_632:
	s_set_inst_prefetch_distance 0x2
	s_waitcnt lgkmcnt(0)
	v_cmp_eq_f64_e32 vcc_lo, 0, v[180:181]
	v_cmp_eq_f64_e64 s2, 0, v[182:183]
	s_delay_alu instid0(VALU_DEP_1) | instskip(NEXT) | instid1(SALU_CYCLE_1)
	s_and_b32 s2, vcc_lo, s2
	s_and_saveexec_b32 s3, s2
	s_delay_alu instid0(SALU_CYCLE_1)
	s_xor_b32 s2, exec_lo, s3
; %bb.633:
	v_cmp_ne_u32_e32 vcc_lo, 0, v193
	v_cndmask_b32_e32 v193, 31, v193, vcc_lo
; %bb.634:
	s_and_not1_saveexec_b32 s3, s2
	s_cbranch_execz .LBB88_640
; %bb.635:
	v_cmp_gt_f64_e32 vcc_lo, 0, v[180:181]
	v_cmp_gt_f64_e64 s2, 0, v[182:183]
	v_xor_b32_e32 v189, 0x80000000, v181
	v_xor_b32_e32 v197, 0x80000000, v183
	s_delay_alu instid0(VALU_DEP_2) | instskip(NEXT) | instid1(VALU_DEP_2)
	v_cndmask_b32_e32 v198, v181, v189, vcc_lo
	v_cndmask_b32_e64 v200, v183, v197, s2
	v_cndmask_b32_e32 v197, v180, v180, vcc_lo
	v_cndmask_b32_e64 v199, v182, v182, s2
	s_mov_b32 s2, exec_lo
	s_delay_alu instid0(VALU_DEP_1)
	v_cmpx_ngt_f64_e32 v[197:198], v[199:200]
	s_xor_b32 s2, exec_lo, s2
	s_cbranch_execz .LBB88_637
; %bb.636:
	v_div_scale_f64 v[197:198], null, v[182:183], v[182:183], v[180:181]
	v_div_scale_f64 v[203:204], vcc_lo, v[180:181], v[182:183], v[180:181]
	s_delay_alu instid0(VALU_DEP_2) | instskip(SKIP_2) | instid1(VALU_DEP_1)
	v_rcp_f64_e32 v[199:200], v[197:198]
	s_waitcnt_depctr 0xfff
	v_fma_f64 v[201:202], -v[197:198], v[199:200], 1.0
	v_fma_f64 v[199:200], v[199:200], v[201:202], v[199:200]
	s_delay_alu instid0(VALU_DEP_1) | instskip(NEXT) | instid1(VALU_DEP_1)
	v_fma_f64 v[201:202], -v[197:198], v[199:200], 1.0
	v_fma_f64 v[199:200], v[199:200], v[201:202], v[199:200]
	s_delay_alu instid0(VALU_DEP_1) | instskip(NEXT) | instid1(VALU_DEP_1)
	v_mul_f64 v[201:202], v[203:204], v[199:200]
	v_fma_f64 v[197:198], -v[197:198], v[201:202], v[203:204]
	s_delay_alu instid0(VALU_DEP_1) | instskip(NEXT) | instid1(VALU_DEP_1)
	v_div_fmas_f64 v[197:198], v[197:198], v[199:200], v[201:202]
	v_div_fixup_f64 v[197:198], v[197:198], v[182:183], v[180:181]
	s_delay_alu instid0(VALU_DEP_1) | instskip(NEXT) | instid1(VALU_DEP_1)
	v_fma_f64 v[180:181], v[180:181], v[197:198], v[182:183]
	v_div_scale_f64 v[182:183], null, v[180:181], v[180:181], 1.0
	s_delay_alu instid0(VALU_DEP_1) | instskip(SKIP_2) | instid1(VALU_DEP_1)
	v_rcp_f64_e32 v[199:200], v[182:183]
	s_waitcnt_depctr 0xfff
	v_fma_f64 v[201:202], -v[182:183], v[199:200], 1.0
	v_fma_f64 v[199:200], v[199:200], v[201:202], v[199:200]
	s_delay_alu instid0(VALU_DEP_1) | instskip(NEXT) | instid1(VALU_DEP_1)
	v_fma_f64 v[201:202], -v[182:183], v[199:200], 1.0
	v_fma_f64 v[199:200], v[199:200], v[201:202], v[199:200]
	v_div_scale_f64 v[201:202], vcc_lo, 1.0, v[180:181], 1.0
	s_delay_alu instid0(VALU_DEP_1) | instskip(NEXT) | instid1(VALU_DEP_1)
	v_mul_f64 v[203:204], v[201:202], v[199:200]
	v_fma_f64 v[182:183], -v[182:183], v[203:204], v[201:202]
	s_delay_alu instid0(VALU_DEP_1) | instskip(NEXT) | instid1(VALU_DEP_1)
	v_div_fmas_f64 v[182:183], v[182:183], v[199:200], v[203:204]
	v_div_fixup_f64 v[182:183], v[182:183], v[180:181], 1.0
	s_delay_alu instid0(VALU_DEP_1)
	v_mul_f64 v[180:181], v[197:198], v[182:183]
	v_xor_b32_e32 v183, 0x80000000, v183
.LBB88_637:
	s_and_not1_saveexec_b32 s2, s2
	s_cbranch_execz .LBB88_639
; %bb.638:
	s_delay_alu instid0(VALU_DEP_1) | instskip(SKIP_1) | instid1(VALU_DEP_2)
	v_div_scale_f64 v[197:198], null, v[180:181], v[180:181], v[182:183]
	v_div_scale_f64 v[203:204], vcc_lo, v[182:183], v[180:181], v[182:183]
	v_rcp_f64_e32 v[199:200], v[197:198]
	s_waitcnt_depctr 0xfff
	v_fma_f64 v[201:202], -v[197:198], v[199:200], 1.0
	s_delay_alu instid0(VALU_DEP_1) | instskip(NEXT) | instid1(VALU_DEP_1)
	v_fma_f64 v[199:200], v[199:200], v[201:202], v[199:200]
	v_fma_f64 v[201:202], -v[197:198], v[199:200], 1.0
	s_delay_alu instid0(VALU_DEP_1) | instskip(NEXT) | instid1(VALU_DEP_1)
	v_fma_f64 v[199:200], v[199:200], v[201:202], v[199:200]
	v_mul_f64 v[201:202], v[203:204], v[199:200]
	s_delay_alu instid0(VALU_DEP_1) | instskip(NEXT) | instid1(VALU_DEP_1)
	v_fma_f64 v[197:198], -v[197:198], v[201:202], v[203:204]
	v_div_fmas_f64 v[197:198], v[197:198], v[199:200], v[201:202]
	s_delay_alu instid0(VALU_DEP_1) | instskip(NEXT) | instid1(VALU_DEP_1)
	v_div_fixup_f64 v[197:198], v[197:198], v[180:181], v[182:183]
	v_fma_f64 v[180:181], v[182:183], v[197:198], v[180:181]
	s_delay_alu instid0(VALU_DEP_1) | instskip(NEXT) | instid1(VALU_DEP_1)
	v_div_scale_f64 v[182:183], null, v[180:181], v[180:181], 1.0
	v_rcp_f64_e32 v[199:200], v[182:183]
	s_waitcnt_depctr 0xfff
	v_fma_f64 v[201:202], -v[182:183], v[199:200], 1.0
	s_delay_alu instid0(VALU_DEP_1) | instskip(NEXT) | instid1(VALU_DEP_1)
	v_fma_f64 v[199:200], v[199:200], v[201:202], v[199:200]
	v_fma_f64 v[201:202], -v[182:183], v[199:200], 1.0
	s_delay_alu instid0(VALU_DEP_1) | instskip(SKIP_1) | instid1(VALU_DEP_1)
	v_fma_f64 v[199:200], v[199:200], v[201:202], v[199:200]
	v_div_scale_f64 v[201:202], vcc_lo, 1.0, v[180:181], 1.0
	v_mul_f64 v[203:204], v[201:202], v[199:200]
	s_delay_alu instid0(VALU_DEP_1) | instskip(NEXT) | instid1(VALU_DEP_1)
	v_fma_f64 v[182:183], -v[182:183], v[203:204], v[201:202]
	v_div_fmas_f64 v[182:183], v[182:183], v[199:200], v[203:204]
	s_delay_alu instid0(VALU_DEP_1) | instskip(NEXT) | instid1(VALU_DEP_1)
	v_div_fixup_f64 v[180:181], v[182:183], v[180:181], 1.0
	v_mul_f64 v[182:183], v[197:198], -v[180:181]
.LBB88_639:
	s_or_b32 exec_lo, exec_lo, s2
.LBB88_640:
	s_delay_alu instid0(SALU_CYCLE_1) | instskip(NEXT) | instid1(SALU_CYCLE_1)
	s_or_b32 exec_lo, exec_lo, s3
	s_mov_b32 s2, exec_lo
	v_cmpx_ne_u32_e64 v196, v188
	s_xor_b32 s2, exec_lo, s2
	s_cbranch_execz .LBB88_646
; %bb.641:
	s_mov_b32 s3, exec_lo
	v_cmpx_eq_u32_e32 30, v196
	s_cbranch_execz .LBB88_645
; %bb.642:
	v_cmp_ne_u32_e32 vcc_lo, 30, v188
	s_xor_b32 s6, s4, -1
	s_delay_alu instid0(SALU_CYCLE_1) | instskip(NEXT) | instid1(SALU_CYCLE_1)
	s_and_b32 s7, s6, vcc_lo
	s_and_saveexec_b32 s6, s7
	s_cbranch_execz .LBB88_644
; %bb.643:
	v_ashrrev_i32_e32 v189, 31, v188
	s_delay_alu instid0(VALU_DEP_1) | instskip(NEXT) | instid1(VALU_DEP_1)
	v_lshlrev_b64 v[196:197], 2, v[188:189]
	v_add_co_u32 v196, vcc_lo, v186, v196
	s_delay_alu instid0(VALU_DEP_2)
	v_add_co_ci_u32_e32 v197, vcc_lo, v187, v197, vcc_lo
	s_clause 0x1
	flat_load_b32 v189, v[196:197]
	flat_load_b32 v194, v[186:187] offset:120
	s_waitcnt vmcnt(1) lgkmcnt(1)
	flat_store_b32 v[186:187], v189 offset:120
	s_waitcnt vmcnt(0) lgkmcnt(1)
	flat_store_b32 v[196:197], v194
.LBB88_644:
	s_or_b32 exec_lo, exec_lo, s6
	v_mov_b32_e32 v196, v188
	v_mov_b32_e32 v194, v188
.LBB88_645:
	s_or_b32 exec_lo, exec_lo, s3
.LBB88_646:
	s_and_not1_saveexec_b32 s2, s2
	s_cbranch_execz .LBB88_648
; %bb.647:
	v_mov_b32_e32 v196, 30
	ds_store_2addr_b64 v190, v[52:53], v[54:55] offset0:62 offset1:63
	ds_store_2addr_b64 v190, v[48:49], v[50:51] offset0:64 offset1:65
	;; [unrolled: 1-line block ×14, first 2 shown]
.LBB88_648:
	s_or_b32 exec_lo, exec_lo, s2
	s_delay_alu instid0(SALU_CYCLE_1)
	s_mov_b32 s2, exec_lo
	s_waitcnt lgkmcnt(0)
	s_waitcnt_vscnt null, 0x0
	s_barrier
	buffer_gl0_inv
	v_cmpx_lt_i32_e32 30, v196
	s_cbranch_execz .LBB88_650
; %bb.649:
	v_mul_f64 v[188:189], v[180:181], v[58:59]
	v_mul_f64 v[58:59], v[182:183], v[58:59]
	s_delay_alu instid0(VALU_DEP_2) | instskip(NEXT) | instid1(VALU_DEP_2)
	v_fma_f64 v[188:189], v[182:183], v[56:57], v[188:189]
	v_fma_f64 v[56:57], v[180:181], v[56:57], -v[58:59]
	ds_load_2addr_b64 v[180:183], v190 offset0:62 offset1:63
	s_waitcnt lgkmcnt(0)
	v_mul_f64 v[58:59], v[182:183], v[188:189]
	s_delay_alu instid0(VALU_DEP_1) | instskip(SKIP_1) | instid1(VALU_DEP_2)
	v_fma_f64 v[58:59], v[180:181], v[56:57], -v[58:59]
	v_mul_f64 v[180:181], v[180:181], v[188:189]
	v_add_f64 v[52:53], v[52:53], -v[58:59]
	s_delay_alu instid0(VALU_DEP_2) | instskip(NEXT) | instid1(VALU_DEP_1)
	v_fma_f64 v[180:181], v[182:183], v[56:57], v[180:181]
	v_add_f64 v[54:55], v[54:55], -v[180:181]
	ds_load_2addr_b64 v[180:183], v190 offset0:64 offset1:65
	s_waitcnt lgkmcnt(0)
	v_mul_f64 v[58:59], v[182:183], v[188:189]
	s_delay_alu instid0(VALU_DEP_1) | instskip(SKIP_1) | instid1(VALU_DEP_2)
	v_fma_f64 v[58:59], v[180:181], v[56:57], -v[58:59]
	v_mul_f64 v[180:181], v[180:181], v[188:189]
	v_add_f64 v[48:49], v[48:49], -v[58:59]
	s_delay_alu instid0(VALU_DEP_2) | instskip(NEXT) | instid1(VALU_DEP_1)
	v_fma_f64 v[180:181], v[182:183], v[56:57], v[180:181]
	v_add_f64 v[50:51], v[50:51], -v[180:181]
	ds_load_2addr_b64 v[180:183], v190 offset0:66 offset1:67
	s_waitcnt lgkmcnt(0)
	v_mul_f64 v[58:59], v[182:183], v[188:189]
	s_delay_alu instid0(VALU_DEP_1) | instskip(SKIP_1) | instid1(VALU_DEP_2)
	v_fma_f64 v[58:59], v[180:181], v[56:57], -v[58:59]
	v_mul_f64 v[180:181], v[180:181], v[188:189]
	v_add_f64 v[44:45], v[44:45], -v[58:59]
	s_delay_alu instid0(VALU_DEP_2) | instskip(NEXT) | instid1(VALU_DEP_1)
	v_fma_f64 v[180:181], v[182:183], v[56:57], v[180:181]
	v_add_f64 v[46:47], v[46:47], -v[180:181]
	ds_load_2addr_b64 v[180:183], v190 offset0:68 offset1:69
	s_waitcnt lgkmcnt(0)
	v_mul_f64 v[58:59], v[182:183], v[188:189]
	s_delay_alu instid0(VALU_DEP_1) | instskip(SKIP_1) | instid1(VALU_DEP_2)
	v_fma_f64 v[58:59], v[180:181], v[56:57], -v[58:59]
	v_mul_f64 v[180:181], v[180:181], v[188:189]
	v_add_f64 v[40:41], v[40:41], -v[58:59]
	s_delay_alu instid0(VALU_DEP_2) | instskip(NEXT) | instid1(VALU_DEP_1)
	v_fma_f64 v[180:181], v[182:183], v[56:57], v[180:181]
	v_add_f64 v[42:43], v[42:43], -v[180:181]
	ds_load_2addr_b64 v[180:183], v190 offset0:70 offset1:71
	s_waitcnt lgkmcnt(0)
	v_mul_f64 v[58:59], v[182:183], v[188:189]
	s_delay_alu instid0(VALU_DEP_1) | instskip(SKIP_1) | instid1(VALU_DEP_2)
	v_fma_f64 v[58:59], v[180:181], v[56:57], -v[58:59]
	v_mul_f64 v[180:181], v[180:181], v[188:189]
	v_add_f64 v[36:37], v[36:37], -v[58:59]
	s_delay_alu instid0(VALU_DEP_2) | instskip(NEXT) | instid1(VALU_DEP_1)
	v_fma_f64 v[180:181], v[182:183], v[56:57], v[180:181]
	v_add_f64 v[38:39], v[38:39], -v[180:181]
	ds_load_2addr_b64 v[180:183], v190 offset0:72 offset1:73
	s_waitcnt lgkmcnt(0)
	v_mul_f64 v[58:59], v[182:183], v[188:189]
	s_delay_alu instid0(VALU_DEP_1) | instskip(SKIP_1) | instid1(VALU_DEP_2)
	v_fma_f64 v[58:59], v[180:181], v[56:57], -v[58:59]
	v_mul_f64 v[180:181], v[180:181], v[188:189]
	v_add_f64 v[32:33], v[32:33], -v[58:59]
	s_delay_alu instid0(VALU_DEP_2) | instskip(NEXT) | instid1(VALU_DEP_1)
	v_fma_f64 v[180:181], v[182:183], v[56:57], v[180:181]
	v_add_f64 v[34:35], v[34:35], -v[180:181]
	ds_load_2addr_b64 v[180:183], v190 offset0:74 offset1:75
	s_waitcnt lgkmcnt(0)
	v_mul_f64 v[58:59], v[182:183], v[188:189]
	s_delay_alu instid0(VALU_DEP_1) | instskip(SKIP_1) | instid1(VALU_DEP_2)
	v_fma_f64 v[58:59], v[180:181], v[56:57], -v[58:59]
	v_mul_f64 v[180:181], v[180:181], v[188:189]
	v_add_f64 v[28:29], v[28:29], -v[58:59]
	s_delay_alu instid0(VALU_DEP_2) | instskip(NEXT) | instid1(VALU_DEP_1)
	v_fma_f64 v[180:181], v[182:183], v[56:57], v[180:181]
	v_add_f64 v[30:31], v[30:31], -v[180:181]
	ds_load_2addr_b64 v[180:183], v190 offset0:76 offset1:77
	s_waitcnt lgkmcnt(0)
	v_mul_f64 v[58:59], v[182:183], v[188:189]
	s_delay_alu instid0(VALU_DEP_1) | instskip(SKIP_1) | instid1(VALU_DEP_2)
	v_fma_f64 v[58:59], v[180:181], v[56:57], -v[58:59]
	v_mul_f64 v[180:181], v[180:181], v[188:189]
	v_add_f64 v[24:25], v[24:25], -v[58:59]
	s_delay_alu instid0(VALU_DEP_2) | instskip(NEXT) | instid1(VALU_DEP_1)
	v_fma_f64 v[180:181], v[182:183], v[56:57], v[180:181]
	v_add_f64 v[26:27], v[26:27], -v[180:181]
	ds_load_2addr_b64 v[180:183], v190 offset0:78 offset1:79
	s_waitcnt lgkmcnt(0)
	v_mul_f64 v[58:59], v[182:183], v[188:189]
	s_delay_alu instid0(VALU_DEP_1) | instskip(SKIP_1) | instid1(VALU_DEP_2)
	v_fma_f64 v[58:59], v[180:181], v[56:57], -v[58:59]
	v_mul_f64 v[180:181], v[180:181], v[188:189]
	v_add_f64 v[20:21], v[20:21], -v[58:59]
	s_delay_alu instid0(VALU_DEP_2) | instskip(NEXT) | instid1(VALU_DEP_1)
	v_fma_f64 v[180:181], v[182:183], v[56:57], v[180:181]
	v_add_f64 v[22:23], v[22:23], -v[180:181]
	ds_load_2addr_b64 v[180:183], v190 offset0:80 offset1:81
	s_waitcnt lgkmcnt(0)
	v_mul_f64 v[58:59], v[182:183], v[188:189]
	s_delay_alu instid0(VALU_DEP_1) | instskip(SKIP_1) | instid1(VALU_DEP_2)
	v_fma_f64 v[58:59], v[180:181], v[56:57], -v[58:59]
	v_mul_f64 v[180:181], v[180:181], v[188:189]
	v_add_f64 v[16:17], v[16:17], -v[58:59]
	s_delay_alu instid0(VALU_DEP_2) | instskip(NEXT) | instid1(VALU_DEP_1)
	v_fma_f64 v[180:181], v[182:183], v[56:57], v[180:181]
	v_add_f64 v[18:19], v[18:19], -v[180:181]
	ds_load_2addr_b64 v[180:183], v190 offset0:82 offset1:83
	s_waitcnt lgkmcnt(0)
	v_mul_f64 v[58:59], v[182:183], v[188:189]
	s_delay_alu instid0(VALU_DEP_1) | instskip(SKIP_1) | instid1(VALU_DEP_2)
	v_fma_f64 v[58:59], v[180:181], v[56:57], -v[58:59]
	v_mul_f64 v[180:181], v[180:181], v[188:189]
	v_add_f64 v[12:13], v[12:13], -v[58:59]
	s_delay_alu instid0(VALU_DEP_2) | instskip(NEXT) | instid1(VALU_DEP_1)
	v_fma_f64 v[180:181], v[182:183], v[56:57], v[180:181]
	v_add_f64 v[14:15], v[14:15], -v[180:181]
	ds_load_2addr_b64 v[180:183], v190 offset0:84 offset1:85
	s_waitcnt lgkmcnt(0)
	v_mul_f64 v[58:59], v[182:183], v[188:189]
	s_delay_alu instid0(VALU_DEP_1) | instskip(SKIP_1) | instid1(VALU_DEP_2)
	v_fma_f64 v[58:59], v[180:181], v[56:57], -v[58:59]
	v_mul_f64 v[180:181], v[180:181], v[188:189]
	v_add_f64 v[8:9], v[8:9], -v[58:59]
	s_delay_alu instid0(VALU_DEP_2) | instskip(NEXT) | instid1(VALU_DEP_1)
	v_fma_f64 v[180:181], v[182:183], v[56:57], v[180:181]
	v_add_f64 v[10:11], v[10:11], -v[180:181]
	ds_load_2addr_b64 v[180:183], v190 offset0:86 offset1:87
	s_waitcnt lgkmcnt(0)
	v_mul_f64 v[58:59], v[182:183], v[188:189]
	s_delay_alu instid0(VALU_DEP_1) | instskip(SKIP_1) | instid1(VALU_DEP_2)
	v_fma_f64 v[58:59], v[180:181], v[56:57], -v[58:59]
	v_mul_f64 v[180:181], v[180:181], v[188:189]
	v_add_f64 v[4:5], v[4:5], -v[58:59]
	s_delay_alu instid0(VALU_DEP_2) | instskip(NEXT) | instid1(VALU_DEP_1)
	v_fma_f64 v[180:181], v[182:183], v[56:57], v[180:181]
	v_add_f64 v[6:7], v[6:7], -v[180:181]
	ds_load_2addr_b64 v[180:183], v190 offset0:88 offset1:89
	s_waitcnt lgkmcnt(0)
	v_mul_f64 v[58:59], v[182:183], v[188:189]
	s_delay_alu instid0(VALU_DEP_1) | instskip(SKIP_1) | instid1(VALU_DEP_2)
	v_fma_f64 v[58:59], v[180:181], v[56:57], -v[58:59]
	v_mul_f64 v[180:181], v[180:181], v[188:189]
	v_add_f64 v[0:1], v[0:1], -v[58:59]
	s_delay_alu instid0(VALU_DEP_2) | instskip(SKIP_1) | instid1(VALU_DEP_2)
	v_fma_f64 v[180:181], v[182:183], v[56:57], v[180:181]
	v_dual_mov_b32 v58, v188 :: v_dual_mov_b32 v59, v189
	v_add_f64 v[2:3], v[2:3], -v[180:181]
.LBB88_650:
	s_or_b32 exec_lo, exec_lo, s2
	v_lshl_add_u32 v180, v196, 4, v190
	s_barrier
	buffer_gl0_inv
	v_mov_b32_e32 v188, 31
	ds_store_2addr_b64 v180, v[52:53], v[54:55] offset1:1
	s_waitcnt lgkmcnt(0)
	s_barrier
	buffer_gl0_inv
	ds_load_2addr_b64 v[180:183], v190 offset0:62 offset1:63
	s_cmp_lt_i32 s5, 33
	s_cbranch_scc1 .LBB88_653
; %bb.651:
	v_add3_u32 v189, v195, 0, 0x200
	v_mov_b32_e32 v188, 31
	s_mov_b32 s6, 32
	s_set_inst_prefetch_distance 0x1
	.p2align	6
.LBB88_652:                             ; =>This Inner Loop Header: Depth=1
	ds_load_2addr_b64 v[197:200], v189 offset1:1
	s_waitcnt lgkmcnt(1)
	v_cmp_gt_f64_e32 vcc_lo, 0, v[180:181]
	v_xor_b32_e32 v201, 0x80000000, v181
	v_cmp_gt_f64_e64 s2, 0, v[182:183]
	v_xor_b32_e32 v203, 0x80000000, v183
	v_add_nc_u32_e32 v189, 16, v189
	s_waitcnt lgkmcnt(0)
	v_cmp_gt_f64_e64 s3, 0, v[197:198]
	v_mov_b32_e32 v205, v197
	v_dual_mov_b32 v207, v199 :: v_dual_cndmask_b32 v202, v181, v201
	v_xor_b32_e32 v201, 0x80000000, v198
	v_cndmask_b32_e64 v204, v183, v203, s2
	v_xor_b32_e32 v203, 0x80000000, v200
	s_delay_alu instid0(VALU_DEP_3) | instskip(SKIP_2) | instid1(VALU_DEP_2)
	v_cndmask_b32_e64 v206, v198, v201, s3
	v_cmp_gt_f64_e64 s3, 0, v[199:200]
	v_cndmask_b32_e32 v201, v180, v180, vcc_lo
	v_cndmask_b32_e64 v208, v200, v203, s3
	v_cndmask_b32_e64 v203, v182, v182, s2
	s_delay_alu instid0(VALU_DEP_2) | instskip(NEXT) | instid1(VALU_DEP_2)
	v_add_f64 v[205:206], v[205:206], v[207:208]
	v_add_f64 v[201:202], v[201:202], v[203:204]
	s_delay_alu instid0(VALU_DEP_1) | instskip(SKIP_4) | instid1(SALU_CYCLE_1)
	v_cmp_lt_f64_e32 vcc_lo, v[201:202], v[205:206]
	v_dual_cndmask_b32 v182, v182, v199 :: v_dual_cndmask_b32 v181, v181, v198
	v_dual_cndmask_b32 v180, v180, v197 :: v_dual_cndmask_b32 v183, v183, v200
	v_cndmask_b32_e64 v188, v188, s6, vcc_lo
	s_add_i32 s6, s6, 1
	s_cmp_lg_u32 s5, s6
	s_cbranch_scc1 .LBB88_652
.LBB88_653:
	s_set_inst_prefetch_distance 0x2
	s_waitcnt lgkmcnt(0)
	v_cmp_eq_f64_e32 vcc_lo, 0, v[180:181]
	v_cmp_eq_f64_e64 s2, 0, v[182:183]
	s_delay_alu instid0(VALU_DEP_1) | instskip(NEXT) | instid1(SALU_CYCLE_1)
	s_and_b32 s2, vcc_lo, s2
	s_and_saveexec_b32 s3, s2
	s_delay_alu instid0(SALU_CYCLE_1)
	s_xor_b32 s2, exec_lo, s3
; %bb.654:
	v_cmp_ne_u32_e32 vcc_lo, 0, v193
	v_cndmask_b32_e32 v193, 32, v193, vcc_lo
; %bb.655:
	s_and_not1_saveexec_b32 s3, s2
	s_cbranch_execz .LBB88_661
; %bb.656:
	v_cmp_gt_f64_e32 vcc_lo, 0, v[180:181]
	v_cmp_gt_f64_e64 s2, 0, v[182:183]
	v_xor_b32_e32 v189, 0x80000000, v181
	v_xor_b32_e32 v197, 0x80000000, v183
	s_delay_alu instid0(VALU_DEP_2) | instskip(NEXT) | instid1(VALU_DEP_2)
	v_cndmask_b32_e32 v198, v181, v189, vcc_lo
	v_cndmask_b32_e64 v200, v183, v197, s2
	v_cndmask_b32_e32 v197, v180, v180, vcc_lo
	v_cndmask_b32_e64 v199, v182, v182, s2
	s_mov_b32 s2, exec_lo
	s_delay_alu instid0(VALU_DEP_1)
	v_cmpx_ngt_f64_e32 v[197:198], v[199:200]
	s_xor_b32 s2, exec_lo, s2
	s_cbranch_execz .LBB88_658
; %bb.657:
	v_div_scale_f64 v[197:198], null, v[182:183], v[182:183], v[180:181]
	v_div_scale_f64 v[203:204], vcc_lo, v[180:181], v[182:183], v[180:181]
	s_delay_alu instid0(VALU_DEP_2) | instskip(SKIP_2) | instid1(VALU_DEP_1)
	v_rcp_f64_e32 v[199:200], v[197:198]
	s_waitcnt_depctr 0xfff
	v_fma_f64 v[201:202], -v[197:198], v[199:200], 1.0
	v_fma_f64 v[199:200], v[199:200], v[201:202], v[199:200]
	s_delay_alu instid0(VALU_DEP_1) | instskip(NEXT) | instid1(VALU_DEP_1)
	v_fma_f64 v[201:202], -v[197:198], v[199:200], 1.0
	v_fma_f64 v[199:200], v[199:200], v[201:202], v[199:200]
	s_delay_alu instid0(VALU_DEP_1) | instskip(NEXT) | instid1(VALU_DEP_1)
	v_mul_f64 v[201:202], v[203:204], v[199:200]
	v_fma_f64 v[197:198], -v[197:198], v[201:202], v[203:204]
	s_delay_alu instid0(VALU_DEP_1) | instskip(NEXT) | instid1(VALU_DEP_1)
	v_div_fmas_f64 v[197:198], v[197:198], v[199:200], v[201:202]
	v_div_fixup_f64 v[197:198], v[197:198], v[182:183], v[180:181]
	s_delay_alu instid0(VALU_DEP_1) | instskip(NEXT) | instid1(VALU_DEP_1)
	v_fma_f64 v[180:181], v[180:181], v[197:198], v[182:183]
	v_div_scale_f64 v[182:183], null, v[180:181], v[180:181], 1.0
	s_delay_alu instid0(VALU_DEP_1) | instskip(SKIP_2) | instid1(VALU_DEP_1)
	v_rcp_f64_e32 v[199:200], v[182:183]
	s_waitcnt_depctr 0xfff
	v_fma_f64 v[201:202], -v[182:183], v[199:200], 1.0
	v_fma_f64 v[199:200], v[199:200], v[201:202], v[199:200]
	s_delay_alu instid0(VALU_DEP_1) | instskip(NEXT) | instid1(VALU_DEP_1)
	v_fma_f64 v[201:202], -v[182:183], v[199:200], 1.0
	v_fma_f64 v[199:200], v[199:200], v[201:202], v[199:200]
	v_div_scale_f64 v[201:202], vcc_lo, 1.0, v[180:181], 1.0
	s_delay_alu instid0(VALU_DEP_1) | instskip(NEXT) | instid1(VALU_DEP_1)
	v_mul_f64 v[203:204], v[201:202], v[199:200]
	v_fma_f64 v[182:183], -v[182:183], v[203:204], v[201:202]
	s_delay_alu instid0(VALU_DEP_1) | instskip(NEXT) | instid1(VALU_DEP_1)
	v_div_fmas_f64 v[182:183], v[182:183], v[199:200], v[203:204]
	v_div_fixup_f64 v[182:183], v[182:183], v[180:181], 1.0
	s_delay_alu instid0(VALU_DEP_1)
	v_mul_f64 v[180:181], v[197:198], v[182:183]
	v_xor_b32_e32 v183, 0x80000000, v183
.LBB88_658:
	s_and_not1_saveexec_b32 s2, s2
	s_cbranch_execz .LBB88_660
; %bb.659:
	s_delay_alu instid0(VALU_DEP_1) | instskip(SKIP_1) | instid1(VALU_DEP_2)
	v_div_scale_f64 v[197:198], null, v[180:181], v[180:181], v[182:183]
	v_div_scale_f64 v[203:204], vcc_lo, v[182:183], v[180:181], v[182:183]
	v_rcp_f64_e32 v[199:200], v[197:198]
	s_waitcnt_depctr 0xfff
	v_fma_f64 v[201:202], -v[197:198], v[199:200], 1.0
	s_delay_alu instid0(VALU_DEP_1) | instskip(NEXT) | instid1(VALU_DEP_1)
	v_fma_f64 v[199:200], v[199:200], v[201:202], v[199:200]
	v_fma_f64 v[201:202], -v[197:198], v[199:200], 1.0
	s_delay_alu instid0(VALU_DEP_1) | instskip(NEXT) | instid1(VALU_DEP_1)
	v_fma_f64 v[199:200], v[199:200], v[201:202], v[199:200]
	v_mul_f64 v[201:202], v[203:204], v[199:200]
	s_delay_alu instid0(VALU_DEP_1) | instskip(NEXT) | instid1(VALU_DEP_1)
	v_fma_f64 v[197:198], -v[197:198], v[201:202], v[203:204]
	v_div_fmas_f64 v[197:198], v[197:198], v[199:200], v[201:202]
	s_delay_alu instid0(VALU_DEP_1) | instskip(NEXT) | instid1(VALU_DEP_1)
	v_div_fixup_f64 v[197:198], v[197:198], v[180:181], v[182:183]
	v_fma_f64 v[180:181], v[182:183], v[197:198], v[180:181]
	s_delay_alu instid0(VALU_DEP_1) | instskip(NEXT) | instid1(VALU_DEP_1)
	v_div_scale_f64 v[182:183], null, v[180:181], v[180:181], 1.0
	v_rcp_f64_e32 v[199:200], v[182:183]
	s_waitcnt_depctr 0xfff
	v_fma_f64 v[201:202], -v[182:183], v[199:200], 1.0
	s_delay_alu instid0(VALU_DEP_1) | instskip(NEXT) | instid1(VALU_DEP_1)
	v_fma_f64 v[199:200], v[199:200], v[201:202], v[199:200]
	v_fma_f64 v[201:202], -v[182:183], v[199:200], 1.0
	s_delay_alu instid0(VALU_DEP_1) | instskip(SKIP_1) | instid1(VALU_DEP_1)
	v_fma_f64 v[199:200], v[199:200], v[201:202], v[199:200]
	v_div_scale_f64 v[201:202], vcc_lo, 1.0, v[180:181], 1.0
	v_mul_f64 v[203:204], v[201:202], v[199:200]
	s_delay_alu instid0(VALU_DEP_1) | instskip(NEXT) | instid1(VALU_DEP_1)
	v_fma_f64 v[182:183], -v[182:183], v[203:204], v[201:202]
	v_div_fmas_f64 v[182:183], v[182:183], v[199:200], v[203:204]
	s_delay_alu instid0(VALU_DEP_1) | instskip(NEXT) | instid1(VALU_DEP_1)
	v_div_fixup_f64 v[180:181], v[182:183], v[180:181], 1.0
	v_mul_f64 v[182:183], v[197:198], -v[180:181]
.LBB88_660:
	s_or_b32 exec_lo, exec_lo, s2
.LBB88_661:
	s_delay_alu instid0(SALU_CYCLE_1) | instskip(NEXT) | instid1(SALU_CYCLE_1)
	s_or_b32 exec_lo, exec_lo, s3
	s_mov_b32 s2, exec_lo
	v_cmpx_ne_u32_e64 v196, v188
	s_xor_b32 s2, exec_lo, s2
	s_cbranch_execz .LBB88_667
; %bb.662:
	s_mov_b32 s3, exec_lo
	v_cmpx_eq_u32_e32 31, v196
	s_cbranch_execz .LBB88_666
; %bb.663:
	v_cmp_ne_u32_e32 vcc_lo, 31, v188
	s_xor_b32 s6, s4, -1
	s_delay_alu instid0(SALU_CYCLE_1) | instskip(NEXT) | instid1(SALU_CYCLE_1)
	s_and_b32 s7, s6, vcc_lo
	s_and_saveexec_b32 s6, s7
	s_cbranch_execz .LBB88_665
; %bb.664:
	v_ashrrev_i32_e32 v189, 31, v188
	s_delay_alu instid0(VALU_DEP_1) | instskip(NEXT) | instid1(VALU_DEP_1)
	v_lshlrev_b64 v[196:197], 2, v[188:189]
	v_add_co_u32 v196, vcc_lo, v186, v196
	s_delay_alu instid0(VALU_DEP_2)
	v_add_co_ci_u32_e32 v197, vcc_lo, v187, v197, vcc_lo
	s_clause 0x1
	flat_load_b32 v189, v[196:197]
	flat_load_b32 v194, v[186:187] offset:124
	s_waitcnt vmcnt(1) lgkmcnt(1)
	flat_store_b32 v[186:187], v189 offset:124
	s_waitcnt vmcnt(0) lgkmcnt(1)
	flat_store_b32 v[196:197], v194
.LBB88_665:
	s_or_b32 exec_lo, exec_lo, s6
	v_mov_b32_e32 v196, v188
	v_mov_b32_e32 v194, v188
.LBB88_666:
	s_or_b32 exec_lo, exec_lo, s3
.LBB88_667:
	s_and_not1_saveexec_b32 s2, s2
	s_cbranch_execz .LBB88_669
; %bb.668:
	v_mov_b32_e32 v196, 31
	ds_store_2addr_b64 v190, v[48:49], v[50:51] offset0:64 offset1:65
	ds_store_2addr_b64 v190, v[44:45], v[46:47] offset0:66 offset1:67
	ds_store_2addr_b64 v190, v[40:41], v[42:43] offset0:68 offset1:69
	ds_store_2addr_b64 v190, v[36:37], v[38:39] offset0:70 offset1:71
	ds_store_2addr_b64 v190, v[32:33], v[34:35] offset0:72 offset1:73
	ds_store_2addr_b64 v190, v[28:29], v[30:31] offset0:74 offset1:75
	ds_store_2addr_b64 v190, v[24:25], v[26:27] offset0:76 offset1:77
	ds_store_2addr_b64 v190, v[20:21], v[22:23] offset0:78 offset1:79
	ds_store_2addr_b64 v190, v[16:17], v[18:19] offset0:80 offset1:81
	ds_store_2addr_b64 v190, v[12:13], v[14:15] offset0:82 offset1:83
	ds_store_2addr_b64 v190, v[8:9], v[10:11] offset0:84 offset1:85
	ds_store_2addr_b64 v190, v[4:5], v[6:7] offset0:86 offset1:87
	ds_store_2addr_b64 v190, v[0:1], v[2:3] offset0:88 offset1:89
.LBB88_669:
	s_or_b32 exec_lo, exec_lo, s2
	s_delay_alu instid0(SALU_CYCLE_1)
	s_mov_b32 s2, exec_lo
	s_waitcnt lgkmcnt(0)
	s_waitcnt_vscnt null, 0x0
	s_barrier
	buffer_gl0_inv
	v_cmpx_lt_i32_e32 31, v196
	s_cbranch_execz .LBB88_671
; %bb.670:
	v_mul_f64 v[188:189], v[180:181], v[54:55]
	v_mul_f64 v[54:55], v[182:183], v[54:55]
	s_delay_alu instid0(VALU_DEP_2) | instskip(NEXT) | instid1(VALU_DEP_2)
	v_fma_f64 v[188:189], v[182:183], v[52:53], v[188:189]
	v_fma_f64 v[52:53], v[180:181], v[52:53], -v[54:55]
	ds_load_2addr_b64 v[180:183], v190 offset0:64 offset1:65
	s_waitcnt lgkmcnt(0)
	v_mul_f64 v[54:55], v[182:183], v[188:189]
	s_delay_alu instid0(VALU_DEP_1) | instskip(SKIP_1) | instid1(VALU_DEP_2)
	v_fma_f64 v[54:55], v[180:181], v[52:53], -v[54:55]
	v_mul_f64 v[180:181], v[180:181], v[188:189]
	v_add_f64 v[48:49], v[48:49], -v[54:55]
	s_delay_alu instid0(VALU_DEP_2) | instskip(NEXT) | instid1(VALU_DEP_1)
	v_fma_f64 v[180:181], v[182:183], v[52:53], v[180:181]
	v_add_f64 v[50:51], v[50:51], -v[180:181]
	ds_load_2addr_b64 v[180:183], v190 offset0:66 offset1:67
	s_waitcnt lgkmcnt(0)
	v_mul_f64 v[54:55], v[182:183], v[188:189]
	s_delay_alu instid0(VALU_DEP_1) | instskip(SKIP_1) | instid1(VALU_DEP_2)
	v_fma_f64 v[54:55], v[180:181], v[52:53], -v[54:55]
	v_mul_f64 v[180:181], v[180:181], v[188:189]
	v_add_f64 v[44:45], v[44:45], -v[54:55]
	s_delay_alu instid0(VALU_DEP_2) | instskip(NEXT) | instid1(VALU_DEP_1)
	v_fma_f64 v[180:181], v[182:183], v[52:53], v[180:181]
	v_add_f64 v[46:47], v[46:47], -v[180:181]
	;; [unrolled: 10-line block ×12, first 2 shown]
	ds_load_2addr_b64 v[180:183], v190 offset0:88 offset1:89
	s_waitcnt lgkmcnt(0)
	v_mul_f64 v[54:55], v[182:183], v[188:189]
	s_delay_alu instid0(VALU_DEP_1) | instskip(SKIP_1) | instid1(VALU_DEP_2)
	v_fma_f64 v[54:55], v[180:181], v[52:53], -v[54:55]
	v_mul_f64 v[180:181], v[180:181], v[188:189]
	v_add_f64 v[0:1], v[0:1], -v[54:55]
	s_delay_alu instid0(VALU_DEP_2) | instskip(SKIP_1) | instid1(VALU_DEP_2)
	v_fma_f64 v[180:181], v[182:183], v[52:53], v[180:181]
	v_dual_mov_b32 v54, v188 :: v_dual_mov_b32 v55, v189
	v_add_f64 v[2:3], v[2:3], -v[180:181]
.LBB88_671:
	s_or_b32 exec_lo, exec_lo, s2
	v_lshl_add_u32 v180, v196, 4, v190
	s_barrier
	buffer_gl0_inv
	v_mov_b32_e32 v188, 32
	ds_store_2addr_b64 v180, v[48:49], v[50:51] offset1:1
	s_waitcnt lgkmcnt(0)
	s_barrier
	buffer_gl0_inv
	ds_load_2addr_b64 v[180:183], v190 offset0:64 offset1:65
	s_cmp_lt_i32 s5, 34
	s_cbranch_scc1 .LBB88_674
; %bb.672:
	v_add3_u32 v189, v195, 0, 0x210
	v_mov_b32_e32 v188, 32
	s_mov_b32 s6, 33
	s_set_inst_prefetch_distance 0x1
	.p2align	6
.LBB88_673:                             ; =>This Inner Loop Header: Depth=1
	ds_load_2addr_b64 v[197:200], v189 offset1:1
	s_waitcnt lgkmcnt(1)
	v_cmp_gt_f64_e32 vcc_lo, 0, v[180:181]
	v_xor_b32_e32 v201, 0x80000000, v181
	v_cmp_gt_f64_e64 s2, 0, v[182:183]
	v_xor_b32_e32 v203, 0x80000000, v183
	v_add_nc_u32_e32 v189, 16, v189
	s_waitcnt lgkmcnt(0)
	v_cmp_gt_f64_e64 s3, 0, v[197:198]
	v_mov_b32_e32 v205, v197
	v_dual_mov_b32 v207, v199 :: v_dual_cndmask_b32 v202, v181, v201
	v_xor_b32_e32 v201, 0x80000000, v198
	v_cndmask_b32_e64 v204, v183, v203, s2
	v_xor_b32_e32 v203, 0x80000000, v200
	s_delay_alu instid0(VALU_DEP_3) | instskip(SKIP_2) | instid1(VALU_DEP_2)
	v_cndmask_b32_e64 v206, v198, v201, s3
	v_cmp_gt_f64_e64 s3, 0, v[199:200]
	v_cndmask_b32_e32 v201, v180, v180, vcc_lo
	v_cndmask_b32_e64 v208, v200, v203, s3
	v_cndmask_b32_e64 v203, v182, v182, s2
	s_delay_alu instid0(VALU_DEP_2) | instskip(NEXT) | instid1(VALU_DEP_2)
	v_add_f64 v[205:206], v[205:206], v[207:208]
	v_add_f64 v[201:202], v[201:202], v[203:204]
	s_delay_alu instid0(VALU_DEP_1) | instskip(SKIP_4) | instid1(SALU_CYCLE_1)
	v_cmp_lt_f64_e32 vcc_lo, v[201:202], v[205:206]
	v_dual_cndmask_b32 v182, v182, v199 :: v_dual_cndmask_b32 v181, v181, v198
	v_dual_cndmask_b32 v180, v180, v197 :: v_dual_cndmask_b32 v183, v183, v200
	v_cndmask_b32_e64 v188, v188, s6, vcc_lo
	s_add_i32 s6, s6, 1
	s_cmp_lg_u32 s5, s6
	s_cbranch_scc1 .LBB88_673
.LBB88_674:
	s_set_inst_prefetch_distance 0x2
	s_waitcnt lgkmcnt(0)
	v_cmp_eq_f64_e32 vcc_lo, 0, v[180:181]
	v_cmp_eq_f64_e64 s2, 0, v[182:183]
	s_delay_alu instid0(VALU_DEP_1) | instskip(NEXT) | instid1(SALU_CYCLE_1)
	s_and_b32 s2, vcc_lo, s2
	s_and_saveexec_b32 s3, s2
	s_delay_alu instid0(SALU_CYCLE_1)
	s_xor_b32 s2, exec_lo, s3
; %bb.675:
	v_cmp_ne_u32_e32 vcc_lo, 0, v193
	v_cndmask_b32_e32 v193, 33, v193, vcc_lo
; %bb.676:
	s_and_not1_saveexec_b32 s3, s2
	s_cbranch_execz .LBB88_682
; %bb.677:
	v_cmp_gt_f64_e32 vcc_lo, 0, v[180:181]
	v_cmp_gt_f64_e64 s2, 0, v[182:183]
	v_xor_b32_e32 v189, 0x80000000, v181
	v_xor_b32_e32 v197, 0x80000000, v183
	s_delay_alu instid0(VALU_DEP_2) | instskip(NEXT) | instid1(VALU_DEP_2)
	v_cndmask_b32_e32 v198, v181, v189, vcc_lo
	v_cndmask_b32_e64 v200, v183, v197, s2
	v_cndmask_b32_e32 v197, v180, v180, vcc_lo
	v_cndmask_b32_e64 v199, v182, v182, s2
	s_mov_b32 s2, exec_lo
	s_delay_alu instid0(VALU_DEP_1)
	v_cmpx_ngt_f64_e32 v[197:198], v[199:200]
	s_xor_b32 s2, exec_lo, s2
	s_cbranch_execz .LBB88_679
; %bb.678:
	v_div_scale_f64 v[197:198], null, v[182:183], v[182:183], v[180:181]
	v_div_scale_f64 v[203:204], vcc_lo, v[180:181], v[182:183], v[180:181]
	s_delay_alu instid0(VALU_DEP_2) | instskip(SKIP_2) | instid1(VALU_DEP_1)
	v_rcp_f64_e32 v[199:200], v[197:198]
	s_waitcnt_depctr 0xfff
	v_fma_f64 v[201:202], -v[197:198], v[199:200], 1.0
	v_fma_f64 v[199:200], v[199:200], v[201:202], v[199:200]
	s_delay_alu instid0(VALU_DEP_1) | instskip(NEXT) | instid1(VALU_DEP_1)
	v_fma_f64 v[201:202], -v[197:198], v[199:200], 1.0
	v_fma_f64 v[199:200], v[199:200], v[201:202], v[199:200]
	s_delay_alu instid0(VALU_DEP_1) | instskip(NEXT) | instid1(VALU_DEP_1)
	v_mul_f64 v[201:202], v[203:204], v[199:200]
	v_fma_f64 v[197:198], -v[197:198], v[201:202], v[203:204]
	s_delay_alu instid0(VALU_DEP_1) | instskip(NEXT) | instid1(VALU_DEP_1)
	v_div_fmas_f64 v[197:198], v[197:198], v[199:200], v[201:202]
	v_div_fixup_f64 v[197:198], v[197:198], v[182:183], v[180:181]
	s_delay_alu instid0(VALU_DEP_1) | instskip(NEXT) | instid1(VALU_DEP_1)
	v_fma_f64 v[180:181], v[180:181], v[197:198], v[182:183]
	v_div_scale_f64 v[182:183], null, v[180:181], v[180:181], 1.0
	s_delay_alu instid0(VALU_DEP_1) | instskip(SKIP_2) | instid1(VALU_DEP_1)
	v_rcp_f64_e32 v[199:200], v[182:183]
	s_waitcnt_depctr 0xfff
	v_fma_f64 v[201:202], -v[182:183], v[199:200], 1.0
	v_fma_f64 v[199:200], v[199:200], v[201:202], v[199:200]
	s_delay_alu instid0(VALU_DEP_1) | instskip(NEXT) | instid1(VALU_DEP_1)
	v_fma_f64 v[201:202], -v[182:183], v[199:200], 1.0
	v_fma_f64 v[199:200], v[199:200], v[201:202], v[199:200]
	v_div_scale_f64 v[201:202], vcc_lo, 1.0, v[180:181], 1.0
	s_delay_alu instid0(VALU_DEP_1) | instskip(NEXT) | instid1(VALU_DEP_1)
	v_mul_f64 v[203:204], v[201:202], v[199:200]
	v_fma_f64 v[182:183], -v[182:183], v[203:204], v[201:202]
	s_delay_alu instid0(VALU_DEP_1) | instskip(NEXT) | instid1(VALU_DEP_1)
	v_div_fmas_f64 v[182:183], v[182:183], v[199:200], v[203:204]
	v_div_fixup_f64 v[182:183], v[182:183], v[180:181], 1.0
	s_delay_alu instid0(VALU_DEP_1)
	v_mul_f64 v[180:181], v[197:198], v[182:183]
	v_xor_b32_e32 v183, 0x80000000, v183
.LBB88_679:
	s_and_not1_saveexec_b32 s2, s2
	s_cbranch_execz .LBB88_681
; %bb.680:
	s_delay_alu instid0(VALU_DEP_1) | instskip(SKIP_1) | instid1(VALU_DEP_2)
	v_div_scale_f64 v[197:198], null, v[180:181], v[180:181], v[182:183]
	v_div_scale_f64 v[203:204], vcc_lo, v[182:183], v[180:181], v[182:183]
	v_rcp_f64_e32 v[199:200], v[197:198]
	s_waitcnt_depctr 0xfff
	v_fma_f64 v[201:202], -v[197:198], v[199:200], 1.0
	s_delay_alu instid0(VALU_DEP_1) | instskip(NEXT) | instid1(VALU_DEP_1)
	v_fma_f64 v[199:200], v[199:200], v[201:202], v[199:200]
	v_fma_f64 v[201:202], -v[197:198], v[199:200], 1.0
	s_delay_alu instid0(VALU_DEP_1) | instskip(NEXT) | instid1(VALU_DEP_1)
	v_fma_f64 v[199:200], v[199:200], v[201:202], v[199:200]
	v_mul_f64 v[201:202], v[203:204], v[199:200]
	s_delay_alu instid0(VALU_DEP_1) | instskip(NEXT) | instid1(VALU_DEP_1)
	v_fma_f64 v[197:198], -v[197:198], v[201:202], v[203:204]
	v_div_fmas_f64 v[197:198], v[197:198], v[199:200], v[201:202]
	s_delay_alu instid0(VALU_DEP_1) | instskip(NEXT) | instid1(VALU_DEP_1)
	v_div_fixup_f64 v[197:198], v[197:198], v[180:181], v[182:183]
	v_fma_f64 v[180:181], v[182:183], v[197:198], v[180:181]
	s_delay_alu instid0(VALU_DEP_1) | instskip(NEXT) | instid1(VALU_DEP_1)
	v_div_scale_f64 v[182:183], null, v[180:181], v[180:181], 1.0
	v_rcp_f64_e32 v[199:200], v[182:183]
	s_waitcnt_depctr 0xfff
	v_fma_f64 v[201:202], -v[182:183], v[199:200], 1.0
	s_delay_alu instid0(VALU_DEP_1) | instskip(NEXT) | instid1(VALU_DEP_1)
	v_fma_f64 v[199:200], v[199:200], v[201:202], v[199:200]
	v_fma_f64 v[201:202], -v[182:183], v[199:200], 1.0
	s_delay_alu instid0(VALU_DEP_1) | instskip(SKIP_1) | instid1(VALU_DEP_1)
	v_fma_f64 v[199:200], v[199:200], v[201:202], v[199:200]
	v_div_scale_f64 v[201:202], vcc_lo, 1.0, v[180:181], 1.0
	v_mul_f64 v[203:204], v[201:202], v[199:200]
	s_delay_alu instid0(VALU_DEP_1) | instskip(NEXT) | instid1(VALU_DEP_1)
	v_fma_f64 v[182:183], -v[182:183], v[203:204], v[201:202]
	v_div_fmas_f64 v[182:183], v[182:183], v[199:200], v[203:204]
	s_delay_alu instid0(VALU_DEP_1) | instskip(NEXT) | instid1(VALU_DEP_1)
	v_div_fixup_f64 v[180:181], v[182:183], v[180:181], 1.0
	v_mul_f64 v[182:183], v[197:198], -v[180:181]
.LBB88_681:
	s_or_b32 exec_lo, exec_lo, s2
.LBB88_682:
	s_delay_alu instid0(SALU_CYCLE_1) | instskip(NEXT) | instid1(SALU_CYCLE_1)
	s_or_b32 exec_lo, exec_lo, s3
	s_mov_b32 s2, exec_lo
	v_cmpx_ne_u32_e64 v196, v188
	s_xor_b32 s2, exec_lo, s2
	s_cbranch_execz .LBB88_688
; %bb.683:
	s_mov_b32 s3, exec_lo
	v_cmpx_eq_u32_e32 32, v196
	s_cbranch_execz .LBB88_687
; %bb.684:
	v_cmp_ne_u32_e32 vcc_lo, 32, v188
	s_xor_b32 s6, s4, -1
	s_delay_alu instid0(SALU_CYCLE_1) | instskip(NEXT) | instid1(SALU_CYCLE_1)
	s_and_b32 s7, s6, vcc_lo
	s_and_saveexec_b32 s6, s7
	s_cbranch_execz .LBB88_686
; %bb.685:
	v_ashrrev_i32_e32 v189, 31, v188
	s_delay_alu instid0(VALU_DEP_1) | instskip(NEXT) | instid1(VALU_DEP_1)
	v_lshlrev_b64 v[196:197], 2, v[188:189]
	v_add_co_u32 v196, vcc_lo, v186, v196
	s_delay_alu instid0(VALU_DEP_2)
	v_add_co_ci_u32_e32 v197, vcc_lo, v187, v197, vcc_lo
	s_clause 0x1
	flat_load_b32 v189, v[196:197]
	flat_load_b32 v194, v[186:187] offset:128
	s_waitcnt vmcnt(1) lgkmcnt(1)
	flat_store_b32 v[186:187], v189 offset:128
	s_waitcnt vmcnt(0) lgkmcnt(1)
	flat_store_b32 v[196:197], v194
.LBB88_686:
	s_or_b32 exec_lo, exec_lo, s6
	v_mov_b32_e32 v196, v188
	v_mov_b32_e32 v194, v188
.LBB88_687:
	s_or_b32 exec_lo, exec_lo, s3
.LBB88_688:
	s_and_not1_saveexec_b32 s2, s2
	s_cbranch_execz .LBB88_690
; %bb.689:
	v_mov_b32_e32 v196, 32
	ds_store_2addr_b64 v190, v[44:45], v[46:47] offset0:66 offset1:67
	ds_store_2addr_b64 v190, v[40:41], v[42:43] offset0:68 offset1:69
	;; [unrolled: 1-line block ×12, first 2 shown]
.LBB88_690:
	s_or_b32 exec_lo, exec_lo, s2
	s_delay_alu instid0(SALU_CYCLE_1)
	s_mov_b32 s2, exec_lo
	s_waitcnt lgkmcnt(0)
	s_waitcnt_vscnt null, 0x0
	s_barrier
	buffer_gl0_inv
	v_cmpx_lt_i32_e32 32, v196
	s_cbranch_execz .LBB88_692
; %bb.691:
	v_mul_f64 v[188:189], v[180:181], v[50:51]
	v_mul_f64 v[50:51], v[182:183], v[50:51]
	s_delay_alu instid0(VALU_DEP_2) | instskip(NEXT) | instid1(VALU_DEP_2)
	v_fma_f64 v[188:189], v[182:183], v[48:49], v[188:189]
	v_fma_f64 v[48:49], v[180:181], v[48:49], -v[50:51]
	ds_load_2addr_b64 v[180:183], v190 offset0:66 offset1:67
	s_waitcnt lgkmcnt(0)
	v_mul_f64 v[50:51], v[182:183], v[188:189]
	s_delay_alu instid0(VALU_DEP_1) | instskip(SKIP_1) | instid1(VALU_DEP_2)
	v_fma_f64 v[50:51], v[180:181], v[48:49], -v[50:51]
	v_mul_f64 v[180:181], v[180:181], v[188:189]
	v_add_f64 v[44:45], v[44:45], -v[50:51]
	s_delay_alu instid0(VALU_DEP_2) | instskip(NEXT) | instid1(VALU_DEP_1)
	v_fma_f64 v[180:181], v[182:183], v[48:49], v[180:181]
	v_add_f64 v[46:47], v[46:47], -v[180:181]
	ds_load_2addr_b64 v[180:183], v190 offset0:68 offset1:69
	s_waitcnt lgkmcnt(0)
	v_mul_f64 v[50:51], v[182:183], v[188:189]
	s_delay_alu instid0(VALU_DEP_1) | instskip(SKIP_1) | instid1(VALU_DEP_2)
	v_fma_f64 v[50:51], v[180:181], v[48:49], -v[50:51]
	v_mul_f64 v[180:181], v[180:181], v[188:189]
	v_add_f64 v[40:41], v[40:41], -v[50:51]
	s_delay_alu instid0(VALU_DEP_2) | instskip(NEXT) | instid1(VALU_DEP_1)
	v_fma_f64 v[180:181], v[182:183], v[48:49], v[180:181]
	v_add_f64 v[42:43], v[42:43], -v[180:181]
	;; [unrolled: 10-line block ×11, first 2 shown]
	ds_load_2addr_b64 v[180:183], v190 offset0:88 offset1:89
	s_waitcnt lgkmcnt(0)
	v_mul_f64 v[50:51], v[182:183], v[188:189]
	s_delay_alu instid0(VALU_DEP_1) | instskip(SKIP_1) | instid1(VALU_DEP_2)
	v_fma_f64 v[50:51], v[180:181], v[48:49], -v[50:51]
	v_mul_f64 v[180:181], v[180:181], v[188:189]
	v_add_f64 v[0:1], v[0:1], -v[50:51]
	s_delay_alu instid0(VALU_DEP_2) | instskip(SKIP_1) | instid1(VALU_DEP_2)
	v_fma_f64 v[180:181], v[182:183], v[48:49], v[180:181]
	v_dual_mov_b32 v50, v188 :: v_dual_mov_b32 v51, v189
	v_add_f64 v[2:3], v[2:3], -v[180:181]
.LBB88_692:
	s_or_b32 exec_lo, exec_lo, s2
	v_lshl_add_u32 v180, v196, 4, v190
	s_barrier
	buffer_gl0_inv
	v_mov_b32_e32 v188, 33
	ds_store_2addr_b64 v180, v[44:45], v[46:47] offset1:1
	s_waitcnt lgkmcnt(0)
	s_barrier
	buffer_gl0_inv
	ds_load_2addr_b64 v[180:183], v190 offset0:66 offset1:67
	s_cmp_lt_i32 s5, 35
	s_cbranch_scc1 .LBB88_695
; %bb.693:
	v_add3_u32 v189, v195, 0, 0x220
	v_mov_b32_e32 v188, 33
	s_mov_b32 s6, 34
	s_set_inst_prefetch_distance 0x1
	.p2align	6
.LBB88_694:                             ; =>This Inner Loop Header: Depth=1
	ds_load_2addr_b64 v[197:200], v189 offset1:1
	s_waitcnt lgkmcnt(1)
	v_cmp_gt_f64_e32 vcc_lo, 0, v[180:181]
	v_xor_b32_e32 v201, 0x80000000, v181
	v_cmp_gt_f64_e64 s2, 0, v[182:183]
	v_xor_b32_e32 v203, 0x80000000, v183
	v_add_nc_u32_e32 v189, 16, v189
	s_waitcnt lgkmcnt(0)
	v_cmp_gt_f64_e64 s3, 0, v[197:198]
	v_mov_b32_e32 v205, v197
	v_dual_mov_b32 v207, v199 :: v_dual_cndmask_b32 v202, v181, v201
	v_xor_b32_e32 v201, 0x80000000, v198
	v_cndmask_b32_e64 v204, v183, v203, s2
	v_xor_b32_e32 v203, 0x80000000, v200
	s_delay_alu instid0(VALU_DEP_3) | instskip(SKIP_2) | instid1(VALU_DEP_2)
	v_cndmask_b32_e64 v206, v198, v201, s3
	v_cmp_gt_f64_e64 s3, 0, v[199:200]
	v_cndmask_b32_e32 v201, v180, v180, vcc_lo
	v_cndmask_b32_e64 v208, v200, v203, s3
	v_cndmask_b32_e64 v203, v182, v182, s2
	s_delay_alu instid0(VALU_DEP_2) | instskip(NEXT) | instid1(VALU_DEP_2)
	v_add_f64 v[205:206], v[205:206], v[207:208]
	v_add_f64 v[201:202], v[201:202], v[203:204]
	s_delay_alu instid0(VALU_DEP_1) | instskip(SKIP_4) | instid1(SALU_CYCLE_1)
	v_cmp_lt_f64_e32 vcc_lo, v[201:202], v[205:206]
	v_dual_cndmask_b32 v182, v182, v199 :: v_dual_cndmask_b32 v181, v181, v198
	v_dual_cndmask_b32 v180, v180, v197 :: v_dual_cndmask_b32 v183, v183, v200
	v_cndmask_b32_e64 v188, v188, s6, vcc_lo
	s_add_i32 s6, s6, 1
	s_cmp_lg_u32 s5, s6
	s_cbranch_scc1 .LBB88_694
.LBB88_695:
	s_set_inst_prefetch_distance 0x2
	s_waitcnt lgkmcnt(0)
	v_cmp_eq_f64_e32 vcc_lo, 0, v[180:181]
	v_cmp_eq_f64_e64 s2, 0, v[182:183]
	s_delay_alu instid0(VALU_DEP_1) | instskip(NEXT) | instid1(SALU_CYCLE_1)
	s_and_b32 s2, vcc_lo, s2
	s_and_saveexec_b32 s3, s2
	s_delay_alu instid0(SALU_CYCLE_1)
	s_xor_b32 s2, exec_lo, s3
; %bb.696:
	v_cmp_ne_u32_e32 vcc_lo, 0, v193
	v_cndmask_b32_e32 v193, 34, v193, vcc_lo
; %bb.697:
	s_and_not1_saveexec_b32 s3, s2
	s_cbranch_execz .LBB88_703
; %bb.698:
	v_cmp_gt_f64_e32 vcc_lo, 0, v[180:181]
	v_cmp_gt_f64_e64 s2, 0, v[182:183]
	v_xor_b32_e32 v189, 0x80000000, v181
	v_xor_b32_e32 v197, 0x80000000, v183
	s_delay_alu instid0(VALU_DEP_2) | instskip(NEXT) | instid1(VALU_DEP_2)
	v_cndmask_b32_e32 v198, v181, v189, vcc_lo
	v_cndmask_b32_e64 v200, v183, v197, s2
	v_cndmask_b32_e32 v197, v180, v180, vcc_lo
	v_cndmask_b32_e64 v199, v182, v182, s2
	s_mov_b32 s2, exec_lo
	s_delay_alu instid0(VALU_DEP_1)
	v_cmpx_ngt_f64_e32 v[197:198], v[199:200]
	s_xor_b32 s2, exec_lo, s2
	s_cbranch_execz .LBB88_700
; %bb.699:
	v_div_scale_f64 v[197:198], null, v[182:183], v[182:183], v[180:181]
	v_div_scale_f64 v[203:204], vcc_lo, v[180:181], v[182:183], v[180:181]
	s_delay_alu instid0(VALU_DEP_2) | instskip(SKIP_2) | instid1(VALU_DEP_1)
	v_rcp_f64_e32 v[199:200], v[197:198]
	s_waitcnt_depctr 0xfff
	v_fma_f64 v[201:202], -v[197:198], v[199:200], 1.0
	v_fma_f64 v[199:200], v[199:200], v[201:202], v[199:200]
	s_delay_alu instid0(VALU_DEP_1) | instskip(NEXT) | instid1(VALU_DEP_1)
	v_fma_f64 v[201:202], -v[197:198], v[199:200], 1.0
	v_fma_f64 v[199:200], v[199:200], v[201:202], v[199:200]
	s_delay_alu instid0(VALU_DEP_1) | instskip(NEXT) | instid1(VALU_DEP_1)
	v_mul_f64 v[201:202], v[203:204], v[199:200]
	v_fma_f64 v[197:198], -v[197:198], v[201:202], v[203:204]
	s_delay_alu instid0(VALU_DEP_1) | instskip(NEXT) | instid1(VALU_DEP_1)
	v_div_fmas_f64 v[197:198], v[197:198], v[199:200], v[201:202]
	v_div_fixup_f64 v[197:198], v[197:198], v[182:183], v[180:181]
	s_delay_alu instid0(VALU_DEP_1) | instskip(NEXT) | instid1(VALU_DEP_1)
	v_fma_f64 v[180:181], v[180:181], v[197:198], v[182:183]
	v_div_scale_f64 v[182:183], null, v[180:181], v[180:181], 1.0
	s_delay_alu instid0(VALU_DEP_1) | instskip(SKIP_2) | instid1(VALU_DEP_1)
	v_rcp_f64_e32 v[199:200], v[182:183]
	s_waitcnt_depctr 0xfff
	v_fma_f64 v[201:202], -v[182:183], v[199:200], 1.0
	v_fma_f64 v[199:200], v[199:200], v[201:202], v[199:200]
	s_delay_alu instid0(VALU_DEP_1) | instskip(NEXT) | instid1(VALU_DEP_1)
	v_fma_f64 v[201:202], -v[182:183], v[199:200], 1.0
	v_fma_f64 v[199:200], v[199:200], v[201:202], v[199:200]
	v_div_scale_f64 v[201:202], vcc_lo, 1.0, v[180:181], 1.0
	s_delay_alu instid0(VALU_DEP_1) | instskip(NEXT) | instid1(VALU_DEP_1)
	v_mul_f64 v[203:204], v[201:202], v[199:200]
	v_fma_f64 v[182:183], -v[182:183], v[203:204], v[201:202]
	s_delay_alu instid0(VALU_DEP_1) | instskip(NEXT) | instid1(VALU_DEP_1)
	v_div_fmas_f64 v[182:183], v[182:183], v[199:200], v[203:204]
	v_div_fixup_f64 v[182:183], v[182:183], v[180:181], 1.0
	s_delay_alu instid0(VALU_DEP_1)
	v_mul_f64 v[180:181], v[197:198], v[182:183]
	v_xor_b32_e32 v183, 0x80000000, v183
.LBB88_700:
	s_and_not1_saveexec_b32 s2, s2
	s_cbranch_execz .LBB88_702
; %bb.701:
	s_delay_alu instid0(VALU_DEP_1) | instskip(SKIP_1) | instid1(VALU_DEP_2)
	v_div_scale_f64 v[197:198], null, v[180:181], v[180:181], v[182:183]
	v_div_scale_f64 v[203:204], vcc_lo, v[182:183], v[180:181], v[182:183]
	v_rcp_f64_e32 v[199:200], v[197:198]
	s_waitcnt_depctr 0xfff
	v_fma_f64 v[201:202], -v[197:198], v[199:200], 1.0
	s_delay_alu instid0(VALU_DEP_1) | instskip(NEXT) | instid1(VALU_DEP_1)
	v_fma_f64 v[199:200], v[199:200], v[201:202], v[199:200]
	v_fma_f64 v[201:202], -v[197:198], v[199:200], 1.0
	s_delay_alu instid0(VALU_DEP_1) | instskip(NEXT) | instid1(VALU_DEP_1)
	v_fma_f64 v[199:200], v[199:200], v[201:202], v[199:200]
	v_mul_f64 v[201:202], v[203:204], v[199:200]
	s_delay_alu instid0(VALU_DEP_1) | instskip(NEXT) | instid1(VALU_DEP_1)
	v_fma_f64 v[197:198], -v[197:198], v[201:202], v[203:204]
	v_div_fmas_f64 v[197:198], v[197:198], v[199:200], v[201:202]
	s_delay_alu instid0(VALU_DEP_1) | instskip(NEXT) | instid1(VALU_DEP_1)
	v_div_fixup_f64 v[197:198], v[197:198], v[180:181], v[182:183]
	v_fma_f64 v[180:181], v[182:183], v[197:198], v[180:181]
	s_delay_alu instid0(VALU_DEP_1) | instskip(NEXT) | instid1(VALU_DEP_1)
	v_div_scale_f64 v[182:183], null, v[180:181], v[180:181], 1.0
	v_rcp_f64_e32 v[199:200], v[182:183]
	s_waitcnt_depctr 0xfff
	v_fma_f64 v[201:202], -v[182:183], v[199:200], 1.0
	s_delay_alu instid0(VALU_DEP_1) | instskip(NEXT) | instid1(VALU_DEP_1)
	v_fma_f64 v[199:200], v[199:200], v[201:202], v[199:200]
	v_fma_f64 v[201:202], -v[182:183], v[199:200], 1.0
	s_delay_alu instid0(VALU_DEP_1) | instskip(SKIP_1) | instid1(VALU_DEP_1)
	v_fma_f64 v[199:200], v[199:200], v[201:202], v[199:200]
	v_div_scale_f64 v[201:202], vcc_lo, 1.0, v[180:181], 1.0
	v_mul_f64 v[203:204], v[201:202], v[199:200]
	s_delay_alu instid0(VALU_DEP_1) | instskip(NEXT) | instid1(VALU_DEP_1)
	v_fma_f64 v[182:183], -v[182:183], v[203:204], v[201:202]
	v_div_fmas_f64 v[182:183], v[182:183], v[199:200], v[203:204]
	s_delay_alu instid0(VALU_DEP_1) | instskip(NEXT) | instid1(VALU_DEP_1)
	v_div_fixup_f64 v[180:181], v[182:183], v[180:181], 1.0
	v_mul_f64 v[182:183], v[197:198], -v[180:181]
.LBB88_702:
	s_or_b32 exec_lo, exec_lo, s2
.LBB88_703:
	s_delay_alu instid0(SALU_CYCLE_1) | instskip(NEXT) | instid1(SALU_CYCLE_1)
	s_or_b32 exec_lo, exec_lo, s3
	s_mov_b32 s2, exec_lo
	v_cmpx_ne_u32_e64 v196, v188
	s_xor_b32 s2, exec_lo, s2
	s_cbranch_execz .LBB88_709
; %bb.704:
	s_mov_b32 s3, exec_lo
	v_cmpx_eq_u32_e32 33, v196
	s_cbranch_execz .LBB88_708
; %bb.705:
	v_cmp_ne_u32_e32 vcc_lo, 33, v188
	s_xor_b32 s6, s4, -1
	s_delay_alu instid0(SALU_CYCLE_1) | instskip(NEXT) | instid1(SALU_CYCLE_1)
	s_and_b32 s7, s6, vcc_lo
	s_and_saveexec_b32 s6, s7
	s_cbranch_execz .LBB88_707
; %bb.706:
	v_ashrrev_i32_e32 v189, 31, v188
	s_delay_alu instid0(VALU_DEP_1) | instskip(NEXT) | instid1(VALU_DEP_1)
	v_lshlrev_b64 v[196:197], 2, v[188:189]
	v_add_co_u32 v196, vcc_lo, v186, v196
	s_delay_alu instid0(VALU_DEP_2)
	v_add_co_ci_u32_e32 v197, vcc_lo, v187, v197, vcc_lo
	s_clause 0x1
	flat_load_b32 v189, v[196:197]
	flat_load_b32 v194, v[186:187] offset:132
	s_waitcnt vmcnt(1) lgkmcnt(1)
	flat_store_b32 v[186:187], v189 offset:132
	s_waitcnt vmcnt(0) lgkmcnt(1)
	flat_store_b32 v[196:197], v194
.LBB88_707:
	s_or_b32 exec_lo, exec_lo, s6
	v_mov_b32_e32 v196, v188
	v_mov_b32_e32 v194, v188
.LBB88_708:
	s_or_b32 exec_lo, exec_lo, s3
.LBB88_709:
	s_and_not1_saveexec_b32 s2, s2
	s_cbranch_execz .LBB88_711
; %bb.710:
	v_mov_b32_e32 v196, 33
	ds_store_2addr_b64 v190, v[40:41], v[42:43] offset0:68 offset1:69
	ds_store_2addr_b64 v190, v[36:37], v[38:39] offset0:70 offset1:71
	;; [unrolled: 1-line block ×11, first 2 shown]
.LBB88_711:
	s_or_b32 exec_lo, exec_lo, s2
	s_delay_alu instid0(SALU_CYCLE_1)
	s_mov_b32 s2, exec_lo
	s_waitcnt lgkmcnt(0)
	s_waitcnt_vscnt null, 0x0
	s_barrier
	buffer_gl0_inv
	v_cmpx_lt_i32_e32 33, v196
	s_cbranch_execz .LBB88_713
; %bb.712:
	v_mul_f64 v[188:189], v[180:181], v[46:47]
	v_mul_f64 v[46:47], v[182:183], v[46:47]
	s_delay_alu instid0(VALU_DEP_2) | instskip(NEXT) | instid1(VALU_DEP_2)
	v_fma_f64 v[188:189], v[182:183], v[44:45], v[188:189]
	v_fma_f64 v[44:45], v[180:181], v[44:45], -v[46:47]
	ds_load_2addr_b64 v[180:183], v190 offset0:68 offset1:69
	s_waitcnt lgkmcnt(0)
	v_mul_f64 v[46:47], v[182:183], v[188:189]
	s_delay_alu instid0(VALU_DEP_1) | instskip(SKIP_1) | instid1(VALU_DEP_2)
	v_fma_f64 v[46:47], v[180:181], v[44:45], -v[46:47]
	v_mul_f64 v[180:181], v[180:181], v[188:189]
	v_add_f64 v[40:41], v[40:41], -v[46:47]
	s_delay_alu instid0(VALU_DEP_2) | instskip(NEXT) | instid1(VALU_DEP_1)
	v_fma_f64 v[180:181], v[182:183], v[44:45], v[180:181]
	v_add_f64 v[42:43], v[42:43], -v[180:181]
	ds_load_2addr_b64 v[180:183], v190 offset0:70 offset1:71
	s_waitcnt lgkmcnt(0)
	v_mul_f64 v[46:47], v[182:183], v[188:189]
	s_delay_alu instid0(VALU_DEP_1) | instskip(SKIP_1) | instid1(VALU_DEP_2)
	v_fma_f64 v[46:47], v[180:181], v[44:45], -v[46:47]
	v_mul_f64 v[180:181], v[180:181], v[188:189]
	v_add_f64 v[36:37], v[36:37], -v[46:47]
	s_delay_alu instid0(VALU_DEP_2) | instskip(NEXT) | instid1(VALU_DEP_1)
	v_fma_f64 v[180:181], v[182:183], v[44:45], v[180:181]
	v_add_f64 v[38:39], v[38:39], -v[180:181]
	;; [unrolled: 10-line block ×10, first 2 shown]
	ds_load_2addr_b64 v[180:183], v190 offset0:88 offset1:89
	s_waitcnt lgkmcnt(0)
	v_mul_f64 v[46:47], v[182:183], v[188:189]
	s_delay_alu instid0(VALU_DEP_1) | instskip(SKIP_1) | instid1(VALU_DEP_2)
	v_fma_f64 v[46:47], v[180:181], v[44:45], -v[46:47]
	v_mul_f64 v[180:181], v[180:181], v[188:189]
	v_add_f64 v[0:1], v[0:1], -v[46:47]
	s_delay_alu instid0(VALU_DEP_2) | instskip(SKIP_1) | instid1(VALU_DEP_2)
	v_fma_f64 v[180:181], v[182:183], v[44:45], v[180:181]
	v_dual_mov_b32 v46, v188 :: v_dual_mov_b32 v47, v189
	v_add_f64 v[2:3], v[2:3], -v[180:181]
.LBB88_713:
	s_or_b32 exec_lo, exec_lo, s2
	v_lshl_add_u32 v180, v196, 4, v190
	s_barrier
	buffer_gl0_inv
	v_mov_b32_e32 v188, 34
	ds_store_2addr_b64 v180, v[40:41], v[42:43] offset1:1
	s_waitcnt lgkmcnt(0)
	s_barrier
	buffer_gl0_inv
	ds_load_2addr_b64 v[180:183], v190 offset0:68 offset1:69
	s_cmp_lt_i32 s5, 36
	s_cbranch_scc1 .LBB88_716
; %bb.714:
	v_add3_u32 v189, v195, 0, 0x230
	v_mov_b32_e32 v188, 34
	s_mov_b32 s6, 35
	s_set_inst_prefetch_distance 0x1
	.p2align	6
.LBB88_715:                             ; =>This Inner Loop Header: Depth=1
	ds_load_2addr_b64 v[197:200], v189 offset1:1
	s_waitcnt lgkmcnt(1)
	v_cmp_gt_f64_e32 vcc_lo, 0, v[180:181]
	v_xor_b32_e32 v201, 0x80000000, v181
	v_cmp_gt_f64_e64 s2, 0, v[182:183]
	v_xor_b32_e32 v203, 0x80000000, v183
	v_add_nc_u32_e32 v189, 16, v189
	s_waitcnt lgkmcnt(0)
	v_cmp_gt_f64_e64 s3, 0, v[197:198]
	v_mov_b32_e32 v205, v197
	v_dual_mov_b32 v207, v199 :: v_dual_cndmask_b32 v202, v181, v201
	v_xor_b32_e32 v201, 0x80000000, v198
	v_cndmask_b32_e64 v204, v183, v203, s2
	v_xor_b32_e32 v203, 0x80000000, v200
	s_delay_alu instid0(VALU_DEP_3) | instskip(SKIP_2) | instid1(VALU_DEP_2)
	v_cndmask_b32_e64 v206, v198, v201, s3
	v_cmp_gt_f64_e64 s3, 0, v[199:200]
	v_cndmask_b32_e32 v201, v180, v180, vcc_lo
	v_cndmask_b32_e64 v208, v200, v203, s3
	v_cndmask_b32_e64 v203, v182, v182, s2
	s_delay_alu instid0(VALU_DEP_2) | instskip(NEXT) | instid1(VALU_DEP_2)
	v_add_f64 v[205:206], v[205:206], v[207:208]
	v_add_f64 v[201:202], v[201:202], v[203:204]
	s_delay_alu instid0(VALU_DEP_1) | instskip(SKIP_4) | instid1(SALU_CYCLE_1)
	v_cmp_lt_f64_e32 vcc_lo, v[201:202], v[205:206]
	v_dual_cndmask_b32 v182, v182, v199 :: v_dual_cndmask_b32 v181, v181, v198
	v_dual_cndmask_b32 v180, v180, v197 :: v_dual_cndmask_b32 v183, v183, v200
	v_cndmask_b32_e64 v188, v188, s6, vcc_lo
	s_add_i32 s6, s6, 1
	s_cmp_lg_u32 s5, s6
	s_cbranch_scc1 .LBB88_715
.LBB88_716:
	s_set_inst_prefetch_distance 0x2
	s_waitcnt lgkmcnt(0)
	v_cmp_eq_f64_e32 vcc_lo, 0, v[180:181]
	v_cmp_eq_f64_e64 s2, 0, v[182:183]
	s_delay_alu instid0(VALU_DEP_1) | instskip(NEXT) | instid1(SALU_CYCLE_1)
	s_and_b32 s2, vcc_lo, s2
	s_and_saveexec_b32 s3, s2
	s_delay_alu instid0(SALU_CYCLE_1)
	s_xor_b32 s2, exec_lo, s3
; %bb.717:
	v_cmp_ne_u32_e32 vcc_lo, 0, v193
	v_cndmask_b32_e32 v193, 35, v193, vcc_lo
; %bb.718:
	s_and_not1_saveexec_b32 s3, s2
	s_cbranch_execz .LBB88_724
; %bb.719:
	v_cmp_gt_f64_e32 vcc_lo, 0, v[180:181]
	v_cmp_gt_f64_e64 s2, 0, v[182:183]
	v_xor_b32_e32 v189, 0x80000000, v181
	v_xor_b32_e32 v197, 0x80000000, v183
	s_delay_alu instid0(VALU_DEP_2) | instskip(NEXT) | instid1(VALU_DEP_2)
	v_cndmask_b32_e32 v198, v181, v189, vcc_lo
	v_cndmask_b32_e64 v200, v183, v197, s2
	v_cndmask_b32_e32 v197, v180, v180, vcc_lo
	v_cndmask_b32_e64 v199, v182, v182, s2
	s_mov_b32 s2, exec_lo
	s_delay_alu instid0(VALU_DEP_1)
	v_cmpx_ngt_f64_e32 v[197:198], v[199:200]
	s_xor_b32 s2, exec_lo, s2
	s_cbranch_execz .LBB88_721
; %bb.720:
	v_div_scale_f64 v[197:198], null, v[182:183], v[182:183], v[180:181]
	v_div_scale_f64 v[203:204], vcc_lo, v[180:181], v[182:183], v[180:181]
	s_delay_alu instid0(VALU_DEP_2) | instskip(SKIP_2) | instid1(VALU_DEP_1)
	v_rcp_f64_e32 v[199:200], v[197:198]
	s_waitcnt_depctr 0xfff
	v_fma_f64 v[201:202], -v[197:198], v[199:200], 1.0
	v_fma_f64 v[199:200], v[199:200], v[201:202], v[199:200]
	s_delay_alu instid0(VALU_DEP_1) | instskip(NEXT) | instid1(VALU_DEP_1)
	v_fma_f64 v[201:202], -v[197:198], v[199:200], 1.0
	v_fma_f64 v[199:200], v[199:200], v[201:202], v[199:200]
	s_delay_alu instid0(VALU_DEP_1) | instskip(NEXT) | instid1(VALU_DEP_1)
	v_mul_f64 v[201:202], v[203:204], v[199:200]
	v_fma_f64 v[197:198], -v[197:198], v[201:202], v[203:204]
	s_delay_alu instid0(VALU_DEP_1) | instskip(NEXT) | instid1(VALU_DEP_1)
	v_div_fmas_f64 v[197:198], v[197:198], v[199:200], v[201:202]
	v_div_fixup_f64 v[197:198], v[197:198], v[182:183], v[180:181]
	s_delay_alu instid0(VALU_DEP_1) | instskip(NEXT) | instid1(VALU_DEP_1)
	v_fma_f64 v[180:181], v[180:181], v[197:198], v[182:183]
	v_div_scale_f64 v[182:183], null, v[180:181], v[180:181], 1.0
	s_delay_alu instid0(VALU_DEP_1) | instskip(SKIP_2) | instid1(VALU_DEP_1)
	v_rcp_f64_e32 v[199:200], v[182:183]
	s_waitcnt_depctr 0xfff
	v_fma_f64 v[201:202], -v[182:183], v[199:200], 1.0
	v_fma_f64 v[199:200], v[199:200], v[201:202], v[199:200]
	s_delay_alu instid0(VALU_DEP_1) | instskip(NEXT) | instid1(VALU_DEP_1)
	v_fma_f64 v[201:202], -v[182:183], v[199:200], 1.0
	v_fma_f64 v[199:200], v[199:200], v[201:202], v[199:200]
	v_div_scale_f64 v[201:202], vcc_lo, 1.0, v[180:181], 1.0
	s_delay_alu instid0(VALU_DEP_1) | instskip(NEXT) | instid1(VALU_DEP_1)
	v_mul_f64 v[203:204], v[201:202], v[199:200]
	v_fma_f64 v[182:183], -v[182:183], v[203:204], v[201:202]
	s_delay_alu instid0(VALU_DEP_1) | instskip(NEXT) | instid1(VALU_DEP_1)
	v_div_fmas_f64 v[182:183], v[182:183], v[199:200], v[203:204]
	v_div_fixup_f64 v[182:183], v[182:183], v[180:181], 1.0
	s_delay_alu instid0(VALU_DEP_1)
	v_mul_f64 v[180:181], v[197:198], v[182:183]
	v_xor_b32_e32 v183, 0x80000000, v183
.LBB88_721:
	s_and_not1_saveexec_b32 s2, s2
	s_cbranch_execz .LBB88_723
; %bb.722:
	s_delay_alu instid0(VALU_DEP_1) | instskip(SKIP_1) | instid1(VALU_DEP_2)
	v_div_scale_f64 v[197:198], null, v[180:181], v[180:181], v[182:183]
	v_div_scale_f64 v[203:204], vcc_lo, v[182:183], v[180:181], v[182:183]
	v_rcp_f64_e32 v[199:200], v[197:198]
	s_waitcnt_depctr 0xfff
	v_fma_f64 v[201:202], -v[197:198], v[199:200], 1.0
	s_delay_alu instid0(VALU_DEP_1) | instskip(NEXT) | instid1(VALU_DEP_1)
	v_fma_f64 v[199:200], v[199:200], v[201:202], v[199:200]
	v_fma_f64 v[201:202], -v[197:198], v[199:200], 1.0
	s_delay_alu instid0(VALU_DEP_1) | instskip(NEXT) | instid1(VALU_DEP_1)
	v_fma_f64 v[199:200], v[199:200], v[201:202], v[199:200]
	v_mul_f64 v[201:202], v[203:204], v[199:200]
	s_delay_alu instid0(VALU_DEP_1) | instskip(NEXT) | instid1(VALU_DEP_1)
	v_fma_f64 v[197:198], -v[197:198], v[201:202], v[203:204]
	v_div_fmas_f64 v[197:198], v[197:198], v[199:200], v[201:202]
	s_delay_alu instid0(VALU_DEP_1) | instskip(NEXT) | instid1(VALU_DEP_1)
	v_div_fixup_f64 v[197:198], v[197:198], v[180:181], v[182:183]
	v_fma_f64 v[180:181], v[182:183], v[197:198], v[180:181]
	s_delay_alu instid0(VALU_DEP_1) | instskip(NEXT) | instid1(VALU_DEP_1)
	v_div_scale_f64 v[182:183], null, v[180:181], v[180:181], 1.0
	v_rcp_f64_e32 v[199:200], v[182:183]
	s_waitcnt_depctr 0xfff
	v_fma_f64 v[201:202], -v[182:183], v[199:200], 1.0
	s_delay_alu instid0(VALU_DEP_1) | instskip(NEXT) | instid1(VALU_DEP_1)
	v_fma_f64 v[199:200], v[199:200], v[201:202], v[199:200]
	v_fma_f64 v[201:202], -v[182:183], v[199:200], 1.0
	s_delay_alu instid0(VALU_DEP_1) | instskip(SKIP_1) | instid1(VALU_DEP_1)
	v_fma_f64 v[199:200], v[199:200], v[201:202], v[199:200]
	v_div_scale_f64 v[201:202], vcc_lo, 1.0, v[180:181], 1.0
	v_mul_f64 v[203:204], v[201:202], v[199:200]
	s_delay_alu instid0(VALU_DEP_1) | instskip(NEXT) | instid1(VALU_DEP_1)
	v_fma_f64 v[182:183], -v[182:183], v[203:204], v[201:202]
	v_div_fmas_f64 v[182:183], v[182:183], v[199:200], v[203:204]
	s_delay_alu instid0(VALU_DEP_1) | instskip(NEXT) | instid1(VALU_DEP_1)
	v_div_fixup_f64 v[180:181], v[182:183], v[180:181], 1.0
	v_mul_f64 v[182:183], v[197:198], -v[180:181]
.LBB88_723:
	s_or_b32 exec_lo, exec_lo, s2
.LBB88_724:
	s_delay_alu instid0(SALU_CYCLE_1) | instskip(NEXT) | instid1(SALU_CYCLE_1)
	s_or_b32 exec_lo, exec_lo, s3
	s_mov_b32 s2, exec_lo
	v_cmpx_ne_u32_e64 v196, v188
	s_xor_b32 s2, exec_lo, s2
	s_cbranch_execz .LBB88_730
; %bb.725:
	s_mov_b32 s3, exec_lo
	v_cmpx_eq_u32_e32 34, v196
	s_cbranch_execz .LBB88_729
; %bb.726:
	v_cmp_ne_u32_e32 vcc_lo, 34, v188
	s_xor_b32 s6, s4, -1
	s_delay_alu instid0(SALU_CYCLE_1) | instskip(NEXT) | instid1(SALU_CYCLE_1)
	s_and_b32 s7, s6, vcc_lo
	s_and_saveexec_b32 s6, s7
	s_cbranch_execz .LBB88_728
; %bb.727:
	v_ashrrev_i32_e32 v189, 31, v188
	s_delay_alu instid0(VALU_DEP_1) | instskip(NEXT) | instid1(VALU_DEP_1)
	v_lshlrev_b64 v[196:197], 2, v[188:189]
	v_add_co_u32 v196, vcc_lo, v186, v196
	s_delay_alu instid0(VALU_DEP_2)
	v_add_co_ci_u32_e32 v197, vcc_lo, v187, v197, vcc_lo
	s_clause 0x1
	flat_load_b32 v189, v[196:197]
	flat_load_b32 v194, v[186:187] offset:136
	s_waitcnt vmcnt(1) lgkmcnt(1)
	flat_store_b32 v[186:187], v189 offset:136
	s_waitcnt vmcnt(0) lgkmcnt(1)
	flat_store_b32 v[196:197], v194
.LBB88_728:
	s_or_b32 exec_lo, exec_lo, s6
	v_mov_b32_e32 v196, v188
	v_mov_b32_e32 v194, v188
.LBB88_729:
	s_or_b32 exec_lo, exec_lo, s3
.LBB88_730:
	s_and_not1_saveexec_b32 s2, s2
	s_cbranch_execz .LBB88_732
; %bb.731:
	v_mov_b32_e32 v196, 34
	ds_store_2addr_b64 v190, v[36:37], v[38:39] offset0:70 offset1:71
	ds_store_2addr_b64 v190, v[32:33], v[34:35] offset0:72 offset1:73
	;; [unrolled: 1-line block ×10, first 2 shown]
.LBB88_732:
	s_or_b32 exec_lo, exec_lo, s2
	s_delay_alu instid0(SALU_CYCLE_1)
	s_mov_b32 s2, exec_lo
	s_waitcnt lgkmcnt(0)
	s_waitcnt_vscnt null, 0x0
	s_barrier
	buffer_gl0_inv
	v_cmpx_lt_i32_e32 34, v196
	s_cbranch_execz .LBB88_734
; %bb.733:
	v_mul_f64 v[188:189], v[180:181], v[42:43]
	v_mul_f64 v[42:43], v[182:183], v[42:43]
	s_delay_alu instid0(VALU_DEP_2) | instskip(NEXT) | instid1(VALU_DEP_2)
	v_fma_f64 v[188:189], v[182:183], v[40:41], v[188:189]
	v_fma_f64 v[40:41], v[180:181], v[40:41], -v[42:43]
	ds_load_2addr_b64 v[180:183], v190 offset0:70 offset1:71
	s_waitcnt lgkmcnt(0)
	v_mul_f64 v[42:43], v[182:183], v[188:189]
	s_delay_alu instid0(VALU_DEP_1) | instskip(SKIP_1) | instid1(VALU_DEP_2)
	v_fma_f64 v[42:43], v[180:181], v[40:41], -v[42:43]
	v_mul_f64 v[180:181], v[180:181], v[188:189]
	v_add_f64 v[36:37], v[36:37], -v[42:43]
	s_delay_alu instid0(VALU_DEP_2) | instskip(NEXT) | instid1(VALU_DEP_1)
	v_fma_f64 v[180:181], v[182:183], v[40:41], v[180:181]
	v_add_f64 v[38:39], v[38:39], -v[180:181]
	ds_load_2addr_b64 v[180:183], v190 offset0:72 offset1:73
	s_waitcnt lgkmcnt(0)
	v_mul_f64 v[42:43], v[182:183], v[188:189]
	s_delay_alu instid0(VALU_DEP_1) | instskip(SKIP_1) | instid1(VALU_DEP_2)
	v_fma_f64 v[42:43], v[180:181], v[40:41], -v[42:43]
	v_mul_f64 v[180:181], v[180:181], v[188:189]
	v_add_f64 v[32:33], v[32:33], -v[42:43]
	s_delay_alu instid0(VALU_DEP_2) | instskip(NEXT) | instid1(VALU_DEP_1)
	v_fma_f64 v[180:181], v[182:183], v[40:41], v[180:181]
	v_add_f64 v[34:35], v[34:35], -v[180:181]
	;; [unrolled: 10-line block ×9, first 2 shown]
	ds_load_2addr_b64 v[180:183], v190 offset0:88 offset1:89
	s_waitcnt lgkmcnt(0)
	v_mul_f64 v[42:43], v[182:183], v[188:189]
	s_delay_alu instid0(VALU_DEP_1) | instskip(SKIP_1) | instid1(VALU_DEP_2)
	v_fma_f64 v[42:43], v[180:181], v[40:41], -v[42:43]
	v_mul_f64 v[180:181], v[180:181], v[188:189]
	v_add_f64 v[0:1], v[0:1], -v[42:43]
	s_delay_alu instid0(VALU_DEP_2) | instskip(SKIP_1) | instid1(VALU_DEP_2)
	v_fma_f64 v[180:181], v[182:183], v[40:41], v[180:181]
	v_dual_mov_b32 v42, v188 :: v_dual_mov_b32 v43, v189
	v_add_f64 v[2:3], v[2:3], -v[180:181]
.LBB88_734:
	s_or_b32 exec_lo, exec_lo, s2
	v_lshl_add_u32 v180, v196, 4, v190
	s_barrier
	buffer_gl0_inv
	v_mov_b32_e32 v188, 35
	ds_store_2addr_b64 v180, v[36:37], v[38:39] offset1:1
	s_waitcnt lgkmcnt(0)
	s_barrier
	buffer_gl0_inv
	ds_load_2addr_b64 v[180:183], v190 offset0:70 offset1:71
	s_cmp_lt_i32 s5, 37
	s_cbranch_scc1 .LBB88_737
; %bb.735:
	v_add3_u32 v189, v195, 0, 0x240
	v_mov_b32_e32 v188, 35
	s_mov_b32 s6, 36
	s_set_inst_prefetch_distance 0x1
	.p2align	6
.LBB88_736:                             ; =>This Inner Loop Header: Depth=1
	ds_load_2addr_b64 v[197:200], v189 offset1:1
	s_waitcnt lgkmcnt(1)
	v_cmp_gt_f64_e32 vcc_lo, 0, v[180:181]
	v_xor_b32_e32 v201, 0x80000000, v181
	v_cmp_gt_f64_e64 s2, 0, v[182:183]
	v_xor_b32_e32 v203, 0x80000000, v183
	v_add_nc_u32_e32 v189, 16, v189
	s_waitcnt lgkmcnt(0)
	v_cmp_gt_f64_e64 s3, 0, v[197:198]
	v_mov_b32_e32 v205, v197
	v_dual_mov_b32 v207, v199 :: v_dual_cndmask_b32 v202, v181, v201
	v_xor_b32_e32 v201, 0x80000000, v198
	v_cndmask_b32_e64 v204, v183, v203, s2
	v_xor_b32_e32 v203, 0x80000000, v200
	s_delay_alu instid0(VALU_DEP_3) | instskip(SKIP_2) | instid1(VALU_DEP_2)
	v_cndmask_b32_e64 v206, v198, v201, s3
	v_cmp_gt_f64_e64 s3, 0, v[199:200]
	v_cndmask_b32_e32 v201, v180, v180, vcc_lo
	v_cndmask_b32_e64 v208, v200, v203, s3
	v_cndmask_b32_e64 v203, v182, v182, s2
	s_delay_alu instid0(VALU_DEP_2) | instskip(NEXT) | instid1(VALU_DEP_2)
	v_add_f64 v[205:206], v[205:206], v[207:208]
	v_add_f64 v[201:202], v[201:202], v[203:204]
	s_delay_alu instid0(VALU_DEP_1) | instskip(SKIP_4) | instid1(SALU_CYCLE_1)
	v_cmp_lt_f64_e32 vcc_lo, v[201:202], v[205:206]
	v_dual_cndmask_b32 v182, v182, v199 :: v_dual_cndmask_b32 v181, v181, v198
	v_dual_cndmask_b32 v180, v180, v197 :: v_dual_cndmask_b32 v183, v183, v200
	v_cndmask_b32_e64 v188, v188, s6, vcc_lo
	s_add_i32 s6, s6, 1
	s_cmp_lg_u32 s5, s6
	s_cbranch_scc1 .LBB88_736
.LBB88_737:
	s_set_inst_prefetch_distance 0x2
	s_waitcnt lgkmcnt(0)
	v_cmp_eq_f64_e32 vcc_lo, 0, v[180:181]
	v_cmp_eq_f64_e64 s2, 0, v[182:183]
	s_delay_alu instid0(VALU_DEP_1) | instskip(NEXT) | instid1(SALU_CYCLE_1)
	s_and_b32 s2, vcc_lo, s2
	s_and_saveexec_b32 s3, s2
	s_delay_alu instid0(SALU_CYCLE_1)
	s_xor_b32 s2, exec_lo, s3
; %bb.738:
	v_cmp_ne_u32_e32 vcc_lo, 0, v193
	v_cndmask_b32_e32 v193, 36, v193, vcc_lo
; %bb.739:
	s_and_not1_saveexec_b32 s3, s2
	s_cbranch_execz .LBB88_745
; %bb.740:
	v_cmp_gt_f64_e32 vcc_lo, 0, v[180:181]
	v_cmp_gt_f64_e64 s2, 0, v[182:183]
	v_xor_b32_e32 v189, 0x80000000, v181
	v_xor_b32_e32 v197, 0x80000000, v183
	s_delay_alu instid0(VALU_DEP_2) | instskip(NEXT) | instid1(VALU_DEP_2)
	v_cndmask_b32_e32 v198, v181, v189, vcc_lo
	v_cndmask_b32_e64 v200, v183, v197, s2
	v_cndmask_b32_e32 v197, v180, v180, vcc_lo
	v_cndmask_b32_e64 v199, v182, v182, s2
	s_mov_b32 s2, exec_lo
	s_delay_alu instid0(VALU_DEP_1)
	v_cmpx_ngt_f64_e32 v[197:198], v[199:200]
	s_xor_b32 s2, exec_lo, s2
	s_cbranch_execz .LBB88_742
; %bb.741:
	v_div_scale_f64 v[197:198], null, v[182:183], v[182:183], v[180:181]
	v_div_scale_f64 v[203:204], vcc_lo, v[180:181], v[182:183], v[180:181]
	s_delay_alu instid0(VALU_DEP_2) | instskip(SKIP_2) | instid1(VALU_DEP_1)
	v_rcp_f64_e32 v[199:200], v[197:198]
	s_waitcnt_depctr 0xfff
	v_fma_f64 v[201:202], -v[197:198], v[199:200], 1.0
	v_fma_f64 v[199:200], v[199:200], v[201:202], v[199:200]
	s_delay_alu instid0(VALU_DEP_1) | instskip(NEXT) | instid1(VALU_DEP_1)
	v_fma_f64 v[201:202], -v[197:198], v[199:200], 1.0
	v_fma_f64 v[199:200], v[199:200], v[201:202], v[199:200]
	s_delay_alu instid0(VALU_DEP_1) | instskip(NEXT) | instid1(VALU_DEP_1)
	v_mul_f64 v[201:202], v[203:204], v[199:200]
	v_fma_f64 v[197:198], -v[197:198], v[201:202], v[203:204]
	s_delay_alu instid0(VALU_DEP_1) | instskip(NEXT) | instid1(VALU_DEP_1)
	v_div_fmas_f64 v[197:198], v[197:198], v[199:200], v[201:202]
	v_div_fixup_f64 v[197:198], v[197:198], v[182:183], v[180:181]
	s_delay_alu instid0(VALU_DEP_1) | instskip(NEXT) | instid1(VALU_DEP_1)
	v_fma_f64 v[180:181], v[180:181], v[197:198], v[182:183]
	v_div_scale_f64 v[182:183], null, v[180:181], v[180:181], 1.0
	s_delay_alu instid0(VALU_DEP_1) | instskip(SKIP_2) | instid1(VALU_DEP_1)
	v_rcp_f64_e32 v[199:200], v[182:183]
	s_waitcnt_depctr 0xfff
	v_fma_f64 v[201:202], -v[182:183], v[199:200], 1.0
	v_fma_f64 v[199:200], v[199:200], v[201:202], v[199:200]
	s_delay_alu instid0(VALU_DEP_1) | instskip(NEXT) | instid1(VALU_DEP_1)
	v_fma_f64 v[201:202], -v[182:183], v[199:200], 1.0
	v_fma_f64 v[199:200], v[199:200], v[201:202], v[199:200]
	v_div_scale_f64 v[201:202], vcc_lo, 1.0, v[180:181], 1.0
	s_delay_alu instid0(VALU_DEP_1) | instskip(NEXT) | instid1(VALU_DEP_1)
	v_mul_f64 v[203:204], v[201:202], v[199:200]
	v_fma_f64 v[182:183], -v[182:183], v[203:204], v[201:202]
	s_delay_alu instid0(VALU_DEP_1) | instskip(NEXT) | instid1(VALU_DEP_1)
	v_div_fmas_f64 v[182:183], v[182:183], v[199:200], v[203:204]
	v_div_fixup_f64 v[182:183], v[182:183], v[180:181], 1.0
	s_delay_alu instid0(VALU_DEP_1)
	v_mul_f64 v[180:181], v[197:198], v[182:183]
	v_xor_b32_e32 v183, 0x80000000, v183
.LBB88_742:
	s_and_not1_saveexec_b32 s2, s2
	s_cbranch_execz .LBB88_744
; %bb.743:
	s_delay_alu instid0(VALU_DEP_1) | instskip(SKIP_1) | instid1(VALU_DEP_2)
	v_div_scale_f64 v[197:198], null, v[180:181], v[180:181], v[182:183]
	v_div_scale_f64 v[203:204], vcc_lo, v[182:183], v[180:181], v[182:183]
	v_rcp_f64_e32 v[199:200], v[197:198]
	s_waitcnt_depctr 0xfff
	v_fma_f64 v[201:202], -v[197:198], v[199:200], 1.0
	s_delay_alu instid0(VALU_DEP_1) | instskip(NEXT) | instid1(VALU_DEP_1)
	v_fma_f64 v[199:200], v[199:200], v[201:202], v[199:200]
	v_fma_f64 v[201:202], -v[197:198], v[199:200], 1.0
	s_delay_alu instid0(VALU_DEP_1) | instskip(NEXT) | instid1(VALU_DEP_1)
	v_fma_f64 v[199:200], v[199:200], v[201:202], v[199:200]
	v_mul_f64 v[201:202], v[203:204], v[199:200]
	s_delay_alu instid0(VALU_DEP_1) | instskip(NEXT) | instid1(VALU_DEP_1)
	v_fma_f64 v[197:198], -v[197:198], v[201:202], v[203:204]
	v_div_fmas_f64 v[197:198], v[197:198], v[199:200], v[201:202]
	s_delay_alu instid0(VALU_DEP_1) | instskip(NEXT) | instid1(VALU_DEP_1)
	v_div_fixup_f64 v[197:198], v[197:198], v[180:181], v[182:183]
	v_fma_f64 v[180:181], v[182:183], v[197:198], v[180:181]
	s_delay_alu instid0(VALU_DEP_1) | instskip(NEXT) | instid1(VALU_DEP_1)
	v_div_scale_f64 v[182:183], null, v[180:181], v[180:181], 1.0
	v_rcp_f64_e32 v[199:200], v[182:183]
	s_waitcnt_depctr 0xfff
	v_fma_f64 v[201:202], -v[182:183], v[199:200], 1.0
	s_delay_alu instid0(VALU_DEP_1) | instskip(NEXT) | instid1(VALU_DEP_1)
	v_fma_f64 v[199:200], v[199:200], v[201:202], v[199:200]
	v_fma_f64 v[201:202], -v[182:183], v[199:200], 1.0
	s_delay_alu instid0(VALU_DEP_1) | instskip(SKIP_1) | instid1(VALU_DEP_1)
	v_fma_f64 v[199:200], v[199:200], v[201:202], v[199:200]
	v_div_scale_f64 v[201:202], vcc_lo, 1.0, v[180:181], 1.0
	v_mul_f64 v[203:204], v[201:202], v[199:200]
	s_delay_alu instid0(VALU_DEP_1) | instskip(NEXT) | instid1(VALU_DEP_1)
	v_fma_f64 v[182:183], -v[182:183], v[203:204], v[201:202]
	v_div_fmas_f64 v[182:183], v[182:183], v[199:200], v[203:204]
	s_delay_alu instid0(VALU_DEP_1) | instskip(NEXT) | instid1(VALU_DEP_1)
	v_div_fixup_f64 v[180:181], v[182:183], v[180:181], 1.0
	v_mul_f64 v[182:183], v[197:198], -v[180:181]
.LBB88_744:
	s_or_b32 exec_lo, exec_lo, s2
.LBB88_745:
	s_delay_alu instid0(SALU_CYCLE_1) | instskip(NEXT) | instid1(SALU_CYCLE_1)
	s_or_b32 exec_lo, exec_lo, s3
	s_mov_b32 s2, exec_lo
	v_cmpx_ne_u32_e64 v196, v188
	s_xor_b32 s2, exec_lo, s2
	s_cbranch_execz .LBB88_751
; %bb.746:
	s_mov_b32 s3, exec_lo
	v_cmpx_eq_u32_e32 35, v196
	s_cbranch_execz .LBB88_750
; %bb.747:
	v_cmp_ne_u32_e32 vcc_lo, 35, v188
	s_xor_b32 s6, s4, -1
	s_delay_alu instid0(SALU_CYCLE_1) | instskip(NEXT) | instid1(SALU_CYCLE_1)
	s_and_b32 s7, s6, vcc_lo
	s_and_saveexec_b32 s6, s7
	s_cbranch_execz .LBB88_749
; %bb.748:
	v_ashrrev_i32_e32 v189, 31, v188
	s_delay_alu instid0(VALU_DEP_1) | instskip(NEXT) | instid1(VALU_DEP_1)
	v_lshlrev_b64 v[196:197], 2, v[188:189]
	v_add_co_u32 v196, vcc_lo, v186, v196
	s_delay_alu instid0(VALU_DEP_2)
	v_add_co_ci_u32_e32 v197, vcc_lo, v187, v197, vcc_lo
	s_clause 0x1
	flat_load_b32 v189, v[196:197]
	flat_load_b32 v194, v[186:187] offset:140
	s_waitcnt vmcnt(1) lgkmcnt(1)
	flat_store_b32 v[186:187], v189 offset:140
	s_waitcnt vmcnt(0) lgkmcnt(1)
	flat_store_b32 v[196:197], v194
.LBB88_749:
	s_or_b32 exec_lo, exec_lo, s6
	v_mov_b32_e32 v196, v188
	v_mov_b32_e32 v194, v188
.LBB88_750:
	s_or_b32 exec_lo, exec_lo, s3
.LBB88_751:
	s_and_not1_saveexec_b32 s2, s2
	s_cbranch_execz .LBB88_753
; %bb.752:
	v_mov_b32_e32 v196, 35
	ds_store_2addr_b64 v190, v[32:33], v[34:35] offset0:72 offset1:73
	ds_store_2addr_b64 v190, v[28:29], v[30:31] offset0:74 offset1:75
	;; [unrolled: 1-line block ×9, first 2 shown]
.LBB88_753:
	s_or_b32 exec_lo, exec_lo, s2
	s_delay_alu instid0(SALU_CYCLE_1)
	s_mov_b32 s2, exec_lo
	s_waitcnt lgkmcnt(0)
	s_waitcnt_vscnt null, 0x0
	s_barrier
	buffer_gl0_inv
	v_cmpx_lt_i32_e32 35, v196
	s_cbranch_execz .LBB88_755
; %bb.754:
	v_mul_f64 v[188:189], v[180:181], v[38:39]
	v_mul_f64 v[38:39], v[182:183], v[38:39]
	s_delay_alu instid0(VALU_DEP_2) | instskip(NEXT) | instid1(VALU_DEP_2)
	v_fma_f64 v[188:189], v[182:183], v[36:37], v[188:189]
	v_fma_f64 v[36:37], v[180:181], v[36:37], -v[38:39]
	ds_load_2addr_b64 v[180:183], v190 offset0:72 offset1:73
	s_waitcnt lgkmcnt(0)
	v_mul_f64 v[38:39], v[182:183], v[188:189]
	s_delay_alu instid0(VALU_DEP_1) | instskip(SKIP_1) | instid1(VALU_DEP_2)
	v_fma_f64 v[38:39], v[180:181], v[36:37], -v[38:39]
	v_mul_f64 v[180:181], v[180:181], v[188:189]
	v_add_f64 v[32:33], v[32:33], -v[38:39]
	s_delay_alu instid0(VALU_DEP_2) | instskip(NEXT) | instid1(VALU_DEP_1)
	v_fma_f64 v[180:181], v[182:183], v[36:37], v[180:181]
	v_add_f64 v[34:35], v[34:35], -v[180:181]
	ds_load_2addr_b64 v[180:183], v190 offset0:74 offset1:75
	s_waitcnt lgkmcnt(0)
	v_mul_f64 v[38:39], v[182:183], v[188:189]
	s_delay_alu instid0(VALU_DEP_1) | instskip(SKIP_1) | instid1(VALU_DEP_2)
	v_fma_f64 v[38:39], v[180:181], v[36:37], -v[38:39]
	v_mul_f64 v[180:181], v[180:181], v[188:189]
	v_add_f64 v[28:29], v[28:29], -v[38:39]
	s_delay_alu instid0(VALU_DEP_2) | instskip(NEXT) | instid1(VALU_DEP_1)
	v_fma_f64 v[180:181], v[182:183], v[36:37], v[180:181]
	v_add_f64 v[30:31], v[30:31], -v[180:181]
	;; [unrolled: 10-line block ×8, first 2 shown]
	ds_load_2addr_b64 v[180:183], v190 offset0:88 offset1:89
	s_waitcnt lgkmcnt(0)
	v_mul_f64 v[38:39], v[182:183], v[188:189]
	s_delay_alu instid0(VALU_DEP_1) | instskip(SKIP_1) | instid1(VALU_DEP_2)
	v_fma_f64 v[38:39], v[180:181], v[36:37], -v[38:39]
	v_mul_f64 v[180:181], v[180:181], v[188:189]
	v_add_f64 v[0:1], v[0:1], -v[38:39]
	s_delay_alu instid0(VALU_DEP_2) | instskip(SKIP_1) | instid1(VALU_DEP_2)
	v_fma_f64 v[180:181], v[182:183], v[36:37], v[180:181]
	v_dual_mov_b32 v38, v188 :: v_dual_mov_b32 v39, v189
	v_add_f64 v[2:3], v[2:3], -v[180:181]
.LBB88_755:
	s_or_b32 exec_lo, exec_lo, s2
	v_lshl_add_u32 v180, v196, 4, v190
	s_barrier
	buffer_gl0_inv
	v_mov_b32_e32 v188, 36
	ds_store_2addr_b64 v180, v[32:33], v[34:35] offset1:1
	s_waitcnt lgkmcnt(0)
	s_barrier
	buffer_gl0_inv
	ds_load_2addr_b64 v[180:183], v190 offset0:72 offset1:73
	s_cmp_lt_i32 s5, 38
	s_cbranch_scc1 .LBB88_758
; %bb.756:
	v_add3_u32 v189, v195, 0, 0x250
	v_mov_b32_e32 v188, 36
	s_mov_b32 s6, 37
	s_set_inst_prefetch_distance 0x1
	.p2align	6
.LBB88_757:                             ; =>This Inner Loop Header: Depth=1
	ds_load_2addr_b64 v[197:200], v189 offset1:1
	s_waitcnt lgkmcnt(1)
	v_cmp_gt_f64_e32 vcc_lo, 0, v[180:181]
	v_xor_b32_e32 v201, 0x80000000, v181
	v_cmp_gt_f64_e64 s2, 0, v[182:183]
	v_xor_b32_e32 v203, 0x80000000, v183
	v_add_nc_u32_e32 v189, 16, v189
	s_waitcnt lgkmcnt(0)
	v_cmp_gt_f64_e64 s3, 0, v[197:198]
	v_mov_b32_e32 v205, v197
	v_dual_mov_b32 v207, v199 :: v_dual_cndmask_b32 v202, v181, v201
	v_xor_b32_e32 v201, 0x80000000, v198
	v_cndmask_b32_e64 v204, v183, v203, s2
	v_xor_b32_e32 v203, 0x80000000, v200
	s_delay_alu instid0(VALU_DEP_3) | instskip(SKIP_2) | instid1(VALU_DEP_2)
	v_cndmask_b32_e64 v206, v198, v201, s3
	v_cmp_gt_f64_e64 s3, 0, v[199:200]
	v_cndmask_b32_e32 v201, v180, v180, vcc_lo
	v_cndmask_b32_e64 v208, v200, v203, s3
	v_cndmask_b32_e64 v203, v182, v182, s2
	s_delay_alu instid0(VALU_DEP_2) | instskip(NEXT) | instid1(VALU_DEP_2)
	v_add_f64 v[205:206], v[205:206], v[207:208]
	v_add_f64 v[201:202], v[201:202], v[203:204]
	s_delay_alu instid0(VALU_DEP_1) | instskip(SKIP_4) | instid1(SALU_CYCLE_1)
	v_cmp_lt_f64_e32 vcc_lo, v[201:202], v[205:206]
	v_dual_cndmask_b32 v182, v182, v199 :: v_dual_cndmask_b32 v181, v181, v198
	v_dual_cndmask_b32 v180, v180, v197 :: v_dual_cndmask_b32 v183, v183, v200
	v_cndmask_b32_e64 v188, v188, s6, vcc_lo
	s_add_i32 s6, s6, 1
	s_cmp_lg_u32 s5, s6
	s_cbranch_scc1 .LBB88_757
.LBB88_758:
	s_set_inst_prefetch_distance 0x2
	s_waitcnt lgkmcnt(0)
	v_cmp_eq_f64_e32 vcc_lo, 0, v[180:181]
	v_cmp_eq_f64_e64 s2, 0, v[182:183]
	s_delay_alu instid0(VALU_DEP_1) | instskip(NEXT) | instid1(SALU_CYCLE_1)
	s_and_b32 s2, vcc_lo, s2
	s_and_saveexec_b32 s3, s2
	s_delay_alu instid0(SALU_CYCLE_1)
	s_xor_b32 s2, exec_lo, s3
; %bb.759:
	v_cmp_ne_u32_e32 vcc_lo, 0, v193
	v_cndmask_b32_e32 v193, 37, v193, vcc_lo
; %bb.760:
	s_and_not1_saveexec_b32 s3, s2
	s_cbranch_execz .LBB88_766
; %bb.761:
	v_cmp_gt_f64_e32 vcc_lo, 0, v[180:181]
	v_cmp_gt_f64_e64 s2, 0, v[182:183]
	v_xor_b32_e32 v189, 0x80000000, v181
	v_xor_b32_e32 v197, 0x80000000, v183
	s_delay_alu instid0(VALU_DEP_2) | instskip(NEXT) | instid1(VALU_DEP_2)
	v_cndmask_b32_e32 v198, v181, v189, vcc_lo
	v_cndmask_b32_e64 v200, v183, v197, s2
	v_cndmask_b32_e32 v197, v180, v180, vcc_lo
	v_cndmask_b32_e64 v199, v182, v182, s2
	s_mov_b32 s2, exec_lo
	s_delay_alu instid0(VALU_DEP_1)
	v_cmpx_ngt_f64_e32 v[197:198], v[199:200]
	s_xor_b32 s2, exec_lo, s2
	s_cbranch_execz .LBB88_763
; %bb.762:
	v_div_scale_f64 v[197:198], null, v[182:183], v[182:183], v[180:181]
	v_div_scale_f64 v[203:204], vcc_lo, v[180:181], v[182:183], v[180:181]
	s_delay_alu instid0(VALU_DEP_2) | instskip(SKIP_2) | instid1(VALU_DEP_1)
	v_rcp_f64_e32 v[199:200], v[197:198]
	s_waitcnt_depctr 0xfff
	v_fma_f64 v[201:202], -v[197:198], v[199:200], 1.0
	v_fma_f64 v[199:200], v[199:200], v[201:202], v[199:200]
	s_delay_alu instid0(VALU_DEP_1) | instskip(NEXT) | instid1(VALU_DEP_1)
	v_fma_f64 v[201:202], -v[197:198], v[199:200], 1.0
	v_fma_f64 v[199:200], v[199:200], v[201:202], v[199:200]
	s_delay_alu instid0(VALU_DEP_1) | instskip(NEXT) | instid1(VALU_DEP_1)
	v_mul_f64 v[201:202], v[203:204], v[199:200]
	v_fma_f64 v[197:198], -v[197:198], v[201:202], v[203:204]
	s_delay_alu instid0(VALU_DEP_1) | instskip(NEXT) | instid1(VALU_DEP_1)
	v_div_fmas_f64 v[197:198], v[197:198], v[199:200], v[201:202]
	v_div_fixup_f64 v[197:198], v[197:198], v[182:183], v[180:181]
	s_delay_alu instid0(VALU_DEP_1) | instskip(NEXT) | instid1(VALU_DEP_1)
	v_fma_f64 v[180:181], v[180:181], v[197:198], v[182:183]
	v_div_scale_f64 v[182:183], null, v[180:181], v[180:181], 1.0
	s_delay_alu instid0(VALU_DEP_1) | instskip(SKIP_2) | instid1(VALU_DEP_1)
	v_rcp_f64_e32 v[199:200], v[182:183]
	s_waitcnt_depctr 0xfff
	v_fma_f64 v[201:202], -v[182:183], v[199:200], 1.0
	v_fma_f64 v[199:200], v[199:200], v[201:202], v[199:200]
	s_delay_alu instid0(VALU_DEP_1) | instskip(NEXT) | instid1(VALU_DEP_1)
	v_fma_f64 v[201:202], -v[182:183], v[199:200], 1.0
	v_fma_f64 v[199:200], v[199:200], v[201:202], v[199:200]
	v_div_scale_f64 v[201:202], vcc_lo, 1.0, v[180:181], 1.0
	s_delay_alu instid0(VALU_DEP_1) | instskip(NEXT) | instid1(VALU_DEP_1)
	v_mul_f64 v[203:204], v[201:202], v[199:200]
	v_fma_f64 v[182:183], -v[182:183], v[203:204], v[201:202]
	s_delay_alu instid0(VALU_DEP_1) | instskip(NEXT) | instid1(VALU_DEP_1)
	v_div_fmas_f64 v[182:183], v[182:183], v[199:200], v[203:204]
	v_div_fixup_f64 v[182:183], v[182:183], v[180:181], 1.0
	s_delay_alu instid0(VALU_DEP_1)
	v_mul_f64 v[180:181], v[197:198], v[182:183]
	v_xor_b32_e32 v183, 0x80000000, v183
.LBB88_763:
	s_and_not1_saveexec_b32 s2, s2
	s_cbranch_execz .LBB88_765
; %bb.764:
	s_delay_alu instid0(VALU_DEP_1) | instskip(SKIP_1) | instid1(VALU_DEP_2)
	v_div_scale_f64 v[197:198], null, v[180:181], v[180:181], v[182:183]
	v_div_scale_f64 v[203:204], vcc_lo, v[182:183], v[180:181], v[182:183]
	v_rcp_f64_e32 v[199:200], v[197:198]
	s_waitcnt_depctr 0xfff
	v_fma_f64 v[201:202], -v[197:198], v[199:200], 1.0
	s_delay_alu instid0(VALU_DEP_1) | instskip(NEXT) | instid1(VALU_DEP_1)
	v_fma_f64 v[199:200], v[199:200], v[201:202], v[199:200]
	v_fma_f64 v[201:202], -v[197:198], v[199:200], 1.0
	s_delay_alu instid0(VALU_DEP_1) | instskip(NEXT) | instid1(VALU_DEP_1)
	v_fma_f64 v[199:200], v[199:200], v[201:202], v[199:200]
	v_mul_f64 v[201:202], v[203:204], v[199:200]
	s_delay_alu instid0(VALU_DEP_1) | instskip(NEXT) | instid1(VALU_DEP_1)
	v_fma_f64 v[197:198], -v[197:198], v[201:202], v[203:204]
	v_div_fmas_f64 v[197:198], v[197:198], v[199:200], v[201:202]
	s_delay_alu instid0(VALU_DEP_1) | instskip(NEXT) | instid1(VALU_DEP_1)
	v_div_fixup_f64 v[197:198], v[197:198], v[180:181], v[182:183]
	v_fma_f64 v[180:181], v[182:183], v[197:198], v[180:181]
	s_delay_alu instid0(VALU_DEP_1) | instskip(NEXT) | instid1(VALU_DEP_1)
	v_div_scale_f64 v[182:183], null, v[180:181], v[180:181], 1.0
	v_rcp_f64_e32 v[199:200], v[182:183]
	s_waitcnt_depctr 0xfff
	v_fma_f64 v[201:202], -v[182:183], v[199:200], 1.0
	s_delay_alu instid0(VALU_DEP_1) | instskip(NEXT) | instid1(VALU_DEP_1)
	v_fma_f64 v[199:200], v[199:200], v[201:202], v[199:200]
	v_fma_f64 v[201:202], -v[182:183], v[199:200], 1.0
	s_delay_alu instid0(VALU_DEP_1) | instskip(SKIP_1) | instid1(VALU_DEP_1)
	v_fma_f64 v[199:200], v[199:200], v[201:202], v[199:200]
	v_div_scale_f64 v[201:202], vcc_lo, 1.0, v[180:181], 1.0
	v_mul_f64 v[203:204], v[201:202], v[199:200]
	s_delay_alu instid0(VALU_DEP_1) | instskip(NEXT) | instid1(VALU_DEP_1)
	v_fma_f64 v[182:183], -v[182:183], v[203:204], v[201:202]
	v_div_fmas_f64 v[182:183], v[182:183], v[199:200], v[203:204]
	s_delay_alu instid0(VALU_DEP_1) | instskip(NEXT) | instid1(VALU_DEP_1)
	v_div_fixup_f64 v[180:181], v[182:183], v[180:181], 1.0
	v_mul_f64 v[182:183], v[197:198], -v[180:181]
.LBB88_765:
	s_or_b32 exec_lo, exec_lo, s2
.LBB88_766:
	s_delay_alu instid0(SALU_CYCLE_1) | instskip(NEXT) | instid1(SALU_CYCLE_1)
	s_or_b32 exec_lo, exec_lo, s3
	s_mov_b32 s2, exec_lo
	v_cmpx_ne_u32_e64 v196, v188
	s_xor_b32 s2, exec_lo, s2
	s_cbranch_execz .LBB88_772
; %bb.767:
	s_mov_b32 s3, exec_lo
	v_cmpx_eq_u32_e32 36, v196
	s_cbranch_execz .LBB88_771
; %bb.768:
	v_cmp_ne_u32_e32 vcc_lo, 36, v188
	s_xor_b32 s6, s4, -1
	s_delay_alu instid0(SALU_CYCLE_1) | instskip(NEXT) | instid1(SALU_CYCLE_1)
	s_and_b32 s7, s6, vcc_lo
	s_and_saveexec_b32 s6, s7
	s_cbranch_execz .LBB88_770
; %bb.769:
	v_ashrrev_i32_e32 v189, 31, v188
	s_delay_alu instid0(VALU_DEP_1) | instskip(NEXT) | instid1(VALU_DEP_1)
	v_lshlrev_b64 v[196:197], 2, v[188:189]
	v_add_co_u32 v196, vcc_lo, v186, v196
	s_delay_alu instid0(VALU_DEP_2)
	v_add_co_ci_u32_e32 v197, vcc_lo, v187, v197, vcc_lo
	s_clause 0x1
	flat_load_b32 v189, v[196:197]
	flat_load_b32 v194, v[186:187] offset:144
	s_waitcnt vmcnt(1) lgkmcnt(1)
	flat_store_b32 v[186:187], v189 offset:144
	s_waitcnt vmcnt(0) lgkmcnt(1)
	flat_store_b32 v[196:197], v194
.LBB88_770:
	s_or_b32 exec_lo, exec_lo, s6
	v_mov_b32_e32 v196, v188
	v_mov_b32_e32 v194, v188
.LBB88_771:
	s_or_b32 exec_lo, exec_lo, s3
.LBB88_772:
	s_and_not1_saveexec_b32 s2, s2
	s_cbranch_execz .LBB88_774
; %bb.773:
	v_mov_b32_e32 v196, 36
	ds_store_2addr_b64 v190, v[28:29], v[30:31] offset0:74 offset1:75
	ds_store_2addr_b64 v190, v[24:25], v[26:27] offset0:76 offset1:77
	;; [unrolled: 1-line block ×8, first 2 shown]
.LBB88_774:
	s_or_b32 exec_lo, exec_lo, s2
	s_delay_alu instid0(SALU_CYCLE_1)
	s_mov_b32 s2, exec_lo
	s_waitcnt lgkmcnt(0)
	s_waitcnt_vscnt null, 0x0
	s_barrier
	buffer_gl0_inv
	v_cmpx_lt_i32_e32 36, v196
	s_cbranch_execz .LBB88_776
; %bb.775:
	v_mul_f64 v[188:189], v[180:181], v[34:35]
	v_mul_f64 v[34:35], v[182:183], v[34:35]
	s_delay_alu instid0(VALU_DEP_2) | instskip(NEXT) | instid1(VALU_DEP_2)
	v_fma_f64 v[188:189], v[182:183], v[32:33], v[188:189]
	v_fma_f64 v[32:33], v[180:181], v[32:33], -v[34:35]
	ds_load_2addr_b64 v[180:183], v190 offset0:74 offset1:75
	s_waitcnt lgkmcnt(0)
	v_mul_f64 v[34:35], v[182:183], v[188:189]
	s_delay_alu instid0(VALU_DEP_1) | instskip(SKIP_1) | instid1(VALU_DEP_2)
	v_fma_f64 v[34:35], v[180:181], v[32:33], -v[34:35]
	v_mul_f64 v[180:181], v[180:181], v[188:189]
	v_add_f64 v[28:29], v[28:29], -v[34:35]
	s_delay_alu instid0(VALU_DEP_2) | instskip(NEXT) | instid1(VALU_DEP_1)
	v_fma_f64 v[180:181], v[182:183], v[32:33], v[180:181]
	v_add_f64 v[30:31], v[30:31], -v[180:181]
	ds_load_2addr_b64 v[180:183], v190 offset0:76 offset1:77
	s_waitcnt lgkmcnt(0)
	v_mul_f64 v[34:35], v[182:183], v[188:189]
	s_delay_alu instid0(VALU_DEP_1) | instskip(SKIP_1) | instid1(VALU_DEP_2)
	v_fma_f64 v[34:35], v[180:181], v[32:33], -v[34:35]
	v_mul_f64 v[180:181], v[180:181], v[188:189]
	v_add_f64 v[24:25], v[24:25], -v[34:35]
	s_delay_alu instid0(VALU_DEP_2) | instskip(NEXT) | instid1(VALU_DEP_1)
	v_fma_f64 v[180:181], v[182:183], v[32:33], v[180:181]
	v_add_f64 v[26:27], v[26:27], -v[180:181]
	;; [unrolled: 10-line block ×7, first 2 shown]
	ds_load_2addr_b64 v[180:183], v190 offset0:88 offset1:89
	s_waitcnt lgkmcnt(0)
	v_mul_f64 v[34:35], v[182:183], v[188:189]
	s_delay_alu instid0(VALU_DEP_1) | instskip(SKIP_1) | instid1(VALU_DEP_2)
	v_fma_f64 v[34:35], v[180:181], v[32:33], -v[34:35]
	v_mul_f64 v[180:181], v[180:181], v[188:189]
	v_add_f64 v[0:1], v[0:1], -v[34:35]
	s_delay_alu instid0(VALU_DEP_2) | instskip(SKIP_1) | instid1(VALU_DEP_2)
	v_fma_f64 v[180:181], v[182:183], v[32:33], v[180:181]
	v_dual_mov_b32 v34, v188 :: v_dual_mov_b32 v35, v189
	v_add_f64 v[2:3], v[2:3], -v[180:181]
.LBB88_776:
	s_or_b32 exec_lo, exec_lo, s2
	v_lshl_add_u32 v180, v196, 4, v190
	s_barrier
	buffer_gl0_inv
	v_mov_b32_e32 v188, 37
	ds_store_2addr_b64 v180, v[28:29], v[30:31] offset1:1
	s_waitcnt lgkmcnt(0)
	s_barrier
	buffer_gl0_inv
	ds_load_2addr_b64 v[180:183], v190 offset0:74 offset1:75
	s_cmp_lt_i32 s5, 39
	s_cbranch_scc1 .LBB88_779
; %bb.777:
	v_add3_u32 v189, v195, 0, 0x260
	v_mov_b32_e32 v188, 37
	s_mov_b32 s6, 38
	s_set_inst_prefetch_distance 0x1
	.p2align	6
.LBB88_778:                             ; =>This Inner Loop Header: Depth=1
	ds_load_2addr_b64 v[197:200], v189 offset1:1
	s_waitcnt lgkmcnt(1)
	v_cmp_gt_f64_e32 vcc_lo, 0, v[180:181]
	v_xor_b32_e32 v201, 0x80000000, v181
	v_cmp_gt_f64_e64 s2, 0, v[182:183]
	v_xor_b32_e32 v203, 0x80000000, v183
	v_add_nc_u32_e32 v189, 16, v189
	s_waitcnt lgkmcnt(0)
	v_cmp_gt_f64_e64 s3, 0, v[197:198]
	v_mov_b32_e32 v205, v197
	v_dual_mov_b32 v207, v199 :: v_dual_cndmask_b32 v202, v181, v201
	v_xor_b32_e32 v201, 0x80000000, v198
	v_cndmask_b32_e64 v204, v183, v203, s2
	v_xor_b32_e32 v203, 0x80000000, v200
	s_delay_alu instid0(VALU_DEP_3) | instskip(SKIP_2) | instid1(VALU_DEP_2)
	v_cndmask_b32_e64 v206, v198, v201, s3
	v_cmp_gt_f64_e64 s3, 0, v[199:200]
	v_cndmask_b32_e32 v201, v180, v180, vcc_lo
	v_cndmask_b32_e64 v208, v200, v203, s3
	v_cndmask_b32_e64 v203, v182, v182, s2
	s_delay_alu instid0(VALU_DEP_2) | instskip(NEXT) | instid1(VALU_DEP_2)
	v_add_f64 v[205:206], v[205:206], v[207:208]
	v_add_f64 v[201:202], v[201:202], v[203:204]
	s_delay_alu instid0(VALU_DEP_1) | instskip(SKIP_4) | instid1(SALU_CYCLE_1)
	v_cmp_lt_f64_e32 vcc_lo, v[201:202], v[205:206]
	v_dual_cndmask_b32 v182, v182, v199 :: v_dual_cndmask_b32 v181, v181, v198
	v_dual_cndmask_b32 v180, v180, v197 :: v_dual_cndmask_b32 v183, v183, v200
	v_cndmask_b32_e64 v188, v188, s6, vcc_lo
	s_add_i32 s6, s6, 1
	s_cmp_lg_u32 s5, s6
	s_cbranch_scc1 .LBB88_778
.LBB88_779:
	s_set_inst_prefetch_distance 0x2
	s_waitcnt lgkmcnt(0)
	v_cmp_eq_f64_e32 vcc_lo, 0, v[180:181]
	v_cmp_eq_f64_e64 s2, 0, v[182:183]
	s_delay_alu instid0(VALU_DEP_1) | instskip(NEXT) | instid1(SALU_CYCLE_1)
	s_and_b32 s2, vcc_lo, s2
	s_and_saveexec_b32 s3, s2
	s_delay_alu instid0(SALU_CYCLE_1)
	s_xor_b32 s2, exec_lo, s3
; %bb.780:
	v_cmp_ne_u32_e32 vcc_lo, 0, v193
	v_cndmask_b32_e32 v193, 38, v193, vcc_lo
; %bb.781:
	s_and_not1_saveexec_b32 s3, s2
	s_cbranch_execz .LBB88_787
; %bb.782:
	v_cmp_gt_f64_e32 vcc_lo, 0, v[180:181]
	v_cmp_gt_f64_e64 s2, 0, v[182:183]
	v_xor_b32_e32 v189, 0x80000000, v181
	v_xor_b32_e32 v197, 0x80000000, v183
	s_delay_alu instid0(VALU_DEP_2) | instskip(NEXT) | instid1(VALU_DEP_2)
	v_cndmask_b32_e32 v198, v181, v189, vcc_lo
	v_cndmask_b32_e64 v200, v183, v197, s2
	v_cndmask_b32_e32 v197, v180, v180, vcc_lo
	v_cndmask_b32_e64 v199, v182, v182, s2
	s_mov_b32 s2, exec_lo
	s_delay_alu instid0(VALU_DEP_1)
	v_cmpx_ngt_f64_e32 v[197:198], v[199:200]
	s_xor_b32 s2, exec_lo, s2
	s_cbranch_execz .LBB88_784
; %bb.783:
	v_div_scale_f64 v[197:198], null, v[182:183], v[182:183], v[180:181]
	v_div_scale_f64 v[203:204], vcc_lo, v[180:181], v[182:183], v[180:181]
	s_delay_alu instid0(VALU_DEP_2) | instskip(SKIP_2) | instid1(VALU_DEP_1)
	v_rcp_f64_e32 v[199:200], v[197:198]
	s_waitcnt_depctr 0xfff
	v_fma_f64 v[201:202], -v[197:198], v[199:200], 1.0
	v_fma_f64 v[199:200], v[199:200], v[201:202], v[199:200]
	s_delay_alu instid0(VALU_DEP_1) | instskip(NEXT) | instid1(VALU_DEP_1)
	v_fma_f64 v[201:202], -v[197:198], v[199:200], 1.0
	v_fma_f64 v[199:200], v[199:200], v[201:202], v[199:200]
	s_delay_alu instid0(VALU_DEP_1) | instskip(NEXT) | instid1(VALU_DEP_1)
	v_mul_f64 v[201:202], v[203:204], v[199:200]
	v_fma_f64 v[197:198], -v[197:198], v[201:202], v[203:204]
	s_delay_alu instid0(VALU_DEP_1) | instskip(NEXT) | instid1(VALU_DEP_1)
	v_div_fmas_f64 v[197:198], v[197:198], v[199:200], v[201:202]
	v_div_fixup_f64 v[197:198], v[197:198], v[182:183], v[180:181]
	s_delay_alu instid0(VALU_DEP_1) | instskip(NEXT) | instid1(VALU_DEP_1)
	v_fma_f64 v[180:181], v[180:181], v[197:198], v[182:183]
	v_div_scale_f64 v[182:183], null, v[180:181], v[180:181], 1.0
	s_delay_alu instid0(VALU_DEP_1) | instskip(SKIP_2) | instid1(VALU_DEP_1)
	v_rcp_f64_e32 v[199:200], v[182:183]
	s_waitcnt_depctr 0xfff
	v_fma_f64 v[201:202], -v[182:183], v[199:200], 1.0
	v_fma_f64 v[199:200], v[199:200], v[201:202], v[199:200]
	s_delay_alu instid0(VALU_DEP_1) | instskip(NEXT) | instid1(VALU_DEP_1)
	v_fma_f64 v[201:202], -v[182:183], v[199:200], 1.0
	v_fma_f64 v[199:200], v[199:200], v[201:202], v[199:200]
	v_div_scale_f64 v[201:202], vcc_lo, 1.0, v[180:181], 1.0
	s_delay_alu instid0(VALU_DEP_1) | instskip(NEXT) | instid1(VALU_DEP_1)
	v_mul_f64 v[203:204], v[201:202], v[199:200]
	v_fma_f64 v[182:183], -v[182:183], v[203:204], v[201:202]
	s_delay_alu instid0(VALU_DEP_1) | instskip(NEXT) | instid1(VALU_DEP_1)
	v_div_fmas_f64 v[182:183], v[182:183], v[199:200], v[203:204]
	v_div_fixup_f64 v[182:183], v[182:183], v[180:181], 1.0
	s_delay_alu instid0(VALU_DEP_1)
	v_mul_f64 v[180:181], v[197:198], v[182:183]
	v_xor_b32_e32 v183, 0x80000000, v183
.LBB88_784:
	s_and_not1_saveexec_b32 s2, s2
	s_cbranch_execz .LBB88_786
; %bb.785:
	s_delay_alu instid0(VALU_DEP_1) | instskip(SKIP_1) | instid1(VALU_DEP_2)
	v_div_scale_f64 v[197:198], null, v[180:181], v[180:181], v[182:183]
	v_div_scale_f64 v[203:204], vcc_lo, v[182:183], v[180:181], v[182:183]
	v_rcp_f64_e32 v[199:200], v[197:198]
	s_waitcnt_depctr 0xfff
	v_fma_f64 v[201:202], -v[197:198], v[199:200], 1.0
	s_delay_alu instid0(VALU_DEP_1) | instskip(NEXT) | instid1(VALU_DEP_1)
	v_fma_f64 v[199:200], v[199:200], v[201:202], v[199:200]
	v_fma_f64 v[201:202], -v[197:198], v[199:200], 1.0
	s_delay_alu instid0(VALU_DEP_1) | instskip(NEXT) | instid1(VALU_DEP_1)
	v_fma_f64 v[199:200], v[199:200], v[201:202], v[199:200]
	v_mul_f64 v[201:202], v[203:204], v[199:200]
	s_delay_alu instid0(VALU_DEP_1) | instskip(NEXT) | instid1(VALU_DEP_1)
	v_fma_f64 v[197:198], -v[197:198], v[201:202], v[203:204]
	v_div_fmas_f64 v[197:198], v[197:198], v[199:200], v[201:202]
	s_delay_alu instid0(VALU_DEP_1) | instskip(NEXT) | instid1(VALU_DEP_1)
	v_div_fixup_f64 v[197:198], v[197:198], v[180:181], v[182:183]
	v_fma_f64 v[180:181], v[182:183], v[197:198], v[180:181]
	s_delay_alu instid0(VALU_DEP_1) | instskip(NEXT) | instid1(VALU_DEP_1)
	v_div_scale_f64 v[182:183], null, v[180:181], v[180:181], 1.0
	v_rcp_f64_e32 v[199:200], v[182:183]
	s_waitcnt_depctr 0xfff
	v_fma_f64 v[201:202], -v[182:183], v[199:200], 1.0
	s_delay_alu instid0(VALU_DEP_1) | instskip(NEXT) | instid1(VALU_DEP_1)
	v_fma_f64 v[199:200], v[199:200], v[201:202], v[199:200]
	v_fma_f64 v[201:202], -v[182:183], v[199:200], 1.0
	s_delay_alu instid0(VALU_DEP_1) | instskip(SKIP_1) | instid1(VALU_DEP_1)
	v_fma_f64 v[199:200], v[199:200], v[201:202], v[199:200]
	v_div_scale_f64 v[201:202], vcc_lo, 1.0, v[180:181], 1.0
	v_mul_f64 v[203:204], v[201:202], v[199:200]
	s_delay_alu instid0(VALU_DEP_1) | instskip(NEXT) | instid1(VALU_DEP_1)
	v_fma_f64 v[182:183], -v[182:183], v[203:204], v[201:202]
	v_div_fmas_f64 v[182:183], v[182:183], v[199:200], v[203:204]
	s_delay_alu instid0(VALU_DEP_1) | instskip(NEXT) | instid1(VALU_DEP_1)
	v_div_fixup_f64 v[180:181], v[182:183], v[180:181], 1.0
	v_mul_f64 v[182:183], v[197:198], -v[180:181]
.LBB88_786:
	s_or_b32 exec_lo, exec_lo, s2
.LBB88_787:
	s_delay_alu instid0(SALU_CYCLE_1) | instskip(NEXT) | instid1(SALU_CYCLE_1)
	s_or_b32 exec_lo, exec_lo, s3
	s_mov_b32 s2, exec_lo
	v_cmpx_ne_u32_e64 v196, v188
	s_xor_b32 s2, exec_lo, s2
	s_cbranch_execz .LBB88_793
; %bb.788:
	s_mov_b32 s3, exec_lo
	v_cmpx_eq_u32_e32 37, v196
	s_cbranch_execz .LBB88_792
; %bb.789:
	v_cmp_ne_u32_e32 vcc_lo, 37, v188
	s_xor_b32 s6, s4, -1
	s_delay_alu instid0(SALU_CYCLE_1) | instskip(NEXT) | instid1(SALU_CYCLE_1)
	s_and_b32 s7, s6, vcc_lo
	s_and_saveexec_b32 s6, s7
	s_cbranch_execz .LBB88_791
; %bb.790:
	v_ashrrev_i32_e32 v189, 31, v188
	s_delay_alu instid0(VALU_DEP_1) | instskip(NEXT) | instid1(VALU_DEP_1)
	v_lshlrev_b64 v[196:197], 2, v[188:189]
	v_add_co_u32 v196, vcc_lo, v186, v196
	s_delay_alu instid0(VALU_DEP_2)
	v_add_co_ci_u32_e32 v197, vcc_lo, v187, v197, vcc_lo
	s_clause 0x1
	flat_load_b32 v189, v[196:197]
	flat_load_b32 v194, v[186:187] offset:148
	s_waitcnt vmcnt(1) lgkmcnt(1)
	flat_store_b32 v[186:187], v189 offset:148
	s_waitcnt vmcnt(0) lgkmcnt(1)
	flat_store_b32 v[196:197], v194
.LBB88_791:
	s_or_b32 exec_lo, exec_lo, s6
	v_mov_b32_e32 v196, v188
	v_mov_b32_e32 v194, v188
.LBB88_792:
	s_or_b32 exec_lo, exec_lo, s3
.LBB88_793:
	s_and_not1_saveexec_b32 s2, s2
	s_cbranch_execz .LBB88_795
; %bb.794:
	v_mov_b32_e32 v196, 37
	ds_store_2addr_b64 v190, v[24:25], v[26:27] offset0:76 offset1:77
	ds_store_2addr_b64 v190, v[20:21], v[22:23] offset0:78 offset1:79
	;; [unrolled: 1-line block ×7, first 2 shown]
.LBB88_795:
	s_or_b32 exec_lo, exec_lo, s2
	s_delay_alu instid0(SALU_CYCLE_1)
	s_mov_b32 s2, exec_lo
	s_waitcnt lgkmcnt(0)
	s_waitcnt_vscnt null, 0x0
	s_barrier
	buffer_gl0_inv
	v_cmpx_lt_i32_e32 37, v196
	s_cbranch_execz .LBB88_797
; %bb.796:
	v_mul_f64 v[188:189], v[180:181], v[30:31]
	v_mul_f64 v[30:31], v[182:183], v[30:31]
	ds_load_2addr_b64 v[197:200], v190 offset0:76 offset1:77
	ds_load_2addr_b64 v[201:204], v190 offset0:78 offset1:79
	;; [unrolled: 1-line block ×7, first 2 shown]
	v_fma_f64 v[182:183], v[182:183], v[28:29], v[188:189]
	v_fma_f64 v[28:29], v[180:181], v[28:29], -v[30:31]
	s_waitcnt lgkmcnt(6)
	s_delay_alu instid0(VALU_DEP_2)
	v_mul_f64 v[30:31], v[199:200], v[182:183]
	v_mul_f64 v[180:181], v[197:198], v[182:183]
	s_waitcnt lgkmcnt(5)
	v_mul_f64 v[188:189], v[203:204], v[182:183]
	v_mul_f64 v[225:226], v[201:202], v[182:183]
	s_waitcnt lgkmcnt(4)
	v_mul_f64 v[227:228], v[207:208], v[182:183]
	v_mul_f64 v[229:230], v[205:206], v[182:183]
	s_waitcnt lgkmcnt(3)
	v_mul_f64 v[231:232], v[211:212], v[182:183]
	v_mul_f64 v[233:234], v[209:210], v[182:183]
	s_waitcnt lgkmcnt(2)
	v_mul_f64 v[235:236], v[215:216], v[182:183]
	v_mul_f64 v[237:238], v[213:214], v[182:183]
	s_waitcnt lgkmcnt(1)
	v_mul_f64 v[239:240], v[219:220], v[182:183]
	v_mul_f64 v[241:242], v[217:218], v[182:183]
	s_waitcnt lgkmcnt(0)
	v_mul_f64 v[243:244], v[223:224], v[182:183]
	v_mul_f64 v[245:246], v[221:222], v[182:183]
	v_fma_f64 v[30:31], v[197:198], v[28:29], -v[30:31]
	v_fma_f64 v[180:181], v[199:200], v[28:29], v[180:181]
	v_fma_f64 v[188:189], v[201:202], v[28:29], -v[188:189]
	v_fma_f64 v[197:198], v[203:204], v[28:29], v[225:226]
	;; [unrolled: 2-line block ×7, first 2 shown]
	v_add_f64 v[24:25], v[24:25], -v[30:31]
	v_add_f64 v[26:27], v[26:27], -v[180:181]
	;; [unrolled: 1-line block ×14, first 2 shown]
	v_dual_mov_b32 v30, v182 :: v_dual_mov_b32 v31, v183
.LBB88_797:
	s_or_b32 exec_lo, exec_lo, s2
	v_lshl_add_u32 v180, v196, 4, v190
	s_barrier
	buffer_gl0_inv
	v_mov_b32_e32 v188, 38
	ds_store_2addr_b64 v180, v[24:25], v[26:27] offset1:1
	s_waitcnt lgkmcnt(0)
	s_barrier
	buffer_gl0_inv
	ds_load_2addr_b64 v[180:183], v190 offset0:76 offset1:77
	s_cmp_lt_i32 s5, 40
	s_cbranch_scc1 .LBB88_800
; %bb.798:
	v_add3_u32 v189, v195, 0, 0x270
	v_mov_b32_e32 v188, 38
	s_mov_b32 s6, 39
	s_set_inst_prefetch_distance 0x1
	.p2align	6
.LBB88_799:                             ; =>This Inner Loop Header: Depth=1
	ds_load_2addr_b64 v[197:200], v189 offset1:1
	s_waitcnt lgkmcnt(1)
	v_cmp_gt_f64_e32 vcc_lo, 0, v[180:181]
	v_xor_b32_e32 v201, 0x80000000, v181
	v_cmp_gt_f64_e64 s2, 0, v[182:183]
	v_xor_b32_e32 v203, 0x80000000, v183
	v_add_nc_u32_e32 v189, 16, v189
	s_waitcnt lgkmcnt(0)
	v_cmp_gt_f64_e64 s3, 0, v[197:198]
	v_mov_b32_e32 v205, v197
	v_dual_mov_b32 v207, v199 :: v_dual_cndmask_b32 v202, v181, v201
	v_xor_b32_e32 v201, 0x80000000, v198
	v_cndmask_b32_e64 v204, v183, v203, s2
	v_xor_b32_e32 v203, 0x80000000, v200
	s_delay_alu instid0(VALU_DEP_3) | instskip(SKIP_2) | instid1(VALU_DEP_2)
	v_cndmask_b32_e64 v206, v198, v201, s3
	v_cmp_gt_f64_e64 s3, 0, v[199:200]
	v_cndmask_b32_e32 v201, v180, v180, vcc_lo
	v_cndmask_b32_e64 v208, v200, v203, s3
	v_cndmask_b32_e64 v203, v182, v182, s2
	s_delay_alu instid0(VALU_DEP_2) | instskip(NEXT) | instid1(VALU_DEP_2)
	v_add_f64 v[205:206], v[205:206], v[207:208]
	v_add_f64 v[201:202], v[201:202], v[203:204]
	s_delay_alu instid0(VALU_DEP_1) | instskip(SKIP_4) | instid1(SALU_CYCLE_1)
	v_cmp_lt_f64_e32 vcc_lo, v[201:202], v[205:206]
	v_dual_cndmask_b32 v182, v182, v199 :: v_dual_cndmask_b32 v181, v181, v198
	v_dual_cndmask_b32 v180, v180, v197 :: v_dual_cndmask_b32 v183, v183, v200
	v_cndmask_b32_e64 v188, v188, s6, vcc_lo
	s_add_i32 s6, s6, 1
	s_cmp_lg_u32 s5, s6
	s_cbranch_scc1 .LBB88_799
.LBB88_800:
	s_set_inst_prefetch_distance 0x2
	s_waitcnt lgkmcnt(0)
	v_cmp_eq_f64_e32 vcc_lo, 0, v[180:181]
	v_cmp_eq_f64_e64 s2, 0, v[182:183]
	s_delay_alu instid0(VALU_DEP_1) | instskip(NEXT) | instid1(SALU_CYCLE_1)
	s_and_b32 s2, vcc_lo, s2
	s_and_saveexec_b32 s3, s2
	s_delay_alu instid0(SALU_CYCLE_1)
	s_xor_b32 s2, exec_lo, s3
; %bb.801:
	v_cmp_ne_u32_e32 vcc_lo, 0, v193
	v_cndmask_b32_e32 v193, 39, v193, vcc_lo
; %bb.802:
	s_and_not1_saveexec_b32 s3, s2
	s_cbranch_execz .LBB88_808
; %bb.803:
	v_cmp_gt_f64_e32 vcc_lo, 0, v[180:181]
	v_cmp_gt_f64_e64 s2, 0, v[182:183]
	v_xor_b32_e32 v189, 0x80000000, v181
	v_xor_b32_e32 v197, 0x80000000, v183
	s_delay_alu instid0(VALU_DEP_2) | instskip(NEXT) | instid1(VALU_DEP_2)
	v_cndmask_b32_e32 v198, v181, v189, vcc_lo
	v_cndmask_b32_e64 v200, v183, v197, s2
	v_cndmask_b32_e32 v197, v180, v180, vcc_lo
	v_cndmask_b32_e64 v199, v182, v182, s2
	s_mov_b32 s2, exec_lo
	s_delay_alu instid0(VALU_DEP_1)
	v_cmpx_ngt_f64_e32 v[197:198], v[199:200]
	s_xor_b32 s2, exec_lo, s2
	s_cbranch_execz .LBB88_805
; %bb.804:
	v_div_scale_f64 v[197:198], null, v[182:183], v[182:183], v[180:181]
	v_div_scale_f64 v[203:204], vcc_lo, v[180:181], v[182:183], v[180:181]
	s_delay_alu instid0(VALU_DEP_2) | instskip(SKIP_2) | instid1(VALU_DEP_1)
	v_rcp_f64_e32 v[199:200], v[197:198]
	s_waitcnt_depctr 0xfff
	v_fma_f64 v[201:202], -v[197:198], v[199:200], 1.0
	v_fma_f64 v[199:200], v[199:200], v[201:202], v[199:200]
	s_delay_alu instid0(VALU_DEP_1) | instskip(NEXT) | instid1(VALU_DEP_1)
	v_fma_f64 v[201:202], -v[197:198], v[199:200], 1.0
	v_fma_f64 v[199:200], v[199:200], v[201:202], v[199:200]
	s_delay_alu instid0(VALU_DEP_1) | instskip(NEXT) | instid1(VALU_DEP_1)
	v_mul_f64 v[201:202], v[203:204], v[199:200]
	v_fma_f64 v[197:198], -v[197:198], v[201:202], v[203:204]
	s_delay_alu instid0(VALU_DEP_1) | instskip(NEXT) | instid1(VALU_DEP_1)
	v_div_fmas_f64 v[197:198], v[197:198], v[199:200], v[201:202]
	v_div_fixup_f64 v[197:198], v[197:198], v[182:183], v[180:181]
	s_delay_alu instid0(VALU_DEP_1) | instskip(NEXT) | instid1(VALU_DEP_1)
	v_fma_f64 v[180:181], v[180:181], v[197:198], v[182:183]
	v_div_scale_f64 v[182:183], null, v[180:181], v[180:181], 1.0
	s_delay_alu instid0(VALU_DEP_1) | instskip(SKIP_2) | instid1(VALU_DEP_1)
	v_rcp_f64_e32 v[199:200], v[182:183]
	s_waitcnt_depctr 0xfff
	v_fma_f64 v[201:202], -v[182:183], v[199:200], 1.0
	v_fma_f64 v[199:200], v[199:200], v[201:202], v[199:200]
	s_delay_alu instid0(VALU_DEP_1) | instskip(NEXT) | instid1(VALU_DEP_1)
	v_fma_f64 v[201:202], -v[182:183], v[199:200], 1.0
	v_fma_f64 v[199:200], v[199:200], v[201:202], v[199:200]
	v_div_scale_f64 v[201:202], vcc_lo, 1.0, v[180:181], 1.0
	s_delay_alu instid0(VALU_DEP_1) | instskip(NEXT) | instid1(VALU_DEP_1)
	v_mul_f64 v[203:204], v[201:202], v[199:200]
	v_fma_f64 v[182:183], -v[182:183], v[203:204], v[201:202]
	s_delay_alu instid0(VALU_DEP_1) | instskip(NEXT) | instid1(VALU_DEP_1)
	v_div_fmas_f64 v[182:183], v[182:183], v[199:200], v[203:204]
	v_div_fixup_f64 v[182:183], v[182:183], v[180:181], 1.0
	s_delay_alu instid0(VALU_DEP_1)
	v_mul_f64 v[180:181], v[197:198], v[182:183]
	v_xor_b32_e32 v183, 0x80000000, v183
.LBB88_805:
	s_and_not1_saveexec_b32 s2, s2
	s_cbranch_execz .LBB88_807
; %bb.806:
	s_delay_alu instid0(VALU_DEP_1) | instskip(SKIP_1) | instid1(VALU_DEP_2)
	v_div_scale_f64 v[197:198], null, v[180:181], v[180:181], v[182:183]
	v_div_scale_f64 v[203:204], vcc_lo, v[182:183], v[180:181], v[182:183]
	v_rcp_f64_e32 v[199:200], v[197:198]
	s_waitcnt_depctr 0xfff
	v_fma_f64 v[201:202], -v[197:198], v[199:200], 1.0
	s_delay_alu instid0(VALU_DEP_1) | instskip(NEXT) | instid1(VALU_DEP_1)
	v_fma_f64 v[199:200], v[199:200], v[201:202], v[199:200]
	v_fma_f64 v[201:202], -v[197:198], v[199:200], 1.0
	s_delay_alu instid0(VALU_DEP_1) | instskip(NEXT) | instid1(VALU_DEP_1)
	v_fma_f64 v[199:200], v[199:200], v[201:202], v[199:200]
	v_mul_f64 v[201:202], v[203:204], v[199:200]
	s_delay_alu instid0(VALU_DEP_1) | instskip(NEXT) | instid1(VALU_DEP_1)
	v_fma_f64 v[197:198], -v[197:198], v[201:202], v[203:204]
	v_div_fmas_f64 v[197:198], v[197:198], v[199:200], v[201:202]
	s_delay_alu instid0(VALU_DEP_1) | instskip(NEXT) | instid1(VALU_DEP_1)
	v_div_fixup_f64 v[197:198], v[197:198], v[180:181], v[182:183]
	v_fma_f64 v[180:181], v[182:183], v[197:198], v[180:181]
	s_delay_alu instid0(VALU_DEP_1) | instskip(NEXT) | instid1(VALU_DEP_1)
	v_div_scale_f64 v[182:183], null, v[180:181], v[180:181], 1.0
	v_rcp_f64_e32 v[199:200], v[182:183]
	s_waitcnt_depctr 0xfff
	v_fma_f64 v[201:202], -v[182:183], v[199:200], 1.0
	s_delay_alu instid0(VALU_DEP_1) | instskip(NEXT) | instid1(VALU_DEP_1)
	v_fma_f64 v[199:200], v[199:200], v[201:202], v[199:200]
	v_fma_f64 v[201:202], -v[182:183], v[199:200], 1.0
	s_delay_alu instid0(VALU_DEP_1) | instskip(SKIP_1) | instid1(VALU_DEP_1)
	v_fma_f64 v[199:200], v[199:200], v[201:202], v[199:200]
	v_div_scale_f64 v[201:202], vcc_lo, 1.0, v[180:181], 1.0
	v_mul_f64 v[203:204], v[201:202], v[199:200]
	s_delay_alu instid0(VALU_DEP_1) | instskip(NEXT) | instid1(VALU_DEP_1)
	v_fma_f64 v[182:183], -v[182:183], v[203:204], v[201:202]
	v_div_fmas_f64 v[182:183], v[182:183], v[199:200], v[203:204]
	s_delay_alu instid0(VALU_DEP_1) | instskip(NEXT) | instid1(VALU_DEP_1)
	v_div_fixup_f64 v[180:181], v[182:183], v[180:181], 1.0
	v_mul_f64 v[182:183], v[197:198], -v[180:181]
.LBB88_807:
	s_or_b32 exec_lo, exec_lo, s2
.LBB88_808:
	s_delay_alu instid0(SALU_CYCLE_1) | instskip(NEXT) | instid1(SALU_CYCLE_1)
	s_or_b32 exec_lo, exec_lo, s3
	s_mov_b32 s2, exec_lo
	v_cmpx_ne_u32_e64 v196, v188
	s_xor_b32 s2, exec_lo, s2
	s_cbranch_execz .LBB88_814
; %bb.809:
	s_mov_b32 s3, exec_lo
	v_cmpx_eq_u32_e32 38, v196
	s_cbranch_execz .LBB88_813
; %bb.810:
	v_cmp_ne_u32_e32 vcc_lo, 38, v188
	s_xor_b32 s6, s4, -1
	s_delay_alu instid0(SALU_CYCLE_1) | instskip(NEXT) | instid1(SALU_CYCLE_1)
	s_and_b32 s7, s6, vcc_lo
	s_and_saveexec_b32 s6, s7
	s_cbranch_execz .LBB88_812
; %bb.811:
	v_ashrrev_i32_e32 v189, 31, v188
	s_delay_alu instid0(VALU_DEP_1) | instskip(NEXT) | instid1(VALU_DEP_1)
	v_lshlrev_b64 v[196:197], 2, v[188:189]
	v_add_co_u32 v196, vcc_lo, v186, v196
	s_delay_alu instid0(VALU_DEP_2)
	v_add_co_ci_u32_e32 v197, vcc_lo, v187, v197, vcc_lo
	s_clause 0x1
	flat_load_b32 v189, v[196:197]
	flat_load_b32 v194, v[186:187] offset:152
	s_waitcnt vmcnt(1) lgkmcnt(1)
	flat_store_b32 v[186:187], v189 offset:152
	s_waitcnt vmcnt(0) lgkmcnt(1)
	flat_store_b32 v[196:197], v194
.LBB88_812:
	s_or_b32 exec_lo, exec_lo, s6
	v_mov_b32_e32 v196, v188
	v_mov_b32_e32 v194, v188
.LBB88_813:
	s_or_b32 exec_lo, exec_lo, s3
.LBB88_814:
	s_and_not1_saveexec_b32 s2, s2
	s_cbranch_execz .LBB88_816
; %bb.815:
	v_mov_b32_e32 v196, 38
	ds_store_2addr_b64 v190, v[20:21], v[22:23] offset0:78 offset1:79
	ds_store_2addr_b64 v190, v[16:17], v[18:19] offset0:80 offset1:81
	;; [unrolled: 1-line block ×6, first 2 shown]
.LBB88_816:
	s_or_b32 exec_lo, exec_lo, s2
	s_delay_alu instid0(SALU_CYCLE_1)
	s_mov_b32 s2, exec_lo
	s_waitcnt lgkmcnt(0)
	s_waitcnt_vscnt null, 0x0
	s_barrier
	buffer_gl0_inv
	v_cmpx_lt_i32_e32 38, v196
	s_cbranch_execz .LBB88_818
; %bb.817:
	v_mul_f64 v[188:189], v[180:181], v[26:27]
	v_mul_f64 v[26:27], v[182:183], v[26:27]
	ds_load_2addr_b64 v[197:200], v190 offset0:78 offset1:79
	ds_load_2addr_b64 v[201:204], v190 offset0:80 offset1:81
	;; [unrolled: 1-line block ×6, first 2 shown]
	v_fma_f64 v[182:183], v[182:183], v[24:25], v[188:189]
	v_fma_f64 v[24:25], v[180:181], v[24:25], -v[26:27]
	s_waitcnt lgkmcnt(5)
	s_delay_alu instid0(VALU_DEP_2)
	v_mul_f64 v[26:27], v[199:200], v[182:183]
	v_mul_f64 v[180:181], v[197:198], v[182:183]
	s_waitcnt lgkmcnt(4)
	v_mul_f64 v[188:189], v[203:204], v[182:183]
	v_mul_f64 v[221:222], v[201:202], v[182:183]
	s_waitcnt lgkmcnt(3)
	;; [unrolled: 3-line block ×5, first 2 shown]
	v_mul_f64 v[235:236], v[219:220], v[182:183]
	v_mul_f64 v[237:238], v[217:218], v[182:183]
	v_fma_f64 v[26:27], v[197:198], v[24:25], -v[26:27]
	v_fma_f64 v[180:181], v[199:200], v[24:25], v[180:181]
	v_fma_f64 v[188:189], v[201:202], v[24:25], -v[188:189]
	v_fma_f64 v[197:198], v[203:204], v[24:25], v[221:222]
	;; [unrolled: 2-line block ×6, first 2 shown]
	v_add_f64 v[20:21], v[20:21], -v[26:27]
	v_add_f64 v[22:23], v[22:23], -v[180:181]
	;; [unrolled: 1-line block ×12, first 2 shown]
	v_dual_mov_b32 v26, v182 :: v_dual_mov_b32 v27, v183
.LBB88_818:
	s_or_b32 exec_lo, exec_lo, s2
	v_lshl_add_u32 v180, v196, 4, v190
	s_barrier
	buffer_gl0_inv
	v_mov_b32_e32 v188, 39
	ds_store_2addr_b64 v180, v[20:21], v[22:23] offset1:1
	s_waitcnt lgkmcnt(0)
	s_barrier
	buffer_gl0_inv
	ds_load_2addr_b64 v[180:183], v190 offset0:78 offset1:79
	s_cmp_lt_i32 s5, 41
	s_cbranch_scc1 .LBB88_821
; %bb.819:
	v_add3_u32 v189, v195, 0, 0x280
	v_mov_b32_e32 v188, 39
	s_mov_b32 s6, 40
	s_set_inst_prefetch_distance 0x1
	.p2align	6
.LBB88_820:                             ; =>This Inner Loop Header: Depth=1
	ds_load_2addr_b64 v[197:200], v189 offset1:1
	s_waitcnt lgkmcnt(1)
	v_cmp_gt_f64_e32 vcc_lo, 0, v[180:181]
	v_xor_b32_e32 v201, 0x80000000, v181
	v_cmp_gt_f64_e64 s2, 0, v[182:183]
	v_xor_b32_e32 v203, 0x80000000, v183
	v_add_nc_u32_e32 v189, 16, v189
	s_waitcnt lgkmcnt(0)
	v_cmp_gt_f64_e64 s3, 0, v[197:198]
	v_mov_b32_e32 v205, v197
	v_dual_mov_b32 v207, v199 :: v_dual_cndmask_b32 v202, v181, v201
	v_xor_b32_e32 v201, 0x80000000, v198
	v_cndmask_b32_e64 v204, v183, v203, s2
	v_xor_b32_e32 v203, 0x80000000, v200
	s_delay_alu instid0(VALU_DEP_3) | instskip(SKIP_2) | instid1(VALU_DEP_2)
	v_cndmask_b32_e64 v206, v198, v201, s3
	v_cmp_gt_f64_e64 s3, 0, v[199:200]
	v_cndmask_b32_e32 v201, v180, v180, vcc_lo
	v_cndmask_b32_e64 v208, v200, v203, s3
	v_cndmask_b32_e64 v203, v182, v182, s2
	s_delay_alu instid0(VALU_DEP_2) | instskip(NEXT) | instid1(VALU_DEP_2)
	v_add_f64 v[205:206], v[205:206], v[207:208]
	v_add_f64 v[201:202], v[201:202], v[203:204]
	s_delay_alu instid0(VALU_DEP_1) | instskip(SKIP_4) | instid1(SALU_CYCLE_1)
	v_cmp_lt_f64_e32 vcc_lo, v[201:202], v[205:206]
	v_dual_cndmask_b32 v182, v182, v199 :: v_dual_cndmask_b32 v181, v181, v198
	v_dual_cndmask_b32 v180, v180, v197 :: v_dual_cndmask_b32 v183, v183, v200
	v_cndmask_b32_e64 v188, v188, s6, vcc_lo
	s_add_i32 s6, s6, 1
	s_cmp_lg_u32 s5, s6
	s_cbranch_scc1 .LBB88_820
.LBB88_821:
	s_set_inst_prefetch_distance 0x2
	s_waitcnt lgkmcnt(0)
	v_cmp_eq_f64_e32 vcc_lo, 0, v[180:181]
	v_cmp_eq_f64_e64 s2, 0, v[182:183]
	s_delay_alu instid0(VALU_DEP_1) | instskip(NEXT) | instid1(SALU_CYCLE_1)
	s_and_b32 s2, vcc_lo, s2
	s_and_saveexec_b32 s3, s2
	s_delay_alu instid0(SALU_CYCLE_1)
	s_xor_b32 s2, exec_lo, s3
; %bb.822:
	v_cmp_ne_u32_e32 vcc_lo, 0, v193
	v_cndmask_b32_e32 v193, 40, v193, vcc_lo
; %bb.823:
	s_and_not1_saveexec_b32 s3, s2
	s_cbranch_execz .LBB88_829
; %bb.824:
	v_cmp_gt_f64_e32 vcc_lo, 0, v[180:181]
	v_cmp_gt_f64_e64 s2, 0, v[182:183]
	v_xor_b32_e32 v189, 0x80000000, v181
	v_xor_b32_e32 v197, 0x80000000, v183
	s_delay_alu instid0(VALU_DEP_2) | instskip(NEXT) | instid1(VALU_DEP_2)
	v_cndmask_b32_e32 v198, v181, v189, vcc_lo
	v_cndmask_b32_e64 v200, v183, v197, s2
	v_cndmask_b32_e32 v197, v180, v180, vcc_lo
	v_cndmask_b32_e64 v199, v182, v182, s2
	s_mov_b32 s2, exec_lo
	s_delay_alu instid0(VALU_DEP_1)
	v_cmpx_ngt_f64_e32 v[197:198], v[199:200]
	s_xor_b32 s2, exec_lo, s2
	s_cbranch_execz .LBB88_826
; %bb.825:
	v_div_scale_f64 v[197:198], null, v[182:183], v[182:183], v[180:181]
	v_div_scale_f64 v[203:204], vcc_lo, v[180:181], v[182:183], v[180:181]
	s_delay_alu instid0(VALU_DEP_2) | instskip(SKIP_2) | instid1(VALU_DEP_1)
	v_rcp_f64_e32 v[199:200], v[197:198]
	s_waitcnt_depctr 0xfff
	v_fma_f64 v[201:202], -v[197:198], v[199:200], 1.0
	v_fma_f64 v[199:200], v[199:200], v[201:202], v[199:200]
	s_delay_alu instid0(VALU_DEP_1) | instskip(NEXT) | instid1(VALU_DEP_1)
	v_fma_f64 v[201:202], -v[197:198], v[199:200], 1.0
	v_fma_f64 v[199:200], v[199:200], v[201:202], v[199:200]
	s_delay_alu instid0(VALU_DEP_1) | instskip(NEXT) | instid1(VALU_DEP_1)
	v_mul_f64 v[201:202], v[203:204], v[199:200]
	v_fma_f64 v[197:198], -v[197:198], v[201:202], v[203:204]
	s_delay_alu instid0(VALU_DEP_1) | instskip(NEXT) | instid1(VALU_DEP_1)
	v_div_fmas_f64 v[197:198], v[197:198], v[199:200], v[201:202]
	v_div_fixup_f64 v[197:198], v[197:198], v[182:183], v[180:181]
	s_delay_alu instid0(VALU_DEP_1) | instskip(NEXT) | instid1(VALU_DEP_1)
	v_fma_f64 v[180:181], v[180:181], v[197:198], v[182:183]
	v_div_scale_f64 v[182:183], null, v[180:181], v[180:181], 1.0
	s_delay_alu instid0(VALU_DEP_1) | instskip(SKIP_2) | instid1(VALU_DEP_1)
	v_rcp_f64_e32 v[199:200], v[182:183]
	s_waitcnt_depctr 0xfff
	v_fma_f64 v[201:202], -v[182:183], v[199:200], 1.0
	v_fma_f64 v[199:200], v[199:200], v[201:202], v[199:200]
	s_delay_alu instid0(VALU_DEP_1) | instskip(NEXT) | instid1(VALU_DEP_1)
	v_fma_f64 v[201:202], -v[182:183], v[199:200], 1.0
	v_fma_f64 v[199:200], v[199:200], v[201:202], v[199:200]
	v_div_scale_f64 v[201:202], vcc_lo, 1.0, v[180:181], 1.0
	s_delay_alu instid0(VALU_DEP_1) | instskip(NEXT) | instid1(VALU_DEP_1)
	v_mul_f64 v[203:204], v[201:202], v[199:200]
	v_fma_f64 v[182:183], -v[182:183], v[203:204], v[201:202]
	s_delay_alu instid0(VALU_DEP_1) | instskip(NEXT) | instid1(VALU_DEP_1)
	v_div_fmas_f64 v[182:183], v[182:183], v[199:200], v[203:204]
	v_div_fixup_f64 v[182:183], v[182:183], v[180:181], 1.0
	s_delay_alu instid0(VALU_DEP_1)
	v_mul_f64 v[180:181], v[197:198], v[182:183]
	v_xor_b32_e32 v183, 0x80000000, v183
.LBB88_826:
	s_and_not1_saveexec_b32 s2, s2
	s_cbranch_execz .LBB88_828
; %bb.827:
	s_delay_alu instid0(VALU_DEP_1) | instskip(SKIP_1) | instid1(VALU_DEP_2)
	v_div_scale_f64 v[197:198], null, v[180:181], v[180:181], v[182:183]
	v_div_scale_f64 v[203:204], vcc_lo, v[182:183], v[180:181], v[182:183]
	v_rcp_f64_e32 v[199:200], v[197:198]
	s_waitcnt_depctr 0xfff
	v_fma_f64 v[201:202], -v[197:198], v[199:200], 1.0
	s_delay_alu instid0(VALU_DEP_1) | instskip(NEXT) | instid1(VALU_DEP_1)
	v_fma_f64 v[199:200], v[199:200], v[201:202], v[199:200]
	v_fma_f64 v[201:202], -v[197:198], v[199:200], 1.0
	s_delay_alu instid0(VALU_DEP_1) | instskip(NEXT) | instid1(VALU_DEP_1)
	v_fma_f64 v[199:200], v[199:200], v[201:202], v[199:200]
	v_mul_f64 v[201:202], v[203:204], v[199:200]
	s_delay_alu instid0(VALU_DEP_1) | instskip(NEXT) | instid1(VALU_DEP_1)
	v_fma_f64 v[197:198], -v[197:198], v[201:202], v[203:204]
	v_div_fmas_f64 v[197:198], v[197:198], v[199:200], v[201:202]
	s_delay_alu instid0(VALU_DEP_1) | instskip(NEXT) | instid1(VALU_DEP_1)
	v_div_fixup_f64 v[197:198], v[197:198], v[180:181], v[182:183]
	v_fma_f64 v[180:181], v[182:183], v[197:198], v[180:181]
	s_delay_alu instid0(VALU_DEP_1) | instskip(NEXT) | instid1(VALU_DEP_1)
	v_div_scale_f64 v[182:183], null, v[180:181], v[180:181], 1.0
	v_rcp_f64_e32 v[199:200], v[182:183]
	s_waitcnt_depctr 0xfff
	v_fma_f64 v[201:202], -v[182:183], v[199:200], 1.0
	s_delay_alu instid0(VALU_DEP_1) | instskip(NEXT) | instid1(VALU_DEP_1)
	v_fma_f64 v[199:200], v[199:200], v[201:202], v[199:200]
	v_fma_f64 v[201:202], -v[182:183], v[199:200], 1.0
	s_delay_alu instid0(VALU_DEP_1) | instskip(SKIP_1) | instid1(VALU_DEP_1)
	v_fma_f64 v[199:200], v[199:200], v[201:202], v[199:200]
	v_div_scale_f64 v[201:202], vcc_lo, 1.0, v[180:181], 1.0
	v_mul_f64 v[203:204], v[201:202], v[199:200]
	s_delay_alu instid0(VALU_DEP_1) | instskip(NEXT) | instid1(VALU_DEP_1)
	v_fma_f64 v[182:183], -v[182:183], v[203:204], v[201:202]
	v_div_fmas_f64 v[182:183], v[182:183], v[199:200], v[203:204]
	s_delay_alu instid0(VALU_DEP_1) | instskip(NEXT) | instid1(VALU_DEP_1)
	v_div_fixup_f64 v[180:181], v[182:183], v[180:181], 1.0
	v_mul_f64 v[182:183], v[197:198], -v[180:181]
.LBB88_828:
	s_or_b32 exec_lo, exec_lo, s2
.LBB88_829:
	s_delay_alu instid0(SALU_CYCLE_1) | instskip(NEXT) | instid1(SALU_CYCLE_1)
	s_or_b32 exec_lo, exec_lo, s3
	s_mov_b32 s2, exec_lo
	v_cmpx_ne_u32_e64 v196, v188
	s_xor_b32 s2, exec_lo, s2
	s_cbranch_execz .LBB88_835
; %bb.830:
	s_mov_b32 s3, exec_lo
	v_cmpx_eq_u32_e32 39, v196
	s_cbranch_execz .LBB88_834
; %bb.831:
	v_cmp_ne_u32_e32 vcc_lo, 39, v188
	s_xor_b32 s6, s4, -1
	s_delay_alu instid0(SALU_CYCLE_1) | instskip(NEXT) | instid1(SALU_CYCLE_1)
	s_and_b32 s7, s6, vcc_lo
	s_and_saveexec_b32 s6, s7
	s_cbranch_execz .LBB88_833
; %bb.832:
	v_ashrrev_i32_e32 v189, 31, v188
	s_delay_alu instid0(VALU_DEP_1) | instskip(NEXT) | instid1(VALU_DEP_1)
	v_lshlrev_b64 v[196:197], 2, v[188:189]
	v_add_co_u32 v196, vcc_lo, v186, v196
	s_delay_alu instid0(VALU_DEP_2)
	v_add_co_ci_u32_e32 v197, vcc_lo, v187, v197, vcc_lo
	s_clause 0x1
	flat_load_b32 v189, v[196:197]
	flat_load_b32 v194, v[186:187] offset:156
	s_waitcnt vmcnt(1) lgkmcnt(1)
	flat_store_b32 v[186:187], v189 offset:156
	s_waitcnt vmcnt(0) lgkmcnt(1)
	flat_store_b32 v[196:197], v194
.LBB88_833:
	s_or_b32 exec_lo, exec_lo, s6
	v_mov_b32_e32 v196, v188
	v_mov_b32_e32 v194, v188
.LBB88_834:
	s_or_b32 exec_lo, exec_lo, s3
.LBB88_835:
	s_and_not1_saveexec_b32 s2, s2
	s_cbranch_execz .LBB88_837
; %bb.836:
	v_mov_b32_e32 v196, 39
	ds_store_2addr_b64 v190, v[16:17], v[18:19] offset0:80 offset1:81
	ds_store_2addr_b64 v190, v[12:13], v[14:15] offset0:82 offset1:83
	;; [unrolled: 1-line block ×5, first 2 shown]
.LBB88_837:
	s_or_b32 exec_lo, exec_lo, s2
	s_delay_alu instid0(SALU_CYCLE_1)
	s_mov_b32 s2, exec_lo
	s_waitcnt lgkmcnt(0)
	s_waitcnt_vscnt null, 0x0
	s_barrier
	buffer_gl0_inv
	v_cmpx_lt_i32_e32 39, v196
	s_cbranch_execz .LBB88_839
; %bb.838:
	v_mul_f64 v[188:189], v[180:181], v[22:23]
	v_mul_f64 v[22:23], v[182:183], v[22:23]
	ds_load_2addr_b64 v[197:200], v190 offset0:80 offset1:81
	ds_load_2addr_b64 v[201:204], v190 offset0:82 offset1:83
	;; [unrolled: 1-line block ×5, first 2 shown]
	v_fma_f64 v[182:183], v[182:183], v[20:21], v[188:189]
	v_fma_f64 v[20:21], v[180:181], v[20:21], -v[22:23]
	s_waitcnt lgkmcnt(4)
	s_delay_alu instid0(VALU_DEP_2)
	v_mul_f64 v[22:23], v[199:200], v[182:183]
	v_mul_f64 v[180:181], v[197:198], v[182:183]
	s_waitcnt lgkmcnt(3)
	v_mul_f64 v[188:189], v[203:204], v[182:183]
	v_mul_f64 v[217:218], v[201:202], v[182:183]
	s_waitcnt lgkmcnt(2)
	;; [unrolled: 3-line block ×4, first 2 shown]
	v_mul_f64 v[227:228], v[215:216], v[182:183]
	v_mul_f64 v[229:230], v[213:214], v[182:183]
	v_fma_f64 v[22:23], v[197:198], v[20:21], -v[22:23]
	v_fma_f64 v[180:181], v[199:200], v[20:21], v[180:181]
	v_fma_f64 v[188:189], v[201:202], v[20:21], -v[188:189]
	v_fma_f64 v[197:198], v[203:204], v[20:21], v[217:218]
	;; [unrolled: 2-line block ×5, first 2 shown]
	v_add_f64 v[16:17], v[16:17], -v[22:23]
	v_add_f64 v[18:19], v[18:19], -v[180:181]
	;; [unrolled: 1-line block ×10, first 2 shown]
	v_dual_mov_b32 v22, v182 :: v_dual_mov_b32 v23, v183
.LBB88_839:
	s_or_b32 exec_lo, exec_lo, s2
	v_lshl_add_u32 v180, v196, 4, v190
	s_barrier
	buffer_gl0_inv
	v_mov_b32_e32 v188, 40
	ds_store_2addr_b64 v180, v[16:17], v[18:19] offset1:1
	s_waitcnt lgkmcnt(0)
	s_barrier
	buffer_gl0_inv
	ds_load_2addr_b64 v[180:183], v190 offset0:80 offset1:81
	s_cmp_lt_i32 s5, 42
	s_cbranch_scc1 .LBB88_842
; %bb.840:
	v_add3_u32 v189, v195, 0, 0x290
	v_mov_b32_e32 v188, 40
	s_mov_b32 s6, 41
	s_set_inst_prefetch_distance 0x1
	.p2align	6
.LBB88_841:                             ; =>This Inner Loop Header: Depth=1
	ds_load_2addr_b64 v[197:200], v189 offset1:1
	s_waitcnt lgkmcnt(1)
	v_cmp_gt_f64_e32 vcc_lo, 0, v[180:181]
	v_xor_b32_e32 v201, 0x80000000, v181
	v_cmp_gt_f64_e64 s2, 0, v[182:183]
	v_xor_b32_e32 v203, 0x80000000, v183
	v_add_nc_u32_e32 v189, 16, v189
	s_waitcnt lgkmcnt(0)
	v_cmp_gt_f64_e64 s3, 0, v[197:198]
	v_mov_b32_e32 v205, v197
	v_dual_mov_b32 v207, v199 :: v_dual_cndmask_b32 v202, v181, v201
	v_xor_b32_e32 v201, 0x80000000, v198
	v_cndmask_b32_e64 v204, v183, v203, s2
	v_xor_b32_e32 v203, 0x80000000, v200
	s_delay_alu instid0(VALU_DEP_3) | instskip(SKIP_2) | instid1(VALU_DEP_2)
	v_cndmask_b32_e64 v206, v198, v201, s3
	v_cmp_gt_f64_e64 s3, 0, v[199:200]
	v_cndmask_b32_e32 v201, v180, v180, vcc_lo
	v_cndmask_b32_e64 v208, v200, v203, s3
	v_cndmask_b32_e64 v203, v182, v182, s2
	s_delay_alu instid0(VALU_DEP_2) | instskip(NEXT) | instid1(VALU_DEP_2)
	v_add_f64 v[205:206], v[205:206], v[207:208]
	v_add_f64 v[201:202], v[201:202], v[203:204]
	s_delay_alu instid0(VALU_DEP_1) | instskip(SKIP_4) | instid1(SALU_CYCLE_1)
	v_cmp_lt_f64_e32 vcc_lo, v[201:202], v[205:206]
	v_dual_cndmask_b32 v182, v182, v199 :: v_dual_cndmask_b32 v181, v181, v198
	v_dual_cndmask_b32 v180, v180, v197 :: v_dual_cndmask_b32 v183, v183, v200
	v_cndmask_b32_e64 v188, v188, s6, vcc_lo
	s_add_i32 s6, s6, 1
	s_cmp_lg_u32 s5, s6
	s_cbranch_scc1 .LBB88_841
.LBB88_842:
	s_set_inst_prefetch_distance 0x2
	s_waitcnt lgkmcnt(0)
	v_cmp_eq_f64_e32 vcc_lo, 0, v[180:181]
	v_cmp_eq_f64_e64 s2, 0, v[182:183]
	s_delay_alu instid0(VALU_DEP_1) | instskip(NEXT) | instid1(SALU_CYCLE_1)
	s_and_b32 s2, vcc_lo, s2
	s_and_saveexec_b32 s3, s2
	s_delay_alu instid0(SALU_CYCLE_1)
	s_xor_b32 s2, exec_lo, s3
; %bb.843:
	v_cmp_ne_u32_e32 vcc_lo, 0, v193
	v_cndmask_b32_e32 v193, 41, v193, vcc_lo
; %bb.844:
	s_and_not1_saveexec_b32 s3, s2
	s_cbranch_execz .LBB88_850
; %bb.845:
	v_cmp_gt_f64_e32 vcc_lo, 0, v[180:181]
	v_cmp_gt_f64_e64 s2, 0, v[182:183]
	v_xor_b32_e32 v189, 0x80000000, v181
	v_xor_b32_e32 v197, 0x80000000, v183
	s_delay_alu instid0(VALU_DEP_2) | instskip(NEXT) | instid1(VALU_DEP_2)
	v_cndmask_b32_e32 v198, v181, v189, vcc_lo
	v_cndmask_b32_e64 v200, v183, v197, s2
	v_cndmask_b32_e32 v197, v180, v180, vcc_lo
	v_cndmask_b32_e64 v199, v182, v182, s2
	s_mov_b32 s2, exec_lo
	s_delay_alu instid0(VALU_DEP_1)
	v_cmpx_ngt_f64_e32 v[197:198], v[199:200]
	s_xor_b32 s2, exec_lo, s2
	s_cbranch_execz .LBB88_847
; %bb.846:
	v_div_scale_f64 v[197:198], null, v[182:183], v[182:183], v[180:181]
	v_div_scale_f64 v[203:204], vcc_lo, v[180:181], v[182:183], v[180:181]
	s_delay_alu instid0(VALU_DEP_2) | instskip(SKIP_2) | instid1(VALU_DEP_1)
	v_rcp_f64_e32 v[199:200], v[197:198]
	s_waitcnt_depctr 0xfff
	v_fma_f64 v[201:202], -v[197:198], v[199:200], 1.0
	v_fma_f64 v[199:200], v[199:200], v[201:202], v[199:200]
	s_delay_alu instid0(VALU_DEP_1) | instskip(NEXT) | instid1(VALU_DEP_1)
	v_fma_f64 v[201:202], -v[197:198], v[199:200], 1.0
	v_fma_f64 v[199:200], v[199:200], v[201:202], v[199:200]
	s_delay_alu instid0(VALU_DEP_1) | instskip(NEXT) | instid1(VALU_DEP_1)
	v_mul_f64 v[201:202], v[203:204], v[199:200]
	v_fma_f64 v[197:198], -v[197:198], v[201:202], v[203:204]
	s_delay_alu instid0(VALU_DEP_1) | instskip(NEXT) | instid1(VALU_DEP_1)
	v_div_fmas_f64 v[197:198], v[197:198], v[199:200], v[201:202]
	v_div_fixup_f64 v[197:198], v[197:198], v[182:183], v[180:181]
	s_delay_alu instid0(VALU_DEP_1) | instskip(NEXT) | instid1(VALU_DEP_1)
	v_fma_f64 v[180:181], v[180:181], v[197:198], v[182:183]
	v_div_scale_f64 v[182:183], null, v[180:181], v[180:181], 1.0
	s_delay_alu instid0(VALU_DEP_1) | instskip(SKIP_2) | instid1(VALU_DEP_1)
	v_rcp_f64_e32 v[199:200], v[182:183]
	s_waitcnt_depctr 0xfff
	v_fma_f64 v[201:202], -v[182:183], v[199:200], 1.0
	v_fma_f64 v[199:200], v[199:200], v[201:202], v[199:200]
	s_delay_alu instid0(VALU_DEP_1) | instskip(NEXT) | instid1(VALU_DEP_1)
	v_fma_f64 v[201:202], -v[182:183], v[199:200], 1.0
	v_fma_f64 v[199:200], v[199:200], v[201:202], v[199:200]
	v_div_scale_f64 v[201:202], vcc_lo, 1.0, v[180:181], 1.0
	s_delay_alu instid0(VALU_DEP_1) | instskip(NEXT) | instid1(VALU_DEP_1)
	v_mul_f64 v[203:204], v[201:202], v[199:200]
	v_fma_f64 v[182:183], -v[182:183], v[203:204], v[201:202]
	s_delay_alu instid0(VALU_DEP_1) | instskip(NEXT) | instid1(VALU_DEP_1)
	v_div_fmas_f64 v[182:183], v[182:183], v[199:200], v[203:204]
	v_div_fixup_f64 v[182:183], v[182:183], v[180:181], 1.0
	s_delay_alu instid0(VALU_DEP_1)
	v_mul_f64 v[180:181], v[197:198], v[182:183]
	v_xor_b32_e32 v183, 0x80000000, v183
.LBB88_847:
	s_and_not1_saveexec_b32 s2, s2
	s_cbranch_execz .LBB88_849
; %bb.848:
	s_delay_alu instid0(VALU_DEP_1) | instskip(SKIP_1) | instid1(VALU_DEP_2)
	v_div_scale_f64 v[197:198], null, v[180:181], v[180:181], v[182:183]
	v_div_scale_f64 v[203:204], vcc_lo, v[182:183], v[180:181], v[182:183]
	v_rcp_f64_e32 v[199:200], v[197:198]
	s_waitcnt_depctr 0xfff
	v_fma_f64 v[201:202], -v[197:198], v[199:200], 1.0
	s_delay_alu instid0(VALU_DEP_1) | instskip(NEXT) | instid1(VALU_DEP_1)
	v_fma_f64 v[199:200], v[199:200], v[201:202], v[199:200]
	v_fma_f64 v[201:202], -v[197:198], v[199:200], 1.0
	s_delay_alu instid0(VALU_DEP_1) | instskip(NEXT) | instid1(VALU_DEP_1)
	v_fma_f64 v[199:200], v[199:200], v[201:202], v[199:200]
	v_mul_f64 v[201:202], v[203:204], v[199:200]
	s_delay_alu instid0(VALU_DEP_1) | instskip(NEXT) | instid1(VALU_DEP_1)
	v_fma_f64 v[197:198], -v[197:198], v[201:202], v[203:204]
	v_div_fmas_f64 v[197:198], v[197:198], v[199:200], v[201:202]
	s_delay_alu instid0(VALU_DEP_1) | instskip(NEXT) | instid1(VALU_DEP_1)
	v_div_fixup_f64 v[197:198], v[197:198], v[180:181], v[182:183]
	v_fma_f64 v[180:181], v[182:183], v[197:198], v[180:181]
	s_delay_alu instid0(VALU_DEP_1) | instskip(NEXT) | instid1(VALU_DEP_1)
	v_div_scale_f64 v[182:183], null, v[180:181], v[180:181], 1.0
	v_rcp_f64_e32 v[199:200], v[182:183]
	s_waitcnt_depctr 0xfff
	v_fma_f64 v[201:202], -v[182:183], v[199:200], 1.0
	s_delay_alu instid0(VALU_DEP_1) | instskip(NEXT) | instid1(VALU_DEP_1)
	v_fma_f64 v[199:200], v[199:200], v[201:202], v[199:200]
	v_fma_f64 v[201:202], -v[182:183], v[199:200], 1.0
	s_delay_alu instid0(VALU_DEP_1) | instskip(SKIP_1) | instid1(VALU_DEP_1)
	v_fma_f64 v[199:200], v[199:200], v[201:202], v[199:200]
	v_div_scale_f64 v[201:202], vcc_lo, 1.0, v[180:181], 1.0
	v_mul_f64 v[203:204], v[201:202], v[199:200]
	s_delay_alu instid0(VALU_DEP_1) | instskip(NEXT) | instid1(VALU_DEP_1)
	v_fma_f64 v[182:183], -v[182:183], v[203:204], v[201:202]
	v_div_fmas_f64 v[182:183], v[182:183], v[199:200], v[203:204]
	s_delay_alu instid0(VALU_DEP_1) | instskip(NEXT) | instid1(VALU_DEP_1)
	v_div_fixup_f64 v[180:181], v[182:183], v[180:181], 1.0
	v_mul_f64 v[182:183], v[197:198], -v[180:181]
.LBB88_849:
	s_or_b32 exec_lo, exec_lo, s2
.LBB88_850:
	s_delay_alu instid0(SALU_CYCLE_1) | instskip(NEXT) | instid1(SALU_CYCLE_1)
	s_or_b32 exec_lo, exec_lo, s3
	s_mov_b32 s2, exec_lo
	v_cmpx_ne_u32_e64 v196, v188
	s_xor_b32 s2, exec_lo, s2
	s_cbranch_execz .LBB88_856
; %bb.851:
	s_mov_b32 s3, exec_lo
	v_cmpx_eq_u32_e32 40, v196
	s_cbranch_execz .LBB88_855
; %bb.852:
	v_cmp_ne_u32_e32 vcc_lo, 40, v188
	s_xor_b32 s6, s4, -1
	s_delay_alu instid0(SALU_CYCLE_1) | instskip(NEXT) | instid1(SALU_CYCLE_1)
	s_and_b32 s7, s6, vcc_lo
	s_and_saveexec_b32 s6, s7
	s_cbranch_execz .LBB88_854
; %bb.853:
	v_ashrrev_i32_e32 v189, 31, v188
	s_delay_alu instid0(VALU_DEP_1) | instskip(NEXT) | instid1(VALU_DEP_1)
	v_lshlrev_b64 v[196:197], 2, v[188:189]
	v_add_co_u32 v196, vcc_lo, v186, v196
	s_delay_alu instid0(VALU_DEP_2)
	v_add_co_ci_u32_e32 v197, vcc_lo, v187, v197, vcc_lo
	s_clause 0x1
	flat_load_b32 v189, v[196:197]
	flat_load_b32 v194, v[186:187] offset:160
	s_waitcnt vmcnt(1) lgkmcnt(1)
	flat_store_b32 v[186:187], v189 offset:160
	s_waitcnt vmcnt(0) lgkmcnt(1)
	flat_store_b32 v[196:197], v194
.LBB88_854:
	s_or_b32 exec_lo, exec_lo, s6
	v_mov_b32_e32 v196, v188
	v_mov_b32_e32 v194, v188
.LBB88_855:
	s_or_b32 exec_lo, exec_lo, s3
.LBB88_856:
	s_and_not1_saveexec_b32 s2, s2
	s_cbranch_execz .LBB88_858
; %bb.857:
	v_mov_b32_e32 v196, 40
	ds_store_2addr_b64 v190, v[12:13], v[14:15] offset0:82 offset1:83
	ds_store_2addr_b64 v190, v[8:9], v[10:11] offset0:84 offset1:85
	;; [unrolled: 1-line block ×4, first 2 shown]
.LBB88_858:
	s_or_b32 exec_lo, exec_lo, s2
	s_delay_alu instid0(SALU_CYCLE_1)
	s_mov_b32 s2, exec_lo
	s_waitcnt lgkmcnt(0)
	s_waitcnt_vscnt null, 0x0
	s_barrier
	buffer_gl0_inv
	v_cmpx_lt_i32_e32 40, v196
	s_cbranch_execz .LBB88_860
; %bb.859:
	v_mul_f64 v[188:189], v[180:181], v[18:19]
	v_mul_f64 v[18:19], v[182:183], v[18:19]
	ds_load_2addr_b64 v[197:200], v190 offset0:82 offset1:83
	ds_load_2addr_b64 v[201:204], v190 offset0:84 offset1:85
	;; [unrolled: 1-line block ×4, first 2 shown]
	v_fma_f64 v[182:183], v[182:183], v[16:17], v[188:189]
	v_fma_f64 v[16:17], v[180:181], v[16:17], -v[18:19]
	s_waitcnt lgkmcnt(3)
	s_delay_alu instid0(VALU_DEP_2)
	v_mul_f64 v[18:19], v[199:200], v[182:183]
	v_mul_f64 v[180:181], v[197:198], v[182:183]
	s_waitcnt lgkmcnt(2)
	v_mul_f64 v[188:189], v[203:204], v[182:183]
	v_mul_f64 v[213:214], v[201:202], v[182:183]
	s_waitcnt lgkmcnt(1)
	;; [unrolled: 3-line block ×3, first 2 shown]
	v_mul_f64 v[219:220], v[211:212], v[182:183]
	v_mul_f64 v[221:222], v[209:210], v[182:183]
	v_fma_f64 v[18:19], v[197:198], v[16:17], -v[18:19]
	v_fma_f64 v[180:181], v[199:200], v[16:17], v[180:181]
	v_fma_f64 v[188:189], v[201:202], v[16:17], -v[188:189]
	v_fma_f64 v[197:198], v[203:204], v[16:17], v[213:214]
	;; [unrolled: 2-line block ×4, first 2 shown]
	v_add_f64 v[12:13], v[12:13], -v[18:19]
	v_add_f64 v[14:15], v[14:15], -v[180:181]
	;; [unrolled: 1-line block ×8, first 2 shown]
	v_dual_mov_b32 v18, v182 :: v_dual_mov_b32 v19, v183
.LBB88_860:
	s_or_b32 exec_lo, exec_lo, s2
	v_lshl_add_u32 v180, v196, 4, v190
	s_barrier
	buffer_gl0_inv
	v_mov_b32_e32 v188, 41
	ds_store_2addr_b64 v180, v[12:13], v[14:15] offset1:1
	s_waitcnt lgkmcnt(0)
	s_barrier
	buffer_gl0_inv
	ds_load_2addr_b64 v[180:183], v190 offset0:82 offset1:83
	s_cmp_lt_i32 s5, 43
	s_cbranch_scc1 .LBB88_863
; %bb.861:
	v_add3_u32 v189, v195, 0, 0x2a0
	v_mov_b32_e32 v188, 41
	s_mov_b32 s6, 42
	s_set_inst_prefetch_distance 0x1
	.p2align	6
.LBB88_862:                             ; =>This Inner Loop Header: Depth=1
	ds_load_2addr_b64 v[197:200], v189 offset1:1
	s_waitcnt lgkmcnt(1)
	v_cmp_gt_f64_e32 vcc_lo, 0, v[180:181]
	v_xor_b32_e32 v201, 0x80000000, v181
	v_cmp_gt_f64_e64 s2, 0, v[182:183]
	v_xor_b32_e32 v203, 0x80000000, v183
	v_add_nc_u32_e32 v189, 16, v189
	s_waitcnt lgkmcnt(0)
	v_cmp_gt_f64_e64 s3, 0, v[197:198]
	v_mov_b32_e32 v205, v197
	v_dual_mov_b32 v207, v199 :: v_dual_cndmask_b32 v202, v181, v201
	v_xor_b32_e32 v201, 0x80000000, v198
	v_cndmask_b32_e64 v204, v183, v203, s2
	v_xor_b32_e32 v203, 0x80000000, v200
	s_delay_alu instid0(VALU_DEP_3) | instskip(SKIP_2) | instid1(VALU_DEP_2)
	v_cndmask_b32_e64 v206, v198, v201, s3
	v_cmp_gt_f64_e64 s3, 0, v[199:200]
	v_cndmask_b32_e32 v201, v180, v180, vcc_lo
	v_cndmask_b32_e64 v208, v200, v203, s3
	v_cndmask_b32_e64 v203, v182, v182, s2
	s_delay_alu instid0(VALU_DEP_2) | instskip(NEXT) | instid1(VALU_DEP_2)
	v_add_f64 v[205:206], v[205:206], v[207:208]
	v_add_f64 v[201:202], v[201:202], v[203:204]
	s_delay_alu instid0(VALU_DEP_1) | instskip(SKIP_4) | instid1(SALU_CYCLE_1)
	v_cmp_lt_f64_e32 vcc_lo, v[201:202], v[205:206]
	v_dual_cndmask_b32 v182, v182, v199 :: v_dual_cndmask_b32 v181, v181, v198
	v_dual_cndmask_b32 v180, v180, v197 :: v_dual_cndmask_b32 v183, v183, v200
	v_cndmask_b32_e64 v188, v188, s6, vcc_lo
	s_add_i32 s6, s6, 1
	s_cmp_lg_u32 s5, s6
	s_cbranch_scc1 .LBB88_862
.LBB88_863:
	s_set_inst_prefetch_distance 0x2
	s_waitcnt lgkmcnt(0)
	v_cmp_eq_f64_e32 vcc_lo, 0, v[180:181]
	v_cmp_eq_f64_e64 s2, 0, v[182:183]
	s_delay_alu instid0(VALU_DEP_1) | instskip(NEXT) | instid1(SALU_CYCLE_1)
	s_and_b32 s2, vcc_lo, s2
	s_and_saveexec_b32 s3, s2
	s_delay_alu instid0(SALU_CYCLE_1)
	s_xor_b32 s2, exec_lo, s3
; %bb.864:
	v_cmp_ne_u32_e32 vcc_lo, 0, v193
	v_cndmask_b32_e32 v193, 42, v193, vcc_lo
; %bb.865:
	s_and_not1_saveexec_b32 s3, s2
	s_cbranch_execz .LBB88_871
; %bb.866:
	v_cmp_gt_f64_e32 vcc_lo, 0, v[180:181]
	v_cmp_gt_f64_e64 s2, 0, v[182:183]
	v_xor_b32_e32 v189, 0x80000000, v181
	v_xor_b32_e32 v197, 0x80000000, v183
	s_delay_alu instid0(VALU_DEP_2) | instskip(NEXT) | instid1(VALU_DEP_2)
	v_cndmask_b32_e32 v198, v181, v189, vcc_lo
	v_cndmask_b32_e64 v200, v183, v197, s2
	v_cndmask_b32_e32 v197, v180, v180, vcc_lo
	v_cndmask_b32_e64 v199, v182, v182, s2
	s_mov_b32 s2, exec_lo
	s_delay_alu instid0(VALU_DEP_1)
	v_cmpx_ngt_f64_e32 v[197:198], v[199:200]
	s_xor_b32 s2, exec_lo, s2
	s_cbranch_execz .LBB88_868
; %bb.867:
	v_div_scale_f64 v[197:198], null, v[182:183], v[182:183], v[180:181]
	v_div_scale_f64 v[203:204], vcc_lo, v[180:181], v[182:183], v[180:181]
	s_delay_alu instid0(VALU_DEP_2) | instskip(SKIP_2) | instid1(VALU_DEP_1)
	v_rcp_f64_e32 v[199:200], v[197:198]
	s_waitcnt_depctr 0xfff
	v_fma_f64 v[201:202], -v[197:198], v[199:200], 1.0
	v_fma_f64 v[199:200], v[199:200], v[201:202], v[199:200]
	s_delay_alu instid0(VALU_DEP_1) | instskip(NEXT) | instid1(VALU_DEP_1)
	v_fma_f64 v[201:202], -v[197:198], v[199:200], 1.0
	v_fma_f64 v[199:200], v[199:200], v[201:202], v[199:200]
	s_delay_alu instid0(VALU_DEP_1) | instskip(NEXT) | instid1(VALU_DEP_1)
	v_mul_f64 v[201:202], v[203:204], v[199:200]
	v_fma_f64 v[197:198], -v[197:198], v[201:202], v[203:204]
	s_delay_alu instid0(VALU_DEP_1) | instskip(NEXT) | instid1(VALU_DEP_1)
	v_div_fmas_f64 v[197:198], v[197:198], v[199:200], v[201:202]
	v_div_fixup_f64 v[197:198], v[197:198], v[182:183], v[180:181]
	s_delay_alu instid0(VALU_DEP_1) | instskip(NEXT) | instid1(VALU_DEP_1)
	v_fma_f64 v[180:181], v[180:181], v[197:198], v[182:183]
	v_div_scale_f64 v[182:183], null, v[180:181], v[180:181], 1.0
	s_delay_alu instid0(VALU_DEP_1) | instskip(SKIP_2) | instid1(VALU_DEP_1)
	v_rcp_f64_e32 v[199:200], v[182:183]
	s_waitcnt_depctr 0xfff
	v_fma_f64 v[201:202], -v[182:183], v[199:200], 1.0
	v_fma_f64 v[199:200], v[199:200], v[201:202], v[199:200]
	s_delay_alu instid0(VALU_DEP_1) | instskip(NEXT) | instid1(VALU_DEP_1)
	v_fma_f64 v[201:202], -v[182:183], v[199:200], 1.0
	v_fma_f64 v[199:200], v[199:200], v[201:202], v[199:200]
	v_div_scale_f64 v[201:202], vcc_lo, 1.0, v[180:181], 1.0
	s_delay_alu instid0(VALU_DEP_1) | instskip(NEXT) | instid1(VALU_DEP_1)
	v_mul_f64 v[203:204], v[201:202], v[199:200]
	v_fma_f64 v[182:183], -v[182:183], v[203:204], v[201:202]
	s_delay_alu instid0(VALU_DEP_1) | instskip(NEXT) | instid1(VALU_DEP_1)
	v_div_fmas_f64 v[182:183], v[182:183], v[199:200], v[203:204]
	v_div_fixup_f64 v[182:183], v[182:183], v[180:181], 1.0
	s_delay_alu instid0(VALU_DEP_1)
	v_mul_f64 v[180:181], v[197:198], v[182:183]
	v_xor_b32_e32 v183, 0x80000000, v183
.LBB88_868:
	s_and_not1_saveexec_b32 s2, s2
	s_cbranch_execz .LBB88_870
; %bb.869:
	s_delay_alu instid0(VALU_DEP_1) | instskip(SKIP_1) | instid1(VALU_DEP_2)
	v_div_scale_f64 v[197:198], null, v[180:181], v[180:181], v[182:183]
	v_div_scale_f64 v[203:204], vcc_lo, v[182:183], v[180:181], v[182:183]
	v_rcp_f64_e32 v[199:200], v[197:198]
	s_waitcnt_depctr 0xfff
	v_fma_f64 v[201:202], -v[197:198], v[199:200], 1.0
	s_delay_alu instid0(VALU_DEP_1) | instskip(NEXT) | instid1(VALU_DEP_1)
	v_fma_f64 v[199:200], v[199:200], v[201:202], v[199:200]
	v_fma_f64 v[201:202], -v[197:198], v[199:200], 1.0
	s_delay_alu instid0(VALU_DEP_1) | instskip(NEXT) | instid1(VALU_DEP_1)
	v_fma_f64 v[199:200], v[199:200], v[201:202], v[199:200]
	v_mul_f64 v[201:202], v[203:204], v[199:200]
	s_delay_alu instid0(VALU_DEP_1) | instskip(NEXT) | instid1(VALU_DEP_1)
	v_fma_f64 v[197:198], -v[197:198], v[201:202], v[203:204]
	v_div_fmas_f64 v[197:198], v[197:198], v[199:200], v[201:202]
	s_delay_alu instid0(VALU_DEP_1) | instskip(NEXT) | instid1(VALU_DEP_1)
	v_div_fixup_f64 v[197:198], v[197:198], v[180:181], v[182:183]
	v_fma_f64 v[180:181], v[182:183], v[197:198], v[180:181]
	s_delay_alu instid0(VALU_DEP_1) | instskip(NEXT) | instid1(VALU_DEP_1)
	v_div_scale_f64 v[182:183], null, v[180:181], v[180:181], 1.0
	v_rcp_f64_e32 v[199:200], v[182:183]
	s_waitcnt_depctr 0xfff
	v_fma_f64 v[201:202], -v[182:183], v[199:200], 1.0
	s_delay_alu instid0(VALU_DEP_1) | instskip(NEXT) | instid1(VALU_DEP_1)
	v_fma_f64 v[199:200], v[199:200], v[201:202], v[199:200]
	v_fma_f64 v[201:202], -v[182:183], v[199:200], 1.0
	s_delay_alu instid0(VALU_DEP_1) | instskip(SKIP_1) | instid1(VALU_DEP_1)
	v_fma_f64 v[199:200], v[199:200], v[201:202], v[199:200]
	v_div_scale_f64 v[201:202], vcc_lo, 1.0, v[180:181], 1.0
	v_mul_f64 v[203:204], v[201:202], v[199:200]
	s_delay_alu instid0(VALU_DEP_1) | instskip(NEXT) | instid1(VALU_DEP_1)
	v_fma_f64 v[182:183], -v[182:183], v[203:204], v[201:202]
	v_div_fmas_f64 v[182:183], v[182:183], v[199:200], v[203:204]
	s_delay_alu instid0(VALU_DEP_1) | instskip(NEXT) | instid1(VALU_DEP_1)
	v_div_fixup_f64 v[180:181], v[182:183], v[180:181], 1.0
	v_mul_f64 v[182:183], v[197:198], -v[180:181]
.LBB88_870:
	s_or_b32 exec_lo, exec_lo, s2
.LBB88_871:
	s_delay_alu instid0(SALU_CYCLE_1) | instskip(NEXT) | instid1(SALU_CYCLE_1)
	s_or_b32 exec_lo, exec_lo, s3
	s_mov_b32 s2, exec_lo
	v_cmpx_ne_u32_e64 v196, v188
	s_xor_b32 s2, exec_lo, s2
	s_cbranch_execz .LBB88_877
; %bb.872:
	s_mov_b32 s3, exec_lo
	v_cmpx_eq_u32_e32 41, v196
	s_cbranch_execz .LBB88_876
; %bb.873:
	v_cmp_ne_u32_e32 vcc_lo, 41, v188
	s_xor_b32 s6, s4, -1
	s_delay_alu instid0(SALU_CYCLE_1) | instskip(NEXT) | instid1(SALU_CYCLE_1)
	s_and_b32 s7, s6, vcc_lo
	s_and_saveexec_b32 s6, s7
	s_cbranch_execz .LBB88_875
; %bb.874:
	v_ashrrev_i32_e32 v189, 31, v188
	s_delay_alu instid0(VALU_DEP_1) | instskip(NEXT) | instid1(VALU_DEP_1)
	v_lshlrev_b64 v[196:197], 2, v[188:189]
	v_add_co_u32 v196, vcc_lo, v186, v196
	s_delay_alu instid0(VALU_DEP_2)
	v_add_co_ci_u32_e32 v197, vcc_lo, v187, v197, vcc_lo
	s_clause 0x1
	flat_load_b32 v189, v[196:197]
	flat_load_b32 v194, v[186:187] offset:164
	s_waitcnt vmcnt(1) lgkmcnt(1)
	flat_store_b32 v[186:187], v189 offset:164
	s_waitcnt vmcnt(0) lgkmcnt(1)
	flat_store_b32 v[196:197], v194
.LBB88_875:
	s_or_b32 exec_lo, exec_lo, s6
	v_mov_b32_e32 v196, v188
	v_mov_b32_e32 v194, v188
.LBB88_876:
	s_or_b32 exec_lo, exec_lo, s3
.LBB88_877:
	s_and_not1_saveexec_b32 s2, s2
	s_cbranch_execz .LBB88_879
; %bb.878:
	v_mov_b32_e32 v196, 41
	ds_store_2addr_b64 v190, v[8:9], v[10:11] offset0:84 offset1:85
	ds_store_2addr_b64 v190, v[4:5], v[6:7] offset0:86 offset1:87
	ds_store_2addr_b64 v190, v[0:1], v[2:3] offset0:88 offset1:89
.LBB88_879:
	s_or_b32 exec_lo, exec_lo, s2
	s_delay_alu instid0(SALU_CYCLE_1)
	s_mov_b32 s2, exec_lo
	s_waitcnt lgkmcnt(0)
	s_waitcnt_vscnt null, 0x0
	s_barrier
	buffer_gl0_inv
	v_cmpx_lt_i32_e32 41, v196
	s_cbranch_execz .LBB88_881
; %bb.880:
	v_mul_f64 v[188:189], v[180:181], v[14:15]
	v_mul_f64 v[14:15], v[182:183], v[14:15]
	ds_load_2addr_b64 v[197:200], v190 offset0:84 offset1:85
	ds_load_2addr_b64 v[201:204], v190 offset0:86 offset1:87
	;; [unrolled: 1-line block ×3, first 2 shown]
	v_fma_f64 v[182:183], v[182:183], v[12:13], v[188:189]
	v_fma_f64 v[12:13], v[180:181], v[12:13], -v[14:15]
	s_waitcnt lgkmcnt(2)
	s_delay_alu instid0(VALU_DEP_2)
	v_mul_f64 v[14:15], v[199:200], v[182:183]
	v_mul_f64 v[180:181], v[197:198], v[182:183]
	s_waitcnt lgkmcnt(1)
	v_mul_f64 v[188:189], v[203:204], v[182:183]
	v_mul_f64 v[209:210], v[201:202], v[182:183]
	s_waitcnt lgkmcnt(0)
	v_mul_f64 v[211:212], v[207:208], v[182:183]
	v_mul_f64 v[213:214], v[205:206], v[182:183]
	v_fma_f64 v[14:15], v[197:198], v[12:13], -v[14:15]
	v_fma_f64 v[180:181], v[199:200], v[12:13], v[180:181]
	v_fma_f64 v[188:189], v[201:202], v[12:13], -v[188:189]
	v_fma_f64 v[197:198], v[203:204], v[12:13], v[209:210]
	;; [unrolled: 2-line block ×3, first 2 shown]
	v_add_f64 v[8:9], v[8:9], -v[14:15]
	v_add_f64 v[10:11], v[10:11], -v[180:181]
	;; [unrolled: 1-line block ×6, first 2 shown]
	v_dual_mov_b32 v14, v182 :: v_dual_mov_b32 v15, v183
.LBB88_881:
	s_or_b32 exec_lo, exec_lo, s2
	v_lshl_add_u32 v180, v196, 4, v190
	s_barrier
	buffer_gl0_inv
	v_mov_b32_e32 v188, 42
	ds_store_2addr_b64 v180, v[8:9], v[10:11] offset1:1
	s_waitcnt lgkmcnt(0)
	s_barrier
	buffer_gl0_inv
	ds_load_2addr_b64 v[180:183], v190 offset0:84 offset1:85
	s_cmp_lt_i32 s5, 44
	s_cbranch_scc1 .LBB88_884
; %bb.882:
	v_add3_u32 v189, v195, 0, 0x2b0
	v_mov_b32_e32 v188, 42
	s_mov_b32 s6, 43
	s_set_inst_prefetch_distance 0x1
	.p2align	6
.LBB88_883:                             ; =>This Inner Loop Header: Depth=1
	ds_load_2addr_b64 v[197:200], v189 offset1:1
	s_waitcnt lgkmcnt(1)
	v_cmp_gt_f64_e32 vcc_lo, 0, v[180:181]
	v_xor_b32_e32 v201, 0x80000000, v181
	v_cmp_gt_f64_e64 s2, 0, v[182:183]
	v_xor_b32_e32 v203, 0x80000000, v183
	v_add_nc_u32_e32 v189, 16, v189
	s_waitcnt lgkmcnt(0)
	v_cmp_gt_f64_e64 s3, 0, v[197:198]
	v_mov_b32_e32 v205, v197
	v_dual_mov_b32 v207, v199 :: v_dual_cndmask_b32 v202, v181, v201
	v_xor_b32_e32 v201, 0x80000000, v198
	v_cndmask_b32_e64 v204, v183, v203, s2
	v_xor_b32_e32 v203, 0x80000000, v200
	s_delay_alu instid0(VALU_DEP_3) | instskip(SKIP_2) | instid1(VALU_DEP_2)
	v_cndmask_b32_e64 v206, v198, v201, s3
	v_cmp_gt_f64_e64 s3, 0, v[199:200]
	v_cndmask_b32_e32 v201, v180, v180, vcc_lo
	v_cndmask_b32_e64 v208, v200, v203, s3
	v_cndmask_b32_e64 v203, v182, v182, s2
	s_delay_alu instid0(VALU_DEP_2) | instskip(NEXT) | instid1(VALU_DEP_2)
	v_add_f64 v[205:206], v[205:206], v[207:208]
	v_add_f64 v[201:202], v[201:202], v[203:204]
	s_delay_alu instid0(VALU_DEP_1) | instskip(SKIP_4) | instid1(SALU_CYCLE_1)
	v_cmp_lt_f64_e32 vcc_lo, v[201:202], v[205:206]
	v_dual_cndmask_b32 v182, v182, v199 :: v_dual_cndmask_b32 v181, v181, v198
	v_dual_cndmask_b32 v180, v180, v197 :: v_dual_cndmask_b32 v183, v183, v200
	v_cndmask_b32_e64 v188, v188, s6, vcc_lo
	s_add_i32 s6, s6, 1
	s_cmp_lg_u32 s5, s6
	s_cbranch_scc1 .LBB88_883
.LBB88_884:
	s_set_inst_prefetch_distance 0x2
	s_waitcnt lgkmcnt(0)
	v_cmp_eq_f64_e32 vcc_lo, 0, v[180:181]
	v_cmp_eq_f64_e64 s2, 0, v[182:183]
	s_delay_alu instid0(VALU_DEP_1) | instskip(NEXT) | instid1(SALU_CYCLE_1)
	s_and_b32 s2, vcc_lo, s2
	s_and_saveexec_b32 s3, s2
	s_delay_alu instid0(SALU_CYCLE_1)
	s_xor_b32 s2, exec_lo, s3
; %bb.885:
	v_cmp_ne_u32_e32 vcc_lo, 0, v193
	v_cndmask_b32_e32 v193, 43, v193, vcc_lo
; %bb.886:
	s_and_not1_saveexec_b32 s3, s2
	s_cbranch_execz .LBB88_892
; %bb.887:
	v_cmp_gt_f64_e32 vcc_lo, 0, v[180:181]
	v_cmp_gt_f64_e64 s2, 0, v[182:183]
	v_xor_b32_e32 v189, 0x80000000, v181
	v_xor_b32_e32 v197, 0x80000000, v183
	s_delay_alu instid0(VALU_DEP_2) | instskip(NEXT) | instid1(VALU_DEP_2)
	v_cndmask_b32_e32 v198, v181, v189, vcc_lo
	v_cndmask_b32_e64 v200, v183, v197, s2
	v_cndmask_b32_e32 v197, v180, v180, vcc_lo
	v_cndmask_b32_e64 v199, v182, v182, s2
	s_mov_b32 s2, exec_lo
	s_delay_alu instid0(VALU_DEP_1)
	v_cmpx_ngt_f64_e32 v[197:198], v[199:200]
	s_xor_b32 s2, exec_lo, s2
	s_cbranch_execz .LBB88_889
; %bb.888:
	v_div_scale_f64 v[197:198], null, v[182:183], v[182:183], v[180:181]
	v_div_scale_f64 v[203:204], vcc_lo, v[180:181], v[182:183], v[180:181]
	s_delay_alu instid0(VALU_DEP_2) | instskip(SKIP_2) | instid1(VALU_DEP_1)
	v_rcp_f64_e32 v[199:200], v[197:198]
	s_waitcnt_depctr 0xfff
	v_fma_f64 v[201:202], -v[197:198], v[199:200], 1.0
	v_fma_f64 v[199:200], v[199:200], v[201:202], v[199:200]
	s_delay_alu instid0(VALU_DEP_1) | instskip(NEXT) | instid1(VALU_DEP_1)
	v_fma_f64 v[201:202], -v[197:198], v[199:200], 1.0
	v_fma_f64 v[199:200], v[199:200], v[201:202], v[199:200]
	s_delay_alu instid0(VALU_DEP_1) | instskip(NEXT) | instid1(VALU_DEP_1)
	v_mul_f64 v[201:202], v[203:204], v[199:200]
	v_fma_f64 v[197:198], -v[197:198], v[201:202], v[203:204]
	s_delay_alu instid0(VALU_DEP_1) | instskip(NEXT) | instid1(VALU_DEP_1)
	v_div_fmas_f64 v[197:198], v[197:198], v[199:200], v[201:202]
	v_div_fixup_f64 v[197:198], v[197:198], v[182:183], v[180:181]
	s_delay_alu instid0(VALU_DEP_1) | instskip(NEXT) | instid1(VALU_DEP_1)
	v_fma_f64 v[180:181], v[180:181], v[197:198], v[182:183]
	v_div_scale_f64 v[182:183], null, v[180:181], v[180:181], 1.0
	s_delay_alu instid0(VALU_DEP_1) | instskip(SKIP_2) | instid1(VALU_DEP_1)
	v_rcp_f64_e32 v[199:200], v[182:183]
	s_waitcnt_depctr 0xfff
	v_fma_f64 v[201:202], -v[182:183], v[199:200], 1.0
	v_fma_f64 v[199:200], v[199:200], v[201:202], v[199:200]
	s_delay_alu instid0(VALU_DEP_1) | instskip(NEXT) | instid1(VALU_DEP_1)
	v_fma_f64 v[201:202], -v[182:183], v[199:200], 1.0
	v_fma_f64 v[199:200], v[199:200], v[201:202], v[199:200]
	v_div_scale_f64 v[201:202], vcc_lo, 1.0, v[180:181], 1.0
	s_delay_alu instid0(VALU_DEP_1) | instskip(NEXT) | instid1(VALU_DEP_1)
	v_mul_f64 v[203:204], v[201:202], v[199:200]
	v_fma_f64 v[182:183], -v[182:183], v[203:204], v[201:202]
	s_delay_alu instid0(VALU_DEP_1) | instskip(NEXT) | instid1(VALU_DEP_1)
	v_div_fmas_f64 v[182:183], v[182:183], v[199:200], v[203:204]
	v_div_fixup_f64 v[182:183], v[182:183], v[180:181], 1.0
	s_delay_alu instid0(VALU_DEP_1)
	v_mul_f64 v[180:181], v[197:198], v[182:183]
	v_xor_b32_e32 v183, 0x80000000, v183
.LBB88_889:
	s_and_not1_saveexec_b32 s2, s2
	s_cbranch_execz .LBB88_891
; %bb.890:
	s_delay_alu instid0(VALU_DEP_1) | instskip(SKIP_1) | instid1(VALU_DEP_2)
	v_div_scale_f64 v[197:198], null, v[180:181], v[180:181], v[182:183]
	v_div_scale_f64 v[203:204], vcc_lo, v[182:183], v[180:181], v[182:183]
	v_rcp_f64_e32 v[199:200], v[197:198]
	s_waitcnt_depctr 0xfff
	v_fma_f64 v[201:202], -v[197:198], v[199:200], 1.0
	s_delay_alu instid0(VALU_DEP_1) | instskip(NEXT) | instid1(VALU_DEP_1)
	v_fma_f64 v[199:200], v[199:200], v[201:202], v[199:200]
	v_fma_f64 v[201:202], -v[197:198], v[199:200], 1.0
	s_delay_alu instid0(VALU_DEP_1) | instskip(NEXT) | instid1(VALU_DEP_1)
	v_fma_f64 v[199:200], v[199:200], v[201:202], v[199:200]
	v_mul_f64 v[201:202], v[203:204], v[199:200]
	s_delay_alu instid0(VALU_DEP_1) | instskip(NEXT) | instid1(VALU_DEP_1)
	v_fma_f64 v[197:198], -v[197:198], v[201:202], v[203:204]
	v_div_fmas_f64 v[197:198], v[197:198], v[199:200], v[201:202]
	s_delay_alu instid0(VALU_DEP_1) | instskip(NEXT) | instid1(VALU_DEP_1)
	v_div_fixup_f64 v[197:198], v[197:198], v[180:181], v[182:183]
	v_fma_f64 v[180:181], v[182:183], v[197:198], v[180:181]
	s_delay_alu instid0(VALU_DEP_1) | instskip(NEXT) | instid1(VALU_DEP_1)
	v_div_scale_f64 v[182:183], null, v[180:181], v[180:181], 1.0
	v_rcp_f64_e32 v[199:200], v[182:183]
	s_waitcnt_depctr 0xfff
	v_fma_f64 v[201:202], -v[182:183], v[199:200], 1.0
	s_delay_alu instid0(VALU_DEP_1) | instskip(NEXT) | instid1(VALU_DEP_1)
	v_fma_f64 v[199:200], v[199:200], v[201:202], v[199:200]
	v_fma_f64 v[201:202], -v[182:183], v[199:200], 1.0
	s_delay_alu instid0(VALU_DEP_1) | instskip(SKIP_1) | instid1(VALU_DEP_1)
	v_fma_f64 v[199:200], v[199:200], v[201:202], v[199:200]
	v_div_scale_f64 v[201:202], vcc_lo, 1.0, v[180:181], 1.0
	v_mul_f64 v[203:204], v[201:202], v[199:200]
	s_delay_alu instid0(VALU_DEP_1) | instskip(NEXT) | instid1(VALU_DEP_1)
	v_fma_f64 v[182:183], -v[182:183], v[203:204], v[201:202]
	v_div_fmas_f64 v[182:183], v[182:183], v[199:200], v[203:204]
	s_delay_alu instid0(VALU_DEP_1) | instskip(NEXT) | instid1(VALU_DEP_1)
	v_div_fixup_f64 v[180:181], v[182:183], v[180:181], 1.0
	v_mul_f64 v[182:183], v[197:198], -v[180:181]
.LBB88_891:
	s_or_b32 exec_lo, exec_lo, s2
.LBB88_892:
	s_delay_alu instid0(SALU_CYCLE_1) | instskip(NEXT) | instid1(SALU_CYCLE_1)
	s_or_b32 exec_lo, exec_lo, s3
	s_mov_b32 s2, exec_lo
	v_cmpx_ne_u32_e64 v196, v188
	s_xor_b32 s2, exec_lo, s2
	s_cbranch_execz .LBB88_898
; %bb.893:
	s_mov_b32 s3, exec_lo
	v_cmpx_eq_u32_e32 42, v196
	s_cbranch_execz .LBB88_897
; %bb.894:
	v_cmp_ne_u32_e32 vcc_lo, 42, v188
	s_xor_b32 s6, s4, -1
	s_delay_alu instid0(SALU_CYCLE_1) | instskip(NEXT) | instid1(SALU_CYCLE_1)
	s_and_b32 s7, s6, vcc_lo
	s_and_saveexec_b32 s6, s7
	s_cbranch_execz .LBB88_896
; %bb.895:
	v_ashrrev_i32_e32 v189, 31, v188
	s_delay_alu instid0(VALU_DEP_1) | instskip(NEXT) | instid1(VALU_DEP_1)
	v_lshlrev_b64 v[196:197], 2, v[188:189]
	v_add_co_u32 v196, vcc_lo, v186, v196
	s_delay_alu instid0(VALU_DEP_2)
	v_add_co_ci_u32_e32 v197, vcc_lo, v187, v197, vcc_lo
	s_clause 0x1
	flat_load_b32 v189, v[196:197]
	flat_load_b32 v194, v[186:187] offset:168
	s_waitcnt vmcnt(1) lgkmcnt(1)
	flat_store_b32 v[186:187], v189 offset:168
	s_waitcnt vmcnt(0) lgkmcnt(1)
	flat_store_b32 v[196:197], v194
.LBB88_896:
	s_or_b32 exec_lo, exec_lo, s6
	v_mov_b32_e32 v196, v188
	v_mov_b32_e32 v194, v188
.LBB88_897:
	s_or_b32 exec_lo, exec_lo, s3
.LBB88_898:
	s_and_not1_saveexec_b32 s2, s2
	s_cbranch_execz .LBB88_900
; %bb.899:
	v_mov_b32_e32 v196, 42
	ds_store_2addr_b64 v190, v[4:5], v[6:7] offset0:86 offset1:87
	ds_store_2addr_b64 v190, v[0:1], v[2:3] offset0:88 offset1:89
.LBB88_900:
	s_or_b32 exec_lo, exec_lo, s2
	s_delay_alu instid0(SALU_CYCLE_1)
	s_mov_b32 s2, exec_lo
	s_waitcnt lgkmcnt(0)
	s_waitcnt_vscnt null, 0x0
	s_barrier
	buffer_gl0_inv
	v_cmpx_lt_i32_e32 42, v196
	s_cbranch_execz .LBB88_902
; %bb.901:
	v_mul_f64 v[188:189], v[180:181], v[10:11]
	v_mul_f64 v[10:11], v[182:183], v[10:11]
	ds_load_2addr_b64 v[197:200], v190 offset0:86 offset1:87
	ds_load_2addr_b64 v[201:204], v190 offset0:88 offset1:89
	v_fma_f64 v[182:183], v[182:183], v[8:9], v[188:189]
	v_fma_f64 v[8:9], v[180:181], v[8:9], -v[10:11]
	s_waitcnt lgkmcnt(1)
	s_delay_alu instid0(VALU_DEP_2) | instskip(SKIP_4) | instid1(VALU_DEP_4)
	v_mul_f64 v[10:11], v[199:200], v[182:183]
	v_mul_f64 v[180:181], v[197:198], v[182:183]
	s_waitcnt lgkmcnt(0)
	v_mul_f64 v[188:189], v[203:204], v[182:183]
	v_mul_f64 v[205:206], v[201:202], v[182:183]
	v_fma_f64 v[10:11], v[197:198], v[8:9], -v[10:11]
	s_delay_alu instid0(VALU_DEP_4) | instskip(NEXT) | instid1(VALU_DEP_4)
	v_fma_f64 v[180:181], v[199:200], v[8:9], v[180:181]
	v_fma_f64 v[188:189], v[201:202], v[8:9], -v[188:189]
	s_delay_alu instid0(VALU_DEP_4) | instskip(NEXT) | instid1(VALU_DEP_4)
	v_fma_f64 v[197:198], v[203:204], v[8:9], v[205:206]
	v_add_f64 v[4:5], v[4:5], -v[10:11]
	s_delay_alu instid0(VALU_DEP_4) | instskip(NEXT) | instid1(VALU_DEP_4)
	v_add_f64 v[6:7], v[6:7], -v[180:181]
	v_add_f64 v[0:1], v[0:1], -v[188:189]
	s_delay_alu instid0(VALU_DEP_4)
	v_add_f64 v[2:3], v[2:3], -v[197:198]
	v_dual_mov_b32 v10, v182 :: v_dual_mov_b32 v11, v183
.LBB88_902:
	s_or_b32 exec_lo, exec_lo, s2
	v_lshl_add_u32 v180, v196, 4, v190
	s_barrier
	buffer_gl0_inv
	v_mov_b32_e32 v188, 43
	ds_store_2addr_b64 v180, v[4:5], v[6:7] offset1:1
	s_waitcnt lgkmcnt(0)
	s_barrier
	buffer_gl0_inv
	ds_load_2addr_b64 v[180:183], v190 offset0:86 offset1:87
	s_cmp_lt_i32 s5, 45
	s_cbranch_scc1 .LBB88_905
; %bb.903:
	v_add3_u32 v189, v195, 0, 0x2c0
	v_mov_b32_e32 v188, 43
	s_mov_b32 s6, 44
	s_set_inst_prefetch_distance 0x1
	.p2align	6
.LBB88_904:                             ; =>This Inner Loop Header: Depth=1
	ds_load_2addr_b64 v[197:200], v189 offset1:1
	s_waitcnt lgkmcnt(1)
	v_cmp_gt_f64_e32 vcc_lo, 0, v[180:181]
	v_xor_b32_e32 v201, 0x80000000, v181
	v_cmp_gt_f64_e64 s2, 0, v[182:183]
	v_xor_b32_e32 v203, 0x80000000, v183
	v_add_nc_u32_e32 v189, 16, v189
	s_waitcnt lgkmcnt(0)
	v_cmp_gt_f64_e64 s3, 0, v[197:198]
	v_mov_b32_e32 v205, v197
	v_dual_mov_b32 v207, v199 :: v_dual_cndmask_b32 v202, v181, v201
	v_xor_b32_e32 v201, 0x80000000, v198
	v_cndmask_b32_e64 v204, v183, v203, s2
	v_xor_b32_e32 v203, 0x80000000, v200
	s_delay_alu instid0(VALU_DEP_3) | instskip(SKIP_2) | instid1(VALU_DEP_2)
	v_cndmask_b32_e64 v206, v198, v201, s3
	v_cmp_gt_f64_e64 s3, 0, v[199:200]
	v_cndmask_b32_e32 v201, v180, v180, vcc_lo
	v_cndmask_b32_e64 v208, v200, v203, s3
	v_cndmask_b32_e64 v203, v182, v182, s2
	s_delay_alu instid0(VALU_DEP_2) | instskip(NEXT) | instid1(VALU_DEP_2)
	v_add_f64 v[205:206], v[205:206], v[207:208]
	v_add_f64 v[201:202], v[201:202], v[203:204]
	s_delay_alu instid0(VALU_DEP_1) | instskip(SKIP_4) | instid1(SALU_CYCLE_1)
	v_cmp_lt_f64_e32 vcc_lo, v[201:202], v[205:206]
	v_dual_cndmask_b32 v182, v182, v199 :: v_dual_cndmask_b32 v181, v181, v198
	v_dual_cndmask_b32 v180, v180, v197 :: v_dual_cndmask_b32 v183, v183, v200
	v_cndmask_b32_e64 v188, v188, s6, vcc_lo
	s_add_i32 s6, s6, 1
	s_cmp_lg_u32 s5, s6
	s_cbranch_scc1 .LBB88_904
.LBB88_905:
	s_set_inst_prefetch_distance 0x2
	s_waitcnt lgkmcnt(0)
	v_cmp_eq_f64_e32 vcc_lo, 0, v[180:181]
	v_cmp_eq_f64_e64 s2, 0, v[182:183]
	s_delay_alu instid0(VALU_DEP_1) | instskip(NEXT) | instid1(SALU_CYCLE_1)
	s_and_b32 s2, vcc_lo, s2
	s_and_saveexec_b32 s3, s2
	s_delay_alu instid0(SALU_CYCLE_1)
	s_xor_b32 s2, exec_lo, s3
; %bb.906:
	v_cmp_ne_u32_e32 vcc_lo, 0, v193
	v_cndmask_b32_e32 v193, 44, v193, vcc_lo
; %bb.907:
	s_and_not1_saveexec_b32 s3, s2
	s_cbranch_execz .LBB88_913
; %bb.908:
	v_cmp_gt_f64_e32 vcc_lo, 0, v[180:181]
	v_cmp_gt_f64_e64 s2, 0, v[182:183]
	v_xor_b32_e32 v189, 0x80000000, v181
	v_xor_b32_e32 v197, 0x80000000, v183
	s_delay_alu instid0(VALU_DEP_2) | instskip(NEXT) | instid1(VALU_DEP_2)
	v_cndmask_b32_e32 v198, v181, v189, vcc_lo
	v_cndmask_b32_e64 v200, v183, v197, s2
	v_cndmask_b32_e32 v197, v180, v180, vcc_lo
	v_cndmask_b32_e64 v199, v182, v182, s2
	s_mov_b32 s2, exec_lo
	s_delay_alu instid0(VALU_DEP_1)
	v_cmpx_ngt_f64_e32 v[197:198], v[199:200]
	s_xor_b32 s2, exec_lo, s2
	s_cbranch_execz .LBB88_910
; %bb.909:
	v_div_scale_f64 v[197:198], null, v[182:183], v[182:183], v[180:181]
	v_div_scale_f64 v[203:204], vcc_lo, v[180:181], v[182:183], v[180:181]
	s_delay_alu instid0(VALU_DEP_2) | instskip(SKIP_2) | instid1(VALU_DEP_1)
	v_rcp_f64_e32 v[199:200], v[197:198]
	s_waitcnt_depctr 0xfff
	v_fma_f64 v[201:202], -v[197:198], v[199:200], 1.0
	v_fma_f64 v[199:200], v[199:200], v[201:202], v[199:200]
	s_delay_alu instid0(VALU_DEP_1) | instskip(NEXT) | instid1(VALU_DEP_1)
	v_fma_f64 v[201:202], -v[197:198], v[199:200], 1.0
	v_fma_f64 v[199:200], v[199:200], v[201:202], v[199:200]
	s_delay_alu instid0(VALU_DEP_1) | instskip(NEXT) | instid1(VALU_DEP_1)
	v_mul_f64 v[201:202], v[203:204], v[199:200]
	v_fma_f64 v[197:198], -v[197:198], v[201:202], v[203:204]
	s_delay_alu instid0(VALU_DEP_1) | instskip(NEXT) | instid1(VALU_DEP_1)
	v_div_fmas_f64 v[197:198], v[197:198], v[199:200], v[201:202]
	v_div_fixup_f64 v[197:198], v[197:198], v[182:183], v[180:181]
	s_delay_alu instid0(VALU_DEP_1) | instskip(NEXT) | instid1(VALU_DEP_1)
	v_fma_f64 v[180:181], v[180:181], v[197:198], v[182:183]
	v_div_scale_f64 v[182:183], null, v[180:181], v[180:181], 1.0
	s_delay_alu instid0(VALU_DEP_1) | instskip(SKIP_2) | instid1(VALU_DEP_1)
	v_rcp_f64_e32 v[199:200], v[182:183]
	s_waitcnt_depctr 0xfff
	v_fma_f64 v[201:202], -v[182:183], v[199:200], 1.0
	v_fma_f64 v[199:200], v[199:200], v[201:202], v[199:200]
	s_delay_alu instid0(VALU_DEP_1) | instskip(NEXT) | instid1(VALU_DEP_1)
	v_fma_f64 v[201:202], -v[182:183], v[199:200], 1.0
	v_fma_f64 v[199:200], v[199:200], v[201:202], v[199:200]
	v_div_scale_f64 v[201:202], vcc_lo, 1.0, v[180:181], 1.0
	s_delay_alu instid0(VALU_DEP_1) | instskip(NEXT) | instid1(VALU_DEP_1)
	v_mul_f64 v[203:204], v[201:202], v[199:200]
	v_fma_f64 v[182:183], -v[182:183], v[203:204], v[201:202]
	s_delay_alu instid0(VALU_DEP_1) | instskip(NEXT) | instid1(VALU_DEP_1)
	v_div_fmas_f64 v[182:183], v[182:183], v[199:200], v[203:204]
	v_div_fixup_f64 v[182:183], v[182:183], v[180:181], 1.0
	s_delay_alu instid0(VALU_DEP_1)
	v_mul_f64 v[180:181], v[197:198], v[182:183]
	v_xor_b32_e32 v183, 0x80000000, v183
.LBB88_910:
	s_and_not1_saveexec_b32 s2, s2
	s_cbranch_execz .LBB88_912
; %bb.911:
	s_delay_alu instid0(VALU_DEP_1) | instskip(SKIP_1) | instid1(VALU_DEP_2)
	v_div_scale_f64 v[197:198], null, v[180:181], v[180:181], v[182:183]
	v_div_scale_f64 v[203:204], vcc_lo, v[182:183], v[180:181], v[182:183]
	v_rcp_f64_e32 v[199:200], v[197:198]
	s_waitcnt_depctr 0xfff
	v_fma_f64 v[201:202], -v[197:198], v[199:200], 1.0
	s_delay_alu instid0(VALU_DEP_1) | instskip(NEXT) | instid1(VALU_DEP_1)
	v_fma_f64 v[199:200], v[199:200], v[201:202], v[199:200]
	v_fma_f64 v[201:202], -v[197:198], v[199:200], 1.0
	s_delay_alu instid0(VALU_DEP_1) | instskip(NEXT) | instid1(VALU_DEP_1)
	v_fma_f64 v[199:200], v[199:200], v[201:202], v[199:200]
	v_mul_f64 v[201:202], v[203:204], v[199:200]
	s_delay_alu instid0(VALU_DEP_1) | instskip(NEXT) | instid1(VALU_DEP_1)
	v_fma_f64 v[197:198], -v[197:198], v[201:202], v[203:204]
	v_div_fmas_f64 v[197:198], v[197:198], v[199:200], v[201:202]
	s_delay_alu instid0(VALU_DEP_1) | instskip(NEXT) | instid1(VALU_DEP_1)
	v_div_fixup_f64 v[197:198], v[197:198], v[180:181], v[182:183]
	v_fma_f64 v[180:181], v[182:183], v[197:198], v[180:181]
	s_delay_alu instid0(VALU_DEP_1) | instskip(NEXT) | instid1(VALU_DEP_1)
	v_div_scale_f64 v[182:183], null, v[180:181], v[180:181], 1.0
	v_rcp_f64_e32 v[199:200], v[182:183]
	s_waitcnt_depctr 0xfff
	v_fma_f64 v[201:202], -v[182:183], v[199:200], 1.0
	s_delay_alu instid0(VALU_DEP_1) | instskip(NEXT) | instid1(VALU_DEP_1)
	v_fma_f64 v[199:200], v[199:200], v[201:202], v[199:200]
	v_fma_f64 v[201:202], -v[182:183], v[199:200], 1.0
	s_delay_alu instid0(VALU_DEP_1) | instskip(SKIP_1) | instid1(VALU_DEP_1)
	v_fma_f64 v[199:200], v[199:200], v[201:202], v[199:200]
	v_div_scale_f64 v[201:202], vcc_lo, 1.0, v[180:181], 1.0
	v_mul_f64 v[203:204], v[201:202], v[199:200]
	s_delay_alu instid0(VALU_DEP_1) | instskip(NEXT) | instid1(VALU_DEP_1)
	v_fma_f64 v[182:183], -v[182:183], v[203:204], v[201:202]
	v_div_fmas_f64 v[182:183], v[182:183], v[199:200], v[203:204]
	s_delay_alu instid0(VALU_DEP_1) | instskip(NEXT) | instid1(VALU_DEP_1)
	v_div_fixup_f64 v[180:181], v[182:183], v[180:181], 1.0
	v_mul_f64 v[182:183], v[197:198], -v[180:181]
.LBB88_912:
	s_or_b32 exec_lo, exec_lo, s2
.LBB88_913:
	s_delay_alu instid0(SALU_CYCLE_1) | instskip(NEXT) | instid1(SALU_CYCLE_1)
	s_or_b32 exec_lo, exec_lo, s3
	s_mov_b32 s2, exec_lo
	v_cmpx_ne_u32_e64 v196, v188
	s_xor_b32 s2, exec_lo, s2
	s_cbranch_execz .LBB88_919
; %bb.914:
	s_mov_b32 s3, exec_lo
	v_cmpx_eq_u32_e32 43, v196
	s_cbranch_execz .LBB88_918
; %bb.915:
	v_cmp_ne_u32_e32 vcc_lo, 43, v188
	s_xor_b32 s6, s4, -1
	s_delay_alu instid0(SALU_CYCLE_1) | instskip(NEXT) | instid1(SALU_CYCLE_1)
	s_and_b32 s7, s6, vcc_lo
	s_and_saveexec_b32 s6, s7
	s_cbranch_execz .LBB88_917
; %bb.916:
	v_ashrrev_i32_e32 v189, 31, v188
	s_delay_alu instid0(VALU_DEP_1) | instskip(NEXT) | instid1(VALU_DEP_1)
	v_lshlrev_b64 v[196:197], 2, v[188:189]
	v_add_co_u32 v196, vcc_lo, v186, v196
	s_delay_alu instid0(VALU_DEP_2)
	v_add_co_ci_u32_e32 v197, vcc_lo, v187, v197, vcc_lo
	s_clause 0x1
	flat_load_b32 v189, v[196:197]
	flat_load_b32 v194, v[186:187] offset:172
	s_waitcnt vmcnt(1) lgkmcnt(1)
	flat_store_b32 v[186:187], v189 offset:172
	s_waitcnt vmcnt(0) lgkmcnt(1)
	flat_store_b32 v[196:197], v194
.LBB88_917:
	s_or_b32 exec_lo, exec_lo, s6
	v_mov_b32_e32 v196, v188
	v_mov_b32_e32 v194, v188
.LBB88_918:
	s_or_b32 exec_lo, exec_lo, s3
.LBB88_919:
	s_and_not1_saveexec_b32 s2, s2
	s_cbranch_execz .LBB88_921
; %bb.920:
	v_mov_b32_e32 v196, 43
	ds_store_2addr_b64 v190, v[0:1], v[2:3] offset0:88 offset1:89
.LBB88_921:
	s_or_b32 exec_lo, exec_lo, s2
	s_delay_alu instid0(SALU_CYCLE_1)
	s_mov_b32 s2, exec_lo
	s_waitcnt lgkmcnt(0)
	s_waitcnt_vscnt null, 0x0
	s_barrier
	buffer_gl0_inv
	v_cmpx_lt_i32_e32 43, v196
	s_cbranch_execz .LBB88_923
; %bb.922:
	v_mul_f64 v[188:189], v[180:181], v[6:7]
	v_mul_f64 v[6:7], v[182:183], v[6:7]
	ds_load_2addr_b64 v[197:200], v190 offset0:88 offset1:89
	v_fma_f64 v[182:183], v[182:183], v[4:5], v[188:189]
	v_fma_f64 v[4:5], v[180:181], v[4:5], -v[6:7]
	s_waitcnt lgkmcnt(0)
	s_delay_alu instid0(VALU_DEP_2) | instskip(SKIP_1) | instid1(VALU_DEP_2)
	v_mul_f64 v[6:7], v[199:200], v[182:183]
	v_mul_f64 v[180:181], v[197:198], v[182:183]
	v_fma_f64 v[6:7], v[197:198], v[4:5], -v[6:7]
	s_delay_alu instid0(VALU_DEP_2) | instskip(NEXT) | instid1(VALU_DEP_2)
	v_fma_f64 v[180:181], v[199:200], v[4:5], v[180:181]
	v_add_f64 v[0:1], v[0:1], -v[6:7]
	s_delay_alu instid0(VALU_DEP_2)
	v_add_f64 v[2:3], v[2:3], -v[180:181]
	v_dual_mov_b32 v6, v182 :: v_dual_mov_b32 v7, v183
.LBB88_923:
	s_or_b32 exec_lo, exec_lo, s2
	v_lshl_add_u32 v180, v196, 4, v190
	s_barrier
	buffer_gl0_inv
	v_mov_b32_e32 v188, 44
	ds_store_2addr_b64 v180, v[0:1], v[2:3] offset1:1
	s_waitcnt lgkmcnt(0)
	s_barrier
	buffer_gl0_inv
	ds_load_2addr_b64 v[180:183], v190 offset0:88 offset1:89
	s_cmp_lt_i32 s5, 46
	s_cbranch_scc1 .LBB88_926
; %bb.924:
	v_add3_u32 v189, v195, 0, 0x2d0
	v_mov_b32_e32 v188, 44
	s_mov_b32 s6, 45
	s_set_inst_prefetch_distance 0x1
	.p2align	6
.LBB88_925:                             ; =>This Inner Loop Header: Depth=1
	ds_load_2addr_b64 v[197:200], v189 offset1:1
	s_waitcnt lgkmcnt(1)
	v_cmp_gt_f64_e32 vcc_lo, 0, v[180:181]
	v_xor_b32_e32 v190, 0x80000000, v181
	v_cmp_gt_f64_e64 s2, 0, v[182:183]
	v_xor_b32_e32 v195, 0x80000000, v183
	v_add_nc_u32_e32 v189, 16, v189
	s_waitcnt lgkmcnt(0)
	v_cmp_gt_f64_e64 s3, 0, v[197:198]
	v_mov_b32_e32 v205, v197
	v_dual_mov_b32 v207, v199 :: v_dual_cndmask_b32 v202, v181, v190
	v_xor_b32_e32 v190, 0x80000000, v198
	v_cndmask_b32_e64 v204, v183, v195, s2
	v_xor_b32_e32 v195, 0x80000000, v200
	v_cndmask_b32_e32 v201, v180, v180, vcc_lo
	v_cndmask_b32_e64 v203, v182, v182, s2
	s_delay_alu instid0(VALU_DEP_1) | instskip(SKIP_2) | instid1(VALU_DEP_1)
	v_add_f64 v[201:202], v[201:202], v[203:204]
	v_cndmask_b32_e64 v206, v198, v190, s3
	v_cmp_gt_f64_e64 s3, 0, v[199:200]
	v_cndmask_b32_e64 v208, v200, v195, s3
	s_delay_alu instid0(VALU_DEP_1) | instskip(NEXT) | instid1(VALU_DEP_1)
	v_add_f64 v[205:206], v[205:206], v[207:208]
	v_cmp_lt_f64_e32 vcc_lo, v[201:202], v[205:206]
	v_dual_cndmask_b32 v182, v182, v199 :: v_dual_cndmask_b32 v181, v181, v198
	v_dual_cndmask_b32 v180, v180, v197 :: v_dual_cndmask_b32 v183, v183, v200
	v_cndmask_b32_e64 v188, v188, s6, vcc_lo
	s_add_i32 s6, s6, 1
	s_delay_alu instid0(SALU_CYCLE_1)
	s_cmp_lg_u32 s5, s6
	s_cbranch_scc1 .LBB88_925
.LBB88_926:
	s_set_inst_prefetch_distance 0x2
	s_waitcnt lgkmcnt(0)
	v_cmp_eq_f64_e32 vcc_lo, 0, v[180:181]
	v_cmp_eq_f64_e64 s2, 0, v[182:183]
	s_delay_alu instid0(VALU_DEP_1) | instskip(NEXT) | instid1(SALU_CYCLE_1)
	s_and_b32 s2, vcc_lo, s2
	s_and_saveexec_b32 s3, s2
	s_delay_alu instid0(SALU_CYCLE_1)
	s_xor_b32 s2, exec_lo, s3
; %bb.927:
	v_cmp_ne_u32_e32 vcc_lo, 0, v193
	v_cndmask_b32_e32 v193, 45, v193, vcc_lo
; %bb.928:
	s_and_not1_saveexec_b32 s3, s2
	s_cbranch_execz .LBB88_934
; %bb.929:
	v_cmp_gt_f64_e32 vcc_lo, 0, v[180:181]
	v_cmp_gt_f64_e64 s2, 0, v[182:183]
	v_xor_b32_e32 v189, 0x80000000, v181
	v_xor_b32_e32 v195, 0x80000000, v183
	s_delay_alu instid0(VALU_DEP_2) | instskip(NEXT) | instid1(VALU_DEP_2)
	v_dual_cndmask_b32 v190, v181, v189 :: v_dual_cndmask_b32 v189, v180, v180
	v_cndmask_b32_e64 v198, v183, v195, s2
	v_cndmask_b32_e64 v197, v182, v182, s2
	s_mov_b32 s2, exec_lo
	s_delay_alu instid0(VALU_DEP_1)
	v_cmpx_ngt_f64_e32 v[189:190], v[197:198]
	s_xor_b32 s2, exec_lo, s2
	s_cbranch_execz .LBB88_931
; %bb.930:
	v_div_scale_f64 v[189:190], null, v[182:183], v[182:183], v[180:181]
	v_div_scale_f64 v[201:202], vcc_lo, v[180:181], v[182:183], v[180:181]
	s_delay_alu instid0(VALU_DEP_2) | instskip(SKIP_2) | instid1(VALU_DEP_1)
	v_rcp_f64_e32 v[197:198], v[189:190]
	s_waitcnt_depctr 0xfff
	v_fma_f64 v[199:200], -v[189:190], v[197:198], 1.0
	v_fma_f64 v[197:198], v[197:198], v[199:200], v[197:198]
	s_delay_alu instid0(VALU_DEP_1) | instskip(NEXT) | instid1(VALU_DEP_1)
	v_fma_f64 v[199:200], -v[189:190], v[197:198], 1.0
	v_fma_f64 v[197:198], v[197:198], v[199:200], v[197:198]
	s_delay_alu instid0(VALU_DEP_1) | instskip(NEXT) | instid1(VALU_DEP_1)
	v_mul_f64 v[199:200], v[201:202], v[197:198]
	v_fma_f64 v[189:190], -v[189:190], v[199:200], v[201:202]
	s_delay_alu instid0(VALU_DEP_1) | instskip(NEXT) | instid1(VALU_DEP_1)
	v_div_fmas_f64 v[189:190], v[189:190], v[197:198], v[199:200]
	v_div_fixup_f64 v[189:190], v[189:190], v[182:183], v[180:181]
	s_delay_alu instid0(VALU_DEP_1) | instskip(NEXT) | instid1(VALU_DEP_1)
	v_fma_f64 v[180:181], v[180:181], v[189:190], v[182:183]
	v_div_scale_f64 v[182:183], null, v[180:181], v[180:181], 1.0
	s_delay_alu instid0(VALU_DEP_1) | instskip(SKIP_2) | instid1(VALU_DEP_1)
	v_rcp_f64_e32 v[197:198], v[182:183]
	s_waitcnt_depctr 0xfff
	v_fma_f64 v[199:200], -v[182:183], v[197:198], 1.0
	v_fma_f64 v[197:198], v[197:198], v[199:200], v[197:198]
	s_delay_alu instid0(VALU_DEP_1) | instskip(NEXT) | instid1(VALU_DEP_1)
	v_fma_f64 v[199:200], -v[182:183], v[197:198], 1.0
	v_fma_f64 v[197:198], v[197:198], v[199:200], v[197:198]
	v_div_scale_f64 v[199:200], vcc_lo, 1.0, v[180:181], 1.0
	s_delay_alu instid0(VALU_DEP_1) | instskip(NEXT) | instid1(VALU_DEP_1)
	v_mul_f64 v[201:202], v[199:200], v[197:198]
	v_fma_f64 v[182:183], -v[182:183], v[201:202], v[199:200]
	s_delay_alu instid0(VALU_DEP_1) | instskip(NEXT) | instid1(VALU_DEP_1)
	v_div_fmas_f64 v[182:183], v[182:183], v[197:198], v[201:202]
	v_div_fixup_f64 v[182:183], v[182:183], v[180:181], 1.0
	s_delay_alu instid0(VALU_DEP_1)
	v_mul_f64 v[180:181], v[189:190], v[182:183]
	v_xor_b32_e32 v183, 0x80000000, v183
.LBB88_931:
	s_and_not1_saveexec_b32 s2, s2
	s_cbranch_execz .LBB88_933
; %bb.932:
	s_delay_alu instid0(VALU_DEP_1) | instskip(SKIP_1) | instid1(VALU_DEP_2)
	v_div_scale_f64 v[189:190], null, v[180:181], v[180:181], v[182:183]
	v_div_scale_f64 v[201:202], vcc_lo, v[182:183], v[180:181], v[182:183]
	v_rcp_f64_e32 v[197:198], v[189:190]
	s_waitcnt_depctr 0xfff
	v_fma_f64 v[199:200], -v[189:190], v[197:198], 1.0
	s_delay_alu instid0(VALU_DEP_1) | instskip(NEXT) | instid1(VALU_DEP_1)
	v_fma_f64 v[197:198], v[197:198], v[199:200], v[197:198]
	v_fma_f64 v[199:200], -v[189:190], v[197:198], 1.0
	s_delay_alu instid0(VALU_DEP_1) | instskip(NEXT) | instid1(VALU_DEP_1)
	v_fma_f64 v[197:198], v[197:198], v[199:200], v[197:198]
	v_mul_f64 v[199:200], v[201:202], v[197:198]
	s_delay_alu instid0(VALU_DEP_1) | instskip(NEXT) | instid1(VALU_DEP_1)
	v_fma_f64 v[189:190], -v[189:190], v[199:200], v[201:202]
	v_div_fmas_f64 v[189:190], v[189:190], v[197:198], v[199:200]
	s_delay_alu instid0(VALU_DEP_1) | instskip(NEXT) | instid1(VALU_DEP_1)
	v_div_fixup_f64 v[189:190], v[189:190], v[180:181], v[182:183]
	v_fma_f64 v[180:181], v[182:183], v[189:190], v[180:181]
	s_delay_alu instid0(VALU_DEP_1) | instskip(NEXT) | instid1(VALU_DEP_1)
	v_div_scale_f64 v[182:183], null, v[180:181], v[180:181], 1.0
	v_rcp_f64_e32 v[197:198], v[182:183]
	s_waitcnt_depctr 0xfff
	v_fma_f64 v[199:200], -v[182:183], v[197:198], 1.0
	s_delay_alu instid0(VALU_DEP_1) | instskip(NEXT) | instid1(VALU_DEP_1)
	v_fma_f64 v[197:198], v[197:198], v[199:200], v[197:198]
	v_fma_f64 v[199:200], -v[182:183], v[197:198], 1.0
	s_delay_alu instid0(VALU_DEP_1) | instskip(SKIP_1) | instid1(VALU_DEP_1)
	v_fma_f64 v[197:198], v[197:198], v[199:200], v[197:198]
	v_div_scale_f64 v[199:200], vcc_lo, 1.0, v[180:181], 1.0
	v_mul_f64 v[201:202], v[199:200], v[197:198]
	s_delay_alu instid0(VALU_DEP_1) | instskip(NEXT) | instid1(VALU_DEP_1)
	v_fma_f64 v[182:183], -v[182:183], v[201:202], v[199:200]
	v_div_fmas_f64 v[182:183], v[182:183], v[197:198], v[201:202]
	s_delay_alu instid0(VALU_DEP_1) | instskip(NEXT) | instid1(VALU_DEP_1)
	v_div_fixup_f64 v[180:181], v[182:183], v[180:181], 1.0
	v_mul_f64 v[182:183], v[189:190], -v[180:181]
.LBB88_933:
	s_or_b32 exec_lo, exec_lo, s2
.LBB88_934:
	s_delay_alu instid0(SALU_CYCLE_1)
	s_or_b32 exec_lo, exec_lo, s3
	v_mov_b32_e32 v189, 44
	s_mov_b32 s2, exec_lo
	v_cmpx_ne_u32_e64 v196, v188
	s_cbranch_execz .LBB88_940
; %bb.935:
	s_mov_b32 s3, exec_lo
	v_cmpx_eq_u32_e32 44, v196
	s_cbranch_execz .LBB88_939
; %bb.936:
	v_cmp_ne_u32_e32 vcc_lo, 44, v188
	s_xor_b32 s4, s4, -1
	s_delay_alu instid0(SALU_CYCLE_1) | instskip(NEXT) | instid1(SALU_CYCLE_1)
	s_and_b32 s5, s4, vcc_lo
	s_and_saveexec_b32 s4, s5
	s_cbranch_execz .LBB88_938
; %bb.937:
	v_ashrrev_i32_e32 v189, 31, v188
	s_delay_alu instid0(VALU_DEP_1) | instskip(NEXT) | instid1(VALU_DEP_1)
	v_lshlrev_b64 v[189:190], 2, v[188:189]
	v_add_co_u32 v189, vcc_lo, v186, v189
	s_delay_alu instid0(VALU_DEP_2)
	v_add_co_ci_u32_e32 v190, vcc_lo, v187, v190, vcc_lo
	s_clause 0x1
	flat_load_b32 v194, v[189:190]
	flat_load_b32 v195, v[186:187] offset:176
	s_waitcnt vmcnt(1) lgkmcnt(1)
	flat_store_b32 v[186:187], v194 offset:176
	s_waitcnt vmcnt(0) lgkmcnt(1)
	flat_store_b32 v[189:190], v195
.LBB88_938:
	s_or_b32 exec_lo, exec_lo, s4
	v_mov_b32_e32 v196, v188
	v_mov_b32_e32 v194, v188
.LBB88_939:
	s_or_b32 exec_lo, exec_lo, s3
	s_delay_alu instid0(VALU_DEP_2)
	v_mov_b32_e32 v189, v196
.LBB88_940:
	s_or_b32 exec_lo, exec_lo, s2
	s_delay_alu instid0(SALU_CYCLE_1)
	s_mov_b32 s2, exec_lo
	s_waitcnt lgkmcnt(0)
	s_waitcnt_vscnt null, 0x0
	s_barrier
	buffer_gl0_inv
	v_cmpx_lt_i32_e32 44, v189
; %bb.941:
	v_mul_f64 v[186:187], v[182:183], v[2:3]
	v_mul_f64 v[2:3], v[180:181], v[2:3]
	s_delay_alu instid0(VALU_DEP_2) | instskip(NEXT) | instid1(VALU_DEP_2)
	v_fma_f64 v[180:181], v[180:181], v[0:1], -v[186:187]
	v_fma_f64 v[2:3], v[182:183], v[0:1], v[2:3]
	s_delay_alu instid0(VALU_DEP_2)
	v_dual_mov_b32 v0, v180 :: v_dual_mov_b32 v1, v181
; %bb.942:
	s_or_b32 exec_lo, exec_lo, s2
	s_load_b256 s[0:7], s[0:1], 0x28
	v_ashrrev_i32_e32 v190, 31, v189
	s_mov_b32 s9, exec_lo
	s_waitcnt lgkmcnt(0)
	s_barrier
	buffer_gl0_inv
	v_cmpx_gt_i32_e32 45, v189
	s_cbranch_execz .LBB88_944
; %bb.943:
	v_mul_lo_u32 v182, v185, s4
	v_mul_lo_u32 v183, v184, s5
	v_mad_u64_u32 v[180:181], null, v184, s4, 0
	s_lshl_b64 s[2:3], s[2:3], 2
	s_delay_alu instid0(SALU_CYCLE_1) | instskip(SKIP_1) | instid1(VALU_DEP_1)
	s_add_u32 s0, s2, s0
	s_addc_u32 s1, s3, s1
	v_add3_u32 v181, v181, v183, v182
	v_lshlrev_b64 v[182:183], 2, v[189:190]
	s_delay_alu instid0(VALU_DEP_2) | instskip(NEXT) | instid1(VALU_DEP_1)
	v_lshlrev_b64 v[180:181], 2, v[180:181]
	v_add_co_u32 v180, vcc_lo, s0, v180
	s_delay_alu instid0(VALU_DEP_2) | instskip(NEXT) | instid1(VALU_DEP_2)
	v_add_co_ci_u32_e32 v181, vcc_lo, s1, v181, vcc_lo
	v_add_co_u32 v180, vcc_lo, v180, v182
	s_delay_alu instid0(VALU_DEP_2)
	v_add_co_ci_u32_e32 v181, vcc_lo, v181, v183, vcc_lo
	v_add3_u32 v182, v194, s13, 1
	global_store_b32 v[180:181], v182, off
.LBB88_944:
	s_or_b32 exec_lo, exec_lo, s9
	s_delay_alu instid0(SALU_CYCLE_1)
	s_mov_b32 s1, exec_lo
	v_cmpx_eq_u32_e32 0, v189
	s_cbranch_execz .LBB88_947
; %bb.945:
	v_lshlrev_b64 v[180:181], 2, v[184:185]
	v_cmp_lt_i32_e64 s0, 0, v193
	s_delay_alu instid0(VALU_DEP_2) | instskip(NEXT) | instid1(VALU_DEP_3)
	v_add_co_u32 v180, vcc_lo, s6, v180
	v_add_co_ci_u32_e32 v181, vcc_lo, s7, v181, vcc_lo
	global_load_b32 v182, v[180:181], off
	s_waitcnt vmcnt(0)
	v_cmp_eq_u32_e32 vcc_lo, 0, v182
	s_and_b32 s0, vcc_lo, s0
	s_delay_alu instid0(SALU_CYCLE_1)
	s_and_b32 exec_lo, exec_lo, s0
	s_cbranch_execz .LBB88_947
; %bb.946:
	v_add_nc_u32_e32 v182, s13, v193
	global_store_b32 v[180:181], v182, off
.LBB88_947:
	s_or_b32 exec_lo, exec_lo, s1
	v_add3_u32 v180, s8, s8, v189
	v_lshlrev_b64 v[182:183], 4, v[189:190]
	s_delay_alu instid0(VALU_DEP_2) | instskip(SKIP_1) | instid1(VALU_DEP_3)
	v_ashrrev_i32_e32 v181, 31, v180
	v_add_nc_u32_e32 v184, s8, v180
	v_add_co_u32 v182, vcc_lo, v191, v182
	s_delay_alu instid0(VALU_DEP_4) | instskip(NEXT) | instid1(VALU_DEP_4)
	v_add_co_ci_u32_e32 v183, vcc_lo, v192, v183, vcc_lo
	v_lshlrev_b64 v[180:181], 4, v[180:181]
	s_delay_alu instid0(VALU_DEP_3) | instskip(NEXT) | instid1(VALU_DEP_3)
	v_add_co_u32 v188, vcc_lo, v182, s10
	v_add_co_ci_u32_e32 v189, vcc_lo, s11, v183, vcc_lo
	v_add_nc_u32_e32 v186, s8, v184
	s_delay_alu instid0(VALU_DEP_4) | instskip(SKIP_2) | instid1(VALU_DEP_4)
	v_add_co_u32 v180, vcc_lo, v191, v180
	v_add_co_ci_u32_e32 v181, vcc_lo, v192, v181, vcc_lo
	v_ashrrev_i32_e32 v185, 31, v184
	v_ashrrev_i32_e32 v187, 31, v186
	s_clause 0x2
	global_store_b128 v[182:183], v[172:175], off
	global_store_b128 v[188:189], v[168:171], off
	;; [unrolled: 1-line block ×3, first 2 shown]
	v_add_nc_u32_e32 v170, s8, v186
	v_lshlrev_b64 v[172:173], 4, v[184:185]
	v_lshlrev_b64 v[168:169], 4, v[186:187]
	s_delay_alu instid0(VALU_DEP_3) | instskip(SKIP_1) | instid1(VALU_DEP_4)
	v_add_nc_u32_e32 v174, s8, v170
	v_ashrrev_i32_e32 v171, 31, v170
	v_add_co_u32 v172, vcc_lo, v191, v172
	v_add_co_ci_u32_e32 v173, vcc_lo, v192, v173, vcc_lo
	s_delay_alu instid0(VALU_DEP_4)
	v_add_nc_u32_e32 v176, s8, v174
	v_add_co_u32 v168, vcc_lo, v191, v168
	v_ashrrev_i32_e32 v175, 31, v174
	v_add_co_ci_u32_e32 v169, vcc_lo, v192, v169, vcc_lo
	v_lshlrev_b64 v[170:171], 4, v[170:171]
	v_ashrrev_i32_e32 v177, 31, v176
	s_clause 0x1
	global_store_b128 v[172:173], v[164:167], off
	global_store_b128 v[168:169], v[160:163], off
	v_lshlrev_b64 v[160:161], 4, v[174:175]
	v_add_nc_u32_e32 v166, s8, v176
	v_add_co_u32 v162, vcc_lo, v191, v170
	v_lshlrev_b64 v[164:165], 4, v[176:177]
	v_add_co_ci_u32_e32 v163, vcc_lo, v192, v171, vcc_lo
	v_add_co_u32 v160, vcc_lo, v191, v160
	v_add_co_ci_u32_e32 v161, vcc_lo, v192, v161, vcc_lo
	s_delay_alu instid0(VALU_DEP_4)
	v_add_co_u32 v164, vcc_lo, v191, v164
	v_add_nc_u32_e32 v168, s8, v166
	v_add_co_ci_u32_e32 v165, vcc_lo, v192, v165, vcc_lo
	v_ashrrev_i32_e32 v167, 31, v166
	global_store_b128 v[162:163], v[156:159], off
	v_ashrrev_i32_e32 v169, 31, v168
	s_clause 0x1
	global_store_b128 v[160:161], v[152:155], off
	global_store_b128 v[164:165], v[148:151], off
	v_add_nc_u32_e32 v150, s8, v168
	v_lshlrev_b64 v[156:157], 4, v[166:167]
	v_lshlrev_b64 v[148:149], 4, v[168:169]
	s_delay_alu instid0(VALU_DEP_3) | instskip(SKIP_1) | instid1(VALU_DEP_4)
	v_add_nc_u32_e32 v154, s8, v150
	v_ashrrev_i32_e32 v151, 31, v150
	v_add_co_u32 v152, vcc_lo, v191, v156
	v_add_co_ci_u32_e32 v153, vcc_lo, v192, v157, vcc_lo
	s_delay_alu instid0(VALU_DEP_4)
	v_add_nc_u32_e32 v156, s8, v154
	v_add_co_u32 v148, vcc_lo, v191, v148
	v_ashrrev_i32_e32 v155, 31, v154
	v_add_co_ci_u32_e32 v149, vcc_lo, v192, v149, vcc_lo
	v_lshlrev_b64 v[150:151], 4, v[150:151]
	v_ashrrev_i32_e32 v157, 31, v156
	s_clause 0x1
	global_store_b128 v[152:153], v[144:147], off
	global_store_b128 v[148:149], v[140:143], off
	v_lshlrev_b64 v[140:141], 4, v[154:155]
	v_add_nc_u32_e32 v146, s8, v156
	v_add_co_u32 v142, vcc_lo, v191, v150
	v_lshlrev_b64 v[144:145], 4, v[156:157]
	v_add_co_ci_u32_e32 v143, vcc_lo, v192, v151, vcc_lo
	v_add_co_u32 v140, vcc_lo, v191, v140
	v_add_co_ci_u32_e32 v141, vcc_lo, v192, v141, vcc_lo
	s_delay_alu instid0(VALU_DEP_4)
	v_add_co_u32 v144, vcc_lo, v191, v144
	v_add_nc_u32_e32 v148, s8, v146
	v_add_co_ci_u32_e32 v145, vcc_lo, v192, v145, vcc_lo
	v_ashrrev_i32_e32 v147, 31, v146
	global_store_b128 v[142:143], v[136:139], off
	v_ashrrev_i32_e32 v149, 31, v148
	s_clause 0x1
	global_store_b128 v[140:141], v[132:135], off
	global_store_b128 v[144:145], v[128:131], off
	v_add_nc_u32_e32 v130, s8, v148
	v_lshlrev_b64 v[136:137], 4, v[146:147]
	v_lshlrev_b64 v[128:129], 4, v[148:149]
	s_delay_alu instid0(VALU_DEP_3) | instskip(SKIP_1) | instid1(VALU_DEP_4)
	v_add_nc_u32_e32 v134, s8, v130
	v_ashrrev_i32_e32 v131, 31, v130
	v_add_co_u32 v132, vcc_lo, v191, v136
	v_add_co_ci_u32_e32 v133, vcc_lo, v192, v137, vcc_lo
	s_delay_alu instid0(VALU_DEP_4)
	v_add_nc_u32_e32 v136, s8, v134
	v_add_co_u32 v128, vcc_lo, v191, v128
	v_ashrrev_i32_e32 v135, 31, v134
	v_add_co_ci_u32_e32 v129, vcc_lo, v192, v129, vcc_lo
	v_lshlrev_b64 v[130:131], 4, v[130:131]
	v_ashrrev_i32_e32 v137, 31, v136
	s_clause 0x1
	global_store_b128 v[132:133], v[124:127], off
	global_store_b128 v[128:129], v[120:123], off
	v_lshlrev_b64 v[120:121], 4, v[134:135]
	v_add_nc_u32_e32 v126, s8, v136
	v_add_co_u32 v122, vcc_lo, v191, v130
	v_lshlrev_b64 v[124:125], 4, v[136:137]
	v_add_co_ci_u32_e32 v123, vcc_lo, v192, v131, vcc_lo
	v_add_co_u32 v120, vcc_lo, v191, v120
	v_add_co_ci_u32_e32 v121, vcc_lo, v192, v121, vcc_lo
	s_delay_alu instid0(VALU_DEP_4)
	v_add_co_u32 v124, vcc_lo, v191, v124
	v_add_nc_u32_e32 v128, s8, v126
	v_add_co_ci_u32_e32 v125, vcc_lo, v192, v125, vcc_lo
	v_ashrrev_i32_e32 v127, 31, v126
	global_store_b128 v[122:123], v[116:119], off
	v_ashrrev_i32_e32 v129, 31, v128
	s_clause 0x1
	global_store_b128 v[120:121], v[112:115], off
	global_store_b128 v[124:125], v[108:111], off
	v_add_nc_u32_e32 v110, s8, v128
	v_lshlrev_b64 v[116:117], 4, v[126:127]
	v_lshlrev_b64 v[108:109], 4, v[128:129]
	s_delay_alu instid0(VALU_DEP_3) | instskip(SKIP_1) | instid1(VALU_DEP_4)
	v_add_nc_u32_e32 v114, s8, v110
	v_ashrrev_i32_e32 v111, 31, v110
	v_add_co_u32 v112, vcc_lo, v191, v116
	v_add_co_ci_u32_e32 v113, vcc_lo, v192, v117, vcc_lo
	s_delay_alu instid0(VALU_DEP_4)
	v_add_nc_u32_e32 v116, s8, v114
	v_add_co_u32 v108, vcc_lo, v191, v108
	v_ashrrev_i32_e32 v115, 31, v114
	v_add_co_ci_u32_e32 v109, vcc_lo, v192, v109, vcc_lo
	v_lshlrev_b64 v[110:111], 4, v[110:111]
	v_ashrrev_i32_e32 v117, 31, v116
	s_clause 0x1
	global_store_b128 v[112:113], v[104:107], off
	global_store_b128 v[108:109], v[100:103], off
	v_lshlrev_b64 v[100:101], 4, v[114:115]
	v_add_nc_u32_e32 v106, s8, v116
	v_add_co_u32 v102, vcc_lo, v191, v110
	v_lshlrev_b64 v[104:105], 4, v[116:117]
	v_add_co_ci_u32_e32 v103, vcc_lo, v192, v111, vcc_lo
	v_add_co_u32 v100, vcc_lo, v191, v100
	v_add_co_ci_u32_e32 v101, vcc_lo, v192, v101, vcc_lo
	s_delay_alu instid0(VALU_DEP_4)
	v_add_co_u32 v104, vcc_lo, v191, v104
	v_add_nc_u32_e32 v108, s8, v106
	v_add_co_ci_u32_e32 v105, vcc_lo, v192, v105, vcc_lo
	v_ashrrev_i32_e32 v107, 31, v106
	global_store_b128 v[102:103], v[96:99], off
	v_ashrrev_i32_e32 v109, 31, v108
	s_clause 0x1
	global_store_b128 v[100:101], v[92:95], off
	global_store_b128 v[104:105], v[88:91], off
	v_add_nc_u32_e32 v90, s8, v108
	v_lshlrev_b64 v[96:97], 4, v[106:107]
	v_lshlrev_b64 v[88:89], 4, v[108:109]
	s_delay_alu instid0(VALU_DEP_3) | instskip(SKIP_1) | instid1(VALU_DEP_4)
	v_add_nc_u32_e32 v94, s8, v90
	v_ashrrev_i32_e32 v91, 31, v90
	v_add_co_u32 v92, vcc_lo, v191, v96
	v_add_co_ci_u32_e32 v93, vcc_lo, v192, v97, vcc_lo
	s_delay_alu instid0(VALU_DEP_4)
	v_add_nc_u32_e32 v96, s8, v94
	v_add_co_u32 v88, vcc_lo, v191, v88
	v_ashrrev_i32_e32 v95, 31, v94
	v_add_co_ci_u32_e32 v89, vcc_lo, v192, v89, vcc_lo
	v_lshlrev_b64 v[90:91], 4, v[90:91]
	v_ashrrev_i32_e32 v97, 31, v96
	s_clause 0x1
	global_store_b128 v[92:93], v[84:87], off
	global_store_b128 v[88:89], v[80:83], off
	v_lshlrev_b64 v[80:81], 4, v[94:95]
	v_add_nc_u32_e32 v86, s8, v96
	v_add_co_u32 v82, vcc_lo, v191, v90
	v_lshlrev_b64 v[84:85], 4, v[96:97]
	v_add_co_ci_u32_e32 v83, vcc_lo, v192, v91, vcc_lo
	v_add_co_u32 v80, vcc_lo, v191, v80
	v_add_co_ci_u32_e32 v81, vcc_lo, v192, v81, vcc_lo
	s_delay_alu instid0(VALU_DEP_4)
	v_add_co_u32 v84, vcc_lo, v191, v84
	v_add_nc_u32_e32 v88, s8, v86
	v_add_co_ci_u32_e32 v85, vcc_lo, v192, v85, vcc_lo
	v_ashrrev_i32_e32 v87, 31, v86
	global_store_b128 v[82:83], v[76:79], off
	v_ashrrev_i32_e32 v89, 31, v88
	s_clause 0x1
	global_store_b128 v[80:81], v[72:75], off
	global_store_b128 v[84:85], v[68:71], off
	v_add_nc_u32_e32 v70, s8, v88
	v_lshlrev_b64 v[76:77], 4, v[86:87]
	v_lshlrev_b64 v[68:69], 4, v[88:89]
	s_delay_alu instid0(VALU_DEP_3) | instskip(SKIP_1) | instid1(VALU_DEP_4)
	v_add_nc_u32_e32 v74, s8, v70
	v_ashrrev_i32_e32 v71, 31, v70
	v_add_co_u32 v72, vcc_lo, v191, v76
	v_add_co_ci_u32_e32 v73, vcc_lo, v192, v77, vcc_lo
	s_delay_alu instid0(VALU_DEP_4)
	v_add_nc_u32_e32 v76, s8, v74
	v_add_co_u32 v68, vcc_lo, v191, v68
	v_ashrrev_i32_e32 v75, 31, v74
	v_add_co_ci_u32_e32 v69, vcc_lo, v192, v69, vcc_lo
	v_lshlrev_b64 v[70:71], 4, v[70:71]
	v_ashrrev_i32_e32 v77, 31, v76
	s_clause 0x1
	global_store_b128 v[72:73], v[64:67], off
	global_store_b128 v[68:69], v[60:63], off
	v_lshlrev_b64 v[60:61], 4, v[74:75]
	v_add_nc_u32_e32 v66, s8, v76
	v_add_co_u32 v62, vcc_lo, v191, v70
	v_lshlrev_b64 v[64:65], 4, v[76:77]
	v_add_co_ci_u32_e32 v63, vcc_lo, v192, v71, vcc_lo
	v_add_co_u32 v60, vcc_lo, v191, v60
	v_add_co_ci_u32_e32 v61, vcc_lo, v192, v61, vcc_lo
	s_delay_alu instid0(VALU_DEP_4)
	v_add_co_u32 v64, vcc_lo, v191, v64
	v_add_nc_u32_e32 v68, s8, v66
	v_add_co_ci_u32_e32 v65, vcc_lo, v192, v65, vcc_lo
	v_ashrrev_i32_e32 v67, 31, v66
	global_store_b128 v[62:63], v[56:59], off
	v_ashrrev_i32_e32 v69, 31, v68
	s_clause 0x1
	global_store_b128 v[60:61], v[52:55], off
	global_store_b128 v[64:65], v[48:51], off
	v_add_nc_u32_e32 v50, s8, v68
	v_lshlrev_b64 v[56:57], 4, v[66:67]
	v_lshlrev_b64 v[48:49], 4, v[68:69]
	s_delay_alu instid0(VALU_DEP_3) | instskip(SKIP_1) | instid1(VALU_DEP_4)
	v_add_nc_u32_e32 v54, s8, v50
	v_ashrrev_i32_e32 v51, 31, v50
	v_add_co_u32 v52, vcc_lo, v191, v56
	v_add_co_ci_u32_e32 v53, vcc_lo, v192, v57, vcc_lo
	s_delay_alu instid0(VALU_DEP_4)
	v_add_nc_u32_e32 v56, s8, v54
	v_add_co_u32 v48, vcc_lo, v191, v48
	v_ashrrev_i32_e32 v55, 31, v54
	v_add_co_ci_u32_e32 v49, vcc_lo, v192, v49, vcc_lo
	v_lshlrev_b64 v[50:51], 4, v[50:51]
	v_ashrrev_i32_e32 v57, 31, v56
	s_clause 0x1
	global_store_b128 v[52:53], v[44:47], off
	global_store_b128 v[48:49], v[40:43], off
	v_lshlrev_b64 v[40:41], 4, v[54:55]
	v_add_nc_u32_e32 v46, s8, v56
	v_add_co_u32 v42, vcc_lo, v191, v50
	v_lshlrev_b64 v[44:45], 4, v[56:57]
	v_add_co_ci_u32_e32 v43, vcc_lo, v192, v51, vcc_lo
	v_add_co_u32 v40, vcc_lo, v191, v40
	v_add_nc_u32_e32 v48, s8, v46
	v_add_co_ci_u32_e32 v41, vcc_lo, v192, v41, vcc_lo
	v_ashrrev_i32_e32 v47, 31, v46
	v_add_co_u32 v44, vcc_lo, v191, v44
	v_add_co_ci_u32_e32 v45, vcc_lo, v192, v45, vcc_lo
	v_ashrrev_i32_e32 v49, 31, v48
	global_store_b128 v[42:43], v[36:39], off
	v_lshlrev_b64 v[36:37], 4, v[46:47]
	s_clause 0x1
	global_store_b128 v[40:41], v[32:35], off
	global_store_b128 v[44:45], v[28:31], off
	v_add_nc_u32_e32 v30, s8, v48
	v_lshlrev_b64 v[28:29], 4, v[48:49]
	v_add_co_u32 v32, vcc_lo, v191, v36
	s_delay_alu instid0(VALU_DEP_3) | instskip(SKIP_1) | instid1(VALU_DEP_4)
	v_add_nc_u32_e32 v34, s8, v30
	v_add_co_ci_u32_e32 v33, vcc_lo, v192, v37, vcc_lo
	v_add_co_u32 v28, vcc_lo, v191, v28
	v_add_co_ci_u32_e32 v29, vcc_lo, v192, v29, vcc_lo
	s_delay_alu instid0(VALU_DEP_4)
	v_add_nc_u32_e32 v36, s8, v34
	v_ashrrev_i32_e32 v31, 31, v30
	s_clause 0x1
	global_store_b128 v[32:33], v[24:27], off
	global_store_b128 v[28:29], v[20:23], off
	v_ashrrev_i32_e32 v35, 31, v34
	v_add_nc_u32_e32 v22, s8, v36
	v_lshlrev_b64 v[24:25], 4, v[30:31]
	v_ashrrev_i32_e32 v37, 31, v36
	s_delay_alu instid0(VALU_DEP_4) | instskip(NEXT) | instid1(VALU_DEP_4)
	v_lshlrev_b64 v[20:21], 4, v[34:35]
	v_add_nc_u32_e32 v28, s8, v22
	v_ashrrev_i32_e32 v23, 31, v22
	v_add_co_u32 v24, vcc_lo, v191, v24
	v_lshlrev_b64 v[26:27], 4, v[36:37]
	s_delay_alu instid0(VALU_DEP_4)
	v_ashrrev_i32_e32 v29, 31, v28
	v_add_co_ci_u32_e32 v25, vcc_lo, v192, v25, vcc_lo
	v_add_co_u32 v20, vcc_lo, v191, v20
	v_lshlrev_b64 v[22:23], 4, v[22:23]
	v_add_co_ci_u32_e32 v21, vcc_lo, v192, v21, vcc_lo
	v_add_co_u32 v26, vcc_lo, v191, v26
	v_lshlrev_b64 v[28:29], 4, v[28:29]
	v_add_co_ci_u32_e32 v27, vcc_lo, v192, v27, vcc_lo
	v_add_co_u32 v22, vcc_lo, v191, v22
	v_add_co_ci_u32_e32 v23, vcc_lo, v192, v23, vcc_lo
	s_delay_alu instid0(VALU_DEP_4)
	v_add_co_u32 v28, vcc_lo, v191, v28
	v_add_co_ci_u32_e32 v29, vcc_lo, v192, v29, vcc_lo
	s_clause 0x4
	global_store_b128 v[24:25], v[16:19], off
	global_store_b128 v[20:21], v[12:15], off
	;; [unrolled: 1-line block ×5, first 2 shown]
.LBB88_948:
	s_nop 0
	s_sendmsg sendmsg(MSG_DEALLOC_VGPRS)
	s_endpgm
	.section	.rodata,"a",@progbits
	.p2align	6, 0x0
	.amdhsa_kernel _ZN9rocsolver6v33100L18getf2_small_kernelILi45E19rocblas_complex_numIdEiiPKPS3_EEvT1_T3_lS7_lPS7_llPT2_S7_S7_S9_l
		.amdhsa_group_segment_fixed_size 0
		.amdhsa_private_segment_fixed_size 0
		.amdhsa_kernarg_size 352
		.amdhsa_user_sgpr_count 14
		.amdhsa_user_sgpr_dispatch_ptr 0
		.amdhsa_user_sgpr_queue_ptr 0
		.amdhsa_user_sgpr_kernarg_segment_ptr 1
		.amdhsa_user_sgpr_dispatch_id 0
		.amdhsa_user_sgpr_private_segment_size 0
		.amdhsa_wavefront_size32 1
		.amdhsa_uses_dynamic_stack 0
		.amdhsa_enable_private_segment 0
		.amdhsa_system_sgpr_workgroup_id_x 1
		.amdhsa_system_sgpr_workgroup_id_y 1
		.amdhsa_system_sgpr_workgroup_id_z 0
		.amdhsa_system_sgpr_workgroup_info 0
		.amdhsa_system_vgpr_workitem_id 1
		.amdhsa_next_free_vgpr 247
		.amdhsa_next_free_sgpr 18
		.amdhsa_reserve_vcc 1
		.amdhsa_float_round_mode_32 0
		.amdhsa_float_round_mode_16_64 0
		.amdhsa_float_denorm_mode_32 3
		.amdhsa_float_denorm_mode_16_64 3
		.amdhsa_dx10_clamp 1
		.amdhsa_ieee_mode 1
		.amdhsa_fp16_overflow 0
		.amdhsa_workgroup_processor_mode 1
		.amdhsa_memory_ordered 1
		.amdhsa_forward_progress 0
		.amdhsa_shared_vgpr_count 0
		.amdhsa_exception_fp_ieee_invalid_op 0
		.amdhsa_exception_fp_denorm_src 0
		.amdhsa_exception_fp_ieee_div_zero 0
		.amdhsa_exception_fp_ieee_overflow 0
		.amdhsa_exception_fp_ieee_underflow 0
		.amdhsa_exception_fp_ieee_inexact 0
		.amdhsa_exception_int_div_zero 0
	.end_amdhsa_kernel
	.section	.text._ZN9rocsolver6v33100L18getf2_small_kernelILi45E19rocblas_complex_numIdEiiPKPS3_EEvT1_T3_lS7_lPS7_llPT2_S7_S7_S9_l,"axG",@progbits,_ZN9rocsolver6v33100L18getf2_small_kernelILi45E19rocblas_complex_numIdEiiPKPS3_EEvT1_T3_lS7_lPS7_llPT2_S7_S7_S9_l,comdat
.Lfunc_end88:
	.size	_ZN9rocsolver6v33100L18getf2_small_kernelILi45E19rocblas_complex_numIdEiiPKPS3_EEvT1_T3_lS7_lPS7_llPT2_S7_S7_S9_l, .Lfunc_end88-_ZN9rocsolver6v33100L18getf2_small_kernelILi45E19rocblas_complex_numIdEiiPKPS3_EEvT1_T3_lS7_lPS7_llPT2_S7_S7_S9_l
                                        ; -- End function
	.section	.AMDGPU.csdata,"",@progbits
; Kernel info:
; codeLenInByte = 131128
; NumSgprs: 20
; NumVgprs: 247
; ScratchSize: 0
; MemoryBound: 0
; FloatMode: 240
; IeeeMode: 1
; LDSByteSize: 0 bytes/workgroup (compile time only)
; SGPRBlocks: 2
; VGPRBlocks: 30
; NumSGPRsForWavesPerEU: 20
; NumVGPRsForWavesPerEU: 247
; Occupancy: 5
; WaveLimiterHint : 1
; COMPUTE_PGM_RSRC2:SCRATCH_EN: 0
; COMPUTE_PGM_RSRC2:USER_SGPR: 14
; COMPUTE_PGM_RSRC2:TRAP_HANDLER: 0
; COMPUTE_PGM_RSRC2:TGID_X_EN: 1
; COMPUTE_PGM_RSRC2:TGID_Y_EN: 1
; COMPUTE_PGM_RSRC2:TGID_Z_EN: 0
; COMPUTE_PGM_RSRC2:TIDIG_COMP_CNT: 1
	.section	.text._ZN9rocsolver6v33100L23getf2_npvt_small_kernelILi45E19rocblas_complex_numIdEiiPKPS3_EEvT1_T3_lS7_lPT2_S7_S7_,"axG",@progbits,_ZN9rocsolver6v33100L23getf2_npvt_small_kernelILi45E19rocblas_complex_numIdEiiPKPS3_EEvT1_T3_lS7_lPT2_S7_S7_,comdat
	.globl	_ZN9rocsolver6v33100L23getf2_npvt_small_kernelILi45E19rocblas_complex_numIdEiiPKPS3_EEvT1_T3_lS7_lPT2_S7_S7_ ; -- Begin function _ZN9rocsolver6v33100L23getf2_npvt_small_kernelILi45E19rocblas_complex_numIdEiiPKPS3_EEvT1_T3_lS7_lPT2_S7_S7_
	.p2align	8
	.type	_ZN9rocsolver6v33100L23getf2_npvt_small_kernelILi45E19rocblas_complex_numIdEiiPKPS3_EEvT1_T3_lS7_lPT2_S7_S7_,@function
_ZN9rocsolver6v33100L23getf2_npvt_small_kernelILi45E19rocblas_complex_numIdEiiPKPS3_EEvT1_T3_lS7_lPT2_S7_S7_: ; @_ZN9rocsolver6v33100L23getf2_npvt_small_kernelILi45E19rocblas_complex_numIdEiiPKPS3_EEvT1_T3_lS7_lPT2_S7_S7_
; %bb.0:
	s_clause 0x1
	s_load_b32 s2, s[0:1], 0x44
	s_load_b64 s[10:11], s[0:1], 0x30
	v_bfe_u32 v1, v0, 10, 10
	s_waitcnt lgkmcnt(0)
	s_lshr_b32 s9, s2, 16
	s_mov_b32 s2, exec_lo
	s_delay_alu instid0(VALU_DEP_1) | instskip(NEXT) | instid1(VALU_DEP_1)
	v_mad_u64_u32 v[217:218], null, s15, s9, v[1:2]
	v_cmpx_gt_i32_e64 s10, v217
	s_cbranch_execz .LBB89_410
; %bb.1:
	s_clause 0x1
	s_load_b128 s[4:7], s[0:1], 0x8
	s_load_b32 s8, s[0:1], 0x18
	v_ashrrev_i32_e32 v218, 31, v217
	v_and_b32_e32 v210, 0x3ff, v0
	v_mad_u32_u24 v212, 0x2d0, v1, 0
	v_lshlrev_b32_e32 v1, 4, v1
	s_mulk_i32 s9, 0x2d0
	v_lshlrev_b64 v[2:3], 3, v[217:218]
	s_delay_alu instid0(VALU_DEP_2) | instskip(SKIP_1) | instid1(VALU_DEP_2)
	v_add3_u32 v211, 0, s9, v1
	s_waitcnt lgkmcnt(0)
	v_add_co_u32 v2, vcc_lo, s4, v2
	s_delay_alu instid0(VALU_DEP_3)
	v_add_co_ci_u32_e32 v3, vcc_lo, s5, v3, vcc_lo
	v_add3_u32 v4, s8, s8, v210
	s_lshl_b64 s[2:3], s[6:7], 4
	s_ashr_i32 s9, s8, 31
	global_load_b64 v[2:3], v[2:3], off
	s_lshl_b64 s[4:5], s[8:9], 4
	v_add_nc_u32_e32 v6, s8, v4
	v_ashrrev_i32_e32 v5, 31, v4
	s_delay_alu instid0(VALU_DEP_2) | instskip(NEXT) | instid1(VALU_DEP_2)
	v_add_nc_u32_e32 v10, s8, v6
	v_lshlrev_b64 v[8:9], 4, v[4:5]
	v_ashrrev_i32_e32 v7, 31, v6
	s_delay_alu instid0(VALU_DEP_3) | instskip(SKIP_1) | instid1(VALU_DEP_3)
	v_add_nc_u32_e32 v12, s8, v10
	v_ashrrev_i32_e32 v11, 31, v10
	v_lshlrev_b64 v[6:7], 4, v[6:7]
	s_delay_alu instid0(VALU_DEP_3) | instskip(SKIP_1) | instid1(VALU_DEP_4)
	v_add_nc_u32_e32 v14, s8, v12
	v_ashrrev_i32_e32 v13, 31, v12
	v_lshlrev_b64 v[4:5], 4, v[10:11]
	s_delay_alu instid0(VALU_DEP_3) | instskip(NEXT) | instid1(VALU_DEP_3)
	v_add_nc_u32_e32 v16, s8, v14
	v_lshlrev_b64 v[10:11], 4, v[12:13]
	v_ashrrev_i32_e32 v15, 31, v14
	s_delay_alu instid0(VALU_DEP_3) | instskip(SKIP_1) | instid1(VALU_DEP_3)
	v_add_nc_u32_e32 v18, s8, v16
	v_ashrrev_i32_e32 v17, 31, v16
	v_lshlrev_b64 v[14:15], 4, v[14:15]
	s_delay_alu instid0(VALU_DEP_3) | instskip(SKIP_1) | instid1(VALU_DEP_4)
	v_add_nc_u32_e32 v20, s8, v18
	v_ashrrev_i32_e32 v19, 31, v18
	v_lshlrev_b64 v[16:17], 4, v[16:17]
	s_delay_alu instid0(VALU_DEP_3) | instskip(SKIP_1) | instid1(VALU_DEP_4)
	;; [unrolled: 4-line block ×22, first 2 shown]
	v_ashrrev_i32_e32 v59, 31, v58
	v_add_nc_u32_e32 v60, s8, v58
	v_lshlrev_b64 v[56:57], 4, v[56:57]
	s_delay_alu instid0(VALU_DEP_2) | instskip(SKIP_4) | instid1(VALU_DEP_3)
	v_ashrrev_i32_e32 v61, 31, v60
	s_waitcnt vmcnt(0)
	v_add_co_u32 v0, vcc_lo, v2, s2
	v_add_co_ci_u32_e32 v62, vcc_lo, s3, v3, vcc_lo
	v_lshlrev_b64 v[2:3], 4, v[58:59]
	v_add_co_u32 v83, vcc_lo, v0, v8
	s_delay_alu instid0(VALU_DEP_3)
	v_add_co_ci_u32_e32 v84, vcc_lo, v62, v9, vcc_lo
	v_add_co_u32 v81, vcc_lo, v0, v6
	v_add_co_ci_u32_e32 v82, vcc_lo, v62, v7, vcc_lo
	v_add_co_u32 v79, vcc_lo, v0, v4
	;; [unrolled: 2-line block ×27, first 2 shown]
	v_add_co_ci_u32_e32 v244, vcc_lo, v62, v3, vcc_lo
	v_lshlrev_b64 v[2:3], 4, v[60:61]
	s_clause 0x7
	scratch_store_b64 off, v[83:84], off offset:224
	scratch_store_b64 off, v[81:82], off offset:216
	;; [unrolled: 1-line block ×8, first 2 shown]
	v_add_co_u32 v239, vcc_lo, v0, v2
	v_add_nc_u32_e32 v2, s8, v60
	v_add_co_ci_u32_e32 v240, vcc_lo, v62, v3, vcc_lo
	s_clause 0x3
	scratch_store_b64 off, v[67:68], off offset:160
	scratch_store_b64 off, v[65:66], off offset:152
	scratch_store_b64 off, v[63:64], off offset:144
	scratch_store_b64 off, v[58:59], off offset:136
	v_ashrrev_i32_e32 v3, 31, v2
	s_clause 0x3
	scratch_store_b64 off, v[29:30], off offset:128
	scratch_store_b64 off, v[27:28], off offset:120
	;; [unrolled: 1-line block ×4, first 2 shown]
	v_lshlrev_b64 v[3:4], 4, v[2:3]
	v_add_nc_u32_e32 v2, s8, v2
	s_clause 0x3
	scratch_store_b64 off, v[21:22], off offset:96
	scratch_store_b64 off, v[19:20], off offset:88
	;; [unrolled: 1-line block ×4, first 2 shown]
	v_add_co_u32 v241, vcc_lo, v0, v3
	v_ashrrev_i32_e32 v3, 31, v2
	v_add_co_ci_u32_e32 v242, vcc_lo, v62, v4, vcc_lo
	s_clause 0x3
	scratch_store_b64 off, v[13:14], off offset:64
	scratch_store_b64 off, v[11:12], off offset:56
	;; [unrolled: 1-line block ×4, first 2 shown]
	v_lshlrev_b64 v[3:4], 4, v[2:3]
	v_add_nc_u32_e32 v2, s8, v2
	s_clause 0x4
	global_load_b128 v[168:171], v[83:84], off
	global_load_b128 v[164:167], v[81:82], off
	;; [unrolled: 1-line block ×5, first 2 shown]
	v_add_co_u32 v235, vcc_lo, v0, v3
	v_ashrrev_i32_e32 v3, 31, v2
	v_add_co_ci_u32_e32 v236, vcc_lo, v62, v4, vcc_lo
	s_clause 0x1
	global_load_b128 v[148:151], v[73:74], off
	global_load_b128 v[144:147], v[71:72], off
	v_lshlrev_b64 v[3:4], 4, v[2:3]
	v_add_nc_u32_e32 v2, s8, v2
	s_clause 0x3
	global_load_b128 v[140:143], v[69:70], off
	global_load_b128 v[136:139], v[67:68], off
	global_load_b128 v[132:135], v[65:66], off
	global_load_b128 v[128:131], v[63:64], off
	v_add_co_u32 v237, vcc_lo, v0, v3
	v_ashrrev_i32_e32 v3, 31, v2
	v_add_co_ci_u32_e32 v238, vcc_lo, v62, v4, vcc_lo
	s_clause 0x1
	global_load_b128 v[124:127], v[58:59], off
	global_load_b128 v[120:123], v[29:30], off
	v_lshlrev_b64 v[3:4], 4, v[2:3]
	v_add_nc_u32_e32 v2, s8, v2
	s_clause 0x3
	global_load_b128 v[116:119], v[27:28], off
	global_load_b128 v[112:115], v[25:26], off
	global_load_b128 v[108:111], v[23:24], off
	global_load_b128 v[104:107], v[21:22], off
	v_add_co_u32 v231, vcc_lo, v0, v3
	v_ashrrev_i32_e32 v3, 31, v2
	v_add_co_ci_u32_e32 v232, vcc_lo, v62, v4, vcc_lo
	s_clause 0x1
	global_load_b128 v[100:103], v[19:20], off
	global_load_b128 v[96:99], v[17:18], off
	v_lshlrev_b64 v[3:4], 4, v[2:3]
	v_add_nc_u32_e32 v2, s8, v2
	s_clause 0x3
	global_load_b128 v[92:95], v[15:16], off
	global_load_b128 v[88:91], v[13:14], off
	global_load_b128 v[84:87], v[11:12], off
	global_load_b128 v[80:83], v[9:10], off
	v_add_co_u32 v233, vcc_lo, v0, v3
	v_ashrrev_i32_e32 v3, 31, v2
	v_add_co_ci_u32_e32 v234, vcc_lo, v62, v4, vcc_lo
	s_clause 0x2
	global_load_b128 v[76:79], v[7:8], off
	global_load_b128 v[72:75], v[174:175], off
	;; [unrolled: 1-line block ×3, first 2 shown]
	v_cmp_ne_u32_e64 s3, 0, v210
	v_lshlrev_b64 v[3:4], 4, v[2:3]
	v_add_nc_u32_e32 v2, s8, v2
	v_cmp_eq_u32_e64 s2, 0, v210
	s_delay_alu instid0(VALU_DEP_3) | instskip(NEXT) | instid1(VALU_DEP_3)
	v_add_co_u32 v227, vcc_lo, v0, v3
	v_ashrrev_i32_e32 v3, 31, v2
	v_add_co_ci_u32_e32 v228, vcc_lo, v62, v4, vcc_lo
	s_delay_alu instid0(VALU_DEP_2) | instskip(SKIP_1) | instid1(VALU_DEP_2)
	v_lshlrev_b64 v[3:4], 4, v[2:3]
	v_add_nc_u32_e32 v2, s8, v2
	v_add_co_u32 v229, vcc_lo, v0, v3
	s_delay_alu instid0(VALU_DEP_2) | instskip(NEXT) | instid1(VALU_DEP_4)
	v_ashrrev_i32_e32 v3, 31, v2
	v_add_co_ci_u32_e32 v230, vcc_lo, v62, v4, vcc_lo
	s_delay_alu instid0(VALU_DEP_2) | instskip(SKIP_1) | instid1(VALU_DEP_2)
	v_lshlrev_b64 v[3:4], 4, v[2:3]
	v_add_nc_u32_e32 v2, s8, v2
	v_add_co_u32 v223, vcc_lo, v0, v3
	s_delay_alu instid0(VALU_DEP_2) | instskip(NEXT) | instid1(VALU_DEP_4)
	;; [unrolled: 7-line block ×7, first 2 shown]
	v_ashrrev_i32_e32 v3, 31, v2
	v_add_co_ci_u32_e32 v246, vcc_lo, v62, v4, vcc_lo
	s_delay_alu instid0(VALU_DEP_2) | instskip(NEXT) | instid1(VALU_DEP_1)
	v_lshlrev_b64 v[2:3], 4, v[2:3]
	v_add_co_u32 v178, vcc_lo, v0, v2
	v_lshlrev_b32_e32 v2, 4, v210
	s_delay_alu instid0(VALU_DEP_3) | instskip(NEXT) | instid1(VALU_DEP_2)
	v_add_co_ci_u32_e32 v179, vcc_lo, v62, v3, vcc_lo
	v_add_co_u32 v2, vcc_lo, v0, v2
	v_add_co_ci_u32_e32 v3, vcc_lo, 0, v62, vcc_lo
	s_delay_alu instid0(VALU_DEP_2)
	v_add_co_u32 v0, vcc_lo, v2, s4
	global_load_b128 v[7:10], v[2:3], off
	v_add_co_ci_u32_e32 v1, vcc_lo, s5, v3, vcc_lo
	scratch_store_b64 off, v[2:3], off offset:240 ; 8-byte Folded Spill
	s_waitcnt vmcnt(0)
	s_clause 0x1
	scratch_store_b128 off, v[7:10], off offset:16
	scratch_store_b64 off, v[0:1], off offset:232
	global_load_b128 v[0:3], v[0:1], off
	s_waitcnt vmcnt(0)
	s_clause 0x1
	scratch_store_b128 off, v[0:3], off
	scratch_store_b64 off, v[5:6], off offset:32
	s_clause 0xc
	global_load_b128 v[64:67], v[5:6], off
	global_load_b128 v[60:63], v[243:244], off
	;; [unrolled: 1-line block ×13, first 2 shown]
	scratch_store_b64 off, v[172:173], off offset:552 ; 8-byte Folded Spill
	s_clause 0x3
	global_load_b128 v[12:15], v[172:173], off
	global_load_b128 v[8:11], v[221:222], off
	;; [unrolled: 1-line block ×4, first 2 shown]
	s_and_saveexec_b32 s5, s2
	s_cbranch_execz .LBB89_8
; %bb.2:
	scratch_load_b128 v[180:183], off, off offset:16 ; 16-byte Folded Reload
	s_waitcnt vmcnt(0)
	ds_store_2addr_b64 v211, v[180:181], v[182:183] offset1:1
	scratch_load_b128 v[180:183], off, off  ; 16-byte Folded Reload
	s_waitcnt vmcnt(0)
	ds_store_2addr_b64 v212, v[180:181], v[182:183] offset0:2 offset1:3
	ds_store_2addr_b64 v212, v[168:169], v[170:171] offset0:4 offset1:5
	;; [unrolled: 1-line block ×44, first 2 shown]
	ds_load_2addr_b64 v[180:183], v211 offset1:1
	s_waitcnt lgkmcnt(0)
	v_cmp_neq_f64_e32 vcc_lo, 0, v[180:181]
	v_cmp_neq_f64_e64 s4, 0, v[182:183]
	s_delay_alu instid0(VALU_DEP_1) | instskip(NEXT) | instid1(SALU_CYCLE_1)
	s_or_b32 s4, vcc_lo, s4
	s_and_b32 exec_lo, exec_lo, s4
	s_cbranch_execz .LBB89_8
; %bb.3:
	v_cmp_gt_f64_e32 vcc_lo, 0, v[180:181]
	v_cmp_gt_f64_e64 s4, 0, v[182:183]
	v_xor_b32_e32 v184, 0x80000000, v181
	v_xor_b32_e32 v186, 0x80000000, v183
                                        ; implicit-def: $vgpr188_vgpr189
	s_delay_alu instid0(VALU_DEP_2) | instskip(NEXT) | instid1(VALU_DEP_2)
	v_cndmask_b32_e32 v185, v181, v184, vcc_lo
	v_cndmask_b32_e64 v187, v183, v186, s4
	v_cndmask_b32_e32 v184, v180, v180, vcc_lo
	v_cndmask_b32_e64 v186, v182, v182, s4
	s_mov_b32 s4, exec_lo
	s_delay_alu instid0(VALU_DEP_1)
	v_cmpx_ngt_f64_e32 v[184:185], v[186:187]
	s_xor_b32 s4, exec_lo, s4
                                        ; implicit-def: $vgpr184_vgpr185_vgpr186_vgpr187
	s_cbranch_execz .LBB89_5
; %bb.4:
	v_div_scale_f64 v[184:185], null, v[182:183], v[182:183], v[180:181]
	v_div_scale_f64 v[190:191], vcc_lo, v[180:181], v[182:183], v[180:181]
	s_delay_alu instid0(VALU_DEP_2) | instskip(SKIP_2) | instid1(VALU_DEP_1)
	v_rcp_f64_e32 v[186:187], v[184:185]
	s_waitcnt_depctr 0xfff
	v_fma_f64 v[188:189], -v[184:185], v[186:187], 1.0
	v_fma_f64 v[186:187], v[186:187], v[188:189], v[186:187]
	s_delay_alu instid0(VALU_DEP_1) | instskip(NEXT) | instid1(VALU_DEP_1)
	v_fma_f64 v[188:189], -v[184:185], v[186:187], 1.0
	v_fma_f64 v[186:187], v[186:187], v[188:189], v[186:187]
	s_delay_alu instid0(VALU_DEP_1) | instskip(NEXT) | instid1(VALU_DEP_1)
	v_mul_f64 v[188:189], v[190:191], v[186:187]
	v_fma_f64 v[184:185], -v[184:185], v[188:189], v[190:191]
	s_delay_alu instid0(VALU_DEP_1) | instskip(NEXT) | instid1(VALU_DEP_1)
	v_div_fmas_f64 v[184:185], v[184:185], v[186:187], v[188:189]
	v_div_fixup_f64 v[184:185], v[184:185], v[182:183], v[180:181]
	s_delay_alu instid0(VALU_DEP_1) | instskip(NEXT) | instid1(VALU_DEP_1)
	v_fma_f64 v[180:181], v[180:181], v[184:185], v[182:183]
	v_div_scale_f64 v[182:183], null, v[180:181], v[180:181], 1.0
	s_delay_alu instid0(VALU_DEP_1) | instskip(SKIP_2) | instid1(VALU_DEP_1)
	v_rcp_f64_e32 v[186:187], v[182:183]
	s_waitcnt_depctr 0xfff
	v_fma_f64 v[188:189], -v[182:183], v[186:187], 1.0
	v_fma_f64 v[186:187], v[186:187], v[188:189], v[186:187]
	s_delay_alu instid0(VALU_DEP_1) | instskip(NEXT) | instid1(VALU_DEP_1)
	v_fma_f64 v[188:189], -v[182:183], v[186:187], 1.0
	v_fma_f64 v[186:187], v[186:187], v[188:189], v[186:187]
	v_div_scale_f64 v[188:189], vcc_lo, 1.0, v[180:181], 1.0
	s_delay_alu instid0(VALU_DEP_1) | instskip(NEXT) | instid1(VALU_DEP_1)
	v_mul_f64 v[190:191], v[188:189], v[186:187]
	v_fma_f64 v[182:183], -v[182:183], v[190:191], v[188:189]
	s_delay_alu instid0(VALU_DEP_1) | instskip(NEXT) | instid1(VALU_DEP_1)
	v_div_fmas_f64 v[182:183], v[182:183], v[186:187], v[190:191]
	v_div_fixup_f64 v[186:187], v[182:183], v[180:181], 1.0
                                        ; implicit-def: $vgpr180_vgpr181
	s_delay_alu instid0(VALU_DEP_1)
	v_mul_f64 v[188:189], v[184:185], v[186:187]
	v_xor_b32_e32 v187, 0x80000000, v187
.LBB89_5:
	s_and_not1_saveexec_b32 s4, s4
	s_cbranch_execz .LBB89_7
; %bb.6:
	v_div_scale_f64 v[184:185], null, v[180:181], v[180:181], v[182:183]
	v_div_scale_f64 v[190:191], vcc_lo, v[182:183], v[180:181], v[182:183]
	s_delay_alu instid0(VALU_DEP_2) | instskip(SKIP_2) | instid1(VALU_DEP_1)
	v_rcp_f64_e32 v[186:187], v[184:185]
	s_waitcnt_depctr 0xfff
	v_fma_f64 v[188:189], -v[184:185], v[186:187], 1.0
	v_fma_f64 v[186:187], v[186:187], v[188:189], v[186:187]
	s_delay_alu instid0(VALU_DEP_1) | instskip(NEXT) | instid1(VALU_DEP_1)
	v_fma_f64 v[188:189], -v[184:185], v[186:187], 1.0
	v_fma_f64 v[186:187], v[186:187], v[188:189], v[186:187]
	s_delay_alu instid0(VALU_DEP_1) | instskip(NEXT) | instid1(VALU_DEP_1)
	v_mul_f64 v[188:189], v[190:191], v[186:187]
	v_fma_f64 v[184:185], -v[184:185], v[188:189], v[190:191]
	s_delay_alu instid0(VALU_DEP_1) | instskip(NEXT) | instid1(VALU_DEP_1)
	v_div_fmas_f64 v[184:185], v[184:185], v[186:187], v[188:189]
	v_div_fixup_f64 v[184:185], v[184:185], v[180:181], v[182:183]
	s_delay_alu instid0(VALU_DEP_1) | instskip(NEXT) | instid1(VALU_DEP_1)
	v_fma_f64 v[180:181], v[182:183], v[184:185], v[180:181]
	v_div_scale_f64 v[182:183], null, v[180:181], v[180:181], 1.0
	s_delay_alu instid0(VALU_DEP_1) | instskip(SKIP_2) | instid1(VALU_DEP_1)
	v_rcp_f64_e32 v[186:187], v[182:183]
	s_waitcnt_depctr 0xfff
	v_fma_f64 v[188:189], -v[182:183], v[186:187], 1.0
	v_fma_f64 v[186:187], v[186:187], v[188:189], v[186:187]
	s_delay_alu instid0(VALU_DEP_1) | instskip(NEXT) | instid1(VALU_DEP_1)
	v_fma_f64 v[188:189], -v[182:183], v[186:187], 1.0
	v_fma_f64 v[186:187], v[186:187], v[188:189], v[186:187]
	v_div_scale_f64 v[188:189], vcc_lo, 1.0, v[180:181], 1.0
	s_delay_alu instid0(VALU_DEP_1) | instskip(NEXT) | instid1(VALU_DEP_1)
	v_mul_f64 v[190:191], v[188:189], v[186:187]
	v_fma_f64 v[182:183], -v[182:183], v[190:191], v[188:189]
	s_delay_alu instid0(VALU_DEP_1) | instskip(NEXT) | instid1(VALU_DEP_1)
	v_div_fmas_f64 v[182:183], v[182:183], v[186:187], v[190:191]
	v_div_fixup_f64 v[188:189], v[182:183], v[180:181], 1.0
	s_delay_alu instid0(VALU_DEP_1)
	v_mul_f64 v[186:187], v[184:185], -v[188:189]
.LBB89_7:
	s_or_b32 exec_lo, exec_lo, s4
	ds_store_2addr_b64 v211, v[188:189], v[186:187] offset1:1
.LBB89_8:
	s_or_b32 exec_lo, exec_lo, s5
	s_waitcnt vmcnt(0) lgkmcnt(0)
	s_waitcnt_vscnt null, 0x0
	s_barrier
	buffer_gl0_inv
	ds_load_2addr_b64 v[180:183], v211 offset1:1
	s_waitcnt lgkmcnt(0)
	scratch_store_b128 off, v[180:183], off offset:248 ; 16-byte Folded Spill
	s_and_saveexec_b32 s4, s3
	s_cbranch_execz .LBB89_10
; %bb.9:
	s_clause 0x1
	scratch_load_b128 v[186:189], off, off offset:16
	scratch_load_b128 v[182:185], off, off offset:248
	v_dual_mov_b32 v172, v178 :: v_dual_mov_b32 v173, v179
	s_waitcnt vmcnt(0)
	v_mul_f64 v[178:179], v[182:183], v[188:189]
	v_mul_f64 v[180:181], v[184:185], v[188:189]
	s_delay_alu instid0(VALU_DEP_2) | instskip(NEXT) | instid1(VALU_DEP_2)
	v_fma_f64 v[188:189], v[184:185], v[186:187], v[178:179]
	v_fma_f64 v[180:181], v[182:183], v[186:187], -v[180:181]
	ds_load_2addr_b64 v[182:185], v212 offset0:2 offset1:3
	v_dual_mov_b32 v179, v173 :: v_dual_mov_b32 v178, v172
	s_waitcnt lgkmcnt(0)
	v_mul_f64 v[176:177], v[184:185], v[188:189]
	s_delay_alu instid0(VALU_DEP_1) | instskip(SKIP_1) | instid1(VALU_DEP_1)
	v_fma_f64 v[176:177], v[182:183], v[180:181], -v[176:177]
	v_mul_f64 v[182:183], v[182:183], v[188:189]
	v_fma_f64 v[182:183], v[184:185], v[180:181], v[182:183]
	scratch_load_b128 v[184:187], off, off  ; 16-byte Folded Reload
	s_waitcnt vmcnt(0)
	v_add_f64 v[184:185], v[184:185], -v[176:177]
	v_add_f64 v[186:187], v[186:187], -v[182:183]
	scratch_store_b128 off, v[184:187], off ; 16-byte Folded Spill
	ds_load_2addr_b64 v[182:185], v212 offset0:4 offset1:5
	v_dual_mov_b32 v187, v181 :: v_dual_mov_b32 v186, v180
	scratch_store_b128 off, v[186:189], off offset:16 ; 16-byte Folded Spill
	s_waitcnt lgkmcnt(0)
	v_mul_f64 v[176:177], v[184:185], v[188:189]
	s_delay_alu instid0(VALU_DEP_1) | instskip(SKIP_1) | instid1(VALU_DEP_2)
	v_fma_f64 v[176:177], v[182:183], v[180:181], -v[176:177]
	v_mul_f64 v[182:183], v[182:183], v[188:189]
	v_add_f64 v[168:169], v[168:169], -v[176:177]
	s_delay_alu instid0(VALU_DEP_2) | instskip(NEXT) | instid1(VALU_DEP_1)
	v_fma_f64 v[182:183], v[184:185], v[180:181], v[182:183]
	v_add_f64 v[170:171], v[170:171], -v[182:183]
	ds_load_2addr_b64 v[182:185], v212 offset0:6 offset1:7
	s_waitcnt lgkmcnt(0)
	v_mul_f64 v[176:177], v[184:185], v[188:189]
	s_delay_alu instid0(VALU_DEP_1) | instskip(SKIP_1) | instid1(VALU_DEP_2)
	v_fma_f64 v[176:177], v[182:183], v[180:181], -v[176:177]
	v_mul_f64 v[182:183], v[182:183], v[188:189]
	v_add_f64 v[164:165], v[164:165], -v[176:177]
	s_delay_alu instid0(VALU_DEP_2) | instskip(NEXT) | instid1(VALU_DEP_1)
	v_fma_f64 v[182:183], v[184:185], v[180:181], v[182:183]
	v_add_f64 v[166:167], v[166:167], -v[182:183]
	ds_load_2addr_b64 v[182:185], v212 offset0:8 offset1:9
	;; [unrolled: 10-line block ×42, first 2 shown]
	s_waitcnt lgkmcnt(0)
	v_mul_f64 v[176:177], v[184:185], v[188:189]
	s_delay_alu instid0(VALU_DEP_1) | instskip(SKIP_1) | instid1(VALU_DEP_2)
	v_fma_f64 v[176:177], v[182:183], v[180:181], -v[176:177]
	v_mul_f64 v[182:183], v[182:183], v[188:189]
	v_add_f64 v[0:1], v[0:1], -v[176:177]
	s_delay_alu instid0(VALU_DEP_2) | instskip(NEXT) | instid1(VALU_DEP_1)
	v_fma_f64 v[182:183], v[184:185], v[180:181], v[182:183]
	v_add_f64 v[2:3], v[2:3], -v[182:183]
.LBB89_10:
	s_or_b32 exec_lo, exec_lo, s4
	s_delay_alu instid0(SALU_CYCLE_1)
	s_mov_b32 s4, exec_lo
	s_waitcnt_vscnt null, 0x0
	s_barrier
	buffer_gl0_inv
	v_cmpx_eq_u32_e32 1, v210
	s_cbranch_execz .LBB89_17
; %bb.11:
	scratch_load_b128 v[180:183], off, off  ; 16-byte Folded Reload
	s_waitcnt vmcnt(0)
	ds_store_2addr_b64 v211, v[180:181], v[182:183] offset1:1
	ds_store_2addr_b64 v212, v[168:169], v[170:171] offset0:4 offset1:5
	ds_store_2addr_b64 v212, v[164:165], v[166:167] offset0:6 offset1:7
	;; [unrolled: 1-line block ×43, first 2 shown]
	ds_load_2addr_b64 v[180:183], v211 offset1:1
	s_waitcnt lgkmcnt(0)
	v_cmp_neq_f64_e32 vcc_lo, 0, v[180:181]
	v_cmp_neq_f64_e64 s3, 0, v[182:183]
	s_delay_alu instid0(VALU_DEP_1) | instskip(NEXT) | instid1(SALU_CYCLE_1)
	s_or_b32 s3, vcc_lo, s3
	s_and_b32 exec_lo, exec_lo, s3
	s_cbranch_execz .LBB89_17
; %bb.12:
	v_cmp_gt_f64_e32 vcc_lo, 0, v[180:181]
	v_xor_b32_e32 v184, 0x80000000, v181
	v_xor_b32_e32 v186, 0x80000000, v183
	s_mov_b32 s3, exec_lo
                                        ; implicit-def: $vgpr188_vgpr189
	s_delay_alu instid0(VALU_DEP_2) | instskip(SKIP_4) | instid1(VALU_DEP_1)
	v_cndmask_b32_e32 v185, v181, v184, vcc_lo
	v_cndmask_b32_e32 v184, v180, v180, vcc_lo
	v_cmp_gt_f64_e32 vcc_lo, 0, v[182:183]
	v_cndmask_b32_e32 v187, v183, v186, vcc_lo
	v_cndmask_b32_e32 v186, v182, v182, vcc_lo
	v_cmpx_ngt_f64_e32 v[184:185], v[186:187]
	s_xor_b32 s3, exec_lo, s3
                                        ; implicit-def: $vgpr184_vgpr185_vgpr186_vgpr187
	s_cbranch_execz .LBB89_14
; %bb.13:
	v_div_scale_f64 v[184:185], null, v[182:183], v[182:183], v[180:181]
	v_div_scale_f64 v[190:191], vcc_lo, v[180:181], v[182:183], v[180:181]
	s_delay_alu instid0(VALU_DEP_2) | instskip(SKIP_2) | instid1(VALU_DEP_1)
	v_rcp_f64_e32 v[186:187], v[184:185]
	s_waitcnt_depctr 0xfff
	v_fma_f64 v[188:189], -v[184:185], v[186:187], 1.0
	v_fma_f64 v[186:187], v[186:187], v[188:189], v[186:187]
	s_delay_alu instid0(VALU_DEP_1) | instskip(NEXT) | instid1(VALU_DEP_1)
	v_fma_f64 v[188:189], -v[184:185], v[186:187], 1.0
	v_fma_f64 v[186:187], v[186:187], v[188:189], v[186:187]
	s_delay_alu instid0(VALU_DEP_1) | instskip(NEXT) | instid1(VALU_DEP_1)
	v_mul_f64 v[188:189], v[190:191], v[186:187]
	v_fma_f64 v[184:185], -v[184:185], v[188:189], v[190:191]
	s_delay_alu instid0(VALU_DEP_1) | instskip(NEXT) | instid1(VALU_DEP_1)
	v_div_fmas_f64 v[184:185], v[184:185], v[186:187], v[188:189]
	v_div_fixup_f64 v[184:185], v[184:185], v[182:183], v[180:181]
	s_delay_alu instid0(VALU_DEP_1) | instskip(NEXT) | instid1(VALU_DEP_1)
	v_fma_f64 v[180:181], v[180:181], v[184:185], v[182:183]
	v_div_scale_f64 v[182:183], null, v[180:181], v[180:181], 1.0
	s_delay_alu instid0(VALU_DEP_1) | instskip(SKIP_2) | instid1(VALU_DEP_1)
	v_rcp_f64_e32 v[186:187], v[182:183]
	s_waitcnt_depctr 0xfff
	v_fma_f64 v[188:189], -v[182:183], v[186:187], 1.0
	v_fma_f64 v[186:187], v[186:187], v[188:189], v[186:187]
	s_delay_alu instid0(VALU_DEP_1) | instskip(NEXT) | instid1(VALU_DEP_1)
	v_fma_f64 v[188:189], -v[182:183], v[186:187], 1.0
	v_fma_f64 v[186:187], v[186:187], v[188:189], v[186:187]
	v_div_scale_f64 v[188:189], vcc_lo, 1.0, v[180:181], 1.0
	s_delay_alu instid0(VALU_DEP_1) | instskip(NEXT) | instid1(VALU_DEP_1)
	v_mul_f64 v[190:191], v[188:189], v[186:187]
	v_fma_f64 v[182:183], -v[182:183], v[190:191], v[188:189]
	s_delay_alu instid0(VALU_DEP_1) | instskip(NEXT) | instid1(VALU_DEP_1)
	v_div_fmas_f64 v[182:183], v[182:183], v[186:187], v[190:191]
	v_div_fixup_f64 v[186:187], v[182:183], v[180:181], 1.0
                                        ; implicit-def: $vgpr180_vgpr181
	s_delay_alu instid0(VALU_DEP_1)
	v_mul_f64 v[188:189], v[184:185], v[186:187]
	v_xor_b32_e32 v187, 0x80000000, v187
.LBB89_14:
	s_and_not1_saveexec_b32 s3, s3
	s_cbranch_execz .LBB89_16
; %bb.15:
	v_div_scale_f64 v[184:185], null, v[180:181], v[180:181], v[182:183]
	v_div_scale_f64 v[190:191], vcc_lo, v[182:183], v[180:181], v[182:183]
	s_delay_alu instid0(VALU_DEP_2) | instskip(SKIP_2) | instid1(VALU_DEP_1)
	v_rcp_f64_e32 v[186:187], v[184:185]
	s_waitcnt_depctr 0xfff
	v_fma_f64 v[188:189], -v[184:185], v[186:187], 1.0
	v_fma_f64 v[186:187], v[186:187], v[188:189], v[186:187]
	s_delay_alu instid0(VALU_DEP_1) | instskip(NEXT) | instid1(VALU_DEP_1)
	v_fma_f64 v[188:189], -v[184:185], v[186:187], 1.0
	v_fma_f64 v[186:187], v[186:187], v[188:189], v[186:187]
	s_delay_alu instid0(VALU_DEP_1) | instskip(NEXT) | instid1(VALU_DEP_1)
	v_mul_f64 v[188:189], v[190:191], v[186:187]
	v_fma_f64 v[184:185], -v[184:185], v[188:189], v[190:191]
	s_delay_alu instid0(VALU_DEP_1) | instskip(NEXT) | instid1(VALU_DEP_1)
	v_div_fmas_f64 v[184:185], v[184:185], v[186:187], v[188:189]
	v_div_fixup_f64 v[184:185], v[184:185], v[180:181], v[182:183]
	s_delay_alu instid0(VALU_DEP_1) | instskip(NEXT) | instid1(VALU_DEP_1)
	v_fma_f64 v[180:181], v[182:183], v[184:185], v[180:181]
	v_div_scale_f64 v[182:183], null, v[180:181], v[180:181], 1.0
	s_delay_alu instid0(VALU_DEP_1) | instskip(SKIP_2) | instid1(VALU_DEP_1)
	v_rcp_f64_e32 v[186:187], v[182:183]
	s_waitcnt_depctr 0xfff
	v_fma_f64 v[188:189], -v[182:183], v[186:187], 1.0
	v_fma_f64 v[186:187], v[186:187], v[188:189], v[186:187]
	s_delay_alu instid0(VALU_DEP_1) | instskip(NEXT) | instid1(VALU_DEP_1)
	v_fma_f64 v[188:189], -v[182:183], v[186:187], 1.0
	v_fma_f64 v[186:187], v[186:187], v[188:189], v[186:187]
	v_div_scale_f64 v[188:189], vcc_lo, 1.0, v[180:181], 1.0
	s_delay_alu instid0(VALU_DEP_1) | instskip(NEXT) | instid1(VALU_DEP_1)
	v_mul_f64 v[190:191], v[188:189], v[186:187]
	v_fma_f64 v[182:183], -v[182:183], v[190:191], v[188:189]
	s_delay_alu instid0(VALU_DEP_1) | instskip(NEXT) | instid1(VALU_DEP_1)
	v_div_fmas_f64 v[182:183], v[182:183], v[186:187], v[190:191]
	v_div_fixup_f64 v[188:189], v[182:183], v[180:181], 1.0
	s_delay_alu instid0(VALU_DEP_1)
	v_mul_f64 v[186:187], v[184:185], -v[188:189]
.LBB89_16:
	s_or_b32 exec_lo, exec_lo, s3
	ds_store_2addr_b64 v211, v[188:189], v[186:187] offset1:1
.LBB89_17:
	s_or_b32 exec_lo, exec_lo, s4
	s_waitcnt lgkmcnt(0)
	s_barrier
	buffer_gl0_inv
	ds_load_2addr_b64 v[180:183], v211 offset1:1
	s_mov_b32 s3, exec_lo
	s_waitcnt lgkmcnt(0)
	scratch_store_b128 off, v[180:183], off offset:264 ; 16-byte Folded Spill
	v_cmpx_lt_u32_e32 1, v210
	s_cbranch_execz .LBB89_19
; %bb.18:
	s_clause 0x1
	scratch_load_b128 v[184:187], off, off
	scratch_load_b128 v[188:191], off, off offset:264
	v_dual_mov_b32 v172, v174 :: v_dual_mov_b32 v173, v175
	s_waitcnt vmcnt(0)
	v_mul_f64 v[174:175], v[188:189], v[186:187]
	v_mul_f64 v[180:181], v[190:191], v[186:187]
	s_delay_alu instid0(VALU_DEP_2) | instskip(NEXT) | instid1(VALU_DEP_2)
	v_fma_f64 v[186:187], v[190:191], v[184:185], v[174:175]
	v_fma_f64 v[180:181], v[188:189], v[184:185], -v[180:181]
	ds_load_2addr_b64 v[182:185], v212 offset0:4 offset1:5
	v_dual_mov_b32 v175, v173 :: v_dual_mov_b32 v174, v172
	s_waitcnt lgkmcnt(0)
	v_mul_f64 v[172:173], v[184:185], v[186:187]
	s_delay_alu instid0(VALU_DEP_1) | instskip(SKIP_1) | instid1(VALU_DEP_2)
	v_fma_f64 v[172:173], v[182:183], v[180:181], -v[172:173]
	v_mul_f64 v[182:183], v[182:183], v[186:187]
	v_add_f64 v[168:169], v[168:169], -v[172:173]
	s_delay_alu instid0(VALU_DEP_2) | instskip(NEXT) | instid1(VALU_DEP_1)
	v_fma_f64 v[182:183], v[184:185], v[180:181], v[182:183]
	v_add_f64 v[170:171], v[170:171], -v[182:183]
	ds_load_2addr_b64 v[182:185], v212 offset0:6 offset1:7
	s_waitcnt lgkmcnt(0)
	v_mul_f64 v[172:173], v[184:185], v[186:187]
	s_delay_alu instid0(VALU_DEP_1) | instskip(SKIP_1) | instid1(VALU_DEP_2)
	v_fma_f64 v[172:173], v[182:183], v[180:181], -v[172:173]
	v_mul_f64 v[182:183], v[182:183], v[186:187]
	v_add_f64 v[164:165], v[164:165], -v[172:173]
	s_delay_alu instid0(VALU_DEP_2) | instskip(NEXT) | instid1(VALU_DEP_1)
	v_fma_f64 v[182:183], v[184:185], v[180:181], v[182:183]
	v_add_f64 v[166:167], v[166:167], -v[182:183]
	ds_load_2addr_b64 v[182:185], v212 offset0:8 offset1:9
	;; [unrolled: 10-line block ×42, first 2 shown]
	s_waitcnt lgkmcnt(0)
	v_mul_f64 v[172:173], v[184:185], v[186:187]
	s_delay_alu instid0(VALU_DEP_1) | instskip(SKIP_1) | instid1(VALU_DEP_2)
	v_fma_f64 v[172:173], v[182:183], v[180:181], -v[172:173]
	v_mul_f64 v[182:183], v[182:183], v[186:187]
	v_add_f64 v[0:1], v[0:1], -v[172:173]
	s_delay_alu instid0(VALU_DEP_2)
	v_fma_f64 v[182:183], v[184:185], v[180:181], v[182:183]
	v_dual_mov_b32 v185, v181 :: v_dual_mov_b32 v184, v180
	scratch_store_b128 off, v[184:187], off ; 16-byte Folded Spill
	v_add_f64 v[2:3], v[2:3], -v[182:183]
.LBB89_19:
	s_or_b32 exec_lo, exec_lo, s3
	s_delay_alu instid0(SALU_CYCLE_1)
	s_mov_b32 s4, exec_lo
	s_waitcnt_vscnt null, 0x0
	s_barrier
	buffer_gl0_inv
	v_cmpx_eq_u32_e32 2, v210
	s_cbranch_execz .LBB89_26
; %bb.20:
	ds_store_2addr_b64 v211, v[168:169], v[170:171] offset1:1
	ds_store_2addr_b64 v212, v[164:165], v[166:167] offset0:6 offset1:7
	ds_store_2addr_b64 v212, v[160:161], v[162:163] offset0:8 offset1:9
	;; [unrolled: 1-line block ×42, first 2 shown]
	ds_load_2addr_b64 v[180:183], v211 offset1:1
	s_waitcnt lgkmcnt(0)
	v_cmp_neq_f64_e32 vcc_lo, 0, v[180:181]
	v_cmp_neq_f64_e64 s3, 0, v[182:183]
	s_delay_alu instid0(VALU_DEP_1) | instskip(NEXT) | instid1(SALU_CYCLE_1)
	s_or_b32 s3, vcc_lo, s3
	s_and_b32 exec_lo, exec_lo, s3
	s_cbranch_execz .LBB89_26
; %bb.21:
	v_cmp_gt_f64_e32 vcc_lo, 0, v[180:181]
	v_xor_b32_e32 v184, 0x80000000, v181
	v_xor_b32_e32 v186, 0x80000000, v183
	s_mov_b32 s3, exec_lo
                                        ; implicit-def: $vgpr188_vgpr189
	s_delay_alu instid0(VALU_DEP_2) | instskip(SKIP_4) | instid1(VALU_DEP_1)
	v_cndmask_b32_e32 v185, v181, v184, vcc_lo
	v_cndmask_b32_e32 v184, v180, v180, vcc_lo
	v_cmp_gt_f64_e32 vcc_lo, 0, v[182:183]
	v_cndmask_b32_e32 v187, v183, v186, vcc_lo
	v_cndmask_b32_e32 v186, v182, v182, vcc_lo
	v_cmpx_ngt_f64_e32 v[184:185], v[186:187]
	s_xor_b32 s3, exec_lo, s3
                                        ; implicit-def: $vgpr184_vgpr185_vgpr186_vgpr187
	s_cbranch_execz .LBB89_23
; %bb.22:
	v_div_scale_f64 v[184:185], null, v[182:183], v[182:183], v[180:181]
	v_div_scale_f64 v[190:191], vcc_lo, v[180:181], v[182:183], v[180:181]
	s_delay_alu instid0(VALU_DEP_2) | instskip(SKIP_2) | instid1(VALU_DEP_1)
	v_rcp_f64_e32 v[186:187], v[184:185]
	s_waitcnt_depctr 0xfff
	v_fma_f64 v[188:189], -v[184:185], v[186:187], 1.0
	v_fma_f64 v[186:187], v[186:187], v[188:189], v[186:187]
	s_delay_alu instid0(VALU_DEP_1) | instskip(NEXT) | instid1(VALU_DEP_1)
	v_fma_f64 v[188:189], -v[184:185], v[186:187], 1.0
	v_fma_f64 v[186:187], v[186:187], v[188:189], v[186:187]
	s_delay_alu instid0(VALU_DEP_1) | instskip(NEXT) | instid1(VALU_DEP_1)
	v_mul_f64 v[188:189], v[190:191], v[186:187]
	v_fma_f64 v[184:185], -v[184:185], v[188:189], v[190:191]
	s_delay_alu instid0(VALU_DEP_1) | instskip(NEXT) | instid1(VALU_DEP_1)
	v_div_fmas_f64 v[184:185], v[184:185], v[186:187], v[188:189]
	v_div_fixup_f64 v[184:185], v[184:185], v[182:183], v[180:181]
	s_delay_alu instid0(VALU_DEP_1) | instskip(NEXT) | instid1(VALU_DEP_1)
	v_fma_f64 v[180:181], v[180:181], v[184:185], v[182:183]
	v_div_scale_f64 v[182:183], null, v[180:181], v[180:181], 1.0
	s_delay_alu instid0(VALU_DEP_1) | instskip(SKIP_2) | instid1(VALU_DEP_1)
	v_rcp_f64_e32 v[186:187], v[182:183]
	s_waitcnt_depctr 0xfff
	v_fma_f64 v[188:189], -v[182:183], v[186:187], 1.0
	v_fma_f64 v[186:187], v[186:187], v[188:189], v[186:187]
	s_delay_alu instid0(VALU_DEP_1) | instskip(NEXT) | instid1(VALU_DEP_1)
	v_fma_f64 v[188:189], -v[182:183], v[186:187], 1.0
	v_fma_f64 v[186:187], v[186:187], v[188:189], v[186:187]
	v_div_scale_f64 v[188:189], vcc_lo, 1.0, v[180:181], 1.0
	s_delay_alu instid0(VALU_DEP_1) | instskip(NEXT) | instid1(VALU_DEP_1)
	v_mul_f64 v[190:191], v[188:189], v[186:187]
	v_fma_f64 v[182:183], -v[182:183], v[190:191], v[188:189]
	s_delay_alu instid0(VALU_DEP_1) | instskip(NEXT) | instid1(VALU_DEP_1)
	v_div_fmas_f64 v[182:183], v[182:183], v[186:187], v[190:191]
	v_div_fixup_f64 v[186:187], v[182:183], v[180:181], 1.0
                                        ; implicit-def: $vgpr180_vgpr181
	s_delay_alu instid0(VALU_DEP_1)
	v_mul_f64 v[188:189], v[184:185], v[186:187]
	v_xor_b32_e32 v187, 0x80000000, v187
.LBB89_23:
	s_and_not1_saveexec_b32 s3, s3
	s_cbranch_execz .LBB89_25
; %bb.24:
	v_div_scale_f64 v[184:185], null, v[180:181], v[180:181], v[182:183]
	v_div_scale_f64 v[190:191], vcc_lo, v[182:183], v[180:181], v[182:183]
	s_delay_alu instid0(VALU_DEP_2) | instskip(SKIP_2) | instid1(VALU_DEP_1)
	v_rcp_f64_e32 v[186:187], v[184:185]
	s_waitcnt_depctr 0xfff
	v_fma_f64 v[188:189], -v[184:185], v[186:187], 1.0
	v_fma_f64 v[186:187], v[186:187], v[188:189], v[186:187]
	s_delay_alu instid0(VALU_DEP_1) | instskip(NEXT) | instid1(VALU_DEP_1)
	v_fma_f64 v[188:189], -v[184:185], v[186:187], 1.0
	v_fma_f64 v[186:187], v[186:187], v[188:189], v[186:187]
	s_delay_alu instid0(VALU_DEP_1) | instskip(NEXT) | instid1(VALU_DEP_1)
	v_mul_f64 v[188:189], v[190:191], v[186:187]
	v_fma_f64 v[184:185], -v[184:185], v[188:189], v[190:191]
	s_delay_alu instid0(VALU_DEP_1) | instskip(NEXT) | instid1(VALU_DEP_1)
	v_div_fmas_f64 v[184:185], v[184:185], v[186:187], v[188:189]
	v_div_fixup_f64 v[184:185], v[184:185], v[180:181], v[182:183]
	s_delay_alu instid0(VALU_DEP_1) | instskip(NEXT) | instid1(VALU_DEP_1)
	v_fma_f64 v[180:181], v[182:183], v[184:185], v[180:181]
	v_div_scale_f64 v[182:183], null, v[180:181], v[180:181], 1.0
	s_delay_alu instid0(VALU_DEP_1) | instskip(SKIP_2) | instid1(VALU_DEP_1)
	v_rcp_f64_e32 v[186:187], v[182:183]
	s_waitcnt_depctr 0xfff
	v_fma_f64 v[188:189], -v[182:183], v[186:187], 1.0
	v_fma_f64 v[186:187], v[186:187], v[188:189], v[186:187]
	s_delay_alu instid0(VALU_DEP_1) | instskip(NEXT) | instid1(VALU_DEP_1)
	v_fma_f64 v[188:189], -v[182:183], v[186:187], 1.0
	v_fma_f64 v[186:187], v[186:187], v[188:189], v[186:187]
	v_div_scale_f64 v[188:189], vcc_lo, 1.0, v[180:181], 1.0
	s_delay_alu instid0(VALU_DEP_1) | instskip(NEXT) | instid1(VALU_DEP_1)
	v_mul_f64 v[190:191], v[188:189], v[186:187]
	v_fma_f64 v[182:183], -v[182:183], v[190:191], v[188:189]
	s_delay_alu instid0(VALU_DEP_1) | instskip(NEXT) | instid1(VALU_DEP_1)
	v_div_fmas_f64 v[182:183], v[182:183], v[186:187], v[190:191]
	v_div_fixup_f64 v[188:189], v[182:183], v[180:181], 1.0
	s_delay_alu instid0(VALU_DEP_1)
	v_mul_f64 v[186:187], v[184:185], -v[188:189]
.LBB89_25:
	s_or_b32 exec_lo, exec_lo, s3
	ds_store_2addr_b64 v211, v[188:189], v[186:187] offset1:1
.LBB89_26:
	s_or_b32 exec_lo, exec_lo, s4
	s_waitcnt lgkmcnt(0)
	s_barrier
	buffer_gl0_inv
	ds_load_2addr_b64 v[180:183], v211 offset1:1
	s_mov_b32 s3, exec_lo
	s_waitcnt lgkmcnt(0)
	scratch_store_b128 off, v[180:183], off offset:280 ; 16-byte Folded Spill
	v_cmpx_lt_u32_e32 2, v210
	s_cbranch_execz .LBB89_28
; %bb.27:
	scratch_load_b128 v[182:185], off, off offset:280 ; 16-byte Folded Reload
	s_waitcnt vmcnt(0)
	v_mul_f64 v[180:181], v[184:185], v[170:171]
	v_mul_f64 v[170:171], v[182:183], v[170:171]
	s_delay_alu instid0(VALU_DEP_2) | instskip(NEXT) | instid1(VALU_DEP_2)
	v_fma_f64 v[180:181], v[182:183], v[168:169], -v[180:181]
	v_fma_f64 v[170:171], v[184:185], v[168:169], v[170:171]
	ds_load_2addr_b64 v[182:185], v212 offset0:6 offset1:7
	s_waitcnt lgkmcnt(0)
	v_mul_f64 v[168:169], v[184:185], v[170:171]
	s_delay_alu instid0(VALU_DEP_1) | instskip(SKIP_1) | instid1(VALU_DEP_2)
	v_fma_f64 v[168:169], v[182:183], v[180:181], -v[168:169]
	v_mul_f64 v[182:183], v[182:183], v[170:171]
	v_add_f64 v[164:165], v[164:165], -v[168:169]
	s_delay_alu instid0(VALU_DEP_2) | instskip(NEXT) | instid1(VALU_DEP_1)
	v_fma_f64 v[182:183], v[184:185], v[180:181], v[182:183]
	v_add_f64 v[166:167], v[166:167], -v[182:183]
	ds_load_2addr_b64 v[182:185], v212 offset0:8 offset1:9
	s_waitcnt lgkmcnt(0)
	v_mul_f64 v[168:169], v[184:185], v[170:171]
	s_delay_alu instid0(VALU_DEP_1) | instskip(SKIP_1) | instid1(VALU_DEP_2)
	v_fma_f64 v[168:169], v[182:183], v[180:181], -v[168:169]
	v_mul_f64 v[182:183], v[182:183], v[170:171]
	v_add_f64 v[160:161], v[160:161], -v[168:169]
	s_delay_alu instid0(VALU_DEP_2) | instskip(NEXT) | instid1(VALU_DEP_1)
	v_fma_f64 v[182:183], v[184:185], v[180:181], v[182:183]
	v_add_f64 v[162:163], v[162:163], -v[182:183]
	;; [unrolled: 10-line block ×41, first 2 shown]
	ds_load_2addr_b64 v[182:185], v212 offset0:88 offset1:89
	s_waitcnt lgkmcnt(0)
	v_mul_f64 v[168:169], v[184:185], v[170:171]
	s_delay_alu instid0(VALU_DEP_1) | instskip(SKIP_1) | instid1(VALU_DEP_2)
	v_fma_f64 v[168:169], v[182:183], v[180:181], -v[168:169]
	v_mul_f64 v[182:183], v[182:183], v[170:171]
	v_add_f64 v[0:1], v[0:1], -v[168:169]
	s_delay_alu instid0(VALU_DEP_2) | instskip(SKIP_1) | instid1(VALU_DEP_2)
	v_fma_f64 v[182:183], v[184:185], v[180:181], v[182:183]
	v_dual_mov_b32 v168, v180 :: v_dual_mov_b32 v169, v181
	v_add_f64 v[2:3], v[2:3], -v[182:183]
.LBB89_28:
	s_or_b32 exec_lo, exec_lo, s3
	s_delay_alu instid0(SALU_CYCLE_1)
	s_mov_b32 s4, exec_lo
	s_waitcnt_vscnt null, 0x0
	s_barrier
	buffer_gl0_inv
	v_cmpx_eq_u32_e32 3, v210
	s_cbranch_execz .LBB89_35
; %bb.29:
	ds_store_2addr_b64 v211, v[164:165], v[166:167] offset1:1
	ds_store_2addr_b64 v212, v[160:161], v[162:163] offset0:8 offset1:9
	ds_store_2addr_b64 v212, v[156:157], v[158:159] offset0:10 offset1:11
	;; [unrolled: 1-line block ×41, first 2 shown]
	ds_load_2addr_b64 v[180:183], v211 offset1:1
	s_waitcnt lgkmcnt(0)
	v_cmp_neq_f64_e32 vcc_lo, 0, v[180:181]
	v_cmp_neq_f64_e64 s3, 0, v[182:183]
	s_delay_alu instid0(VALU_DEP_1) | instskip(NEXT) | instid1(SALU_CYCLE_1)
	s_or_b32 s3, vcc_lo, s3
	s_and_b32 exec_lo, exec_lo, s3
	s_cbranch_execz .LBB89_35
; %bb.30:
	v_cmp_gt_f64_e32 vcc_lo, 0, v[180:181]
	v_xor_b32_e32 v184, 0x80000000, v181
	v_xor_b32_e32 v186, 0x80000000, v183
	s_mov_b32 s3, exec_lo
                                        ; implicit-def: $vgpr188_vgpr189
	s_delay_alu instid0(VALU_DEP_2) | instskip(SKIP_4) | instid1(VALU_DEP_1)
	v_cndmask_b32_e32 v185, v181, v184, vcc_lo
	v_cndmask_b32_e32 v184, v180, v180, vcc_lo
	v_cmp_gt_f64_e32 vcc_lo, 0, v[182:183]
	v_cndmask_b32_e32 v187, v183, v186, vcc_lo
	v_cndmask_b32_e32 v186, v182, v182, vcc_lo
	v_cmpx_ngt_f64_e32 v[184:185], v[186:187]
	s_xor_b32 s3, exec_lo, s3
                                        ; implicit-def: $vgpr184_vgpr185_vgpr186_vgpr187
	s_cbranch_execz .LBB89_32
; %bb.31:
	v_div_scale_f64 v[184:185], null, v[182:183], v[182:183], v[180:181]
	v_div_scale_f64 v[190:191], vcc_lo, v[180:181], v[182:183], v[180:181]
	s_delay_alu instid0(VALU_DEP_2) | instskip(SKIP_2) | instid1(VALU_DEP_1)
	v_rcp_f64_e32 v[186:187], v[184:185]
	s_waitcnt_depctr 0xfff
	v_fma_f64 v[188:189], -v[184:185], v[186:187], 1.0
	v_fma_f64 v[186:187], v[186:187], v[188:189], v[186:187]
	s_delay_alu instid0(VALU_DEP_1) | instskip(NEXT) | instid1(VALU_DEP_1)
	v_fma_f64 v[188:189], -v[184:185], v[186:187], 1.0
	v_fma_f64 v[186:187], v[186:187], v[188:189], v[186:187]
	s_delay_alu instid0(VALU_DEP_1) | instskip(NEXT) | instid1(VALU_DEP_1)
	v_mul_f64 v[188:189], v[190:191], v[186:187]
	v_fma_f64 v[184:185], -v[184:185], v[188:189], v[190:191]
	s_delay_alu instid0(VALU_DEP_1) | instskip(NEXT) | instid1(VALU_DEP_1)
	v_div_fmas_f64 v[184:185], v[184:185], v[186:187], v[188:189]
	v_div_fixup_f64 v[184:185], v[184:185], v[182:183], v[180:181]
	s_delay_alu instid0(VALU_DEP_1) | instskip(NEXT) | instid1(VALU_DEP_1)
	v_fma_f64 v[180:181], v[180:181], v[184:185], v[182:183]
	v_div_scale_f64 v[182:183], null, v[180:181], v[180:181], 1.0
	s_delay_alu instid0(VALU_DEP_1) | instskip(SKIP_2) | instid1(VALU_DEP_1)
	v_rcp_f64_e32 v[186:187], v[182:183]
	s_waitcnt_depctr 0xfff
	v_fma_f64 v[188:189], -v[182:183], v[186:187], 1.0
	v_fma_f64 v[186:187], v[186:187], v[188:189], v[186:187]
	s_delay_alu instid0(VALU_DEP_1) | instskip(NEXT) | instid1(VALU_DEP_1)
	v_fma_f64 v[188:189], -v[182:183], v[186:187], 1.0
	v_fma_f64 v[186:187], v[186:187], v[188:189], v[186:187]
	v_div_scale_f64 v[188:189], vcc_lo, 1.0, v[180:181], 1.0
	s_delay_alu instid0(VALU_DEP_1) | instskip(NEXT) | instid1(VALU_DEP_1)
	v_mul_f64 v[190:191], v[188:189], v[186:187]
	v_fma_f64 v[182:183], -v[182:183], v[190:191], v[188:189]
	s_delay_alu instid0(VALU_DEP_1) | instskip(NEXT) | instid1(VALU_DEP_1)
	v_div_fmas_f64 v[182:183], v[182:183], v[186:187], v[190:191]
	v_div_fixup_f64 v[186:187], v[182:183], v[180:181], 1.0
                                        ; implicit-def: $vgpr180_vgpr181
	s_delay_alu instid0(VALU_DEP_1)
	v_mul_f64 v[188:189], v[184:185], v[186:187]
	v_xor_b32_e32 v187, 0x80000000, v187
.LBB89_32:
	s_and_not1_saveexec_b32 s3, s3
	s_cbranch_execz .LBB89_34
; %bb.33:
	v_div_scale_f64 v[184:185], null, v[180:181], v[180:181], v[182:183]
	v_div_scale_f64 v[190:191], vcc_lo, v[182:183], v[180:181], v[182:183]
	s_delay_alu instid0(VALU_DEP_2) | instskip(SKIP_2) | instid1(VALU_DEP_1)
	v_rcp_f64_e32 v[186:187], v[184:185]
	s_waitcnt_depctr 0xfff
	v_fma_f64 v[188:189], -v[184:185], v[186:187], 1.0
	v_fma_f64 v[186:187], v[186:187], v[188:189], v[186:187]
	s_delay_alu instid0(VALU_DEP_1) | instskip(NEXT) | instid1(VALU_DEP_1)
	v_fma_f64 v[188:189], -v[184:185], v[186:187], 1.0
	v_fma_f64 v[186:187], v[186:187], v[188:189], v[186:187]
	s_delay_alu instid0(VALU_DEP_1) | instskip(NEXT) | instid1(VALU_DEP_1)
	v_mul_f64 v[188:189], v[190:191], v[186:187]
	v_fma_f64 v[184:185], -v[184:185], v[188:189], v[190:191]
	s_delay_alu instid0(VALU_DEP_1) | instskip(NEXT) | instid1(VALU_DEP_1)
	v_div_fmas_f64 v[184:185], v[184:185], v[186:187], v[188:189]
	v_div_fixup_f64 v[184:185], v[184:185], v[180:181], v[182:183]
	s_delay_alu instid0(VALU_DEP_1) | instskip(NEXT) | instid1(VALU_DEP_1)
	v_fma_f64 v[180:181], v[182:183], v[184:185], v[180:181]
	v_div_scale_f64 v[182:183], null, v[180:181], v[180:181], 1.0
	s_delay_alu instid0(VALU_DEP_1) | instskip(SKIP_2) | instid1(VALU_DEP_1)
	v_rcp_f64_e32 v[186:187], v[182:183]
	s_waitcnt_depctr 0xfff
	v_fma_f64 v[188:189], -v[182:183], v[186:187], 1.0
	v_fma_f64 v[186:187], v[186:187], v[188:189], v[186:187]
	s_delay_alu instid0(VALU_DEP_1) | instskip(NEXT) | instid1(VALU_DEP_1)
	v_fma_f64 v[188:189], -v[182:183], v[186:187], 1.0
	v_fma_f64 v[186:187], v[186:187], v[188:189], v[186:187]
	v_div_scale_f64 v[188:189], vcc_lo, 1.0, v[180:181], 1.0
	s_delay_alu instid0(VALU_DEP_1) | instskip(NEXT) | instid1(VALU_DEP_1)
	v_mul_f64 v[190:191], v[188:189], v[186:187]
	v_fma_f64 v[182:183], -v[182:183], v[190:191], v[188:189]
	s_delay_alu instid0(VALU_DEP_1) | instskip(NEXT) | instid1(VALU_DEP_1)
	v_div_fmas_f64 v[182:183], v[182:183], v[186:187], v[190:191]
	v_div_fixup_f64 v[188:189], v[182:183], v[180:181], 1.0
	s_delay_alu instid0(VALU_DEP_1)
	v_mul_f64 v[186:187], v[184:185], -v[188:189]
.LBB89_34:
	s_or_b32 exec_lo, exec_lo, s3
	ds_store_2addr_b64 v211, v[188:189], v[186:187] offset1:1
.LBB89_35:
	s_or_b32 exec_lo, exec_lo, s4
	s_waitcnt lgkmcnt(0)
	s_barrier
	buffer_gl0_inv
	ds_load_2addr_b64 v[180:183], v211 offset1:1
	s_mov_b32 s3, exec_lo
	s_waitcnt lgkmcnt(0)
	scratch_store_b128 off, v[180:183], off offset:296 ; 16-byte Folded Spill
	v_cmpx_lt_u32_e32 3, v210
	s_cbranch_execz .LBB89_37
; %bb.36:
	scratch_load_b128 v[182:185], off, off offset:296 ; 16-byte Folded Reload
	s_waitcnt vmcnt(0)
	v_mul_f64 v[180:181], v[184:185], v[166:167]
	v_mul_f64 v[166:167], v[182:183], v[166:167]
	s_delay_alu instid0(VALU_DEP_2) | instskip(NEXT) | instid1(VALU_DEP_2)
	v_fma_f64 v[180:181], v[182:183], v[164:165], -v[180:181]
	v_fma_f64 v[166:167], v[184:185], v[164:165], v[166:167]
	ds_load_2addr_b64 v[182:185], v212 offset0:8 offset1:9
	s_waitcnt lgkmcnt(0)
	v_mul_f64 v[164:165], v[184:185], v[166:167]
	s_delay_alu instid0(VALU_DEP_1) | instskip(SKIP_1) | instid1(VALU_DEP_2)
	v_fma_f64 v[164:165], v[182:183], v[180:181], -v[164:165]
	v_mul_f64 v[182:183], v[182:183], v[166:167]
	v_add_f64 v[160:161], v[160:161], -v[164:165]
	s_delay_alu instid0(VALU_DEP_2) | instskip(NEXT) | instid1(VALU_DEP_1)
	v_fma_f64 v[182:183], v[184:185], v[180:181], v[182:183]
	v_add_f64 v[162:163], v[162:163], -v[182:183]
	ds_load_2addr_b64 v[182:185], v212 offset0:10 offset1:11
	s_waitcnt lgkmcnt(0)
	v_mul_f64 v[164:165], v[184:185], v[166:167]
	s_delay_alu instid0(VALU_DEP_1) | instskip(SKIP_1) | instid1(VALU_DEP_2)
	v_fma_f64 v[164:165], v[182:183], v[180:181], -v[164:165]
	v_mul_f64 v[182:183], v[182:183], v[166:167]
	v_add_f64 v[156:157], v[156:157], -v[164:165]
	s_delay_alu instid0(VALU_DEP_2) | instskip(NEXT) | instid1(VALU_DEP_1)
	v_fma_f64 v[182:183], v[184:185], v[180:181], v[182:183]
	v_add_f64 v[158:159], v[158:159], -v[182:183]
	;; [unrolled: 10-line block ×40, first 2 shown]
	ds_load_2addr_b64 v[182:185], v212 offset0:88 offset1:89
	s_waitcnt lgkmcnt(0)
	v_mul_f64 v[164:165], v[184:185], v[166:167]
	s_delay_alu instid0(VALU_DEP_1) | instskip(SKIP_1) | instid1(VALU_DEP_2)
	v_fma_f64 v[164:165], v[182:183], v[180:181], -v[164:165]
	v_mul_f64 v[182:183], v[182:183], v[166:167]
	v_add_f64 v[0:1], v[0:1], -v[164:165]
	s_delay_alu instid0(VALU_DEP_2) | instskip(SKIP_1) | instid1(VALU_DEP_2)
	v_fma_f64 v[182:183], v[184:185], v[180:181], v[182:183]
	v_dual_mov_b32 v164, v180 :: v_dual_mov_b32 v165, v181
	v_add_f64 v[2:3], v[2:3], -v[182:183]
.LBB89_37:
	s_or_b32 exec_lo, exec_lo, s3
	s_delay_alu instid0(SALU_CYCLE_1)
	s_mov_b32 s4, exec_lo
	s_waitcnt_vscnt null, 0x0
	s_barrier
	buffer_gl0_inv
	v_cmpx_eq_u32_e32 4, v210
	s_cbranch_execz .LBB89_44
; %bb.38:
	ds_store_2addr_b64 v211, v[160:161], v[162:163] offset1:1
	ds_store_2addr_b64 v212, v[156:157], v[158:159] offset0:10 offset1:11
	ds_store_2addr_b64 v212, v[152:153], v[154:155] offset0:12 offset1:13
	;; [unrolled: 1-line block ×40, first 2 shown]
	ds_load_2addr_b64 v[180:183], v211 offset1:1
	s_waitcnt lgkmcnt(0)
	v_cmp_neq_f64_e32 vcc_lo, 0, v[180:181]
	v_cmp_neq_f64_e64 s3, 0, v[182:183]
	s_delay_alu instid0(VALU_DEP_1) | instskip(NEXT) | instid1(SALU_CYCLE_1)
	s_or_b32 s3, vcc_lo, s3
	s_and_b32 exec_lo, exec_lo, s3
	s_cbranch_execz .LBB89_44
; %bb.39:
	v_cmp_gt_f64_e32 vcc_lo, 0, v[180:181]
	v_xor_b32_e32 v184, 0x80000000, v181
	v_xor_b32_e32 v186, 0x80000000, v183
	s_mov_b32 s3, exec_lo
                                        ; implicit-def: $vgpr188_vgpr189
	s_delay_alu instid0(VALU_DEP_2) | instskip(SKIP_4) | instid1(VALU_DEP_1)
	v_cndmask_b32_e32 v185, v181, v184, vcc_lo
	v_cndmask_b32_e32 v184, v180, v180, vcc_lo
	v_cmp_gt_f64_e32 vcc_lo, 0, v[182:183]
	v_cndmask_b32_e32 v187, v183, v186, vcc_lo
	v_cndmask_b32_e32 v186, v182, v182, vcc_lo
	v_cmpx_ngt_f64_e32 v[184:185], v[186:187]
	s_xor_b32 s3, exec_lo, s3
                                        ; implicit-def: $vgpr184_vgpr185_vgpr186_vgpr187
	s_cbranch_execz .LBB89_41
; %bb.40:
	v_div_scale_f64 v[184:185], null, v[182:183], v[182:183], v[180:181]
	v_div_scale_f64 v[190:191], vcc_lo, v[180:181], v[182:183], v[180:181]
	s_delay_alu instid0(VALU_DEP_2) | instskip(SKIP_2) | instid1(VALU_DEP_1)
	v_rcp_f64_e32 v[186:187], v[184:185]
	s_waitcnt_depctr 0xfff
	v_fma_f64 v[188:189], -v[184:185], v[186:187], 1.0
	v_fma_f64 v[186:187], v[186:187], v[188:189], v[186:187]
	s_delay_alu instid0(VALU_DEP_1) | instskip(NEXT) | instid1(VALU_DEP_1)
	v_fma_f64 v[188:189], -v[184:185], v[186:187], 1.0
	v_fma_f64 v[186:187], v[186:187], v[188:189], v[186:187]
	s_delay_alu instid0(VALU_DEP_1) | instskip(NEXT) | instid1(VALU_DEP_1)
	v_mul_f64 v[188:189], v[190:191], v[186:187]
	v_fma_f64 v[184:185], -v[184:185], v[188:189], v[190:191]
	s_delay_alu instid0(VALU_DEP_1) | instskip(NEXT) | instid1(VALU_DEP_1)
	v_div_fmas_f64 v[184:185], v[184:185], v[186:187], v[188:189]
	v_div_fixup_f64 v[184:185], v[184:185], v[182:183], v[180:181]
	s_delay_alu instid0(VALU_DEP_1) | instskip(NEXT) | instid1(VALU_DEP_1)
	v_fma_f64 v[180:181], v[180:181], v[184:185], v[182:183]
	v_div_scale_f64 v[182:183], null, v[180:181], v[180:181], 1.0
	s_delay_alu instid0(VALU_DEP_1) | instskip(SKIP_2) | instid1(VALU_DEP_1)
	v_rcp_f64_e32 v[186:187], v[182:183]
	s_waitcnt_depctr 0xfff
	v_fma_f64 v[188:189], -v[182:183], v[186:187], 1.0
	v_fma_f64 v[186:187], v[186:187], v[188:189], v[186:187]
	s_delay_alu instid0(VALU_DEP_1) | instskip(NEXT) | instid1(VALU_DEP_1)
	v_fma_f64 v[188:189], -v[182:183], v[186:187], 1.0
	v_fma_f64 v[186:187], v[186:187], v[188:189], v[186:187]
	v_div_scale_f64 v[188:189], vcc_lo, 1.0, v[180:181], 1.0
	s_delay_alu instid0(VALU_DEP_1) | instskip(NEXT) | instid1(VALU_DEP_1)
	v_mul_f64 v[190:191], v[188:189], v[186:187]
	v_fma_f64 v[182:183], -v[182:183], v[190:191], v[188:189]
	s_delay_alu instid0(VALU_DEP_1) | instskip(NEXT) | instid1(VALU_DEP_1)
	v_div_fmas_f64 v[182:183], v[182:183], v[186:187], v[190:191]
	v_div_fixup_f64 v[186:187], v[182:183], v[180:181], 1.0
                                        ; implicit-def: $vgpr180_vgpr181
	s_delay_alu instid0(VALU_DEP_1)
	v_mul_f64 v[188:189], v[184:185], v[186:187]
	v_xor_b32_e32 v187, 0x80000000, v187
.LBB89_41:
	s_and_not1_saveexec_b32 s3, s3
	s_cbranch_execz .LBB89_43
; %bb.42:
	v_div_scale_f64 v[184:185], null, v[180:181], v[180:181], v[182:183]
	v_div_scale_f64 v[190:191], vcc_lo, v[182:183], v[180:181], v[182:183]
	s_delay_alu instid0(VALU_DEP_2) | instskip(SKIP_2) | instid1(VALU_DEP_1)
	v_rcp_f64_e32 v[186:187], v[184:185]
	s_waitcnt_depctr 0xfff
	v_fma_f64 v[188:189], -v[184:185], v[186:187], 1.0
	v_fma_f64 v[186:187], v[186:187], v[188:189], v[186:187]
	s_delay_alu instid0(VALU_DEP_1) | instskip(NEXT) | instid1(VALU_DEP_1)
	v_fma_f64 v[188:189], -v[184:185], v[186:187], 1.0
	v_fma_f64 v[186:187], v[186:187], v[188:189], v[186:187]
	s_delay_alu instid0(VALU_DEP_1) | instskip(NEXT) | instid1(VALU_DEP_1)
	v_mul_f64 v[188:189], v[190:191], v[186:187]
	v_fma_f64 v[184:185], -v[184:185], v[188:189], v[190:191]
	s_delay_alu instid0(VALU_DEP_1) | instskip(NEXT) | instid1(VALU_DEP_1)
	v_div_fmas_f64 v[184:185], v[184:185], v[186:187], v[188:189]
	v_div_fixup_f64 v[184:185], v[184:185], v[180:181], v[182:183]
	s_delay_alu instid0(VALU_DEP_1) | instskip(NEXT) | instid1(VALU_DEP_1)
	v_fma_f64 v[180:181], v[182:183], v[184:185], v[180:181]
	v_div_scale_f64 v[182:183], null, v[180:181], v[180:181], 1.0
	s_delay_alu instid0(VALU_DEP_1) | instskip(SKIP_2) | instid1(VALU_DEP_1)
	v_rcp_f64_e32 v[186:187], v[182:183]
	s_waitcnt_depctr 0xfff
	v_fma_f64 v[188:189], -v[182:183], v[186:187], 1.0
	v_fma_f64 v[186:187], v[186:187], v[188:189], v[186:187]
	s_delay_alu instid0(VALU_DEP_1) | instskip(NEXT) | instid1(VALU_DEP_1)
	v_fma_f64 v[188:189], -v[182:183], v[186:187], 1.0
	v_fma_f64 v[186:187], v[186:187], v[188:189], v[186:187]
	v_div_scale_f64 v[188:189], vcc_lo, 1.0, v[180:181], 1.0
	s_delay_alu instid0(VALU_DEP_1) | instskip(NEXT) | instid1(VALU_DEP_1)
	v_mul_f64 v[190:191], v[188:189], v[186:187]
	v_fma_f64 v[182:183], -v[182:183], v[190:191], v[188:189]
	s_delay_alu instid0(VALU_DEP_1) | instskip(NEXT) | instid1(VALU_DEP_1)
	v_div_fmas_f64 v[182:183], v[182:183], v[186:187], v[190:191]
	v_div_fixup_f64 v[188:189], v[182:183], v[180:181], 1.0
	s_delay_alu instid0(VALU_DEP_1)
	v_mul_f64 v[186:187], v[184:185], -v[188:189]
.LBB89_43:
	s_or_b32 exec_lo, exec_lo, s3
	ds_store_2addr_b64 v211, v[188:189], v[186:187] offset1:1
.LBB89_44:
	s_or_b32 exec_lo, exec_lo, s4
	s_waitcnt lgkmcnt(0)
	s_barrier
	buffer_gl0_inv
	ds_load_2addr_b64 v[180:183], v211 offset1:1
	s_mov_b32 s3, exec_lo
	s_waitcnt lgkmcnt(0)
	scratch_store_b128 off, v[180:183], off offset:312 ; 16-byte Folded Spill
	v_cmpx_lt_u32_e32 4, v210
	s_cbranch_execz .LBB89_46
; %bb.45:
	scratch_load_b128 v[182:185], off, off offset:312 ; 16-byte Folded Reload
	s_waitcnt vmcnt(0)
	v_mul_f64 v[180:181], v[184:185], v[162:163]
	v_mul_f64 v[162:163], v[182:183], v[162:163]
	s_delay_alu instid0(VALU_DEP_2) | instskip(NEXT) | instid1(VALU_DEP_2)
	v_fma_f64 v[180:181], v[182:183], v[160:161], -v[180:181]
	v_fma_f64 v[162:163], v[184:185], v[160:161], v[162:163]
	ds_load_2addr_b64 v[182:185], v212 offset0:10 offset1:11
	s_waitcnt lgkmcnt(0)
	v_mul_f64 v[160:161], v[184:185], v[162:163]
	s_delay_alu instid0(VALU_DEP_1) | instskip(SKIP_1) | instid1(VALU_DEP_2)
	v_fma_f64 v[160:161], v[182:183], v[180:181], -v[160:161]
	v_mul_f64 v[182:183], v[182:183], v[162:163]
	v_add_f64 v[156:157], v[156:157], -v[160:161]
	s_delay_alu instid0(VALU_DEP_2) | instskip(NEXT) | instid1(VALU_DEP_1)
	v_fma_f64 v[182:183], v[184:185], v[180:181], v[182:183]
	v_add_f64 v[158:159], v[158:159], -v[182:183]
	ds_load_2addr_b64 v[182:185], v212 offset0:12 offset1:13
	s_waitcnt lgkmcnt(0)
	v_mul_f64 v[160:161], v[184:185], v[162:163]
	s_delay_alu instid0(VALU_DEP_1) | instskip(SKIP_1) | instid1(VALU_DEP_2)
	v_fma_f64 v[160:161], v[182:183], v[180:181], -v[160:161]
	v_mul_f64 v[182:183], v[182:183], v[162:163]
	v_add_f64 v[152:153], v[152:153], -v[160:161]
	s_delay_alu instid0(VALU_DEP_2) | instskip(NEXT) | instid1(VALU_DEP_1)
	v_fma_f64 v[182:183], v[184:185], v[180:181], v[182:183]
	v_add_f64 v[154:155], v[154:155], -v[182:183]
	;; [unrolled: 10-line block ×39, first 2 shown]
	ds_load_2addr_b64 v[182:185], v212 offset0:88 offset1:89
	s_waitcnt lgkmcnt(0)
	v_mul_f64 v[160:161], v[184:185], v[162:163]
	s_delay_alu instid0(VALU_DEP_1) | instskip(SKIP_1) | instid1(VALU_DEP_2)
	v_fma_f64 v[160:161], v[182:183], v[180:181], -v[160:161]
	v_mul_f64 v[182:183], v[182:183], v[162:163]
	v_add_f64 v[0:1], v[0:1], -v[160:161]
	s_delay_alu instid0(VALU_DEP_2) | instskip(SKIP_1) | instid1(VALU_DEP_2)
	v_fma_f64 v[182:183], v[184:185], v[180:181], v[182:183]
	v_dual_mov_b32 v160, v180 :: v_dual_mov_b32 v161, v181
	v_add_f64 v[2:3], v[2:3], -v[182:183]
.LBB89_46:
	s_or_b32 exec_lo, exec_lo, s3
	s_delay_alu instid0(SALU_CYCLE_1)
	s_mov_b32 s4, exec_lo
	s_waitcnt_vscnt null, 0x0
	s_barrier
	buffer_gl0_inv
	v_cmpx_eq_u32_e32 5, v210
	s_cbranch_execz .LBB89_53
; %bb.47:
	ds_store_2addr_b64 v211, v[156:157], v[158:159] offset1:1
	ds_store_2addr_b64 v212, v[152:153], v[154:155] offset0:12 offset1:13
	ds_store_2addr_b64 v212, v[148:149], v[150:151] offset0:14 offset1:15
	;; [unrolled: 1-line block ×39, first 2 shown]
	ds_load_2addr_b64 v[180:183], v211 offset1:1
	s_waitcnt lgkmcnt(0)
	v_cmp_neq_f64_e32 vcc_lo, 0, v[180:181]
	v_cmp_neq_f64_e64 s3, 0, v[182:183]
	s_delay_alu instid0(VALU_DEP_1) | instskip(NEXT) | instid1(SALU_CYCLE_1)
	s_or_b32 s3, vcc_lo, s3
	s_and_b32 exec_lo, exec_lo, s3
	s_cbranch_execz .LBB89_53
; %bb.48:
	v_cmp_gt_f64_e32 vcc_lo, 0, v[180:181]
	v_xor_b32_e32 v184, 0x80000000, v181
	v_xor_b32_e32 v186, 0x80000000, v183
	s_mov_b32 s3, exec_lo
                                        ; implicit-def: $vgpr188_vgpr189
	s_delay_alu instid0(VALU_DEP_2) | instskip(SKIP_4) | instid1(VALU_DEP_1)
	v_cndmask_b32_e32 v185, v181, v184, vcc_lo
	v_cndmask_b32_e32 v184, v180, v180, vcc_lo
	v_cmp_gt_f64_e32 vcc_lo, 0, v[182:183]
	v_cndmask_b32_e32 v187, v183, v186, vcc_lo
	v_cndmask_b32_e32 v186, v182, v182, vcc_lo
	v_cmpx_ngt_f64_e32 v[184:185], v[186:187]
	s_xor_b32 s3, exec_lo, s3
                                        ; implicit-def: $vgpr184_vgpr185_vgpr186_vgpr187
	s_cbranch_execz .LBB89_50
; %bb.49:
	v_div_scale_f64 v[184:185], null, v[182:183], v[182:183], v[180:181]
	v_div_scale_f64 v[190:191], vcc_lo, v[180:181], v[182:183], v[180:181]
	s_delay_alu instid0(VALU_DEP_2) | instskip(SKIP_2) | instid1(VALU_DEP_1)
	v_rcp_f64_e32 v[186:187], v[184:185]
	s_waitcnt_depctr 0xfff
	v_fma_f64 v[188:189], -v[184:185], v[186:187], 1.0
	v_fma_f64 v[186:187], v[186:187], v[188:189], v[186:187]
	s_delay_alu instid0(VALU_DEP_1) | instskip(NEXT) | instid1(VALU_DEP_1)
	v_fma_f64 v[188:189], -v[184:185], v[186:187], 1.0
	v_fma_f64 v[186:187], v[186:187], v[188:189], v[186:187]
	s_delay_alu instid0(VALU_DEP_1) | instskip(NEXT) | instid1(VALU_DEP_1)
	v_mul_f64 v[188:189], v[190:191], v[186:187]
	v_fma_f64 v[184:185], -v[184:185], v[188:189], v[190:191]
	s_delay_alu instid0(VALU_DEP_1) | instskip(NEXT) | instid1(VALU_DEP_1)
	v_div_fmas_f64 v[184:185], v[184:185], v[186:187], v[188:189]
	v_div_fixup_f64 v[184:185], v[184:185], v[182:183], v[180:181]
	s_delay_alu instid0(VALU_DEP_1) | instskip(NEXT) | instid1(VALU_DEP_1)
	v_fma_f64 v[180:181], v[180:181], v[184:185], v[182:183]
	v_div_scale_f64 v[182:183], null, v[180:181], v[180:181], 1.0
	s_delay_alu instid0(VALU_DEP_1) | instskip(SKIP_2) | instid1(VALU_DEP_1)
	v_rcp_f64_e32 v[186:187], v[182:183]
	s_waitcnt_depctr 0xfff
	v_fma_f64 v[188:189], -v[182:183], v[186:187], 1.0
	v_fma_f64 v[186:187], v[186:187], v[188:189], v[186:187]
	s_delay_alu instid0(VALU_DEP_1) | instskip(NEXT) | instid1(VALU_DEP_1)
	v_fma_f64 v[188:189], -v[182:183], v[186:187], 1.0
	v_fma_f64 v[186:187], v[186:187], v[188:189], v[186:187]
	v_div_scale_f64 v[188:189], vcc_lo, 1.0, v[180:181], 1.0
	s_delay_alu instid0(VALU_DEP_1) | instskip(NEXT) | instid1(VALU_DEP_1)
	v_mul_f64 v[190:191], v[188:189], v[186:187]
	v_fma_f64 v[182:183], -v[182:183], v[190:191], v[188:189]
	s_delay_alu instid0(VALU_DEP_1) | instskip(NEXT) | instid1(VALU_DEP_1)
	v_div_fmas_f64 v[182:183], v[182:183], v[186:187], v[190:191]
	v_div_fixup_f64 v[186:187], v[182:183], v[180:181], 1.0
                                        ; implicit-def: $vgpr180_vgpr181
	s_delay_alu instid0(VALU_DEP_1)
	v_mul_f64 v[188:189], v[184:185], v[186:187]
	v_xor_b32_e32 v187, 0x80000000, v187
.LBB89_50:
	s_and_not1_saveexec_b32 s3, s3
	s_cbranch_execz .LBB89_52
; %bb.51:
	v_div_scale_f64 v[184:185], null, v[180:181], v[180:181], v[182:183]
	v_div_scale_f64 v[190:191], vcc_lo, v[182:183], v[180:181], v[182:183]
	s_delay_alu instid0(VALU_DEP_2) | instskip(SKIP_2) | instid1(VALU_DEP_1)
	v_rcp_f64_e32 v[186:187], v[184:185]
	s_waitcnt_depctr 0xfff
	v_fma_f64 v[188:189], -v[184:185], v[186:187], 1.0
	v_fma_f64 v[186:187], v[186:187], v[188:189], v[186:187]
	s_delay_alu instid0(VALU_DEP_1) | instskip(NEXT) | instid1(VALU_DEP_1)
	v_fma_f64 v[188:189], -v[184:185], v[186:187], 1.0
	v_fma_f64 v[186:187], v[186:187], v[188:189], v[186:187]
	s_delay_alu instid0(VALU_DEP_1) | instskip(NEXT) | instid1(VALU_DEP_1)
	v_mul_f64 v[188:189], v[190:191], v[186:187]
	v_fma_f64 v[184:185], -v[184:185], v[188:189], v[190:191]
	s_delay_alu instid0(VALU_DEP_1) | instskip(NEXT) | instid1(VALU_DEP_1)
	v_div_fmas_f64 v[184:185], v[184:185], v[186:187], v[188:189]
	v_div_fixup_f64 v[184:185], v[184:185], v[180:181], v[182:183]
	s_delay_alu instid0(VALU_DEP_1) | instskip(NEXT) | instid1(VALU_DEP_1)
	v_fma_f64 v[180:181], v[182:183], v[184:185], v[180:181]
	v_div_scale_f64 v[182:183], null, v[180:181], v[180:181], 1.0
	s_delay_alu instid0(VALU_DEP_1) | instskip(SKIP_2) | instid1(VALU_DEP_1)
	v_rcp_f64_e32 v[186:187], v[182:183]
	s_waitcnt_depctr 0xfff
	v_fma_f64 v[188:189], -v[182:183], v[186:187], 1.0
	v_fma_f64 v[186:187], v[186:187], v[188:189], v[186:187]
	s_delay_alu instid0(VALU_DEP_1) | instskip(NEXT) | instid1(VALU_DEP_1)
	v_fma_f64 v[188:189], -v[182:183], v[186:187], 1.0
	v_fma_f64 v[186:187], v[186:187], v[188:189], v[186:187]
	v_div_scale_f64 v[188:189], vcc_lo, 1.0, v[180:181], 1.0
	s_delay_alu instid0(VALU_DEP_1) | instskip(NEXT) | instid1(VALU_DEP_1)
	v_mul_f64 v[190:191], v[188:189], v[186:187]
	v_fma_f64 v[182:183], -v[182:183], v[190:191], v[188:189]
	s_delay_alu instid0(VALU_DEP_1) | instskip(NEXT) | instid1(VALU_DEP_1)
	v_div_fmas_f64 v[182:183], v[182:183], v[186:187], v[190:191]
	v_div_fixup_f64 v[188:189], v[182:183], v[180:181], 1.0
	s_delay_alu instid0(VALU_DEP_1)
	v_mul_f64 v[186:187], v[184:185], -v[188:189]
.LBB89_52:
	s_or_b32 exec_lo, exec_lo, s3
	ds_store_2addr_b64 v211, v[188:189], v[186:187] offset1:1
.LBB89_53:
	s_or_b32 exec_lo, exec_lo, s4
	s_waitcnt lgkmcnt(0)
	s_barrier
	buffer_gl0_inv
	ds_load_2addr_b64 v[180:183], v211 offset1:1
	s_mov_b32 s3, exec_lo
	s_waitcnt lgkmcnt(0)
	scratch_store_b128 off, v[180:183], off offset:328 ; 16-byte Folded Spill
	v_cmpx_lt_u32_e32 5, v210
	s_cbranch_execz .LBB89_55
; %bb.54:
	scratch_load_b128 v[182:185], off, off offset:328 ; 16-byte Folded Reload
	s_waitcnt vmcnt(0)
	v_mul_f64 v[180:181], v[184:185], v[158:159]
	v_mul_f64 v[158:159], v[182:183], v[158:159]
	s_delay_alu instid0(VALU_DEP_2) | instskip(NEXT) | instid1(VALU_DEP_2)
	v_fma_f64 v[180:181], v[182:183], v[156:157], -v[180:181]
	v_fma_f64 v[158:159], v[184:185], v[156:157], v[158:159]
	ds_load_2addr_b64 v[182:185], v212 offset0:12 offset1:13
	s_waitcnt lgkmcnt(0)
	v_mul_f64 v[156:157], v[184:185], v[158:159]
	s_delay_alu instid0(VALU_DEP_1) | instskip(SKIP_1) | instid1(VALU_DEP_2)
	v_fma_f64 v[156:157], v[182:183], v[180:181], -v[156:157]
	v_mul_f64 v[182:183], v[182:183], v[158:159]
	v_add_f64 v[152:153], v[152:153], -v[156:157]
	s_delay_alu instid0(VALU_DEP_2) | instskip(NEXT) | instid1(VALU_DEP_1)
	v_fma_f64 v[182:183], v[184:185], v[180:181], v[182:183]
	v_add_f64 v[154:155], v[154:155], -v[182:183]
	ds_load_2addr_b64 v[182:185], v212 offset0:14 offset1:15
	s_waitcnt lgkmcnt(0)
	v_mul_f64 v[156:157], v[184:185], v[158:159]
	s_delay_alu instid0(VALU_DEP_1) | instskip(SKIP_1) | instid1(VALU_DEP_2)
	v_fma_f64 v[156:157], v[182:183], v[180:181], -v[156:157]
	v_mul_f64 v[182:183], v[182:183], v[158:159]
	v_add_f64 v[148:149], v[148:149], -v[156:157]
	s_delay_alu instid0(VALU_DEP_2) | instskip(NEXT) | instid1(VALU_DEP_1)
	v_fma_f64 v[182:183], v[184:185], v[180:181], v[182:183]
	v_add_f64 v[150:151], v[150:151], -v[182:183]
	;; [unrolled: 10-line block ×38, first 2 shown]
	ds_load_2addr_b64 v[182:185], v212 offset0:88 offset1:89
	s_waitcnt lgkmcnt(0)
	v_mul_f64 v[156:157], v[184:185], v[158:159]
	s_delay_alu instid0(VALU_DEP_1) | instskip(SKIP_1) | instid1(VALU_DEP_2)
	v_fma_f64 v[156:157], v[182:183], v[180:181], -v[156:157]
	v_mul_f64 v[182:183], v[182:183], v[158:159]
	v_add_f64 v[0:1], v[0:1], -v[156:157]
	s_delay_alu instid0(VALU_DEP_2) | instskip(SKIP_1) | instid1(VALU_DEP_2)
	v_fma_f64 v[182:183], v[184:185], v[180:181], v[182:183]
	v_dual_mov_b32 v156, v180 :: v_dual_mov_b32 v157, v181
	v_add_f64 v[2:3], v[2:3], -v[182:183]
.LBB89_55:
	s_or_b32 exec_lo, exec_lo, s3
	s_delay_alu instid0(SALU_CYCLE_1)
	s_mov_b32 s4, exec_lo
	s_waitcnt_vscnt null, 0x0
	s_barrier
	buffer_gl0_inv
	v_cmpx_eq_u32_e32 6, v210
	s_cbranch_execz .LBB89_62
; %bb.56:
	ds_store_2addr_b64 v211, v[152:153], v[154:155] offset1:1
	ds_store_2addr_b64 v212, v[148:149], v[150:151] offset0:14 offset1:15
	ds_store_2addr_b64 v212, v[144:145], v[146:147] offset0:16 offset1:17
	;; [unrolled: 1-line block ×38, first 2 shown]
	ds_load_2addr_b64 v[180:183], v211 offset1:1
	s_waitcnt lgkmcnt(0)
	v_cmp_neq_f64_e32 vcc_lo, 0, v[180:181]
	v_cmp_neq_f64_e64 s3, 0, v[182:183]
	s_delay_alu instid0(VALU_DEP_1) | instskip(NEXT) | instid1(SALU_CYCLE_1)
	s_or_b32 s3, vcc_lo, s3
	s_and_b32 exec_lo, exec_lo, s3
	s_cbranch_execz .LBB89_62
; %bb.57:
	v_cmp_gt_f64_e32 vcc_lo, 0, v[180:181]
	v_xor_b32_e32 v184, 0x80000000, v181
	v_xor_b32_e32 v186, 0x80000000, v183
	s_mov_b32 s3, exec_lo
                                        ; implicit-def: $vgpr188_vgpr189
	s_delay_alu instid0(VALU_DEP_2) | instskip(SKIP_4) | instid1(VALU_DEP_1)
	v_cndmask_b32_e32 v185, v181, v184, vcc_lo
	v_cndmask_b32_e32 v184, v180, v180, vcc_lo
	v_cmp_gt_f64_e32 vcc_lo, 0, v[182:183]
	v_cndmask_b32_e32 v187, v183, v186, vcc_lo
	v_cndmask_b32_e32 v186, v182, v182, vcc_lo
	v_cmpx_ngt_f64_e32 v[184:185], v[186:187]
	s_xor_b32 s3, exec_lo, s3
                                        ; implicit-def: $vgpr184_vgpr185_vgpr186_vgpr187
	s_cbranch_execz .LBB89_59
; %bb.58:
	v_div_scale_f64 v[184:185], null, v[182:183], v[182:183], v[180:181]
	v_div_scale_f64 v[190:191], vcc_lo, v[180:181], v[182:183], v[180:181]
	s_delay_alu instid0(VALU_DEP_2) | instskip(SKIP_2) | instid1(VALU_DEP_1)
	v_rcp_f64_e32 v[186:187], v[184:185]
	s_waitcnt_depctr 0xfff
	v_fma_f64 v[188:189], -v[184:185], v[186:187], 1.0
	v_fma_f64 v[186:187], v[186:187], v[188:189], v[186:187]
	s_delay_alu instid0(VALU_DEP_1) | instskip(NEXT) | instid1(VALU_DEP_1)
	v_fma_f64 v[188:189], -v[184:185], v[186:187], 1.0
	v_fma_f64 v[186:187], v[186:187], v[188:189], v[186:187]
	s_delay_alu instid0(VALU_DEP_1) | instskip(NEXT) | instid1(VALU_DEP_1)
	v_mul_f64 v[188:189], v[190:191], v[186:187]
	v_fma_f64 v[184:185], -v[184:185], v[188:189], v[190:191]
	s_delay_alu instid0(VALU_DEP_1) | instskip(NEXT) | instid1(VALU_DEP_1)
	v_div_fmas_f64 v[184:185], v[184:185], v[186:187], v[188:189]
	v_div_fixup_f64 v[184:185], v[184:185], v[182:183], v[180:181]
	s_delay_alu instid0(VALU_DEP_1) | instskip(NEXT) | instid1(VALU_DEP_1)
	v_fma_f64 v[180:181], v[180:181], v[184:185], v[182:183]
	v_div_scale_f64 v[182:183], null, v[180:181], v[180:181], 1.0
	s_delay_alu instid0(VALU_DEP_1) | instskip(SKIP_2) | instid1(VALU_DEP_1)
	v_rcp_f64_e32 v[186:187], v[182:183]
	s_waitcnt_depctr 0xfff
	v_fma_f64 v[188:189], -v[182:183], v[186:187], 1.0
	v_fma_f64 v[186:187], v[186:187], v[188:189], v[186:187]
	s_delay_alu instid0(VALU_DEP_1) | instskip(NEXT) | instid1(VALU_DEP_1)
	v_fma_f64 v[188:189], -v[182:183], v[186:187], 1.0
	v_fma_f64 v[186:187], v[186:187], v[188:189], v[186:187]
	v_div_scale_f64 v[188:189], vcc_lo, 1.0, v[180:181], 1.0
	s_delay_alu instid0(VALU_DEP_1) | instskip(NEXT) | instid1(VALU_DEP_1)
	v_mul_f64 v[190:191], v[188:189], v[186:187]
	v_fma_f64 v[182:183], -v[182:183], v[190:191], v[188:189]
	s_delay_alu instid0(VALU_DEP_1) | instskip(NEXT) | instid1(VALU_DEP_1)
	v_div_fmas_f64 v[182:183], v[182:183], v[186:187], v[190:191]
	v_div_fixup_f64 v[186:187], v[182:183], v[180:181], 1.0
                                        ; implicit-def: $vgpr180_vgpr181
	s_delay_alu instid0(VALU_DEP_1)
	v_mul_f64 v[188:189], v[184:185], v[186:187]
	v_xor_b32_e32 v187, 0x80000000, v187
.LBB89_59:
	s_and_not1_saveexec_b32 s3, s3
	s_cbranch_execz .LBB89_61
; %bb.60:
	v_div_scale_f64 v[184:185], null, v[180:181], v[180:181], v[182:183]
	v_div_scale_f64 v[190:191], vcc_lo, v[182:183], v[180:181], v[182:183]
	s_delay_alu instid0(VALU_DEP_2) | instskip(SKIP_2) | instid1(VALU_DEP_1)
	v_rcp_f64_e32 v[186:187], v[184:185]
	s_waitcnt_depctr 0xfff
	v_fma_f64 v[188:189], -v[184:185], v[186:187], 1.0
	v_fma_f64 v[186:187], v[186:187], v[188:189], v[186:187]
	s_delay_alu instid0(VALU_DEP_1) | instskip(NEXT) | instid1(VALU_DEP_1)
	v_fma_f64 v[188:189], -v[184:185], v[186:187], 1.0
	v_fma_f64 v[186:187], v[186:187], v[188:189], v[186:187]
	s_delay_alu instid0(VALU_DEP_1) | instskip(NEXT) | instid1(VALU_DEP_1)
	v_mul_f64 v[188:189], v[190:191], v[186:187]
	v_fma_f64 v[184:185], -v[184:185], v[188:189], v[190:191]
	s_delay_alu instid0(VALU_DEP_1) | instskip(NEXT) | instid1(VALU_DEP_1)
	v_div_fmas_f64 v[184:185], v[184:185], v[186:187], v[188:189]
	v_div_fixup_f64 v[184:185], v[184:185], v[180:181], v[182:183]
	s_delay_alu instid0(VALU_DEP_1) | instskip(NEXT) | instid1(VALU_DEP_1)
	v_fma_f64 v[180:181], v[182:183], v[184:185], v[180:181]
	v_div_scale_f64 v[182:183], null, v[180:181], v[180:181], 1.0
	s_delay_alu instid0(VALU_DEP_1) | instskip(SKIP_2) | instid1(VALU_DEP_1)
	v_rcp_f64_e32 v[186:187], v[182:183]
	s_waitcnt_depctr 0xfff
	v_fma_f64 v[188:189], -v[182:183], v[186:187], 1.0
	v_fma_f64 v[186:187], v[186:187], v[188:189], v[186:187]
	s_delay_alu instid0(VALU_DEP_1) | instskip(NEXT) | instid1(VALU_DEP_1)
	v_fma_f64 v[188:189], -v[182:183], v[186:187], 1.0
	v_fma_f64 v[186:187], v[186:187], v[188:189], v[186:187]
	v_div_scale_f64 v[188:189], vcc_lo, 1.0, v[180:181], 1.0
	s_delay_alu instid0(VALU_DEP_1) | instskip(NEXT) | instid1(VALU_DEP_1)
	v_mul_f64 v[190:191], v[188:189], v[186:187]
	v_fma_f64 v[182:183], -v[182:183], v[190:191], v[188:189]
	s_delay_alu instid0(VALU_DEP_1) | instskip(NEXT) | instid1(VALU_DEP_1)
	v_div_fmas_f64 v[182:183], v[182:183], v[186:187], v[190:191]
	v_div_fixup_f64 v[188:189], v[182:183], v[180:181], 1.0
	s_delay_alu instid0(VALU_DEP_1)
	v_mul_f64 v[186:187], v[184:185], -v[188:189]
.LBB89_61:
	s_or_b32 exec_lo, exec_lo, s3
	ds_store_2addr_b64 v211, v[188:189], v[186:187] offset1:1
.LBB89_62:
	s_or_b32 exec_lo, exec_lo, s4
	s_waitcnt lgkmcnt(0)
	s_barrier
	buffer_gl0_inv
	ds_load_2addr_b64 v[180:183], v211 offset1:1
	s_mov_b32 s3, exec_lo
	s_waitcnt lgkmcnt(0)
	scratch_store_b128 off, v[180:183], off offset:344 ; 16-byte Folded Spill
	v_cmpx_lt_u32_e32 6, v210
	s_cbranch_execz .LBB89_64
; %bb.63:
	scratch_load_b128 v[182:185], off, off offset:344 ; 16-byte Folded Reload
	s_waitcnt vmcnt(0)
	v_mul_f64 v[180:181], v[184:185], v[154:155]
	v_mul_f64 v[154:155], v[182:183], v[154:155]
	s_delay_alu instid0(VALU_DEP_2) | instskip(NEXT) | instid1(VALU_DEP_2)
	v_fma_f64 v[180:181], v[182:183], v[152:153], -v[180:181]
	v_fma_f64 v[154:155], v[184:185], v[152:153], v[154:155]
	ds_load_2addr_b64 v[182:185], v212 offset0:14 offset1:15
	s_waitcnt lgkmcnt(0)
	v_mul_f64 v[152:153], v[184:185], v[154:155]
	s_delay_alu instid0(VALU_DEP_1) | instskip(SKIP_1) | instid1(VALU_DEP_2)
	v_fma_f64 v[152:153], v[182:183], v[180:181], -v[152:153]
	v_mul_f64 v[182:183], v[182:183], v[154:155]
	v_add_f64 v[148:149], v[148:149], -v[152:153]
	s_delay_alu instid0(VALU_DEP_2) | instskip(NEXT) | instid1(VALU_DEP_1)
	v_fma_f64 v[182:183], v[184:185], v[180:181], v[182:183]
	v_add_f64 v[150:151], v[150:151], -v[182:183]
	ds_load_2addr_b64 v[182:185], v212 offset0:16 offset1:17
	s_waitcnt lgkmcnt(0)
	v_mul_f64 v[152:153], v[184:185], v[154:155]
	s_delay_alu instid0(VALU_DEP_1) | instskip(SKIP_1) | instid1(VALU_DEP_2)
	v_fma_f64 v[152:153], v[182:183], v[180:181], -v[152:153]
	v_mul_f64 v[182:183], v[182:183], v[154:155]
	v_add_f64 v[144:145], v[144:145], -v[152:153]
	s_delay_alu instid0(VALU_DEP_2) | instskip(NEXT) | instid1(VALU_DEP_1)
	v_fma_f64 v[182:183], v[184:185], v[180:181], v[182:183]
	v_add_f64 v[146:147], v[146:147], -v[182:183]
	ds_load_2addr_b64 v[182:185], v212 offset0:18 offset1:19
	s_waitcnt lgkmcnt(0)
	v_mul_f64 v[152:153], v[184:185], v[154:155]
	s_delay_alu instid0(VALU_DEP_1) | instskip(SKIP_1) | instid1(VALU_DEP_2)
	v_fma_f64 v[152:153], v[182:183], v[180:181], -v[152:153]
	v_mul_f64 v[182:183], v[182:183], v[154:155]
	v_add_f64 v[140:141], v[140:141], -v[152:153]
	s_delay_alu instid0(VALU_DEP_2) | instskip(NEXT) | instid1(VALU_DEP_1)
	v_fma_f64 v[182:183], v[184:185], v[180:181], v[182:183]
	v_add_f64 v[142:143], v[142:143], -v[182:183]
	ds_load_2addr_b64 v[182:185], v212 offset0:20 offset1:21
	s_waitcnt lgkmcnt(0)
	v_mul_f64 v[152:153], v[184:185], v[154:155]
	s_delay_alu instid0(VALU_DEP_1) | instskip(SKIP_1) | instid1(VALU_DEP_2)
	v_fma_f64 v[152:153], v[182:183], v[180:181], -v[152:153]
	v_mul_f64 v[182:183], v[182:183], v[154:155]
	v_add_f64 v[136:137], v[136:137], -v[152:153]
	s_delay_alu instid0(VALU_DEP_2) | instskip(NEXT) | instid1(VALU_DEP_1)
	v_fma_f64 v[182:183], v[184:185], v[180:181], v[182:183]
	v_add_f64 v[138:139], v[138:139], -v[182:183]
	ds_load_2addr_b64 v[182:185], v212 offset0:22 offset1:23
	s_waitcnt lgkmcnt(0)
	v_mul_f64 v[152:153], v[184:185], v[154:155]
	s_delay_alu instid0(VALU_DEP_1) | instskip(SKIP_1) | instid1(VALU_DEP_2)
	v_fma_f64 v[152:153], v[182:183], v[180:181], -v[152:153]
	v_mul_f64 v[182:183], v[182:183], v[154:155]
	v_add_f64 v[132:133], v[132:133], -v[152:153]
	s_delay_alu instid0(VALU_DEP_2) | instskip(NEXT) | instid1(VALU_DEP_1)
	v_fma_f64 v[182:183], v[184:185], v[180:181], v[182:183]
	v_add_f64 v[134:135], v[134:135], -v[182:183]
	ds_load_2addr_b64 v[182:185], v212 offset0:24 offset1:25
	s_waitcnt lgkmcnt(0)
	v_mul_f64 v[152:153], v[184:185], v[154:155]
	s_delay_alu instid0(VALU_DEP_1) | instskip(SKIP_1) | instid1(VALU_DEP_2)
	v_fma_f64 v[152:153], v[182:183], v[180:181], -v[152:153]
	v_mul_f64 v[182:183], v[182:183], v[154:155]
	v_add_f64 v[128:129], v[128:129], -v[152:153]
	s_delay_alu instid0(VALU_DEP_2) | instskip(NEXT) | instid1(VALU_DEP_1)
	v_fma_f64 v[182:183], v[184:185], v[180:181], v[182:183]
	v_add_f64 v[130:131], v[130:131], -v[182:183]
	ds_load_2addr_b64 v[182:185], v212 offset0:26 offset1:27
	s_waitcnt lgkmcnt(0)
	v_mul_f64 v[152:153], v[184:185], v[154:155]
	s_delay_alu instid0(VALU_DEP_1) | instskip(SKIP_1) | instid1(VALU_DEP_2)
	v_fma_f64 v[152:153], v[182:183], v[180:181], -v[152:153]
	v_mul_f64 v[182:183], v[182:183], v[154:155]
	v_add_f64 v[124:125], v[124:125], -v[152:153]
	s_delay_alu instid0(VALU_DEP_2) | instskip(NEXT) | instid1(VALU_DEP_1)
	v_fma_f64 v[182:183], v[184:185], v[180:181], v[182:183]
	v_add_f64 v[126:127], v[126:127], -v[182:183]
	ds_load_2addr_b64 v[182:185], v212 offset0:28 offset1:29
	s_waitcnt lgkmcnt(0)
	v_mul_f64 v[152:153], v[184:185], v[154:155]
	s_delay_alu instid0(VALU_DEP_1) | instskip(SKIP_1) | instid1(VALU_DEP_2)
	v_fma_f64 v[152:153], v[182:183], v[180:181], -v[152:153]
	v_mul_f64 v[182:183], v[182:183], v[154:155]
	v_add_f64 v[120:121], v[120:121], -v[152:153]
	s_delay_alu instid0(VALU_DEP_2) | instskip(NEXT) | instid1(VALU_DEP_1)
	v_fma_f64 v[182:183], v[184:185], v[180:181], v[182:183]
	v_add_f64 v[122:123], v[122:123], -v[182:183]
	ds_load_2addr_b64 v[182:185], v212 offset0:30 offset1:31
	s_waitcnt lgkmcnt(0)
	v_mul_f64 v[152:153], v[184:185], v[154:155]
	s_delay_alu instid0(VALU_DEP_1) | instskip(SKIP_1) | instid1(VALU_DEP_2)
	v_fma_f64 v[152:153], v[182:183], v[180:181], -v[152:153]
	v_mul_f64 v[182:183], v[182:183], v[154:155]
	v_add_f64 v[116:117], v[116:117], -v[152:153]
	s_delay_alu instid0(VALU_DEP_2) | instskip(NEXT) | instid1(VALU_DEP_1)
	v_fma_f64 v[182:183], v[184:185], v[180:181], v[182:183]
	v_add_f64 v[118:119], v[118:119], -v[182:183]
	ds_load_2addr_b64 v[182:185], v212 offset0:32 offset1:33
	s_waitcnt lgkmcnt(0)
	v_mul_f64 v[152:153], v[184:185], v[154:155]
	s_delay_alu instid0(VALU_DEP_1) | instskip(SKIP_1) | instid1(VALU_DEP_2)
	v_fma_f64 v[152:153], v[182:183], v[180:181], -v[152:153]
	v_mul_f64 v[182:183], v[182:183], v[154:155]
	v_add_f64 v[112:113], v[112:113], -v[152:153]
	s_delay_alu instid0(VALU_DEP_2) | instskip(NEXT) | instid1(VALU_DEP_1)
	v_fma_f64 v[182:183], v[184:185], v[180:181], v[182:183]
	v_add_f64 v[114:115], v[114:115], -v[182:183]
	ds_load_2addr_b64 v[182:185], v212 offset0:34 offset1:35
	s_waitcnt lgkmcnt(0)
	v_mul_f64 v[152:153], v[184:185], v[154:155]
	s_delay_alu instid0(VALU_DEP_1) | instskip(SKIP_1) | instid1(VALU_DEP_2)
	v_fma_f64 v[152:153], v[182:183], v[180:181], -v[152:153]
	v_mul_f64 v[182:183], v[182:183], v[154:155]
	v_add_f64 v[108:109], v[108:109], -v[152:153]
	s_delay_alu instid0(VALU_DEP_2) | instskip(NEXT) | instid1(VALU_DEP_1)
	v_fma_f64 v[182:183], v[184:185], v[180:181], v[182:183]
	v_add_f64 v[110:111], v[110:111], -v[182:183]
	ds_load_2addr_b64 v[182:185], v212 offset0:36 offset1:37
	s_waitcnt lgkmcnt(0)
	v_mul_f64 v[152:153], v[184:185], v[154:155]
	s_delay_alu instid0(VALU_DEP_1) | instskip(SKIP_1) | instid1(VALU_DEP_2)
	v_fma_f64 v[152:153], v[182:183], v[180:181], -v[152:153]
	v_mul_f64 v[182:183], v[182:183], v[154:155]
	v_add_f64 v[104:105], v[104:105], -v[152:153]
	s_delay_alu instid0(VALU_DEP_2) | instskip(NEXT) | instid1(VALU_DEP_1)
	v_fma_f64 v[182:183], v[184:185], v[180:181], v[182:183]
	v_add_f64 v[106:107], v[106:107], -v[182:183]
	ds_load_2addr_b64 v[182:185], v212 offset0:38 offset1:39
	s_waitcnt lgkmcnt(0)
	v_mul_f64 v[152:153], v[184:185], v[154:155]
	s_delay_alu instid0(VALU_DEP_1) | instskip(SKIP_1) | instid1(VALU_DEP_2)
	v_fma_f64 v[152:153], v[182:183], v[180:181], -v[152:153]
	v_mul_f64 v[182:183], v[182:183], v[154:155]
	v_add_f64 v[100:101], v[100:101], -v[152:153]
	s_delay_alu instid0(VALU_DEP_2) | instskip(NEXT) | instid1(VALU_DEP_1)
	v_fma_f64 v[182:183], v[184:185], v[180:181], v[182:183]
	v_add_f64 v[102:103], v[102:103], -v[182:183]
	ds_load_2addr_b64 v[182:185], v212 offset0:40 offset1:41
	s_waitcnt lgkmcnt(0)
	v_mul_f64 v[152:153], v[184:185], v[154:155]
	s_delay_alu instid0(VALU_DEP_1) | instskip(SKIP_1) | instid1(VALU_DEP_2)
	v_fma_f64 v[152:153], v[182:183], v[180:181], -v[152:153]
	v_mul_f64 v[182:183], v[182:183], v[154:155]
	v_add_f64 v[96:97], v[96:97], -v[152:153]
	s_delay_alu instid0(VALU_DEP_2) | instskip(NEXT) | instid1(VALU_DEP_1)
	v_fma_f64 v[182:183], v[184:185], v[180:181], v[182:183]
	v_add_f64 v[98:99], v[98:99], -v[182:183]
	ds_load_2addr_b64 v[182:185], v212 offset0:42 offset1:43
	s_waitcnt lgkmcnt(0)
	v_mul_f64 v[152:153], v[184:185], v[154:155]
	s_delay_alu instid0(VALU_DEP_1) | instskip(SKIP_1) | instid1(VALU_DEP_2)
	v_fma_f64 v[152:153], v[182:183], v[180:181], -v[152:153]
	v_mul_f64 v[182:183], v[182:183], v[154:155]
	v_add_f64 v[92:93], v[92:93], -v[152:153]
	s_delay_alu instid0(VALU_DEP_2) | instskip(NEXT) | instid1(VALU_DEP_1)
	v_fma_f64 v[182:183], v[184:185], v[180:181], v[182:183]
	v_add_f64 v[94:95], v[94:95], -v[182:183]
	ds_load_2addr_b64 v[182:185], v212 offset0:44 offset1:45
	s_waitcnt lgkmcnt(0)
	v_mul_f64 v[152:153], v[184:185], v[154:155]
	s_delay_alu instid0(VALU_DEP_1) | instskip(SKIP_1) | instid1(VALU_DEP_2)
	v_fma_f64 v[152:153], v[182:183], v[180:181], -v[152:153]
	v_mul_f64 v[182:183], v[182:183], v[154:155]
	v_add_f64 v[88:89], v[88:89], -v[152:153]
	s_delay_alu instid0(VALU_DEP_2) | instskip(NEXT) | instid1(VALU_DEP_1)
	v_fma_f64 v[182:183], v[184:185], v[180:181], v[182:183]
	v_add_f64 v[90:91], v[90:91], -v[182:183]
	ds_load_2addr_b64 v[182:185], v212 offset0:46 offset1:47
	s_waitcnt lgkmcnt(0)
	v_mul_f64 v[152:153], v[184:185], v[154:155]
	s_delay_alu instid0(VALU_DEP_1) | instskip(SKIP_1) | instid1(VALU_DEP_2)
	v_fma_f64 v[152:153], v[182:183], v[180:181], -v[152:153]
	v_mul_f64 v[182:183], v[182:183], v[154:155]
	v_add_f64 v[84:85], v[84:85], -v[152:153]
	s_delay_alu instid0(VALU_DEP_2) | instskip(NEXT) | instid1(VALU_DEP_1)
	v_fma_f64 v[182:183], v[184:185], v[180:181], v[182:183]
	v_add_f64 v[86:87], v[86:87], -v[182:183]
	ds_load_2addr_b64 v[182:185], v212 offset0:48 offset1:49
	s_waitcnt lgkmcnt(0)
	v_mul_f64 v[152:153], v[184:185], v[154:155]
	s_delay_alu instid0(VALU_DEP_1) | instskip(SKIP_1) | instid1(VALU_DEP_2)
	v_fma_f64 v[152:153], v[182:183], v[180:181], -v[152:153]
	v_mul_f64 v[182:183], v[182:183], v[154:155]
	v_add_f64 v[80:81], v[80:81], -v[152:153]
	s_delay_alu instid0(VALU_DEP_2) | instskip(NEXT) | instid1(VALU_DEP_1)
	v_fma_f64 v[182:183], v[184:185], v[180:181], v[182:183]
	v_add_f64 v[82:83], v[82:83], -v[182:183]
	ds_load_2addr_b64 v[182:185], v212 offset0:50 offset1:51
	s_waitcnt lgkmcnt(0)
	v_mul_f64 v[152:153], v[184:185], v[154:155]
	s_delay_alu instid0(VALU_DEP_1) | instskip(SKIP_1) | instid1(VALU_DEP_2)
	v_fma_f64 v[152:153], v[182:183], v[180:181], -v[152:153]
	v_mul_f64 v[182:183], v[182:183], v[154:155]
	v_add_f64 v[76:77], v[76:77], -v[152:153]
	s_delay_alu instid0(VALU_DEP_2) | instskip(NEXT) | instid1(VALU_DEP_1)
	v_fma_f64 v[182:183], v[184:185], v[180:181], v[182:183]
	v_add_f64 v[78:79], v[78:79], -v[182:183]
	ds_load_2addr_b64 v[182:185], v212 offset0:52 offset1:53
	s_waitcnt lgkmcnt(0)
	v_mul_f64 v[152:153], v[184:185], v[154:155]
	s_delay_alu instid0(VALU_DEP_1) | instskip(SKIP_1) | instid1(VALU_DEP_2)
	v_fma_f64 v[152:153], v[182:183], v[180:181], -v[152:153]
	v_mul_f64 v[182:183], v[182:183], v[154:155]
	v_add_f64 v[72:73], v[72:73], -v[152:153]
	s_delay_alu instid0(VALU_DEP_2) | instskip(NEXT) | instid1(VALU_DEP_1)
	v_fma_f64 v[182:183], v[184:185], v[180:181], v[182:183]
	v_add_f64 v[74:75], v[74:75], -v[182:183]
	ds_load_2addr_b64 v[182:185], v212 offset0:54 offset1:55
	s_waitcnt lgkmcnt(0)
	v_mul_f64 v[152:153], v[184:185], v[154:155]
	s_delay_alu instid0(VALU_DEP_1) | instskip(SKIP_1) | instid1(VALU_DEP_2)
	v_fma_f64 v[152:153], v[182:183], v[180:181], -v[152:153]
	v_mul_f64 v[182:183], v[182:183], v[154:155]
	v_add_f64 v[68:69], v[68:69], -v[152:153]
	s_delay_alu instid0(VALU_DEP_2) | instskip(NEXT) | instid1(VALU_DEP_1)
	v_fma_f64 v[182:183], v[184:185], v[180:181], v[182:183]
	v_add_f64 v[70:71], v[70:71], -v[182:183]
	ds_load_2addr_b64 v[182:185], v212 offset0:56 offset1:57
	s_waitcnt lgkmcnt(0)
	v_mul_f64 v[152:153], v[184:185], v[154:155]
	s_delay_alu instid0(VALU_DEP_1) | instskip(SKIP_1) | instid1(VALU_DEP_2)
	v_fma_f64 v[152:153], v[182:183], v[180:181], -v[152:153]
	v_mul_f64 v[182:183], v[182:183], v[154:155]
	v_add_f64 v[64:65], v[64:65], -v[152:153]
	s_delay_alu instid0(VALU_DEP_2) | instskip(NEXT) | instid1(VALU_DEP_1)
	v_fma_f64 v[182:183], v[184:185], v[180:181], v[182:183]
	v_add_f64 v[66:67], v[66:67], -v[182:183]
	ds_load_2addr_b64 v[182:185], v212 offset0:58 offset1:59
	s_waitcnt lgkmcnt(0)
	v_mul_f64 v[152:153], v[184:185], v[154:155]
	s_delay_alu instid0(VALU_DEP_1) | instskip(SKIP_1) | instid1(VALU_DEP_2)
	v_fma_f64 v[152:153], v[182:183], v[180:181], -v[152:153]
	v_mul_f64 v[182:183], v[182:183], v[154:155]
	v_add_f64 v[60:61], v[60:61], -v[152:153]
	s_delay_alu instid0(VALU_DEP_2) | instskip(NEXT) | instid1(VALU_DEP_1)
	v_fma_f64 v[182:183], v[184:185], v[180:181], v[182:183]
	v_add_f64 v[62:63], v[62:63], -v[182:183]
	ds_load_2addr_b64 v[182:185], v212 offset0:60 offset1:61
	s_waitcnt lgkmcnt(0)
	v_mul_f64 v[152:153], v[184:185], v[154:155]
	s_delay_alu instid0(VALU_DEP_1) | instskip(SKIP_1) | instid1(VALU_DEP_2)
	v_fma_f64 v[152:153], v[182:183], v[180:181], -v[152:153]
	v_mul_f64 v[182:183], v[182:183], v[154:155]
	v_add_f64 v[56:57], v[56:57], -v[152:153]
	s_delay_alu instid0(VALU_DEP_2) | instskip(NEXT) | instid1(VALU_DEP_1)
	v_fma_f64 v[182:183], v[184:185], v[180:181], v[182:183]
	v_add_f64 v[58:59], v[58:59], -v[182:183]
	ds_load_2addr_b64 v[182:185], v212 offset0:62 offset1:63
	s_waitcnt lgkmcnt(0)
	v_mul_f64 v[152:153], v[184:185], v[154:155]
	s_delay_alu instid0(VALU_DEP_1) | instskip(SKIP_1) | instid1(VALU_DEP_2)
	v_fma_f64 v[152:153], v[182:183], v[180:181], -v[152:153]
	v_mul_f64 v[182:183], v[182:183], v[154:155]
	v_add_f64 v[52:53], v[52:53], -v[152:153]
	s_delay_alu instid0(VALU_DEP_2) | instskip(NEXT) | instid1(VALU_DEP_1)
	v_fma_f64 v[182:183], v[184:185], v[180:181], v[182:183]
	v_add_f64 v[54:55], v[54:55], -v[182:183]
	ds_load_2addr_b64 v[182:185], v212 offset0:64 offset1:65
	s_waitcnt lgkmcnt(0)
	v_mul_f64 v[152:153], v[184:185], v[154:155]
	s_delay_alu instid0(VALU_DEP_1) | instskip(SKIP_1) | instid1(VALU_DEP_2)
	v_fma_f64 v[152:153], v[182:183], v[180:181], -v[152:153]
	v_mul_f64 v[182:183], v[182:183], v[154:155]
	v_add_f64 v[48:49], v[48:49], -v[152:153]
	s_delay_alu instid0(VALU_DEP_2) | instskip(NEXT) | instid1(VALU_DEP_1)
	v_fma_f64 v[182:183], v[184:185], v[180:181], v[182:183]
	v_add_f64 v[50:51], v[50:51], -v[182:183]
	ds_load_2addr_b64 v[182:185], v212 offset0:66 offset1:67
	s_waitcnt lgkmcnt(0)
	v_mul_f64 v[152:153], v[184:185], v[154:155]
	s_delay_alu instid0(VALU_DEP_1) | instskip(SKIP_1) | instid1(VALU_DEP_2)
	v_fma_f64 v[152:153], v[182:183], v[180:181], -v[152:153]
	v_mul_f64 v[182:183], v[182:183], v[154:155]
	v_add_f64 v[44:45], v[44:45], -v[152:153]
	s_delay_alu instid0(VALU_DEP_2) | instskip(NEXT) | instid1(VALU_DEP_1)
	v_fma_f64 v[182:183], v[184:185], v[180:181], v[182:183]
	v_add_f64 v[46:47], v[46:47], -v[182:183]
	ds_load_2addr_b64 v[182:185], v212 offset0:68 offset1:69
	s_waitcnt lgkmcnt(0)
	v_mul_f64 v[152:153], v[184:185], v[154:155]
	s_delay_alu instid0(VALU_DEP_1) | instskip(SKIP_1) | instid1(VALU_DEP_2)
	v_fma_f64 v[152:153], v[182:183], v[180:181], -v[152:153]
	v_mul_f64 v[182:183], v[182:183], v[154:155]
	v_add_f64 v[40:41], v[40:41], -v[152:153]
	s_delay_alu instid0(VALU_DEP_2) | instskip(NEXT) | instid1(VALU_DEP_1)
	v_fma_f64 v[182:183], v[184:185], v[180:181], v[182:183]
	v_add_f64 v[42:43], v[42:43], -v[182:183]
	ds_load_2addr_b64 v[182:185], v212 offset0:70 offset1:71
	s_waitcnt lgkmcnt(0)
	v_mul_f64 v[152:153], v[184:185], v[154:155]
	s_delay_alu instid0(VALU_DEP_1) | instskip(SKIP_1) | instid1(VALU_DEP_2)
	v_fma_f64 v[152:153], v[182:183], v[180:181], -v[152:153]
	v_mul_f64 v[182:183], v[182:183], v[154:155]
	v_add_f64 v[36:37], v[36:37], -v[152:153]
	s_delay_alu instid0(VALU_DEP_2) | instskip(NEXT) | instid1(VALU_DEP_1)
	v_fma_f64 v[182:183], v[184:185], v[180:181], v[182:183]
	v_add_f64 v[38:39], v[38:39], -v[182:183]
	ds_load_2addr_b64 v[182:185], v212 offset0:72 offset1:73
	s_waitcnt lgkmcnt(0)
	v_mul_f64 v[152:153], v[184:185], v[154:155]
	s_delay_alu instid0(VALU_DEP_1) | instskip(SKIP_1) | instid1(VALU_DEP_2)
	v_fma_f64 v[152:153], v[182:183], v[180:181], -v[152:153]
	v_mul_f64 v[182:183], v[182:183], v[154:155]
	v_add_f64 v[32:33], v[32:33], -v[152:153]
	s_delay_alu instid0(VALU_DEP_2) | instskip(NEXT) | instid1(VALU_DEP_1)
	v_fma_f64 v[182:183], v[184:185], v[180:181], v[182:183]
	v_add_f64 v[34:35], v[34:35], -v[182:183]
	ds_load_2addr_b64 v[182:185], v212 offset0:74 offset1:75
	s_waitcnt lgkmcnt(0)
	v_mul_f64 v[152:153], v[184:185], v[154:155]
	s_delay_alu instid0(VALU_DEP_1) | instskip(SKIP_1) | instid1(VALU_DEP_2)
	v_fma_f64 v[152:153], v[182:183], v[180:181], -v[152:153]
	v_mul_f64 v[182:183], v[182:183], v[154:155]
	v_add_f64 v[28:29], v[28:29], -v[152:153]
	s_delay_alu instid0(VALU_DEP_2) | instskip(NEXT) | instid1(VALU_DEP_1)
	v_fma_f64 v[182:183], v[184:185], v[180:181], v[182:183]
	v_add_f64 v[30:31], v[30:31], -v[182:183]
	ds_load_2addr_b64 v[182:185], v212 offset0:76 offset1:77
	s_waitcnt lgkmcnt(0)
	v_mul_f64 v[152:153], v[184:185], v[154:155]
	s_delay_alu instid0(VALU_DEP_1) | instskip(SKIP_1) | instid1(VALU_DEP_2)
	v_fma_f64 v[152:153], v[182:183], v[180:181], -v[152:153]
	v_mul_f64 v[182:183], v[182:183], v[154:155]
	v_add_f64 v[24:25], v[24:25], -v[152:153]
	s_delay_alu instid0(VALU_DEP_2) | instskip(NEXT) | instid1(VALU_DEP_1)
	v_fma_f64 v[182:183], v[184:185], v[180:181], v[182:183]
	v_add_f64 v[26:27], v[26:27], -v[182:183]
	ds_load_2addr_b64 v[182:185], v212 offset0:78 offset1:79
	s_waitcnt lgkmcnt(0)
	v_mul_f64 v[152:153], v[184:185], v[154:155]
	s_delay_alu instid0(VALU_DEP_1) | instskip(SKIP_1) | instid1(VALU_DEP_2)
	v_fma_f64 v[152:153], v[182:183], v[180:181], -v[152:153]
	v_mul_f64 v[182:183], v[182:183], v[154:155]
	v_add_f64 v[20:21], v[20:21], -v[152:153]
	s_delay_alu instid0(VALU_DEP_2) | instskip(NEXT) | instid1(VALU_DEP_1)
	v_fma_f64 v[182:183], v[184:185], v[180:181], v[182:183]
	v_add_f64 v[22:23], v[22:23], -v[182:183]
	ds_load_2addr_b64 v[182:185], v212 offset0:80 offset1:81
	s_waitcnt lgkmcnt(0)
	v_mul_f64 v[152:153], v[184:185], v[154:155]
	s_delay_alu instid0(VALU_DEP_1) | instskip(SKIP_1) | instid1(VALU_DEP_2)
	v_fma_f64 v[152:153], v[182:183], v[180:181], -v[152:153]
	v_mul_f64 v[182:183], v[182:183], v[154:155]
	v_add_f64 v[16:17], v[16:17], -v[152:153]
	s_delay_alu instid0(VALU_DEP_2) | instskip(NEXT) | instid1(VALU_DEP_1)
	v_fma_f64 v[182:183], v[184:185], v[180:181], v[182:183]
	v_add_f64 v[18:19], v[18:19], -v[182:183]
	ds_load_2addr_b64 v[182:185], v212 offset0:82 offset1:83
	s_waitcnt lgkmcnt(0)
	v_mul_f64 v[152:153], v[184:185], v[154:155]
	s_delay_alu instid0(VALU_DEP_1) | instskip(SKIP_1) | instid1(VALU_DEP_2)
	v_fma_f64 v[152:153], v[182:183], v[180:181], -v[152:153]
	v_mul_f64 v[182:183], v[182:183], v[154:155]
	v_add_f64 v[12:13], v[12:13], -v[152:153]
	s_delay_alu instid0(VALU_DEP_2) | instskip(NEXT) | instid1(VALU_DEP_1)
	v_fma_f64 v[182:183], v[184:185], v[180:181], v[182:183]
	v_add_f64 v[14:15], v[14:15], -v[182:183]
	ds_load_2addr_b64 v[182:185], v212 offset0:84 offset1:85
	s_waitcnt lgkmcnt(0)
	v_mul_f64 v[152:153], v[184:185], v[154:155]
	s_delay_alu instid0(VALU_DEP_1) | instskip(SKIP_1) | instid1(VALU_DEP_2)
	v_fma_f64 v[152:153], v[182:183], v[180:181], -v[152:153]
	v_mul_f64 v[182:183], v[182:183], v[154:155]
	v_add_f64 v[8:9], v[8:9], -v[152:153]
	s_delay_alu instid0(VALU_DEP_2) | instskip(NEXT) | instid1(VALU_DEP_1)
	v_fma_f64 v[182:183], v[184:185], v[180:181], v[182:183]
	v_add_f64 v[10:11], v[10:11], -v[182:183]
	ds_load_2addr_b64 v[182:185], v212 offset0:86 offset1:87
	s_waitcnt lgkmcnt(0)
	v_mul_f64 v[152:153], v[184:185], v[154:155]
	s_delay_alu instid0(VALU_DEP_1) | instskip(SKIP_1) | instid1(VALU_DEP_2)
	v_fma_f64 v[152:153], v[182:183], v[180:181], -v[152:153]
	v_mul_f64 v[182:183], v[182:183], v[154:155]
	v_add_f64 v[4:5], v[4:5], -v[152:153]
	s_delay_alu instid0(VALU_DEP_2) | instskip(NEXT) | instid1(VALU_DEP_1)
	v_fma_f64 v[182:183], v[184:185], v[180:181], v[182:183]
	v_add_f64 v[6:7], v[6:7], -v[182:183]
	ds_load_2addr_b64 v[182:185], v212 offset0:88 offset1:89
	s_waitcnt lgkmcnt(0)
	v_mul_f64 v[152:153], v[184:185], v[154:155]
	s_delay_alu instid0(VALU_DEP_1) | instskip(SKIP_1) | instid1(VALU_DEP_2)
	v_fma_f64 v[152:153], v[182:183], v[180:181], -v[152:153]
	v_mul_f64 v[182:183], v[182:183], v[154:155]
	v_add_f64 v[0:1], v[0:1], -v[152:153]
	s_delay_alu instid0(VALU_DEP_2) | instskip(SKIP_1) | instid1(VALU_DEP_2)
	v_fma_f64 v[182:183], v[184:185], v[180:181], v[182:183]
	v_dual_mov_b32 v152, v180 :: v_dual_mov_b32 v153, v181
	v_add_f64 v[2:3], v[2:3], -v[182:183]
.LBB89_64:
	s_or_b32 exec_lo, exec_lo, s3
	s_delay_alu instid0(SALU_CYCLE_1)
	s_mov_b32 s4, exec_lo
	s_waitcnt_vscnt null, 0x0
	s_barrier
	buffer_gl0_inv
	v_cmpx_eq_u32_e32 7, v210
	s_cbranch_execz .LBB89_71
; %bb.65:
	ds_store_2addr_b64 v211, v[148:149], v[150:151] offset1:1
	ds_store_2addr_b64 v212, v[144:145], v[146:147] offset0:16 offset1:17
	ds_store_2addr_b64 v212, v[140:141], v[142:143] offset0:18 offset1:19
	;; [unrolled: 1-line block ×37, first 2 shown]
	ds_load_2addr_b64 v[180:183], v211 offset1:1
	s_waitcnt lgkmcnt(0)
	v_cmp_neq_f64_e32 vcc_lo, 0, v[180:181]
	v_cmp_neq_f64_e64 s3, 0, v[182:183]
	s_delay_alu instid0(VALU_DEP_1) | instskip(NEXT) | instid1(SALU_CYCLE_1)
	s_or_b32 s3, vcc_lo, s3
	s_and_b32 exec_lo, exec_lo, s3
	s_cbranch_execz .LBB89_71
; %bb.66:
	v_cmp_gt_f64_e32 vcc_lo, 0, v[180:181]
	v_xor_b32_e32 v184, 0x80000000, v181
	v_xor_b32_e32 v186, 0x80000000, v183
	s_mov_b32 s3, exec_lo
                                        ; implicit-def: $vgpr188_vgpr189
	s_delay_alu instid0(VALU_DEP_2) | instskip(SKIP_4) | instid1(VALU_DEP_1)
	v_cndmask_b32_e32 v185, v181, v184, vcc_lo
	v_cndmask_b32_e32 v184, v180, v180, vcc_lo
	v_cmp_gt_f64_e32 vcc_lo, 0, v[182:183]
	v_cndmask_b32_e32 v187, v183, v186, vcc_lo
	v_cndmask_b32_e32 v186, v182, v182, vcc_lo
	v_cmpx_ngt_f64_e32 v[184:185], v[186:187]
	s_xor_b32 s3, exec_lo, s3
                                        ; implicit-def: $vgpr184_vgpr185_vgpr186_vgpr187
	s_cbranch_execz .LBB89_68
; %bb.67:
	v_div_scale_f64 v[184:185], null, v[182:183], v[182:183], v[180:181]
	v_div_scale_f64 v[190:191], vcc_lo, v[180:181], v[182:183], v[180:181]
	s_delay_alu instid0(VALU_DEP_2) | instskip(SKIP_2) | instid1(VALU_DEP_1)
	v_rcp_f64_e32 v[186:187], v[184:185]
	s_waitcnt_depctr 0xfff
	v_fma_f64 v[188:189], -v[184:185], v[186:187], 1.0
	v_fma_f64 v[186:187], v[186:187], v[188:189], v[186:187]
	s_delay_alu instid0(VALU_DEP_1) | instskip(NEXT) | instid1(VALU_DEP_1)
	v_fma_f64 v[188:189], -v[184:185], v[186:187], 1.0
	v_fma_f64 v[186:187], v[186:187], v[188:189], v[186:187]
	s_delay_alu instid0(VALU_DEP_1) | instskip(NEXT) | instid1(VALU_DEP_1)
	v_mul_f64 v[188:189], v[190:191], v[186:187]
	v_fma_f64 v[184:185], -v[184:185], v[188:189], v[190:191]
	s_delay_alu instid0(VALU_DEP_1) | instskip(NEXT) | instid1(VALU_DEP_1)
	v_div_fmas_f64 v[184:185], v[184:185], v[186:187], v[188:189]
	v_div_fixup_f64 v[184:185], v[184:185], v[182:183], v[180:181]
	s_delay_alu instid0(VALU_DEP_1) | instskip(NEXT) | instid1(VALU_DEP_1)
	v_fma_f64 v[180:181], v[180:181], v[184:185], v[182:183]
	v_div_scale_f64 v[182:183], null, v[180:181], v[180:181], 1.0
	s_delay_alu instid0(VALU_DEP_1) | instskip(SKIP_2) | instid1(VALU_DEP_1)
	v_rcp_f64_e32 v[186:187], v[182:183]
	s_waitcnt_depctr 0xfff
	v_fma_f64 v[188:189], -v[182:183], v[186:187], 1.0
	v_fma_f64 v[186:187], v[186:187], v[188:189], v[186:187]
	s_delay_alu instid0(VALU_DEP_1) | instskip(NEXT) | instid1(VALU_DEP_1)
	v_fma_f64 v[188:189], -v[182:183], v[186:187], 1.0
	v_fma_f64 v[186:187], v[186:187], v[188:189], v[186:187]
	v_div_scale_f64 v[188:189], vcc_lo, 1.0, v[180:181], 1.0
	s_delay_alu instid0(VALU_DEP_1) | instskip(NEXT) | instid1(VALU_DEP_1)
	v_mul_f64 v[190:191], v[188:189], v[186:187]
	v_fma_f64 v[182:183], -v[182:183], v[190:191], v[188:189]
	s_delay_alu instid0(VALU_DEP_1) | instskip(NEXT) | instid1(VALU_DEP_1)
	v_div_fmas_f64 v[182:183], v[182:183], v[186:187], v[190:191]
	v_div_fixup_f64 v[186:187], v[182:183], v[180:181], 1.0
                                        ; implicit-def: $vgpr180_vgpr181
	s_delay_alu instid0(VALU_DEP_1)
	v_mul_f64 v[188:189], v[184:185], v[186:187]
	v_xor_b32_e32 v187, 0x80000000, v187
.LBB89_68:
	s_and_not1_saveexec_b32 s3, s3
	s_cbranch_execz .LBB89_70
; %bb.69:
	v_div_scale_f64 v[184:185], null, v[180:181], v[180:181], v[182:183]
	v_div_scale_f64 v[190:191], vcc_lo, v[182:183], v[180:181], v[182:183]
	s_delay_alu instid0(VALU_DEP_2) | instskip(SKIP_2) | instid1(VALU_DEP_1)
	v_rcp_f64_e32 v[186:187], v[184:185]
	s_waitcnt_depctr 0xfff
	v_fma_f64 v[188:189], -v[184:185], v[186:187], 1.0
	v_fma_f64 v[186:187], v[186:187], v[188:189], v[186:187]
	s_delay_alu instid0(VALU_DEP_1) | instskip(NEXT) | instid1(VALU_DEP_1)
	v_fma_f64 v[188:189], -v[184:185], v[186:187], 1.0
	v_fma_f64 v[186:187], v[186:187], v[188:189], v[186:187]
	s_delay_alu instid0(VALU_DEP_1) | instskip(NEXT) | instid1(VALU_DEP_1)
	v_mul_f64 v[188:189], v[190:191], v[186:187]
	v_fma_f64 v[184:185], -v[184:185], v[188:189], v[190:191]
	s_delay_alu instid0(VALU_DEP_1) | instskip(NEXT) | instid1(VALU_DEP_1)
	v_div_fmas_f64 v[184:185], v[184:185], v[186:187], v[188:189]
	v_div_fixup_f64 v[184:185], v[184:185], v[180:181], v[182:183]
	s_delay_alu instid0(VALU_DEP_1) | instskip(NEXT) | instid1(VALU_DEP_1)
	v_fma_f64 v[180:181], v[182:183], v[184:185], v[180:181]
	v_div_scale_f64 v[182:183], null, v[180:181], v[180:181], 1.0
	s_delay_alu instid0(VALU_DEP_1) | instskip(SKIP_2) | instid1(VALU_DEP_1)
	v_rcp_f64_e32 v[186:187], v[182:183]
	s_waitcnt_depctr 0xfff
	v_fma_f64 v[188:189], -v[182:183], v[186:187], 1.0
	v_fma_f64 v[186:187], v[186:187], v[188:189], v[186:187]
	s_delay_alu instid0(VALU_DEP_1) | instskip(NEXT) | instid1(VALU_DEP_1)
	v_fma_f64 v[188:189], -v[182:183], v[186:187], 1.0
	v_fma_f64 v[186:187], v[186:187], v[188:189], v[186:187]
	v_div_scale_f64 v[188:189], vcc_lo, 1.0, v[180:181], 1.0
	s_delay_alu instid0(VALU_DEP_1) | instskip(NEXT) | instid1(VALU_DEP_1)
	v_mul_f64 v[190:191], v[188:189], v[186:187]
	v_fma_f64 v[182:183], -v[182:183], v[190:191], v[188:189]
	s_delay_alu instid0(VALU_DEP_1) | instskip(NEXT) | instid1(VALU_DEP_1)
	v_div_fmas_f64 v[182:183], v[182:183], v[186:187], v[190:191]
	v_div_fixup_f64 v[188:189], v[182:183], v[180:181], 1.0
	s_delay_alu instid0(VALU_DEP_1)
	v_mul_f64 v[186:187], v[184:185], -v[188:189]
.LBB89_70:
	s_or_b32 exec_lo, exec_lo, s3
	ds_store_2addr_b64 v211, v[188:189], v[186:187] offset1:1
.LBB89_71:
	s_or_b32 exec_lo, exec_lo, s4
	s_waitcnt lgkmcnt(0)
	s_barrier
	buffer_gl0_inv
	ds_load_2addr_b64 v[180:183], v211 offset1:1
	s_mov_b32 s3, exec_lo
	s_waitcnt lgkmcnt(0)
	scratch_store_b128 off, v[180:183], off offset:360 ; 16-byte Folded Spill
	v_cmpx_lt_u32_e32 7, v210
	s_cbranch_execz .LBB89_73
; %bb.72:
	scratch_load_b128 v[182:185], off, off offset:360 ; 16-byte Folded Reload
	s_waitcnt vmcnt(0)
	v_mul_f64 v[180:181], v[184:185], v[150:151]
	v_mul_f64 v[150:151], v[182:183], v[150:151]
	s_delay_alu instid0(VALU_DEP_2) | instskip(NEXT) | instid1(VALU_DEP_2)
	v_fma_f64 v[180:181], v[182:183], v[148:149], -v[180:181]
	v_fma_f64 v[150:151], v[184:185], v[148:149], v[150:151]
	ds_load_2addr_b64 v[182:185], v212 offset0:16 offset1:17
	s_waitcnt lgkmcnt(0)
	v_mul_f64 v[148:149], v[184:185], v[150:151]
	s_delay_alu instid0(VALU_DEP_1) | instskip(SKIP_1) | instid1(VALU_DEP_2)
	v_fma_f64 v[148:149], v[182:183], v[180:181], -v[148:149]
	v_mul_f64 v[182:183], v[182:183], v[150:151]
	v_add_f64 v[144:145], v[144:145], -v[148:149]
	s_delay_alu instid0(VALU_DEP_2) | instskip(NEXT) | instid1(VALU_DEP_1)
	v_fma_f64 v[182:183], v[184:185], v[180:181], v[182:183]
	v_add_f64 v[146:147], v[146:147], -v[182:183]
	ds_load_2addr_b64 v[182:185], v212 offset0:18 offset1:19
	s_waitcnt lgkmcnt(0)
	v_mul_f64 v[148:149], v[184:185], v[150:151]
	s_delay_alu instid0(VALU_DEP_1) | instskip(SKIP_1) | instid1(VALU_DEP_2)
	v_fma_f64 v[148:149], v[182:183], v[180:181], -v[148:149]
	v_mul_f64 v[182:183], v[182:183], v[150:151]
	v_add_f64 v[140:141], v[140:141], -v[148:149]
	s_delay_alu instid0(VALU_DEP_2) | instskip(NEXT) | instid1(VALU_DEP_1)
	v_fma_f64 v[182:183], v[184:185], v[180:181], v[182:183]
	v_add_f64 v[142:143], v[142:143], -v[182:183]
	;; [unrolled: 10-line block ×36, first 2 shown]
	ds_load_2addr_b64 v[182:185], v212 offset0:88 offset1:89
	s_waitcnt lgkmcnt(0)
	v_mul_f64 v[148:149], v[184:185], v[150:151]
	s_delay_alu instid0(VALU_DEP_1) | instskip(SKIP_1) | instid1(VALU_DEP_2)
	v_fma_f64 v[148:149], v[182:183], v[180:181], -v[148:149]
	v_mul_f64 v[182:183], v[182:183], v[150:151]
	v_add_f64 v[0:1], v[0:1], -v[148:149]
	s_delay_alu instid0(VALU_DEP_2) | instskip(SKIP_1) | instid1(VALU_DEP_2)
	v_fma_f64 v[182:183], v[184:185], v[180:181], v[182:183]
	v_dual_mov_b32 v148, v180 :: v_dual_mov_b32 v149, v181
	v_add_f64 v[2:3], v[2:3], -v[182:183]
.LBB89_73:
	s_or_b32 exec_lo, exec_lo, s3
	s_delay_alu instid0(SALU_CYCLE_1)
	s_mov_b32 s4, exec_lo
	s_waitcnt_vscnt null, 0x0
	s_barrier
	buffer_gl0_inv
	v_cmpx_eq_u32_e32 8, v210
	s_cbranch_execz .LBB89_80
; %bb.74:
	ds_store_2addr_b64 v211, v[144:145], v[146:147] offset1:1
	ds_store_2addr_b64 v212, v[140:141], v[142:143] offset0:18 offset1:19
	ds_store_2addr_b64 v212, v[136:137], v[138:139] offset0:20 offset1:21
	;; [unrolled: 1-line block ×36, first 2 shown]
	ds_load_2addr_b64 v[180:183], v211 offset1:1
	s_waitcnt lgkmcnt(0)
	v_cmp_neq_f64_e32 vcc_lo, 0, v[180:181]
	v_cmp_neq_f64_e64 s3, 0, v[182:183]
	s_delay_alu instid0(VALU_DEP_1) | instskip(NEXT) | instid1(SALU_CYCLE_1)
	s_or_b32 s3, vcc_lo, s3
	s_and_b32 exec_lo, exec_lo, s3
	s_cbranch_execz .LBB89_80
; %bb.75:
	v_cmp_gt_f64_e32 vcc_lo, 0, v[180:181]
	v_xor_b32_e32 v184, 0x80000000, v181
	v_xor_b32_e32 v186, 0x80000000, v183
	s_mov_b32 s3, exec_lo
                                        ; implicit-def: $vgpr188_vgpr189
	s_delay_alu instid0(VALU_DEP_2) | instskip(SKIP_4) | instid1(VALU_DEP_1)
	v_cndmask_b32_e32 v185, v181, v184, vcc_lo
	v_cndmask_b32_e32 v184, v180, v180, vcc_lo
	v_cmp_gt_f64_e32 vcc_lo, 0, v[182:183]
	v_cndmask_b32_e32 v187, v183, v186, vcc_lo
	v_cndmask_b32_e32 v186, v182, v182, vcc_lo
	v_cmpx_ngt_f64_e32 v[184:185], v[186:187]
	s_xor_b32 s3, exec_lo, s3
                                        ; implicit-def: $vgpr184_vgpr185_vgpr186_vgpr187
	s_cbranch_execz .LBB89_77
; %bb.76:
	v_div_scale_f64 v[184:185], null, v[182:183], v[182:183], v[180:181]
	v_div_scale_f64 v[190:191], vcc_lo, v[180:181], v[182:183], v[180:181]
	s_delay_alu instid0(VALU_DEP_2) | instskip(SKIP_2) | instid1(VALU_DEP_1)
	v_rcp_f64_e32 v[186:187], v[184:185]
	s_waitcnt_depctr 0xfff
	v_fma_f64 v[188:189], -v[184:185], v[186:187], 1.0
	v_fma_f64 v[186:187], v[186:187], v[188:189], v[186:187]
	s_delay_alu instid0(VALU_DEP_1) | instskip(NEXT) | instid1(VALU_DEP_1)
	v_fma_f64 v[188:189], -v[184:185], v[186:187], 1.0
	v_fma_f64 v[186:187], v[186:187], v[188:189], v[186:187]
	s_delay_alu instid0(VALU_DEP_1) | instskip(NEXT) | instid1(VALU_DEP_1)
	v_mul_f64 v[188:189], v[190:191], v[186:187]
	v_fma_f64 v[184:185], -v[184:185], v[188:189], v[190:191]
	s_delay_alu instid0(VALU_DEP_1) | instskip(NEXT) | instid1(VALU_DEP_1)
	v_div_fmas_f64 v[184:185], v[184:185], v[186:187], v[188:189]
	v_div_fixup_f64 v[184:185], v[184:185], v[182:183], v[180:181]
	s_delay_alu instid0(VALU_DEP_1) | instskip(NEXT) | instid1(VALU_DEP_1)
	v_fma_f64 v[180:181], v[180:181], v[184:185], v[182:183]
	v_div_scale_f64 v[182:183], null, v[180:181], v[180:181], 1.0
	s_delay_alu instid0(VALU_DEP_1) | instskip(SKIP_2) | instid1(VALU_DEP_1)
	v_rcp_f64_e32 v[186:187], v[182:183]
	s_waitcnt_depctr 0xfff
	v_fma_f64 v[188:189], -v[182:183], v[186:187], 1.0
	v_fma_f64 v[186:187], v[186:187], v[188:189], v[186:187]
	s_delay_alu instid0(VALU_DEP_1) | instskip(NEXT) | instid1(VALU_DEP_1)
	v_fma_f64 v[188:189], -v[182:183], v[186:187], 1.0
	v_fma_f64 v[186:187], v[186:187], v[188:189], v[186:187]
	v_div_scale_f64 v[188:189], vcc_lo, 1.0, v[180:181], 1.0
	s_delay_alu instid0(VALU_DEP_1) | instskip(NEXT) | instid1(VALU_DEP_1)
	v_mul_f64 v[190:191], v[188:189], v[186:187]
	v_fma_f64 v[182:183], -v[182:183], v[190:191], v[188:189]
	s_delay_alu instid0(VALU_DEP_1) | instskip(NEXT) | instid1(VALU_DEP_1)
	v_div_fmas_f64 v[182:183], v[182:183], v[186:187], v[190:191]
	v_div_fixup_f64 v[186:187], v[182:183], v[180:181], 1.0
                                        ; implicit-def: $vgpr180_vgpr181
	s_delay_alu instid0(VALU_DEP_1)
	v_mul_f64 v[188:189], v[184:185], v[186:187]
	v_xor_b32_e32 v187, 0x80000000, v187
.LBB89_77:
	s_and_not1_saveexec_b32 s3, s3
	s_cbranch_execz .LBB89_79
; %bb.78:
	v_div_scale_f64 v[184:185], null, v[180:181], v[180:181], v[182:183]
	v_div_scale_f64 v[190:191], vcc_lo, v[182:183], v[180:181], v[182:183]
	s_delay_alu instid0(VALU_DEP_2) | instskip(SKIP_2) | instid1(VALU_DEP_1)
	v_rcp_f64_e32 v[186:187], v[184:185]
	s_waitcnt_depctr 0xfff
	v_fma_f64 v[188:189], -v[184:185], v[186:187], 1.0
	v_fma_f64 v[186:187], v[186:187], v[188:189], v[186:187]
	s_delay_alu instid0(VALU_DEP_1) | instskip(NEXT) | instid1(VALU_DEP_1)
	v_fma_f64 v[188:189], -v[184:185], v[186:187], 1.0
	v_fma_f64 v[186:187], v[186:187], v[188:189], v[186:187]
	s_delay_alu instid0(VALU_DEP_1) | instskip(NEXT) | instid1(VALU_DEP_1)
	v_mul_f64 v[188:189], v[190:191], v[186:187]
	v_fma_f64 v[184:185], -v[184:185], v[188:189], v[190:191]
	s_delay_alu instid0(VALU_DEP_1) | instskip(NEXT) | instid1(VALU_DEP_1)
	v_div_fmas_f64 v[184:185], v[184:185], v[186:187], v[188:189]
	v_div_fixup_f64 v[184:185], v[184:185], v[180:181], v[182:183]
	s_delay_alu instid0(VALU_DEP_1) | instskip(NEXT) | instid1(VALU_DEP_1)
	v_fma_f64 v[180:181], v[182:183], v[184:185], v[180:181]
	v_div_scale_f64 v[182:183], null, v[180:181], v[180:181], 1.0
	s_delay_alu instid0(VALU_DEP_1) | instskip(SKIP_2) | instid1(VALU_DEP_1)
	v_rcp_f64_e32 v[186:187], v[182:183]
	s_waitcnt_depctr 0xfff
	v_fma_f64 v[188:189], -v[182:183], v[186:187], 1.0
	v_fma_f64 v[186:187], v[186:187], v[188:189], v[186:187]
	s_delay_alu instid0(VALU_DEP_1) | instskip(NEXT) | instid1(VALU_DEP_1)
	v_fma_f64 v[188:189], -v[182:183], v[186:187], 1.0
	v_fma_f64 v[186:187], v[186:187], v[188:189], v[186:187]
	v_div_scale_f64 v[188:189], vcc_lo, 1.0, v[180:181], 1.0
	s_delay_alu instid0(VALU_DEP_1) | instskip(NEXT) | instid1(VALU_DEP_1)
	v_mul_f64 v[190:191], v[188:189], v[186:187]
	v_fma_f64 v[182:183], -v[182:183], v[190:191], v[188:189]
	s_delay_alu instid0(VALU_DEP_1) | instskip(NEXT) | instid1(VALU_DEP_1)
	v_div_fmas_f64 v[182:183], v[182:183], v[186:187], v[190:191]
	v_div_fixup_f64 v[188:189], v[182:183], v[180:181], 1.0
	s_delay_alu instid0(VALU_DEP_1)
	v_mul_f64 v[186:187], v[184:185], -v[188:189]
.LBB89_79:
	s_or_b32 exec_lo, exec_lo, s3
	ds_store_2addr_b64 v211, v[188:189], v[186:187] offset1:1
.LBB89_80:
	s_or_b32 exec_lo, exec_lo, s4
	s_waitcnt lgkmcnt(0)
	s_barrier
	buffer_gl0_inv
	ds_load_2addr_b64 v[180:183], v211 offset1:1
	s_mov_b32 s3, exec_lo
	s_waitcnt lgkmcnt(0)
	scratch_store_b128 off, v[180:183], off offset:376 ; 16-byte Folded Spill
	v_cmpx_lt_u32_e32 8, v210
	s_cbranch_execz .LBB89_82
; %bb.81:
	scratch_load_b128 v[182:185], off, off offset:376 ; 16-byte Folded Reload
	s_waitcnt vmcnt(0)
	v_mul_f64 v[180:181], v[184:185], v[146:147]
	v_mul_f64 v[146:147], v[182:183], v[146:147]
	s_delay_alu instid0(VALU_DEP_2) | instskip(NEXT) | instid1(VALU_DEP_2)
	v_fma_f64 v[180:181], v[182:183], v[144:145], -v[180:181]
	v_fma_f64 v[146:147], v[184:185], v[144:145], v[146:147]
	ds_load_2addr_b64 v[182:185], v212 offset0:18 offset1:19
	s_waitcnt lgkmcnt(0)
	v_mul_f64 v[144:145], v[184:185], v[146:147]
	s_delay_alu instid0(VALU_DEP_1) | instskip(SKIP_1) | instid1(VALU_DEP_2)
	v_fma_f64 v[144:145], v[182:183], v[180:181], -v[144:145]
	v_mul_f64 v[182:183], v[182:183], v[146:147]
	v_add_f64 v[140:141], v[140:141], -v[144:145]
	s_delay_alu instid0(VALU_DEP_2) | instskip(NEXT) | instid1(VALU_DEP_1)
	v_fma_f64 v[182:183], v[184:185], v[180:181], v[182:183]
	v_add_f64 v[142:143], v[142:143], -v[182:183]
	ds_load_2addr_b64 v[182:185], v212 offset0:20 offset1:21
	s_waitcnt lgkmcnt(0)
	v_mul_f64 v[144:145], v[184:185], v[146:147]
	s_delay_alu instid0(VALU_DEP_1) | instskip(SKIP_1) | instid1(VALU_DEP_2)
	v_fma_f64 v[144:145], v[182:183], v[180:181], -v[144:145]
	v_mul_f64 v[182:183], v[182:183], v[146:147]
	v_add_f64 v[136:137], v[136:137], -v[144:145]
	s_delay_alu instid0(VALU_DEP_2) | instskip(NEXT) | instid1(VALU_DEP_1)
	v_fma_f64 v[182:183], v[184:185], v[180:181], v[182:183]
	v_add_f64 v[138:139], v[138:139], -v[182:183]
	;; [unrolled: 10-line block ×35, first 2 shown]
	ds_load_2addr_b64 v[182:185], v212 offset0:88 offset1:89
	s_waitcnt lgkmcnt(0)
	v_mul_f64 v[144:145], v[184:185], v[146:147]
	s_delay_alu instid0(VALU_DEP_1) | instskip(SKIP_1) | instid1(VALU_DEP_2)
	v_fma_f64 v[144:145], v[182:183], v[180:181], -v[144:145]
	v_mul_f64 v[182:183], v[182:183], v[146:147]
	v_add_f64 v[0:1], v[0:1], -v[144:145]
	s_delay_alu instid0(VALU_DEP_2) | instskip(SKIP_1) | instid1(VALU_DEP_2)
	v_fma_f64 v[182:183], v[184:185], v[180:181], v[182:183]
	v_dual_mov_b32 v144, v180 :: v_dual_mov_b32 v145, v181
	v_add_f64 v[2:3], v[2:3], -v[182:183]
.LBB89_82:
	s_or_b32 exec_lo, exec_lo, s3
	s_delay_alu instid0(SALU_CYCLE_1)
	s_mov_b32 s4, exec_lo
	s_waitcnt_vscnt null, 0x0
	s_barrier
	buffer_gl0_inv
	v_cmpx_eq_u32_e32 9, v210
	s_cbranch_execz .LBB89_89
; %bb.83:
	ds_store_2addr_b64 v211, v[140:141], v[142:143] offset1:1
	ds_store_2addr_b64 v212, v[136:137], v[138:139] offset0:20 offset1:21
	ds_store_2addr_b64 v212, v[132:133], v[134:135] offset0:22 offset1:23
	;; [unrolled: 1-line block ×35, first 2 shown]
	ds_load_2addr_b64 v[180:183], v211 offset1:1
	s_waitcnt lgkmcnt(0)
	v_cmp_neq_f64_e32 vcc_lo, 0, v[180:181]
	v_cmp_neq_f64_e64 s3, 0, v[182:183]
	s_delay_alu instid0(VALU_DEP_1) | instskip(NEXT) | instid1(SALU_CYCLE_1)
	s_or_b32 s3, vcc_lo, s3
	s_and_b32 exec_lo, exec_lo, s3
	s_cbranch_execz .LBB89_89
; %bb.84:
	v_cmp_gt_f64_e32 vcc_lo, 0, v[180:181]
	v_xor_b32_e32 v184, 0x80000000, v181
	v_xor_b32_e32 v186, 0x80000000, v183
	s_mov_b32 s3, exec_lo
                                        ; implicit-def: $vgpr188_vgpr189
	s_delay_alu instid0(VALU_DEP_2) | instskip(SKIP_4) | instid1(VALU_DEP_1)
	v_cndmask_b32_e32 v185, v181, v184, vcc_lo
	v_cndmask_b32_e32 v184, v180, v180, vcc_lo
	v_cmp_gt_f64_e32 vcc_lo, 0, v[182:183]
	v_cndmask_b32_e32 v187, v183, v186, vcc_lo
	v_cndmask_b32_e32 v186, v182, v182, vcc_lo
	v_cmpx_ngt_f64_e32 v[184:185], v[186:187]
	s_xor_b32 s3, exec_lo, s3
                                        ; implicit-def: $vgpr184_vgpr185_vgpr186_vgpr187
	s_cbranch_execz .LBB89_86
; %bb.85:
	v_div_scale_f64 v[184:185], null, v[182:183], v[182:183], v[180:181]
	v_div_scale_f64 v[190:191], vcc_lo, v[180:181], v[182:183], v[180:181]
	s_delay_alu instid0(VALU_DEP_2) | instskip(SKIP_2) | instid1(VALU_DEP_1)
	v_rcp_f64_e32 v[186:187], v[184:185]
	s_waitcnt_depctr 0xfff
	v_fma_f64 v[188:189], -v[184:185], v[186:187], 1.0
	v_fma_f64 v[186:187], v[186:187], v[188:189], v[186:187]
	s_delay_alu instid0(VALU_DEP_1) | instskip(NEXT) | instid1(VALU_DEP_1)
	v_fma_f64 v[188:189], -v[184:185], v[186:187], 1.0
	v_fma_f64 v[186:187], v[186:187], v[188:189], v[186:187]
	s_delay_alu instid0(VALU_DEP_1) | instskip(NEXT) | instid1(VALU_DEP_1)
	v_mul_f64 v[188:189], v[190:191], v[186:187]
	v_fma_f64 v[184:185], -v[184:185], v[188:189], v[190:191]
	s_delay_alu instid0(VALU_DEP_1) | instskip(NEXT) | instid1(VALU_DEP_1)
	v_div_fmas_f64 v[184:185], v[184:185], v[186:187], v[188:189]
	v_div_fixup_f64 v[184:185], v[184:185], v[182:183], v[180:181]
	s_delay_alu instid0(VALU_DEP_1) | instskip(NEXT) | instid1(VALU_DEP_1)
	v_fma_f64 v[180:181], v[180:181], v[184:185], v[182:183]
	v_div_scale_f64 v[182:183], null, v[180:181], v[180:181], 1.0
	s_delay_alu instid0(VALU_DEP_1) | instskip(SKIP_2) | instid1(VALU_DEP_1)
	v_rcp_f64_e32 v[186:187], v[182:183]
	s_waitcnt_depctr 0xfff
	v_fma_f64 v[188:189], -v[182:183], v[186:187], 1.0
	v_fma_f64 v[186:187], v[186:187], v[188:189], v[186:187]
	s_delay_alu instid0(VALU_DEP_1) | instskip(NEXT) | instid1(VALU_DEP_1)
	v_fma_f64 v[188:189], -v[182:183], v[186:187], 1.0
	v_fma_f64 v[186:187], v[186:187], v[188:189], v[186:187]
	v_div_scale_f64 v[188:189], vcc_lo, 1.0, v[180:181], 1.0
	s_delay_alu instid0(VALU_DEP_1) | instskip(NEXT) | instid1(VALU_DEP_1)
	v_mul_f64 v[190:191], v[188:189], v[186:187]
	v_fma_f64 v[182:183], -v[182:183], v[190:191], v[188:189]
	s_delay_alu instid0(VALU_DEP_1) | instskip(NEXT) | instid1(VALU_DEP_1)
	v_div_fmas_f64 v[182:183], v[182:183], v[186:187], v[190:191]
	v_div_fixup_f64 v[186:187], v[182:183], v[180:181], 1.0
                                        ; implicit-def: $vgpr180_vgpr181
	s_delay_alu instid0(VALU_DEP_1)
	v_mul_f64 v[188:189], v[184:185], v[186:187]
	v_xor_b32_e32 v187, 0x80000000, v187
.LBB89_86:
	s_and_not1_saveexec_b32 s3, s3
	s_cbranch_execz .LBB89_88
; %bb.87:
	v_div_scale_f64 v[184:185], null, v[180:181], v[180:181], v[182:183]
	v_div_scale_f64 v[190:191], vcc_lo, v[182:183], v[180:181], v[182:183]
	s_delay_alu instid0(VALU_DEP_2) | instskip(SKIP_2) | instid1(VALU_DEP_1)
	v_rcp_f64_e32 v[186:187], v[184:185]
	s_waitcnt_depctr 0xfff
	v_fma_f64 v[188:189], -v[184:185], v[186:187], 1.0
	v_fma_f64 v[186:187], v[186:187], v[188:189], v[186:187]
	s_delay_alu instid0(VALU_DEP_1) | instskip(NEXT) | instid1(VALU_DEP_1)
	v_fma_f64 v[188:189], -v[184:185], v[186:187], 1.0
	v_fma_f64 v[186:187], v[186:187], v[188:189], v[186:187]
	s_delay_alu instid0(VALU_DEP_1) | instskip(NEXT) | instid1(VALU_DEP_1)
	v_mul_f64 v[188:189], v[190:191], v[186:187]
	v_fma_f64 v[184:185], -v[184:185], v[188:189], v[190:191]
	s_delay_alu instid0(VALU_DEP_1) | instskip(NEXT) | instid1(VALU_DEP_1)
	v_div_fmas_f64 v[184:185], v[184:185], v[186:187], v[188:189]
	v_div_fixup_f64 v[184:185], v[184:185], v[180:181], v[182:183]
	s_delay_alu instid0(VALU_DEP_1) | instskip(NEXT) | instid1(VALU_DEP_1)
	v_fma_f64 v[180:181], v[182:183], v[184:185], v[180:181]
	v_div_scale_f64 v[182:183], null, v[180:181], v[180:181], 1.0
	s_delay_alu instid0(VALU_DEP_1) | instskip(SKIP_2) | instid1(VALU_DEP_1)
	v_rcp_f64_e32 v[186:187], v[182:183]
	s_waitcnt_depctr 0xfff
	v_fma_f64 v[188:189], -v[182:183], v[186:187], 1.0
	v_fma_f64 v[186:187], v[186:187], v[188:189], v[186:187]
	s_delay_alu instid0(VALU_DEP_1) | instskip(NEXT) | instid1(VALU_DEP_1)
	v_fma_f64 v[188:189], -v[182:183], v[186:187], 1.0
	v_fma_f64 v[186:187], v[186:187], v[188:189], v[186:187]
	v_div_scale_f64 v[188:189], vcc_lo, 1.0, v[180:181], 1.0
	s_delay_alu instid0(VALU_DEP_1) | instskip(NEXT) | instid1(VALU_DEP_1)
	v_mul_f64 v[190:191], v[188:189], v[186:187]
	v_fma_f64 v[182:183], -v[182:183], v[190:191], v[188:189]
	s_delay_alu instid0(VALU_DEP_1) | instskip(NEXT) | instid1(VALU_DEP_1)
	v_div_fmas_f64 v[182:183], v[182:183], v[186:187], v[190:191]
	v_div_fixup_f64 v[188:189], v[182:183], v[180:181], 1.0
	s_delay_alu instid0(VALU_DEP_1)
	v_mul_f64 v[186:187], v[184:185], -v[188:189]
.LBB89_88:
	s_or_b32 exec_lo, exec_lo, s3
	ds_store_2addr_b64 v211, v[188:189], v[186:187] offset1:1
.LBB89_89:
	s_or_b32 exec_lo, exec_lo, s4
	s_waitcnt lgkmcnt(0)
	s_barrier
	buffer_gl0_inv
	ds_load_2addr_b64 v[180:183], v211 offset1:1
	s_mov_b32 s3, exec_lo
	s_waitcnt lgkmcnt(0)
	scratch_store_b128 off, v[180:183], off offset:392 ; 16-byte Folded Spill
	v_cmpx_lt_u32_e32 9, v210
	s_cbranch_execz .LBB89_91
; %bb.90:
	scratch_load_b128 v[182:185], off, off offset:392 ; 16-byte Folded Reload
	s_waitcnt vmcnt(0)
	v_mul_f64 v[180:181], v[184:185], v[142:143]
	v_mul_f64 v[142:143], v[182:183], v[142:143]
	s_delay_alu instid0(VALU_DEP_2) | instskip(NEXT) | instid1(VALU_DEP_2)
	v_fma_f64 v[180:181], v[182:183], v[140:141], -v[180:181]
	v_fma_f64 v[142:143], v[184:185], v[140:141], v[142:143]
	ds_load_2addr_b64 v[182:185], v212 offset0:20 offset1:21
	s_waitcnt lgkmcnt(0)
	v_mul_f64 v[140:141], v[184:185], v[142:143]
	s_delay_alu instid0(VALU_DEP_1) | instskip(SKIP_1) | instid1(VALU_DEP_2)
	v_fma_f64 v[140:141], v[182:183], v[180:181], -v[140:141]
	v_mul_f64 v[182:183], v[182:183], v[142:143]
	v_add_f64 v[136:137], v[136:137], -v[140:141]
	s_delay_alu instid0(VALU_DEP_2) | instskip(NEXT) | instid1(VALU_DEP_1)
	v_fma_f64 v[182:183], v[184:185], v[180:181], v[182:183]
	v_add_f64 v[138:139], v[138:139], -v[182:183]
	ds_load_2addr_b64 v[182:185], v212 offset0:22 offset1:23
	s_waitcnt lgkmcnt(0)
	v_mul_f64 v[140:141], v[184:185], v[142:143]
	s_delay_alu instid0(VALU_DEP_1) | instskip(SKIP_1) | instid1(VALU_DEP_2)
	v_fma_f64 v[140:141], v[182:183], v[180:181], -v[140:141]
	v_mul_f64 v[182:183], v[182:183], v[142:143]
	v_add_f64 v[132:133], v[132:133], -v[140:141]
	s_delay_alu instid0(VALU_DEP_2) | instskip(NEXT) | instid1(VALU_DEP_1)
	v_fma_f64 v[182:183], v[184:185], v[180:181], v[182:183]
	v_add_f64 v[134:135], v[134:135], -v[182:183]
	;; [unrolled: 10-line block ×34, first 2 shown]
	ds_load_2addr_b64 v[182:185], v212 offset0:88 offset1:89
	s_waitcnt lgkmcnt(0)
	v_mul_f64 v[140:141], v[184:185], v[142:143]
	s_delay_alu instid0(VALU_DEP_1) | instskip(SKIP_1) | instid1(VALU_DEP_2)
	v_fma_f64 v[140:141], v[182:183], v[180:181], -v[140:141]
	v_mul_f64 v[182:183], v[182:183], v[142:143]
	v_add_f64 v[0:1], v[0:1], -v[140:141]
	s_delay_alu instid0(VALU_DEP_2) | instskip(SKIP_1) | instid1(VALU_DEP_2)
	v_fma_f64 v[182:183], v[184:185], v[180:181], v[182:183]
	v_dual_mov_b32 v140, v180 :: v_dual_mov_b32 v141, v181
	v_add_f64 v[2:3], v[2:3], -v[182:183]
.LBB89_91:
	s_or_b32 exec_lo, exec_lo, s3
	s_delay_alu instid0(SALU_CYCLE_1)
	s_mov_b32 s4, exec_lo
	s_waitcnt_vscnt null, 0x0
	s_barrier
	buffer_gl0_inv
	v_cmpx_eq_u32_e32 10, v210
	s_cbranch_execz .LBB89_98
; %bb.92:
	ds_store_2addr_b64 v211, v[136:137], v[138:139] offset1:1
	ds_store_2addr_b64 v212, v[132:133], v[134:135] offset0:22 offset1:23
	ds_store_2addr_b64 v212, v[128:129], v[130:131] offset0:24 offset1:25
	;; [unrolled: 1-line block ×34, first 2 shown]
	ds_load_2addr_b64 v[180:183], v211 offset1:1
	s_waitcnt lgkmcnt(0)
	v_cmp_neq_f64_e32 vcc_lo, 0, v[180:181]
	v_cmp_neq_f64_e64 s3, 0, v[182:183]
	s_delay_alu instid0(VALU_DEP_1) | instskip(NEXT) | instid1(SALU_CYCLE_1)
	s_or_b32 s3, vcc_lo, s3
	s_and_b32 exec_lo, exec_lo, s3
	s_cbranch_execz .LBB89_98
; %bb.93:
	v_cmp_gt_f64_e32 vcc_lo, 0, v[180:181]
	v_xor_b32_e32 v184, 0x80000000, v181
	v_xor_b32_e32 v186, 0x80000000, v183
	s_mov_b32 s3, exec_lo
                                        ; implicit-def: $vgpr188_vgpr189
	s_delay_alu instid0(VALU_DEP_2) | instskip(SKIP_4) | instid1(VALU_DEP_1)
	v_cndmask_b32_e32 v185, v181, v184, vcc_lo
	v_cndmask_b32_e32 v184, v180, v180, vcc_lo
	v_cmp_gt_f64_e32 vcc_lo, 0, v[182:183]
	v_cndmask_b32_e32 v187, v183, v186, vcc_lo
	v_cndmask_b32_e32 v186, v182, v182, vcc_lo
	v_cmpx_ngt_f64_e32 v[184:185], v[186:187]
	s_xor_b32 s3, exec_lo, s3
                                        ; implicit-def: $vgpr184_vgpr185_vgpr186_vgpr187
	s_cbranch_execz .LBB89_95
; %bb.94:
	v_div_scale_f64 v[184:185], null, v[182:183], v[182:183], v[180:181]
	v_div_scale_f64 v[190:191], vcc_lo, v[180:181], v[182:183], v[180:181]
	s_delay_alu instid0(VALU_DEP_2) | instskip(SKIP_2) | instid1(VALU_DEP_1)
	v_rcp_f64_e32 v[186:187], v[184:185]
	s_waitcnt_depctr 0xfff
	v_fma_f64 v[188:189], -v[184:185], v[186:187], 1.0
	v_fma_f64 v[186:187], v[186:187], v[188:189], v[186:187]
	s_delay_alu instid0(VALU_DEP_1) | instskip(NEXT) | instid1(VALU_DEP_1)
	v_fma_f64 v[188:189], -v[184:185], v[186:187], 1.0
	v_fma_f64 v[186:187], v[186:187], v[188:189], v[186:187]
	s_delay_alu instid0(VALU_DEP_1) | instskip(NEXT) | instid1(VALU_DEP_1)
	v_mul_f64 v[188:189], v[190:191], v[186:187]
	v_fma_f64 v[184:185], -v[184:185], v[188:189], v[190:191]
	s_delay_alu instid0(VALU_DEP_1) | instskip(NEXT) | instid1(VALU_DEP_1)
	v_div_fmas_f64 v[184:185], v[184:185], v[186:187], v[188:189]
	v_div_fixup_f64 v[184:185], v[184:185], v[182:183], v[180:181]
	s_delay_alu instid0(VALU_DEP_1) | instskip(NEXT) | instid1(VALU_DEP_1)
	v_fma_f64 v[180:181], v[180:181], v[184:185], v[182:183]
	v_div_scale_f64 v[182:183], null, v[180:181], v[180:181], 1.0
	s_delay_alu instid0(VALU_DEP_1) | instskip(SKIP_2) | instid1(VALU_DEP_1)
	v_rcp_f64_e32 v[186:187], v[182:183]
	s_waitcnt_depctr 0xfff
	v_fma_f64 v[188:189], -v[182:183], v[186:187], 1.0
	v_fma_f64 v[186:187], v[186:187], v[188:189], v[186:187]
	s_delay_alu instid0(VALU_DEP_1) | instskip(NEXT) | instid1(VALU_DEP_1)
	v_fma_f64 v[188:189], -v[182:183], v[186:187], 1.0
	v_fma_f64 v[186:187], v[186:187], v[188:189], v[186:187]
	v_div_scale_f64 v[188:189], vcc_lo, 1.0, v[180:181], 1.0
	s_delay_alu instid0(VALU_DEP_1) | instskip(NEXT) | instid1(VALU_DEP_1)
	v_mul_f64 v[190:191], v[188:189], v[186:187]
	v_fma_f64 v[182:183], -v[182:183], v[190:191], v[188:189]
	s_delay_alu instid0(VALU_DEP_1) | instskip(NEXT) | instid1(VALU_DEP_1)
	v_div_fmas_f64 v[182:183], v[182:183], v[186:187], v[190:191]
	v_div_fixup_f64 v[186:187], v[182:183], v[180:181], 1.0
                                        ; implicit-def: $vgpr180_vgpr181
	s_delay_alu instid0(VALU_DEP_1)
	v_mul_f64 v[188:189], v[184:185], v[186:187]
	v_xor_b32_e32 v187, 0x80000000, v187
.LBB89_95:
	s_and_not1_saveexec_b32 s3, s3
	s_cbranch_execz .LBB89_97
; %bb.96:
	v_div_scale_f64 v[184:185], null, v[180:181], v[180:181], v[182:183]
	v_div_scale_f64 v[190:191], vcc_lo, v[182:183], v[180:181], v[182:183]
	s_delay_alu instid0(VALU_DEP_2) | instskip(SKIP_2) | instid1(VALU_DEP_1)
	v_rcp_f64_e32 v[186:187], v[184:185]
	s_waitcnt_depctr 0xfff
	v_fma_f64 v[188:189], -v[184:185], v[186:187], 1.0
	v_fma_f64 v[186:187], v[186:187], v[188:189], v[186:187]
	s_delay_alu instid0(VALU_DEP_1) | instskip(NEXT) | instid1(VALU_DEP_1)
	v_fma_f64 v[188:189], -v[184:185], v[186:187], 1.0
	v_fma_f64 v[186:187], v[186:187], v[188:189], v[186:187]
	s_delay_alu instid0(VALU_DEP_1) | instskip(NEXT) | instid1(VALU_DEP_1)
	v_mul_f64 v[188:189], v[190:191], v[186:187]
	v_fma_f64 v[184:185], -v[184:185], v[188:189], v[190:191]
	s_delay_alu instid0(VALU_DEP_1) | instskip(NEXT) | instid1(VALU_DEP_1)
	v_div_fmas_f64 v[184:185], v[184:185], v[186:187], v[188:189]
	v_div_fixup_f64 v[184:185], v[184:185], v[180:181], v[182:183]
	s_delay_alu instid0(VALU_DEP_1) | instskip(NEXT) | instid1(VALU_DEP_1)
	v_fma_f64 v[180:181], v[182:183], v[184:185], v[180:181]
	v_div_scale_f64 v[182:183], null, v[180:181], v[180:181], 1.0
	s_delay_alu instid0(VALU_DEP_1) | instskip(SKIP_2) | instid1(VALU_DEP_1)
	v_rcp_f64_e32 v[186:187], v[182:183]
	s_waitcnt_depctr 0xfff
	v_fma_f64 v[188:189], -v[182:183], v[186:187], 1.0
	v_fma_f64 v[186:187], v[186:187], v[188:189], v[186:187]
	s_delay_alu instid0(VALU_DEP_1) | instskip(NEXT) | instid1(VALU_DEP_1)
	v_fma_f64 v[188:189], -v[182:183], v[186:187], 1.0
	v_fma_f64 v[186:187], v[186:187], v[188:189], v[186:187]
	v_div_scale_f64 v[188:189], vcc_lo, 1.0, v[180:181], 1.0
	s_delay_alu instid0(VALU_DEP_1) | instskip(NEXT) | instid1(VALU_DEP_1)
	v_mul_f64 v[190:191], v[188:189], v[186:187]
	v_fma_f64 v[182:183], -v[182:183], v[190:191], v[188:189]
	s_delay_alu instid0(VALU_DEP_1) | instskip(NEXT) | instid1(VALU_DEP_1)
	v_div_fmas_f64 v[182:183], v[182:183], v[186:187], v[190:191]
	v_div_fixup_f64 v[188:189], v[182:183], v[180:181], 1.0
	s_delay_alu instid0(VALU_DEP_1)
	v_mul_f64 v[186:187], v[184:185], -v[188:189]
.LBB89_97:
	s_or_b32 exec_lo, exec_lo, s3
	ds_store_2addr_b64 v211, v[188:189], v[186:187] offset1:1
.LBB89_98:
	s_or_b32 exec_lo, exec_lo, s4
	s_waitcnt lgkmcnt(0)
	s_barrier
	buffer_gl0_inv
	ds_load_2addr_b64 v[180:183], v211 offset1:1
	s_mov_b32 s3, exec_lo
	s_waitcnt lgkmcnt(0)
	scratch_store_b128 off, v[180:183], off offset:408 ; 16-byte Folded Spill
	v_cmpx_lt_u32_e32 10, v210
	s_cbranch_execz .LBB89_100
; %bb.99:
	scratch_load_b128 v[182:185], off, off offset:408 ; 16-byte Folded Reload
	s_waitcnt vmcnt(0)
	v_mul_f64 v[180:181], v[184:185], v[138:139]
	v_mul_f64 v[138:139], v[182:183], v[138:139]
	s_delay_alu instid0(VALU_DEP_2) | instskip(NEXT) | instid1(VALU_DEP_2)
	v_fma_f64 v[180:181], v[182:183], v[136:137], -v[180:181]
	v_fma_f64 v[138:139], v[184:185], v[136:137], v[138:139]
	ds_load_2addr_b64 v[182:185], v212 offset0:22 offset1:23
	s_waitcnt lgkmcnt(0)
	v_mul_f64 v[136:137], v[184:185], v[138:139]
	s_delay_alu instid0(VALU_DEP_1) | instskip(SKIP_1) | instid1(VALU_DEP_2)
	v_fma_f64 v[136:137], v[182:183], v[180:181], -v[136:137]
	v_mul_f64 v[182:183], v[182:183], v[138:139]
	v_add_f64 v[132:133], v[132:133], -v[136:137]
	s_delay_alu instid0(VALU_DEP_2) | instskip(NEXT) | instid1(VALU_DEP_1)
	v_fma_f64 v[182:183], v[184:185], v[180:181], v[182:183]
	v_add_f64 v[134:135], v[134:135], -v[182:183]
	ds_load_2addr_b64 v[182:185], v212 offset0:24 offset1:25
	s_waitcnt lgkmcnt(0)
	v_mul_f64 v[136:137], v[184:185], v[138:139]
	s_delay_alu instid0(VALU_DEP_1) | instskip(SKIP_1) | instid1(VALU_DEP_2)
	v_fma_f64 v[136:137], v[182:183], v[180:181], -v[136:137]
	v_mul_f64 v[182:183], v[182:183], v[138:139]
	v_add_f64 v[128:129], v[128:129], -v[136:137]
	s_delay_alu instid0(VALU_DEP_2) | instskip(NEXT) | instid1(VALU_DEP_1)
	v_fma_f64 v[182:183], v[184:185], v[180:181], v[182:183]
	v_add_f64 v[130:131], v[130:131], -v[182:183]
	;; [unrolled: 10-line block ×33, first 2 shown]
	ds_load_2addr_b64 v[182:185], v212 offset0:88 offset1:89
	s_waitcnt lgkmcnt(0)
	v_mul_f64 v[136:137], v[184:185], v[138:139]
	s_delay_alu instid0(VALU_DEP_1) | instskip(SKIP_1) | instid1(VALU_DEP_2)
	v_fma_f64 v[136:137], v[182:183], v[180:181], -v[136:137]
	v_mul_f64 v[182:183], v[182:183], v[138:139]
	v_add_f64 v[0:1], v[0:1], -v[136:137]
	s_delay_alu instid0(VALU_DEP_2) | instskip(SKIP_1) | instid1(VALU_DEP_2)
	v_fma_f64 v[182:183], v[184:185], v[180:181], v[182:183]
	v_dual_mov_b32 v136, v180 :: v_dual_mov_b32 v137, v181
	v_add_f64 v[2:3], v[2:3], -v[182:183]
.LBB89_100:
	s_or_b32 exec_lo, exec_lo, s3
	s_delay_alu instid0(SALU_CYCLE_1)
	s_mov_b32 s4, exec_lo
	s_waitcnt_vscnt null, 0x0
	s_barrier
	buffer_gl0_inv
	v_cmpx_eq_u32_e32 11, v210
	s_cbranch_execz .LBB89_107
; %bb.101:
	ds_store_2addr_b64 v211, v[132:133], v[134:135] offset1:1
	ds_store_2addr_b64 v212, v[128:129], v[130:131] offset0:24 offset1:25
	ds_store_2addr_b64 v212, v[124:125], v[126:127] offset0:26 offset1:27
	ds_store_2addr_b64 v212, v[120:121], v[122:123] offset0:28 offset1:29
	ds_store_2addr_b64 v212, v[116:117], v[118:119] offset0:30 offset1:31
	ds_store_2addr_b64 v212, v[112:113], v[114:115] offset0:32 offset1:33
	ds_store_2addr_b64 v212, v[108:109], v[110:111] offset0:34 offset1:35
	ds_store_2addr_b64 v212, v[104:105], v[106:107] offset0:36 offset1:37
	ds_store_2addr_b64 v212, v[100:101], v[102:103] offset0:38 offset1:39
	ds_store_2addr_b64 v212, v[96:97], v[98:99] offset0:40 offset1:41
	ds_store_2addr_b64 v212, v[92:93], v[94:95] offset0:42 offset1:43
	ds_store_2addr_b64 v212, v[88:89], v[90:91] offset0:44 offset1:45
	ds_store_2addr_b64 v212, v[84:85], v[86:87] offset0:46 offset1:47
	ds_store_2addr_b64 v212, v[80:81], v[82:83] offset0:48 offset1:49
	ds_store_2addr_b64 v212, v[76:77], v[78:79] offset0:50 offset1:51
	ds_store_2addr_b64 v212, v[72:73], v[74:75] offset0:52 offset1:53
	ds_store_2addr_b64 v212, v[68:69], v[70:71] offset0:54 offset1:55
	ds_store_2addr_b64 v212, v[64:65], v[66:67] offset0:56 offset1:57
	ds_store_2addr_b64 v212, v[60:61], v[62:63] offset0:58 offset1:59
	ds_store_2addr_b64 v212, v[56:57], v[58:59] offset0:60 offset1:61
	ds_store_2addr_b64 v212, v[52:53], v[54:55] offset0:62 offset1:63
	ds_store_2addr_b64 v212, v[48:49], v[50:51] offset0:64 offset1:65
	ds_store_2addr_b64 v212, v[44:45], v[46:47] offset0:66 offset1:67
	ds_store_2addr_b64 v212, v[40:41], v[42:43] offset0:68 offset1:69
	ds_store_2addr_b64 v212, v[36:37], v[38:39] offset0:70 offset1:71
	ds_store_2addr_b64 v212, v[32:33], v[34:35] offset0:72 offset1:73
	ds_store_2addr_b64 v212, v[28:29], v[30:31] offset0:74 offset1:75
	ds_store_2addr_b64 v212, v[24:25], v[26:27] offset0:76 offset1:77
	ds_store_2addr_b64 v212, v[20:21], v[22:23] offset0:78 offset1:79
	ds_store_2addr_b64 v212, v[16:17], v[18:19] offset0:80 offset1:81
	ds_store_2addr_b64 v212, v[12:13], v[14:15] offset0:82 offset1:83
	ds_store_2addr_b64 v212, v[8:9], v[10:11] offset0:84 offset1:85
	ds_store_2addr_b64 v212, v[4:5], v[6:7] offset0:86 offset1:87
	ds_store_2addr_b64 v212, v[0:1], v[2:3] offset0:88 offset1:89
	ds_load_2addr_b64 v[180:183], v211 offset1:1
	s_waitcnt lgkmcnt(0)
	v_cmp_neq_f64_e32 vcc_lo, 0, v[180:181]
	v_cmp_neq_f64_e64 s3, 0, v[182:183]
	s_delay_alu instid0(VALU_DEP_1) | instskip(NEXT) | instid1(SALU_CYCLE_1)
	s_or_b32 s3, vcc_lo, s3
	s_and_b32 exec_lo, exec_lo, s3
	s_cbranch_execz .LBB89_107
; %bb.102:
	v_cmp_gt_f64_e32 vcc_lo, 0, v[180:181]
	v_xor_b32_e32 v184, 0x80000000, v181
	v_xor_b32_e32 v186, 0x80000000, v183
	s_mov_b32 s3, exec_lo
                                        ; implicit-def: $vgpr188_vgpr189
	s_delay_alu instid0(VALU_DEP_2) | instskip(SKIP_4) | instid1(VALU_DEP_1)
	v_cndmask_b32_e32 v185, v181, v184, vcc_lo
	v_cndmask_b32_e32 v184, v180, v180, vcc_lo
	v_cmp_gt_f64_e32 vcc_lo, 0, v[182:183]
	v_cndmask_b32_e32 v187, v183, v186, vcc_lo
	v_cndmask_b32_e32 v186, v182, v182, vcc_lo
	v_cmpx_ngt_f64_e32 v[184:185], v[186:187]
	s_xor_b32 s3, exec_lo, s3
                                        ; implicit-def: $vgpr184_vgpr185_vgpr186_vgpr187
	s_cbranch_execz .LBB89_104
; %bb.103:
	v_div_scale_f64 v[184:185], null, v[182:183], v[182:183], v[180:181]
	v_div_scale_f64 v[190:191], vcc_lo, v[180:181], v[182:183], v[180:181]
	s_delay_alu instid0(VALU_DEP_2) | instskip(SKIP_2) | instid1(VALU_DEP_1)
	v_rcp_f64_e32 v[186:187], v[184:185]
	s_waitcnt_depctr 0xfff
	v_fma_f64 v[188:189], -v[184:185], v[186:187], 1.0
	v_fma_f64 v[186:187], v[186:187], v[188:189], v[186:187]
	s_delay_alu instid0(VALU_DEP_1) | instskip(NEXT) | instid1(VALU_DEP_1)
	v_fma_f64 v[188:189], -v[184:185], v[186:187], 1.0
	v_fma_f64 v[186:187], v[186:187], v[188:189], v[186:187]
	s_delay_alu instid0(VALU_DEP_1) | instskip(NEXT) | instid1(VALU_DEP_1)
	v_mul_f64 v[188:189], v[190:191], v[186:187]
	v_fma_f64 v[184:185], -v[184:185], v[188:189], v[190:191]
	s_delay_alu instid0(VALU_DEP_1) | instskip(NEXT) | instid1(VALU_DEP_1)
	v_div_fmas_f64 v[184:185], v[184:185], v[186:187], v[188:189]
	v_div_fixup_f64 v[184:185], v[184:185], v[182:183], v[180:181]
	s_delay_alu instid0(VALU_DEP_1) | instskip(NEXT) | instid1(VALU_DEP_1)
	v_fma_f64 v[180:181], v[180:181], v[184:185], v[182:183]
	v_div_scale_f64 v[182:183], null, v[180:181], v[180:181], 1.0
	s_delay_alu instid0(VALU_DEP_1) | instskip(SKIP_2) | instid1(VALU_DEP_1)
	v_rcp_f64_e32 v[186:187], v[182:183]
	s_waitcnt_depctr 0xfff
	v_fma_f64 v[188:189], -v[182:183], v[186:187], 1.0
	v_fma_f64 v[186:187], v[186:187], v[188:189], v[186:187]
	s_delay_alu instid0(VALU_DEP_1) | instskip(NEXT) | instid1(VALU_DEP_1)
	v_fma_f64 v[188:189], -v[182:183], v[186:187], 1.0
	v_fma_f64 v[186:187], v[186:187], v[188:189], v[186:187]
	v_div_scale_f64 v[188:189], vcc_lo, 1.0, v[180:181], 1.0
	s_delay_alu instid0(VALU_DEP_1) | instskip(NEXT) | instid1(VALU_DEP_1)
	v_mul_f64 v[190:191], v[188:189], v[186:187]
	v_fma_f64 v[182:183], -v[182:183], v[190:191], v[188:189]
	s_delay_alu instid0(VALU_DEP_1) | instskip(NEXT) | instid1(VALU_DEP_1)
	v_div_fmas_f64 v[182:183], v[182:183], v[186:187], v[190:191]
	v_div_fixup_f64 v[186:187], v[182:183], v[180:181], 1.0
                                        ; implicit-def: $vgpr180_vgpr181
	s_delay_alu instid0(VALU_DEP_1)
	v_mul_f64 v[188:189], v[184:185], v[186:187]
	v_xor_b32_e32 v187, 0x80000000, v187
.LBB89_104:
	s_and_not1_saveexec_b32 s3, s3
	s_cbranch_execz .LBB89_106
; %bb.105:
	v_div_scale_f64 v[184:185], null, v[180:181], v[180:181], v[182:183]
	v_div_scale_f64 v[190:191], vcc_lo, v[182:183], v[180:181], v[182:183]
	s_delay_alu instid0(VALU_DEP_2) | instskip(SKIP_2) | instid1(VALU_DEP_1)
	v_rcp_f64_e32 v[186:187], v[184:185]
	s_waitcnt_depctr 0xfff
	v_fma_f64 v[188:189], -v[184:185], v[186:187], 1.0
	v_fma_f64 v[186:187], v[186:187], v[188:189], v[186:187]
	s_delay_alu instid0(VALU_DEP_1) | instskip(NEXT) | instid1(VALU_DEP_1)
	v_fma_f64 v[188:189], -v[184:185], v[186:187], 1.0
	v_fma_f64 v[186:187], v[186:187], v[188:189], v[186:187]
	s_delay_alu instid0(VALU_DEP_1) | instskip(NEXT) | instid1(VALU_DEP_1)
	v_mul_f64 v[188:189], v[190:191], v[186:187]
	v_fma_f64 v[184:185], -v[184:185], v[188:189], v[190:191]
	s_delay_alu instid0(VALU_DEP_1) | instskip(NEXT) | instid1(VALU_DEP_1)
	v_div_fmas_f64 v[184:185], v[184:185], v[186:187], v[188:189]
	v_div_fixup_f64 v[184:185], v[184:185], v[180:181], v[182:183]
	s_delay_alu instid0(VALU_DEP_1) | instskip(NEXT) | instid1(VALU_DEP_1)
	v_fma_f64 v[180:181], v[182:183], v[184:185], v[180:181]
	v_div_scale_f64 v[182:183], null, v[180:181], v[180:181], 1.0
	s_delay_alu instid0(VALU_DEP_1) | instskip(SKIP_2) | instid1(VALU_DEP_1)
	v_rcp_f64_e32 v[186:187], v[182:183]
	s_waitcnt_depctr 0xfff
	v_fma_f64 v[188:189], -v[182:183], v[186:187], 1.0
	v_fma_f64 v[186:187], v[186:187], v[188:189], v[186:187]
	s_delay_alu instid0(VALU_DEP_1) | instskip(NEXT) | instid1(VALU_DEP_1)
	v_fma_f64 v[188:189], -v[182:183], v[186:187], 1.0
	v_fma_f64 v[186:187], v[186:187], v[188:189], v[186:187]
	v_div_scale_f64 v[188:189], vcc_lo, 1.0, v[180:181], 1.0
	s_delay_alu instid0(VALU_DEP_1) | instskip(NEXT) | instid1(VALU_DEP_1)
	v_mul_f64 v[190:191], v[188:189], v[186:187]
	v_fma_f64 v[182:183], -v[182:183], v[190:191], v[188:189]
	s_delay_alu instid0(VALU_DEP_1) | instskip(NEXT) | instid1(VALU_DEP_1)
	v_div_fmas_f64 v[182:183], v[182:183], v[186:187], v[190:191]
	v_div_fixup_f64 v[188:189], v[182:183], v[180:181], 1.0
	s_delay_alu instid0(VALU_DEP_1)
	v_mul_f64 v[186:187], v[184:185], -v[188:189]
.LBB89_106:
	s_or_b32 exec_lo, exec_lo, s3
	ds_store_2addr_b64 v211, v[188:189], v[186:187] offset1:1
.LBB89_107:
	s_or_b32 exec_lo, exec_lo, s4
	s_waitcnt lgkmcnt(0)
	s_barrier
	buffer_gl0_inv
	ds_load_2addr_b64 v[180:183], v211 offset1:1
	s_mov_b32 s3, exec_lo
	s_waitcnt lgkmcnt(0)
	scratch_store_b128 off, v[180:183], off offset:424 ; 16-byte Folded Spill
	v_cmpx_lt_u32_e32 11, v210
	s_cbranch_execz .LBB89_109
; %bb.108:
	scratch_load_b128 v[182:185], off, off offset:424 ; 16-byte Folded Reload
	s_waitcnt vmcnt(0)
	v_mul_f64 v[180:181], v[184:185], v[134:135]
	v_mul_f64 v[134:135], v[182:183], v[134:135]
	s_delay_alu instid0(VALU_DEP_2) | instskip(NEXT) | instid1(VALU_DEP_2)
	v_fma_f64 v[180:181], v[182:183], v[132:133], -v[180:181]
	v_fma_f64 v[134:135], v[184:185], v[132:133], v[134:135]
	ds_load_2addr_b64 v[182:185], v212 offset0:24 offset1:25
	s_waitcnt lgkmcnt(0)
	v_mul_f64 v[132:133], v[184:185], v[134:135]
	s_delay_alu instid0(VALU_DEP_1) | instskip(SKIP_1) | instid1(VALU_DEP_2)
	v_fma_f64 v[132:133], v[182:183], v[180:181], -v[132:133]
	v_mul_f64 v[182:183], v[182:183], v[134:135]
	v_add_f64 v[128:129], v[128:129], -v[132:133]
	s_delay_alu instid0(VALU_DEP_2) | instskip(NEXT) | instid1(VALU_DEP_1)
	v_fma_f64 v[182:183], v[184:185], v[180:181], v[182:183]
	v_add_f64 v[130:131], v[130:131], -v[182:183]
	ds_load_2addr_b64 v[182:185], v212 offset0:26 offset1:27
	s_waitcnt lgkmcnt(0)
	v_mul_f64 v[132:133], v[184:185], v[134:135]
	s_delay_alu instid0(VALU_DEP_1) | instskip(SKIP_1) | instid1(VALU_DEP_2)
	v_fma_f64 v[132:133], v[182:183], v[180:181], -v[132:133]
	v_mul_f64 v[182:183], v[182:183], v[134:135]
	v_add_f64 v[124:125], v[124:125], -v[132:133]
	s_delay_alu instid0(VALU_DEP_2) | instskip(NEXT) | instid1(VALU_DEP_1)
	v_fma_f64 v[182:183], v[184:185], v[180:181], v[182:183]
	v_add_f64 v[126:127], v[126:127], -v[182:183]
	;; [unrolled: 10-line block ×32, first 2 shown]
	ds_load_2addr_b64 v[182:185], v212 offset0:88 offset1:89
	s_waitcnt lgkmcnt(0)
	v_mul_f64 v[132:133], v[184:185], v[134:135]
	s_delay_alu instid0(VALU_DEP_1) | instskip(SKIP_1) | instid1(VALU_DEP_2)
	v_fma_f64 v[132:133], v[182:183], v[180:181], -v[132:133]
	v_mul_f64 v[182:183], v[182:183], v[134:135]
	v_add_f64 v[0:1], v[0:1], -v[132:133]
	s_delay_alu instid0(VALU_DEP_2) | instskip(SKIP_1) | instid1(VALU_DEP_2)
	v_fma_f64 v[182:183], v[184:185], v[180:181], v[182:183]
	v_dual_mov_b32 v132, v180 :: v_dual_mov_b32 v133, v181
	v_add_f64 v[2:3], v[2:3], -v[182:183]
.LBB89_109:
	s_or_b32 exec_lo, exec_lo, s3
	s_delay_alu instid0(SALU_CYCLE_1)
	s_mov_b32 s4, exec_lo
	s_waitcnt_vscnt null, 0x0
	s_barrier
	buffer_gl0_inv
	v_cmpx_eq_u32_e32 12, v210
	s_cbranch_execz .LBB89_116
; %bb.110:
	ds_store_2addr_b64 v211, v[128:129], v[130:131] offset1:1
	ds_store_2addr_b64 v212, v[124:125], v[126:127] offset0:26 offset1:27
	ds_store_2addr_b64 v212, v[120:121], v[122:123] offset0:28 offset1:29
	;; [unrolled: 1-line block ×32, first 2 shown]
	ds_load_2addr_b64 v[180:183], v211 offset1:1
	s_waitcnt lgkmcnt(0)
	v_cmp_neq_f64_e32 vcc_lo, 0, v[180:181]
	v_cmp_neq_f64_e64 s3, 0, v[182:183]
	s_delay_alu instid0(VALU_DEP_1) | instskip(NEXT) | instid1(SALU_CYCLE_1)
	s_or_b32 s3, vcc_lo, s3
	s_and_b32 exec_lo, exec_lo, s3
	s_cbranch_execz .LBB89_116
; %bb.111:
	v_cmp_gt_f64_e32 vcc_lo, 0, v[180:181]
	v_xor_b32_e32 v184, 0x80000000, v181
	v_xor_b32_e32 v186, 0x80000000, v183
	s_mov_b32 s3, exec_lo
                                        ; implicit-def: $vgpr188_vgpr189
	s_delay_alu instid0(VALU_DEP_2) | instskip(SKIP_4) | instid1(VALU_DEP_1)
	v_cndmask_b32_e32 v185, v181, v184, vcc_lo
	v_cndmask_b32_e32 v184, v180, v180, vcc_lo
	v_cmp_gt_f64_e32 vcc_lo, 0, v[182:183]
	v_cndmask_b32_e32 v187, v183, v186, vcc_lo
	v_cndmask_b32_e32 v186, v182, v182, vcc_lo
	v_cmpx_ngt_f64_e32 v[184:185], v[186:187]
	s_xor_b32 s3, exec_lo, s3
                                        ; implicit-def: $vgpr184_vgpr185_vgpr186_vgpr187
	s_cbranch_execz .LBB89_113
; %bb.112:
	v_div_scale_f64 v[184:185], null, v[182:183], v[182:183], v[180:181]
	v_div_scale_f64 v[190:191], vcc_lo, v[180:181], v[182:183], v[180:181]
	s_delay_alu instid0(VALU_DEP_2) | instskip(SKIP_2) | instid1(VALU_DEP_1)
	v_rcp_f64_e32 v[186:187], v[184:185]
	s_waitcnt_depctr 0xfff
	v_fma_f64 v[188:189], -v[184:185], v[186:187], 1.0
	v_fma_f64 v[186:187], v[186:187], v[188:189], v[186:187]
	s_delay_alu instid0(VALU_DEP_1) | instskip(NEXT) | instid1(VALU_DEP_1)
	v_fma_f64 v[188:189], -v[184:185], v[186:187], 1.0
	v_fma_f64 v[186:187], v[186:187], v[188:189], v[186:187]
	s_delay_alu instid0(VALU_DEP_1) | instskip(NEXT) | instid1(VALU_DEP_1)
	v_mul_f64 v[188:189], v[190:191], v[186:187]
	v_fma_f64 v[184:185], -v[184:185], v[188:189], v[190:191]
	s_delay_alu instid0(VALU_DEP_1) | instskip(NEXT) | instid1(VALU_DEP_1)
	v_div_fmas_f64 v[184:185], v[184:185], v[186:187], v[188:189]
	v_div_fixup_f64 v[184:185], v[184:185], v[182:183], v[180:181]
	s_delay_alu instid0(VALU_DEP_1) | instskip(NEXT) | instid1(VALU_DEP_1)
	v_fma_f64 v[180:181], v[180:181], v[184:185], v[182:183]
	v_div_scale_f64 v[182:183], null, v[180:181], v[180:181], 1.0
	s_delay_alu instid0(VALU_DEP_1) | instskip(SKIP_2) | instid1(VALU_DEP_1)
	v_rcp_f64_e32 v[186:187], v[182:183]
	s_waitcnt_depctr 0xfff
	v_fma_f64 v[188:189], -v[182:183], v[186:187], 1.0
	v_fma_f64 v[186:187], v[186:187], v[188:189], v[186:187]
	s_delay_alu instid0(VALU_DEP_1) | instskip(NEXT) | instid1(VALU_DEP_1)
	v_fma_f64 v[188:189], -v[182:183], v[186:187], 1.0
	v_fma_f64 v[186:187], v[186:187], v[188:189], v[186:187]
	v_div_scale_f64 v[188:189], vcc_lo, 1.0, v[180:181], 1.0
	s_delay_alu instid0(VALU_DEP_1) | instskip(NEXT) | instid1(VALU_DEP_1)
	v_mul_f64 v[190:191], v[188:189], v[186:187]
	v_fma_f64 v[182:183], -v[182:183], v[190:191], v[188:189]
	s_delay_alu instid0(VALU_DEP_1) | instskip(NEXT) | instid1(VALU_DEP_1)
	v_div_fmas_f64 v[182:183], v[182:183], v[186:187], v[190:191]
	v_div_fixup_f64 v[186:187], v[182:183], v[180:181], 1.0
                                        ; implicit-def: $vgpr180_vgpr181
	s_delay_alu instid0(VALU_DEP_1)
	v_mul_f64 v[188:189], v[184:185], v[186:187]
	v_xor_b32_e32 v187, 0x80000000, v187
.LBB89_113:
	s_and_not1_saveexec_b32 s3, s3
	s_cbranch_execz .LBB89_115
; %bb.114:
	v_div_scale_f64 v[184:185], null, v[180:181], v[180:181], v[182:183]
	v_div_scale_f64 v[190:191], vcc_lo, v[182:183], v[180:181], v[182:183]
	s_delay_alu instid0(VALU_DEP_2) | instskip(SKIP_2) | instid1(VALU_DEP_1)
	v_rcp_f64_e32 v[186:187], v[184:185]
	s_waitcnt_depctr 0xfff
	v_fma_f64 v[188:189], -v[184:185], v[186:187], 1.0
	v_fma_f64 v[186:187], v[186:187], v[188:189], v[186:187]
	s_delay_alu instid0(VALU_DEP_1) | instskip(NEXT) | instid1(VALU_DEP_1)
	v_fma_f64 v[188:189], -v[184:185], v[186:187], 1.0
	v_fma_f64 v[186:187], v[186:187], v[188:189], v[186:187]
	s_delay_alu instid0(VALU_DEP_1) | instskip(NEXT) | instid1(VALU_DEP_1)
	v_mul_f64 v[188:189], v[190:191], v[186:187]
	v_fma_f64 v[184:185], -v[184:185], v[188:189], v[190:191]
	s_delay_alu instid0(VALU_DEP_1) | instskip(NEXT) | instid1(VALU_DEP_1)
	v_div_fmas_f64 v[184:185], v[184:185], v[186:187], v[188:189]
	v_div_fixup_f64 v[184:185], v[184:185], v[180:181], v[182:183]
	s_delay_alu instid0(VALU_DEP_1) | instskip(NEXT) | instid1(VALU_DEP_1)
	v_fma_f64 v[180:181], v[182:183], v[184:185], v[180:181]
	v_div_scale_f64 v[182:183], null, v[180:181], v[180:181], 1.0
	s_delay_alu instid0(VALU_DEP_1) | instskip(SKIP_2) | instid1(VALU_DEP_1)
	v_rcp_f64_e32 v[186:187], v[182:183]
	s_waitcnt_depctr 0xfff
	v_fma_f64 v[188:189], -v[182:183], v[186:187], 1.0
	v_fma_f64 v[186:187], v[186:187], v[188:189], v[186:187]
	s_delay_alu instid0(VALU_DEP_1) | instskip(NEXT) | instid1(VALU_DEP_1)
	v_fma_f64 v[188:189], -v[182:183], v[186:187], 1.0
	v_fma_f64 v[186:187], v[186:187], v[188:189], v[186:187]
	v_div_scale_f64 v[188:189], vcc_lo, 1.0, v[180:181], 1.0
	s_delay_alu instid0(VALU_DEP_1) | instskip(NEXT) | instid1(VALU_DEP_1)
	v_mul_f64 v[190:191], v[188:189], v[186:187]
	v_fma_f64 v[182:183], -v[182:183], v[190:191], v[188:189]
	s_delay_alu instid0(VALU_DEP_1) | instskip(NEXT) | instid1(VALU_DEP_1)
	v_div_fmas_f64 v[182:183], v[182:183], v[186:187], v[190:191]
	v_div_fixup_f64 v[188:189], v[182:183], v[180:181], 1.0
	s_delay_alu instid0(VALU_DEP_1)
	v_mul_f64 v[186:187], v[184:185], -v[188:189]
.LBB89_115:
	s_or_b32 exec_lo, exec_lo, s3
	ds_store_2addr_b64 v211, v[188:189], v[186:187] offset1:1
.LBB89_116:
	s_or_b32 exec_lo, exec_lo, s4
	s_waitcnt lgkmcnt(0)
	s_barrier
	buffer_gl0_inv
	ds_load_2addr_b64 v[180:183], v211 offset1:1
	s_mov_b32 s3, exec_lo
	s_waitcnt lgkmcnt(0)
	scratch_store_b128 off, v[180:183], off offset:440 ; 16-byte Folded Spill
	v_cmpx_lt_u32_e32 12, v210
	s_cbranch_execz .LBB89_118
; %bb.117:
	scratch_load_b128 v[182:185], off, off offset:440 ; 16-byte Folded Reload
	s_waitcnt vmcnt(0)
	v_mul_f64 v[180:181], v[184:185], v[130:131]
	v_mul_f64 v[130:131], v[182:183], v[130:131]
	s_delay_alu instid0(VALU_DEP_2) | instskip(NEXT) | instid1(VALU_DEP_2)
	v_fma_f64 v[180:181], v[182:183], v[128:129], -v[180:181]
	v_fma_f64 v[130:131], v[184:185], v[128:129], v[130:131]
	ds_load_2addr_b64 v[182:185], v212 offset0:26 offset1:27
	s_waitcnt lgkmcnt(0)
	v_mul_f64 v[128:129], v[184:185], v[130:131]
	s_delay_alu instid0(VALU_DEP_1) | instskip(SKIP_1) | instid1(VALU_DEP_2)
	v_fma_f64 v[128:129], v[182:183], v[180:181], -v[128:129]
	v_mul_f64 v[182:183], v[182:183], v[130:131]
	v_add_f64 v[124:125], v[124:125], -v[128:129]
	s_delay_alu instid0(VALU_DEP_2) | instskip(NEXT) | instid1(VALU_DEP_1)
	v_fma_f64 v[182:183], v[184:185], v[180:181], v[182:183]
	v_add_f64 v[126:127], v[126:127], -v[182:183]
	ds_load_2addr_b64 v[182:185], v212 offset0:28 offset1:29
	s_waitcnt lgkmcnt(0)
	v_mul_f64 v[128:129], v[184:185], v[130:131]
	s_delay_alu instid0(VALU_DEP_1) | instskip(SKIP_1) | instid1(VALU_DEP_2)
	v_fma_f64 v[128:129], v[182:183], v[180:181], -v[128:129]
	v_mul_f64 v[182:183], v[182:183], v[130:131]
	v_add_f64 v[120:121], v[120:121], -v[128:129]
	s_delay_alu instid0(VALU_DEP_2) | instskip(NEXT) | instid1(VALU_DEP_1)
	v_fma_f64 v[182:183], v[184:185], v[180:181], v[182:183]
	v_add_f64 v[122:123], v[122:123], -v[182:183]
	;; [unrolled: 10-line block ×31, first 2 shown]
	ds_load_2addr_b64 v[182:185], v212 offset0:88 offset1:89
	s_waitcnt lgkmcnt(0)
	v_mul_f64 v[128:129], v[184:185], v[130:131]
	s_delay_alu instid0(VALU_DEP_1) | instskip(SKIP_1) | instid1(VALU_DEP_2)
	v_fma_f64 v[128:129], v[182:183], v[180:181], -v[128:129]
	v_mul_f64 v[182:183], v[182:183], v[130:131]
	v_add_f64 v[0:1], v[0:1], -v[128:129]
	s_delay_alu instid0(VALU_DEP_2) | instskip(SKIP_1) | instid1(VALU_DEP_2)
	v_fma_f64 v[182:183], v[184:185], v[180:181], v[182:183]
	v_dual_mov_b32 v128, v180 :: v_dual_mov_b32 v129, v181
	v_add_f64 v[2:3], v[2:3], -v[182:183]
.LBB89_118:
	s_or_b32 exec_lo, exec_lo, s3
	s_delay_alu instid0(SALU_CYCLE_1)
	s_mov_b32 s4, exec_lo
	s_waitcnt_vscnt null, 0x0
	s_barrier
	buffer_gl0_inv
	v_cmpx_eq_u32_e32 13, v210
	s_cbranch_execz .LBB89_125
; %bb.119:
	ds_store_2addr_b64 v211, v[124:125], v[126:127] offset1:1
	ds_store_2addr_b64 v212, v[120:121], v[122:123] offset0:28 offset1:29
	ds_store_2addr_b64 v212, v[116:117], v[118:119] offset0:30 offset1:31
	;; [unrolled: 1-line block ×31, first 2 shown]
	ds_load_2addr_b64 v[180:183], v211 offset1:1
	s_waitcnt lgkmcnt(0)
	v_cmp_neq_f64_e32 vcc_lo, 0, v[180:181]
	v_cmp_neq_f64_e64 s3, 0, v[182:183]
	s_delay_alu instid0(VALU_DEP_1) | instskip(NEXT) | instid1(SALU_CYCLE_1)
	s_or_b32 s3, vcc_lo, s3
	s_and_b32 exec_lo, exec_lo, s3
	s_cbranch_execz .LBB89_125
; %bb.120:
	v_cmp_gt_f64_e32 vcc_lo, 0, v[180:181]
	v_xor_b32_e32 v184, 0x80000000, v181
	v_xor_b32_e32 v186, 0x80000000, v183
	s_mov_b32 s3, exec_lo
                                        ; implicit-def: $vgpr188_vgpr189
	s_delay_alu instid0(VALU_DEP_2) | instskip(SKIP_4) | instid1(VALU_DEP_1)
	v_cndmask_b32_e32 v185, v181, v184, vcc_lo
	v_cndmask_b32_e32 v184, v180, v180, vcc_lo
	v_cmp_gt_f64_e32 vcc_lo, 0, v[182:183]
	v_cndmask_b32_e32 v187, v183, v186, vcc_lo
	v_cndmask_b32_e32 v186, v182, v182, vcc_lo
	v_cmpx_ngt_f64_e32 v[184:185], v[186:187]
	s_xor_b32 s3, exec_lo, s3
                                        ; implicit-def: $vgpr184_vgpr185_vgpr186_vgpr187
	s_cbranch_execz .LBB89_122
; %bb.121:
	v_div_scale_f64 v[184:185], null, v[182:183], v[182:183], v[180:181]
	v_div_scale_f64 v[190:191], vcc_lo, v[180:181], v[182:183], v[180:181]
	s_delay_alu instid0(VALU_DEP_2) | instskip(SKIP_2) | instid1(VALU_DEP_1)
	v_rcp_f64_e32 v[186:187], v[184:185]
	s_waitcnt_depctr 0xfff
	v_fma_f64 v[188:189], -v[184:185], v[186:187], 1.0
	v_fma_f64 v[186:187], v[186:187], v[188:189], v[186:187]
	s_delay_alu instid0(VALU_DEP_1) | instskip(NEXT) | instid1(VALU_DEP_1)
	v_fma_f64 v[188:189], -v[184:185], v[186:187], 1.0
	v_fma_f64 v[186:187], v[186:187], v[188:189], v[186:187]
	s_delay_alu instid0(VALU_DEP_1) | instskip(NEXT) | instid1(VALU_DEP_1)
	v_mul_f64 v[188:189], v[190:191], v[186:187]
	v_fma_f64 v[184:185], -v[184:185], v[188:189], v[190:191]
	s_delay_alu instid0(VALU_DEP_1) | instskip(NEXT) | instid1(VALU_DEP_1)
	v_div_fmas_f64 v[184:185], v[184:185], v[186:187], v[188:189]
	v_div_fixup_f64 v[184:185], v[184:185], v[182:183], v[180:181]
	s_delay_alu instid0(VALU_DEP_1) | instskip(NEXT) | instid1(VALU_DEP_1)
	v_fma_f64 v[180:181], v[180:181], v[184:185], v[182:183]
	v_div_scale_f64 v[182:183], null, v[180:181], v[180:181], 1.0
	s_delay_alu instid0(VALU_DEP_1) | instskip(SKIP_2) | instid1(VALU_DEP_1)
	v_rcp_f64_e32 v[186:187], v[182:183]
	s_waitcnt_depctr 0xfff
	v_fma_f64 v[188:189], -v[182:183], v[186:187], 1.0
	v_fma_f64 v[186:187], v[186:187], v[188:189], v[186:187]
	s_delay_alu instid0(VALU_DEP_1) | instskip(NEXT) | instid1(VALU_DEP_1)
	v_fma_f64 v[188:189], -v[182:183], v[186:187], 1.0
	v_fma_f64 v[186:187], v[186:187], v[188:189], v[186:187]
	v_div_scale_f64 v[188:189], vcc_lo, 1.0, v[180:181], 1.0
	s_delay_alu instid0(VALU_DEP_1) | instskip(NEXT) | instid1(VALU_DEP_1)
	v_mul_f64 v[190:191], v[188:189], v[186:187]
	v_fma_f64 v[182:183], -v[182:183], v[190:191], v[188:189]
	s_delay_alu instid0(VALU_DEP_1) | instskip(NEXT) | instid1(VALU_DEP_1)
	v_div_fmas_f64 v[182:183], v[182:183], v[186:187], v[190:191]
	v_div_fixup_f64 v[186:187], v[182:183], v[180:181], 1.0
                                        ; implicit-def: $vgpr180_vgpr181
	s_delay_alu instid0(VALU_DEP_1)
	v_mul_f64 v[188:189], v[184:185], v[186:187]
	v_xor_b32_e32 v187, 0x80000000, v187
.LBB89_122:
	s_and_not1_saveexec_b32 s3, s3
	s_cbranch_execz .LBB89_124
; %bb.123:
	v_div_scale_f64 v[184:185], null, v[180:181], v[180:181], v[182:183]
	v_div_scale_f64 v[190:191], vcc_lo, v[182:183], v[180:181], v[182:183]
	s_delay_alu instid0(VALU_DEP_2) | instskip(SKIP_2) | instid1(VALU_DEP_1)
	v_rcp_f64_e32 v[186:187], v[184:185]
	s_waitcnt_depctr 0xfff
	v_fma_f64 v[188:189], -v[184:185], v[186:187], 1.0
	v_fma_f64 v[186:187], v[186:187], v[188:189], v[186:187]
	s_delay_alu instid0(VALU_DEP_1) | instskip(NEXT) | instid1(VALU_DEP_1)
	v_fma_f64 v[188:189], -v[184:185], v[186:187], 1.0
	v_fma_f64 v[186:187], v[186:187], v[188:189], v[186:187]
	s_delay_alu instid0(VALU_DEP_1) | instskip(NEXT) | instid1(VALU_DEP_1)
	v_mul_f64 v[188:189], v[190:191], v[186:187]
	v_fma_f64 v[184:185], -v[184:185], v[188:189], v[190:191]
	s_delay_alu instid0(VALU_DEP_1) | instskip(NEXT) | instid1(VALU_DEP_1)
	v_div_fmas_f64 v[184:185], v[184:185], v[186:187], v[188:189]
	v_div_fixup_f64 v[184:185], v[184:185], v[180:181], v[182:183]
	s_delay_alu instid0(VALU_DEP_1) | instskip(NEXT) | instid1(VALU_DEP_1)
	v_fma_f64 v[180:181], v[182:183], v[184:185], v[180:181]
	v_div_scale_f64 v[182:183], null, v[180:181], v[180:181], 1.0
	s_delay_alu instid0(VALU_DEP_1) | instskip(SKIP_2) | instid1(VALU_DEP_1)
	v_rcp_f64_e32 v[186:187], v[182:183]
	s_waitcnt_depctr 0xfff
	v_fma_f64 v[188:189], -v[182:183], v[186:187], 1.0
	v_fma_f64 v[186:187], v[186:187], v[188:189], v[186:187]
	s_delay_alu instid0(VALU_DEP_1) | instskip(NEXT) | instid1(VALU_DEP_1)
	v_fma_f64 v[188:189], -v[182:183], v[186:187], 1.0
	v_fma_f64 v[186:187], v[186:187], v[188:189], v[186:187]
	v_div_scale_f64 v[188:189], vcc_lo, 1.0, v[180:181], 1.0
	s_delay_alu instid0(VALU_DEP_1) | instskip(NEXT) | instid1(VALU_DEP_1)
	v_mul_f64 v[190:191], v[188:189], v[186:187]
	v_fma_f64 v[182:183], -v[182:183], v[190:191], v[188:189]
	s_delay_alu instid0(VALU_DEP_1) | instskip(NEXT) | instid1(VALU_DEP_1)
	v_div_fmas_f64 v[182:183], v[182:183], v[186:187], v[190:191]
	v_div_fixup_f64 v[188:189], v[182:183], v[180:181], 1.0
	s_delay_alu instid0(VALU_DEP_1)
	v_mul_f64 v[186:187], v[184:185], -v[188:189]
.LBB89_124:
	s_or_b32 exec_lo, exec_lo, s3
	ds_store_2addr_b64 v211, v[188:189], v[186:187] offset1:1
.LBB89_125:
	s_or_b32 exec_lo, exec_lo, s4
	s_waitcnt lgkmcnt(0)
	s_barrier
	buffer_gl0_inv
	ds_load_2addr_b64 v[180:183], v211 offset1:1
	s_mov_b32 s3, exec_lo
	s_waitcnt lgkmcnt(0)
	scratch_store_b128 off, v[180:183], off offset:456 ; 16-byte Folded Spill
	v_cmpx_lt_u32_e32 13, v210
	s_cbranch_execz .LBB89_127
; %bb.126:
	scratch_load_b128 v[182:185], off, off offset:456 ; 16-byte Folded Reload
	s_waitcnt vmcnt(0)
	v_mul_f64 v[180:181], v[184:185], v[126:127]
	v_mul_f64 v[126:127], v[182:183], v[126:127]
	s_delay_alu instid0(VALU_DEP_2) | instskip(NEXT) | instid1(VALU_DEP_2)
	v_fma_f64 v[180:181], v[182:183], v[124:125], -v[180:181]
	v_fma_f64 v[126:127], v[184:185], v[124:125], v[126:127]
	ds_load_2addr_b64 v[182:185], v212 offset0:28 offset1:29
	s_waitcnt lgkmcnt(0)
	v_mul_f64 v[124:125], v[184:185], v[126:127]
	s_delay_alu instid0(VALU_DEP_1) | instskip(SKIP_1) | instid1(VALU_DEP_2)
	v_fma_f64 v[124:125], v[182:183], v[180:181], -v[124:125]
	v_mul_f64 v[182:183], v[182:183], v[126:127]
	v_add_f64 v[120:121], v[120:121], -v[124:125]
	s_delay_alu instid0(VALU_DEP_2) | instskip(NEXT) | instid1(VALU_DEP_1)
	v_fma_f64 v[182:183], v[184:185], v[180:181], v[182:183]
	v_add_f64 v[122:123], v[122:123], -v[182:183]
	ds_load_2addr_b64 v[182:185], v212 offset0:30 offset1:31
	s_waitcnt lgkmcnt(0)
	v_mul_f64 v[124:125], v[184:185], v[126:127]
	s_delay_alu instid0(VALU_DEP_1) | instskip(SKIP_1) | instid1(VALU_DEP_2)
	v_fma_f64 v[124:125], v[182:183], v[180:181], -v[124:125]
	v_mul_f64 v[182:183], v[182:183], v[126:127]
	v_add_f64 v[116:117], v[116:117], -v[124:125]
	s_delay_alu instid0(VALU_DEP_2) | instskip(NEXT) | instid1(VALU_DEP_1)
	v_fma_f64 v[182:183], v[184:185], v[180:181], v[182:183]
	v_add_f64 v[118:119], v[118:119], -v[182:183]
	;; [unrolled: 10-line block ×30, first 2 shown]
	ds_load_2addr_b64 v[182:185], v212 offset0:88 offset1:89
	s_waitcnt lgkmcnt(0)
	v_mul_f64 v[124:125], v[184:185], v[126:127]
	s_delay_alu instid0(VALU_DEP_1) | instskip(SKIP_1) | instid1(VALU_DEP_2)
	v_fma_f64 v[124:125], v[182:183], v[180:181], -v[124:125]
	v_mul_f64 v[182:183], v[182:183], v[126:127]
	v_add_f64 v[0:1], v[0:1], -v[124:125]
	s_delay_alu instid0(VALU_DEP_2) | instskip(SKIP_1) | instid1(VALU_DEP_2)
	v_fma_f64 v[182:183], v[184:185], v[180:181], v[182:183]
	v_dual_mov_b32 v124, v180 :: v_dual_mov_b32 v125, v181
	v_add_f64 v[2:3], v[2:3], -v[182:183]
.LBB89_127:
	s_or_b32 exec_lo, exec_lo, s3
	s_delay_alu instid0(SALU_CYCLE_1)
	s_mov_b32 s4, exec_lo
	s_waitcnt_vscnt null, 0x0
	s_barrier
	buffer_gl0_inv
	v_cmpx_eq_u32_e32 14, v210
	s_cbranch_execz .LBB89_134
; %bb.128:
	ds_store_2addr_b64 v211, v[120:121], v[122:123] offset1:1
	ds_store_2addr_b64 v212, v[116:117], v[118:119] offset0:30 offset1:31
	ds_store_2addr_b64 v212, v[112:113], v[114:115] offset0:32 offset1:33
	ds_store_2addr_b64 v212, v[108:109], v[110:111] offset0:34 offset1:35
	ds_store_2addr_b64 v212, v[104:105], v[106:107] offset0:36 offset1:37
	ds_store_2addr_b64 v212, v[100:101], v[102:103] offset0:38 offset1:39
	ds_store_2addr_b64 v212, v[96:97], v[98:99] offset0:40 offset1:41
	ds_store_2addr_b64 v212, v[92:93], v[94:95] offset0:42 offset1:43
	ds_store_2addr_b64 v212, v[88:89], v[90:91] offset0:44 offset1:45
	ds_store_2addr_b64 v212, v[84:85], v[86:87] offset0:46 offset1:47
	ds_store_2addr_b64 v212, v[80:81], v[82:83] offset0:48 offset1:49
	ds_store_2addr_b64 v212, v[76:77], v[78:79] offset0:50 offset1:51
	ds_store_2addr_b64 v212, v[72:73], v[74:75] offset0:52 offset1:53
	ds_store_2addr_b64 v212, v[68:69], v[70:71] offset0:54 offset1:55
	ds_store_2addr_b64 v212, v[64:65], v[66:67] offset0:56 offset1:57
	ds_store_2addr_b64 v212, v[60:61], v[62:63] offset0:58 offset1:59
	ds_store_2addr_b64 v212, v[56:57], v[58:59] offset0:60 offset1:61
	ds_store_2addr_b64 v212, v[52:53], v[54:55] offset0:62 offset1:63
	ds_store_2addr_b64 v212, v[48:49], v[50:51] offset0:64 offset1:65
	ds_store_2addr_b64 v212, v[44:45], v[46:47] offset0:66 offset1:67
	ds_store_2addr_b64 v212, v[40:41], v[42:43] offset0:68 offset1:69
	ds_store_2addr_b64 v212, v[36:37], v[38:39] offset0:70 offset1:71
	ds_store_2addr_b64 v212, v[32:33], v[34:35] offset0:72 offset1:73
	ds_store_2addr_b64 v212, v[28:29], v[30:31] offset0:74 offset1:75
	ds_store_2addr_b64 v212, v[24:25], v[26:27] offset0:76 offset1:77
	ds_store_2addr_b64 v212, v[20:21], v[22:23] offset0:78 offset1:79
	ds_store_2addr_b64 v212, v[16:17], v[18:19] offset0:80 offset1:81
	ds_store_2addr_b64 v212, v[12:13], v[14:15] offset0:82 offset1:83
	ds_store_2addr_b64 v212, v[8:9], v[10:11] offset0:84 offset1:85
	ds_store_2addr_b64 v212, v[4:5], v[6:7] offset0:86 offset1:87
	ds_store_2addr_b64 v212, v[0:1], v[2:3] offset0:88 offset1:89
	ds_load_2addr_b64 v[180:183], v211 offset1:1
	s_waitcnt lgkmcnt(0)
	v_cmp_neq_f64_e32 vcc_lo, 0, v[180:181]
	v_cmp_neq_f64_e64 s3, 0, v[182:183]
	s_delay_alu instid0(VALU_DEP_1) | instskip(NEXT) | instid1(SALU_CYCLE_1)
	s_or_b32 s3, vcc_lo, s3
	s_and_b32 exec_lo, exec_lo, s3
	s_cbranch_execz .LBB89_134
; %bb.129:
	v_cmp_gt_f64_e32 vcc_lo, 0, v[180:181]
	v_xor_b32_e32 v184, 0x80000000, v181
	v_xor_b32_e32 v186, 0x80000000, v183
	s_mov_b32 s3, exec_lo
                                        ; implicit-def: $vgpr188_vgpr189
	s_delay_alu instid0(VALU_DEP_2) | instskip(SKIP_4) | instid1(VALU_DEP_1)
	v_cndmask_b32_e32 v185, v181, v184, vcc_lo
	v_cndmask_b32_e32 v184, v180, v180, vcc_lo
	v_cmp_gt_f64_e32 vcc_lo, 0, v[182:183]
	v_cndmask_b32_e32 v187, v183, v186, vcc_lo
	v_cndmask_b32_e32 v186, v182, v182, vcc_lo
	v_cmpx_ngt_f64_e32 v[184:185], v[186:187]
	s_xor_b32 s3, exec_lo, s3
                                        ; implicit-def: $vgpr184_vgpr185_vgpr186_vgpr187
	s_cbranch_execz .LBB89_131
; %bb.130:
	v_div_scale_f64 v[184:185], null, v[182:183], v[182:183], v[180:181]
	v_div_scale_f64 v[190:191], vcc_lo, v[180:181], v[182:183], v[180:181]
	s_delay_alu instid0(VALU_DEP_2) | instskip(SKIP_2) | instid1(VALU_DEP_1)
	v_rcp_f64_e32 v[186:187], v[184:185]
	s_waitcnt_depctr 0xfff
	v_fma_f64 v[188:189], -v[184:185], v[186:187], 1.0
	v_fma_f64 v[186:187], v[186:187], v[188:189], v[186:187]
	s_delay_alu instid0(VALU_DEP_1) | instskip(NEXT) | instid1(VALU_DEP_1)
	v_fma_f64 v[188:189], -v[184:185], v[186:187], 1.0
	v_fma_f64 v[186:187], v[186:187], v[188:189], v[186:187]
	s_delay_alu instid0(VALU_DEP_1) | instskip(NEXT) | instid1(VALU_DEP_1)
	v_mul_f64 v[188:189], v[190:191], v[186:187]
	v_fma_f64 v[184:185], -v[184:185], v[188:189], v[190:191]
	s_delay_alu instid0(VALU_DEP_1) | instskip(NEXT) | instid1(VALU_DEP_1)
	v_div_fmas_f64 v[184:185], v[184:185], v[186:187], v[188:189]
	v_div_fixup_f64 v[184:185], v[184:185], v[182:183], v[180:181]
	s_delay_alu instid0(VALU_DEP_1) | instskip(NEXT) | instid1(VALU_DEP_1)
	v_fma_f64 v[180:181], v[180:181], v[184:185], v[182:183]
	v_div_scale_f64 v[182:183], null, v[180:181], v[180:181], 1.0
	s_delay_alu instid0(VALU_DEP_1) | instskip(SKIP_2) | instid1(VALU_DEP_1)
	v_rcp_f64_e32 v[186:187], v[182:183]
	s_waitcnt_depctr 0xfff
	v_fma_f64 v[188:189], -v[182:183], v[186:187], 1.0
	v_fma_f64 v[186:187], v[186:187], v[188:189], v[186:187]
	s_delay_alu instid0(VALU_DEP_1) | instskip(NEXT) | instid1(VALU_DEP_1)
	v_fma_f64 v[188:189], -v[182:183], v[186:187], 1.0
	v_fma_f64 v[186:187], v[186:187], v[188:189], v[186:187]
	v_div_scale_f64 v[188:189], vcc_lo, 1.0, v[180:181], 1.0
	s_delay_alu instid0(VALU_DEP_1) | instskip(NEXT) | instid1(VALU_DEP_1)
	v_mul_f64 v[190:191], v[188:189], v[186:187]
	v_fma_f64 v[182:183], -v[182:183], v[190:191], v[188:189]
	s_delay_alu instid0(VALU_DEP_1) | instskip(NEXT) | instid1(VALU_DEP_1)
	v_div_fmas_f64 v[182:183], v[182:183], v[186:187], v[190:191]
	v_div_fixup_f64 v[186:187], v[182:183], v[180:181], 1.0
                                        ; implicit-def: $vgpr180_vgpr181
	s_delay_alu instid0(VALU_DEP_1)
	v_mul_f64 v[188:189], v[184:185], v[186:187]
	v_xor_b32_e32 v187, 0x80000000, v187
.LBB89_131:
	s_and_not1_saveexec_b32 s3, s3
	s_cbranch_execz .LBB89_133
; %bb.132:
	v_div_scale_f64 v[184:185], null, v[180:181], v[180:181], v[182:183]
	v_div_scale_f64 v[190:191], vcc_lo, v[182:183], v[180:181], v[182:183]
	s_delay_alu instid0(VALU_DEP_2) | instskip(SKIP_2) | instid1(VALU_DEP_1)
	v_rcp_f64_e32 v[186:187], v[184:185]
	s_waitcnt_depctr 0xfff
	v_fma_f64 v[188:189], -v[184:185], v[186:187], 1.0
	v_fma_f64 v[186:187], v[186:187], v[188:189], v[186:187]
	s_delay_alu instid0(VALU_DEP_1) | instskip(NEXT) | instid1(VALU_DEP_1)
	v_fma_f64 v[188:189], -v[184:185], v[186:187], 1.0
	v_fma_f64 v[186:187], v[186:187], v[188:189], v[186:187]
	s_delay_alu instid0(VALU_DEP_1) | instskip(NEXT) | instid1(VALU_DEP_1)
	v_mul_f64 v[188:189], v[190:191], v[186:187]
	v_fma_f64 v[184:185], -v[184:185], v[188:189], v[190:191]
	s_delay_alu instid0(VALU_DEP_1) | instskip(NEXT) | instid1(VALU_DEP_1)
	v_div_fmas_f64 v[184:185], v[184:185], v[186:187], v[188:189]
	v_div_fixup_f64 v[184:185], v[184:185], v[180:181], v[182:183]
	s_delay_alu instid0(VALU_DEP_1) | instskip(NEXT) | instid1(VALU_DEP_1)
	v_fma_f64 v[180:181], v[182:183], v[184:185], v[180:181]
	v_div_scale_f64 v[182:183], null, v[180:181], v[180:181], 1.0
	s_delay_alu instid0(VALU_DEP_1) | instskip(SKIP_2) | instid1(VALU_DEP_1)
	v_rcp_f64_e32 v[186:187], v[182:183]
	s_waitcnt_depctr 0xfff
	v_fma_f64 v[188:189], -v[182:183], v[186:187], 1.0
	v_fma_f64 v[186:187], v[186:187], v[188:189], v[186:187]
	s_delay_alu instid0(VALU_DEP_1) | instskip(NEXT) | instid1(VALU_DEP_1)
	v_fma_f64 v[188:189], -v[182:183], v[186:187], 1.0
	v_fma_f64 v[186:187], v[186:187], v[188:189], v[186:187]
	v_div_scale_f64 v[188:189], vcc_lo, 1.0, v[180:181], 1.0
	s_delay_alu instid0(VALU_DEP_1) | instskip(NEXT) | instid1(VALU_DEP_1)
	v_mul_f64 v[190:191], v[188:189], v[186:187]
	v_fma_f64 v[182:183], -v[182:183], v[190:191], v[188:189]
	s_delay_alu instid0(VALU_DEP_1) | instskip(NEXT) | instid1(VALU_DEP_1)
	v_div_fmas_f64 v[182:183], v[182:183], v[186:187], v[190:191]
	v_div_fixup_f64 v[188:189], v[182:183], v[180:181], 1.0
	s_delay_alu instid0(VALU_DEP_1)
	v_mul_f64 v[186:187], v[184:185], -v[188:189]
.LBB89_133:
	s_or_b32 exec_lo, exec_lo, s3
	ds_store_2addr_b64 v211, v[188:189], v[186:187] offset1:1
.LBB89_134:
	s_or_b32 exec_lo, exec_lo, s4
	s_waitcnt lgkmcnt(0)
	s_barrier
	buffer_gl0_inv
	ds_load_2addr_b64 v[180:183], v211 offset1:1
	s_mov_b32 s3, exec_lo
	s_waitcnt lgkmcnt(0)
	scratch_store_b128 off, v[180:183], off offset:472 ; 16-byte Folded Spill
	v_cmpx_lt_u32_e32 14, v210
	s_cbranch_execz .LBB89_136
; %bb.135:
	scratch_load_b128 v[182:185], off, off offset:472 ; 16-byte Folded Reload
	s_waitcnt vmcnt(0)
	v_mul_f64 v[180:181], v[184:185], v[122:123]
	v_mul_f64 v[122:123], v[182:183], v[122:123]
	s_delay_alu instid0(VALU_DEP_2) | instskip(NEXT) | instid1(VALU_DEP_2)
	v_fma_f64 v[180:181], v[182:183], v[120:121], -v[180:181]
	v_fma_f64 v[122:123], v[184:185], v[120:121], v[122:123]
	ds_load_2addr_b64 v[182:185], v212 offset0:30 offset1:31
	s_waitcnt lgkmcnt(0)
	v_mul_f64 v[120:121], v[184:185], v[122:123]
	s_delay_alu instid0(VALU_DEP_1) | instskip(SKIP_1) | instid1(VALU_DEP_2)
	v_fma_f64 v[120:121], v[182:183], v[180:181], -v[120:121]
	v_mul_f64 v[182:183], v[182:183], v[122:123]
	v_add_f64 v[116:117], v[116:117], -v[120:121]
	s_delay_alu instid0(VALU_DEP_2) | instskip(NEXT) | instid1(VALU_DEP_1)
	v_fma_f64 v[182:183], v[184:185], v[180:181], v[182:183]
	v_add_f64 v[118:119], v[118:119], -v[182:183]
	ds_load_2addr_b64 v[182:185], v212 offset0:32 offset1:33
	s_waitcnt lgkmcnt(0)
	v_mul_f64 v[120:121], v[184:185], v[122:123]
	s_delay_alu instid0(VALU_DEP_1) | instskip(SKIP_1) | instid1(VALU_DEP_2)
	v_fma_f64 v[120:121], v[182:183], v[180:181], -v[120:121]
	v_mul_f64 v[182:183], v[182:183], v[122:123]
	v_add_f64 v[112:113], v[112:113], -v[120:121]
	s_delay_alu instid0(VALU_DEP_2) | instskip(NEXT) | instid1(VALU_DEP_1)
	v_fma_f64 v[182:183], v[184:185], v[180:181], v[182:183]
	v_add_f64 v[114:115], v[114:115], -v[182:183]
	ds_load_2addr_b64 v[182:185], v212 offset0:34 offset1:35
	s_waitcnt lgkmcnt(0)
	v_mul_f64 v[120:121], v[184:185], v[122:123]
	s_delay_alu instid0(VALU_DEP_1) | instskip(SKIP_1) | instid1(VALU_DEP_2)
	v_fma_f64 v[120:121], v[182:183], v[180:181], -v[120:121]
	v_mul_f64 v[182:183], v[182:183], v[122:123]
	v_add_f64 v[108:109], v[108:109], -v[120:121]
	s_delay_alu instid0(VALU_DEP_2) | instskip(NEXT) | instid1(VALU_DEP_1)
	v_fma_f64 v[182:183], v[184:185], v[180:181], v[182:183]
	v_add_f64 v[110:111], v[110:111], -v[182:183]
	ds_load_2addr_b64 v[182:185], v212 offset0:36 offset1:37
	s_waitcnt lgkmcnt(0)
	v_mul_f64 v[120:121], v[184:185], v[122:123]
	s_delay_alu instid0(VALU_DEP_1) | instskip(SKIP_1) | instid1(VALU_DEP_2)
	v_fma_f64 v[120:121], v[182:183], v[180:181], -v[120:121]
	v_mul_f64 v[182:183], v[182:183], v[122:123]
	v_add_f64 v[104:105], v[104:105], -v[120:121]
	s_delay_alu instid0(VALU_DEP_2) | instskip(NEXT) | instid1(VALU_DEP_1)
	v_fma_f64 v[182:183], v[184:185], v[180:181], v[182:183]
	v_add_f64 v[106:107], v[106:107], -v[182:183]
	ds_load_2addr_b64 v[182:185], v212 offset0:38 offset1:39
	s_waitcnt lgkmcnt(0)
	v_mul_f64 v[120:121], v[184:185], v[122:123]
	s_delay_alu instid0(VALU_DEP_1) | instskip(SKIP_1) | instid1(VALU_DEP_2)
	v_fma_f64 v[120:121], v[182:183], v[180:181], -v[120:121]
	v_mul_f64 v[182:183], v[182:183], v[122:123]
	v_add_f64 v[100:101], v[100:101], -v[120:121]
	s_delay_alu instid0(VALU_DEP_2) | instskip(NEXT) | instid1(VALU_DEP_1)
	v_fma_f64 v[182:183], v[184:185], v[180:181], v[182:183]
	v_add_f64 v[102:103], v[102:103], -v[182:183]
	ds_load_2addr_b64 v[182:185], v212 offset0:40 offset1:41
	s_waitcnt lgkmcnt(0)
	v_mul_f64 v[120:121], v[184:185], v[122:123]
	s_delay_alu instid0(VALU_DEP_1) | instskip(SKIP_1) | instid1(VALU_DEP_2)
	v_fma_f64 v[120:121], v[182:183], v[180:181], -v[120:121]
	v_mul_f64 v[182:183], v[182:183], v[122:123]
	v_add_f64 v[96:97], v[96:97], -v[120:121]
	s_delay_alu instid0(VALU_DEP_2) | instskip(NEXT) | instid1(VALU_DEP_1)
	v_fma_f64 v[182:183], v[184:185], v[180:181], v[182:183]
	v_add_f64 v[98:99], v[98:99], -v[182:183]
	ds_load_2addr_b64 v[182:185], v212 offset0:42 offset1:43
	s_waitcnt lgkmcnt(0)
	v_mul_f64 v[120:121], v[184:185], v[122:123]
	s_delay_alu instid0(VALU_DEP_1) | instskip(SKIP_1) | instid1(VALU_DEP_2)
	v_fma_f64 v[120:121], v[182:183], v[180:181], -v[120:121]
	v_mul_f64 v[182:183], v[182:183], v[122:123]
	v_add_f64 v[92:93], v[92:93], -v[120:121]
	s_delay_alu instid0(VALU_DEP_2) | instskip(NEXT) | instid1(VALU_DEP_1)
	v_fma_f64 v[182:183], v[184:185], v[180:181], v[182:183]
	v_add_f64 v[94:95], v[94:95], -v[182:183]
	ds_load_2addr_b64 v[182:185], v212 offset0:44 offset1:45
	s_waitcnt lgkmcnt(0)
	v_mul_f64 v[120:121], v[184:185], v[122:123]
	s_delay_alu instid0(VALU_DEP_1) | instskip(SKIP_1) | instid1(VALU_DEP_2)
	v_fma_f64 v[120:121], v[182:183], v[180:181], -v[120:121]
	v_mul_f64 v[182:183], v[182:183], v[122:123]
	v_add_f64 v[88:89], v[88:89], -v[120:121]
	s_delay_alu instid0(VALU_DEP_2) | instskip(NEXT) | instid1(VALU_DEP_1)
	v_fma_f64 v[182:183], v[184:185], v[180:181], v[182:183]
	v_add_f64 v[90:91], v[90:91], -v[182:183]
	ds_load_2addr_b64 v[182:185], v212 offset0:46 offset1:47
	s_waitcnt lgkmcnt(0)
	v_mul_f64 v[120:121], v[184:185], v[122:123]
	s_delay_alu instid0(VALU_DEP_1) | instskip(SKIP_1) | instid1(VALU_DEP_2)
	v_fma_f64 v[120:121], v[182:183], v[180:181], -v[120:121]
	v_mul_f64 v[182:183], v[182:183], v[122:123]
	v_add_f64 v[84:85], v[84:85], -v[120:121]
	s_delay_alu instid0(VALU_DEP_2) | instskip(NEXT) | instid1(VALU_DEP_1)
	v_fma_f64 v[182:183], v[184:185], v[180:181], v[182:183]
	v_add_f64 v[86:87], v[86:87], -v[182:183]
	ds_load_2addr_b64 v[182:185], v212 offset0:48 offset1:49
	s_waitcnt lgkmcnt(0)
	v_mul_f64 v[120:121], v[184:185], v[122:123]
	s_delay_alu instid0(VALU_DEP_1) | instskip(SKIP_1) | instid1(VALU_DEP_2)
	v_fma_f64 v[120:121], v[182:183], v[180:181], -v[120:121]
	v_mul_f64 v[182:183], v[182:183], v[122:123]
	v_add_f64 v[80:81], v[80:81], -v[120:121]
	s_delay_alu instid0(VALU_DEP_2) | instskip(NEXT) | instid1(VALU_DEP_1)
	v_fma_f64 v[182:183], v[184:185], v[180:181], v[182:183]
	v_add_f64 v[82:83], v[82:83], -v[182:183]
	ds_load_2addr_b64 v[182:185], v212 offset0:50 offset1:51
	s_waitcnt lgkmcnt(0)
	v_mul_f64 v[120:121], v[184:185], v[122:123]
	s_delay_alu instid0(VALU_DEP_1) | instskip(SKIP_1) | instid1(VALU_DEP_2)
	v_fma_f64 v[120:121], v[182:183], v[180:181], -v[120:121]
	v_mul_f64 v[182:183], v[182:183], v[122:123]
	v_add_f64 v[76:77], v[76:77], -v[120:121]
	s_delay_alu instid0(VALU_DEP_2) | instskip(NEXT) | instid1(VALU_DEP_1)
	v_fma_f64 v[182:183], v[184:185], v[180:181], v[182:183]
	v_add_f64 v[78:79], v[78:79], -v[182:183]
	ds_load_2addr_b64 v[182:185], v212 offset0:52 offset1:53
	s_waitcnt lgkmcnt(0)
	v_mul_f64 v[120:121], v[184:185], v[122:123]
	s_delay_alu instid0(VALU_DEP_1) | instskip(SKIP_1) | instid1(VALU_DEP_2)
	v_fma_f64 v[120:121], v[182:183], v[180:181], -v[120:121]
	v_mul_f64 v[182:183], v[182:183], v[122:123]
	v_add_f64 v[72:73], v[72:73], -v[120:121]
	s_delay_alu instid0(VALU_DEP_2) | instskip(NEXT) | instid1(VALU_DEP_1)
	v_fma_f64 v[182:183], v[184:185], v[180:181], v[182:183]
	v_add_f64 v[74:75], v[74:75], -v[182:183]
	ds_load_2addr_b64 v[182:185], v212 offset0:54 offset1:55
	s_waitcnt lgkmcnt(0)
	v_mul_f64 v[120:121], v[184:185], v[122:123]
	s_delay_alu instid0(VALU_DEP_1) | instskip(SKIP_1) | instid1(VALU_DEP_2)
	v_fma_f64 v[120:121], v[182:183], v[180:181], -v[120:121]
	v_mul_f64 v[182:183], v[182:183], v[122:123]
	v_add_f64 v[68:69], v[68:69], -v[120:121]
	s_delay_alu instid0(VALU_DEP_2) | instskip(NEXT) | instid1(VALU_DEP_1)
	v_fma_f64 v[182:183], v[184:185], v[180:181], v[182:183]
	v_add_f64 v[70:71], v[70:71], -v[182:183]
	ds_load_2addr_b64 v[182:185], v212 offset0:56 offset1:57
	s_waitcnt lgkmcnt(0)
	v_mul_f64 v[120:121], v[184:185], v[122:123]
	s_delay_alu instid0(VALU_DEP_1) | instskip(SKIP_1) | instid1(VALU_DEP_2)
	v_fma_f64 v[120:121], v[182:183], v[180:181], -v[120:121]
	v_mul_f64 v[182:183], v[182:183], v[122:123]
	v_add_f64 v[64:65], v[64:65], -v[120:121]
	s_delay_alu instid0(VALU_DEP_2) | instskip(NEXT) | instid1(VALU_DEP_1)
	v_fma_f64 v[182:183], v[184:185], v[180:181], v[182:183]
	v_add_f64 v[66:67], v[66:67], -v[182:183]
	ds_load_2addr_b64 v[182:185], v212 offset0:58 offset1:59
	s_waitcnt lgkmcnt(0)
	v_mul_f64 v[120:121], v[184:185], v[122:123]
	s_delay_alu instid0(VALU_DEP_1) | instskip(SKIP_1) | instid1(VALU_DEP_2)
	v_fma_f64 v[120:121], v[182:183], v[180:181], -v[120:121]
	v_mul_f64 v[182:183], v[182:183], v[122:123]
	v_add_f64 v[60:61], v[60:61], -v[120:121]
	s_delay_alu instid0(VALU_DEP_2) | instskip(NEXT) | instid1(VALU_DEP_1)
	v_fma_f64 v[182:183], v[184:185], v[180:181], v[182:183]
	v_add_f64 v[62:63], v[62:63], -v[182:183]
	ds_load_2addr_b64 v[182:185], v212 offset0:60 offset1:61
	s_waitcnt lgkmcnt(0)
	v_mul_f64 v[120:121], v[184:185], v[122:123]
	s_delay_alu instid0(VALU_DEP_1) | instskip(SKIP_1) | instid1(VALU_DEP_2)
	v_fma_f64 v[120:121], v[182:183], v[180:181], -v[120:121]
	v_mul_f64 v[182:183], v[182:183], v[122:123]
	v_add_f64 v[56:57], v[56:57], -v[120:121]
	s_delay_alu instid0(VALU_DEP_2) | instskip(NEXT) | instid1(VALU_DEP_1)
	v_fma_f64 v[182:183], v[184:185], v[180:181], v[182:183]
	v_add_f64 v[58:59], v[58:59], -v[182:183]
	ds_load_2addr_b64 v[182:185], v212 offset0:62 offset1:63
	s_waitcnt lgkmcnt(0)
	v_mul_f64 v[120:121], v[184:185], v[122:123]
	s_delay_alu instid0(VALU_DEP_1) | instskip(SKIP_1) | instid1(VALU_DEP_2)
	v_fma_f64 v[120:121], v[182:183], v[180:181], -v[120:121]
	v_mul_f64 v[182:183], v[182:183], v[122:123]
	v_add_f64 v[52:53], v[52:53], -v[120:121]
	s_delay_alu instid0(VALU_DEP_2) | instskip(NEXT) | instid1(VALU_DEP_1)
	v_fma_f64 v[182:183], v[184:185], v[180:181], v[182:183]
	v_add_f64 v[54:55], v[54:55], -v[182:183]
	ds_load_2addr_b64 v[182:185], v212 offset0:64 offset1:65
	s_waitcnt lgkmcnt(0)
	v_mul_f64 v[120:121], v[184:185], v[122:123]
	s_delay_alu instid0(VALU_DEP_1) | instskip(SKIP_1) | instid1(VALU_DEP_2)
	v_fma_f64 v[120:121], v[182:183], v[180:181], -v[120:121]
	v_mul_f64 v[182:183], v[182:183], v[122:123]
	v_add_f64 v[48:49], v[48:49], -v[120:121]
	s_delay_alu instid0(VALU_DEP_2) | instskip(NEXT) | instid1(VALU_DEP_1)
	v_fma_f64 v[182:183], v[184:185], v[180:181], v[182:183]
	v_add_f64 v[50:51], v[50:51], -v[182:183]
	ds_load_2addr_b64 v[182:185], v212 offset0:66 offset1:67
	s_waitcnt lgkmcnt(0)
	v_mul_f64 v[120:121], v[184:185], v[122:123]
	s_delay_alu instid0(VALU_DEP_1) | instskip(SKIP_1) | instid1(VALU_DEP_2)
	v_fma_f64 v[120:121], v[182:183], v[180:181], -v[120:121]
	v_mul_f64 v[182:183], v[182:183], v[122:123]
	v_add_f64 v[44:45], v[44:45], -v[120:121]
	s_delay_alu instid0(VALU_DEP_2) | instskip(NEXT) | instid1(VALU_DEP_1)
	v_fma_f64 v[182:183], v[184:185], v[180:181], v[182:183]
	v_add_f64 v[46:47], v[46:47], -v[182:183]
	ds_load_2addr_b64 v[182:185], v212 offset0:68 offset1:69
	s_waitcnt lgkmcnt(0)
	v_mul_f64 v[120:121], v[184:185], v[122:123]
	s_delay_alu instid0(VALU_DEP_1) | instskip(SKIP_1) | instid1(VALU_DEP_2)
	v_fma_f64 v[120:121], v[182:183], v[180:181], -v[120:121]
	v_mul_f64 v[182:183], v[182:183], v[122:123]
	v_add_f64 v[40:41], v[40:41], -v[120:121]
	s_delay_alu instid0(VALU_DEP_2) | instskip(NEXT) | instid1(VALU_DEP_1)
	v_fma_f64 v[182:183], v[184:185], v[180:181], v[182:183]
	v_add_f64 v[42:43], v[42:43], -v[182:183]
	ds_load_2addr_b64 v[182:185], v212 offset0:70 offset1:71
	s_waitcnt lgkmcnt(0)
	v_mul_f64 v[120:121], v[184:185], v[122:123]
	s_delay_alu instid0(VALU_DEP_1) | instskip(SKIP_1) | instid1(VALU_DEP_2)
	v_fma_f64 v[120:121], v[182:183], v[180:181], -v[120:121]
	v_mul_f64 v[182:183], v[182:183], v[122:123]
	v_add_f64 v[36:37], v[36:37], -v[120:121]
	s_delay_alu instid0(VALU_DEP_2) | instskip(NEXT) | instid1(VALU_DEP_1)
	v_fma_f64 v[182:183], v[184:185], v[180:181], v[182:183]
	v_add_f64 v[38:39], v[38:39], -v[182:183]
	ds_load_2addr_b64 v[182:185], v212 offset0:72 offset1:73
	s_waitcnt lgkmcnt(0)
	v_mul_f64 v[120:121], v[184:185], v[122:123]
	s_delay_alu instid0(VALU_DEP_1) | instskip(SKIP_1) | instid1(VALU_DEP_2)
	v_fma_f64 v[120:121], v[182:183], v[180:181], -v[120:121]
	v_mul_f64 v[182:183], v[182:183], v[122:123]
	v_add_f64 v[32:33], v[32:33], -v[120:121]
	s_delay_alu instid0(VALU_DEP_2) | instskip(NEXT) | instid1(VALU_DEP_1)
	v_fma_f64 v[182:183], v[184:185], v[180:181], v[182:183]
	v_add_f64 v[34:35], v[34:35], -v[182:183]
	ds_load_2addr_b64 v[182:185], v212 offset0:74 offset1:75
	s_waitcnt lgkmcnt(0)
	v_mul_f64 v[120:121], v[184:185], v[122:123]
	s_delay_alu instid0(VALU_DEP_1) | instskip(SKIP_1) | instid1(VALU_DEP_2)
	v_fma_f64 v[120:121], v[182:183], v[180:181], -v[120:121]
	v_mul_f64 v[182:183], v[182:183], v[122:123]
	v_add_f64 v[28:29], v[28:29], -v[120:121]
	s_delay_alu instid0(VALU_DEP_2) | instskip(NEXT) | instid1(VALU_DEP_1)
	v_fma_f64 v[182:183], v[184:185], v[180:181], v[182:183]
	v_add_f64 v[30:31], v[30:31], -v[182:183]
	ds_load_2addr_b64 v[182:185], v212 offset0:76 offset1:77
	s_waitcnt lgkmcnt(0)
	v_mul_f64 v[120:121], v[184:185], v[122:123]
	s_delay_alu instid0(VALU_DEP_1) | instskip(SKIP_1) | instid1(VALU_DEP_2)
	v_fma_f64 v[120:121], v[182:183], v[180:181], -v[120:121]
	v_mul_f64 v[182:183], v[182:183], v[122:123]
	v_add_f64 v[24:25], v[24:25], -v[120:121]
	s_delay_alu instid0(VALU_DEP_2) | instskip(NEXT) | instid1(VALU_DEP_1)
	v_fma_f64 v[182:183], v[184:185], v[180:181], v[182:183]
	v_add_f64 v[26:27], v[26:27], -v[182:183]
	ds_load_2addr_b64 v[182:185], v212 offset0:78 offset1:79
	s_waitcnt lgkmcnt(0)
	v_mul_f64 v[120:121], v[184:185], v[122:123]
	s_delay_alu instid0(VALU_DEP_1) | instskip(SKIP_1) | instid1(VALU_DEP_2)
	v_fma_f64 v[120:121], v[182:183], v[180:181], -v[120:121]
	v_mul_f64 v[182:183], v[182:183], v[122:123]
	v_add_f64 v[20:21], v[20:21], -v[120:121]
	s_delay_alu instid0(VALU_DEP_2) | instskip(NEXT) | instid1(VALU_DEP_1)
	v_fma_f64 v[182:183], v[184:185], v[180:181], v[182:183]
	v_add_f64 v[22:23], v[22:23], -v[182:183]
	ds_load_2addr_b64 v[182:185], v212 offset0:80 offset1:81
	s_waitcnt lgkmcnt(0)
	v_mul_f64 v[120:121], v[184:185], v[122:123]
	s_delay_alu instid0(VALU_DEP_1) | instskip(SKIP_1) | instid1(VALU_DEP_2)
	v_fma_f64 v[120:121], v[182:183], v[180:181], -v[120:121]
	v_mul_f64 v[182:183], v[182:183], v[122:123]
	v_add_f64 v[16:17], v[16:17], -v[120:121]
	s_delay_alu instid0(VALU_DEP_2) | instskip(NEXT) | instid1(VALU_DEP_1)
	v_fma_f64 v[182:183], v[184:185], v[180:181], v[182:183]
	v_add_f64 v[18:19], v[18:19], -v[182:183]
	ds_load_2addr_b64 v[182:185], v212 offset0:82 offset1:83
	s_waitcnt lgkmcnt(0)
	v_mul_f64 v[120:121], v[184:185], v[122:123]
	s_delay_alu instid0(VALU_DEP_1) | instskip(SKIP_1) | instid1(VALU_DEP_2)
	v_fma_f64 v[120:121], v[182:183], v[180:181], -v[120:121]
	v_mul_f64 v[182:183], v[182:183], v[122:123]
	v_add_f64 v[12:13], v[12:13], -v[120:121]
	s_delay_alu instid0(VALU_DEP_2) | instskip(NEXT) | instid1(VALU_DEP_1)
	v_fma_f64 v[182:183], v[184:185], v[180:181], v[182:183]
	v_add_f64 v[14:15], v[14:15], -v[182:183]
	ds_load_2addr_b64 v[182:185], v212 offset0:84 offset1:85
	s_waitcnt lgkmcnt(0)
	v_mul_f64 v[120:121], v[184:185], v[122:123]
	s_delay_alu instid0(VALU_DEP_1) | instskip(SKIP_1) | instid1(VALU_DEP_2)
	v_fma_f64 v[120:121], v[182:183], v[180:181], -v[120:121]
	v_mul_f64 v[182:183], v[182:183], v[122:123]
	v_add_f64 v[8:9], v[8:9], -v[120:121]
	s_delay_alu instid0(VALU_DEP_2) | instskip(NEXT) | instid1(VALU_DEP_1)
	v_fma_f64 v[182:183], v[184:185], v[180:181], v[182:183]
	v_add_f64 v[10:11], v[10:11], -v[182:183]
	ds_load_2addr_b64 v[182:185], v212 offset0:86 offset1:87
	s_waitcnt lgkmcnt(0)
	v_mul_f64 v[120:121], v[184:185], v[122:123]
	s_delay_alu instid0(VALU_DEP_1) | instskip(SKIP_1) | instid1(VALU_DEP_2)
	v_fma_f64 v[120:121], v[182:183], v[180:181], -v[120:121]
	v_mul_f64 v[182:183], v[182:183], v[122:123]
	v_add_f64 v[4:5], v[4:5], -v[120:121]
	s_delay_alu instid0(VALU_DEP_2) | instskip(NEXT) | instid1(VALU_DEP_1)
	v_fma_f64 v[182:183], v[184:185], v[180:181], v[182:183]
	v_add_f64 v[6:7], v[6:7], -v[182:183]
	ds_load_2addr_b64 v[182:185], v212 offset0:88 offset1:89
	s_waitcnt lgkmcnt(0)
	v_mul_f64 v[120:121], v[184:185], v[122:123]
	s_delay_alu instid0(VALU_DEP_1) | instskip(SKIP_1) | instid1(VALU_DEP_2)
	v_fma_f64 v[120:121], v[182:183], v[180:181], -v[120:121]
	v_mul_f64 v[182:183], v[182:183], v[122:123]
	v_add_f64 v[0:1], v[0:1], -v[120:121]
	s_delay_alu instid0(VALU_DEP_2) | instskip(SKIP_1) | instid1(VALU_DEP_2)
	v_fma_f64 v[182:183], v[184:185], v[180:181], v[182:183]
	v_dual_mov_b32 v120, v180 :: v_dual_mov_b32 v121, v181
	v_add_f64 v[2:3], v[2:3], -v[182:183]
.LBB89_136:
	s_or_b32 exec_lo, exec_lo, s3
	s_delay_alu instid0(SALU_CYCLE_1)
	s_mov_b32 s4, exec_lo
	s_waitcnt_vscnt null, 0x0
	s_barrier
	buffer_gl0_inv
	v_cmpx_eq_u32_e32 15, v210
	s_cbranch_execz .LBB89_143
; %bb.137:
	ds_store_2addr_b64 v211, v[116:117], v[118:119] offset1:1
	ds_store_2addr_b64 v212, v[112:113], v[114:115] offset0:32 offset1:33
	ds_store_2addr_b64 v212, v[108:109], v[110:111] offset0:34 offset1:35
	;; [unrolled: 1-line block ×29, first 2 shown]
	ds_load_2addr_b64 v[180:183], v211 offset1:1
	s_waitcnt lgkmcnt(0)
	v_cmp_neq_f64_e32 vcc_lo, 0, v[180:181]
	v_cmp_neq_f64_e64 s3, 0, v[182:183]
	s_delay_alu instid0(VALU_DEP_1) | instskip(NEXT) | instid1(SALU_CYCLE_1)
	s_or_b32 s3, vcc_lo, s3
	s_and_b32 exec_lo, exec_lo, s3
	s_cbranch_execz .LBB89_143
; %bb.138:
	v_cmp_gt_f64_e32 vcc_lo, 0, v[180:181]
	v_xor_b32_e32 v184, 0x80000000, v181
	v_xor_b32_e32 v186, 0x80000000, v183
	s_mov_b32 s3, exec_lo
                                        ; implicit-def: $vgpr188_vgpr189
	s_delay_alu instid0(VALU_DEP_2) | instskip(SKIP_4) | instid1(VALU_DEP_1)
	v_cndmask_b32_e32 v185, v181, v184, vcc_lo
	v_cndmask_b32_e32 v184, v180, v180, vcc_lo
	v_cmp_gt_f64_e32 vcc_lo, 0, v[182:183]
	v_cndmask_b32_e32 v187, v183, v186, vcc_lo
	v_cndmask_b32_e32 v186, v182, v182, vcc_lo
	v_cmpx_ngt_f64_e32 v[184:185], v[186:187]
	s_xor_b32 s3, exec_lo, s3
                                        ; implicit-def: $vgpr184_vgpr185_vgpr186_vgpr187
	s_cbranch_execz .LBB89_140
; %bb.139:
	v_div_scale_f64 v[184:185], null, v[182:183], v[182:183], v[180:181]
	v_div_scale_f64 v[190:191], vcc_lo, v[180:181], v[182:183], v[180:181]
	s_delay_alu instid0(VALU_DEP_2) | instskip(SKIP_2) | instid1(VALU_DEP_1)
	v_rcp_f64_e32 v[186:187], v[184:185]
	s_waitcnt_depctr 0xfff
	v_fma_f64 v[188:189], -v[184:185], v[186:187], 1.0
	v_fma_f64 v[186:187], v[186:187], v[188:189], v[186:187]
	s_delay_alu instid0(VALU_DEP_1) | instskip(NEXT) | instid1(VALU_DEP_1)
	v_fma_f64 v[188:189], -v[184:185], v[186:187], 1.0
	v_fma_f64 v[186:187], v[186:187], v[188:189], v[186:187]
	s_delay_alu instid0(VALU_DEP_1) | instskip(NEXT) | instid1(VALU_DEP_1)
	v_mul_f64 v[188:189], v[190:191], v[186:187]
	v_fma_f64 v[184:185], -v[184:185], v[188:189], v[190:191]
	s_delay_alu instid0(VALU_DEP_1) | instskip(NEXT) | instid1(VALU_DEP_1)
	v_div_fmas_f64 v[184:185], v[184:185], v[186:187], v[188:189]
	v_div_fixup_f64 v[184:185], v[184:185], v[182:183], v[180:181]
	s_delay_alu instid0(VALU_DEP_1) | instskip(NEXT) | instid1(VALU_DEP_1)
	v_fma_f64 v[180:181], v[180:181], v[184:185], v[182:183]
	v_div_scale_f64 v[182:183], null, v[180:181], v[180:181], 1.0
	s_delay_alu instid0(VALU_DEP_1) | instskip(SKIP_2) | instid1(VALU_DEP_1)
	v_rcp_f64_e32 v[186:187], v[182:183]
	s_waitcnt_depctr 0xfff
	v_fma_f64 v[188:189], -v[182:183], v[186:187], 1.0
	v_fma_f64 v[186:187], v[186:187], v[188:189], v[186:187]
	s_delay_alu instid0(VALU_DEP_1) | instskip(NEXT) | instid1(VALU_DEP_1)
	v_fma_f64 v[188:189], -v[182:183], v[186:187], 1.0
	v_fma_f64 v[186:187], v[186:187], v[188:189], v[186:187]
	v_div_scale_f64 v[188:189], vcc_lo, 1.0, v[180:181], 1.0
	s_delay_alu instid0(VALU_DEP_1) | instskip(NEXT) | instid1(VALU_DEP_1)
	v_mul_f64 v[190:191], v[188:189], v[186:187]
	v_fma_f64 v[182:183], -v[182:183], v[190:191], v[188:189]
	s_delay_alu instid0(VALU_DEP_1) | instskip(NEXT) | instid1(VALU_DEP_1)
	v_div_fmas_f64 v[182:183], v[182:183], v[186:187], v[190:191]
	v_div_fixup_f64 v[186:187], v[182:183], v[180:181], 1.0
                                        ; implicit-def: $vgpr180_vgpr181
	s_delay_alu instid0(VALU_DEP_1)
	v_mul_f64 v[188:189], v[184:185], v[186:187]
	v_xor_b32_e32 v187, 0x80000000, v187
.LBB89_140:
	s_and_not1_saveexec_b32 s3, s3
	s_cbranch_execz .LBB89_142
; %bb.141:
	v_div_scale_f64 v[184:185], null, v[180:181], v[180:181], v[182:183]
	v_div_scale_f64 v[190:191], vcc_lo, v[182:183], v[180:181], v[182:183]
	s_delay_alu instid0(VALU_DEP_2) | instskip(SKIP_2) | instid1(VALU_DEP_1)
	v_rcp_f64_e32 v[186:187], v[184:185]
	s_waitcnt_depctr 0xfff
	v_fma_f64 v[188:189], -v[184:185], v[186:187], 1.0
	v_fma_f64 v[186:187], v[186:187], v[188:189], v[186:187]
	s_delay_alu instid0(VALU_DEP_1) | instskip(NEXT) | instid1(VALU_DEP_1)
	v_fma_f64 v[188:189], -v[184:185], v[186:187], 1.0
	v_fma_f64 v[186:187], v[186:187], v[188:189], v[186:187]
	s_delay_alu instid0(VALU_DEP_1) | instskip(NEXT) | instid1(VALU_DEP_1)
	v_mul_f64 v[188:189], v[190:191], v[186:187]
	v_fma_f64 v[184:185], -v[184:185], v[188:189], v[190:191]
	s_delay_alu instid0(VALU_DEP_1) | instskip(NEXT) | instid1(VALU_DEP_1)
	v_div_fmas_f64 v[184:185], v[184:185], v[186:187], v[188:189]
	v_div_fixup_f64 v[184:185], v[184:185], v[180:181], v[182:183]
	s_delay_alu instid0(VALU_DEP_1) | instskip(NEXT) | instid1(VALU_DEP_1)
	v_fma_f64 v[180:181], v[182:183], v[184:185], v[180:181]
	v_div_scale_f64 v[182:183], null, v[180:181], v[180:181], 1.0
	s_delay_alu instid0(VALU_DEP_1) | instskip(SKIP_2) | instid1(VALU_DEP_1)
	v_rcp_f64_e32 v[186:187], v[182:183]
	s_waitcnt_depctr 0xfff
	v_fma_f64 v[188:189], -v[182:183], v[186:187], 1.0
	v_fma_f64 v[186:187], v[186:187], v[188:189], v[186:187]
	s_delay_alu instid0(VALU_DEP_1) | instskip(NEXT) | instid1(VALU_DEP_1)
	v_fma_f64 v[188:189], -v[182:183], v[186:187], 1.0
	v_fma_f64 v[186:187], v[186:187], v[188:189], v[186:187]
	v_div_scale_f64 v[188:189], vcc_lo, 1.0, v[180:181], 1.0
	s_delay_alu instid0(VALU_DEP_1) | instskip(NEXT) | instid1(VALU_DEP_1)
	v_mul_f64 v[190:191], v[188:189], v[186:187]
	v_fma_f64 v[182:183], -v[182:183], v[190:191], v[188:189]
	s_delay_alu instid0(VALU_DEP_1) | instskip(NEXT) | instid1(VALU_DEP_1)
	v_div_fmas_f64 v[182:183], v[182:183], v[186:187], v[190:191]
	v_div_fixup_f64 v[188:189], v[182:183], v[180:181], 1.0
	s_delay_alu instid0(VALU_DEP_1)
	v_mul_f64 v[186:187], v[184:185], -v[188:189]
.LBB89_142:
	s_or_b32 exec_lo, exec_lo, s3
	ds_store_2addr_b64 v211, v[188:189], v[186:187] offset1:1
.LBB89_143:
	s_or_b32 exec_lo, exec_lo, s4
	s_waitcnt lgkmcnt(0)
	s_barrier
	buffer_gl0_inv
	ds_load_2addr_b64 v[180:183], v211 offset1:1
	s_mov_b32 s3, exec_lo
	s_waitcnt lgkmcnt(0)
	scratch_store_b128 off, v[180:183], off offset:488 ; 16-byte Folded Spill
	v_cmpx_lt_u32_e32 15, v210
	s_cbranch_execz .LBB89_145
; %bb.144:
	scratch_load_b128 v[182:185], off, off offset:488 ; 16-byte Folded Reload
	s_waitcnt vmcnt(0)
	v_mul_f64 v[180:181], v[184:185], v[118:119]
	v_mul_f64 v[118:119], v[182:183], v[118:119]
	s_delay_alu instid0(VALU_DEP_2) | instskip(NEXT) | instid1(VALU_DEP_2)
	v_fma_f64 v[180:181], v[182:183], v[116:117], -v[180:181]
	v_fma_f64 v[118:119], v[184:185], v[116:117], v[118:119]
	ds_load_2addr_b64 v[182:185], v212 offset0:32 offset1:33
	s_waitcnt lgkmcnt(0)
	v_mul_f64 v[116:117], v[184:185], v[118:119]
	s_delay_alu instid0(VALU_DEP_1) | instskip(SKIP_1) | instid1(VALU_DEP_2)
	v_fma_f64 v[116:117], v[182:183], v[180:181], -v[116:117]
	v_mul_f64 v[182:183], v[182:183], v[118:119]
	v_add_f64 v[112:113], v[112:113], -v[116:117]
	s_delay_alu instid0(VALU_DEP_2) | instskip(NEXT) | instid1(VALU_DEP_1)
	v_fma_f64 v[182:183], v[184:185], v[180:181], v[182:183]
	v_add_f64 v[114:115], v[114:115], -v[182:183]
	ds_load_2addr_b64 v[182:185], v212 offset0:34 offset1:35
	s_waitcnt lgkmcnt(0)
	v_mul_f64 v[116:117], v[184:185], v[118:119]
	s_delay_alu instid0(VALU_DEP_1) | instskip(SKIP_1) | instid1(VALU_DEP_2)
	v_fma_f64 v[116:117], v[182:183], v[180:181], -v[116:117]
	v_mul_f64 v[182:183], v[182:183], v[118:119]
	v_add_f64 v[108:109], v[108:109], -v[116:117]
	s_delay_alu instid0(VALU_DEP_2) | instskip(NEXT) | instid1(VALU_DEP_1)
	v_fma_f64 v[182:183], v[184:185], v[180:181], v[182:183]
	v_add_f64 v[110:111], v[110:111], -v[182:183]
	;; [unrolled: 10-line block ×28, first 2 shown]
	ds_load_2addr_b64 v[182:185], v212 offset0:88 offset1:89
	s_waitcnt lgkmcnt(0)
	v_mul_f64 v[116:117], v[184:185], v[118:119]
	s_delay_alu instid0(VALU_DEP_1) | instskip(SKIP_1) | instid1(VALU_DEP_2)
	v_fma_f64 v[116:117], v[182:183], v[180:181], -v[116:117]
	v_mul_f64 v[182:183], v[182:183], v[118:119]
	v_add_f64 v[0:1], v[0:1], -v[116:117]
	s_delay_alu instid0(VALU_DEP_2) | instskip(SKIP_1) | instid1(VALU_DEP_2)
	v_fma_f64 v[182:183], v[184:185], v[180:181], v[182:183]
	v_dual_mov_b32 v116, v180 :: v_dual_mov_b32 v117, v181
	v_add_f64 v[2:3], v[2:3], -v[182:183]
.LBB89_145:
	s_or_b32 exec_lo, exec_lo, s3
	s_delay_alu instid0(SALU_CYCLE_1)
	s_mov_b32 s4, exec_lo
	s_waitcnt_vscnt null, 0x0
	s_barrier
	buffer_gl0_inv
	v_cmpx_eq_u32_e32 16, v210
	s_cbranch_execz .LBB89_152
; %bb.146:
	ds_store_2addr_b64 v211, v[112:113], v[114:115] offset1:1
	ds_store_2addr_b64 v212, v[108:109], v[110:111] offset0:34 offset1:35
	ds_store_2addr_b64 v212, v[104:105], v[106:107] offset0:36 offset1:37
	;; [unrolled: 1-line block ×28, first 2 shown]
	ds_load_2addr_b64 v[180:183], v211 offset1:1
	s_waitcnt lgkmcnt(0)
	v_cmp_neq_f64_e32 vcc_lo, 0, v[180:181]
	v_cmp_neq_f64_e64 s3, 0, v[182:183]
	s_delay_alu instid0(VALU_DEP_1) | instskip(NEXT) | instid1(SALU_CYCLE_1)
	s_or_b32 s3, vcc_lo, s3
	s_and_b32 exec_lo, exec_lo, s3
	s_cbranch_execz .LBB89_152
; %bb.147:
	v_cmp_gt_f64_e32 vcc_lo, 0, v[180:181]
	v_xor_b32_e32 v184, 0x80000000, v181
	v_xor_b32_e32 v186, 0x80000000, v183
	s_mov_b32 s3, exec_lo
                                        ; implicit-def: $vgpr188_vgpr189
	s_delay_alu instid0(VALU_DEP_2) | instskip(SKIP_4) | instid1(VALU_DEP_1)
	v_cndmask_b32_e32 v185, v181, v184, vcc_lo
	v_cndmask_b32_e32 v184, v180, v180, vcc_lo
	v_cmp_gt_f64_e32 vcc_lo, 0, v[182:183]
	v_cndmask_b32_e32 v187, v183, v186, vcc_lo
	v_cndmask_b32_e32 v186, v182, v182, vcc_lo
	v_cmpx_ngt_f64_e32 v[184:185], v[186:187]
	s_xor_b32 s3, exec_lo, s3
                                        ; implicit-def: $vgpr184_vgpr185_vgpr186_vgpr187
	s_cbranch_execz .LBB89_149
; %bb.148:
	v_div_scale_f64 v[184:185], null, v[182:183], v[182:183], v[180:181]
	v_div_scale_f64 v[190:191], vcc_lo, v[180:181], v[182:183], v[180:181]
	s_delay_alu instid0(VALU_DEP_2) | instskip(SKIP_2) | instid1(VALU_DEP_1)
	v_rcp_f64_e32 v[186:187], v[184:185]
	s_waitcnt_depctr 0xfff
	v_fma_f64 v[188:189], -v[184:185], v[186:187], 1.0
	v_fma_f64 v[186:187], v[186:187], v[188:189], v[186:187]
	s_delay_alu instid0(VALU_DEP_1) | instskip(NEXT) | instid1(VALU_DEP_1)
	v_fma_f64 v[188:189], -v[184:185], v[186:187], 1.0
	v_fma_f64 v[186:187], v[186:187], v[188:189], v[186:187]
	s_delay_alu instid0(VALU_DEP_1) | instskip(NEXT) | instid1(VALU_DEP_1)
	v_mul_f64 v[188:189], v[190:191], v[186:187]
	v_fma_f64 v[184:185], -v[184:185], v[188:189], v[190:191]
	s_delay_alu instid0(VALU_DEP_1) | instskip(NEXT) | instid1(VALU_DEP_1)
	v_div_fmas_f64 v[184:185], v[184:185], v[186:187], v[188:189]
	v_div_fixup_f64 v[184:185], v[184:185], v[182:183], v[180:181]
	s_delay_alu instid0(VALU_DEP_1) | instskip(NEXT) | instid1(VALU_DEP_1)
	v_fma_f64 v[180:181], v[180:181], v[184:185], v[182:183]
	v_div_scale_f64 v[182:183], null, v[180:181], v[180:181], 1.0
	s_delay_alu instid0(VALU_DEP_1) | instskip(SKIP_2) | instid1(VALU_DEP_1)
	v_rcp_f64_e32 v[186:187], v[182:183]
	s_waitcnt_depctr 0xfff
	v_fma_f64 v[188:189], -v[182:183], v[186:187], 1.0
	v_fma_f64 v[186:187], v[186:187], v[188:189], v[186:187]
	s_delay_alu instid0(VALU_DEP_1) | instskip(NEXT) | instid1(VALU_DEP_1)
	v_fma_f64 v[188:189], -v[182:183], v[186:187], 1.0
	v_fma_f64 v[186:187], v[186:187], v[188:189], v[186:187]
	v_div_scale_f64 v[188:189], vcc_lo, 1.0, v[180:181], 1.0
	s_delay_alu instid0(VALU_DEP_1) | instskip(NEXT) | instid1(VALU_DEP_1)
	v_mul_f64 v[190:191], v[188:189], v[186:187]
	v_fma_f64 v[182:183], -v[182:183], v[190:191], v[188:189]
	s_delay_alu instid0(VALU_DEP_1) | instskip(NEXT) | instid1(VALU_DEP_1)
	v_div_fmas_f64 v[182:183], v[182:183], v[186:187], v[190:191]
	v_div_fixup_f64 v[186:187], v[182:183], v[180:181], 1.0
                                        ; implicit-def: $vgpr180_vgpr181
	s_delay_alu instid0(VALU_DEP_1)
	v_mul_f64 v[188:189], v[184:185], v[186:187]
	v_xor_b32_e32 v187, 0x80000000, v187
.LBB89_149:
	s_and_not1_saveexec_b32 s3, s3
	s_cbranch_execz .LBB89_151
; %bb.150:
	v_div_scale_f64 v[184:185], null, v[180:181], v[180:181], v[182:183]
	v_div_scale_f64 v[190:191], vcc_lo, v[182:183], v[180:181], v[182:183]
	s_delay_alu instid0(VALU_DEP_2) | instskip(SKIP_2) | instid1(VALU_DEP_1)
	v_rcp_f64_e32 v[186:187], v[184:185]
	s_waitcnt_depctr 0xfff
	v_fma_f64 v[188:189], -v[184:185], v[186:187], 1.0
	v_fma_f64 v[186:187], v[186:187], v[188:189], v[186:187]
	s_delay_alu instid0(VALU_DEP_1) | instskip(NEXT) | instid1(VALU_DEP_1)
	v_fma_f64 v[188:189], -v[184:185], v[186:187], 1.0
	v_fma_f64 v[186:187], v[186:187], v[188:189], v[186:187]
	s_delay_alu instid0(VALU_DEP_1) | instskip(NEXT) | instid1(VALU_DEP_1)
	v_mul_f64 v[188:189], v[190:191], v[186:187]
	v_fma_f64 v[184:185], -v[184:185], v[188:189], v[190:191]
	s_delay_alu instid0(VALU_DEP_1) | instskip(NEXT) | instid1(VALU_DEP_1)
	v_div_fmas_f64 v[184:185], v[184:185], v[186:187], v[188:189]
	v_div_fixup_f64 v[184:185], v[184:185], v[180:181], v[182:183]
	s_delay_alu instid0(VALU_DEP_1) | instskip(NEXT) | instid1(VALU_DEP_1)
	v_fma_f64 v[180:181], v[182:183], v[184:185], v[180:181]
	v_div_scale_f64 v[182:183], null, v[180:181], v[180:181], 1.0
	s_delay_alu instid0(VALU_DEP_1) | instskip(SKIP_2) | instid1(VALU_DEP_1)
	v_rcp_f64_e32 v[186:187], v[182:183]
	s_waitcnt_depctr 0xfff
	v_fma_f64 v[188:189], -v[182:183], v[186:187], 1.0
	v_fma_f64 v[186:187], v[186:187], v[188:189], v[186:187]
	s_delay_alu instid0(VALU_DEP_1) | instskip(NEXT) | instid1(VALU_DEP_1)
	v_fma_f64 v[188:189], -v[182:183], v[186:187], 1.0
	v_fma_f64 v[186:187], v[186:187], v[188:189], v[186:187]
	v_div_scale_f64 v[188:189], vcc_lo, 1.0, v[180:181], 1.0
	s_delay_alu instid0(VALU_DEP_1) | instskip(NEXT) | instid1(VALU_DEP_1)
	v_mul_f64 v[190:191], v[188:189], v[186:187]
	v_fma_f64 v[182:183], -v[182:183], v[190:191], v[188:189]
	s_delay_alu instid0(VALU_DEP_1) | instskip(NEXT) | instid1(VALU_DEP_1)
	v_div_fmas_f64 v[182:183], v[182:183], v[186:187], v[190:191]
	v_div_fixup_f64 v[188:189], v[182:183], v[180:181], 1.0
	s_delay_alu instid0(VALU_DEP_1)
	v_mul_f64 v[186:187], v[184:185], -v[188:189]
.LBB89_151:
	s_or_b32 exec_lo, exec_lo, s3
	ds_store_2addr_b64 v211, v[188:189], v[186:187] offset1:1
.LBB89_152:
	s_or_b32 exec_lo, exec_lo, s4
	s_waitcnt lgkmcnt(0)
	s_barrier
	buffer_gl0_inv
	ds_load_2addr_b64 v[180:183], v211 offset1:1
	s_mov_b32 s3, exec_lo
	s_waitcnt lgkmcnt(0)
	scratch_store_b128 off, v[180:183], off offset:504 ; 16-byte Folded Spill
	v_cmpx_lt_u32_e32 16, v210
	s_cbranch_execz .LBB89_154
; %bb.153:
	scratch_load_b128 v[182:185], off, off offset:504 ; 16-byte Folded Reload
	s_waitcnt vmcnt(0)
	v_mul_f64 v[180:181], v[184:185], v[114:115]
	v_mul_f64 v[114:115], v[182:183], v[114:115]
	s_delay_alu instid0(VALU_DEP_2) | instskip(NEXT) | instid1(VALU_DEP_2)
	v_fma_f64 v[180:181], v[182:183], v[112:113], -v[180:181]
	v_fma_f64 v[114:115], v[184:185], v[112:113], v[114:115]
	ds_load_2addr_b64 v[182:185], v212 offset0:34 offset1:35
	s_waitcnt lgkmcnt(0)
	v_mul_f64 v[112:113], v[184:185], v[114:115]
	s_delay_alu instid0(VALU_DEP_1) | instskip(SKIP_1) | instid1(VALU_DEP_2)
	v_fma_f64 v[112:113], v[182:183], v[180:181], -v[112:113]
	v_mul_f64 v[182:183], v[182:183], v[114:115]
	v_add_f64 v[108:109], v[108:109], -v[112:113]
	s_delay_alu instid0(VALU_DEP_2) | instskip(NEXT) | instid1(VALU_DEP_1)
	v_fma_f64 v[182:183], v[184:185], v[180:181], v[182:183]
	v_add_f64 v[110:111], v[110:111], -v[182:183]
	ds_load_2addr_b64 v[182:185], v212 offset0:36 offset1:37
	s_waitcnt lgkmcnt(0)
	v_mul_f64 v[112:113], v[184:185], v[114:115]
	s_delay_alu instid0(VALU_DEP_1) | instskip(SKIP_1) | instid1(VALU_DEP_2)
	v_fma_f64 v[112:113], v[182:183], v[180:181], -v[112:113]
	v_mul_f64 v[182:183], v[182:183], v[114:115]
	v_add_f64 v[104:105], v[104:105], -v[112:113]
	s_delay_alu instid0(VALU_DEP_2) | instskip(NEXT) | instid1(VALU_DEP_1)
	v_fma_f64 v[182:183], v[184:185], v[180:181], v[182:183]
	v_add_f64 v[106:107], v[106:107], -v[182:183]
	;; [unrolled: 10-line block ×27, first 2 shown]
	ds_load_2addr_b64 v[182:185], v212 offset0:88 offset1:89
	s_waitcnt lgkmcnt(0)
	v_mul_f64 v[112:113], v[184:185], v[114:115]
	s_delay_alu instid0(VALU_DEP_1) | instskip(SKIP_1) | instid1(VALU_DEP_2)
	v_fma_f64 v[112:113], v[182:183], v[180:181], -v[112:113]
	v_mul_f64 v[182:183], v[182:183], v[114:115]
	v_add_f64 v[0:1], v[0:1], -v[112:113]
	s_delay_alu instid0(VALU_DEP_2) | instskip(SKIP_1) | instid1(VALU_DEP_2)
	v_fma_f64 v[182:183], v[184:185], v[180:181], v[182:183]
	v_dual_mov_b32 v112, v180 :: v_dual_mov_b32 v113, v181
	v_add_f64 v[2:3], v[2:3], -v[182:183]
.LBB89_154:
	s_or_b32 exec_lo, exec_lo, s3
	s_delay_alu instid0(SALU_CYCLE_1)
	s_mov_b32 s4, exec_lo
	s_waitcnt_vscnt null, 0x0
	s_barrier
	buffer_gl0_inv
	v_cmpx_eq_u32_e32 17, v210
	s_cbranch_execz .LBB89_161
; %bb.155:
	ds_store_2addr_b64 v211, v[108:109], v[110:111] offset1:1
	ds_store_2addr_b64 v212, v[104:105], v[106:107] offset0:36 offset1:37
	ds_store_2addr_b64 v212, v[100:101], v[102:103] offset0:38 offset1:39
	;; [unrolled: 1-line block ×27, first 2 shown]
	ds_load_2addr_b64 v[180:183], v211 offset1:1
	s_waitcnt lgkmcnt(0)
	v_cmp_neq_f64_e32 vcc_lo, 0, v[180:181]
	v_cmp_neq_f64_e64 s3, 0, v[182:183]
	s_delay_alu instid0(VALU_DEP_1) | instskip(NEXT) | instid1(SALU_CYCLE_1)
	s_or_b32 s3, vcc_lo, s3
	s_and_b32 exec_lo, exec_lo, s3
	s_cbranch_execz .LBB89_161
; %bb.156:
	v_cmp_gt_f64_e32 vcc_lo, 0, v[180:181]
	v_xor_b32_e32 v184, 0x80000000, v181
	v_xor_b32_e32 v186, 0x80000000, v183
	s_mov_b32 s3, exec_lo
                                        ; implicit-def: $vgpr188_vgpr189
	s_delay_alu instid0(VALU_DEP_2) | instskip(SKIP_4) | instid1(VALU_DEP_1)
	v_cndmask_b32_e32 v185, v181, v184, vcc_lo
	v_cndmask_b32_e32 v184, v180, v180, vcc_lo
	v_cmp_gt_f64_e32 vcc_lo, 0, v[182:183]
	v_cndmask_b32_e32 v187, v183, v186, vcc_lo
	v_cndmask_b32_e32 v186, v182, v182, vcc_lo
	v_cmpx_ngt_f64_e32 v[184:185], v[186:187]
	s_xor_b32 s3, exec_lo, s3
                                        ; implicit-def: $vgpr184_vgpr185_vgpr186_vgpr187
	s_cbranch_execz .LBB89_158
; %bb.157:
	v_div_scale_f64 v[184:185], null, v[182:183], v[182:183], v[180:181]
	v_div_scale_f64 v[190:191], vcc_lo, v[180:181], v[182:183], v[180:181]
	s_delay_alu instid0(VALU_DEP_2) | instskip(SKIP_2) | instid1(VALU_DEP_1)
	v_rcp_f64_e32 v[186:187], v[184:185]
	s_waitcnt_depctr 0xfff
	v_fma_f64 v[188:189], -v[184:185], v[186:187], 1.0
	v_fma_f64 v[186:187], v[186:187], v[188:189], v[186:187]
	s_delay_alu instid0(VALU_DEP_1) | instskip(NEXT) | instid1(VALU_DEP_1)
	v_fma_f64 v[188:189], -v[184:185], v[186:187], 1.0
	v_fma_f64 v[186:187], v[186:187], v[188:189], v[186:187]
	s_delay_alu instid0(VALU_DEP_1) | instskip(NEXT) | instid1(VALU_DEP_1)
	v_mul_f64 v[188:189], v[190:191], v[186:187]
	v_fma_f64 v[184:185], -v[184:185], v[188:189], v[190:191]
	s_delay_alu instid0(VALU_DEP_1) | instskip(NEXT) | instid1(VALU_DEP_1)
	v_div_fmas_f64 v[184:185], v[184:185], v[186:187], v[188:189]
	v_div_fixup_f64 v[184:185], v[184:185], v[182:183], v[180:181]
	s_delay_alu instid0(VALU_DEP_1) | instskip(NEXT) | instid1(VALU_DEP_1)
	v_fma_f64 v[180:181], v[180:181], v[184:185], v[182:183]
	v_div_scale_f64 v[182:183], null, v[180:181], v[180:181], 1.0
	s_delay_alu instid0(VALU_DEP_1) | instskip(SKIP_2) | instid1(VALU_DEP_1)
	v_rcp_f64_e32 v[186:187], v[182:183]
	s_waitcnt_depctr 0xfff
	v_fma_f64 v[188:189], -v[182:183], v[186:187], 1.0
	v_fma_f64 v[186:187], v[186:187], v[188:189], v[186:187]
	s_delay_alu instid0(VALU_DEP_1) | instskip(NEXT) | instid1(VALU_DEP_1)
	v_fma_f64 v[188:189], -v[182:183], v[186:187], 1.0
	v_fma_f64 v[186:187], v[186:187], v[188:189], v[186:187]
	v_div_scale_f64 v[188:189], vcc_lo, 1.0, v[180:181], 1.0
	s_delay_alu instid0(VALU_DEP_1) | instskip(NEXT) | instid1(VALU_DEP_1)
	v_mul_f64 v[190:191], v[188:189], v[186:187]
	v_fma_f64 v[182:183], -v[182:183], v[190:191], v[188:189]
	s_delay_alu instid0(VALU_DEP_1) | instskip(NEXT) | instid1(VALU_DEP_1)
	v_div_fmas_f64 v[182:183], v[182:183], v[186:187], v[190:191]
	v_div_fixup_f64 v[186:187], v[182:183], v[180:181], 1.0
                                        ; implicit-def: $vgpr180_vgpr181
	s_delay_alu instid0(VALU_DEP_1)
	v_mul_f64 v[188:189], v[184:185], v[186:187]
	v_xor_b32_e32 v187, 0x80000000, v187
.LBB89_158:
	s_and_not1_saveexec_b32 s3, s3
	s_cbranch_execz .LBB89_160
; %bb.159:
	v_div_scale_f64 v[184:185], null, v[180:181], v[180:181], v[182:183]
	v_div_scale_f64 v[190:191], vcc_lo, v[182:183], v[180:181], v[182:183]
	s_delay_alu instid0(VALU_DEP_2) | instskip(SKIP_2) | instid1(VALU_DEP_1)
	v_rcp_f64_e32 v[186:187], v[184:185]
	s_waitcnt_depctr 0xfff
	v_fma_f64 v[188:189], -v[184:185], v[186:187], 1.0
	v_fma_f64 v[186:187], v[186:187], v[188:189], v[186:187]
	s_delay_alu instid0(VALU_DEP_1) | instskip(NEXT) | instid1(VALU_DEP_1)
	v_fma_f64 v[188:189], -v[184:185], v[186:187], 1.0
	v_fma_f64 v[186:187], v[186:187], v[188:189], v[186:187]
	s_delay_alu instid0(VALU_DEP_1) | instskip(NEXT) | instid1(VALU_DEP_1)
	v_mul_f64 v[188:189], v[190:191], v[186:187]
	v_fma_f64 v[184:185], -v[184:185], v[188:189], v[190:191]
	s_delay_alu instid0(VALU_DEP_1) | instskip(NEXT) | instid1(VALU_DEP_1)
	v_div_fmas_f64 v[184:185], v[184:185], v[186:187], v[188:189]
	v_div_fixup_f64 v[184:185], v[184:185], v[180:181], v[182:183]
	s_delay_alu instid0(VALU_DEP_1) | instskip(NEXT) | instid1(VALU_DEP_1)
	v_fma_f64 v[180:181], v[182:183], v[184:185], v[180:181]
	v_div_scale_f64 v[182:183], null, v[180:181], v[180:181], 1.0
	s_delay_alu instid0(VALU_DEP_1) | instskip(SKIP_2) | instid1(VALU_DEP_1)
	v_rcp_f64_e32 v[186:187], v[182:183]
	s_waitcnt_depctr 0xfff
	v_fma_f64 v[188:189], -v[182:183], v[186:187], 1.0
	v_fma_f64 v[186:187], v[186:187], v[188:189], v[186:187]
	s_delay_alu instid0(VALU_DEP_1) | instskip(NEXT) | instid1(VALU_DEP_1)
	v_fma_f64 v[188:189], -v[182:183], v[186:187], 1.0
	v_fma_f64 v[186:187], v[186:187], v[188:189], v[186:187]
	v_div_scale_f64 v[188:189], vcc_lo, 1.0, v[180:181], 1.0
	s_delay_alu instid0(VALU_DEP_1) | instskip(NEXT) | instid1(VALU_DEP_1)
	v_mul_f64 v[190:191], v[188:189], v[186:187]
	v_fma_f64 v[182:183], -v[182:183], v[190:191], v[188:189]
	s_delay_alu instid0(VALU_DEP_1) | instskip(NEXT) | instid1(VALU_DEP_1)
	v_div_fmas_f64 v[182:183], v[182:183], v[186:187], v[190:191]
	v_div_fixup_f64 v[188:189], v[182:183], v[180:181], 1.0
	s_delay_alu instid0(VALU_DEP_1)
	v_mul_f64 v[186:187], v[184:185], -v[188:189]
.LBB89_160:
	s_or_b32 exec_lo, exec_lo, s3
	ds_store_2addr_b64 v211, v[188:189], v[186:187] offset1:1
.LBB89_161:
	s_or_b32 exec_lo, exec_lo, s4
	s_waitcnt lgkmcnt(0)
	s_barrier
	buffer_gl0_inv
	ds_load_2addr_b64 v[180:183], v211 offset1:1
	s_mov_b32 s3, exec_lo
	s_waitcnt lgkmcnt(0)
	scratch_store_b128 off, v[180:183], off offset:520 ; 16-byte Folded Spill
	v_cmpx_lt_u32_e32 17, v210
	s_cbranch_execz .LBB89_163
; %bb.162:
	scratch_load_b128 v[182:185], off, off offset:520 ; 16-byte Folded Reload
	s_waitcnt vmcnt(0)
	v_mul_f64 v[180:181], v[184:185], v[110:111]
	v_mul_f64 v[110:111], v[182:183], v[110:111]
	s_delay_alu instid0(VALU_DEP_2) | instskip(NEXT) | instid1(VALU_DEP_2)
	v_fma_f64 v[180:181], v[182:183], v[108:109], -v[180:181]
	v_fma_f64 v[110:111], v[184:185], v[108:109], v[110:111]
	ds_load_2addr_b64 v[182:185], v212 offset0:36 offset1:37
	s_waitcnt lgkmcnt(0)
	v_mul_f64 v[108:109], v[184:185], v[110:111]
	s_delay_alu instid0(VALU_DEP_1) | instskip(SKIP_1) | instid1(VALU_DEP_2)
	v_fma_f64 v[108:109], v[182:183], v[180:181], -v[108:109]
	v_mul_f64 v[182:183], v[182:183], v[110:111]
	v_add_f64 v[104:105], v[104:105], -v[108:109]
	s_delay_alu instid0(VALU_DEP_2) | instskip(NEXT) | instid1(VALU_DEP_1)
	v_fma_f64 v[182:183], v[184:185], v[180:181], v[182:183]
	v_add_f64 v[106:107], v[106:107], -v[182:183]
	ds_load_2addr_b64 v[182:185], v212 offset0:38 offset1:39
	s_waitcnt lgkmcnt(0)
	v_mul_f64 v[108:109], v[184:185], v[110:111]
	s_delay_alu instid0(VALU_DEP_1) | instskip(SKIP_1) | instid1(VALU_DEP_2)
	v_fma_f64 v[108:109], v[182:183], v[180:181], -v[108:109]
	v_mul_f64 v[182:183], v[182:183], v[110:111]
	v_add_f64 v[100:101], v[100:101], -v[108:109]
	s_delay_alu instid0(VALU_DEP_2) | instskip(NEXT) | instid1(VALU_DEP_1)
	v_fma_f64 v[182:183], v[184:185], v[180:181], v[182:183]
	v_add_f64 v[102:103], v[102:103], -v[182:183]
	;; [unrolled: 10-line block ×26, first 2 shown]
	ds_load_2addr_b64 v[182:185], v212 offset0:88 offset1:89
	s_waitcnt lgkmcnt(0)
	v_mul_f64 v[108:109], v[184:185], v[110:111]
	s_delay_alu instid0(VALU_DEP_1) | instskip(SKIP_1) | instid1(VALU_DEP_2)
	v_fma_f64 v[108:109], v[182:183], v[180:181], -v[108:109]
	v_mul_f64 v[182:183], v[182:183], v[110:111]
	v_add_f64 v[0:1], v[0:1], -v[108:109]
	s_delay_alu instid0(VALU_DEP_2) | instskip(SKIP_1) | instid1(VALU_DEP_2)
	v_fma_f64 v[182:183], v[184:185], v[180:181], v[182:183]
	v_dual_mov_b32 v108, v180 :: v_dual_mov_b32 v109, v181
	v_add_f64 v[2:3], v[2:3], -v[182:183]
.LBB89_163:
	s_or_b32 exec_lo, exec_lo, s3
	s_delay_alu instid0(SALU_CYCLE_1)
	s_mov_b32 s4, exec_lo
	s_waitcnt_vscnt null, 0x0
	s_barrier
	buffer_gl0_inv
	v_cmpx_eq_u32_e32 18, v210
	s_cbranch_execz .LBB89_170
; %bb.164:
	ds_store_2addr_b64 v211, v[104:105], v[106:107] offset1:1
	ds_store_2addr_b64 v212, v[100:101], v[102:103] offset0:38 offset1:39
	ds_store_2addr_b64 v212, v[96:97], v[98:99] offset0:40 offset1:41
	;; [unrolled: 1-line block ×26, first 2 shown]
	ds_load_2addr_b64 v[180:183], v211 offset1:1
	s_waitcnt lgkmcnt(0)
	v_cmp_neq_f64_e32 vcc_lo, 0, v[180:181]
	v_cmp_neq_f64_e64 s3, 0, v[182:183]
	s_delay_alu instid0(VALU_DEP_1) | instskip(NEXT) | instid1(SALU_CYCLE_1)
	s_or_b32 s3, vcc_lo, s3
	s_and_b32 exec_lo, exec_lo, s3
	s_cbranch_execz .LBB89_170
; %bb.165:
	v_cmp_gt_f64_e32 vcc_lo, 0, v[180:181]
	v_xor_b32_e32 v184, 0x80000000, v181
	v_xor_b32_e32 v186, 0x80000000, v183
	s_mov_b32 s3, exec_lo
                                        ; implicit-def: $vgpr188_vgpr189
	s_delay_alu instid0(VALU_DEP_2) | instskip(SKIP_4) | instid1(VALU_DEP_1)
	v_cndmask_b32_e32 v185, v181, v184, vcc_lo
	v_cndmask_b32_e32 v184, v180, v180, vcc_lo
	v_cmp_gt_f64_e32 vcc_lo, 0, v[182:183]
	v_cndmask_b32_e32 v187, v183, v186, vcc_lo
	v_cndmask_b32_e32 v186, v182, v182, vcc_lo
	v_cmpx_ngt_f64_e32 v[184:185], v[186:187]
	s_xor_b32 s3, exec_lo, s3
                                        ; implicit-def: $vgpr184_vgpr185_vgpr186_vgpr187
	s_cbranch_execz .LBB89_167
; %bb.166:
	v_div_scale_f64 v[184:185], null, v[182:183], v[182:183], v[180:181]
	v_div_scale_f64 v[190:191], vcc_lo, v[180:181], v[182:183], v[180:181]
	s_delay_alu instid0(VALU_DEP_2) | instskip(SKIP_2) | instid1(VALU_DEP_1)
	v_rcp_f64_e32 v[186:187], v[184:185]
	s_waitcnt_depctr 0xfff
	v_fma_f64 v[188:189], -v[184:185], v[186:187], 1.0
	v_fma_f64 v[186:187], v[186:187], v[188:189], v[186:187]
	s_delay_alu instid0(VALU_DEP_1) | instskip(NEXT) | instid1(VALU_DEP_1)
	v_fma_f64 v[188:189], -v[184:185], v[186:187], 1.0
	v_fma_f64 v[186:187], v[186:187], v[188:189], v[186:187]
	s_delay_alu instid0(VALU_DEP_1) | instskip(NEXT) | instid1(VALU_DEP_1)
	v_mul_f64 v[188:189], v[190:191], v[186:187]
	v_fma_f64 v[184:185], -v[184:185], v[188:189], v[190:191]
	s_delay_alu instid0(VALU_DEP_1) | instskip(NEXT) | instid1(VALU_DEP_1)
	v_div_fmas_f64 v[184:185], v[184:185], v[186:187], v[188:189]
	v_div_fixup_f64 v[184:185], v[184:185], v[182:183], v[180:181]
	s_delay_alu instid0(VALU_DEP_1) | instskip(NEXT) | instid1(VALU_DEP_1)
	v_fma_f64 v[180:181], v[180:181], v[184:185], v[182:183]
	v_div_scale_f64 v[182:183], null, v[180:181], v[180:181], 1.0
	s_delay_alu instid0(VALU_DEP_1) | instskip(SKIP_2) | instid1(VALU_DEP_1)
	v_rcp_f64_e32 v[186:187], v[182:183]
	s_waitcnt_depctr 0xfff
	v_fma_f64 v[188:189], -v[182:183], v[186:187], 1.0
	v_fma_f64 v[186:187], v[186:187], v[188:189], v[186:187]
	s_delay_alu instid0(VALU_DEP_1) | instskip(NEXT) | instid1(VALU_DEP_1)
	v_fma_f64 v[188:189], -v[182:183], v[186:187], 1.0
	v_fma_f64 v[186:187], v[186:187], v[188:189], v[186:187]
	v_div_scale_f64 v[188:189], vcc_lo, 1.0, v[180:181], 1.0
	s_delay_alu instid0(VALU_DEP_1) | instskip(NEXT) | instid1(VALU_DEP_1)
	v_mul_f64 v[190:191], v[188:189], v[186:187]
	v_fma_f64 v[182:183], -v[182:183], v[190:191], v[188:189]
	s_delay_alu instid0(VALU_DEP_1) | instskip(NEXT) | instid1(VALU_DEP_1)
	v_div_fmas_f64 v[182:183], v[182:183], v[186:187], v[190:191]
	v_div_fixup_f64 v[186:187], v[182:183], v[180:181], 1.0
                                        ; implicit-def: $vgpr180_vgpr181
	s_delay_alu instid0(VALU_DEP_1)
	v_mul_f64 v[188:189], v[184:185], v[186:187]
	v_xor_b32_e32 v187, 0x80000000, v187
.LBB89_167:
	s_and_not1_saveexec_b32 s3, s3
	s_cbranch_execz .LBB89_169
; %bb.168:
	v_div_scale_f64 v[184:185], null, v[180:181], v[180:181], v[182:183]
	v_div_scale_f64 v[190:191], vcc_lo, v[182:183], v[180:181], v[182:183]
	s_delay_alu instid0(VALU_DEP_2) | instskip(SKIP_2) | instid1(VALU_DEP_1)
	v_rcp_f64_e32 v[186:187], v[184:185]
	s_waitcnt_depctr 0xfff
	v_fma_f64 v[188:189], -v[184:185], v[186:187], 1.0
	v_fma_f64 v[186:187], v[186:187], v[188:189], v[186:187]
	s_delay_alu instid0(VALU_DEP_1) | instskip(NEXT) | instid1(VALU_DEP_1)
	v_fma_f64 v[188:189], -v[184:185], v[186:187], 1.0
	v_fma_f64 v[186:187], v[186:187], v[188:189], v[186:187]
	s_delay_alu instid0(VALU_DEP_1) | instskip(NEXT) | instid1(VALU_DEP_1)
	v_mul_f64 v[188:189], v[190:191], v[186:187]
	v_fma_f64 v[184:185], -v[184:185], v[188:189], v[190:191]
	s_delay_alu instid0(VALU_DEP_1) | instskip(NEXT) | instid1(VALU_DEP_1)
	v_div_fmas_f64 v[184:185], v[184:185], v[186:187], v[188:189]
	v_div_fixup_f64 v[184:185], v[184:185], v[180:181], v[182:183]
	s_delay_alu instid0(VALU_DEP_1) | instskip(NEXT) | instid1(VALU_DEP_1)
	v_fma_f64 v[180:181], v[182:183], v[184:185], v[180:181]
	v_div_scale_f64 v[182:183], null, v[180:181], v[180:181], 1.0
	s_delay_alu instid0(VALU_DEP_1) | instskip(SKIP_2) | instid1(VALU_DEP_1)
	v_rcp_f64_e32 v[186:187], v[182:183]
	s_waitcnt_depctr 0xfff
	v_fma_f64 v[188:189], -v[182:183], v[186:187], 1.0
	v_fma_f64 v[186:187], v[186:187], v[188:189], v[186:187]
	s_delay_alu instid0(VALU_DEP_1) | instskip(NEXT) | instid1(VALU_DEP_1)
	v_fma_f64 v[188:189], -v[182:183], v[186:187], 1.0
	v_fma_f64 v[186:187], v[186:187], v[188:189], v[186:187]
	v_div_scale_f64 v[188:189], vcc_lo, 1.0, v[180:181], 1.0
	s_delay_alu instid0(VALU_DEP_1) | instskip(NEXT) | instid1(VALU_DEP_1)
	v_mul_f64 v[190:191], v[188:189], v[186:187]
	v_fma_f64 v[182:183], -v[182:183], v[190:191], v[188:189]
	s_delay_alu instid0(VALU_DEP_1) | instskip(NEXT) | instid1(VALU_DEP_1)
	v_div_fmas_f64 v[182:183], v[182:183], v[186:187], v[190:191]
	v_div_fixup_f64 v[188:189], v[182:183], v[180:181], 1.0
	s_delay_alu instid0(VALU_DEP_1)
	v_mul_f64 v[186:187], v[184:185], -v[188:189]
.LBB89_169:
	s_or_b32 exec_lo, exec_lo, s3
	ds_store_2addr_b64 v211, v[188:189], v[186:187] offset1:1
.LBB89_170:
	s_or_b32 exec_lo, exec_lo, s4
	s_waitcnt lgkmcnt(0)
	s_barrier
	buffer_gl0_inv
	ds_load_2addr_b64 v[180:183], v211 offset1:1
	s_mov_b32 s3, exec_lo
	s_waitcnt lgkmcnt(0)
	scratch_store_b128 off, v[180:183], off offset:536 ; 16-byte Folded Spill
	v_cmpx_lt_u32_e32 18, v210
	s_cbranch_execz .LBB89_172
; %bb.171:
	scratch_load_b128 v[182:185], off, off offset:536 ; 16-byte Folded Reload
	s_waitcnt vmcnt(0)
	v_mul_f64 v[180:181], v[184:185], v[106:107]
	v_mul_f64 v[106:107], v[182:183], v[106:107]
	s_delay_alu instid0(VALU_DEP_2) | instskip(NEXT) | instid1(VALU_DEP_2)
	v_fma_f64 v[180:181], v[182:183], v[104:105], -v[180:181]
	v_fma_f64 v[106:107], v[184:185], v[104:105], v[106:107]
	ds_load_2addr_b64 v[182:185], v212 offset0:38 offset1:39
	s_waitcnt lgkmcnt(0)
	v_mul_f64 v[104:105], v[184:185], v[106:107]
	s_delay_alu instid0(VALU_DEP_1) | instskip(SKIP_1) | instid1(VALU_DEP_2)
	v_fma_f64 v[104:105], v[182:183], v[180:181], -v[104:105]
	v_mul_f64 v[182:183], v[182:183], v[106:107]
	v_add_f64 v[100:101], v[100:101], -v[104:105]
	s_delay_alu instid0(VALU_DEP_2) | instskip(NEXT) | instid1(VALU_DEP_1)
	v_fma_f64 v[182:183], v[184:185], v[180:181], v[182:183]
	v_add_f64 v[102:103], v[102:103], -v[182:183]
	ds_load_2addr_b64 v[182:185], v212 offset0:40 offset1:41
	s_waitcnt lgkmcnt(0)
	v_mul_f64 v[104:105], v[184:185], v[106:107]
	s_delay_alu instid0(VALU_DEP_1) | instskip(SKIP_1) | instid1(VALU_DEP_2)
	v_fma_f64 v[104:105], v[182:183], v[180:181], -v[104:105]
	v_mul_f64 v[182:183], v[182:183], v[106:107]
	v_add_f64 v[96:97], v[96:97], -v[104:105]
	s_delay_alu instid0(VALU_DEP_2) | instskip(NEXT) | instid1(VALU_DEP_1)
	v_fma_f64 v[182:183], v[184:185], v[180:181], v[182:183]
	v_add_f64 v[98:99], v[98:99], -v[182:183]
	;; [unrolled: 10-line block ×25, first 2 shown]
	ds_load_2addr_b64 v[182:185], v212 offset0:88 offset1:89
	s_waitcnt lgkmcnt(0)
	v_mul_f64 v[104:105], v[184:185], v[106:107]
	s_delay_alu instid0(VALU_DEP_1) | instskip(SKIP_1) | instid1(VALU_DEP_2)
	v_fma_f64 v[104:105], v[182:183], v[180:181], -v[104:105]
	v_mul_f64 v[182:183], v[182:183], v[106:107]
	v_add_f64 v[0:1], v[0:1], -v[104:105]
	s_delay_alu instid0(VALU_DEP_2) | instskip(SKIP_1) | instid1(VALU_DEP_2)
	v_fma_f64 v[182:183], v[184:185], v[180:181], v[182:183]
	v_dual_mov_b32 v104, v180 :: v_dual_mov_b32 v105, v181
	v_add_f64 v[2:3], v[2:3], -v[182:183]
.LBB89_172:
	s_or_b32 exec_lo, exec_lo, s3
	s_delay_alu instid0(SALU_CYCLE_1)
	s_mov_b32 s4, exec_lo
	s_waitcnt_vscnt null, 0x0
	s_barrier
	buffer_gl0_inv
	v_cmpx_eq_u32_e32 19, v210
	s_cbranch_execz .LBB89_179
; %bb.173:
	ds_store_2addr_b64 v211, v[100:101], v[102:103] offset1:1
	ds_store_2addr_b64 v212, v[96:97], v[98:99] offset0:40 offset1:41
	ds_store_2addr_b64 v212, v[92:93], v[94:95] offset0:42 offset1:43
	;; [unrolled: 1-line block ×25, first 2 shown]
	ds_load_2addr_b64 v[180:183], v211 offset1:1
	s_waitcnt lgkmcnt(0)
	v_cmp_neq_f64_e32 vcc_lo, 0, v[180:181]
	v_cmp_neq_f64_e64 s3, 0, v[182:183]
	s_delay_alu instid0(VALU_DEP_1) | instskip(NEXT) | instid1(SALU_CYCLE_1)
	s_or_b32 s3, vcc_lo, s3
	s_and_b32 exec_lo, exec_lo, s3
	s_cbranch_execz .LBB89_179
; %bb.174:
	v_cmp_gt_f64_e32 vcc_lo, 0, v[180:181]
	v_xor_b32_e32 v184, 0x80000000, v181
	v_xor_b32_e32 v186, 0x80000000, v183
	s_mov_b32 s3, exec_lo
                                        ; implicit-def: $vgpr188_vgpr189
	s_delay_alu instid0(VALU_DEP_2) | instskip(SKIP_4) | instid1(VALU_DEP_1)
	v_cndmask_b32_e32 v185, v181, v184, vcc_lo
	v_cndmask_b32_e32 v184, v180, v180, vcc_lo
	v_cmp_gt_f64_e32 vcc_lo, 0, v[182:183]
	v_cndmask_b32_e32 v187, v183, v186, vcc_lo
	v_cndmask_b32_e32 v186, v182, v182, vcc_lo
	v_cmpx_ngt_f64_e32 v[184:185], v[186:187]
	s_xor_b32 s3, exec_lo, s3
                                        ; implicit-def: $vgpr184_vgpr185_vgpr186_vgpr187
	s_cbranch_execz .LBB89_176
; %bb.175:
	v_div_scale_f64 v[184:185], null, v[182:183], v[182:183], v[180:181]
	v_div_scale_f64 v[190:191], vcc_lo, v[180:181], v[182:183], v[180:181]
	s_delay_alu instid0(VALU_DEP_2) | instskip(SKIP_2) | instid1(VALU_DEP_1)
	v_rcp_f64_e32 v[186:187], v[184:185]
	s_waitcnt_depctr 0xfff
	v_fma_f64 v[188:189], -v[184:185], v[186:187], 1.0
	v_fma_f64 v[186:187], v[186:187], v[188:189], v[186:187]
	s_delay_alu instid0(VALU_DEP_1) | instskip(NEXT) | instid1(VALU_DEP_1)
	v_fma_f64 v[188:189], -v[184:185], v[186:187], 1.0
	v_fma_f64 v[186:187], v[186:187], v[188:189], v[186:187]
	s_delay_alu instid0(VALU_DEP_1) | instskip(NEXT) | instid1(VALU_DEP_1)
	v_mul_f64 v[188:189], v[190:191], v[186:187]
	v_fma_f64 v[184:185], -v[184:185], v[188:189], v[190:191]
	s_delay_alu instid0(VALU_DEP_1) | instskip(NEXT) | instid1(VALU_DEP_1)
	v_div_fmas_f64 v[184:185], v[184:185], v[186:187], v[188:189]
	v_div_fixup_f64 v[184:185], v[184:185], v[182:183], v[180:181]
	s_delay_alu instid0(VALU_DEP_1) | instskip(NEXT) | instid1(VALU_DEP_1)
	v_fma_f64 v[180:181], v[180:181], v[184:185], v[182:183]
	v_div_scale_f64 v[182:183], null, v[180:181], v[180:181], 1.0
	s_delay_alu instid0(VALU_DEP_1) | instskip(SKIP_2) | instid1(VALU_DEP_1)
	v_rcp_f64_e32 v[186:187], v[182:183]
	s_waitcnt_depctr 0xfff
	v_fma_f64 v[188:189], -v[182:183], v[186:187], 1.0
	v_fma_f64 v[186:187], v[186:187], v[188:189], v[186:187]
	s_delay_alu instid0(VALU_DEP_1) | instskip(NEXT) | instid1(VALU_DEP_1)
	v_fma_f64 v[188:189], -v[182:183], v[186:187], 1.0
	v_fma_f64 v[186:187], v[186:187], v[188:189], v[186:187]
	v_div_scale_f64 v[188:189], vcc_lo, 1.0, v[180:181], 1.0
	s_delay_alu instid0(VALU_DEP_1) | instskip(NEXT) | instid1(VALU_DEP_1)
	v_mul_f64 v[190:191], v[188:189], v[186:187]
	v_fma_f64 v[182:183], -v[182:183], v[190:191], v[188:189]
	s_delay_alu instid0(VALU_DEP_1) | instskip(NEXT) | instid1(VALU_DEP_1)
	v_div_fmas_f64 v[182:183], v[182:183], v[186:187], v[190:191]
	v_div_fixup_f64 v[186:187], v[182:183], v[180:181], 1.0
                                        ; implicit-def: $vgpr180_vgpr181
	s_delay_alu instid0(VALU_DEP_1)
	v_mul_f64 v[188:189], v[184:185], v[186:187]
	v_xor_b32_e32 v187, 0x80000000, v187
.LBB89_176:
	s_and_not1_saveexec_b32 s3, s3
	s_cbranch_execz .LBB89_178
; %bb.177:
	v_div_scale_f64 v[184:185], null, v[180:181], v[180:181], v[182:183]
	v_div_scale_f64 v[190:191], vcc_lo, v[182:183], v[180:181], v[182:183]
	s_delay_alu instid0(VALU_DEP_2) | instskip(SKIP_2) | instid1(VALU_DEP_1)
	v_rcp_f64_e32 v[186:187], v[184:185]
	s_waitcnt_depctr 0xfff
	v_fma_f64 v[188:189], -v[184:185], v[186:187], 1.0
	v_fma_f64 v[186:187], v[186:187], v[188:189], v[186:187]
	s_delay_alu instid0(VALU_DEP_1) | instskip(NEXT) | instid1(VALU_DEP_1)
	v_fma_f64 v[188:189], -v[184:185], v[186:187], 1.0
	v_fma_f64 v[186:187], v[186:187], v[188:189], v[186:187]
	s_delay_alu instid0(VALU_DEP_1) | instskip(NEXT) | instid1(VALU_DEP_1)
	v_mul_f64 v[188:189], v[190:191], v[186:187]
	v_fma_f64 v[184:185], -v[184:185], v[188:189], v[190:191]
	s_delay_alu instid0(VALU_DEP_1) | instskip(NEXT) | instid1(VALU_DEP_1)
	v_div_fmas_f64 v[184:185], v[184:185], v[186:187], v[188:189]
	v_div_fixup_f64 v[184:185], v[184:185], v[180:181], v[182:183]
	s_delay_alu instid0(VALU_DEP_1) | instskip(NEXT) | instid1(VALU_DEP_1)
	v_fma_f64 v[180:181], v[182:183], v[184:185], v[180:181]
	v_div_scale_f64 v[182:183], null, v[180:181], v[180:181], 1.0
	s_delay_alu instid0(VALU_DEP_1) | instskip(SKIP_2) | instid1(VALU_DEP_1)
	v_rcp_f64_e32 v[186:187], v[182:183]
	s_waitcnt_depctr 0xfff
	v_fma_f64 v[188:189], -v[182:183], v[186:187], 1.0
	v_fma_f64 v[186:187], v[186:187], v[188:189], v[186:187]
	s_delay_alu instid0(VALU_DEP_1) | instskip(NEXT) | instid1(VALU_DEP_1)
	v_fma_f64 v[188:189], -v[182:183], v[186:187], 1.0
	v_fma_f64 v[186:187], v[186:187], v[188:189], v[186:187]
	v_div_scale_f64 v[188:189], vcc_lo, 1.0, v[180:181], 1.0
	s_delay_alu instid0(VALU_DEP_1) | instskip(NEXT) | instid1(VALU_DEP_1)
	v_mul_f64 v[190:191], v[188:189], v[186:187]
	v_fma_f64 v[182:183], -v[182:183], v[190:191], v[188:189]
	s_delay_alu instid0(VALU_DEP_1) | instskip(NEXT) | instid1(VALU_DEP_1)
	v_div_fmas_f64 v[182:183], v[182:183], v[186:187], v[190:191]
	v_div_fixup_f64 v[188:189], v[182:183], v[180:181], 1.0
	s_delay_alu instid0(VALU_DEP_1)
	v_mul_f64 v[186:187], v[184:185], -v[188:189]
.LBB89_178:
	s_or_b32 exec_lo, exec_lo, s3
	ds_store_2addr_b64 v211, v[188:189], v[186:187] offset1:1
.LBB89_179:
	s_or_b32 exec_lo, exec_lo, s4
	s_waitcnt lgkmcnt(0)
	s_barrier
	buffer_gl0_inv
	ds_load_2addr_b64 v[180:183], v211 offset1:1
	s_mov_b32 s3, exec_lo
	s_waitcnt lgkmcnt(0)
	scratch_store_b128 off, v[180:183], off offset:560 ; 16-byte Folded Spill
	v_cmpx_lt_u32_e32 19, v210
	s_cbranch_execz .LBB89_181
; %bb.180:
	scratch_load_b128 v[182:185], off, off offset:560 ; 16-byte Folded Reload
	s_waitcnt vmcnt(0)
	v_mul_f64 v[180:181], v[184:185], v[102:103]
	v_mul_f64 v[102:103], v[182:183], v[102:103]
	s_delay_alu instid0(VALU_DEP_2) | instskip(NEXT) | instid1(VALU_DEP_2)
	v_fma_f64 v[180:181], v[182:183], v[100:101], -v[180:181]
	v_fma_f64 v[102:103], v[184:185], v[100:101], v[102:103]
	ds_load_2addr_b64 v[182:185], v212 offset0:40 offset1:41
	s_waitcnt lgkmcnt(0)
	v_mul_f64 v[100:101], v[184:185], v[102:103]
	s_delay_alu instid0(VALU_DEP_1) | instskip(SKIP_1) | instid1(VALU_DEP_2)
	v_fma_f64 v[100:101], v[182:183], v[180:181], -v[100:101]
	v_mul_f64 v[182:183], v[182:183], v[102:103]
	v_add_f64 v[96:97], v[96:97], -v[100:101]
	s_delay_alu instid0(VALU_DEP_2) | instskip(NEXT) | instid1(VALU_DEP_1)
	v_fma_f64 v[182:183], v[184:185], v[180:181], v[182:183]
	v_add_f64 v[98:99], v[98:99], -v[182:183]
	ds_load_2addr_b64 v[182:185], v212 offset0:42 offset1:43
	s_waitcnt lgkmcnt(0)
	v_mul_f64 v[100:101], v[184:185], v[102:103]
	s_delay_alu instid0(VALU_DEP_1) | instskip(SKIP_1) | instid1(VALU_DEP_2)
	v_fma_f64 v[100:101], v[182:183], v[180:181], -v[100:101]
	v_mul_f64 v[182:183], v[182:183], v[102:103]
	v_add_f64 v[92:93], v[92:93], -v[100:101]
	s_delay_alu instid0(VALU_DEP_2) | instskip(NEXT) | instid1(VALU_DEP_1)
	v_fma_f64 v[182:183], v[184:185], v[180:181], v[182:183]
	v_add_f64 v[94:95], v[94:95], -v[182:183]
	;; [unrolled: 10-line block ×24, first 2 shown]
	ds_load_2addr_b64 v[182:185], v212 offset0:88 offset1:89
	s_waitcnt lgkmcnt(0)
	v_mul_f64 v[100:101], v[184:185], v[102:103]
	s_delay_alu instid0(VALU_DEP_1) | instskip(SKIP_1) | instid1(VALU_DEP_2)
	v_fma_f64 v[100:101], v[182:183], v[180:181], -v[100:101]
	v_mul_f64 v[182:183], v[182:183], v[102:103]
	v_add_f64 v[0:1], v[0:1], -v[100:101]
	s_delay_alu instid0(VALU_DEP_2) | instskip(SKIP_1) | instid1(VALU_DEP_2)
	v_fma_f64 v[182:183], v[184:185], v[180:181], v[182:183]
	v_dual_mov_b32 v100, v180 :: v_dual_mov_b32 v101, v181
	v_add_f64 v[2:3], v[2:3], -v[182:183]
.LBB89_181:
	s_or_b32 exec_lo, exec_lo, s3
	s_delay_alu instid0(SALU_CYCLE_1)
	s_mov_b32 s4, exec_lo
	s_waitcnt_vscnt null, 0x0
	s_barrier
	buffer_gl0_inv
	v_cmpx_eq_u32_e32 20, v210
	s_cbranch_execz .LBB89_188
; %bb.182:
	ds_store_2addr_b64 v211, v[96:97], v[98:99] offset1:1
	ds_store_2addr_b64 v212, v[92:93], v[94:95] offset0:42 offset1:43
	ds_store_2addr_b64 v212, v[88:89], v[90:91] offset0:44 offset1:45
	;; [unrolled: 1-line block ×24, first 2 shown]
	ds_load_2addr_b64 v[180:183], v211 offset1:1
	s_waitcnt lgkmcnt(0)
	v_cmp_neq_f64_e32 vcc_lo, 0, v[180:181]
	v_cmp_neq_f64_e64 s3, 0, v[182:183]
	s_delay_alu instid0(VALU_DEP_1) | instskip(NEXT) | instid1(SALU_CYCLE_1)
	s_or_b32 s3, vcc_lo, s3
	s_and_b32 exec_lo, exec_lo, s3
	s_cbranch_execz .LBB89_188
; %bb.183:
	v_cmp_gt_f64_e32 vcc_lo, 0, v[180:181]
	v_xor_b32_e32 v184, 0x80000000, v181
	v_xor_b32_e32 v186, 0x80000000, v183
	s_mov_b32 s3, exec_lo
                                        ; implicit-def: $vgpr188_vgpr189
	s_delay_alu instid0(VALU_DEP_2) | instskip(SKIP_4) | instid1(VALU_DEP_1)
	v_cndmask_b32_e32 v185, v181, v184, vcc_lo
	v_cndmask_b32_e32 v184, v180, v180, vcc_lo
	v_cmp_gt_f64_e32 vcc_lo, 0, v[182:183]
	v_cndmask_b32_e32 v187, v183, v186, vcc_lo
	v_cndmask_b32_e32 v186, v182, v182, vcc_lo
	v_cmpx_ngt_f64_e32 v[184:185], v[186:187]
	s_xor_b32 s3, exec_lo, s3
                                        ; implicit-def: $vgpr184_vgpr185_vgpr186_vgpr187
	s_cbranch_execz .LBB89_185
; %bb.184:
	v_div_scale_f64 v[184:185], null, v[182:183], v[182:183], v[180:181]
	v_div_scale_f64 v[190:191], vcc_lo, v[180:181], v[182:183], v[180:181]
	s_delay_alu instid0(VALU_DEP_2) | instskip(SKIP_2) | instid1(VALU_DEP_1)
	v_rcp_f64_e32 v[186:187], v[184:185]
	s_waitcnt_depctr 0xfff
	v_fma_f64 v[188:189], -v[184:185], v[186:187], 1.0
	v_fma_f64 v[186:187], v[186:187], v[188:189], v[186:187]
	s_delay_alu instid0(VALU_DEP_1) | instskip(NEXT) | instid1(VALU_DEP_1)
	v_fma_f64 v[188:189], -v[184:185], v[186:187], 1.0
	v_fma_f64 v[186:187], v[186:187], v[188:189], v[186:187]
	s_delay_alu instid0(VALU_DEP_1) | instskip(NEXT) | instid1(VALU_DEP_1)
	v_mul_f64 v[188:189], v[190:191], v[186:187]
	v_fma_f64 v[184:185], -v[184:185], v[188:189], v[190:191]
	s_delay_alu instid0(VALU_DEP_1) | instskip(NEXT) | instid1(VALU_DEP_1)
	v_div_fmas_f64 v[184:185], v[184:185], v[186:187], v[188:189]
	v_div_fixup_f64 v[184:185], v[184:185], v[182:183], v[180:181]
	s_delay_alu instid0(VALU_DEP_1) | instskip(NEXT) | instid1(VALU_DEP_1)
	v_fma_f64 v[180:181], v[180:181], v[184:185], v[182:183]
	v_div_scale_f64 v[182:183], null, v[180:181], v[180:181], 1.0
	s_delay_alu instid0(VALU_DEP_1) | instskip(SKIP_2) | instid1(VALU_DEP_1)
	v_rcp_f64_e32 v[186:187], v[182:183]
	s_waitcnt_depctr 0xfff
	v_fma_f64 v[188:189], -v[182:183], v[186:187], 1.0
	v_fma_f64 v[186:187], v[186:187], v[188:189], v[186:187]
	s_delay_alu instid0(VALU_DEP_1) | instskip(NEXT) | instid1(VALU_DEP_1)
	v_fma_f64 v[188:189], -v[182:183], v[186:187], 1.0
	v_fma_f64 v[186:187], v[186:187], v[188:189], v[186:187]
	v_div_scale_f64 v[188:189], vcc_lo, 1.0, v[180:181], 1.0
	s_delay_alu instid0(VALU_DEP_1) | instskip(NEXT) | instid1(VALU_DEP_1)
	v_mul_f64 v[190:191], v[188:189], v[186:187]
	v_fma_f64 v[182:183], -v[182:183], v[190:191], v[188:189]
	s_delay_alu instid0(VALU_DEP_1) | instskip(NEXT) | instid1(VALU_DEP_1)
	v_div_fmas_f64 v[182:183], v[182:183], v[186:187], v[190:191]
	v_div_fixup_f64 v[186:187], v[182:183], v[180:181], 1.0
                                        ; implicit-def: $vgpr180_vgpr181
	s_delay_alu instid0(VALU_DEP_1)
	v_mul_f64 v[188:189], v[184:185], v[186:187]
	v_xor_b32_e32 v187, 0x80000000, v187
.LBB89_185:
	s_and_not1_saveexec_b32 s3, s3
	s_cbranch_execz .LBB89_187
; %bb.186:
	v_div_scale_f64 v[184:185], null, v[180:181], v[180:181], v[182:183]
	v_div_scale_f64 v[190:191], vcc_lo, v[182:183], v[180:181], v[182:183]
	s_delay_alu instid0(VALU_DEP_2) | instskip(SKIP_2) | instid1(VALU_DEP_1)
	v_rcp_f64_e32 v[186:187], v[184:185]
	s_waitcnt_depctr 0xfff
	v_fma_f64 v[188:189], -v[184:185], v[186:187], 1.0
	v_fma_f64 v[186:187], v[186:187], v[188:189], v[186:187]
	s_delay_alu instid0(VALU_DEP_1) | instskip(NEXT) | instid1(VALU_DEP_1)
	v_fma_f64 v[188:189], -v[184:185], v[186:187], 1.0
	v_fma_f64 v[186:187], v[186:187], v[188:189], v[186:187]
	s_delay_alu instid0(VALU_DEP_1) | instskip(NEXT) | instid1(VALU_DEP_1)
	v_mul_f64 v[188:189], v[190:191], v[186:187]
	v_fma_f64 v[184:185], -v[184:185], v[188:189], v[190:191]
	s_delay_alu instid0(VALU_DEP_1) | instskip(NEXT) | instid1(VALU_DEP_1)
	v_div_fmas_f64 v[184:185], v[184:185], v[186:187], v[188:189]
	v_div_fixup_f64 v[184:185], v[184:185], v[180:181], v[182:183]
	s_delay_alu instid0(VALU_DEP_1) | instskip(NEXT) | instid1(VALU_DEP_1)
	v_fma_f64 v[180:181], v[182:183], v[184:185], v[180:181]
	v_div_scale_f64 v[182:183], null, v[180:181], v[180:181], 1.0
	s_delay_alu instid0(VALU_DEP_1) | instskip(SKIP_2) | instid1(VALU_DEP_1)
	v_rcp_f64_e32 v[186:187], v[182:183]
	s_waitcnt_depctr 0xfff
	v_fma_f64 v[188:189], -v[182:183], v[186:187], 1.0
	v_fma_f64 v[186:187], v[186:187], v[188:189], v[186:187]
	s_delay_alu instid0(VALU_DEP_1) | instskip(NEXT) | instid1(VALU_DEP_1)
	v_fma_f64 v[188:189], -v[182:183], v[186:187], 1.0
	v_fma_f64 v[186:187], v[186:187], v[188:189], v[186:187]
	v_div_scale_f64 v[188:189], vcc_lo, 1.0, v[180:181], 1.0
	s_delay_alu instid0(VALU_DEP_1) | instskip(NEXT) | instid1(VALU_DEP_1)
	v_mul_f64 v[190:191], v[188:189], v[186:187]
	v_fma_f64 v[182:183], -v[182:183], v[190:191], v[188:189]
	s_delay_alu instid0(VALU_DEP_1) | instskip(NEXT) | instid1(VALU_DEP_1)
	v_div_fmas_f64 v[182:183], v[182:183], v[186:187], v[190:191]
	v_div_fixup_f64 v[188:189], v[182:183], v[180:181], 1.0
	s_delay_alu instid0(VALU_DEP_1)
	v_mul_f64 v[186:187], v[184:185], -v[188:189]
.LBB89_187:
	s_or_b32 exec_lo, exec_lo, s3
	ds_store_2addr_b64 v211, v[188:189], v[186:187] offset1:1
.LBB89_188:
	s_or_b32 exec_lo, exec_lo, s4
	s_waitcnt lgkmcnt(0)
	s_barrier
	buffer_gl0_inv
	ds_load_2addr_b64 v[180:183], v211 offset1:1
	s_mov_b32 s3, exec_lo
	s_waitcnt lgkmcnt(0)
	scratch_store_b128 off, v[180:183], off offset:576 ; 16-byte Folded Spill
	v_cmpx_lt_u32_e32 20, v210
	s_cbranch_execz .LBB89_190
; %bb.189:
	scratch_load_b128 v[182:185], off, off offset:576 ; 16-byte Folded Reload
	s_waitcnt vmcnt(0)
	v_mul_f64 v[180:181], v[184:185], v[98:99]
	v_mul_f64 v[98:99], v[182:183], v[98:99]
	s_delay_alu instid0(VALU_DEP_2) | instskip(NEXT) | instid1(VALU_DEP_2)
	v_fma_f64 v[180:181], v[182:183], v[96:97], -v[180:181]
	v_fma_f64 v[98:99], v[184:185], v[96:97], v[98:99]
	ds_load_2addr_b64 v[182:185], v212 offset0:42 offset1:43
	s_waitcnt lgkmcnt(0)
	v_mul_f64 v[96:97], v[184:185], v[98:99]
	s_delay_alu instid0(VALU_DEP_1) | instskip(SKIP_1) | instid1(VALU_DEP_2)
	v_fma_f64 v[96:97], v[182:183], v[180:181], -v[96:97]
	v_mul_f64 v[182:183], v[182:183], v[98:99]
	v_add_f64 v[92:93], v[92:93], -v[96:97]
	s_delay_alu instid0(VALU_DEP_2) | instskip(NEXT) | instid1(VALU_DEP_1)
	v_fma_f64 v[182:183], v[184:185], v[180:181], v[182:183]
	v_add_f64 v[94:95], v[94:95], -v[182:183]
	ds_load_2addr_b64 v[182:185], v212 offset0:44 offset1:45
	s_waitcnt lgkmcnt(0)
	v_mul_f64 v[96:97], v[184:185], v[98:99]
	s_delay_alu instid0(VALU_DEP_1) | instskip(SKIP_1) | instid1(VALU_DEP_2)
	v_fma_f64 v[96:97], v[182:183], v[180:181], -v[96:97]
	v_mul_f64 v[182:183], v[182:183], v[98:99]
	v_add_f64 v[88:89], v[88:89], -v[96:97]
	s_delay_alu instid0(VALU_DEP_2) | instskip(NEXT) | instid1(VALU_DEP_1)
	v_fma_f64 v[182:183], v[184:185], v[180:181], v[182:183]
	v_add_f64 v[90:91], v[90:91], -v[182:183]
	;; [unrolled: 10-line block ×23, first 2 shown]
	ds_load_2addr_b64 v[182:185], v212 offset0:88 offset1:89
	s_waitcnt lgkmcnt(0)
	v_mul_f64 v[96:97], v[184:185], v[98:99]
	s_delay_alu instid0(VALU_DEP_1) | instskip(SKIP_1) | instid1(VALU_DEP_2)
	v_fma_f64 v[96:97], v[182:183], v[180:181], -v[96:97]
	v_mul_f64 v[182:183], v[182:183], v[98:99]
	v_add_f64 v[0:1], v[0:1], -v[96:97]
	s_delay_alu instid0(VALU_DEP_2) | instskip(SKIP_1) | instid1(VALU_DEP_2)
	v_fma_f64 v[182:183], v[184:185], v[180:181], v[182:183]
	v_dual_mov_b32 v96, v180 :: v_dual_mov_b32 v97, v181
	v_add_f64 v[2:3], v[2:3], -v[182:183]
.LBB89_190:
	s_or_b32 exec_lo, exec_lo, s3
	s_delay_alu instid0(SALU_CYCLE_1)
	s_mov_b32 s4, exec_lo
	s_waitcnt_vscnt null, 0x0
	s_barrier
	buffer_gl0_inv
	v_cmpx_eq_u32_e32 21, v210
	s_cbranch_execz .LBB89_197
; %bb.191:
	ds_store_2addr_b64 v211, v[92:93], v[94:95] offset1:1
	ds_store_2addr_b64 v212, v[88:89], v[90:91] offset0:44 offset1:45
	ds_store_2addr_b64 v212, v[84:85], v[86:87] offset0:46 offset1:47
	ds_store_2addr_b64 v212, v[80:81], v[82:83] offset0:48 offset1:49
	ds_store_2addr_b64 v212, v[76:77], v[78:79] offset0:50 offset1:51
	ds_store_2addr_b64 v212, v[72:73], v[74:75] offset0:52 offset1:53
	ds_store_2addr_b64 v212, v[68:69], v[70:71] offset0:54 offset1:55
	ds_store_2addr_b64 v212, v[64:65], v[66:67] offset0:56 offset1:57
	ds_store_2addr_b64 v212, v[60:61], v[62:63] offset0:58 offset1:59
	ds_store_2addr_b64 v212, v[56:57], v[58:59] offset0:60 offset1:61
	ds_store_2addr_b64 v212, v[52:53], v[54:55] offset0:62 offset1:63
	ds_store_2addr_b64 v212, v[48:49], v[50:51] offset0:64 offset1:65
	ds_store_2addr_b64 v212, v[44:45], v[46:47] offset0:66 offset1:67
	ds_store_2addr_b64 v212, v[40:41], v[42:43] offset0:68 offset1:69
	ds_store_2addr_b64 v212, v[36:37], v[38:39] offset0:70 offset1:71
	ds_store_2addr_b64 v212, v[32:33], v[34:35] offset0:72 offset1:73
	ds_store_2addr_b64 v212, v[28:29], v[30:31] offset0:74 offset1:75
	ds_store_2addr_b64 v212, v[24:25], v[26:27] offset0:76 offset1:77
	ds_store_2addr_b64 v212, v[20:21], v[22:23] offset0:78 offset1:79
	ds_store_2addr_b64 v212, v[16:17], v[18:19] offset0:80 offset1:81
	ds_store_2addr_b64 v212, v[12:13], v[14:15] offset0:82 offset1:83
	ds_store_2addr_b64 v212, v[8:9], v[10:11] offset0:84 offset1:85
	ds_store_2addr_b64 v212, v[4:5], v[6:7] offset0:86 offset1:87
	ds_store_2addr_b64 v212, v[0:1], v[2:3] offset0:88 offset1:89
	ds_load_2addr_b64 v[180:183], v211 offset1:1
	s_waitcnt lgkmcnt(0)
	v_cmp_neq_f64_e32 vcc_lo, 0, v[180:181]
	v_cmp_neq_f64_e64 s3, 0, v[182:183]
	s_delay_alu instid0(VALU_DEP_1) | instskip(NEXT) | instid1(SALU_CYCLE_1)
	s_or_b32 s3, vcc_lo, s3
	s_and_b32 exec_lo, exec_lo, s3
	s_cbranch_execz .LBB89_197
; %bb.192:
	v_cmp_gt_f64_e32 vcc_lo, 0, v[180:181]
	v_xor_b32_e32 v184, 0x80000000, v181
	v_xor_b32_e32 v186, 0x80000000, v183
	s_mov_b32 s3, exec_lo
                                        ; implicit-def: $vgpr188_vgpr189
	s_delay_alu instid0(VALU_DEP_2) | instskip(SKIP_4) | instid1(VALU_DEP_1)
	v_cndmask_b32_e32 v185, v181, v184, vcc_lo
	v_cndmask_b32_e32 v184, v180, v180, vcc_lo
	v_cmp_gt_f64_e32 vcc_lo, 0, v[182:183]
	v_cndmask_b32_e32 v187, v183, v186, vcc_lo
	v_cndmask_b32_e32 v186, v182, v182, vcc_lo
	v_cmpx_ngt_f64_e32 v[184:185], v[186:187]
	s_xor_b32 s3, exec_lo, s3
                                        ; implicit-def: $vgpr184_vgpr185_vgpr186_vgpr187
	s_cbranch_execz .LBB89_194
; %bb.193:
	v_div_scale_f64 v[184:185], null, v[182:183], v[182:183], v[180:181]
	v_div_scale_f64 v[190:191], vcc_lo, v[180:181], v[182:183], v[180:181]
	s_delay_alu instid0(VALU_DEP_2) | instskip(SKIP_2) | instid1(VALU_DEP_1)
	v_rcp_f64_e32 v[186:187], v[184:185]
	s_waitcnt_depctr 0xfff
	v_fma_f64 v[188:189], -v[184:185], v[186:187], 1.0
	v_fma_f64 v[186:187], v[186:187], v[188:189], v[186:187]
	s_delay_alu instid0(VALU_DEP_1) | instskip(NEXT) | instid1(VALU_DEP_1)
	v_fma_f64 v[188:189], -v[184:185], v[186:187], 1.0
	v_fma_f64 v[186:187], v[186:187], v[188:189], v[186:187]
	s_delay_alu instid0(VALU_DEP_1) | instskip(NEXT) | instid1(VALU_DEP_1)
	v_mul_f64 v[188:189], v[190:191], v[186:187]
	v_fma_f64 v[184:185], -v[184:185], v[188:189], v[190:191]
	s_delay_alu instid0(VALU_DEP_1) | instskip(NEXT) | instid1(VALU_DEP_1)
	v_div_fmas_f64 v[184:185], v[184:185], v[186:187], v[188:189]
	v_div_fixup_f64 v[184:185], v[184:185], v[182:183], v[180:181]
	s_delay_alu instid0(VALU_DEP_1) | instskip(NEXT) | instid1(VALU_DEP_1)
	v_fma_f64 v[180:181], v[180:181], v[184:185], v[182:183]
	v_div_scale_f64 v[182:183], null, v[180:181], v[180:181], 1.0
	s_delay_alu instid0(VALU_DEP_1) | instskip(SKIP_2) | instid1(VALU_DEP_1)
	v_rcp_f64_e32 v[186:187], v[182:183]
	s_waitcnt_depctr 0xfff
	v_fma_f64 v[188:189], -v[182:183], v[186:187], 1.0
	v_fma_f64 v[186:187], v[186:187], v[188:189], v[186:187]
	s_delay_alu instid0(VALU_DEP_1) | instskip(NEXT) | instid1(VALU_DEP_1)
	v_fma_f64 v[188:189], -v[182:183], v[186:187], 1.0
	v_fma_f64 v[186:187], v[186:187], v[188:189], v[186:187]
	v_div_scale_f64 v[188:189], vcc_lo, 1.0, v[180:181], 1.0
	s_delay_alu instid0(VALU_DEP_1) | instskip(NEXT) | instid1(VALU_DEP_1)
	v_mul_f64 v[190:191], v[188:189], v[186:187]
	v_fma_f64 v[182:183], -v[182:183], v[190:191], v[188:189]
	s_delay_alu instid0(VALU_DEP_1) | instskip(NEXT) | instid1(VALU_DEP_1)
	v_div_fmas_f64 v[182:183], v[182:183], v[186:187], v[190:191]
	v_div_fixup_f64 v[186:187], v[182:183], v[180:181], 1.0
                                        ; implicit-def: $vgpr180_vgpr181
	s_delay_alu instid0(VALU_DEP_1)
	v_mul_f64 v[188:189], v[184:185], v[186:187]
	v_xor_b32_e32 v187, 0x80000000, v187
.LBB89_194:
	s_and_not1_saveexec_b32 s3, s3
	s_cbranch_execz .LBB89_196
; %bb.195:
	v_div_scale_f64 v[184:185], null, v[180:181], v[180:181], v[182:183]
	v_div_scale_f64 v[190:191], vcc_lo, v[182:183], v[180:181], v[182:183]
	s_delay_alu instid0(VALU_DEP_2) | instskip(SKIP_2) | instid1(VALU_DEP_1)
	v_rcp_f64_e32 v[186:187], v[184:185]
	s_waitcnt_depctr 0xfff
	v_fma_f64 v[188:189], -v[184:185], v[186:187], 1.0
	v_fma_f64 v[186:187], v[186:187], v[188:189], v[186:187]
	s_delay_alu instid0(VALU_DEP_1) | instskip(NEXT) | instid1(VALU_DEP_1)
	v_fma_f64 v[188:189], -v[184:185], v[186:187], 1.0
	v_fma_f64 v[186:187], v[186:187], v[188:189], v[186:187]
	s_delay_alu instid0(VALU_DEP_1) | instskip(NEXT) | instid1(VALU_DEP_1)
	v_mul_f64 v[188:189], v[190:191], v[186:187]
	v_fma_f64 v[184:185], -v[184:185], v[188:189], v[190:191]
	s_delay_alu instid0(VALU_DEP_1) | instskip(NEXT) | instid1(VALU_DEP_1)
	v_div_fmas_f64 v[184:185], v[184:185], v[186:187], v[188:189]
	v_div_fixup_f64 v[184:185], v[184:185], v[180:181], v[182:183]
	s_delay_alu instid0(VALU_DEP_1) | instskip(NEXT) | instid1(VALU_DEP_1)
	v_fma_f64 v[180:181], v[182:183], v[184:185], v[180:181]
	v_div_scale_f64 v[182:183], null, v[180:181], v[180:181], 1.0
	s_delay_alu instid0(VALU_DEP_1) | instskip(SKIP_2) | instid1(VALU_DEP_1)
	v_rcp_f64_e32 v[186:187], v[182:183]
	s_waitcnt_depctr 0xfff
	v_fma_f64 v[188:189], -v[182:183], v[186:187], 1.0
	v_fma_f64 v[186:187], v[186:187], v[188:189], v[186:187]
	s_delay_alu instid0(VALU_DEP_1) | instskip(NEXT) | instid1(VALU_DEP_1)
	v_fma_f64 v[188:189], -v[182:183], v[186:187], 1.0
	v_fma_f64 v[186:187], v[186:187], v[188:189], v[186:187]
	v_div_scale_f64 v[188:189], vcc_lo, 1.0, v[180:181], 1.0
	s_delay_alu instid0(VALU_DEP_1) | instskip(NEXT) | instid1(VALU_DEP_1)
	v_mul_f64 v[190:191], v[188:189], v[186:187]
	v_fma_f64 v[182:183], -v[182:183], v[190:191], v[188:189]
	s_delay_alu instid0(VALU_DEP_1) | instskip(NEXT) | instid1(VALU_DEP_1)
	v_div_fmas_f64 v[182:183], v[182:183], v[186:187], v[190:191]
	v_div_fixup_f64 v[188:189], v[182:183], v[180:181], 1.0
	s_delay_alu instid0(VALU_DEP_1)
	v_mul_f64 v[186:187], v[184:185], -v[188:189]
.LBB89_196:
	s_or_b32 exec_lo, exec_lo, s3
	ds_store_2addr_b64 v211, v[188:189], v[186:187] offset1:1
.LBB89_197:
	s_or_b32 exec_lo, exec_lo, s4
	s_waitcnt lgkmcnt(0)
	s_barrier
	buffer_gl0_inv
	ds_load_2addr_b64 v[180:183], v211 offset1:1
	s_mov_b32 s3, exec_lo
	s_waitcnt lgkmcnt(0)
	scratch_store_b128 off, v[180:183], off offset:592 ; 16-byte Folded Spill
	v_cmpx_lt_u32_e32 21, v210
	s_cbranch_execz .LBB89_199
; %bb.198:
	scratch_load_b128 v[182:185], off, off offset:592 ; 16-byte Folded Reload
	s_waitcnt vmcnt(0)
	v_mul_f64 v[180:181], v[184:185], v[94:95]
	v_mul_f64 v[94:95], v[182:183], v[94:95]
	s_delay_alu instid0(VALU_DEP_2) | instskip(NEXT) | instid1(VALU_DEP_2)
	v_fma_f64 v[180:181], v[182:183], v[92:93], -v[180:181]
	v_fma_f64 v[94:95], v[184:185], v[92:93], v[94:95]
	ds_load_2addr_b64 v[182:185], v212 offset0:44 offset1:45
	s_waitcnt lgkmcnt(0)
	v_mul_f64 v[92:93], v[184:185], v[94:95]
	s_delay_alu instid0(VALU_DEP_1) | instskip(SKIP_1) | instid1(VALU_DEP_2)
	v_fma_f64 v[92:93], v[182:183], v[180:181], -v[92:93]
	v_mul_f64 v[182:183], v[182:183], v[94:95]
	v_add_f64 v[88:89], v[88:89], -v[92:93]
	s_delay_alu instid0(VALU_DEP_2) | instskip(NEXT) | instid1(VALU_DEP_1)
	v_fma_f64 v[182:183], v[184:185], v[180:181], v[182:183]
	v_add_f64 v[90:91], v[90:91], -v[182:183]
	ds_load_2addr_b64 v[182:185], v212 offset0:46 offset1:47
	s_waitcnt lgkmcnt(0)
	v_mul_f64 v[92:93], v[184:185], v[94:95]
	s_delay_alu instid0(VALU_DEP_1) | instskip(SKIP_1) | instid1(VALU_DEP_2)
	v_fma_f64 v[92:93], v[182:183], v[180:181], -v[92:93]
	v_mul_f64 v[182:183], v[182:183], v[94:95]
	v_add_f64 v[84:85], v[84:85], -v[92:93]
	s_delay_alu instid0(VALU_DEP_2) | instskip(NEXT) | instid1(VALU_DEP_1)
	v_fma_f64 v[182:183], v[184:185], v[180:181], v[182:183]
	v_add_f64 v[86:87], v[86:87], -v[182:183]
	;; [unrolled: 10-line block ×22, first 2 shown]
	ds_load_2addr_b64 v[182:185], v212 offset0:88 offset1:89
	s_waitcnt lgkmcnt(0)
	v_mul_f64 v[92:93], v[184:185], v[94:95]
	s_delay_alu instid0(VALU_DEP_1) | instskip(SKIP_1) | instid1(VALU_DEP_2)
	v_fma_f64 v[92:93], v[182:183], v[180:181], -v[92:93]
	v_mul_f64 v[182:183], v[182:183], v[94:95]
	v_add_f64 v[0:1], v[0:1], -v[92:93]
	s_delay_alu instid0(VALU_DEP_2) | instskip(SKIP_1) | instid1(VALU_DEP_2)
	v_fma_f64 v[182:183], v[184:185], v[180:181], v[182:183]
	v_dual_mov_b32 v92, v180 :: v_dual_mov_b32 v93, v181
	v_add_f64 v[2:3], v[2:3], -v[182:183]
.LBB89_199:
	s_or_b32 exec_lo, exec_lo, s3
	s_delay_alu instid0(SALU_CYCLE_1)
	s_mov_b32 s4, exec_lo
	s_waitcnt_vscnt null, 0x0
	s_barrier
	buffer_gl0_inv
	v_cmpx_eq_u32_e32 22, v210
	s_cbranch_execz .LBB89_206
; %bb.200:
	ds_store_2addr_b64 v211, v[88:89], v[90:91] offset1:1
	ds_store_2addr_b64 v212, v[84:85], v[86:87] offset0:46 offset1:47
	ds_store_2addr_b64 v212, v[80:81], v[82:83] offset0:48 offset1:49
	;; [unrolled: 1-line block ×22, first 2 shown]
	ds_load_2addr_b64 v[180:183], v211 offset1:1
	s_waitcnt lgkmcnt(0)
	v_cmp_neq_f64_e32 vcc_lo, 0, v[180:181]
	v_cmp_neq_f64_e64 s3, 0, v[182:183]
	s_delay_alu instid0(VALU_DEP_1) | instskip(NEXT) | instid1(SALU_CYCLE_1)
	s_or_b32 s3, vcc_lo, s3
	s_and_b32 exec_lo, exec_lo, s3
	s_cbranch_execz .LBB89_206
; %bb.201:
	v_cmp_gt_f64_e32 vcc_lo, 0, v[180:181]
	v_xor_b32_e32 v184, 0x80000000, v181
	v_xor_b32_e32 v186, 0x80000000, v183
	s_mov_b32 s3, exec_lo
                                        ; implicit-def: $vgpr188_vgpr189
	s_delay_alu instid0(VALU_DEP_2) | instskip(SKIP_4) | instid1(VALU_DEP_1)
	v_cndmask_b32_e32 v185, v181, v184, vcc_lo
	v_cndmask_b32_e32 v184, v180, v180, vcc_lo
	v_cmp_gt_f64_e32 vcc_lo, 0, v[182:183]
	v_cndmask_b32_e32 v187, v183, v186, vcc_lo
	v_cndmask_b32_e32 v186, v182, v182, vcc_lo
	v_cmpx_ngt_f64_e32 v[184:185], v[186:187]
	s_xor_b32 s3, exec_lo, s3
                                        ; implicit-def: $vgpr184_vgpr185_vgpr186_vgpr187
	s_cbranch_execz .LBB89_203
; %bb.202:
	v_div_scale_f64 v[184:185], null, v[182:183], v[182:183], v[180:181]
	v_div_scale_f64 v[190:191], vcc_lo, v[180:181], v[182:183], v[180:181]
	s_delay_alu instid0(VALU_DEP_2) | instskip(SKIP_2) | instid1(VALU_DEP_1)
	v_rcp_f64_e32 v[186:187], v[184:185]
	s_waitcnt_depctr 0xfff
	v_fma_f64 v[188:189], -v[184:185], v[186:187], 1.0
	v_fma_f64 v[186:187], v[186:187], v[188:189], v[186:187]
	s_delay_alu instid0(VALU_DEP_1) | instskip(NEXT) | instid1(VALU_DEP_1)
	v_fma_f64 v[188:189], -v[184:185], v[186:187], 1.0
	v_fma_f64 v[186:187], v[186:187], v[188:189], v[186:187]
	s_delay_alu instid0(VALU_DEP_1) | instskip(NEXT) | instid1(VALU_DEP_1)
	v_mul_f64 v[188:189], v[190:191], v[186:187]
	v_fma_f64 v[184:185], -v[184:185], v[188:189], v[190:191]
	s_delay_alu instid0(VALU_DEP_1) | instskip(NEXT) | instid1(VALU_DEP_1)
	v_div_fmas_f64 v[184:185], v[184:185], v[186:187], v[188:189]
	v_div_fixup_f64 v[184:185], v[184:185], v[182:183], v[180:181]
	s_delay_alu instid0(VALU_DEP_1) | instskip(NEXT) | instid1(VALU_DEP_1)
	v_fma_f64 v[180:181], v[180:181], v[184:185], v[182:183]
	v_div_scale_f64 v[182:183], null, v[180:181], v[180:181], 1.0
	s_delay_alu instid0(VALU_DEP_1) | instskip(SKIP_2) | instid1(VALU_DEP_1)
	v_rcp_f64_e32 v[186:187], v[182:183]
	s_waitcnt_depctr 0xfff
	v_fma_f64 v[188:189], -v[182:183], v[186:187], 1.0
	v_fma_f64 v[186:187], v[186:187], v[188:189], v[186:187]
	s_delay_alu instid0(VALU_DEP_1) | instskip(NEXT) | instid1(VALU_DEP_1)
	v_fma_f64 v[188:189], -v[182:183], v[186:187], 1.0
	v_fma_f64 v[186:187], v[186:187], v[188:189], v[186:187]
	v_div_scale_f64 v[188:189], vcc_lo, 1.0, v[180:181], 1.0
	s_delay_alu instid0(VALU_DEP_1) | instskip(NEXT) | instid1(VALU_DEP_1)
	v_mul_f64 v[190:191], v[188:189], v[186:187]
	v_fma_f64 v[182:183], -v[182:183], v[190:191], v[188:189]
	s_delay_alu instid0(VALU_DEP_1) | instskip(NEXT) | instid1(VALU_DEP_1)
	v_div_fmas_f64 v[182:183], v[182:183], v[186:187], v[190:191]
	v_div_fixup_f64 v[186:187], v[182:183], v[180:181], 1.0
                                        ; implicit-def: $vgpr180_vgpr181
	s_delay_alu instid0(VALU_DEP_1)
	v_mul_f64 v[188:189], v[184:185], v[186:187]
	v_xor_b32_e32 v187, 0x80000000, v187
.LBB89_203:
	s_and_not1_saveexec_b32 s3, s3
	s_cbranch_execz .LBB89_205
; %bb.204:
	v_div_scale_f64 v[184:185], null, v[180:181], v[180:181], v[182:183]
	v_div_scale_f64 v[190:191], vcc_lo, v[182:183], v[180:181], v[182:183]
	s_delay_alu instid0(VALU_DEP_2) | instskip(SKIP_2) | instid1(VALU_DEP_1)
	v_rcp_f64_e32 v[186:187], v[184:185]
	s_waitcnt_depctr 0xfff
	v_fma_f64 v[188:189], -v[184:185], v[186:187], 1.0
	v_fma_f64 v[186:187], v[186:187], v[188:189], v[186:187]
	s_delay_alu instid0(VALU_DEP_1) | instskip(NEXT) | instid1(VALU_DEP_1)
	v_fma_f64 v[188:189], -v[184:185], v[186:187], 1.0
	v_fma_f64 v[186:187], v[186:187], v[188:189], v[186:187]
	s_delay_alu instid0(VALU_DEP_1) | instskip(NEXT) | instid1(VALU_DEP_1)
	v_mul_f64 v[188:189], v[190:191], v[186:187]
	v_fma_f64 v[184:185], -v[184:185], v[188:189], v[190:191]
	s_delay_alu instid0(VALU_DEP_1) | instskip(NEXT) | instid1(VALU_DEP_1)
	v_div_fmas_f64 v[184:185], v[184:185], v[186:187], v[188:189]
	v_div_fixup_f64 v[184:185], v[184:185], v[180:181], v[182:183]
	s_delay_alu instid0(VALU_DEP_1) | instskip(NEXT) | instid1(VALU_DEP_1)
	v_fma_f64 v[180:181], v[182:183], v[184:185], v[180:181]
	v_div_scale_f64 v[182:183], null, v[180:181], v[180:181], 1.0
	s_delay_alu instid0(VALU_DEP_1) | instskip(SKIP_2) | instid1(VALU_DEP_1)
	v_rcp_f64_e32 v[186:187], v[182:183]
	s_waitcnt_depctr 0xfff
	v_fma_f64 v[188:189], -v[182:183], v[186:187], 1.0
	v_fma_f64 v[186:187], v[186:187], v[188:189], v[186:187]
	s_delay_alu instid0(VALU_DEP_1) | instskip(NEXT) | instid1(VALU_DEP_1)
	v_fma_f64 v[188:189], -v[182:183], v[186:187], 1.0
	v_fma_f64 v[186:187], v[186:187], v[188:189], v[186:187]
	v_div_scale_f64 v[188:189], vcc_lo, 1.0, v[180:181], 1.0
	s_delay_alu instid0(VALU_DEP_1) | instskip(NEXT) | instid1(VALU_DEP_1)
	v_mul_f64 v[190:191], v[188:189], v[186:187]
	v_fma_f64 v[182:183], -v[182:183], v[190:191], v[188:189]
	s_delay_alu instid0(VALU_DEP_1) | instskip(NEXT) | instid1(VALU_DEP_1)
	v_div_fmas_f64 v[182:183], v[182:183], v[186:187], v[190:191]
	v_div_fixup_f64 v[188:189], v[182:183], v[180:181], 1.0
	s_delay_alu instid0(VALU_DEP_1)
	v_mul_f64 v[186:187], v[184:185], -v[188:189]
.LBB89_205:
	s_or_b32 exec_lo, exec_lo, s3
	ds_store_2addr_b64 v211, v[188:189], v[186:187] offset1:1
.LBB89_206:
	s_or_b32 exec_lo, exec_lo, s4
	s_waitcnt lgkmcnt(0)
	s_barrier
	buffer_gl0_inv
	ds_load_2addr_b64 v[180:183], v211 offset1:1
	s_mov_b32 s3, exec_lo
	s_waitcnt lgkmcnt(0)
	scratch_store_b128 off, v[180:183], off offset:608 ; 16-byte Folded Spill
	v_cmpx_lt_u32_e32 22, v210
	s_cbranch_execz .LBB89_208
; %bb.207:
	scratch_load_b128 v[182:185], off, off offset:608 ; 16-byte Folded Reload
	s_waitcnt vmcnt(0)
	v_mul_f64 v[180:181], v[184:185], v[90:91]
	v_mul_f64 v[90:91], v[182:183], v[90:91]
	s_delay_alu instid0(VALU_DEP_2) | instskip(NEXT) | instid1(VALU_DEP_2)
	v_fma_f64 v[180:181], v[182:183], v[88:89], -v[180:181]
	v_fma_f64 v[90:91], v[184:185], v[88:89], v[90:91]
	ds_load_2addr_b64 v[182:185], v212 offset0:46 offset1:47
	s_waitcnt lgkmcnt(0)
	v_mul_f64 v[88:89], v[184:185], v[90:91]
	s_delay_alu instid0(VALU_DEP_1) | instskip(SKIP_1) | instid1(VALU_DEP_2)
	v_fma_f64 v[88:89], v[182:183], v[180:181], -v[88:89]
	v_mul_f64 v[182:183], v[182:183], v[90:91]
	v_add_f64 v[84:85], v[84:85], -v[88:89]
	s_delay_alu instid0(VALU_DEP_2) | instskip(NEXT) | instid1(VALU_DEP_1)
	v_fma_f64 v[182:183], v[184:185], v[180:181], v[182:183]
	v_add_f64 v[86:87], v[86:87], -v[182:183]
	ds_load_2addr_b64 v[182:185], v212 offset0:48 offset1:49
	s_waitcnt lgkmcnt(0)
	v_mul_f64 v[88:89], v[184:185], v[90:91]
	s_delay_alu instid0(VALU_DEP_1) | instskip(SKIP_1) | instid1(VALU_DEP_2)
	v_fma_f64 v[88:89], v[182:183], v[180:181], -v[88:89]
	v_mul_f64 v[182:183], v[182:183], v[90:91]
	v_add_f64 v[80:81], v[80:81], -v[88:89]
	s_delay_alu instid0(VALU_DEP_2) | instskip(NEXT) | instid1(VALU_DEP_1)
	v_fma_f64 v[182:183], v[184:185], v[180:181], v[182:183]
	v_add_f64 v[82:83], v[82:83], -v[182:183]
	;; [unrolled: 10-line block ×21, first 2 shown]
	ds_load_2addr_b64 v[182:185], v212 offset0:88 offset1:89
	s_waitcnt lgkmcnt(0)
	v_mul_f64 v[88:89], v[184:185], v[90:91]
	s_delay_alu instid0(VALU_DEP_1) | instskip(SKIP_1) | instid1(VALU_DEP_2)
	v_fma_f64 v[88:89], v[182:183], v[180:181], -v[88:89]
	v_mul_f64 v[182:183], v[182:183], v[90:91]
	v_add_f64 v[0:1], v[0:1], -v[88:89]
	s_delay_alu instid0(VALU_DEP_2) | instskip(SKIP_1) | instid1(VALU_DEP_2)
	v_fma_f64 v[182:183], v[184:185], v[180:181], v[182:183]
	v_dual_mov_b32 v88, v180 :: v_dual_mov_b32 v89, v181
	v_add_f64 v[2:3], v[2:3], -v[182:183]
.LBB89_208:
	s_or_b32 exec_lo, exec_lo, s3
	s_delay_alu instid0(SALU_CYCLE_1)
	s_mov_b32 s4, exec_lo
	s_waitcnt_vscnt null, 0x0
	s_barrier
	buffer_gl0_inv
	v_cmpx_eq_u32_e32 23, v210
	s_cbranch_execz .LBB89_215
; %bb.209:
	ds_store_2addr_b64 v211, v[84:85], v[86:87] offset1:1
	ds_store_2addr_b64 v212, v[80:81], v[82:83] offset0:48 offset1:49
	ds_store_2addr_b64 v212, v[76:77], v[78:79] offset0:50 offset1:51
	;; [unrolled: 1-line block ×21, first 2 shown]
	ds_load_2addr_b64 v[180:183], v211 offset1:1
	s_waitcnt lgkmcnt(0)
	v_cmp_neq_f64_e32 vcc_lo, 0, v[180:181]
	v_cmp_neq_f64_e64 s3, 0, v[182:183]
	s_delay_alu instid0(VALU_DEP_1) | instskip(NEXT) | instid1(SALU_CYCLE_1)
	s_or_b32 s3, vcc_lo, s3
	s_and_b32 exec_lo, exec_lo, s3
	s_cbranch_execz .LBB89_215
; %bb.210:
	v_cmp_gt_f64_e32 vcc_lo, 0, v[180:181]
	v_xor_b32_e32 v184, 0x80000000, v181
	v_xor_b32_e32 v186, 0x80000000, v183
	s_mov_b32 s3, exec_lo
                                        ; implicit-def: $vgpr188_vgpr189
	s_delay_alu instid0(VALU_DEP_2) | instskip(SKIP_4) | instid1(VALU_DEP_1)
	v_cndmask_b32_e32 v185, v181, v184, vcc_lo
	v_cndmask_b32_e32 v184, v180, v180, vcc_lo
	v_cmp_gt_f64_e32 vcc_lo, 0, v[182:183]
	v_cndmask_b32_e32 v187, v183, v186, vcc_lo
	v_cndmask_b32_e32 v186, v182, v182, vcc_lo
	v_cmpx_ngt_f64_e32 v[184:185], v[186:187]
	s_xor_b32 s3, exec_lo, s3
                                        ; implicit-def: $vgpr184_vgpr185_vgpr186_vgpr187
	s_cbranch_execz .LBB89_212
; %bb.211:
	v_div_scale_f64 v[184:185], null, v[182:183], v[182:183], v[180:181]
	v_div_scale_f64 v[190:191], vcc_lo, v[180:181], v[182:183], v[180:181]
	s_delay_alu instid0(VALU_DEP_2) | instskip(SKIP_2) | instid1(VALU_DEP_1)
	v_rcp_f64_e32 v[186:187], v[184:185]
	s_waitcnt_depctr 0xfff
	v_fma_f64 v[188:189], -v[184:185], v[186:187], 1.0
	v_fma_f64 v[186:187], v[186:187], v[188:189], v[186:187]
	s_delay_alu instid0(VALU_DEP_1) | instskip(NEXT) | instid1(VALU_DEP_1)
	v_fma_f64 v[188:189], -v[184:185], v[186:187], 1.0
	v_fma_f64 v[186:187], v[186:187], v[188:189], v[186:187]
	s_delay_alu instid0(VALU_DEP_1) | instskip(NEXT) | instid1(VALU_DEP_1)
	v_mul_f64 v[188:189], v[190:191], v[186:187]
	v_fma_f64 v[184:185], -v[184:185], v[188:189], v[190:191]
	s_delay_alu instid0(VALU_DEP_1) | instskip(NEXT) | instid1(VALU_DEP_1)
	v_div_fmas_f64 v[184:185], v[184:185], v[186:187], v[188:189]
	v_div_fixup_f64 v[184:185], v[184:185], v[182:183], v[180:181]
	s_delay_alu instid0(VALU_DEP_1) | instskip(NEXT) | instid1(VALU_DEP_1)
	v_fma_f64 v[180:181], v[180:181], v[184:185], v[182:183]
	v_div_scale_f64 v[182:183], null, v[180:181], v[180:181], 1.0
	s_delay_alu instid0(VALU_DEP_1) | instskip(SKIP_2) | instid1(VALU_DEP_1)
	v_rcp_f64_e32 v[186:187], v[182:183]
	s_waitcnt_depctr 0xfff
	v_fma_f64 v[188:189], -v[182:183], v[186:187], 1.0
	v_fma_f64 v[186:187], v[186:187], v[188:189], v[186:187]
	s_delay_alu instid0(VALU_DEP_1) | instskip(NEXT) | instid1(VALU_DEP_1)
	v_fma_f64 v[188:189], -v[182:183], v[186:187], 1.0
	v_fma_f64 v[186:187], v[186:187], v[188:189], v[186:187]
	v_div_scale_f64 v[188:189], vcc_lo, 1.0, v[180:181], 1.0
	s_delay_alu instid0(VALU_DEP_1) | instskip(NEXT) | instid1(VALU_DEP_1)
	v_mul_f64 v[190:191], v[188:189], v[186:187]
	v_fma_f64 v[182:183], -v[182:183], v[190:191], v[188:189]
	s_delay_alu instid0(VALU_DEP_1) | instskip(NEXT) | instid1(VALU_DEP_1)
	v_div_fmas_f64 v[182:183], v[182:183], v[186:187], v[190:191]
	v_div_fixup_f64 v[186:187], v[182:183], v[180:181], 1.0
                                        ; implicit-def: $vgpr180_vgpr181
	s_delay_alu instid0(VALU_DEP_1)
	v_mul_f64 v[188:189], v[184:185], v[186:187]
	v_xor_b32_e32 v187, 0x80000000, v187
.LBB89_212:
	s_and_not1_saveexec_b32 s3, s3
	s_cbranch_execz .LBB89_214
; %bb.213:
	v_div_scale_f64 v[184:185], null, v[180:181], v[180:181], v[182:183]
	v_div_scale_f64 v[190:191], vcc_lo, v[182:183], v[180:181], v[182:183]
	s_delay_alu instid0(VALU_DEP_2) | instskip(SKIP_2) | instid1(VALU_DEP_1)
	v_rcp_f64_e32 v[186:187], v[184:185]
	s_waitcnt_depctr 0xfff
	v_fma_f64 v[188:189], -v[184:185], v[186:187], 1.0
	v_fma_f64 v[186:187], v[186:187], v[188:189], v[186:187]
	s_delay_alu instid0(VALU_DEP_1) | instskip(NEXT) | instid1(VALU_DEP_1)
	v_fma_f64 v[188:189], -v[184:185], v[186:187], 1.0
	v_fma_f64 v[186:187], v[186:187], v[188:189], v[186:187]
	s_delay_alu instid0(VALU_DEP_1) | instskip(NEXT) | instid1(VALU_DEP_1)
	v_mul_f64 v[188:189], v[190:191], v[186:187]
	v_fma_f64 v[184:185], -v[184:185], v[188:189], v[190:191]
	s_delay_alu instid0(VALU_DEP_1) | instskip(NEXT) | instid1(VALU_DEP_1)
	v_div_fmas_f64 v[184:185], v[184:185], v[186:187], v[188:189]
	v_div_fixup_f64 v[184:185], v[184:185], v[180:181], v[182:183]
	s_delay_alu instid0(VALU_DEP_1) | instskip(NEXT) | instid1(VALU_DEP_1)
	v_fma_f64 v[180:181], v[182:183], v[184:185], v[180:181]
	v_div_scale_f64 v[182:183], null, v[180:181], v[180:181], 1.0
	s_delay_alu instid0(VALU_DEP_1) | instskip(SKIP_2) | instid1(VALU_DEP_1)
	v_rcp_f64_e32 v[186:187], v[182:183]
	s_waitcnt_depctr 0xfff
	v_fma_f64 v[188:189], -v[182:183], v[186:187], 1.0
	v_fma_f64 v[186:187], v[186:187], v[188:189], v[186:187]
	s_delay_alu instid0(VALU_DEP_1) | instskip(NEXT) | instid1(VALU_DEP_1)
	v_fma_f64 v[188:189], -v[182:183], v[186:187], 1.0
	v_fma_f64 v[186:187], v[186:187], v[188:189], v[186:187]
	v_div_scale_f64 v[188:189], vcc_lo, 1.0, v[180:181], 1.0
	s_delay_alu instid0(VALU_DEP_1) | instskip(NEXT) | instid1(VALU_DEP_1)
	v_mul_f64 v[190:191], v[188:189], v[186:187]
	v_fma_f64 v[182:183], -v[182:183], v[190:191], v[188:189]
	s_delay_alu instid0(VALU_DEP_1) | instskip(NEXT) | instid1(VALU_DEP_1)
	v_div_fmas_f64 v[182:183], v[182:183], v[186:187], v[190:191]
	v_div_fixup_f64 v[188:189], v[182:183], v[180:181], 1.0
	s_delay_alu instid0(VALU_DEP_1)
	v_mul_f64 v[186:187], v[184:185], -v[188:189]
.LBB89_214:
	s_or_b32 exec_lo, exec_lo, s3
	ds_store_2addr_b64 v211, v[188:189], v[186:187] offset1:1
.LBB89_215:
	s_or_b32 exec_lo, exec_lo, s4
	s_waitcnt lgkmcnt(0)
	s_barrier
	buffer_gl0_inv
	ds_load_2addr_b64 v[180:183], v211 offset1:1
	s_mov_b32 s3, exec_lo
	s_waitcnt lgkmcnt(0)
	scratch_store_b128 off, v[180:183], off offset:624 ; 16-byte Folded Spill
	v_cmpx_lt_u32_e32 23, v210
	s_cbranch_execz .LBB89_217
; %bb.216:
	scratch_load_b128 v[182:185], off, off offset:624 ; 16-byte Folded Reload
	s_waitcnt vmcnt(0)
	v_mul_f64 v[180:181], v[184:185], v[86:87]
	v_mul_f64 v[86:87], v[182:183], v[86:87]
	s_delay_alu instid0(VALU_DEP_2) | instskip(NEXT) | instid1(VALU_DEP_2)
	v_fma_f64 v[180:181], v[182:183], v[84:85], -v[180:181]
	v_fma_f64 v[86:87], v[184:185], v[84:85], v[86:87]
	ds_load_2addr_b64 v[182:185], v212 offset0:48 offset1:49
	s_waitcnt lgkmcnt(0)
	v_mul_f64 v[84:85], v[184:185], v[86:87]
	s_delay_alu instid0(VALU_DEP_1) | instskip(SKIP_1) | instid1(VALU_DEP_2)
	v_fma_f64 v[84:85], v[182:183], v[180:181], -v[84:85]
	v_mul_f64 v[182:183], v[182:183], v[86:87]
	v_add_f64 v[80:81], v[80:81], -v[84:85]
	s_delay_alu instid0(VALU_DEP_2) | instskip(NEXT) | instid1(VALU_DEP_1)
	v_fma_f64 v[182:183], v[184:185], v[180:181], v[182:183]
	v_add_f64 v[82:83], v[82:83], -v[182:183]
	ds_load_2addr_b64 v[182:185], v212 offset0:50 offset1:51
	s_waitcnt lgkmcnt(0)
	v_mul_f64 v[84:85], v[184:185], v[86:87]
	s_delay_alu instid0(VALU_DEP_1) | instskip(SKIP_1) | instid1(VALU_DEP_2)
	v_fma_f64 v[84:85], v[182:183], v[180:181], -v[84:85]
	v_mul_f64 v[182:183], v[182:183], v[86:87]
	v_add_f64 v[76:77], v[76:77], -v[84:85]
	s_delay_alu instid0(VALU_DEP_2) | instskip(NEXT) | instid1(VALU_DEP_1)
	v_fma_f64 v[182:183], v[184:185], v[180:181], v[182:183]
	v_add_f64 v[78:79], v[78:79], -v[182:183]
	ds_load_2addr_b64 v[182:185], v212 offset0:52 offset1:53
	s_waitcnt lgkmcnt(0)
	v_mul_f64 v[84:85], v[184:185], v[86:87]
	s_delay_alu instid0(VALU_DEP_1) | instskip(SKIP_1) | instid1(VALU_DEP_2)
	v_fma_f64 v[84:85], v[182:183], v[180:181], -v[84:85]
	v_mul_f64 v[182:183], v[182:183], v[86:87]
	v_add_f64 v[72:73], v[72:73], -v[84:85]
	s_delay_alu instid0(VALU_DEP_2) | instskip(NEXT) | instid1(VALU_DEP_1)
	v_fma_f64 v[182:183], v[184:185], v[180:181], v[182:183]
	v_add_f64 v[74:75], v[74:75], -v[182:183]
	ds_load_2addr_b64 v[182:185], v212 offset0:54 offset1:55
	s_waitcnt lgkmcnt(0)
	v_mul_f64 v[84:85], v[184:185], v[86:87]
	s_delay_alu instid0(VALU_DEP_1) | instskip(SKIP_1) | instid1(VALU_DEP_2)
	v_fma_f64 v[84:85], v[182:183], v[180:181], -v[84:85]
	v_mul_f64 v[182:183], v[182:183], v[86:87]
	v_add_f64 v[68:69], v[68:69], -v[84:85]
	s_delay_alu instid0(VALU_DEP_2) | instskip(NEXT) | instid1(VALU_DEP_1)
	v_fma_f64 v[182:183], v[184:185], v[180:181], v[182:183]
	v_add_f64 v[70:71], v[70:71], -v[182:183]
	ds_load_2addr_b64 v[182:185], v212 offset0:56 offset1:57
	s_waitcnt lgkmcnt(0)
	v_mul_f64 v[84:85], v[184:185], v[86:87]
	s_delay_alu instid0(VALU_DEP_1) | instskip(SKIP_1) | instid1(VALU_DEP_2)
	v_fma_f64 v[84:85], v[182:183], v[180:181], -v[84:85]
	v_mul_f64 v[182:183], v[182:183], v[86:87]
	v_add_f64 v[64:65], v[64:65], -v[84:85]
	s_delay_alu instid0(VALU_DEP_2) | instskip(NEXT) | instid1(VALU_DEP_1)
	v_fma_f64 v[182:183], v[184:185], v[180:181], v[182:183]
	v_add_f64 v[66:67], v[66:67], -v[182:183]
	ds_load_2addr_b64 v[182:185], v212 offset0:58 offset1:59
	s_waitcnt lgkmcnt(0)
	v_mul_f64 v[84:85], v[184:185], v[86:87]
	s_delay_alu instid0(VALU_DEP_1) | instskip(SKIP_1) | instid1(VALU_DEP_2)
	v_fma_f64 v[84:85], v[182:183], v[180:181], -v[84:85]
	v_mul_f64 v[182:183], v[182:183], v[86:87]
	v_add_f64 v[60:61], v[60:61], -v[84:85]
	s_delay_alu instid0(VALU_DEP_2) | instskip(NEXT) | instid1(VALU_DEP_1)
	v_fma_f64 v[182:183], v[184:185], v[180:181], v[182:183]
	v_add_f64 v[62:63], v[62:63], -v[182:183]
	ds_load_2addr_b64 v[182:185], v212 offset0:60 offset1:61
	s_waitcnt lgkmcnt(0)
	v_mul_f64 v[84:85], v[184:185], v[86:87]
	s_delay_alu instid0(VALU_DEP_1) | instskip(SKIP_1) | instid1(VALU_DEP_2)
	v_fma_f64 v[84:85], v[182:183], v[180:181], -v[84:85]
	v_mul_f64 v[182:183], v[182:183], v[86:87]
	v_add_f64 v[56:57], v[56:57], -v[84:85]
	s_delay_alu instid0(VALU_DEP_2) | instskip(NEXT) | instid1(VALU_DEP_1)
	v_fma_f64 v[182:183], v[184:185], v[180:181], v[182:183]
	v_add_f64 v[58:59], v[58:59], -v[182:183]
	ds_load_2addr_b64 v[182:185], v212 offset0:62 offset1:63
	s_waitcnt lgkmcnt(0)
	v_mul_f64 v[84:85], v[184:185], v[86:87]
	s_delay_alu instid0(VALU_DEP_1) | instskip(SKIP_1) | instid1(VALU_DEP_2)
	v_fma_f64 v[84:85], v[182:183], v[180:181], -v[84:85]
	v_mul_f64 v[182:183], v[182:183], v[86:87]
	v_add_f64 v[52:53], v[52:53], -v[84:85]
	s_delay_alu instid0(VALU_DEP_2) | instskip(NEXT) | instid1(VALU_DEP_1)
	v_fma_f64 v[182:183], v[184:185], v[180:181], v[182:183]
	v_add_f64 v[54:55], v[54:55], -v[182:183]
	ds_load_2addr_b64 v[182:185], v212 offset0:64 offset1:65
	s_waitcnt lgkmcnt(0)
	v_mul_f64 v[84:85], v[184:185], v[86:87]
	s_delay_alu instid0(VALU_DEP_1) | instskip(SKIP_1) | instid1(VALU_DEP_2)
	v_fma_f64 v[84:85], v[182:183], v[180:181], -v[84:85]
	v_mul_f64 v[182:183], v[182:183], v[86:87]
	v_add_f64 v[48:49], v[48:49], -v[84:85]
	s_delay_alu instid0(VALU_DEP_2) | instskip(NEXT) | instid1(VALU_DEP_1)
	v_fma_f64 v[182:183], v[184:185], v[180:181], v[182:183]
	v_add_f64 v[50:51], v[50:51], -v[182:183]
	ds_load_2addr_b64 v[182:185], v212 offset0:66 offset1:67
	s_waitcnt lgkmcnt(0)
	v_mul_f64 v[84:85], v[184:185], v[86:87]
	s_delay_alu instid0(VALU_DEP_1) | instskip(SKIP_1) | instid1(VALU_DEP_2)
	v_fma_f64 v[84:85], v[182:183], v[180:181], -v[84:85]
	v_mul_f64 v[182:183], v[182:183], v[86:87]
	v_add_f64 v[44:45], v[44:45], -v[84:85]
	s_delay_alu instid0(VALU_DEP_2) | instskip(NEXT) | instid1(VALU_DEP_1)
	v_fma_f64 v[182:183], v[184:185], v[180:181], v[182:183]
	v_add_f64 v[46:47], v[46:47], -v[182:183]
	ds_load_2addr_b64 v[182:185], v212 offset0:68 offset1:69
	s_waitcnt lgkmcnt(0)
	v_mul_f64 v[84:85], v[184:185], v[86:87]
	s_delay_alu instid0(VALU_DEP_1) | instskip(SKIP_1) | instid1(VALU_DEP_2)
	v_fma_f64 v[84:85], v[182:183], v[180:181], -v[84:85]
	v_mul_f64 v[182:183], v[182:183], v[86:87]
	v_add_f64 v[40:41], v[40:41], -v[84:85]
	s_delay_alu instid0(VALU_DEP_2) | instskip(NEXT) | instid1(VALU_DEP_1)
	v_fma_f64 v[182:183], v[184:185], v[180:181], v[182:183]
	v_add_f64 v[42:43], v[42:43], -v[182:183]
	ds_load_2addr_b64 v[182:185], v212 offset0:70 offset1:71
	s_waitcnt lgkmcnt(0)
	v_mul_f64 v[84:85], v[184:185], v[86:87]
	s_delay_alu instid0(VALU_DEP_1) | instskip(SKIP_1) | instid1(VALU_DEP_2)
	v_fma_f64 v[84:85], v[182:183], v[180:181], -v[84:85]
	v_mul_f64 v[182:183], v[182:183], v[86:87]
	v_add_f64 v[36:37], v[36:37], -v[84:85]
	s_delay_alu instid0(VALU_DEP_2) | instskip(NEXT) | instid1(VALU_DEP_1)
	v_fma_f64 v[182:183], v[184:185], v[180:181], v[182:183]
	v_add_f64 v[38:39], v[38:39], -v[182:183]
	ds_load_2addr_b64 v[182:185], v212 offset0:72 offset1:73
	s_waitcnt lgkmcnt(0)
	v_mul_f64 v[84:85], v[184:185], v[86:87]
	s_delay_alu instid0(VALU_DEP_1) | instskip(SKIP_1) | instid1(VALU_DEP_2)
	v_fma_f64 v[84:85], v[182:183], v[180:181], -v[84:85]
	v_mul_f64 v[182:183], v[182:183], v[86:87]
	v_add_f64 v[32:33], v[32:33], -v[84:85]
	s_delay_alu instid0(VALU_DEP_2) | instskip(NEXT) | instid1(VALU_DEP_1)
	v_fma_f64 v[182:183], v[184:185], v[180:181], v[182:183]
	v_add_f64 v[34:35], v[34:35], -v[182:183]
	ds_load_2addr_b64 v[182:185], v212 offset0:74 offset1:75
	s_waitcnt lgkmcnt(0)
	v_mul_f64 v[84:85], v[184:185], v[86:87]
	s_delay_alu instid0(VALU_DEP_1) | instskip(SKIP_1) | instid1(VALU_DEP_2)
	v_fma_f64 v[84:85], v[182:183], v[180:181], -v[84:85]
	v_mul_f64 v[182:183], v[182:183], v[86:87]
	v_add_f64 v[28:29], v[28:29], -v[84:85]
	s_delay_alu instid0(VALU_DEP_2) | instskip(NEXT) | instid1(VALU_DEP_1)
	v_fma_f64 v[182:183], v[184:185], v[180:181], v[182:183]
	v_add_f64 v[30:31], v[30:31], -v[182:183]
	ds_load_2addr_b64 v[182:185], v212 offset0:76 offset1:77
	s_waitcnt lgkmcnt(0)
	v_mul_f64 v[84:85], v[184:185], v[86:87]
	s_delay_alu instid0(VALU_DEP_1) | instskip(SKIP_1) | instid1(VALU_DEP_2)
	v_fma_f64 v[84:85], v[182:183], v[180:181], -v[84:85]
	v_mul_f64 v[182:183], v[182:183], v[86:87]
	v_add_f64 v[24:25], v[24:25], -v[84:85]
	s_delay_alu instid0(VALU_DEP_2) | instskip(NEXT) | instid1(VALU_DEP_1)
	v_fma_f64 v[182:183], v[184:185], v[180:181], v[182:183]
	v_add_f64 v[26:27], v[26:27], -v[182:183]
	ds_load_2addr_b64 v[182:185], v212 offset0:78 offset1:79
	s_waitcnt lgkmcnt(0)
	v_mul_f64 v[84:85], v[184:185], v[86:87]
	s_delay_alu instid0(VALU_DEP_1) | instskip(SKIP_1) | instid1(VALU_DEP_2)
	v_fma_f64 v[84:85], v[182:183], v[180:181], -v[84:85]
	v_mul_f64 v[182:183], v[182:183], v[86:87]
	v_add_f64 v[20:21], v[20:21], -v[84:85]
	s_delay_alu instid0(VALU_DEP_2) | instskip(NEXT) | instid1(VALU_DEP_1)
	v_fma_f64 v[182:183], v[184:185], v[180:181], v[182:183]
	v_add_f64 v[22:23], v[22:23], -v[182:183]
	ds_load_2addr_b64 v[182:185], v212 offset0:80 offset1:81
	s_waitcnt lgkmcnt(0)
	v_mul_f64 v[84:85], v[184:185], v[86:87]
	s_delay_alu instid0(VALU_DEP_1) | instskip(SKIP_1) | instid1(VALU_DEP_2)
	v_fma_f64 v[84:85], v[182:183], v[180:181], -v[84:85]
	v_mul_f64 v[182:183], v[182:183], v[86:87]
	v_add_f64 v[16:17], v[16:17], -v[84:85]
	s_delay_alu instid0(VALU_DEP_2) | instskip(NEXT) | instid1(VALU_DEP_1)
	v_fma_f64 v[182:183], v[184:185], v[180:181], v[182:183]
	v_add_f64 v[18:19], v[18:19], -v[182:183]
	ds_load_2addr_b64 v[182:185], v212 offset0:82 offset1:83
	s_waitcnt lgkmcnt(0)
	v_mul_f64 v[84:85], v[184:185], v[86:87]
	s_delay_alu instid0(VALU_DEP_1) | instskip(SKIP_1) | instid1(VALU_DEP_2)
	v_fma_f64 v[84:85], v[182:183], v[180:181], -v[84:85]
	v_mul_f64 v[182:183], v[182:183], v[86:87]
	v_add_f64 v[12:13], v[12:13], -v[84:85]
	s_delay_alu instid0(VALU_DEP_2) | instskip(NEXT) | instid1(VALU_DEP_1)
	v_fma_f64 v[182:183], v[184:185], v[180:181], v[182:183]
	v_add_f64 v[14:15], v[14:15], -v[182:183]
	ds_load_2addr_b64 v[182:185], v212 offset0:84 offset1:85
	s_waitcnt lgkmcnt(0)
	v_mul_f64 v[84:85], v[184:185], v[86:87]
	s_delay_alu instid0(VALU_DEP_1) | instskip(SKIP_1) | instid1(VALU_DEP_2)
	v_fma_f64 v[84:85], v[182:183], v[180:181], -v[84:85]
	v_mul_f64 v[182:183], v[182:183], v[86:87]
	v_add_f64 v[8:9], v[8:9], -v[84:85]
	s_delay_alu instid0(VALU_DEP_2) | instskip(NEXT) | instid1(VALU_DEP_1)
	v_fma_f64 v[182:183], v[184:185], v[180:181], v[182:183]
	v_add_f64 v[10:11], v[10:11], -v[182:183]
	ds_load_2addr_b64 v[182:185], v212 offset0:86 offset1:87
	s_waitcnt lgkmcnt(0)
	v_mul_f64 v[84:85], v[184:185], v[86:87]
	s_delay_alu instid0(VALU_DEP_1) | instskip(SKIP_1) | instid1(VALU_DEP_2)
	v_fma_f64 v[84:85], v[182:183], v[180:181], -v[84:85]
	v_mul_f64 v[182:183], v[182:183], v[86:87]
	v_add_f64 v[4:5], v[4:5], -v[84:85]
	s_delay_alu instid0(VALU_DEP_2) | instskip(NEXT) | instid1(VALU_DEP_1)
	v_fma_f64 v[182:183], v[184:185], v[180:181], v[182:183]
	v_add_f64 v[6:7], v[6:7], -v[182:183]
	ds_load_2addr_b64 v[182:185], v212 offset0:88 offset1:89
	s_waitcnt lgkmcnt(0)
	v_mul_f64 v[84:85], v[184:185], v[86:87]
	s_delay_alu instid0(VALU_DEP_1) | instskip(SKIP_1) | instid1(VALU_DEP_2)
	v_fma_f64 v[84:85], v[182:183], v[180:181], -v[84:85]
	v_mul_f64 v[182:183], v[182:183], v[86:87]
	v_add_f64 v[0:1], v[0:1], -v[84:85]
	s_delay_alu instid0(VALU_DEP_2) | instskip(SKIP_1) | instid1(VALU_DEP_2)
	v_fma_f64 v[182:183], v[184:185], v[180:181], v[182:183]
	v_dual_mov_b32 v84, v180 :: v_dual_mov_b32 v85, v181
	v_add_f64 v[2:3], v[2:3], -v[182:183]
.LBB89_217:
	s_or_b32 exec_lo, exec_lo, s3
	s_delay_alu instid0(SALU_CYCLE_1)
	s_mov_b32 s4, exec_lo
	s_waitcnt_vscnt null, 0x0
	s_barrier
	buffer_gl0_inv
	v_cmpx_eq_u32_e32 24, v210
	s_cbranch_execz .LBB89_224
; %bb.218:
	ds_store_2addr_b64 v211, v[80:81], v[82:83] offset1:1
	ds_store_2addr_b64 v212, v[76:77], v[78:79] offset0:50 offset1:51
	ds_store_2addr_b64 v212, v[72:73], v[74:75] offset0:52 offset1:53
	;; [unrolled: 1-line block ×20, first 2 shown]
	ds_load_2addr_b64 v[180:183], v211 offset1:1
	s_waitcnt lgkmcnt(0)
	v_cmp_neq_f64_e32 vcc_lo, 0, v[180:181]
	v_cmp_neq_f64_e64 s3, 0, v[182:183]
	s_delay_alu instid0(VALU_DEP_1) | instskip(NEXT) | instid1(SALU_CYCLE_1)
	s_or_b32 s3, vcc_lo, s3
	s_and_b32 exec_lo, exec_lo, s3
	s_cbranch_execz .LBB89_224
; %bb.219:
	v_cmp_gt_f64_e32 vcc_lo, 0, v[180:181]
	v_xor_b32_e32 v184, 0x80000000, v181
	v_xor_b32_e32 v186, 0x80000000, v183
	s_mov_b32 s3, exec_lo
                                        ; implicit-def: $vgpr188_vgpr189
	s_delay_alu instid0(VALU_DEP_2) | instskip(SKIP_4) | instid1(VALU_DEP_1)
	v_cndmask_b32_e32 v185, v181, v184, vcc_lo
	v_cndmask_b32_e32 v184, v180, v180, vcc_lo
	v_cmp_gt_f64_e32 vcc_lo, 0, v[182:183]
	v_cndmask_b32_e32 v187, v183, v186, vcc_lo
	v_cndmask_b32_e32 v186, v182, v182, vcc_lo
	v_cmpx_ngt_f64_e32 v[184:185], v[186:187]
	s_xor_b32 s3, exec_lo, s3
                                        ; implicit-def: $vgpr184_vgpr185_vgpr186_vgpr187
	s_cbranch_execz .LBB89_221
; %bb.220:
	v_div_scale_f64 v[184:185], null, v[182:183], v[182:183], v[180:181]
	v_div_scale_f64 v[190:191], vcc_lo, v[180:181], v[182:183], v[180:181]
	s_delay_alu instid0(VALU_DEP_2) | instskip(SKIP_2) | instid1(VALU_DEP_1)
	v_rcp_f64_e32 v[186:187], v[184:185]
	s_waitcnt_depctr 0xfff
	v_fma_f64 v[188:189], -v[184:185], v[186:187], 1.0
	v_fma_f64 v[186:187], v[186:187], v[188:189], v[186:187]
	s_delay_alu instid0(VALU_DEP_1) | instskip(NEXT) | instid1(VALU_DEP_1)
	v_fma_f64 v[188:189], -v[184:185], v[186:187], 1.0
	v_fma_f64 v[186:187], v[186:187], v[188:189], v[186:187]
	s_delay_alu instid0(VALU_DEP_1) | instskip(NEXT) | instid1(VALU_DEP_1)
	v_mul_f64 v[188:189], v[190:191], v[186:187]
	v_fma_f64 v[184:185], -v[184:185], v[188:189], v[190:191]
	s_delay_alu instid0(VALU_DEP_1) | instskip(NEXT) | instid1(VALU_DEP_1)
	v_div_fmas_f64 v[184:185], v[184:185], v[186:187], v[188:189]
	v_div_fixup_f64 v[184:185], v[184:185], v[182:183], v[180:181]
	s_delay_alu instid0(VALU_DEP_1) | instskip(NEXT) | instid1(VALU_DEP_1)
	v_fma_f64 v[180:181], v[180:181], v[184:185], v[182:183]
	v_div_scale_f64 v[182:183], null, v[180:181], v[180:181], 1.0
	s_delay_alu instid0(VALU_DEP_1) | instskip(SKIP_2) | instid1(VALU_DEP_1)
	v_rcp_f64_e32 v[186:187], v[182:183]
	s_waitcnt_depctr 0xfff
	v_fma_f64 v[188:189], -v[182:183], v[186:187], 1.0
	v_fma_f64 v[186:187], v[186:187], v[188:189], v[186:187]
	s_delay_alu instid0(VALU_DEP_1) | instskip(NEXT) | instid1(VALU_DEP_1)
	v_fma_f64 v[188:189], -v[182:183], v[186:187], 1.0
	v_fma_f64 v[186:187], v[186:187], v[188:189], v[186:187]
	v_div_scale_f64 v[188:189], vcc_lo, 1.0, v[180:181], 1.0
	s_delay_alu instid0(VALU_DEP_1) | instskip(NEXT) | instid1(VALU_DEP_1)
	v_mul_f64 v[190:191], v[188:189], v[186:187]
	v_fma_f64 v[182:183], -v[182:183], v[190:191], v[188:189]
	s_delay_alu instid0(VALU_DEP_1) | instskip(NEXT) | instid1(VALU_DEP_1)
	v_div_fmas_f64 v[182:183], v[182:183], v[186:187], v[190:191]
	v_div_fixup_f64 v[186:187], v[182:183], v[180:181], 1.0
                                        ; implicit-def: $vgpr180_vgpr181
	s_delay_alu instid0(VALU_DEP_1)
	v_mul_f64 v[188:189], v[184:185], v[186:187]
	v_xor_b32_e32 v187, 0x80000000, v187
.LBB89_221:
	s_and_not1_saveexec_b32 s3, s3
	s_cbranch_execz .LBB89_223
; %bb.222:
	v_div_scale_f64 v[184:185], null, v[180:181], v[180:181], v[182:183]
	v_div_scale_f64 v[190:191], vcc_lo, v[182:183], v[180:181], v[182:183]
	s_delay_alu instid0(VALU_DEP_2) | instskip(SKIP_2) | instid1(VALU_DEP_1)
	v_rcp_f64_e32 v[186:187], v[184:185]
	s_waitcnt_depctr 0xfff
	v_fma_f64 v[188:189], -v[184:185], v[186:187], 1.0
	v_fma_f64 v[186:187], v[186:187], v[188:189], v[186:187]
	s_delay_alu instid0(VALU_DEP_1) | instskip(NEXT) | instid1(VALU_DEP_1)
	v_fma_f64 v[188:189], -v[184:185], v[186:187], 1.0
	v_fma_f64 v[186:187], v[186:187], v[188:189], v[186:187]
	s_delay_alu instid0(VALU_DEP_1) | instskip(NEXT) | instid1(VALU_DEP_1)
	v_mul_f64 v[188:189], v[190:191], v[186:187]
	v_fma_f64 v[184:185], -v[184:185], v[188:189], v[190:191]
	s_delay_alu instid0(VALU_DEP_1) | instskip(NEXT) | instid1(VALU_DEP_1)
	v_div_fmas_f64 v[184:185], v[184:185], v[186:187], v[188:189]
	v_div_fixup_f64 v[184:185], v[184:185], v[180:181], v[182:183]
	s_delay_alu instid0(VALU_DEP_1) | instskip(NEXT) | instid1(VALU_DEP_1)
	v_fma_f64 v[180:181], v[182:183], v[184:185], v[180:181]
	v_div_scale_f64 v[182:183], null, v[180:181], v[180:181], 1.0
	s_delay_alu instid0(VALU_DEP_1) | instskip(SKIP_2) | instid1(VALU_DEP_1)
	v_rcp_f64_e32 v[186:187], v[182:183]
	s_waitcnt_depctr 0xfff
	v_fma_f64 v[188:189], -v[182:183], v[186:187], 1.0
	v_fma_f64 v[186:187], v[186:187], v[188:189], v[186:187]
	s_delay_alu instid0(VALU_DEP_1) | instskip(NEXT) | instid1(VALU_DEP_1)
	v_fma_f64 v[188:189], -v[182:183], v[186:187], 1.0
	v_fma_f64 v[186:187], v[186:187], v[188:189], v[186:187]
	v_div_scale_f64 v[188:189], vcc_lo, 1.0, v[180:181], 1.0
	s_delay_alu instid0(VALU_DEP_1) | instskip(NEXT) | instid1(VALU_DEP_1)
	v_mul_f64 v[190:191], v[188:189], v[186:187]
	v_fma_f64 v[182:183], -v[182:183], v[190:191], v[188:189]
	s_delay_alu instid0(VALU_DEP_1) | instskip(NEXT) | instid1(VALU_DEP_1)
	v_div_fmas_f64 v[182:183], v[182:183], v[186:187], v[190:191]
	v_div_fixup_f64 v[188:189], v[182:183], v[180:181], 1.0
	s_delay_alu instid0(VALU_DEP_1)
	v_mul_f64 v[186:187], v[184:185], -v[188:189]
.LBB89_223:
	s_or_b32 exec_lo, exec_lo, s3
	ds_store_2addr_b64 v211, v[188:189], v[186:187] offset1:1
.LBB89_224:
	s_or_b32 exec_lo, exec_lo, s4
	s_waitcnt lgkmcnt(0)
	s_barrier
	buffer_gl0_inv
	ds_load_2addr_b64 v[180:183], v211 offset1:1
	s_mov_b32 s3, exec_lo
	s_waitcnt lgkmcnt(0)
	scratch_store_b128 off, v[180:183], off offset:640 ; 16-byte Folded Spill
	v_cmpx_lt_u32_e32 24, v210
	s_cbranch_execz .LBB89_226
; %bb.225:
	scratch_load_b128 v[182:185], off, off offset:640 ; 16-byte Folded Reload
	s_waitcnt vmcnt(0)
	v_mul_f64 v[180:181], v[184:185], v[82:83]
	v_mul_f64 v[82:83], v[182:183], v[82:83]
	s_delay_alu instid0(VALU_DEP_2) | instskip(NEXT) | instid1(VALU_DEP_2)
	v_fma_f64 v[180:181], v[182:183], v[80:81], -v[180:181]
	v_fma_f64 v[82:83], v[184:185], v[80:81], v[82:83]
	ds_load_2addr_b64 v[182:185], v212 offset0:50 offset1:51
	s_waitcnt lgkmcnt(0)
	v_mul_f64 v[80:81], v[184:185], v[82:83]
	s_delay_alu instid0(VALU_DEP_1) | instskip(SKIP_1) | instid1(VALU_DEP_2)
	v_fma_f64 v[80:81], v[182:183], v[180:181], -v[80:81]
	v_mul_f64 v[182:183], v[182:183], v[82:83]
	v_add_f64 v[76:77], v[76:77], -v[80:81]
	s_delay_alu instid0(VALU_DEP_2) | instskip(NEXT) | instid1(VALU_DEP_1)
	v_fma_f64 v[182:183], v[184:185], v[180:181], v[182:183]
	v_add_f64 v[78:79], v[78:79], -v[182:183]
	ds_load_2addr_b64 v[182:185], v212 offset0:52 offset1:53
	s_waitcnt lgkmcnt(0)
	v_mul_f64 v[80:81], v[184:185], v[82:83]
	s_delay_alu instid0(VALU_DEP_1) | instskip(SKIP_1) | instid1(VALU_DEP_2)
	v_fma_f64 v[80:81], v[182:183], v[180:181], -v[80:81]
	v_mul_f64 v[182:183], v[182:183], v[82:83]
	v_add_f64 v[72:73], v[72:73], -v[80:81]
	s_delay_alu instid0(VALU_DEP_2) | instskip(NEXT) | instid1(VALU_DEP_1)
	v_fma_f64 v[182:183], v[184:185], v[180:181], v[182:183]
	v_add_f64 v[74:75], v[74:75], -v[182:183]
	;; [unrolled: 10-line block ×19, first 2 shown]
	ds_load_2addr_b64 v[182:185], v212 offset0:88 offset1:89
	s_waitcnt lgkmcnt(0)
	v_mul_f64 v[80:81], v[184:185], v[82:83]
	s_delay_alu instid0(VALU_DEP_1) | instskip(SKIP_1) | instid1(VALU_DEP_2)
	v_fma_f64 v[80:81], v[182:183], v[180:181], -v[80:81]
	v_mul_f64 v[182:183], v[182:183], v[82:83]
	v_add_f64 v[0:1], v[0:1], -v[80:81]
	s_delay_alu instid0(VALU_DEP_2) | instskip(SKIP_1) | instid1(VALU_DEP_2)
	v_fma_f64 v[182:183], v[184:185], v[180:181], v[182:183]
	v_dual_mov_b32 v80, v180 :: v_dual_mov_b32 v81, v181
	v_add_f64 v[2:3], v[2:3], -v[182:183]
.LBB89_226:
	s_or_b32 exec_lo, exec_lo, s3
	s_delay_alu instid0(SALU_CYCLE_1)
	s_mov_b32 s4, exec_lo
	s_waitcnt_vscnt null, 0x0
	s_barrier
	buffer_gl0_inv
	v_cmpx_eq_u32_e32 25, v210
	s_cbranch_execz .LBB89_233
; %bb.227:
	ds_store_2addr_b64 v211, v[76:77], v[78:79] offset1:1
	ds_store_2addr_b64 v212, v[72:73], v[74:75] offset0:52 offset1:53
	ds_store_2addr_b64 v212, v[68:69], v[70:71] offset0:54 offset1:55
	;; [unrolled: 1-line block ×19, first 2 shown]
	ds_load_2addr_b64 v[180:183], v211 offset1:1
	s_waitcnt lgkmcnt(0)
	v_cmp_neq_f64_e32 vcc_lo, 0, v[180:181]
	v_cmp_neq_f64_e64 s3, 0, v[182:183]
	s_delay_alu instid0(VALU_DEP_1) | instskip(NEXT) | instid1(SALU_CYCLE_1)
	s_or_b32 s3, vcc_lo, s3
	s_and_b32 exec_lo, exec_lo, s3
	s_cbranch_execz .LBB89_233
; %bb.228:
	v_cmp_gt_f64_e32 vcc_lo, 0, v[180:181]
	v_xor_b32_e32 v184, 0x80000000, v181
	v_xor_b32_e32 v186, 0x80000000, v183
	s_mov_b32 s3, exec_lo
                                        ; implicit-def: $vgpr188_vgpr189
	s_delay_alu instid0(VALU_DEP_2) | instskip(SKIP_4) | instid1(VALU_DEP_1)
	v_cndmask_b32_e32 v185, v181, v184, vcc_lo
	v_cndmask_b32_e32 v184, v180, v180, vcc_lo
	v_cmp_gt_f64_e32 vcc_lo, 0, v[182:183]
	v_cndmask_b32_e32 v187, v183, v186, vcc_lo
	v_cndmask_b32_e32 v186, v182, v182, vcc_lo
	v_cmpx_ngt_f64_e32 v[184:185], v[186:187]
	s_xor_b32 s3, exec_lo, s3
                                        ; implicit-def: $vgpr184_vgpr185_vgpr186_vgpr187
	s_cbranch_execz .LBB89_230
; %bb.229:
	v_div_scale_f64 v[184:185], null, v[182:183], v[182:183], v[180:181]
	v_div_scale_f64 v[190:191], vcc_lo, v[180:181], v[182:183], v[180:181]
	s_delay_alu instid0(VALU_DEP_2) | instskip(SKIP_2) | instid1(VALU_DEP_1)
	v_rcp_f64_e32 v[186:187], v[184:185]
	s_waitcnt_depctr 0xfff
	v_fma_f64 v[188:189], -v[184:185], v[186:187], 1.0
	v_fma_f64 v[186:187], v[186:187], v[188:189], v[186:187]
	s_delay_alu instid0(VALU_DEP_1) | instskip(NEXT) | instid1(VALU_DEP_1)
	v_fma_f64 v[188:189], -v[184:185], v[186:187], 1.0
	v_fma_f64 v[186:187], v[186:187], v[188:189], v[186:187]
	s_delay_alu instid0(VALU_DEP_1) | instskip(NEXT) | instid1(VALU_DEP_1)
	v_mul_f64 v[188:189], v[190:191], v[186:187]
	v_fma_f64 v[184:185], -v[184:185], v[188:189], v[190:191]
	s_delay_alu instid0(VALU_DEP_1) | instskip(NEXT) | instid1(VALU_DEP_1)
	v_div_fmas_f64 v[184:185], v[184:185], v[186:187], v[188:189]
	v_div_fixup_f64 v[184:185], v[184:185], v[182:183], v[180:181]
	s_delay_alu instid0(VALU_DEP_1) | instskip(NEXT) | instid1(VALU_DEP_1)
	v_fma_f64 v[180:181], v[180:181], v[184:185], v[182:183]
	v_div_scale_f64 v[182:183], null, v[180:181], v[180:181], 1.0
	s_delay_alu instid0(VALU_DEP_1) | instskip(SKIP_2) | instid1(VALU_DEP_1)
	v_rcp_f64_e32 v[186:187], v[182:183]
	s_waitcnt_depctr 0xfff
	v_fma_f64 v[188:189], -v[182:183], v[186:187], 1.0
	v_fma_f64 v[186:187], v[186:187], v[188:189], v[186:187]
	s_delay_alu instid0(VALU_DEP_1) | instskip(NEXT) | instid1(VALU_DEP_1)
	v_fma_f64 v[188:189], -v[182:183], v[186:187], 1.0
	v_fma_f64 v[186:187], v[186:187], v[188:189], v[186:187]
	v_div_scale_f64 v[188:189], vcc_lo, 1.0, v[180:181], 1.0
	s_delay_alu instid0(VALU_DEP_1) | instskip(NEXT) | instid1(VALU_DEP_1)
	v_mul_f64 v[190:191], v[188:189], v[186:187]
	v_fma_f64 v[182:183], -v[182:183], v[190:191], v[188:189]
	s_delay_alu instid0(VALU_DEP_1) | instskip(NEXT) | instid1(VALU_DEP_1)
	v_div_fmas_f64 v[182:183], v[182:183], v[186:187], v[190:191]
	v_div_fixup_f64 v[186:187], v[182:183], v[180:181], 1.0
                                        ; implicit-def: $vgpr180_vgpr181
	s_delay_alu instid0(VALU_DEP_1)
	v_mul_f64 v[188:189], v[184:185], v[186:187]
	v_xor_b32_e32 v187, 0x80000000, v187
.LBB89_230:
	s_and_not1_saveexec_b32 s3, s3
	s_cbranch_execz .LBB89_232
; %bb.231:
	v_div_scale_f64 v[184:185], null, v[180:181], v[180:181], v[182:183]
	v_div_scale_f64 v[190:191], vcc_lo, v[182:183], v[180:181], v[182:183]
	s_delay_alu instid0(VALU_DEP_2) | instskip(SKIP_2) | instid1(VALU_DEP_1)
	v_rcp_f64_e32 v[186:187], v[184:185]
	s_waitcnt_depctr 0xfff
	v_fma_f64 v[188:189], -v[184:185], v[186:187], 1.0
	v_fma_f64 v[186:187], v[186:187], v[188:189], v[186:187]
	s_delay_alu instid0(VALU_DEP_1) | instskip(NEXT) | instid1(VALU_DEP_1)
	v_fma_f64 v[188:189], -v[184:185], v[186:187], 1.0
	v_fma_f64 v[186:187], v[186:187], v[188:189], v[186:187]
	s_delay_alu instid0(VALU_DEP_1) | instskip(NEXT) | instid1(VALU_DEP_1)
	v_mul_f64 v[188:189], v[190:191], v[186:187]
	v_fma_f64 v[184:185], -v[184:185], v[188:189], v[190:191]
	s_delay_alu instid0(VALU_DEP_1) | instskip(NEXT) | instid1(VALU_DEP_1)
	v_div_fmas_f64 v[184:185], v[184:185], v[186:187], v[188:189]
	v_div_fixup_f64 v[184:185], v[184:185], v[180:181], v[182:183]
	s_delay_alu instid0(VALU_DEP_1) | instskip(NEXT) | instid1(VALU_DEP_1)
	v_fma_f64 v[180:181], v[182:183], v[184:185], v[180:181]
	v_div_scale_f64 v[182:183], null, v[180:181], v[180:181], 1.0
	s_delay_alu instid0(VALU_DEP_1) | instskip(SKIP_2) | instid1(VALU_DEP_1)
	v_rcp_f64_e32 v[186:187], v[182:183]
	s_waitcnt_depctr 0xfff
	v_fma_f64 v[188:189], -v[182:183], v[186:187], 1.0
	v_fma_f64 v[186:187], v[186:187], v[188:189], v[186:187]
	s_delay_alu instid0(VALU_DEP_1) | instskip(NEXT) | instid1(VALU_DEP_1)
	v_fma_f64 v[188:189], -v[182:183], v[186:187], 1.0
	v_fma_f64 v[186:187], v[186:187], v[188:189], v[186:187]
	v_div_scale_f64 v[188:189], vcc_lo, 1.0, v[180:181], 1.0
	s_delay_alu instid0(VALU_DEP_1) | instskip(NEXT) | instid1(VALU_DEP_1)
	v_mul_f64 v[190:191], v[188:189], v[186:187]
	v_fma_f64 v[182:183], -v[182:183], v[190:191], v[188:189]
	s_delay_alu instid0(VALU_DEP_1) | instskip(NEXT) | instid1(VALU_DEP_1)
	v_div_fmas_f64 v[182:183], v[182:183], v[186:187], v[190:191]
	v_div_fixup_f64 v[188:189], v[182:183], v[180:181], 1.0
	s_delay_alu instid0(VALU_DEP_1)
	v_mul_f64 v[186:187], v[184:185], -v[188:189]
.LBB89_232:
	s_or_b32 exec_lo, exec_lo, s3
	ds_store_2addr_b64 v211, v[188:189], v[186:187] offset1:1
.LBB89_233:
	s_or_b32 exec_lo, exec_lo, s4
	s_waitcnt lgkmcnt(0)
	s_barrier
	buffer_gl0_inv
	ds_load_2addr_b64 v[180:183], v211 offset1:1
	s_mov_b32 s3, exec_lo
	s_waitcnt lgkmcnt(0)
	scratch_store_b128 off, v[180:183], off offset:656 ; 16-byte Folded Spill
	v_cmpx_lt_u32_e32 25, v210
	s_cbranch_execz .LBB89_235
; %bb.234:
	scratch_load_b128 v[182:185], off, off offset:656 ; 16-byte Folded Reload
	s_waitcnt vmcnt(0)
	v_mul_f64 v[180:181], v[184:185], v[78:79]
	v_mul_f64 v[78:79], v[182:183], v[78:79]
	s_delay_alu instid0(VALU_DEP_2) | instskip(NEXT) | instid1(VALU_DEP_2)
	v_fma_f64 v[180:181], v[182:183], v[76:77], -v[180:181]
	v_fma_f64 v[78:79], v[184:185], v[76:77], v[78:79]
	ds_load_2addr_b64 v[182:185], v212 offset0:52 offset1:53
	s_waitcnt lgkmcnt(0)
	v_mul_f64 v[76:77], v[184:185], v[78:79]
	s_delay_alu instid0(VALU_DEP_1) | instskip(SKIP_1) | instid1(VALU_DEP_2)
	v_fma_f64 v[76:77], v[182:183], v[180:181], -v[76:77]
	v_mul_f64 v[182:183], v[182:183], v[78:79]
	v_add_f64 v[72:73], v[72:73], -v[76:77]
	s_delay_alu instid0(VALU_DEP_2) | instskip(NEXT) | instid1(VALU_DEP_1)
	v_fma_f64 v[182:183], v[184:185], v[180:181], v[182:183]
	v_add_f64 v[74:75], v[74:75], -v[182:183]
	ds_load_2addr_b64 v[182:185], v212 offset0:54 offset1:55
	s_waitcnt lgkmcnt(0)
	v_mul_f64 v[76:77], v[184:185], v[78:79]
	s_delay_alu instid0(VALU_DEP_1) | instskip(SKIP_1) | instid1(VALU_DEP_2)
	v_fma_f64 v[76:77], v[182:183], v[180:181], -v[76:77]
	v_mul_f64 v[182:183], v[182:183], v[78:79]
	v_add_f64 v[68:69], v[68:69], -v[76:77]
	s_delay_alu instid0(VALU_DEP_2) | instskip(NEXT) | instid1(VALU_DEP_1)
	v_fma_f64 v[182:183], v[184:185], v[180:181], v[182:183]
	v_add_f64 v[70:71], v[70:71], -v[182:183]
	;; [unrolled: 10-line block ×18, first 2 shown]
	ds_load_2addr_b64 v[182:185], v212 offset0:88 offset1:89
	s_waitcnt lgkmcnt(0)
	v_mul_f64 v[76:77], v[184:185], v[78:79]
	s_delay_alu instid0(VALU_DEP_1) | instskip(SKIP_1) | instid1(VALU_DEP_2)
	v_fma_f64 v[76:77], v[182:183], v[180:181], -v[76:77]
	v_mul_f64 v[182:183], v[182:183], v[78:79]
	v_add_f64 v[0:1], v[0:1], -v[76:77]
	s_delay_alu instid0(VALU_DEP_2) | instskip(SKIP_1) | instid1(VALU_DEP_2)
	v_fma_f64 v[182:183], v[184:185], v[180:181], v[182:183]
	v_dual_mov_b32 v76, v180 :: v_dual_mov_b32 v77, v181
	v_add_f64 v[2:3], v[2:3], -v[182:183]
.LBB89_235:
	s_or_b32 exec_lo, exec_lo, s3
	s_delay_alu instid0(SALU_CYCLE_1)
	s_mov_b32 s4, exec_lo
	s_waitcnt_vscnt null, 0x0
	s_barrier
	buffer_gl0_inv
	v_cmpx_eq_u32_e32 26, v210
	s_cbranch_execz .LBB89_242
; %bb.236:
	ds_store_2addr_b64 v211, v[72:73], v[74:75] offset1:1
	ds_store_2addr_b64 v212, v[68:69], v[70:71] offset0:54 offset1:55
	ds_store_2addr_b64 v212, v[64:65], v[66:67] offset0:56 offset1:57
	;; [unrolled: 1-line block ×18, first 2 shown]
	ds_load_2addr_b64 v[180:183], v211 offset1:1
	s_waitcnt lgkmcnt(0)
	v_cmp_neq_f64_e32 vcc_lo, 0, v[180:181]
	v_cmp_neq_f64_e64 s3, 0, v[182:183]
	s_delay_alu instid0(VALU_DEP_1) | instskip(NEXT) | instid1(SALU_CYCLE_1)
	s_or_b32 s3, vcc_lo, s3
	s_and_b32 exec_lo, exec_lo, s3
	s_cbranch_execz .LBB89_242
; %bb.237:
	v_cmp_gt_f64_e32 vcc_lo, 0, v[180:181]
	v_xor_b32_e32 v184, 0x80000000, v181
	v_xor_b32_e32 v186, 0x80000000, v183
	s_mov_b32 s3, exec_lo
                                        ; implicit-def: $vgpr188_vgpr189
	s_delay_alu instid0(VALU_DEP_2) | instskip(SKIP_4) | instid1(VALU_DEP_1)
	v_cndmask_b32_e32 v185, v181, v184, vcc_lo
	v_cndmask_b32_e32 v184, v180, v180, vcc_lo
	v_cmp_gt_f64_e32 vcc_lo, 0, v[182:183]
	v_cndmask_b32_e32 v187, v183, v186, vcc_lo
	v_cndmask_b32_e32 v186, v182, v182, vcc_lo
	v_cmpx_ngt_f64_e32 v[184:185], v[186:187]
	s_xor_b32 s3, exec_lo, s3
                                        ; implicit-def: $vgpr184_vgpr185_vgpr186_vgpr187
	s_cbranch_execz .LBB89_239
; %bb.238:
	v_div_scale_f64 v[184:185], null, v[182:183], v[182:183], v[180:181]
	v_div_scale_f64 v[190:191], vcc_lo, v[180:181], v[182:183], v[180:181]
	s_delay_alu instid0(VALU_DEP_2) | instskip(SKIP_2) | instid1(VALU_DEP_1)
	v_rcp_f64_e32 v[186:187], v[184:185]
	s_waitcnt_depctr 0xfff
	v_fma_f64 v[188:189], -v[184:185], v[186:187], 1.0
	v_fma_f64 v[186:187], v[186:187], v[188:189], v[186:187]
	s_delay_alu instid0(VALU_DEP_1) | instskip(NEXT) | instid1(VALU_DEP_1)
	v_fma_f64 v[188:189], -v[184:185], v[186:187], 1.0
	v_fma_f64 v[186:187], v[186:187], v[188:189], v[186:187]
	s_delay_alu instid0(VALU_DEP_1) | instskip(NEXT) | instid1(VALU_DEP_1)
	v_mul_f64 v[188:189], v[190:191], v[186:187]
	v_fma_f64 v[184:185], -v[184:185], v[188:189], v[190:191]
	s_delay_alu instid0(VALU_DEP_1) | instskip(NEXT) | instid1(VALU_DEP_1)
	v_div_fmas_f64 v[184:185], v[184:185], v[186:187], v[188:189]
	v_div_fixup_f64 v[184:185], v[184:185], v[182:183], v[180:181]
	s_delay_alu instid0(VALU_DEP_1) | instskip(NEXT) | instid1(VALU_DEP_1)
	v_fma_f64 v[180:181], v[180:181], v[184:185], v[182:183]
	v_div_scale_f64 v[182:183], null, v[180:181], v[180:181], 1.0
	s_delay_alu instid0(VALU_DEP_1) | instskip(SKIP_2) | instid1(VALU_DEP_1)
	v_rcp_f64_e32 v[186:187], v[182:183]
	s_waitcnt_depctr 0xfff
	v_fma_f64 v[188:189], -v[182:183], v[186:187], 1.0
	v_fma_f64 v[186:187], v[186:187], v[188:189], v[186:187]
	s_delay_alu instid0(VALU_DEP_1) | instskip(NEXT) | instid1(VALU_DEP_1)
	v_fma_f64 v[188:189], -v[182:183], v[186:187], 1.0
	v_fma_f64 v[186:187], v[186:187], v[188:189], v[186:187]
	v_div_scale_f64 v[188:189], vcc_lo, 1.0, v[180:181], 1.0
	s_delay_alu instid0(VALU_DEP_1) | instskip(NEXT) | instid1(VALU_DEP_1)
	v_mul_f64 v[190:191], v[188:189], v[186:187]
	v_fma_f64 v[182:183], -v[182:183], v[190:191], v[188:189]
	s_delay_alu instid0(VALU_DEP_1) | instskip(NEXT) | instid1(VALU_DEP_1)
	v_div_fmas_f64 v[182:183], v[182:183], v[186:187], v[190:191]
	v_div_fixup_f64 v[186:187], v[182:183], v[180:181], 1.0
                                        ; implicit-def: $vgpr180_vgpr181
	s_delay_alu instid0(VALU_DEP_1)
	v_mul_f64 v[188:189], v[184:185], v[186:187]
	v_xor_b32_e32 v187, 0x80000000, v187
.LBB89_239:
	s_and_not1_saveexec_b32 s3, s3
	s_cbranch_execz .LBB89_241
; %bb.240:
	v_div_scale_f64 v[184:185], null, v[180:181], v[180:181], v[182:183]
	v_div_scale_f64 v[190:191], vcc_lo, v[182:183], v[180:181], v[182:183]
	s_delay_alu instid0(VALU_DEP_2) | instskip(SKIP_2) | instid1(VALU_DEP_1)
	v_rcp_f64_e32 v[186:187], v[184:185]
	s_waitcnt_depctr 0xfff
	v_fma_f64 v[188:189], -v[184:185], v[186:187], 1.0
	v_fma_f64 v[186:187], v[186:187], v[188:189], v[186:187]
	s_delay_alu instid0(VALU_DEP_1) | instskip(NEXT) | instid1(VALU_DEP_1)
	v_fma_f64 v[188:189], -v[184:185], v[186:187], 1.0
	v_fma_f64 v[186:187], v[186:187], v[188:189], v[186:187]
	s_delay_alu instid0(VALU_DEP_1) | instskip(NEXT) | instid1(VALU_DEP_1)
	v_mul_f64 v[188:189], v[190:191], v[186:187]
	v_fma_f64 v[184:185], -v[184:185], v[188:189], v[190:191]
	s_delay_alu instid0(VALU_DEP_1) | instskip(NEXT) | instid1(VALU_DEP_1)
	v_div_fmas_f64 v[184:185], v[184:185], v[186:187], v[188:189]
	v_div_fixup_f64 v[184:185], v[184:185], v[180:181], v[182:183]
	s_delay_alu instid0(VALU_DEP_1) | instskip(NEXT) | instid1(VALU_DEP_1)
	v_fma_f64 v[180:181], v[182:183], v[184:185], v[180:181]
	v_div_scale_f64 v[182:183], null, v[180:181], v[180:181], 1.0
	s_delay_alu instid0(VALU_DEP_1) | instskip(SKIP_2) | instid1(VALU_DEP_1)
	v_rcp_f64_e32 v[186:187], v[182:183]
	s_waitcnt_depctr 0xfff
	v_fma_f64 v[188:189], -v[182:183], v[186:187], 1.0
	v_fma_f64 v[186:187], v[186:187], v[188:189], v[186:187]
	s_delay_alu instid0(VALU_DEP_1) | instskip(NEXT) | instid1(VALU_DEP_1)
	v_fma_f64 v[188:189], -v[182:183], v[186:187], 1.0
	v_fma_f64 v[186:187], v[186:187], v[188:189], v[186:187]
	v_div_scale_f64 v[188:189], vcc_lo, 1.0, v[180:181], 1.0
	s_delay_alu instid0(VALU_DEP_1) | instskip(NEXT) | instid1(VALU_DEP_1)
	v_mul_f64 v[190:191], v[188:189], v[186:187]
	v_fma_f64 v[182:183], -v[182:183], v[190:191], v[188:189]
	s_delay_alu instid0(VALU_DEP_1) | instskip(NEXT) | instid1(VALU_DEP_1)
	v_div_fmas_f64 v[182:183], v[182:183], v[186:187], v[190:191]
	v_div_fixup_f64 v[188:189], v[182:183], v[180:181], 1.0
	s_delay_alu instid0(VALU_DEP_1)
	v_mul_f64 v[186:187], v[184:185], -v[188:189]
.LBB89_241:
	s_or_b32 exec_lo, exec_lo, s3
	ds_store_2addr_b64 v211, v[188:189], v[186:187] offset1:1
.LBB89_242:
	s_or_b32 exec_lo, exec_lo, s4
	s_waitcnt lgkmcnt(0)
	s_barrier
	buffer_gl0_inv
	ds_load_2addr_b64 v[180:183], v211 offset1:1
	s_mov_b32 s3, exec_lo
	s_waitcnt lgkmcnt(0)
	scratch_store_b128 off, v[180:183], off offset:672 ; 16-byte Folded Spill
	v_cmpx_lt_u32_e32 26, v210
	s_cbranch_execz .LBB89_244
; %bb.243:
	scratch_load_b128 v[182:185], off, off offset:672 ; 16-byte Folded Reload
	s_waitcnt vmcnt(0)
	v_mul_f64 v[180:181], v[184:185], v[74:75]
	v_mul_f64 v[74:75], v[182:183], v[74:75]
	s_delay_alu instid0(VALU_DEP_2) | instskip(NEXT) | instid1(VALU_DEP_2)
	v_fma_f64 v[180:181], v[182:183], v[72:73], -v[180:181]
	v_fma_f64 v[74:75], v[184:185], v[72:73], v[74:75]
	ds_load_2addr_b64 v[182:185], v212 offset0:54 offset1:55
	s_waitcnt lgkmcnt(0)
	v_mul_f64 v[72:73], v[184:185], v[74:75]
	s_delay_alu instid0(VALU_DEP_1) | instskip(SKIP_1) | instid1(VALU_DEP_2)
	v_fma_f64 v[72:73], v[182:183], v[180:181], -v[72:73]
	v_mul_f64 v[182:183], v[182:183], v[74:75]
	v_add_f64 v[68:69], v[68:69], -v[72:73]
	s_delay_alu instid0(VALU_DEP_2) | instskip(NEXT) | instid1(VALU_DEP_1)
	v_fma_f64 v[182:183], v[184:185], v[180:181], v[182:183]
	v_add_f64 v[70:71], v[70:71], -v[182:183]
	ds_load_2addr_b64 v[182:185], v212 offset0:56 offset1:57
	s_waitcnt lgkmcnt(0)
	v_mul_f64 v[72:73], v[184:185], v[74:75]
	s_delay_alu instid0(VALU_DEP_1) | instskip(SKIP_1) | instid1(VALU_DEP_2)
	v_fma_f64 v[72:73], v[182:183], v[180:181], -v[72:73]
	v_mul_f64 v[182:183], v[182:183], v[74:75]
	v_add_f64 v[64:65], v[64:65], -v[72:73]
	s_delay_alu instid0(VALU_DEP_2) | instskip(NEXT) | instid1(VALU_DEP_1)
	v_fma_f64 v[182:183], v[184:185], v[180:181], v[182:183]
	v_add_f64 v[66:67], v[66:67], -v[182:183]
	;; [unrolled: 10-line block ×17, first 2 shown]
	ds_load_2addr_b64 v[182:185], v212 offset0:88 offset1:89
	s_waitcnt lgkmcnt(0)
	v_mul_f64 v[72:73], v[184:185], v[74:75]
	s_delay_alu instid0(VALU_DEP_1) | instskip(SKIP_1) | instid1(VALU_DEP_2)
	v_fma_f64 v[72:73], v[182:183], v[180:181], -v[72:73]
	v_mul_f64 v[182:183], v[182:183], v[74:75]
	v_add_f64 v[0:1], v[0:1], -v[72:73]
	s_delay_alu instid0(VALU_DEP_2) | instskip(SKIP_1) | instid1(VALU_DEP_2)
	v_fma_f64 v[182:183], v[184:185], v[180:181], v[182:183]
	v_dual_mov_b32 v72, v180 :: v_dual_mov_b32 v73, v181
	v_add_f64 v[2:3], v[2:3], -v[182:183]
.LBB89_244:
	s_or_b32 exec_lo, exec_lo, s3
	s_delay_alu instid0(SALU_CYCLE_1)
	s_mov_b32 s4, exec_lo
	s_waitcnt_vscnt null, 0x0
	s_barrier
	buffer_gl0_inv
	v_cmpx_eq_u32_e32 27, v210
	s_cbranch_execz .LBB89_251
; %bb.245:
	ds_store_2addr_b64 v211, v[68:69], v[70:71] offset1:1
	ds_store_2addr_b64 v212, v[64:65], v[66:67] offset0:56 offset1:57
	ds_store_2addr_b64 v212, v[60:61], v[62:63] offset0:58 offset1:59
	;; [unrolled: 1-line block ×17, first 2 shown]
	ds_load_2addr_b64 v[180:183], v211 offset1:1
	s_waitcnt lgkmcnt(0)
	v_cmp_neq_f64_e32 vcc_lo, 0, v[180:181]
	v_cmp_neq_f64_e64 s3, 0, v[182:183]
	s_delay_alu instid0(VALU_DEP_1) | instskip(NEXT) | instid1(SALU_CYCLE_1)
	s_or_b32 s3, vcc_lo, s3
	s_and_b32 exec_lo, exec_lo, s3
	s_cbranch_execz .LBB89_251
; %bb.246:
	v_cmp_gt_f64_e32 vcc_lo, 0, v[180:181]
	v_xor_b32_e32 v184, 0x80000000, v181
	v_xor_b32_e32 v186, 0x80000000, v183
	s_mov_b32 s3, exec_lo
                                        ; implicit-def: $vgpr188_vgpr189
	s_delay_alu instid0(VALU_DEP_2) | instskip(SKIP_4) | instid1(VALU_DEP_1)
	v_cndmask_b32_e32 v185, v181, v184, vcc_lo
	v_cndmask_b32_e32 v184, v180, v180, vcc_lo
	v_cmp_gt_f64_e32 vcc_lo, 0, v[182:183]
	v_cndmask_b32_e32 v187, v183, v186, vcc_lo
	v_cndmask_b32_e32 v186, v182, v182, vcc_lo
	v_cmpx_ngt_f64_e32 v[184:185], v[186:187]
	s_xor_b32 s3, exec_lo, s3
                                        ; implicit-def: $vgpr184_vgpr185_vgpr186_vgpr187
	s_cbranch_execz .LBB89_248
; %bb.247:
	v_div_scale_f64 v[184:185], null, v[182:183], v[182:183], v[180:181]
	v_div_scale_f64 v[190:191], vcc_lo, v[180:181], v[182:183], v[180:181]
	s_delay_alu instid0(VALU_DEP_2) | instskip(SKIP_2) | instid1(VALU_DEP_1)
	v_rcp_f64_e32 v[186:187], v[184:185]
	s_waitcnt_depctr 0xfff
	v_fma_f64 v[188:189], -v[184:185], v[186:187], 1.0
	v_fma_f64 v[186:187], v[186:187], v[188:189], v[186:187]
	s_delay_alu instid0(VALU_DEP_1) | instskip(NEXT) | instid1(VALU_DEP_1)
	v_fma_f64 v[188:189], -v[184:185], v[186:187], 1.0
	v_fma_f64 v[186:187], v[186:187], v[188:189], v[186:187]
	s_delay_alu instid0(VALU_DEP_1) | instskip(NEXT) | instid1(VALU_DEP_1)
	v_mul_f64 v[188:189], v[190:191], v[186:187]
	v_fma_f64 v[184:185], -v[184:185], v[188:189], v[190:191]
	s_delay_alu instid0(VALU_DEP_1) | instskip(NEXT) | instid1(VALU_DEP_1)
	v_div_fmas_f64 v[184:185], v[184:185], v[186:187], v[188:189]
	v_div_fixup_f64 v[184:185], v[184:185], v[182:183], v[180:181]
	s_delay_alu instid0(VALU_DEP_1) | instskip(NEXT) | instid1(VALU_DEP_1)
	v_fma_f64 v[180:181], v[180:181], v[184:185], v[182:183]
	v_div_scale_f64 v[182:183], null, v[180:181], v[180:181], 1.0
	s_delay_alu instid0(VALU_DEP_1) | instskip(SKIP_2) | instid1(VALU_DEP_1)
	v_rcp_f64_e32 v[186:187], v[182:183]
	s_waitcnt_depctr 0xfff
	v_fma_f64 v[188:189], -v[182:183], v[186:187], 1.0
	v_fma_f64 v[186:187], v[186:187], v[188:189], v[186:187]
	s_delay_alu instid0(VALU_DEP_1) | instskip(NEXT) | instid1(VALU_DEP_1)
	v_fma_f64 v[188:189], -v[182:183], v[186:187], 1.0
	v_fma_f64 v[186:187], v[186:187], v[188:189], v[186:187]
	v_div_scale_f64 v[188:189], vcc_lo, 1.0, v[180:181], 1.0
	s_delay_alu instid0(VALU_DEP_1) | instskip(NEXT) | instid1(VALU_DEP_1)
	v_mul_f64 v[190:191], v[188:189], v[186:187]
	v_fma_f64 v[182:183], -v[182:183], v[190:191], v[188:189]
	s_delay_alu instid0(VALU_DEP_1) | instskip(NEXT) | instid1(VALU_DEP_1)
	v_div_fmas_f64 v[182:183], v[182:183], v[186:187], v[190:191]
	v_div_fixup_f64 v[186:187], v[182:183], v[180:181], 1.0
                                        ; implicit-def: $vgpr180_vgpr181
	s_delay_alu instid0(VALU_DEP_1)
	v_mul_f64 v[188:189], v[184:185], v[186:187]
	v_xor_b32_e32 v187, 0x80000000, v187
.LBB89_248:
	s_and_not1_saveexec_b32 s3, s3
	s_cbranch_execz .LBB89_250
; %bb.249:
	v_div_scale_f64 v[184:185], null, v[180:181], v[180:181], v[182:183]
	v_div_scale_f64 v[190:191], vcc_lo, v[182:183], v[180:181], v[182:183]
	s_delay_alu instid0(VALU_DEP_2) | instskip(SKIP_2) | instid1(VALU_DEP_1)
	v_rcp_f64_e32 v[186:187], v[184:185]
	s_waitcnt_depctr 0xfff
	v_fma_f64 v[188:189], -v[184:185], v[186:187], 1.0
	v_fma_f64 v[186:187], v[186:187], v[188:189], v[186:187]
	s_delay_alu instid0(VALU_DEP_1) | instskip(NEXT) | instid1(VALU_DEP_1)
	v_fma_f64 v[188:189], -v[184:185], v[186:187], 1.0
	v_fma_f64 v[186:187], v[186:187], v[188:189], v[186:187]
	s_delay_alu instid0(VALU_DEP_1) | instskip(NEXT) | instid1(VALU_DEP_1)
	v_mul_f64 v[188:189], v[190:191], v[186:187]
	v_fma_f64 v[184:185], -v[184:185], v[188:189], v[190:191]
	s_delay_alu instid0(VALU_DEP_1) | instskip(NEXT) | instid1(VALU_DEP_1)
	v_div_fmas_f64 v[184:185], v[184:185], v[186:187], v[188:189]
	v_div_fixup_f64 v[184:185], v[184:185], v[180:181], v[182:183]
	s_delay_alu instid0(VALU_DEP_1) | instskip(NEXT) | instid1(VALU_DEP_1)
	v_fma_f64 v[180:181], v[182:183], v[184:185], v[180:181]
	v_div_scale_f64 v[182:183], null, v[180:181], v[180:181], 1.0
	s_delay_alu instid0(VALU_DEP_1) | instskip(SKIP_2) | instid1(VALU_DEP_1)
	v_rcp_f64_e32 v[186:187], v[182:183]
	s_waitcnt_depctr 0xfff
	v_fma_f64 v[188:189], -v[182:183], v[186:187], 1.0
	v_fma_f64 v[186:187], v[186:187], v[188:189], v[186:187]
	s_delay_alu instid0(VALU_DEP_1) | instskip(NEXT) | instid1(VALU_DEP_1)
	v_fma_f64 v[188:189], -v[182:183], v[186:187], 1.0
	v_fma_f64 v[186:187], v[186:187], v[188:189], v[186:187]
	v_div_scale_f64 v[188:189], vcc_lo, 1.0, v[180:181], 1.0
	s_delay_alu instid0(VALU_DEP_1) | instskip(NEXT) | instid1(VALU_DEP_1)
	v_mul_f64 v[190:191], v[188:189], v[186:187]
	v_fma_f64 v[182:183], -v[182:183], v[190:191], v[188:189]
	s_delay_alu instid0(VALU_DEP_1) | instskip(NEXT) | instid1(VALU_DEP_1)
	v_div_fmas_f64 v[182:183], v[182:183], v[186:187], v[190:191]
	v_div_fixup_f64 v[188:189], v[182:183], v[180:181], 1.0
	s_delay_alu instid0(VALU_DEP_1)
	v_mul_f64 v[186:187], v[184:185], -v[188:189]
.LBB89_250:
	s_or_b32 exec_lo, exec_lo, s3
	ds_store_2addr_b64 v211, v[188:189], v[186:187] offset1:1
.LBB89_251:
	s_or_b32 exec_lo, exec_lo, s4
	s_waitcnt lgkmcnt(0)
	s_barrier
	buffer_gl0_inv
	ds_load_2addr_b64 v[180:183], v211 offset1:1
	s_mov_b32 s3, exec_lo
	s_waitcnt lgkmcnt(0)
	scratch_store_b128 off, v[180:183], off offset:688 ; 16-byte Folded Spill
	v_cmpx_lt_u32_e32 27, v210
	s_cbranch_execz .LBB89_253
; %bb.252:
	scratch_load_b128 v[182:185], off, off offset:688 ; 16-byte Folded Reload
	s_waitcnt vmcnt(0)
	v_mul_f64 v[180:181], v[184:185], v[70:71]
	v_mul_f64 v[70:71], v[182:183], v[70:71]
	s_delay_alu instid0(VALU_DEP_2) | instskip(NEXT) | instid1(VALU_DEP_2)
	v_fma_f64 v[180:181], v[182:183], v[68:69], -v[180:181]
	v_fma_f64 v[70:71], v[184:185], v[68:69], v[70:71]
	ds_load_2addr_b64 v[182:185], v212 offset0:56 offset1:57
	s_waitcnt lgkmcnt(0)
	v_mul_f64 v[68:69], v[184:185], v[70:71]
	s_delay_alu instid0(VALU_DEP_1) | instskip(SKIP_1) | instid1(VALU_DEP_2)
	v_fma_f64 v[68:69], v[182:183], v[180:181], -v[68:69]
	v_mul_f64 v[182:183], v[182:183], v[70:71]
	v_add_f64 v[64:65], v[64:65], -v[68:69]
	s_delay_alu instid0(VALU_DEP_2) | instskip(NEXT) | instid1(VALU_DEP_1)
	v_fma_f64 v[182:183], v[184:185], v[180:181], v[182:183]
	v_add_f64 v[66:67], v[66:67], -v[182:183]
	ds_load_2addr_b64 v[182:185], v212 offset0:58 offset1:59
	s_waitcnt lgkmcnt(0)
	v_mul_f64 v[68:69], v[184:185], v[70:71]
	s_delay_alu instid0(VALU_DEP_1) | instskip(SKIP_1) | instid1(VALU_DEP_2)
	v_fma_f64 v[68:69], v[182:183], v[180:181], -v[68:69]
	v_mul_f64 v[182:183], v[182:183], v[70:71]
	v_add_f64 v[60:61], v[60:61], -v[68:69]
	s_delay_alu instid0(VALU_DEP_2) | instskip(NEXT) | instid1(VALU_DEP_1)
	v_fma_f64 v[182:183], v[184:185], v[180:181], v[182:183]
	v_add_f64 v[62:63], v[62:63], -v[182:183]
	;; [unrolled: 10-line block ×16, first 2 shown]
	ds_load_2addr_b64 v[182:185], v212 offset0:88 offset1:89
	s_waitcnt lgkmcnt(0)
	v_mul_f64 v[68:69], v[184:185], v[70:71]
	s_delay_alu instid0(VALU_DEP_1) | instskip(SKIP_1) | instid1(VALU_DEP_2)
	v_fma_f64 v[68:69], v[182:183], v[180:181], -v[68:69]
	v_mul_f64 v[182:183], v[182:183], v[70:71]
	v_add_f64 v[0:1], v[0:1], -v[68:69]
	s_delay_alu instid0(VALU_DEP_2) | instskip(SKIP_1) | instid1(VALU_DEP_2)
	v_fma_f64 v[182:183], v[184:185], v[180:181], v[182:183]
	v_dual_mov_b32 v68, v180 :: v_dual_mov_b32 v69, v181
	v_add_f64 v[2:3], v[2:3], -v[182:183]
.LBB89_253:
	s_or_b32 exec_lo, exec_lo, s3
	s_delay_alu instid0(SALU_CYCLE_1)
	s_mov_b32 s4, exec_lo
	s_waitcnt_vscnt null, 0x0
	s_barrier
	buffer_gl0_inv
	v_cmpx_eq_u32_e32 28, v210
	s_cbranch_execz .LBB89_260
; %bb.254:
	ds_store_2addr_b64 v211, v[64:65], v[66:67] offset1:1
	ds_store_2addr_b64 v212, v[60:61], v[62:63] offset0:58 offset1:59
	ds_store_2addr_b64 v212, v[56:57], v[58:59] offset0:60 offset1:61
	;; [unrolled: 1-line block ×16, first 2 shown]
	ds_load_2addr_b64 v[180:183], v211 offset1:1
	s_waitcnt lgkmcnt(0)
	v_cmp_neq_f64_e32 vcc_lo, 0, v[180:181]
	v_cmp_neq_f64_e64 s3, 0, v[182:183]
	s_delay_alu instid0(VALU_DEP_1) | instskip(NEXT) | instid1(SALU_CYCLE_1)
	s_or_b32 s3, vcc_lo, s3
	s_and_b32 exec_lo, exec_lo, s3
	s_cbranch_execz .LBB89_260
; %bb.255:
	v_cmp_gt_f64_e32 vcc_lo, 0, v[180:181]
	v_xor_b32_e32 v184, 0x80000000, v181
	v_xor_b32_e32 v186, 0x80000000, v183
	s_mov_b32 s3, exec_lo
                                        ; implicit-def: $vgpr188_vgpr189
	s_delay_alu instid0(VALU_DEP_2) | instskip(SKIP_4) | instid1(VALU_DEP_1)
	v_cndmask_b32_e32 v185, v181, v184, vcc_lo
	v_cndmask_b32_e32 v184, v180, v180, vcc_lo
	v_cmp_gt_f64_e32 vcc_lo, 0, v[182:183]
	v_cndmask_b32_e32 v187, v183, v186, vcc_lo
	v_cndmask_b32_e32 v186, v182, v182, vcc_lo
	v_cmpx_ngt_f64_e32 v[184:185], v[186:187]
	s_xor_b32 s3, exec_lo, s3
                                        ; implicit-def: $vgpr184_vgpr185_vgpr186_vgpr187
	s_cbranch_execz .LBB89_257
; %bb.256:
	v_div_scale_f64 v[184:185], null, v[182:183], v[182:183], v[180:181]
	v_div_scale_f64 v[190:191], vcc_lo, v[180:181], v[182:183], v[180:181]
	s_delay_alu instid0(VALU_DEP_2) | instskip(SKIP_2) | instid1(VALU_DEP_1)
	v_rcp_f64_e32 v[186:187], v[184:185]
	s_waitcnt_depctr 0xfff
	v_fma_f64 v[188:189], -v[184:185], v[186:187], 1.0
	v_fma_f64 v[186:187], v[186:187], v[188:189], v[186:187]
	s_delay_alu instid0(VALU_DEP_1) | instskip(NEXT) | instid1(VALU_DEP_1)
	v_fma_f64 v[188:189], -v[184:185], v[186:187], 1.0
	v_fma_f64 v[186:187], v[186:187], v[188:189], v[186:187]
	s_delay_alu instid0(VALU_DEP_1) | instskip(NEXT) | instid1(VALU_DEP_1)
	v_mul_f64 v[188:189], v[190:191], v[186:187]
	v_fma_f64 v[184:185], -v[184:185], v[188:189], v[190:191]
	s_delay_alu instid0(VALU_DEP_1) | instskip(NEXT) | instid1(VALU_DEP_1)
	v_div_fmas_f64 v[184:185], v[184:185], v[186:187], v[188:189]
	v_div_fixup_f64 v[184:185], v[184:185], v[182:183], v[180:181]
	s_delay_alu instid0(VALU_DEP_1) | instskip(NEXT) | instid1(VALU_DEP_1)
	v_fma_f64 v[180:181], v[180:181], v[184:185], v[182:183]
	v_div_scale_f64 v[182:183], null, v[180:181], v[180:181], 1.0
	s_delay_alu instid0(VALU_DEP_1) | instskip(SKIP_2) | instid1(VALU_DEP_1)
	v_rcp_f64_e32 v[186:187], v[182:183]
	s_waitcnt_depctr 0xfff
	v_fma_f64 v[188:189], -v[182:183], v[186:187], 1.0
	v_fma_f64 v[186:187], v[186:187], v[188:189], v[186:187]
	s_delay_alu instid0(VALU_DEP_1) | instskip(NEXT) | instid1(VALU_DEP_1)
	v_fma_f64 v[188:189], -v[182:183], v[186:187], 1.0
	v_fma_f64 v[186:187], v[186:187], v[188:189], v[186:187]
	v_div_scale_f64 v[188:189], vcc_lo, 1.0, v[180:181], 1.0
	s_delay_alu instid0(VALU_DEP_1) | instskip(NEXT) | instid1(VALU_DEP_1)
	v_mul_f64 v[190:191], v[188:189], v[186:187]
	v_fma_f64 v[182:183], -v[182:183], v[190:191], v[188:189]
	s_delay_alu instid0(VALU_DEP_1) | instskip(NEXT) | instid1(VALU_DEP_1)
	v_div_fmas_f64 v[182:183], v[182:183], v[186:187], v[190:191]
	v_div_fixup_f64 v[186:187], v[182:183], v[180:181], 1.0
                                        ; implicit-def: $vgpr180_vgpr181
	s_delay_alu instid0(VALU_DEP_1)
	v_mul_f64 v[188:189], v[184:185], v[186:187]
	v_xor_b32_e32 v187, 0x80000000, v187
.LBB89_257:
	s_and_not1_saveexec_b32 s3, s3
	s_cbranch_execz .LBB89_259
; %bb.258:
	v_div_scale_f64 v[184:185], null, v[180:181], v[180:181], v[182:183]
	v_div_scale_f64 v[190:191], vcc_lo, v[182:183], v[180:181], v[182:183]
	s_delay_alu instid0(VALU_DEP_2) | instskip(SKIP_2) | instid1(VALU_DEP_1)
	v_rcp_f64_e32 v[186:187], v[184:185]
	s_waitcnt_depctr 0xfff
	v_fma_f64 v[188:189], -v[184:185], v[186:187], 1.0
	v_fma_f64 v[186:187], v[186:187], v[188:189], v[186:187]
	s_delay_alu instid0(VALU_DEP_1) | instskip(NEXT) | instid1(VALU_DEP_1)
	v_fma_f64 v[188:189], -v[184:185], v[186:187], 1.0
	v_fma_f64 v[186:187], v[186:187], v[188:189], v[186:187]
	s_delay_alu instid0(VALU_DEP_1) | instskip(NEXT) | instid1(VALU_DEP_1)
	v_mul_f64 v[188:189], v[190:191], v[186:187]
	v_fma_f64 v[184:185], -v[184:185], v[188:189], v[190:191]
	s_delay_alu instid0(VALU_DEP_1) | instskip(NEXT) | instid1(VALU_DEP_1)
	v_div_fmas_f64 v[184:185], v[184:185], v[186:187], v[188:189]
	v_div_fixup_f64 v[184:185], v[184:185], v[180:181], v[182:183]
	s_delay_alu instid0(VALU_DEP_1) | instskip(NEXT) | instid1(VALU_DEP_1)
	v_fma_f64 v[180:181], v[182:183], v[184:185], v[180:181]
	v_div_scale_f64 v[182:183], null, v[180:181], v[180:181], 1.0
	s_delay_alu instid0(VALU_DEP_1) | instskip(SKIP_2) | instid1(VALU_DEP_1)
	v_rcp_f64_e32 v[186:187], v[182:183]
	s_waitcnt_depctr 0xfff
	v_fma_f64 v[188:189], -v[182:183], v[186:187], 1.0
	v_fma_f64 v[186:187], v[186:187], v[188:189], v[186:187]
	s_delay_alu instid0(VALU_DEP_1) | instskip(NEXT) | instid1(VALU_DEP_1)
	v_fma_f64 v[188:189], -v[182:183], v[186:187], 1.0
	v_fma_f64 v[186:187], v[186:187], v[188:189], v[186:187]
	v_div_scale_f64 v[188:189], vcc_lo, 1.0, v[180:181], 1.0
	s_delay_alu instid0(VALU_DEP_1) | instskip(NEXT) | instid1(VALU_DEP_1)
	v_mul_f64 v[190:191], v[188:189], v[186:187]
	v_fma_f64 v[182:183], -v[182:183], v[190:191], v[188:189]
	s_delay_alu instid0(VALU_DEP_1) | instskip(NEXT) | instid1(VALU_DEP_1)
	v_div_fmas_f64 v[182:183], v[182:183], v[186:187], v[190:191]
	v_div_fixup_f64 v[188:189], v[182:183], v[180:181], 1.0
	s_delay_alu instid0(VALU_DEP_1)
	v_mul_f64 v[186:187], v[184:185], -v[188:189]
.LBB89_259:
	s_or_b32 exec_lo, exec_lo, s3
	ds_store_2addr_b64 v211, v[188:189], v[186:187] offset1:1
.LBB89_260:
	s_or_b32 exec_lo, exec_lo, s4
	s_waitcnt lgkmcnt(0)
	s_barrier
	buffer_gl0_inv
	ds_load_2addr_b64 v[180:183], v211 offset1:1
	s_mov_b32 s3, exec_lo
	s_waitcnt lgkmcnt(0)
	scratch_store_b128 off, v[180:183], off offset:704 ; 16-byte Folded Spill
	v_cmpx_lt_u32_e32 28, v210
	s_cbranch_execz .LBB89_262
; %bb.261:
	scratch_load_b128 v[182:185], off, off offset:704 ; 16-byte Folded Reload
	s_waitcnt vmcnt(0)
	v_mul_f64 v[180:181], v[182:183], v[66:67]
	v_mul_f64 v[66:67], v[184:185], v[66:67]
	s_delay_alu instid0(VALU_DEP_2) | instskip(NEXT) | instid1(VALU_DEP_2)
	v_fma_f64 v[180:181], v[184:185], v[64:65], v[180:181]
	v_fma_f64 v[64:65], v[182:183], v[64:65], -v[66:67]
	ds_load_2addr_b64 v[182:185], v212 offset0:58 offset1:59
	s_waitcnt lgkmcnt(0)
	v_mul_f64 v[66:67], v[184:185], v[180:181]
	s_delay_alu instid0(VALU_DEP_1) | instskip(SKIP_1) | instid1(VALU_DEP_2)
	v_fma_f64 v[66:67], v[182:183], v[64:65], -v[66:67]
	v_mul_f64 v[182:183], v[182:183], v[180:181]
	v_add_f64 v[60:61], v[60:61], -v[66:67]
	s_delay_alu instid0(VALU_DEP_2) | instskip(NEXT) | instid1(VALU_DEP_1)
	v_fma_f64 v[182:183], v[184:185], v[64:65], v[182:183]
	v_add_f64 v[62:63], v[62:63], -v[182:183]
	ds_load_2addr_b64 v[182:185], v212 offset0:60 offset1:61
	s_waitcnt lgkmcnt(0)
	v_mul_f64 v[66:67], v[184:185], v[180:181]
	s_delay_alu instid0(VALU_DEP_1) | instskip(SKIP_1) | instid1(VALU_DEP_2)
	v_fma_f64 v[66:67], v[182:183], v[64:65], -v[66:67]
	v_mul_f64 v[182:183], v[182:183], v[180:181]
	v_add_f64 v[56:57], v[56:57], -v[66:67]
	s_delay_alu instid0(VALU_DEP_2) | instskip(NEXT) | instid1(VALU_DEP_1)
	v_fma_f64 v[182:183], v[184:185], v[64:65], v[182:183]
	v_add_f64 v[58:59], v[58:59], -v[182:183]
	;; [unrolled: 10-line block ×15, first 2 shown]
	ds_load_2addr_b64 v[182:185], v212 offset0:88 offset1:89
	s_waitcnt lgkmcnt(0)
	v_mul_f64 v[66:67], v[184:185], v[180:181]
	s_delay_alu instid0(VALU_DEP_1) | instskip(SKIP_1) | instid1(VALU_DEP_2)
	v_fma_f64 v[66:67], v[182:183], v[64:65], -v[66:67]
	v_mul_f64 v[182:183], v[182:183], v[180:181]
	v_add_f64 v[0:1], v[0:1], -v[66:67]
	s_delay_alu instid0(VALU_DEP_2) | instskip(SKIP_1) | instid1(VALU_DEP_2)
	v_fma_f64 v[182:183], v[184:185], v[64:65], v[182:183]
	v_dual_mov_b32 v66, v180 :: v_dual_mov_b32 v67, v181
	v_add_f64 v[2:3], v[2:3], -v[182:183]
.LBB89_262:
	s_or_b32 exec_lo, exec_lo, s3
	s_delay_alu instid0(SALU_CYCLE_1)
	s_mov_b32 s4, exec_lo
	s_waitcnt_vscnt null, 0x0
	s_barrier
	buffer_gl0_inv
	v_cmpx_eq_u32_e32 29, v210
	s_cbranch_execz .LBB89_269
; %bb.263:
	ds_store_2addr_b64 v211, v[60:61], v[62:63] offset1:1
	ds_store_2addr_b64 v212, v[56:57], v[58:59] offset0:60 offset1:61
	ds_store_2addr_b64 v212, v[52:53], v[54:55] offset0:62 offset1:63
	;; [unrolled: 1-line block ×15, first 2 shown]
	ds_load_2addr_b64 v[180:183], v211 offset1:1
	s_waitcnt lgkmcnt(0)
	v_cmp_neq_f64_e32 vcc_lo, 0, v[180:181]
	v_cmp_neq_f64_e64 s3, 0, v[182:183]
	s_delay_alu instid0(VALU_DEP_1) | instskip(NEXT) | instid1(SALU_CYCLE_1)
	s_or_b32 s3, vcc_lo, s3
	s_and_b32 exec_lo, exec_lo, s3
	s_cbranch_execz .LBB89_269
; %bb.264:
	v_cmp_gt_f64_e32 vcc_lo, 0, v[180:181]
	v_xor_b32_e32 v184, 0x80000000, v181
	v_xor_b32_e32 v186, 0x80000000, v183
	s_mov_b32 s3, exec_lo
                                        ; implicit-def: $vgpr188_vgpr189
	s_delay_alu instid0(VALU_DEP_2) | instskip(SKIP_4) | instid1(VALU_DEP_1)
	v_cndmask_b32_e32 v185, v181, v184, vcc_lo
	v_cndmask_b32_e32 v184, v180, v180, vcc_lo
	v_cmp_gt_f64_e32 vcc_lo, 0, v[182:183]
	v_cndmask_b32_e32 v187, v183, v186, vcc_lo
	v_cndmask_b32_e32 v186, v182, v182, vcc_lo
	v_cmpx_ngt_f64_e32 v[184:185], v[186:187]
	s_xor_b32 s3, exec_lo, s3
                                        ; implicit-def: $vgpr184_vgpr185_vgpr186_vgpr187
	s_cbranch_execz .LBB89_266
; %bb.265:
	v_div_scale_f64 v[184:185], null, v[182:183], v[182:183], v[180:181]
	v_div_scale_f64 v[190:191], vcc_lo, v[180:181], v[182:183], v[180:181]
	s_delay_alu instid0(VALU_DEP_2) | instskip(SKIP_2) | instid1(VALU_DEP_1)
	v_rcp_f64_e32 v[186:187], v[184:185]
	s_waitcnt_depctr 0xfff
	v_fma_f64 v[188:189], -v[184:185], v[186:187], 1.0
	v_fma_f64 v[186:187], v[186:187], v[188:189], v[186:187]
	s_delay_alu instid0(VALU_DEP_1) | instskip(NEXT) | instid1(VALU_DEP_1)
	v_fma_f64 v[188:189], -v[184:185], v[186:187], 1.0
	v_fma_f64 v[186:187], v[186:187], v[188:189], v[186:187]
	s_delay_alu instid0(VALU_DEP_1) | instskip(NEXT) | instid1(VALU_DEP_1)
	v_mul_f64 v[188:189], v[190:191], v[186:187]
	v_fma_f64 v[184:185], -v[184:185], v[188:189], v[190:191]
	s_delay_alu instid0(VALU_DEP_1) | instskip(NEXT) | instid1(VALU_DEP_1)
	v_div_fmas_f64 v[184:185], v[184:185], v[186:187], v[188:189]
	v_div_fixup_f64 v[184:185], v[184:185], v[182:183], v[180:181]
	s_delay_alu instid0(VALU_DEP_1) | instskip(NEXT) | instid1(VALU_DEP_1)
	v_fma_f64 v[180:181], v[180:181], v[184:185], v[182:183]
	v_div_scale_f64 v[182:183], null, v[180:181], v[180:181], 1.0
	s_delay_alu instid0(VALU_DEP_1) | instskip(SKIP_2) | instid1(VALU_DEP_1)
	v_rcp_f64_e32 v[186:187], v[182:183]
	s_waitcnt_depctr 0xfff
	v_fma_f64 v[188:189], -v[182:183], v[186:187], 1.0
	v_fma_f64 v[186:187], v[186:187], v[188:189], v[186:187]
	s_delay_alu instid0(VALU_DEP_1) | instskip(NEXT) | instid1(VALU_DEP_1)
	v_fma_f64 v[188:189], -v[182:183], v[186:187], 1.0
	v_fma_f64 v[186:187], v[186:187], v[188:189], v[186:187]
	v_div_scale_f64 v[188:189], vcc_lo, 1.0, v[180:181], 1.0
	s_delay_alu instid0(VALU_DEP_1) | instskip(NEXT) | instid1(VALU_DEP_1)
	v_mul_f64 v[190:191], v[188:189], v[186:187]
	v_fma_f64 v[182:183], -v[182:183], v[190:191], v[188:189]
	s_delay_alu instid0(VALU_DEP_1) | instskip(NEXT) | instid1(VALU_DEP_1)
	v_div_fmas_f64 v[182:183], v[182:183], v[186:187], v[190:191]
	v_div_fixup_f64 v[186:187], v[182:183], v[180:181], 1.0
                                        ; implicit-def: $vgpr180_vgpr181
	s_delay_alu instid0(VALU_DEP_1)
	v_mul_f64 v[188:189], v[184:185], v[186:187]
	v_xor_b32_e32 v187, 0x80000000, v187
.LBB89_266:
	s_and_not1_saveexec_b32 s3, s3
	s_cbranch_execz .LBB89_268
; %bb.267:
	v_div_scale_f64 v[184:185], null, v[180:181], v[180:181], v[182:183]
	v_div_scale_f64 v[190:191], vcc_lo, v[182:183], v[180:181], v[182:183]
	s_delay_alu instid0(VALU_DEP_2) | instskip(SKIP_2) | instid1(VALU_DEP_1)
	v_rcp_f64_e32 v[186:187], v[184:185]
	s_waitcnt_depctr 0xfff
	v_fma_f64 v[188:189], -v[184:185], v[186:187], 1.0
	v_fma_f64 v[186:187], v[186:187], v[188:189], v[186:187]
	s_delay_alu instid0(VALU_DEP_1) | instskip(NEXT) | instid1(VALU_DEP_1)
	v_fma_f64 v[188:189], -v[184:185], v[186:187], 1.0
	v_fma_f64 v[186:187], v[186:187], v[188:189], v[186:187]
	s_delay_alu instid0(VALU_DEP_1) | instskip(NEXT) | instid1(VALU_DEP_1)
	v_mul_f64 v[188:189], v[190:191], v[186:187]
	v_fma_f64 v[184:185], -v[184:185], v[188:189], v[190:191]
	s_delay_alu instid0(VALU_DEP_1) | instskip(NEXT) | instid1(VALU_DEP_1)
	v_div_fmas_f64 v[184:185], v[184:185], v[186:187], v[188:189]
	v_div_fixup_f64 v[184:185], v[184:185], v[180:181], v[182:183]
	s_delay_alu instid0(VALU_DEP_1) | instskip(NEXT) | instid1(VALU_DEP_1)
	v_fma_f64 v[180:181], v[182:183], v[184:185], v[180:181]
	v_div_scale_f64 v[182:183], null, v[180:181], v[180:181], 1.0
	s_delay_alu instid0(VALU_DEP_1) | instskip(SKIP_2) | instid1(VALU_DEP_1)
	v_rcp_f64_e32 v[186:187], v[182:183]
	s_waitcnt_depctr 0xfff
	v_fma_f64 v[188:189], -v[182:183], v[186:187], 1.0
	v_fma_f64 v[186:187], v[186:187], v[188:189], v[186:187]
	s_delay_alu instid0(VALU_DEP_1) | instskip(NEXT) | instid1(VALU_DEP_1)
	v_fma_f64 v[188:189], -v[182:183], v[186:187], 1.0
	v_fma_f64 v[186:187], v[186:187], v[188:189], v[186:187]
	v_div_scale_f64 v[188:189], vcc_lo, 1.0, v[180:181], 1.0
	s_delay_alu instid0(VALU_DEP_1) | instskip(NEXT) | instid1(VALU_DEP_1)
	v_mul_f64 v[190:191], v[188:189], v[186:187]
	v_fma_f64 v[182:183], -v[182:183], v[190:191], v[188:189]
	s_delay_alu instid0(VALU_DEP_1) | instskip(NEXT) | instid1(VALU_DEP_1)
	v_div_fmas_f64 v[182:183], v[182:183], v[186:187], v[190:191]
	v_div_fixup_f64 v[188:189], v[182:183], v[180:181], 1.0
	s_delay_alu instid0(VALU_DEP_1)
	v_mul_f64 v[186:187], v[184:185], -v[188:189]
.LBB89_268:
	s_or_b32 exec_lo, exec_lo, s3
	ds_store_2addr_b64 v211, v[188:189], v[186:187] offset1:1
.LBB89_269:
	s_or_b32 exec_lo, exec_lo, s4
	s_waitcnt lgkmcnt(0)
	s_barrier
	buffer_gl0_inv
	ds_load_2addr_b64 v[180:183], v211 offset1:1
	s_mov_b32 s3, exec_lo
	s_waitcnt lgkmcnt(0)
	scratch_store_b128 off, v[180:183], off offset:720 ; 16-byte Folded Spill
	v_cmpx_lt_u32_e32 29, v210
	s_cbranch_execz .LBB89_271
; %bb.270:
	scratch_load_b128 v[182:185], off, off offset:720 ; 16-byte Folded Reload
	s_waitcnt vmcnt(0)
	v_mul_f64 v[180:181], v[182:183], v[62:63]
	v_mul_f64 v[62:63], v[184:185], v[62:63]
	s_delay_alu instid0(VALU_DEP_2) | instskip(NEXT) | instid1(VALU_DEP_2)
	v_fma_f64 v[180:181], v[184:185], v[60:61], v[180:181]
	v_fma_f64 v[60:61], v[182:183], v[60:61], -v[62:63]
	ds_load_2addr_b64 v[182:185], v212 offset0:60 offset1:61
	s_waitcnt lgkmcnt(0)
	v_mul_f64 v[62:63], v[184:185], v[180:181]
	s_delay_alu instid0(VALU_DEP_1) | instskip(SKIP_1) | instid1(VALU_DEP_2)
	v_fma_f64 v[62:63], v[182:183], v[60:61], -v[62:63]
	v_mul_f64 v[182:183], v[182:183], v[180:181]
	v_add_f64 v[56:57], v[56:57], -v[62:63]
	s_delay_alu instid0(VALU_DEP_2) | instskip(NEXT) | instid1(VALU_DEP_1)
	v_fma_f64 v[182:183], v[184:185], v[60:61], v[182:183]
	v_add_f64 v[58:59], v[58:59], -v[182:183]
	ds_load_2addr_b64 v[182:185], v212 offset0:62 offset1:63
	s_waitcnt lgkmcnt(0)
	v_mul_f64 v[62:63], v[184:185], v[180:181]
	s_delay_alu instid0(VALU_DEP_1) | instskip(SKIP_1) | instid1(VALU_DEP_2)
	v_fma_f64 v[62:63], v[182:183], v[60:61], -v[62:63]
	v_mul_f64 v[182:183], v[182:183], v[180:181]
	v_add_f64 v[52:53], v[52:53], -v[62:63]
	s_delay_alu instid0(VALU_DEP_2) | instskip(NEXT) | instid1(VALU_DEP_1)
	v_fma_f64 v[182:183], v[184:185], v[60:61], v[182:183]
	v_add_f64 v[54:55], v[54:55], -v[182:183]
	;; [unrolled: 10-line block ×14, first 2 shown]
	ds_load_2addr_b64 v[182:185], v212 offset0:88 offset1:89
	s_waitcnt lgkmcnt(0)
	v_mul_f64 v[62:63], v[184:185], v[180:181]
	s_delay_alu instid0(VALU_DEP_1) | instskip(SKIP_1) | instid1(VALU_DEP_2)
	v_fma_f64 v[62:63], v[182:183], v[60:61], -v[62:63]
	v_mul_f64 v[182:183], v[182:183], v[180:181]
	v_add_f64 v[0:1], v[0:1], -v[62:63]
	s_delay_alu instid0(VALU_DEP_2) | instskip(SKIP_1) | instid1(VALU_DEP_2)
	v_fma_f64 v[182:183], v[184:185], v[60:61], v[182:183]
	v_dual_mov_b32 v62, v180 :: v_dual_mov_b32 v63, v181
	v_add_f64 v[2:3], v[2:3], -v[182:183]
.LBB89_271:
	s_or_b32 exec_lo, exec_lo, s3
	s_delay_alu instid0(SALU_CYCLE_1)
	s_mov_b32 s4, exec_lo
	s_waitcnt_vscnt null, 0x0
	s_barrier
	buffer_gl0_inv
	v_cmpx_eq_u32_e32 30, v210
	s_cbranch_execz .LBB89_278
; %bb.272:
	ds_store_2addr_b64 v211, v[56:57], v[58:59] offset1:1
	ds_store_2addr_b64 v212, v[52:53], v[54:55] offset0:62 offset1:63
	ds_store_2addr_b64 v212, v[48:49], v[50:51] offset0:64 offset1:65
	;; [unrolled: 1-line block ×14, first 2 shown]
	ds_load_2addr_b64 v[180:183], v211 offset1:1
	s_waitcnt lgkmcnt(0)
	v_cmp_neq_f64_e32 vcc_lo, 0, v[180:181]
	v_cmp_neq_f64_e64 s3, 0, v[182:183]
	s_delay_alu instid0(VALU_DEP_1) | instskip(NEXT) | instid1(SALU_CYCLE_1)
	s_or_b32 s3, vcc_lo, s3
	s_and_b32 exec_lo, exec_lo, s3
	s_cbranch_execz .LBB89_278
; %bb.273:
	v_cmp_gt_f64_e32 vcc_lo, 0, v[180:181]
	v_xor_b32_e32 v184, 0x80000000, v181
	v_xor_b32_e32 v186, 0x80000000, v183
	s_mov_b32 s3, exec_lo
                                        ; implicit-def: $vgpr188_vgpr189
	s_delay_alu instid0(VALU_DEP_2) | instskip(SKIP_4) | instid1(VALU_DEP_1)
	v_cndmask_b32_e32 v185, v181, v184, vcc_lo
	v_cndmask_b32_e32 v184, v180, v180, vcc_lo
	v_cmp_gt_f64_e32 vcc_lo, 0, v[182:183]
	v_cndmask_b32_e32 v187, v183, v186, vcc_lo
	v_cndmask_b32_e32 v186, v182, v182, vcc_lo
	v_cmpx_ngt_f64_e32 v[184:185], v[186:187]
	s_xor_b32 s3, exec_lo, s3
                                        ; implicit-def: $vgpr184_vgpr185_vgpr186_vgpr187
	s_cbranch_execz .LBB89_275
; %bb.274:
	v_div_scale_f64 v[184:185], null, v[182:183], v[182:183], v[180:181]
	v_div_scale_f64 v[190:191], vcc_lo, v[180:181], v[182:183], v[180:181]
	s_delay_alu instid0(VALU_DEP_2) | instskip(SKIP_2) | instid1(VALU_DEP_1)
	v_rcp_f64_e32 v[186:187], v[184:185]
	s_waitcnt_depctr 0xfff
	v_fma_f64 v[188:189], -v[184:185], v[186:187], 1.0
	v_fma_f64 v[186:187], v[186:187], v[188:189], v[186:187]
	s_delay_alu instid0(VALU_DEP_1) | instskip(NEXT) | instid1(VALU_DEP_1)
	v_fma_f64 v[188:189], -v[184:185], v[186:187], 1.0
	v_fma_f64 v[186:187], v[186:187], v[188:189], v[186:187]
	s_delay_alu instid0(VALU_DEP_1) | instskip(NEXT) | instid1(VALU_DEP_1)
	v_mul_f64 v[188:189], v[190:191], v[186:187]
	v_fma_f64 v[184:185], -v[184:185], v[188:189], v[190:191]
	s_delay_alu instid0(VALU_DEP_1) | instskip(NEXT) | instid1(VALU_DEP_1)
	v_div_fmas_f64 v[184:185], v[184:185], v[186:187], v[188:189]
	v_div_fixup_f64 v[184:185], v[184:185], v[182:183], v[180:181]
	s_delay_alu instid0(VALU_DEP_1) | instskip(NEXT) | instid1(VALU_DEP_1)
	v_fma_f64 v[180:181], v[180:181], v[184:185], v[182:183]
	v_div_scale_f64 v[182:183], null, v[180:181], v[180:181], 1.0
	s_delay_alu instid0(VALU_DEP_1) | instskip(SKIP_2) | instid1(VALU_DEP_1)
	v_rcp_f64_e32 v[186:187], v[182:183]
	s_waitcnt_depctr 0xfff
	v_fma_f64 v[188:189], -v[182:183], v[186:187], 1.0
	v_fma_f64 v[186:187], v[186:187], v[188:189], v[186:187]
	s_delay_alu instid0(VALU_DEP_1) | instskip(NEXT) | instid1(VALU_DEP_1)
	v_fma_f64 v[188:189], -v[182:183], v[186:187], 1.0
	v_fma_f64 v[186:187], v[186:187], v[188:189], v[186:187]
	v_div_scale_f64 v[188:189], vcc_lo, 1.0, v[180:181], 1.0
	s_delay_alu instid0(VALU_DEP_1) | instskip(NEXT) | instid1(VALU_DEP_1)
	v_mul_f64 v[190:191], v[188:189], v[186:187]
	v_fma_f64 v[182:183], -v[182:183], v[190:191], v[188:189]
	s_delay_alu instid0(VALU_DEP_1) | instskip(NEXT) | instid1(VALU_DEP_1)
	v_div_fmas_f64 v[182:183], v[182:183], v[186:187], v[190:191]
	v_div_fixup_f64 v[186:187], v[182:183], v[180:181], 1.0
                                        ; implicit-def: $vgpr180_vgpr181
	s_delay_alu instid0(VALU_DEP_1)
	v_mul_f64 v[188:189], v[184:185], v[186:187]
	v_xor_b32_e32 v187, 0x80000000, v187
.LBB89_275:
	s_and_not1_saveexec_b32 s3, s3
	s_cbranch_execz .LBB89_277
; %bb.276:
	v_div_scale_f64 v[184:185], null, v[180:181], v[180:181], v[182:183]
	v_div_scale_f64 v[190:191], vcc_lo, v[182:183], v[180:181], v[182:183]
	s_delay_alu instid0(VALU_DEP_2) | instskip(SKIP_2) | instid1(VALU_DEP_1)
	v_rcp_f64_e32 v[186:187], v[184:185]
	s_waitcnt_depctr 0xfff
	v_fma_f64 v[188:189], -v[184:185], v[186:187], 1.0
	v_fma_f64 v[186:187], v[186:187], v[188:189], v[186:187]
	s_delay_alu instid0(VALU_DEP_1) | instskip(NEXT) | instid1(VALU_DEP_1)
	v_fma_f64 v[188:189], -v[184:185], v[186:187], 1.0
	v_fma_f64 v[186:187], v[186:187], v[188:189], v[186:187]
	s_delay_alu instid0(VALU_DEP_1) | instskip(NEXT) | instid1(VALU_DEP_1)
	v_mul_f64 v[188:189], v[190:191], v[186:187]
	v_fma_f64 v[184:185], -v[184:185], v[188:189], v[190:191]
	s_delay_alu instid0(VALU_DEP_1) | instskip(NEXT) | instid1(VALU_DEP_1)
	v_div_fmas_f64 v[184:185], v[184:185], v[186:187], v[188:189]
	v_div_fixup_f64 v[184:185], v[184:185], v[180:181], v[182:183]
	s_delay_alu instid0(VALU_DEP_1) | instskip(NEXT) | instid1(VALU_DEP_1)
	v_fma_f64 v[180:181], v[182:183], v[184:185], v[180:181]
	v_div_scale_f64 v[182:183], null, v[180:181], v[180:181], 1.0
	s_delay_alu instid0(VALU_DEP_1) | instskip(SKIP_2) | instid1(VALU_DEP_1)
	v_rcp_f64_e32 v[186:187], v[182:183]
	s_waitcnt_depctr 0xfff
	v_fma_f64 v[188:189], -v[182:183], v[186:187], 1.0
	v_fma_f64 v[186:187], v[186:187], v[188:189], v[186:187]
	s_delay_alu instid0(VALU_DEP_1) | instskip(NEXT) | instid1(VALU_DEP_1)
	v_fma_f64 v[188:189], -v[182:183], v[186:187], 1.0
	v_fma_f64 v[186:187], v[186:187], v[188:189], v[186:187]
	v_div_scale_f64 v[188:189], vcc_lo, 1.0, v[180:181], 1.0
	s_delay_alu instid0(VALU_DEP_1) | instskip(NEXT) | instid1(VALU_DEP_1)
	v_mul_f64 v[190:191], v[188:189], v[186:187]
	v_fma_f64 v[182:183], -v[182:183], v[190:191], v[188:189]
	s_delay_alu instid0(VALU_DEP_1) | instskip(NEXT) | instid1(VALU_DEP_1)
	v_div_fmas_f64 v[182:183], v[182:183], v[186:187], v[190:191]
	v_div_fixup_f64 v[188:189], v[182:183], v[180:181], 1.0
	s_delay_alu instid0(VALU_DEP_1)
	v_mul_f64 v[186:187], v[184:185], -v[188:189]
.LBB89_277:
	s_or_b32 exec_lo, exec_lo, s3
	ds_store_2addr_b64 v211, v[188:189], v[186:187] offset1:1
.LBB89_278:
	s_or_b32 exec_lo, exec_lo, s4
	s_waitcnt lgkmcnt(0)
	s_barrier
	buffer_gl0_inv
	ds_load_2addr_b64 v[180:183], v211 offset1:1
	s_mov_b32 s3, exec_lo
	s_waitcnt lgkmcnt(0)
	scratch_store_b128 off, v[180:183], off offset:736 ; 16-byte Folded Spill
	v_cmpx_lt_u32_e32 30, v210
	s_cbranch_execz .LBB89_280
; %bb.279:
	scratch_load_b128 v[182:185], off, off offset:736 ; 16-byte Folded Reload
	s_waitcnt vmcnt(0)
	v_mul_f64 v[180:181], v[182:183], v[58:59]
	v_mul_f64 v[58:59], v[184:185], v[58:59]
	s_delay_alu instid0(VALU_DEP_2) | instskip(NEXT) | instid1(VALU_DEP_2)
	v_fma_f64 v[180:181], v[184:185], v[56:57], v[180:181]
	v_fma_f64 v[56:57], v[182:183], v[56:57], -v[58:59]
	ds_load_2addr_b64 v[182:185], v212 offset0:62 offset1:63
	s_waitcnt lgkmcnt(0)
	v_mul_f64 v[58:59], v[184:185], v[180:181]
	s_delay_alu instid0(VALU_DEP_1) | instskip(SKIP_1) | instid1(VALU_DEP_2)
	v_fma_f64 v[58:59], v[182:183], v[56:57], -v[58:59]
	v_mul_f64 v[182:183], v[182:183], v[180:181]
	v_add_f64 v[52:53], v[52:53], -v[58:59]
	s_delay_alu instid0(VALU_DEP_2) | instskip(NEXT) | instid1(VALU_DEP_1)
	v_fma_f64 v[182:183], v[184:185], v[56:57], v[182:183]
	v_add_f64 v[54:55], v[54:55], -v[182:183]
	ds_load_2addr_b64 v[182:185], v212 offset0:64 offset1:65
	s_waitcnt lgkmcnt(0)
	v_mul_f64 v[58:59], v[184:185], v[180:181]
	s_delay_alu instid0(VALU_DEP_1) | instskip(SKIP_1) | instid1(VALU_DEP_2)
	v_fma_f64 v[58:59], v[182:183], v[56:57], -v[58:59]
	v_mul_f64 v[182:183], v[182:183], v[180:181]
	v_add_f64 v[48:49], v[48:49], -v[58:59]
	s_delay_alu instid0(VALU_DEP_2) | instskip(NEXT) | instid1(VALU_DEP_1)
	v_fma_f64 v[182:183], v[184:185], v[56:57], v[182:183]
	v_add_f64 v[50:51], v[50:51], -v[182:183]
	;; [unrolled: 10-line block ×13, first 2 shown]
	ds_load_2addr_b64 v[182:185], v212 offset0:88 offset1:89
	s_waitcnt lgkmcnt(0)
	v_mul_f64 v[58:59], v[184:185], v[180:181]
	s_delay_alu instid0(VALU_DEP_1) | instskip(SKIP_1) | instid1(VALU_DEP_2)
	v_fma_f64 v[58:59], v[182:183], v[56:57], -v[58:59]
	v_mul_f64 v[182:183], v[182:183], v[180:181]
	v_add_f64 v[0:1], v[0:1], -v[58:59]
	s_delay_alu instid0(VALU_DEP_2) | instskip(SKIP_1) | instid1(VALU_DEP_2)
	v_fma_f64 v[182:183], v[184:185], v[56:57], v[182:183]
	v_dual_mov_b32 v58, v180 :: v_dual_mov_b32 v59, v181
	v_add_f64 v[2:3], v[2:3], -v[182:183]
.LBB89_280:
	s_or_b32 exec_lo, exec_lo, s3
	s_delay_alu instid0(SALU_CYCLE_1)
	s_mov_b32 s4, exec_lo
	s_waitcnt_vscnt null, 0x0
	s_barrier
	buffer_gl0_inv
	v_cmpx_eq_u32_e32 31, v210
	s_cbranch_execz .LBB89_287
; %bb.281:
	ds_store_2addr_b64 v211, v[52:53], v[54:55] offset1:1
	ds_store_2addr_b64 v212, v[48:49], v[50:51] offset0:64 offset1:65
	ds_store_2addr_b64 v212, v[44:45], v[46:47] offset0:66 offset1:67
	;; [unrolled: 1-line block ×13, first 2 shown]
	ds_load_2addr_b64 v[180:183], v211 offset1:1
	s_waitcnt lgkmcnt(0)
	v_cmp_neq_f64_e32 vcc_lo, 0, v[180:181]
	v_cmp_neq_f64_e64 s3, 0, v[182:183]
	s_delay_alu instid0(VALU_DEP_1) | instskip(NEXT) | instid1(SALU_CYCLE_1)
	s_or_b32 s3, vcc_lo, s3
	s_and_b32 exec_lo, exec_lo, s3
	s_cbranch_execz .LBB89_287
; %bb.282:
	v_cmp_gt_f64_e32 vcc_lo, 0, v[180:181]
	v_xor_b32_e32 v184, 0x80000000, v181
	v_xor_b32_e32 v186, 0x80000000, v183
	s_mov_b32 s3, exec_lo
                                        ; implicit-def: $vgpr188_vgpr189
	s_delay_alu instid0(VALU_DEP_2) | instskip(SKIP_4) | instid1(VALU_DEP_1)
	v_cndmask_b32_e32 v185, v181, v184, vcc_lo
	v_cndmask_b32_e32 v184, v180, v180, vcc_lo
	v_cmp_gt_f64_e32 vcc_lo, 0, v[182:183]
	v_cndmask_b32_e32 v187, v183, v186, vcc_lo
	v_cndmask_b32_e32 v186, v182, v182, vcc_lo
	v_cmpx_ngt_f64_e32 v[184:185], v[186:187]
	s_xor_b32 s3, exec_lo, s3
                                        ; implicit-def: $vgpr184_vgpr185_vgpr186_vgpr187
	s_cbranch_execz .LBB89_284
; %bb.283:
	v_div_scale_f64 v[184:185], null, v[182:183], v[182:183], v[180:181]
	v_div_scale_f64 v[190:191], vcc_lo, v[180:181], v[182:183], v[180:181]
	s_delay_alu instid0(VALU_DEP_2) | instskip(SKIP_2) | instid1(VALU_DEP_1)
	v_rcp_f64_e32 v[186:187], v[184:185]
	s_waitcnt_depctr 0xfff
	v_fma_f64 v[188:189], -v[184:185], v[186:187], 1.0
	v_fma_f64 v[186:187], v[186:187], v[188:189], v[186:187]
	s_delay_alu instid0(VALU_DEP_1) | instskip(NEXT) | instid1(VALU_DEP_1)
	v_fma_f64 v[188:189], -v[184:185], v[186:187], 1.0
	v_fma_f64 v[186:187], v[186:187], v[188:189], v[186:187]
	s_delay_alu instid0(VALU_DEP_1) | instskip(NEXT) | instid1(VALU_DEP_1)
	v_mul_f64 v[188:189], v[190:191], v[186:187]
	v_fma_f64 v[184:185], -v[184:185], v[188:189], v[190:191]
	s_delay_alu instid0(VALU_DEP_1) | instskip(NEXT) | instid1(VALU_DEP_1)
	v_div_fmas_f64 v[184:185], v[184:185], v[186:187], v[188:189]
	v_div_fixup_f64 v[184:185], v[184:185], v[182:183], v[180:181]
	s_delay_alu instid0(VALU_DEP_1) | instskip(NEXT) | instid1(VALU_DEP_1)
	v_fma_f64 v[180:181], v[180:181], v[184:185], v[182:183]
	v_div_scale_f64 v[182:183], null, v[180:181], v[180:181], 1.0
	s_delay_alu instid0(VALU_DEP_1) | instskip(SKIP_2) | instid1(VALU_DEP_1)
	v_rcp_f64_e32 v[186:187], v[182:183]
	s_waitcnt_depctr 0xfff
	v_fma_f64 v[188:189], -v[182:183], v[186:187], 1.0
	v_fma_f64 v[186:187], v[186:187], v[188:189], v[186:187]
	s_delay_alu instid0(VALU_DEP_1) | instskip(NEXT) | instid1(VALU_DEP_1)
	v_fma_f64 v[188:189], -v[182:183], v[186:187], 1.0
	v_fma_f64 v[186:187], v[186:187], v[188:189], v[186:187]
	v_div_scale_f64 v[188:189], vcc_lo, 1.0, v[180:181], 1.0
	s_delay_alu instid0(VALU_DEP_1) | instskip(NEXT) | instid1(VALU_DEP_1)
	v_mul_f64 v[190:191], v[188:189], v[186:187]
	v_fma_f64 v[182:183], -v[182:183], v[190:191], v[188:189]
	s_delay_alu instid0(VALU_DEP_1) | instskip(NEXT) | instid1(VALU_DEP_1)
	v_div_fmas_f64 v[182:183], v[182:183], v[186:187], v[190:191]
	v_div_fixup_f64 v[186:187], v[182:183], v[180:181], 1.0
                                        ; implicit-def: $vgpr180_vgpr181
	s_delay_alu instid0(VALU_DEP_1)
	v_mul_f64 v[188:189], v[184:185], v[186:187]
	v_xor_b32_e32 v187, 0x80000000, v187
.LBB89_284:
	s_and_not1_saveexec_b32 s3, s3
	s_cbranch_execz .LBB89_286
; %bb.285:
	v_div_scale_f64 v[184:185], null, v[180:181], v[180:181], v[182:183]
	v_div_scale_f64 v[190:191], vcc_lo, v[182:183], v[180:181], v[182:183]
	s_delay_alu instid0(VALU_DEP_2) | instskip(SKIP_2) | instid1(VALU_DEP_1)
	v_rcp_f64_e32 v[186:187], v[184:185]
	s_waitcnt_depctr 0xfff
	v_fma_f64 v[188:189], -v[184:185], v[186:187], 1.0
	v_fma_f64 v[186:187], v[186:187], v[188:189], v[186:187]
	s_delay_alu instid0(VALU_DEP_1) | instskip(NEXT) | instid1(VALU_DEP_1)
	v_fma_f64 v[188:189], -v[184:185], v[186:187], 1.0
	v_fma_f64 v[186:187], v[186:187], v[188:189], v[186:187]
	s_delay_alu instid0(VALU_DEP_1) | instskip(NEXT) | instid1(VALU_DEP_1)
	v_mul_f64 v[188:189], v[190:191], v[186:187]
	v_fma_f64 v[184:185], -v[184:185], v[188:189], v[190:191]
	s_delay_alu instid0(VALU_DEP_1) | instskip(NEXT) | instid1(VALU_DEP_1)
	v_div_fmas_f64 v[184:185], v[184:185], v[186:187], v[188:189]
	v_div_fixup_f64 v[184:185], v[184:185], v[180:181], v[182:183]
	s_delay_alu instid0(VALU_DEP_1) | instskip(NEXT) | instid1(VALU_DEP_1)
	v_fma_f64 v[180:181], v[182:183], v[184:185], v[180:181]
	v_div_scale_f64 v[182:183], null, v[180:181], v[180:181], 1.0
	s_delay_alu instid0(VALU_DEP_1) | instskip(SKIP_2) | instid1(VALU_DEP_1)
	v_rcp_f64_e32 v[186:187], v[182:183]
	s_waitcnt_depctr 0xfff
	v_fma_f64 v[188:189], -v[182:183], v[186:187], 1.0
	v_fma_f64 v[186:187], v[186:187], v[188:189], v[186:187]
	s_delay_alu instid0(VALU_DEP_1) | instskip(NEXT) | instid1(VALU_DEP_1)
	v_fma_f64 v[188:189], -v[182:183], v[186:187], 1.0
	v_fma_f64 v[186:187], v[186:187], v[188:189], v[186:187]
	v_div_scale_f64 v[188:189], vcc_lo, 1.0, v[180:181], 1.0
	s_delay_alu instid0(VALU_DEP_1) | instskip(NEXT) | instid1(VALU_DEP_1)
	v_mul_f64 v[190:191], v[188:189], v[186:187]
	v_fma_f64 v[182:183], -v[182:183], v[190:191], v[188:189]
	s_delay_alu instid0(VALU_DEP_1) | instskip(NEXT) | instid1(VALU_DEP_1)
	v_div_fmas_f64 v[182:183], v[182:183], v[186:187], v[190:191]
	v_div_fixup_f64 v[188:189], v[182:183], v[180:181], 1.0
	s_delay_alu instid0(VALU_DEP_1)
	v_mul_f64 v[186:187], v[184:185], -v[188:189]
.LBB89_286:
	s_or_b32 exec_lo, exec_lo, s3
	ds_store_2addr_b64 v211, v[188:189], v[186:187] offset1:1
.LBB89_287:
	s_or_b32 exec_lo, exec_lo, s4
	s_waitcnt lgkmcnt(0)
	s_barrier
	buffer_gl0_inv
	ds_load_2addr_b64 v[180:183], v211 offset1:1
	s_mov_b32 s3, exec_lo
	s_waitcnt lgkmcnt(0)
	scratch_store_b128 off, v[180:183], off offset:752 ; 16-byte Folded Spill
	v_cmpx_lt_u32_e32 31, v210
	s_cbranch_execz .LBB89_289
; %bb.288:
	scratch_load_b128 v[182:185], off, off offset:752 ; 16-byte Folded Reload
	s_waitcnt vmcnt(0)
	v_mul_f64 v[180:181], v[182:183], v[54:55]
	v_mul_f64 v[54:55], v[184:185], v[54:55]
	s_delay_alu instid0(VALU_DEP_2) | instskip(NEXT) | instid1(VALU_DEP_2)
	v_fma_f64 v[180:181], v[184:185], v[52:53], v[180:181]
	v_fma_f64 v[52:53], v[182:183], v[52:53], -v[54:55]
	ds_load_2addr_b64 v[182:185], v212 offset0:64 offset1:65
	s_waitcnt lgkmcnt(0)
	v_mul_f64 v[54:55], v[184:185], v[180:181]
	s_delay_alu instid0(VALU_DEP_1) | instskip(SKIP_1) | instid1(VALU_DEP_2)
	v_fma_f64 v[54:55], v[182:183], v[52:53], -v[54:55]
	v_mul_f64 v[182:183], v[182:183], v[180:181]
	v_add_f64 v[48:49], v[48:49], -v[54:55]
	s_delay_alu instid0(VALU_DEP_2) | instskip(NEXT) | instid1(VALU_DEP_1)
	v_fma_f64 v[182:183], v[184:185], v[52:53], v[182:183]
	v_add_f64 v[50:51], v[50:51], -v[182:183]
	ds_load_2addr_b64 v[182:185], v212 offset0:66 offset1:67
	s_waitcnt lgkmcnt(0)
	v_mul_f64 v[54:55], v[184:185], v[180:181]
	s_delay_alu instid0(VALU_DEP_1) | instskip(SKIP_1) | instid1(VALU_DEP_2)
	v_fma_f64 v[54:55], v[182:183], v[52:53], -v[54:55]
	v_mul_f64 v[182:183], v[182:183], v[180:181]
	v_add_f64 v[44:45], v[44:45], -v[54:55]
	s_delay_alu instid0(VALU_DEP_2) | instskip(NEXT) | instid1(VALU_DEP_1)
	v_fma_f64 v[182:183], v[184:185], v[52:53], v[182:183]
	v_add_f64 v[46:47], v[46:47], -v[182:183]
	;; [unrolled: 10-line block ×12, first 2 shown]
	ds_load_2addr_b64 v[182:185], v212 offset0:88 offset1:89
	s_waitcnt lgkmcnt(0)
	v_mul_f64 v[54:55], v[184:185], v[180:181]
	s_delay_alu instid0(VALU_DEP_1) | instskip(SKIP_1) | instid1(VALU_DEP_2)
	v_fma_f64 v[54:55], v[182:183], v[52:53], -v[54:55]
	v_mul_f64 v[182:183], v[182:183], v[180:181]
	v_add_f64 v[0:1], v[0:1], -v[54:55]
	s_delay_alu instid0(VALU_DEP_2) | instskip(SKIP_1) | instid1(VALU_DEP_2)
	v_fma_f64 v[182:183], v[184:185], v[52:53], v[182:183]
	v_dual_mov_b32 v54, v180 :: v_dual_mov_b32 v55, v181
	v_add_f64 v[2:3], v[2:3], -v[182:183]
.LBB89_289:
	s_or_b32 exec_lo, exec_lo, s3
	s_delay_alu instid0(SALU_CYCLE_1)
	s_mov_b32 s4, exec_lo
	s_waitcnt_vscnt null, 0x0
	s_barrier
	buffer_gl0_inv
	v_cmpx_eq_u32_e32 32, v210
	s_cbranch_execz .LBB89_296
; %bb.290:
	ds_store_2addr_b64 v211, v[48:49], v[50:51] offset1:1
	ds_store_2addr_b64 v212, v[44:45], v[46:47] offset0:66 offset1:67
	ds_store_2addr_b64 v212, v[40:41], v[42:43] offset0:68 offset1:69
	;; [unrolled: 1-line block ×12, first 2 shown]
	ds_load_2addr_b64 v[180:183], v211 offset1:1
	s_waitcnt lgkmcnt(0)
	v_cmp_neq_f64_e32 vcc_lo, 0, v[180:181]
	v_cmp_neq_f64_e64 s3, 0, v[182:183]
	s_delay_alu instid0(VALU_DEP_1) | instskip(NEXT) | instid1(SALU_CYCLE_1)
	s_or_b32 s3, vcc_lo, s3
	s_and_b32 exec_lo, exec_lo, s3
	s_cbranch_execz .LBB89_296
; %bb.291:
	v_cmp_gt_f64_e32 vcc_lo, 0, v[180:181]
	v_xor_b32_e32 v184, 0x80000000, v181
	v_xor_b32_e32 v186, 0x80000000, v183
	s_mov_b32 s3, exec_lo
                                        ; implicit-def: $vgpr188_vgpr189
	s_delay_alu instid0(VALU_DEP_2) | instskip(SKIP_4) | instid1(VALU_DEP_1)
	v_cndmask_b32_e32 v185, v181, v184, vcc_lo
	v_cndmask_b32_e32 v184, v180, v180, vcc_lo
	v_cmp_gt_f64_e32 vcc_lo, 0, v[182:183]
	v_cndmask_b32_e32 v187, v183, v186, vcc_lo
	v_cndmask_b32_e32 v186, v182, v182, vcc_lo
	v_cmpx_ngt_f64_e32 v[184:185], v[186:187]
	s_xor_b32 s3, exec_lo, s3
                                        ; implicit-def: $vgpr184_vgpr185_vgpr186_vgpr187
	s_cbranch_execz .LBB89_293
; %bb.292:
	v_div_scale_f64 v[184:185], null, v[182:183], v[182:183], v[180:181]
	v_div_scale_f64 v[190:191], vcc_lo, v[180:181], v[182:183], v[180:181]
	s_delay_alu instid0(VALU_DEP_2) | instskip(SKIP_2) | instid1(VALU_DEP_1)
	v_rcp_f64_e32 v[186:187], v[184:185]
	s_waitcnt_depctr 0xfff
	v_fma_f64 v[188:189], -v[184:185], v[186:187], 1.0
	v_fma_f64 v[186:187], v[186:187], v[188:189], v[186:187]
	s_delay_alu instid0(VALU_DEP_1) | instskip(NEXT) | instid1(VALU_DEP_1)
	v_fma_f64 v[188:189], -v[184:185], v[186:187], 1.0
	v_fma_f64 v[186:187], v[186:187], v[188:189], v[186:187]
	s_delay_alu instid0(VALU_DEP_1) | instskip(NEXT) | instid1(VALU_DEP_1)
	v_mul_f64 v[188:189], v[190:191], v[186:187]
	v_fma_f64 v[184:185], -v[184:185], v[188:189], v[190:191]
	s_delay_alu instid0(VALU_DEP_1) | instskip(NEXT) | instid1(VALU_DEP_1)
	v_div_fmas_f64 v[184:185], v[184:185], v[186:187], v[188:189]
	v_div_fixup_f64 v[184:185], v[184:185], v[182:183], v[180:181]
	s_delay_alu instid0(VALU_DEP_1) | instskip(NEXT) | instid1(VALU_DEP_1)
	v_fma_f64 v[180:181], v[180:181], v[184:185], v[182:183]
	v_div_scale_f64 v[182:183], null, v[180:181], v[180:181], 1.0
	s_delay_alu instid0(VALU_DEP_1) | instskip(SKIP_2) | instid1(VALU_DEP_1)
	v_rcp_f64_e32 v[186:187], v[182:183]
	s_waitcnt_depctr 0xfff
	v_fma_f64 v[188:189], -v[182:183], v[186:187], 1.0
	v_fma_f64 v[186:187], v[186:187], v[188:189], v[186:187]
	s_delay_alu instid0(VALU_DEP_1) | instskip(NEXT) | instid1(VALU_DEP_1)
	v_fma_f64 v[188:189], -v[182:183], v[186:187], 1.0
	v_fma_f64 v[186:187], v[186:187], v[188:189], v[186:187]
	v_div_scale_f64 v[188:189], vcc_lo, 1.0, v[180:181], 1.0
	s_delay_alu instid0(VALU_DEP_1) | instskip(NEXT) | instid1(VALU_DEP_1)
	v_mul_f64 v[190:191], v[188:189], v[186:187]
	v_fma_f64 v[182:183], -v[182:183], v[190:191], v[188:189]
	s_delay_alu instid0(VALU_DEP_1) | instskip(NEXT) | instid1(VALU_DEP_1)
	v_div_fmas_f64 v[182:183], v[182:183], v[186:187], v[190:191]
	v_div_fixup_f64 v[186:187], v[182:183], v[180:181], 1.0
                                        ; implicit-def: $vgpr180_vgpr181
	s_delay_alu instid0(VALU_DEP_1)
	v_mul_f64 v[188:189], v[184:185], v[186:187]
	v_xor_b32_e32 v187, 0x80000000, v187
.LBB89_293:
	s_and_not1_saveexec_b32 s3, s3
	s_cbranch_execz .LBB89_295
; %bb.294:
	v_div_scale_f64 v[184:185], null, v[180:181], v[180:181], v[182:183]
	v_div_scale_f64 v[190:191], vcc_lo, v[182:183], v[180:181], v[182:183]
	s_delay_alu instid0(VALU_DEP_2) | instskip(SKIP_2) | instid1(VALU_DEP_1)
	v_rcp_f64_e32 v[186:187], v[184:185]
	s_waitcnt_depctr 0xfff
	v_fma_f64 v[188:189], -v[184:185], v[186:187], 1.0
	v_fma_f64 v[186:187], v[186:187], v[188:189], v[186:187]
	s_delay_alu instid0(VALU_DEP_1) | instskip(NEXT) | instid1(VALU_DEP_1)
	v_fma_f64 v[188:189], -v[184:185], v[186:187], 1.0
	v_fma_f64 v[186:187], v[186:187], v[188:189], v[186:187]
	s_delay_alu instid0(VALU_DEP_1) | instskip(NEXT) | instid1(VALU_DEP_1)
	v_mul_f64 v[188:189], v[190:191], v[186:187]
	v_fma_f64 v[184:185], -v[184:185], v[188:189], v[190:191]
	s_delay_alu instid0(VALU_DEP_1) | instskip(NEXT) | instid1(VALU_DEP_1)
	v_div_fmas_f64 v[184:185], v[184:185], v[186:187], v[188:189]
	v_div_fixup_f64 v[184:185], v[184:185], v[180:181], v[182:183]
	s_delay_alu instid0(VALU_DEP_1) | instskip(NEXT) | instid1(VALU_DEP_1)
	v_fma_f64 v[180:181], v[182:183], v[184:185], v[180:181]
	v_div_scale_f64 v[182:183], null, v[180:181], v[180:181], 1.0
	s_delay_alu instid0(VALU_DEP_1) | instskip(SKIP_2) | instid1(VALU_DEP_1)
	v_rcp_f64_e32 v[186:187], v[182:183]
	s_waitcnt_depctr 0xfff
	v_fma_f64 v[188:189], -v[182:183], v[186:187], 1.0
	v_fma_f64 v[186:187], v[186:187], v[188:189], v[186:187]
	s_delay_alu instid0(VALU_DEP_1) | instskip(NEXT) | instid1(VALU_DEP_1)
	v_fma_f64 v[188:189], -v[182:183], v[186:187], 1.0
	v_fma_f64 v[186:187], v[186:187], v[188:189], v[186:187]
	v_div_scale_f64 v[188:189], vcc_lo, 1.0, v[180:181], 1.0
	s_delay_alu instid0(VALU_DEP_1) | instskip(NEXT) | instid1(VALU_DEP_1)
	v_mul_f64 v[190:191], v[188:189], v[186:187]
	v_fma_f64 v[182:183], -v[182:183], v[190:191], v[188:189]
	s_delay_alu instid0(VALU_DEP_1) | instskip(NEXT) | instid1(VALU_DEP_1)
	v_div_fmas_f64 v[182:183], v[182:183], v[186:187], v[190:191]
	v_div_fixup_f64 v[188:189], v[182:183], v[180:181], 1.0
	s_delay_alu instid0(VALU_DEP_1)
	v_mul_f64 v[186:187], v[184:185], -v[188:189]
.LBB89_295:
	s_or_b32 exec_lo, exec_lo, s3
	ds_store_2addr_b64 v211, v[188:189], v[186:187] offset1:1
.LBB89_296:
	s_or_b32 exec_lo, exec_lo, s4
	s_waitcnt lgkmcnt(0)
	s_barrier
	buffer_gl0_inv
	ds_load_2addr_b64 v[180:183], v211 offset1:1
	s_mov_b32 s3, exec_lo
	s_waitcnt lgkmcnt(0)
	scratch_store_b128 off, v[180:183], off offset:768 ; 16-byte Folded Spill
	v_cmpx_lt_u32_e32 32, v210
	s_cbranch_execz .LBB89_298
; %bb.297:
	scratch_load_b128 v[186:189], off, off offset:768 ; 16-byte Folded Reload
	s_waitcnt vmcnt(0)
	v_mul_f64 v[180:181], v[186:187], v[50:51]
	v_mul_f64 v[50:51], v[188:189], v[50:51]
	s_delay_alu instid0(VALU_DEP_2) | instskip(SKIP_4) | instid1(VALU_DEP_1)
	v_fma_f64 v[184:185], v[188:189], v[48:49], v[180:181]
	ds_load_2addr_b64 v[180:183], v212 offset0:66 offset1:67
	v_fma_f64 v[48:49], v[186:187], v[48:49], -v[50:51]
	s_waitcnt lgkmcnt(0)
	v_mul_f64 v[50:51], v[182:183], v[184:185]
	v_fma_f64 v[50:51], v[180:181], v[48:49], -v[50:51]
	v_mul_f64 v[180:181], v[180:181], v[184:185]
	s_delay_alu instid0(VALU_DEP_2) | instskip(NEXT) | instid1(VALU_DEP_2)
	v_add_f64 v[44:45], v[44:45], -v[50:51]
	v_fma_f64 v[180:181], v[182:183], v[48:49], v[180:181]
	s_delay_alu instid0(VALU_DEP_1) | instskip(SKIP_3) | instid1(VALU_DEP_1)
	v_add_f64 v[46:47], v[46:47], -v[180:181]
	ds_load_2addr_b64 v[180:183], v212 offset0:68 offset1:69
	s_waitcnt lgkmcnt(0)
	v_mul_f64 v[50:51], v[182:183], v[184:185]
	v_fma_f64 v[50:51], v[180:181], v[48:49], -v[50:51]
	v_mul_f64 v[180:181], v[180:181], v[184:185]
	s_delay_alu instid0(VALU_DEP_2) | instskip(NEXT) | instid1(VALU_DEP_2)
	v_add_f64 v[40:41], v[40:41], -v[50:51]
	v_fma_f64 v[180:181], v[182:183], v[48:49], v[180:181]
	s_delay_alu instid0(VALU_DEP_1) | instskip(SKIP_3) | instid1(VALU_DEP_1)
	v_add_f64 v[42:43], v[42:43], -v[180:181]
	ds_load_2addr_b64 v[180:183], v212 offset0:70 offset1:71
	;; [unrolled: 10-line block ×11, first 2 shown]
	s_waitcnt lgkmcnt(0)
	v_mul_f64 v[50:51], v[182:183], v[184:185]
	v_fma_f64 v[50:51], v[180:181], v[48:49], -v[50:51]
	v_mul_f64 v[180:181], v[180:181], v[184:185]
	s_delay_alu instid0(VALU_DEP_2) | instskip(NEXT) | instid1(VALU_DEP_2)
	v_add_f64 v[0:1], v[0:1], -v[50:51]
	v_fma_f64 v[180:181], v[182:183], v[48:49], v[180:181]
	v_dual_mov_b32 v50, v184 :: v_dual_mov_b32 v51, v185
	s_delay_alu instid0(VALU_DEP_2)
	v_add_f64 v[2:3], v[2:3], -v[180:181]
.LBB89_298:
	s_or_b32 exec_lo, exec_lo, s3
	s_delay_alu instid0(SALU_CYCLE_1)
	s_mov_b32 s4, exec_lo
	s_waitcnt_vscnt null, 0x0
	s_barrier
	buffer_gl0_inv
	v_cmpx_eq_u32_e32 33, v210
	s_cbranch_execz .LBB89_305
; %bb.299:
	ds_store_2addr_b64 v211, v[44:45], v[46:47] offset1:1
	ds_store_2addr_b64 v212, v[40:41], v[42:43] offset0:68 offset1:69
	ds_store_2addr_b64 v212, v[36:37], v[38:39] offset0:70 offset1:71
	;; [unrolled: 1-line block ×11, first 2 shown]
	ds_load_2addr_b64 v[180:183], v211 offset1:1
	s_waitcnt lgkmcnt(0)
	v_cmp_neq_f64_e32 vcc_lo, 0, v[180:181]
	v_cmp_neq_f64_e64 s3, 0, v[182:183]
	s_delay_alu instid0(VALU_DEP_1) | instskip(NEXT) | instid1(SALU_CYCLE_1)
	s_or_b32 s3, vcc_lo, s3
	s_and_b32 exec_lo, exec_lo, s3
	s_cbranch_execz .LBB89_305
; %bb.300:
	v_cmp_gt_f64_e32 vcc_lo, 0, v[180:181]
	v_xor_b32_e32 v184, 0x80000000, v181
	v_xor_b32_e32 v186, 0x80000000, v183
	s_mov_b32 s3, exec_lo
                                        ; implicit-def: $vgpr188_vgpr189
	s_delay_alu instid0(VALU_DEP_2) | instskip(SKIP_4) | instid1(VALU_DEP_1)
	v_cndmask_b32_e32 v185, v181, v184, vcc_lo
	v_cndmask_b32_e32 v184, v180, v180, vcc_lo
	v_cmp_gt_f64_e32 vcc_lo, 0, v[182:183]
	v_cndmask_b32_e32 v187, v183, v186, vcc_lo
	v_cndmask_b32_e32 v186, v182, v182, vcc_lo
	v_cmpx_ngt_f64_e32 v[184:185], v[186:187]
	s_xor_b32 s3, exec_lo, s3
                                        ; implicit-def: $vgpr184_vgpr185_vgpr186_vgpr187
	s_cbranch_execz .LBB89_302
; %bb.301:
	v_div_scale_f64 v[184:185], null, v[182:183], v[182:183], v[180:181]
	v_div_scale_f64 v[190:191], vcc_lo, v[180:181], v[182:183], v[180:181]
	s_delay_alu instid0(VALU_DEP_2) | instskip(SKIP_2) | instid1(VALU_DEP_1)
	v_rcp_f64_e32 v[186:187], v[184:185]
	s_waitcnt_depctr 0xfff
	v_fma_f64 v[188:189], -v[184:185], v[186:187], 1.0
	v_fma_f64 v[186:187], v[186:187], v[188:189], v[186:187]
	s_delay_alu instid0(VALU_DEP_1) | instskip(NEXT) | instid1(VALU_DEP_1)
	v_fma_f64 v[188:189], -v[184:185], v[186:187], 1.0
	v_fma_f64 v[186:187], v[186:187], v[188:189], v[186:187]
	s_delay_alu instid0(VALU_DEP_1) | instskip(NEXT) | instid1(VALU_DEP_1)
	v_mul_f64 v[188:189], v[190:191], v[186:187]
	v_fma_f64 v[184:185], -v[184:185], v[188:189], v[190:191]
	s_delay_alu instid0(VALU_DEP_1) | instskip(NEXT) | instid1(VALU_DEP_1)
	v_div_fmas_f64 v[184:185], v[184:185], v[186:187], v[188:189]
	v_div_fixup_f64 v[184:185], v[184:185], v[182:183], v[180:181]
	s_delay_alu instid0(VALU_DEP_1) | instskip(NEXT) | instid1(VALU_DEP_1)
	v_fma_f64 v[180:181], v[180:181], v[184:185], v[182:183]
	v_div_scale_f64 v[182:183], null, v[180:181], v[180:181], 1.0
	s_delay_alu instid0(VALU_DEP_1) | instskip(SKIP_2) | instid1(VALU_DEP_1)
	v_rcp_f64_e32 v[186:187], v[182:183]
	s_waitcnt_depctr 0xfff
	v_fma_f64 v[188:189], -v[182:183], v[186:187], 1.0
	v_fma_f64 v[186:187], v[186:187], v[188:189], v[186:187]
	s_delay_alu instid0(VALU_DEP_1) | instskip(NEXT) | instid1(VALU_DEP_1)
	v_fma_f64 v[188:189], -v[182:183], v[186:187], 1.0
	v_fma_f64 v[186:187], v[186:187], v[188:189], v[186:187]
	v_div_scale_f64 v[188:189], vcc_lo, 1.0, v[180:181], 1.0
	s_delay_alu instid0(VALU_DEP_1) | instskip(NEXT) | instid1(VALU_DEP_1)
	v_mul_f64 v[190:191], v[188:189], v[186:187]
	v_fma_f64 v[182:183], -v[182:183], v[190:191], v[188:189]
	s_delay_alu instid0(VALU_DEP_1) | instskip(NEXT) | instid1(VALU_DEP_1)
	v_div_fmas_f64 v[182:183], v[182:183], v[186:187], v[190:191]
	v_div_fixup_f64 v[186:187], v[182:183], v[180:181], 1.0
                                        ; implicit-def: $vgpr180_vgpr181
	s_delay_alu instid0(VALU_DEP_1)
	v_mul_f64 v[188:189], v[184:185], v[186:187]
	v_xor_b32_e32 v187, 0x80000000, v187
.LBB89_302:
	s_and_not1_saveexec_b32 s3, s3
	s_cbranch_execz .LBB89_304
; %bb.303:
	v_div_scale_f64 v[184:185], null, v[180:181], v[180:181], v[182:183]
	v_div_scale_f64 v[190:191], vcc_lo, v[182:183], v[180:181], v[182:183]
	s_delay_alu instid0(VALU_DEP_2) | instskip(SKIP_2) | instid1(VALU_DEP_1)
	v_rcp_f64_e32 v[186:187], v[184:185]
	s_waitcnt_depctr 0xfff
	v_fma_f64 v[188:189], -v[184:185], v[186:187], 1.0
	v_fma_f64 v[186:187], v[186:187], v[188:189], v[186:187]
	s_delay_alu instid0(VALU_DEP_1) | instskip(NEXT) | instid1(VALU_DEP_1)
	v_fma_f64 v[188:189], -v[184:185], v[186:187], 1.0
	v_fma_f64 v[186:187], v[186:187], v[188:189], v[186:187]
	s_delay_alu instid0(VALU_DEP_1) | instskip(NEXT) | instid1(VALU_DEP_1)
	v_mul_f64 v[188:189], v[190:191], v[186:187]
	v_fma_f64 v[184:185], -v[184:185], v[188:189], v[190:191]
	s_delay_alu instid0(VALU_DEP_1) | instskip(NEXT) | instid1(VALU_DEP_1)
	v_div_fmas_f64 v[184:185], v[184:185], v[186:187], v[188:189]
	v_div_fixup_f64 v[184:185], v[184:185], v[180:181], v[182:183]
	s_delay_alu instid0(VALU_DEP_1) | instskip(NEXT) | instid1(VALU_DEP_1)
	v_fma_f64 v[180:181], v[182:183], v[184:185], v[180:181]
	v_div_scale_f64 v[182:183], null, v[180:181], v[180:181], 1.0
	s_delay_alu instid0(VALU_DEP_1) | instskip(SKIP_2) | instid1(VALU_DEP_1)
	v_rcp_f64_e32 v[186:187], v[182:183]
	s_waitcnt_depctr 0xfff
	v_fma_f64 v[188:189], -v[182:183], v[186:187], 1.0
	v_fma_f64 v[186:187], v[186:187], v[188:189], v[186:187]
	s_delay_alu instid0(VALU_DEP_1) | instskip(NEXT) | instid1(VALU_DEP_1)
	v_fma_f64 v[188:189], -v[182:183], v[186:187], 1.0
	v_fma_f64 v[186:187], v[186:187], v[188:189], v[186:187]
	v_div_scale_f64 v[188:189], vcc_lo, 1.0, v[180:181], 1.0
	s_delay_alu instid0(VALU_DEP_1) | instskip(NEXT) | instid1(VALU_DEP_1)
	v_mul_f64 v[190:191], v[188:189], v[186:187]
	v_fma_f64 v[182:183], -v[182:183], v[190:191], v[188:189]
	s_delay_alu instid0(VALU_DEP_1) | instskip(NEXT) | instid1(VALU_DEP_1)
	v_div_fmas_f64 v[182:183], v[182:183], v[186:187], v[190:191]
	v_div_fixup_f64 v[188:189], v[182:183], v[180:181], 1.0
	s_delay_alu instid0(VALU_DEP_1)
	v_mul_f64 v[186:187], v[184:185], -v[188:189]
.LBB89_304:
	s_or_b32 exec_lo, exec_lo, s3
	ds_store_2addr_b64 v211, v[188:189], v[186:187] offset1:1
.LBB89_305:
	s_or_b32 exec_lo, exec_lo, s4
	s_waitcnt lgkmcnt(0)
	s_barrier
	buffer_gl0_inv
	ds_load_2addr_b64 v[180:183], v211 offset1:1
	s_mov_b32 s3, exec_lo
	s_waitcnt lgkmcnt(0)
	scratch_store_b128 off, v[180:183], off offset:784 ; 16-byte Folded Spill
	v_cmpx_lt_u32_e32 33, v210
	s_cbranch_execz .LBB89_307
; %bb.306:
	scratch_load_b128 v[186:189], off, off offset:784 ; 16-byte Folded Reload
	s_waitcnt vmcnt(0)
	v_mul_f64 v[180:181], v[186:187], v[46:47]
	v_mul_f64 v[46:47], v[188:189], v[46:47]
	s_delay_alu instid0(VALU_DEP_2) | instskip(SKIP_4) | instid1(VALU_DEP_1)
	v_fma_f64 v[184:185], v[188:189], v[44:45], v[180:181]
	ds_load_2addr_b64 v[180:183], v212 offset0:68 offset1:69
	v_fma_f64 v[44:45], v[186:187], v[44:45], -v[46:47]
	s_waitcnt lgkmcnt(0)
	v_mul_f64 v[46:47], v[182:183], v[184:185]
	v_fma_f64 v[46:47], v[180:181], v[44:45], -v[46:47]
	v_mul_f64 v[180:181], v[180:181], v[184:185]
	s_delay_alu instid0(VALU_DEP_2) | instskip(NEXT) | instid1(VALU_DEP_2)
	v_add_f64 v[40:41], v[40:41], -v[46:47]
	v_fma_f64 v[180:181], v[182:183], v[44:45], v[180:181]
	s_delay_alu instid0(VALU_DEP_1) | instskip(SKIP_3) | instid1(VALU_DEP_1)
	v_add_f64 v[42:43], v[42:43], -v[180:181]
	ds_load_2addr_b64 v[180:183], v212 offset0:70 offset1:71
	s_waitcnt lgkmcnt(0)
	v_mul_f64 v[46:47], v[182:183], v[184:185]
	v_fma_f64 v[46:47], v[180:181], v[44:45], -v[46:47]
	v_mul_f64 v[180:181], v[180:181], v[184:185]
	s_delay_alu instid0(VALU_DEP_2) | instskip(NEXT) | instid1(VALU_DEP_2)
	v_add_f64 v[36:37], v[36:37], -v[46:47]
	v_fma_f64 v[180:181], v[182:183], v[44:45], v[180:181]
	s_delay_alu instid0(VALU_DEP_1) | instskip(SKIP_3) | instid1(VALU_DEP_1)
	v_add_f64 v[38:39], v[38:39], -v[180:181]
	ds_load_2addr_b64 v[180:183], v212 offset0:72 offset1:73
	s_waitcnt lgkmcnt(0)
	v_mul_f64 v[46:47], v[182:183], v[184:185]
	v_fma_f64 v[46:47], v[180:181], v[44:45], -v[46:47]
	v_mul_f64 v[180:181], v[180:181], v[184:185]
	s_delay_alu instid0(VALU_DEP_2) | instskip(NEXT) | instid1(VALU_DEP_2)
	v_add_f64 v[32:33], v[32:33], -v[46:47]
	v_fma_f64 v[180:181], v[182:183], v[44:45], v[180:181]
	s_delay_alu instid0(VALU_DEP_1) | instskip(SKIP_3) | instid1(VALU_DEP_1)
	v_add_f64 v[34:35], v[34:35], -v[180:181]
	ds_load_2addr_b64 v[180:183], v212 offset0:74 offset1:75
	s_waitcnt lgkmcnt(0)
	v_mul_f64 v[46:47], v[182:183], v[184:185]
	v_fma_f64 v[46:47], v[180:181], v[44:45], -v[46:47]
	v_mul_f64 v[180:181], v[180:181], v[184:185]
	s_delay_alu instid0(VALU_DEP_2) | instskip(NEXT) | instid1(VALU_DEP_2)
	v_add_f64 v[28:29], v[28:29], -v[46:47]
	v_fma_f64 v[180:181], v[182:183], v[44:45], v[180:181]
	s_delay_alu instid0(VALU_DEP_1) | instskip(SKIP_3) | instid1(VALU_DEP_1)
	v_add_f64 v[30:31], v[30:31], -v[180:181]
	ds_load_2addr_b64 v[180:183], v212 offset0:76 offset1:77
	s_waitcnt lgkmcnt(0)
	v_mul_f64 v[46:47], v[182:183], v[184:185]
	v_fma_f64 v[46:47], v[180:181], v[44:45], -v[46:47]
	v_mul_f64 v[180:181], v[180:181], v[184:185]
	s_delay_alu instid0(VALU_DEP_2) | instskip(NEXT) | instid1(VALU_DEP_2)
	v_add_f64 v[24:25], v[24:25], -v[46:47]
	v_fma_f64 v[180:181], v[182:183], v[44:45], v[180:181]
	s_delay_alu instid0(VALU_DEP_1) | instskip(SKIP_3) | instid1(VALU_DEP_1)
	v_add_f64 v[26:27], v[26:27], -v[180:181]
	ds_load_2addr_b64 v[180:183], v212 offset0:78 offset1:79
	s_waitcnt lgkmcnt(0)
	v_mul_f64 v[46:47], v[182:183], v[184:185]
	v_fma_f64 v[46:47], v[180:181], v[44:45], -v[46:47]
	v_mul_f64 v[180:181], v[180:181], v[184:185]
	s_delay_alu instid0(VALU_DEP_2) | instskip(NEXT) | instid1(VALU_DEP_2)
	v_add_f64 v[20:21], v[20:21], -v[46:47]
	v_fma_f64 v[180:181], v[182:183], v[44:45], v[180:181]
	s_delay_alu instid0(VALU_DEP_1) | instskip(SKIP_3) | instid1(VALU_DEP_1)
	v_add_f64 v[22:23], v[22:23], -v[180:181]
	ds_load_2addr_b64 v[180:183], v212 offset0:80 offset1:81
	s_waitcnt lgkmcnt(0)
	v_mul_f64 v[46:47], v[182:183], v[184:185]
	v_fma_f64 v[46:47], v[180:181], v[44:45], -v[46:47]
	v_mul_f64 v[180:181], v[180:181], v[184:185]
	s_delay_alu instid0(VALU_DEP_2) | instskip(NEXT) | instid1(VALU_DEP_2)
	v_add_f64 v[16:17], v[16:17], -v[46:47]
	v_fma_f64 v[180:181], v[182:183], v[44:45], v[180:181]
	s_delay_alu instid0(VALU_DEP_1) | instskip(SKIP_3) | instid1(VALU_DEP_1)
	v_add_f64 v[18:19], v[18:19], -v[180:181]
	ds_load_2addr_b64 v[180:183], v212 offset0:82 offset1:83
	s_waitcnt lgkmcnt(0)
	v_mul_f64 v[46:47], v[182:183], v[184:185]
	v_fma_f64 v[46:47], v[180:181], v[44:45], -v[46:47]
	v_mul_f64 v[180:181], v[180:181], v[184:185]
	s_delay_alu instid0(VALU_DEP_2) | instskip(NEXT) | instid1(VALU_DEP_2)
	v_add_f64 v[12:13], v[12:13], -v[46:47]
	v_fma_f64 v[180:181], v[182:183], v[44:45], v[180:181]
	s_delay_alu instid0(VALU_DEP_1) | instskip(SKIP_3) | instid1(VALU_DEP_1)
	v_add_f64 v[14:15], v[14:15], -v[180:181]
	ds_load_2addr_b64 v[180:183], v212 offset0:84 offset1:85
	s_waitcnt lgkmcnt(0)
	v_mul_f64 v[46:47], v[182:183], v[184:185]
	v_fma_f64 v[46:47], v[180:181], v[44:45], -v[46:47]
	v_mul_f64 v[180:181], v[180:181], v[184:185]
	s_delay_alu instid0(VALU_DEP_2) | instskip(NEXT) | instid1(VALU_DEP_2)
	v_add_f64 v[8:9], v[8:9], -v[46:47]
	v_fma_f64 v[180:181], v[182:183], v[44:45], v[180:181]
	s_delay_alu instid0(VALU_DEP_1) | instskip(SKIP_3) | instid1(VALU_DEP_1)
	v_add_f64 v[10:11], v[10:11], -v[180:181]
	ds_load_2addr_b64 v[180:183], v212 offset0:86 offset1:87
	s_waitcnt lgkmcnt(0)
	v_mul_f64 v[46:47], v[182:183], v[184:185]
	v_fma_f64 v[46:47], v[180:181], v[44:45], -v[46:47]
	v_mul_f64 v[180:181], v[180:181], v[184:185]
	s_delay_alu instid0(VALU_DEP_2) | instskip(NEXT) | instid1(VALU_DEP_2)
	v_add_f64 v[4:5], v[4:5], -v[46:47]
	v_fma_f64 v[180:181], v[182:183], v[44:45], v[180:181]
	s_delay_alu instid0(VALU_DEP_1) | instskip(SKIP_3) | instid1(VALU_DEP_1)
	v_add_f64 v[6:7], v[6:7], -v[180:181]
	ds_load_2addr_b64 v[180:183], v212 offset0:88 offset1:89
	s_waitcnt lgkmcnt(0)
	v_mul_f64 v[46:47], v[182:183], v[184:185]
	v_fma_f64 v[46:47], v[180:181], v[44:45], -v[46:47]
	v_mul_f64 v[180:181], v[180:181], v[184:185]
	s_delay_alu instid0(VALU_DEP_2) | instskip(NEXT) | instid1(VALU_DEP_2)
	v_add_f64 v[0:1], v[0:1], -v[46:47]
	v_fma_f64 v[180:181], v[182:183], v[44:45], v[180:181]
	v_dual_mov_b32 v46, v184 :: v_dual_mov_b32 v47, v185
	s_delay_alu instid0(VALU_DEP_2)
	v_add_f64 v[2:3], v[2:3], -v[180:181]
.LBB89_307:
	s_or_b32 exec_lo, exec_lo, s3
	s_delay_alu instid0(SALU_CYCLE_1)
	s_mov_b32 s4, exec_lo
	s_waitcnt_vscnt null, 0x0
	s_barrier
	buffer_gl0_inv
	v_cmpx_eq_u32_e32 34, v210
	s_cbranch_execz .LBB89_314
; %bb.308:
	ds_store_2addr_b64 v211, v[40:41], v[42:43] offset1:1
	ds_store_2addr_b64 v212, v[36:37], v[38:39] offset0:70 offset1:71
	ds_store_2addr_b64 v212, v[32:33], v[34:35] offset0:72 offset1:73
	;; [unrolled: 1-line block ×10, first 2 shown]
	ds_load_2addr_b64 v[180:183], v211 offset1:1
	s_waitcnt lgkmcnt(0)
	v_cmp_neq_f64_e32 vcc_lo, 0, v[180:181]
	v_cmp_neq_f64_e64 s3, 0, v[182:183]
	s_delay_alu instid0(VALU_DEP_1) | instskip(NEXT) | instid1(SALU_CYCLE_1)
	s_or_b32 s3, vcc_lo, s3
	s_and_b32 exec_lo, exec_lo, s3
	s_cbranch_execz .LBB89_314
; %bb.309:
	v_cmp_gt_f64_e32 vcc_lo, 0, v[180:181]
	v_xor_b32_e32 v184, 0x80000000, v181
	v_xor_b32_e32 v186, 0x80000000, v183
	s_mov_b32 s3, exec_lo
                                        ; implicit-def: $vgpr188_vgpr189
	s_delay_alu instid0(VALU_DEP_2) | instskip(SKIP_4) | instid1(VALU_DEP_1)
	v_cndmask_b32_e32 v185, v181, v184, vcc_lo
	v_cndmask_b32_e32 v184, v180, v180, vcc_lo
	v_cmp_gt_f64_e32 vcc_lo, 0, v[182:183]
	v_cndmask_b32_e32 v187, v183, v186, vcc_lo
	v_cndmask_b32_e32 v186, v182, v182, vcc_lo
	v_cmpx_ngt_f64_e32 v[184:185], v[186:187]
	s_xor_b32 s3, exec_lo, s3
                                        ; implicit-def: $vgpr184_vgpr185_vgpr186_vgpr187
	s_cbranch_execz .LBB89_311
; %bb.310:
	v_div_scale_f64 v[184:185], null, v[182:183], v[182:183], v[180:181]
	v_div_scale_f64 v[190:191], vcc_lo, v[180:181], v[182:183], v[180:181]
	s_delay_alu instid0(VALU_DEP_2) | instskip(SKIP_2) | instid1(VALU_DEP_1)
	v_rcp_f64_e32 v[186:187], v[184:185]
	s_waitcnt_depctr 0xfff
	v_fma_f64 v[188:189], -v[184:185], v[186:187], 1.0
	v_fma_f64 v[186:187], v[186:187], v[188:189], v[186:187]
	s_delay_alu instid0(VALU_DEP_1) | instskip(NEXT) | instid1(VALU_DEP_1)
	v_fma_f64 v[188:189], -v[184:185], v[186:187], 1.0
	v_fma_f64 v[186:187], v[186:187], v[188:189], v[186:187]
	s_delay_alu instid0(VALU_DEP_1) | instskip(NEXT) | instid1(VALU_DEP_1)
	v_mul_f64 v[188:189], v[190:191], v[186:187]
	v_fma_f64 v[184:185], -v[184:185], v[188:189], v[190:191]
	s_delay_alu instid0(VALU_DEP_1) | instskip(NEXT) | instid1(VALU_DEP_1)
	v_div_fmas_f64 v[184:185], v[184:185], v[186:187], v[188:189]
	v_div_fixup_f64 v[184:185], v[184:185], v[182:183], v[180:181]
	s_delay_alu instid0(VALU_DEP_1) | instskip(NEXT) | instid1(VALU_DEP_1)
	v_fma_f64 v[180:181], v[180:181], v[184:185], v[182:183]
	v_div_scale_f64 v[182:183], null, v[180:181], v[180:181], 1.0
	s_delay_alu instid0(VALU_DEP_1) | instskip(SKIP_2) | instid1(VALU_DEP_1)
	v_rcp_f64_e32 v[186:187], v[182:183]
	s_waitcnt_depctr 0xfff
	v_fma_f64 v[188:189], -v[182:183], v[186:187], 1.0
	v_fma_f64 v[186:187], v[186:187], v[188:189], v[186:187]
	s_delay_alu instid0(VALU_DEP_1) | instskip(NEXT) | instid1(VALU_DEP_1)
	v_fma_f64 v[188:189], -v[182:183], v[186:187], 1.0
	v_fma_f64 v[186:187], v[186:187], v[188:189], v[186:187]
	v_div_scale_f64 v[188:189], vcc_lo, 1.0, v[180:181], 1.0
	s_delay_alu instid0(VALU_DEP_1) | instskip(NEXT) | instid1(VALU_DEP_1)
	v_mul_f64 v[190:191], v[188:189], v[186:187]
	v_fma_f64 v[182:183], -v[182:183], v[190:191], v[188:189]
	s_delay_alu instid0(VALU_DEP_1) | instskip(NEXT) | instid1(VALU_DEP_1)
	v_div_fmas_f64 v[182:183], v[182:183], v[186:187], v[190:191]
	v_div_fixup_f64 v[186:187], v[182:183], v[180:181], 1.0
                                        ; implicit-def: $vgpr180_vgpr181
	s_delay_alu instid0(VALU_DEP_1)
	v_mul_f64 v[188:189], v[184:185], v[186:187]
	v_xor_b32_e32 v187, 0x80000000, v187
.LBB89_311:
	s_and_not1_saveexec_b32 s3, s3
	s_cbranch_execz .LBB89_313
; %bb.312:
	v_div_scale_f64 v[184:185], null, v[180:181], v[180:181], v[182:183]
	v_div_scale_f64 v[190:191], vcc_lo, v[182:183], v[180:181], v[182:183]
	s_delay_alu instid0(VALU_DEP_2) | instskip(SKIP_2) | instid1(VALU_DEP_1)
	v_rcp_f64_e32 v[186:187], v[184:185]
	s_waitcnt_depctr 0xfff
	v_fma_f64 v[188:189], -v[184:185], v[186:187], 1.0
	v_fma_f64 v[186:187], v[186:187], v[188:189], v[186:187]
	s_delay_alu instid0(VALU_DEP_1) | instskip(NEXT) | instid1(VALU_DEP_1)
	v_fma_f64 v[188:189], -v[184:185], v[186:187], 1.0
	v_fma_f64 v[186:187], v[186:187], v[188:189], v[186:187]
	s_delay_alu instid0(VALU_DEP_1) | instskip(NEXT) | instid1(VALU_DEP_1)
	v_mul_f64 v[188:189], v[190:191], v[186:187]
	v_fma_f64 v[184:185], -v[184:185], v[188:189], v[190:191]
	s_delay_alu instid0(VALU_DEP_1) | instskip(NEXT) | instid1(VALU_DEP_1)
	v_div_fmas_f64 v[184:185], v[184:185], v[186:187], v[188:189]
	v_div_fixup_f64 v[184:185], v[184:185], v[180:181], v[182:183]
	s_delay_alu instid0(VALU_DEP_1) | instskip(NEXT) | instid1(VALU_DEP_1)
	v_fma_f64 v[180:181], v[182:183], v[184:185], v[180:181]
	v_div_scale_f64 v[182:183], null, v[180:181], v[180:181], 1.0
	s_delay_alu instid0(VALU_DEP_1) | instskip(SKIP_2) | instid1(VALU_DEP_1)
	v_rcp_f64_e32 v[186:187], v[182:183]
	s_waitcnt_depctr 0xfff
	v_fma_f64 v[188:189], -v[182:183], v[186:187], 1.0
	v_fma_f64 v[186:187], v[186:187], v[188:189], v[186:187]
	s_delay_alu instid0(VALU_DEP_1) | instskip(NEXT) | instid1(VALU_DEP_1)
	v_fma_f64 v[188:189], -v[182:183], v[186:187], 1.0
	v_fma_f64 v[186:187], v[186:187], v[188:189], v[186:187]
	v_div_scale_f64 v[188:189], vcc_lo, 1.0, v[180:181], 1.0
	s_delay_alu instid0(VALU_DEP_1) | instskip(NEXT) | instid1(VALU_DEP_1)
	v_mul_f64 v[190:191], v[188:189], v[186:187]
	v_fma_f64 v[182:183], -v[182:183], v[190:191], v[188:189]
	s_delay_alu instid0(VALU_DEP_1) | instskip(NEXT) | instid1(VALU_DEP_1)
	v_div_fmas_f64 v[182:183], v[182:183], v[186:187], v[190:191]
	v_div_fixup_f64 v[188:189], v[182:183], v[180:181], 1.0
	s_delay_alu instid0(VALU_DEP_1)
	v_mul_f64 v[186:187], v[184:185], -v[188:189]
.LBB89_313:
	s_or_b32 exec_lo, exec_lo, s3
	ds_store_2addr_b64 v211, v[188:189], v[186:187] offset1:1
.LBB89_314:
	s_or_b32 exec_lo, exec_lo, s4
	s_waitcnt lgkmcnt(0)
	s_barrier
	buffer_gl0_inv
	ds_load_2addr_b64 v[180:183], v211 offset1:1
	s_mov_b32 s3, exec_lo
	s_waitcnt lgkmcnt(0)
	scratch_store_b128 off, v[180:183], off offset:800 ; 16-byte Folded Spill
	v_cmpx_lt_u32_e32 34, v210
	s_cbranch_execz .LBB89_316
; %bb.315:
	scratch_load_b128 v[186:189], off, off offset:800 ; 16-byte Folded Reload
	s_waitcnt vmcnt(0)
	v_mul_f64 v[180:181], v[186:187], v[42:43]
	v_mul_f64 v[42:43], v[188:189], v[42:43]
	s_delay_alu instid0(VALU_DEP_2) | instskip(SKIP_4) | instid1(VALU_DEP_1)
	v_fma_f64 v[184:185], v[188:189], v[40:41], v[180:181]
	ds_load_2addr_b64 v[180:183], v212 offset0:70 offset1:71
	v_fma_f64 v[40:41], v[186:187], v[40:41], -v[42:43]
	s_waitcnt lgkmcnt(0)
	v_mul_f64 v[42:43], v[182:183], v[184:185]
	v_fma_f64 v[42:43], v[180:181], v[40:41], -v[42:43]
	v_mul_f64 v[180:181], v[180:181], v[184:185]
	s_delay_alu instid0(VALU_DEP_2) | instskip(NEXT) | instid1(VALU_DEP_2)
	v_add_f64 v[36:37], v[36:37], -v[42:43]
	v_fma_f64 v[180:181], v[182:183], v[40:41], v[180:181]
	s_delay_alu instid0(VALU_DEP_1) | instskip(SKIP_3) | instid1(VALU_DEP_1)
	v_add_f64 v[38:39], v[38:39], -v[180:181]
	ds_load_2addr_b64 v[180:183], v212 offset0:72 offset1:73
	s_waitcnt lgkmcnt(0)
	v_mul_f64 v[42:43], v[182:183], v[184:185]
	v_fma_f64 v[42:43], v[180:181], v[40:41], -v[42:43]
	v_mul_f64 v[180:181], v[180:181], v[184:185]
	s_delay_alu instid0(VALU_DEP_2) | instskip(NEXT) | instid1(VALU_DEP_2)
	v_add_f64 v[32:33], v[32:33], -v[42:43]
	v_fma_f64 v[180:181], v[182:183], v[40:41], v[180:181]
	s_delay_alu instid0(VALU_DEP_1) | instskip(SKIP_3) | instid1(VALU_DEP_1)
	v_add_f64 v[34:35], v[34:35], -v[180:181]
	ds_load_2addr_b64 v[180:183], v212 offset0:74 offset1:75
	;; [unrolled: 10-line block ×9, first 2 shown]
	s_waitcnt lgkmcnt(0)
	v_mul_f64 v[42:43], v[182:183], v[184:185]
	v_fma_f64 v[42:43], v[180:181], v[40:41], -v[42:43]
	v_mul_f64 v[180:181], v[180:181], v[184:185]
	s_delay_alu instid0(VALU_DEP_2) | instskip(NEXT) | instid1(VALU_DEP_2)
	v_add_f64 v[0:1], v[0:1], -v[42:43]
	v_fma_f64 v[180:181], v[182:183], v[40:41], v[180:181]
	v_dual_mov_b32 v42, v184 :: v_dual_mov_b32 v43, v185
	s_delay_alu instid0(VALU_DEP_2)
	v_add_f64 v[2:3], v[2:3], -v[180:181]
.LBB89_316:
	s_or_b32 exec_lo, exec_lo, s3
	s_delay_alu instid0(SALU_CYCLE_1)
	s_mov_b32 s4, exec_lo
	s_waitcnt_vscnt null, 0x0
	s_barrier
	buffer_gl0_inv
	v_cmpx_eq_u32_e32 35, v210
	s_cbranch_execz .LBB89_323
; %bb.317:
	ds_store_2addr_b64 v211, v[36:37], v[38:39] offset1:1
	ds_store_2addr_b64 v212, v[32:33], v[34:35] offset0:72 offset1:73
	ds_store_2addr_b64 v212, v[28:29], v[30:31] offset0:74 offset1:75
	;; [unrolled: 1-line block ×9, first 2 shown]
	ds_load_2addr_b64 v[180:183], v211 offset1:1
	s_waitcnt lgkmcnt(0)
	v_cmp_neq_f64_e32 vcc_lo, 0, v[180:181]
	v_cmp_neq_f64_e64 s3, 0, v[182:183]
	s_delay_alu instid0(VALU_DEP_1) | instskip(NEXT) | instid1(SALU_CYCLE_1)
	s_or_b32 s3, vcc_lo, s3
	s_and_b32 exec_lo, exec_lo, s3
	s_cbranch_execz .LBB89_323
; %bb.318:
	v_cmp_gt_f64_e32 vcc_lo, 0, v[180:181]
	v_xor_b32_e32 v184, 0x80000000, v181
	v_xor_b32_e32 v186, 0x80000000, v183
	s_mov_b32 s3, exec_lo
                                        ; implicit-def: $vgpr188_vgpr189
	s_delay_alu instid0(VALU_DEP_2) | instskip(SKIP_4) | instid1(VALU_DEP_1)
	v_cndmask_b32_e32 v185, v181, v184, vcc_lo
	v_cndmask_b32_e32 v184, v180, v180, vcc_lo
	v_cmp_gt_f64_e32 vcc_lo, 0, v[182:183]
	v_cndmask_b32_e32 v187, v183, v186, vcc_lo
	v_cndmask_b32_e32 v186, v182, v182, vcc_lo
	v_cmpx_ngt_f64_e32 v[184:185], v[186:187]
	s_xor_b32 s3, exec_lo, s3
                                        ; implicit-def: $vgpr184_vgpr185_vgpr186_vgpr187
	s_cbranch_execz .LBB89_320
; %bb.319:
	v_div_scale_f64 v[184:185], null, v[182:183], v[182:183], v[180:181]
	v_div_scale_f64 v[190:191], vcc_lo, v[180:181], v[182:183], v[180:181]
	s_delay_alu instid0(VALU_DEP_2) | instskip(SKIP_2) | instid1(VALU_DEP_1)
	v_rcp_f64_e32 v[186:187], v[184:185]
	s_waitcnt_depctr 0xfff
	v_fma_f64 v[188:189], -v[184:185], v[186:187], 1.0
	v_fma_f64 v[186:187], v[186:187], v[188:189], v[186:187]
	s_delay_alu instid0(VALU_DEP_1) | instskip(NEXT) | instid1(VALU_DEP_1)
	v_fma_f64 v[188:189], -v[184:185], v[186:187], 1.0
	v_fma_f64 v[186:187], v[186:187], v[188:189], v[186:187]
	s_delay_alu instid0(VALU_DEP_1) | instskip(NEXT) | instid1(VALU_DEP_1)
	v_mul_f64 v[188:189], v[190:191], v[186:187]
	v_fma_f64 v[184:185], -v[184:185], v[188:189], v[190:191]
	s_delay_alu instid0(VALU_DEP_1) | instskip(NEXT) | instid1(VALU_DEP_1)
	v_div_fmas_f64 v[184:185], v[184:185], v[186:187], v[188:189]
	v_div_fixup_f64 v[184:185], v[184:185], v[182:183], v[180:181]
	s_delay_alu instid0(VALU_DEP_1) | instskip(NEXT) | instid1(VALU_DEP_1)
	v_fma_f64 v[180:181], v[180:181], v[184:185], v[182:183]
	v_div_scale_f64 v[182:183], null, v[180:181], v[180:181], 1.0
	s_delay_alu instid0(VALU_DEP_1) | instskip(SKIP_2) | instid1(VALU_DEP_1)
	v_rcp_f64_e32 v[186:187], v[182:183]
	s_waitcnt_depctr 0xfff
	v_fma_f64 v[188:189], -v[182:183], v[186:187], 1.0
	v_fma_f64 v[186:187], v[186:187], v[188:189], v[186:187]
	s_delay_alu instid0(VALU_DEP_1) | instskip(NEXT) | instid1(VALU_DEP_1)
	v_fma_f64 v[188:189], -v[182:183], v[186:187], 1.0
	v_fma_f64 v[186:187], v[186:187], v[188:189], v[186:187]
	v_div_scale_f64 v[188:189], vcc_lo, 1.0, v[180:181], 1.0
	s_delay_alu instid0(VALU_DEP_1) | instskip(NEXT) | instid1(VALU_DEP_1)
	v_mul_f64 v[190:191], v[188:189], v[186:187]
	v_fma_f64 v[182:183], -v[182:183], v[190:191], v[188:189]
	s_delay_alu instid0(VALU_DEP_1) | instskip(NEXT) | instid1(VALU_DEP_1)
	v_div_fmas_f64 v[182:183], v[182:183], v[186:187], v[190:191]
	v_div_fixup_f64 v[186:187], v[182:183], v[180:181], 1.0
                                        ; implicit-def: $vgpr180_vgpr181
	s_delay_alu instid0(VALU_DEP_1)
	v_mul_f64 v[188:189], v[184:185], v[186:187]
	v_xor_b32_e32 v187, 0x80000000, v187
.LBB89_320:
	s_and_not1_saveexec_b32 s3, s3
	s_cbranch_execz .LBB89_322
; %bb.321:
	v_div_scale_f64 v[184:185], null, v[180:181], v[180:181], v[182:183]
	v_div_scale_f64 v[190:191], vcc_lo, v[182:183], v[180:181], v[182:183]
	s_delay_alu instid0(VALU_DEP_2) | instskip(SKIP_2) | instid1(VALU_DEP_1)
	v_rcp_f64_e32 v[186:187], v[184:185]
	s_waitcnt_depctr 0xfff
	v_fma_f64 v[188:189], -v[184:185], v[186:187], 1.0
	v_fma_f64 v[186:187], v[186:187], v[188:189], v[186:187]
	s_delay_alu instid0(VALU_DEP_1) | instskip(NEXT) | instid1(VALU_DEP_1)
	v_fma_f64 v[188:189], -v[184:185], v[186:187], 1.0
	v_fma_f64 v[186:187], v[186:187], v[188:189], v[186:187]
	s_delay_alu instid0(VALU_DEP_1) | instskip(NEXT) | instid1(VALU_DEP_1)
	v_mul_f64 v[188:189], v[190:191], v[186:187]
	v_fma_f64 v[184:185], -v[184:185], v[188:189], v[190:191]
	s_delay_alu instid0(VALU_DEP_1) | instskip(NEXT) | instid1(VALU_DEP_1)
	v_div_fmas_f64 v[184:185], v[184:185], v[186:187], v[188:189]
	v_div_fixup_f64 v[184:185], v[184:185], v[180:181], v[182:183]
	s_delay_alu instid0(VALU_DEP_1) | instskip(NEXT) | instid1(VALU_DEP_1)
	v_fma_f64 v[180:181], v[182:183], v[184:185], v[180:181]
	v_div_scale_f64 v[182:183], null, v[180:181], v[180:181], 1.0
	s_delay_alu instid0(VALU_DEP_1) | instskip(SKIP_2) | instid1(VALU_DEP_1)
	v_rcp_f64_e32 v[186:187], v[182:183]
	s_waitcnt_depctr 0xfff
	v_fma_f64 v[188:189], -v[182:183], v[186:187], 1.0
	v_fma_f64 v[186:187], v[186:187], v[188:189], v[186:187]
	s_delay_alu instid0(VALU_DEP_1) | instskip(NEXT) | instid1(VALU_DEP_1)
	v_fma_f64 v[188:189], -v[182:183], v[186:187], 1.0
	v_fma_f64 v[186:187], v[186:187], v[188:189], v[186:187]
	v_div_scale_f64 v[188:189], vcc_lo, 1.0, v[180:181], 1.0
	s_delay_alu instid0(VALU_DEP_1) | instskip(NEXT) | instid1(VALU_DEP_1)
	v_mul_f64 v[190:191], v[188:189], v[186:187]
	v_fma_f64 v[182:183], -v[182:183], v[190:191], v[188:189]
	s_delay_alu instid0(VALU_DEP_1) | instskip(NEXT) | instid1(VALU_DEP_1)
	v_div_fmas_f64 v[182:183], v[182:183], v[186:187], v[190:191]
	v_div_fixup_f64 v[188:189], v[182:183], v[180:181], 1.0
	s_delay_alu instid0(VALU_DEP_1)
	v_mul_f64 v[186:187], v[184:185], -v[188:189]
.LBB89_322:
	s_or_b32 exec_lo, exec_lo, s3
	ds_store_2addr_b64 v211, v[188:189], v[186:187] offset1:1
.LBB89_323:
	s_or_b32 exec_lo, exec_lo, s4
	s_waitcnt lgkmcnt(0)
	s_barrier
	buffer_gl0_inv
	ds_load_2addr_b64 v[180:183], v211 offset1:1
	s_mov_b32 s3, exec_lo
	s_waitcnt lgkmcnt(0)
	scratch_store_b128 off, v[180:183], off offset:816 ; 16-byte Folded Spill
	v_cmpx_lt_u32_e32 35, v210
	s_cbranch_execz .LBB89_325
; %bb.324:
	scratch_load_b128 v[186:189], off, off offset:816 ; 16-byte Folded Reload
	s_waitcnt vmcnt(0)
	v_mul_f64 v[180:181], v[186:187], v[38:39]
	v_mul_f64 v[38:39], v[188:189], v[38:39]
	s_delay_alu instid0(VALU_DEP_2) | instskip(SKIP_4) | instid1(VALU_DEP_1)
	v_fma_f64 v[184:185], v[188:189], v[36:37], v[180:181]
	ds_load_2addr_b64 v[180:183], v212 offset0:72 offset1:73
	v_fma_f64 v[36:37], v[186:187], v[36:37], -v[38:39]
	s_waitcnt lgkmcnt(0)
	v_mul_f64 v[38:39], v[182:183], v[184:185]
	v_fma_f64 v[38:39], v[180:181], v[36:37], -v[38:39]
	v_mul_f64 v[180:181], v[180:181], v[184:185]
	s_delay_alu instid0(VALU_DEP_2) | instskip(NEXT) | instid1(VALU_DEP_2)
	v_add_f64 v[32:33], v[32:33], -v[38:39]
	v_fma_f64 v[180:181], v[182:183], v[36:37], v[180:181]
	s_delay_alu instid0(VALU_DEP_1) | instskip(SKIP_3) | instid1(VALU_DEP_1)
	v_add_f64 v[34:35], v[34:35], -v[180:181]
	ds_load_2addr_b64 v[180:183], v212 offset0:74 offset1:75
	s_waitcnt lgkmcnt(0)
	v_mul_f64 v[38:39], v[182:183], v[184:185]
	v_fma_f64 v[38:39], v[180:181], v[36:37], -v[38:39]
	v_mul_f64 v[180:181], v[180:181], v[184:185]
	s_delay_alu instid0(VALU_DEP_2) | instskip(NEXT) | instid1(VALU_DEP_2)
	v_add_f64 v[28:29], v[28:29], -v[38:39]
	v_fma_f64 v[180:181], v[182:183], v[36:37], v[180:181]
	s_delay_alu instid0(VALU_DEP_1) | instskip(SKIP_3) | instid1(VALU_DEP_1)
	v_add_f64 v[30:31], v[30:31], -v[180:181]
	ds_load_2addr_b64 v[180:183], v212 offset0:76 offset1:77
	;; [unrolled: 10-line block ×8, first 2 shown]
	s_waitcnt lgkmcnt(0)
	v_mul_f64 v[38:39], v[182:183], v[184:185]
	v_fma_f64 v[38:39], v[180:181], v[36:37], -v[38:39]
	v_mul_f64 v[180:181], v[180:181], v[184:185]
	s_delay_alu instid0(VALU_DEP_2) | instskip(NEXT) | instid1(VALU_DEP_2)
	v_add_f64 v[0:1], v[0:1], -v[38:39]
	v_fma_f64 v[180:181], v[182:183], v[36:37], v[180:181]
	v_dual_mov_b32 v38, v184 :: v_dual_mov_b32 v39, v185
	s_delay_alu instid0(VALU_DEP_2)
	v_add_f64 v[2:3], v[2:3], -v[180:181]
.LBB89_325:
	s_or_b32 exec_lo, exec_lo, s3
	s_delay_alu instid0(SALU_CYCLE_1)
	s_mov_b32 s4, exec_lo
	s_waitcnt_vscnt null, 0x0
	s_barrier
	buffer_gl0_inv
	v_cmpx_eq_u32_e32 36, v210
	s_cbranch_execz .LBB89_332
; %bb.326:
	ds_store_2addr_b64 v211, v[32:33], v[34:35] offset1:1
	ds_store_2addr_b64 v212, v[28:29], v[30:31] offset0:74 offset1:75
	ds_store_2addr_b64 v212, v[24:25], v[26:27] offset0:76 offset1:77
	;; [unrolled: 1-line block ×8, first 2 shown]
	ds_load_2addr_b64 v[180:183], v211 offset1:1
	s_waitcnt lgkmcnt(0)
	v_cmp_neq_f64_e32 vcc_lo, 0, v[180:181]
	v_cmp_neq_f64_e64 s3, 0, v[182:183]
	s_delay_alu instid0(VALU_DEP_1) | instskip(NEXT) | instid1(SALU_CYCLE_1)
	s_or_b32 s3, vcc_lo, s3
	s_and_b32 exec_lo, exec_lo, s3
	s_cbranch_execz .LBB89_332
; %bb.327:
	v_cmp_gt_f64_e32 vcc_lo, 0, v[180:181]
	v_xor_b32_e32 v184, 0x80000000, v181
	v_xor_b32_e32 v186, 0x80000000, v183
	s_mov_b32 s3, exec_lo
                                        ; implicit-def: $vgpr188_vgpr189
	s_delay_alu instid0(VALU_DEP_2) | instskip(SKIP_4) | instid1(VALU_DEP_1)
	v_cndmask_b32_e32 v185, v181, v184, vcc_lo
	v_cndmask_b32_e32 v184, v180, v180, vcc_lo
	v_cmp_gt_f64_e32 vcc_lo, 0, v[182:183]
	v_cndmask_b32_e32 v187, v183, v186, vcc_lo
	v_cndmask_b32_e32 v186, v182, v182, vcc_lo
	v_cmpx_ngt_f64_e32 v[184:185], v[186:187]
	s_xor_b32 s3, exec_lo, s3
                                        ; implicit-def: $vgpr184_vgpr185_vgpr186_vgpr187
	s_cbranch_execz .LBB89_329
; %bb.328:
	v_div_scale_f64 v[184:185], null, v[182:183], v[182:183], v[180:181]
	v_div_scale_f64 v[190:191], vcc_lo, v[180:181], v[182:183], v[180:181]
	s_delay_alu instid0(VALU_DEP_2) | instskip(SKIP_2) | instid1(VALU_DEP_1)
	v_rcp_f64_e32 v[186:187], v[184:185]
	s_waitcnt_depctr 0xfff
	v_fma_f64 v[188:189], -v[184:185], v[186:187], 1.0
	v_fma_f64 v[186:187], v[186:187], v[188:189], v[186:187]
	s_delay_alu instid0(VALU_DEP_1) | instskip(NEXT) | instid1(VALU_DEP_1)
	v_fma_f64 v[188:189], -v[184:185], v[186:187], 1.0
	v_fma_f64 v[186:187], v[186:187], v[188:189], v[186:187]
	s_delay_alu instid0(VALU_DEP_1) | instskip(NEXT) | instid1(VALU_DEP_1)
	v_mul_f64 v[188:189], v[190:191], v[186:187]
	v_fma_f64 v[184:185], -v[184:185], v[188:189], v[190:191]
	s_delay_alu instid0(VALU_DEP_1) | instskip(NEXT) | instid1(VALU_DEP_1)
	v_div_fmas_f64 v[184:185], v[184:185], v[186:187], v[188:189]
	v_div_fixup_f64 v[184:185], v[184:185], v[182:183], v[180:181]
	s_delay_alu instid0(VALU_DEP_1) | instskip(NEXT) | instid1(VALU_DEP_1)
	v_fma_f64 v[180:181], v[180:181], v[184:185], v[182:183]
	v_div_scale_f64 v[182:183], null, v[180:181], v[180:181], 1.0
	s_delay_alu instid0(VALU_DEP_1) | instskip(SKIP_2) | instid1(VALU_DEP_1)
	v_rcp_f64_e32 v[186:187], v[182:183]
	s_waitcnt_depctr 0xfff
	v_fma_f64 v[188:189], -v[182:183], v[186:187], 1.0
	v_fma_f64 v[186:187], v[186:187], v[188:189], v[186:187]
	s_delay_alu instid0(VALU_DEP_1) | instskip(NEXT) | instid1(VALU_DEP_1)
	v_fma_f64 v[188:189], -v[182:183], v[186:187], 1.0
	v_fma_f64 v[186:187], v[186:187], v[188:189], v[186:187]
	v_div_scale_f64 v[188:189], vcc_lo, 1.0, v[180:181], 1.0
	s_delay_alu instid0(VALU_DEP_1) | instskip(NEXT) | instid1(VALU_DEP_1)
	v_mul_f64 v[190:191], v[188:189], v[186:187]
	v_fma_f64 v[182:183], -v[182:183], v[190:191], v[188:189]
	s_delay_alu instid0(VALU_DEP_1) | instskip(NEXT) | instid1(VALU_DEP_1)
	v_div_fmas_f64 v[182:183], v[182:183], v[186:187], v[190:191]
	v_div_fixup_f64 v[186:187], v[182:183], v[180:181], 1.0
                                        ; implicit-def: $vgpr180_vgpr181
	s_delay_alu instid0(VALU_DEP_1)
	v_mul_f64 v[188:189], v[184:185], v[186:187]
	v_xor_b32_e32 v187, 0x80000000, v187
.LBB89_329:
	s_and_not1_saveexec_b32 s3, s3
	s_cbranch_execz .LBB89_331
; %bb.330:
	v_div_scale_f64 v[184:185], null, v[180:181], v[180:181], v[182:183]
	v_div_scale_f64 v[190:191], vcc_lo, v[182:183], v[180:181], v[182:183]
	s_delay_alu instid0(VALU_DEP_2) | instskip(SKIP_2) | instid1(VALU_DEP_1)
	v_rcp_f64_e32 v[186:187], v[184:185]
	s_waitcnt_depctr 0xfff
	v_fma_f64 v[188:189], -v[184:185], v[186:187], 1.0
	v_fma_f64 v[186:187], v[186:187], v[188:189], v[186:187]
	s_delay_alu instid0(VALU_DEP_1) | instskip(NEXT) | instid1(VALU_DEP_1)
	v_fma_f64 v[188:189], -v[184:185], v[186:187], 1.0
	v_fma_f64 v[186:187], v[186:187], v[188:189], v[186:187]
	s_delay_alu instid0(VALU_DEP_1) | instskip(NEXT) | instid1(VALU_DEP_1)
	v_mul_f64 v[188:189], v[190:191], v[186:187]
	v_fma_f64 v[184:185], -v[184:185], v[188:189], v[190:191]
	s_delay_alu instid0(VALU_DEP_1) | instskip(NEXT) | instid1(VALU_DEP_1)
	v_div_fmas_f64 v[184:185], v[184:185], v[186:187], v[188:189]
	v_div_fixup_f64 v[184:185], v[184:185], v[180:181], v[182:183]
	s_delay_alu instid0(VALU_DEP_1) | instskip(NEXT) | instid1(VALU_DEP_1)
	v_fma_f64 v[180:181], v[182:183], v[184:185], v[180:181]
	v_div_scale_f64 v[182:183], null, v[180:181], v[180:181], 1.0
	s_delay_alu instid0(VALU_DEP_1) | instskip(SKIP_2) | instid1(VALU_DEP_1)
	v_rcp_f64_e32 v[186:187], v[182:183]
	s_waitcnt_depctr 0xfff
	v_fma_f64 v[188:189], -v[182:183], v[186:187], 1.0
	v_fma_f64 v[186:187], v[186:187], v[188:189], v[186:187]
	s_delay_alu instid0(VALU_DEP_1) | instskip(NEXT) | instid1(VALU_DEP_1)
	v_fma_f64 v[188:189], -v[182:183], v[186:187], 1.0
	v_fma_f64 v[186:187], v[186:187], v[188:189], v[186:187]
	v_div_scale_f64 v[188:189], vcc_lo, 1.0, v[180:181], 1.0
	s_delay_alu instid0(VALU_DEP_1) | instskip(NEXT) | instid1(VALU_DEP_1)
	v_mul_f64 v[190:191], v[188:189], v[186:187]
	v_fma_f64 v[182:183], -v[182:183], v[190:191], v[188:189]
	s_delay_alu instid0(VALU_DEP_1) | instskip(NEXT) | instid1(VALU_DEP_1)
	v_div_fmas_f64 v[182:183], v[182:183], v[186:187], v[190:191]
	v_div_fixup_f64 v[188:189], v[182:183], v[180:181], 1.0
	s_delay_alu instid0(VALU_DEP_1)
	v_mul_f64 v[186:187], v[184:185], -v[188:189]
.LBB89_331:
	s_or_b32 exec_lo, exec_lo, s3
	ds_store_2addr_b64 v211, v[188:189], v[186:187] offset1:1
.LBB89_332:
	s_or_b32 exec_lo, exec_lo, s4
	s_waitcnt lgkmcnt(0)
	s_barrier
	buffer_gl0_inv
	ds_load_2addr_b64 v[248:251], v211 offset1:1
	s_mov_b32 s3, exec_lo
	v_cmpx_lt_u32_e32 36, v210
	s_cbranch_execz .LBB89_334
; %bb.333:
	s_waitcnt lgkmcnt(0)
	v_mul_f64 v[180:181], v[248:249], v[34:35]
	v_mul_f64 v[34:35], v[250:251], v[34:35]
	s_delay_alu instid0(VALU_DEP_2) | instskip(SKIP_4) | instid1(VALU_DEP_1)
	v_fma_f64 v[184:185], v[250:251], v[32:33], v[180:181]
	ds_load_2addr_b64 v[180:183], v212 offset0:74 offset1:75
	v_fma_f64 v[32:33], v[248:249], v[32:33], -v[34:35]
	s_waitcnt lgkmcnt(0)
	v_mul_f64 v[34:35], v[182:183], v[184:185]
	v_fma_f64 v[34:35], v[180:181], v[32:33], -v[34:35]
	v_mul_f64 v[180:181], v[180:181], v[184:185]
	s_delay_alu instid0(VALU_DEP_2) | instskip(NEXT) | instid1(VALU_DEP_2)
	v_add_f64 v[28:29], v[28:29], -v[34:35]
	v_fma_f64 v[180:181], v[182:183], v[32:33], v[180:181]
	s_delay_alu instid0(VALU_DEP_1) | instskip(SKIP_3) | instid1(VALU_DEP_1)
	v_add_f64 v[30:31], v[30:31], -v[180:181]
	ds_load_2addr_b64 v[180:183], v212 offset0:76 offset1:77
	s_waitcnt lgkmcnt(0)
	v_mul_f64 v[34:35], v[182:183], v[184:185]
	v_fma_f64 v[34:35], v[180:181], v[32:33], -v[34:35]
	v_mul_f64 v[180:181], v[180:181], v[184:185]
	s_delay_alu instid0(VALU_DEP_2) | instskip(NEXT) | instid1(VALU_DEP_2)
	v_add_f64 v[24:25], v[24:25], -v[34:35]
	v_fma_f64 v[180:181], v[182:183], v[32:33], v[180:181]
	s_delay_alu instid0(VALU_DEP_1) | instskip(SKIP_3) | instid1(VALU_DEP_1)
	v_add_f64 v[26:27], v[26:27], -v[180:181]
	ds_load_2addr_b64 v[180:183], v212 offset0:78 offset1:79
	;; [unrolled: 10-line block ×7, first 2 shown]
	s_waitcnt lgkmcnt(0)
	v_mul_f64 v[34:35], v[182:183], v[184:185]
	v_fma_f64 v[34:35], v[180:181], v[32:33], -v[34:35]
	v_mul_f64 v[180:181], v[180:181], v[184:185]
	s_delay_alu instid0(VALU_DEP_2) | instskip(NEXT) | instid1(VALU_DEP_2)
	v_add_f64 v[0:1], v[0:1], -v[34:35]
	v_fma_f64 v[180:181], v[182:183], v[32:33], v[180:181]
	v_dual_mov_b32 v34, v184 :: v_dual_mov_b32 v35, v185
	s_delay_alu instid0(VALU_DEP_2)
	v_add_f64 v[2:3], v[2:3], -v[180:181]
.LBB89_334:
	s_or_b32 exec_lo, exec_lo, s3
	s_delay_alu instid0(SALU_CYCLE_1)
	s_mov_b32 s4, exec_lo
	s_waitcnt lgkmcnt(0)
	s_barrier
	buffer_gl0_inv
	v_cmpx_eq_u32_e32 37, v210
	s_cbranch_execz .LBB89_341
; %bb.335:
	ds_store_2addr_b64 v211, v[28:29], v[30:31] offset1:1
	ds_store_2addr_b64 v212, v[24:25], v[26:27] offset0:76 offset1:77
	ds_store_2addr_b64 v212, v[20:21], v[22:23] offset0:78 offset1:79
	;; [unrolled: 1-line block ×7, first 2 shown]
	ds_load_2addr_b64 v[180:183], v211 offset1:1
	s_waitcnt lgkmcnt(0)
	v_cmp_neq_f64_e32 vcc_lo, 0, v[180:181]
	v_cmp_neq_f64_e64 s3, 0, v[182:183]
	s_delay_alu instid0(VALU_DEP_1) | instskip(NEXT) | instid1(SALU_CYCLE_1)
	s_or_b32 s3, vcc_lo, s3
	s_and_b32 exec_lo, exec_lo, s3
	s_cbranch_execz .LBB89_341
; %bb.336:
	v_cmp_gt_f64_e32 vcc_lo, 0, v[180:181]
	v_xor_b32_e32 v184, 0x80000000, v181
	v_xor_b32_e32 v186, 0x80000000, v183
	s_mov_b32 s3, exec_lo
                                        ; implicit-def: $vgpr188_vgpr189
	s_delay_alu instid0(VALU_DEP_2) | instskip(SKIP_4) | instid1(VALU_DEP_1)
	v_cndmask_b32_e32 v185, v181, v184, vcc_lo
	v_cndmask_b32_e32 v184, v180, v180, vcc_lo
	v_cmp_gt_f64_e32 vcc_lo, 0, v[182:183]
	v_cndmask_b32_e32 v187, v183, v186, vcc_lo
	v_cndmask_b32_e32 v186, v182, v182, vcc_lo
	v_cmpx_ngt_f64_e32 v[184:185], v[186:187]
	s_xor_b32 s3, exec_lo, s3
                                        ; implicit-def: $vgpr184_vgpr185_vgpr186_vgpr187
	s_cbranch_execz .LBB89_338
; %bb.337:
	v_div_scale_f64 v[184:185], null, v[182:183], v[182:183], v[180:181]
	v_div_scale_f64 v[190:191], vcc_lo, v[180:181], v[182:183], v[180:181]
	s_delay_alu instid0(VALU_DEP_2) | instskip(SKIP_2) | instid1(VALU_DEP_1)
	v_rcp_f64_e32 v[186:187], v[184:185]
	s_waitcnt_depctr 0xfff
	v_fma_f64 v[188:189], -v[184:185], v[186:187], 1.0
	v_fma_f64 v[186:187], v[186:187], v[188:189], v[186:187]
	s_delay_alu instid0(VALU_DEP_1) | instskip(NEXT) | instid1(VALU_DEP_1)
	v_fma_f64 v[188:189], -v[184:185], v[186:187], 1.0
	v_fma_f64 v[186:187], v[186:187], v[188:189], v[186:187]
	s_delay_alu instid0(VALU_DEP_1) | instskip(NEXT) | instid1(VALU_DEP_1)
	v_mul_f64 v[188:189], v[190:191], v[186:187]
	v_fma_f64 v[184:185], -v[184:185], v[188:189], v[190:191]
	s_delay_alu instid0(VALU_DEP_1) | instskip(NEXT) | instid1(VALU_DEP_1)
	v_div_fmas_f64 v[184:185], v[184:185], v[186:187], v[188:189]
	v_div_fixup_f64 v[184:185], v[184:185], v[182:183], v[180:181]
	s_delay_alu instid0(VALU_DEP_1) | instskip(NEXT) | instid1(VALU_DEP_1)
	v_fma_f64 v[180:181], v[180:181], v[184:185], v[182:183]
	v_div_scale_f64 v[182:183], null, v[180:181], v[180:181], 1.0
	s_delay_alu instid0(VALU_DEP_1) | instskip(SKIP_2) | instid1(VALU_DEP_1)
	v_rcp_f64_e32 v[186:187], v[182:183]
	s_waitcnt_depctr 0xfff
	v_fma_f64 v[188:189], -v[182:183], v[186:187], 1.0
	v_fma_f64 v[186:187], v[186:187], v[188:189], v[186:187]
	s_delay_alu instid0(VALU_DEP_1) | instskip(NEXT) | instid1(VALU_DEP_1)
	v_fma_f64 v[188:189], -v[182:183], v[186:187], 1.0
	v_fma_f64 v[186:187], v[186:187], v[188:189], v[186:187]
	v_div_scale_f64 v[188:189], vcc_lo, 1.0, v[180:181], 1.0
	s_delay_alu instid0(VALU_DEP_1) | instskip(NEXT) | instid1(VALU_DEP_1)
	v_mul_f64 v[190:191], v[188:189], v[186:187]
	v_fma_f64 v[182:183], -v[182:183], v[190:191], v[188:189]
	s_delay_alu instid0(VALU_DEP_1) | instskip(NEXT) | instid1(VALU_DEP_1)
	v_div_fmas_f64 v[182:183], v[182:183], v[186:187], v[190:191]
	v_div_fixup_f64 v[186:187], v[182:183], v[180:181], 1.0
                                        ; implicit-def: $vgpr180_vgpr181
	s_delay_alu instid0(VALU_DEP_1)
	v_mul_f64 v[188:189], v[184:185], v[186:187]
	v_xor_b32_e32 v187, 0x80000000, v187
.LBB89_338:
	s_and_not1_saveexec_b32 s3, s3
	s_cbranch_execz .LBB89_340
; %bb.339:
	v_div_scale_f64 v[184:185], null, v[180:181], v[180:181], v[182:183]
	v_div_scale_f64 v[190:191], vcc_lo, v[182:183], v[180:181], v[182:183]
	s_delay_alu instid0(VALU_DEP_2) | instskip(SKIP_2) | instid1(VALU_DEP_1)
	v_rcp_f64_e32 v[186:187], v[184:185]
	s_waitcnt_depctr 0xfff
	v_fma_f64 v[188:189], -v[184:185], v[186:187], 1.0
	v_fma_f64 v[186:187], v[186:187], v[188:189], v[186:187]
	s_delay_alu instid0(VALU_DEP_1) | instskip(NEXT) | instid1(VALU_DEP_1)
	v_fma_f64 v[188:189], -v[184:185], v[186:187], 1.0
	v_fma_f64 v[186:187], v[186:187], v[188:189], v[186:187]
	s_delay_alu instid0(VALU_DEP_1) | instskip(NEXT) | instid1(VALU_DEP_1)
	v_mul_f64 v[188:189], v[190:191], v[186:187]
	v_fma_f64 v[184:185], -v[184:185], v[188:189], v[190:191]
	s_delay_alu instid0(VALU_DEP_1) | instskip(NEXT) | instid1(VALU_DEP_1)
	v_div_fmas_f64 v[184:185], v[184:185], v[186:187], v[188:189]
	v_div_fixup_f64 v[184:185], v[184:185], v[180:181], v[182:183]
	s_delay_alu instid0(VALU_DEP_1) | instskip(NEXT) | instid1(VALU_DEP_1)
	v_fma_f64 v[180:181], v[182:183], v[184:185], v[180:181]
	v_div_scale_f64 v[182:183], null, v[180:181], v[180:181], 1.0
	s_delay_alu instid0(VALU_DEP_1) | instskip(SKIP_2) | instid1(VALU_DEP_1)
	v_rcp_f64_e32 v[186:187], v[182:183]
	s_waitcnt_depctr 0xfff
	v_fma_f64 v[188:189], -v[182:183], v[186:187], 1.0
	v_fma_f64 v[186:187], v[186:187], v[188:189], v[186:187]
	s_delay_alu instid0(VALU_DEP_1) | instskip(NEXT) | instid1(VALU_DEP_1)
	v_fma_f64 v[188:189], -v[182:183], v[186:187], 1.0
	v_fma_f64 v[186:187], v[186:187], v[188:189], v[186:187]
	v_div_scale_f64 v[188:189], vcc_lo, 1.0, v[180:181], 1.0
	s_delay_alu instid0(VALU_DEP_1) | instskip(NEXT) | instid1(VALU_DEP_1)
	v_mul_f64 v[190:191], v[188:189], v[186:187]
	v_fma_f64 v[182:183], -v[182:183], v[190:191], v[188:189]
	s_delay_alu instid0(VALU_DEP_1) | instskip(NEXT) | instid1(VALU_DEP_1)
	v_div_fmas_f64 v[182:183], v[182:183], v[186:187], v[190:191]
	v_div_fixup_f64 v[188:189], v[182:183], v[180:181], 1.0
	s_delay_alu instid0(VALU_DEP_1)
	v_mul_f64 v[186:187], v[184:185], -v[188:189]
.LBB89_340:
	s_or_b32 exec_lo, exec_lo, s3
	ds_store_2addr_b64 v211, v[188:189], v[186:187] offset1:1
.LBB89_341:
	s_or_b32 exec_lo, exec_lo, s4
	s_waitcnt lgkmcnt(0)
	s_barrier
	buffer_gl0_inv
	ds_load_2addr_b64 v[252:255], v211 offset1:1
	s_mov_b32 s3, exec_lo
	v_cmpx_lt_u32_e32 37, v210
	s_cbranch_execz .LBB89_343
; %bb.342:
	s_waitcnt lgkmcnt(0)
	v_mul_f64 v[180:181], v[252:253], v[30:31]
	v_mul_f64 v[30:31], v[254:255], v[30:31]
	s_delay_alu instid0(VALU_DEP_2) | instskip(SKIP_4) | instid1(VALU_DEP_1)
	v_fma_f64 v[184:185], v[254:255], v[28:29], v[180:181]
	ds_load_2addr_b64 v[180:183], v212 offset0:76 offset1:77
	v_fma_f64 v[28:29], v[252:253], v[28:29], -v[30:31]
	s_waitcnt lgkmcnt(0)
	v_mul_f64 v[30:31], v[182:183], v[184:185]
	v_fma_f64 v[30:31], v[180:181], v[28:29], -v[30:31]
	v_mul_f64 v[180:181], v[180:181], v[184:185]
	s_delay_alu instid0(VALU_DEP_2) | instskip(NEXT) | instid1(VALU_DEP_2)
	v_add_f64 v[24:25], v[24:25], -v[30:31]
	v_fma_f64 v[180:181], v[182:183], v[28:29], v[180:181]
	s_delay_alu instid0(VALU_DEP_1) | instskip(SKIP_3) | instid1(VALU_DEP_1)
	v_add_f64 v[26:27], v[26:27], -v[180:181]
	ds_load_2addr_b64 v[180:183], v212 offset0:78 offset1:79
	s_waitcnt lgkmcnt(0)
	v_mul_f64 v[30:31], v[182:183], v[184:185]
	v_fma_f64 v[30:31], v[180:181], v[28:29], -v[30:31]
	v_mul_f64 v[180:181], v[180:181], v[184:185]
	s_delay_alu instid0(VALU_DEP_2) | instskip(NEXT) | instid1(VALU_DEP_2)
	v_add_f64 v[20:21], v[20:21], -v[30:31]
	v_fma_f64 v[180:181], v[182:183], v[28:29], v[180:181]
	s_delay_alu instid0(VALU_DEP_1) | instskip(SKIP_3) | instid1(VALU_DEP_1)
	v_add_f64 v[22:23], v[22:23], -v[180:181]
	ds_load_2addr_b64 v[180:183], v212 offset0:80 offset1:81
	;; [unrolled: 10-line block ×6, first 2 shown]
	s_waitcnt lgkmcnt(0)
	v_mul_f64 v[30:31], v[182:183], v[184:185]
	v_fma_f64 v[30:31], v[180:181], v[28:29], -v[30:31]
	v_mul_f64 v[180:181], v[180:181], v[184:185]
	s_delay_alu instid0(VALU_DEP_2) | instskip(NEXT) | instid1(VALU_DEP_2)
	v_add_f64 v[0:1], v[0:1], -v[30:31]
	v_fma_f64 v[180:181], v[182:183], v[28:29], v[180:181]
	v_dual_mov_b32 v30, v184 :: v_dual_mov_b32 v31, v185
	s_delay_alu instid0(VALU_DEP_2)
	v_add_f64 v[2:3], v[2:3], -v[180:181]
.LBB89_343:
	s_or_b32 exec_lo, exec_lo, s3
	s_delay_alu instid0(SALU_CYCLE_1)
	s_mov_b32 s4, exec_lo
	s_waitcnt lgkmcnt(0)
	s_barrier
	buffer_gl0_inv
	v_cmpx_eq_u32_e32 38, v210
	s_cbranch_execz .LBB89_350
; %bb.344:
	ds_store_2addr_b64 v211, v[24:25], v[26:27] offset1:1
	ds_store_2addr_b64 v212, v[20:21], v[22:23] offset0:78 offset1:79
	ds_store_2addr_b64 v212, v[16:17], v[18:19] offset0:80 offset1:81
	;; [unrolled: 1-line block ×6, first 2 shown]
	ds_load_2addr_b64 v[180:183], v211 offset1:1
	s_waitcnt lgkmcnt(0)
	v_cmp_neq_f64_e32 vcc_lo, 0, v[180:181]
	v_cmp_neq_f64_e64 s3, 0, v[182:183]
	s_delay_alu instid0(VALU_DEP_1) | instskip(NEXT) | instid1(SALU_CYCLE_1)
	s_or_b32 s3, vcc_lo, s3
	s_and_b32 exec_lo, exec_lo, s3
	s_cbranch_execz .LBB89_350
; %bb.345:
	v_cmp_gt_f64_e32 vcc_lo, 0, v[180:181]
	v_xor_b32_e32 v184, 0x80000000, v181
	v_xor_b32_e32 v186, 0x80000000, v183
	s_mov_b32 s3, exec_lo
                                        ; implicit-def: $vgpr188_vgpr189
	s_delay_alu instid0(VALU_DEP_2) | instskip(SKIP_4) | instid1(VALU_DEP_1)
	v_cndmask_b32_e32 v185, v181, v184, vcc_lo
	v_cndmask_b32_e32 v184, v180, v180, vcc_lo
	v_cmp_gt_f64_e32 vcc_lo, 0, v[182:183]
	v_cndmask_b32_e32 v187, v183, v186, vcc_lo
	v_cndmask_b32_e32 v186, v182, v182, vcc_lo
	v_cmpx_ngt_f64_e32 v[184:185], v[186:187]
	s_xor_b32 s3, exec_lo, s3
                                        ; implicit-def: $vgpr184_vgpr185_vgpr186_vgpr187
	s_cbranch_execz .LBB89_347
; %bb.346:
	v_div_scale_f64 v[184:185], null, v[182:183], v[182:183], v[180:181]
	v_div_scale_f64 v[190:191], vcc_lo, v[180:181], v[182:183], v[180:181]
	s_delay_alu instid0(VALU_DEP_2) | instskip(SKIP_2) | instid1(VALU_DEP_1)
	v_rcp_f64_e32 v[186:187], v[184:185]
	s_waitcnt_depctr 0xfff
	v_fma_f64 v[188:189], -v[184:185], v[186:187], 1.0
	v_fma_f64 v[186:187], v[186:187], v[188:189], v[186:187]
	s_delay_alu instid0(VALU_DEP_1) | instskip(NEXT) | instid1(VALU_DEP_1)
	v_fma_f64 v[188:189], -v[184:185], v[186:187], 1.0
	v_fma_f64 v[186:187], v[186:187], v[188:189], v[186:187]
	s_delay_alu instid0(VALU_DEP_1) | instskip(NEXT) | instid1(VALU_DEP_1)
	v_mul_f64 v[188:189], v[190:191], v[186:187]
	v_fma_f64 v[184:185], -v[184:185], v[188:189], v[190:191]
	s_delay_alu instid0(VALU_DEP_1) | instskip(NEXT) | instid1(VALU_DEP_1)
	v_div_fmas_f64 v[184:185], v[184:185], v[186:187], v[188:189]
	v_div_fixup_f64 v[184:185], v[184:185], v[182:183], v[180:181]
	s_delay_alu instid0(VALU_DEP_1) | instskip(NEXT) | instid1(VALU_DEP_1)
	v_fma_f64 v[180:181], v[180:181], v[184:185], v[182:183]
	v_div_scale_f64 v[182:183], null, v[180:181], v[180:181], 1.0
	s_delay_alu instid0(VALU_DEP_1) | instskip(SKIP_2) | instid1(VALU_DEP_1)
	v_rcp_f64_e32 v[186:187], v[182:183]
	s_waitcnt_depctr 0xfff
	v_fma_f64 v[188:189], -v[182:183], v[186:187], 1.0
	v_fma_f64 v[186:187], v[186:187], v[188:189], v[186:187]
	s_delay_alu instid0(VALU_DEP_1) | instskip(NEXT) | instid1(VALU_DEP_1)
	v_fma_f64 v[188:189], -v[182:183], v[186:187], 1.0
	v_fma_f64 v[186:187], v[186:187], v[188:189], v[186:187]
	v_div_scale_f64 v[188:189], vcc_lo, 1.0, v[180:181], 1.0
	s_delay_alu instid0(VALU_DEP_1) | instskip(NEXT) | instid1(VALU_DEP_1)
	v_mul_f64 v[190:191], v[188:189], v[186:187]
	v_fma_f64 v[182:183], -v[182:183], v[190:191], v[188:189]
	s_delay_alu instid0(VALU_DEP_1) | instskip(NEXT) | instid1(VALU_DEP_1)
	v_div_fmas_f64 v[182:183], v[182:183], v[186:187], v[190:191]
	v_div_fixup_f64 v[186:187], v[182:183], v[180:181], 1.0
                                        ; implicit-def: $vgpr180_vgpr181
	s_delay_alu instid0(VALU_DEP_1)
	v_mul_f64 v[188:189], v[184:185], v[186:187]
	v_xor_b32_e32 v187, 0x80000000, v187
.LBB89_347:
	s_and_not1_saveexec_b32 s3, s3
	s_cbranch_execz .LBB89_349
; %bb.348:
	v_div_scale_f64 v[184:185], null, v[180:181], v[180:181], v[182:183]
	v_div_scale_f64 v[190:191], vcc_lo, v[182:183], v[180:181], v[182:183]
	s_delay_alu instid0(VALU_DEP_2) | instskip(SKIP_2) | instid1(VALU_DEP_1)
	v_rcp_f64_e32 v[186:187], v[184:185]
	s_waitcnt_depctr 0xfff
	v_fma_f64 v[188:189], -v[184:185], v[186:187], 1.0
	v_fma_f64 v[186:187], v[186:187], v[188:189], v[186:187]
	s_delay_alu instid0(VALU_DEP_1) | instskip(NEXT) | instid1(VALU_DEP_1)
	v_fma_f64 v[188:189], -v[184:185], v[186:187], 1.0
	v_fma_f64 v[186:187], v[186:187], v[188:189], v[186:187]
	s_delay_alu instid0(VALU_DEP_1) | instskip(NEXT) | instid1(VALU_DEP_1)
	v_mul_f64 v[188:189], v[190:191], v[186:187]
	v_fma_f64 v[184:185], -v[184:185], v[188:189], v[190:191]
	s_delay_alu instid0(VALU_DEP_1) | instskip(NEXT) | instid1(VALU_DEP_1)
	v_div_fmas_f64 v[184:185], v[184:185], v[186:187], v[188:189]
	v_div_fixup_f64 v[184:185], v[184:185], v[180:181], v[182:183]
	s_delay_alu instid0(VALU_DEP_1) | instskip(NEXT) | instid1(VALU_DEP_1)
	v_fma_f64 v[180:181], v[182:183], v[184:185], v[180:181]
	v_div_scale_f64 v[182:183], null, v[180:181], v[180:181], 1.0
	s_delay_alu instid0(VALU_DEP_1) | instskip(SKIP_2) | instid1(VALU_DEP_1)
	v_rcp_f64_e32 v[186:187], v[182:183]
	s_waitcnt_depctr 0xfff
	v_fma_f64 v[188:189], -v[182:183], v[186:187], 1.0
	v_fma_f64 v[186:187], v[186:187], v[188:189], v[186:187]
	s_delay_alu instid0(VALU_DEP_1) | instskip(NEXT) | instid1(VALU_DEP_1)
	v_fma_f64 v[188:189], -v[182:183], v[186:187], 1.0
	v_fma_f64 v[186:187], v[186:187], v[188:189], v[186:187]
	v_div_scale_f64 v[188:189], vcc_lo, 1.0, v[180:181], 1.0
	s_delay_alu instid0(VALU_DEP_1) | instskip(NEXT) | instid1(VALU_DEP_1)
	v_mul_f64 v[190:191], v[188:189], v[186:187]
	v_fma_f64 v[182:183], -v[182:183], v[190:191], v[188:189]
	s_delay_alu instid0(VALU_DEP_1) | instskip(NEXT) | instid1(VALU_DEP_1)
	v_div_fmas_f64 v[182:183], v[182:183], v[186:187], v[190:191]
	v_div_fixup_f64 v[188:189], v[182:183], v[180:181], 1.0
	s_delay_alu instid0(VALU_DEP_1)
	v_mul_f64 v[186:187], v[184:185], -v[188:189]
.LBB89_349:
	s_or_b32 exec_lo, exec_lo, s3
	ds_store_2addr_b64 v211, v[188:189], v[186:187] offset1:1
.LBB89_350:
	s_or_b32 exec_lo, exec_lo, s4
	s_waitcnt lgkmcnt(0)
	s_barrier
	buffer_gl0_inv
	ds_load_2addr_b64 v[180:183], v211 offset1:1
	s_mov_b32 s3, exec_lo
	v_cmpx_lt_u32_e32 38, v210
	s_cbranch_execz .LBB89_352
; %bb.351:
	s_waitcnt lgkmcnt(0)
	v_mul_f64 v[184:185], v[180:181], v[26:27]
	v_mul_f64 v[26:27], v[182:183], v[26:27]
	s_delay_alu instid0(VALU_DEP_2) | instskip(SKIP_4) | instid1(VALU_DEP_1)
	v_fma_f64 v[188:189], v[182:183], v[24:25], v[184:185]
	ds_load_2addr_b64 v[184:187], v212 offset0:78 offset1:79
	v_fma_f64 v[24:25], v[180:181], v[24:25], -v[26:27]
	s_waitcnt lgkmcnt(0)
	v_mul_f64 v[26:27], v[186:187], v[188:189]
	v_fma_f64 v[26:27], v[184:185], v[24:25], -v[26:27]
	v_mul_f64 v[184:185], v[184:185], v[188:189]
	s_delay_alu instid0(VALU_DEP_2) | instskip(NEXT) | instid1(VALU_DEP_2)
	v_add_f64 v[20:21], v[20:21], -v[26:27]
	v_fma_f64 v[184:185], v[186:187], v[24:25], v[184:185]
	s_delay_alu instid0(VALU_DEP_1) | instskip(SKIP_3) | instid1(VALU_DEP_1)
	v_add_f64 v[22:23], v[22:23], -v[184:185]
	ds_load_2addr_b64 v[184:187], v212 offset0:80 offset1:81
	s_waitcnt lgkmcnt(0)
	v_mul_f64 v[26:27], v[186:187], v[188:189]
	v_fma_f64 v[26:27], v[184:185], v[24:25], -v[26:27]
	v_mul_f64 v[184:185], v[184:185], v[188:189]
	s_delay_alu instid0(VALU_DEP_2) | instskip(NEXT) | instid1(VALU_DEP_2)
	v_add_f64 v[16:17], v[16:17], -v[26:27]
	v_fma_f64 v[184:185], v[186:187], v[24:25], v[184:185]
	s_delay_alu instid0(VALU_DEP_1) | instskip(SKIP_3) | instid1(VALU_DEP_1)
	v_add_f64 v[18:19], v[18:19], -v[184:185]
	ds_load_2addr_b64 v[184:187], v212 offset0:82 offset1:83
	;; [unrolled: 10-line block ×5, first 2 shown]
	s_waitcnt lgkmcnt(0)
	v_mul_f64 v[26:27], v[186:187], v[188:189]
	v_fma_f64 v[26:27], v[184:185], v[24:25], -v[26:27]
	v_mul_f64 v[184:185], v[184:185], v[188:189]
	s_delay_alu instid0(VALU_DEP_2) | instskip(NEXT) | instid1(VALU_DEP_2)
	v_add_f64 v[0:1], v[0:1], -v[26:27]
	v_fma_f64 v[184:185], v[186:187], v[24:25], v[184:185]
	v_dual_mov_b32 v26, v188 :: v_dual_mov_b32 v27, v189
	s_delay_alu instid0(VALU_DEP_2)
	v_add_f64 v[2:3], v[2:3], -v[184:185]
.LBB89_352:
	s_or_b32 exec_lo, exec_lo, s3
	s_delay_alu instid0(SALU_CYCLE_1)
	s_mov_b32 s4, exec_lo
	s_waitcnt lgkmcnt(0)
	s_barrier
	buffer_gl0_inv
	v_cmpx_eq_u32_e32 39, v210
	s_cbranch_execz .LBB89_359
; %bb.353:
	ds_store_2addr_b64 v211, v[20:21], v[22:23] offset1:1
	ds_store_2addr_b64 v212, v[16:17], v[18:19] offset0:80 offset1:81
	ds_store_2addr_b64 v212, v[12:13], v[14:15] offset0:82 offset1:83
	;; [unrolled: 1-line block ×5, first 2 shown]
	ds_load_2addr_b64 v[184:187], v211 offset1:1
	s_waitcnt lgkmcnt(0)
	v_cmp_neq_f64_e32 vcc_lo, 0, v[184:185]
	v_cmp_neq_f64_e64 s3, 0, v[186:187]
	s_delay_alu instid0(VALU_DEP_1) | instskip(NEXT) | instid1(SALU_CYCLE_1)
	s_or_b32 s3, vcc_lo, s3
	s_and_b32 exec_lo, exec_lo, s3
	s_cbranch_execz .LBB89_359
; %bb.354:
	v_cmp_gt_f64_e32 vcc_lo, 0, v[184:185]
	v_xor_b32_e32 v188, 0x80000000, v185
	v_xor_b32_e32 v190, 0x80000000, v187
	s_mov_b32 s3, exec_lo
                                        ; implicit-def: $vgpr192_vgpr193
	s_delay_alu instid0(VALU_DEP_2) | instskip(SKIP_4) | instid1(VALU_DEP_1)
	v_cndmask_b32_e32 v189, v185, v188, vcc_lo
	v_cndmask_b32_e32 v188, v184, v184, vcc_lo
	v_cmp_gt_f64_e32 vcc_lo, 0, v[186:187]
	v_cndmask_b32_e32 v191, v187, v190, vcc_lo
	v_cndmask_b32_e32 v190, v186, v186, vcc_lo
	v_cmpx_ngt_f64_e32 v[188:189], v[190:191]
	s_xor_b32 s3, exec_lo, s3
                                        ; implicit-def: $vgpr188_vgpr189_vgpr190_vgpr191
	s_cbranch_execz .LBB89_356
; %bb.355:
	v_div_scale_f64 v[188:189], null, v[186:187], v[186:187], v[184:185]
	v_div_scale_f64 v[194:195], vcc_lo, v[184:185], v[186:187], v[184:185]
	s_delay_alu instid0(VALU_DEP_2) | instskip(SKIP_2) | instid1(VALU_DEP_1)
	v_rcp_f64_e32 v[190:191], v[188:189]
	s_waitcnt_depctr 0xfff
	v_fma_f64 v[192:193], -v[188:189], v[190:191], 1.0
	v_fma_f64 v[190:191], v[190:191], v[192:193], v[190:191]
	s_delay_alu instid0(VALU_DEP_1) | instskip(NEXT) | instid1(VALU_DEP_1)
	v_fma_f64 v[192:193], -v[188:189], v[190:191], 1.0
	v_fma_f64 v[190:191], v[190:191], v[192:193], v[190:191]
	s_delay_alu instid0(VALU_DEP_1) | instskip(NEXT) | instid1(VALU_DEP_1)
	v_mul_f64 v[192:193], v[194:195], v[190:191]
	v_fma_f64 v[188:189], -v[188:189], v[192:193], v[194:195]
	s_delay_alu instid0(VALU_DEP_1) | instskip(NEXT) | instid1(VALU_DEP_1)
	v_div_fmas_f64 v[188:189], v[188:189], v[190:191], v[192:193]
	v_div_fixup_f64 v[188:189], v[188:189], v[186:187], v[184:185]
	s_delay_alu instid0(VALU_DEP_1) | instskip(NEXT) | instid1(VALU_DEP_1)
	v_fma_f64 v[184:185], v[184:185], v[188:189], v[186:187]
	v_div_scale_f64 v[186:187], null, v[184:185], v[184:185], 1.0
	s_delay_alu instid0(VALU_DEP_1) | instskip(SKIP_2) | instid1(VALU_DEP_1)
	v_rcp_f64_e32 v[190:191], v[186:187]
	s_waitcnt_depctr 0xfff
	v_fma_f64 v[192:193], -v[186:187], v[190:191], 1.0
	v_fma_f64 v[190:191], v[190:191], v[192:193], v[190:191]
	s_delay_alu instid0(VALU_DEP_1) | instskip(NEXT) | instid1(VALU_DEP_1)
	v_fma_f64 v[192:193], -v[186:187], v[190:191], 1.0
	v_fma_f64 v[190:191], v[190:191], v[192:193], v[190:191]
	v_div_scale_f64 v[192:193], vcc_lo, 1.0, v[184:185], 1.0
	s_delay_alu instid0(VALU_DEP_1) | instskip(NEXT) | instid1(VALU_DEP_1)
	v_mul_f64 v[194:195], v[192:193], v[190:191]
	v_fma_f64 v[186:187], -v[186:187], v[194:195], v[192:193]
	s_delay_alu instid0(VALU_DEP_1) | instskip(NEXT) | instid1(VALU_DEP_1)
	v_div_fmas_f64 v[186:187], v[186:187], v[190:191], v[194:195]
	v_div_fixup_f64 v[190:191], v[186:187], v[184:185], 1.0
                                        ; implicit-def: $vgpr184_vgpr185
	s_delay_alu instid0(VALU_DEP_1)
	v_mul_f64 v[192:193], v[188:189], v[190:191]
	v_xor_b32_e32 v191, 0x80000000, v191
.LBB89_356:
	s_and_not1_saveexec_b32 s3, s3
	s_cbranch_execz .LBB89_358
; %bb.357:
	v_div_scale_f64 v[188:189], null, v[184:185], v[184:185], v[186:187]
	v_div_scale_f64 v[194:195], vcc_lo, v[186:187], v[184:185], v[186:187]
	s_delay_alu instid0(VALU_DEP_2) | instskip(SKIP_2) | instid1(VALU_DEP_1)
	v_rcp_f64_e32 v[190:191], v[188:189]
	s_waitcnt_depctr 0xfff
	v_fma_f64 v[192:193], -v[188:189], v[190:191], 1.0
	v_fma_f64 v[190:191], v[190:191], v[192:193], v[190:191]
	s_delay_alu instid0(VALU_DEP_1) | instskip(NEXT) | instid1(VALU_DEP_1)
	v_fma_f64 v[192:193], -v[188:189], v[190:191], 1.0
	v_fma_f64 v[190:191], v[190:191], v[192:193], v[190:191]
	s_delay_alu instid0(VALU_DEP_1) | instskip(NEXT) | instid1(VALU_DEP_1)
	v_mul_f64 v[192:193], v[194:195], v[190:191]
	v_fma_f64 v[188:189], -v[188:189], v[192:193], v[194:195]
	s_delay_alu instid0(VALU_DEP_1) | instskip(NEXT) | instid1(VALU_DEP_1)
	v_div_fmas_f64 v[188:189], v[188:189], v[190:191], v[192:193]
	v_div_fixup_f64 v[188:189], v[188:189], v[184:185], v[186:187]
	s_delay_alu instid0(VALU_DEP_1) | instskip(NEXT) | instid1(VALU_DEP_1)
	v_fma_f64 v[184:185], v[186:187], v[188:189], v[184:185]
	v_div_scale_f64 v[186:187], null, v[184:185], v[184:185], 1.0
	s_delay_alu instid0(VALU_DEP_1) | instskip(SKIP_2) | instid1(VALU_DEP_1)
	v_rcp_f64_e32 v[190:191], v[186:187]
	s_waitcnt_depctr 0xfff
	v_fma_f64 v[192:193], -v[186:187], v[190:191], 1.0
	v_fma_f64 v[190:191], v[190:191], v[192:193], v[190:191]
	s_delay_alu instid0(VALU_DEP_1) | instskip(NEXT) | instid1(VALU_DEP_1)
	v_fma_f64 v[192:193], -v[186:187], v[190:191], 1.0
	v_fma_f64 v[190:191], v[190:191], v[192:193], v[190:191]
	v_div_scale_f64 v[192:193], vcc_lo, 1.0, v[184:185], 1.0
	s_delay_alu instid0(VALU_DEP_1) | instskip(NEXT) | instid1(VALU_DEP_1)
	v_mul_f64 v[194:195], v[192:193], v[190:191]
	v_fma_f64 v[186:187], -v[186:187], v[194:195], v[192:193]
	s_delay_alu instid0(VALU_DEP_1) | instskip(NEXT) | instid1(VALU_DEP_1)
	v_div_fmas_f64 v[186:187], v[186:187], v[190:191], v[194:195]
	v_div_fixup_f64 v[192:193], v[186:187], v[184:185], 1.0
	s_delay_alu instid0(VALU_DEP_1)
	v_mul_f64 v[190:191], v[188:189], -v[192:193]
.LBB89_358:
	s_or_b32 exec_lo, exec_lo, s3
	ds_store_2addr_b64 v211, v[192:193], v[190:191] offset1:1
.LBB89_359:
	s_or_b32 exec_lo, exec_lo, s4
	s_waitcnt lgkmcnt(0)
	s_barrier
	buffer_gl0_inv
	ds_load_2addr_b64 v[184:187], v211 offset1:1
	s_mov_b32 s3, exec_lo
	v_cmpx_lt_u32_e32 39, v210
	s_cbranch_execz .LBB89_361
; %bb.360:
	s_waitcnt lgkmcnt(0)
	v_mul_f64 v[188:189], v[184:185], v[22:23]
	v_mul_f64 v[22:23], v[186:187], v[22:23]
	s_delay_alu instid0(VALU_DEP_2) | instskip(SKIP_4) | instid1(VALU_DEP_1)
	v_fma_f64 v[192:193], v[186:187], v[20:21], v[188:189]
	ds_load_2addr_b64 v[188:191], v212 offset0:80 offset1:81
	v_fma_f64 v[20:21], v[184:185], v[20:21], -v[22:23]
	s_waitcnt lgkmcnt(0)
	v_mul_f64 v[22:23], v[190:191], v[192:193]
	v_fma_f64 v[22:23], v[188:189], v[20:21], -v[22:23]
	v_mul_f64 v[188:189], v[188:189], v[192:193]
	s_delay_alu instid0(VALU_DEP_2) | instskip(NEXT) | instid1(VALU_DEP_2)
	v_add_f64 v[16:17], v[16:17], -v[22:23]
	v_fma_f64 v[188:189], v[190:191], v[20:21], v[188:189]
	s_delay_alu instid0(VALU_DEP_1) | instskip(SKIP_3) | instid1(VALU_DEP_1)
	v_add_f64 v[18:19], v[18:19], -v[188:189]
	ds_load_2addr_b64 v[188:191], v212 offset0:82 offset1:83
	s_waitcnt lgkmcnt(0)
	v_mul_f64 v[22:23], v[190:191], v[192:193]
	v_fma_f64 v[22:23], v[188:189], v[20:21], -v[22:23]
	v_mul_f64 v[188:189], v[188:189], v[192:193]
	s_delay_alu instid0(VALU_DEP_2) | instskip(NEXT) | instid1(VALU_DEP_2)
	v_add_f64 v[12:13], v[12:13], -v[22:23]
	v_fma_f64 v[188:189], v[190:191], v[20:21], v[188:189]
	s_delay_alu instid0(VALU_DEP_1) | instskip(SKIP_3) | instid1(VALU_DEP_1)
	v_add_f64 v[14:15], v[14:15], -v[188:189]
	ds_load_2addr_b64 v[188:191], v212 offset0:84 offset1:85
	;; [unrolled: 10-line block ×4, first 2 shown]
	s_waitcnt lgkmcnt(0)
	v_mul_f64 v[22:23], v[190:191], v[192:193]
	v_fma_f64 v[22:23], v[188:189], v[20:21], -v[22:23]
	v_mul_f64 v[188:189], v[188:189], v[192:193]
	s_delay_alu instid0(VALU_DEP_2) | instskip(NEXT) | instid1(VALU_DEP_2)
	v_add_f64 v[0:1], v[0:1], -v[22:23]
	v_fma_f64 v[188:189], v[190:191], v[20:21], v[188:189]
	v_dual_mov_b32 v22, v192 :: v_dual_mov_b32 v23, v193
	s_delay_alu instid0(VALU_DEP_2)
	v_add_f64 v[2:3], v[2:3], -v[188:189]
.LBB89_361:
	s_or_b32 exec_lo, exec_lo, s3
	s_delay_alu instid0(SALU_CYCLE_1)
	s_mov_b32 s4, exec_lo
	s_waitcnt lgkmcnt(0)
	s_barrier
	buffer_gl0_inv
	v_cmpx_eq_u32_e32 40, v210
	s_cbranch_execz .LBB89_368
; %bb.362:
	ds_store_2addr_b64 v211, v[16:17], v[18:19] offset1:1
	ds_store_2addr_b64 v212, v[12:13], v[14:15] offset0:82 offset1:83
	ds_store_2addr_b64 v212, v[8:9], v[10:11] offset0:84 offset1:85
	;; [unrolled: 1-line block ×4, first 2 shown]
	ds_load_2addr_b64 v[188:191], v211 offset1:1
	s_waitcnt lgkmcnt(0)
	v_cmp_neq_f64_e32 vcc_lo, 0, v[188:189]
	v_cmp_neq_f64_e64 s3, 0, v[190:191]
	s_delay_alu instid0(VALU_DEP_1) | instskip(NEXT) | instid1(SALU_CYCLE_1)
	s_or_b32 s3, vcc_lo, s3
	s_and_b32 exec_lo, exec_lo, s3
	s_cbranch_execz .LBB89_368
; %bb.363:
	v_cmp_gt_f64_e32 vcc_lo, 0, v[188:189]
	v_xor_b32_e32 v192, 0x80000000, v189
	v_xor_b32_e32 v194, 0x80000000, v191
	s_mov_b32 s3, exec_lo
                                        ; implicit-def: $vgpr196_vgpr197
	s_delay_alu instid0(VALU_DEP_2) | instskip(SKIP_4) | instid1(VALU_DEP_1)
	v_cndmask_b32_e32 v193, v189, v192, vcc_lo
	v_cndmask_b32_e32 v192, v188, v188, vcc_lo
	v_cmp_gt_f64_e32 vcc_lo, 0, v[190:191]
	v_cndmask_b32_e32 v195, v191, v194, vcc_lo
	v_cndmask_b32_e32 v194, v190, v190, vcc_lo
	v_cmpx_ngt_f64_e32 v[192:193], v[194:195]
	s_xor_b32 s3, exec_lo, s3
                                        ; implicit-def: $vgpr192_vgpr193_vgpr194_vgpr195
	s_cbranch_execz .LBB89_365
; %bb.364:
	v_div_scale_f64 v[192:193], null, v[190:191], v[190:191], v[188:189]
	v_div_scale_f64 v[198:199], vcc_lo, v[188:189], v[190:191], v[188:189]
	s_delay_alu instid0(VALU_DEP_2) | instskip(SKIP_2) | instid1(VALU_DEP_1)
	v_rcp_f64_e32 v[194:195], v[192:193]
	s_waitcnt_depctr 0xfff
	v_fma_f64 v[196:197], -v[192:193], v[194:195], 1.0
	v_fma_f64 v[194:195], v[194:195], v[196:197], v[194:195]
	s_delay_alu instid0(VALU_DEP_1) | instskip(NEXT) | instid1(VALU_DEP_1)
	v_fma_f64 v[196:197], -v[192:193], v[194:195], 1.0
	v_fma_f64 v[194:195], v[194:195], v[196:197], v[194:195]
	s_delay_alu instid0(VALU_DEP_1) | instskip(NEXT) | instid1(VALU_DEP_1)
	v_mul_f64 v[196:197], v[198:199], v[194:195]
	v_fma_f64 v[192:193], -v[192:193], v[196:197], v[198:199]
	s_delay_alu instid0(VALU_DEP_1) | instskip(NEXT) | instid1(VALU_DEP_1)
	v_div_fmas_f64 v[192:193], v[192:193], v[194:195], v[196:197]
	v_div_fixup_f64 v[192:193], v[192:193], v[190:191], v[188:189]
	s_delay_alu instid0(VALU_DEP_1) | instskip(NEXT) | instid1(VALU_DEP_1)
	v_fma_f64 v[188:189], v[188:189], v[192:193], v[190:191]
	v_div_scale_f64 v[190:191], null, v[188:189], v[188:189], 1.0
	s_delay_alu instid0(VALU_DEP_1) | instskip(SKIP_2) | instid1(VALU_DEP_1)
	v_rcp_f64_e32 v[194:195], v[190:191]
	s_waitcnt_depctr 0xfff
	v_fma_f64 v[196:197], -v[190:191], v[194:195], 1.0
	v_fma_f64 v[194:195], v[194:195], v[196:197], v[194:195]
	s_delay_alu instid0(VALU_DEP_1) | instskip(NEXT) | instid1(VALU_DEP_1)
	v_fma_f64 v[196:197], -v[190:191], v[194:195], 1.0
	v_fma_f64 v[194:195], v[194:195], v[196:197], v[194:195]
	v_div_scale_f64 v[196:197], vcc_lo, 1.0, v[188:189], 1.0
	s_delay_alu instid0(VALU_DEP_1) | instskip(NEXT) | instid1(VALU_DEP_1)
	v_mul_f64 v[198:199], v[196:197], v[194:195]
	v_fma_f64 v[190:191], -v[190:191], v[198:199], v[196:197]
	s_delay_alu instid0(VALU_DEP_1) | instskip(NEXT) | instid1(VALU_DEP_1)
	v_div_fmas_f64 v[190:191], v[190:191], v[194:195], v[198:199]
	v_div_fixup_f64 v[194:195], v[190:191], v[188:189], 1.0
                                        ; implicit-def: $vgpr188_vgpr189
	s_delay_alu instid0(VALU_DEP_1)
	v_mul_f64 v[196:197], v[192:193], v[194:195]
	v_xor_b32_e32 v195, 0x80000000, v195
.LBB89_365:
	s_and_not1_saveexec_b32 s3, s3
	s_cbranch_execz .LBB89_367
; %bb.366:
	v_div_scale_f64 v[192:193], null, v[188:189], v[188:189], v[190:191]
	v_div_scale_f64 v[198:199], vcc_lo, v[190:191], v[188:189], v[190:191]
	s_delay_alu instid0(VALU_DEP_2) | instskip(SKIP_2) | instid1(VALU_DEP_1)
	v_rcp_f64_e32 v[194:195], v[192:193]
	s_waitcnt_depctr 0xfff
	v_fma_f64 v[196:197], -v[192:193], v[194:195], 1.0
	v_fma_f64 v[194:195], v[194:195], v[196:197], v[194:195]
	s_delay_alu instid0(VALU_DEP_1) | instskip(NEXT) | instid1(VALU_DEP_1)
	v_fma_f64 v[196:197], -v[192:193], v[194:195], 1.0
	v_fma_f64 v[194:195], v[194:195], v[196:197], v[194:195]
	s_delay_alu instid0(VALU_DEP_1) | instskip(NEXT) | instid1(VALU_DEP_1)
	v_mul_f64 v[196:197], v[198:199], v[194:195]
	v_fma_f64 v[192:193], -v[192:193], v[196:197], v[198:199]
	s_delay_alu instid0(VALU_DEP_1) | instskip(NEXT) | instid1(VALU_DEP_1)
	v_div_fmas_f64 v[192:193], v[192:193], v[194:195], v[196:197]
	v_div_fixup_f64 v[192:193], v[192:193], v[188:189], v[190:191]
	s_delay_alu instid0(VALU_DEP_1) | instskip(NEXT) | instid1(VALU_DEP_1)
	v_fma_f64 v[188:189], v[190:191], v[192:193], v[188:189]
	v_div_scale_f64 v[190:191], null, v[188:189], v[188:189], 1.0
	s_delay_alu instid0(VALU_DEP_1) | instskip(SKIP_2) | instid1(VALU_DEP_1)
	v_rcp_f64_e32 v[194:195], v[190:191]
	s_waitcnt_depctr 0xfff
	v_fma_f64 v[196:197], -v[190:191], v[194:195], 1.0
	v_fma_f64 v[194:195], v[194:195], v[196:197], v[194:195]
	s_delay_alu instid0(VALU_DEP_1) | instskip(NEXT) | instid1(VALU_DEP_1)
	v_fma_f64 v[196:197], -v[190:191], v[194:195], 1.0
	v_fma_f64 v[194:195], v[194:195], v[196:197], v[194:195]
	v_div_scale_f64 v[196:197], vcc_lo, 1.0, v[188:189], 1.0
	s_delay_alu instid0(VALU_DEP_1) | instskip(NEXT) | instid1(VALU_DEP_1)
	v_mul_f64 v[198:199], v[196:197], v[194:195]
	v_fma_f64 v[190:191], -v[190:191], v[198:199], v[196:197]
	s_delay_alu instid0(VALU_DEP_1) | instskip(NEXT) | instid1(VALU_DEP_1)
	v_div_fmas_f64 v[190:191], v[190:191], v[194:195], v[198:199]
	v_div_fixup_f64 v[196:197], v[190:191], v[188:189], 1.0
	s_delay_alu instid0(VALU_DEP_1)
	v_mul_f64 v[194:195], v[192:193], -v[196:197]
.LBB89_367:
	s_or_b32 exec_lo, exec_lo, s3
	ds_store_2addr_b64 v211, v[196:197], v[194:195] offset1:1
.LBB89_368:
	s_or_b32 exec_lo, exec_lo, s4
	s_waitcnt lgkmcnt(0)
	s_barrier
	buffer_gl0_inv
	ds_load_2addr_b64 v[188:191], v211 offset1:1
	s_mov_b32 s3, exec_lo
	v_cmpx_lt_u32_e32 40, v210
	s_cbranch_execz .LBB89_370
; %bb.369:
	s_waitcnt lgkmcnt(0)
	v_mul_f64 v[192:193], v[188:189], v[18:19]
	v_mul_f64 v[18:19], v[190:191], v[18:19]
	s_delay_alu instid0(VALU_DEP_2) | instskip(SKIP_4) | instid1(VALU_DEP_1)
	v_fma_f64 v[196:197], v[190:191], v[16:17], v[192:193]
	ds_load_2addr_b64 v[192:195], v212 offset0:82 offset1:83
	v_fma_f64 v[16:17], v[188:189], v[16:17], -v[18:19]
	s_waitcnt lgkmcnt(0)
	v_mul_f64 v[18:19], v[194:195], v[196:197]
	v_fma_f64 v[18:19], v[192:193], v[16:17], -v[18:19]
	v_mul_f64 v[192:193], v[192:193], v[196:197]
	s_delay_alu instid0(VALU_DEP_2) | instskip(NEXT) | instid1(VALU_DEP_2)
	v_add_f64 v[12:13], v[12:13], -v[18:19]
	v_fma_f64 v[192:193], v[194:195], v[16:17], v[192:193]
	s_delay_alu instid0(VALU_DEP_1) | instskip(SKIP_3) | instid1(VALU_DEP_1)
	v_add_f64 v[14:15], v[14:15], -v[192:193]
	ds_load_2addr_b64 v[192:195], v212 offset0:84 offset1:85
	s_waitcnt lgkmcnt(0)
	v_mul_f64 v[18:19], v[194:195], v[196:197]
	v_fma_f64 v[18:19], v[192:193], v[16:17], -v[18:19]
	v_mul_f64 v[192:193], v[192:193], v[196:197]
	s_delay_alu instid0(VALU_DEP_2) | instskip(NEXT) | instid1(VALU_DEP_2)
	v_add_f64 v[8:9], v[8:9], -v[18:19]
	v_fma_f64 v[192:193], v[194:195], v[16:17], v[192:193]
	s_delay_alu instid0(VALU_DEP_1) | instskip(SKIP_3) | instid1(VALU_DEP_1)
	v_add_f64 v[10:11], v[10:11], -v[192:193]
	ds_load_2addr_b64 v[192:195], v212 offset0:86 offset1:87
	;; [unrolled: 10-line block ×3, first 2 shown]
	s_waitcnt lgkmcnt(0)
	v_mul_f64 v[18:19], v[194:195], v[196:197]
	v_fma_f64 v[18:19], v[192:193], v[16:17], -v[18:19]
	v_mul_f64 v[192:193], v[192:193], v[196:197]
	s_delay_alu instid0(VALU_DEP_2) | instskip(NEXT) | instid1(VALU_DEP_2)
	v_add_f64 v[0:1], v[0:1], -v[18:19]
	v_fma_f64 v[192:193], v[194:195], v[16:17], v[192:193]
	v_dual_mov_b32 v18, v196 :: v_dual_mov_b32 v19, v197
	s_delay_alu instid0(VALU_DEP_2)
	v_add_f64 v[2:3], v[2:3], -v[192:193]
.LBB89_370:
	s_or_b32 exec_lo, exec_lo, s3
	s_delay_alu instid0(SALU_CYCLE_1)
	s_mov_b32 s4, exec_lo
	s_waitcnt lgkmcnt(0)
	s_barrier
	buffer_gl0_inv
	v_cmpx_eq_u32_e32 41, v210
	s_cbranch_execz .LBB89_377
; %bb.371:
	ds_store_2addr_b64 v211, v[12:13], v[14:15] offset1:1
	ds_store_2addr_b64 v212, v[8:9], v[10:11] offset0:84 offset1:85
	ds_store_2addr_b64 v212, v[4:5], v[6:7] offset0:86 offset1:87
	;; [unrolled: 1-line block ×3, first 2 shown]
	ds_load_2addr_b64 v[192:195], v211 offset1:1
	s_waitcnt lgkmcnt(0)
	v_cmp_neq_f64_e32 vcc_lo, 0, v[192:193]
	v_cmp_neq_f64_e64 s3, 0, v[194:195]
	s_delay_alu instid0(VALU_DEP_1) | instskip(NEXT) | instid1(SALU_CYCLE_1)
	s_or_b32 s3, vcc_lo, s3
	s_and_b32 exec_lo, exec_lo, s3
	s_cbranch_execz .LBB89_377
; %bb.372:
	v_cmp_gt_f64_e32 vcc_lo, 0, v[192:193]
	v_xor_b32_e32 v196, 0x80000000, v193
	v_xor_b32_e32 v198, 0x80000000, v195
	s_mov_b32 s3, exec_lo
                                        ; implicit-def: $vgpr200_vgpr201
	s_delay_alu instid0(VALU_DEP_2) | instskip(SKIP_4) | instid1(VALU_DEP_1)
	v_cndmask_b32_e32 v197, v193, v196, vcc_lo
	v_cndmask_b32_e32 v196, v192, v192, vcc_lo
	v_cmp_gt_f64_e32 vcc_lo, 0, v[194:195]
	v_cndmask_b32_e32 v199, v195, v198, vcc_lo
	v_cndmask_b32_e32 v198, v194, v194, vcc_lo
	v_cmpx_ngt_f64_e32 v[196:197], v[198:199]
	s_xor_b32 s3, exec_lo, s3
                                        ; implicit-def: $vgpr196_vgpr197_vgpr198_vgpr199
	s_cbranch_execz .LBB89_374
; %bb.373:
	v_div_scale_f64 v[196:197], null, v[194:195], v[194:195], v[192:193]
	v_div_scale_f64 v[202:203], vcc_lo, v[192:193], v[194:195], v[192:193]
	s_delay_alu instid0(VALU_DEP_2) | instskip(SKIP_2) | instid1(VALU_DEP_1)
	v_rcp_f64_e32 v[198:199], v[196:197]
	s_waitcnt_depctr 0xfff
	v_fma_f64 v[200:201], -v[196:197], v[198:199], 1.0
	v_fma_f64 v[198:199], v[198:199], v[200:201], v[198:199]
	s_delay_alu instid0(VALU_DEP_1) | instskip(NEXT) | instid1(VALU_DEP_1)
	v_fma_f64 v[200:201], -v[196:197], v[198:199], 1.0
	v_fma_f64 v[198:199], v[198:199], v[200:201], v[198:199]
	s_delay_alu instid0(VALU_DEP_1) | instskip(NEXT) | instid1(VALU_DEP_1)
	v_mul_f64 v[200:201], v[202:203], v[198:199]
	v_fma_f64 v[196:197], -v[196:197], v[200:201], v[202:203]
	s_delay_alu instid0(VALU_DEP_1) | instskip(NEXT) | instid1(VALU_DEP_1)
	v_div_fmas_f64 v[196:197], v[196:197], v[198:199], v[200:201]
	v_div_fixup_f64 v[196:197], v[196:197], v[194:195], v[192:193]
	s_delay_alu instid0(VALU_DEP_1) | instskip(NEXT) | instid1(VALU_DEP_1)
	v_fma_f64 v[192:193], v[192:193], v[196:197], v[194:195]
	v_div_scale_f64 v[194:195], null, v[192:193], v[192:193], 1.0
	s_delay_alu instid0(VALU_DEP_1) | instskip(SKIP_2) | instid1(VALU_DEP_1)
	v_rcp_f64_e32 v[198:199], v[194:195]
	s_waitcnt_depctr 0xfff
	v_fma_f64 v[200:201], -v[194:195], v[198:199], 1.0
	v_fma_f64 v[198:199], v[198:199], v[200:201], v[198:199]
	s_delay_alu instid0(VALU_DEP_1) | instskip(NEXT) | instid1(VALU_DEP_1)
	v_fma_f64 v[200:201], -v[194:195], v[198:199], 1.0
	v_fma_f64 v[198:199], v[198:199], v[200:201], v[198:199]
	v_div_scale_f64 v[200:201], vcc_lo, 1.0, v[192:193], 1.0
	s_delay_alu instid0(VALU_DEP_1) | instskip(NEXT) | instid1(VALU_DEP_1)
	v_mul_f64 v[202:203], v[200:201], v[198:199]
	v_fma_f64 v[194:195], -v[194:195], v[202:203], v[200:201]
	s_delay_alu instid0(VALU_DEP_1) | instskip(NEXT) | instid1(VALU_DEP_1)
	v_div_fmas_f64 v[194:195], v[194:195], v[198:199], v[202:203]
	v_div_fixup_f64 v[198:199], v[194:195], v[192:193], 1.0
                                        ; implicit-def: $vgpr192_vgpr193
	s_delay_alu instid0(VALU_DEP_1)
	v_mul_f64 v[200:201], v[196:197], v[198:199]
	v_xor_b32_e32 v199, 0x80000000, v199
.LBB89_374:
	s_and_not1_saveexec_b32 s3, s3
	s_cbranch_execz .LBB89_376
; %bb.375:
	v_div_scale_f64 v[196:197], null, v[192:193], v[192:193], v[194:195]
	v_div_scale_f64 v[202:203], vcc_lo, v[194:195], v[192:193], v[194:195]
	s_delay_alu instid0(VALU_DEP_2) | instskip(SKIP_2) | instid1(VALU_DEP_1)
	v_rcp_f64_e32 v[198:199], v[196:197]
	s_waitcnt_depctr 0xfff
	v_fma_f64 v[200:201], -v[196:197], v[198:199], 1.0
	v_fma_f64 v[198:199], v[198:199], v[200:201], v[198:199]
	s_delay_alu instid0(VALU_DEP_1) | instskip(NEXT) | instid1(VALU_DEP_1)
	v_fma_f64 v[200:201], -v[196:197], v[198:199], 1.0
	v_fma_f64 v[198:199], v[198:199], v[200:201], v[198:199]
	s_delay_alu instid0(VALU_DEP_1) | instskip(NEXT) | instid1(VALU_DEP_1)
	v_mul_f64 v[200:201], v[202:203], v[198:199]
	v_fma_f64 v[196:197], -v[196:197], v[200:201], v[202:203]
	s_delay_alu instid0(VALU_DEP_1) | instskip(NEXT) | instid1(VALU_DEP_1)
	v_div_fmas_f64 v[196:197], v[196:197], v[198:199], v[200:201]
	v_div_fixup_f64 v[196:197], v[196:197], v[192:193], v[194:195]
	s_delay_alu instid0(VALU_DEP_1) | instskip(NEXT) | instid1(VALU_DEP_1)
	v_fma_f64 v[192:193], v[194:195], v[196:197], v[192:193]
	v_div_scale_f64 v[194:195], null, v[192:193], v[192:193], 1.0
	s_delay_alu instid0(VALU_DEP_1) | instskip(SKIP_2) | instid1(VALU_DEP_1)
	v_rcp_f64_e32 v[198:199], v[194:195]
	s_waitcnt_depctr 0xfff
	v_fma_f64 v[200:201], -v[194:195], v[198:199], 1.0
	v_fma_f64 v[198:199], v[198:199], v[200:201], v[198:199]
	s_delay_alu instid0(VALU_DEP_1) | instskip(NEXT) | instid1(VALU_DEP_1)
	v_fma_f64 v[200:201], -v[194:195], v[198:199], 1.0
	v_fma_f64 v[198:199], v[198:199], v[200:201], v[198:199]
	v_div_scale_f64 v[200:201], vcc_lo, 1.0, v[192:193], 1.0
	s_delay_alu instid0(VALU_DEP_1) | instskip(NEXT) | instid1(VALU_DEP_1)
	v_mul_f64 v[202:203], v[200:201], v[198:199]
	v_fma_f64 v[194:195], -v[194:195], v[202:203], v[200:201]
	s_delay_alu instid0(VALU_DEP_1) | instskip(NEXT) | instid1(VALU_DEP_1)
	v_div_fmas_f64 v[194:195], v[194:195], v[198:199], v[202:203]
	v_div_fixup_f64 v[200:201], v[194:195], v[192:193], 1.0
	s_delay_alu instid0(VALU_DEP_1)
	v_mul_f64 v[198:199], v[196:197], -v[200:201]
.LBB89_376:
	s_or_b32 exec_lo, exec_lo, s3
	ds_store_2addr_b64 v211, v[200:201], v[198:199] offset1:1
.LBB89_377:
	s_or_b32 exec_lo, exec_lo, s4
	s_waitcnt lgkmcnt(0)
	s_barrier
	buffer_gl0_inv
	ds_load_2addr_b64 v[192:195], v211 offset1:1
	s_mov_b32 s3, exec_lo
	v_cmpx_lt_u32_e32 41, v210
	s_cbranch_execz .LBB89_379
; %bb.378:
	s_waitcnt lgkmcnt(0)
	v_mul_f64 v[196:197], v[192:193], v[14:15]
	v_mul_f64 v[14:15], v[194:195], v[14:15]
	s_delay_alu instid0(VALU_DEP_2) | instskip(SKIP_4) | instid1(VALU_DEP_1)
	v_fma_f64 v[200:201], v[194:195], v[12:13], v[196:197]
	ds_load_2addr_b64 v[196:199], v212 offset0:84 offset1:85
	v_fma_f64 v[12:13], v[192:193], v[12:13], -v[14:15]
	s_waitcnt lgkmcnt(0)
	v_mul_f64 v[14:15], v[198:199], v[200:201]
	v_fma_f64 v[14:15], v[196:197], v[12:13], -v[14:15]
	v_mul_f64 v[196:197], v[196:197], v[200:201]
	s_delay_alu instid0(VALU_DEP_2) | instskip(NEXT) | instid1(VALU_DEP_2)
	v_add_f64 v[8:9], v[8:9], -v[14:15]
	v_fma_f64 v[196:197], v[198:199], v[12:13], v[196:197]
	s_delay_alu instid0(VALU_DEP_1) | instskip(SKIP_3) | instid1(VALU_DEP_1)
	v_add_f64 v[10:11], v[10:11], -v[196:197]
	ds_load_2addr_b64 v[196:199], v212 offset0:86 offset1:87
	s_waitcnt lgkmcnt(0)
	v_mul_f64 v[14:15], v[198:199], v[200:201]
	v_fma_f64 v[14:15], v[196:197], v[12:13], -v[14:15]
	v_mul_f64 v[196:197], v[196:197], v[200:201]
	s_delay_alu instid0(VALU_DEP_2) | instskip(NEXT) | instid1(VALU_DEP_2)
	v_add_f64 v[4:5], v[4:5], -v[14:15]
	v_fma_f64 v[196:197], v[198:199], v[12:13], v[196:197]
	s_delay_alu instid0(VALU_DEP_1) | instskip(SKIP_3) | instid1(VALU_DEP_1)
	v_add_f64 v[6:7], v[6:7], -v[196:197]
	ds_load_2addr_b64 v[196:199], v212 offset0:88 offset1:89
	s_waitcnt lgkmcnt(0)
	v_mul_f64 v[14:15], v[198:199], v[200:201]
	v_fma_f64 v[14:15], v[196:197], v[12:13], -v[14:15]
	v_mul_f64 v[196:197], v[196:197], v[200:201]
	s_delay_alu instid0(VALU_DEP_2) | instskip(NEXT) | instid1(VALU_DEP_2)
	v_add_f64 v[0:1], v[0:1], -v[14:15]
	v_fma_f64 v[196:197], v[198:199], v[12:13], v[196:197]
	v_dual_mov_b32 v14, v200 :: v_dual_mov_b32 v15, v201
	s_delay_alu instid0(VALU_DEP_2)
	v_add_f64 v[2:3], v[2:3], -v[196:197]
.LBB89_379:
	s_or_b32 exec_lo, exec_lo, s3
	s_delay_alu instid0(SALU_CYCLE_1)
	s_mov_b32 s4, exec_lo
	s_waitcnt lgkmcnt(0)
	s_barrier
	buffer_gl0_inv
	v_cmpx_eq_u32_e32 42, v210
	s_cbranch_execz .LBB89_386
; %bb.380:
	ds_store_2addr_b64 v211, v[8:9], v[10:11] offset1:1
	ds_store_2addr_b64 v212, v[4:5], v[6:7] offset0:86 offset1:87
	ds_store_2addr_b64 v212, v[0:1], v[2:3] offset0:88 offset1:89
	ds_load_2addr_b64 v[196:199], v211 offset1:1
	s_waitcnt lgkmcnt(0)
	v_cmp_neq_f64_e32 vcc_lo, 0, v[196:197]
	v_cmp_neq_f64_e64 s3, 0, v[198:199]
	s_delay_alu instid0(VALU_DEP_1) | instskip(NEXT) | instid1(SALU_CYCLE_1)
	s_or_b32 s3, vcc_lo, s3
	s_and_b32 exec_lo, exec_lo, s3
	s_cbranch_execz .LBB89_386
; %bb.381:
	v_cmp_gt_f64_e32 vcc_lo, 0, v[196:197]
	v_xor_b32_e32 v200, 0x80000000, v197
	v_xor_b32_e32 v202, 0x80000000, v199
	s_mov_b32 s3, exec_lo
                                        ; implicit-def: $vgpr204_vgpr205
	s_delay_alu instid0(VALU_DEP_2) | instskip(SKIP_4) | instid1(VALU_DEP_1)
	v_cndmask_b32_e32 v201, v197, v200, vcc_lo
	v_cndmask_b32_e32 v200, v196, v196, vcc_lo
	v_cmp_gt_f64_e32 vcc_lo, 0, v[198:199]
	v_cndmask_b32_e32 v203, v199, v202, vcc_lo
	v_cndmask_b32_e32 v202, v198, v198, vcc_lo
	v_cmpx_ngt_f64_e32 v[200:201], v[202:203]
	s_xor_b32 s3, exec_lo, s3
                                        ; implicit-def: $vgpr200_vgpr201_vgpr202_vgpr203
	s_cbranch_execz .LBB89_383
; %bb.382:
	v_div_scale_f64 v[200:201], null, v[198:199], v[198:199], v[196:197]
	v_div_scale_f64 v[206:207], vcc_lo, v[196:197], v[198:199], v[196:197]
	s_delay_alu instid0(VALU_DEP_2) | instskip(SKIP_2) | instid1(VALU_DEP_1)
	v_rcp_f64_e32 v[202:203], v[200:201]
	s_waitcnt_depctr 0xfff
	v_fma_f64 v[204:205], -v[200:201], v[202:203], 1.0
	v_fma_f64 v[202:203], v[202:203], v[204:205], v[202:203]
	s_delay_alu instid0(VALU_DEP_1) | instskip(NEXT) | instid1(VALU_DEP_1)
	v_fma_f64 v[204:205], -v[200:201], v[202:203], 1.0
	v_fma_f64 v[202:203], v[202:203], v[204:205], v[202:203]
	s_delay_alu instid0(VALU_DEP_1) | instskip(NEXT) | instid1(VALU_DEP_1)
	v_mul_f64 v[204:205], v[206:207], v[202:203]
	v_fma_f64 v[200:201], -v[200:201], v[204:205], v[206:207]
	s_delay_alu instid0(VALU_DEP_1) | instskip(NEXT) | instid1(VALU_DEP_1)
	v_div_fmas_f64 v[200:201], v[200:201], v[202:203], v[204:205]
	v_div_fixup_f64 v[200:201], v[200:201], v[198:199], v[196:197]
	s_delay_alu instid0(VALU_DEP_1) | instskip(NEXT) | instid1(VALU_DEP_1)
	v_fma_f64 v[196:197], v[196:197], v[200:201], v[198:199]
	v_div_scale_f64 v[198:199], null, v[196:197], v[196:197], 1.0
	s_delay_alu instid0(VALU_DEP_1) | instskip(SKIP_2) | instid1(VALU_DEP_1)
	v_rcp_f64_e32 v[202:203], v[198:199]
	s_waitcnt_depctr 0xfff
	v_fma_f64 v[204:205], -v[198:199], v[202:203], 1.0
	v_fma_f64 v[202:203], v[202:203], v[204:205], v[202:203]
	s_delay_alu instid0(VALU_DEP_1) | instskip(NEXT) | instid1(VALU_DEP_1)
	v_fma_f64 v[204:205], -v[198:199], v[202:203], 1.0
	v_fma_f64 v[202:203], v[202:203], v[204:205], v[202:203]
	v_div_scale_f64 v[204:205], vcc_lo, 1.0, v[196:197], 1.0
	s_delay_alu instid0(VALU_DEP_1) | instskip(NEXT) | instid1(VALU_DEP_1)
	v_mul_f64 v[206:207], v[204:205], v[202:203]
	v_fma_f64 v[198:199], -v[198:199], v[206:207], v[204:205]
	s_delay_alu instid0(VALU_DEP_1) | instskip(NEXT) | instid1(VALU_DEP_1)
	v_div_fmas_f64 v[198:199], v[198:199], v[202:203], v[206:207]
	v_div_fixup_f64 v[202:203], v[198:199], v[196:197], 1.0
                                        ; implicit-def: $vgpr196_vgpr197
	s_delay_alu instid0(VALU_DEP_1)
	v_mul_f64 v[204:205], v[200:201], v[202:203]
	v_xor_b32_e32 v203, 0x80000000, v203
.LBB89_383:
	s_and_not1_saveexec_b32 s3, s3
	s_cbranch_execz .LBB89_385
; %bb.384:
	v_div_scale_f64 v[200:201], null, v[196:197], v[196:197], v[198:199]
	v_div_scale_f64 v[206:207], vcc_lo, v[198:199], v[196:197], v[198:199]
	s_delay_alu instid0(VALU_DEP_2) | instskip(SKIP_2) | instid1(VALU_DEP_1)
	v_rcp_f64_e32 v[202:203], v[200:201]
	s_waitcnt_depctr 0xfff
	v_fma_f64 v[204:205], -v[200:201], v[202:203], 1.0
	v_fma_f64 v[202:203], v[202:203], v[204:205], v[202:203]
	s_delay_alu instid0(VALU_DEP_1) | instskip(NEXT) | instid1(VALU_DEP_1)
	v_fma_f64 v[204:205], -v[200:201], v[202:203], 1.0
	v_fma_f64 v[202:203], v[202:203], v[204:205], v[202:203]
	s_delay_alu instid0(VALU_DEP_1) | instskip(NEXT) | instid1(VALU_DEP_1)
	v_mul_f64 v[204:205], v[206:207], v[202:203]
	v_fma_f64 v[200:201], -v[200:201], v[204:205], v[206:207]
	s_delay_alu instid0(VALU_DEP_1) | instskip(NEXT) | instid1(VALU_DEP_1)
	v_div_fmas_f64 v[200:201], v[200:201], v[202:203], v[204:205]
	v_div_fixup_f64 v[200:201], v[200:201], v[196:197], v[198:199]
	s_delay_alu instid0(VALU_DEP_1) | instskip(NEXT) | instid1(VALU_DEP_1)
	v_fma_f64 v[196:197], v[198:199], v[200:201], v[196:197]
	v_div_scale_f64 v[198:199], null, v[196:197], v[196:197], 1.0
	s_delay_alu instid0(VALU_DEP_1) | instskip(SKIP_2) | instid1(VALU_DEP_1)
	v_rcp_f64_e32 v[202:203], v[198:199]
	s_waitcnt_depctr 0xfff
	v_fma_f64 v[204:205], -v[198:199], v[202:203], 1.0
	v_fma_f64 v[202:203], v[202:203], v[204:205], v[202:203]
	s_delay_alu instid0(VALU_DEP_1) | instskip(NEXT) | instid1(VALU_DEP_1)
	v_fma_f64 v[204:205], -v[198:199], v[202:203], 1.0
	v_fma_f64 v[202:203], v[202:203], v[204:205], v[202:203]
	v_div_scale_f64 v[204:205], vcc_lo, 1.0, v[196:197], 1.0
	s_delay_alu instid0(VALU_DEP_1) | instskip(NEXT) | instid1(VALU_DEP_1)
	v_mul_f64 v[206:207], v[204:205], v[202:203]
	v_fma_f64 v[198:199], -v[198:199], v[206:207], v[204:205]
	s_delay_alu instid0(VALU_DEP_1) | instskip(NEXT) | instid1(VALU_DEP_1)
	v_div_fmas_f64 v[198:199], v[198:199], v[202:203], v[206:207]
	v_div_fixup_f64 v[204:205], v[198:199], v[196:197], 1.0
	s_delay_alu instid0(VALU_DEP_1)
	v_mul_f64 v[202:203], v[200:201], -v[204:205]
.LBB89_385:
	s_or_b32 exec_lo, exec_lo, s3
	ds_store_2addr_b64 v211, v[204:205], v[202:203] offset1:1
.LBB89_386:
	s_or_b32 exec_lo, exec_lo, s4
	s_waitcnt lgkmcnt(0)
	s_barrier
	buffer_gl0_inv
	ds_load_2addr_b64 v[196:199], v211 offset1:1
	s_mov_b32 s3, exec_lo
	v_cmpx_lt_u32_e32 42, v210
	s_cbranch_execz .LBB89_388
; %bb.387:
	s_waitcnt lgkmcnt(0)
	v_mul_f64 v[200:201], v[196:197], v[10:11]
	v_mul_f64 v[10:11], v[198:199], v[10:11]
	s_delay_alu instid0(VALU_DEP_2) | instskip(SKIP_4) | instid1(VALU_DEP_1)
	v_fma_f64 v[204:205], v[198:199], v[8:9], v[200:201]
	ds_load_2addr_b64 v[200:203], v212 offset0:86 offset1:87
	v_fma_f64 v[8:9], v[196:197], v[8:9], -v[10:11]
	s_waitcnt lgkmcnt(0)
	v_mul_f64 v[10:11], v[202:203], v[204:205]
	v_fma_f64 v[10:11], v[200:201], v[8:9], -v[10:11]
	v_mul_f64 v[200:201], v[200:201], v[204:205]
	s_delay_alu instid0(VALU_DEP_2) | instskip(NEXT) | instid1(VALU_DEP_2)
	v_add_f64 v[4:5], v[4:5], -v[10:11]
	v_fma_f64 v[200:201], v[202:203], v[8:9], v[200:201]
	s_delay_alu instid0(VALU_DEP_1) | instskip(SKIP_3) | instid1(VALU_DEP_1)
	v_add_f64 v[6:7], v[6:7], -v[200:201]
	ds_load_2addr_b64 v[200:203], v212 offset0:88 offset1:89
	s_waitcnt lgkmcnt(0)
	v_mul_f64 v[10:11], v[202:203], v[204:205]
	v_fma_f64 v[10:11], v[200:201], v[8:9], -v[10:11]
	v_mul_f64 v[200:201], v[200:201], v[204:205]
	s_delay_alu instid0(VALU_DEP_2) | instskip(NEXT) | instid1(VALU_DEP_2)
	v_add_f64 v[0:1], v[0:1], -v[10:11]
	v_fma_f64 v[200:201], v[202:203], v[8:9], v[200:201]
	v_dual_mov_b32 v10, v204 :: v_dual_mov_b32 v11, v205
	s_delay_alu instid0(VALU_DEP_2)
	v_add_f64 v[2:3], v[2:3], -v[200:201]
.LBB89_388:
	s_or_b32 exec_lo, exec_lo, s3
	s_delay_alu instid0(SALU_CYCLE_1)
	s_mov_b32 s4, exec_lo
	s_waitcnt lgkmcnt(0)
	s_barrier
	buffer_gl0_inv
	v_cmpx_eq_u32_e32 43, v210
	s_cbranch_execz .LBB89_395
; %bb.389:
	ds_store_2addr_b64 v211, v[4:5], v[6:7] offset1:1
	ds_store_2addr_b64 v212, v[0:1], v[2:3] offset0:88 offset1:89
	ds_load_2addr_b64 v[200:203], v211 offset1:1
	s_waitcnt lgkmcnt(0)
	v_cmp_neq_f64_e32 vcc_lo, 0, v[200:201]
	v_cmp_neq_f64_e64 s3, 0, v[202:203]
	s_delay_alu instid0(VALU_DEP_1) | instskip(NEXT) | instid1(SALU_CYCLE_1)
	s_or_b32 s3, vcc_lo, s3
	s_and_b32 exec_lo, exec_lo, s3
	s_cbranch_execz .LBB89_395
; %bb.390:
	v_cmp_gt_f64_e32 vcc_lo, 0, v[200:201]
	v_xor_b32_e32 v204, 0x80000000, v201
	v_xor_b32_e32 v206, 0x80000000, v203
	s_mov_b32 s3, exec_lo
                                        ; implicit-def: $vgpr208_vgpr209
	s_delay_alu instid0(VALU_DEP_2) | instskip(SKIP_4) | instid1(VALU_DEP_1)
	v_cndmask_b32_e32 v205, v201, v204, vcc_lo
	v_cndmask_b32_e32 v204, v200, v200, vcc_lo
	v_cmp_gt_f64_e32 vcc_lo, 0, v[202:203]
	v_cndmask_b32_e32 v207, v203, v206, vcc_lo
	v_cndmask_b32_e32 v206, v202, v202, vcc_lo
	v_cmpx_ngt_f64_e32 v[204:205], v[206:207]
	s_xor_b32 s3, exec_lo, s3
                                        ; implicit-def: $vgpr204_vgpr205_vgpr206_vgpr207
	s_cbranch_execz .LBB89_392
; %bb.391:
	v_div_scale_f64 v[204:205], null, v[202:203], v[202:203], v[200:201]
	v_dual_mov_b32 v176, v213 :: v_dual_mov_b32 v177, v214
	v_div_scale_f64 v[213:214], vcc_lo, v[200:201], v[202:203], v[200:201]
	s_delay_alu instid0(VALU_DEP_3) | instskip(SKIP_2) | instid1(VALU_DEP_1)
	v_rcp_f64_e32 v[206:207], v[204:205]
	s_waitcnt_depctr 0xfff
	v_fma_f64 v[208:209], -v[204:205], v[206:207], 1.0
	v_fma_f64 v[206:207], v[206:207], v[208:209], v[206:207]
	s_delay_alu instid0(VALU_DEP_1) | instskip(NEXT) | instid1(VALU_DEP_1)
	v_fma_f64 v[208:209], -v[204:205], v[206:207], 1.0
	v_fma_f64 v[206:207], v[206:207], v[208:209], v[206:207]
	s_delay_alu instid0(VALU_DEP_1) | instskip(NEXT) | instid1(VALU_DEP_1)
	v_mul_f64 v[208:209], v[213:214], v[206:207]
	v_fma_f64 v[204:205], -v[204:205], v[208:209], v[213:214]
	s_delay_alu instid0(VALU_DEP_1) | instskip(NEXT) | instid1(VALU_DEP_1)
	v_div_fmas_f64 v[204:205], v[204:205], v[206:207], v[208:209]
	v_div_fixup_f64 v[204:205], v[204:205], v[202:203], v[200:201]
	s_delay_alu instid0(VALU_DEP_1) | instskip(NEXT) | instid1(VALU_DEP_1)
	v_fma_f64 v[200:201], v[200:201], v[204:205], v[202:203]
	v_div_scale_f64 v[202:203], null, v[200:201], v[200:201], 1.0
	s_delay_alu instid0(VALU_DEP_1) | instskip(SKIP_2) | instid1(VALU_DEP_1)
	v_rcp_f64_e32 v[206:207], v[202:203]
	s_waitcnt_depctr 0xfff
	v_fma_f64 v[208:209], -v[202:203], v[206:207], 1.0
	v_fma_f64 v[206:207], v[206:207], v[208:209], v[206:207]
	s_delay_alu instid0(VALU_DEP_1) | instskip(NEXT) | instid1(VALU_DEP_1)
	v_fma_f64 v[208:209], -v[202:203], v[206:207], 1.0
	v_fma_f64 v[206:207], v[206:207], v[208:209], v[206:207]
	v_div_scale_f64 v[208:209], vcc_lo, 1.0, v[200:201], 1.0
	s_delay_alu instid0(VALU_DEP_1) | instskip(NEXT) | instid1(VALU_DEP_1)
	v_mul_f64 v[213:214], v[208:209], v[206:207]
	v_fma_f64 v[202:203], -v[202:203], v[213:214], v[208:209]
	s_delay_alu instid0(VALU_DEP_1) | instskip(SKIP_1) | instid1(VALU_DEP_2)
	v_div_fmas_f64 v[202:203], v[202:203], v[206:207], v[213:214]
	v_dual_mov_b32 v214, v177 :: v_dual_mov_b32 v213, v176
	v_div_fixup_f64 v[206:207], v[202:203], v[200:201], 1.0
                                        ; implicit-def: $vgpr200_vgpr201
	s_delay_alu instid0(VALU_DEP_1)
	v_mul_f64 v[208:209], v[204:205], v[206:207]
	v_xor_b32_e32 v207, 0x80000000, v207
.LBB89_392:
	s_and_not1_saveexec_b32 s3, s3
	s_cbranch_execz .LBB89_394
; %bb.393:
	v_div_scale_f64 v[204:205], null, v[200:201], v[200:201], v[202:203]
	v_dual_mov_b32 v176, v213 :: v_dual_mov_b32 v177, v214
	v_div_scale_f64 v[213:214], vcc_lo, v[202:203], v[200:201], v[202:203]
	s_delay_alu instid0(VALU_DEP_3) | instskip(SKIP_2) | instid1(VALU_DEP_1)
	v_rcp_f64_e32 v[206:207], v[204:205]
	s_waitcnt_depctr 0xfff
	v_fma_f64 v[208:209], -v[204:205], v[206:207], 1.0
	v_fma_f64 v[206:207], v[206:207], v[208:209], v[206:207]
	s_delay_alu instid0(VALU_DEP_1) | instskip(NEXT) | instid1(VALU_DEP_1)
	v_fma_f64 v[208:209], -v[204:205], v[206:207], 1.0
	v_fma_f64 v[206:207], v[206:207], v[208:209], v[206:207]
	s_delay_alu instid0(VALU_DEP_1) | instskip(NEXT) | instid1(VALU_DEP_1)
	v_mul_f64 v[208:209], v[213:214], v[206:207]
	v_fma_f64 v[204:205], -v[204:205], v[208:209], v[213:214]
	s_delay_alu instid0(VALU_DEP_1) | instskip(NEXT) | instid1(VALU_DEP_1)
	v_div_fmas_f64 v[204:205], v[204:205], v[206:207], v[208:209]
	v_div_fixup_f64 v[204:205], v[204:205], v[200:201], v[202:203]
	s_delay_alu instid0(VALU_DEP_1) | instskip(NEXT) | instid1(VALU_DEP_1)
	v_fma_f64 v[200:201], v[202:203], v[204:205], v[200:201]
	v_div_scale_f64 v[202:203], null, v[200:201], v[200:201], 1.0
	s_delay_alu instid0(VALU_DEP_1) | instskip(SKIP_2) | instid1(VALU_DEP_1)
	v_rcp_f64_e32 v[206:207], v[202:203]
	s_waitcnt_depctr 0xfff
	v_fma_f64 v[208:209], -v[202:203], v[206:207], 1.0
	v_fma_f64 v[206:207], v[206:207], v[208:209], v[206:207]
	s_delay_alu instid0(VALU_DEP_1) | instskip(NEXT) | instid1(VALU_DEP_1)
	v_fma_f64 v[208:209], -v[202:203], v[206:207], 1.0
	v_fma_f64 v[206:207], v[206:207], v[208:209], v[206:207]
	v_div_scale_f64 v[208:209], vcc_lo, 1.0, v[200:201], 1.0
	s_delay_alu instid0(VALU_DEP_1) | instskip(NEXT) | instid1(VALU_DEP_1)
	v_mul_f64 v[213:214], v[208:209], v[206:207]
	v_fma_f64 v[202:203], -v[202:203], v[213:214], v[208:209]
	s_delay_alu instid0(VALU_DEP_1) | instskip(SKIP_1) | instid1(VALU_DEP_2)
	v_div_fmas_f64 v[202:203], v[202:203], v[206:207], v[213:214]
	v_dual_mov_b32 v214, v177 :: v_dual_mov_b32 v213, v176
	v_div_fixup_f64 v[208:209], v[202:203], v[200:201], 1.0
	s_delay_alu instid0(VALU_DEP_1)
	v_mul_f64 v[206:207], v[204:205], -v[208:209]
.LBB89_394:
	s_or_b32 exec_lo, exec_lo, s3
	ds_store_2addr_b64 v211, v[208:209], v[206:207] offset1:1
.LBB89_395:
	s_or_b32 exec_lo, exec_lo, s4
	s_waitcnt lgkmcnt(0)
	s_barrier
	buffer_gl0_inv
	ds_load_2addr_b64 v[200:203], v211 offset1:1
	s_mov_b32 s3, exec_lo
	v_cmpx_lt_u32_e32 43, v210
	s_cbranch_execz .LBB89_397
; %bb.396:
	s_waitcnt lgkmcnt(0)
	v_mul_f64 v[204:205], v[200:201], v[6:7]
	v_mul_f64 v[6:7], v[202:203], v[6:7]
	s_delay_alu instid0(VALU_DEP_2) | instskip(SKIP_4) | instid1(VALU_DEP_1)
	v_fma_f64 v[208:209], v[202:203], v[4:5], v[204:205]
	ds_load_2addr_b64 v[204:207], v212 offset0:88 offset1:89
	v_fma_f64 v[4:5], v[200:201], v[4:5], -v[6:7]
	s_waitcnt lgkmcnt(0)
	v_mul_f64 v[6:7], v[206:207], v[208:209]
	v_fma_f64 v[6:7], v[204:205], v[4:5], -v[6:7]
	v_mul_f64 v[204:205], v[204:205], v[208:209]
	s_delay_alu instid0(VALU_DEP_2) | instskip(NEXT) | instid1(VALU_DEP_2)
	v_add_f64 v[0:1], v[0:1], -v[6:7]
	v_fma_f64 v[204:205], v[206:207], v[4:5], v[204:205]
	v_dual_mov_b32 v6, v208 :: v_dual_mov_b32 v7, v209
	s_delay_alu instid0(VALU_DEP_2)
	v_add_f64 v[2:3], v[2:3], -v[204:205]
.LBB89_397:
	s_or_b32 exec_lo, exec_lo, s3
	s_delay_alu instid0(SALU_CYCLE_1)
	s_mov_b32 s4, exec_lo
	s_waitcnt lgkmcnt(0)
	s_barrier
	buffer_gl0_inv
	v_cmpx_eq_u32_e32 44, v210
	s_cbranch_execz .LBB89_404
; %bb.398:
	v_cmp_neq_f64_e32 vcc_lo, 0, v[0:1]
	v_cmp_neq_f64_e64 s3, 0, v[2:3]
	ds_store_2addr_b64 v211, v[0:1], v[2:3] offset1:1
	s_or_b32 s3, vcc_lo, s3
	s_delay_alu instid0(SALU_CYCLE_1)
	s_and_b32 exec_lo, exec_lo, s3
	s_cbranch_execz .LBB89_404
; %bb.399:
	v_cmp_gt_f64_e32 vcc_lo, 0, v[0:1]
	v_xor_b32_e32 v204, 0x80000000, v1
	v_xor_b32_e32 v206, 0x80000000, v3
	s_mov_b32 s3, exec_lo
                                        ; implicit-def: $vgpr208_vgpr209
	s_delay_alu instid0(VALU_DEP_2) | instskip(SKIP_4) | instid1(VALU_DEP_1)
	v_cndmask_b32_e32 v205, v1, v204, vcc_lo
	v_cndmask_b32_e32 v204, v0, v0, vcc_lo
	v_cmp_gt_f64_e32 vcc_lo, 0, v[2:3]
	v_cndmask_b32_e32 v207, v3, v206, vcc_lo
	v_cndmask_b32_e32 v206, v2, v2, vcc_lo
	v_cmpx_ngt_f64_e32 v[204:205], v[206:207]
	s_xor_b32 s3, exec_lo, s3
                                        ; implicit-def: $vgpr204_vgpr205_vgpr206_vgpr207
	s_cbranch_execz .LBB89_401
; %bb.400:
	v_div_scale_f64 v[204:205], null, v[2:3], v[2:3], v[0:1]
	v_dual_mov_b32 v172, v178 :: v_dual_mov_b32 v173, v179
	v_dual_mov_b32 v178, v213 :: v_dual_mov_b32 v179, v214
	v_div_scale_f64 v[212:213], vcc_lo, v[0:1], v[2:3], v[0:1]
	v_dual_mov_b32 v176, v245 :: v_dual_mov_b32 v177, v246
	v_dual_mov_b32 v247, v244 :: v_dual_mov_b32 v246, v243
	v_dual_mov_b32 v245, v242 :: v_dual_mov_b32 v244, v241
	v_dual_mov_b32 v243, v240 :: v_dual_mov_b32 v242, v239
	v_dual_mov_b32 v241, v238 :: v_dual_mov_b32 v240, v237
	v_dual_mov_b32 v239, v236 :: v_dual_mov_b32 v238, v235
	v_dual_mov_b32 v237, v234 :: v_dual_mov_b32 v236, v233
	v_dual_mov_b32 v235, v232 :: v_dual_mov_b32 v234, v231
	v_dual_mov_b32 v233, v230 :: v_dual_mov_b32 v232, v229
	v_dual_mov_b32 v231, v228 :: v_dual_mov_b32 v230, v227
	v_dual_mov_b32 v229, v226 :: v_dual_mov_b32 v228, v225
	v_dual_mov_b32 v227, v224 :: v_dual_mov_b32 v226, v223
	v_dual_mov_b32 v225, v222 :: v_dual_mov_b32 v224, v221
	v_dual_mov_b32 v223, v220 :: v_dual_mov_b32 v222, v219
	v_dual_mov_b32 v221, v218 :: v_dual_mov_b32 v220, v217
	v_rcp_f64_e32 v[206:207], v[204:205]
	s_waitcnt_depctr 0xfff
	v_fma_f64 v[208:209], -v[204:205], v[206:207], 1.0
	s_delay_alu instid0(VALU_DEP_1) | instskip(NEXT) | instid1(VALU_DEP_1)
	v_fma_f64 v[206:207], v[206:207], v[208:209], v[206:207]
	v_fma_f64 v[208:209], -v[204:205], v[206:207], 1.0
	s_delay_alu instid0(VALU_DEP_1) | instskip(NEXT) | instid1(VALU_DEP_1)
	v_fma_f64 v[206:207], v[206:207], v[208:209], v[206:207]
	v_mul_f64 v[208:209], v[212:213], v[206:207]
	s_delay_alu instid0(VALU_DEP_1) | instskip(NEXT) | instid1(VALU_DEP_1)
	v_fma_f64 v[204:205], -v[204:205], v[208:209], v[212:213]
	v_div_fmas_f64 v[204:205], v[204:205], v[206:207], v[208:209]
	s_delay_alu instid0(VALU_DEP_1) | instskip(NEXT) | instid1(VALU_DEP_1)
	v_div_fixup_f64 v[204:205], v[204:205], v[2:3], v[0:1]
	v_fma_f64 v[206:207], v[0:1], v[204:205], v[2:3]
	s_delay_alu instid0(VALU_DEP_1) | instskip(NEXT) | instid1(VALU_DEP_1)
	v_div_scale_f64 v[208:209], null, v[206:207], v[206:207], 1.0
	v_rcp_f64_e32 v[212:213], v[208:209]
	s_waitcnt_depctr 0xfff
	v_fma_f64 v[214:215], -v[208:209], v[212:213], 1.0
	s_delay_alu instid0(VALU_DEP_1) | instskip(NEXT) | instid1(VALU_DEP_1)
	v_fma_f64 v[212:213], v[212:213], v[214:215], v[212:213]
	v_fma_f64 v[214:215], -v[208:209], v[212:213], 1.0
	s_delay_alu instid0(VALU_DEP_1) | instskip(SKIP_1) | instid1(VALU_DEP_1)
	v_fma_f64 v[212:213], v[212:213], v[214:215], v[212:213]
	v_div_scale_f64 v[214:215], vcc_lo, 1.0, v[206:207], 1.0
	v_mul_f64 v[216:217], v[214:215], v[212:213]
	s_delay_alu instid0(VALU_DEP_1) | instskip(NEXT) | instid1(VALU_DEP_1)
	v_fma_f64 v[208:209], -v[208:209], v[216:217], v[214:215]
	v_div_fmas_f64 v[208:209], v[208:209], v[212:213], v[216:217]
	v_dual_mov_b32 v214, v179 :: v_dual_mov_b32 v213, v178
	v_dual_mov_b32 v179, v173 :: v_dual_mov_b32 v178, v172
	v_dual_mov_b32 v217, v220 :: v_dual_mov_b32 v218, v221
	v_dual_mov_b32 v219, v222 :: v_dual_mov_b32 v220, v223
	v_dual_mov_b32 v221, v224 :: v_dual_mov_b32 v222, v225
	v_dual_mov_b32 v223, v226 :: v_dual_mov_b32 v224, v227
	v_dual_mov_b32 v225, v228 :: v_dual_mov_b32 v226, v229
	v_dual_mov_b32 v227, v230 :: v_dual_mov_b32 v228, v231
	v_dual_mov_b32 v229, v232 :: v_dual_mov_b32 v230, v233
	v_dual_mov_b32 v231, v234 :: v_dual_mov_b32 v232, v235
	v_dual_mov_b32 v233, v236 :: v_dual_mov_b32 v234, v237
	v_dual_mov_b32 v235, v238 :: v_dual_mov_b32 v236, v239
	v_dual_mov_b32 v237, v240 :: v_dual_mov_b32 v238, v241
	v_dual_mov_b32 v239, v242 :: v_dual_mov_b32 v240, v243
	v_dual_mov_b32 v241, v244 :: v_dual_mov_b32 v242, v245
	v_dual_mov_b32 v243, v246 :: v_dual_mov_b32 v244, v247
	v_dual_mov_b32 v246, v177 :: v_dual_mov_b32 v245, v176
	v_div_fixup_f64 v[206:207], v[208:209], v[206:207], 1.0
	s_delay_alu instid0(VALU_DEP_1)
	v_mul_f64 v[208:209], v[204:205], v[206:207]
	v_xor_b32_e32 v207, 0x80000000, v207
.LBB89_401:
	s_and_not1_saveexec_b32 s3, s3
	s_cbranch_execz .LBB89_403
; %bb.402:
	v_div_scale_f64 v[204:205], null, v[0:1], v[0:1], v[2:3]
	v_dual_mov_b32 v172, v178 :: v_dual_mov_b32 v173, v179
	v_dual_mov_b32 v178, v213 :: v_dual_mov_b32 v179, v214
	v_div_scale_f64 v[212:213], vcc_lo, v[2:3], v[0:1], v[2:3]
	v_dual_mov_b32 v176, v245 :: v_dual_mov_b32 v177, v246
	v_dual_mov_b32 v247, v244 :: v_dual_mov_b32 v246, v243
	;; [unrolled: 1-line block ×15, first 2 shown]
	v_rcp_f64_e32 v[206:207], v[204:205]
	s_waitcnt_depctr 0xfff
	v_fma_f64 v[208:209], -v[204:205], v[206:207], 1.0
	s_delay_alu instid0(VALU_DEP_1) | instskip(NEXT) | instid1(VALU_DEP_1)
	v_fma_f64 v[206:207], v[206:207], v[208:209], v[206:207]
	v_fma_f64 v[208:209], -v[204:205], v[206:207], 1.0
	s_delay_alu instid0(VALU_DEP_1) | instskip(NEXT) | instid1(VALU_DEP_1)
	v_fma_f64 v[206:207], v[206:207], v[208:209], v[206:207]
	v_mul_f64 v[208:209], v[212:213], v[206:207]
	s_delay_alu instid0(VALU_DEP_1) | instskip(NEXT) | instid1(VALU_DEP_1)
	v_fma_f64 v[204:205], -v[204:205], v[208:209], v[212:213]
	v_div_fmas_f64 v[204:205], v[204:205], v[206:207], v[208:209]
	s_delay_alu instid0(VALU_DEP_1) | instskip(NEXT) | instid1(VALU_DEP_1)
	v_div_fixup_f64 v[204:205], v[204:205], v[0:1], v[2:3]
	v_fma_f64 v[206:207], v[2:3], v[204:205], v[0:1]
	s_delay_alu instid0(VALU_DEP_1) | instskip(NEXT) | instid1(VALU_DEP_1)
	v_div_scale_f64 v[208:209], null, v[206:207], v[206:207], 1.0
	v_rcp_f64_e32 v[212:213], v[208:209]
	s_waitcnt_depctr 0xfff
	v_fma_f64 v[214:215], -v[208:209], v[212:213], 1.0
	s_delay_alu instid0(VALU_DEP_1) | instskip(NEXT) | instid1(VALU_DEP_1)
	v_fma_f64 v[212:213], v[212:213], v[214:215], v[212:213]
	v_fma_f64 v[214:215], -v[208:209], v[212:213], 1.0
	s_delay_alu instid0(VALU_DEP_1) | instskip(SKIP_1) | instid1(VALU_DEP_1)
	v_fma_f64 v[212:213], v[212:213], v[214:215], v[212:213]
	v_div_scale_f64 v[214:215], vcc_lo, 1.0, v[206:207], 1.0
	v_mul_f64 v[216:217], v[214:215], v[212:213]
	s_delay_alu instid0(VALU_DEP_1) | instskip(NEXT) | instid1(VALU_DEP_1)
	v_fma_f64 v[208:209], -v[208:209], v[216:217], v[214:215]
	v_div_fmas_f64 v[208:209], v[208:209], v[212:213], v[216:217]
	v_dual_mov_b32 v214, v179 :: v_dual_mov_b32 v213, v178
	v_dual_mov_b32 v179, v173 :: v_dual_mov_b32 v178, v172
	;; [unrolled: 1-line block ×17, first 2 shown]
	v_div_fixup_f64 v[208:209], v[208:209], v[206:207], 1.0
	s_delay_alu instid0(VALU_DEP_1)
	v_mul_f64 v[206:207], v[204:205], -v[208:209]
.LBB89_403:
	s_or_b32 exec_lo, exec_lo, s3
	ds_store_2addr_b64 v211, v[208:209], v[206:207] offset1:1
.LBB89_404:
	s_or_b32 exec_lo, exec_lo, s4
	s_waitcnt lgkmcnt(0)
	s_barrier
	buffer_gl0_inv
	ds_load_2addr_b64 v[204:207], v211 offset1:1
	s_mov_b32 s3, exec_lo
	v_cmpx_lt_u32_e32 44, v210
	s_cbranch_execz .LBB89_406
; %bb.405:
	s_waitcnt lgkmcnt(0)
	v_mul_f64 v[208:209], v[206:207], v[2:3]
	v_mul_f64 v[2:3], v[204:205], v[2:3]
	s_delay_alu instid0(VALU_DEP_2) | instskip(NEXT) | instid1(VALU_DEP_2)
	v_fma_f64 v[208:209], v[204:205], v[0:1], -v[208:209]
	v_fma_f64 v[2:3], v[206:207], v[0:1], v[2:3]
	s_delay_alu instid0(VALU_DEP_2)
	v_dual_mov_b32 v0, v208 :: v_dual_mov_b32 v1, v209
.LBB89_406:
	s_or_b32 exec_lo, exec_lo, s3
	s_waitcnt lgkmcnt(0)
	s_barrier
	buffer_gl0_inv
	s_and_saveexec_b32 s12, s2
	s_cbranch_execz .LBB89_409
; %bb.407:
	scratch_load_b128 v[208:211], off, off offset:248 ; 16-byte Folded Reload
	s_load_b64 s[14:15], s[0:1], 0x28
	s_waitcnt vmcnt(0)
	v_cmp_eq_f64_e32 vcc_lo, 0, v[208:209]
	v_cmp_eq_f64_e64 s2, 0, v[210:211]
	scratch_load_b128 v[208:211], off, off offset:264 ; 16-byte Folded Reload
	s_and_b32 s2, vcc_lo, s2
	s_waitcnt vmcnt(0)
	v_cmp_neq_f64_e64 s3, 0, v[208:209]
	v_cmp_neq_f64_e64 s4, 0, v[210:211]
	scratch_load_b128 v[208:211], off, off offset:280 ; 16-byte Folded Reload
	s_or_b32 s3, s3, s4
	s_delay_alu instid0(SALU_CYCLE_1)
	s_or_b32 vcc_lo, s3, s2
	s_waitcnt vmcnt(0)
	v_cmp_eq_f64_e64 s5, 0, v[208:209]
	v_cmp_eq_f64_e64 s6, 0, v[210:211]
	scratch_load_b128 v[208:211], off, off offset:296 ; 16-byte Folded Reload
	s_and_b32 s4, s5, s6
	s_waitcnt vmcnt(0)
	v_cmp_eq_f64_e64 s7, 0, v[208:209]
	v_cmp_eq_f64_e64 s8, 0, v[210:211]
	scratch_load_b128 v[208:211], off, off offset:312 ; 16-byte Folded Reload
	s_and_b32 s6, s7, s8
	s_waitcnt vmcnt(0)
	v_cmp_eq_f64_e64 s9, 0, v[208:209]
	v_cmp_eq_f64_e64 s10, 0, v[210:211]
	scratch_load_b128 v[209:212], off, off offset:328 ; 16-byte Folded Reload
	v_cndmask_b32_e64 v208, 0, 1, s2
	s_delay_alu instid0(VALU_DEP_1) | instskip(NEXT) | instid1(VALU_DEP_1)
	v_cndmask_b32_e32 v208, 2, v208, vcc_lo
	v_cmp_eq_u32_e64 s3, 0, v208
	s_delay_alu instid0(VALU_DEP_1) | instskip(NEXT) | instid1(SALU_CYCLE_1)
	s_and_b32 s3, s4, s3
	v_cndmask_b32_e64 v208, v208, 3, s3
	s_delay_alu instid0(VALU_DEP_1) | instskip(NEXT) | instid1(VALU_DEP_1)
	v_cmp_eq_u32_e64 s5, 0, v208
	s_and_b32 s5, s6, s5
	s_delay_alu instid0(SALU_CYCLE_1) | instskip(NEXT) | instid1(VALU_DEP_1)
	v_cndmask_b32_e64 v208, v208, 4, s5
	v_cmp_eq_u32_e64 s7, 0, v208
	s_and_b32 s8, s9, s10
	s_delay_alu instid0(VALU_DEP_1) | instid1(SALU_CYCLE_1)
	s_and_b32 s7, s8, s7
	s_delay_alu instid0(SALU_CYCLE_1) | instskip(NEXT) | instid1(VALU_DEP_1)
	v_cndmask_b32_e64 v208, v208, 5, s7
	v_cmp_eq_u32_e64 s9, 0, v208
	s_waitcnt vmcnt(0)
	v_cmp_eq_f64_e32 vcc_lo, 0, v[209:210]
	v_cmp_eq_f64_e64 s2, 0, v[211:212]
	scratch_load_b128 v[209:212], off, off offset:344 ; 16-byte Folded Reload
	s_and_b32 s2, vcc_lo, s2
	s_delay_alu instid0(SALU_CYCLE_1) | instskip(NEXT) | instid1(SALU_CYCLE_1)
	s_and_b32 s2, s2, s9
	v_cndmask_b32_e64 v208, v208, 6, s2
	s_delay_alu instid0(VALU_DEP_1)
	v_cmp_eq_u32_e64 s9, 0, v208
	s_waitcnt vmcnt(0)
	v_cmp_eq_f64_e64 s3, 0, v[209:210]
	v_cmp_eq_f64_e64 s4, 0, v[211:212]
	scratch_load_b128 v[209:212], off, off offset:360 ; 16-byte Folded Reload
	s_and_b32 s3, s3, s4
	s_delay_alu instid0(SALU_CYCLE_1) | instskip(NEXT) | instid1(SALU_CYCLE_1)
	s_and_b32 s3, s3, s9
	v_cndmask_b32_e64 v208, v208, 7, s3
	s_delay_alu instid0(VALU_DEP_1)
	v_cmp_eq_u32_e64 s9, 0, v208
	s_waitcnt vmcnt(0)
	v_cmp_eq_f64_e64 s5, 0, v[209:210]
	v_cmp_eq_f64_e64 s6, 0, v[211:212]
	scratch_load_b128 v[209:212], off, off offset:376 ; 16-byte Folded Reload
	s_and_b32 s5, s5, s6
	;; [unrolled: 10-line block ×3, first 2 shown]
	s_delay_alu instid0(SALU_CYCLE_1) | instskip(NEXT) | instid1(SALU_CYCLE_1)
	s_and_b32 s7, s7, s9
	v_cndmask_b32_e64 v208, v208, 9, s7
	s_delay_alu instid0(VALU_DEP_1)
	v_cmp_eq_u32_e64 s9, 0, v208
	s_waitcnt vmcnt(0)
	v_cmp_eq_f64_e32 vcc_lo, 0, v[209:210]
	v_cmp_eq_f64_e64 s2, 0, v[211:212]
	scratch_load_b128 v[209:212], off, off offset:408 ; 16-byte Folded Reload
	s_and_b32 s2, vcc_lo, s2
	s_delay_alu instid0(SALU_CYCLE_1) | instskip(NEXT) | instid1(SALU_CYCLE_1)
	s_and_b32 s2, s2, s9
	v_cndmask_b32_e64 v208, v208, 10, s2
	s_delay_alu instid0(VALU_DEP_1)
	v_cmp_eq_u32_e64 s9, 0, v208
	s_waitcnt vmcnt(0)
	v_cmp_eq_f64_e64 s3, 0, v[209:210]
	v_cmp_eq_f64_e64 s4, 0, v[211:212]
	scratch_load_b128 v[209:212], off, off offset:424 ; 16-byte Folded Reload
	s_and_b32 s3, s3, s4
	s_delay_alu instid0(SALU_CYCLE_1) | instskip(NEXT) | instid1(SALU_CYCLE_1)
	s_and_b32 s3, s3, s9
	v_cndmask_b32_e64 v208, v208, 11, s3
	s_delay_alu instid0(VALU_DEP_1)
	v_cmp_eq_u32_e64 s9, 0, v208
	s_waitcnt vmcnt(0)
	v_cmp_eq_f64_e64 s5, 0, v[209:210]
	v_cmp_eq_f64_e64 s6, 0, v[211:212]
	scratch_load_b128 v[209:212], off, off offset:440 ; 16-byte Folded Reload
	s_and_b32 s6, s5, s6
	;; [unrolled: 10-line block ×3, first 2 shown]
	s_delay_alu instid0(SALU_CYCLE_1) | instskip(NEXT) | instid1(SALU_CYCLE_1)
	s_and_b32 s6, s7, s6
	v_cndmask_b32_e64 v208, v208, 13, s6
	s_delay_alu instid0(VALU_DEP_1)
	v_cmp_eq_u32_e64 s8, 0, v208
	s_waitcnt vmcnt(0)
	v_cmp_eq_f64_e32 vcc_lo, 0, v[209:210]
	v_cmp_eq_f64_e64 s2, 0, v[211:212]
	scratch_load_b128 v[209:212], off, off offset:472 ; 16-byte Folded Reload
	s_and_b32 s2, vcc_lo, s2
	s_delay_alu instid0(SALU_CYCLE_1) | instskip(NEXT) | instid1(SALU_CYCLE_1)
	s_and_b32 s0, s2, s8
	v_cndmask_b32_e64 v208, v208, 14, s0
	s_delay_alu instid0(VALU_DEP_1)
	v_cmp_eq_u32_e64 s1, 0, v208
	s_waitcnt vmcnt(0)
	v_cmp_eq_f64_e64 s3, 0, v[209:210]
	v_cmp_eq_f64_e64 s4, 0, v[211:212]
	scratch_load_b128 v[209:212], off, off offset:488 ; 16-byte Folded Reload
	s_and_b32 s2, s3, s4
	s_delay_alu instid0(SALU_CYCLE_1)
	s_and_b32 s1, s2, s1
	s_waitcnt vmcnt(0)
	v_cmp_eq_f64_e64 s10, 0, v[209:210]
	v_cmp_eq_f64_e64 s5, 0, v[211:212]
	scratch_load_b128 v[209:212], off, off offset:504 ; 16-byte Folded Reload
	s_and_b32 s5, s10, s5
	s_waitcnt vmcnt(0)
	v_cmp_eq_f64_e64 s6, 0, v[209:210]
	v_cmp_eq_f64_e64 s7, 0, v[211:212]
	scratch_load_b128 v[209:212], off, off offset:520 ; 16-byte Folded Reload
	s_and_b32 s6, s6, s7
	s_waitcnt vmcnt(0)
	v_cmp_eq_f64_e32 vcc_lo, 0, v[209:210]
	v_cndmask_b32_e64 v210, v208, 15, s1
	v_lshlrev_b64 v[208:209], 2, v[217:218]
	scratch_load_b128 v[215:218], off, off offset:536 ; 16-byte Folded Reload
	v_cmp_eq_f64_e64 s0, 0, v[211:212]
	v_cmp_eq_u32_e64 s3, 0, v210
	s_waitcnt lgkmcnt(0)
	v_add_co_u32 v208, s4, s14, v208
	s_delay_alu instid0(VALU_DEP_1) | instskip(NEXT) | instid1(VALU_DEP_3)
	v_add_co_ci_u32_e64 v209, s4, s15, v209, s4
	s_and_b32 s3, s5, s3
	s_delay_alu instid0(SALU_CYCLE_1) | instskip(SKIP_2) | instid1(VALU_DEP_1)
	v_cndmask_b32_e64 v211, v210, 16, s3
	global_load_b32 v210, v[208:209], off
	v_cmp_eq_u32_e64 s5, 0, v211
	s_and_b32 s5, s6, s5
	s_delay_alu instid0(SALU_CYCLE_1) | instskip(NEXT) | instid1(VALU_DEP_1)
	v_cndmask_b32_e64 v211, v211, 17, s5
	v_cmp_eq_u32_e64 s7, 0, v211
	s_and_b32 s0, vcc_lo, s0
	s_delay_alu instid0(VALU_DEP_1) | instid1(SALU_CYCLE_1)
	s_and_b32 s0, s0, s7
	s_delay_alu instid0(SALU_CYCLE_1) | instskip(NEXT) | instid1(VALU_DEP_1)
	v_cndmask_b32_e64 v211, v211, 18, s0
	v_cmp_eq_u32_e64 s7, 0, v211
	s_waitcnt vmcnt(1)
	v_cmp_eq_f64_e64 s1, 0, v[215:216]
	v_cmp_eq_f64_e64 s2, 0, v[217:218]
	scratch_load_b128 v[215:218], off, off offset:560 ; 16-byte Folded Reload
	s_and_b32 s1, s1, s2
	s_delay_alu instid0(SALU_CYCLE_1) | instskip(NEXT) | instid1(SALU_CYCLE_1)
	s_and_b32 s1, s1, s7
	v_cndmask_b32_e64 v211, v211, 19, s1
	s_delay_alu instid0(VALU_DEP_1)
	v_cmp_eq_u32_e64 s7, 0, v211
	s_waitcnt vmcnt(0)
	v_cmp_eq_f64_e64 s3, 0, v[215:216]
	v_cmp_eq_f64_e64 s4, 0, v[217:218]
	scratch_load_b128 v[215:218], off, off offset:576 ; 16-byte Folded Reload
	s_and_b32 s3, s3, s4
	s_delay_alu instid0(SALU_CYCLE_1) | instskip(NEXT) | instid1(SALU_CYCLE_1)
	s_and_b32 s3, s3, s7
	v_cndmask_b32_e64 v211, v211, 20, s3
	s_delay_alu instid0(VALU_DEP_1)
	;; [unrolled: 10-line block ×3, first 2 shown]
	v_cmp_eq_u32_e64 s7, 0, v211
	s_waitcnt vmcnt(0)
	v_cmp_eq_f64_e32 vcc_lo, 0, v[215:216]
	v_cmp_eq_f64_e64 s0, 0, v[217:218]
	scratch_load_b128 v[215:218], off, off offset:608 ; 16-byte Folded Reload
	s_and_b32 s0, vcc_lo, s0
	s_delay_alu instid0(SALU_CYCLE_1) | instskip(NEXT) | instid1(SALU_CYCLE_1)
	s_and_b32 s0, s0, s7
	v_cndmask_b32_e64 v211, v211, 22, s0
	s_delay_alu instid0(VALU_DEP_1)
	v_cmp_eq_u32_e32 vcc_lo, 0, v211
	s_waitcnt vmcnt(0)
	v_cmp_eq_f64_e64 s1, 0, v[215:216]
	v_cmp_eq_f64_e64 s2, 0, v[217:218]
	scratch_load_b128 v[215:218], off, off offset:624 ; 16-byte Folded Reload
	s_and_b32 s0, s1, s2
	s_delay_alu instid0(SALU_CYCLE_1) | instskip(NEXT) | instid1(SALU_CYCLE_1)
	s_and_b32 s0, s0, vcc_lo
	v_cndmask_b32_e64 v211, v211, 23, s0
	s_delay_alu instid0(VALU_DEP_1)
	v_cmp_eq_u32_e32 vcc_lo, 0, v211
	s_waitcnt vmcnt(0)
	v_cmp_eq_f64_e64 s3, 0, v[215:216]
	v_cmp_eq_f64_e64 s4, 0, v[217:218]
	scratch_load_b128 v[215:218], off, off offset:640 ; 16-byte Folded Reload
	s_and_b32 s0, s3, s4
	s_delay_alu instid0(SALU_CYCLE_1) | instskip(NEXT) | instid1(SALU_CYCLE_1)
	s_and_b32 s0, s0, vcc_lo
	v_cndmask_b32_e64 v211, v211, 24, s0
	s_delay_alu instid0(VALU_DEP_1)
	v_cmp_eq_u32_e64 s1, 0, v211
	s_waitcnt vmcnt(0)
	v_cmp_eq_f64_e64 s5, 0, v[215:216]
	v_cmp_eq_f64_e64 s6, 0, v[217:218]
	scratch_load_b128 v[215:218], off, off offset:656 ; 16-byte Folded Reload
	s_and_b32 s2, s5, s6
	s_delay_alu instid0(SALU_CYCLE_1) | instskip(NEXT) | instid1(SALU_CYCLE_1)
	s_and_b32 s1, s2, s1
	v_cndmask_b32_e64 v211, v211, 25, s1
	s_delay_alu instid0(VALU_DEP_1)
	v_cmp_eq_u32_e64 s3, 0, v211
	s_waitcnt vmcnt(0)
	v_cmp_eq_f64_e64 s7, 0, v[215:216]
	v_cmp_eq_f64_e64 s8, 0, v[217:218]
	scratch_load_b128 v[215:218], off, off offset:672 ; 16-byte Folded Reload
	s_and_b32 s4, s7, s8
	s_delay_alu instid0(SALU_CYCLE_1) | instskip(NEXT) | instid1(SALU_CYCLE_1)
	s_and_b32 s3, s4, s3
	v_cndmask_b32_e64 v211, v211, 26, s3
	s_delay_alu instid0(VALU_DEP_1)
	v_cmp_eq_u32_e64 s5, 0, v211
	s_waitcnt vmcnt(0)
	v_cmp_eq_f64_e64 s9, 0, v[215:216]
	v_cmp_eq_f64_e64 s10, 0, v[217:218]
	scratch_load_b128 v[215:218], off, off offset:688 ; 16-byte Folded Reload
	s_and_b32 s6, s9, s10
	s_delay_alu instid0(SALU_CYCLE_1) | instskip(NEXT) | instid1(SALU_CYCLE_1)
	s_and_b32 s5, s6, s5
	v_cndmask_b32_e64 v211, v211, 27, s5
	s_delay_alu instid0(VALU_DEP_1)
	v_cmp_eq_u32_e64 s7, 0, v211
	s_waitcnt vmcnt(0)
	v_cmp_eq_f64_e32 vcc_lo, 0, v[215:216]
	v_cmp_eq_f64_e64 s0, 0, v[217:218]
	scratch_load_b128 v[215:218], off, off offset:704 ; 16-byte Folded Reload
	s_and_b32 s0, vcc_lo, s0
	s_delay_alu instid0(SALU_CYCLE_1) | instskip(NEXT) | instid1(SALU_CYCLE_1)
	s_and_b32 s0, s0, s7
	v_cndmask_b32_e64 v211, v211, 28, s0
	s_delay_alu instid0(VALU_DEP_1)
	v_cmp_eq_u32_e64 s7, 0, v211
	s_waitcnt vmcnt(0)
	v_cmp_eq_f64_e64 s1, 0, v[215:216]
	v_cmp_eq_f64_e64 s2, 0, v[217:218]
	scratch_load_b128 v[215:218], off, off offset:720 ; 16-byte Folded Reload
	s_and_b32 s1, s1, s2
	s_delay_alu instid0(SALU_CYCLE_1) | instskip(NEXT) | instid1(SALU_CYCLE_1)
	s_and_b32 s1, s1, s7
	v_cndmask_b32_e64 v211, v211, 29, s1
	s_delay_alu instid0(VALU_DEP_1)
	v_cmp_eq_u32_e64 s7, 0, v211
	s_waitcnt vmcnt(0)
	v_cmp_eq_f64_e64 s3, 0, v[215:216]
	v_cmp_eq_f64_e64 s4, 0, v[217:218]
	scratch_load_b128 v[215:218], off, off offset:736 ; 16-byte Folded Reload
	s_and_b32 s3, s3, s4
	;; [unrolled: 10-line block ×3, first 2 shown]
	s_delay_alu instid0(SALU_CYCLE_1) | instskip(NEXT) | instid1(SALU_CYCLE_1)
	s_and_b32 s5, s5, s7
	v_cndmask_b32_e64 v211, v211, 31, s5
	s_delay_alu instid0(VALU_DEP_1)
	v_cmp_eq_u32_e64 s7, 0, v211
	s_waitcnt vmcnt(0)
	v_cmp_eq_f64_e32 vcc_lo, 0, v[215:216]
	v_cmp_eq_f64_e64 s0, 0, v[217:218]
	scratch_load_b128 v[215:218], off, off offset:768 ; 16-byte Folded Reload
	s_and_b32 s0, vcc_lo, s0
	s_delay_alu instid0(SALU_CYCLE_1) | instskip(NEXT) | instid1(SALU_CYCLE_1)
	s_and_b32 s0, s0, s7
	v_cndmask_b32_e64 v211, v211, 32, s0
	s_delay_alu instid0(VALU_DEP_1)
	v_cmp_eq_u32_e64 s7, 0, v211
	s_waitcnt vmcnt(0)
	v_cmp_eq_f64_e64 s1, 0, v[215:216]
	v_cmp_eq_f64_e64 s2, 0, v[217:218]
	scratch_load_b128 v[215:218], off, off offset:784 ; 16-byte Folded Reload
	s_and_b32 s1, s1, s2
	v_cmp_eq_f64_e64 s2, 0, v[250:251]
	s_and_b32 s1, s1, s7
	s_delay_alu instid0(SALU_CYCLE_1) | instskip(SKIP_1) | instid1(VALU_DEP_2)
	v_cndmask_b32_e64 v211, v211, 33, s1
	v_cmp_eq_f64_e64 s1, 0, v[248:249]
	v_cmp_eq_u32_e64 s7, 0, v211
	s_delay_alu instid0(VALU_DEP_2)
	s_and_b32 s1, s1, s2
	v_cmp_eq_f64_e64 s2, 0, v[190:191]
	s_waitcnt vmcnt(0)
	v_cmp_eq_f64_e64 s3, 0, v[215:216]
	v_cmp_eq_f64_e64 s4, 0, v[217:218]
	scratch_load_b128 v[215:218], off, off offset:800 ; 16-byte Folded Reload
	s_and_b32 s3, s3, s4
	v_cmp_eq_f64_e64 s4, 0, v[254:255]
	s_and_b32 s3, s3, s7
	s_delay_alu instid0(SALU_CYCLE_1) | instskip(SKIP_1) | instid1(VALU_DEP_2)
	v_cndmask_b32_e64 v211, v211, 34, s3
	v_cmp_eq_f64_e64 s3, 0, v[252:253]
	v_cmp_eq_u32_e64 s7, 0, v211
	s_delay_alu instid0(VALU_DEP_2)
	s_and_b32 s3, s3, s4
	v_cmp_eq_f64_e64 s4, 0, v[194:195]
	s_waitcnt vmcnt(0)
	v_cmp_eq_f64_e64 s5, 0, v[215:216]
	v_cmp_eq_f64_e64 s6, 0, v[217:218]
	scratch_load_b128 v[215:218], off, off offset:816 ; 16-byte Folded Reload
	s_and_b32 s5, s5, s6
	v_cmp_eq_f64_e64 s6, 0, v[182:183]
	s_and_b32 s5, s5, s7
	s_delay_alu instid0(SALU_CYCLE_1) | instskip(SKIP_1) | instid1(VALU_DEP_2)
	v_cndmask_b32_e64 v211, v211, 35, s5
	v_cmp_eq_f64_e64 s5, 0, v[180:181]
	v_cmp_eq_u32_e64 s7, 0, v211
	s_delay_alu instid0(VALU_DEP_2) | instskip(SKIP_4) | instid1(VALU_DEP_1)
	s_and_b32 s5, s5, s6
	v_cmp_eq_f64_e64 s6, 0, v[198:199]
	s_waitcnt vmcnt(0)
	v_cmp_eq_f64_e32 vcc_lo, 0, v[215:216]
	v_cmp_eq_f64_e64 s0, 0, v[217:218]
	s_and_b32 s0, vcc_lo, s0
	v_cmp_eq_f64_e32 vcc_lo, 0, v[184:185]
	s_and_b32 s0, s0, s7
	s_delay_alu instid0(SALU_CYCLE_1) | instskip(SKIP_1) | instid1(VALU_DEP_2)
	v_cndmask_b32_e64 v180, v211, 36, s0
	v_cmp_eq_f64_e64 s0, 0, v[186:187]
	v_cmp_eq_u32_e64 s7, 0, v180
	s_delay_alu instid0(VALU_DEP_1) | instskip(NEXT) | instid1(SALU_CYCLE_1)
	s_and_b32 s1, s1, s7
	v_cndmask_b32_e64 v180, v180, 37, s1
	v_cmp_eq_f64_e64 s1, 0, v[188:189]
	s_delay_alu instid0(VALU_DEP_2) | instskip(NEXT) | instid1(VALU_DEP_1)
	v_cmp_eq_u32_e64 s7, 0, v180
	s_and_b32 s3, s3, s7
	s_delay_alu instid0(SALU_CYCLE_1) | instskip(SKIP_1) | instid1(VALU_DEP_2)
	v_cndmask_b32_e64 v180, v180, 38, s3
	v_cmp_eq_f64_e64 s3, 0, v[192:193]
	v_cmp_eq_u32_e64 s7, 0, v180
	s_delay_alu instid0(VALU_DEP_1) | instskip(NEXT) | instid1(SALU_CYCLE_1)
	s_and_b32 s5, s5, s7
	v_cndmask_b32_e64 v180, v180, 39, s5
	v_cmp_eq_f64_e64 s5, 0, v[196:197]
	s_and_b32 s0, vcc_lo, s0
	v_cmp_eq_f64_e32 vcc_lo, 0, v[200:201]
	s_delay_alu instid0(VALU_DEP_3) | instskip(NEXT) | instid1(VALU_DEP_1)
	v_cmp_eq_u32_e64 s7, 0, v180
	s_and_b32 s0, s0, s7
	s_delay_alu instid0(SALU_CYCLE_1) | instskip(SKIP_3) | instid1(VALU_DEP_3)
	v_cndmask_b32_e64 v180, v180, 40, s0
	v_cmp_eq_f64_e64 s0, 0, v[202:203]
	s_and_b32 s1, s1, s2
	v_cmp_eq_f64_e64 s2, 0, v[206:207]
	v_cmp_eq_u32_e64 s7, 0, v180
	s_delay_alu instid0(VALU_DEP_1) | instskip(NEXT) | instid1(SALU_CYCLE_1)
	s_and_b32 s1, s1, s7
	v_cndmask_b32_e64 v180, v180, 41, s1
	v_cmp_eq_f64_e64 s1, 0, v[204:205]
	s_and_b32 s3, s3, s4
	s_delay_alu instid0(VALU_DEP_2) | instskip(NEXT) | instid1(VALU_DEP_1)
	v_cmp_eq_u32_e64 s7, 0, v180
	s_and_b32 s3, s3, s7
	s_delay_alu instid0(SALU_CYCLE_1) | instskip(SKIP_1) | instid1(VALU_DEP_1)
	v_cndmask_b32_e64 v180, v180, 42, s3
	s_and_b32 s4, s5, s6
	v_cmp_eq_u32_e64 s3, 0, v180
	s_delay_alu instid0(VALU_DEP_1) | instskip(NEXT) | instid1(SALU_CYCLE_1)
	s_and_b32 s3, s4, s3
	v_cndmask_b32_e64 v180, v180, 43, s3
	s_and_b32 s0, vcc_lo, s0
	s_delay_alu instid0(VALU_DEP_1) | instskip(NEXT) | instid1(VALU_DEP_1)
	v_cmp_eq_u32_e64 s3, 0, v180
	s_and_b32 s0, s0, s3
	s_delay_alu instid0(SALU_CYCLE_1) | instskip(SKIP_1) | instid1(VALU_DEP_1)
	v_cndmask_b32_e64 v180, v180, 44, s0
	s_and_b32 s0, s1, s2
	v_cmp_eq_u32_e32 vcc_lo, 0, v180
	s_and_b32 s0, s0, vcc_lo
	v_cmp_eq_u32_e32 vcc_lo, 0, v210
	v_cndmask_b32_e64 v180, v180, 45, s0
	s_delay_alu instid0(VALU_DEP_1) | instskip(NEXT) | instid1(VALU_DEP_1)
	v_cmp_ne_u32_e64 s0, 0, v180
	s_and_b32 s0, vcc_lo, s0
	s_delay_alu instid0(SALU_CYCLE_1)
	s_and_b32 exec_lo, exec_lo, s0
	s_cbranch_execz .LBB89_409
; %bb.408:
	v_add_nc_u32_e32 v180, s11, v180
	global_store_b32 v[208:209], v180, off
.LBB89_409:
	s_or_b32 exec_lo, exec_lo, s12
	s_clause 0x1
	scratch_load_b64 v[172:173], off, off offset:240
	scratch_load_b128 v[180:183], off, off offset:16
	s_waitcnt vmcnt(0)
	global_store_b128 v[172:173], v[180:183], off
	s_clause 0x1
	scratch_load_b64 v[172:173], off, off offset:232
	scratch_load_b128 v[180:183], off, off
	s_waitcnt vmcnt(0)
	global_store_b128 v[172:173], v[180:183], off
	scratch_load_b64 v[172:173], off, off offset:224 ; 8-byte Folded Reload
	s_waitcnt vmcnt(0)
	global_store_b128 v[172:173], v[168:171], off
	scratch_load_b64 v[168:169], off, off offset:216 ; 8-byte Folded Reload
	;; [unrolled: 3-line block ×24, first 2 shown]
	s_waitcnt vmcnt(0)
	s_clause 0x2
	global_store_b128 v[80:81], v[76:79], off
	global_store_b128 v[174:175], v[72:75], off
	;; [unrolled: 1-line block ×3, first 2 shown]
	scratch_load_b64 v[68:69], off, off offset:32 ; 8-byte Folded Reload
	s_waitcnt vmcnt(0)
	s_clause 0xc
	global_store_b128 v[68:69], v[64:67], off
	global_store_b128 v[243:244], v[60:63], off
	;; [unrolled: 1-line block ×13, first 2 shown]
	scratch_load_b64 v[16:17], off, off offset:552 ; 8-byte Folded Reload
	s_waitcnt vmcnt(0)
	s_clause 0x3
	global_store_b128 v[16:17], v[12:15], off
	global_store_b128 v[221:222], v[8:11], off
	;; [unrolled: 1-line block ×4, first 2 shown]
.LBB89_410:
	s_nop 0
	s_sendmsg sendmsg(MSG_DEALLOC_VGPRS)
	s_endpgm
	.section	.rodata,"a",@progbits
	.p2align	6, 0x0
	.amdhsa_kernel _ZN9rocsolver6v33100L23getf2_npvt_small_kernelILi45E19rocblas_complex_numIdEiiPKPS3_EEvT1_T3_lS7_lPT2_S7_S7_
		.amdhsa_group_segment_fixed_size 0
		.amdhsa_private_segment_fixed_size 836
		.amdhsa_kernarg_size 312
		.amdhsa_user_sgpr_count 14
		.amdhsa_user_sgpr_dispatch_ptr 0
		.amdhsa_user_sgpr_queue_ptr 0
		.amdhsa_user_sgpr_kernarg_segment_ptr 1
		.amdhsa_user_sgpr_dispatch_id 0
		.amdhsa_user_sgpr_private_segment_size 0
		.amdhsa_wavefront_size32 1
		.amdhsa_uses_dynamic_stack 0
		.amdhsa_enable_private_segment 1
		.amdhsa_system_sgpr_workgroup_id_x 1
		.amdhsa_system_sgpr_workgroup_id_y 1
		.amdhsa_system_sgpr_workgroup_id_z 0
		.amdhsa_system_sgpr_workgroup_info 0
		.amdhsa_system_vgpr_workitem_id 1
		.amdhsa_next_free_vgpr 256
		.amdhsa_next_free_sgpr 16
		.amdhsa_reserve_vcc 1
		.amdhsa_float_round_mode_32 0
		.amdhsa_float_round_mode_16_64 0
		.amdhsa_float_denorm_mode_32 3
		.amdhsa_float_denorm_mode_16_64 3
		.amdhsa_dx10_clamp 1
		.amdhsa_ieee_mode 1
		.amdhsa_fp16_overflow 0
		.amdhsa_workgroup_processor_mode 1
		.amdhsa_memory_ordered 1
		.amdhsa_forward_progress 0
		.amdhsa_shared_vgpr_count 0
		.amdhsa_exception_fp_ieee_invalid_op 0
		.amdhsa_exception_fp_denorm_src 0
		.amdhsa_exception_fp_ieee_div_zero 0
		.amdhsa_exception_fp_ieee_overflow 0
		.amdhsa_exception_fp_ieee_underflow 0
		.amdhsa_exception_fp_ieee_inexact 0
		.amdhsa_exception_int_div_zero 0
	.end_amdhsa_kernel
	.section	.text._ZN9rocsolver6v33100L23getf2_npvt_small_kernelILi45E19rocblas_complex_numIdEiiPKPS3_EEvT1_T3_lS7_lPT2_S7_S7_,"axG",@progbits,_ZN9rocsolver6v33100L23getf2_npvt_small_kernelILi45E19rocblas_complex_numIdEiiPKPS3_EEvT1_T3_lS7_lPT2_S7_S7_,comdat
.Lfunc_end89:
	.size	_ZN9rocsolver6v33100L23getf2_npvt_small_kernelILi45E19rocblas_complex_numIdEiiPKPS3_EEvT1_T3_lS7_lPT2_S7_S7_, .Lfunc_end89-_ZN9rocsolver6v33100L23getf2_npvt_small_kernelILi45E19rocblas_complex_numIdEiiPKPS3_EEvT1_T3_lS7_lPT2_S7_S7_
                                        ; -- End function
	.section	.AMDGPU.csdata,"",@progbits
; Kernel info:
; codeLenInByte = 114848
; NumSgprs: 18
; NumVgprs: 256
; ScratchSize: 836
; MemoryBound: 1
; FloatMode: 240
; IeeeMode: 1
; LDSByteSize: 0 bytes/workgroup (compile time only)
; SGPRBlocks: 2
; VGPRBlocks: 31
; NumSGPRsForWavesPerEU: 18
; NumVGPRsForWavesPerEU: 256
; Occupancy: 5
; WaveLimiterHint : 1
; COMPUTE_PGM_RSRC2:SCRATCH_EN: 1
; COMPUTE_PGM_RSRC2:USER_SGPR: 14
; COMPUTE_PGM_RSRC2:TRAP_HANDLER: 0
; COMPUTE_PGM_RSRC2:TGID_X_EN: 1
; COMPUTE_PGM_RSRC2:TGID_Y_EN: 1
; COMPUTE_PGM_RSRC2:TGID_Z_EN: 0
; COMPUTE_PGM_RSRC2:TIDIG_COMP_CNT: 1
	.section	.text._ZN9rocsolver6v33100L18getf2_small_kernelILi46E19rocblas_complex_numIdEiiPKPS3_EEvT1_T3_lS7_lPS7_llPT2_S7_S7_S9_l,"axG",@progbits,_ZN9rocsolver6v33100L18getf2_small_kernelILi46E19rocblas_complex_numIdEiiPKPS3_EEvT1_T3_lS7_lPS7_llPT2_S7_S7_S9_l,comdat
	.globl	_ZN9rocsolver6v33100L18getf2_small_kernelILi46E19rocblas_complex_numIdEiiPKPS3_EEvT1_T3_lS7_lPS7_llPT2_S7_S7_S9_l ; -- Begin function _ZN9rocsolver6v33100L18getf2_small_kernelILi46E19rocblas_complex_numIdEiiPKPS3_EEvT1_T3_lS7_lPS7_llPT2_S7_S7_S9_l
	.p2align	8
	.type	_ZN9rocsolver6v33100L18getf2_small_kernelILi46E19rocblas_complex_numIdEiiPKPS3_EEvT1_T3_lS7_lPS7_llPT2_S7_S7_S9_l,@function
_ZN9rocsolver6v33100L18getf2_small_kernelILi46E19rocblas_complex_numIdEiiPKPS3_EEvT1_T3_lS7_lPS7_llPT2_S7_S7_S9_l: ; @_ZN9rocsolver6v33100L18getf2_small_kernelILi46E19rocblas_complex_numIdEiiPKPS3_EEvT1_T3_lS7_lPS7_llPT2_S7_S7_S9_l
; %bb.0:
	s_clause 0x1
	s_load_b32 s2, s[0:1], 0x6c
	s_load_b64 s[12:13], s[0:1], 0x48
	v_bfe_u32 v184, v0, 10, 10
	s_waitcnt lgkmcnt(0)
	s_lshr_b32 s2, s2, 16
	s_delay_alu instid0(VALU_DEP_1) | instid1(SALU_CYCLE_1)
	v_mad_u64_u32 v[188:189], null, s15, s2, v[184:185]
	s_mov_b32 s2, exec_lo
	s_delay_alu instid0(VALU_DEP_1)
	v_cmpx_gt_i32_e64 s12, v188
	s_cbranch_execnz .LBB90_1
; %bb.970:
	s_getpc_b64 s[16:17]
.Lpost_getpc1:
	s_add_u32 s16, s16, (.LBB90_969-.Lpost_getpc1)&4294967295
	s_addc_u32 s17, s17, (.LBB90_969-.Lpost_getpc1)>>32
	s_setpc_b64 s[16:17]
.LBB90_1:
	s_clause 0x1
	s_load_b128 s[4:7], s[0:1], 0x8
	s_load_b128 s[8:11], s[0:1], 0x50
	v_ashrrev_i32_e32 v189, 31, v188
	v_mov_b32_e32 v190, 0
	v_mov_b32_e32 v191, 0
	s_delay_alu instid0(VALU_DEP_3) | instskip(SKIP_1) | instid1(VALU_DEP_1)
	v_lshlrev_b64 v[1:2], 3, v[188:189]
	s_waitcnt lgkmcnt(0)
	v_add_co_u32 v1, vcc_lo, s4, v1
	s_delay_alu instid0(VALU_DEP_2)
	v_add_co_ci_u32_e32 v2, vcc_lo, s5, v2, vcc_lo
	s_cmp_eq_u64 s[8:9], 0
	s_cselect_b32 s4, -1, 0
	global_load_b64 v[1:2], v[1:2], off
	s_and_b32 vcc_lo, exec_lo, s4
	s_cbranch_vccnz .LBB90_3
; %bb.2:
	v_mul_lo_u32 v5, v189, s10
	v_mul_lo_u32 v6, v188, s11
	v_mad_u64_u32 v[3:4], null, v188, s10, 0
	s_delay_alu instid0(VALU_DEP_1) | instskip(NEXT) | instid1(VALU_DEP_1)
	v_add3_u32 v4, v4, v6, v5
	v_lshlrev_b64 v[3:4], 2, v[3:4]
	s_delay_alu instid0(VALU_DEP_1) | instskip(NEXT) | instid1(VALU_DEP_2)
	v_add_co_u32 v190, vcc_lo, s8, v3
	v_add_co_ci_u32_e32 v191, vcc_lo, s9, v4, vcc_lo
.LBB90_3:
	s_clause 0x1
	s_load_b32 s8, s[0:1], 0x18
	s_load_b32 s5, s[0:1], 0x0
	v_and_b32_e32 v198, 0x3ff, v0
	s_lshl_b64 s[2:3], s[6:7], 4
	s_waitcnt vmcnt(0)
	v_add_co_u32 v195, vcc_lo, v1, s2
	v_add_co_ci_u32_e32 v196, vcc_lo, s3, v2, vcc_lo
	v_lshlrev_b32_e32 v187, 4, v198
	s_waitcnt lgkmcnt(0)
	v_add3_u32 v3, s8, s8, v198
	s_ashr_i32 s9, s8, 31
	s_max_i32 s2, s5, 46
	s_lshl_b64 s[10:11], s[8:9], 4
	s_cmp_lt_i32 s5, 2
	v_add_nc_u32_e32 v5, s8, v3
	v_ashrrev_i32_e32 v4, 31, v3
	s_delay_alu instid0(VALU_DEP_2) | instskip(NEXT) | instid1(VALU_DEP_2)
	v_add_nc_u32_e32 v0, s8, v5
	v_lshlrev_b64 v[3:4], 4, v[3:4]
	v_ashrrev_i32_e32 v6, 31, v5
	s_delay_alu instid0(VALU_DEP_3) | instskip(SKIP_1) | instid1(VALU_DEP_4)
	v_add_nc_u32_e32 v2, s8, v0
	v_ashrrev_i32_e32 v1, 31, v0
	v_add_co_u32 v7, vcc_lo, v195, v3
	v_add_co_ci_u32_e32 v8, vcc_lo, v196, v4, vcc_lo
	s_delay_alu instid0(VALU_DEP_4) | instskip(SKIP_3) | instid1(VALU_DEP_4)
	v_add_nc_u32_e32 v4, s8, v2
	v_lshlrev_b64 v[5:6], 4, v[5:6]
	v_ashrrev_i32_e32 v3, 31, v2
	v_lshlrev_b64 v[0:1], 4, v[0:1]
	v_add_nc_u32_e32 v11, s8, v4
	s_delay_alu instid0(VALU_DEP_4) | instskip(SKIP_1) | instid1(VALU_DEP_3)
	v_add_co_u32 v9, vcc_lo, v195, v5
	v_ashrrev_i32_e32 v5, 31, v4
	v_add_nc_u32_e32 v13, s8, v11
	v_lshlrev_b64 v[2:3], 4, v[2:3]
	v_ashrrev_i32_e32 v12, 31, v11
	v_add_co_ci_u32_e32 v10, vcc_lo, v196, v6, vcc_lo
	s_delay_alu instid0(VALU_DEP_4) | instskip(SKIP_3) | instid1(VALU_DEP_4)
	v_add_nc_u32_e32 v15, s8, v13
	v_add_co_u32 v0, vcc_lo, v195, v0
	v_lshlrev_b64 v[4:5], 4, v[4:5]
	v_ashrrev_i32_e32 v14, 31, v13
	v_add_nc_u32_e32 v17, s8, v15
	v_add_co_ci_u32_e32 v1, vcc_lo, v196, v1, vcc_lo
	v_add_co_u32 v2, vcc_lo, v195, v2
	s_delay_alu instid0(VALU_DEP_3) | instskip(SKIP_3) | instid1(VALU_DEP_4)
	v_add_nc_u32_e32 v19, s8, v17
	v_lshlrev_b64 v[11:12], 4, v[11:12]
	v_ashrrev_i32_e32 v16, 31, v15
	v_add_co_ci_u32_e32 v3, vcc_lo, v196, v3, vcc_lo
	v_add_nc_u32_e32 v21, s8, v19
	v_add_co_u32 v4, vcc_lo, v195, v4
	v_lshlrev_b64 v[13:14], 4, v[13:14]
	v_ashrrev_i32_e32 v18, 31, v17
	s_delay_alu instid0(VALU_DEP_4) | instskip(SKIP_2) | instid1(VALU_DEP_3)
	v_add_nc_u32_e32 v23, s8, v21
	v_add_co_ci_u32_e32 v5, vcc_lo, v196, v5, vcc_lo
	v_add_co_u32 v11, vcc_lo, v195, v11
	v_add_nc_u32_e32 v25, s8, v23
	v_lshlrev_b64 v[15:16], 4, v[15:16]
	v_ashrrev_i32_e32 v20, 31, v19
	v_add_co_ci_u32_e32 v12, vcc_lo, v196, v12, vcc_lo
	s_delay_alu instid0(VALU_DEP_4) | instskip(SKIP_3) | instid1(VALU_DEP_4)
	v_add_nc_u32_e32 v27, s8, v25
	v_add_co_u32 v13, vcc_lo, v195, v13
	v_lshlrev_b64 v[17:18], 4, v[17:18]
	v_ashrrev_i32_e32 v22, 31, v21
	v_add_nc_u32_e32 v29, s8, v27
	v_add_co_ci_u32_e32 v14, vcc_lo, v196, v14, vcc_lo
	v_add_co_u32 v15, vcc_lo, v195, v15
	s_delay_alu instid0(VALU_DEP_3) | instskip(SKIP_3) | instid1(VALU_DEP_4)
	v_add_nc_u32_e32 v31, s8, v29
	v_lshlrev_b64 v[19:20], 4, v[19:20]
	v_ashrrev_i32_e32 v24, 31, v23
	v_add_co_ci_u32_e32 v16, vcc_lo, v196, v16, vcc_lo
	v_add_nc_u32_e32 v33, s8, v31
	v_add_co_u32 v17, vcc_lo, v195, v17
	v_lshlrev_b64 v[21:22], 4, v[21:22]
	v_ashrrev_i32_e32 v26, 31, v25
	s_delay_alu instid0(VALU_DEP_4) | instskip(SKIP_2) | instid1(VALU_DEP_3)
	v_add_nc_u32_e32 v35, s8, v33
	v_add_co_ci_u32_e32 v18, vcc_lo, v196, v18, vcc_lo
	v_add_co_u32 v19, vcc_lo, v195, v19
	v_add_nc_u32_e32 v37, s8, v35
	v_lshlrev_b64 v[23:24], 4, v[23:24]
	v_ashrrev_i32_e32 v28, 31, v27
	v_add_co_ci_u32_e32 v20, vcc_lo, v196, v20, vcc_lo
	s_delay_alu instid0(VALU_DEP_4) | instskip(SKIP_3) | instid1(VALU_DEP_4)
	v_add_nc_u32_e32 v39, s8, v37
	v_add_co_u32 v21, vcc_lo, v195, v21
	v_lshlrev_b64 v[25:26], 4, v[25:26]
	v_ashrrev_i32_e32 v30, 31, v29
	v_add_nc_u32_e32 v41, s8, v39
	v_add_co_ci_u32_e32 v22, vcc_lo, v196, v22, vcc_lo
	v_add_co_u32 v23, vcc_lo, v195, v23
	s_delay_alu instid0(VALU_DEP_3) | instskip(SKIP_3) | instid1(VALU_DEP_4)
	v_add_nc_u32_e32 v43, s8, v41
	v_lshlrev_b64 v[27:28], 4, v[27:28]
	v_ashrrev_i32_e32 v32, 31, v31
	v_add_co_ci_u32_e32 v24, vcc_lo, v196, v24, vcc_lo
	v_add_nc_u32_e32 v45, s8, v43
	v_add_co_u32 v25, vcc_lo, v195, v25
	v_lshlrev_b64 v[29:30], 4, v[29:30]
	v_ashrrev_i32_e32 v34, 31, v33
	v_add_co_ci_u32_e32 v26, vcc_lo, v196, v26, vcc_lo
	v_add_co_u32 v27, vcc_lo, v195, v27
	v_lshlrev_b64 v[31:32], 4, v[31:32]
	v_add_nc_u32_e32 v47, s8, v45
	v_ashrrev_i32_e32 v36, 31, v35
	v_add_co_ci_u32_e32 v28, vcc_lo, v196, v28, vcc_lo
	v_add_co_u32 v29, vcc_lo, v195, v29
	v_lshlrev_b64 v[33:34], 4, v[33:34]
	v_ashrrev_i32_e32 v38, 31, v37
	v_add_co_ci_u32_e32 v30, vcc_lo, v196, v30, vcc_lo
	v_add_nc_u32_e32 v49, s8, v47
	v_add_co_u32 v31, vcc_lo, v195, v31
	v_lshlrev_b64 v[35:36], 4, v[35:36]
	v_ashrrev_i32_e32 v40, 31, v39
	v_add_co_ci_u32_e32 v32, vcc_lo, v196, v32, vcc_lo
	v_add_co_u32 v33, vcc_lo, v195, v33
	v_lshlrev_b64 v[37:38], 4, v[37:38]
	v_ashrrev_i32_e32 v42, 31, v41
	v_add_nc_u32_e32 v51, s8, v49
	v_add_co_ci_u32_e32 v34, vcc_lo, v196, v34, vcc_lo
	v_add_co_u32 v35, vcc_lo, v195, v35
	v_lshlrev_b64 v[39:40], 4, v[39:40]
	v_ashrrev_i32_e32 v44, 31, v43
	v_add_co_ci_u32_e32 v36, vcc_lo, v196, v36, vcc_lo
	v_add_co_u32 v37, vcc_lo, v195, v37
	v_lshlrev_b64 v[41:42], 4, v[41:42]
	v_add_nc_u32_e32 v53, s8, v51
	v_ashrrev_i32_e32 v46, 31, v45
	v_add_co_ci_u32_e32 v38, vcc_lo, v196, v38, vcc_lo
	v_add_co_u32 v39, vcc_lo, v195, v39
	v_lshlrev_b64 v[43:44], 4, v[43:44]
	v_ashrrev_i32_e32 v48, 31, v47
	v_add_co_ci_u32_e32 v40, vcc_lo, v196, v40, vcc_lo
	v_add_nc_u32_e32 v55, s8, v53
	v_add_co_u32 v41, vcc_lo, v195, v41
	v_lshlrev_b64 v[45:46], 4, v[45:46]
	v_ashrrev_i32_e32 v50, 31, v49
	v_add_co_ci_u32_e32 v42, vcc_lo, v196, v42, vcc_lo
	v_add_co_u32 v43, vcc_lo, v195, v43
	v_lshlrev_b64 v[47:48], 4, v[47:48]
	v_ashrrev_i32_e32 v52, 31, v51
	v_add_nc_u32_e32 v57, s8, v55
	v_add_co_ci_u32_e32 v44, vcc_lo, v196, v44, vcc_lo
	v_add_co_u32 v45, vcc_lo, v195, v45
	v_lshlrev_b64 v[49:50], 4, v[49:50]
	v_ashrrev_i32_e32 v54, 31, v53
	v_add_co_ci_u32_e32 v46, vcc_lo, v196, v46, vcc_lo
	v_add_co_u32 v47, vcc_lo, v195, v47
	v_lshlrev_b64 v[51:52], 4, v[51:52]
	v_add_nc_u32_e32 v59, s8, v57
	v_ashrrev_i32_e32 v56, 31, v55
	v_add_co_ci_u32_e32 v48, vcc_lo, v196, v48, vcc_lo
	v_add_co_u32 v49, vcc_lo, v195, v49
	v_lshlrev_b64 v[53:54], 4, v[53:54]
	v_ashrrev_i32_e32 v58, 31, v57
	v_add_co_ci_u32_e32 v50, vcc_lo, v196, v50, vcc_lo
	v_add_nc_u32_e32 v61, s8, v59
	v_add_co_u32 v51, vcc_lo, v195, v51
	v_lshlrev_b64 v[55:56], 4, v[55:56]
	v_ashrrev_i32_e32 v60, 31, v59
	v_add_co_ci_u32_e32 v52, vcc_lo, v196, v52, vcc_lo
	v_add_co_u32 v53, vcc_lo, v195, v53
	v_lshlrev_b64 v[57:58], 4, v[57:58]
	v_add_nc_u32_e32 v63, s8, v61
	v_add_co_ci_u32_e32 v54, vcc_lo, v196, v54, vcc_lo
	v_add_co_u32 v55, vcc_lo, v195, v55
	v_lshlrev_b64 v[59:60], 4, v[59:60]
	v_ashrrev_i32_e32 v62, 31, v61
	v_add_co_ci_u32_e32 v56, vcc_lo, v196, v56, vcc_lo
	v_add_co_u32 v57, vcc_lo, v195, v57
	v_ashrrev_i32_e32 v64, 31, v63
	v_add_nc_u32_e32 v65, s8, v63
	v_add_co_ci_u32_e32 v58, vcc_lo, v196, v58, vcc_lo
	v_lshlrev_b64 v[61:62], 4, v[61:62]
	v_add_co_u32 v185, vcc_lo, v195, v59
	v_add_co_ci_u32_e32 v186, vcc_lo, v196, v60, vcc_lo
	v_lshlrev_b64 v[59:60], 4, v[63:64]
	v_ashrrev_i32_e32 v66, 31, v65
	v_add_nc_u32_e32 v63, s8, v65
	v_add_co_u32 v192, vcc_lo, v195, v61
	v_add_co_ci_u32_e32 v193, vcc_lo, v196, v62, vcc_lo
	s_delay_alu instid0(VALU_DEP_4) | instskip(NEXT) | instid1(VALU_DEP_4)
	v_lshlrev_b64 v[61:62], 4, v[65:66]
	v_ashrrev_i32_e32 v64, 31, v63
	v_add_nc_u32_e32 v65, s8, v63
	v_add_co_u32 v199, vcc_lo, v195, v59
	v_add_co_ci_u32_e32 v200, vcc_lo, v196, v60, vcc_lo
	s_delay_alu instid0(VALU_DEP_4) | instskip(NEXT) | instid1(VALU_DEP_4)
	;; [unrolled: 6-line block ×9, first 2 shown]
	v_lshlrev_b64 v[61:62], 4, v[65:66]
	v_add_nc_u32_e32 v65, s8, v63
	v_ashrrev_i32_e32 v64, 31, v63
	v_add_co_u32 v215, vcc_lo, v195, v59
	v_add_co_ci_u32_e32 v216, vcc_lo, v196, v60, vcc_lo
	s_delay_alu instid0(VALU_DEP_4) | instskip(NEXT) | instid1(VALU_DEP_4)
	v_ashrrev_i32_e32 v66, 31, v65
	v_lshlrev_b64 v[59:60], 4, v[63:64]
	v_add_co_u32 v217, vcc_lo, v195, v61
	v_add_co_ci_u32_e32 v218, vcc_lo, v196, v62, vcc_lo
	s_delay_alu instid0(VALU_DEP_4) | instskip(SKIP_3) | instid1(VALU_DEP_4)
	v_lshlrev_b64 v[61:62], 4, v[65:66]
	v_add_nc_u32_e32 v63, s8, v65
	v_add_co_u32 v219, vcc_lo, v195, v59
	v_add_co_ci_u32_e32 v220, vcc_lo, v196, v60, vcc_lo
	v_add_co_u32 v221, vcc_lo, v195, v61
	s_delay_alu instid0(VALU_DEP_4) | instskip(SKIP_3) | instid1(VALU_DEP_4)
	v_ashrrev_i32_e32 v64, 31, v63
	v_add_co_ci_u32_e32 v222, vcc_lo, v196, v62, vcc_lo
	v_add_co_u32 v61, vcc_lo, v195, v187
	v_add_co_ci_u32_e32 v62, vcc_lo, 0, v196, vcc_lo
	v_lshlrev_b64 v[59:60], 4, v[63:64]
	s_delay_alu instid0(VALU_DEP_3) | instskip(NEXT) | instid1(VALU_DEP_3)
	v_add_co_u32 v63, vcc_lo, v61, s10
	v_add_co_ci_u32_e32 v64, vcc_lo, s11, v62, vcc_lo
	s_delay_alu instid0(VALU_DEP_3) | instskip(NEXT) | instid1(VALU_DEP_4)
	v_add_co_u32 v223, vcc_lo, v195, v59
	v_add_co_ci_u32_e32 v224, vcc_lo, v196, v60, vcc_lo
	s_clause 0x1f
	global_load_b128 v[180:183], v[61:62], off
	global_load_b128 v[176:179], v[63:64], off
	;; [unrolled: 1-line block ×32, first 2 shown]
	s_clause 0xd
	global_load_b128 v[52:55], v[192:193], off
	global_load_b128 v[48:51], v[199:200], off
	;; [unrolled: 1-line block ×14, first 2 shown]
	v_mul_lo_u32 v192, s2, v184
	s_delay_alu instid0(VALU_DEP_1) | instskip(SKIP_1) | instid1(VALU_DEP_2)
	v_lshl_add_u32 v194, v192, 4, 0
	v_dual_mov_b32 v192, 0 :: v_dual_lshlrev_b32 v199, 4, v192
	v_add_nc_u32_e32 v184, v194, v187
	s_waitcnt vmcnt(45)
	ds_store_2addr_b64 v184, v[180:181], v[182:183] offset1:1
	s_waitcnt vmcnt(0) lgkmcnt(0)
	s_barrier
	buffer_gl0_inv
	ds_load_2addr_b64 v[184:187], v194 offset1:1
	s_cbranch_scc1 .LBB90_6
; %bb.4:
	v_add3_u32 v193, v199, 0, 16
	v_mov_b32_e32 v192, 0
	s_mov_b32 s6, 1
	s_set_inst_prefetch_distance 0x1
	.p2align	6
.LBB90_5:                               ; =>This Inner Loop Header: Depth=1
	ds_load_2addr_b64 v[200:203], v193 offset1:1
	s_waitcnt lgkmcnt(1)
	v_cmp_gt_f64_e32 vcc_lo, 0, v[184:185]
	v_xor_b32_e32 v197, 0x80000000, v185
	v_cmp_gt_f64_e64 s2, 0, v[186:187]
	v_xor_b32_e32 v204, 0x80000000, v187
	v_add_nc_u32_e32 v193, 16, v193
	s_waitcnt lgkmcnt(0)
	v_cmp_gt_f64_e64 s3, 0, v[200:201]
	v_mov_b32_e32 v208, v200
	v_dual_mov_b32 v210, v202 :: v_dual_cndmask_b32 v205, v185, v197
	v_xor_b32_e32 v197, 0x80000000, v201
	v_cndmask_b32_e64 v207, v187, v204, s2
	v_xor_b32_e32 v204, 0x80000000, v203
	v_cndmask_b32_e64 v206, v186, v186, s2
	s_delay_alu instid0(VALU_DEP_4) | instskip(SKIP_1) | instid1(VALU_DEP_1)
	v_cndmask_b32_e64 v209, v201, v197, s3
	v_cmp_gt_f64_e64 s3, 0, v[202:203]
	v_cndmask_b32_e64 v211, v203, v204, s3
	v_cndmask_b32_e32 v204, v184, v184, vcc_lo
	s_delay_alu instid0(VALU_DEP_2) | instskip(NEXT) | instid1(VALU_DEP_2)
	v_add_f64 v[208:209], v[208:209], v[210:211]
	v_add_f64 v[204:205], v[204:205], v[206:207]
	s_delay_alu instid0(VALU_DEP_1)
	v_cmp_lt_f64_e32 vcc_lo, v[204:205], v[208:209]
	v_cndmask_b32_e32 v187, v187, v203, vcc_lo
	v_dual_cndmask_b32 v185, v185, v201 :: v_dual_cndmask_b32 v184, v184, v200
	v_cndmask_b32_e32 v186, v186, v202, vcc_lo
	v_cndmask_b32_e64 v192, v192, s6, vcc_lo
	s_add_i32 s6, s6, 1
	s_delay_alu instid0(SALU_CYCLE_1)
	s_cmp_eq_u32 s5, s6
	s_cbranch_scc0 .LBB90_5
.LBB90_6:
	s_set_inst_prefetch_distance 0x2
	s_waitcnt lgkmcnt(0)
	v_cmp_neq_f64_e32 vcc_lo, 0, v[184:185]
	v_cmp_neq_f64_e64 s2, 0, v[186:187]
	v_mov_b32_e32 v197, 1
	v_mov_b32_e32 v201, 1
	s_delay_alu instid0(VALU_DEP_3) | instskip(NEXT) | instid1(SALU_CYCLE_1)
	s_or_b32 s2, vcc_lo, s2
	s_and_saveexec_b32 s3, s2
	s_cbranch_execz .LBB90_12
; %bb.7:
	v_cmp_gt_f64_e32 vcc_lo, 0, v[184:185]
	v_cmp_gt_f64_e64 s2, 0, v[186:187]
	v_xor_b32_e32 v193, 0x80000000, v185
	v_xor_b32_e32 v197, 0x80000000, v187
                                        ; implicit-def: $sgpr6
                                        ; implicit-def: $sgpr7
	s_delay_alu instid0(VALU_DEP_2) | instskip(NEXT) | instid1(VALU_DEP_2)
	v_dual_cndmask_b32 v201, v185, v193 :: v_dual_cndmask_b32 v200, v184, v184
	v_cndmask_b32_e64 v203, v187, v197, s2
	v_cndmask_b32_e64 v202, v186, v186, s2
	s_mov_b32 s2, exec_lo
	s_delay_alu instid0(VALU_DEP_1)
	v_cmpx_ngt_f64_e32 v[200:201], v[202:203]
	s_xor_b32 s2, exec_lo, s2
	s_cbranch_execz .LBB90_9
; %bb.8:
	v_div_scale_f64 v[200:201], null, v[186:187], v[186:187], v[184:185]
	v_div_scale_f64 v[206:207], vcc_lo, v[184:185], v[186:187], v[184:185]
	s_mov_b32 s7, 2
	s_mov_b32 s6, 0
	s_delay_alu instid0(VALU_DEP_2) | instskip(SKIP_2) | instid1(VALU_DEP_1)
	v_rcp_f64_e32 v[202:203], v[200:201]
	s_waitcnt_depctr 0xfff
	v_fma_f64 v[204:205], -v[200:201], v[202:203], 1.0
	v_fma_f64 v[202:203], v[202:203], v[204:205], v[202:203]
	s_delay_alu instid0(VALU_DEP_1) | instskip(NEXT) | instid1(VALU_DEP_1)
	v_fma_f64 v[204:205], -v[200:201], v[202:203], 1.0
	v_fma_f64 v[202:203], v[202:203], v[204:205], v[202:203]
	s_delay_alu instid0(VALU_DEP_1) | instskip(NEXT) | instid1(VALU_DEP_1)
	v_mul_f64 v[204:205], v[206:207], v[202:203]
	v_fma_f64 v[200:201], -v[200:201], v[204:205], v[206:207]
	s_delay_alu instid0(VALU_DEP_1) | instskip(NEXT) | instid1(VALU_DEP_1)
	v_div_fmas_f64 v[200:201], v[200:201], v[202:203], v[204:205]
	v_div_fixup_f64 v[200:201], v[200:201], v[186:187], v[184:185]
	s_delay_alu instid0(VALU_DEP_1) | instskip(NEXT) | instid1(VALU_DEP_1)
	v_fma_f64 v[184:185], v[184:185], v[200:201], v[186:187]
	v_div_scale_f64 v[186:187], null, v[184:185], v[184:185], 1.0
	s_delay_alu instid0(VALU_DEP_1) | instskip(SKIP_2) | instid1(VALU_DEP_1)
	v_rcp_f64_e32 v[202:203], v[186:187]
	s_waitcnt_depctr 0xfff
	v_fma_f64 v[204:205], -v[186:187], v[202:203], 1.0
	v_fma_f64 v[202:203], v[202:203], v[204:205], v[202:203]
	s_delay_alu instid0(VALU_DEP_1) | instskip(NEXT) | instid1(VALU_DEP_1)
	v_fma_f64 v[204:205], -v[186:187], v[202:203], 1.0
	v_fma_f64 v[202:203], v[202:203], v[204:205], v[202:203]
	v_div_scale_f64 v[204:205], vcc_lo, 1.0, v[184:185], 1.0
	s_delay_alu instid0(VALU_DEP_1) | instskip(NEXT) | instid1(VALU_DEP_1)
	v_mul_f64 v[206:207], v[204:205], v[202:203]
	v_fma_f64 v[186:187], -v[186:187], v[206:207], v[204:205]
	s_delay_alu instid0(VALU_DEP_1) | instskip(NEXT) | instid1(VALU_DEP_1)
	v_div_fmas_f64 v[186:187], v[186:187], v[202:203], v[206:207]
	v_div_fixup_f64 v[186:187], v[186:187], v[184:185], 1.0
	s_delay_alu instid0(VALU_DEP_1)
	v_mul_f64 v[184:185], v[200:201], v[186:187]
	v_xor_b32_e32 v187, 0x80000000, v187
.LBB90_9:
	s_or_saveexec_b32 s2, s2
	v_mov_b32_e32 v201, s6
	v_mov_b32_e32 v197, s7
	s_xor_b32 exec_lo, exec_lo, s2
	s_cbranch_execz .LBB90_11
; %bb.10:
	s_delay_alu instid0(VALU_DEP_4) | instskip(SKIP_2) | instid1(VALU_DEP_3)
	v_div_scale_f64 v[200:201], null, v[184:185], v[184:185], v[186:187]
	v_div_scale_f64 v[206:207], vcc_lo, v[186:187], v[184:185], v[186:187]
	v_mov_b32_e32 v197, 2
	v_rcp_f64_e32 v[202:203], v[200:201]
	s_waitcnt_depctr 0xfff
	v_fma_f64 v[204:205], -v[200:201], v[202:203], 1.0
	s_delay_alu instid0(VALU_DEP_1) | instskip(NEXT) | instid1(VALU_DEP_1)
	v_fma_f64 v[202:203], v[202:203], v[204:205], v[202:203]
	v_fma_f64 v[204:205], -v[200:201], v[202:203], 1.0
	s_delay_alu instid0(VALU_DEP_1) | instskip(NEXT) | instid1(VALU_DEP_1)
	v_fma_f64 v[202:203], v[202:203], v[204:205], v[202:203]
	v_mul_f64 v[204:205], v[206:207], v[202:203]
	s_delay_alu instid0(VALU_DEP_1) | instskip(NEXT) | instid1(VALU_DEP_1)
	v_fma_f64 v[200:201], -v[200:201], v[204:205], v[206:207]
	v_div_fmas_f64 v[200:201], v[200:201], v[202:203], v[204:205]
	s_delay_alu instid0(VALU_DEP_1) | instskip(NEXT) | instid1(VALU_DEP_1)
	v_div_fixup_f64 v[200:201], v[200:201], v[184:185], v[186:187]
	v_fma_f64 v[184:185], v[186:187], v[200:201], v[184:185]
	s_delay_alu instid0(VALU_DEP_1) | instskip(NEXT) | instid1(VALU_DEP_1)
	v_div_scale_f64 v[186:187], null, v[184:185], v[184:185], 1.0
	v_rcp_f64_e32 v[202:203], v[186:187]
	s_waitcnt_depctr 0xfff
	v_fma_f64 v[204:205], -v[186:187], v[202:203], 1.0
	s_delay_alu instid0(VALU_DEP_1) | instskip(NEXT) | instid1(VALU_DEP_1)
	v_fma_f64 v[202:203], v[202:203], v[204:205], v[202:203]
	v_fma_f64 v[204:205], -v[186:187], v[202:203], 1.0
	s_delay_alu instid0(VALU_DEP_1) | instskip(SKIP_1) | instid1(VALU_DEP_1)
	v_fma_f64 v[202:203], v[202:203], v[204:205], v[202:203]
	v_div_scale_f64 v[204:205], vcc_lo, 1.0, v[184:185], 1.0
	v_mul_f64 v[206:207], v[204:205], v[202:203]
	s_delay_alu instid0(VALU_DEP_1) | instskip(NEXT) | instid1(VALU_DEP_1)
	v_fma_f64 v[186:187], -v[186:187], v[206:207], v[204:205]
	v_div_fmas_f64 v[186:187], v[186:187], v[202:203], v[206:207]
	s_delay_alu instid0(VALU_DEP_1) | instskip(NEXT) | instid1(VALU_DEP_1)
	v_div_fixup_f64 v[184:185], v[186:187], v[184:185], 1.0
	v_mul_f64 v[186:187], v[200:201], -v[184:185]
	v_mov_b32_e32 v201, 0
.LBB90_11:
	s_or_b32 exec_lo, exec_lo, s2
.LBB90_12:
	s_delay_alu instid0(SALU_CYCLE_1) | instskip(NEXT) | instid1(SALU_CYCLE_1)
	s_or_b32 exec_lo, exec_lo, s3
	s_mov_b32 s2, exec_lo
	v_cmpx_ne_u32_e64 v198, v192
	s_xor_b32 s2, exec_lo, s2
	s_cbranch_execz .LBB90_18
; %bb.13:
	s_mov_b32 s3, exec_lo
	v_cmpx_eq_u32_e32 0, v198
	s_cbranch_execz .LBB90_17
; %bb.14:
	v_cmp_ne_u32_e32 vcc_lo, 0, v192
	s_xor_b32 s6, s4, -1
	s_delay_alu instid0(SALU_CYCLE_1) | instskip(NEXT) | instid1(SALU_CYCLE_1)
	s_and_b32 s7, s6, vcc_lo
	s_and_saveexec_b32 s6, s7
	s_cbranch_execz .LBB90_16
; %bb.15:
	v_ashrrev_i32_e32 v193, 31, v192
	s_delay_alu instid0(VALU_DEP_1) | instskip(NEXT) | instid1(VALU_DEP_1)
	v_lshlrev_b64 v[202:203], 2, v[192:193]
	v_add_co_u32 v202, vcc_lo, v190, v202
	s_delay_alu instid0(VALU_DEP_2)
	v_add_co_ci_u32_e32 v203, vcc_lo, v191, v203, vcc_lo
	s_clause 0x1
	flat_load_b32 v193, v[202:203]
	flat_load_b32 v198, v[190:191]
	s_waitcnt vmcnt(1) lgkmcnt(1)
	flat_store_b32 v[190:191], v193
	s_waitcnt vmcnt(0) lgkmcnt(1)
	flat_store_b32 v[202:203], v198
.LBB90_16:
	s_or_b32 exec_lo, exec_lo, s6
	v_mov_b32_e32 v198, v192
.LBB90_17:
	s_or_b32 exec_lo, exec_lo, s3
.LBB90_18:
	s_or_saveexec_b32 s2, s2
	s_delay_alu instid0(VALU_DEP_1)
	v_mov_b32_e32 v200, v198
	s_xor_b32 exec_lo, exec_lo, s2
	s_cbranch_execz .LBB90_20
; %bb.19:
	v_mov_b32_e32 v200, 0
	ds_store_2addr_b64 v194, v[176:177], v[178:179] offset0:2 offset1:3
	ds_store_2addr_b64 v194, v[172:173], v[174:175] offset0:4 offset1:5
	;; [unrolled: 1-line block ×45, first 2 shown]
.LBB90_20:
	s_or_b32 exec_lo, exec_lo, s2
	s_delay_alu instid0(SALU_CYCLE_1)
	s_mov_b32 s2, exec_lo
	s_waitcnt lgkmcnt(0)
	s_waitcnt_vscnt null, 0x0
	s_barrier
	buffer_gl0_inv
	v_cmpx_lt_i32_e32 0, v200
	s_cbranch_execz .LBB90_22
; %bb.21:
	v_mul_f64 v[192:193], v[186:187], v[182:183]
	v_mul_f64 v[182:183], v[184:185], v[182:183]
	s_delay_alu instid0(VALU_DEP_2) | instskip(NEXT) | instid1(VALU_DEP_2)
	v_fma_f64 v[192:193], v[184:185], v[180:181], -v[192:193]
	v_fma_f64 v[182:183], v[186:187], v[180:181], v[182:183]
	ds_load_2addr_b64 v[184:187], v194 offset0:2 offset1:3
	s_waitcnt lgkmcnt(0)
	v_mul_f64 v[180:181], v[186:187], v[182:183]
	s_delay_alu instid0(VALU_DEP_1) | instskip(SKIP_1) | instid1(VALU_DEP_2)
	v_fma_f64 v[180:181], v[184:185], v[192:193], -v[180:181]
	v_mul_f64 v[184:185], v[184:185], v[182:183]
	v_add_f64 v[176:177], v[176:177], -v[180:181]
	s_delay_alu instid0(VALU_DEP_2) | instskip(NEXT) | instid1(VALU_DEP_1)
	v_fma_f64 v[184:185], v[186:187], v[192:193], v[184:185]
	v_add_f64 v[178:179], v[178:179], -v[184:185]
	ds_load_2addr_b64 v[184:187], v194 offset0:4 offset1:5
	s_waitcnt lgkmcnt(0)
	v_mul_f64 v[180:181], v[186:187], v[182:183]
	s_delay_alu instid0(VALU_DEP_1) | instskip(SKIP_1) | instid1(VALU_DEP_2)
	v_fma_f64 v[180:181], v[184:185], v[192:193], -v[180:181]
	v_mul_f64 v[184:185], v[184:185], v[182:183]
	v_add_f64 v[172:173], v[172:173], -v[180:181]
	s_delay_alu instid0(VALU_DEP_2) | instskip(NEXT) | instid1(VALU_DEP_1)
	v_fma_f64 v[184:185], v[186:187], v[192:193], v[184:185]
	v_add_f64 v[174:175], v[174:175], -v[184:185]
	;; [unrolled: 10-line block ×44, first 2 shown]
	ds_load_2addr_b64 v[184:187], v194 offset0:90 offset1:91
	s_waitcnt lgkmcnt(0)
	v_mul_f64 v[180:181], v[186:187], v[182:183]
	s_delay_alu instid0(VALU_DEP_1) | instskip(SKIP_1) | instid1(VALU_DEP_2)
	v_fma_f64 v[180:181], v[184:185], v[192:193], -v[180:181]
	v_mul_f64 v[184:185], v[184:185], v[182:183]
	v_add_f64 v[0:1], v[0:1], -v[180:181]
	s_delay_alu instid0(VALU_DEP_2) | instskip(SKIP_1) | instid1(VALU_DEP_2)
	v_fma_f64 v[184:185], v[186:187], v[192:193], v[184:185]
	v_dual_mov_b32 v180, v192 :: v_dual_mov_b32 v181, v193
	v_add_f64 v[2:3], v[2:3], -v[184:185]
.LBB90_22:
	s_or_b32 exec_lo, exec_lo, s2
	v_lshl_add_u32 v184, v200, 4, v194
	s_barrier
	buffer_gl0_inv
	v_mov_b32_e32 v192, 1
	ds_store_2addr_b64 v184, v[176:177], v[178:179] offset1:1
	s_waitcnt lgkmcnt(0)
	s_barrier
	buffer_gl0_inv
	ds_load_2addr_b64 v[184:187], v194 offset0:2 offset1:3
	s_cmp_lt_i32 s5, 3
	s_cbranch_scc1 .LBB90_25
; %bb.23:
	v_add3_u32 v193, v199, 0, 32
	v_mov_b32_e32 v192, 1
	s_mov_b32 s6, 2
	s_set_inst_prefetch_distance 0x1
	.p2align	6
.LBB90_24:                              ; =>This Inner Loop Header: Depth=1
	ds_load_2addr_b64 v[202:205], v193 offset1:1
	s_waitcnt lgkmcnt(1)
	v_cmp_gt_f64_e32 vcc_lo, 0, v[184:185]
	v_xor_b32_e32 v206, 0x80000000, v185
	v_cmp_gt_f64_e64 s2, 0, v[186:187]
	v_xor_b32_e32 v208, 0x80000000, v187
	v_add_nc_u32_e32 v193, 16, v193
	s_waitcnt lgkmcnt(0)
	v_cmp_gt_f64_e64 s3, 0, v[202:203]
	v_mov_b32_e32 v210, v202
	v_dual_mov_b32 v212, v204 :: v_dual_cndmask_b32 v207, v185, v206
	v_xor_b32_e32 v206, 0x80000000, v203
	v_cndmask_b32_e64 v209, v187, v208, s2
	v_xor_b32_e32 v208, 0x80000000, v205
	s_delay_alu instid0(VALU_DEP_3) | instskip(SKIP_2) | instid1(VALU_DEP_2)
	v_cndmask_b32_e64 v211, v203, v206, s3
	v_cmp_gt_f64_e64 s3, 0, v[204:205]
	v_cndmask_b32_e32 v206, v184, v184, vcc_lo
	v_cndmask_b32_e64 v213, v205, v208, s3
	v_cndmask_b32_e64 v208, v186, v186, s2
	s_delay_alu instid0(VALU_DEP_2) | instskip(NEXT) | instid1(VALU_DEP_2)
	v_add_f64 v[210:211], v[210:211], v[212:213]
	v_add_f64 v[206:207], v[206:207], v[208:209]
	s_delay_alu instid0(VALU_DEP_1)
	v_cmp_lt_f64_e32 vcc_lo, v[206:207], v[210:211]
	v_cndmask_b32_e32 v187, v187, v205, vcc_lo
	v_dual_cndmask_b32 v185, v185, v203 :: v_dual_cndmask_b32 v184, v184, v202
	v_cndmask_b32_e32 v186, v186, v204, vcc_lo
	v_cndmask_b32_e64 v192, v192, s6, vcc_lo
	s_add_i32 s6, s6, 1
	s_delay_alu instid0(SALU_CYCLE_1)
	s_cmp_lg_u32 s5, s6
	s_cbranch_scc1 .LBB90_24
.LBB90_25:
	s_set_inst_prefetch_distance 0x2
	s_waitcnt lgkmcnt(0)
	v_cmp_neq_f64_e32 vcc_lo, 0, v[184:185]
	v_cmp_neq_f64_e64 s2, 0, v[186:187]
	s_delay_alu instid0(VALU_DEP_1) | instskip(NEXT) | instid1(SALU_CYCLE_1)
	s_or_b32 s2, vcc_lo, s2
	s_and_saveexec_b32 s3, s2
	s_cbranch_execz .LBB90_31
; %bb.26:
	v_cmp_gt_f64_e32 vcc_lo, 0, v[184:185]
	v_cmp_gt_f64_e64 s2, 0, v[186:187]
	v_xor_b32_e32 v193, 0x80000000, v185
	v_xor_b32_e32 v197, 0x80000000, v187
	s_delay_alu instid0(VALU_DEP_2) | instskip(NEXT) | instid1(VALU_DEP_2)
	v_dual_cndmask_b32 v203, v185, v193 :: v_dual_cndmask_b32 v202, v184, v184
	v_cndmask_b32_e64 v205, v187, v197, s2
	v_cndmask_b32_e64 v204, v186, v186, s2
	s_mov_b32 s2, exec_lo
	s_delay_alu instid0(VALU_DEP_1)
	v_cmpx_ngt_f64_e32 v[202:203], v[204:205]
	s_xor_b32 s2, exec_lo, s2
	s_cbranch_execz .LBB90_28
; %bb.27:
	v_div_scale_f64 v[202:203], null, v[186:187], v[186:187], v[184:185]
	v_div_scale_f64 v[208:209], vcc_lo, v[184:185], v[186:187], v[184:185]
	s_delay_alu instid0(VALU_DEP_2) | instskip(SKIP_2) | instid1(VALU_DEP_1)
	v_rcp_f64_e32 v[204:205], v[202:203]
	s_waitcnt_depctr 0xfff
	v_fma_f64 v[206:207], -v[202:203], v[204:205], 1.0
	v_fma_f64 v[204:205], v[204:205], v[206:207], v[204:205]
	s_delay_alu instid0(VALU_DEP_1) | instskip(NEXT) | instid1(VALU_DEP_1)
	v_fma_f64 v[206:207], -v[202:203], v[204:205], 1.0
	v_fma_f64 v[204:205], v[204:205], v[206:207], v[204:205]
	s_delay_alu instid0(VALU_DEP_1) | instskip(NEXT) | instid1(VALU_DEP_1)
	v_mul_f64 v[206:207], v[208:209], v[204:205]
	v_fma_f64 v[202:203], -v[202:203], v[206:207], v[208:209]
	s_delay_alu instid0(VALU_DEP_1) | instskip(NEXT) | instid1(VALU_DEP_1)
	v_div_fmas_f64 v[202:203], v[202:203], v[204:205], v[206:207]
	v_div_fixup_f64 v[202:203], v[202:203], v[186:187], v[184:185]
	s_delay_alu instid0(VALU_DEP_1) | instskip(NEXT) | instid1(VALU_DEP_1)
	v_fma_f64 v[184:185], v[184:185], v[202:203], v[186:187]
	v_div_scale_f64 v[186:187], null, v[184:185], v[184:185], 1.0
	s_delay_alu instid0(VALU_DEP_1) | instskip(SKIP_2) | instid1(VALU_DEP_1)
	v_rcp_f64_e32 v[204:205], v[186:187]
	s_waitcnt_depctr 0xfff
	v_fma_f64 v[206:207], -v[186:187], v[204:205], 1.0
	v_fma_f64 v[204:205], v[204:205], v[206:207], v[204:205]
	s_delay_alu instid0(VALU_DEP_1) | instskip(NEXT) | instid1(VALU_DEP_1)
	v_fma_f64 v[206:207], -v[186:187], v[204:205], 1.0
	v_fma_f64 v[204:205], v[204:205], v[206:207], v[204:205]
	v_div_scale_f64 v[206:207], vcc_lo, 1.0, v[184:185], 1.0
	s_delay_alu instid0(VALU_DEP_1) | instskip(NEXT) | instid1(VALU_DEP_1)
	v_mul_f64 v[208:209], v[206:207], v[204:205]
	v_fma_f64 v[186:187], -v[186:187], v[208:209], v[206:207]
	s_delay_alu instid0(VALU_DEP_1) | instskip(NEXT) | instid1(VALU_DEP_1)
	v_div_fmas_f64 v[186:187], v[186:187], v[204:205], v[208:209]
	v_div_fixup_f64 v[186:187], v[186:187], v[184:185], 1.0
	s_delay_alu instid0(VALU_DEP_1)
	v_mul_f64 v[184:185], v[202:203], v[186:187]
	v_xor_b32_e32 v187, 0x80000000, v187
.LBB90_28:
	s_and_not1_saveexec_b32 s2, s2
	s_cbranch_execz .LBB90_30
; %bb.29:
	s_delay_alu instid0(VALU_DEP_1) | instskip(SKIP_1) | instid1(VALU_DEP_2)
	v_div_scale_f64 v[202:203], null, v[184:185], v[184:185], v[186:187]
	v_div_scale_f64 v[208:209], vcc_lo, v[186:187], v[184:185], v[186:187]
	v_rcp_f64_e32 v[204:205], v[202:203]
	s_waitcnt_depctr 0xfff
	v_fma_f64 v[206:207], -v[202:203], v[204:205], 1.0
	s_delay_alu instid0(VALU_DEP_1) | instskip(NEXT) | instid1(VALU_DEP_1)
	v_fma_f64 v[204:205], v[204:205], v[206:207], v[204:205]
	v_fma_f64 v[206:207], -v[202:203], v[204:205], 1.0
	s_delay_alu instid0(VALU_DEP_1) | instskip(NEXT) | instid1(VALU_DEP_1)
	v_fma_f64 v[204:205], v[204:205], v[206:207], v[204:205]
	v_mul_f64 v[206:207], v[208:209], v[204:205]
	s_delay_alu instid0(VALU_DEP_1) | instskip(NEXT) | instid1(VALU_DEP_1)
	v_fma_f64 v[202:203], -v[202:203], v[206:207], v[208:209]
	v_div_fmas_f64 v[202:203], v[202:203], v[204:205], v[206:207]
	s_delay_alu instid0(VALU_DEP_1) | instskip(NEXT) | instid1(VALU_DEP_1)
	v_div_fixup_f64 v[202:203], v[202:203], v[184:185], v[186:187]
	v_fma_f64 v[184:185], v[186:187], v[202:203], v[184:185]
	s_delay_alu instid0(VALU_DEP_1) | instskip(NEXT) | instid1(VALU_DEP_1)
	v_div_scale_f64 v[186:187], null, v[184:185], v[184:185], 1.0
	v_rcp_f64_e32 v[204:205], v[186:187]
	s_waitcnt_depctr 0xfff
	v_fma_f64 v[206:207], -v[186:187], v[204:205], 1.0
	s_delay_alu instid0(VALU_DEP_1) | instskip(NEXT) | instid1(VALU_DEP_1)
	v_fma_f64 v[204:205], v[204:205], v[206:207], v[204:205]
	v_fma_f64 v[206:207], -v[186:187], v[204:205], 1.0
	s_delay_alu instid0(VALU_DEP_1) | instskip(SKIP_1) | instid1(VALU_DEP_1)
	v_fma_f64 v[204:205], v[204:205], v[206:207], v[204:205]
	v_div_scale_f64 v[206:207], vcc_lo, 1.0, v[184:185], 1.0
	v_mul_f64 v[208:209], v[206:207], v[204:205]
	s_delay_alu instid0(VALU_DEP_1) | instskip(NEXT) | instid1(VALU_DEP_1)
	v_fma_f64 v[186:187], -v[186:187], v[208:209], v[206:207]
	v_div_fmas_f64 v[186:187], v[186:187], v[204:205], v[208:209]
	s_delay_alu instid0(VALU_DEP_1) | instskip(NEXT) | instid1(VALU_DEP_1)
	v_div_fixup_f64 v[184:185], v[186:187], v[184:185], 1.0
	v_mul_f64 v[186:187], v[202:203], -v[184:185]
.LBB90_30:
	s_or_b32 exec_lo, exec_lo, s2
	v_mov_b32_e32 v197, v201
.LBB90_31:
	s_or_b32 exec_lo, exec_lo, s3
	s_delay_alu instid0(SALU_CYCLE_1)
	s_mov_b32 s2, exec_lo
	v_cmpx_ne_u32_e64 v200, v192
	s_xor_b32 s2, exec_lo, s2
	s_cbranch_execz .LBB90_37
; %bb.32:
	s_mov_b32 s3, exec_lo
	v_cmpx_eq_u32_e32 1, v200
	s_cbranch_execz .LBB90_36
; %bb.33:
	v_cmp_ne_u32_e32 vcc_lo, 1, v192
	s_xor_b32 s6, s4, -1
	s_delay_alu instid0(SALU_CYCLE_1) | instskip(NEXT) | instid1(SALU_CYCLE_1)
	s_and_b32 s7, s6, vcc_lo
	s_and_saveexec_b32 s6, s7
	s_cbranch_execz .LBB90_35
; %bb.34:
	v_ashrrev_i32_e32 v193, 31, v192
	s_delay_alu instid0(VALU_DEP_1) | instskip(NEXT) | instid1(VALU_DEP_1)
	v_lshlrev_b64 v[200:201], 2, v[192:193]
	v_add_co_u32 v200, vcc_lo, v190, v200
	s_delay_alu instid0(VALU_DEP_2)
	v_add_co_ci_u32_e32 v201, vcc_lo, v191, v201, vcc_lo
	s_clause 0x1
	flat_load_b32 v193, v[200:201]
	flat_load_b32 v198, v[190:191] offset:4
	s_waitcnt vmcnt(1) lgkmcnt(1)
	flat_store_b32 v[190:191], v193 offset:4
	s_waitcnt vmcnt(0) lgkmcnt(1)
	flat_store_b32 v[200:201], v198
.LBB90_35:
	s_or_b32 exec_lo, exec_lo, s6
	v_mov_b32_e32 v200, v192
	v_mov_b32_e32 v198, v192
.LBB90_36:
	s_or_b32 exec_lo, exec_lo, s3
.LBB90_37:
	s_and_not1_saveexec_b32 s2, s2
	s_cbranch_execz .LBB90_39
; %bb.38:
	v_mov_b32_e32 v200, 1
	ds_store_2addr_b64 v194, v[172:173], v[174:175] offset0:4 offset1:5
	ds_store_2addr_b64 v194, v[168:169], v[170:171] offset0:6 offset1:7
	;; [unrolled: 1-line block ×44, first 2 shown]
.LBB90_39:
	s_or_b32 exec_lo, exec_lo, s2
	s_delay_alu instid0(SALU_CYCLE_1)
	s_mov_b32 s2, exec_lo
	s_waitcnt lgkmcnt(0)
	s_waitcnt_vscnt null, 0x0
	s_barrier
	buffer_gl0_inv
	v_cmpx_lt_i32_e32 1, v200
	s_cbranch_execz .LBB90_41
; %bb.40:
	v_mul_f64 v[192:193], v[186:187], v[178:179]
	v_mul_f64 v[178:179], v[184:185], v[178:179]
	s_delay_alu instid0(VALU_DEP_2) | instskip(NEXT) | instid1(VALU_DEP_2)
	v_fma_f64 v[192:193], v[184:185], v[176:177], -v[192:193]
	v_fma_f64 v[178:179], v[186:187], v[176:177], v[178:179]
	ds_load_2addr_b64 v[184:187], v194 offset0:4 offset1:5
	s_waitcnt lgkmcnt(0)
	v_mul_f64 v[176:177], v[186:187], v[178:179]
	s_delay_alu instid0(VALU_DEP_1) | instskip(SKIP_1) | instid1(VALU_DEP_2)
	v_fma_f64 v[176:177], v[184:185], v[192:193], -v[176:177]
	v_mul_f64 v[184:185], v[184:185], v[178:179]
	v_add_f64 v[172:173], v[172:173], -v[176:177]
	s_delay_alu instid0(VALU_DEP_2) | instskip(NEXT) | instid1(VALU_DEP_1)
	v_fma_f64 v[184:185], v[186:187], v[192:193], v[184:185]
	v_add_f64 v[174:175], v[174:175], -v[184:185]
	ds_load_2addr_b64 v[184:187], v194 offset0:6 offset1:7
	s_waitcnt lgkmcnt(0)
	v_mul_f64 v[176:177], v[186:187], v[178:179]
	s_delay_alu instid0(VALU_DEP_1) | instskip(SKIP_1) | instid1(VALU_DEP_2)
	v_fma_f64 v[176:177], v[184:185], v[192:193], -v[176:177]
	v_mul_f64 v[184:185], v[184:185], v[178:179]
	v_add_f64 v[168:169], v[168:169], -v[176:177]
	s_delay_alu instid0(VALU_DEP_2) | instskip(NEXT) | instid1(VALU_DEP_1)
	v_fma_f64 v[184:185], v[186:187], v[192:193], v[184:185]
	v_add_f64 v[170:171], v[170:171], -v[184:185]
	ds_load_2addr_b64 v[184:187], v194 offset0:8 offset1:9
	s_waitcnt lgkmcnt(0)
	v_mul_f64 v[176:177], v[186:187], v[178:179]
	s_delay_alu instid0(VALU_DEP_1) | instskip(SKIP_1) | instid1(VALU_DEP_2)
	v_fma_f64 v[176:177], v[184:185], v[192:193], -v[176:177]
	v_mul_f64 v[184:185], v[184:185], v[178:179]
	v_add_f64 v[164:165], v[164:165], -v[176:177]
	s_delay_alu instid0(VALU_DEP_2) | instskip(NEXT) | instid1(VALU_DEP_1)
	v_fma_f64 v[184:185], v[186:187], v[192:193], v[184:185]
	v_add_f64 v[166:167], v[166:167], -v[184:185]
	ds_load_2addr_b64 v[184:187], v194 offset0:10 offset1:11
	s_waitcnt lgkmcnt(0)
	v_mul_f64 v[176:177], v[186:187], v[178:179]
	s_delay_alu instid0(VALU_DEP_1) | instskip(SKIP_1) | instid1(VALU_DEP_2)
	v_fma_f64 v[176:177], v[184:185], v[192:193], -v[176:177]
	v_mul_f64 v[184:185], v[184:185], v[178:179]
	v_add_f64 v[160:161], v[160:161], -v[176:177]
	s_delay_alu instid0(VALU_DEP_2) | instskip(NEXT) | instid1(VALU_DEP_1)
	v_fma_f64 v[184:185], v[186:187], v[192:193], v[184:185]
	v_add_f64 v[162:163], v[162:163], -v[184:185]
	ds_load_2addr_b64 v[184:187], v194 offset0:12 offset1:13
	s_waitcnt lgkmcnt(0)
	v_mul_f64 v[176:177], v[186:187], v[178:179]
	s_delay_alu instid0(VALU_DEP_1) | instskip(SKIP_1) | instid1(VALU_DEP_2)
	v_fma_f64 v[176:177], v[184:185], v[192:193], -v[176:177]
	v_mul_f64 v[184:185], v[184:185], v[178:179]
	v_add_f64 v[156:157], v[156:157], -v[176:177]
	s_delay_alu instid0(VALU_DEP_2) | instskip(NEXT) | instid1(VALU_DEP_1)
	v_fma_f64 v[184:185], v[186:187], v[192:193], v[184:185]
	v_add_f64 v[158:159], v[158:159], -v[184:185]
	ds_load_2addr_b64 v[184:187], v194 offset0:14 offset1:15
	s_waitcnt lgkmcnt(0)
	v_mul_f64 v[176:177], v[186:187], v[178:179]
	s_delay_alu instid0(VALU_DEP_1) | instskip(SKIP_1) | instid1(VALU_DEP_2)
	v_fma_f64 v[176:177], v[184:185], v[192:193], -v[176:177]
	v_mul_f64 v[184:185], v[184:185], v[178:179]
	v_add_f64 v[152:153], v[152:153], -v[176:177]
	s_delay_alu instid0(VALU_DEP_2) | instskip(NEXT) | instid1(VALU_DEP_1)
	v_fma_f64 v[184:185], v[186:187], v[192:193], v[184:185]
	v_add_f64 v[154:155], v[154:155], -v[184:185]
	ds_load_2addr_b64 v[184:187], v194 offset0:16 offset1:17
	s_waitcnt lgkmcnt(0)
	v_mul_f64 v[176:177], v[186:187], v[178:179]
	s_delay_alu instid0(VALU_DEP_1) | instskip(SKIP_1) | instid1(VALU_DEP_2)
	v_fma_f64 v[176:177], v[184:185], v[192:193], -v[176:177]
	v_mul_f64 v[184:185], v[184:185], v[178:179]
	v_add_f64 v[148:149], v[148:149], -v[176:177]
	s_delay_alu instid0(VALU_DEP_2) | instskip(NEXT) | instid1(VALU_DEP_1)
	v_fma_f64 v[184:185], v[186:187], v[192:193], v[184:185]
	v_add_f64 v[150:151], v[150:151], -v[184:185]
	ds_load_2addr_b64 v[184:187], v194 offset0:18 offset1:19
	s_waitcnt lgkmcnt(0)
	v_mul_f64 v[176:177], v[186:187], v[178:179]
	s_delay_alu instid0(VALU_DEP_1) | instskip(SKIP_1) | instid1(VALU_DEP_2)
	v_fma_f64 v[176:177], v[184:185], v[192:193], -v[176:177]
	v_mul_f64 v[184:185], v[184:185], v[178:179]
	v_add_f64 v[144:145], v[144:145], -v[176:177]
	s_delay_alu instid0(VALU_DEP_2) | instskip(NEXT) | instid1(VALU_DEP_1)
	v_fma_f64 v[184:185], v[186:187], v[192:193], v[184:185]
	v_add_f64 v[146:147], v[146:147], -v[184:185]
	ds_load_2addr_b64 v[184:187], v194 offset0:20 offset1:21
	s_waitcnt lgkmcnt(0)
	v_mul_f64 v[176:177], v[186:187], v[178:179]
	s_delay_alu instid0(VALU_DEP_1) | instskip(SKIP_1) | instid1(VALU_DEP_2)
	v_fma_f64 v[176:177], v[184:185], v[192:193], -v[176:177]
	v_mul_f64 v[184:185], v[184:185], v[178:179]
	v_add_f64 v[140:141], v[140:141], -v[176:177]
	s_delay_alu instid0(VALU_DEP_2) | instskip(NEXT) | instid1(VALU_DEP_1)
	v_fma_f64 v[184:185], v[186:187], v[192:193], v[184:185]
	v_add_f64 v[142:143], v[142:143], -v[184:185]
	ds_load_2addr_b64 v[184:187], v194 offset0:22 offset1:23
	s_waitcnt lgkmcnt(0)
	v_mul_f64 v[176:177], v[186:187], v[178:179]
	s_delay_alu instid0(VALU_DEP_1) | instskip(SKIP_1) | instid1(VALU_DEP_2)
	v_fma_f64 v[176:177], v[184:185], v[192:193], -v[176:177]
	v_mul_f64 v[184:185], v[184:185], v[178:179]
	v_add_f64 v[136:137], v[136:137], -v[176:177]
	s_delay_alu instid0(VALU_DEP_2) | instskip(NEXT) | instid1(VALU_DEP_1)
	v_fma_f64 v[184:185], v[186:187], v[192:193], v[184:185]
	v_add_f64 v[138:139], v[138:139], -v[184:185]
	ds_load_2addr_b64 v[184:187], v194 offset0:24 offset1:25
	s_waitcnt lgkmcnt(0)
	v_mul_f64 v[176:177], v[186:187], v[178:179]
	s_delay_alu instid0(VALU_DEP_1) | instskip(SKIP_1) | instid1(VALU_DEP_2)
	v_fma_f64 v[176:177], v[184:185], v[192:193], -v[176:177]
	v_mul_f64 v[184:185], v[184:185], v[178:179]
	v_add_f64 v[132:133], v[132:133], -v[176:177]
	s_delay_alu instid0(VALU_DEP_2) | instskip(NEXT) | instid1(VALU_DEP_1)
	v_fma_f64 v[184:185], v[186:187], v[192:193], v[184:185]
	v_add_f64 v[134:135], v[134:135], -v[184:185]
	ds_load_2addr_b64 v[184:187], v194 offset0:26 offset1:27
	s_waitcnt lgkmcnt(0)
	v_mul_f64 v[176:177], v[186:187], v[178:179]
	s_delay_alu instid0(VALU_DEP_1) | instskip(SKIP_1) | instid1(VALU_DEP_2)
	v_fma_f64 v[176:177], v[184:185], v[192:193], -v[176:177]
	v_mul_f64 v[184:185], v[184:185], v[178:179]
	v_add_f64 v[128:129], v[128:129], -v[176:177]
	s_delay_alu instid0(VALU_DEP_2) | instskip(NEXT) | instid1(VALU_DEP_1)
	v_fma_f64 v[184:185], v[186:187], v[192:193], v[184:185]
	v_add_f64 v[130:131], v[130:131], -v[184:185]
	ds_load_2addr_b64 v[184:187], v194 offset0:28 offset1:29
	s_waitcnt lgkmcnt(0)
	v_mul_f64 v[176:177], v[186:187], v[178:179]
	s_delay_alu instid0(VALU_DEP_1) | instskip(SKIP_1) | instid1(VALU_DEP_2)
	v_fma_f64 v[176:177], v[184:185], v[192:193], -v[176:177]
	v_mul_f64 v[184:185], v[184:185], v[178:179]
	v_add_f64 v[124:125], v[124:125], -v[176:177]
	s_delay_alu instid0(VALU_DEP_2) | instskip(NEXT) | instid1(VALU_DEP_1)
	v_fma_f64 v[184:185], v[186:187], v[192:193], v[184:185]
	v_add_f64 v[126:127], v[126:127], -v[184:185]
	ds_load_2addr_b64 v[184:187], v194 offset0:30 offset1:31
	s_waitcnt lgkmcnt(0)
	v_mul_f64 v[176:177], v[186:187], v[178:179]
	s_delay_alu instid0(VALU_DEP_1) | instskip(SKIP_1) | instid1(VALU_DEP_2)
	v_fma_f64 v[176:177], v[184:185], v[192:193], -v[176:177]
	v_mul_f64 v[184:185], v[184:185], v[178:179]
	v_add_f64 v[120:121], v[120:121], -v[176:177]
	s_delay_alu instid0(VALU_DEP_2) | instskip(NEXT) | instid1(VALU_DEP_1)
	v_fma_f64 v[184:185], v[186:187], v[192:193], v[184:185]
	v_add_f64 v[122:123], v[122:123], -v[184:185]
	ds_load_2addr_b64 v[184:187], v194 offset0:32 offset1:33
	s_waitcnt lgkmcnt(0)
	v_mul_f64 v[176:177], v[186:187], v[178:179]
	s_delay_alu instid0(VALU_DEP_1) | instskip(SKIP_1) | instid1(VALU_DEP_2)
	v_fma_f64 v[176:177], v[184:185], v[192:193], -v[176:177]
	v_mul_f64 v[184:185], v[184:185], v[178:179]
	v_add_f64 v[116:117], v[116:117], -v[176:177]
	s_delay_alu instid0(VALU_DEP_2) | instskip(NEXT) | instid1(VALU_DEP_1)
	v_fma_f64 v[184:185], v[186:187], v[192:193], v[184:185]
	v_add_f64 v[118:119], v[118:119], -v[184:185]
	ds_load_2addr_b64 v[184:187], v194 offset0:34 offset1:35
	s_waitcnt lgkmcnt(0)
	v_mul_f64 v[176:177], v[186:187], v[178:179]
	s_delay_alu instid0(VALU_DEP_1) | instskip(SKIP_1) | instid1(VALU_DEP_2)
	v_fma_f64 v[176:177], v[184:185], v[192:193], -v[176:177]
	v_mul_f64 v[184:185], v[184:185], v[178:179]
	v_add_f64 v[112:113], v[112:113], -v[176:177]
	s_delay_alu instid0(VALU_DEP_2) | instskip(NEXT) | instid1(VALU_DEP_1)
	v_fma_f64 v[184:185], v[186:187], v[192:193], v[184:185]
	v_add_f64 v[114:115], v[114:115], -v[184:185]
	ds_load_2addr_b64 v[184:187], v194 offset0:36 offset1:37
	s_waitcnt lgkmcnt(0)
	v_mul_f64 v[176:177], v[186:187], v[178:179]
	s_delay_alu instid0(VALU_DEP_1) | instskip(SKIP_1) | instid1(VALU_DEP_2)
	v_fma_f64 v[176:177], v[184:185], v[192:193], -v[176:177]
	v_mul_f64 v[184:185], v[184:185], v[178:179]
	v_add_f64 v[108:109], v[108:109], -v[176:177]
	s_delay_alu instid0(VALU_DEP_2) | instskip(NEXT) | instid1(VALU_DEP_1)
	v_fma_f64 v[184:185], v[186:187], v[192:193], v[184:185]
	v_add_f64 v[110:111], v[110:111], -v[184:185]
	ds_load_2addr_b64 v[184:187], v194 offset0:38 offset1:39
	s_waitcnt lgkmcnt(0)
	v_mul_f64 v[176:177], v[186:187], v[178:179]
	s_delay_alu instid0(VALU_DEP_1) | instskip(SKIP_1) | instid1(VALU_DEP_2)
	v_fma_f64 v[176:177], v[184:185], v[192:193], -v[176:177]
	v_mul_f64 v[184:185], v[184:185], v[178:179]
	v_add_f64 v[104:105], v[104:105], -v[176:177]
	s_delay_alu instid0(VALU_DEP_2) | instskip(NEXT) | instid1(VALU_DEP_1)
	v_fma_f64 v[184:185], v[186:187], v[192:193], v[184:185]
	v_add_f64 v[106:107], v[106:107], -v[184:185]
	ds_load_2addr_b64 v[184:187], v194 offset0:40 offset1:41
	s_waitcnt lgkmcnt(0)
	v_mul_f64 v[176:177], v[186:187], v[178:179]
	s_delay_alu instid0(VALU_DEP_1) | instskip(SKIP_1) | instid1(VALU_DEP_2)
	v_fma_f64 v[176:177], v[184:185], v[192:193], -v[176:177]
	v_mul_f64 v[184:185], v[184:185], v[178:179]
	v_add_f64 v[100:101], v[100:101], -v[176:177]
	s_delay_alu instid0(VALU_DEP_2) | instskip(NEXT) | instid1(VALU_DEP_1)
	v_fma_f64 v[184:185], v[186:187], v[192:193], v[184:185]
	v_add_f64 v[102:103], v[102:103], -v[184:185]
	ds_load_2addr_b64 v[184:187], v194 offset0:42 offset1:43
	s_waitcnt lgkmcnt(0)
	v_mul_f64 v[176:177], v[186:187], v[178:179]
	s_delay_alu instid0(VALU_DEP_1) | instskip(SKIP_1) | instid1(VALU_DEP_2)
	v_fma_f64 v[176:177], v[184:185], v[192:193], -v[176:177]
	v_mul_f64 v[184:185], v[184:185], v[178:179]
	v_add_f64 v[96:97], v[96:97], -v[176:177]
	s_delay_alu instid0(VALU_DEP_2) | instskip(NEXT) | instid1(VALU_DEP_1)
	v_fma_f64 v[184:185], v[186:187], v[192:193], v[184:185]
	v_add_f64 v[98:99], v[98:99], -v[184:185]
	ds_load_2addr_b64 v[184:187], v194 offset0:44 offset1:45
	s_waitcnt lgkmcnt(0)
	v_mul_f64 v[176:177], v[186:187], v[178:179]
	s_delay_alu instid0(VALU_DEP_1) | instskip(SKIP_1) | instid1(VALU_DEP_2)
	v_fma_f64 v[176:177], v[184:185], v[192:193], -v[176:177]
	v_mul_f64 v[184:185], v[184:185], v[178:179]
	v_add_f64 v[92:93], v[92:93], -v[176:177]
	s_delay_alu instid0(VALU_DEP_2) | instskip(NEXT) | instid1(VALU_DEP_1)
	v_fma_f64 v[184:185], v[186:187], v[192:193], v[184:185]
	v_add_f64 v[94:95], v[94:95], -v[184:185]
	ds_load_2addr_b64 v[184:187], v194 offset0:46 offset1:47
	s_waitcnt lgkmcnt(0)
	v_mul_f64 v[176:177], v[186:187], v[178:179]
	s_delay_alu instid0(VALU_DEP_1) | instskip(SKIP_1) | instid1(VALU_DEP_2)
	v_fma_f64 v[176:177], v[184:185], v[192:193], -v[176:177]
	v_mul_f64 v[184:185], v[184:185], v[178:179]
	v_add_f64 v[88:89], v[88:89], -v[176:177]
	s_delay_alu instid0(VALU_DEP_2) | instskip(NEXT) | instid1(VALU_DEP_1)
	v_fma_f64 v[184:185], v[186:187], v[192:193], v[184:185]
	v_add_f64 v[90:91], v[90:91], -v[184:185]
	ds_load_2addr_b64 v[184:187], v194 offset0:48 offset1:49
	s_waitcnt lgkmcnt(0)
	v_mul_f64 v[176:177], v[186:187], v[178:179]
	s_delay_alu instid0(VALU_DEP_1) | instskip(SKIP_1) | instid1(VALU_DEP_2)
	v_fma_f64 v[176:177], v[184:185], v[192:193], -v[176:177]
	v_mul_f64 v[184:185], v[184:185], v[178:179]
	v_add_f64 v[84:85], v[84:85], -v[176:177]
	s_delay_alu instid0(VALU_DEP_2) | instskip(NEXT) | instid1(VALU_DEP_1)
	v_fma_f64 v[184:185], v[186:187], v[192:193], v[184:185]
	v_add_f64 v[86:87], v[86:87], -v[184:185]
	ds_load_2addr_b64 v[184:187], v194 offset0:50 offset1:51
	s_waitcnt lgkmcnt(0)
	v_mul_f64 v[176:177], v[186:187], v[178:179]
	s_delay_alu instid0(VALU_DEP_1) | instskip(SKIP_1) | instid1(VALU_DEP_2)
	v_fma_f64 v[176:177], v[184:185], v[192:193], -v[176:177]
	v_mul_f64 v[184:185], v[184:185], v[178:179]
	v_add_f64 v[80:81], v[80:81], -v[176:177]
	s_delay_alu instid0(VALU_DEP_2) | instskip(NEXT) | instid1(VALU_DEP_1)
	v_fma_f64 v[184:185], v[186:187], v[192:193], v[184:185]
	v_add_f64 v[82:83], v[82:83], -v[184:185]
	ds_load_2addr_b64 v[184:187], v194 offset0:52 offset1:53
	s_waitcnt lgkmcnt(0)
	v_mul_f64 v[176:177], v[186:187], v[178:179]
	s_delay_alu instid0(VALU_DEP_1) | instskip(SKIP_1) | instid1(VALU_DEP_2)
	v_fma_f64 v[176:177], v[184:185], v[192:193], -v[176:177]
	v_mul_f64 v[184:185], v[184:185], v[178:179]
	v_add_f64 v[76:77], v[76:77], -v[176:177]
	s_delay_alu instid0(VALU_DEP_2) | instskip(NEXT) | instid1(VALU_DEP_1)
	v_fma_f64 v[184:185], v[186:187], v[192:193], v[184:185]
	v_add_f64 v[78:79], v[78:79], -v[184:185]
	ds_load_2addr_b64 v[184:187], v194 offset0:54 offset1:55
	s_waitcnt lgkmcnt(0)
	v_mul_f64 v[176:177], v[186:187], v[178:179]
	s_delay_alu instid0(VALU_DEP_1) | instskip(SKIP_1) | instid1(VALU_DEP_2)
	v_fma_f64 v[176:177], v[184:185], v[192:193], -v[176:177]
	v_mul_f64 v[184:185], v[184:185], v[178:179]
	v_add_f64 v[72:73], v[72:73], -v[176:177]
	s_delay_alu instid0(VALU_DEP_2) | instskip(NEXT) | instid1(VALU_DEP_1)
	v_fma_f64 v[184:185], v[186:187], v[192:193], v[184:185]
	v_add_f64 v[74:75], v[74:75], -v[184:185]
	ds_load_2addr_b64 v[184:187], v194 offset0:56 offset1:57
	s_waitcnt lgkmcnt(0)
	v_mul_f64 v[176:177], v[186:187], v[178:179]
	s_delay_alu instid0(VALU_DEP_1) | instskip(SKIP_1) | instid1(VALU_DEP_2)
	v_fma_f64 v[176:177], v[184:185], v[192:193], -v[176:177]
	v_mul_f64 v[184:185], v[184:185], v[178:179]
	v_add_f64 v[68:69], v[68:69], -v[176:177]
	s_delay_alu instid0(VALU_DEP_2) | instskip(NEXT) | instid1(VALU_DEP_1)
	v_fma_f64 v[184:185], v[186:187], v[192:193], v[184:185]
	v_add_f64 v[70:71], v[70:71], -v[184:185]
	ds_load_2addr_b64 v[184:187], v194 offset0:58 offset1:59
	s_waitcnt lgkmcnt(0)
	v_mul_f64 v[176:177], v[186:187], v[178:179]
	s_delay_alu instid0(VALU_DEP_1) | instskip(SKIP_1) | instid1(VALU_DEP_2)
	v_fma_f64 v[176:177], v[184:185], v[192:193], -v[176:177]
	v_mul_f64 v[184:185], v[184:185], v[178:179]
	v_add_f64 v[64:65], v[64:65], -v[176:177]
	s_delay_alu instid0(VALU_DEP_2) | instskip(NEXT) | instid1(VALU_DEP_1)
	v_fma_f64 v[184:185], v[186:187], v[192:193], v[184:185]
	v_add_f64 v[66:67], v[66:67], -v[184:185]
	ds_load_2addr_b64 v[184:187], v194 offset0:60 offset1:61
	s_waitcnt lgkmcnt(0)
	v_mul_f64 v[176:177], v[186:187], v[178:179]
	s_delay_alu instid0(VALU_DEP_1) | instskip(SKIP_1) | instid1(VALU_DEP_2)
	v_fma_f64 v[176:177], v[184:185], v[192:193], -v[176:177]
	v_mul_f64 v[184:185], v[184:185], v[178:179]
	v_add_f64 v[60:61], v[60:61], -v[176:177]
	s_delay_alu instid0(VALU_DEP_2) | instskip(NEXT) | instid1(VALU_DEP_1)
	v_fma_f64 v[184:185], v[186:187], v[192:193], v[184:185]
	v_add_f64 v[62:63], v[62:63], -v[184:185]
	ds_load_2addr_b64 v[184:187], v194 offset0:62 offset1:63
	s_waitcnt lgkmcnt(0)
	v_mul_f64 v[176:177], v[186:187], v[178:179]
	s_delay_alu instid0(VALU_DEP_1) | instskip(SKIP_1) | instid1(VALU_DEP_2)
	v_fma_f64 v[176:177], v[184:185], v[192:193], -v[176:177]
	v_mul_f64 v[184:185], v[184:185], v[178:179]
	v_add_f64 v[56:57], v[56:57], -v[176:177]
	s_delay_alu instid0(VALU_DEP_2) | instskip(NEXT) | instid1(VALU_DEP_1)
	v_fma_f64 v[184:185], v[186:187], v[192:193], v[184:185]
	v_add_f64 v[58:59], v[58:59], -v[184:185]
	ds_load_2addr_b64 v[184:187], v194 offset0:64 offset1:65
	s_waitcnt lgkmcnt(0)
	v_mul_f64 v[176:177], v[186:187], v[178:179]
	s_delay_alu instid0(VALU_DEP_1) | instskip(SKIP_1) | instid1(VALU_DEP_2)
	v_fma_f64 v[176:177], v[184:185], v[192:193], -v[176:177]
	v_mul_f64 v[184:185], v[184:185], v[178:179]
	v_add_f64 v[52:53], v[52:53], -v[176:177]
	s_delay_alu instid0(VALU_DEP_2) | instskip(NEXT) | instid1(VALU_DEP_1)
	v_fma_f64 v[184:185], v[186:187], v[192:193], v[184:185]
	v_add_f64 v[54:55], v[54:55], -v[184:185]
	ds_load_2addr_b64 v[184:187], v194 offset0:66 offset1:67
	s_waitcnt lgkmcnt(0)
	v_mul_f64 v[176:177], v[186:187], v[178:179]
	s_delay_alu instid0(VALU_DEP_1) | instskip(SKIP_1) | instid1(VALU_DEP_2)
	v_fma_f64 v[176:177], v[184:185], v[192:193], -v[176:177]
	v_mul_f64 v[184:185], v[184:185], v[178:179]
	v_add_f64 v[48:49], v[48:49], -v[176:177]
	s_delay_alu instid0(VALU_DEP_2) | instskip(NEXT) | instid1(VALU_DEP_1)
	v_fma_f64 v[184:185], v[186:187], v[192:193], v[184:185]
	v_add_f64 v[50:51], v[50:51], -v[184:185]
	ds_load_2addr_b64 v[184:187], v194 offset0:68 offset1:69
	s_waitcnt lgkmcnt(0)
	v_mul_f64 v[176:177], v[186:187], v[178:179]
	s_delay_alu instid0(VALU_DEP_1) | instskip(SKIP_1) | instid1(VALU_DEP_2)
	v_fma_f64 v[176:177], v[184:185], v[192:193], -v[176:177]
	v_mul_f64 v[184:185], v[184:185], v[178:179]
	v_add_f64 v[44:45], v[44:45], -v[176:177]
	s_delay_alu instid0(VALU_DEP_2) | instskip(NEXT) | instid1(VALU_DEP_1)
	v_fma_f64 v[184:185], v[186:187], v[192:193], v[184:185]
	v_add_f64 v[46:47], v[46:47], -v[184:185]
	ds_load_2addr_b64 v[184:187], v194 offset0:70 offset1:71
	s_waitcnt lgkmcnt(0)
	v_mul_f64 v[176:177], v[186:187], v[178:179]
	s_delay_alu instid0(VALU_DEP_1) | instskip(SKIP_1) | instid1(VALU_DEP_2)
	v_fma_f64 v[176:177], v[184:185], v[192:193], -v[176:177]
	v_mul_f64 v[184:185], v[184:185], v[178:179]
	v_add_f64 v[40:41], v[40:41], -v[176:177]
	s_delay_alu instid0(VALU_DEP_2) | instskip(NEXT) | instid1(VALU_DEP_1)
	v_fma_f64 v[184:185], v[186:187], v[192:193], v[184:185]
	v_add_f64 v[42:43], v[42:43], -v[184:185]
	ds_load_2addr_b64 v[184:187], v194 offset0:72 offset1:73
	s_waitcnt lgkmcnt(0)
	v_mul_f64 v[176:177], v[186:187], v[178:179]
	s_delay_alu instid0(VALU_DEP_1) | instskip(SKIP_1) | instid1(VALU_DEP_2)
	v_fma_f64 v[176:177], v[184:185], v[192:193], -v[176:177]
	v_mul_f64 v[184:185], v[184:185], v[178:179]
	v_add_f64 v[36:37], v[36:37], -v[176:177]
	s_delay_alu instid0(VALU_DEP_2) | instskip(NEXT) | instid1(VALU_DEP_1)
	v_fma_f64 v[184:185], v[186:187], v[192:193], v[184:185]
	v_add_f64 v[38:39], v[38:39], -v[184:185]
	ds_load_2addr_b64 v[184:187], v194 offset0:74 offset1:75
	s_waitcnt lgkmcnt(0)
	v_mul_f64 v[176:177], v[186:187], v[178:179]
	s_delay_alu instid0(VALU_DEP_1) | instskip(SKIP_1) | instid1(VALU_DEP_2)
	v_fma_f64 v[176:177], v[184:185], v[192:193], -v[176:177]
	v_mul_f64 v[184:185], v[184:185], v[178:179]
	v_add_f64 v[32:33], v[32:33], -v[176:177]
	s_delay_alu instid0(VALU_DEP_2) | instskip(NEXT) | instid1(VALU_DEP_1)
	v_fma_f64 v[184:185], v[186:187], v[192:193], v[184:185]
	v_add_f64 v[34:35], v[34:35], -v[184:185]
	ds_load_2addr_b64 v[184:187], v194 offset0:76 offset1:77
	s_waitcnt lgkmcnt(0)
	v_mul_f64 v[176:177], v[186:187], v[178:179]
	s_delay_alu instid0(VALU_DEP_1) | instskip(SKIP_1) | instid1(VALU_DEP_2)
	v_fma_f64 v[176:177], v[184:185], v[192:193], -v[176:177]
	v_mul_f64 v[184:185], v[184:185], v[178:179]
	v_add_f64 v[28:29], v[28:29], -v[176:177]
	s_delay_alu instid0(VALU_DEP_2) | instskip(NEXT) | instid1(VALU_DEP_1)
	v_fma_f64 v[184:185], v[186:187], v[192:193], v[184:185]
	v_add_f64 v[30:31], v[30:31], -v[184:185]
	ds_load_2addr_b64 v[184:187], v194 offset0:78 offset1:79
	s_waitcnt lgkmcnt(0)
	v_mul_f64 v[176:177], v[186:187], v[178:179]
	s_delay_alu instid0(VALU_DEP_1) | instskip(SKIP_1) | instid1(VALU_DEP_2)
	v_fma_f64 v[176:177], v[184:185], v[192:193], -v[176:177]
	v_mul_f64 v[184:185], v[184:185], v[178:179]
	v_add_f64 v[24:25], v[24:25], -v[176:177]
	s_delay_alu instid0(VALU_DEP_2) | instskip(NEXT) | instid1(VALU_DEP_1)
	v_fma_f64 v[184:185], v[186:187], v[192:193], v[184:185]
	v_add_f64 v[26:27], v[26:27], -v[184:185]
	ds_load_2addr_b64 v[184:187], v194 offset0:80 offset1:81
	s_waitcnt lgkmcnt(0)
	v_mul_f64 v[176:177], v[186:187], v[178:179]
	s_delay_alu instid0(VALU_DEP_1) | instskip(SKIP_1) | instid1(VALU_DEP_2)
	v_fma_f64 v[176:177], v[184:185], v[192:193], -v[176:177]
	v_mul_f64 v[184:185], v[184:185], v[178:179]
	v_add_f64 v[20:21], v[20:21], -v[176:177]
	s_delay_alu instid0(VALU_DEP_2) | instskip(NEXT) | instid1(VALU_DEP_1)
	v_fma_f64 v[184:185], v[186:187], v[192:193], v[184:185]
	v_add_f64 v[22:23], v[22:23], -v[184:185]
	ds_load_2addr_b64 v[184:187], v194 offset0:82 offset1:83
	s_waitcnt lgkmcnt(0)
	v_mul_f64 v[176:177], v[186:187], v[178:179]
	s_delay_alu instid0(VALU_DEP_1) | instskip(SKIP_1) | instid1(VALU_DEP_2)
	v_fma_f64 v[176:177], v[184:185], v[192:193], -v[176:177]
	v_mul_f64 v[184:185], v[184:185], v[178:179]
	v_add_f64 v[16:17], v[16:17], -v[176:177]
	s_delay_alu instid0(VALU_DEP_2) | instskip(NEXT) | instid1(VALU_DEP_1)
	v_fma_f64 v[184:185], v[186:187], v[192:193], v[184:185]
	v_add_f64 v[18:19], v[18:19], -v[184:185]
	ds_load_2addr_b64 v[184:187], v194 offset0:84 offset1:85
	s_waitcnt lgkmcnt(0)
	v_mul_f64 v[176:177], v[186:187], v[178:179]
	s_delay_alu instid0(VALU_DEP_1) | instskip(SKIP_1) | instid1(VALU_DEP_2)
	v_fma_f64 v[176:177], v[184:185], v[192:193], -v[176:177]
	v_mul_f64 v[184:185], v[184:185], v[178:179]
	v_add_f64 v[12:13], v[12:13], -v[176:177]
	s_delay_alu instid0(VALU_DEP_2) | instskip(NEXT) | instid1(VALU_DEP_1)
	v_fma_f64 v[184:185], v[186:187], v[192:193], v[184:185]
	v_add_f64 v[14:15], v[14:15], -v[184:185]
	ds_load_2addr_b64 v[184:187], v194 offset0:86 offset1:87
	s_waitcnt lgkmcnt(0)
	v_mul_f64 v[176:177], v[186:187], v[178:179]
	s_delay_alu instid0(VALU_DEP_1) | instskip(SKIP_1) | instid1(VALU_DEP_2)
	v_fma_f64 v[176:177], v[184:185], v[192:193], -v[176:177]
	v_mul_f64 v[184:185], v[184:185], v[178:179]
	v_add_f64 v[8:9], v[8:9], -v[176:177]
	s_delay_alu instid0(VALU_DEP_2) | instskip(NEXT) | instid1(VALU_DEP_1)
	v_fma_f64 v[184:185], v[186:187], v[192:193], v[184:185]
	v_add_f64 v[10:11], v[10:11], -v[184:185]
	ds_load_2addr_b64 v[184:187], v194 offset0:88 offset1:89
	s_waitcnt lgkmcnt(0)
	v_mul_f64 v[176:177], v[186:187], v[178:179]
	s_delay_alu instid0(VALU_DEP_1) | instskip(SKIP_1) | instid1(VALU_DEP_2)
	v_fma_f64 v[176:177], v[184:185], v[192:193], -v[176:177]
	v_mul_f64 v[184:185], v[184:185], v[178:179]
	v_add_f64 v[4:5], v[4:5], -v[176:177]
	s_delay_alu instid0(VALU_DEP_2) | instskip(NEXT) | instid1(VALU_DEP_1)
	v_fma_f64 v[184:185], v[186:187], v[192:193], v[184:185]
	v_add_f64 v[6:7], v[6:7], -v[184:185]
	ds_load_2addr_b64 v[184:187], v194 offset0:90 offset1:91
	s_waitcnt lgkmcnt(0)
	v_mul_f64 v[176:177], v[186:187], v[178:179]
	s_delay_alu instid0(VALU_DEP_1) | instskip(SKIP_1) | instid1(VALU_DEP_2)
	v_fma_f64 v[176:177], v[184:185], v[192:193], -v[176:177]
	v_mul_f64 v[184:185], v[184:185], v[178:179]
	v_add_f64 v[0:1], v[0:1], -v[176:177]
	s_delay_alu instid0(VALU_DEP_2) | instskip(SKIP_1) | instid1(VALU_DEP_2)
	v_fma_f64 v[184:185], v[186:187], v[192:193], v[184:185]
	v_dual_mov_b32 v176, v192 :: v_dual_mov_b32 v177, v193
	v_add_f64 v[2:3], v[2:3], -v[184:185]
.LBB90_41:
	s_or_b32 exec_lo, exec_lo, s2
	v_lshl_add_u32 v184, v200, 4, v194
	s_barrier
	buffer_gl0_inv
	v_mov_b32_e32 v192, 2
	ds_store_2addr_b64 v184, v[172:173], v[174:175] offset1:1
	s_waitcnt lgkmcnt(0)
	s_barrier
	buffer_gl0_inv
	ds_load_2addr_b64 v[184:187], v194 offset0:4 offset1:5
	s_cmp_lt_i32 s5, 4
	s_cbranch_scc1 .LBB90_44
; %bb.42:
	v_add3_u32 v193, v199, 0, 48
	v_mov_b32_e32 v192, 2
	s_mov_b32 s6, 3
	s_set_inst_prefetch_distance 0x1
	.p2align	6
.LBB90_43:                              ; =>This Inner Loop Header: Depth=1
	ds_load_2addr_b64 v[201:204], v193 offset1:1
	s_waitcnt lgkmcnt(1)
	v_cmp_gt_f64_e32 vcc_lo, 0, v[184:185]
	v_xor_b32_e32 v205, 0x80000000, v185
	v_cmp_gt_f64_e64 s2, 0, v[186:187]
	v_xor_b32_e32 v207, 0x80000000, v187
	v_add_nc_u32_e32 v193, 16, v193
	s_waitcnt lgkmcnt(0)
	v_cmp_gt_f64_e64 s3, 0, v[201:202]
	v_mov_b32_e32 v209, v201
	v_dual_mov_b32 v211, v203 :: v_dual_cndmask_b32 v206, v185, v205
	v_xor_b32_e32 v205, 0x80000000, v202
	v_cndmask_b32_e64 v208, v187, v207, s2
	v_xor_b32_e32 v207, 0x80000000, v204
	s_delay_alu instid0(VALU_DEP_3) | instskip(SKIP_2) | instid1(VALU_DEP_2)
	v_cndmask_b32_e64 v210, v202, v205, s3
	v_cmp_gt_f64_e64 s3, 0, v[203:204]
	v_cndmask_b32_e32 v205, v184, v184, vcc_lo
	v_cndmask_b32_e64 v212, v204, v207, s3
	v_cndmask_b32_e64 v207, v186, v186, s2
	s_delay_alu instid0(VALU_DEP_2) | instskip(NEXT) | instid1(VALU_DEP_2)
	v_add_f64 v[209:210], v[209:210], v[211:212]
	v_add_f64 v[205:206], v[205:206], v[207:208]
	s_delay_alu instid0(VALU_DEP_1) | instskip(SKIP_4) | instid1(SALU_CYCLE_1)
	v_cmp_lt_f64_e32 vcc_lo, v[205:206], v[209:210]
	v_dual_cndmask_b32 v186, v186, v203 :: v_dual_cndmask_b32 v185, v185, v202
	v_dual_cndmask_b32 v184, v184, v201 :: v_dual_cndmask_b32 v187, v187, v204
	v_cndmask_b32_e64 v192, v192, s6, vcc_lo
	s_add_i32 s6, s6, 1
	s_cmp_lg_u32 s5, s6
	s_cbranch_scc1 .LBB90_43
.LBB90_44:
	s_set_inst_prefetch_distance 0x2
	s_waitcnt lgkmcnt(0)
	v_cmp_eq_f64_e32 vcc_lo, 0, v[184:185]
	v_cmp_eq_f64_e64 s2, 0, v[186:187]
	s_delay_alu instid0(VALU_DEP_1) | instskip(NEXT) | instid1(SALU_CYCLE_1)
	s_and_b32 s2, vcc_lo, s2
	s_and_saveexec_b32 s3, s2
	s_delay_alu instid0(SALU_CYCLE_1)
	s_xor_b32 s2, exec_lo, s3
; %bb.45:
	v_cmp_ne_u32_e32 vcc_lo, 0, v197
	v_cndmask_b32_e32 v197, 3, v197, vcc_lo
; %bb.46:
	s_and_not1_saveexec_b32 s3, s2
	s_cbranch_execz .LBB90_52
; %bb.47:
	v_cmp_gt_f64_e32 vcc_lo, 0, v[184:185]
	v_cmp_gt_f64_e64 s2, 0, v[186:187]
	v_xor_b32_e32 v193, 0x80000000, v185
	v_xor_b32_e32 v201, 0x80000000, v187
	s_delay_alu instid0(VALU_DEP_2) | instskip(NEXT) | instid1(VALU_DEP_2)
	v_cndmask_b32_e32 v202, v185, v193, vcc_lo
	v_cndmask_b32_e64 v204, v187, v201, s2
	v_cndmask_b32_e32 v201, v184, v184, vcc_lo
	v_cndmask_b32_e64 v203, v186, v186, s2
	s_mov_b32 s2, exec_lo
	s_delay_alu instid0(VALU_DEP_1)
	v_cmpx_ngt_f64_e32 v[201:202], v[203:204]
	s_xor_b32 s2, exec_lo, s2
	s_cbranch_execz .LBB90_49
; %bb.48:
	v_div_scale_f64 v[201:202], null, v[186:187], v[186:187], v[184:185]
	v_div_scale_f64 v[207:208], vcc_lo, v[184:185], v[186:187], v[184:185]
	s_delay_alu instid0(VALU_DEP_2) | instskip(SKIP_2) | instid1(VALU_DEP_1)
	v_rcp_f64_e32 v[203:204], v[201:202]
	s_waitcnt_depctr 0xfff
	v_fma_f64 v[205:206], -v[201:202], v[203:204], 1.0
	v_fma_f64 v[203:204], v[203:204], v[205:206], v[203:204]
	s_delay_alu instid0(VALU_DEP_1) | instskip(NEXT) | instid1(VALU_DEP_1)
	v_fma_f64 v[205:206], -v[201:202], v[203:204], 1.0
	v_fma_f64 v[203:204], v[203:204], v[205:206], v[203:204]
	s_delay_alu instid0(VALU_DEP_1) | instskip(NEXT) | instid1(VALU_DEP_1)
	v_mul_f64 v[205:206], v[207:208], v[203:204]
	v_fma_f64 v[201:202], -v[201:202], v[205:206], v[207:208]
	s_delay_alu instid0(VALU_DEP_1) | instskip(NEXT) | instid1(VALU_DEP_1)
	v_div_fmas_f64 v[201:202], v[201:202], v[203:204], v[205:206]
	v_div_fixup_f64 v[201:202], v[201:202], v[186:187], v[184:185]
	s_delay_alu instid0(VALU_DEP_1) | instskip(NEXT) | instid1(VALU_DEP_1)
	v_fma_f64 v[184:185], v[184:185], v[201:202], v[186:187]
	v_div_scale_f64 v[186:187], null, v[184:185], v[184:185], 1.0
	s_delay_alu instid0(VALU_DEP_1) | instskip(SKIP_2) | instid1(VALU_DEP_1)
	v_rcp_f64_e32 v[203:204], v[186:187]
	s_waitcnt_depctr 0xfff
	v_fma_f64 v[205:206], -v[186:187], v[203:204], 1.0
	v_fma_f64 v[203:204], v[203:204], v[205:206], v[203:204]
	s_delay_alu instid0(VALU_DEP_1) | instskip(NEXT) | instid1(VALU_DEP_1)
	v_fma_f64 v[205:206], -v[186:187], v[203:204], 1.0
	v_fma_f64 v[203:204], v[203:204], v[205:206], v[203:204]
	v_div_scale_f64 v[205:206], vcc_lo, 1.0, v[184:185], 1.0
	s_delay_alu instid0(VALU_DEP_1) | instskip(NEXT) | instid1(VALU_DEP_1)
	v_mul_f64 v[207:208], v[205:206], v[203:204]
	v_fma_f64 v[186:187], -v[186:187], v[207:208], v[205:206]
	s_delay_alu instid0(VALU_DEP_1) | instskip(NEXT) | instid1(VALU_DEP_1)
	v_div_fmas_f64 v[186:187], v[186:187], v[203:204], v[207:208]
	v_div_fixup_f64 v[186:187], v[186:187], v[184:185], 1.0
	s_delay_alu instid0(VALU_DEP_1)
	v_mul_f64 v[184:185], v[201:202], v[186:187]
	v_xor_b32_e32 v187, 0x80000000, v187
.LBB90_49:
	s_and_not1_saveexec_b32 s2, s2
	s_cbranch_execz .LBB90_51
; %bb.50:
	s_delay_alu instid0(VALU_DEP_1) | instskip(SKIP_1) | instid1(VALU_DEP_2)
	v_div_scale_f64 v[201:202], null, v[184:185], v[184:185], v[186:187]
	v_div_scale_f64 v[207:208], vcc_lo, v[186:187], v[184:185], v[186:187]
	v_rcp_f64_e32 v[203:204], v[201:202]
	s_waitcnt_depctr 0xfff
	v_fma_f64 v[205:206], -v[201:202], v[203:204], 1.0
	s_delay_alu instid0(VALU_DEP_1) | instskip(NEXT) | instid1(VALU_DEP_1)
	v_fma_f64 v[203:204], v[203:204], v[205:206], v[203:204]
	v_fma_f64 v[205:206], -v[201:202], v[203:204], 1.0
	s_delay_alu instid0(VALU_DEP_1) | instskip(NEXT) | instid1(VALU_DEP_1)
	v_fma_f64 v[203:204], v[203:204], v[205:206], v[203:204]
	v_mul_f64 v[205:206], v[207:208], v[203:204]
	s_delay_alu instid0(VALU_DEP_1) | instskip(NEXT) | instid1(VALU_DEP_1)
	v_fma_f64 v[201:202], -v[201:202], v[205:206], v[207:208]
	v_div_fmas_f64 v[201:202], v[201:202], v[203:204], v[205:206]
	s_delay_alu instid0(VALU_DEP_1) | instskip(NEXT) | instid1(VALU_DEP_1)
	v_div_fixup_f64 v[201:202], v[201:202], v[184:185], v[186:187]
	v_fma_f64 v[184:185], v[186:187], v[201:202], v[184:185]
	s_delay_alu instid0(VALU_DEP_1) | instskip(NEXT) | instid1(VALU_DEP_1)
	v_div_scale_f64 v[186:187], null, v[184:185], v[184:185], 1.0
	v_rcp_f64_e32 v[203:204], v[186:187]
	s_waitcnt_depctr 0xfff
	v_fma_f64 v[205:206], -v[186:187], v[203:204], 1.0
	s_delay_alu instid0(VALU_DEP_1) | instskip(NEXT) | instid1(VALU_DEP_1)
	v_fma_f64 v[203:204], v[203:204], v[205:206], v[203:204]
	v_fma_f64 v[205:206], -v[186:187], v[203:204], 1.0
	s_delay_alu instid0(VALU_DEP_1) | instskip(SKIP_1) | instid1(VALU_DEP_1)
	v_fma_f64 v[203:204], v[203:204], v[205:206], v[203:204]
	v_div_scale_f64 v[205:206], vcc_lo, 1.0, v[184:185], 1.0
	v_mul_f64 v[207:208], v[205:206], v[203:204]
	s_delay_alu instid0(VALU_DEP_1) | instskip(NEXT) | instid1(VALU_DEP_1)
	v_fma_f64 v[186:187], -v[186:187], v[207:208], v[205:206]
	v_div_fmas_f64 v[186:187], v[186:187], v[203:204], v[207:208]
	s_delay_alu instid0(VALU_DEP_1) | instskip(NEXT) | instid1(VALU_DEP_1)
	v_div_fixup_f64 v[184:185], v[186:187], v[184:185], 1.0
	v_mul_f64 v[186:187], v[201:202], -v[184:185]
.LBB90_51:
	s_or_b32 exec_lo, exec_lo, s2
.LBB90_52:
	s_delay_alu instid0(SALU_CYCLE_1) | instskip(NEXT) | instid1(SALU_CYCLE_1)
	s_or_b32 exec_lo, exec_lo, s3
	s_mov_b32 s2, exec_lo
	v_cmpx_ne_u32_e64 v200, v192
	s_xor_b32 s2, exec_lo, s2
	s_cbranch_execz .LBB90_58
; %bb.53:
	s_mov_b32 s3, exec_lo
	v_cmpx_eq_u32_e32 2, v200
	s_cbranch_execz .LBB90_57
; %bb.54:
	v_cmp_ne_u32_e32 vcc_lo, 2, v192
	s_xor_b32 s6, s4, -1
	s_delay_alu instid0(SALU_CYCLE_1) | instskip(NEXT) | instid1(SALU_CYCLE_1)
	s_and_b32 s7, s6, vcc_lo
	s_and_saveexec_b32 s6, s7
	s_cbranch_execz .LBB90_56
; %bb.55:
	v_ashrrev_i32_e32 v193, 31, v192
	s_delay_alu instid0(VALU_DEP_1) | instskip(NEXT) | instid1(VALU_DEP_1)
	v_lshlrev_b64 v[200:201], 2, v[192:193]
	v_add_co_u32 v200, vcc_lo, v190, v200
	s_delay_alu instid0(VALU_DEP_2)
	v_add_co_ci_u32_e32 v201, vcc_lo, v191, v201, vcc_lo
	s_clause 0x1
	flat_load_b32 v193, v[200:201]
	flat_load_b32 v198, v[190:191] offset:8
	s_waitcnt vmcnt(1) lgkmcnt(1)
	flat_store_b32 v[190:191], v193 offset:8
	s_waitcnt vmcnt(0) lgkmcnt(1)
	flat_store_b32 v[200:201], v198
.LBB90_56:
	s_or_b32 exec_lo, exec_lo, s6
	v_mov_b32_e32 v200, v192
	v_mov_b32_e32 v198, v192
.LBB90_57:
	s_or_b32 exec_lo, exec_lo, s3
.LBB90_58:
	s_and_not1_saveexec_b32 s2, s2
	s_cbranch_execz .LBB90_60
; %bb.59:
	v_mov_b32_e32 v200, 2
	ds_store_2addr_b64 v194, v[168:169], v[170:171] offset0:6 offset1:7
	ds_store_2addr_b64 v194, v[164:165], v[166:167] offset0:8 offset1:9
	;; [unrolled: 1-line block ×43, first 2 shown]
.LBB90_60:
	s_or_b32 exec_lo, exec_lo, s2
	s_delay_alu instid0(SALU_CYCLE_1)
	s_mov_b32 s2, exec_lo
	s_waitcnt lgkmcnt(0)
	s_waitcnt_vscnt null, 0x0
	s_barrier
	buffer_gl0_inv
	v_cmpx_lt_i32_e32 2, v200
	s_cbranch_execz .LBB90_62
; %bb.61:
	v_mul_f64 v[192:193], v[186:187], v[174:175]
	v_mul_f64 v[174:175], v[184:185], v[174:175]
	s_delay_alu instid0(VALU_DEP_2) | instskip(NEXT) | instid1(VALU_DEP_2)
	v_fma_f64 v[192:193], v[184:185], v[172:173], -v[192:193]
	v_fma_f64 v[174:175], v[186:187], v[172:173], v[174:175]
	ds_load_2addr_b64 v[184:187], v194 offset0:6 offset1:7
	s_waitcnt lgkmcnt(0)
	v_mul_f64 v[172:173], v[186:187], v[174:175]
	s_delay_alu instid0(VALU_DEP_1) | instskip(SKIP_1) | instid1(VALU_DEP_2)
	v_fma_f64 v[172:173], v[184:185], v[192:193], -v[172:173]
	v_mul_f64 v[184:185], v[184:185], v[174:175]
	v_add_f64 v[168:169], v[168:169], -v[172:173]
	s_delay_alu instid0(VALU_DEP_2) | instskip(NEXT) | instid1(VALU_DEP_1)
	v_fma_f64 v[184:185], v[186:187], v[192:193], v[184:185]
	v_add_f64 v[170:171], v[170:171], -v[184:185]
	ds_load_2addr_b64 v[184:187], v194 offset0:8 offset1:9
	s_waitcnt lgkmcnt(0)
	v_mul_f64 v[172:173], v[186:187], v[174:175]
	s_delay_alu instid0(VALU_DEP_1) | instskip(SKIP_1) | instid1(VALU_DEP_2)
	v_fma_f64 v[172:173], v[184:185], v[192:193], -v[172:173]
	v_mul_f64 v[184:185], v[184:185], v[174:175]
	v_add_f64 v[164:165], v[164:165], -v[172:173]
	s_delay_alu instid0(VALU_DEP_2) | instskip(NEXT) | instid1(VALU_DEP_1)
	v_fma_f64 v[184:185], v[186:187], v[192:193], v[184:185]
	v_add_f64 v[166:167], v[166:167], -v[184:185]
	;; [unrolled: 10-line block ×42, first 2 shown]
	ds_load_2addr_b64 v[184:187], v194 offset0:90 offset1:91
	s_waitcnt lgkmcnt(0)
	v_mul_f64 v[172:173], v[186:187], v[174:175]
	s_delay_alu instid0(VALU_DEP_1) | instskip(SKIP_1) | instid1(VALU_DEP_2)
	v_fma_f64 v[172:173], v[184:185], v[192:193], -v[172:173]
	v_mul_f64 v[184:185], v[184:185], v[174:175]
	v_add_f64 v[0:1], v[0:1], -v[172:173]
	s_delay_alu instid0(VALU_DEP_2) | instskip(SKIP_1) | instid1(VALU_DEP_2)
	v_fma_f64 v[184:185], v[186:187], v[192:193], v[184:185]
	v_dual_mov_b32 v172, v192 :: v_dual_mov_b32 v173, v193
	v_add_f64 v[2:3], v[2:3], -v[184:185]
.LBB90_62:
	s_or_b32 exec_lo, exec_lo, s2
	v_lshl_add_u32 v184, v200, 4, v194
	s_barrier
	buffer_gl0_inv
	v_mov_b32_e32 v192, 3
	ds_store_2addr_b64 v184, v[168:169], v[170:171] offset1:1
	s_waitcnt lgkmcnt(0)
	s_barrier
	buffer_gl0_inv
	ds_load_2addr_b64 v[184:187], v194 offset0:6 offset1:7
	s_cmp_lt_i32 s5, 5
	s_mov_b32 s6, 4
	s_cbranch_scc1 .LBB90_65
; %bb.63:
	v_add3_u32 v193, v199, 0, 64
	v_mov_b32_e32 v192, 3
	s_set_inst_prefetch_distance 0x1
	.p2align	6
.LBB90_64:                              ; =>This Inner Loop Header: Depth=1
	ds_load_2addr_b64 v[201:204], v193 offset1:1
	s_waitcnt lgkmcnt(1)
	v_cmp_gt_f64_e32 vcc_lo, 0, v[184:185]
	v_xor_b32_e32 v205, 0x80000000, v185
	v_cmp_gt_f64_e64 s2, 0, v[186:187]
	v_xor_b32_e32 v207, 0x80000000, v187
	v_add_nc_u32_e32 v193, 16, v193
	s_waitcnt lgkmcnt(0)
	v_cmp_gt_f64_e64 s3, 0, v[201:202]
	v_mov_b32_e32 v209, v201
	v_dual_mov_b32 v211, v203 :: v_dual_cndmask_b32 v206, v185, v205
	v_xor_b32_e32 v205, 0x80000000, v202
	v_cndmask_b32_e64 v208, v187, v207, s2
	v_xor_b32_e32 v207, 0x80000000, v204
	s_delay_alu instid0(VALU_DEP_3) | instskip(SKIP_2) | instid1(VALU_DEP_2)
	v_cndmask_b32_e64 v210, v202, v205, s3
	v_cmp_gt_f64_e64 s3, 0, v[203:204]
	v_cndmask_b32_e32 v205, v184, v184, vcc_lo
	v_cndmask_b32_e64 v212, v204, v207, s3
	v_cndmask_b32_e64 v207, v186, v186, s2
	s_delay_alu instid0(VALU_DEP_2) | instskip(NEXT) | instid1(VALU_DEP_2)
	v_add_f64 v[209:210], v[209:210], v[211:212]
	v_add_f64 v[205:206], v[205:206], v[207:208]
	s_delay_alu instid0(VALU_DEP_1) | instskip(SKIP_4) | instid1(SALU_CYCLE_1)
	v_cmp_lt_f64_e32 vcc_lo, v[205:206], v[209:210]
	v_dual_cndmask_b32 v186, v186, v203 :: v_dual_cndmask_b32 v185, v185, v202
	v_dual_cndmask_b32 v184, v184, v201 :: v_dual_cndmask_b32 v187, v187, v204
	v_cndmask_b32_e64 v192, v192, s6, vcc_lo
	s_add_i32 s6, s6, 1
	s_cmp_lg_u32 s5, s6
	s_cbranch_scc1 .LBB90_64
.LBB90_65:
	s_set_inst_prefetch_distance 0x2
	s_waitcnt lgkmcnt(0)
	v_cmp_eq_f64_e32 vcc_lo, 0, v[184:185]
	v_cmp_eq_f64_e64 s2, 0, v[186:187]
	s_delay_alu instid0(VALU_DEP_1) | instskip(NEXT) | instid1(SALU_CYCLE_1)
	s_and_b32 s2, vcc_lo, s2
	s_and_saveexec_b32 s3, s2
	s_delay_alu instid0(SALU_CYCLE_1)
	s_xor_b32 s2, exec_lo, s3
; %bb.66:
	v_cmp_ne_u32_e32 vcc_lo, 0, v197
	v_cndmask_b32_e32 v197, 4, v197, vcc_lo
; %bb.67:
	s_and_not1_saveexec_b32 s3, s2
	s_cbranch_execz .LBB90_73
; %bb.68:
	v_cmp_gt_f64_e32 vcc_lo, 0, v[184:185]
	v_cmp_gt_f64_e64 s2, 0, v[186:187]
	v_xor_b32_e32 v193, 0x80000000, v185
	v_xor_b32_e32 v201, 0x80000000, v187
	s_delay_alu instid0(VALU_DEP_2) | instskip(NEXT) | instid1(VALU_DEP_2)
	v_cndmask_b32_e32 v202, v185, v193, vcc_lo
	v_cndmask_b32_e64 v204, v187, v201, s2
	v_cndmask_b32_e32 v201, v184, v184, vcc_lo
	v_cndmask_b32_e64 v203, v186, v186, s2
	s_mov_b32 s2, exec_lo
	s_delay_alu instid0(VALU_DEP_1)
	v_cmpx_ngt_f64_e32 v[201:202], v[203:204]
	s_xor_b32 s2, exec_lo, s2
	s_cbranch_execz .LBB90_70
; %bb.69:
	v_div_scale_f64 v[201:202], null, v[186:187], v[186:187], v[184:185]
	v_div_scale_f64 v[207:208], vcc_lo, v[184:185], v[186:187], v[184:185]
	s_delay_alu instid0(VALU_DEP_2) | instskip(SKIP_2) | instid1(VALU_DEP_1)
	v_rcp_f64_e32 v[203:204], v[201:202]
	s_waitcnt_depctr 0xfff
	v_fma_f64 v[205:206], -v[201:202], v[203:204], 1.0
	v_fma_f64 v[203:204], v[203:204], v[205:206], v[203:204]
	s_delay_alu instid0(VALU_DEP_1) | instskip(NEXT) | instid1(VALU_DEP_1)
	v_fma_f64 v[205:206], -v[201:202], v[203:204], 1.0
	v_fma_f64 v[203:204], v[203:204], v[205:206], v[203:204]
	s_delay_alu instid0(VALU_DEP_1) | instskip(NEXT) | instid1(VALU_DEP_1)
	v_mul_f64 v[205:206], v[207:208], v[203:204]
	v_fma_f64 v[201:202], -v[201:202], v[205:206], v[207:208]
	s_delay_alu instid0(VALU_DEP_1) | instskip(NEXT) | instid1(VALU_DEP_1)
	v_div_fmas_f64 v[201:202], v[201:202], v[203:204], v[205:206]
	v_div_fixup_f64 v[201:202], v[201:202], v[186:187], v[184:185]
	s_delay_alu instid0(VALU_DEP_1) | instskip(NEXT) | instid1(VALU_DEP_1)
	v_fma_f64 v[184:185], v[184:185], v[201:202], v[186:187]
	v_div_scale_f64 v[186:187], null, v[184:185], v[184:185], 1.0
	s_delay_alu instid0(VALU_DEP_1) | instskip(SKIP_2) | instid1(VALU_DEP_1)
	v_rcp_f64_e32 v[203:204], v[186:187]
	s_waitcnt_depctr 0xfff
	v_fma_f64 v[205:206], -v[186:187], v[203:204], 1.0
	v_fma_f64 v[203:204], v[203:204], v[205:206], v[203:204]
	s_delay_alu instid0(VALU_DEP_1) | instskip(NEXT) | instid1(VALU_DEP_1)
	v_fma_f64 v[205:206], -v[186:187], v[203:204], 1.0
	v_fma_f64 v[203:204], v[203:204], v[205:206], v[203:204]
	v_div_scale_f64 v[205:206], vcc_lo, 1.0, v[184:185], 1.0
	s_delay_alu instid0(VALU_DEP_1) | instskip(NEXT) | instid1(VALU_DEP_1)
	v_mul_f64 v[207:208], v[205:206], v[203:204]
	v_fma_f64 v[186:187], -v[186:187], v[207:208], v[205:206]
	s_delay_alu instid0(VALU_DEP_1) | instskip(NEXT) | instid1(VALU_DEP_1)
	v_div_fmas_f64 v[186:187], v[186:187], v[203:204], v[207:208]
	v_div_fixup_f64 v[186:187], v[186:187], v[184:185], 1.0
	s_delay_alu instid0(VALU_DEP_1)
	v_mul_f64 v[184:185], v[201:202], v[186:187]
	v_xor_b32_e32 v187, 0x80000000, v187
.LBB90_70:
	s_and_not1_saveexec_b32 s2, s2
	s_cbranch_execz .LBB90_72
; %bb.71:
	s_delay_alu instid0(VALU_DEP_1) | instskip(SKIP_1) | instid1(VALU_DEP_2)
	v_div_scale_f64 v[201:202], null, v[184:185], v[184:185], v[186:187]
	v_div_scale_f64 v[207:208], vcc_lo, v[186:187], v[184:185], v[186:187]
	v_rcp_f64_e32 v[203:204], v[201:202]
	s_waitcnt_depctr 0xfff
	v_fma_f64 v[205:206], -v[201:202], v[203:204], 1.0
	s_delay_alu instid0(VALU_DEP_1) | instskip(NEXT) | instid1(VALU_DEP_1)
	v_fma_f64 v[203:204], v[203:204], v[205:206], v[203:204]
	v_fma_f64 v[205:206], -v[201:202], v[203:204], 1.0
	s_delay_alu instid0(VALU_DEP_1) | instskip(NEXT) | instid1(VALU_DEP_1)
	v_fma_f64 v[203:204], v[203:204], v[205:206], v[203:204]
	v_mul_f64 v[205:206], v[207:208], v[203:204]
	s_delay_alu instid0(VALU_DEP_1) | instskip(NEXT) | instid1(VALU_DEP_1)
	v_fma_f64 v[201:202], -v[201:202], v[205:206], v[207:208]
	v_div_fmas_f64 v[201:202], v[201:202], v[203:204], v[205:206]
	s_delay_alu instid0(VALU_DEP_1) | instskip(NEXT) | instid1(VALU_DEP_1)
	v_div_fixup_f64 v[201:202], v[201:202], v[184:185], v[186:187]
	v_fma_f64 v[184:185], v[186:187], v[201:202], v[184:185]
	s_delay_alu instid0(VALU_DEP_1) | instskip(NEXT) | instid1(VALU_DEP_1)
	v_div_scale_f64 v[186:187], null, v[184:185], v[184:185], 1.0
	v_rcp_f64_e32 v[203:204], v[186:187]
	s_waitcnt_depctr 0xfff
	v_fma_f64 v[205:206], -v[186:187], v[203:204], 1.0
	s_delay_alu instid0(VALU_DEP_1) | instskip(NEXT) | instid1(VALU_DEP_1)
	v_fma_f64 v[203:204], v[203:204], v[205:206], v[203:204]
	v_fma_f64 v[205:206], -v[186:187], v[203:204], 1.0
	s_delay_alu instid0(VALU_DEP_1) | instskip(SKIP_1) | instid1(VALU_DEP_1)
	v_fma_f64 v[203:204], v[203:204], v[205:206], v[203:204]
	v_div_scale_f64 v[205:206], vcc_lo, 1.0, v[184:185], 1.0
	v_mul_f64 v[207:208], v[205:206], v[203:204]
	s_delay_alu instid0(VALU_DEP_1) | instskip(NEXT) | instid1(VALU_DEP_1)
	v_fma_f64 v[186:187], -v[186:187], v[207:208], v[205:206]
	v_div_fmas_f64 v[186:187], v[186:187], v[203:204], v[207:208]
	s_delay_alu instid0(VALU_DEP_1) | instskip(NEXT) | instid1(VALU_DEP_1)
	v_div_fixup_f64 v[184:185], v[186:187], v[184:185], 1.0
	v_mul_f64 v[186:187], v[201:202], -v[184:185]
.LBB90_72:
	s_or_b32 exec_lo, exec_lo, s2
.LBB90_73:
	s_delay_alu instid0(SALU_CYCLE_1) | instskip(NEXT) | instid1(SALU_CYCLE_1)
	s_or_b32 exec_lo, exec_lo, s3
	s_mov_b32 s2, exec_lo
	v_cmpx_ne_u32_e64 v200, v192
	s_xor_b32 s2, exec_lo, s2
	s_cbranch_execz .LBB90_79
; %bb.74:
	s_mov_b32 s3, exec_lo
	v_cmpx_eq_u32_e32 3, v200
	s_cbranch_execz .LBB90_78
; %bb.75:
	v_cmp_ne_u32_e32 vcc_lo, 3, v192
	s_xor_b32 s6, s4, -1
	s_delay_alu instid0(SALU_CYCLE_1) | instskip(NEXT) | instid1(SALU_CYCLE_1)
	s_and_b32 s7, s6, vcc_lo
	s_and_saveexec_b32 s6, s7
	s_cbranch_execz .LBB90_77
; %bb.76:
	v_ashrrev_i32_e32 v193, 31, v192
	s_delay_alu instid0(VALU_DEP_1) | instskip(NEXT) | instid1(VALU_DEP_1)
	v_lshlrev_b64 v[200:201], 2, v[192:193]
	v_add_co_u32 v200, vcc_lo, v190, v200
	s_delay_alu instid0(VALU_DEP_2)
	v_add_co_ci_u32_e32 v201, vcc_lo, v191, v201, vcc_lo
	s_clause 0x1
	flat_load_b32 v193, v[200:201]
	flat_load_b32 v198, v[190:191] offset:12
	s_waitcnt vmcnt(1) lgkmcnt(1)
	flat_store_b32 v[190:191], v193 offset:12
	s_waitcnt vmcnt(0) lgkmcnt(1)
	flat_store_b32 v[200:201], v198
.LBB90_77:
	s_or_b32 exec_lo, exec_lo, s6
	v_mov_b32_e32 v200, v192
	v_mov_b32_e32 v198, v192
.LBB90_78:
	s_or_b32 exec_lo, exec_lo, s3
.LBB90_79:
	s_and_not1_saveexec_b32 s2, s2
	s_cbranch_execz .LBB90_81
; %bb.80:
	v_mov_b32_e32 v200, 3
	ds_store_2addr_b64 v194, v[164:165], v[166:167] offset0:8 offset1:9
	ds_store_2addr_b64 v194, v[160:161], v[162:163] offset0:10 offset1:11
	;; [unrolled: 1-line block ×42, first 2 shown]
.LBB90_81:
	s_or_b32 exec_lo, exec_lo, s2
	s_delay_alu instid0(SALU_CYCLE_1)
	s_mov_b32 s2, exec_lo
	s_waitcnt lgkmcnt(0)
	s_waitcnt_vscnt null, 0x0
	s_barrier
	buffer_gl0_inv
	v_cmpx_lt_i32_e32 3, v200
	s_cbranch_execz .LBB90_83
; %bb.82:
	v_mul_f64 v[192:193], v[186:187], v[170:171]
	v_mul_f64 v[170:171], v[184:185], v[170:171]
	s_delay_alu instid0(VALU_DEP_2) | instskip(NEXT) | instid1(VALU_DEP_2)
	v_fma_f64 v[192:193], v[184:185], v[168:169], -v[192:193]
	v_fma_f64 v[170:171], v[186:187], v[168:169], v[170:171]
	ds_load_2addr_b64 v[184:187], v194 offset0:8 offset1:9
	s_waitcnt lgkmcnt(0)
	v_mul_f64 v[168:169], v[186:187], v[170:171]
	s_delay_alu instid0(VALU_DEP_1) | instskip(SKIP_1) | instid1(VALU_DEP_2)
	v_fma_f64 v[168:169], v[184:185], v[192:193], -v[168:169]
	v_mul_f64 v[184:185], v[184:185], v[170:171]
	v_add_f64 v[164:165], v[164:165], -v[168:169]
	s_delay_alu instid0(VALU_DEP_2) | instskip(NEXT) | instid1(VALU_DEP_1)
	v_fma_f64 v[184:185], v[186:187], v[192:193], v[184:185]
	v_add_f64 v[166:167], v[166:167], -v[184:185]
	ds_load_2addr_b64 v[184:187], v194 offset0:10 offset1:11
	s_waitcnt lgkmcnt(0)
	v_mul_f64 v[168:169], v[186:187], v[170:171]
	s_delay_alu instid0(VALU_DEP_1) | instskip(SKIP_1) | instid1(VALU_DEP_2)
	v_fma_f64 v[168:169], v[184:185], v[192:193], -v[168:169]
	v_mul_f64 v[184:185], v[184:185], v[170:171]
	v_add_f64 v[160:161], v[160:161], -v[168:169]
	s_delay_alu instid0(VALU_DEP_2) | instskip(NEXT) | instid1(VALU_DEP_1)
	v_fma_f64 v[184:185], v[186:187], v[192:193], v[184:185]
	v_add_f64 v[162:163], v[162:163], -v[184:185]
	;; [unrolled: 10-line block ×41, first 2 shown]
	ds_load_2addr_b64 v[184:187], v194 offset0:90 offset1:91
	s_waitcnt lgkmcnt(0)
	v_mul_f64 v[168:169], v[186:187], v[170:171]
	s_delay_alu instid0(VALU_DEP_1) | instskip(SKIP_1) | instid1(VALU_DEP_2)
	v_fma_f64 v[168:169], v[184:185], v[192:193], -v[168:169]
	v_mul_f64 v[184:185], v[184:185], v[170:171]
	v_add_f64 v[0:1], v[0:1], -v[168:169]
	s_delay_alu instid0(VALU_DEP_2) | instskip(SKIP_1) | instid1(VALU_DEP_2)
	v_fma_f64 v[184:185], v[186:187], v[192:193], v[184:185]
	v_dual_mov_b32 v168, v192 :: v_dual_mov_b32 v169, v193
	v_add_f64 v[2:3], v[2:3], -v[184:185]
.LBB90_83:
	s_or_b32 exec_lo, exec_lo, s2
	v_lshl_add_u32 v184, v200, 4, v194
	s_barrier
	buffer_gl0_inv
	v_mov_b32_e32 v192, 4
	ds_store_2addr_b64 v184, v[164:165], v[166:167] offset1:1
	s_waitcnt lgkmcnt(0)
	s_barrier
	buffer_gl0_inv
	ds_load_2addr_b64 v[184:187], v194 offset0:8 offset1:9
	s_cmp_lt_i32 s5, 6
	s_cbranch_scc1 .LBB90_86
; %bb.84:
	v_add3_u32 v193, v199, 0, 0x50
	v_mov_b32_e32 v192, 4
	s_mov_b32 s6, 5
	s_set_inst_prefetch_distance 0x1
	.p2align	6
.LBB90_85:                              ; =>This Inner Loop Header: Depth=1
	ds_load_2addr_b64 v[201:204], v193 offset1:1
	s_waitcnt lgkmcnt(1)
	v_cmp_gt_f64_e32 vcc_lo, 0, v[184:185]
	v_xor_b32_e32 v205, 0x80000000, v185
	v_cmp_gt_f64_e64 s2, 0, v[186:187]
	v_xor_b32_e32 v207, 0x80000000, v187
	v_add_nc_u32_e32 v193, 16, v193
	s_waitcnt lgkmcnt(0)
	v_cmp_gt_f64_e64 s3, 0, v[201:202]
	v_mov_b32_e32 v209, v201
	v_dual_mov_b32 v211, v203 :: v_dual_cndmask_b32 v206, v185, v205
	v_xor_b32_e32 v205, 0x80000000, v202
	v_cndmask_b32_e64 v208, v187, v207, s2
	v_xor_b32_e32 v207, 0x80000000, v204
	s_delay_alu instid0(VALU_DEP_3) | instskip(SKIP_2) | instid1(VALU_DEP_2)
	v_cndmask_b32_e64 v210, v202, v205, s3
	v_cmp_gt_f64_e64 s3, 0, v[203:204]
	v_cndmask_b32_e32 v205, v184, v184, vcc_lo
	v_cndmask_b32_e64 v212, v204, v207, s3
	v_cndmask_b32_e64 v207, v186, v186, s2
	s_delay_alu instid0(VALU_DEP_2) | instskip(NEXT) | instid1(VALU_DEP_2)
	v_add_f64 v[209:210], v[209:210], v[211:212]
	v_add_f64 v[205:206], v[205:206], v[207:208]
	s_delay_alu instid0(VALU_DEP_1) | instskip(SKIP_4) | instid1(SALU_CYCLE_1)
	v_cmp_lt_f64_e32 vcc_lo, v[205:206], v[209:210]
	v_dual_cndmask_b32 v186, v186, v203 :: v_dual_cndmask_b32 v185, v185, v202
	v_dual_cndmask_b32 v184, v184, v201 :: v_dual_cndmask_b32 v187, v187, v204
	v_cndmask_b32_e64 v192, v192, s6, vcc_lo
	s_add_i32 s6, s6, 1
	s_cmp_lg_u32 s5, s6
	s_cbranch_scc1 .LBB90_85
.LBB90_86:
	s_set_inst_prefetch_distance 0x2
	s_waitcnt lgkmcnt(0)
	v_cmp_eq_f64_e32 vcc_lo, 0, v[184:185]
	v_cmp_eq_f64_e64 s2, 0, v[186:187]
	s_delay_alu instid0(VALU_DEP_1) | instskip(NEXT) | instid1(SALU_CYCLE_1)
	s_and_b32 s2, vcc_lo, s2
	s_and_saveexec_b32 s3, s2
	s_delay_alu instid0(SALU_CYCLE_1)
	s_xor_b32 s2, exec_lo, s3
; %bb.87:
	v_cmp_ne_u32_e32 vcc_lo, 0, v197
	v_cndmask_b32_e32 v197, 5, v197, vcc_lo
; %bb.88:
	s_and_not1_saveexec_b32 s3, s2
	s_cbranch_execz .LBB90_94
; %bb.89:
	v_cmp_gt_f64_e32 vcc_lo, 0, v[184:185]
	v_cmp_gt_f64_e64 s2, 0, v[186:187]
	v_xor_b32_e32 v193, 0x80000000, v185
	v_xor_b32_e32 v201, 0x80000000, v187
	s_delay_alu instid0(VALU_DEP_2) | instskip(NEXT) | instid1(VALU_DEP_2)
	v_cndmask_b32_e32 v202, v185, v193, vcc_lo
	v_cndmask_b32_e64 v204, v187, v201, s2
	v_cndmask_b32_e32 v201, v184, v184, vcc_lo
	v_cndmask_b32_e64 v203, v186, v186, s2
	s_mov_b32 s2, exec_lo
	s_delay_alu instid0(VALU_DEP_1)
	v_cmpx_ngt_f64_e32 v[201:202], v[203:204]
	s_xor_b32 s2, exec_lo, s2
	s_cbranch_execz .LBB90_91
; %bb.90:
	v_div_scale_f64 v[201:202], null, v[186:187], v[186:187], v[184:185]
	v_div_scale_f64 v[207:208], vcc_lo, v[184:185], v[186:187], v[184:185]
	s_delay_alu instid0(VALU_DEP_2) | instskip(SKIP_2) | instid1(VALU_DEP_1)
	v_rcp_f64_e32 v[203:204], v[201:202]
	s_waitcnt_depctr 0xfff
	v_fma_f64 v[205:206], -v[201:202], v[203:204], 1.0
	v_fma_f64 v[203:204], v[203:204], v[205:206], v[203:204]
	s_delay_alu instid0(VALU_DEP_1) | instskip(NEXT) | instid1(VALU_DEP_1)
	v_fma_f64 v[205:206], -v[201:202], v[203:204], 1.0
	v_fma_f64 v[203:204], v[203:204], v[205:206], v[203:204]
	s_delay_alu instid0(VALU_DEP_1) | instskip(NEXT) | instid1(VALU_DEP_1)
	v_mul_f64 v[205:206], v[207:208], v[203:204]
	v_fma_f64 v[201:202], -v[201:202], v[205:206], v[207:208]
	s_delay_alu instid0(VALU_DEP_1) | instskip(NEXT) | instid1(VALU_DEP_1)
	v_div_fmas_f64 v[201:202], v[201:202], v[203:204], v[205:206]
	v_div_fixup_f64 v[201:202], v[201:202], v[186:187], v[184:185]
	s_delay_alu instid0(VALU_DEP_1) | instskip(NEXT) | instid1(VALU_DEP_1)
	v_fma_f64 v[184:185], v[184:185], v[201:202], v[186:187]
	v_div_scale_f64 v[186:187], null, v[184:185], v[184:185], 1.0
	s_delay_alu instid0(VALU_DEP_1) | instskip(SKIP_2) | instid1(VALU_DEP_1)
	v_rcp_f64_e32 v[203:204], v[186:187]
	s_waitcnt_depctr 0xfff
	v_fma_f64 v[205:206], -v[186:187], v[203:204], 1.0
	v_fma_f64 v[203:204], v[203:204], v[205:206], v[203:204]
	s_delay_alu instid0(VALU_DEP_1) | instskip(NEXT) | instid1(VALU_DEP_1)
	v_fma_f64 v[205:206], -v[186:187], v[203:204], 1.0
	v_fma_f64 v[203:204], v[203:204], v[205:206], v[203:204]
	v_div_scale_f64 v[205:206], vcc_lo, 1.0, v[184:185], 1.0
	s_delay_alu instid0(VALU_DEP_1) | instskip(NEXT) | instid1(VALU_DEP_1)
	v_mul_f64 v[207:208], v[205:206], v[203:204]
	v_fma_f64 v[186:187], -v[186:187], v[207:208], v[205:206]
	s_delay_alu instid0(VALU_DEP_1) | instskip(NEXT) | instid1(VALU_DEP_1)
	v_div_fmas_f64 v[186:187], v[186:187], v[203:204], v[207:208]
	v_div_fixup_f64 v[186:187], v[186:187], v[184:185], 1.0
	s_delay_alu instid0(VALU_DEP_1)
	v_mul_f64 v[184:185], v[201:202], v[186:187]
	v_xor_b32_e32 v187, 0x80000000, v187
.LBB90_91:
	s_and_not1_saveexec_b32 s2, s2
	s_cbranch_execz .LBB90_93
; %bb.92:
	s_delay_alu instid0(VALU_DEP_1) | instskip(SKIP_1) | instid1(VALU_DEP_2)
	v_div_scale_f64 v[201:202], null, v[184:185], v[184:185], v[186:187]
	v_div_scale_f64 v[207:208], vcc_lo, v[186:187], v[184:185], v[186:187]
	v_rcp_f64_e32 v[203:204], v[201:202]
	s_waitcnt_depctr 0xfff
	v_fma_f64 v[205:206], -v[201:202], v[203:204], 1.0
	s_delay_alu instid0(VALU_DEP_1) | instskip(NEXT) | instid1(VALU_DEP_1)
	v_fma_f64 v[203:204], v[203:204], v[205:206], v[203:204]
	v_fma_f64 v[205:206], -v[201:202], v[203:204], 1.0
	s_delay_alu instid0(VALU_DEP_1) | instskip(NEXT) | instid1(VALU_DEP_1)
	v_fma_f64 v[203:204], v[203:204], v[205:206], v[203:204]
	v_mul_f64 v[205:206], v[207:208], v[203:204]
	s_delay_alu instid0(VALU_DEP_1) | instskip(NEXT) | instid1(VALU_DEP_1)
	v_fma_f64 v[201:202], -v[201:202], v[205:206], v[207:208]
	v_div_fmas_f64 v[201:202], v[201:202], v[203:204], v[205:206]
	s_delay_alu instid0(VALU_DEP_1) | instskip(NEXT) | instid1(VALU_DEP_1)
	v_div_fixup_f64 v[201:202], v[201:202], v[184:185], v[186:187]
	v_fma_f64 v[184:185], v[186:187], v[201:202], v[184:185]
	s_delay_alu instid0(VALU_DEP_1) | instskip(NEXT) | instid1(VALU_DEP_1)
	v_div_scale_f64 v[186:187], null, v[184:185], v[184:185], 1.0
	v_rcp_f64_e32 v[203:204], v[186:187]
	s_waitcnt_depctr 0xfff
	v_fma_f64 v[205:206], -v[186:187], v[203:204], 1.0
	s_delay_alu instid0(VALU_DEP_1) | instskip(NEXT) | instid1(VALU_DEP_1)
	v_fma_f64 v[203:204], v[203:204], v[205:206], v[203:204]
	v_fma_f64 v[205:206], -v[186:187], v[203:204], 1.0
	s_delay_alu instid0(VALU_DEP_1) | instskip(SKIP_1) | instid1(VALU_DEP_1)
	v_fma_f64 v[203:204], v[203:204], v[205:206], v[203:204]
	v_div_scale_f64 v[205:206], vcc_lo, 1.0, v[184:185], 1.0
	v_mul_f64 v[207:208], v[205:206], v[203:204]
	s_delay_alu instid0(VALU_DEP_1) | instskip(NEXT) | instid1(VALU_DEP_1)
	v_fma_f64 v[186:187], -v[186:187], v[207:208], v[205:206]
	v_div_fmas_f64 v[186:187], v[186:187], v[203:204], v[207:208]
	s_delay_alu instid0(VALU_DEP_1) | instskip(NEXT) | instid1(VALU_DEP_1)
	v_div_fixup_f64 v[184:185], v[186:187], v[184:185], 1.0
	v_mul_f64 v[186:187], v[201:202], -v[184:185]
.LBB90_93:
	s_or_b32 exec_lo, exec_lo, s2
.LBB90_94:
	s_delay_alu instid0(SALU_CYCLE_1) | instskip(NEXT) | instid1(SALU_CYCLE_1)
	s_or_b32 exec_lo, exec_lo, s3
	s_mov_b32 s2, exec_lo
	v_cmpx_ne_u32_e64 v200, v192
	s_xor_b32 s2, exec_lo, s2
	s_cbranch_execz .LBB90_100
; %bb.95:
	s_mov_b32 s3, exec_lo
	v_cmpx_eq_u32_e32 4, v200
	s_cbranch_execz .LBB90_99
; %bb.96:
	v_cmp_ne_u32_e32 vcc_lo, 4, v192
	s_xor_b32 s6, s4, -1
	s_delay_alu instid0(SALU_CYCLE_1) | instskip(NEXT) | instid1(SALU_CYCLE_1)
	s_and_b32 s7, s6, vcc_lo
	s_and_saveexec_b32 s6, s7
	s_cbranch_execz .LBB90_98
; %bb.97:
	v_ashrrev_i32_e32 v193, 31, v192
	s_delay_alu instid0(VALU_DEP_1) | instskip(NEXT) | instid1(VALU_DEP_1)
	v_lshlrev_b64 v[200:201], 2, v[192:193]
	v_add_co_u32 v200, vcc_lo, v190, v200
	s_delay_alu instid0(VALU_DEP_2)
	v_add_co_ci_u32_e32 v201, vcc_lo, v191, v201, vcc_lo
	s_clause 0x1
	flat_load_b32 v193, v[200:201]
	flat_load_b32 v198, v[190:191] offset:16
	s_waitcnt vmcnt(1) lgkmcnt(1)
	flat_store_b32 v[190:191], v193 offset:16
	s_waitcnt vmcnt(0) lgkmcnt(1)
	flat_store_b32 v[200:201], v198
.LBB90_98:
	s_or_b32 exec_lo, exec_lo, s6
	v_mov_b32_e32 v200, v192
	v_mov_b32_e32 v198, v192
.LBB90_99:
	s_or_b32 exec_lo, exec_lo, s3
.LBB90_100:
	s_and_not1_saveexec_b32 s2, s2
	s_cbranch_execz .LBB90_102
; %bb.101:
	v_mov_b32_e32 v200, 4
	ds_store_2addr_b64 v194, v[160:161], v[162:163] offset0:10 offset1:11
	ds_store_2addr_b64 v194, v[156:157], v[158:159] offset0:12 offset1:13
	;; [unrolled: 1-line block ×41, first 2 shown]
.LBB90_102:
	s_or_b32 exec_lo, exec_lo, s2
	s_delay_alu instid0(SALU_CYCLE_1)
	s_mov_b32 s2, exec_lo
	s_waitcnt lgkmcnt(0)
	s_waitcnt_vscnt null, 0x0
	s_barrier
	buffer_gl0_inv
	v_cmpx_lt_i32_e32 4, v200
	s_cbranch_execz .LBB90_104
; %bb.103:
	v_mul_f64 v[192:193], v[186:187], v[166:167]
	v_mul_f64 v[166:167], v[184:185], v[166:167]
	s_delay_alu instid0(VALU_DEP_2) | instskip(NEXT) | instid1(VALU_DEP_2)
	v_fma_f64 v[192:193], v[184:185], v[164:165], -v[192:193]
	v_fma_f64 v[166:167], v[186:187], v[164:165], v[166:167]
	ds_load_2addr_b64 v[184:187], v194 offset0:10 offset1:11
	s_waitcnt lgkmcnt(0)
	v_mul_f64 v[164:165], v[186:187], v[166:167]
	s_delay_alu instid0(VALU_DEP_1) | instskip(SKIP_1) | instid1(VALU_DEP_2)
	v_fma_f64 v[164:165], v[184:185], v[192:193], -v[164:165]
	v_mul_f64 v[184:185], v[184:185], v[166:167]
	v_add_f64 v[160:161], v[160:161], -v[164:165]
	s_delay_alu instid0(VALU_DEP_2) | instskip(NEXT) | instid1(VALU_DEP_1)
	v_fma_f64 v[184:185], v[186:187], v[192:193], v[184:185]
	v_add_f64 v[162:163], v[162:163], -v[184:185]
	ds_load_2addr_b64 v[184:187], v194 offset0:12 offset1:13
	s_waitcnt lgkmcnt(0)
	v_mul_f64 v[164:165], v[186:187], v[166:167]
	s_delay_alu instid0(VALU_DEP_1) | instskip(SKIP_1) | instid1(VALU_DEP_2)
	v_fma_f64 v[164:165], v[184:185], v[192:193], -v[164:165]
	v_mul_f64 v[184:185], v[184:185], v[166:167]
	v_add_f64 v[156:157], v[156:157], -v[164:165]
	s_delay_alu instid0(VALU_DEP_2) | instskip(NEXT) | instid1(VALU_DEP_1)
	v_fma_f64 v[184:185], v[186:187], v[192:193], v[184:185]
	v_add_f64 v[158:159], v[158:159], -v[184:185]
	;; [unrolled: 10-line block ×40, first 2 shown]
	ds_load_2addr_b64 v[184:187], v194 offset0:90 offset1:91
	s_waitcnt lgkmcnt(0)
	v_mul_f64 v[164:165], v[186:187], v[166:167]
	s_delay_alu instid0(VALU_DEP_1) | instskip(SKIP_1) | instid1(VALU_DEP_2)
	v_fma_f64 v[164:165], v[184:185], v[192:193], -v[164:165]
	v_mul_f64 v[184:185], v[184:185], v[166:167]
	v_add_f64 v[0:1], v[0:1], -v[164:165]
	s_delay_alu instid0(VALU_DEP_2) | instskip(SKIP_1) | instid1(VALU_DEP_2)
	v_fma_f64 v[184:185], v[186:187], v[192:193], v[184:185]
	v_dual_mov_b32 v164, v192 :: v_dual_mov_b32 v165, v193
	v_add_f64 v[2:3], v[2:3], -v[184:185]
.LBB90_104:
	s_or_b32 exec_lo, exec_lo, s2
	v_lshl_add_u32 v184, v200, 4, v194
	s_barrier
	buffer_gl0_inv
	v_mov_b32_e32 v192, 5
	ds_store_2addr_b64 v184, v[160:161], v[162:163] offset1:1
	s_waitcnt lgkmcnt(0)
	s_barrier
	buffer_gl0_inv
	ds_load_2addr_b64 v[184:187], v194 offset0:10 offset1:11
	s_cmp_lt_i32 s5, 7
	s_cbranch_scc1 .LBB90_107
; %bb.105:
	v_add3_u32 v193, v199, 0, 0x60
	v_mov_b32_e32 v192, 5
	s_mov_b32 s6, 6
	s_set_inst_prefetch_distance 0x1
	.p2align	6
.LBB90_106:                             ; =>This Inner Loop Header: Depth=1
	ds_load_2addr_b64 v[201:204], v193 offset1:1
	s_waitcnt lgkmcnt(1)
	v_cmp_gt_f64_e32 vcc_lo, 0, v[184:185]
	v_xor_b32_e32 v205, 0x80000000, v185
	v_cmp_gt_f64_e64 s2, 0, v[186:187]
	v_xor_b32_e32 v207, 0x80000000, v187
	v_add_nc_u32_e32 v193, 16, v193
	s_waitcnt lgkmcnt(0)
	v_cmp_gt_f64_e64 s3, 0, v[201:202]
	v_mov_b32_e32 v209, v201
	v_dual_mov_b32 v211, v203 :: v_dual_cndmask_b32 v206, v185, v205
	v_xor_b32_e32 v205, 0x80000000, v202
	v_cndmask_b32_e64 v208, v187, v207, s2
	v_xor_b32_e32 v207, 0x80000000, v204
	s_delay_alu instid0(VALU_DEP_3) | instskip(SKIP_2) | instid1(VALU_DEP_2)
	v_cndmask_b32_e64 v210, v202, v205, s3
	v_cmp_gt_f64_e64 s3, 0, v[203:204]
	v_cndmask_b32_e32 v205, v184, v184, vcc_lo
	v_cndmask_b32_e64 v212, v204, v207, s3
	v_cndmask_b32_e64 v207, v186, v186, s2
	s_delay_alu instid0(VALU_DEP_2) | instskip(NEXT) | instid1(VALU_DEP_2)
	v_add_f64 v[209:210], v[209:210], v[211:212]
	v_add_f64 v[205:206], v[205:206], v[207:208]
	s_delay_alu instid0(VALU_DEP_1) | instskip(SKIP_4) | instid1(SALU_CYCLE_1)
	v_cmp_lt_f64_e32 vcc_lo, v[205:206], v[209:210]
	v_dual_cndmask_b32 v186, v186, v203 :: v_dual_cndmask_b32 v185, v185, v202
	v_dual_cndmask_b32 v184, v184, v201 :: v_dual_cndmask_b32 v187, v187, v204
	v_cndmask_b32_e64 v192, v192, s6, vcc_lo
	s_add_i32 s6, s6, 1
	s_cmp_lg_u32 s5, s6
	s_cbranch_scc1 .LBB90_106
.LBB90_107:
	s_set_inst_prefetch_distance 0x2
	s_waitcnt lgkmcnt(0)
	v_cmp_eq_f64_e32 vcc_lo, 0, v[184:185]
	v_cmp_eq_f64_e64 s2, 0, v[186:187]
	s_delay_alu instid0(VALU_DEP_1) | instskip(NEXT) | instid1(SALU_CYCLE_1)
	s_and_b32 s2, vcc_lo, s2
	s_and_saveexec_b32 s3, s2
	s_delay_alu instid0(SALU_CYCLE_1)
	s_xor_b32 s2, exec_lo, s3
; %bb.108:
	v_cmp_ne_u32_e32 vcc_lo, 0, v197
	v_cndmask_b32_e32 v197, 6, v197, vcc_lo
; %bb.109:
	s_and_not1_saveexec_b32 s3, s2
	s_cbranch_execz .LBB90_115
; %bb.110:
	v_cmp_gt_f64_e32 vcc_lo, 0, v[184:185]
	v_cmp_gt_f64_e64 s2, 0, v[186:187]
	v_xor_b32_e32 v193, 0x80000000, v185
	v_xor_b32_e32 v201, 0x80000000, v187
	s_delay_alu instid0(VALU_DEP_2) | instskip(NEXT) | instid1(VALU_DEP_2)
	v_cndmask_b32_e32 v202, v185, v193, vcc_lo
	v_cndmask_b32_e64 v204, v187, v201, s2
	v_cndmask_b32_e32 v201, v184, v184, vcc_lo
	v_cndmask_b32_e64 v203, v186, v186, s2
	s_mov_b32 s2, exec_lo
	s_delay_alu instid0(VALU_DEP_1)
	v_cmpx_ngt_f64_e32 v[201:202], v[203:204]
	s_xor_b32 s2, exec_lo, s2
	s_cbranch_execz .LBB90_112
; %bb.111:
	v_div_scale_f64 v[201:202], null, v[186:187], v[186:187], v[184:185]
	v_div_scale_f64 v[207:208], vcc_lo, v[184:185], v[186:187], v[184:185]
	s_delay_alu instid0(VALU_DEP_2) | instskip(SKIP_2) | instid1(VALU_DEP_1)
	v_rcp_f64_e32 v[203:204], v[201:202]
	s_waitcnt_depctr 0xfff
	v_fma_f64 v[205:206], -v[201:202], v[203:204], 1.0
	v_fma_f64 v[203:204], v[203:204], v[205:206], v[203:204]
	s_delay_alu instid0(VALU_DEP_1) | instskip(NEXT) | instid1(VALU_DEP_1)
	v_fma_f64 v[205:206], -v[201:202], v[203:204], 1.0
	v_fma_f64 v[203:204], v[203:204], v[205:206], v[203:204]
	s_delay_alu instid0(VALU_DEP_1) | instskip(NEXT) | instid1(VALU_DEP_1)
	v_mul_f64 v[205:206], v[207:208], v[203:204]
	v_fma_f64 v[201:202], -v[201:202], v[205:206], v[207:208]
	s_delay_alu instid0(VALU_DEP_1) | instskip(NEXT) | instid1(VALU_DEP_1)
	v_div_fmas_f64 v[201:202], v[201:202], v[203:204], v[205:206]
	v_div_fixup_f64 v[201:202], v[201:202], v[186:187], v[184:185]
	s_delay_alu instid0(VALU_DEP_1) | instskip(NEXT) | instid1(VALU_DEP_1)
	v_fma_f64 v[184:185], v[184:185], v[201:202], v[186:187]
	v_div_scale_f64 v[186:187], null, v[184:185], v[184:185], 1.0
	s_delay_alu instid0(VALU_DEP_1) | instskip(SKIP_2) | instid1(VALU_DEP_1)
	v_rcp_f64_e32 v[203:204], v[186:187]
	s_waitcnt_depctr 0xfff
	v_fma_f64 v[205:206], -v[186:187], v[203:204], 1.0
	v_fma_f64 v[203:204], v[203:204], v[205:206], v[203:204]
	s_delay_alu instid0(VALU_DEP_1) | instskip(NEXT) | instid1(VALU_DEP_1)
	v_fma_f64 v[205:206], -v[186:187], v[203:204], 1.0
	v_fma_f64 v[203:204], v[203:204], v[205:206], v[203:204]
	v_div_scale_f64 v[205:206], vcc_lo, 1.0, v[184:185], 1.0
	s_delay_alu instid0(VALU_DEP_1) | instskip(NEXT) | instid1(VALU_DEP_1)
	v_mul_f64 v[207:208], v[205:206], v[203:204]
	v_fma_f64 v[186:187], -v[186:187], v[207:208], v[205:206]
	s_delay_alu instid0(VALU_DEP_1) | instskip(NEXT) | instid1(VALU_DEP_1)
	v_div_fmas_f64 v[186:187], v[186:187], v[203:204], v[207:208]
	v_div_fixup_f64 v[186:187], v[186:187], v[184:185], 1.0
	s_delay_alu instid0(VALU_DEP_1)
	v_mul_f64 v[184:185], v[201:202], v[186:187]
	v_xor_b32_e32 v187, 0x80000000, v187
.LBB90_112:
	s_and_not1_saveexec_b32 s2, s2
	s_cbranch_execz .LBB90_114
; %bb.113:
	s_delay_alu instid0(VALU_DEP_1) | instskip(SKIP_1) | instid1(VALU_DEP_2)
	v_div_scale_f64 v[201:202], null, v[184:185], v[184:185], v[186:187]
	v_div_scale_f64 v[207:208], vcc_lo, v[186:187], v[184:185], v[186:187]
	v_rcp_f64_e32 v[203:204], v[201:202]
	s_waitcnt_depctr 0xfff
	v_fma_f64 v[205:206], -v[201:202], v[203:204], 1.0
	s_delay_alu instid0(VALU_DEP_1) | instskip(NEXT) | instid1(VALU_DEP_1)
	v_fma_f64 v[203:204], v[203:204], v[205:206], v[203:204]
	v_fma_f64 v[205:206], -v[201:202], v[203:204], 1.0
	s_delay_alu instid0(VALU_DEP_1) | instskip(NEXT) | instid1(VALU_DEP_1)
	v_fma_f64 v[203:204], v[203:204], v[205:206], v[203:204]
	v_mul_f64 v[205:206], v[207:208], v[203:204]
	s_delay_alu instid0(VALU_DEP_1) | instskip(NEXT) | instid1(VALU_DEP_1)
	v_fma_f64 v[201:202], -v[201:202], v[205:206], v[207:208]
	v_div_fmas_f64 v[201:202], v[201:202], v[203:204], v[205:206]
	s_delay_alu instid0(VALU_DEP_1) | instskip(NEXT) | instid1(VALU_DEP_1)
	v_div_fixup_f64 v[201:202], v[201:202], v[184:185], v[186:187]
	v_fma_f64 v[184:185], v[186:187], v[201:202], v[184:185]
	s_delay_alu instid0(VALU_DEP_1) | instskip(NEXT) | instid1(VALU_DEP_1)
	v_div_scale_f64 v[186:187], null, v[184:185], v[184:185], 1.0
	v_rcp_f64_e32 v[203:204], v[186:187]
	s_waitcnt_depctr 0xfff
	v_fma_f64 v[205:206], -v[186:187], v[203:204], 1.0
	s_delay_alu instid0(VALU_DEP_1) | instskip(NEXT) | instid1(VALU_DEP_1)
	v_fma_f64 v[203:204], v[203:204], v[205:206], v[203:204]
	v_fma_f64 v[205:206], -v[186:187], v[203:204], 1.0
	s_delay_alu instid0(VALU_DEP_1) | instskip(SKIP_1) | instid1(VALU_DEP_1)
	v_fma_f64 v[203:204], v[203:204], v[205:206], v[203:204]
	v_div_scale_f64 v[205:206], vcc_lo, 1.0, v[184:185], 1.0
	v_mul_f64 v[207:208], v[205:206], v[203:204]
	s_delay_alu instid0(VALU_DEP_1) | instskip(NEXT) | instid1(VALU_DEP_1)
	v_fma_f64 v[186:187], -v[186:187], v[207:208], v[205:206]
	v_div_fmas_f64 v[186:187], v[186:187], v[203:204], v[207:208]
	s_delay_alu instid0(VALU_DEP_1) | instskip(NEXT) | instid1(VALU_DEP_1)
	v_div_fixup_f64 v[184:185], v[186:187], v[184:185], 1.0
	v_mul_f64 v[186:187], v[201:202], -v[184:185]
.LBB90_114:
	s_or_b32 exec_lo, exec_lo, s2
.LBB90_115:
	s_delay_alu instid0(SALU_CYCLE_1) | instskip(NEXT) | instid1(SALU_CYCLE_1)
	s_or_b32 exec_lo, exec_lo, s3
	s_mov_b32 s2, exec_lo
	v_cmpx_ne_u32_e64 v200, v192
	s_xor_b32 s2, exec_lo, s2
	s_cbranch_execz .LBB90_121
; %bb.116:
	s_mov_b32 s3, exec_lo
	v_cmpx_eq_u32_e32 5, v200
	s_cbranch_execz .LBB90_120
; %bb.117:
	v_cmp_ne_u32_e32 vcc_lo, 5, v192
	s_xor_b32 s6, s4, -1
	s_delay_alu instid0(SALU_CYCLE_1) | instskip(NEXT) | instid1(SALU_CYCLE_1)
	s_and_b32 s7, s6, vcc_lo
	s_and_saveexec_b32 s6, s7
	s_cbranch_execz .LBB90_119
; %bb.118:
	v_ashrrev_i32_e32 v193, 31, v192
	s_delay_alu instid0(VALU_DEP_1) | instskip(NEXT) | instid1(VALU_DEP_1)
	v_lshlrev_b64 v[200:201], 2, v[192:193]
	v_add_co_u32 v200, vcc_lo, v190, v200
	s_delay_alu instid0(VALU_DEP_2)
	v_add_co_ci_u32_e32 v201, vcc_lo, v191, v201, vcc_lo
	s_clause 0x1
	flat_load_b32 v193, v[200:201]
	flat_load_b32 v198, v[190:191] offset:20
	s_waitcnt vmcnt(1) lgkmcnt(1)
	flat_store_b32 v[190:191], v193 offset:20
	s_waitcnt vmcnt(0) lgkmcnt(1)
	flat_store_b32 v[200:201], v198
.LBB90_119:
	s_or_b32 exec_lo, exec_lo, s6
	v_mov_b32_e32 v200, v192
	v_mov_b32_e32 v198, v192
.LBB90_120:
	s_or_b32 exec_lo, exec_lo, s3
.LBB90_121:
	s_and_not1_saveexec_b32 s2, s2
	s_cbranch_execz .LBB90_123
; %bb.122:
	v_mov_b32_e32 v200, 5
	ds_store_2addr_b64 v194, v[156:157], v[158:159] offset0:12 offset1:13
	ds_store_2addr_b64 v194, v[152:153], v[154:155] offset0:14 offset1:15
	;; [unrolled: 1-line block ×40, first 2 shown]
.LBB90_123:
	s_or_b32 exec_lo, exec_lo, s2
	s_delay_alu instid0(SALU_CYCLE_1)
	s_mov_b32 s2, exec_lo
	s_waitcnt lgkmcnt(0)
	s_waitcnt_vscnt null, 0x0
	s_barrier
	buffer_gl0_inv
	v_cmpx_lt_i32_e32 5, v200
	s_cbranch_execz .LBB90_125
; %bb.124:
	v_mul_f64 v[192:193], v[186:187], v[162:163]
	v_mul_f64 v[162:163], v[184:185], v[162:163]
	s_delay_alu instid0(VALU_DEP_2) | instskip(NEXT) | instid1(VALU_DEP_2)
	v_fma_f64 v[192:193], v[184:185], v[160:161], -v[192:193]
	v_fma_f64 v[162:163], v[186:187], v[160:161], v[162:163]
	ds_load_2addr_b64 v[184:187], v194 offset0:12 offset1:13
	s_waitcnt lgkmcnt(0)
	v_mul_f64 v[160:161], v[186:187], v[162:163]
	s_delay_alu instid0(VALU_DEP_1) | instskip(SKIP_1) | instid1(VALU_DEP_2)
	v_fma_f64 v[160:161], v[184:185], v[192:193], -v[160:161]
	v_mul_f64 v[184:185], v[184:185], v[162:163]
	v_add_f64 v[156:157], v[156:157], -v[160:161]
	s_delay_alu instid0(VALU_DEP_2) | instskip(NEXT) | instid1(VALU_DEP_1)
	v_fma_f64 v[184:185], v[186:187], v[192:193], v[184:185]
	v_add_f64 v[158:159], v[158:159], -v[184:185]
	ds_load_2addr_b64 v[184:187], v194 offset0:14 offset1:15
	s_waitcnt lgkmcnt(0)
	v_mul_f64 v[160:161], v[186:187], v[162:163]
	s_delay_alu instid0(VALU_DEP_1) | instskip(SKIP_1) | instid1(VALU_DEP_2)
	v_fma_f64 v[160:161], v[184:185], v[192:193], -v[160:161]
	v_mul_f64 v[184:185], v[184:185], v[162:163]
	v_add_f64 v[152:153], v[152:153], -v[160:161]
	s_delay_alu instid0(VALU_DEP_2) | instskip(NEXT) | instid1(VALU_DEP_1)
	v_fma_f64 v[184:185], v[186:187], v[192:193], v[184:185]
	v_add_f64 v[154:155], v[154:155], -v[184:185]
	;; [unrolled: 10-line block ×39, first 2 shown]
	ds_load_2addr_b64 v[184:187], v194 offset0:90 offset1:91
	s_waitcnt lgkmcnt(0)
	v_mul_f64 v[160:161], v[186:187], v[162:163]
	s_delay_alu instid0(VALU_DEP_1) | instskip(SKIP_1) | instid1(VALU_DEP_2)
	v_fma_f64 v[160:161], v[184:185], v[192:193], -v[160:161]
	v_mul_f64 v[184:185], v[184:185], v[162:163]
	v_add_f64 v[0:1], v[0:1], -v[160:161]
	s_delay_alu instid0(VALU_DEP_2) | instskip(SKIP_1) | instid1(VALU_DEP_2)
	v_fma_f64 v[184:185], v[186:187], v[192:193], v[184:185]
	v_dual_mov_b32 v160, v192 :: v_dual_mov_b32 v161, v193
	v_add_f64 v[2:3], v[2:3], -v[184:185]
.LBB90_125:
	s_or_b32 exec_lo, exec_lo, s2
	v_lshl_add_u32 v184, v200, 4, v194
	s_barrier
	buffer_gl0_inv
	v_mov_b32_e32 v192, 6
	ds_store_2addr_b64 v184, v[156:157], v[158:159] offset1:1
	s_waitcnt lgkmcnt(0)
	s_barrier
	buffer_gl0_inv
	ds_load_2addr_b64 v[184:187], v194 offset0:12 offset1:13
	s_cmp_lt_i32 s5, 8
	s_cbranch_scc1 .LBB90_128
; %bb.126:
	v_add3_u32 v193, v199, 0, 0x70
	v_mov_b32_e32 v192, 6
	s_mov_b32 s6, 7
	s_set_inst_prefetch_distance 0x1
	.p2align	6
.LBB90_127:                             ; =>This Inner Loop Header: Depth=1
	ds_load_2addr_b64 v[201:204], v193 offset1:1
	s_waitcnt lgkmcnt(1)
	v_cmp_gt_f64_e32 vcc_lo, 0, v[184:185]
	v_xor_b32_e32 v205, 0x80000000, v185
	v_cmp_gt_f64_e64 s2, 0, v[186:187]
	v_xor_b32_e32 v207, 0x80000000, v187
	v_add_nc_u32_e32 v193, 16, v193
	s_waitcnt lgkmcnt(0)
	v_cmp_gt_f64_e64 s3, 0, v[201:202]
	v_mov_b32_e32 v209, v201
	v_dual_mov_b32 v211, v203 :: v_dual_cndmask_b32 v206, v185, v205
	v_xor_b32_e32 v205, 0x80000000, v202
	v_cndmask_b32_e64 v208, v187, v207, s2
	v_xor_b32_e32 v207, 0x80000000, v204
	s_delay_alu instid0(VALU_DEP_3) | instskip(SKIP_2) | instid1(VALU_DEP_2)
	v_cndmask_b32_e64 v210, v202, v205, s3
	v_cmp_gt_f64_e64 s3, 0, v[203:204]
	v_cndmask_b32_e32 v205, v184, v184, vcc_lo
	v_cndmask_b32_e64 v212, v204, v207, s3
	v_cndmask_b32_e64 v207, v186, v186, s2
	s_delay_alu instid0(VALU_DEP_2) | instskip(NEXT) | instid1(VALU_DEP_2)
	v_add_f64 v[209:210], v[209:210], v[211:212]
	v_add_f64 v[205:206], v[205:206], v[207:208]
	s_delay_alu instid0(VALU_DEP_1) | instskip(SKIP_4) | instid1(SALU_CYCLE_1)
	v_cmp_lt_f64_e32 vcc_lo, v[205:206], v[209:210]
	v_dual_cndmask_b32 v186, v186, v203 :: v_dual_cndmask_b32 v185, v185, v202
	v_dual_cndmask_b32 v184, v184, v201 :: v_dual_cndmask_b32 v187, v187, v204
	v_cndmask_b32_e64 v192, v192, s6, vcc_lo
	s_add_i32 s6, s6, 1
	s_cmp_lg_u32 s5, s6
	s_cbranch_scc1 .LBB90_127
.LBB90_128:
	s_set_inst_prefetch_distance 0x2
	s_waitcnt lgkmcnt(0)
	v_cmp_eq_f64_e32 vcc_lo, 0, v[184:185]
	v_cmp_eq_f64_e64 s2, 0, v[186:187]
	s_delay_alu instid0(VALU_DEP_1) | instskip(NEXT) | instid1(SALU_CYCLE_1)
	s_and_b32 s2, vcc_lo, s2
	s_and_saveexec_b32 s3, s2
	s_delay_alu instid0(SALU_CYCLE_1)
	s_xor_b32 s2, exec_lo, s3
; %bb.129:
	v_cmp_ne_u32_e32 vcc_lo, 0, v197
	v_cndmask_b32_e32 v197, 7, v197, vcc_lo
; %bb.130:
	s_and_not1_saveexec_b32 s3, s2
	s_cbranch_execz .LBB90_136
; %bb.131:
	v_cmp_gt_f64_e32 vcc_lo, 0, v[184:185]
	v_cmp_gt_f64_e64 s2, 0, v[186:187]
	v_xor_b32_e32 v193, 0x80000000, v185
	v_xor_b32_e32 v201, 0x80000000, v187
	s_delay_alu instid0(VALU_DEP_2) | instskip(NEXT) | instid1(VALU_DEP_2)
	v_cndmask_b32_e32 v202, v185, v193, vcc_lo
	v_cndmask_b32_e64 v204, v187, v201, s2
	v_cndmask_b32_e32 v201, v184, v184, vcc_lo
	v_cndmask_b32_e64 v203, v186, v186, s2
	s_mov_b32 s2, exec_lo
	s_delay_alu instid0(VALU_DEP_1)
	v_cmpx_ngt_f64_e32 v[201:202], v[203:204]
	s_xor_b32 s2, exec_lo, s2
	s_cbranch_execz .LBB90_133
; %bb.132:
	v_div_scale_f64 v[201:202], null, v[186:187], v[186:187], v[184:185]
	v_div_scale_f64 v[207:208], vcc_lo, v[184:185], v[186:187], v[184:185]
	s_delay_alu instid0(VALU_DEP_2) | instskip(SKIP_2) | instid1(VALU_DEP_1)
	v_rcp_f64_e32 v[203:204], v[201:202]
	s_waitcnt_depctr 0xfff
	v_fma_f64 v[205:206], -v[201:202], v[203:204], 1.0
	v_fma_f64 v[203:204], v[203:204], v[205:206], v[203:204]
	s_delay_alu instid0(VALU_DEP_1) | instskip(NEXT) | instid1(VALU_DEP_1)
	v_fma_f64 v[205:206], -v[201:202], v[203:204], 1.0
	v_fma_f64 v[203:204], v[203:204], v[205:206], v[203:204]
	s_delay_alu instid0(VALU_DEP_1) | instskip(NEXT) | instid1(VALU_DEP_1)
	v_mul_f64 v[205:206], v[207:208], v[203:204]
	v_fma_f64 v[201:202], -v[201:202], v[205:206], v[207:208]
	s_delay_alu instid0(VALU_DEP_1) | instskip(NEXT) | instid1(VALU_DEP_1)
	v_div_fmas_f64 v[201:202], v[201:202], v[203:204], v[205:206]
	v_div_fixup_f64 v[201:202], v[201:202], v[186:187], v[184:185]
	s_delay_alu instid0(VALU_DEP_1) | instskip(NEXT) | instid1(VALU_DEP_1)
	v_fma_f64 v[184:185], v[184:185], v[201:202], v[186:187]
	v_div_scale_f64 v[186:187], null, v[184:185], v[184:185], 1.0
	s_delay_alu instid0(VALU_DEP_1) | instskip(SKIP_2) | instid1(VALU_DEP_1)
	v_rcp_f64_e32 v[203:204], v[186:187]
	s_waitcnt_depctr 0xfff
	v_fma_f64 v[205:206], -v[186:187], v[203:204], 1.0
	v_fma_f64 v[203:204], v[203:204], v[205:206], v[203:204]
	s_delay_alu instid0(VALU_DEP_1) | instskip(NEXT) | instid1(VALU_DEP_1)
	v_fma_f64 v[205:206], -v[186:187], v[203:204], 1.0
	v_fma_f64 v[203:204], v[203:204], v[205:206], v[203:204]
	v_div_scale_f64 v[205:206], vcc_lo, 1.0, v[184:185], 1.0
	s_delay_alu instid0(VALU_DEP_1) | instskip(NEXT) | instid1(VALU_DEP_1)
	v_mul_f64 v[207:208], v[205:206], v[203:204]
	v_fma_f64 v[186:187], -v[186:187], v[207:208], v[205:206]
	s_delay_alu instid0(VALU_DEP_1) | instskip(NEXT) | instid1(VALU_DEP_1)
	v_div_fmas_f64 v[186:187], v[186:187], v[203:204], v[207:208]
	v_div_fixup_f64 v[186:187], v[186:187], v[184:185], 1.0
	s_delay_alu instid0(VALU_DEP_1)
	v_mul_f64 v[184:185], v[201:202], v[186:187]
	v_xor_b32_e32 v187, 0x80000000, v187
.LBB90_133:
	s_and_not1_saveexec_b32 s2, s2
	s_cbranch_execz .LBB90_135
; %bb.134:
	s_delay_alu instid0(VALU_DEP_1) | instskip(SKIP_1) | instid1(VALU_DEP_2)
	v_div_scale_f64 v[201:202], null, v[184:185], v[184:185], v[186:187]
	v_div_scale_f64 v[207:208], vcc_lo, v[186:187], v[184:185], v[186:187]
	v_rcp_f64_e32 v[203:204], v[201:202]
	s_waitcnt_depctr 0xfff
	v_fma_f64 v[205:206], -v[201:202], v[203:204], 1.0
	s_delay_alu instid0(VALU_DEP_1) | instskip(NEXT) | instid1(VALU_DEP_1)
	v_fma_f64 v[203:204], v[203:204], v[205:206], v[203:204]
	v_fma_f64 v[205:206], -v[201:202], v[203:204], 1.0
	s_delay_alu instid0(VALU_DEP_1) | instskip(NEXT) | instid1(VALU_DEP_1)
	v_fma_f64 v[203:204], v[203:204], v[205:206], v[203:204]
	v_mul_f64 v[205:206], v[207:208], v[203:204]
	s_delay_alu instid0(VALU_DEP_1) | instskip(NEXT) | instid1(VALU_DEP_1)
	v_fma_f64 v[201:202], -v[201:202], v[205:206], v[207:208]
	v_div_fmas_f64 v[201:202], v[201:202], v[203:204], v[205:206]
	s_delay_alu instid0(VALU_DEP_1) | instskip(NEXT) | instid1(VALU_DEP_1)
	v_div_fixup_f64 v[201:202], v[201:202], v[184:185], v[186:187]
	v_fma_f64 v[184:185], v[186:187], v[201:202], v[184:185]
	s_delay_alu instid0(VALU_DEP_1) | instskip(NEXT) | instid1(VALU_DEP_1)
	v_div_scale_f64 v[186:187], null, v[184:185], v[184:185], 1.0
	v_rcp_f64_e32 v[203:204], v[186:187]
	s_waitcnt_depctr 0xfff
	v_fma_f64 v[205:206], -v[186:187], v[203:204], 1.0
	s_delay_alu instid0(VALU_DEP_1) | instskip(NEXT) | instid1(VALU_DEP_1)
	v_fma_f64 v[203:204], v[203:204], v[205:206], v[203:204]
	v_fma_f64 v[205:206], -v[186:187], v[203:204], 1.0
	s_delay_alu instid0(VALU_DEP_1) | instskip(SKIP_1) | instid1(VALU_DEP_1)
	v_fma_f64 v[203:204], v[203:204], v[205:206], v[203:204]
	v_div_scale_f64 v[205:206], vcc_lo, 1.0, v[184:185], 1.0
	v_mul_f64 v[207:208], v[205:206], v[203:204]
	s_delay_alu instid0(VALU_DEP_1) | instskip(NEXT) | instid1(VALU_DEP_1)
	v_fma_f64 v[186:187], -v[186:187], v[207:208], v[205:206]
	v_div_fmas_f64 v[186:187], v[186:187], v[203:204], v[207:208]
	s_delay_alu instid0(VALU_DEP_1) | instskip(NEXT) | instid1(VALU_DEP_1)
	v_div_fixup_f64 v[184:185], v[186:187], v[184:185], 1.0
	v_mul_f64 v[186:187], v[201:202], -v[184:185]
.LBB90_135:
	s_or_b32 exec_lo, exec_lo, s2
.LBB90_136:
	s_delay_alu instid0(SALU_CYCLE_1) | instskip(NEXT) | instid1(SALU_CYCLE_1)
	s_or_b32 exec_lo, exec_lo, s3
	s_mov_b32 s2, exec_lo
	v_cmpx_ne_u32_e64 v200, v192
	s_xor_b32 s2, exec_lo, s2
	s_cbranch_execz .LBB90_142
; %bb.137:
	s_mov_b32 s3, exec_lo
	v_cmpx_eq_u32_e32 6, v200
	s_cbranch_execz .LBB90_141
; %bb.138:
	v_cmp_ne_u32_e32 vcc_lo, 6, v192
	s_xor_b32 s6, s4, -1
	s_delay_alu instid0(SALU_CYCLE_1) | instskip(NEXT) | instid1(SALU_CYCLE_1)
	s_and_b32 s7, s6, vcc_lo
	s_and_saveexec_b32 s6, s7
	s_cbranch_execz .LBB90_140
; %bb.139:
	v_ashrrev_i32_e32 v193, 31, v192
	s_delay_alu instid0(VALU_DEP_1) | instskip(NEXT) | instid1(VALU_DEP_1)
	v_lshlrev_b64 v[200:201], 2, v[192:193]
	v_add_co_u32 v200, vcc_lo, v190, v200
	s_delay_alu instid0(VALU_DEP_2)
	v_add_co_ci_u32_e32 v201, vcc_lo, v191, v201, vcc_lo
	s_clause 0x1
	flat_load_b32 v193, v[200:201]
	flat_load_b32 v198, v[190:191] offset:24
	s_waitcnt vmcnt(1) lgkmcnt(1)
	flat_store_b32 v[190:191], v193 offset:24
	s_waitcnt vmcnt(0) lgkmcnt(1)
	flat_store_b32 v[200:201], v198
.LBB90_140:
	s_or_b32 exec_lo, exec_lo, s6
	v_mov_b32_e32 v200, v192
	v_mov_b32_e32 v198, v192
.LBB90_141:
	s_or_b32 exec_lo, exec_lo, s3
.LBB90_142:
	s_and_not1_saveexec_b32 s2, s2
	s_cbranch_execz .LBB90_144
; %bb.143:
	v_mov_b32_e32 v200, 6
	ds_store_2addr_b64 v194, v[152:153], v[154:155] offset0:14 offset1:15
	ds_store_2addr_b64 v194, v[148:149], v[150:151] offset0:16 offset1:17
	;; [unrolled: 1-line block ×39, first 2 shown]
.LBB90_144:
	s_or_b32 exec_lo, exec_lo, s2
	s_delay_alu instid0(SALU_CYCLE_1)
	s_mov_b32 s2, exec_lo
	s_waitcnt lgkmcnt(0)
	s_waitcnt_vscnt null, 0x0
	s_barrier
	buffer_gl0_inv
	v_cmpx_lt_i32_e32 6, v200
	s_cbranch_execz .LBB90_146
; %bb.145:
	v_mul_f64 v[192:193], v[186:187], v[158:159]
	v_mul_f64 v[158:159], v[184:185], v[158:159]
	s_delay_alu instid0(VALU_DEP_2) | instskip(NEXT) | instid1(VALU_DEP_2)
	v_fma_f64 v[192:193], v[184:185], v[156:157], -v[192:193]
	v_fma_f64 v[158:159], v[186:187], v[156:157], v[158:159]
	ds_load_2addr_b64 v[184:187], v194 offset0:14 offset1:15
	s_waitcnt lgkmcnt(0)
	v_mul_f64 v[156:157], v[186:187], v[158:159]
	s_delay_alu instid0(VALU_DEP_1) | instskip(SKIP_1) | instid1(VALU_DEP_2)
	v_fma_f64 v[156:157], v[184:185], v[192:193], -v[156:157]
	v_mul_f64 v[184:185], v[184:185], v[158:159]
	v_add_f64 v[152:153], v[152:153], -v[156:157]
	s_delay_alu instid0(VALU_DEP_2) | instskip(NEXT) | instid1(VALU_DEP_1)
	v_fma_f64 v[184:185], v[186:187], v[192:193], v[184:185]
	v_add_f64 v[154:155], v[154:155], -v[184:185]
	ds_load_2addr_b64 v[184:187], v194 offset0:16 offset1:17
	s_waitcnt lgkmcnt(0)
	v_mul_f64 v[156:157], v[186:187], v[158:159]
	s_delay_alu instid0(VALU_DEP_1) | instskip(SKIP_1) | instid1(VALU_DEP_2)
	v_fma_f64 v[156:157], v[184:185], v[192:193], -v[156:157]
	v_mul_f64 v[184:185], v[184:185], v[158:159]
	v_add_f64 v[148:149], v[148:149], -v[156:157]
	s_delay_alu instid0(VALU_DEP_2) | instskip(NEXT) | instid1(VALU_DEP_1)
	v_fma_f64 v[184:185], v[186:187], v[192:193], v[184:185]
	v_add_f64 v[150:151], v[150:151], -v[184:185]
	;; [unrolled: 10-line block ×38, first 2 shown]
	ds_load_2addr_b64 v[184:187], v194 offset0:90 offset1:91
	s_waitcnt lgkmcnt(0)
	v_mul_f64 v[156:157], v[186:187], v[158:159]
	s_delay_alu instid0(VALU_DEP_1) | instskip(SKIP_1) | instid1(VALU_DEP_2)
	v_fma_f64 v[156:157], v[184:185], v[192:193], -v[156:157]
	v_mul_f64 v[184:185], v[184:185], v[158:159]
	v_add_f64 v[0:1], v[0:1], -v[156:157]
	s_delay_alu instid0(VALU_DEP_2) | instskip(SKIP_1) | instid1(VALU_DEP_2)
	v_fma_f64 v[184:185], v[186:187], v[192:193], v[184:185]
	v_dual_mov_b32 v156, v192 :: v_dual_mov_b32 v157, v193
	v_add_f64 v[2:3], v[2:3], -v[184:185]
.LBB90_146:
	s_or_b32 exec_lo, exec_lo, s2
	v_lshl_add_u32 v184, v200, 4, v194
	s_barrier
	buffer_gl0_inv
	v_mov_b32_e32 v192, 7
	ds_store_2addr_b64 v184, v[152:153], v[154:155] offset1:1
	s_waitcnt lgkmcnt(0)
	s_barrier
	buffer_gl0_inv
	ds_load_2addr_b64 v[184:187], v194 offset0:14 offset1:15
	s_cmp_lt_i32 s5, 9
	s_cbranch_scc1 .LBB90_149
; %bb.147:
	v_add3_u32 v193, v199, 0, 0x80
	v_mov_b32_e32 v192, 7
	s_mov_b32 s6, 8
	s_set_inst_prefetch_distance 0x1
	.p2align	6
.LBB90_148:                             ; =>This Inner Loop Header: Depth=1
	ds_load_2addr_b64 v[201:204], v193 offset1:1
	s_waitcnt lgkmcnt(1)
	v_cmp_gt_f64_e32 vcc_lo, 0, v[184:185]
	v_xor_b32_e32 v205, 0x80000000, v185
	v_cmp_gt_f64_e64 s2, 0, v[186:187]
	v_xor_b32_e32 v207, 0x80000000, v187
	v_add_nc_u32_e32 v193, 16, v193
	s_waitcnt lgkmcnt(0)
	v_cmp_gt_f64_e64 s3, 0, v[201:202]
	v_mov_b32_e32 v209, v201
	v_dual_mov_b32 v211, v203 :: v_dual_cndmask_b32 v206, v185, v205
	v_xor_b32_e32 v205, 0x80000000, v202
	v_cndmask_b32_e64 v208, v187, v207, s2
	v_xor_b32_e32 v207, 0x80000000, v204
	s_delay_alu instid0(VALU_DEP_3) | instskip(SKIP_2) | instid1(VALU_DEP_2)
	v_cndmask_b32_e64 v210, v202, v205, s3
	v_cmp_gt_f64_e64 s3, 0, v[203:204]
	v_cndmask_b32_e32 v205, v184, v184, vcc_lo
	v_cndmask_b32_e64 v212, v204, v207, s3
	v_cndmask_b32_e64 v207, v186, v186, s2
	s_delay_alu instid0(VALU_DEP_2) | instskip(NEXT) | instid1(VALU_DEP_2)
	v_add_f64 v[209:210], v[209:210], v[211:212]
	v_add_f64 v[205:206], v[205:206], v[207:208]
	s_delay_alu instid0(VALU_DEP_1) | instskip(SKIP_4) | instid1(SALU_CYCLE_1)
	v_cmp_lt_f64_e32 vcc_lo, v[205:206], v[209:210]
	v_dual_cndmask_b32 v186, v186, v203 :: v_dual_cndmask_b32 v185, v185, v202
	v_dual_cndmask_b32 v184, v184, v201 :: v_dual_cndmask_b32 v187, v187, v204
	v_cndmask_b32_e64 v192, v192, s6, vcc_lo
	s_add_i32 s6, s6, 1
	s_cmp_lg_u32 s5, s6
	s_cbranch_scc1 .LBB90_148
.LBB90_149:
	s_set_inst_prefetch_distance 0x2
	s_waitcnt lgkmcnt(0)
	v_cmp_eq_f64_e32 vcc_lo, 0, v[184:185]
	v_cmp_eq_f64_e64 s2, 0, v[186:187]
	s_delay_alu instid0(VALU_DEP_1) | instskip(NEXT) | instid1(SALU_CYCLE_1)
	s_and_b32 s2, vcc_lo, s2
	s_and_saveexec_b32 s3, s2
	s_delay_alu instid0(SALU_CYCLE_1)
	s_xor_b32 s2, exec_lo, s3
; %bb.150:
	v_cmp_ne_u32_e32 vcc_lo, 0, v197
	v_cndmask_b32_e32 v197, 8, v197, vcc_lo
; %bb.151:
	s_and_not1_saveexec_b32 s3, s2
	s_cbranch_execz .LBB90_157
; %bb.152:
	v_cmp_gt_f64_e32 vcc_lo, 0, v[184:185]
	v_cmp_gt_f64_e64 s2, 0, v[186:187]
	v_xor_b32_e32 v193, 0x80000000, v185
	v_xor_b32_e32 v201, 0x80000000, v187
	s_delay_alu instid0(VALU_DEP_2) | instskip(NEXT) | instid1(VALU_DEP_2)
	v_cndmask_b32_e32 v202, v185, v193, vcc_lo
	v_cndmask_b32_e64 v204, v187, v201, s2
	v_cndmask_b32_e32 v201, v184, v184, vcc_lo
	v_cndmask_b32_e64 v203, v186, v186, s2
	s_mov_b32 s2, exec_lo
	s_delay_alu instid0(VALU_DEP_1)
	v_cmpx_ngt_f64_e32 v[201:202], v[203:204]
	s_xor_b32 s2, exec_lo, s2
	s_cbranch_execz .LBB90_154
; %bb.153:
	v_div_scale_f64 v[201:202], null, v[186:187], v[186:187], v[184:185]
	v_div_scale_f64 v[207:208], vcc_lo, v[184:185], v[186:187], v[184:185]
	s_delay_alu instid0(VALU_DEP_2) | instskip(SKIP_2) | instid1(VALU_DEP_1)
	v_rcp_f64_e32 v[203:204], v[201:202]
	s_waitcnt_depctr 0xfff
	v_fma_f64 v[205:206], -v[201:202], v[203:204], 1.0
	v_fma_f64 v[203:204], v[203:204], v[205:206], v[203:204]
	s_delay_alu instid0(VALU_DEP_1) | instskip(NEXT) | instid1(VALU_DEP_1)
	v_fma_f64 v[205:206], -v[201:202], v[203:204], 1.0
	v_fma_f64 v[203:204], v[203:204], v[205:206], v[203:204]
	s_delay_alu instid0(VALU_DEP_1) | instskip(NEXT) | instid1(VALU_DEP_1)
	v_mul_f64 v[205:206], v[207:208], v[203:204]
	v_fma_f64 v[201:202], -v[201:202], v[205:206], v[207:208]
	s_delay_alu instid0(VALU_DEP_1) | instskip(NEXT) | instid1(VALU_DEP_1)
	v_div_fmas_f64 v[201:202], v[201:202], v[203:204], v[205:206]
	v_div_fixup_f64 v[201:202], v[201:202], v[186:187], v[184:185]
	s_delay_alu instid0(VALU_DEP_1) | instskip(NEXT) | instid1(VALU_DEP_1)
	v_fma_f64 v[184:185], v[184:185], v[201:202], v[186:187]
	v_div_scale_f64 v[186:187], null, v[184:185], v[184:185], 1.0
	s_delay_alu instid0(VALU_DEP_1) | instskip(SKIP_2) | instid1(VALU_DEP_1)
	v_rcp_f64_e32 v[203:204], v[186:187]
	s_waitcnt_depctr 0xfff
	v_fma_f64 v[205:206], -v[186:187], v[203:204], 1.0
	v_fma_f64 v[203:204], v[203:204], v[205:206], v[203:204]
	s_delay_alu instid0(VALU_DEP_1) | instskip(NEXT) | instid1(VALU_DEP_1)
	v_fma_f64 v[205:206], -v[186:187], v[203:204], 1.0
	v_fma_f64 v[203:204], v[203:204], v[205:206], v[203:204]
	v_div_scale_f64 v[205:206], vcc_lo, 1.0, v[184:185], 1.0
	s_delay_alu instid0(VALU_DEP_1) | instskip(NEXT) | instid1(VALU_DEP_1)
	v_mul_f64 v[207:208], v[205:206], v[203:204]
	v_fma_f64 v[186:187], -v[186:187], v[207:208], v[205:206]
	s_delay_alu instid0(VALU_DEP_1) | instskip(NEXT) | instid1(VALU_DEP_1)
	v_div_fmas_f64 v[186:187], v[186:187], v[203:204], v[207:208]
	v_div_fixup_f64 v[186:187], v[186:187], v[184:185], 1.0
	s_delay_alu instid0(VALU_DEP_1)
	v_mul_f64 v[184:185], v[201:202], v[186:187]
	v_xor_b32_e32 v187, 0x80000000, v187
.LBB90_154:
	s_and_not1_saveexec_b32 s2, s2
	s_cbranch_execz .LBB90_156
; %bb.155:
	s_delay_alu instid0(VALU_DEP_1) | instskip(SKIP_1) | instid1(VALU_DEP_2)
	v_div_scale_f64 v[201:202], null, v[184:185], v[184:185], v[186:187]
	v_div_scale_f64 v[207:208], vcc_lo, v[186:187], v[184:185], v[186:187]
	v_rcp_f64_e32 v[203:204], v[201:202]
	s_waitcnt_depctr 0xfff
	v_fma_f64 v[205:206], -v[201:202], v[203:204], 1.0
	s_delay_alu instid0(VALU_DEP_1) | instskip(NEXT) | instid1(VALU_DEP_1)
	v_fma_f64 v[203:204], v[203:204], v[205:206], v[203:204]
	v_fma_f64 v[205:206], -v[201:202], v[203:204], 1.0
	s_delay_alu instid0(VALU_DEP_1) | instskip(NEXT) | instid1(VALU_DEP_1)
	v_fma_f64 v[203:204], v[203:204], v[205:206], v[203:204]
	v_mul_f64 v[205:206], v[207:208], v[203:204]
	s_delay_alu instid0(VALU_DEP_1) | instskip(NEXT) | instid1(VALU_DEP_1)
	v_fma_f64 v[201:202], -v[201:202], v[205:206], v[207:208]
	v_div_fmas_f64 v[201:202], v[201:202], v[203:204], v[205:206]
	s_delay_alu instid0(VALU_DEP_1) | instskip(NEXT) | instid1(VALU_DEP_1)
	v_div_fixup_f64 v[201:202], v[201:202], v[184:185], v[186:187]
	v_fma_f64 v[184:185], v[186:187], v[201:202], v[184:185]
	s_delay_alu instid0(VALU_DEP_1) | instskip(NEXT) | instid1(VALU_DEP_1)
	v_div_scale_f64 v[186:187], null, v[184:185], v[184:185], 1.0
	v_rcp_f64_e32 v[203:204], v[186:187]
	s_waitcnt_depctr 0xfff
	v_fma_f64 v[205:206], -v[186:187], v[203:204], 1.0
	s_delay_alu instid0(VALU_DEP_1) | instskip(NEXT) | instid1(VALU_DEP_1)
	v_fma_f64 v[203:204], v[203:204], v[205:206], v[203:204]
	v_fma_f64 v[205:206], -v[186:187], v[203:204], 1.0
	s_delay_alu instid0(VALU_DEP_1) | instskip(SKIP_1) | instid1(VALU_DEP_1)
	v_fma_f64 v[203:204], v[203:204], v[205:206], v[203:204]
	v_div_scale_f64 v[205:206], vcc_lo, 1.0, v[184:185], 1.0
	v_mul_f64 v[207:208], v[205:206], v[203:204]
	s_delay_alu instid0(VALU_DEP_1) | instskip(NEXT) | instid1(VALU_DEP_1)
	v_fma_f64 v[186:187], -v[186:187], v[207:208], v[205:206]
	v_div_fmas_f64 v[186:187], v[186:187], v[203:204], v[207:208]
	s_delay_alu instid0(VALU_DEP_1) | instskip(NEXT) | instid1(VALU_DEP_1)
	v_div_fixup_f64 v[184:185], v[186:187], v[184:185], 1.0
	v_mul_f64 v[186:187], v[201:202], -v[184:185]
.LBB90_156:
	s_or_b32 exec_lo, exec_lo, s2
.LBB90_157:
	s_delay_alu instid0(SALU_CYCLE_1) | instskip(NEXT) | instid1(SALU_CYCLE_1)
	s_or_b32 exec_lo, exec_lo, s3
	s_mov_b32 s2, exec_lo
	v_cmpx_ne_u32_e64 v200, v192
	s_xor_b32 s2, exec_lo, s2
	s_cbranch_execz .LBB90_163
; %bb.158:
	s_mov_b32 s3, exec_lo
	v_cmpx_eq_u32_e32 7, v200
	s_cbranch_execz .LBB90_162
; %bb.159:
	v_cmp_ne_u32_e32 vcc_lo, 7, v192
	s_xor_b32 s6, s4, -1
	s_delay_alu instid0(SALU_CYCLE_1) | instskip(NEXT) | instid1(SALU_CYCLE_1)
	s_and_b32 s7, s6, vcc_lo
	s_and_saveexec_b32 s6, s7
	s_cbranch_execz .LBB90_161
; %bb.160:
	v_ashrrev_i32_e32 v193, 31, v192
	s_delay_alu instid0(VALU_DEP_1) | instskip(NEXT) | instid1(VALU_DEP_1)
	v_lshlrev_b64 v[200:201], 2, v[192:193]
	v_add_co_u32 v200, vcc_lo, v190, v200
	s_delay_alu instid0(VALU_DEP_2)
	v_add_co_ci_u32_e32 v201, vcc_lo, v191, v201, vcc_lo
	s_clause 0x1
	flat_load_b32 v193, v[200:201]
	flat_load_b32 v198, v[190:191] offset:28
	s_waitcnt vmcnt(1) lgkmcnt(1)
	flat_store_b32 v[190:191], v193 offset:28
	s_waitcnt vmcnt(0) lgkmcnt(1)
	flat_store_b32 v[200:201], v198
.LBB90_161:
	s_or_b32 exec_lo, exec_lo, s6
	v_mov_b32_e32 v200, v192
	v_mov_b32_e32 v198, v192
.LBB90_162:
	s_or_b32 exec_lo, exec_lo, s3
.LBB90_163:
	s_and_not1_saveexec_b32 s2, s2
	s_cbranch_execz .LBB90_165
; %bb.164:
	v_mov_b32_e32 v200, 7
	ds_store_2addr_b64 v194, v[148:149], v[150:151] offset0:16 offset1:17
	ds_store_2addr_b64 v194, v[144:145], v[146:147] offset0:18 offset1:19
	;; [unrolled: 1-line block ×38, first 2 shown]
.LBB90_165:
	s_or_b32 exec_lo, exec_lo, s2
	s_delay_alu instid0(SALU_CYCLE_1)
	s_mov_b32 s2, exec_lo
	s_waitcnt lgkmcnt(0)
	s_waitcnt_vscnt null, 0x0
	s_barrier
	buffer_gl0_inv
	v_cmpx_lt_i32_e32 7, v200
	s_cbranch_execz .LBB90_167
; %bb.166:
	v_mul_f64 v[192:193], v[186:187], v[154:155]
	v_mul_f64 v[154:155], v[184:185], v[154:155]
	s_delay_alu instid0(VALU_DEP_2) | instskip(NEXT) | instid1(VALU_DEP_2)
	v_fma_f64 v[192:193], v[184:185], v[152:153], -v[192:193]
	v_fma_f64 v[154:155], v[186:187], v[152:153], v[154:155]
	ds_load_2addr_b64 v[184:187], v194 offset0:16 offset1:17
	s_waitcnt lgkmcnt(0)
	v_mul_f64 v[152:153], v[186:187], v[154:155]
	s_delay_alu instid0(VALU_DEP_1) | instskip(SKIP_1) | instid1(VALU_DEP_2)
	v_fma_f64 v[152:153], v[184:185], v[192:193], -v[152:153]
	v_mul_f64 v[184:185], v[184:185], v[154:155]
	v_add_f64 v[148:149], v[148:149], -v[152:153]
	s_delay_alu instid0(VALU_DEP_2) | instskip(NEXT) | instid1(VALU_DEP_1)
	v_fma_f64 v[184:185], v[186:187], v[192:193], v[184:185]
	v_add_f64 v[150:151], v[150:151], -v[184:185]
	ds_load_2addr_b64 v[184:187], v194 offset0:18 offset1:19
	s_waitcnt lgkmcnt(0)
	v_mul_f64 v[152:153], v[186:187], v[154:155]
	s_delay_alu instid0(VALU_DEP_1) | instskip(SKIP_1) | instid1(VALU_DEP_2)
	v_fma_f64 v[152:153], v[184:185], v[192:193], -v[152:153]
	v_mul_f64 v[184:185], v[184:185], v[154:155]
	v_add_f64 v[144:145], v[144:145], -v[152:153]
	s_delay_alu instid0(VALU_DEP_2) | instskip(NEXT) | instid1(VALU_DEP_1)
	v_fma_f64 v[184:185], v[186:187], v[192:193], v[184:185]
	v_add_f64 v[146:147], v[146:147], -v[184:185]
	;; [unrolled: 10-line block ×37, first 2 shown]
	ds_load_2addr_b64 v[184:187], v194 offset0:90 offset1:91
	s_waitcnt lgkmcnt(0)
	v_mul_f64 v[152:153], v[186:187], v[154:155]
	s_delay_alu instid0(VALU_DEP_1) | instskip(SKIP_1) | instid1(VALU_DEP_2)
	v_fma_f64 v[152:153], v[184:185], v[192:193], -v[152:153]
	v_mul_f64 v[184:185], v[184:185], v[154:155]
	v_add_f64 v[0:1], v[0:1], -v[152:153]
	s_delay_alu instid0(VALU_DEP_2) | instskip(SKIP_1) | instid1(VALU_DEP_2)
	v_fma_f64 v[184:185], v[186:187], v[192:193], v[184:185]
	v_dual_mov_b32 v152, v192 :: v_dual_mov_b32 v153, v193
	v_add_f64 v[2:3], v[2:3], -v[184:185]
.LBB90_167:
	s_or_b32 exec_lo, exec_lo, s2
	v_lshl_add_u32 v184, v200, 4, v194
	s_barrier
	buffer_gl0_inv
	v_mov_b32_e32 v192, 8
	ds_store_2addr_b64 v184, v[148:149], v[150:151] offset1:1
	s_waitcnt lgkmcnt(0)
	s_barrier
	buffer_gl0_inv
	ds_load_2addr_b64 v[184:187], v194 offset0:16 offset1:17
	s_cmp_lt_i32 s5, 10
	s_cbranch_scc1 .LBB90_170
; %bb.168:
	v_add3_u32 v193, v199, 0, 0x90
	v_mov_b32_e32 v192, 8
	s_mov_b32 s6, 9
	s_set_inst_prefetch_distance 0x1
	.p2align	6
.LBB90_169:                             ; =>This Inner Loop Header: Depth=1
	ds_load_2addr_b64 v[201:204], v193 offset1:1
	s_waitcnt lgkmcnt(1)
	v_cmp_gt_f64_e32 vcc_lo, 0, v[184:185]
	v_xor_b32_e32 v205, 0x80000000, v185
	v_cmp_gt_f64_e64 s2, 0, v[186:187]
	v_xor_b32_e32 v207, 0x80000000, v187
	v_add_nc_u32_e32 v193, 16, v193
	s_waitcnt lgkmcnt(0)
	v_cmp_gt_f64_e64 s3, 0, v[201:202]
	v_mov_b32_e32 v209, v201
	v_dual_mov_b32 v211, v203 :: v_dual_cndmask_b32 v206, v185, v205
	v_xor_b32_e32 v205, 0x80000000, v202
	v_cndmask_b32_e64 v208, v187, v207, s2
	v_xor_b32_e32 v207, 0x80000000, v204
	s_delay_alu instid0(VALU_DEP_3) | instskip(SKIP_2) | instid1(VALU_DEP_2)
	v_cndmask_b32_e64 v210, v202, v205, s3
	v_cmp_gt_f64_e64 s3, 0, v[203:204]
	v_cndmask_b32_e32 v205, v184, v184, vcc_lo
	v_cndmask_b32_e64 v212, v204, v207, s3
	v_cndmask_b32_e64 v207, v186, v186, s2
	s_delay_alu instid0(VALU_DEP_2) | instskip(NEXT) | instid1(VALU_DEP_2)
	v_add_f64 v[209:210], v[209:210], v[211:212]
	v_add_f64 v[205:206], v[205:206], v[207:208]
	s_delay_alu instid0(VALU_DEP_1) | instskip(SKIP_4) | instid1(SALU_CYCLE_1)
	v_cmp_lt_f64_e32 vcc_lo, v[205:206], v[209:210]
	v_dual_cndmask_b32 v186, v186, v203 :: v_dual_cndmask_b32 v185, v185, v202
	v_dual_cndmask_b32 v184, v184, v201 :: v_dual_cndmask_b32 v187, v187, v204
	v_cndmask_b32_e64 v192, v192, s6, vcc_lo
	s_add_i32 s6, s6, 1
	s_cmp_lg_u32 s5, s6
	s_cbranch_scc1 .LBB90_169
.LBB90_170:
	s_set_inst_prefetch_distance 0x2
	s_waitcnt lgkmcnt(0)
	v_cmp_eq_f64_e32 vcc_lo, 0, v[184:185]
	v_cmp_eq_f64_e64 s2, 0, v[186:187]
	s_delay_alu instid0(VALU_DEP_1) | instskip(NEXT) | instid1(SALU_CYCLE_1)
	s_and_b32 s2, vcc_lo, s2
	s_and_saveexec_b32 s3, s2
	s_delay_alu instid0(SALU_CYCLE_1)
	s_xor_b32 s2, exec_lo, s3
; %bb.171:
	v_cmp_ne_u32_e32 vcc_lo, 0, v197
	v_cndmask_b32_e32 v197, 9, v197, vcc_lo
; %bb.172:
	s_and_not1_saveexec_b32 s3, s2
	s_cbranch_execz .LBB90_178
; %bb.173:
	v_cmp_gt_f64_e32 vcc_lo, 0, v[184:185]
	v_cmp_gt_f64_e64 s2, 0, v[186:187]
	v_xor_b32_e32 v193, 0x80000000, v185
	v_xor_b32_e32 v201, 0x80000000, v187
	s_delay_alu instid0(VALU_DEP_2) | instskip(NEXT) | instid1(VALU_DEP_2)
	v_cndmask_b32_e32 v202, v185, v193, vcc_lo
	v_cndmask_b32_e64 v204, v187, v201, s2
	v_cndmask_b32_e32 v201, v184, v184, vcc_lo
	v_cndmask_b32_e64 v203, v186, v186, s2
	s_mov_b32 s2, exec_lo
	s_delay_alu instid0(VALU_DEP_1)
	v_cmpx_ngt_f64_e32 v[201:202], v[203:204]
	s_xor_b32 s2, exec_lo, s2
	s_cbranch_execz .LBB90_175
; %bb.174:
	v_div_scale_f64 v[201:202], null, v[186:187], v[186:187], v[184:185]
	v_div_scale_f64 v[207:208], vcc_lo, v[184:185], v[186:187], v[184:185]
	s_delay_alu instid0(VALU_DEP_2) | instskip(SKIP_2) | instid1(VALU_DEP_1)
	v_rcp_f64_e32 v[203:204], v[201:202]
	s_waitcnt_depctr 0xfff
	v_fma_f64 v[205:206], -v[201:202], v[203:204], 1.0
	v_fma_f64 v[203:204], v[203:204], v[205:206], v[203:204]
	s_delay_alu instid0(VALU_DEP_1) | instskip(NEXT) | instid1(VALU_DEP_1)
	v_fma_f64 v[205:206], -v[201:202], v[203:204], 1.0
	v_fma_f64 v[203:204], v[203:204], v[205:206], v[203:204]
	s_delay_alu instid0(VALU_DEP_1) | instskip(NEXT) | instid1(VALU_DEP_1)
	v_mul_f64 v[205:206], v[207:208], v[203:204]
	v_fma_f64 v[201:202], -v[201:202], v[205:206], v[207:208]
	s_delay_alu instid0(VALU_DEP_1) | instskip(NEXT) | instid1(VALU_DEP_1)
	v_div_fmas_f64 v[201:202], v[201:202], v[203:204], v[205:206]
	v_div_fixup_f64 v[201:202], v[201:202], v[186:187], v[184:185]
	s_delay_alu instid0(VALU_DEP_1) | instskip(NEXT) | instid1(VALU_DEP_1)
	v_fma_f64 v[184:185], v[184:185], v[201:202], v[186:187]
	v_div_scale_f64 v[186:187], null, v[184:185], v[184:185], 1.0
	s_delay_alu instid0(VALU_DEP_1) | instskip(SKIP_2) | instid1(VALU_DEP_1)
	v_rcp_f64_e32 v[203:204], v[186:187]
	s_waitcnt_depctr 0xfff
	v_fma_f64 v[205:206], -v[186:187], v[203:204], 1.0
	v_fma_f64 v[203:204], v[203:204], v[205:206], v[203:204]
	s_delay_alu instid0(VALU_DEP_1) | instskip(NEXT) | instid1(VALU_DEP_1)
	v_fma_f64 v[205:206], -v[186:187], v[203:204], 1.0
	v_fma_f64 v[203:204], v[203:204], v[205:206], v[203:204]
	v_div_scale_f64 v[205:206], vcc_lo, 1.0, v[184:185], 1.0
	s_delay_alu instid0(VALU_DEP_1) | instskip(NEXT) | instid1(VALU_DEP_1)
	v_mul_f64 v[207:208], v[205:206], v[203:204]
	v_fma_f64 v[186:187], -v[186:187], v[207:208], v[205:206]
	s_delay_alu instid0(VALU_DEP_1) | instskip(NEXT) | instid1(VALU_DEP_1)
	v_div_fmas_f64 v[186:187], v[186:187], v[203:204], v[207:208]
	v_div_fixup_f64 v[186:187], v[186:187], v[184:185], 1.0
	s_delay_alu instid0(VALU_DEP_1)
	v_mul_f64 v[184:185], v[201:202], v[186:187]
	v_xor_b32_e32 v187, 0x80000000, v187
.LBB90_175:
	s_and_not1_saveexec_b32 s2, s2
	s_cbranch_execz .LBB90_177
; %bb.176:
	s_delay_alu instid0(VALU_DEP_1) | instskip(SKIP_1) | instid1(VALU_DEP_2)
	v_div_scale_f64 v[201:202], null, v[184:185], v[184:185], v[186:187]
	v_div_scale_f64 v[207:208], vcc_lo, v[186:187], v[184:185], v[186:187]
	v_rcp_f64_e32 v[203:204], v[201:202]
	s_waitcnt_depctr 0xfff
	v_fma_f64 v[205:206], -v[201:202], v[203:204], 1.0
	s_delay_alu instid0(VALU_DEP_1) | instskip(NEXT) | instid1(VALU_DEP_1)
	v_fma_f64 v[203:204], v[203:204], v[205:206], v[203:204]
	v_fma_f64 v[205:206], -v[201:202], v[203:204], 1.0
	s_delay_alu instid0(VALU_DEP_1) | instskip(NEXT) | instid1(VALU_DEP_1)
	v_fma_f64 v[203:204], v[203:204], v[205:206], v[203:204]
	v_mul_f64 v[205:206], v[207:208], v[203:204]
	s_delay_alu instid0(VALU_DEP_1) | instskip(NEXT) | instid1(VALU_DEP_1)
	v_fma_f64 v[201:202], -v[201:202], v[205:206], v[207:208]
	v_div_fmas_f64 v[201:202], v[201:202], v[203:204], v[205:206]
	s_delay_alu instid0(VALU_DEP_1) | instskip(NEXT) | instid1(VALU_DEP_1)
	v_div_fixup_f64 v[201:202], v[201:202], v[184:185], v[186:187]
	v_fma_f64 v[184:185], v[186:187], v[201:202], v[184:185]
	s_delay_alu instid0(VALU_DEP_1) | instskip(NEXT) | instid1(VALU_DEP_1)
	v_div_scale_f64 v[186:187], null, v[184:185], v[184:185], 1.0
	v_rcp_f64_e32 v[203:204], v[186:187]
	s_waitcnt_depctr 0xfff
	v_fma_f64 v[205:206], -v[186:187], v[203:204], 1.0
	s_delay_alu instid0(VALU_DEP_1) | instskip(NEXT) | instid1(VALU_DEP_1)
	v_fma_f64 v[203:204], v[203:204], v[205:206], v[203:204]
	v_fma_f64 v[205:206], -v[186:187], v[203:204], 1.0
	s_delay_alu instid0(VALU_DEP_1) | instskip(SKIP_1) | instid1(VALU_DEP_1)
	v_fma_f64 v[203:204], v[203:204], v[205:206], v[203:204]
	v_div_scale_f64 v[205:206], vcc_lo, 1.0, v[184:185], 1.0
	v_mul_f64 v[207:208], v[205:206], v[203:204]
	s_delay_alu instid0(VALU_DEP_1) | instskip(NEXT) | instid1(VALU_DEP_1)
	v_fma_f64 v[186:187], -v[186:187], v[207:208], v[205:206]
	v_div_fmas_f64 v[186:187], v[186:187], v[203:204], v[207:208]
	s_delay_alu instid0(VALU_DEP_1) | instskip(NEXT) | instid1(VALU_DEP_1)
	v_div_fixup_f64 v[184:185], v[186:187], v[184:185], 1.0
	v_mul_f64 v[186:187], v[201:202], -v[184:185]
.LBB90_177:
	s_or_b32 exec_lo, exec_lo, s2
.LBB90_178:
	s_delay_alu instid0(SALU_CYCLE_1) | instskip(NEXT) | instid1(SALU_CYCLE_1)
	s_or_b32 exec_lo, exec_lo, s3
	s_mov_b32 s2, exec_lo
	v_cmpx_ne_u32_e64 v200, v192
	s_xor_b32 s2, exec_lo, s2
	s_cbranch_execz .LBB90_184
; %bb.179:
	s_mov_b32 s3, exec_lo
	v_cmpx_eq_u32_e32 8, v200
	s_cbranch_execz .LBB90_183
; %bb.180:
	v_cmp_ne_u32_e32 vcc_lo, 8, v192
	s_xor_b32 s6, s4, -1
	s_delay_alu instid0(SALU_CYCLE_1) | instskip(NEXT) | instid1(SALU_CYCLE_1)
	s_and_b32 s7, s6, vcc_lo
	s_and_saveexec_b32 s6, s7
	s_cbranch_execz .LBB90_182
; %bb.181:
	v_ashrrev_i32_e32 v193, 31, v192
	s_delay_alu instid0(VALU_DEP_1) | instskip(NEXT) | instid1(VALU_DEP_1)
	v_lshlrev_b64 v[200:201], 2, v[192:193]
	v_add_co_u32 v200, vcc_lo, v190, v200
	s_delay_alu instid0(VALU_DEP_2)
	v_add_co_ci_u32_e32 v201, vcc_lo, v191, v201, vcc_lo
	s_clause 0x1
	flat_load_b32 v193, v[200:201]
	flat_load_b32 v198, v[190:191] offset:32
	s_waitcnt vmcnt(1) lgkmcnt(1)
	flat_store_b32 v[190:191], v193 offset:32
	s_waitcnt vmcnt(0) lgkmcnt(1)
	flat_store_b32 v[200:201], v198
.LBB90_182:
	s_or_b32 exec_lo, exec_lo, s6
	v_mov_b32_e32 v200, v192
	v_mov_b32_e32 v198, v192
.LBB90_183:
	s_or_b32 exec_lo, exec_lo, s3
.LBB90_184:
	s_and_not1_saveexec_b32 s2, s2
	s_cbranch_execz .LBB90_186
; %bb.185:
	v_mov_b32_e32 v200, 8
	ds_store_2addr_b64 v194, v[144:145], v[146:147] offset0:18 offset1:19
	ds_store_2addr_b64 v194, v[140:141], v[142:143] offset0:20 offset1:21
	;; [unrolled: 1-line block ×37, first 2 shown]
.LBB90_186:
	s_or_b32 exec_lo, exec_lo, s2
	s_delay_alu instid0(SALU_CYCLE_1)
	s_mov_b32 s2, exec_lo
	s_waitcnt lgkmcnt(0)
	s_waitcnt_vscnt null, 0x0
	s_barrier
	buffer_gl0_inv
	v_cmpx_lt_i32_e32 8, v200
	s_cbranch_execz .LBB90_188
; %bb.187:
	v_mul_f64 v[192:193], v[186:187], v[150:151]
	v_mul_f64 v[150:151], v[184:185], v[150:151]
	s_delay_alu instid0(VALU_DEP_2) | instskip(NEXT) | instid1(VALU_DEP_2)
	v_fma_f64 v[192:193], v[184:185], v[148:149], -v[192:193]
	v_fma_f64 v[150:151], v[186:187], v[148:149], v[150:151]
	ds_load_2addr_b64 v[184:187], v194 offset0:18 offset1:19
	s_waitcnt lgkmcnt(0)
	v_mul_f64 v[148:149], v[186:187], v[150:151]
	s_delay_alu instid0(VALU_DEP_1) | instskip(SKIP_1) | instid1(VALU_DEP_2)
	v_fma_f64 v[148:149], v[184:185], v[192:193], -v[148:149]
	v_mul_f64 v[184:185], v[184:185], v[150:151]
	v_add_f64 v[144:145], v[144:145], -v[148:149]
	s_delay_alu instid0(VALU_DEP_2) | instskip(NEXT) | instid1(VALU_DEP_1)
	v_fma_f64 v[184:185], v[186:187], v[192:193], v[184:185]
	v_add_f64 v[146:147], v[146:147], -v[184:185]
	ds_load_2addr_b64 v[184:187], v194 offset0:20 offset1:21
	s_waitcnt lgkmcnt(0)
	v_mul_f64 v[148:149], v[186:187], v[150:151]
	s_delay_alu instid0(VALU_DEP_1) | instskip(SKIP_1) | instid1(VALU_DEP_2)
	v_fma_f64 v[148:149], v[184:185], v[192:193], -v[148:149]
	v_mul_f64 v[184:185], v[184:185], v[150:151]
	v_add_f64 v[140:141], v[140:141], -v[148:149]
	s_delay_alu instid0(VALU_DEP_2) | instskip(NEXT) | instid1(VALU_DEP_1)
	v_fma_f64 v[184:185], v[186:187], v[192:193], v[184:185]
	v_add_f64 v[142:143], v[142:143], -v[184:185]
	ds_load_2addr_b64 v[184:187], v194 offset0:22 offset1:23
	s_waitcnt lgkmcnt(0)
	v_mul_f64 v[148:149], v[186:187], v[150:151]
	s_delay_alu instid0(VALU_DEP_1) | instskip(SKIP_1) | instid1(VALU_DEP_2)
	v_fma_f64 v[148:149], v[184:185], v[192:193], -v[148:149]
	v_mul_f64 v[184:185], v[184:185], v[150:151]
	v_add_f64 v[136:137], v[136:137], -v[148:149]
	s_delay_alu instid0(VALU_DEP_2) | instskip(NEXT) | instid1(VALU_DEP_1)
	v_fma_f64 v[184:185], v[186:187], v[192:193], v[184:185]
	v_add_f64 v[138:139], v[138:139], -v[184:185]
	ds_load_2addr_b64 v[184:187], v194 offset0:24 offset1:25
	s_waitcnt lgkmcnt(0)
	v_mul_f64 v[148:149], v[186:187], v[150:151]
	s_delay_alu instid0(VALU_DEP_1) | instskip(SKIP_1) | instid1(VALU_DEP_2)
	v_fma_f64 v[148:149], v[184:185], v[192:193], -v[148:149]
	v_mul_f64 v[184:185], v[184:185], v[150:151]
	v_add_f64 v[132:133], v[132:133], -v[148:149]
	s_delay_alu instid0(VALU_DEP_2) | instskip(NEXT) | instid1(VALU_DEP_1)
	v_fma_f64 v[184:185], v[186:187], v[192:193], v[184:185]
	v_add_f64 v[134:135], v[134:135], -v[184:185]
	ds_load_2addr_b64 v[184:187], v194 offset0:26 offset1:27
	s_waitcnt lgkmcnt(0)
	v_mul_f64 v[148:149], v[186:187], v[150:151]
	s_delay_alu instid0(VALU_DEP_1) | instskip(SKIP_1) | instid1(VALU_DEP_2)
	v_fma_f64 v[148:149], v[184:185], v[192:193], -v[148:149]
	v_mul_f64 v[184:185], v[184:185], v[150:151]
	v_add_f64 v[128:129], v[128:129], -v[148:149]
	s_delay_alu instid0(VALU_DEP_2) | instskip(NEXT) | instid1(VALU_DEP_1)
	v_fma_f64 v[184:185], v[186:187], v[192:193], v[184:185]
	v_add_f64 v[130:131], v[130:131], -v[184:185]
	ds_load_2addr_b64 v[184:187], v194 offset0:28 offset1:29
	s_waitcnt lgkmcnt(0)
	v_mul_f64 v[148:149], v[186:187], v[150:151]
	s_delay_alu instid0(VALU_DEP_1) | instskip(SKIP_1) | instid1(VALU_DEP_2)
	v_fma_f64 v[148:149], v[184:185], v[192:193], -v[148:149]
	v_mul_f64 v[184:185], v[184:185], v[150:151]
	v_add_f64 v[124:125], v[124:125], -v[148:149]
	s_delay_alu instid0(VALU_DEP_2) | instskip(NEXT) | instid1(VALU_DEP_1)
	v_fma_f64 v[184:185], v[186:187], v[192:193], v[184:185]
	v_add_f64 v[126:127], v[126:127], -v[184:185]
	ds_load_2addr_b64 v[184:187], v194 offset0:30 offset1:31
	s_waitcnt lgkmcnt(0)
	v_mul_f64 v[148:149], v[186:187], v[150:151]
	s_delay_alu instid0(VALU_DEP_1) | instskip(SKIP_1) | instid1(VALU_DEP_2)
	v_fma_f64 v[148:149], v[184:185], v[192:193], -v[148:149]
	v_mul_f64 v[184:185], v[184:185], v[150:151]
	v_add_f64 v[120:121], v[120:121], -v[148:149]
	s_delay_alu instid0(VALU_DEP_2) | instskip(NEXT) | instid1(VALU_DEP_1)
	v_fma_f64 v[184:185], v[186:187], v[192:193], v[184:185]
	v_add_f64 v[122:123], v[122:123], -v[184:185]
	ds_load_2addr_b64 v[184:187], v194 offset0:32 offset1:33
	s_waitcnt lgkmcnt(0)
	v_mul_f64 v[148:149], v[186:187], v[150:151]
	s_delay_alu instid0(VALU_DEP_1) | instskip(SKIP_1) | instid1(VALU_DEP_2)
	v_fma_f64 v[148:149], v[184:185], v[192:193], -v[148:149]
	v_mul_f64 v[184:185], v[184:185], v[150:151]
	v_add_f64 v[116:117], v[116:117], -v[148:149]
	s_delay_alu instid0(VALU_DEP_2) | instskip(NEXT) | instid1(VALU_DEP_1)
	v_fma_f64 v[184:185], v[186:187], v[192:193], v[184:185]
	v_add_f64 v[118:119], v[118:119], -v[184:185]
	ds_load_2addr_b64 v[184:187], v194 offset0:34 offset1:35
	s_waitcnt lgkmcnt(0)
	v_mul_f64 v[148:149], v[186:187], v[150:151]
	s_delay_alu instid0(VALU_DEP_1) | instskip(SKIP_1) | instid1(VALU_DEP_2)
	v_fma_f64 v[148:149], v[184:185], v[192:193], -v[148:149]
	v_mul_f64 v[184:185], v[184:185], v[150:151]
	v_add_f64 v[112:113], v[112:113], -v[148:149]
	s_delay_alu instid0(VALU_DEP_2) | instskip(NEXT) | instid1(VALU_DEP_1)
	v_fma_f64 v[184:185], v[186:187], v[192:193], v[184:185]
	v_add_f64 v[114:115], v[114:115], -v[184:185]
	ds_load_2addr_b64 v[184:187], v194 offset0:36 offset1:37
	s_waitcnt lgkmcnt(0)
	v_mul_f64 v[148:149], v[186:187], v[150:151]
	s_delay_alu instid0(VALU_DEP_1) | instskip(SKIP_1) | instid1(VALU_DEP_2)
	v_fma_f64 v[148:149], v[184:185], v[192:193], -v[148:149]
	v_mul_f64 v[184:185], v[184:185], v[150:151]
	v_add_f64 v[108:109], v[108:109], -v[148:149]
	s_delay_alu instid0(VALU_DEP_2) | instskip(NEXT) | instid1(VALU_DEP_1)
	v_fma_f64 v[184:185], v[186:187], v[192:193], v[184:185]
	v_add_f64 v[110:111], v[110:111], -v[184:185]
	ds_load_2addr_b64 v[184:187], v194 offset0:38 offset1:39
	s_waitcnt lgkmcnt(0)
	v_mul_f64 v[148:149], v[186:187], v[150:151]
	s_delay_alu instid0(VALU_DEP_1) | instskip(SKIP_1) | instid1(VALU_DEP_2)
	v_fma_f64 v[148:149], v[184:185], v[192:193], -v[148:149]
	v_mul_f64 v[184:185], v[184:185], v[150:151]
	v_add_f64 v[104:105], v[104:105], -v[148:149]
	s_delay_alu instid0(VALU_DEP_2) | instskip(NEXT) | instid1(VALU_DEP_1)
	v_fma_f64 v[184:185], v[186:187], v[192:193], v[184:185]
	v_add_f64 v[106:107], v[106:107], -v[184:185]
	ds_load_2addr_b64 v[184:187], v194 offset0:40 offset1:41
	s_waitcnt lgkmcnt(0)
	v_mul_f64 v[148:149], v[186:187], v[150:151]
	s_delay_alu instid0(VALU_DEP_1) | instskip(SKIP_1) | instid1(VALU_DEP_2)
	v_fma_f64 v[148:149], v[184:185], v[192:193], -v[148:149]
	v_mul_f64 v[184:185], v[184:185], v[150:151]
	v_add_f64 v[100:101], v[100:101], -v[148:149]
	s_delay_alu instid0(VALU_DEP_2) | instskip(NEXT) | instid1(VALU_DEP_1)
	v_fma_f64 v[184:185], v[186:187], v[192:193], v[184:185]
	v_add_f64 v[102:103], v[102:103], -v[184:185]
	ds_load_2addr_b64 v[184:187], v194 offset0:42 offset1:43
	s_waitcnt lgkmcnt(0)
	v_mul_f64 v[148:149], v[186:187], v[150:151]
	s_delay_alu instid0(VALU_DEP_1) | instskip(SKIP_1) | instid1(VALU_DEP_2)
	v_fma_f64 v[148:149], v[184:185], v[192:193], -v[148:149]
	v_mul_f64 v[184:185], v[184:185], v[150:151]
	v_add_f64 v[96:97], v[96:97], -v[148:149]
	s_delay_alu instid0(VALU_DEP_2) | instskip(NEXT) | instid1(VALU_DEP_1)
	v_fma_f64 v[184:185], v[186:187], v[192:193], v[184:185]
	v_add_f64 v[98:99], v[98:99], -v[184:185]
	ds_load_2addr_b64 v[184:187], v194 offset0:44 offset1:45
	s_waitcnt lgkmcnt(0)
	v_mul_f64 v[148:149], v[186:187], v[150:151]
	s_delay_alu instid0(VALU_DEP_1) | instskip(SKIP_1) | instid1(VALU_DEP_2)
	v_fma_f64 v[148:149], v[184:185], v[192:193], -v[148:149]
	v_mul_f64 v[184:185], v[184:185], v[150:151]
	v_add_f64 v[92:93], v[92:93], -v[148:149]
	s_delay_alu instid0(VALU_DEP_2) | instskip(NEXT) | instid1(VALU_DEP_1)
	v_fma_f64 v[184:185], v[186:187], v[192:193], v[184:185]
	v_add_f64 v[94:95], v[94:95], -v[184:185]
	ds_load_2addr_b64 v[184:187], v194 offset0:46 offset1:47
	s_waitcnt lgkmcnt(0)
	v_mul_f64 v[148:149], v[186:187], v[150:151]
	s_delay_alu instid0(VALU_DEP_1) | instskip(SKIP_1) | instid1(VALU_DEP_2)
	v_fma_f64 v[148:149], v[184:185], v[192:193], -v[148:149]
	v_mul_f64 v[184:185], v[184:185], v[150:151]
	v_add_f64 v[88:89], v[88:89], -v[148:149]
	s_delay_alu instid0(VALU_DEP_2) | instskip(NEXT) | instid1(VALU_DEP_1)
	v_fma_f64 v[184:185], v[186:187], v[192:193], v[184:185]
	v_add_f64 v[90:91], v[90:91], -v[184:185]
	ds_load_2addr_b64 v[184:187], v194 offset0:48 offset1:49
	s_waitcnt lgkmcnt(0)
	v_mul_f64 v[148:149], v[186:187], v[150:151]
	s_delay_alu instid0(VALU_DEP_1) | instskip(SKIP_1) | instid1(VALU_DEP_2)
	v_fma_f64 v[148:149], v[184:185], v[192:193], -v[148:149]
	v_mul_f64 v[184:185], v[184:185], v[150:151]
	v_add_f64 v[84:85], v[84:85], -v[148:149]
	s_delay_alu instid0(VALU_DEP_2) | instskip(NEXT) | instid1(VALU_DEP_1)
	v_fma_f64 v[184:185], v[186:187], v[192:193], v[184:185]
	v_add_f64 v[86:87], v[86:87], -v[184:185]
	ds_load_2addr_b64 v[184:187], v194 offset0:50 offset1:51
	s_waitcnt lgkmcnt(0)
	v_mul_f64 v[148:149], v[186:187], v[150:151]
	s_delay_alu instid0(VALU_DEP_1) | instskip(SKIP_1) | instid1(VALU_DEP_2)
	v_fma_f64 v[148:149], v[184:185], v[192:193], -v[148:149]
	v_mul_f64 v[184:185], v[184:185], v[150:151]
	v_add_f64 v[80:81], v[80:81], -v[148:149]
	s_delay_alu instid0(VALU_DEP_2) | instskip(NEXT) | instid1(VALU_DEP_1)
	v_fma_f64 v[184:185], v[186:187], v[192:193], v[184:185]
	v_add_f64 v[82:83], v[82:83], -v[184:185]
	ds_load_2addr_b64 v[184:187], v194 offset0:52 offset1:53
	s_waitcnt lgkmcnt(0)
	v_mul_f64 v[148:149], v[186:187], v[150:151]
	s_delay_alu instid0(VALU_DEP_1) | instskip(SKIP_1) | instid1(VALU_DEP_2)
	v_fma_f64 v[148:149], v[184:185], v[192:193], -v[148:149]
	v_mul_f64 v[184:185], v[184:185], v[150:151]
	v_add_f64 v[76:77], v[76:77], -v[148:149]
	s_delay_alu instid0(VALU_DEP_2) | instskip(NEXT) | instid1(VALU_DEP_1)
	v_fma_f64 v[184:185], v[186:187], v[192:193], v[184:185]
	v_add_f64 v[78:79], v[78:79], -v[184:185]
	ds_load_2addr_b64 v[184:187], v194 offset0:54 offset1:55
	s_waitcnt lgkmcnt(0)
	v_mul_f64 v[148:149], v[186:187], v[150:151]
	s_delay_alu instid0(VALU_DEP_1) | instskip(SKIP_1) | instid1(VALU_DEP_2)
	v_fma_f64 v[148:149], v[184:185], v[192:193], -v[148:149]
	v_mul_f64 v[184:185], v[184:185], v[150:151]
	v_add_f64 v[72:73], v[72:73], -v[148:149]
	s_delay_alu instid0(VALU_DEP_2) | instskip(NEXT) | instid1(VALU_DEP_1)
	v_fma_f64 v[184:185], v[186:187], v[192:193], v[184:185]
	v_add_f64 v[74:75], v[74:75], -v[184:185]
	ds_load_2addr_b64 v[184:187], v194 offset0:56 offset1:57
	s_waitcnt lgkmcnt(0)
	v_mul_f64 v[148:149], v[186:187], v[150:151]
	s_delay_alu instid0(VALU_DEP_1) | instskip(SKIP_1) | instid1(VALU_DEP_2)
	v_fma_f64 v[148:149], v[184:185], v[192:193], -v[148:149]
	v_mul_f64 v[184:185], v[184:185], v[150:151]
	v_add_f64 v[68:69], v[68:69], -v[148:149]
	s_delay_alu instid0(VALU_DEP_2) | instskip(NEXT) | instid1(VALU_DEP_1)
	v_fma_f64 v[184:185], v[186:187], v[192:193], v[184:185]
	v_add_f64 v[70:71], v[70:71], -v[184:185]
	ds_load_2addr_b64 v[184:187], v194 offset0:58 offset1:59
	s_waitcnt lgkmcnt(0)
	v_mul_f64 v[148:149], v[186:187], v[150:151]
	s_delay_alu instid0(VALU_DEP_1) | instskip(SKIP_1) | instid1(VALU_DEP_2)
	v_fma_f64 v[148:149], v[184:185], v[192:193], -v[148:149]
	v_mul_f64 v[184:185], v[184:185], v[150:151]
	v_add_f64 v[64:65], v[64:65], -v[148:149]
	s_delay_alu instid0(VALU_DEP_2) | instskip(NEXT) | instid1(VALU_DEP_1)
	v_fma_f64 v[184:185], v[186:187], v[192:193], v[184:185]
	v_add_f64 v[66:67], v[66:67], -v[184:185]
	ds_load_2addr_b64 v[184:187], v194 offset0:60 offset1:61
	s_waitcnt lgkmcnt(0)
	v_mul_f64 v[148:149], v[186:187], v[150:151]
	s_delay_alu instid0(VALU_DEP_1) | instskip(SKIP_1) | instid1(VALU_DEP_2)
	v_fma_f64 v[148:149], v[184:185], v[192:193], -v[148:149]
	v_mul_f64 v[184:185], v[184:185], v[150:151]
	v_add_f64 v[60:61], v[60:61], -v[148:149]
	s_delay_alu instid0(VALU_DEP_2) | instskip(NEXT) | instid1(VALU_DEP_1)
	v_fma_f64 v[184:185], v[186:187], v[192:193], v[184:185]
	v_add_f64 v[62:63], v[62:63], -v[184:185]
	ds_load_2addr_b64 v[184:187], v194 offset0:62 offset1:63
	s_waitcnt lgkmcnt(0)
	v_mul_f64 v[148:149], v[186:187], v[150:151]
	s_delay_alu instid0(VALU_DEP_1) | instskip(SKIP_1) | instid1(VALU_DEP_2)
	v_fma_f64 v[148:149], v[184:185], v[192:193], -v[148:149]
	v_mul_f64 v[184:185], v[184:185], v[150:151]
	v_add_f64 v[56:57], v[56:57], -v[148:149]
	s_delay_alu instid0(VALU_DEP_2) | instskip(NEXT) | instid1(VALU_DEP_1)
	v_fma_f64 v[184:185], v[186:187], v[192:193], v[184:185]
	v_add_f64 v[58:59], v[58:59], -v[184:185]
	ds_load_2addr_b64 v[184:187], v194 offset0:64 offset1:65
	s_waitcnt lgkmcnt(0)
	v_mul_f64 v[148:149], v[186:187], v[150:151]
	s_delay_alu instid0(VALU_DEP_1) | instskip(SKIP_1) | instid1(VALU_DEP_2)
	v_fma_f64 v[148:149], v[184:185], v[192:193], -v[148:149]
	v_mul_f64 v[184:185], v[184:185], v[150:151]
	v_add_f64 v[52:53], v[52:53], -v[148:149]
	s_delay_alu instid0(VALU_DEP_2) | instskip(NEXT) | instid1(VALU_DEP_1)
	v_fma_f64 v[184:185], v[186:187], v[192:193], v[184:185]
	v_add_f64 v[54:55], v[54:55], -v[184:185]
	ds_load_2addr_b64 v[184:187], v194 offset0:66 offset1:67
	s_waitcnt lgkmcnt(0)
	v_mul_f64 v[148:149], v[186:187], v[150:151]
	s_delay_alu instid0(VALU_DEP_1) | instskip(SKIP_1) | instid1(VALU_DEP_2)
	v_fma_f64 v[148:149], v[184:185], v[192:193], -v[148:149]
	v_mul_f64 v[184:185], v[184:185], v[150:151]
	v_add_f64 v[48:49], v[48:49], -v[148:149]
	s_delay_alu instid0(VALU_DEP_2) | instskip(NEXT) | instid1(VALU_DEP_1)
	v_fma_f64 v[184:185], v[186:187], v[192:193], v[184:185]
	v_add_f64 v[50:51], v[50:51], -v[184:185]
	ds_load_2addr_b64 v[184:187], v194 offset0:68 offset1:69
	s_waitcnt lgkmcnt(0)
	v_mul_f64 v[148:149], v[186:187], v[150:151]
	s_delay_alu instid0(VALU_DEP_1) | instskip(SKIP_1) | instid1(VALU_DEP_2)
	v_fma_f64 v[148:149], v[184:185], v[192:193], -v[148:149]
	v_mul_f64 v[184:185], v[184:185], v[150:151]
	v_add_f64 v[44:45], v[44:45], -v[148:149]
	s_delay_alu instid0(VALU_DEP_2) | instskip(NEXT) | instid1(VALU_DEP_1)
	v_fma_f64 v[184:185], v[186:187], v[192:193], v[184:185]
	v_add_f64 v[46:47], v[46:47], -v[184:185]
	ds_load_2addr_b64 v[184:187], v194 offset0:70 offset1:71
	s_waitcnt lgkmcnt(0)
	v_mul_f64 v[148:149], v[186:187], v[150:151]
	s_delay_alu instid0(VALU_DEP_1) | instskip(SKIP_1) | instid1(VALU_DEP_2)
	v_fma_f64 v[148:149], v[184:185], v[192:193], -v[148:149]
	v_mul_f64 v[184:185], v[184:185], v[150:151]
	v_add_f64 v[40:41], v[40:41], -v[148:149]
	s_delay_alu instid0(VALU_DEP_2) | instskip(NEXT) | instid1(VALU_DEP_1)
	v_fma_f64 v[184:185], v[186:187], v[192:193], v[184:185]
	v_add_f64 v[42:43], v[42:43], -v[184:185]
	ds_load_2addr_b64 v[184:187], v194 offset0:72 offset1:73
	s_waitcnt lgkmcnt(0)
	v_mul_f64 v[148:149], v[186:187], v[150:151]
	s_delay_alu instid0(VALU_DEP_1) | instskip(SKIP_1) | instid1(VALU_DEP_2)
	v_fma_f64 v[148:149], v[184:185], v[192:193], -v[148:149]
	v_mul_f64 v[184:185], v[184:185], v[150:151]
	v_add_f64 v[36:37], v[36:37], -v[148:149]
	s_delay_alu instid0(VALU_DEP_2) | instskip(NEXT) | instid1(VALU_DEP_1)
	v_fma_f64 v[184:185], v[186:187], v[192:193], v[184:185]
	v_add_f64 v[38:39], v[38:39], -v[184:185]
	ds_load_2addr_b64 v[184:187], v194 offset0:74 offset1:75
	s_waitcnt lgkmcnt(0)
	v_mul_f64 v[148:149], v[186:187], v[150:151]
	s_delay_alu instid0(VALU_DEP_1) | instskip(SKIP_1) | instid1(VALU_DEP_2)
	v_fma_f64 v[148:149], v[184:185], v[192:193], -v[148:149]
	v_mul_f64 v[184:185], v[184:185], v[150:151]
	v_add_f64 v[32:33], v[32:33], -v[148:149]
	s_delay_alu instid0(VALU_DEP_2) | instskip(NEXT) | instid1(VALU_DEP_1)
	v_fma_f64 v[184:185], v[186:187], v[192:193], v[184:185]
	v_add_f64 v[34:35], v[34:35], -v[184:185]
	ds_load_2addr_b64 v[184:187], v194 offset0:76 offset1:77
	s_waitcnt lgkmcnt(0)
	v_mul_f64 v[148:149], v[186:187], v[150:151]
	s_delay_alu instid0(VALU_DEP_1) | instskip(SKIP_1) | instid1(VALU_DEP_2)
	v_fma_f64 v[148:149], v[184:185], v[192:193], -v[148:149]
	v_mul_f64 v[184:185], v[184:185], v[150:151]
	v_add_f64 v[28:29], v[28:29], -v[148:149]
	s_delay_alu instid0(VALU_DEP_2) | instskip(NEXT) | instid1(VALU_DEP_1)
	v_fma_f64 v[184:185], v[186:187], v[192:193], v[184:185]
	v_add_f64 v[30:31], v[30:31], -v[184:185]
	ds_load_2addr_b64 v[184:187], v194 offset0:78 offset1:79
	s_waitcnt lgkmcnt(0)
	v_mul_f64 v[148:149], v[186:187], v[150:151]
	s_delay_alu instid0(VALU_DEP_1) | instskip(SKIP_1) | instid1(VALU_DEP_2)
	v_fma_f64 v[148:149], v[184:185], v[192:193], -v[148:149]
	v_mul_f64 v[184:185], v[184:185], v[150:151]
	v_add_f64 v[24:25], v[24:25], -v[148:149]
	s_delay_alu instid0(VALU_DEP_2) | instskip(NEXT) | instid1(VALU_DEP_1)
	v_fma_f64 v[184:185], v[186:187], v[192:193], v[184:185]
	v_add_f64 v[26:27], v[26:27], -v[184:185]
	ds_load_2addr_b64 v[184:187], v194 offset0:80 offset1:81
	s_waitcnt lgkmcnt(0)
	v_mul_f64 v[148:149], v[186:187], v[150:151]
	s_delay_alu instid0(VALU_DEP_1) | instskip(SKIP_1) | instid1(VALU_DEP_2)
	v_fma_f64 v[148:149], v[184:185], v[192:193], -v[148:149]
	v_mul_f64 v[184:185], v[184:185], v[150:151]
	v_add_f64 v[20:21], v[20:21], -v[148:149]
	s_delay_alu instid0(VALU_DEP_2) | instskip(NEXT) | instid1(VALU_DEP_1)
	v_fma_f64 v[184:185], v[186:187], v[192:193], v[184:185]
	v_add_f64 v[22:23], v[22:23], -v[184:185]
	ds_load_2addr_b64 v[184:187], v194 offset0:82 offset1:83
	s_waitcnt lgkmcnt(0)
	v_mul_f64 v[148:149], v[186:187], v[150:151]
	s_delay_alu instid0(VALU_DEP_1) | instskip(SKIP_1) | instid1(VALU_DEP_2)
	v_fma_f64 v[148:149], v[184:185], v[192:193], -v[148:149]
	v_mul_f64 v[184:185], v[184:185], v[150:151]
	v_add_f64 v[16:17], v[16:17], -v[148:149]
	s_delay_alu instid0(VALU_DEP_2) | instskip(NEXT) | instid1(VALU_DEP_1)
	v_fma_f64 v[184:185], v[186:187], v[192:193], v[184:185]
	v_add_f64 v[18:19], v[18:19], -v[184:185]
	ds_load_2addr_b64 v[184:187], v194 offset0:84 offset1:85
	s_waitcnt lgkmcnt(0)
	v_mul_f64 v[148:149], v[186:187], v[150:151]
	s_delay_alu instid0(VALU_DEP_1) | instskip(SKIP_1) | instid1(VALU_DEP_2)
	v_fma_f64 v[148:149], v[184:185], v[192:193], -v[148:149]
	v_mul_f64 v[184:185], v[184:185], v[150:151]
	v_add_f64 v[12:13], v[12:13], -v[148:149]
	s_delay_alu instid0(VALU_DEP_2) | instskip(NEXT) | instid1(VALU_DEP_1)
	v_fma_f64 v[184:185], v[186:187], v[192:193], v[184:185]
	v_add_f64 v[14:15], v[14:15], -v[184:185]
	ds_load_2addr_b64 v[184:187], v194 offset0:86 offset1:87
	s_waitcnt lgkmcnt(0)
	v_mul_f64 v[148:149], v[186:187], v[150:151]
	s_delay_alu instid0(VALU_DEP_1) | instskip(SKIP_1) | instid1(VALU_DEP_2)
	v_fma_f64 v[148:149], v[184:185], v[192:193], -v[148:149]
	v_mul_f64 v[184:185], v[184:185], v[150:151]
	v_add_f64 v[8:9], v[8:9], -v[148:149]
	s_delay_alu instid0(VALU_DEP_2) | instskip(NEXT) | instid1(VALU_DEP_1)
	v_fma_f64 v[184:185], v[186:187], v[192:193], v[184:185]
	v_add_f64 v[10:11], v[10:11], -v[184:185]
	ds_load_2addr_b64 v[184:187], v194 offset0:88 offset1:89
	s_waitcnt lgkmcnt(0)
	v_mul_f64 v[148:149], v[186:187], v[150:151]
	s_delay_alu instid0(VALU_DEP_1) | instskip(SKIP_1) | instid1(VALU_DEP_2)
	v_fma_f64 v[148:149], v[184:185], v[192:193], -v[148:149]
	v_mul_f64 v[184:185], v[184:185], v[150:151]
	v_add_f64 v[4:5], v[4:5], -v[148:149]
	s_delay_alu instid0(VALU_DEP_2) | instskip(NEXT) | instid1(VALU_DEP_1)
	v_fma_f64 v[184:185], v[186:187], v[192:193], v[184:185]
	v_add_f64 v[6:7], v[6:7], -v[184:185]
	ds_load_2addr_b64 v[184:187], v194 offset0:90 offset1:91
	s_waitcnt lgkmcnt(0)
	v_mul_f64 v[148:149], v[186:187], v[150:151]
	s_delay_alu instid0(VALU_DEP_1) | instskip(SKIP_1) | instid1(VALU_DEP_2)
	v_fma_f64 v[148:149], v[184:185], v[192:193], -v[148:149]
	v_mul_f64 v[184:185], v[184:185], v[150:151]
	v_add_f64 v[0:1], v[0:1], -v[148:149]
	s_delay_alu instid0(VALU_DEP_2) | instskip(SKIP_1) | instid1(VALU_DEP_2)
	v_fma_f64 v[184:185], v[186:187], v[192:193], v[184:185]
	v_dual_mov_b32 v148, v192 :: v_dual_mov_b32 v149, v193
	v_add_f64 v[2:3], v[2:3], -v[184:185]
.LBB90_188:
	s_or_b32 exec_lo, exec_lo, s2
	v_lshl_add_u32 v184, v200, 4, v194
	s_barrier
	buffer_gl0_inv
	v_mov_b32_e32 v192, 9
	ds_store_2addr_b64 v184, v[144:145], v[146:147] offset1:1
	s_waitcnt lgkmcnt(0)
	s_barrier
	buffer_gl0_inv
	ds_load_2addr_b64 v[184:187], v194 offset0:18 offset1:19
	s_cmp_lt_i32 s5, 11
	s_cbranch_scc1 .LBB90_191
; %bb.189:
	v_add3_u32 v193, v199, 0, 0xa0
	v_mov_b32_e32 v192, 9
	s_mov_b32 s6, 10
	s_set_inst_prefetch_distance 0x1
	.p2align	6
.LBB90_190:                             ; =>This Inner Loop Header: Depth=1
	ds_load_2addr_b64 v[201:204], v193 offset1:1
	s_waitcnt lgkmcnt(1)
	v_cmp_gt_f64_e32 vcc_lo, 0, v[184:185]
	v_xor_b32_e32 v205, 0x80000000, v185
	v_cmp_gt_f64_e64 s2, 0, v[186:187]
	v_xor_b32_e32 v207, 0x80000000, v187
	v_add_nc_u32_e32 v193, 16, v193
	s_waitcnt lgkmcnt(0)
	v_cmp_gt_f64_e64 s3, 0, v[201:202]
	v_mov_b32_e32 v209, v201
	v_dual_mov_b32 v211, v203 :: v_dual_cndmask_b32 v206, v185, v205
	v_xor_b32_e32 v205, 0x80000000, v202
	v_cndmask_b32_e64 v208, v187, v207, s2
	v_xor_b32_e32 v207, 0x80000000, v204
	s_delay_alu instid0(VALU_DEP_3) | instskip(SKIP_2) | instid1(VALU_DEP_2)
	v_cndmask_b32_e64 v210, v202, v205, s3
	v_cmp_gt_f64_e64 s3, 0, v[203:204]
	v_cndmask_b32_e32 v205, v184, v184, vcc_lo
	v_cndmask_b32_e64 v212, v204, v207, s3
	v_cndmask_b32_e64 v207, v186, v186, s2
	s_delay_alu instid0(VALU_DEP_2) | instskip(NEXT) | instid1(VALU_DEP_2)
	v_add_f64 v[209:210], v[209:210], v[211:212]
	v_add_f64 v[205:206], v[205:206], v[207:208]
	s_delay_alu instid0(VALU_DEP_1) | instskip(SKIP_4) | instid1(SALU_CYCLE_1)
	v_cmp_lt_f64_e32 vcc_lo, v[205:206], v[209:210]
	v_dual_cndmask_b32 v186, v186, v203 :: v_dual_cndmask_b32 v185, v185, v202
	v_dual_cndmask_b32 v184, v184, v201 :: v_dual_cndmask_b32 v187, v187, v204
	v_cndmask_b32_e64 v192, v192, s6, vcc_lo
	s_add_i32 s6, s6, 1
	s_cmp_lg_u32 s5, s6
	s_cbranch_scc1 .LBB90_190
.LBB90_191:
	s_set_inst_prefetch_distance 0x2
	s_waitcnt lgkmcnt(0)
	v_cmp_eq_f64_e32 vcc_lo, 0, v[184:185]
	v_cmp_eq_f64_e64 s2, 0, v[186:187]
	s_delay_alu instid0(VALU_DEP_1) | instskip(NEXT) | instid1(SALU_CYCLE_1)
	s_and_b32 s2, vcc_lo, s2
	s_and_saveexec_b32 s3, s2
	s_delay_alu instid0(SALU_CYCLE_1)
	s_xor_b32 s2, exec_lo, s3
; %bb.192:
	v_cmp_ne_u32_e32 vcc_lo, 0, v197
	v_cndmask_b32_e32 v197, 10, v197, vcc_lo
; %bb.193:
	s_and_not1_saveexec_b32 s3, s2
	s_cbranch_execz .LBB90_199
; %bb.194:
	v_cmp_gt_f64_e32 vcc_lo, 0, v[184:185]
	v_cmp_gt_f64_e64 s2, 0, v[186:187]
	v_xor_b32_e32 v193, 0x80000000, v185
	v_xor_b32_e32 v201, 0x80000000, v187
	s_delay_alu instid0(VALU_DEP_2) | instskip(NEXT) | instid1(VALU_DEP_2)
	v_cndmask_b32_e32 v202, v185, v193, vcc_lo
	v_cndmask_b32_e64 v204, v187, v201, s2
	v_cndmask_b32_e32 v201, v184, v184, vcc_lo
	v_cndmask_b32_e64 v203, v186, v186, s2
	s_mov_b32 s2, exec_lo
	s_delay_alu instid0(VALU_DEP_1)
	v_cmpx_ngt_f64_e32 v[201:202], v[203:204]
	s_xor_b32 s2, exec_lo, s2
	s_cbranch_execz .LBB90_196
; %bb.195:
	v_div_scale_f64 v[201:202], null, v[186:187], v[186:187], v[184:185]
	v_div_scale_f64 v[207:208], vcc_lo, v[184:185], v[186:187], v[184:185]
	s_delay_alu instid0(VALU_DEP_2) | instskip(SKIP_2) | instid1(VALU_DEP_1)
	v_rcp_f64_e32 v[203:204], v[201:202]
	s_waitcnt_depctr 0xfff
	v_fma_f64 v[205:206], -v[201:202], v[203:204], 1.0
	v_fma_f64 v[203:204], v[203:204], v[205:206], v[203:204]
	s_delay_alu instid0(VALU_DEP_1) | instskip(NEXT) | instid1(VALU_DEP_1)
	v_fma_f64 v[205:206], -v[201:202], v[203:204], 1.0
	v_fma_f64 v[203:204], v[203:204], v[205:206], v[203:204]
	s_delay_alu instid0(VALU_DEP_1) | instskip(NEXT) | instid1(VALU_DEP_1)
	v_mul_f64 v[205:206], v[207:208], v[203:204]
	v_fma_f64 v[201:202], -v[201:202], v[205:206], v[207:208]
	s_delay_alu instid0(VALU_DEP_1) | instskip(NEXT) | instid1(VALU_DEP_1)
	v_div_fmas_f64 v[201:202], v[201:202], v[203:204], v[205:206]
	v_div_fixup_f64 v[201:202], v[201:202], v[186:187], v[184:185]
	s_delay_alu instid0(VALU_DEP_1) | instskip(NEXT) | instid1(VALU_DEP_1)
	v_fma_f64 v[184:185], v[184:185], v[201:202], v[186:187]
	v_div_scale_f64 v[186:187], null, v[184:185], v[184:185], 1.0
	s_delay_alu instid0(VALU_DEP_1) | instskip(SKIP_2) | instid1(VALU_DEP_1)
	v_rcp_f64_e32 v[203:204], v[186:187]
	s_waitcnt_depctr 0xfff
	v_fma_f64 v[205:206], -v[186:187], v[203:204], 1.0
	v_fma_f64 v[203:204], v[203:204], v[205:206], v[203:204]
	s_delay_alu instid0(VALU_DEP_1) | instskip(NEXT) | instid1(VALU_DEP_1)
	v_fma_f64 v[205:206], -v[186:187], v[203:204], 1.0
	v_fma_f64 v[203:204], v[203:204], v[205:206], v[203:204]
	v_div_scale_f64 v[205:206], vcc_lo, 1.0, v[184:185], 1.0
	s_delay_alu instid0(VALU_DEP_1) | instskip(NEXT) | instid1(VALU_DEP_1)
	v_mul_f64 v[207:208], v[205:206], v[203:204]
	v_fma_f64 v[186:187], -v[186:187], v[207:208], v[205:206]
	s_delay_alu instid0(VALU_DEP_1) | instskip(NEXT) | instid1(VALU_DEP_1)
	v_div_fmas_f64 v[186:187], v[186:187], v[203:204], v[207:208]
	v_div_fixup_f64 v[186:187], v[186:187], v[184:185], 1.0
	s_delay_alu instid0(VALU_DEP_1)
	v_mul_f64 v[184:185], v[201:202], v[186:187]
	v_xor_b32_e32 v187, 0x80000000, v187
.LBB90_196:
	s_and_not1_saveexec_b32 s2, s2
	s_cbranch_execz .LBB90_198
; %bb.197:
	s_delay_alu instid0(VALU_DEP_1) | instskip(SKIP_1) | instid1(VALU_DEP_2)
	v_div_scale_f64 v[201:202], null, v[184:185], v[184:185], v[186:187]
	v_div_scale_f64 v[207:208], vcc_lo, v[186:187], v[184:185], v[186:187]
	v_rcp_f64_e32 v[203:204], v[201:202]
	s_waitcnt_depctr 0xfff
	v_fma_f64 v[205:206], -v[201:202], v[203:204], 1.0
	s_delay_alu instid0(VALU_DEP_1) | instskip(NEXT) | instid1(VALU_DEP_1)
	v_fma_f64 v[203:204], v[203:204], v[205:206], v[203:204]
	v_fma_f64 v[205:206], -v[201:202], v[203:204], 1.0
	s_delay_alu instid0(VALU_DEP_1) | instskip(NEXT) | instid1(VALU_DEP_1)
	v_fma_f64 v[203:204], v[203:204], v[205:206], v[203:204]
	v_mul_f64 v[205:206], v[207:208], v[203:204]
	s_delay_alu instid0(VALU_DEP_1) | instskip(NEXT) | instid1(VALU_DEP_1)
	v_fma_f64 v[201:202], -v[201:202], v[205:206], v[207:208]
	v_div_fmas_f64 v[201:202], v[201:202], v[203:204], v[205:206]
	s_delay_alu instid0(VALU_DEP_1) | instskip(NEXT) | instid1(VALU_DEP_1)
	v_div_fixup_f64 v[201:202], v[201:202], v[184:185], v[186:187]
	v_fma_f64 v[184:185], v[186:187], v[201:202], v[184:185]
	s_delay_alu instid0(VALU_DEP_1) | instskip(NEXT) | instid1(VALU_DEP_1)
	v_div_scale_f64 v[186:187], null, v[184:185], v[184:185], 1.0
	v_rcp_f64_e32 v[203:204], v[186:187]
	s_waitcnt_depctr 0xfff
	v_fma_f64 v[205:206], -v[186:187], v[203:204], 1.0
	s_delay_alu instid0(VALU_DEP_1) | instskip(NEXT) | instid1(VALU_DEP_1)
	v_fma_f64 v[203:204], v[203:204], v[205:206], v[203:204]
	v_fma_f64 v[205:206], -v[186:187], v[203:204], 1.0
	s_delay_alu instid0(VALU_DEP_1) | instskip(SKIP_1) | instid1(VALU_DEP_1)
	v_fma_f64 v[203:204], v[203:204], v[205:206], v[203:204]
	v_div_scale_f64 v[205:206], vcc_lo, 1.0, v[184:185], 1.0
	v_mul_f64 v[207:208], v[205:206], v[203:204]
	s_delay_alu instid0(VALU_DEP_1) | instskip(NEXT) | instid1(VALU_DEP_1)
	v_fma_f64 v[186:187], -v[186:187], v[207:208], v[205:206]
	v_div_fmas_f64 v[186:187], v[186:187], v[203:204], v[207:208]
	s_delay_alu instid0(VALU_DEP_1) | instskip(NEXT) | instid1(VALU_DEP_1)
	v_div_fixup_f64 v[184:185], v[186:187], v[184:185], 1.0
	v_mul_f64 v[186:187], v[201:202], -v[184:185]
.LBB90_198:
	s_or_b32 exec_lo, exec_lo, s2
.LBB90_199:
	s_delay_alu instid0(SALU_CYCLE_1) | instskip(NEXT) | instid1(SALU_CYCLE_1)
	s_or_b32 exec_lo, exec_lo, s3
	s_mov_b32 s2, exec_lo
	v_cmpx_ne_u32_e64 v200, v192
	s_xor_b32 s2, exec_lo, s2
	s_cbranch_execz .LBB90_205
; %bb.200:
	s_mov_b32 s3, exec_lo
	v_cmpx_eq_u32_e32 9, v200
	s_cbranch_execz .LBB90_204
; %bb.201:
	v_cmp_ne_u32_e32 vcc_lo, 9, v192
	s_xor_b32 s6, s4, -1
	s_delay_alu instid0(SALU_CYCLE_1) | instskip(NEXT) | instid1(SALU_CYCLE_1)
	s_and_b32 s7, s6, vcc_lo
	s_and_saveexec_b32 s6, s7
	s_cbranch_execz .LBB90_203
; %bb.202:
	v_ashrrev_i32_e32 v193, 31, v192
	s_delay_alu instid0(VALU_DEP_1) | instskip(NEXT) | instid1(VALU_DEP_1)
	v_lshlrev_b64 v[200:201], 2, v[192:193]
	v_add_co_u32 v200, vcc_lo, v190, v200
	s_delay_alu instid0(VALU_DEP_2)
	v_add_co_ci_u32_e32 v201, vcc_lo, v191, v201, vcc_lo
	s_clause 0x1
	flat_load_b32 v193, v[200:201]
	flat_load_b32 v198, v[190:191] offset:36
	s_waitcnt vmcnt(1) lgkmcnt(1)
	flat_store_b32 v[190:191], v193 offset:36
	s_waitcnt vmcnt(0) lgkmcnt(1)
	flat_store_b32 v[200:201], v198
.LBB90_203:
	s_or_b32 exec_lo, exec_lo, s6
	v_mov_b32_e32 v200, v192
	v_mov_b32_e32 v198, v192
.LBB90_204:
	s_or_b32 exec_lo, exec_lo, s3
.LBB90_205:
	s_and_not1_saveexec_b32 s2, s2
	s_cbranch_execz .LBB90_207
; %bb.206:
	v_mov_b32_e32 v200, 9
	ds_store_2addr_b64 v194, v[140:141], v[142:143] offset0:20 offset1:21
	ds_store_2addr_b64 v194, v[136:137], v[138:139] offset0:22 offset1:23
	;; [unrolled: 1-line block ×36, first 2 shown]
.LBB90_207:
	s_or_b32 exec_lo, exec_lo, s2
	s_delay_alu instid0(SALU_CYCLE_1)
	s_mov_b32 s2, exec_lo
	s_waitcnt lgkmcnt(0)
	s_waitcnt_vscnt null, 0x0
	s_barrier
	buffer_gl0_inv
	v_cmpx_lt_i32_e32 9, v200
	s_cbranch_execz .LBB90_209
; %bb.208:
	v_mul_f64 v[192:193], v[186:187], v[146:147]
	v_mul_f64 v[146:147], v[184:185], v[146:147]
	s_delay_alu instid0(VALU_DEP_2) | instskip(NEXT) | instid1(VALU_DEP_2)
	v_fma_f64 v[192:193], v[184:185], v[144:145], -v[192:193]
	v_fma_f64 v[146:147], v[186:187], v[144:145], v[146:147]
	ds_load_2addr_b64 v[184:187], v194 offset0:20 offset1:21
	s_waitcnt lgkmcnt(0)
	v_mul_f64 v[144:145], v[186:187], v[146:147]
	s_delay_alu instid0(VALU_DEP_1) | instskip(SKIP_1) | instid1(VALU_DEP_2)
	v_fma_f64 v[144:145], v[184:185], v[192:193], -v[144:145]
	v_mul_f64 v[184:185], v[184:185], v[146:147]
	v_add_f64 v[140:141], v[140:141], -v[144:145]
	s_delay_alu instid0(VALU_DEP_2) | instskip(NEXT) | instid1(VALU_DEP_1)
	v_fma_f64 v[184:185], v[186:187], v[192:193], v[184:185]
	v_add_f64 v[142:143], v[142:143], -v[184:185]
	ds_load_2addr_b64 v[184:187], v194 offset0:22 offset1:23
	s_waitcnt lgkmcnt(0)
	v_mul_f64 v[144:145], v[186:187], v[146:147]
	s_delay_alu instid0(VALU_DEP_1) | instskip(SKIP_1) | instid1(VALU_DEP_2)
	v_fma_f64 v[144:145], v[184:185], v[192:193], -v[144:145]
	v_mul_f64 v[184:185], v[184:185], v[146:147]
	v_add_f64 v[136:137], v[136:137], -v[144:145]
	s_delay_alu instid0(VALU_DEP_2) | instskip(NEXT) | instid1(VALU_DEP_1)
	v_fma_f64 v[184:185], v[186:187], v[192:193], v[184:185]
	v_add_f64 v[138:139], v[138:139], -v[184:185]
	;; [unrolled: 10-line block ×35, first 2 shown]
	ds_load_2addr_b64 v[184:187], v194 offset0:90 offset1:91
	s_waitcnt lgkmcnt(0)
	v_mul_f64 v[144:145], v[186:187], v[146:147]
	s_delay_alu instid0(VALU_DEP_1) | instskip(SKIP_1) | instid1(VALU_DEP_2)
	v_fma_f64 v[144:145], v[184:185], v[192:193], -v[144:145]
	v_mul_f64 v[184:185], v[184:185], v[146:147]
	v_add_f64 v[0:1], v[0:1], -v[144:145]
	s_delay_alu instid0(VALU_DEP_2) | instskip(SKIP_1) | instid1(VALU_DEP_2)
	v_fma_f64 v[184:185], v[186:187], v[192:193], v[184:185]
	v_dual_mov_b32 v144, v192 :: v_dual_mov_b32 v145, v193
	v_add_f64 v[2:3], v[2:3], -v[184:185]
.LBB90_209:
	s_or_b32 exec_lo, exec_lo, s2
	v_lshl_add_u32 v184, v200, 4, v194
	s_barrier
	buffer_gl0_inv
	v_mov_b32_e32 v192, 10
	ds_store_2addr_b64 v184, v[140:141], v[142:143] offset1:1
	s_waitcnt lgkmcnt(0)
	s_barrier
	buffer_gl0_inv
	ds_load_2addr_b64 v[184:187], v194 offset0:20 offset1:21
	s_cmp_lt_i32 s5, 12
	s_cbranch_scc1 .LBB90_212
; %bb.210:
	v_add3_u32 v193, v199, 0, 0xb0
	v_mov_b32_e32 v192, 10
	s_mov_b32 s6, 11
	s_set_inst_prefetch_distance 0x1
	.p2align	6
.LBB90_211:                             ; =>This Inner Loop Header: Depth=1
	ds_load_2addr_b64 v[201:204], v193 offset1:1
	s_waitcnt lgkmcnt(1)
	v_cmp_gt_f64_e32 vcc_lo, 0, v[184:185]
	v_xor_b32_e32 v205, 0x80000000, v185
	v_cmp_gt_f64_e64 s2, 0, v[186:187]
	v_xor_b32_e32 v207, 0x80000000, v187
	v_add_nc_u32_e32 v193, 16, v193
	s_waitcnt lgkmcnt(0)
	v_cmp_gt_f64_e64 s3, 0, v[201:202]
	v_mov_b32_e32 v209, v201
	v_dual_mov_b32 v211, v203 :: v_dual_cndmask_b32 v206, v185, v205
	v_xor_b32_e32 v205, 0x80000000, v202
	v_cndmask_b32_e64 v208, v187, v207, s2
	v_xor_b32_e32 v207, 0x80000000, v204
	s_delay_alu instid0(VALU_DEP_3) | instskip(SKIP_2) | instid1(VALU_DEP_2)
	v_cndmask_b32_e64 v210, v202, v205, s3
	v_cmp_gt_f64_e64 s3, 0, v[203:204]
	v_cndmask_b32_e32 v205, v184, v184, vcc_lo
	v_cndmask_b32_e64 v212, v204, v207, s3
	v_cndmask_b32_e64 v207, v186, v186, s2
	s_delay_alu instid0(VALU_DEP_2) | instskip(NEXT) | instid1(VALU_DEP_2)
	v_add_f64 v[209:210], v[209:210], v[211:212]
	v_add_f64 v[205:206], v[205:206], v[207:208]
	s_delay_alu instid0(VALU_DEP_1) | instskip(SKIP_4) | instid1(SALU_CYCLE_1)
	v_cmp_lt_f64_e32 vcc_lo, v[205:206], v[209:210]
	v_dual_cndmask_b32 v186, v186, v203 :: v_dual_cndmask_b32 v185, v185, v202
	v_dual_cndmask_b32 v184, v184, v201 :: v_dual_cndmask_b32 v187, v187, v204
	v_cndmask_b32_e64 v192, v192, s6, vcc_lo
	s_add_i32 s6, s6, 1
	s_cmp_lg_u32 s5, s6
	s_cbranch_scc1 .LBB90_211
.LBB90_212:
	s_set_inst_prefetch_distance 0x2
	s_waitcnt lgkmcnt(0)
	v_cmp_eq_f64_e32 vcc_lo, 0, v[184:185]
	v_cmp_eq_f64_e64 s2, 0, v[186:187]
	s_delay_alu instid0(VALU_DEP_1) | instskip(NEXT) | instid1(SALU_CYCLE_1)
	s_and_b32 s2, vcc_lo, s2
	s_and_saveexec_b32 s3, s2
	s_delay_alu instid0(SALU_CYCLE_1)
	s_xor_b32 s2, exec_lo, s3
; %bb.213:
	v_cmp_ne_u32_e32 vcc_lo, 0, v197
	v_cndmask_b32_e32 v197, 11, v197, vcc_lo
; %bb.214:
	s_and_not1_saveexec_b32 s3, s2
	s_cbranch_execz .LBB90_220
; %bb.215:
	v_cmp_gt_f64_e32 vcc_lo, 0, v[184:185]
	v_cmp_gt_f64_e64 s2, 0, v[186:187]
	v_xor_b32_e32 v193, 0x80000000, v185
	v_xor_b32_e32 v201, 0x80000000, v187
	s_delay_alu instid0(VALU_DEP_2) | instskip(NEXT) | instid1(VALU_DEP_2)
	v_cndmask_b32_e32 v202, v185, v193, vcc_lo
	v_cndmask_b32_e64 v204, v187, v201, s2
	v_cndmask_b32_e32 v201, v184, v184, vcc_lo
	v_cndmask_b32_e64 v203, v186, v186, s2
	s_mov_b32 s2, exec_lo
	s_delay_alu instid0(VALU_DEP_1)
	v_cmpx_ngt_f64_e32 v[201:202], v[203:204]
	s_xor_b32 s2, exec_lo, s2
	s_cbranch_execz .LBB90_217
; %bb.216:
	v_div_scale_f64 v[201:202], null, v[186:187], v[186:187], v[184:185]
	v_div_scale_f64 v[207:208], vcc_lo, v[184:185], v[186:187], v[184:185]
	s_delay_alu instid0(VALU_DEP_2) | instskip(SKIP_2) | instid1(VALU_DEP_1)
	v_rcp_f64_e32 v[203:204], v[201:202]
	s_waitcnt_depctr 0xfff
	v_fma_f64 v[205:206], -v[201:202], v[203:204], 1.0
	v_fma_f64 v[203:204], v[203:204], v[205:206], v[203:204]
	s_delay_alu instid0(VALU_DEP_1) | instskip(NEXT) | instid1(VALU_DEP_1)
	v_fma_f64 v[205:206], -v[201:202], v[203:204], 1.0
	v_fma_f64 v[203:204], v[203:204], v[205:206], v[203:204]
	s_delay_alu instid0(VALU_DEP_1) | instskip(NEXT) | instid1(VALU_DEP_1)
	v_mul_f64 v[205:206], v[207:208], v[203:204]
	v_fma_f64 v[201:202], -v[201:202], v[205:206], v[207:208]
	s_delay_alu instid0(VALU_DEP_1) | instskip(NEXT) | instid1(VALU_DEP_1)
	v_div_fmas_f64 v[201:202], v[201:202], v[203:204], v[205:206]
	v_div_fixup_f64 v[201:202], v[201:202], v[186:187], v[184:185]
	s_delay_alu instid0(VALU_DEP_1) | instskip(NEXT) | instid1(VALU_DEP_1)
	v_fma_f64 v[184:185], v[184:185], v[201:202], v[186:187]
	v_div_scale_f64 v[186:187], null, v[184:185], v[184:185], 1.0
	s_delay_alu instid0(VALU_DEP_1) | instskip(SKIP_2) | instid1(VALU_DEP_1)
	v_rcp_f64_e32 v[203:204], v[186:187]
	s_waitcnt_depctr 0xfff
	v_fma_f64 v[205:206], -v[186:187], v[203:204], 1.0
	v_fma_f64 v[203:204], v[203:204], v[205:206], v[203:204]
	s_delay_alu instid0(VALU_DEP_1) | instskip(NEXT) | instid1(VALU_DEP_1)
	v_fma_f64 v[205:206], -v[186:187], v[203:204], 1.0
	v_fma_f64 v[203:204], v[203:204], v[205:206], v[203:204]
	v_div_scale_f64 v[205:206], vcc_lo, 1.0, v[184:185], 1.0
	s_delay_alu instid0(VALU_DEP_1) | instskip(NEXT) | instid1(VALU_DEP_1)
	v_mul_f64 v[207:208], v[205:206], v[203:204]
	v_fma_f64 v[186:187], -v[186:187], v[207:208], v[205:206]
	s_delay_alu instid0(VALU_DEP_1) | instskip(NEXT) | instid1(VALU_DEP_1)
	v_div_fmas_f64 v[186:187], v[186:187], v[203:204], v[207:208]
	v_div_fixup_f64 v[186:187], v[186:187], v[184:185], 1.0
	s_delay_alu instid0(VALU_DEP_1)
	v_mul_f64 v[184:185], v[201:202], v[186:187]
	v_xor_b32_e32 v187, 0x80000000, v187
.LBB90_217:
	s_and_not1_saveexec_b32 s2, s2
	s_cbranch_execz .LBB90_219
; %bb.218:
	s_delay_alu instid0(VALU_DEP_1) | instskip(SKIP_1) | instid1(VALU_DEP_2)
	v_div_scale_f64 v[201:202], null, v[184:185], v[184:185], v[186:187]
	v_div_scale_f64 v[207:208], vcc_lo, v[186:187], v[184:185], v[186:187]
	v_rcp_f64_e32 v[203:204], v[201:202]
	s_waitcnt_depctr 0xfff
	v_fma_f64 v[205:206], -v[201:202], v[203:204], 1.0
	s_delay_alu instid0(VALU_DEP_1) | instskip(NEXT) | instid1(VALU_DEP_1)
	v_fma_f64 v[203:204], v[203:204], v[205:206], v[203:204]
	v_fma_f64 v[205:206], -v[201:202], v[203:204], 1.0
	s_delay_alu instid0(VALU_DEP_1) | instskip(NEXT) | instid1(VALU_DEP_1)
	v_fma_f64 v[203:204], v[203:204], v[205:206], v[203:204]
	v_mul_f64 v[205:206], v[207:208], v[203:204]
	s_delay_alu instid0(VALU_DEP_1) | instskip(NEXT) | instid1(VALU_DEP_1)
	v_fma_f64 v[201:202], -v[201:202], v[205:206], v[207:208]
	v_div_fmas_f64 v[201:202], v[201:202], v[203:204], v[205:206]
	s_delay_alu instid0(VALU_DEP_1) | instskip(NEXT) | instid1(VALU_DEP_1)
	v_div_fixup_f64 v[201:202], v[201:202], v[184:185], v[186:187]
	v_fma_f64 v[184:185], v[186:187], v[201:202], v[184:185]
	s_delay_alu instid0(VALU_DEP_1) | instskip(NEXT) | instid1(VALU_DEP_1)
	v_div_scale_f64 v[186:187], null, v[184:185], v[184:185], 1.0
	v_rcp_f64_e32 v[203:204], v[186:187]
	s_waitcnt_depctr 0xfff
	v_fma_f64 v[205:206], -v[186:187], v[203:204], 1.0
	s_delay_alu instid0(VALU_DEP_1) | instskip(NEXT) | instid1(VALU_DEP_1)
	v_fma_f64 v[203:204], v[203:204], v[205:206], v[203:204]
	v_fma_f64 v[205:206], -v[186:187], v[203:204], 1.0
	s_delay_alu instid0(VALU_DEP_1) | instskip(SKIP_1) | instid1(VALU_DEP_1)
	v_fma_f64 v[203:204], v[203:204], v[205:206], v[203:204]
	v_div_scale_f64 v[205:206], vcc_lo, 1.0, v[184:185], 1.0
	v_mul_f64 v[207:208], v[205:206], v[203:204]
	s_delay_alu instid0(VALU_DEP_1) | instskip(NEXT) | instid1(VALU_DEP_1)
	v_fma_f64 v[186:187], -v[186:187], v[207:208], v[205:206]
	v_div_fmas_f64 v[186:187], v[186:187], v[203:204], v[207:208]
	s_delay_alu instid0(VALU_DEP_1) | instskip(NEXT) | instid1(VALU_DEP_1)
	v_div_fixup_f64 v[184:185], v[186:187], v[184:185], 1.0
	v_mul_f64 v[186:187], v[201:202], -v[184:185]
.LBB90_219:
	s_or_b32 exec_lo, exec_lo, s2
.LBB90_220:
	s_delay_alu instid0(SALU_CYCLE_1) | instskip(NEXT) | instid1(SALU_CYCLE_1)
	s_or_b32 exec_lo, exec_lo, s3
	s_mov_b32 s2, exec_lo
	v_cmpx_ne_u32_e64 v200, v192
	s_xor_b32 s2, exec_lo, s2
	s_cbranch_execz .LBB90_226
; %bb.221:
	s_mov_b32 s3, exec_lo
	v_cmpx_eq_u32_e32 10, v200
	s_cbranch_execz .LBB90_225
; %bb.222:
	v_cmp_ne_u32_e32 vcc_lo, 10, v192
	s_xor_b32 s6, s4, -1
	s_delay_alu instid0(SALU_CYCLE_1) | instskip(NEXT) | instid1(SALU_CYCLE_1)
	s_and_b32 s7, s6, vcc_lo
	s_and_saveexec_b32 s6, s7
	s_cbranch_execz .LBB90_224
; %bb.223:
	v_ashrrev_i32_e32 v193, 31, v192
	s_delay_alu instid0(VALU_DEP_1) | instskip(NEXT) | instid1(VALU_DEP_1)
	v_lshlrev_b64 v[200:201], 2, v[192:193]
	v_add_co_u32 v200, vcc_lo, v190, v200
	s_delay_alu instid0(VALU_DEP_2)
	v_add_co_ci_u32_e32 v201, vcc_lo, v191, v201, vcc_lo
	s_clause 0x1
	flat_load_b32 v193, v[200:201]
	flat_load_b32 v198, v[190:191] offset:40
	s_waitcnt vmcnt(1) lgkmcnt(1)
	flat_store_b32 v[190:191], v193 offset:40
	s_waitcnt vmcnt(0) lgkmcnt(1)
	flat_store_b32 v[200:201], v198
.LBB90_224:
	s_or_b32 exec_lo, exec_lo, s6
	v_mov_b32_e32 v200, v192
	v_mov_b32_e32 v198, v192
.LBB90_225:
	s_or_b32 exec_lo, exec_lo, s3
.LBB90_226:
	s_and_not1_saveexec_b32 s2, s2
	s_cbranch_execz .LBB90_228
; %bb.227:
	v_mov_b32_e32 v200, 10
	ds_store_2addr_b64 v194, v[136:137], v[138:139] offset0:22 offset1:23
	ds_store_2addr_b64 v194, v[132:133], v[134:135] offset0:24 offset1:25
	;; [unrolled: 1-line block ×35, first 2 shown]
.LBB90_228:
	s_or_b32 exec_lo, exec_lo, s2
	s_delay_alu instid0(SALU_CYCLE_1)
	s_mov_b32 s2, exec_lo
	s_waitcnt lgkmcnt(0)
	s_waitcnt_vscnt null, 0x0
	s_barrier
	buffer_gl0_inv
	v_cmpx_lt_i32_e32 10, v200
	s_cbranch_execz .LBB90_230
; %bb.229:
	v_mul_f64 v[192:193], v[186:187], v[142:143]
	v_mul_f64 v[142:143], v[184:185], v[142:143]
	s_delay_alu instid0(VALU_DEP_2) | instskip(NEXT) | instid1(VALU_DEP_2)
	v_fma_f64 v[192:193], v[184:185], v[140:141], -v[192:193]
	v_fma_f64 v[142:143], v[186:187], v[140:141], v[142:143]
	ds_load_2addr_b64 v[184:187], v194 offset0:22 offset1:23
	s_waitcnt lgkmcnt(0)
	v_mul_f64 v[140:141], v[186:187], v[142:143]
	s_delay_alu instid0(VALU_DEP_1) | instskip(SKIP_1) | instid1(VALU_DEP_2)
	v_fma_f64 v[140:141], v[184:185], v[192:193], -v[140:141]
	v_mul_f64 v[184:185], v[184:185], v[142:143]
	v_add_f64 v[136:137], v[136:137], -v[140:141]
	s_delay_alu instid0(VALU_DEP_2) | instskip(NEXT) | instid1(VALU_DEP_1)
	v_fma_f64 v[184:185], v[186:187], v[192:193], v[184:185]
	v_add_f64 v[138:139], v[138:139], -v[184:185]
	ds_load_2addr_b64 v[184:187], v194 offset0:24 offset1:25
	s_waitcnt lgkmcnt(0)
	v_mul_f64 v[140:141], v[186:187], v[142:143]
	s_delay_alu instid0(VALU_DEP_1) | instskip(SKIP_1) | instid1(VALU_DEP_2)
	v_fma_f64 v[140:141], v[184:185], v[192:193], -v[140:141]
	v_mul_f64 v[184:185], v[184:185], v[142:143]
	v_add_f64 v[132:133], v[132:133], -v[140:141]
	s_delay_alu instid0(VALU_DEP_2) | instskip(NEXT) | instid1(VALU_DEP_1)
	v_fma_f64 v[184:185], v[186:187], v[192:193], v[184:185]
	v_add_f64 v[134:135], v[134:135], -v[184:185]
	;; [unrolled: 10-line block ×34, first 2 shown]
	ds_load_2addr_b64 v[184:187], v194 offset0:90 offset1:91
	s_waitcnt lgkmcnt(0)
	v_mul_f64 v[140:141], v[186:187], v[142:143]
	s_delay_alu instid0(VALU_DEP_1) | instskip(SKIP_1) | instid1(VALU_DEP_2)
	v_fma_f64 v[140:141], v[184:185], v[192:193], -v[140:141]
	v_mul_f64 v[184:185], v[184:185], v[142:143]
	v_add_f64 v[0:1], v[0:1], -v[140:141]
	s_delay_alu instid0(VALU_DEP_2) | instskip(SKIP_1) | instid1(VALU_DEP_2)
	v_fma_f64 v[184:185], v[186:187], v[192:193], v[184:185]
	v_dual_mov_b32 v140, v192 :: v_dual_mov_b32 v141, v193
	v_add_f64 v[2:3], v[2:3], -v[184:185]
.LBB90_230:
	s_or_b32 exec_lo, exec_lo, s2
	v_lshl_add_u32 v184, v200, 4, v194
	s_barrier
	buffer_gl0_inv
	v_mov_b32_e32 v192, 11
	ds_store_2addr_b64 v184, v[136:137], v[138:139] offset1:1
	s_waitcnt lgkmcnt(0)
	s_barrier
	buffer_gl0_inv
	ds_load_2addr_b64 v[184:187], v194 offset0:22 offset1:23
	s_cmp_lt_i32 s5, 13
	s_cbranch_scc1 .LBB90_233
; %bb.231:
	v_add3_u32 v193, v199, 0, 0xc0
	v_mov_b32_e32 v192, 11
	s_mov_b32 s6, 12
	s_set_inst_prefetch_distance 0x1
	.p2align	6
.LBB90_232:                             ; =>This Inner Loop Header: Depth=1
	ds_load_2addr_b64 v[201:204], v193 offset1:1
	s_waitcnt lgkmcnt(1)
	v_cmp_gt_f64_e32 vcc_lo, 0, v[184:185]
	v_xor_b32_e32 v205, 0x80000000, v185
	v_cmp_gt_f64_e64 s2, 0, v[186:187]
	v_xor_b32_e32 v207, 0x80000000, v187
	v_add_nc_u32_e32 v193, 16, v193
	s_waitcnt lgkmcnt(0)
	v_cmp_gt_f64_e64 s3, 0, v[201:202]
	v_mov_b32_e32 v209, v201
	v_dual_mov_b32 v211, v203 :: v_dual_cndmask_b32 v206, v185, v205
	v_xor_b32_e32 v205, 0x80000000, v202
	v_cndmask_b32_e64 v208, v187, v207, s2
	v_xor_b32_e32 v207, 0x80000000, v204
	s_delay_alu instid0(VALU_DEP_3) | instskip(SKIP_2) | instid1(VALU_DEP_2)
	v_cndmask_b32_e64 v210, v202, v205, s3
	v_cmp_gt_f64_e64 s3, 0, v[203:204]
	v_cndmask_b32_e32 v205, v184, v184, vcc_lo
	v_cndmask_b32_e64 v212, v204, v207, s3
	v_cndmask_b32_e64 v207, v186, v186, s2
	s_delay_alu instid0(VALU_DEP_2) | instskip(NEXT) | instid1(VALU_DEP_2)
	v_add_f64 v[209:210], v[209:210], v[211:212]
	v_add_f64 v[205:206], v[205:206], v[207:208]
	s_delay_alu instid0(VALU_DEP_1) | instskip(SKIP_4) | instid1(SALU_CYCLE_1)
	v_cmp_lt_f64_e32 vcc_lo, v[205:206], v[209:210]
	v_dual_cndmask_b32 v186, v186, v203 :: v_dual_cndmask_b32 v185, v185, v202
	v_dual_cndmask_b32 v184, v184, v201 :: v_dual_cndmask_b32 v187, v187, v204
	v_cndmask_b32_e64 v192, v192, s6, vcc_lo
	s_add_i32 s6, s6, 1
	s_cmp_lg_u32 s5, s6
	s_cbranch_scc1 .LBB90_232
.LBB90_233:
	s_set_inst_prefetch_distance 0x2
	s_waitcnt lgkmcnt(0)
	v_cmp_eq_f64_e32 vcc_lo, 0, v[184:185]
	v_cmp_eq_f64_e64 s2, 0, v[186:187]
	s_delay_alu instid0(VALU_DEP_1) | instskip(NEXT) | instid1(SALU_CYCLE_1)
	s_and_b32 s2, vcc_lo, s2
	s_and_saveexec_b32 s3, s2
	s_delay_alu instid0(SALU_CYCLE_1)
	s_xor_b32 s2, exec_lo, s3
; %bb.234:
	v_cmp_ne_u32_e32 vcc_lo, 0, v197
	v_cndmask_b32_e32 v197, 12, v197, vcc_lo
; %bb.235:
	s_and_not1_saveexec_b32 s3, s2
	s_cbranch_execz .LBB90_241
; %bb.236:
	v_cmp_gt_f64_e32 vcc_lo, 0, v[184:185]
	v_cmp_gt_f64_e64 s2, 0, v[186:187]
	v_xor_b32_e32 v193, 0x80000000, v185
	v_xor_b32_e32 v201, 0x80000000, v187
	s_delay_alu instid0(VALU_DEP_2) | instskip(NEXT) | instid1(VALU_DEP_2)
	v_cndmask_b32_e32 v202, v185, v193, vcc_lo
	v_cndmask_b32_e64 v204, v187, v201, s2
	v_cndmask_b32_e32 v201, v184, v184, vcc_lo
	v_cndmask_b32_e64 v203, v186, v186, s2
	s_mov_b32 s2, exec_lo
	s_delay_alu instid0(VALU_DEP_1)
	v_cmpx_ngt_f64_e32 v[201:202], v[203:204]
	s_xor_b32 s2, exec_lo, s2
	s_cbranch_execz .LBB90_238
; %bb.237:
	v_div_scale_f64 v[201:202], null, v[186:187], v[186:187], v[184:185]
	v_div_scale_f64 v[207:208], vcc_lo, v[184:185], v[186:187], v[184:185]
	s_delay_alu instid0(VALU_DEP_2) | instskip(SKIP_2) | instid1(VALU_DEP_1)
	v_rcp_f64_e32 v[203:204], v[201:202]
	s_waitcnt_depctr 0xfff
	v_fma_f64 v[205:206], -v[201:202], v[203:204], 1.0
	v_fma_f64 v[203:204], v[203:204], v[205:206], v[203:204]
	s_delay_alu instid0(VALU_DEP_1) | instskip(NEXT) | instid1(VALU_DEP_1)
	v_fma_f64 v[205:206], -v[201:202], v[203:204], 1.0
	v_fma_f64 v[203:204], v[203:204], v[205:206], v[203:204]
	s_delay_alu instid0(VALU_DEP_1) | instskip(NEXT) | instid1(VALU_DEP_1)
	v_mul_f64 v[205:206], v[207:208], v[203:204]
	v_fma_f64 v[201:202], -v[201:202], v[205:206], v[207:208]
	s_delay_alu instid0(VALU_DEP_1) | instskip(NEXT) | instid1(VALU_DEP_1)
	v_div_fmas_f64 v[201:202], v[201:202], v[203:204], v[205:206]
	v_div_fixup_f64 v[201:202], v[201:202], v[186:187], v[184:185]
	s_delay_alu instid0(VALU_DEP_1) | instskip(NEXT) | instid1(VALU_DEP_1)
	v_fma_f64 v[184:185], v[184:185], v[201:202], v[186:187]
	v_div_scale_f64 v[186:187], null, v[184:185], v[184:185], 1.0
	s_delay_alu instid0(VALU_DEP_1) | instskip(SKIP_2) | instid1(VALU_DEP_1)
	v_rcp_f64_e32 v[203:204], v[186:187]
	s_waitcnt_depctr 0xfff
	v_fma_f64 v[205:206], -v[186:187], v[203:204], 1.0
	v_fma_f64 v[203:204], v[203:204], v[205:206], v[203:204]
	s_delay_alu instid0(VALU_DEP_1) | instskip(NEXT) | instid1(VALU_DEP_1)
	v_fma_f64 v[205:206], -v[186:187], v[203:204], 1.0
	v_fma_f64 v[203:204], v[203:204], v[205:206], v[203:204]
	v_div_scale_f64 v[205:206], vcc_lo, 1.0, v[184:185], 1.0
	s_delay_alu instid0(VALU_DEP_1) | instskip(NEXT) | instid1(VALU_DEP_1)
	v_mul_f64 v[207:208], v[205:206], v[203:204]
	v_fma_f64 v[186:187], -v[186:187], v[207:208], v[205:206]
	s_delay_alu instid0(VALU_DEP_1) | instskip(NEXT) | instid1(VALU_DEP_1)
	v_div_fmas_f64 v[186:187], v[186:187], v[203:204], v[207:208]
	v_div_fixup_f64 v[186:187], v[186:187], v[184:185], 1.0
	s_delay_alu instid0(VALU_DEP_1)
	v_mul_f64 v[184:185], v[201:202], v[186:187]
	v_xor_b32_e32 v187, 0x80000000, v187
.LBB90_238:
	s_and_not1_saveexec_b32 s2, s2
	s_cbranch_execz .LBB90_240
; %bb.239:
	s_delay_alu instid0(VALU_DEP_1) | instskip(SKIP_1) | instid1(VALU_DEP_2)
	v_div_scale_f64 v[201:202], null, v[184:185], v[184:185], v[186:187]
	v_div_scale_f64 v[207:208], vcc_lo, v[186:187], v[184:185], v[186:187]
	v_rcp_f64_e32 v[203:204], v[201:202]
	s_waitcnt_depctr 0xfff
	v_fma_f64 v[205:206], -v[201:202], v[203:204], 1.0
	s_delay_alu instid0(VALU_DEP_1) | instskip(NEXT) | instid1(VALU_DEP_1)
	v_fma_f64 v[203:204], v[203:204], v[205:206], v[203:204]
	v_fma_f64 v[205:206], -v[201:202], v[203:204], 1.0
	s_delay_alu instid0(VALU_DEP_1) | instskip(NEXT) | instid1(VALU_DEP_1)
	v_fma_f64 v[203:204], v[203:204], v[205:206], v[203:204]
	v_mul_f64 v[205:206], v[207:208], v[203:204]
	s_delay_alu instid0(VALU_DEP_1) | instskip(NEXT) | instid1(VALU_DEP_1)
	v_fma_f64 v[201:202], -v[201:202], v[205:206], v[207:208]
	v_div_fmas_f64 v[201:202], v[201:202], v[203:204], v[205:206]
	s_delay_alu instid0(VALU_DEP_1) | instskip(NEXT) | instid1(VALU_DEP_1)
	v_div_fixup_f64 v[201:202], v[201:202], v[184:185], v[186:187]
	v_fma_f64 v[184:185], v[186:187], v[201:202], v[184:185]
	s_delay_alu instid0(VALU_DEP_1) | instskip(NEXT) | instid1(VALU_DEP_1)
	v_div_scale_f64 v[186:187], null, v[184:185], v[184:185], 1.0
	v_rcp_f64_e32 v[203:204], v[186:187]
	s_waitcnt_depctr 0xfff
	v_fma_f64 v[205:206], -v[186:187], v[203:204], 1.0
	s_delay_alu instid0(VALU_DEP_1) | instskip(NEXT) | instid1(VALU_DEP_1)
	v_fma_f64 v[203:204], v[203:204], v[205:206], v[203:204]
	v_fma_f64 v[205:206], -v[186:187], v[203:204], 1.0
	s_delay_alu instid0(VALU_DEP_1) | instskip(SKIP_1) | instid1(VALU_DEP_1)
	v_fma_f64 v[203:204], v[203:204], v[205:206], v[203:204]
	v_div_scale_f64 v[205:206], vcc_lo, 1.0, v[184:185], 1.0
	v_mul_f64 v[207:208], v[205:206], v[203:204]
	s_delay_alu instid0(VALU_DEP_1) | instskip(NEXT) | instid1(VALU_DEP_1)
	v_fma_f64 v[186:187], -v[186:187], v[207:208], v[205:206]
	v_div_fmas_f64 v[186:187], v[186:187], v[203:204], v[207:208]
	s_delay_alu instid0(VALU_DEP_1) | instskip(NEXT) | instid1(VALU_DEP_1)
	v_div_fixup_f64 v[184:185], v[186:187], v[184:185], 1.0
	v_mul_f64 v[186:187], v[201:202], -v[184:185]
.LBB90_240:
	s_or_b32 exec_lo, exec_lo, s2
.LBB90_241:
	s_delay_alu instid0(SALU_CYCLE_1) | instskip(NEXT) | instid1(SALU_CYCLE_1)
	s_or_b32 exec_lo, exec_lo, s3
	s_mov_b32 s2, exec_lo
	v_cmpx_ne_u32_e64 v200, v192
	s_xor_b32 s2, exec_lo, s2
	s_cbranch_execz .LBB90_247
; %bb.242:
	s_mov_b32 s3, exec_lo
	v_cmpx_eq_u32_e32 11, v200
	s_cbranch_execz .LBB90_246
; %bb.243:
	v_cmp_ne_u32_e32 vcc_lo, 11, v192
	s_xor_b32 s6, s4, -1
	s_delay_alu instid0(SALU_CYCLE_1) | instskip(NEXT) | instid1(SALU_CYCLE_1)
	s_and_b32 s7, s6, vcc_lo
	s_and_saveexec_b32 s6, s7
	s_cbranch_execz .LBB90_245
; %bb.244:
	v_ashrrev_i32_e32 v193, 31, v192
	s_delay_alu instid0(VALU_DEP_1) | instskip(NEXT) | instid1(VALU_DEP_1)
	v_lshlrev_b64 v[200:201], 2, v[192:193]
	v_add_co_u32 v200, vcc_lo, v190, v200
	s_delay_alu instid0(VALU_DEP_2)
	v_add_co_ci_u32_e32 v201, vcc_lo, v191, v201, vcc_lo
	s_clause 0x1
	flat_load_b32 v193, v[200:201]
	flat_load_b32 v198, v[190:191] offset:44
	s_waitcnt vmcnt(1) lgkmcnt(1)
	flat_store_b32 v[190:191], v193 offset:44
	s_waitcnt vmcnt(0) lgkmcnt(1)
	flat_store_b32 v[200:201], v198
.LBB90_245:
	s_or_b32 exec_lo, exec_lo, s6
	v_mov_b32_e32 v200, v192
	v_mov_b32_e32 v198, v192
.LBB90_246:
	s_or_b32 exec_lo, exec_lo, s3
.LBB90_247:
	s_and_not1_saveexec_b32 s2, s2
	s_cbranch_execz .LBB90_249
; %bb.248:
	v_mov_b32_e32 v200, 11
	ds_store_2addr_b64 v194, v[132:133], v[134:135] offset0:24 offset1:25
	ds_store_2addr_b64 v194, v[128:129], v[130:131] offset0:26 offset1:27
	;; [unrolled: 1-line block ×34, first 2 shown]
.LBB90_249:
	s_or_b32 exec_lo, exec_lo, s2
	s_delay_alu instid0(SALU_CYCLE_1)
	s_mov_b32 s2, exec_lo
	s_waitcnt lgkmcnt(0)
	s_waitcnt_vscnt null, 0x0
	s_barrier
	buffer_gl0_inv
	v_cmpx_lt_i32_e32 11, v200
	s_cbranch_execz .LBB90_251
; %bb.250:
	v_mul_f64 v[192:193], v[186:187], v[138:139]
	v_mul_f64 v[138:139], v[184:185], v[138:139]
	s_delay_alu instid0(VALU_DEP_2) | instskip(NEXT) | instid1(VALU_DEP_2)
	v_fma_f64 v[192:193], v[184:185], v[136:137], -v[192:193]
	v_fma_f64 v[138:139], v[186:187], v[136:137], v[138:139]
	ds_load_2addr_b64 v[184:187], v194 offset0:24 offset1:25
	s_waitcnt lgkmcnt(0)
	v_mul_f64 v[136:137], v[186:187], v[138:139]
	s_delay_alu instid0(VALU_DEP_1) | instskip(SKIP_1) | instid1(VALU_DEP_2)
	v_fma_f64 v[136:137], v[184:185], v[192:193], -v[136:137]
	v_mul_f64 v[184:185], v[184:185], v[138:139]
	v_add_f64 v[132:133], v[132:133], -v[136:137]
	s_delay_alu instid0(VALU_DEP_2) | instskip(NEXT) | instid1(VALU_DEP_1)
	v_fma_f64 v[184:185], v[186:187], v[192:193], v[184:185]
	v_add_f64 v[134:135], v[134:135], -v[184:185]
	ds_load_2addr_b64 v[184:187], v194 offset0:26 offset1:27
	s_waitcnt lgkmcnt(0)
	v_mul_f64 v[136:137], v[186:187], v[138:139]
	s_delay_alu instid0(VALU_DEP_1) | instskip(SKIP_1) | instid1(VALU_DEP_2)
	v_fma_f64 v[136:137], v[184:185], v[192:193], -v[136:137]
	v_mul_f64 v[184:185], v[184:185], v[138:139]
	v_add_f64 v[128:129], v[128:129], -v[136:137]
	s_delay_alu instid0(VALU_DEP_2) | instskip(NEXT) | instid1(VALU_DEP_1)
	v_fma_f64 v[184:185], v[186:187], v[192:193], v[184:185]
	v_add_f64 v[130:131], v[130:131], -v[184:185]
	;; [unrolled: 10-line block ×33, first 2 shown]
	ds_load_2addr_b64 v[184:187], v194 offset0:90 offset1:91
	s_waitcnt lgkmcnt(0)
	v_mul_f64 v[136:137], v[186:187], v[138:139]
	s_delay_alu instid0(VALU_DEP_1) | instskip(SKIP_1) | instid1(VALU_DEP_2)
	v_fma_f64 v[136:137], v[184:185], v[192:193], -v[136:137]
	v_mul_f64 v[184:185], v[184:185], v[138:139]
	v_add_f64 v[0:1], v[0:1], -v[136:137]
	s_delay_alu instid0(VALU_DEP_2) | instskip(SKIP_1) | instid1(VALU_DEP_2)
	v_fma_f64 v[184:185], v[186:187], v[192:193], v[184:185]
	v_dual_mov_b32 v136, v192 :: v_dual_mov_b32 v137, v193
	v_add_f64 v[2:3], v[2:3], -v[184:185]
.LBB90_251:
	s_or_b32 exec_lo, exec_lo, s2
	v_lshl_add_u32 v184, v200, 4, v194
	s_barrier
	buffer_gl0_inv
	v_mov_b32_e32 v192, 12
	ds_store_2addr_b64 v184, v[132:133], v[134:135] offset1:1
	s_waitcnt lgkmcnt(0)
	s_barrier
	buffer_gl0_inv
	ds_load_2addr_b64 v[184:187], v194 offset0:24 offset1:25
	s_cmp_lt_i32 s5, 14
	s_cbranch_scc1 .LBB90_254
; %bb.252:
	v_add3_u32 v193, v199, 0, 0xd0
	v_mov_b32_e32 v192, 12
	s_mov_b32 s6, 13
	s_set_inst_prefetch_distance 0x1
	.p2align	6
.LBB90_253:                             ; =>This Inner Loop Header: Depth=1
	ds_load_2addr_b64 v[201:204], v193 offset1:1
	s_waitcnt lgkmcnt(1)
	v_cmp_gt_f64_e32 vcc_lo, 0, v[184:185]
	v_xor_b32_e32 v205, 0x80000000, v185
	v_cmp_gt_f64_e64 s2, 0, v[186:187]
	v_xor_b32_e32 v207, 0x80000000, v187
	v_add_nc_u32_e32 v193, 16, v193
	s_waitcnt lgkmcnt(0)
	v_cmp_gt_f64_e64 s3, 0, v[201:202]
	v_mov_b32_e32 v209, v201
	v_dual_mov_b32 v211, v203 :: v_dual_cndmask_b32 v206, v185, v205
	v_xor_b32_e32 v205, 0x80000000, v202
	v_cndmask_b32_e64 v208, v187, v207, s2
	v_xor_b32_e32 v207, 0x80000000, v204
	s_delay_alu instid0(VALU_DEP_3) | instskip(SKIP_2) | instid1(VALU_DEP_2)
	v_cndmask_b32_e64 v210, v202, v205, s3
	v_cmp_gt_f64_e64 s3, 0, v[203:204]
	v_cndmask_b32_e32 v205, v184, v184, vcc_lo
	v_cndmask_b32_e64 v212, v204, v207, s3
	v_cndmask_b32_e64 v207, v186, v186, s2
	s_delay_alu instid0(VALU_DEP_2) | instskip(NEXT) | instid1(VALU_DEP_2)
	v_add_f64 v[209:210], v[209:210], v[211:212]
	v_add_f64 v[205:206], v[205:206], v[207:208]
	s_delay_alu instid0(VALU_DEP_1) | instskip(SKIP_4) | instid1(SALU_CYCLE_1)
	v_cmp_lt_f64_e32 vcc_lo, v[205:206], v[209:210]
	v_dual_cndmask_b32 v186, v186, v203 :: v_dual_cndmask_b32 v185, v185, v202
	v_dual_cndmask_b32 v184, v184, v201 :: v_dual_cndmask_b32 v187, v187, v204
	v_cndmask_b32_e64 v192, v192, s6, vcc_lo
	s_add_i32 s6, s6, 1
	s_cmp_lg_u32 s5, s6
	s_cbranch_scc1 .LBB90_253
.LBB90_254:
	s_set_inst_prefetch_distance 0x2
	s_waitcnt lgkmcnt(0)
	v_cmp_eq_f64_e32 vcc_lo, 0, v[184:185]
	v_cmp_eq_f64_e64 s2, 0, v[186:187]
	s_delay_alu instid0(VALU_DEP_1) | instskip(NEXT) | instid1(SALU_CYCLE_1)
	s_and_b32 s2, vcc_lo, s2
	s_and_saveexec_b32 s3, s2
	s_delay_alu instid0(SALU_CYCLE_1)
	s_xor_b32 s2, exec_lo, s3
; %bb.255:
	v_cmp_ne_u32_e32 vcc_lo, 0, v197
	v_cndmask_b32_e32 v197, 13, v197, vcc_lo
; %bb.256:
	s_and_not1_saveexec_b32 s3, s2
	s_cbranch_execz .LBB90_262
; %bb.257:
	v_cmp_gt_f64_e32 vcc_lo, 0, v[184:185]
	v_cmp_gt_f64_e64 s2, 0, v[186:187]
	v_xor_b32_e32 v193, 0x80000000, v185
	v_xor_b32_e32 v201, 0x80000000, v187
	s_delay_alu instid0(VALU_DEP_2) | instskip(NEXT) | instid1(VALU_DEP_2)
	v_cndmask_b32_e32 v202, v185, v193, vcc_lo
	v_cndmask_b32_e64 v204, v187, v201, s2
	v_cndmask_b32_e32 v201, v184, v184, vcc_lo
	v_cndmask_b32_e64 v203, v186, v186, s2
	s_mov_b32 s2, exec_lo
	s_delay_alu instid0(VALU_DEP_1)
	v_cmpx_ngt_f64_e32 v[201:202], v[203:204]
	s_xor_b32 s2, exec_lo, s2
	s_cbranch_execz .LBB90_259
; %bb.258:
	v_div_scale_f64 v[201:202], null, v[186:187], v[186:187], v[184:185]
	v_div_scale_f64 v[207:208], vcc_lo, v[184:185], v[186:187], v[184:185]
	s_delay_alu instid0(VALU_DEP_2) | instskip(SKIP_2) | instid1(VALU_DEP_1)
	v_rcp_f64_e32 v[203:204], v[201:202]
	s_waitcnt_depctr 0xfff
	v_fma_f64 v[205:206], -v[201:202], v[203:204], 1.0
	v_fma_f64 v[203:204], v[203:204], v[205:206], v[203:204]
	s_delay_alu instid0(VALU_DEP_1) | instskip(NEXT) | instid1(VALU_DEP_1)
	v_fma_f64 v[205:206], -v[201:202], v[203:204], 1.0
	v_fma_f64 v[203:204], v[203:204], v[205:206], v[203:204]
	s_delay_alu instid0(VALU_DEP_1) | instskip(NEXT) | instid1(VALU_DEP_1)
	v_mul_f64 v[205:206], v[207:208], v[203:204]
	v_fma_f64 v[201:202], -v[201:202], v[205:206], v[207:208]
	s_delay_alu instid0(VALU_DEP_1) | instskip(NEXT) | instid1(VALU_DEP_1)
	v_div_fmas_f64 v[201:202], v[201:202], v[203:204], v[205:206]
	v_div_fixup_f64 v[201:202], v[201:202], v[186:187], v[184:185]
	s_delay_alu instid0(VALU_DEP_1) | instskip(NEXT) | instid1(VALU_DEP_1)
	v_fma_f64 v[184:185], v[184:185], v[201:202], v[186:187]
	v_div_scale_f64 v[186:187], null, v[184:185], v[184:185], 1.0
	s_delay_alu instid0(VALU_DEP_1) | instskip(SKIP_2) | instid1(VALU_DEP_1)
	v_rcp_f64_e32 v[203:204], v[186:187]
	s_waitcnt_depctr 0xfff
	v_fma_f64 v[205:206], -v[186:187], v[203:204], 1.0
	v_fma_f64 v[203:204], v[203:204], v[205:206], v[203:204]
	s_delay_alu instid0(VALU_DEP_1) | instskip(NEXT) | instid1(VALU_DEP_1)
	v_fma_f64 v[205:206], -v[186:187], v[203:204], 1.0
	v_fma_f64 v[203:204], v[203:204], v[205:206], v[203:204]
	v_div_scale_f64 v[205:206], vcc_lo, 1.0, v[184:185], 1.0
	s_delay_alu instid0(VALU_DEP_1) | instskip(NEXT) | instid1(VALU_DEP_1)
	v_mul_f64 v[207:208], v[205:206], v[203:204]
	v_fma_f64 v[186:187], -v[186:187], v[207:208], v[205:206]
	s_delay_alu instid0(VALU_DEP_1) | instskip(NEXT) | instid1(VALU_DEP_1)
	v_div_fmas_f64 v[186:187], v[186:187], v[203:204], v[207:208]
	v_div_fixup_f64 v[186:187], v[186:187], v[184:185], 1.0
	s_delay_alu instid0(VALU_DEP_1)
	v_mul_f64 v[184:185], v[201:202], v[186:187]
	v_xor_b32_e32 v187, 0x80000000, v187
.LBB90_259:
	s_and_not1_saveexec_b32 s2, s2
	s_cbranch_execz .LBB90_261
; %bb.260:
	s_delay_alu instid0(VALU_DEP_1) | instskip(SKIP_1) | instid1(VALU_DEP_2)
	v_div_scale_f64 v[201:202], null, v[184:185], v[184:185], v[186:187]
	v_div_scale_f64 v[207:208], vcc_lo, v[186:187], v[184:185], v[186:187]
	v_rcp_f64_e32 v[203:204], v[201:202]
	s_waitcnt_depctr 0xfff
	v_fma_f64 v[205:206], -v[201:202], v[203:204], 1.0
	s_delay_alu instid0(VALU_DEP_1) | instskip(NEXT) | instid1(VALU_DEP_1)
	v_fma_f64 v[203:204], v[203:204], v[205:206], v[203:204]
	v_fma_f64 v[205:206], -v[201:202], v[203:204], 1.0
	s_delay_alu instid0(VALU_DEP_1) | instskip(NEXT) | instid1(VALU_DEP_1)
	v_fma_f64 v[203:204], v[203:204], v[205:206], v[203:204]
	v_mul_f64 v[205:206], v[207:208], v[203:204]
	s_delay_alu instid0(VALU_DEP_1) | instskip(NEXT) | instid1(VALU_DEP_1)
	v_fma_f64 v[201:202], -v[201:202], v[205:206], v[207:208]
	v_div_fmas_f64 v[201:202], v[201:202], v[203:204], v[205:206]
	s_delay_alu instid0(VALU_DEP_1) | instskip(NEXT) | instid1(VALU_DEP_1)
	v_div_fixup_f64 v[201:202], v[201:202], v[184:185], v[186:187]
	v_fma_f64 v[184:185], v[186:187], v[201:202], v[184:185]
	s_delay_alu instid0(VALU_DEP_1) | instskip(NEXT) | instid1(VALU_DEP_1)
	v_div_scale_f64 v[186:187], null, v[184:185], v[184:185], 1.0
	v_rcp_f64_e32 v[203:204], v[186:187]
	s_waitcnt_depctr 0xfff
	v_fma_f64 v[205:206], -v[186:187], v[203:204], 1.0
	s_delay_alu instid0(VALU_DEP_1) | instskip(NEXT) | instid1(VALU_DEP_1)
	v_fma_f64 v[203:204], v[203:204], v[205:206], v[203:204]
	v_fma_f64 v[205:206], -v[186:187], v[203:204], 1.0
	s_delay_alu instid0(VALU_DEP_1) | instskip(SKIP_1) | instid1(VALU_DEP_1)
	v_fma_f64 v[203:204], v[203:204], v[205:206], v[203:204]
	v_div_scale_f64 v[205:206], vcc_lo, 1.0, v[184:185], 1.0
	v_mul_f64 v[207:208], v[205:206], v[203:204]
	s_delay_alu instid0(VALU_DEP_1) | instskip(NEXT) | instid1(VALU_DEP_1)
	v_fma_f64 v[186:187], -v[186:187], v[207:208], v[205:206]
	v_div_fmas_f64 v[186:187], v[186:187], v[203:204], v[207:208]
	s_delay_alu instid0(VALU_DEP_1) | instskip(NEXT) | instid1(VALU_DEP_1)
	v_div_fixup_f64 v[184:185], v[186:187], v[184:185], 1.0
	v_mul_f64 v[186:187], v[201:202], -v[184:185]
.LBB90_261:
	s_or_b32 exec_lo, exec_lo, s2
.LBB90_262:
	s_delay_alu instid0(SALU_CYCLE_1) | instskip(NEXT) | instid1(SALU_CYCLE_1)
	s_or_b32 exec_lo, exec_lo, s3
	s_mov_b32 s2, exec_lo
	v_cmpx_ne_u32_e64 v200, v192
	s_xor_b32 s2, exec_lo, s2
	s_cbranch_execz .LBB90_268
; %bb.263:
	s_mov_b32 s3, exec_lo
	v_cmpx_eq_u32_e32 12, v200
	s_cbranch_execz .LBB90_267
; %bb.264:
	v_cmp_ne_u32_e32 vcc_lo, 12, v192
	s_xor_b32 s6, s4, -1
	s_delay_alu instid0(SALU_CYCLE_1) | instskip(NEXT) | instid1(SALU_CYCLE_1)
	s_and_b32 s7, s6, vcc_lo
	s_and_saveexec_b32 s6, s7
	s_cbranch_execz .LBB90_266
; %bb.265:
	v_ashrrev_i32_e32 v193, 31, v192
	s_delay_alu instid0(VALU_DEP_1) | instskip(NEXT) | instid1(VALU_DEP_1)
	v_lshlrev_b64 v[200:201], 2, v[192:193]
	v_add_co_u32 v200, vcc_lo, v190, v200
	s_delay_alu instid0(VALU_DEP_2)
	v_add_co_ci_u32_e32 v201, vcc_lo, v191, v201, vcc_lo
	s_clause 0x1
	flat_load_b32 v193, v[200:201]
	flat_load_b32 v198, v[190:191] offset:48
	s_waitcnt vmcnt(1) lgkmcnt(1)
	flat_store_b32 v[190:191], v193 offset:48
	s_waitcnt vmcnt(0) lgkmcnt(1)
	flat_store_b32 v[200:201], v198
.LBB90_266:
	s_or_b32 exec_lo, exec_lo, s6
	v_mov_b32_e32 v200, v192
	v_mov_b32_e32 v198, v192
.LBB90_267:
	s_or_b32 exec_lo, exec_lo, s3
.LBB90_268:
	s_and_not1_saveexec_b32 s2, s2
	s_cbranch_execz .LBB90_270
; %bb.269:
	v_mov_b32_e32 v200, 12
	ds_store_2addr_b64 v194, v[128:129], v[130:131] offset0:26 offset1:27
	ds_store_2addr_b64 v194, v[124:125], v[126:127] offset0:28 offset1:29
	;; [unrolled: 1-line block ×33, first 2 shown]
.LBB90_270:
	s_or_b32 exec_lo, exec_lo, s2
	s_delay_alu instid0(SALU_CYCLE_1)
	s_mov_b32 s2, exec_lo
	s_waitcnt lgkmcnt(0)
	s_waitcnt_vscnt null, 0x0
	s_barrier
	buffer_gl0_inv
	v_cmpx_lt_i32_e32 12, v200
	s_cbranch_execz .LBB90_272
; %bb.271:
	v_mul_f64 v[192:193], v[186:187], v[134:135]
	v_mul_f64 v[134:135], v[184:185], v[134:135]
	s_delay_alu instid0(VALU_DEP_2) | instskip(NEXT) | instid1(VALU_DEP_2)
	v_fma_f64 v[192:193], v[184:185], v[132:133], -v[192:193]
	v_fma_f64 v[134:135], v[186:187], v[132:133], v[134:135]
	ds_load_2addr_b64 v[184:187], v194 offset0:26 offset1:27
	s_waitcnt lgkmcnt(0)
	v_mul_f64 v[132:133], v[186:187], v[134:135]
	s_delay_alu instid0(VALU_DEP_1) | instskip(SKIP_1) | instid1(VALU_DEP_2)
	v_fma_f64 v[132:133], v[184:185], v[192:193], -v[132:133]
	v_mul_f64 v[184:185], v[184:185], v[134:135]
	v_add_f64 v[128:129], v[128:129], -v[132:133]
	s_delay_alu instid0(VALU_DEP_2) | instskip(NEXT) | instid1(VALU_DEP_1)
	v_fma_f64 v[184:185], v[186:187], v[192:193], v[184:185]
	v_add_f64 v[130:131], v[130:131], -v[184:185]
	ds_load_2addr_b64 v[184:187], v194 offset0:28 offset1:29
	s_waitcnt lgkmcnt(0)
	v_mul_f64 v[132:133], v[186:187], v[134:135]
	s_delay_alu instid0(VALU_DEP_1) | instskip(SKIP_1) | instid1(VALU_DEP_2)
	v_fma_f64 v[132:133], v[184:185], v[192:193], -v[132:133]
	v_mul_f64 v[184:185], v[184:185], v[134:135]
	v_add_f64 v[124:125], v[124:125], -v[132:133]
	s_delay_alu instid0(VALU_DEP_2) | instskip(NEXT) | instid1(VALU_DEP_1)
	v_fma_f64 v[184:185], v[186:187], v[192:193], v[184:185]
	v_add_f64 v[126:127], v[126:127], -v[184:185]
	;; [unrolled: 10-line block ×32, first 2 shown]
	ds_load_2addr_b64 v[184:187], v194 offset0:90 offset1:91
	s_waitcnt lgkmcnt(0)
	v_mul_f64 v[132:133], v[186:187], v[134:135]
	s_delay_alu instid0(VALU_DEP_1) | instskip(SKIP_1) | instid1(VALU_DEP_2)
	v_fma_f64 v[132:133], v[184:185], v[192:193], -v[132:133]
	v_mul_f64 v[184:185], v[184:185], v[134:135]
	v_add_f64 v[0:1], v[0:1], -v[132:133]
	s_delay_alu instid0(VALU_DEP_2) | instskip(SKIP_1) | instid1(VALU_DEP_2)
	v_fma_f64 v[184:185], v[186:187], v[192:193], v[184:185]
	v_dual_mov_b32 v132, v192 :: v_dual_mov_b32 v133, v193
	v_add_f64 v[2:3], v[2:3], -v[184:185]
.LBB90_272:
	s_or_b32 exec_lo, exec_lo, s2
	v_lshl_add_u32 v184, v200, 4, v194
	s_barrier
	buffer_gl0_inv
	v_mov_b32_e32 v192, 13
	ds_store_2addr_b64 v184, v[128:129], v[130:131] offset1:1
	s_waitcnt lgkmcnt(0)
	s_barrier
	buffer_gl0_inv
	ds_load_2addr_b64 v[184:187], v194 offset0:26 offset1:27
	s_cmp_lt_i32 s5, 15
	s_cbranch_scc1 .LBB90_275
; %bb.273:
	v_add3_u32 v193, v199, 0, 0xe0
	v_mov_b32_e32 v192, 13
	s_mov_b32 s6, 14
	s_set_inst_prefetch_distance 0x1
	.p2align	6
.LBB90_274:                             ; =>This Inner Loop Header: Depth=1
	ds_load_2addr_b64 v[201:204], v193 offset1:1
	s_waitcnt lgkmcnt(1)
	v_cmp_gt_f64_e32 vcc_lo, 0, v[184:185]
	v_xor_b32_e32 v205, 0x80000000, v185
	v_cmp_gt_f64_e64 s2, 0, v[186:187]
	v_xor_b32_e32 v207, 0x80000000, v187
	v_add_nc_u32_e32 v193, 16, v193
	s_waitcnt lgkmcnt(0)
	v_cmp_gt_f64_e64 s3, 0, v[201:202]
	v_mov_b32_e32 v209, v201
	v_dual_mov_b32 v211, v203 :: v_dual_cndmask_b32 v206, v185, v205
	v_xor_b32_e32 v205, 0x80000000, v202
	v_cndmask_b32_e64 v208, v187, v207, s2
	v_xor_b32_e32 v207, 0x80000000, v204
	s_delay_alu instid0(VALU_DEP_3) | instskip(SKIP_2) | instid1(VALU_DEP_2)
	v_cndmask_b32_e64 v210, v202, v205, s3
	v_cmp_gt_f64_e64 s3, 0, v[203:204]
	v_cndmask_b32_e32 v205, v184, v184, vcc_lo
	v_cndmask_b32_e64 v212, v204, v207, s3
	v_cndmask_b32_e64 v207, v186, v186, s2
	s_delay_alu instid0(VALU_DEP_2) | instskip(NEXT) | instid1(VALU_DEP_2)
	v_add_f64 v[209:210], v[209:210], v[211:212]
	v_add_f64 v[205:206], v[205:206], v[207:208]
	s_delay_alu instid0(VALU_DEP_1) | instskip(SKIP_4) | instid1(SALU_CYCLE_1)
	v_cmp_lt_f64_e32 vcc_lo, v[205:206], v[209:210]
	v_dual_cndmask_b32 v186, v186, v203 :: v_dual_cndmask_b32 v185, v185, v202
	v_dual_cndmask_b32 v184, v184, v201 :: v_dual_cndmask_b32 v187, v187, v204
	v_cndmask_b32_e64 v192, v192, s6, vcc_lo
	s_add_i32 s6, s6, 1
	s_cmp_lg_u32 s5, s6
	s_cbranch_scc1 .LBB90_274
.LBB90_275:
	s_set_inst_prefetch_distance 0x2
	s_waitcnt lgkmcnt(0)
	v_cmp_eq_f64_e32 vcc_lo, 0, v[184:185]
	v_cmp_eq_f64_e64 s2, 0, v[186:187]
	s_delay_alu instid0(VALU_DEP_1) | instskip(NEXT) | instid1(SALU_CYCLE_1)
	s_and_b32 s2, vcc_lo, s2
	s_and_saveexec_b32 s3, s2
	s_delay_alu instid0(SALU_CYCLE_1)
	s_xor_b32 s2, exec_lo, s3
; %bb.276:
	v_cmp_ne_u32_e32 vcc_lo, 0, v197
	v_cndmask_b32_e32 v197, 14, v197, vcc_lo
; %bb.277:
	s_and_not1_saveexec_b32 s3, s2
	s_cbranch_execz .LBB90_283
; %bb.278:
	v_cmp_gt_f64_e32 vcc_lo, 0, v[184:185]
	v_cmp_gt_f64_e64 s2, 0, v[186:187]
	v_xor_b32_e32 v193, 0x80000000, v185
	v_xor_b32_e32 v201, 0x80000000, v187
	s_delay_alu instid0(VALU_DEP_2) | instskip(NEXT) | instid1(VALU_DEP_2)
	v_cndmask_b32_e32 v202, v185, v193, vcc_lo
	v_cndmask_b32_e64 v204, v187, v201, s2
	v_cndmask_b32_e32 v201, v184, v184, vcc_lo
	v_cndmask_b32_e64 v203, v186, v186, s2
	s_mov_b32 s2, exec_lo
	s_delay_alu instid0(VALU_DEP_1)
	v_cmpx_ngt_f64_e32 v[201:202], v[203:204]
	s_xor_b32 s2, exec_lo, s2
	s_cbranch_execz .LBB90_280
; %bb.279:
	v_div_scale_f64 v[201:202], null, v[186:187], v[186:187], v[184:185]
	v_div_scale_f64 v[207:208], vcc_lo, v[184:185], v[186:187], v[184:185]
	s_delay_alu instid0(VALU_DEP_2) | instskip(SKIP_2) | instid1(VALU_DEP_1)
	v_rcp_f64_e32 v[203:204], v[201:202]
	s_waitcnt_depctr 0xfff
	v_fma_f64 v[205:206], -v[201:202], v[203:204], 1.0
	v_fma_f64 v[203:204], v[203:204], v[205:206], v[203:204]
	s_delay_alu instid0(VALU_DEP_1) | instskip(NEXT) | instid1(VALU_DEP_1)
	v_fma_f64 v[205:206], -v[201:202], v[203:204], 1.0
	v_fma_f64 v[203:204], v[203:204], v[205:206], v[203:204]
	s_delay_alu instid0(VALU_DEP_1) | instskip(NEXT) | instid1(VALU_DEP_1)
	v_mul_f64 v[205:206], v[207:208], v[203:204]
	v_fma_f64 v[201:202], -v[201:202], v[205:206], v[207:208]
	s_delay_alu instid0(VALU_DEP_1) | instskip(NEXT) | instid1(VALU_DEP_1)
	v_div_fmas_f64 v[201:202], v[201:202], v[203:204], v[205:206]
	v_div_fixup_f64 v[201:202], v[201:202], v[186:187], v[184:185]
	s_delay_alu instid0(VALU_DEP_1) | instskip(NEXT) | instid1(VALU_DEP_1)
	v_fma_f64 v[184:185], v[184:185], v[201:202], v[186:187]
	v_div_scale_f64 v[186:187], null, v[184:185], v[184:185], 1.0
	s_delay_alu instid0(VALU_DEP_1) | instskip(SKIP_2) | instid1(VALU_DEP_1)
	v_rcp_f64_e32 v[203:204], v[186:187]
	s_waitcnt_depctr 0xfff
	v_fma_f64 v[205:206], -v[186:187], v[203:204], 1.0
	v_fma_f64 v[203:204], v[203:204], v[205:206], v[203:204]
	s_delay_alu instid0(VALU_DEP_1) | instskip(NEXT) | instid1(VALU_DEP_1)
	v_fma_f64 v[205:206], -v[186:187], v[203:204], 1.0
	v_fma_f64 v[203:204], v[203:204], v[205:206], v[203:204]
	v_div_scale_f64 v[205:206], vcc_lo, 1.0, v[184:185], 1.0
	s_delay_alu instid0(VALU_DEP_1) | instskip(NEXT) | instid1(VALU_DEP_1)
	v_mul_f64 v[207:208], v[205:206], v[203:204]
	v_fma_f64 v[186:187], -v[186:187], v[207:208], v[205:206]
	s_delay_alu instid0(VALU_DEP_1) | instskip(NEXT) | instid1(VALU_DEP_1)
	v_div_fmas_f64 v[186:187], v[186:187], v[203:204], v[207:208]
	v_div_fixup_f64 v[186:187], v[186:187], v[184:185], 1.0
	s_delay_alu instid0(VALU_DEP_1)
	v_mul_f64 v[184:185], v[201:202], v[186:187]
	v_xor_b32_e32 v187, 0x80000000, v187
.LBB90_280:
	s_and_not1_saveexec_b32 s2, s2
	s_cbranch_execz .LBB90_282
; %bb.281:
	s_delay_alu instid0(VALU_DEP_1) | instskip(SKIP_1) | instid1(VALU_DEP_2)
	v_div_scale_f64 v[201:202], null, v[184:185], v[184:185], v[186:187]
	v_div_scale_f64 v[207:208], vcc_lo, v[186:187], v[184:185], v[186:187]
	v_rcp_f64_e32 v[203:204], v[201:202]
	s_waitcnt_depctr 0xfff
	v_fma_f64 v[205:206], -v[201:202], v[203:204], 1.0
	s_delay_alu instid0(VALU_DEP_1) | instskip(NEXT) | instid1(VALU_DEP_1)
	v_fma_f64 v[203:204], v[203:204], v[205:206], v[203:204]
	v_fma_f64 v[205:206], -v[201:202], v[203:204], 1.0
	s_delay_alu instid0(VALU_DEP_1) | instskip(NEXT) | instid1(VALU_DEP_1)
	v_fma_f64 v[203:204], v[203:204], v[205:206], v[203:204]
	v_mul_f64 v[205:206], v[207:208], v[203:204]
	s_delay_alu instid0(VALU_DEP_1) | instskip(NEXT) | instid1(VALU_DEP_1)
	v_fma_f64 v[201:202], -v[201:202], v[205:206], v[207:208]
	v_div_fmas_f64 v[201:202], v[201:202], v[203:204], v[205:206]
	s_delay_alu instid0(VALU_DEP_1) | instskip(NEXT) | instid1(VALU_DEP_1)
	v_div_fixup_f64 v[201:202], v[201:202], v[184:185], v[186:187]
	v_fma_f64 v[184:185], v[186:187], v[201:202], v[184:185]
	s_delay_alu instid0(VALU_DEP_1) | instskip(NEXT) | instid1(VALU_DEP_1)
	v_div_scale_f64 v[186:187], null, v[184:185], v[184:185], 1.0
	v_rcp_f64_e32 v[203:204], v[186:187]
	s_waitcnt_depctr 0xfff
	v_fma_f64 v[205:206], -v[186:187], v[203:204], 1.0
	s_delay_alu instid0(VALU_DEP_1) | instskip(NEXT) | instid1(VALU_DEP_1)
	v_fma_f64 v[203:204], v[203:204], v[205:206], v[203:204]
	v_fma_f64 v[205:206], -v[186:187], v[203:204], 1.0
	s_delay_alu instid0(VALU_DEP_1) | instskip(SKIP_1) | instid1(VALU_DEP_1)
	v_fma_f64 v[203:204], v[203:204], v[205:206], v[203:204]
	v_div_scale_f64 v[205:206], vcc_lo, 1.0, v[184:185], 1.0
	v_mul_f64 v[207:208], v[205:206], v[203:204]
	s_delay_alu instid0(VALU_DEP_1) | instskip(NEXT) | instid1(VALU_DEP_1)
	v_fma_f64 v[186:187], -v[186:187], v[207:208], v[205:206]
	v_div_fmas_f64 v[186:187], v[186:187], v[203:204], v[207:208]
	s_delay_alu instid0(VALU_DEP_1) | instskip(NEXT) | instid1(VALU_DEP_1)
	v_div_fixup_f64 v[184:185], v[186:187], v[184:185], 1.0
	v_mul_f64 v[186:187], v[201:202], -v[184:185]
.LBB90_282:
	s_or_b32 exec_lo, exec_lo, s2
.LBB90_283:
	s_delay_alu instid0(SALU_CYCLE_1) | instskip(NEXT) | instid1(SALU_CYCLE_1)
	s_or_b32 exec_lo, exec_lo, s3
	s_mov_b32 s2, exec_lo
	v_cmpx_ne_u32_e64 v200, v192
	s_xor_b32 s2, exec_lo, s2
	s_cbranch_execz .LBB90_289
; %bb.284:
	s_mov_b32 s3, exec_lo
	v_cmpx_eq_u32_e32 13, v200
	s_cbranch_execz .LBB90_288
; %bb.285:
	v_cmp_ne_u32_e32 vcc_lo, 13, v192
	s_xor_b32 s6, s4, -1
	s_delay_alu instid0(SALU_CYCLE_1) | instskip(NEXT) | instid1(SALU_CYCLE_1)
	s_and_b32 s7, s6, vcc_lo
	s_and_saveexec_b32 s6, s7
	s_cbranch_execz .LBB90_287
; %bb.286:
	v_ashrrev_i32_e32 v193, 31, v192
	s_delay_alu instid0(VALU_DEP_1) | instskip(NEXT) | instid1(VALU_DEP_1)
	v_lshlrev_b64 v[200:201], 2, v[192:193]
	v_add_co_u32 v200, vcc_lo, v190, v200
	s_delay_alu instid0(VALU_DEP_2)
	v_add_co_ci_u32_e32 v201, vcc_lo, v191, v201, vcc_lo
	s_clause 0x1
	flat_load_b32 v193, v[200:201]
	flat_load_b32 v198, v[190:191] offset:52
	s_waitcnt vmcnt(1) lgkmcnt(1)
	flat_store_b32 v[190:191], v193 offset:52
	s_waitcnt vmcnt(0) lgkmcnt(1)
	flat_store_b32 v[200:201], v198
.LBB90_287:
	s_or_b32 exec_lo, exec_lo, s6
	v_mov_b32_e32 v200, v192
	v_mov_b32_e32 v198, v192
.LBB90_288:
	s_or_b32 exec_lo, exec_lo, s3
.LBB90_289:
	s_and_not1_saveexec_b32 s2, s2
	s_cbranch_execz .LBB90_291
; %bb.290:
	v_mov_b32_e32 v200, 13
	ds_store_2addr_b64 v194, v[124:125], v[126:127] offset0:28 offset1:29
	ds_store_2addr_b64 v194, v[120:121], v[122:123] offset0:30 offset1:31
	;; [unrolled: 1-line block ×32, first 2 shown]
.LBB90_291:
	s_or_b32 exec_lo, exec_lo, s2
	s_delay_alu instid0(SALU_CYCLE_1)
	s_mov_b32 s2, exec_lo
	s_waitcnt lgkmcnt(0)
	s_waitcnt_vscnt null, 0x0
	s_barrier
	buffer_gl0_inv
	v_cmpx_lt_i32_e32 13, v200
	s_cbranch_execz .LBB90_293
; %bb.292:
	v_mul_f64 v[192:193], v[186:187], v[130:131]
	v_mul_f64 v[130:131], v[184:185], v[130:131]
	s_delay_alu instid0(VALU_DEP_2) | instskip(NEXT) | instid1(VALU_DEP_2)
	v_fma_f64 v[192:193], v[184:185], v[128:129], -v[192:193]
	v_fma_f64 v[130:131], v[186:187], v[128:129], v[130:131]
	ds_load_2addr_b64 v[184:187], v194 offset0:28 offset1:29
	s_waitcnt lgkmcnt(0)
	v_mul_f64 v[128:129], v[186:187], v[130:131]
	s_delay_alu instid0(VALU_DEP_1) | instskip(SKIP_1) | instid1(VALU_DEP_2)
	v_fma_f64 v[128:129], v[184:185], v[192:193], -v[128:129]
	v_mul_f64 v[184:185], v[184:185], v[130:131]
	v_add_f64 v[124:125], v[124:125], -v[128:129]
	s_delay_alu instid0(VALU_DEP_2) | instskip(NEXT) | instid1(VALU_DEP_1)
	v_fma_f64 v[184:185], v[186:187], v[192:193], v[184:185]
	v_add_f64 v[126:127], v[126:127], -v[184:185]
	ds_load_2addr_b64 v[184:187], v194 offset0:30 offset1:31
	s_waitcnt lgkmcnt(0)
	v_mul_f64 v[128:129], v[186:187], v[130:131]
	s_delay_alu instid0(VALU_DEP_1) | instskip(SKIP_1) | instid1(VALU_DEP_2)
	v_fma_f64 v[128:129], v[184:185], v[192:193], -v[128:129]
	v_mul_f64 v[184:185], v[184:185], v[130:131]
	v_add_f64 v[120:121], v[120:121], -v[128:129]
	s_delay_alu instid0(VALU_DEP_2) | instskip(NEXT) | instid1(VALU_DEP_1)
	v_fma_f64 v[184:185], v[186:187], v[192:193], v[184:185]
	v_add_f64 v[122:123], v[122:123], -v[184:185]
	;; [unrolled: 10-line block ×31, first 2 shown]
	ds_load_2addr_b64 v[184:187], v194 offset0:90 offset1:91
	s_waitcnt lgkmcnt(0)
	v_mul_f64 v[128:129], v[186:187], v[130:131]
	s_delay_alu instid0(VALU_DEP_1) | instskip(SKIP_1) | instid1(VALU_DEP_2)
	v_fma_f64 v[128:129], v[184:185], v[192:193], -v[128:129]
	v_mul_f64 v[184:185], v[184:185], v[130:131]
	v_add_f64 v[0:1], v[0:1], -v[128:129]
	s_delay_alu instid0(VALU_DEP_2) | instskip(SKIP_1) | instid1(VALU_DEP_2)
	v_fma_f64 v[184:185], v[186:187], v[192:193], v[184:185]
	v_dual_mov_b32 v128, v192 :: v_dual_mov_b32 v129, v193
	v_add_f64 v[2:3], v[2:3], -v[184:185]
.LBB90_293:
	s_or_b32 exec_lo, exec_lo, s2
	v_lshl_add_u32 v184, v200, 4, v194
	s_barrier
	buffer_gl0_inv
	v_mov_b32_e32 v192, 14
	ds_store_2addr_b64 v184, v[124:125], v[126:127] offset1:1
	s_waitcnt lgkmcnt(0)
	s_barrier
	buffer_gl0_inv
	ds_load_2addr_b64 v[184:187], v194 offset0:28 offset1:29
	s_cmp_lt_i32 s5, 16
	s_cbranch_scc1 .LBB90_296
; %bb.294:
	v_add3_u32 v193, v199, 0, 0xf0
	v_mov_b32_e32 v192, 14
	s_mov_b32 s6, 15
	s_set_inst_prefetch_distance 0x1
	.p2align	6
.LBB90_295:                             ; =>This Inner Loop Header: Depth=1
	ds_load_2addr_b64 v[201:204], v193 offset1:1
	s_waitcnt lgkmcnt(1)
	v_cmp_gt_f64_e32 vcc_lo, 0, v[184:185]
	v_xor_b32_e32 v205, 0x80000000, v185
	v_cmp_gt_f64_e64 s2, 0, v[186:187]
	v_xor_b32_e32 v207, 0x80000000, v187
	v_add_nc_u32_e32 v193, 16, v193
	s_waitcnt lgkmcnt(0)
	v_cmp_gt_f64_e64 s3, 0, v[201:202]
	v_mov_b32_e32 v209, v201
	v_dual_mov_b32 v211, v203 :: v_dual_cndmask_b32 v206, v185, v205
	v_xor_b32_e32 v205, 0x80000000, v202
	v_cndmask_b32_e64 v208, v187, v207, s2
	v_xor_b32_e32 v207, 0x80000000, v204
	s_delay_alu instid0(VALU_DEP_3) | instskip(SKIP_2) | instid1(VALU_DEP_2)
	v_cndmask_b32_e64 v210, v202, v205, s3
	v_cmp_gt_f64_e64 s3, 0, v[203:204]
	v_cndmask_b32_e32 v205, v184, v184, vcc_lo
	v_cndmask_b32_e64 v212, v204, v207, s3
	v_cndmask_b32_e64 v207, v186, v186, s2
	s_delay_alu instid0(VALU_DEP_2) | instskip(NEXT) | instid1(VALU_DEP_2)
	v_add_f64 v[209:210], v[209:210], v[211:212]
	v_add_f64 v[205:206], v[205:206], v[207:208]
	s_delay_alu instid0(VALU_DEP_1) | instskip(SKIP_4) | instid1(SALU_CYCLE_1)
	v_cmp_lt_f64_e32 vcc_lo, v[205:206], v[209:210]
	v_dual_cndmask_b32 v186, v186, v203 :: v_dual_cndmask_b32 v185, v185, v202
	v_dual_cndmask_b32 v184, v184, v201 :: v_dual_cndmask_b32 v187, v187, v204
	v_cndmask_b32_e64 v192, v192, s6, vcc_lo
	s_add_i32 s6, s6, 1
	s_cmp_lg_u32 s5, s6
	s_cbranch_scc1 .LBB90_295
.LBB90_296:
	s_set_inst_prefetch_distance 0x2
	s_waitcnt lgkmcnt(0)
	v_cmp_eq_f64_e32 vcc_lo, 0, v[184:185]
	v_cmp_eq_f64_e64 s2, 0, v[186:187]
	s_delay_alu instid0(VALU_DEP_1) | instskip(NEXT) | instid1(SALU_CYCLE_1)
	s_and_b32 s2, vcc_lo, s2
	s_and_saveexec_b32 s3, s2
	s_delay_alu instid0(SALU_CYCLE_1)
	s_xor_b32 s2, exec_lo, s3
; %bb.297:
	v_cmp_ne_u32_e32 vcc_lo, 0, v197
	v_cndmask_b32_e32 v197, 15, v197, vcc_lo
; %bb.298:
	s_and_not1_saveexec_b32 s3, s2
	s_cbranch_execz .LBB90_304
; %bb.299:
	v_cmp_gt_f64_e32 vcc_lo, 0, v[184:185]
	v_cmp_gt_f64_e64 s2, 0, v[186:187]
	v_xor_b32_e32 v193, 0x80000000, v185
	v_xor_b32_e32 v201, 0x80000000, v187
	s_delay_alu instid0(VALU_DEP_2) | instskip(NEXT) | instid1(VALU_DEP_2)
	v_cndmask_b32_e32 v202, v185, v193, vcc_lo
	v_cndmask_b32_e64 v204, v187, v201, s2
	v_cndmask_b32_e32 v201, v184, v184, vcc_lo
	v_cndmask_b32_e64 v203, v186, v186, s2
	s_mov_b32 s2, exec_lo
	s_delay_alu instid0(VALU_DEP_1)
	v_cmpx_ngt_f64_e32 v[201:202], v[203:204]
	s_xor_b32 s2, exec_lo, s2
	s_cbranch_execz .LBB90_301
; %bb.300:
	v_div_scale_f64 v[201:202], null, v[186:187], v[186:187], v[184:185]
	v_div_scale_f64 v[207:208], vcc_lo, v[184:185], v[186:187], v[184:185]
	s_delay_alu instid0(VALU_DEP_2) | instskip(SKIP_2) | instid1(VALU_DEP_1)
	v_rcp_f64_e32 v[203:204], v[201:202]
	s_waitcnt_depctr 0xfff
	v_fma_f64 v[205:206], -v[201:202], v[203:204], 1.0
	v_fma_f64 v[203:204], v[203:204], v[205:206], v[203:204]
	s_delay_alu instid0(VALU_DEP_1) | instskip(NEXT) | instid1(VALU_DEP_1)
	v_fma_f64 v[205:206], -v[201:202], v[203:204], 1.0
	v_fma_f64 v[203:204], v[203:204], v[205:206], v[203:204]
	s_delay_alu instid0(VALU_DEP_1) | instskip(NEXT) | instid1(VALU_DEP_1)
	v_mul_f64 v[205:206], v[207:208], v[203:204]
	v_fma_f64 v[201:202], -v[201:202], v[205:206], v[207:208]
	s_delay_alu instid0(VALU_DEP_1) | instskip(NEXT) | instid1(VALU_DEP_1)
	v_div_fmas_f64 v[201:202], v[201:202], v[203:204], v[205:206]
	v_div_fixup_f64 v[201:202], v[201:202], v[186:187], v[184:185]
	s_delay_alu instid0(VALU_DEP_1) | instskip(NEXT) | instid1(VALU_DEP_1)
	v_fma_f64 v[184:185], v[184:185], v[201:202], v[186:187]
	v_div_scale_f64 v[186:187], null, v[184:185], v[184:185], 1.0
	s_delay_alu instid0(VALU_DEP_1) | instskip(SKIP_2) | instid1(VALU_DEP_1)
	v_rcp_f64_e32 v[203:204], v[186:187]
	s_waitcnt_depctr 0xfff
	v_fma_f64 v[205:206], -v[186:187], v[203:204], 1.0
	v_fma_f64 v[203:204], v[203:204], v[205:206], v[203:204]
	s_delay_alu instid0(VALU_DEP_1) | instskip(NEXT) | instid1(VALU_DEP_1)
	v_fma_f64 v[205:206], -v[186:187], v[203:204], 1.0
	v_fma_f64 v[203:204], v[203:204], v[205:206], v[203:204]
	v_div_scale_f64 v[205:206], vcc_lo, 1.0, v[184:185], 1.0
	s_delay_alu instid0(VALU_DEP_1) | instskip(NEXT) | instid1(VALU_DEP_1)
	v_mul_f64 v[207:208], v[205:206], v[203:204]
	v_fma_f64 v[186:187], -v[186:187], v[207:208], v[205:206]
	s_delay_alu instid0(VALU_DEP_1) | instskip(NEXT) | instid1(VALU_DEP_1)
	v_div_fmas_f64 v[186:187], v[186:187], v[203:204], v[207:208]
	v_div_fixup_f64 v[186:187], v[186:187], v[184:185], 1.0
	s_delay_alu instid0(VALU_DEP_1)
	v_mul_f64 v[184:185], v[201:202], v[186:187]
	v_xor_b32_e32 v187, 0x80000000, v187
.LBB90_301:
	s_and_not1_saveexec_b32 s2, s2
	s_cbranch_execz .LBB90_303
; %bb.302:
	s_delay_alu instid0(VALU_DEP_1) | instskip(SKIP_1) | instid1(VALU_DEP_2)
	v_div_scale_f64 v[201:202], null, v[184:185], v[184:185], v[186:187]
	v_div_scale_f64 v[207:208], vcc_lo, v[186:187], v[184:185], v[186:187]
	v_rcp_f64_e32 v[203:204], v[201:202]
	s_waitcnt_depctr 0xfff
	v_fma_f64 v[205:206], -v[201:202], v[203:204], 1.0
	s_delay_alu instid0(VALU_DEP_1) | instskip(NEXT) | instid1(VALU_DEP_1)
	v_fma_f64 v[203:204], v[203:204], v[205:206], v[203:204]
	v_fma_f64 v[205:206], -v[201:202], v[203:204], 1.0
	s_delay_alu instid0(VALU_DEP_1) | instskip(NEXT) | instid1(VALU_DEP_1)
	v_fma_f64 v[203:204], v[203:204], v[205:206], v[203:204]
	v_mul_f64 v[205:206], v[207:208], v[203:204]
	s_delay_alu instid0(VALU_DEP_1) | instskip(NEXT) | instid1(VALU_DEP_1)
	v_fma_f64 v[201:202], -v[201:202], v[205:206], v[207:208]
	v_div_fmas_f64 v[201:202], v[201:202], v[203:204], v[205:206]
	s_delay_alu instid0(VALU_DEP_1) | instskip(NEXT) | instid1(VALU_DEP_1)
	v_div_fixup_f64 v[201:202], v[201:202], v[184:185], v[186:187]
	v_fma_f64 v[184:185], v[186:187], v[201:202], v[184:185]
	s_delay_alu instid0(VALU_DEP_1) | instskip(NEXT) | instid1(VALU_DEP_1)
	v_div_scale_f64 v[186:187], null, v[184:185], v[184:185], 1.0
	v_rcp_f64_e32 v[203:204], v[186:187]
	s_waitcnt_depctr 0xfff
	v_fma_f64 v[205:206], -v[186:187], v[203:204], 1.0
	s_delay_alu instid0(VALU_DEP_1) | instskip(NEXT) | instid1(VALU_DEP_1)
	v_fma_f64 v[203:204], v[203:204], v[205:206], v[203:204]
	v_fma_f64 v[205:206], -v[186:187], v[203:204], 1.0
	s_delay_alu instid0(VALU_DEP_1) | instskip(SKIP_1) | instid1(VALU_DEP_1)
	v_fma_f64 v[203:204], v[203:204], v[205:206], v[203:204]
	v_div_scale_f64 v[205:206], vcc_lo, 1.0, v[184:185], 1.0
	v_mul_f64 v[207:208], v[205:206], v[203:204]
	s_delay_alu instid0(VALU_DEP_1) | instskip(NEXT) | instid1(VALU_DEP_1)
	v_fma_f64 v[186:187], -v[186:187], v[207:208], v[205:206]
	v_div_fmas_f64 v[186:187], v[186:187], v[203:204], v[207:208]
	s_delay_alu instid0(VALU_DEP_1) | instskip(NEXT) | instid1(VALU_DEP_1)
	v_div_fixup_f64 v[184:185], v[186:187], v[184:185], 1.0
	v_mul_f64 v[186:187], v[201:202], -v[184:185]
.LBB90_303:
	s_or_b32 exec_lo, exec_lo, s2
.LBB90_304:
	s_delay_alu instid0(SALU_CYCLE_1) | instskip(NEXT) | instid1(SALU_CYCLE_1)
	s_or_b32 exec_lo, exec_lo, s3
	s_mov_b32 s2, exec_lo
	v_cmpx_ne_u32_e64 v200, v192
	s_xor_b32 s2, exec_lo, s2
	s_cbranch_execz .LBB90_310
; %bb.305:
	s_mov_b32 s3, exec_lo
	v_cmpx_eq_u32_e32 14, v200
	s_cbranch_execz .LBB90_309
; %bb.306:
	v_cmp_ne_u32_e32 vcc_lo, 14, v192
	s_xor_b32 s6, s4, -1
	s_delay_alu instid0(SALU_CYCLE_1) | instskip(NEXT) | instid1(SALU_CYCLE_1)
	s_and_b32 s7, s6, vcc_lo
	s_and_saveexec_b32 s6, s7
	s_cbranch_execz .LBB90_308
; %bb.307:
	v_ashrrev_i32_e32 v193, 31, v192
	s_delay_alu instid0(VALU_DEP_1) | instskip(NEXT) | instid1(VALU_DEP_1)
	v_lshlrev_b64 v[200:201], 2, v[192:193]
	v_add_co_u32 v200, vcc_lo, v190, v200
	s_delay_alu instid0(VALU_DEP_2)
	v_add_co_ci_u32_e32 v201, vcc_lo, v191, v201, vcc_lo
	s_clause 0x1
	flat_load_b32 v193, v[200:201]
	flat_load_b32 v198, v[190:191] offset:56
	s_waitcnt vmcnt(1) lgkmcnt(1)
	flat_store_b32 v[190:191], v193 offset:56
	s_waitcnt vmcnt(0) lgkmcnt(1)
	flat_store_b32 v[200:201], v198
.LBB90_308:
	s_or_b32 exec_lo, exec_lo, s6
	v_mov_b32_e32 v200, v192
	v_mov_b32_e32 v198, v192
.LBB90_309:
	s_or_b32 exec_lo, exec_lo, s3
.LBB90_310:
	s_and_not1_saveexec_b32 s2, s2
	s_cbranch_execz .LBB90_312
; %bb.311:
	v_mov_b32_e32 v200, 14
	ds_store_2addr_b64 v194, v[120:121], v[122:123] offset0:30 offset1:31
	ds_store_2addr_b64 v194, v[116:117], v[118:119] offset0:32 offset1:33
	;; [unrolled: 1-line block ×31, first 2 shown]
.LBB90_312:
	s_or_b32 exec_lo, exec_lo, s2
	s_delay_alu instid0(SALU_CYCLE_1)
	s_mov_b32 s2, exec_lo
	s_waitcnt lgkmcnt(0)
	s_waitcnt_vscnt null, 0x0
	s_barrier
	buffer_gl0_inv
	v_cmpx_lt_i32_e32 14, v200
	s_cbranch_execz .LBB90_314
; %bb.313:
	v_mul_f64 v[192:193], v[186:187], v[126:127]
	v_mul_f64 v[126:127], v[184:185], v[126:127]
	s_delay_alu instid0(VALU_DEP_2) | instskip(NEXT) | instid1(VALU_DEP_2)
	v_fma_f64 v[192:193], v[184:185], v[124:125], -v[192:193]
	v_fma_f64 v[126:127], v[186:187], v[124:125], v[126:127]
	ds_load_2addr_b64 v[184:187], v194 offset0:30 offset1:31
	s_waitcnt lgkmcnt(0)
	v_mul_f64 v[124:125], v[186:187], v[126:127]
	s_delay_alu instid0(VALU_DEP_1) | instskip(SKIP_1) | instid1(VALU_DEP_2)
	v_fma_f64 v[124:125], v[184:185], v[192:193], -v[124:125]
	v_mul_f64 v[184:185], v[184:185], v[126:127]
	v_add_f64 v[120:121], v[120:121], -v[124:125]
	s_delay_alu instid0(VALU_DEP_2) | instskip(NEXT) | instid1(VALU_DEP_1)
	v_fma_f64 v[184:185], v[186:187], v[192:193], v[184:185]
	v_add_f64 v[122:123], v[122:123], -v[184:185]
	ds_load_2addr_b64 v[184:187], v194 offset0:32 offset1:33
	s_waitcnt lgkmcnt(0)
	v_mul_f64 v[124:125], v[186:187], v[126:127]
	s_delay_alu instid0(VALU_DEP_1) | instskip(SKIP_1) | instid1(VALU_DEP_2)
	v_fma_f64 v[124:125], v[184:185], v[192:193], -v[124:125]
	v_mul_f64 v[184:185], v[184:185], v[126:127]
	v_add_f64 v[116:117], v[116:117], -v[124:125]
	s_delay_alu instid0(VALU_DEP_2) | instskip(NEXT) | instid1(VALU_DEP_1)
	v_fma_f64 v[184:185], v[186:187], v[192:193], v[184:185]
	v_add_f64 v[118:119], v[118:119], -v[184:185]
	;; [unrolled: 10-line block ×30, first 2 shown]
	ds_load_2addr_b64 v[184:187], v194 offset0:90 offset1:91
	s_waitcnt lgkmcnt(0)
	v_mul_f64 v[124:125], v[186:187], v[126:127]
	s_delay_alu instid0(VALU_DEP_1) | instskip(SKIP_1) | instid1(VALU_DEP_2)
	v_fma_f64 v[124:125], v[184:185], v[192:193], -v[124:125]
	v_mul_f64 v[184:185], v[184:185], v[126:127]
	v_add_f64 v[0:1], v[0:1], -v[124:125]
	s_delay_alu instid0(VALU_DEP_2) | instskip(SKIP_1) | instid1(VALU_DEP_2)
	v_fma_f64 v[184:185], v[186:187], v[192:193], v[184:185]
	v_dual_mov_b32 v124, v192 :: v_dual_mov_b32 v125, v193
	v_add_f64 v[2:3], v[2:3], -v[184:185]
.LBB90_314:
	s_or_b32 exec_lo, exec_lo, s2
	v_lshl_add_u32 v184, v200, 4, v194
	s_barrier
	buffer_gl0_inv
	v_mov_b32_e32 v192, 15
	ds_store_2addr_b64 v184, v[120:121], v[122:123] offset1:1
	s_waitcnt lgkmcnt(0)
	s_barrier
	buffer_gl0_inv
	ds_load_2addr_b64 v[184:187], v194 offset0:30 offset1:31
	s_cmp_lt_i32 s5, 17
	s_cbranch_scc1 .LBB90_317
; %bb.315:
	v_add3_u32 v193, v199, 0, 0x100
	v_mov_b32_e32 v192, 15
	s_mov_b32 s6, 16
	s_set_inst_prefetch_distance 0x1
	.p2align	6
.LBB90_316:                             ; =>This Inner Loop Header: Depth=1
	ds_load_2addr_b64 v[201:204], v193 offset1:1
	s_waitcnt lgkmcnt(1)
	v_cmp_gt_f64_e32 vcc_lo, 0, v[184:185]
	v_xor_b32_e32 v205, 0x80000000, v185
	v_cmp_gt_f64_e64 s2, 0, v[186:187]
	v_xor_b32_e32 v207, 0x80000000, v187
	v_add_nc_u32_e32 v193, 16, v193
	s_waitcnt lgkmcnt(0)
	v_cmp_gt_f64_e64 s3, 0, v[201:202]
	v_mov_b32_e32 v209, v201
	v_dual_mov_b32 v211, v203 :: v_dual_cndmask_b32 v206, v185, v205
	v_xor_b32_e32 v205, 0x80000000, v202
	v_cndmask_b32_e64 v208, v187, v207, s2
	v_xor_b32_e32 v207, 0x80000000, v204
	s_delay_alu instid0(VALU_DEP_3) | instskip(SKIP_2) | instid1(VALU_DEP_2)
	v_cndmask_b32_e64 v210, v202, v205, s3
	v_cmp_gt_f64_e64 s3, 0, v[203:204]
	v_cndmask_b32_e32 v205, v184, v184, vcc_lo
	v_cndmask_b32_e64 v212, v204, v207, s3
	v_cndmask_b32_e64 v207, v186, v186, s2
	s_delay_alu instid0(VALU_DEP_2) | instskip(NEXT) | instid1(VALU_DEP_2)
	v_add_f64 v[209:210], v[209:210], v[211:212]
	v_add_f64 v[205:206], v[205:206], v[207:208]
	s_delay_alu instid0(VALU_DEP_1) | instskip(SKIP_4) | instid1(SALU_CYCLE_1)
	v_cmp_lt_f64_e32 vcc_lo, v[205:206], v[209:210]
	v_dual_cndmask_b32 v186, v186, v203 :: v_dual_cndmask_b32 v185, v185, v202
	v_dual_cndmask_b32 v184, v184, v201 :: v_dual_cndmask_b32 v187, v187, v204
	v_cndmask_b32_e64 v192, v192, s6, vcc_lo
	s_add_i32 s6, s6, 1
	s_cmp_lg_u32 s5, s6
	s_cbranch_scc1 .LBB90_316
.LBB90_317:
	s_set_inst_prefetch_distance 0x2
	s_waitcnt lgkmcnt(0)
	v_cmp_eq_f64_e32 vcc_lo, 0, v[184:185]
	v_cmp_eq_f64_e64 s2, 0, v[186:187]
	s_delay_alu instid0(VALU_DEP_1) | instskip(NEXT) | instid1(SALU_CYCLE_1)
	s_and_b32 s2, vcc_lo, s2
	s_and_saveexec_b32 s3, s2
	s_delay_alu instid0(SALU_CYCLE_1)
	s_xor_b32 s2, exec_lo, s3
; %bb.318:
	v_cmp_ne_u32_e32 vcc_lo, 0, v197
	v_cndmask_b32_e32 v197, 16, v197, vcc_lo
; %bb.319:
	s_and_not1_saveexec_b32 s3, s2
	s_cbranch_execz .LBB90_325
; %bb.320:
	v_cmp_gt_f64_e32 vcc_lo, 0, v[184:185]
	v_cmp_gt_f64_e64 s2, 0, v[186:187]
	v_xor_b32_e32 v193, 0x80000000, v185
	v_xor_b32_e32 v201, 0x80000000, v187
	s_delay_alu instid0(VALU_DEP_2) | instskip(NEXT) | instid1(VALU_DEP_2)
	v_cndmask_b32_e32 v202, v185, v193, vcc_lo
	v_cndmask_b32_e64 v204, v187, v201, s2
	v_cndmask_b32_e32 v201, v184, v184, vcc_lo
	v_cndmask_b32_e64 v203, v186, v186, s2
	s_mov_b32 s2, exec_lo
	s_delay_alu instid0(VALU_DEP_1)
	v_cmpx_ngt_f64_e32 v[201:202], v[203:204]
	s_xor_b32 s2, exec_lo, s2
	s_cbranch_execz .LBB90_322
; %bb.321:
	v_div_scale_f64 v[201:202], null, v[186:187], v[186:187], v[184:185]
	v_div_scale_f64 v[207:208], vcc_lo, v[184:185], v[186:187], v[184:185]
	s_delay_alu instid0(VALU_DEP_2) | instskip(SKIP_2) | instid1(VALU_DEP_1)
	v_rcp_f64_e32 v[203:204], v[201:202]
	s_waitcnt_depctr 0xfff
	v_fma_f64 v[205:206], -v[201:202], v[203:204], 1.0
	v_fma_f64 v[203:204], v[203:204], v[205:206], v[203:204]
	s_delay_alu instid0(VALU_DEP_1) | instskip(NEXT) | instid1(VALU_DEP_1)
	v_fma_f64 v[205:206], -v[201:202], v[203:204], 1.0
	v_fma_f64 v[203:204], v[203:204], v[205:206], v[203:204]
	s_delay_alu instid0(VALU_DEP_1) | instskip(NEXT) | instid1(VALU_DEP_1)
	v_mul_f64 v[205:206], v[207:208], v[203:204]
	v_fma_f64 v[201:202], -v[201:202], v[205:206], v[207:208]
	s_delay_alu instid0(VALU_DEP_1) | instskip(NEXT) | instid1(VALU_DEP_1)
	v_div_fmas_f64 v[201:202], v[201:202], v[203:204], v[205:206]
	v_div_fixup_f64 v[201:202], v[201:202], v[186:187], v[184:185]
	s_delay_alu instid0(VALU_DEP_1) | instskip(NEXT) | instid1(VALU_DEP_1)
	v_fma_f64 v[184:185], v[184:185], v[201:202], v[186:187]
	v_div_scale_f64 v[186:187], null, v[184:185], v[184:185], 1.0
	s_delay_alu instid0(VALU_DEP_1) | instskip(SKIP_2) | instid1(VALU_DEP_1)
	v_rcp_f64_e32 v[203:204], v[186:187]
	s_waitcnt_depctr 0xfff
	v_fma_f64 v[205:206], -v[186:187], v[203:204], 1.0
	v_fma_f64 v[203:204], v[203:204], v[205:206], v[203:204]
	s_delay_alu instid0(VALU_DEP_1) | instskip(NEXT) | instid1(VALU_DEP_1)
	v_fma_f64 v[205:206], -v[186:187], v[203:204], 1.0
	v_fma_f64 v[203:204], v[203:204], v[205:206], v[203:204]
	v_div_scale_f64 v[205:206], vcc_lo, 1.0, v[184:185], 1.0
	s_delay_alu instid0(VALU_DEP_1) | instskip(NEXT) | instid1(VALU_DEP_1)
	v_mul_f64 v[207:208], v[205:206], v[203:204]
	v_fma_f64 v[186:187], -v[186:187], v[207:208], v[205:206]
	s_delay_alu instid0(VALU_DEP_1) | instskip(NEXT) | instid1(VALU_DEP_1)
	v_div_fmas_f64 v[186:187], v[186:187], v[203:204], v[207:208]
	v_div_fixup_f64 v[186:187], v[186:187], v[184:185], 1.0
	s_delay_alu instid0(VALU_DEP_1)
	v_mul_f64 v[184:185], v[201:202], v[186:187]
	v_xor_b32_e32 v187, 0x80000000, v187
.LBB90_322:
	s_and_not1_saveexec_b32 s2, s2
	s_cbranch_execz .LBB90_324
; %bb.323:
	s_delay_alu instid0(VALU_DEP_1) | instskip(SKIP_1) | instid1(VALU_DEP_2)
	v_div_scale_f64 v[201:202], null, v[184:185], v[184:185], v[186:187]
	v_div_scale_f64 v[207:208], vcc_lo, v[186:187], v[184:185], v[186:187]
	v_rcp_f64_e32 v[203:204], v[201:202]
	s_waitcnt_depctr 0xfff
	v_fma_f64 v[205:206], -v[201:202], v[203:204], 1.0
	s_delay_alu instid0(VALU_DEP_1) | instskip(NEXT) | instid1(VALU_DEP_1)
	v_fma_f64 v[203:204], v[203:204], v[205:206], v[203:204]
	v_fma_f64 v[205:206], -v[201:202], v[203:204], 1.0
	s_delay_alu instid0(VALU_DEP_1) | instskip(NEXT) | instid1(VALU_DEP_1)
	v_fma_f64 v[203:204], v[203:204], v[205:206], v[203:204]
	v_mul_f64 v[205:206], v[207:208], v[203:204]
	s_delay_alu instid0(VALU_DEP_1) | instskip(NEXT) | instid1(VALU_DEP_1)
	v_fma_f64 v[201:202], -v[201:202], v[205:206], v[207:208]
	v_div_fmas_f64 v[201:202], v[201:202], v[203:204], v[205:206]
	s_delay_alu instid0(VALU_DEP_1) | instskip(NEXT) | instid1(VALU_DEP_1)
	v_div_fixup_f64 v[201:202], v[201:202], v[184:185], v[186:187]
	v_fma_f64 v[184:185], v[186:187], v[201:202], v[184:185]
	s_delay_alu instid0(VALU_DEP_1) | instskip(NEXT) | instid1(VALU_DEP_1)
	v_div_scale_f64 v[186:187], null, v[184:185], v[184:185], 1.0
	v_rcp_f64_e32 v[203:204], v[186:187]
	s_waitcnt_depctr 0xfff
	v_fma_f64 v[205:206], -v[186:187], v[203:204], 1.0
	s_delay_alu instid0(VALU_DEP_1) | instskip(NEXT) | instid1(VALU_DEP_1)
	v_fma_f64 v[203:204], v[203:204], v[205:206], v[203:204]
	v_fma_f64 v[205:206], -v[186:187], v[203:204], 1.0
	s_delay_alu instid0(VALU_DEP_1) | instskip(SKIP_1) | instid1(VALU_DEP_1)
	v_fma_f64 v[203:204], v[203:204], v[205:206], v[203:204]
	v_div_scale_f64 v[205:206], vcc_lo, 1.0, v[184:185], 1.0
	v_mul_f64 v[207:208], v[205:206], v[203:204]
	s_delay_alu instid0(VALU_DEP_1) | instskip(NEXT) | instid1(VALU_DEP_1)
	v_fma_f64 v[186:187], -v[186:187], v[207:208], v[205:206]
	v_div_fmas_f64 v[186:187], v[186:187], v[203:204], v[207:208]
	s_delay_alu instid0(VALU_DEP_1) | instskip(NEXT) | instid1(VALU_DEP_1)
	v_div_fixup_f64 v[184:185], v[186:187], v[184:185], 1.0
	v_mul_f64 v[186:187], v[201:202], -v[184:185]
.LBB90_324:
	s_or_b32 exec_lo, exec_lo, s2
.LBB90_325:
	s_delay_alu instid0(SALU_CYCLE_1) | instskip(NEXT) | instid1(SALU_CYCLE_1)
	s_or_b32 exec_lo, exec_lo, s3
	s_mov_b32 s2, exec_lo
	v_cmpx_ne_u32_e64 v200, v192
	s_xor_b32 s2, exec_lo, s2
	s_cbranch_execz .LBB90_331
; %bb.326:
	s_mov_b32 s3, exec_lo
	v_cmpx_eq_u32_e32 15, v200
	s_cbranch_execz .LBB90_330
; %bb.327:
	v_cmp_ne_u32_e32 vcc_lo, 15, v192
	s_xor_b32 s6, s4, -1
	s_delay_alu instid0(SALU_CYCLE_1) | instskip(NEXT) | instid1(SALU_CYCLE_1)
	s_and_b32 s7, s6, vcc_lo
	s_and_saveexec_b32 s6, s7
	s_cbranch_execz .LBB90_329
; %bb.328:
	v_ashrrev_i32_e32 v193, 31, v192
	s_delay_alu instid0(VALU_DEP_1) | instskip(NEXT) | instid1(VALU_DEP_1)
	v_lshlrev_b64 v[200:201], 2, v[192:193]
	v_add_co_u32 v200, vcc_lo, v190, v200
	s_delay_alu instid0(VALU_DEP_2)
	v_add_co_ci_u32_e32 v201, vcc_lo, v191, v201, vcc_lo
	s_clause 0x1
	flat_load_b32 v193, v[200:201]
	flat_load_b32 v198, v[190:191] offset:60
	s_waitcnt vmcnt(1) lgkmcnt(1)
	flat_store_b32 v[190:191], v193 offset:60
	s_waitcnt vmcnt(0) lgkmcnt(1)
	flat_store_b32 v[200:201], v198
.LBB90_329:
	s_or_b32 exec_lo, exec_lo, s6
	v_mov_b32_e32 v200, v192
	v_mov_b32_e32 v198, v192
.LBB90_330:
	s_or_b32 exec_lo, exec_lo, s3
.LBB90_331:
	s_and_not1_saveexec_b32 s2, s2
	s_cbranch_execz .LBB90_333
; %bb.332:
	v_mov_b32_e32 v200, 15
	ds_store_2addr_b64 v194, v[116:117], v[118:119] offset0:32 offset1:33
	ds_store_2addr_b64 v194, v[112:113], v[114:115] offset0:34 offset1:35
	;; [unrolled: 1-line block ×30, first 2 shown]
.LBB90_333:
	s_or_b32 exec_lo, exec_lo, s2
	s_delay_alu instid0(SALU_CYCLE_1)
	s_mov_b32 s2, exec_lo
	s_waitcnt lgkmcnt(0)
	s_waitcnt_vscnt null, 0x0
	s_barrier
	buffer_gl0_inv
	v_cmpx_lt_i32_e32 15, v200
	s_cbranch_execz .LBB90_335
; %bb.334:
	v_mul_f64 v[192:193], v[186:187], v[122:123]
	v_mul_f64 v[122:123], v[184:185], v[122:123]
	s_delay_alu instid0(VALU_DEP_2) | instskip(NEXT) | instid1(VALU_DEP_2)
	v_fma_f64 v[192:193], v[184:185], v[120:121], -v[192:193]
	v_fma_f64 v[122:123], v[186:187], v[120:121], v[122:123]
	ds_load_2addr_b64 v[184:187], v194 offset0:32 offset1:33
	s_waitcnt lgkmcnt(0)
	v_mul_f64 v[120:121], v[186:187], v[122:123]
	s_delay_alu instid0(VALU_DEP_1) | instskip(SKIP_1) | instid1(VALU_DEP_2)
	v_fma_f64 v[120:121], v[184:185], v[192:193], -v[120:121]
	v_mul_f64 v[184:185], v[184:185], v[122:123]
	v_add_f64 v[116:117], v[116:117], -v[120:121]
	s_delay_alu instid0(VALU_DEP_2) | instskip(NEXT) | instid1(VALU_DEP_1)
	v_fma_f64 v[184:185], v[186:187], v[192:193], v[184:185]
	v_add_f64 v[118:119], v[118:119], -v[184:185]
	ds_load_2addr_b64 v[184:187], v194 offset0:34 offset1:35
	s_waitcnt lgkmcnt(0)
	v_mul_f64 v[120:121], v[186:187], v[122:123]
	s_delay_alu instid0(VALU_DEP_1) | instskip(SKIP_1) | instid1(VALU_DEP_2)
	v_fma_f64 v[120:121], v[184:185], v[192:193], -v[120:121]
	v_mul_f64 v[184:185], v[184:185], v[122:123]
	v_add_f64 v[112:113], v[112:113], -v[120:121]
	s_delay_alu instid0(VALU_DEP_2) | instskip(NEXT) | instid1(VALU_DEP_1)
	v_fma_f64 v[184:185], v[186:187], v[192:193], v[184:185]
	v_add_f64 v[114:115], v[114:115], -v[184:185]
	;; [unrolled: 10-line block ×29, first 2 shown]
	ds_load_2addr_b64 v[184:187], v194 offset0:90 offset1:91
	s_waitcnt lgkmcnt(0)
	v_mul_f64 v[120:121], v[186:187], v[122:123]
	s_delay_alu instid0(VALU_DEP_1) | instskip(SKIP_1) | instid1(VALU_DEP_2)
	v_fma_f64 v[120:121], v[184:185], v[192:193], -v[120:121]
	v_mul_f64 v[184:185], v[184:185], v[122:123]
	v_add_f64 v[0:1], v[0:1], -v[120:121]
	s_delay_alu instid0(VALU_DEP_2) | instskip(SKIP_1) | instid1(VALU_DEP_2)
	v_fma_f64 v[184:185], v[186:187], v[192:193], v[184:185]
	v_dual_mov_b32 v120, v192 :: v_dual_mov_b32 v121, v193
	v_add_f64 v[2:3], v[2:3], -v[184:185]
.LBB90_335:
	s_or_b32 exec_lo, exec_lo, s2
	v_lshl_add_u32 v184, v200, 4, v194
	s_barrier
	buffer_gl0_inv
	v_mov_b32_e32 v192, 16
	ds_store_2addr_b64 v184, v[116:117], v[118:119] offset1:1
	s_waitcnt lgkmcnt(0)
	s_barrier
	buffer_gl0_inv
	ds_load_2addr_b64 v[184:187], v194 offset0:32 offset1:33
	s_cmp_lt_i32 s5, 18
	s_cbranch_scc1 .LBB90_338
; %bb.336:
	v_add3_u32 v193, v199, 0, 0x110
	v_mov_b32_e32 v192, 16
	s_mov_b32 s6, 17
	s_set_inst_prefetch_distance 0x1
	.p2align	6
.LBB90_337:                             ; =>This Inner Loop Header: Depth=1
	ds_load_2addr_b64 v[201:204], v193 offset1:1
	s_waitcnt lgkmcnt(1)
	v_cmp_gt_f64_e32 vcc_lo, 0, v[184:185]
	v_xor_b32_e32 v205, 0x80000000, v185
	v_cmp_gt_f64_e64 s2, 0, v[186:187]
	v_xor_b32_e32 v207, 0x80000000, v187
	v_add_nc_u32_e32 v193, 16, v193
	s_waitcnt lgkmcnt(0)
	v_cmp_gt_f64_e64 s3, 0, v[201:202]
	v_mov_b32_e32 v209, v201
	v_dual_mov_b32 v211, v203 :: v_dual_cndmask_b32 v206, v185, v205
	v_xor_b32_e32 v205, 0x80000000, v202
	v_cndmask_b32_e64 v208, v187, v207, s2
	v_xor_b32_e32 v207, 0x80000000, v204
	s_delay_alu instid0(VALU_DEP_3) | instskip(SKIP_2) | instid1(VALU_DEP_2)
	v_cndmask_b32_e64 v210, v202, v205, s3
	v_cmp_gt_f64_e64 s3, 0, v[203:204]
	v_cndmask_b32_e32 v205, v184, v184, vcc_lo
	v_cndmask_b32_e64 v212, v204, v207, s3
	v_cndmask_b32_e64 v207, v186, v186, s2
	s_delay_alu instid0(VALU_DEP_2) | instskip(NEXT) | instid1(VALU_DEP_2)
	v_add_f64 v[209:210], v[209:210], v[211:212]
	v_add_f64 v[205:206], v[205:206], v[207:208]
	s_delay_alu instid0(VALU_DEP_1) | instskip(SKIP_4) | instid1(SALU_CYCLE_1)
	v_cmp_lt_f64_e32 vcc_lo, v[205:206], v[209:210]
	v_dual_cndmask_b32 v186, v186, v203 :: v_dual_cndmask_b32 v185, v185, v202
	v_dual_cndmask_b32 v184, v184, v201 :: v_dual_cndmask_b32 v187, v187, v204
	v_cndmask_b32_e64 v192, v192, s6, vcc_lo
	s_add_i32 s6, s6, 1
	s_cmp_lg_u32 s5, s6
	s_cbranch_scc1 .LBB90_337
.LBB90_338:
	s_set_inst_prefetch_distance 0x2
	s_waitcnt lgkmcnt(0)
	v_cmp_eq_f64_e32 vcc_lo, 0, v[184:185]
	v_cmp_eq_f64_e64 s2, 0, v[186:187]
	s_delay_alu instid0(VALU_DEP_1) | instskip(NEXT) | instid1(SALU_CYCLE_1)
	s_and_b32 s2, vcc_lo, s2
	s_and_saveexec_b32 s3, s2
	s_delay_alu instid0(SALU_CYCLE_1)
	s_xor_b32 s2, exec_lo, s3
; %bb.339:
	v_cmp_ne_u32_e32 vcc_lo, 0, v197
	v_cndmask_b32_e32 v197, 17, v197, vcc_lo
; %bb.340:
	s_and_not1_saveexec_b32 s3, s2
	s_cbranch_execz .LBB90_346
; %bb.341:
	v_cmp_gt_f64_e32 vcc_lo, 0, v[184:185]
	v_cmp_gt_f64_e64 s2, 0, v[186:187]
	v_xor_b32_e32 v193, 0x80000000, v185
	v_xor_b32_e32 v201, 0x80000000, v187
	s_delay_alu instid0(VALU_DEP_2) | instskip(NEXT) | instid1(VALU_DEP_2)
	v_cndmask_b32_e32 v202, v185, v193, vcc_lo
	v_cndmask_b32_e64 v204, v187, v201, s2
	v_cndmask_b32_e32 v201, v184, v184, vcc_lo
	v_cndmask_b32_e64 v203, v186, v186, s2
	s_mov_b32 s2, exec_lo
	s_delay_alu instid0(VALU_DEP_1)
	v_cmpx_ngt_f64_e32 v[201:202], v[203:204]
	s_xor_b32 s2, exec_lo, s2
	s_cbranch_execz .LBB90_343
; %bb.342:
	v_div_scale_f64 v[201:202], null, v[186:187], v[186:187], v[184:185]
	v_div_scale_f64 v[207:208], vcc_lo, v[184:185], v[186:187], v[184:185]
	s_delay_alu instid0(VALU_DEP_2) | instskip(SKIP_2) | instid1(VALU_DEP_1)
	v_rcp_f64_e32 v[203:204], v[201:202]
	s_waitcnt_depctr 0xfff
	v_fma_f64 v[205:206], -v[201:202], v[203:204], 1.0
	v_fma_f64 v[203:204], v[203:204], v[205:206], v[203:204]
	s_delay_alu instid0(VALU_DEP_1) | instskip(NEXT) | instid1(VALU_DEP_1)
	v_fma_f64 v[205:206], -v[201:202], v[203:204], 1.0
	v_fma_f64 v[203:204], v[203:204], v[205:206], v[203:204]
	s_delay_alu instid0(VALU_DEP_1) | instskip(NEXT) | instid1(VALU_DEP_1)
	v_mul_f64 v[205:206], v[207:208], v[203:204]
	v_fma_f64 v[201:202], -v[201:202], v[205:206], v[207:208]
	s_delay_alu instid0(VALU_DEP_1) | instskip(NEXT) | instid1(VALU_DEP_1)
	v_div_fmas_f64 v[201:202], v[201:202], v[203:204], v[205:206]
	v_div_fixup_f64 v[201:202], v[201:202], v[186:187], v[184:185]
	s_delay_alu instid0(VALU_DEP_1) | instskip(NEXT) | instid1(VALU_DEP_1)
	v_fma_f64 v[184:185], v[184:185], v[201:202], v[186:187]
	v_div_scale_f64 v[186:187], null, v[184:185], v[184:185], 1.0
	s_delay_alu instid0(VALU_DEP_1) | instskip(SKIP_2) | instid1(VALU_DEP_1)
	v_rcp_f64_e32 v[203:204], v[186:187]
	s_waitcnt_depctr 0xfff
	v_fma_f64 v[205:206], -v[186:187], v[203:204], 1.0
	v_fma_f64 v[203:204], v[203:204], v[205:206], v[203:204]
	s_delay_alu instid0(VALU_DEP_1) | instskip(NEXT) | instid1(VALU_DEP_1)
	v_fma_f64 v[205:206], -v[186:187], v[203:204], 1.0
	v_fma_f64 v[203:204], v[203:204], v[205:206], v[203:204]
	v_div_scale_f64 v[205:206], vcc_lo, 1.0, v[184:185], 1.0
	s_delay_alu instid0(VALU_DEP_1) | instskip(NEXT) | instid1(VALU_DEP_1)
	v_mul_f64 v[207:208], v[205:206], v[203:204]
	v_fma_f64 v[186:187], -v[186:187], v[207:208], v[205:206]
	s_delay_alu instid0(VALU_DEP_1) | instskip(NEXT) | instid1(VALU_DEP_1)
	v_div_fmas_f64 v[186:187], v[186:187], v[203:204], v[207:208]
	v_div_fixup_f64 v[186:187], v[186:187], v[184:185], 1.0
	s_delay_alu instid0(VALU_DEP_1)
	v_mul_f64 v[184:185], v[201:202], v[186:187]
	v_xor_b32_e32 v187, 0x80000000, v187
.LBB90_343:
	s_and_not1_saveexec_b32 s2, s2
	s_cbranch_execz .LBB90_345
; %bb.344:
	s_delay_alu instid0(VALU_DEP_1) | instskip(SKIP_1) | instid1(VALU_DEP_2)
	v_div_scale_f64 v[201:202], null, v[184:185], v[184:185], v[186:187]
	v_div_scale_f64 v[207:208], vcc_lo, v[186:187], v[184:185], v[186:187]
	v_rcp_f64_e32 v[203:204], v[201:202]
	s_waitcnt_depctr 0xfff
	v_fma_f64 v[205:206], -v[201:202], v[203:204], 1.0
	s_delay_alu instid0(VALU_DEP_1) | instskip(NEXT) | instid1(VALU_DEP_1)
	v_fma_f64 v[203:204], v[203:204], v[205:206], v[203:204]
	v_fma_f64 v[205:206], -v[201:202], v[203:204], 1.0
	s_delay_alu instid0(VALU_DEP_1) | instskip(NEXT) | instid1(VALU_DEP_1)
	v_fma_f64 v[203:204], v[203:204], v[205:206], v[203:204]
	v_mul_f64 v[205:206], v[207:208], v[203:204]
	s_delay_alu instid0(VALU_DEP_1) | instskip(NEXT) | instid1(VALU_DEP_1)
	v_fma_f64 v[201:202], -v[201:202], v[205:206], v[207:208]
	v_div_fmas_f64 v[201:202], v[201:202], v[203:204], v[205:206]
	s_delay_alu instid0(VALU_DEP_1) | instskip(NEXT) | instid1(VALU_DEP_1)
	v_div_fixup_f64 v[201:202], v[201:202], v[184:185], v[186:187]
	v_fma_f64 v[184:185], v[186:187], v[201:202], v[184:185]
	s_delay_alu instid0(VALU_DEP_1) | instskip(NEXT) | instid1(VALU_DEP_1)
	v_div_scale_f64 v[186:187], null, v[184:185], v[184:185], 1.0
	v_rcp_f64_e32 v[203:204], v[186:187]
	s_waitcnt_depctr 0xfff
	v_fma_f64 v[205:206], -v[186:187], v[203:204], 1.0
	s_delay_alu instid0(VALU_DEP_1) | instskip(NEXT) | instid1(VALU_DEP_1)
	v_fma_f64 v[203:204], v[203:204], v[205:206], v[203:204]
	v_fma_f64 v[205:206], -v[186:187], v[203:204], 1.0
	s_delay_alu instid0(VALU_DEP_1) | instskip(SKIP_1) | instid1(VALU_DEP_1)
	v_fma_f64 v[203:204], v[203:204], v[205:206], v[203:204]
	v_div_scale_f64 v[205:206], vcc_lo, 1.0, v[184:185], 1.0
	v_mul_f64 v[207:208], v[205:206], v[203:204]
	s_delay_alu instid0(VALU_DEP_1) | instskip(NEXT) | instid1(VALU_DEP_1)
	v_fma_f64 v[186:187], -v[186:187], v[207:208], v[205:206]
	v_div_fmas_f64 v[186:187], v[186:187], v[203:204], v[207:208]
	s_delay_alu instid0(VALU_DEP_1) | instskip(NEXT) | instid1(VALU_DEP_1)
	v_div_fixup_f64 v[184:185], v[186:187], v[184:185], 1.0
	v_mul_f64 v[186:187], v[201:202], -v[184:185]
.LBB90_345:
	s_or_b32 exec_lo, exec_lo, s2
.LBB90_346:
	s_delay_alu instid0(SALU_CYCLE_1) | instskip(NEXT) | instid1(SALU_CYCLE_1)
	s_or_b32 exec_lo, exec_lo, s3
	s_mov_b32 s2, exec_lo
	v_cmpx_ne_u32_e64 v200, v192
	s_xor_b32 s2, exec_lo, s2
	s_cbranch_execz .LBB90_352
; %bb.347:
	s_mov_b32 s3, exec_lo
	v_cmpx_eq_u32_e32 16, v200
	s_cbranch_execz .LBB90_351
; %bb.348:
	v_cmp_ne_u32_e32 vcc_lo, 16, v192
	s_xor_b32 s6, s4, -1
	s_delay_alu instid0(SALU_CYCLE_1) | instskip(NEXT) | instid1(SALU_CYCLE_1)
	s_and_b32 s7, s6, vcc_lo
	s_and_saveexec_b32 s6, s7
	s_cbranch_execz .LBB90_350
; %bb.349:
	v_ashrrev_i32_e32 v193, 31, v192
	s_delay_alu instid0(VALU_DEP_1) | instskip(NEXT) | instid1(VALU_DEP_1)
	v_lshlrev_b64 v[200:201], 2, v[192:193]
	v_add_co_u32 v200, vcc_lo, v190, v200
	s_delay_alu instid0(VALU_DEP_2)
	v_add_co_ci_u32_e32 v201, vcc_lo, v191, v201, vcc_lo
	s_clause 0x1
	flat_load_b32 v193, v[200:201]
	flat_load_b32 v198, v[190:191] offset:64
	s_waitcnt vmcnt(1) lgkmcnt(1)
	flat_store_b32 v[190:191], v193 offset:64
	s_waitcnt vmcnt(0) lgkmcnt(1)
	flat_store_b32 v[200:201], v198
.LBB90_350:
	s_or_b32 exec_lo, exec_lo, s6
	v_mov_b32_e32 v200, v192
	v_mov_b32_e32 v198, v192
.LBB90_351:
	s_or_b32 exec_lo, exec_lo, s3
.LBB90_352:
	s_and_not1_saveexec_b32 s2, s2
	s_cbranch_execz .LBB90_354
; %bb.353:
	v_mov_b32_e32 v200, 16
	ds_store_2addr_b64 v194, v[112:113], v[114:115] offset0:34 offset1:35
	ds_store_2addr_b64 v194, v[108:109], v[110:111] offset0:36 offset1:37
	;; [unrolled: 1-line block ×29, first 2 shown]
.LBB90_354:
	s_or_b32 exec_lo, exec_lo, s2
	s_delay_alu instid0(SALU_CYCLE_1)
	s_mov_b32 s2, exec_lo
	s_waitcnt lgkmcnt(0)
	s_waitcnt_vscnt null, 0x0
	s_barrier
	buffer_gl0_inv
	v_cmpx_lt_i32_e32 16, v200
	s_cbranch_execz .LBB90_356
; %bb.355:
	v_mul_f64 v[192:193], v[186:187], v[118:119]
	v_mul_f64 v[118:119], v[184:185], v[118:119]
	s_delay_alu instid0(VALU_DEP_2) | instskip(NEXT) | instid1(VALU_DEP_2)
	v_fma_f64 v[192:193], v[184:185], v[116:117], -v[192:193]
	v_fma_f64 v[118:119], v[186:187], v[116:117], v[118:119]
	ds_load_2addr_b64 v[184:187], v194 offset0:34 offset1:35
	s_waitcnt lgkmcnt(0)
	v_mul_f64 v[116:117], v[186:187], v[118:119]
	s_delay_alu instid0(VALU_DEP_1) | instskip(SKIP_1) | instid1(VALU_DEP_2)
	v_fma_f64 v[116:117], v[184:185], v[192:193], -v[116:117]
	v_mul_f64 v[184:185], v[184:185], v[118:119]
	v_add_f64 v[112:113], v[112:113], -v[116:117]
	s_delay_alu instid0(VALU_DEP_2) | instskip(NEXT) | instid1(VALU_DEP_1)
	v_fma_f64 v[184:185], v[186:187], v[192:193], v[184:185]
	v_add_f64 v[114:115], v[114:115], -v[184:185]
	ds_load_2addr_b64 v[184:187], v194 offset0:36 offset1:37
	s_waitcnt lgkmcnt(0)
	v_mul_f64 v[116:117], v[186:187], v[118:119]
	s_delay_alu instid0(VALU_DEP_1) | instskip(SKIP_1) | instid1(VALU_DEP_2)
	v_fma_f64 v[116:117], v[184:185], v[192:193], -v[116:117]
	v_mul_f64 v[184:185], v[184:185], v[118:119]
	v_add_f64 v[108:109], v[108:109], -v[116:117]
	s_delay_alu instid0(VALU_DEP_2) | instskip(NEXT) | instid1(VALU_DEP_1)
	v_fma_f64 v[184:185], v[186:187], v[192:193], v[184:185]
	v_add_f64 v[110:111], v[110:111], -v[184:185]
	;; [unrolled: 10-line block ×28, first 2 shown]
	ds_load_2addr_b64 v[184:187], v194 offset0:90 offset1:91
	s_waitcnt lgkmcnt(0)
	v_mul_f64 v[116:117], v[186:187], v[118:119]
	s_delay_alu instid0(VALU_DEP_1) | instskip(SKIP_1) | instid1(VALU_DEP_2)
	v_fma_f64 v[116:117], v[184:185], v[192:193], -v[116:117]
	v_mul_f64 v[184:185], v[184:185], v[118:119]
	v_add_f64 v[0:1], v[0:1], -v[116:117]
	s_delay_alu instid0(VALU_DEP_2) | instskip(SKIP_1) | instid1(VALU_DEP_2)
	v_fma_f64 v[184:185], v[186:187], v[192:193], v[184:185]
	v_dual_mov_b32 v116, v192 :: v_dual_mov_b32 v117, v193
	v_add_f64 v[2:3], v[2:3], -v[184:185]
.LBB90_356:
	s_or_b32 exec_lo, exec_lo, s2
	v_lshl_add_u32 v184, v200, 4, v194
	s_barrier
	buffer_gl0_inv
	v_mov_b32_e32 v192, 17
	ds_store_2addr_b64 v184, v[112:113], v[114:115] offset1:1
	s_waitcnt lgkmcnt(0)
	s_barrier
	buffer_gl0_inv
	ds_load_2addr_b64 v[184:187], v194 offset0:34 offset1:35
	s_cmp_lt_i32 s5, 19
	s_cbranch_scc1 .LBB90_359
; %bb.357:
	v_add3_u32 v193, v199, 0, 0x120
	v_mov_b32_e32 v192, 17
	s_mov_b32 s6, 18
	s_set_inst_prefetch_distance 0x1
	.p2align	6
.LBB90_358:                             ; =>This Inner Loop Header: Depth=1
	ds_load_2addr_b64 v[201:204], v193 offset1:1
	s_waitcnt lgkmcnt(1)
	v_cmp_gt_f64_e32 vcc_lo, 0, v[184:185]
	v_xor_b32_e32 v205, 0x80000000, v185
	v_cmp_gt_f64_e64 s2, 0, v[186:187]
	v_xor_b32_e32 v207, 0x80000000, v187
	v_add_nc_u32_e32 v193, 16, v193
	s_waitcnt lgkmcnt(0)
	v_cmp_gt_f64_e64 s3, 0, v[201:202]
	v_mov_b32_e32 v209, v201
	v_dual_mov_b32 v211, v203 :: v_dual_cndmask_b32 v206, v185, v205
	v_xor_b32_e32 v205, 0x80000000, v202
	v_cndmask_b32_e64 v208, v187, v207, s2
	v_xor_b32_e32 v207, 0x80000000, v204
	s_delay_alu instid0(VALU_DEP_3) | instskip(SKIP_2) | instid1(VALU_DEP_2)
	v_cndmask_b32_e64 v210, v202, v205, s3
	v_cmp_gt_f64_e64 s3, 0, v[203:204]
	v_cndmask_b32_e32 v205, v184, v184, vcc_lo
	v_cndmask_b32_e64 v212, v204, v207, s3
	v_cndmask_b32_e64 v207, v186, v186, s2
	s_delay_alu instid0(VALU_DEP_2) | instskip(NEXT) | instid1(VALU_DEP_2)
	v_add_f64 v[209:210], v[209:210], v[211:212]
	v_add_f64 v[205:206], v[205:206], v[207:208]
	s_delay_alu instid0(VALU_DEP_1) | instskip(SKIP_4) | instid1(SALU_CYCLE_1)
	v_cmp_lt_f64_e32 vcc_lo, v[205:206], v[209:210]
	v_dual_cndmask_b32 v186, v186, v203 :: v_dual_cndmask_b32 v185, v185, v202
	v_dual_cndmask_b32 v184, v184, v201 :: v_dual_cndmask_b32 v187, v187, v204
	v_cndmask_b32_e64 v192, v192, s6, vcc_lo
	s_add_i32 s6, s6, 1
	s_cmp_lg_u32 s5, s6
	s_cbranch_scc1 .LBB90_358
.LBB90_359:
	s_set_inst_prefetch_distance 0x2
	s_waitcnt lgkmcnt(0)
	v_cmp_eq_f64_e32 vcc_lo, 0, v[184:185]
	v_cmp_eq_f64_e64 s2, 0, v[186:187]
	s_delay_alu instid0(VALU_DEP_1) | instskip(NEXT) | instid1(SALU_CYCLE_1)
	s_and_b32 s2, vcc_lo, s2
	s_and_saveexec_b32 s3, s2
	s_delay_alu instid0(SALU_CYCLE_1)
	s_xor_b32 s2, exec_lo, s3
; %bb.360:
	v_cmp_ne_u32_e32 vcc_lo, 0, v197
	v_cndmask_b32_e32 v197, 18, v197, vcc_lo
; %bb.361:
	s_and_not1_saveexec_b32 s3, s2
	s_cbranch_execz .LBB90_367
; %bb.362:
	v_cmp_gt_f64_e32 vcc_lo, 0, v[184:185]
	v_cmp_gt_f64_e64 s2, 0, v[186:187]
	v_xor_b32_e32 v193, 0x80000000, v185
	v_xor_b32_e32 v201, 0x80000000, v187
	s_delay_alu instid0(VALU_DEP_2) | instskip(NEXT) | instid1(VALU_DEP_2)
	v_cndmask_b32_e32 v202, v185, v193, vcc_lo
	v_cndmask_b32_e64 v204, v187, v201, s2
	v_cndmask_b32_e32 v201, v184, v184, vcc_lo
	v_cndmask_b32_e64 v203, v186, v186, s2
	s_mov_b32 s2, exec_lo
	s_delay_alu instid0(VALU_DEP_1)
	v_cmpx_ngt_f64_e32 v[201:202], v[203:204]
	s_xor_b32 s2, exec_lo, s2
	s_cbranch_execz .LBB90_364
; %bb.363:
	v_div_scale_f64 v[201:202], null, v[186:187], v[186:187], v[184:185]
	v_div_scale_f64 v[207:208], vcc_lo, v[184:185], v[186:187], v[184:185]
	s_delay_alu instid0(VALU_DEP_2) | instskip(SKIP_2) | instid1(VALU_DEP_1)
	v_rcp_f64_e32 v[203:204], v[201:202]
	s_waitcnt_depctr 0xfff
	v_fma_f64 v[205:206], -v[201:202], v[203:204], 1.0
	v_fma_f64 v[203:204], v[203:204], v[205:206], v[203:204]
	s_delay_alu instid0(VALU_DEP_1) | instskip(NEXT) | instid1(VALU_DEP_1)
	v_fma_f64 v[205:206], -v[201:202], v[203:204], 1.0
	v_fma_f64 v[203:204], v[203:204], v[205:206], v[203:204]
	s_delay_alu instid0(VALU_DEP_1) | instskip(NEXT) | instid1(VALU_DEP_1)
	v_mul_f64 v[205:206], v[207:208], v[203:204]
	v_fma_f64 v[201:202], -v[201:202], v[205:206], v[207:208]
	s_delay_alu instid0(VALU_DEP_1) | instskip(NEXT) | instid1(VALU_DEP_1)
	v_div_fmas_f64 v[201:202], v[201:202], v[203:204], v[205:206]
	v_div_fixup_f64 v[201:202], v[201:202], v[186:187], v[184:185]
	s_delay_alu instid0(VALU_DEP_1) | instskip(NEXT) | instid1(VALU_DEP_1)
	v_fma_f64 v[184:185], v[184:185], v[201:202], v[186:187]
	v_div_scale_f64 v[186:187], null, v[184:185], v[184:185], 1.0
	s_delay_alu instid0(VALU_DEP_1) | instskip(SKIP_2) | instid1(VALU_DEP_1)
	v_rcp_f64_e32 v[203:204], v[186:187]
	s_waitcnt_depctr 0xfff
	v_fma_f64 v[205:206], -v[186:187], v[203:204], 1.0
	v_fma_f64 v[203:204], v[203:204], v[205:206], v[203:204]
	s_delay_alu instid0(VALU_DEP_1) | instskip(NEXT) | instid1(VALU_DEP_1)
	v_fma_f64 v[205:206], -v[186:187], v[203:204], 1.0
	v_fma_f64 v[203:204], v[203:204], v[205:206], v[203:204]
	v_div_scale_f64 v[205:206], vcc_lo, 1.0, v[184:185], 1.0
	s_delay_alu instid0(VALU_DEP_1) | instskip(NEXT) | instid1(VALU_DEP_1)
	v_mul_f64 v[207:208], v[205:206], v[203:204]
	v_fma_f64 v[186:187], -v[186:187], v[207:208], v[205:206]
	s_delay_alu instid0(VALU_DEP_1) | instskip(NEXT) | instid1(VALU_DEP_1)
	v_div_fmas_f64 v[186:187], v[186:187], v[203:204], v[207:208]
	v_div_fixup_f64 v[186:187], v[186:187], v[184:185], 1.0
	s_delay_alu instid0(VALU_DEP_1)
	v_mul_f64 v[184:185], v[201:202], v[186:187]
	v_xor_b32_e32 v187, 0x80000000, v187
.LBB90_364:
	s_and_not1_saveexec_b32 s2, s2
	s_cbranch_execz .LBB90_366
; %bb.365:
	s_delay_alu instid0(VALU_DEP_1) | instskip(SKIP_1) | instid1(VALU_DEP_2)
	v_div_scale_f64 v[201:202], null, v[184:185], v[184:185], v[186:187]
	v_div_scale_f64 v[207:208], vcc_lo, v[186:187], v[184:185], v[186:187]
	v_rcp_f64_e32 v[203:204], v[201:202]
	s_waitcnt_depctr 0xfff
	v_fma_f64 v[205:206], -v[201:202], v[203:204], 1.0
	s_delay_alu instid0(VALU_DEP_1) | instskip(NEXT) | instid1(VALU_DEP_1)
	v_fma_f64 v[203:204], v[203:204], v[205:206], v[203:204]
	v_fma_f64 v[205:206], -v[201:202], v[203:204], 1.0
	s_delay_alu instid0(VALU_DEP_1) | instskip(NEXT) | instid1(VALU_DEP_1)
	v_fma_f64 v[203:204], v[203:204], v[205:206], v[203:204]
	v_mul_f64 v[205:206], v[207:208], v[203:204]
	s_delay_alu instid0(VALU_DEP_1) | instskip(NEXT) | instid1(VALU_DEP_1)
	v_fma_f64 v[201:202], -v[201:202], v[205:206], v[207:208]
	v_div_fmas_f64 v[201:202], v[201:202], v[203:204], v[205:206]
	s_delay_alu instid0(VALU_DEP_1) | instskip(NEXT) | instid1(VALU_DEP_1)
	v_div_fixup_f64 v[201:202], v[201:202], v[184:185], v[186:187]
	v_fma_f64 v[184:185], v[186:187], v[201:202], v[184:185]
	s_delay_alu instid0(VALU_DEP_1) | instskip(NEXT) | instid1(VALU_DEP_1)
	v_div_scale_f64 v[186:187], null, v[184:185], v[184:185], 1.0
	v_rcp_f64_e32 v[203:204], v[186:187]
	s_waitcnt_depctr 0xfff
	v_fma_f64 v[205:206], -v[186:187], v[203:204], 1.0
	s_delay_alu instid0(VALU_DEP_1) | instskip(NEXT) | instid1(VALU_DEP_1)
	v_fma_f64 v[203:204], v[203:204], v[205:206], v[203:204]
	v_fma_f64 v[205:206], -v[186:187], v[203:204], 1.0
	s_delay_alu instid0(VALU_DEP_1) | instskip(SKIP_1) | instid1(VALU_DEP_1)
	v_fma_f64 v[203:204], v[203:204], v[205:206], v[203:204]
	v_div_scale_f64 v[205:206], vcc_lo, 1.0, v[184:185], 1.0
	v_mul_f64 v[207:208], v[205:206], v[203:204]
	s_delay_alu instid0(VALU_DEP_1) | instskip(NEXT) | instid1(VALU_DEP_1)
	v_fma_f64 v[186:187], -v[186:187], v[207:208], v[205:206]
	v_div_fmas_f64 v[186:187], v[186:187], v[203:204], v[207:208]
	s_delay_alu instid0(VALU_DEP_1) | instskip(NEXT) | instid1(VALU_DEP_1)
	v_div_fixup_f64 v[184:185], v[186:187], v[184:185], 1.0
	v_mul_f64 v[186:187], v[201:202], -v[184:185]
.LBB90_366:
	s_or_b32 exec_lo, exec_lo, s2
.LBB90_367:
	s_delay_alu instid0(SALU_CYCLE_1) | instskip(NEXT) | instid1(SALU_CYCLE_1)
	s_or_b32 exec_lo, exec_lo, s3
	s_mov_b32 s2, exec_lo
	v_cmpx_ne_u32_e64 v200, v192
	s_xor_b32 s2, exec_lo, s2
	s_cbranch_execz .LBB90_373
; %bb.368:
	s_mov_b32 s3, exec_lo
	v_cmpx_eq_u32_e32 17, v200
	s_cbranch_execz .LBB90_372
; %bb.369:
	v_cmp_ne_u32_e32 vcc_lo, 17, v192
	s_xor_b32 s6, s4, -1
	s_delay_alu instid0(SALU_CYCLE_1) | instskip(NEXT) | instid1(SALU_CYCLE_1)
	s_and_b32 s7, s6, vcc_lo
	s_and_saveexec_b32 s6, s7
	s_cbranch_execz .LBB90_371
; %bb.370:
	v_ashrrev_i32_e32 v193, 31, v192
	s_delay_alu instid0(VALU_DEP_1) | instskip(NEXT) | instid1(VALU_DEP_1)
	v_lshlrev_b64 v[200:201], 2, v[192:193]
	v_add_co_u32 v200, vcc_lo, v190, v200
	s_delay_alu instid0(VALU_DEP_2)
	v_add_co_ci_u32_e32 v201, vcc_lo, v191, v201, vcc_lo
	s_clause 0x1
	flat_load_b32 v193, v[200:201]
	flat_load_b32 v198, v[190:191] offset:68
	s_waitcnt vmcnt(1) lgkmcnt(1)
	flat_store_b32 v[190:191], v193 offset:68
	s_waitcnt vmcnt(0) lgkmcnt(1)
	flat_store_b32 v[200:201], v198
.LBB90_371:
	s_or_b32 exec_lo, exec_lo, s6
	v_mov_b32_e32 v200, v192
	v_mov_b32_e32 v198, v192
.LBB90_372:
	s_or_b32 exec_lo, exec_lo, s3
.LBB90_373:
	s_and_not1_saveexec_b32 s2, s2
	s_cbranch_execz .LBB90_375
; %bb.374:
	v_mov_b32_e32 v200, 17
	ds_store_2addr_b64 v194, v[108:109], v[110:111] offset0:36 offset1:37
	ds_store_2addr_b64 v194, v[104:105], v[106:107] offset0:38 offset1:39
	;; [unrolled: 1-line block ×28, first 2 shown]
.LBB90_375:
	s_or_b32 exec_lo, exec_lo, s2
	s_delay_alu instid0(SALU_CYCLE_1)
	s_mov_b32 s2, exec_lo
	s_waitcnt lgkmcnt(0)
	s_waitcnt_vscnt null, 0x0
	s_barrier
	buffer_gl0_inv
	v_cmpx_lt_i32_e32 17, v200
	s_cbranch_execz .LBB90_377
; %bb.376:
	v_mul_f64 v[192:193], v[186:187], v[114:115]
	v_mul_f64 v[114:115], v[184:185], v[114:115]
	s_delay_alu instid0(VALU_DEP_2) | instskip(NEXT) | instid1(VALU_DEP_2)
	v_fma_f64 v[192:193], v[184:185], v[112:113], -v[192:193]
	v_fma_f64 v[114:115], v[186:187], v[112:113], v[114:115]
	ds_load_2addr_b64 v[184:187], v194 offset0:36 offset1:37
	s_waitcnt lgkmcnt(0)
	v_mul_f64 v[112:113], v[186:187], v[114:115]
	s_delay_alu instid0(VALU_DEP_1) | instskip(SKIP_1) | instid1(VALU_DEP_2)
	v_fma_f64 v[112:113], v[184:185], v[192:193], -v[112:113]
	v_mul_f64 v[184:185], v[184:185], v[114:115]
	v_add_f64 v[108:109], v[108:109], -v[112:113]
	s_delay_alu instid0(VALU_DEP_2) | instskip(NEXT) | instid1(VALU_DEP_1)
	v_fma_f64 v[184:185], v[186:187], v[192:193], v[184:185]
	v_add_f64 v[110:111], v[110:111], -v[184:185]
	ds_load_2addr_b64 v[184:187], v194 offset0:38 offset1:39
	s_waitcnt lgkmcnt(0)
	v_mul_f64 v[112:113], v[186:187], v[114:115]
	s_delay_alu instid0(VALU_DEP_1) | instskip(SKIP_1) | instid1(VALU_DEP_2)
	v_fma_f64 v[112:113], v[184:185], v[192:193], -v[112:113]
	v_mul_f64 v[184:185], v[184:185], v[114:115]
	v_add_f64 v[104:105], v[104:105], -v[112:113]
	s_delay_alu instid0(VALU_DEP_2) | instskip(NEXT) | instid1(VALU_DEP_1)
	v_fma_f64 v[184:185], v[186:187], v[192:193], v[184:185]
	v_add_f64 v[106:107], v[106:107], -v[184:185]
	ds_load_2addr_b64 v[184:187], v194 offset0:40 offset1:41
	s_waitcnt lgkmcnt(0)
	v_mul_f64 v[112:113], v[186:187], v[114:115]
	s_delay_alu instid0(VALU_DEP_1) | instskip(SKIP_1) | instid1(VALU_DEP_2)
	v_fma_f64 v[112:113], v[184:185], v[192:193], -v[112:113]
	v_mul_f64 v[184:185], v[184:185], v[114:115]
	v_add_f64 v[100:101], v[100:101], -v[112:113]
	s_delay_alu instid0(VALU_DEP_2) | instskip(NEXT) | instid1(VALU_DEP_1)
	v_fma_f64 v[184:185], v[186:187], v[192:193], v[184:185]
	v_add_f64 v[102:103], v[102:103], -v[184:185]
	ds_load_2addr_b64 v[184:187], v194 offset0:42 offset1:43
	s_waitcnt lgkmcnt(0)
	v_mul_f64 v[112:113], v[186:187], v[114:115]
	s_delay_alu instid0(VALU_DEP_1) | instskip(SKIP_1) | instid1(VALU_DEP_2)
	v_fma_f64 v[112:113], v[184:185], v[192:193], -v[112:113]
	v_mul_f64 v[184:185], v[184:185], v[114:115]
	v_add_f64 v[96:97], v[96:97], -v[112:113]
	s_delay_alu instid0(VALU_DEP_2) | instskip(NEXT) | instid1(VALU_DEP_1)
	v_fma_f64 v[184:185], v[186:187], v[192:193], v[184:185]
	v_add_f64 v[98:99], v[98:99], -v[184:185]
	ds_load_2addr_b64 v[184:187], v194 offset0:44 offset1:45
	s_waitcnt lgkmcnt(0)
	v_mul_f64 v[112:113], v[186:187], v[114:115]
	s_delay_alu instid0(VALU_DEP_1) | instskip(SKIP_1) | instid1(VALU_DEP_2)
	v_fma_f64 v[112:113], v[184:185], v[192:193], -v[112:113]
	v_mul_f64 v[184:185], v[184:185], v[114:115]
	v_add_f64 v[92:93], v[92:93], -v[112:113]
	s_delay_alu instid0(VALU_DEP_2) | instskip(NEXT) | instid1(VALU_DEP_1)
	v_fma_f64 v[184:185], v[186:187], v[192:193], v[184:185]
	v_add_f64 v[94:95], v[94:95], -v[184:185]
	ds_load_2addr_b64 v[184:187], v194 offset0:46 offset1:47
	s_waitcnt lgkmcnt(0)
	v_mul_f64 v[112:113], v[186:187], v[114:115]
	s_delay_alu instid0(VALU_DEP_1) | instskip(SKIP_1) | instid1(VALU_DEP_2)
	v_fma_f64 v[112:113], v[184:185], v[192:193], -v[112:113]
	v_mul_f64 v[184:185], v[184:185], v[114:115]
	v_add_f64 v[88:89], v[88:89], -v[112:113]
	s_delay_alu instid0(VALU_DEP_2) | instskip(NEXT) | instid1(VALU_DEP_1)
	v_fma_f64 v[184:185], v[186:187], v[192:193], v[184:185]
	v_add_f64 v[90:91], v[90:91], -v[184:185]
	ds_load_2addr_b64 v[184:187], v194 offset0:48 offset1:49
	s_waitcnt lgkmcnt(0)
	v_mul_f64 v[112:113], v[186:187], v[114:115]
	s_delay_alu instid0(VALU_DEP_1) | instskip(SKIP_1) | instid1(VALU_DEP_2)
	v_fma_f64 v[112:113], v[184:185], v[192:193], -v[112:113]
	v_mul_f64 v[184:185], v[184:185], v[114:115]
	v_add_f64 v[84:85], v[84:85], -v[112:113]
	s_delay_alu instid0(VALU_DEP_2) | instskip(NEXT) | instid1(VALU_DEP_1)
	v_fma_f64 v[184:185], v[186:187], v[192:193], v[184:185]
	v_add_f64 v[86:87], v[86:87], -v[184:185]
	ds_load_2addr_b64 v[184:187], v194 offset0:50 offset1:51
	s_waitcnt lgkmcnt(0)
	v_mul_f64 v[112:113], v[186:187], v[114:115]
	s_delay_alu instid0(VALU_DEP_1) | instskip(SKIP_1) | instid1(VALU_DEP_2)
	v_fma_f64 v[112:113], v[184:185], v[192:193], -v[112:113]
	v_mul_f64 v[184:185], v[184:185], v[114:115]
	v_add_f64 v[80:81], v[80:81], -v[112:113]
	s_delay_alu instid0(VALU_DEP_2) | instskip(NEXT) | instid1(VALU_DEP_1)
	v_fma_f64 v[184:185], v[186:187], v[192:193], v[184:185]
	v_add_f64 v[82:83], v[82:83], -v[184:185]
	ds_load_2addr_b64 v[184:187], v194 offset0:52 offset1:53
	s_waitcnt lgkmcnt(0)
	v_mul_f64 v[112:113], v[186:187], v[114:115]
	s_delay_alu instid0(VALU_DEP_1) | instskip(SKIP_1) | instid1(VALU_DEP_2)
	v_fma_f64 v[112:113], v[184:185], v[192:193], -v[112:113]
	v_mul_f64 v[184:185], v[184:185], v[114:115]
	v_add_f64 v[76:77], v[76:77], -v[112:113]
	s_delay_alu instid0(VALU_DEP_2) | instskip(NEXT) | instid1(VALU_DEP_1)
	v_fma_f64 v[184:185], v[186:187], v[192:193], v[184:185]
	v_add_f64 v[78:79], v[78:79], -v[184:185]
	ds_load_2addr_b64 v[184:187], v194 offset0:54 offset1:55
	s_waitcnt lgkmcnt(0)
	v_mul_f64 v[112:113], v[186:187], v[114:115]
	s_delay_alu instid0(VALU_DEP_1) | instskip(SKIP_1) | instid1(VALU_DEP_2)
	v_fma_f64 v[112:113], v[184:185], v[192:193], -v[112:113]
	v_mul_f64 v[184:185], v[184:185], v[114:115]
	v_add_f64 v[72:73], v[72:73], -v[112:113]
	s_delay_alu instid0(VALU_DEP_2) | instskip(NEXT) | instid1(VALU_DEP_1)
	v_fma_f64 v[184:185], v[186:187], v[192:193], v[184:185]
	v_add_f64 v[74:75], v[74:75], -v[184:185]
	ds_load_2addr_b64 v[184:187], v194 offset0:56 offset1:57
	s_waitcnt lgkmcnt(0)
	v_mul_f64 v[112:113], v[186:187], v[114:115]
	s_delay_alu instid0(VALU_DEP_1) | instskip(SKIP_1) | instid1(VALU_DEP_2)
	v_fma_f64 v[112:113], v[184:185], v[192:193], -v[112:113]
	v_mul_f64 v[184:185], v[184:185], v[114:115]
	v_add_f64 v[68:69], v[68:69], -v[112:113]
	s_delay_alu instid0(VALU_DEP_2) | instskip(NEXT) | instid1(VALU_DEP_1)
	v_fma_f64 v[184:185], v[186:187], v[192:193], v[184:185]
	v_add_f64 v[70:71], v[70:71], -v[184:185]
	ds_load_2addr_b64 v[184:187], v194 offset0:58 offset1:59
	s_waitcnt lgkmcnt(0)
	v_mul_f64 v[112:113], v[186:187], v[114:115]
	s_delay_alu instid0(VALU_DEP_1) | instskip(SKIP_1) | instid1(VALU_DEP_2)
	v_fma_f64 v[112:113], v[184:185], v[192:193], -v[112:113]
	v_mul_f64 v[184:185], v[184:185], v[114:115]
	v_add_f64 v[64:65], v[64:65], -v[112:113]
	s_delay_alu instid0(VALU_DEP_2) | instskip(NEXT) | instid1(VALU_DEP_1)
	v_fma_f64 v[184:185], v[186:187], v[192:193], v[184:185]
	v_add_f64 v[66:67], v[66:67], -v[184:185]
	ds_load_2addr_b64 v[184:187], v194 offset0:60 offset1:61
	s_waitcnt lgkmcnt(0)
	v_mul_f64 v[112:113], v[186:187], v[114:115]
	s_delay_alu instid0(VALU_DEP_1) | instskip(SKIP_1) | instid1(VALU_DEP_2)
	v_fma_f64 v[112:113], v[184:185], v[192:193], -v[112:113]
	v_mul_f64 v[184:185], v[184:185], v[114:115]
	v_add_f64 v[60:61], v[60:61], -v[112:113]
	s_delay_alu instid0(VALU_DEP_2) | instskip(NEXT) | instid1(VALU_DEP_1)
	v_fma_f64 v[184:185], v[186:187], v[192:193], v[184:185]
	v_add_f64 v[62:63], v[62:63], -v[184:185]
	ds_load_2addr_b64 v[184:187], v194 offset0:62 offset1:63
	s_waitcnt lgkmcnt(0)
	v_mul_f64 v[112:113], v[186:187], v[114:115]
	s_delay_alu instid0(VALU_DEP_1) | instskip(SKIP_1) | instid1(VALU_DEP_2)
	v_fma_f64 v[112:113], v[184:185], v[192:193], -v[112:113]
	v_mul_f64 v[184:185], v[184:185], v[114:115]
	v_add_f64 v[56:57], v[56:57], -v[112:113]
	s_delay_alu instid0(VALU_DEP_2) | instskip(NEXT) | instid1(VALU_DEP_1)
	v_fma_f64 v[184:185], v[186:187], v[192:193], v[184:185]
	v_add_f64 v[58:59], v[58:59], -v[184:185]
	ds_load_2addr_b64 v[184:187], v194 offset0:64 offset1:65
	s_waitcnt lgkmcnt(0)
	v_mul_f64 v[112:113], v[186:187], v[114:115]
	s_delay_alu instid0(VALU_DEP_1) | instskip(SKIP_1) | instid1(VALU_DEP_2)
	v_fma_f64 v[112:113], v[184:185], v[192:193], -v[112:113]
	v_mul_f64 v[184:185], v[184:185], v[114:115]
	v_add_f64 v[52:53], v[52:53], -v[112:113]
	s_delay_alu instid0(VALU_DEP_2) | instskip(NEXT) | instid1(VALU_DEP_1)
	v_fma_f64 v[184:185], v[186:187], v[192:193], v[184:185]
	v_add_f64 v[54:55], v[54:55], -v[184:185]
	ds_load_2addr_b64 v[184:187], v194 offset0:66 offset1:67
	s_waitcnt lgkmcnt(0)
	v_mul_f64 v[112:113], v[186:187], v[114:115]
	s_delay_alu instid0(VALU_DEP_1) | instskip(SKIP_1) | instid1(VALU_DEP_2)
	v_fma_f64 v[112:113], v[184:185], v[192:193], -v[112:113]
	v_mul_f64 v[184:185], v[184:185], v[114:115]
	v_add_f64 v[48:49], v[48:49], -v[112:113]
	s_delay_alu instid0(VALU_DEP_2) | instskip(NEXT) | instid1(VALU_DEP_1)
	v_fma_f64 v[184:185], v[186:187], v[192:193], v[184:185]
	v_add_f64 v[50:51], v[50:51], -v[184:185]
	ds_load_2addr_b64 v[184:187], v194 offset0:68 offset1:69
	s_waitcnt lgkmcnt(0)
	v_mul_f64 v[112:113], v[186:187], v[114:115]
	s_delay_alu instid0(VALU_DEP_1) | instskip(SKIP_1) | instid1(VALU_DEP_2)
	v_fma_f64 v[112:113], v[184:185], v[192:193], -v[112:113]
	v_mul_f64 v[184:185], v[184:185], v[114:115]
	v_add_f64 v[44:45], v[44:45], -v[112:113]
	s_delay_alu instid0(VALU_DEP_2) | instskip(NEXT) | instid1(VALU_DEP_1)
	v_fma_f64 v[184:185], v[186:187], v[192:193], v[184:185]
	v_add_f64 v[46:47], v[46:47], -v[184:185]
	ds_load_2addr_b64 v[184:187], v194 offset0:70 offset1:71
	s_waitcnt lgkmcnt(0)
	v_mul_f64 v[112:113], v[186:187], v[114:115]
	s_delay_alu instid0(VALU_DEP_1) | instskip(SKIP_1) | instid1(VALU_DEP_2)
	v_fma_f64 v[112:113], v[184:185], v[192:193], -v[112:113]
	v_mul_f64 v[184:185], v[184:185], v[114:115]
	v_add_f64 v[40:41], v[40:41], -v[112:113]
	s_delay_alu instid0(VALU_DEP_2) | instskip(NEXT) | instid1(VALU_DEP_1)
	v_fma_f64 v[184:185], v[186:187], v[192:193], v[184:185]
	v_add_f64 v[42:43], v[42:43], -v[184:185]
	ds_load_2addr_b64 v[184:187], v194 offset0:72 offset1:73
	s_waitcnt lgkmcnt(0)
	v_mul_f64 v[112:113], v[186:187], v[114:115]
	s_delay_alu instid0(VALU_DEP_1) | instskip(SKIP_1) | instid1(VALU_DEP_2)
	v_fma_f64 v[112:113], v[184:185], v[192:193], -v[112:113]
	v_mul_f64 v[184:185], v[184:185], v[114:115]
	v_add_f64 v[36:37], v[36:37], -v[112:113]
	s_delay_alu instid0(VALU_DEP_2) | instskip(NEXT) | instid1(VALU_DEP_1)
	v_fma_f64 v[184:185], v[186:187], v[192:193], v[184:185]
	v_add_f64 v[38:39], v[38:39], -v[184:185]
	ds_load_2addr_b64 v[184:187], v194 offset0:74 offset1:75
	s_waitcnt lgkmcnt(0)
	v_mul_f64 v[112:113], v[186:187], v[114:115]
	s_delay_alu instid0(VALU_DEP_1) | instskip(SKIP_1) | instid1(VALU_DEP_2)
	v_fma_f64 v[112:113], v[184:185], v[192:193], -v[112:113]
	v_mul_f64 v[184:185], v[184:185], v[114:115]
	v_add_f64 v[32:33], v[32:33], -v[112:113]
	s_delay_alu instid0(VALU_DEP_2) | instskip(NEXT) | instid1(VALU_DEP_1)
	v_fma_f64 v[184:185], v[186:187], v[192:193], v[184:185]
	v_add_f64 v[34:35], v[34:35], -v[184:185]
	ds_load_2addr_b64 v[184:187], v194 offset0:76 offset1:77
	s_waitcnt lgkmcnt(0)
	v_mul_f64 v[112:113], v[186:187], v[114:115]
	s_delay_alu instid0(VALU_DEP_1) | instskip(SKIP_1) | instid1(VALU_DEP_2)
	v_fma_f64 v[112:113], v[184:185], v[192:193], -v[112:113]
	v_mul_f64 v[184:185], v[184:185], v[114:115]
	v_add_f64 v[28:29], v[28:29], -v[112:113]
	s_delay_alu instid0(VALU_DEP_2) | instskip(NEXT) | instid1(VALU_DEP_1)
	v_fma_f64 v[184:185], v[186:187], v[192:193], v[184:185]
	v_add_f64 v[30:31], v[30:31], -v[184:185]
	ds_load_2addr_b64 v[184:187], v194 offset0:78 offset1:79
	s_waitcnt lgkmcnt(0)
	v_mul_f64 v[112:113], v[186:187], v[114:115]
	s_delay_alu instid0(VALU_DEP_1) | instskip(SKIP_1) | instid1(VALU_DEP_2)
	v_fma_f64 v[112:113], v[184:185], v[192:193], -v[112:113]
	v_mul_f64 v[184:185], v[184:185], v[114:115]
	v_add_f64 v[24:25], v[24:25], -v[112:113]
	s_delay_alu instid0(VALU_DEP_2) | instskip(NEXT) | instid1(VALU_DEP_1)
	v_fma_f64 v[184:185], v[186:187], v[192:193], v[184:185]
	v_add_f64 v[26:27], v[26:27], -v[184:185]
	ds_load_2addr_b64 v[184:187], v194 offset0:80 offset1:81
	s_waitcnt lgkmcnt(0)
	v_mul_f64 v[112:113], v[186:187], v[114:115]
	s_delay_alu instid0(VALU_DEP_1) | instskip(SKIP_1) | instid1(VALU_DEP_2)
	v_fma_f64 v[112:113], v[184:185], v[192:193], -v[112:113]
	v_mul_f64 v[184:185], v[184:185], v[114:115]
	v_add_f64 v[20:21], v[20:21], -v[112:113]
	s_delay_alu instid0(VALU_DEP_2) | instskip(NEXT) | instid1(VALU_DEP_1)
	v_fma_f64 v[184:185], v[186:187], v[192:193], v[184:185]
	v_add_f64 v[22:23], v[22:23], -v[184:185]
	ds_load_2addr_b64 v[184:187], v194 offset0:82 offset1:83
	s_waitcnt lgkmcnt(0)
	v_mul_f64 v[112:113], v[186:187], v[114:115]
	s_delay_alu instid0(VALU_DEP_1) | instskip(SKIP_1) | instid1(VALU_DEP_2)
	v_fma_f64 v[112:113], v[184:185], v[192:193], -v[112:113]
	v_mul_f64 v[184:185], v[184:185], v[114:115]
	v_add_f64 v[16:17], v[16:17], -v[112:113]
	s_delay_alu instid0(VALU_DEP_2) | instskip(NEXT) | instid1(VALU_DEP_1)
	v_fma_f64 v[184:185], v[186:187], v[192:193], v[184:185]
	v_add_f64 v[18:19], v[18:19], -v[184:185]
	ds_load_2addr_b64 v[184:187], v194 offset0:84 offset1:85
	s_waitcnt lgkmcnt(0)
	v_mul_f64 v[112:113], v[186:187], v[114:115]
	s_delay_alu instid0(VALU_DEP_1) | instskip(SKIP_1) | instid1(VALU_DEP_2)
	v_fma_f64 v[112:113], v[184:185], v[192:193], -v[112:113]
	v_mul_f64 v[184:185], v[184:185], v[114:115]
	v_add_f64 v[12:13], v[12:13], -v[112:113]
	s_delay_alu instid0(VALU_DEP_2) | instskip(NEXT) | instid1(VALU_DEP_1)
	v_fma_f64 v[184:185], v[186:187], v[192:193], v[184:185]
	v_add_f64 v[14:15], v[14:15], -v[184:185]
	ds_load_2addr_b64 v[184:187], v194 offset0:86 offset1:87
	s_waitcnt lgkmcnt(0)
	v_mul_f64 v[112:113], v[186:187], v[114:115]
	s_delay_alu instid0(VALU_DEP_1) | instskip(SKIP_1) | instid1(VALU_DEP_2)
	v_fma_f64 v[112:113], v[184:185], v[192:193], -v[112:113]
	v_mul_f64 v[184:185], v[184:185], v[114:115]
	v_add_f64 v[8:9], v[8:9], -v[112:113]
	s_delay_alu instid0(VALU_DEP_2) | instskip(NEXT) | instid1(VALU_DEP_1)
	v_fma_f64 v[184:185], v[186:187], v[192:193], v[184:185]
	v_add_f64 v[10:11], v[10:11], -v[184:185]
	ds_load_2addr_b64 v[184:187], v194 offset0:88 offset1:89
	s_waitcnt lgkmcnt(0)
	v_mul_f64 v[112:113], v[186:187], v[114:115]
	s_delay_alu instid0(VALU_DEP_1) | instskip(SKIP_1) | instid1(VALU_DEP_2)
	v_fma_f64 v[112:113], v[184:185], v[192:193], -v[112:113]
	v_mul_f64 v[184:185], v[184:185], v[114:115]
	v_add_f64 v[4:5], v[4:5], -v[112:113]
	s_delay_alu instid0(VALU_DEP_2) | instskip(NEXT) | instid1(VALU_DEP_1)
	v_fma_f64 v[184:185], v[186:187], v[192:193], v[184:185]
	v_add_f64 v[6:7], v[6:7], -v[184:185]
	ds_load_2addr_b64 v[184:187], v194 offset0:90 offset1:91
	s_waitcnt lgkmcnt(0)
	v_mul_f64 v[112:113], v[186:187], v[114:115]
	s_delay_alu instid0(VALU_DEP_1) | instskip(SKIP_1) | instid1(VALU_DEP_2)
	v_fma_f64 v[112:113], v[184:185], v[192:193], -v[112:113]
	v_mul_f64 v[184:185], v[184:185], v[114:115]
	v_add_f64 v[0:1], v[0:1], -v[112:113]
	s_delay_alu instid0(VALU_DEP_2) | instskip(SKIP_1) | instid1(VALU_DEP_2)
	v_fma_f64 v[184:185], v[186:187], v[192:193], v[184:185]
	v_dual_mov_b32 v112, v192 :: v_dual_mov_b32 v113, v193
	v_add_f64 v[2:3], v[2:3], -v[184:185]
.LBB90_377:
	s_or_b32 exec_lo, exec_lo, s2
	v_lshl_add_u32 v184, v200, 4, v194
	s_barrier
	buffer_gl0_inv
	v_mov_b32_e32 v192, 18
	ds_store_2addr_b64 v184, v[108:109], v[110:111] offset1:1
	s_waitcnt lgkmcnt(0)
	s_barrier
	buffer_gl0_inv
	ds_load_2addr_b64 v[184:187], v194 offset0:36 offset1:37
	s_cmp_lt_i32 s5, 20
	s_cbranch_scc1 .LBB90_380
; %bb.378:
	v_add3_u32 v193, v199, 0, 0x130
	v_mov_b32_e32 v192, 18
	s_mov_b32 s6, 19
	s_set_inst_prefetch_distance 0x1
	.p2align	6
.LBB90_379:                             ; =>This Inner Loop Header: Depth=1
	ds_load_2addr_b64 v[201:204], v193 offset1:1
	s_waitcnt lgkmcnt(1)
	v_cmp_gt_f64_e32 vcc_lo, 0, v[184:185]
	v_xor_b32_e32 v205, 0x80000000, v185
	v_cmp_gt_f64_e64 s2, 0, v[186:187]
	v_xor_b32_e32 v207, 0x80000000, v187
	v_add_nc_u32_e32 v193, 16, v193
	s_waitcnt lgkmcnt(0)
	v_cmp_gt_f64_e64 s3, 0, v[201:202]
	v_mov_b32_e32 v209, v201
	v_dual_mov_b32 v211, v203 :: v_dual_cndmask_b32 v206, v185, v205
	v_xor_b32_e32 v205, 0x80000000, v202
	v_cndmask_b32_e64 v208, v187, v207, s2
	v_xor_b32_e32 v207, 0x80000000, v204
	s_delay_alu instid0(VALU_DEP_3) | instskip(SKIP_2) | instid1(VALU_DEP_2)
	v_cndmask_b32_e64 v210, v202, v205, s3
	v_cmp_gt_f64_e64 s3, 0, v[203:204]
	v_cndmask_b32_e32 v205, v184, v184, vcc_lo
	v_cndmask_b32_e64 v212, v204, v207, s3
	v_cndmask_b32_e64 v207, v186, v186, s2
	s_delay_alu instid0(VALU_DEP_2) | instskip(NEXT) | instid1(VALU_DEP_2)
	v_add_f64 v[209:210], v[209:210], v[211:212]
	v_add_f64 v[205:206], v[205:206], v[207:208]
	s_delay_alu instid0(VALU_DEP_1) | instskip(SKIP_4) | instid1(SALU_CYCLE_1)
	v_cmp_lt_f64_e32 vcc_lo, v[205:206], v[209:210]
	v_dual_cndmask_b32 v186, v186, v203 :: v_dual_cndmask_b32 v185, v185, v202
	v_dual_cndmask_b32 v184, v184, v201 :: v_dual_cndmask_b32 v187, v187, v204
	v_cndmask_b32_e64 v192, v192, s6, vcc_lo
	s_add_i32 s6, s6, 1
	s_cmp_lg_u32 s5, s6
	s_cbranch_scc1 .LBB90_379
.LBB90_380:
	s_set_inst_prefetch_distance 0x2
	s_waitcnt lgkmcnt(0)
	v_cmp_eq_f64_e32 vcc_lo, 0, v[184:185]
	v_cmp_eq_f64_e64 s2, 0, v[186:187]
	s_delay_alu instid0(VALU_DEP_1) | instskip(NEXT) | instid1(SALU_CYCLE_1)
	s_and_b32 s2, vcc_lo, s2
	s_and_saveexec_b32 s3, s2
	s_delay_alu instid0(SALU_CYCLE_1)
	s_xor_b32 s2, exec_lo, s3
; %bb.381:
	v_cmp_ne_u32_e32 vcc_lo, 0, v197
	v_cndmask_b32_e32 v197, 19, v197, vcc_lo
; %bb.382:
	s_and_not1_saveexec_b32 s3, s2
	s_cbranch_execz .LBB90_388
; %bb.383:
	v_cmp_gt_f64_e32 vcc_lo, 0, v[184:185]
	v_cmp_gt_f64_e64 s2, 0, v[186:187]
	v_xor_b32_e32 v193, 0x80000000, v185
	v_xor_b32_e32 v201, 0x80000000, v187
	s_delay_alu instid0(VALU_DEP_2) | instskip(NEXT) | instid1(VALU_DEP_2)
	v_cndmask_b32_e32 v202, v185, v193, vcc_lo
	v_cndmask_b32_e64 v204, v187, v201, s2
	v_cndmask_b32_e32 v201, v184, v184, vcc_lo
	v_cndmask_b32_e64 v203, v186, v186, s2
	s_mov_b32 s2, exec_lo
	s_delay_alu instid0(VALU_DEP_1)
	v_cmpx_ngt_f64_e32 v[201:202], v[203:204]
	s_xor_b32 s2, exec_lo, s2
	s_cbranch_execz .LBB90_385
; %bb.384:
	v_div_scale_f64 v[201:202], null, v[186:187], v[186:187], v[184:185]
	v_div_scale_f64 v[207:208], vcc_lo, v[184:185], v[186:187], v[184:185]
	s_delay_alu instid0(VALU_DEP_2) | instskip(SKIP_2) | instid1(VALU_DEP_1)
	v_rcp_f64_e32 v[203:204], v[201:202]
	s_waitcnt_depctr 0xfff
	v_fma_f64 v[205:206], -v[201:202], v[203:204], 1.0
	v_fma_f64 v[203:204], v[203:204], v[205:206], v[203:204]
	s_delay_alu instid0(VALU_DEP_1) | instskip(NEXT) | instid1(VALU_DEP_1)
	v_fma_f64 v[205:206], -v[201:202], v[203:204], 1.0
	v_fma_f64 v[203:204], v[203:204], v[205:206], v[203:204]
	s_delay_alu instid0(VALU_DEP_1) | instskip(NEXT) | instid1(VALU_DEP_1)
	v_mul_f64 v[205:206], v[207:208], v[203:204]
	v_fma_f64 v[201:202], -v[201:202], v[205:206], v[207:208]
	s_delay_alu instid0(VALU_DEP_1) | instskip(NEXT) | instid1(VALU_DEP_1)
	v_div_fmas_f64 v[201:202], v[201:202], v[203:204], v[205:206]
	v_div_fixup_f64 v[201:202], v[201:202], v[186:187], v[184:185]
	s_delay_alu instid0(VALU_DEP_1) | instskip(NEXT) | instid1(VALU_DEP_1)
	v_fma_f64 v[184:185], v[184:185], v[201:202], v[186:187]
	v_div_scale_f64 v[186:187], null, v[184:185], v[184:185], 1.0
	s_delay_alu instid0(VALU_DEP_1) | instskip(SKIP_2) | instid1(VALU_DEP_1)
	v_rcp_f64_e32 v[203:204], v[186:187]
	s_waitcnt_depctr 0xfff
	v_fma_f64 v[205:206], -v[186:187], v[203:204], 1.0
	v_fma_f64 v[203:204], v[203:204], v[205:206], v[203:204]
	s_delay_alu instid0(VALU_DEP_1) | instskip(NEXT) | instid1(VALU_DEP_1)
	v_fma_f64 v[205:206], -v[186:187], v[203:204], 1.0
	v_fma_f64 v[203:204], v[203:204], v[205:206], v[203:204]
	v_div_scale_f64 v[205:206], vcc_lo, 1.0, v[184:185], 1.0
	s_delay_alu instid0(VALU_DEP_1) | instskip(NEXT) | instid1(VALU_DEP_1)
	v_mul_f64 v[207:208], v[205:206], v[203:204]
	v_fma_f64 v[186:187], -v[186:187], v[207:208], v[205:206]
	s_delay_alu instid0(VALU_DEP_1) | instskip(NEXT) | instid1(VALU_DEP_1)
	v_div_fmas_f64 v[186:187], v[186:187], v[203:204], v[207:208]
	v_div_fixup_f64 v[186:187], v[186:187], v[184:185], 1.0
	s_delay_alu instid0(VALU_DEP_1)
	v_mul_f64 v[184:185], v[201:202], v[186:187]
	v_xor_b32_e32 v187, 0x80000000, v187
.LBB90_385:
	s_and_not1_saveexec_b32 s2, s2
	s_cbranch_execz .LBB90_387
; %bb.386:
	s_delay_alu instid0(VALU_DEP_1) | instskip(SKIP_1) | instid1(VALU_DEP_2)
	v_div_scale_f64 v[201:202], null, v[184:185], v[184:185], v[186:187]
	v_div_scale_f64 v[207:208], vcc_lo, v[186:187], v[184:185], v[186:187]
	v_rcp_f64_e32 v[203:204], v[201:202]
	s_waitcnt_depctr 0xfff
	v_fma_f64 v[205:206], -v[201:202], v[203:204], 1.0
	s_delay_alu instid0(VALU_DEP_1) | instskip(NEXT) | instid1(VALU_DEP_1)
	v_fma_f64 v[203:204], v[203:204], v[205:206], v[203:204]
	v_fma_f64 v[205:206], -v[201:202], v[203:204], 1.0
	s_delay_alu instid0(VALU_DEP_1) | instskip(NEXT) | instid1(VALU_DEP_1)
	v_fma_f64 v[203:204], v[203:204], v[205:206], v[203:204]
	v_mul_f64 v[205:206], v[207:208], v[203:204]
	s_delay_alu instid0(VALU_DEP_1) | instskip(NEXT) | instid1(VALU_DEP_1)
	v_fma_f64 v[201:202], -v[201:202], v[205:206], v[207:208]
	v_div_fmas_f64 v[201:202], v[201:202], v[203:204], v[205:206]
	s_delay_alu instid0(VALU_DEP_1) | instskip(NEXT) | instid1(VALU_DEP_1)
	v_div_fixup_f64 v[201:202], v[201:202], v[184:185], v[186:187]
	v_fma_f64 v[184:185], v[186:187], v[201:202], v[184:185]
	s_delay_alu instid0(VALU_DEP_1) | instskip(NEXT) | instid1(VALU_DEP_1)
	v_div_scale_f64 v[186:187], null, v[184:185], v[184:185], 1.0
	v_rcp_f64_e32 v[203:204], v[186:187]
	s_waitcnt_depctr 0xfff
	v_fma_f64 v[205:206], -v[186:187], v[203:204], 1.0
	s_delay_alu instid0(VALU_DEP_1) | instskip(NEXT) | instid1(VALU_DEP_1)
	v_fma_f64 v[203:204], v[203:204], v[205:206], v[203:204]
	v_fma_f64 v[205:206], -v[186:187], v[203:204], 1.0
	s_delay_alu instid0(VALU_DEP_1) | instskip(SKIP_1) | instid1(VALU_DEP_1)
	v_fma_f64 v[203:204], v[203:204], v[205:206], v[203:204]
	v_div_scale_f64 v[205:206], vcc_lo, 1.0, v[184:185], 1.0
	v_mul_f64 v[207:208], v[205:206], v[203:204]
	s_delay_alu instid0(VALU_DEP_1) | instskip(NEXT) | instid1(VALU_DEP_1)
	v_fma_f64 v[186:187], -v[186:187], v[207:208], v[205:206]
	v_div_fmas_f64 v[186:187], v[186:187], v[203:204], v[207:208]
	s_delay_alu instid0(VALU_DEP_1) | instskip(NEXT) | instid1(VALU_DEP_1)
	v_div_fixup_f64 v[184:185], v[186:187], v[184:185], 1.0
	v_mul_f64 v[186:187], v[201:202], -v[184:185]
.LBB90_387:
	s_or_b32 exec_lo, exec_lo, s2
.LBB90_388:
	s_delay_alu instid0(SALU_CYCLE_1) | instskip(NEXT) | instid1(SALU_CYCLE_1)
	s_or_b32 exec_lo, exec_lo, s3
	s_mov_b32 s2, exec_lo
	v_cmpx_ne_u32_e64 v200, v192
	s_xor_b32 s2, exec_lo, s2
	s_cbranch_execz .LBB90_394
; %bb.389:
	s_mov_b32 s3, exec_lo
	v_cmpx_eq_u32_e32 18, v200
	s_cbranch_execz .LBB90_393
; %bb.390:
	v_cmp_ne_u32_e32 vcc_lo, 18, v192
	s_xor_b32 s6, s4, -1
	s_delay_alu instid0(SALU_CYCLE_1) | instskip(NEXT) | instid1(SALU_CYCLE_1)
	s_and_b32 s7, s6, vcc_lo
	s_and_saveexec_b32 s6, s7
	s_cbranch_execz .LBB90_392
; %bb.391:
	v_ashrrev_i32_e32 v193, 31, v192
	s_delay_alu instid0(VALU_DEP_1) | instskip(NEXT) | instid1(VALU_DEP_1)
	v_lshlrev_b64 v[200:201], 2, v[192:193]
	v_add_co_u32 v200, vcc_lo, v190, v200
	s_delay_alu instid0(VALU_DEP_2)
	v_add_co_ci_u32_e32 v201, vcc_lo, v191, v201, vcc_lo
	s_clause 0x1
	flat_load_b32 v193, v[200:201]
	flat_load_b32 v198, v[190:191] offset:72
	s_waitcnt vmcnt(1) lgkmcnt(1)
	flat_store_b32 v[190:191], v193 offset:72
	s_waitcnt vmcnt(0) lgkmcnt(1)
	flat_store_b32 v[200:201], v198
.LBB90_392:
	s_or_b32 exec_lo, exec_lo, s6
	v_mov_b32_e32 v200, v192
	v_mov_b32_e32 v198, v192
.LBB90_393:
	s_or_b32 exec_lo, exec_lo, s3
.LBB90_394:
	s_and_not1_saveexec_b32 s2, s2
	s_cbranch_execz .LBB90_396
; %bb.395:
	v_mov_b32_e32 v200, 18
	ds_store_2addr_b64 v194, v[104:105], v[106:107] offset0:38 offset1:39
	ds_store_2addr_b64 v194, v[100:101], v[102:103] offset0:40 offset1:41
	;; [unrolled: 1-line block ×27, first 2 shown]
.LBB90_396:
	s_or_b32 exec_lo, exec_lo, s2
	s_delay_alu instid0(SALU_CYCLE_1)
	s_mov_b32 s2, exec_lo
	s_waitcnt lgkmcnt(0)
	s_waitcnt_vscnt null, 0x0
	s_barrier
	buffer_gl0_inv
	v_cmpx_lt_i32_e32 18, v200
	s_cbranch_execz .LBB90_398
; %bb.397:
	v_mul_f64 v[192:193], v[186:187], v[110:111]
	v_mul_f64 v[110:111], v[184:185], v[110:111]
	s_delay_alu instid0(VALU_DEP_2) | instskip(NEXT) | instid1(VALU_DEP_2)
	v_fma_f64 v[192:193], v[184:185], v[108:109], -v[192:193]
	v_fma_f64 v[110:111], v[186:187], v[108:109], v[110:111]
	ds_load_2addr_b64 v[184:187], v194 offset0:38 offset1:39
	s_waitcnt lgkmcnt(0)
	v_mul_f64 v[108:109], v[186:187], v[110:111]
	s_delay_alu instid0(VALU_DEP_1) | instskip(SKIP_1) | instid1(VALU_DEP_2)
	v_fma_f64 v[108:109], v[184:185], v[192:193], -v[108:109]
	v_mul_f64 v[184:185], v[184:185], v[110:111]
	v_add_f64 v[104:105], v[104:105], -v[108:109]
	s_delay_alu instid0(VALU_DEP_2) | instskip(NEXT) | instid1(VALU_DEP_1)
	v_fma_f64 v[184:185], v[186:187], v[192:193], v[184:185]
	v_add_f64 v[106:107], v[106:107], -v[184:185]
	ds_load_2addr_b64 v[184:187], v194 offset0:40 offset1:41
	s_waitcnt lgkmcnt(0)
	v_mul_f64 v[108:109], v[186:187], v[110:111]
	s_delay_alu instid0(VALU_DEP_1) | instskip(SKIP_1) | instid1(VALU_DEP_2)
	v_fma_f64 v[108:109], v[184:185], v[192:193], -v[108:109]
	v_mul_f64 v[184:185], v[184:185], v[110:111]
	v_add_f64 v[100:101], v[100:101], -v[108:109]
	s_delay_alu instid0(VALU_DEP_2) | instskip(NEXT) | instid1(VALU_DEP_1)
	v_fma_f64 v[184:185], v[186:187], v[192:193], v[184:185]
	v_add_f64 v[102:103], v[102:103], -v[184:185]
	;; [unrolled: 10-line block ×26, first 2 shown]
	ds_load_2addr_b64 v[184:187], v194 offset0:90 offset1:91
	s_waitcnt lgkmcnt(0)
	v_mul_f64 v[108:109], v[186:187], v[110:111]
	s_delay_alu instid0(VALU_DEP_1) | instskip(SKIP_1) | instid1(VALU_DEP_2)
	v_fma_f64 v[108:109], v[184:185], v[192:193], -v[108:109]
	v_mul_f64 v[184:185], v[184:185], v[110:111]
	v_add_f64 v[0:1], v[0:1], -v[108:109]
	s_delay_alu instid0(VALU_DEP_2) | instskip(SKIP_1) | instid1(VALU_DEP_2)
	v_fma_f64 v[184:185], v[186:187], v[192:193], v[184:185]
	v_dual_mov_b32 v108, v192 :: v_dual_mov_b32 v109, v193
	v_add_f64 v[2:3], v[2:3], -v[184:185]
.LBB90_398:
	s_or_b32 exec_lo, exec_lo, s2
	v_lshl_add_u32 v184, v200, 4, v194
	s_barrier
	buffer_gl0_inv
	v_mov_b32_e32 v192, 19
	ds_store_2addr_b64 v184, v[104:105], v[106:107] offset1:1
	s_waitcnt lgkmcnt(0)
	s_barrier
	buffer_gl0_inv
	ds_load_2addr_b64 v[184:187], v194 offset0:38 offset1:39
	s_cmp_lt_i32 s5, 21
	s_cbranch_scc1 .LBB90_401
; %bb.399:
	v_add3_u32 v193, v199, 0, 0x140
	v_mov_b32_e32 v192, 19
	s_mov_b32 s6, 20
	s_set_inst_prefetch_distance 0x1
	.p2align	6
.LBB90_400:                             ; =>This Inner Loop Header: Depth=1
	ds_load_2addr_b64 v[201:204], v193 offset1:1
	s_waitcnt lgkmcnt(1)
	v_cmp_gt_f64_e32 vcc_lo, 0, v[184:185]
	v_xor_b32_e32 v205, 0x80000000, v185
	v_cmp_gt_f64_e64 s2, 0, v[186:187]
	v_xor_b32_e32 v207, 0x80000000, v187
	v_add_nc_u32_e32 v193, 16, v193
	s_waitcnt lgkmcnt(0)
	v_cmp_gt_f64_e64 s3, 0, v[201:202]
	v_mov_b32_e32 v209, v201
	v_dual_mov_b32 v211, v203 :: v_dual_cndmask_b32 v206, v185, v205
	v_xor_b32_e32 v205, 0x80000000, v202
	v_cndmask_b32_e64 v208, v187, v207, s2
	v_xor_b32_e32 v207, 0x80000000, v204
	s_delay_alu instid0(VALU_DEP_3) | instskip(SKIP_2) | instid1(VALU_DEP_2)
	v_cndmask_b32_e64 v210, v202, v205, s3
	v_cmp_gt_f64_e64 s3, 0, v[203:204]
	v_cndmask_b32_e32 v205, v184, v184, vcc_lo
	v_cndmask_b32_e64 v212, v204, v207, s3
	v_cndmask_b32_e64 v207, v186, v186, s2
	s_delay_alu instid0(VALU_DEP_2) | instskip(NEXT) | instid1(VALU_DEP_2)
	v_add_f64 v[209:210], v[209:210], v[211:212]
	v_add_f64 v[205:206], v[205:206], v[207:208]
	s_delay_alu instid0(VALU_DEP_1) | instskip(SKIP_4) | instid1(SALU_CYCLE_1)
	v_cmp_lt_f64_e32 vcc_lo, v[205:206], v[209:210]
	v_dual_cndmask_b32 v186, v186, v203 :: v_dual_cndmask_b32 v185, v185, v202
	v_dual_cndmask_b32 v184, v184, v201 :: v_dual_cndmask_b32 v187, v187, v204
	v_cndmask_b32_e64 v192, v192, s6, vcc_lo
	s_add_i32 s6, s6, 1
	s_cmp_lg_u32 s5, s6
	s_cbranch_scc1 .LBB90_400
.LBB90_401:
	s_set_inst_prefetch_distance 0x2
	s_waitcnt lgkmcnt(0)
	v_cmp_eq_f64_e32 vcc_lo, 0, v[184:185]
	v_cmp_eq_f64_e64 s2, 0, v[186:187]
	s_delay_alu instid0(VALU_DEP_1) | instskip(NEXT) | instid1(SALU_CYCLE_1)
	s_and_b32 s2, vcc_lo, s2
	s_and_saveexec_b32 s3, s2
	s_delay_alu instid0(SALU_CYCLE_1)
	s_xor_b32 s2, exec_lo, s3
; %bb.402:
	v_cmp_ne_u32_e32 vcc_lo, 0, v197
	v_cndmask_b32_e32 v197, 20, v197, vcc_lo
; %bb.403:
	s_and_not1_saveexec_b32 s3, s2
	s_cbranch_execz .LBB90_409
; %bb.404:
	v_cmp_gt_f64_e32 vcc_lo, 0, v[184:185]
	v_cmp_gt_f64_e64 s2, 0, v[186:187]
	v_xor_b32_e32 v193, 0x80000000, v185
	v_xor_b32_e32 v201, 0x80000000, v187
	s_delay_alu instid0(VALU_DEP_2) | instskip(NEXT) | instid1(VALU_DEP_2)
	v_cndmask_b32_e32 v202, v185, v193, vcc_lo
	v_cndmask_b32_e64 v204, v187, v201, s2
	v_cndmask_b32_e32 v201, v184, v184, vcc_lo
	v_cndmask_b32_e64 v203, v186, v186, s2
	s_mov_b32 s2, exec_lo
	s_delay_alu instid0(VALU_DEP_1)
	v_cmpx_ngt_f64_e32 v[201:202], v[203:204]
	s_xor_b32 s2, exec_lo, s2
	s_cbranch_execz .LBB90_406
; %bb.405:
	v_div_scale_f64 v[201:202], null, v[186:187], v[186:187], v[184:185]
	v_div_scale_f64 v[207:208], vcc_lo, v[184:185], v[186:187], v[184:185]
	s_delay_alu instid0(VALU_DEP_2) | instskip(SKIP_2) | instid1(VALU_DEP_1)
	v_rcp_f64_e32 v[203:204], v[201:202]
	s_waitcnt_depctr 0xfff
	v_fma_f64 v[205:206], -v[201:202], v[203:204], 1.0
	v_fma_f64 v[203:204], v[203:204], v[205:206], v[203:204]
	s_delay_alu instid0(VALU_DEP_1) | instskip(NEXT) | instid1(VALU_DEP_1)
	v_fma_f64 v[205:206], -v[201:202], v[203:204], 1.0
	v_fma_f64 v[203:204], v[203:204], v[205:206], v[203:204]
	s_delay_alu instid0(VALU_DEP_1) | instskip(NEXT) | instid1(VALU_DEP_1)
	v_mul_f64 v[205:206], v[207:208], v[203:204]
	v_fma_f64 v[201:202], -v[201:202], v[205:206], v[207:208]
	s_delay_alu instid0(VALU_DEP_1) | instskip(NEXT) | instid1(VALU_DEP_1)
	v_div_fmas_f64 v[201:202], v[201:202], v[203:204], v[205:206]
	v_div_fixup_f64 v[201:202], v[201:202], v[186:187], v[184:185]
	s_delay_alu instid0(VALU_DEP_1) | instskip(NEXT) | instid1(VALU_DEP_1)
	v_fma_f64 v[184:185], v[184:185], v[201:202], v[186:187]
	v_div_scale_f64 v[186:187], null, v[184:185], v[184:185], 1.0
	s_delay_alu instid0(VALU_DEP_1) | instskip(SKIP_2) | instid1(VALU_DEP_1)
	v_rcp_f64_e32 v[203:204], v[186:187]
	s_waitcnt_depctr 0xfff
	v_fma_f64 v[205:206], -v[186:187], v[203:204], 1.0
	v_fma_f64 v[203:204], v[203:204], v[205:206], v[203:204]
	s_delay_alu instid0(VALU_DEP_1) | instskip(NEXT) | instid1(VALU_DEP_1)
	v_fma_f64 v[205:206], -v[186:187], v[203:204], 1.0
	v_fma_f64 v[203:204], v[203:204], v[205:206], v[203:204]
	v_div_scale_f64 v[205:206], vcc_lo, 1.0, v[184:185], 1.0
	s_delay_alu instid0(VALU_DEP_1) | instskip(NEXT) | instid1(VALU_DEP_1)
	v_mul_f64 v[207:208], v[205:206], v[203:204]
	v_fma_f64 v[186:187], -v[186:187], v[207:208], v[205:206]
	s_delay_alu instid0(VALU_DEP_1) | instskip(NEXT) | instid1(VALU_DEP_1)
	v_div_fmas_f64 v[186:187], v[186:187], v[203:204], v[207:208]
	v_div_fixup_f64 v[186:187], v[186:187], v[184:185], 1.0
	s_delay_alu instid0(VALU_DEP_1)
	v_mul_f64 v[184:185], v[201:202], v[186:187]
	v_xor_b32_e32 v187, 0x80000000, v187
.LBB90_406:
	s_and_not1_saveexec_b32 s2, s2
	s_cbranch_execz .LBB90_408
; %bb.407:
	s_delay_alu instid0(VALU_DEP_1) | instskip(SKIP_1) | instid1(VALU_DEP_2)
	v_div_scale_f64 v[201:202], null, v[184:185], v[184:185], v[186:187]
	v_div_scale_f64 v[207:208], vcc_lo, v[186:187], v[184:185], v[186:187]
	v_rcp_f64_e32 v[203:204], v[201:202]
	s_waitcnt_depctr 0xfff
	v_fma_f64 v[205:206], -v[201:202], v[203:204], 1.0
	s_delay_alu instid0(VALU_DEP_1) | instskip(NEXT) | instid1(VALU_DEP_1)
	v_fma_f64 v[203:204], v[203:204], v[205:206], v[203:204]
	v_fma_f64 v[205:206], -v[201:202], v[203:204], 1.0
	s_delay_alu instid0(VALU_DEP_1) | instskip(NEXT) | instid1(VALU_DEP_1)
	v_fma_f64 v[203:204], v[203:204], v[205:206], v[203:204]
	v_mul_f64 v[205:206], v[207:208], v[203:204]
	s_delay_alu instid0(VALU_DEP_1) | instskip(NEXT) | instid1(VALU_DEP_1)
	v_fma_f64 v[201:202], -v[201:202], v[205:206], v[207:208]
	v_div_fmas_f64 v[201:202], v[201:202], v[203:204], v[205:206]
	s_delay_alu instid0(VALU_DEP_1) | instskip(NEXT) | instid1(VALU_DEP_1)
	v_div_fixup_f64 v[201:202], v[201:202], v[184:185], v[186:187]
	v_fma_f64 v[184:185], v[186:187], v[201:202], v[184:185]
	s_delay_alu instid0(VALU_DEP_1) | instskip(NEXT) | instid1(VALU_DEP_1)
	v_div_scale_f64 v[186:187], null, v[184:185], v[184:185], 1.0
	v_rcp_f64_e32 v[203:204], v[186:187]
	s_waitcnt_depctr 0xfff
	v_fma_f64 v[205:206], -v[186:187], v[203:204], 1.0
	s_delay_alu instid0(VALU_DEP_1) | instskip(NEXT) | instid1(VALU_DEP_1)
	v_fma_f64 v[203:204], v[203:204], v[205:206], v[203:204]
	v_fma_f64 v[205:206], -v[186:187], v[203:204], 1.0
	s_delay_alu instid0(VALU_DEP_1) | instskip(SKIP_1) | instid1(VALU_DEP_1)
	v_fma_f64 v[203:204], v[203:204], v[205:206], v[203:204]
	v_div_scale_f64 v[205:206], vcc_lo, 1.0, v[184:185], 1.0
	v_mul_f64 v[207:208], v[205:206], v[203:204]
	s_delay_alu instid0(VALU_DEP_1) | instskip(NEXT) | instid1(VALU_DEP_1)
	v_fma_f64 v[186:187], -v[186:187], v[207:208], v[205:206]
	v_div_fmas_f64 v[186:187], v[186:187], v[203:204], v[207:208]
	s_delay_alu instid0(VALU_DEP_1) | instskip(NEXT) | instid1(VALU_DEP_1)
	v_div_fixup_f64 v[184:185], v[186:187], v[184:185], 1.0
	v_mul_f64 v[186:187], v[201:202], -v[184:185]
.LBB90_408:
	s_or_b32 exec_lo, exec_lo, s2
.LBB90_409:
	s_delay_alu instid0(SALU_CYCLE_1) | instskip(NEXT) | instid1(SALU_CYCLE_1)
	s_or_b32 exec_lo, exec_lo, s3
	s_mov_b32 s2, exec_lo
	v_cmpx_ne_u32_e64 v200, v192
	s_xor_b32 s2, exec_lo, s2
	s_cbranch_execz .LBB90_415
; %bb.410:
	s_mov_b32 s3, exec_lo
	v_cmpx_eq_u32_e32 19, v200
	s_cbranch_execz .LBB90_414
; %bb.411:
	v_cmp_ne_u32_e32 vcc_lo, 19, v192
	s_xor_b32 s6, s4, -1
	s_delay_alu instid0(SALU_CYCLE_1) | instskip(NEXT) | instid1(SALU_CYCLE_1)
	s_and_b32 s7, s6, vcc_lo
	s_and_saveexec_b32 s6, s7
	s_cbranch_execz .LBB90_413
; %bb.412:
	v_ashrrev_i32_e32 v193, 31, v192
	s_delay_alu instid0(VALU_DEP_1) | instskip(NEXT) | instid1(VALU_DEP_1)
	v_lshlrev_b64 v[200:201], 2, v[192:193]
	v_add_co_u32 v200, vcc_lo, v190, v200
	s_delay_alu instid0(VALU_DEP_2)
	v_add_co_ci_u32_e32 v201, vcc_lo, v191, v201, vcc_lo
	s_clause 0x1
	flat_load_b32 v193, v[200:201]
	flat_load_b32 v198, v[190:191] offset:76
	s_waitcnt vmcnt(1) lgkmcnt(1)
	flat_store_b32 v[190:191], v193 offset:76
	s_waitcnt vmcnt(0) lgkmcnt(1)
	flat_store_b32 v[200:201], v198
.LBB90_413:
	s_or_b32 exec_lo, exec_lo, s6
	v_mov_b32_e32 v200, v192
	v_mov_b32_e32 v198, v192
.LBB90_414:
	s_or_b32 exec_lo, exec_lo, s3
.LBB90_415:
	s_and_not1_saveexec_b32 s2, s2
	s_cbranch_execz .LBB90_417
; %bb.416:
	v_mov_b32_e32 v200, 19
	ds_store_2addr_b64 v194, v[100:101], v[102:103] offset0:40 offset1:41
	ds_store_2addr_b64 v194, v[96:97], v[98:99] offset0:42 offset1:43
	;; [unrolled: 1-line block ×26, first 2 shown]
.LBB90_417:
	s_or_b32 exec_lo, exec_lo, s2
	s_delay_alu instid0(SALU_CYCLE_1)
	s_mov_b32 s2, exec_lo
	s_waitcnt lgkmcnt(0)
	s_waitcnt_vscnt null, 0x0
	s_barrier
	buffer_gl0_inv
	v_cmpx_lt_i32_e32 19, v200
	s_cbranch_execz .LBB90_419
; %bb.418:
	v_mul_f64 v[192:193], v[186:187], v[106:107]
	v_mul_f64 v[106:107], v[184:185], v[106:107]
	s_delay_alu instid0(VALU_DEP_2) | instskip(NEXT) | instid1(VALU_DEP_2)
	v_fma_f64 v[192:193], v[184:185], v[104:105], -v[192:193]
	v_fma_f64 v[106:107], v[186:187], v[104:105], v[106:107]
	ds_load_2addr_b64 v[184:187], v194 offset0:40 offset1:41
	s_waitcnt lgkmcnt(0)
	v_mul_f64 v[104:105], v[186:187], v[106:107]
	s_delay_alu instid0(VALU_DEP_1) | instskip(SKIP_1) | instid1(VALU_DEP_2)
	v_fma_f64 v[104:105], v[184:185], v[192:193], -v[104:105]
	v_mul_f64 v[184:185], v[184:185], v[106:107]
	v_add_f64 v[100:101], v[100:101], -v[104:105]
	s_delay_alu instid0(VALU_DEP_2) | instskip(NEXT) | instid1(VALU_DEP_1)
	v_fma_f64 v[184:185], v[186:187], v[192:193], v[184:185]
	v_add_f64 v[102:103], v[102:103], -v[184:185]
	ds_load_2addr_b64 v[184:187], v194 offset0:42 offset1:43
	s_waitcnt lgkmcnt(0)
	v_mul_f64 v[104:105], v[186:187], v[106:107]
	s_delay_alu instid0(VALU_DEP_1) | instskip(SKIP_1) | instid1(VALU_DEP_2)
	v_fma_f64 v[104:105], v[184:185], v[192:193], -v[104:105]
	v_mul_f64 v[184:185], v[184:185], v[106:107]
	v_add_f64 v[96:97], v[96:97], -v[104:105]
	s_delay_alu instid0(VALU_DEP_2) | instskip(NEXT) | instid1(VALU_DEP_1)
	v_fma_f64 v[184:185], v[186:187], v[192:193], v[184:185]
	v_add_f64 v[98:99], v[98:99], -v[184:185]
	;; [unrolled: 10-line block ×25, first 2 shown]
	ds_load_2addr_b64 v[184:187], v194 offset0:90 offset1:91
	s_waitcnt lgkmcnt(0)
	v_mul_f64 v[104:105], v[186:187], v[106:107]
	s_delay_alu instid0(VALU_DEP_1) | instskip(SKIP_1) | instid1(VALU_DEP_2)
	v_fma_f64 v[104:105], v[184:185], v[192:193], -v[104:105]
	v_mul_f64 v[184:185], v[184:185], v[106:107]
	v_add_f64 v[0:1], v[0:1], -v[104:105]
	s_delay_alu instid0(VALU_DEP_2) | instskip(SKIP_1) | instid1(VALU_DEP_2)
	v_fma_f64 v[184:185], v[186:187], v[192:193], v[184:185]
	v_dual_mov_b32 v104, v192 :: v_dual_mov_b32 v105, v193
	v_add_f64 v[2:3], v[2:3], -v[184:185]
.LBB90_419:
	s_or_b32 exec_lo, exec_lo, s2
	v_lshl_add_u32 v184, v200, 4, v194
	s_barrier
	buffer_gl0_inv
	v_mov_b32_e32 v192, 20
	ds_store_2addr_b64 v184, v[100:101], v[102:103] offset1:1
	s_waitcnt lgkmcnt(0)
	s_barrier
	buffer_gl0_inv
	ds_load_2addr_b64 v[184:187], v194 offset0:40 offset1:41
	s_cmp_lt_i32 s5, 22
	s_cbranch_scc1 .LBB90_422
; %bb.420:
	v_add3_u32 v193, v199, 0, 0x150
	v_mov_b32_e32 v192, 20
	s_mov_b32 s6, 21
	s_set_inst_prefetch_distance 0x1
	.p2align	6
.LBB90_421:                             ; =>This Inner Loop Header: Depth=1
	ds_load_2addr_b64 v[201:204], v193 offset1:1
	s_waitcnt lgkmcnt(1)
	v_cmp_gt_f64_e32 vcc_lo, 0, v[184:185]
	v_xor_b32_e32 v205, 0x80000000, v185
	v_cmp_gt_f64_e64 s2, 0, v[186:187]
	v_xor_b32_e32 v207, 0x80000000, v187
	v_add_nc_u32_e32 v193, 16, v193
	s_waitcnt lgkmcnt(0)
	v_cmp_gt_f64_e64 s3, 0, v[201:202]
	v_mov_b32_e32 v209, v201
	v_dual_mov_b32 v211, v203 :: v_dual_cndmask_b32 v206, v185, v205
	v_xor_b32_e32 v205, 0x80000000, v202
	v_cndmask_b32_e64 v208, v187, v207, s2
	v_xor_b32_e32 v207, 0x80000000, v204
	s_delay_alu instid0(VALU_DEP_3) | instskip(SKIP_2) | instid1(VALU_DEP_2)
	v_cndmask_b32_e64 v210, v202, v205, s3
	v_cmp_gt_f64_e64 s3, 0, v[203:204]
	v_cndmask_b32_e32 v205, v184, v184, vcc_lo
	v_cndmask_b32_e64 v212, v204, v207, s3
	v_cndmask_b32_e64 v207, v186, v186, s2
	s_delay_alu instid0(VALU_DEP_2) | instskip(NEXT) | instid1(VALU_DEP_2)
	v_add_f64 v[209:210], v[209:210], v[211:212]
	v_add_f64 v[205:206], v[205:206], v[207:208]
	s_delay_alu instid0(VALU_DEP_1) | instskip(SKIP_4) | instid1(SALU_CYCLE_1)
	v_cmp_lt_f64_e32 vcc_lo, v[205:206], v[209:210]
	v_dual_cndmask_b32 v186, v186, v203 :: v_dual_cndmask_b32 v185, v185, v202
	v_dual_cndmask_b32 v184, v184, v201 :: v_dual_cndmask_b32 v187, v187, v204
	v_cndmask_b32_e64 v192, v192, s6, vcc_lo
	s_add_i32 s6, s6, 1
	s_cmp_lg_u32 s5, s6
	s_cbranch_scc1 .LBB90_421
.LBB90_422:
	s_set_inst_prefetch_distance 0x2
	s_waitcnt lgkmcnt(0)
	v_cmp_eq_f64_e32 vcc_lo, 0, v[184:185]
	v_cmp_eq_f64_e64 s2, 0, v[186:187]
	s_delay_alu instid0(VALU_DEP_1) | instskip(NEXT) | instid1(SALU_CYCLE_1)
	s_and_b32 s2, vcc_lo, s2
	s_and_saveexec_b32 s3, s2
	s_delay_alu instid0(SALU_CYCLE_1)
	s_xor_b32 s2, exec_lo, s3
; %bb.423:
	v_cmp_ne_u32_e32 vcc_lo, 0, v197
	v_cndmask_b32_e32 v197, 21, v197, vcc_lo
; %bb.424:
	s_and_not1_saveexec_b32 s3, s2
	s_cbranch_execz .LBB90_430
; %bb.425:
	v_cmp_gt_f64_e32 vcc_lo, 0, v[184:185]
	v_cmp_gt_f64_e64 s2, 0, v[186:187]
	v_xor_b32_e32 v193, 0x80000000, v185
	v_xor_b32_e32 v201, 0x80000000, v187
	s_delay_alu instid0(VALU_DEP_2) | instskip(NEXT) | instid1(VALU_DEP_2)
	v_cndmask_b32_e32 v202, v185, v193, vcc_lo
	v_cndmask_b32_e64 v204, v187, v201, s2
	v_cndmask_b32_e32 v201, v184, v184, vcc_lo
	v_cndmask_b32_e64 v203, v186, v186, s2
	s_mov_b32 s2, exec_lo
	s_delay_alu instid0(VALU_DEP_1)
	v_cmpx_ngt_f64_e32 v[201:202], v[203:204]
	s_xor_b32 s2, exec_lo, s2
	s_cbranch_execz .LBB90_427
; %bb.426:
	v_div_scale_f64 v[201:202], null, v[186:187], v[186:187], v[184:185]
	v_div_scale_f64 v[207:208], vcc_lo, v[184:185], v[186:187], v[184:185]
	s_delay_alu instid0(VALU_DEP_2) | instskip(SKIP_2) | instid1(VALU_DEP_1)
	v_rcp_f64_e32 v[203:204], v[201:202]
	s_waitcnt_depctr 0xfff
	v_fma_f64 v[205:206], -v[201:202], v[203:204], 1.0
	v_fma_f64 v[203:204], v[203:204], v[205:206], v[203:204]
	s_delay_alu instid0(VALU_DEP_1) | instskip(NEXT) | instid1(VALU_DEP_1)
	v_fma_f64 v[205:206], -v[201:202], v[203:204], 1.0
	v_fma_f64 v[203:204], v[203:204], v[205:206], v[203:204]
	s_delay_alu instid0(VALU_DEP_1) | instskip(NEXT) | instid1(VALU_DEP_1)
	v_mul_f64 v[205:206], v[207:208], v[203:204]
	v_fma_f64 v[201:202], -v[201:202], v[205:206], v[207:208]
	s_delay_alu instid0(VALU_DEP_1) | instskip(NEXT) | instid1(VALU_DEP_1)
	v_div_fmas_f64 v[201:202], v[201:202], v[203:204], v[205:206]
	v_div_fixup_f64 v[201:202], v[201:202], v[186:187], v[184:185]
	s_delay_alu instid0(VALU_DEP_1) | instskip(NEXT) | instid1(VALU_DEP_1)
	v_fma_f64 v[184:185], v[184:185], v[201:202], v[186:187]
	v_div_scale_f64 v[186:187], null, v[184:185], v[184:185], 1.0
	s_delay_alu instid0(VALU_DEP_1) | instskip(SKIP_2) | instid1(VALU_DEP_1)
	v_rcp_f64_e32 v[203:204], v[186:187]
	s_waitcnt_depctr 0xfff
	v_fma_f64 v[205:206], -v[186:187], v[203:204], 1.0
	v_fma_f64 v[203:204], v[203:204], v[205:206], v[203:204]
	s_delay_alu instid0(VALU_DEP_1) | instskip(NEXT) | instid1(VALU_DEP_1)
	v_fma_f64 v[205:206], -v[186:187], v[203:204], 1.0
	v_fma_f64 v[203:204], v[203:204], v[205:206], v[203:204]
	v_div_scale_f64 v[205:206], vcc_lo, 1.0, v[184:185], 1.0
	s_delay_alu instid0(VALU_DEP_1) | instskip(NEXT) | instid1(VALU_DEP_1)
	v_mul_f64 v[207:208], v[205:206], v[203:204]
	v_fma_f64 v[186:187], -v[186:187], v[207:208], v[205:206]
	s_delay_alu instid0(VALU_DEP_1) | instskip(NEXT) | instid1(VALU_DEP_1)
	v_div_fmas_f64 v[186:187], v[186:187], v[203:204], v[207:208]
	v_div_fixup_f64 v[186:187], v[186:187], v[184:185], 1.0
	s_delay_alu instid0(VALU_DEP_1)
	v_mul_f64 v[184:185], v[201:202], v[186:187]
	v_xor_b32_e32 v187, 0x80000000, v187
.LBB90_427:
	s_and_not1_saveexec_b32 s2, s2
	s_cbranch_execz .LBB90_429
; %bb.428:
	s_delay_alu instid0(VALU_DEP_1) | instskip(SKIP_1) | instid1(VALU_DEP_2)
	v_div_scale_f64 v[201:202], null, v[184:185], v[184:185], v[186:187]
	v_div_scale_f64 v[207:208], vcc_lo, v[186:187], v[184:185], v[186:187]
	v_rcp_f64_e32 v[203:204], v[201:202]
	s_waitcnt_depctr 0xfff
	v_fma_f64 v[205:206], -v[201:202], v[203:204], 1.0
	s_delay_alu instid0(VALU_DEP_1) | instskip(NEXT) | instid1(VALU_DEP_1)
	v_fma_f64 v[203:204], v[203:204], v[205:206], v[203:204]
	v_fma_f64 v[205:206], -v[201:202], v[203:204], 1.0
	s_delay_alu instid0(VALU_DEP_1) | instskip(NEXT) | instid1(VALU_DEP_1)
	v_fma_f64 v[203:204], v[203:204], v[205:206], v[203:204]
	v_mul_f64 v[205:206], v[207:208], v[203:204]
	s_delay_alu instid0(VALU_DEP_1) | instskip(NEXT) | instid1(VALU_DEP_1)
	v_fma_f64 v[201:202], -v[201:202], v[205:206], v[207:208]
	v_div_fmas_f64 v[201:202], v[201:202], v[203:204], v[205:206]
	s_delay_alu instid0(VALU_DEP_1) | instskip(NEXT) | instid1(VALU_DEP_1)
	v_div_fixup_f64 v[201:202], v[201:202], v[184:185], v[186:187]
	v_fma_f64 v[184:185], v[186:187], v[201:202], v[184:185]
	s_delay_alu instid0(VALU_DEP_1) | instskip(NEXT) | instid1(VALU_DEP_1)
	v_div_scale_f64 v[186:187], null, v[184:185], v[184:185], 1.0
	v_rcp_f64_e32 v[203:204], v[186:187]
	s_waitcnt_depctr 0xfff
	v_fma_f64 v[205:206], -v[186:187], v[203:204], 1.0
	s_delay_alu instid0(VALU_DEP_1) | instskip(NEXT) | instid1(VALU_DEP_1)
	v_fma_f64 v[203:204], v[203:204], v[205:206], v[203:204]
	v_fma_f64 v[205:206], -v[186:187], v[203:204], 1.0
	s_delay_alu instid0(VALU_DEP_1) | instskip(SKIP_1) | instid1(VALU_DEP_1)
	v_fma_f64 v[203:204], v[203:204], v[205:206], v[203:204]
	v_div_scale_f64 v[205:206], vcc_lo, 1.0, v[184:185], 1.0
	v_mul_f64 v[207:208], v[205:206], v[203:204]
	s_delay_alu instid0(VALU_DEP_1) | instskip(NEXT) | instid1(VALU_DEP_1)
	v_fma_f64 v[186:187], -v[186:187], v[207:208], v[205:206]
	v_div_fmas_f64 v[186:187], v[186:187], v[203:204], v[207:208]
	s_delay_alu instid0(VALU_DEP_1) | instskip(NEXT) | instid1(VALU_DEP_1)
	v_div_fixup_f64 v[184:185], v[186:187], v[184:185], 1.0
	v_mul_f64 v[186:187], v[201:202], -v[184:185]
.LBB90_429:
	s_or_b32 exec_lo, exec_lo, s2
.LBB90_430:
	s_delay_alu instid0(SALU_CYCLE_1) | instskip(NEXT) | instid1(SALU_CYCLE_1)
	s_or_b32 exec_lo, exec_lo, s3
	s_mov_b32 s2, exec_lo
	v_cmpx_ne_u32_e64 v200, v192
	s_xor_b32 s2, exec_lo, s2
	s_cbranch_execz .LBB90_436
; %bb.431:
	s_mov_b32 s3, exec_lo
	v_cmpx_eq_u32_e32 20, v200
	s_cbranch_execz .LBB90_435
; %bb.432:
	v_cmp_ne_u32_e32 vcc_lo, 20, v192
	s_xor_b32 s6, s4, -1
	s_delay_alu instid0(SALU_CYCLE_1) | instskip(NEXT) | instid1(SALU_CYCLE_1)
	s_and_b32 s7, s6, vcc_lo
	s_and_saveexec_b32 s6, s7
	s_cbranch_execz .LBB90_434
; %bb.433:
	v_ashrrev_i32_e32 v193, 31, v192
	s_delay_alu instid0(VALU_DEP_1) | instskip(NEXT) | instid1(VALU_DEP_1)
	v_lshlrev_b64 v[200:201], 2, v[192:193]
	v_add_co_u32 v200, vcc_lo, v190, v200
	s_delay_alu instid0(VALU_DEP_2)
	v_add_co_ci_u32_e32 v201, vcc_lo, v191, v201, vcc_lo
	s_clause 0x1
	flat_load_b32 v193, v[200:201]
	flat_load_b32 v198, v[190:191] offset:80
	s_waitcnt vmcnt(1) lgkmcnt(1)
	flat_store_b32 v[190:191], v193 offset:80
	s_waitcnt vmcnt(0) lgkmcnt(1)
	flat_store_b32 v[200:201], v198
.LBB90_434:
	s_or_b32 exec_lo, exec_lo, s6
	v_mov_b32_e32 v200, v192
	v_mov_b32_e32 v198, v192
.LBB90_435:
	s_or_b32 exec_lo, exec_lo, s3
.LBB90_436:
	s_and_not1_saveexec_b32 s2, s2
	s_cbranch_execz .LBB90_438
; %bb.437:
	v_mov_b32_e32 v200, 20
	ds_store_2addr_b64 v194, v[96:97], v[98:99] offset0:42 offset1:43
	ds_store_2addr_b64 v194, v[92:93], v[94:95] offset0:44 offset1:45
	;; [unrolled: 1-line block ×25, first 2 shown]
.LBB90_438:
	s_or_b32 exec_lo, exec_lo, s2
	s_delay_alu instid0(SALU_CYCLE_1)
	s_mov_b32 s2, exec_lo
	s_waitcnt lgkmcnt(0)
	s_waitcnt_vscnt null, 0x0
	s_barrier
	buffer_gl0_inv
	v_cmpx_lt_i32_e32 20, v200
	s_cbranch_execz .LBB90_440
; %bb.439:
	v_mul_f64 v[192:193], v[186:187], v[102:103]
	v_mul_f64 v[102:103], v[184:185], v[102:103]
	s_delay_alu instid0(VALU_DEP_2) | instskip(NEXT) | instid1(VALU_DEP_2)
	v_fma_f64 v[192:193], v[184:185], v[100:101], -v[192:193]
	v_fma_f64 v[102:103], v[186:187], v[100:101], v[102:103]
	ds_load_2addr_b64 v[184:187], v194 offset0:42 offset1:43
	s_waitcnt lgkmcnt(0)
	v_mul_f64 v[100:101], v[186:187], v[102:103]
	s_delay_alu instid0(VALU_DEP_1) | instskip(SKIP_1) | instid1(VALU_DEP_2)
	v_fma_f64 v[100:101], v[184:185], v[192:193], -v[100:101]
	v_mul_f64 v[184:185], v[184:185], v[102:103]
	v_add_f64 v[96:97], v[96:97], -v[100:101]
	s_delay_alu instid0(VALU_DEP_2) | instskip(NEXT) | instid1(VALU_DEP_1)
	v_fma_f64 v[184:185], v[186:187], v[192:193], v[184:185]
	v_add_f64 v[98:99], v[98:99], -v[184:185]
	ds_load_2addr_b64 v[184:187], v194 offset0:44 offset1:45
	s_waitcnt lgkmcnt(0)
	v_mul_f64 v[100:101], v[186:187], v[102:103]
	s_delay_alu instid0(VALU_DEP_1) | instskip(SKIP_1) | instid1(VALU_DEP_2)
	v_fma_f64 v[100:101], v[184:185], v[192:193], -v[100:101]
	v_mul_f64 v[184:185], v[184:185], v[102:103]
	v_add_f64 v[92:93], v[92:93], -v[100:101]
	s_delay_alu instid0(VALU_DEP_2) | instskip(NEXT) | instid1(VALU_DEP_1)
	v_fma_f64 v[184:185], v[186:187], v[192:193], v[184:185]
	v_add_f64 v[94:95], v[94:95], -v[184:185]
	;; [unrolled: 10-line block ×24, first 2 shown]
	ds_load_2addr_b64 v[184:187], v194 offset0:90 offset1:91
	s_waitcnt lgkmcnt(0)
	v_mul_f64 v[100:101], v[186:187], v[102:103]
	s_delay_alu instid0(VALU_DEP_1) | instskip(SKIP_1) | instid1(VALU_DEP_2)
	v_fma_f64 v[100:101], v[184:185], v[192:193], -v[100:101]
	v_mul_f64 v[184:185], v[184:185], v[102:103]
	v_add_f64 v[0:1], v[0:1], -v[100:101]
	s_delay_alu instid0(VALU_DEP_2) | instskip(SKIP_1) | instid1(VALU_DEP_2)
	v_fma_f64 v[184:185], v[186:187], v[192:193], v[184:185]
	v_dual_mov_b32 v100, v192 :: v_dual_mov_b32 v101, v193
	v_add_f64 v[2:3], v[2:3], -v[184:185]
.LBB90_440:
	s_or_b32 exec_lo, exec_lo, s2
	v_lshl_add_u32 v184, v200, 4, v194
	s_barrier
	buffer_gl0_inv
	v_mov_b32_e32 v192, 21
	ds_store_2addr_b64 v184, v[96:97], v[98:99] offset1:1
	s_waitcnt lgkmcnt(0)
	s_barrier
	buffer_gl0_inv
	ds_load_2addr_b64 v[184:187], v194 offset0:42 offset1:43
	s_cmp_lt_i32 s5, 23
	s_cbranch_scc1 .LBB90_443
; %bb.441:
	v_add3_u32 v193, v199, 0, 0x160
	v_mov_b32_e32 v192, 21
	s_mov_b32 s6, 22
	s_set_inst_prefetch_distance 0x1
	.p2align	6
.LBB90_442:                             ; =>This Inner Loop Header: Depth=1
	ds_load_2addr_b64 v[201:204], v193 offset1:1
	s_waitcnt lgkmcnt(1)
	v_cmp_gt_f64_e32 vcc_lo, 0, v[184:185]
	v_xor_b32_e32 v205, 0x80000000, v185
	v_cmp_gt_f64_e64 s2, 0, v[186:187]
	v_xor_b32_e32 v207, 0x80000000, v187
	v_add_nc_u32_e32 v193, 16, v193
	s_waitcnt lgkmcnt(0)
	v_cmp_gt_f64_e64 s3, 0, v[201:202]
	v_mov_b32_e32 v209, v201
	v_dual_mov_b32 v211, v203 :: v_dual_cndmask_b32 v206, v185, v205
	v_xor_b32_e32 v205, 0x80000000, v202
	v_cndmask_b32_e64 v208, v187, v207, s2
	v_xor_b32_e32 v207, 0x80000000, v204
	s_delay_alu instid0(VALU_DEP_3) | instskip(SKIP_2) | instid1(VALU_DEP_2)
	v_cndmask_b32_e64 v210, v202, v205, s3
	v_cmp_gt_f64_e64 s3, 0, v[203:204]
	v_cndmask_b32_e32 v205, v184, v184, vcc_lo
	v_cndmask_b32_e64 v212, v204, v207, s3
	v_cndmask_b32_e64 v207, v186, v186, s2
	s_delay_alu instid0(VALU_DEP_2) | instskip(NEXT) | instid1(VALU_DEP_2)
	v_add_f64 v[209:210], v[209:210], v[211:212]
	v_add_f64 v[205:206], v[205:206], v[207:208]
	s_delay_alu instid0(VALU_DEP_1) | instskip(SKIP_4) | instid1(SALU_CYCLE_1)
	v_cmp_lt_f64_e32 vcc_lo, v[205:206], v[209:210]
	v_dual_cndmask_b32 v186, v186, v203 :: v_dual_cndmask_b32 v185, v185, v202
	v_dual_cndmask_b32 v184, v184, v201 :: v_dual_cndmask_b32 v187, v187, v204
	v_cndmask_b32_e64 v192, v192, s6, vcc_lo
	s_add_i32 s6, s6, 1
	s_cmp_lg_u32 s5, s6
	s_cbranch_scc1 .LBB90_442
.LBB90_443:
	s_set_inst_prefetch_distance 0x2
	s_waitcnt lgkmcnt(0)
	v_cmp_eq_f64_e32 vcc_lo, 0, v[184:185]
	v_cmp_eq_f64_e64 s2, 0, v[186:187]
	s_delay_alu instid0(VALU_DEP_1) | instskip(NEXT) | instid1(SALU_CYCLE_1)
	s_and_b32 s2, vcc_lo, s2
	s_and_saveexec_b32 s3, s2
	s_delay_alu instid0(SALU_CYCLE_1)
	s_xor_b32 s2, exec_lo, s3
; %bb.444:
	v_cmp_ne_u32_e32 vcc_lo, 0, v197
	v_cndmask_b32_e32 v197, 22, v197, vcc_lo
; %bb.445:
	s_and_not1_saveexec_b32 s3, s2
	s_cbranch_execz .LBB90_451
; %bb.446:
	v_cmp_gt_f64_e32 vcc_lo, 0, v[184:185]
	v_cmp_gt_f64_e64 s2, 0, v[186:187]
	v_xor_b32_e32 v193, 0x80000000, v185
	v_xor_b32_e32 v201, 0x80000000, v187
	s_delay_alu instid0(VALU_DEP_2) | instskip(NEXT) | instid1(VALU_DEP_2)
	v_cndmask_b32_e32 v202, v185, v193, vcc_lo
	v_cndmask_b32_e64 v204, v187, v201, s2
	v_cndmask_b32_e32 v201, v184, v184, vcc_lo
	v_cndmask_b32_e64 v203, v186, v186, s2
	s_mov_b32 s2, exec_lo
	s_delay_alu instid0(VALU_DEP_1)
	v_cmpx_ngt_f64_e32 v[201:202], v[203:204]
	s_xor_b32 s2, exec_lo, s2
	s_cbranch_execz .LBB90_448
; %bb.447:
	v_div_scale_f64 v[201:202], null, v[186:187], v[186:187], v[184:185]
	v_div_scale_f64 v[207:208], vcc_lo, v[184:185], v[186:187], v[184:185]
	s_delay_alu instid0(VALU_DEP_2) | instskip(SKIP_2) | instid1(VALU_DEP_1)
	v_rcp_f64_e32 v[203:204], v[201:202]
	s_waitcnt_depctr 0xfff
	v_fma_f64 v[205:206], -v[201:202], v[203:204], 1.0
	v_fma_f64 v[203:204], v[203:204], v[205:206], v[203:204]
	s_delay_alu instid0(VALU_DEP_1) | instskip(NEXT) | instid1(VALU_DEP_1)
	v_fma_f64 v[205:206], -v[201:202], v[203:204], 1.0
	v_fma_f64 v[203:204], v[203:204], v[205:206], v[203:204]
	s_delay_alu instid0(VALU_DEP_1) | instskip(NEXT) | instid1(VALU_DEP_1)
	v_mul_f64 v[205:206], v[207:208], v[203:204]
	v_fma_f64 v[201:202], -v[201:202], v[205:206], v[207:208]
	s_delay_alu instid0(VALU_DEP_1) | instskip(NEXT) | instid1(VALU_DEP_1)
	v_div_fmas_f64 v[201:202], v[201:202], v[203:204], v[205:206]
	v_div_fixup_f64 v[201:202], v[201:202], v[186:187], v[184:185]
	s_delay_alu instid0(VALU_DEP_1) | instskip(NEXT) | instid1(VALU_DEP_1)
	v_fma_f64 v[184:185], v[184:185], v[201:202], v[186:187]
	v_div_scale_f64 v[186:187], null, v[184:185], v[184:185], 1.0
	s_delay_alu instid0(VALU_DEP_1) | instskip(SKIP_2) | instid1(VALU_DEP_1)
	v_rcp_f64_e32 v[203:204], v[186:187]
	s_waitcnt_depctr 0xfff
	v_fma_f64 v[205:206], -v[186:187], v[203:204], 1.0
	v_fma_f64 v[203:204], v[203:204], v[205:206], v[203:204]
	s_delay_alu instid0(VALU_DEP_1) | instskip(NEXT) | instid1(VALU_DEP_1)
	v_fma_f64 v[205:206], -v[186:187], v[203:204], 1.0
	v_fma_f64 v[203:204], v[203:204], v[205:206], v[203:204]
	v_div_scale_f64 v[205:206], vcc_lo, 1.0, v[184:185], 1.0
	s_delay_alu instid0(VALU_DEP_1) | instskip(NEXT) | instid1(VALU_DEP_1)
	v_mul_f64 v[207:208], v[205:206], v[203:204]
	v_fma_f64 v[186:187], -v[186:187], v[207:208], v[205:206]
	s_delay_alu instid0(VALU_DEP_1) | instskip(NEXT) | instid1(VALU_DEP_1)
	v_div_fmas_f64 v[186:187], v[186:187], v[203:204], v[207:208]
	v_div_fixup_f64 v[186:187], v[186:187], v[184:185], 1.0
	s_delay_alu instid0(VALU_DEP_1)
	v_mul_f64 v[184:185], v[201:202], v[186:187]
	v_xor_b32_e32 v187, 0x80000000, v187
.LBB90_448:
	s_and_not1_saveexec_b32 s2, s2
	s_cbranch_execz .LBB90_450
; %bb.449:
	s_delay_alu instid0(VALU_DEP_1) | instskip(SKIP_1) | instid1(VALU_DEP_2)
	v_div_scale_f64 v[201:202], null, v[184:185], v[184:185], v[186:187]
	v_div_scale_f64 v[207:208], vcc_lo, v[186:187], v[184:185], v[186:187]
	v_rcp_f64_e32 v[203:204], v[201:202]
	s_waitcnt_depctr 0xfff
	v_fma_f64 v[205:206], -v[201:202], v[203:204], 1.0
	s_delay_alu instid0(VALU_DEP_1) | instskip(NEXT) | instid1(VALU_DEP_1)
	v_fma_f64 v[203:204], v[203:204], v[205:206], v[203:204]
	v_fma_f64 v[205:206], -v[201:202], v[203:204], 1.0
	s_delay_alu instid0(VALU_DEP_1) | instskip(NEXT) | instid1(VALU_DEP_1)
	v_fma_f64 v[203:204], v[203:204], v[205:206], v[203:204]
	v_mul_f64 v[205:206], v[207:208], v[203:204]
	s_delay_alu instid0(VALU_DEP_1) | instskip(NEXT) | instid1(VALU_DEP_1)
	v_fma_f64 v[201:202], -v[201:202], v[205:206], v[207:208]
	v_div_fmas_f64 v[201:202], v[201:202], v[203:204], v[205:206]
	s_delay_alu instid0(VALU_DEP_1) | instskip(NEXT) | instid1(VALU_DEP_1)
	v_div_fixup_f64 v[201:202], v[201:202], v[184:185], v[186:187]
	v_fma_f64 v[184:185], v[186:187], v[201:202], v[184:185]
	s_delay_alu instid0(VALU_DEP_1) | instskip(NEXT) | instid1(VALU_DEP_1)
	v_div_scale_f64 v[186:187], null, v[184:185], v[184:185], 1.0
	v_rcp_f64_e32 v[203:204], v[186:187]
	s_waitcnt_depctr 0xfff
	v_fma_f64 v[205:206], -v[186:187], v[203:204], 1.0
	s_delay_alu instid0(VALU_DEP_1) | instskip(NEXT) | instid1(VALU_DEP_1)
	v_fma_f64 v[203:204], v[203:204], v[205:206], v[203:204]
	v_fma_f64 v[205:206], -v[186:187], v[203:204], 1.0
	s_delay_alu instid0(VALU_DEP_1) | instskip(SKIP_1) | instid1(VALU_DEP_1)
	v_fma_f64 v[203:204], v[203:204], v[205:206], v[203:204]
	v_div_scale_f64 v[205:206], vcc_lo, 1.0, v[184:185], 1.0
	v_mul_f64 v[207:208], v[205:206], v[203:204]
	s_delay_alu instid0(VALU_DEP_1) | instskip(NEXT) | instid1(VALU_DEP_1)
	v_fma_f64 v[186:187], -v[186:187], v[207:208], v[205:206]
	v_div_fmas_f64 v[186:187], v[186:187], v[203:204], v[207:208]
	s_delay_alu instid0(VALU_DEP_1) | instskip(NEXT) | instid1(VALU_DEP_1)
	v_div_fixup_f64 v[184:185], v[186:187], v[184:185], 1.0
	v_mul_f64 v[186:187], v[201:202], -v[184:185]
.LBB90_450:
	s_or_b32 exec_lo, exec_lo, s2
.LBB90_451:
	s_delay_alu instid0(SALU_CYCLE_1) | instskip(NEXT) | instid1(SALU_CYCLE_1)
	s_or_b32 exec_lo, exec_lo, s3
	s_mov_b32 s2, exec_lo
	v_cmpx_ne_u32_e64 v200, v192
	s_xor_b32 s2, exec_lo, s2
	s_cbranch_execz .LBB90_457
; %bb.452:
	s_mov_b32 s3, exec_lo
	v_cmpx_eq_u32_e32 21, v200
	s_cbranch_execz .LBB90_456
; %bb.453:
	v_cmp_ne_u32_e32 vcc_lo, 21, v192
	s_xor_b32 s6, s4, -1
	s_delay_alu instid0(SALU_CYCLE_1) | instskip(NEXT) | instid1(SALU_CYCLE_1)
	s_and_b32 s7, s6, vcc_lo
	s_and_saveexec_b32 s6, s7
	s_cbranch_execz .LBB90_455
; %bb.454:
	v_ashrrev_i32_e32 v193, 31, v192
	s_delay_alu instid0(VALU_DEP_1) | instskip(NEXT) | instid1(VALU_DEP_1)
	v_lshlrev_b64 v[200:201], 2, v[192:193]
	v_add_co_u32 v200, vcc_lo, v190, v200
	s_delay_alu instid0(VALU_DEP_2)
	v_add_co_ci_u32_e32 v201, vcc_lo, v191, v201, vcc_lo
	s_clause 0x1
	flat_load_b32 v193, v[200:201]
	flat_load_b32 v198, v[190:191] offset:84
	s_waitcnt vmcnt(1) lgkmcnt(1)
	flat_store_b32 v[190:191], v193 offset:84
	s_waitcnt vmcnt(0) lgkmcnt(1)
	flat_store_b32 v[200:201], v198
.LBB90_455:
	s_or_b32 exec_lo, exec_lo, s6
	v_mov_b32_e32 v200, v192
	v_mov_b32_e32 v198, v192
.LBB90_456:
	s_or_b32 exec_lo, exec_lo, s3
.LBB90_457:
	s_and_not1_saveexec_b32 s2, s2
	s_cbranch_execz .LBB90_459
; %bb.458:
	v_mov_b32_e32 v200, 21
	ds_store_2addr_b64 v194, v[92:93], v[94:95] offset0:44 offset1:45
	ds_store_2addr_b64 v194, v[88:89], v[90:91] offset0:46 offset1:47
	;; [unrolled: 1-line block ×24, first 2 shown]
.LBB90_459:
	s_or_b32 exec_lo, exec_lo, s2
	s_delay_alu instid0(SALU_CYCLE_1)
	s_mov_b32 s2, exec_lo
	s_waitcnt lgkmcnt(0)
	s_waitcnt_vscnt null, 0x0
	s_barrier
	buffer_gl0_inv
	v_cmpx_lt_i32_e32 21, v200
	s_cbranch_execz .LBB90_461
; %bb.460:
	v_mul_f64 v[192:193], v[186:187], v[98:99]
	v_mul_f64 v[98:99], v[184:185], v[98:99]
	s_delay_alu instid0(VALU_DEP_2) | instskip(NEXT) | instid1(VALU_DEP_2)
	v_fma_f64 v[192:193], v[184:185], v[96:97], -v[192:193]
	v_fma_f64 v[98:99], v[186:187], v[96:97], v[98:99]
	ds_load_2addr_b64 v[184:187], v194 offset0:44 offset1:45
	s_waitcnt lgkmcnt(0)
	v_mul_f64 v[96:97], v[186:187], v[98:99]
	s_delay_alu instid0(VALU_DEP_1) | instskip(SKIP_1) | instid1(VALU_DEP_2)
	v_fma_f64 v[96:97], v[184:185], v[192:193], -v[96:97]
	v_mul_f64 v[184:185], v[184:185], v[98:99]
	v_add_f64 v[92:93], v[92:93], -v[96:97]
	s_delay_alu instid0(VALU_DEP_2) | instskip(NEXT) | instid1(VALU_DEP_1)
	v_fma_f64 v[184:185], v[186:187], v[192:193], v[184:185]
	v_add_f64 v[94:95], v[94:95], -v[184:185]
	ds_load_2addr_b64 v[184:187], v194 offset0:46 offset1:47
	s_waitcnt lgkmcnt(0)
	v_mul_f64 v[96:97], v[186:187], v[98:99]
	s_delay_alu instid0(VALU_DEP_1) | instskip(SKIP_1) | instid1(VALU_DEP_2)
	v_fma_f64 v[96:97], v[184:185], v[192:193], -v[96:97]
	v_mul_f64 v[184:185], v[184:185], v[98:99]
	v_add_f64 v[88:89], v[88:89], -v[96:97]
	s_delay_alu instid0(VALU_DEP_2) | instskip(NEXT) | instid1(VALU_DEP_1)
	v_fma_f64 v[184:185], v[186:187], v[192:193], v[184:185]
	v_add_f64 v[90:91], v[90:91], -v[184:185]
	;; [unrolled: 10-line block ×23, first 2 shown]
	ds_load_2addr_b64 v[184:187], v194 offset0:90 offset1:91
	s_waitcnt lgkmcnt(0)
	v_mul_f64 v[96:97], v[186:187], v[98:99]
	s_delay_alu instid0(VALU_DEP_1) | instskip(SKIP_1) | instid1(VALU_DEP_2)
	v_fma_f64 v[96:97], v[184:185], v[192:193], -v[96:97]
	v_mul_f64 v[184:185], v[184:185], v[98:99]
	v_add_f64 v[0:1], v[0:1], -v[96:97]
	s_delay_alu instid0(VALU_DEP_2) | instskip(SKIP_1) | instid1(VALU_DEP_2)
	v_fma_f64 v[184:185], v[186:187], v[192:193], v[184:185]
	v_dual_mov_b32 v96, v192 :: v_dual_mov_b32 v97, v193
	v_add_f64 v[2:3], v[2:3], -v[184:185]
.LBB90_461:
	s_or_b32 exec_lo, exec_lo, s2
	v_lshl_add_u32 v184, v200, 4, v194
	s_barrier
	buffer_gl0_inv
	v_mov_b32_e32 v192, 22
	ds_store_2addr_b64 v184, v[92:93], v[94:95] offset1:1
	s_waitcnt lgkmcnt(0)
	s_barrier
	buffer_gl0_inv
	ds_load_2addr_b64 v[184:187], v194 offset0:44 offset1:45
	s_cmp_lt_i32 s5, 24
	s_cbranch_scc1 .LBB90_464
; %bb.462:
	v_add3_u32 v193, v199, 0, 0x170
	v_mov_b32_e32 v192, 22
	s_mov_b32 s6, 23
	s_set_inst_prefetch_distance 0x1
	.p2align	6
.LBB90_463:                             ; =>This Inner Loop Header: Depth=1
	ds_load_2addr_b64 v[201:204], v193 offset1:1
	s_waitcnt lgkmcnt(1)
	v_cmp_gt_f64_e32 vcc_lo, 0, v[184:185]
	v_xor_b32_e32 v205, 0x80000000, v185
	v_cmp_gt_f64_e64 s2, 0, v[186:187]
	v_xor_b32_e32 v207, 0x80000000, v187
	v_add_nc_u32_e32 v193, 16, v193
	s_waitcnt lgkmcnt(0)
	v_cmp_gt_f64_e64 s3, 0, v[201:202]
	v_mov_b32_e32 v209, v201
	v_dual_mov_b32 v211, v203 :: v_dual_cndmask_b32 v206, v185, v205
	v_xor_b32_e32 v205, 0x80000000, v202
	v_cndmask_b32_e64 v208, v187, v207, s2
	v_xor_b32_e32 v207, 0x80000000, v204
	s_delay_alu instid0(VALU_DEP_3) | instskip(SKIP_2) | instid1(VALU_DEP_2)
	v_cndmask_b32_e64 v210, v202, v205, s3
	v_cmp_gt_f64_e64 s3, 0, v[203:204]
	v_cndmask_b32_e32 v205, v184, v184, vcc_lo
	v_cndmask_b32_e64 v212, v204, v207, s3
	v_cndmask_b32_e64 v207, v186, v186, s2
	s_delay_alu instid0(VALU_DEP_2) | instskip(NEXT) | instid1(VALU_DEP_2)
	v_add_f64 v[209:210], v[209:210], v[211:212]
	v_add_f64 v[205:206], v[205:206], v[207:208]
	s_delay_alu instid0(VALU_DEP_1) | instskip(SKIP_4) | instid1(SALU_CYCLE_1)
	v_cmp_lt_f64_e32 vcc_lo, v[205:206], v[209:210]
	v_dual_cndmask_b32 v186, v186, v203 :: v_dual_cndmask_b32 v185, v185, v202
	v_dual_cndmask_b32 v184, v184, v201 :: v_dual_cndmask_b32 v187, v187, v204
	v_cndmask_b32_e64 v192, v192, s6, vcc_lo
	s_add_i32 s6, s6, 1
	s_cmp_lg_u32 s5, s6
	s_cbranch_scc1 .LBB90_463
.LBB90_464:
	s_set_inst_prefetch_distance 0x2
	s_waitcnt lgkmcnt(0)
	v_cmp_eq_f64_e32 vcc_lo, 0, v[184:185]
	v_cmp_eq_f64_e64 s2, 0, v[186:187]
	s_delay_alu instid0(VALU_DEP_1) | instskip(NEXT) | instid1(SALU_CYCLE_1)
	s_and_b32 s2, vcc_lo, s2
	s_and_saveexec_b32 s3, s2
	s_delay_alu instid0(SALU_CYCLE_1)
	s_xor_b32 s2, exec_lo, s3
; %bb.465:
	v_cmp_ne_u32_e32 vcc_lo, 0, v197
	v_cndmask_b32_e32 v197, 23, v197, vcc_lo
; %bb.466:
	s_and_not1_saveexec_b32 s3, s2
	s_cbranch_execz .LBB90_472
; %bb.467:
	v_cmp_gt_f64_e32 vcc_lo, 0, v[184:185]
	v_cmp_gt_f64_e64 s2, 0, v[186:187]
	v_xor_b32_e32 v193, 0x80000000, v185
	v_xor_b32_e32 v201, 0x80000000, v187
	s_delay_alu instid0(VALU_DEP_2) | instskip(NEXT) | instid1(VALU_DEP_2)
	v_cndmask_b32_e32 v202, v185, v193, vcc_lo
	v_cndmask_b32_e64 v204, v187, v201, s2
	v_cndmask_b32_e32 v201, v184, v184, vcc_lo
	v_cndmask_b32_e64 v203, v186, v186, s2
	s_mov_b32 s2, exec_lo
	s_delay_alu instid0(VALU_DEP_1)
	v_cmpx_ngt_f64_e32 v[201:202], v[203:204]
	s_xor_b32 s2, exec_lo, s2
	s_cbranch_execz .LBB90_469
; %bb.468:
	v_div_scale_f64 v[201:202], null, v[186:187], v[186:187], v[184:185]
	v_div_scale_f64 v[207:208], vcc_lo, v[184:185], v[186:187], v[184:185]
	s_delay_alu instid0(VALU_DEP_2) | instskip(SKIP_2) | instid1(VALU_DEP_1)
	v_rcp_f64_e32 v[203:204], v[201:202]
	s_waitcnt_depctr 0xfff
	v_fma_f64 v[205:206], -v[201:202], v[203:204], 1.0
	v_fma_f64 v[203:204], v[203:204], v[205:206], v[203:204]
	s_delay_alu instid0(VALU_DEP_1) | instskip(NEXT) | instid1(VALU_DEP_1)
	v_fma_f64 v[205:206], -v[201:202], v[203:204], 1.0
	v_fma_f64 v[203:204], v[203:204], v[205:206], v[203:204]
	s_delay_alu instid0(VALU_DEP_1) | instskip(NEXT) | instid1(VALU_DEP_1)
	v_mul_f64 v[205:206], v[207:208], v[203:204]
	v_fma_f64 v[201:202], -v[201:202], v[205:206], v[207:208]
	s_delay_alu instid0(VALU_DEP_1) | instskip(NEXT) | instid1(VALU_DEP_1)
	v_div_fmas_f64 v[201:202], v[201:202], v[203:204], v[205:206]
	v_div_fixup_f64 v[201:202], v[201:202], v[186:187], v[184:185]
	s_delay_alu instid0(VALU_DEP_1) | instskip(NEXT) | instid1(VALU_DEP_1)
	v_fma_f64 v[184:185], v[184:185], v[201:202], v[186:187]
	v_div_scale_f64 v[186:187], null, v[184:185], v[184:185], 1.0
	s_delay_alu instid0(VALU_DEP_1) | instskip(SKIP_2) | instid1(VALU_DEP_1)
	v_rcp_f64_e32 v[203:204], v[186:187]
	s_waitcnt_depctr 0xfff
	v_fma_f64 v[205:206], -v[186:187], v[203:204], 1.0
	v_fma_f64 v[203:204], v[203:204], v[205:206], v[203:204]
	s_delay_alu instid0(VALU_DEP_1) | instskip(NEXT) | instid1(VALU_DEP_1)
	v_fma_f64 v[205:206], -v[186:187], v[203:204], 1.0
	v_fma_f64 v[203:204], v[203:204], v[205:206], v[203:204]
	v_div_scale_f64 v[205:206], vcc_lo, 1.0, v[184:185], 1.0
	s_delay_alu instid0(VALU_DEP_1) | instskip(NEXT) | instid1(VALU_DEP_1)
	v_mul_f64 v[207:208], v[205:206], v[203:204]
	v_fma_f64 v[186:187], -v[186:187], v[207:208], v[205:206]
	s_delay_alu instid0(VALU_DEP_1) | instskip(NEXT) | instid1(VALU_DEP_1)
	v_div_fmas_f64 v[186:187], v[186:187], v[203:204], v[207:208]
	v_div_fixup_f64 v[186:187], v[186:187], v[184:185], 1.0
	s_delay_alu instid0(VALU_DEP_1)
	v_mul_f64 v[184:185], v[201:202], v[186:187]
	v_xor_b32_e32 v187, 0x80000000, v187
.LBB90_469:
	s_and_not1_saveexec_b32 s2, s2
	s_cbranch_execz .LBB90_471
; %bb.470:
	s_delay_alu instid0(VALU_DEP_1) | instskip(SKIP_1) | instid1(VALU_DEP_2)
	v_div_scale_f64 v[201:202], null, v[184:185], v[184:185], v[186:187]
	v_div_scale_f64 v[207:208], vcc_lo, v[186:187], v[184:185], v[186:187]
	v_rcp_f64_e32 v[203:204], v[201:202]
	s_waitcnt_depctr 0xfff
	v_fma_f64 v[205:206], -v[201:202], v[203:204], 1.0
	s_delay_alu instid0(VALU_DEP_1) | instskip(NEXT) | instid1(VALU_DEP_1)
	v_fma_f64 v[203:204], v[203:204], v[205:206], v[203:204]
	v_fma_f64 v[205:206], -v[201:202], v[203:204], 1.0
	s_delay_alu instid0(VALU_DEP_1) | instskip(NEXT) | instid1(VALU_DEP_1)
	v_fma_f64 v[203:204], v[203:204], v[205:206], v[203:204]
	v_mul_f64 v[205:206], v[207:208], v[203:204]
	s_delay_alu instid0(VALU_DEP_1) | instskip(NEXT) | instid1(VALU_DEP_1)
	v_fma_f64 v[201:202], -v[201:202], v[205:206], v[207:208]
	v_div_fmas_f64 v[201:202], v[201:202], v[203:204], v[205:206]
	s_delay_alu instid0(VALU_DEP_1) | instskip(NEXT) | instid1(VALU_DEP_1)
	v_div_fixup_f64 v[201:202], v[201:202], v[184:185], v[186:187]
	v_fma_f64 v[184:185], v[186:187], v[201:202], v[184:185]
	s_delay_alu instid0(VALU_DEP_1) | instskip(NEXT) | instid1(VALU_DEP_1)
	v_div_scale_f64 v[186:187], null, v[184:185], v[184:185], 1.0
	v_rcp_f64_e32 v[203:204], v[186:187]
	s_waitcnt_depctr 0xfff
	v_fma_f64 v[205:206], -v[186:187], v[203:204], 1.0
	s_delay_alu instid0(VALU_DEP_1) | instskip(NEXT) | instid1(VALU_DEP_1)
	v_fma_f64 v[203:204], v[203:204], v[205:206], v[203:204]
	v_fma_f64 v[205:206], -v[186:187], v[203:204], 1.0
	s_delay_alu instid0(VALU_DEP_1) | instskip(SKIP_1) | instid1(VALU_DEP_1)
	v_fma_f64 v[203:204], v[203:204], v[205:206], v[203:204]
	v_div_scale_f64 v[205:206], vcc_lo, 1.0, v[184:185], 1.0
	v_mul_f64 v[207:208], v[205:206], v[203:204]
	s_delay_alu instid0(VALU_DEP_1) | instskip(NEXT) | instid1(VALU_DEP_1)
	v_fma_f64 v[186:187], -v[186:187], v[207:208], v[205:206]
	v_div_fmas_f64 v[186:187], v[186:187], v[203:204], v[207:208]
	s_delay_alu instid0(VALU_DEP_1) | instskip(NEXT) | instid1(VALU_DEP_1)
	v_div_fixup_f64 v[184:185], v[186:187], v[184:185], 1.0
	v_mul_f64 v[186:187], v[201:202], -v[184:185]
.LBB90_471:
	s_or_b32 exec_lo, exec_lo, s2
.LBB90_472:
	s_delay_alu instid0(SALU_CYCLE_1) | instskip(NEXT) | instid1(SALU_CYCLE_1)
	s_or_b32 exec_lo, exec_lo, s3
	s_mov_b32 s2, exec_lo
	v_cmpx_ne_u32_e64 v200, v192
	s_xor_b32 s2, exec_lo, s2
	s_cbranch_execz .LBB90_478
; %bb.473:
	s_mov_b32 s3, exec_lo
	v_cmpx_eq_u32_e32 22, v200
	s_cbranch_execz .LBB90_477
; %bb.474:
	v_cmp_ne_u32_e32 vcc_lo, 22, v192
	s_xor_b32 s6, s4, -1
	s_delay_alu instid0(SALU_CYCLE_1) | instskip(NEXT) | instid1(SALU_CYCLE_1)
	s_and_b32 s7, s6, vcc_lo
	s_and_saveexec_b32 s6, s7
	s_cbranch_execz .LBB90_476
; %bb.475:
	v_ashrrev_i32_e32 v193, 31, v192
	s_delay_alu instid0(VALU_DEP_1) | instskip(NEXT) | instid1(VALU_DEP_1)
	v_lshlrev_b64 v[200:201], 2, v[192:193]
	v_add_co_u32 v200, vcc_lo, v190, v200
	s_delay_alu instid0(VALU_DEP_2)
	v_add_co_ci_u32_e32 v201, vcc_lo, v191, v201, vcc_lo
	s_clause 0x1
	flat_load_b32 v193, v[200:201]
	flat_load_b32 v198, v[190:191] offset:88
	s_waitcnt vmcnt(1) lgkmcnt(1)
	flat_store_b32 v[190:191], v193 offset:88
	s_waitcnt vmcnt(0) lgkmcnt(1)
	flat_store_b32 v[200:201], v198
.LBB90_476:
	s_or_b32 exec_lo, exec_lo, s6
	v_mov_b32_e32 v200, v192
	v_mov_b32_e32 v198, v192
.LBB90_477:
	s_or_b32 exec_lo, exec_lo, s3
.LBB90_478:
	s_and_not1_saveexec_b32 s2, s2
	s_cbranch_execz .LBB90_480
; %bb.479:
	v_mov_b32_e32 v200, 22
	ds_store_2addr_b64 v194, v[88:89], v[90:91] offset0:46 offset1:47
	ds_store_2addr_b64 v194, v[84:85], v[86:87] offset0:48 offset1:49
	;; [unrolled: 1-line block ×23, first 2 shown]
.LBB90_480:
	s_or_b32 exec_lo, exec_lo, s2
	s_delay_alu instid0(SALU_CYCLE_1)
	s_mov_b32 s2, exec_lo
	s_waitcnt lgkmcnt(0)
	s_waitcnt_vscnt null, 0x0
	s_barrier
	buffer_gl0_inv
	v_cmpx_lt_i32_e32 22, v200
	s_cbranch_execz .LBB90_482
; %bb.481:
	v_mul_f64 v[192:193], v[186:187], v[94:95]
	v_mul_f64 v[94:95], v[184:185], v[94:95]
	s_delay_alu instid0(VALU_DEP_2) | instskip(NEXT) | instid1(VALU_DEP_2)
	v_fma_f64 v[192:193], v[184:185], v[92:93], -v[192:193]
	v_fma_f64 v[94:95], v[186:187], v[92:93], v[94:95]
	ds_load_2addr_b64 v[184:187], v194 offset0:46 offset1:47
	s_waitcnt lgkmcnt(0)
	v_mul_f64 v[92:93], v[186:187], v[94:95]
	s_delay_alu instid0(VALU_DEP_1) | instskip(SKIP_1) | instid1(VALU_DEP_2)
	v_fma_f64 v[92:93], v[184:185], v[192:193], -v[92:93]
	v_mul_f64 v[184:185], v[184:185], v[94:95]
	v_add_f64 v[88:89], v[88:89], -v[92:93]
	s_delay_alu instid0(VALU_DEP_2) | instskip(NEXT) | instid1(VALU_DEP_1)
	v_fma_f64 v[184:185], v[186:187], v[192:193], v[184:185]
	v_add_f64 v[90:91], v[90:91], -v[184:185]
	ds_load_2addr_b64 v[184:187], v194 offset0:48 offset1:49
	s_waitcnt lgkmcnt(0)
	v_mul_f64 v[92:93], v[186:187], v[94:95]
	s_delay_alu instid0(VALU_DEP_1) | instskip(SKIP_1) | instid1(VALU_DEP_2)
	v_fma_f64 v[92:93], v[184:185], v[192:193], -v[92:93]
	v_mul_f64 v[184:185], v[184:185], v[94:95]
	v_add_f64 v[84:85], v[84:85], -v[92:93]
	s_delay_alu instid0(VALU_DEP_2) | instskip(NEXT) | instid1(VALU_DEP_1)
	v_fma_f64 v[184:185], v[186:187], v[192:193], v[184:185]
	v_add_f64 v[86:87], v[86:87], -v[184:185]
	;; [unrolled: 10-line block ×22, first 2 shown]
	ds_load_2addr_b64 v[184:187], v194 offset0:90 offset1:91
	s_waitcnt lgkmcnt(0)
	v_mul_f64 v[92:93], v[186:187], v[94:95]
	s_delay_alu instid0(VALU_DEP_1) | instskip(SKIP_1) | instid1(VALU_DEP_2)
	v_fma_f64 v[92:93], v[184:185], v[192:193], -v[92:93]
	v_mul_f64 v[184:185], v[184:185], v[94:95]
	v_add_f64 v[0:1], v[0:1], -v[92:93]
	s_delay_alu instid0(VALU_DEP_2) | instskip(SKIP_1) | instid1(VALU_DEP_2)
	v_fma_f64 v[184:185], v[186:187], v[192:193], v[184:185]
	v_dual_mov_b32 v92, v192 :: v_dual_mov_b32 v93, v193
	v_add_f64 v[2:3], v[2:3], -v[184:185]
.LBB90_482:
	s_or_b32 exec_lo, exec_lo, s2
	v_lshl_add_u32 v184, v200, 4, v194
	s_barrier
	buffer_gl0_inv
	v_mov_b32_e32 v192, 23
	ds_store_2addr_b64 v184, v[88:89], v[90:91] offset1:1
	s_waitcnt lgkmcnt(0)
	s_barrier
	buffer_gl0_inv
	ds_load_2addr_b64 v[184:187], v194 offset0:46 offset1:47
	s_cmp_lt_i32 s5, 25
	s_cbranch_scc1 .LBB90_485
; %bb.483:
	v_add3_u32 v193, v199, 0, 0x180
	v_mov_b32_e32 v192, 23
	s_mov_b32 s6, 24
	s_set_inst_prefetch_distance 0x1
	.p2align	6
.LBB90_484:                             ; =>This Inner Loop Header: Depth=1
	ds_load_2addr_b64 v[201:204], v193 offset1:1
	s_waitcnt lgkmcnt(1)
	v_cmp_gt_f64_e32 vcc_lo, 0, v[184:185]
	v_xor_b32_e32 v205, 0x80000000, v185
	v_cmp_gt_f64_e64 s2, 0, v[186:187]
	v_xor_b32_e32 v207, 0x80000000, v187
	v_add_nc_u32_e32 v193, 16, v193
	s_waitcnt lgkmcnt(0)
	v_cmp_gt_f64_e64 s3, 0, v[201:202]
	v_mov_b32_e32 v209, v201
	v_dual_mov_b32 v211, v203 :: v_dual_cndmask_b32 v206, v185, v205
	v_xor_b32_e32 v205, 0x80000000, v202
	v_cndmask_b32_e64 v208, v187, v207, s2
	v_xor_b32_e32 v207, 0x80000000, v204
	s_delay_alu instid0(VALU_DEP_3) | instskip(SKIP_2) | instid1(VALU_DEP_2)
	v_cndmask_b32_e64 v210, v202, v205, s3
	v_cmp_gt_f64_e64 s3, 0, v[203:204]
	v_cndmask_b32_e32 v205, v184, v184, vcc_lo
	v_cndmask_b32_e64 v212, v204, v207, s3
	v_cndmask_b32_e64 v207, v186, v186, s2
	s_delay_alu instid0(VALU_DEP_2) | instskip(NEXT) | instid1(VALU_DEP_2)
	v_add_f64 v[209:210], v[209:210], v[211:212]
	v_add_f64 v[205:206], v[205:206], v[207:208]
	s_delay_alu instid0(VALU_DEP_1) | instskip(SKIP_4) | instid1(SALU_CYCLE_1)
	v_cmp_lt_f64_e32 vcc_lo, v[205:206], v[209:210]
	v_dual_cndmask_b32 v186, v186, v203 :: v_dual_cndmask_b32 v185, v185, v202
	v_dual_cndmask_b32 v184, v184, v201 :: v_dual_cndmask_b32 v187, v187, v204
	v_cndmask_b32_e64 v192, v192, s6, vcc_lo
	s_add_i32 s6, s6, 1
	s_cmp_lg_u32 s5, s6
	s_cbranch_scc1 .LBB90_484
.LBB90_485:
	s_set_inst_prefetch_distance 0x2
	s_waitcnt lgkmcnt(0)
	v_cmp_eq_f64_e32 vcc_lo, 0, v[184:185]
	v_cmp_eq_f64_e64 s2, 0, v[186:187]
	s_delay_alu instid0(VALU_DEP_1) | instskip(NEXT) | instid1(SALU_CYCLE_1)
	s_and_b32 s2, vcc_lo, s2
	s_and_saveexec_b32 s3, s2
	s_delay_alu instid0(SALU_CYCLE_1)
	s_xor_b32 s2, exec_lo, s3
; %bb.486:
	v_cmp_ne_u32_e32 vcc_lo, 0, v197
	v_cndmask_b32_e32 v197, 24, v197, vcc_lo
; %bb.487:
	s_and_not1_saveexec_b32 s3, s2
	s_cbranch_execz .LBB90_493
; %bb.488:
	v_cmp_gt_f64_e32 vcc_lo, 0, v[184:185]
	v_cmp_gt_f64_e64 s2, 0, v[186:187]
	v_xor_b32_e32 v193, 0x80000000, v185
	v_xor_b32_e32 v201, 0x80000000, v187
	s_delay_alu instid0(VALU_DEP_2) | instskip(NEXT) | instid1(VALU_DEP_2)
	v_cndmask_b32_e32 v202, v185, v193, vcc_lo
	v_cndmask_b32_e64 v204, v187, v201, s2
	v_cndmask_b32_e32 v201, v184, v184, vcc_lo
	v_cndmask_b32_e64 v203, v186, v186, s2
	s_mov_b32 s2, exec_lo
	s_delay_alu instid0(VALU_DEP_1)
	v_cmpx_ngt_f64_e32 v[201:202], v[203:204]
	s_xor_b32 s2, exec_lo, s2
	s_cbranch_execz .LBB90_490
; %bb.489:
	v_div_scale_f64 v[201:202], null, v[186:187], v[186:187], v[184:185]
	v_div_scale_f64 v[207:208], vcc_lo, v[184:185], v[186:187], v[184:185]
	s_delay_alu instid0(VALU_DEP_2) | instskip(SKIP_2) | instid1(VALU_DEP_1)
	v_rcp_f64_e32 v[203:204], v[201:202]
	s_waitcnt_depctr 0xfff
	v_fma_f64 v[205:206], -v[201:202], v[203:204], 1.0
	v_fma_f64 v[203:204], v[203:204], v[205:206], v[203:204]
	s_delay_alu instid0(VALU_DEP_1) | instskip(NEXT) | instid1(VALU_DEP_1)
	v_fma_f64 v[205:206], -v[201:202], v[203:204], 1.0
	v_fma_f64 v[203:204], v[203:204], v[205:206], v[203:204]
	s_delay_alu instid0(VALU_DEP_1) | instskip(NEXT) | instid1(VALU_DEP_1)
	v_mul_f64 v[205:206], v[207:208], v[203:204]
	v_fma_f64 v[201:202], -v[201:202], v[205:206], v[207:208]
	s_delay_alu instid0(VALU_DEP_1) | instskip(NEXT) | instid1(VALU_DEP_1)
	v_div_fmas_f64 v[201:202], v[201:202], v[203:204], v[205:206]
	v_div_fixup_f64 v[201:202], v[201:202], v[186:187], v[184:185]
	s_delay_alu instid0(VALU_DEP_1) | instskip(NEXT) | instid1(VALU_DEP_1)
	v_fma_f64 v[184:185], v[184:185], v[201:202], v[186:187]
	v_div_scale_f64 v[186:187], null, v[184:185], v[184:185], 1.0
	s_delay_alu instid0(VALU_DEP_1) | instskip(SKIP_2) | instid1(VALU_DEP_1)
	v_rcp_f64_e32 v[203:204], v[186:187]
	s_waitcnt_depctr 0xfff
	v_fma_f64 v[205:206], -v[186:187], v[203:204], 1.0
	v_fma_f64 v[203:204], v[203:204], v[205:206], v[203:204]
	s_delay_alu instid0(VALU_DEP_1) | instskip(NEXT) | instid1(VALU_DEP_1)
	v_fma_f64 v[205:206], -v[186:187], v[203:204], 1.0
	v_fma_f64 v[203:204], v[203:204], v[205:206], v[203:204]
	v_div_scale_f64 v[205:206], vcc_lo, 1.0, v[184:185], 1.0
	s_delay_alu instid0(VALU_DEP_1) | instskip(NEXT) | instid1(VALU_DEP_1)
	v_mul_f64 v[207:208], v[205:206], v[203:204]
	v_fma_f64 v[186:187], -v[186:187], v[207:208], v[205:206]
	s_delay_alu instid0(VALU_DEP_1) | instskip(NEXT) | instid1(VALU_DEP_1)
	v_div_fmas_f64 v[186:187], v[186:187], v[203:204], v[207:208]
	v_div_fixup_f64 v[186:187], v[186:187], v[184:185], 1.0
	s_delay_alu instid0(VALU_DEP_1)
	v_mul_f64 v[184:185], v[201:202], v[186:187]
	v_xor_b32_e32 v187, 0x80000000, v187
.LBB90_490:
	s_and_not1_saveexec_b32 s2, s2
	s_cbranch_execz .LBB90_492
; %bb.491:
	s_delay_alu instid0(VALU_DEP_1) | instskip(SKIP_1) | instid1(VALU_DEP_2)
	v_div_scale_f64 v[201:202], null, v[184:185], v[184:185], v[186:187]
	v_div_scale_f64 v[207:208], vcc_lo, v[186:187], v[184:185], v[186:187]
	v_rcp_f64_e32 v[203:204], v[201:202]
	s_waitcnt_depctr 0xfff
	v_fma_f64 v[205:206], -v[201:202], v[203:204], 1.0
	s_delay_alu instid0(VALU_DEP_1) | instskip(NEXT) | instid1(VALU_DEP_1)
	v_fma_f64 v[203:204], v[203:204], v[205:206], v[203:204]
	v_fma_f64 v[205:206], -v[201:202], v[203:204], 1.0
	s_delay_alu instid0(VALU_DEP_1) | instskip(NEXT) | instid1(VALU_DEP_1)
	v_fma_f64 v[203:204], v[203:204], v[205:206], v[203:204]
	v_mul_f64 v[205:206], v[207:208], v[203:204]
	s_delay_alu instid0(VALU_DEP_1) | instskip(NEXT) | instid1(VALU_DEP_1)
	v_fma_f64 v[201:202], -v[201:202], v[205:206], v[207:208]
	v_div_fmas_f64 v[201:202], v[201:202], v[203:204], v[205:206]
	s_delay_alu instid0(VALU_DEP_1) | instskip(NEXT) | instid1(VALU_DEP_1)
	v_div_fixup_f64 v[201:202], v[201:202], v[184:185], v[186:187]
	v_fma_f64 v[184:185], v[186:187], v[201:202], v[184:185]
	s_delay_alu instid0(VALU_DEP_1) | instskip(NEXT) | instid1(VALU_DEP_1)
	v_div_scale_f64 v[186:187], null, v[184:185], v[184:185], 1.0
	v_rcp_f64_e32 v[203:204], v[186:187]
	s_waitcnt_depctr 0xfff
	v_fma_f64 v[205:206], -v[186:187], v[203:204], 1.0
	s_delay_alu instid0(VALU_DEP_1) | instskip(NEXT) | instid1(VALU_DEP_1)
	v_fma_f64 v[203:204], v[203:204], v[205:206], v[203:204]
	v_fma_f64 v[205:206], -v[186:187], v[203:204], 1.0
	s_delay_alu instid0(VALU_DEP_1) | instskip(SKIP_1) | instid1(VALU_DEP_1)
	v_fma_f64 v[203:204], v[203:204], v[205:206], v[203:204]
	v_div_scale_f64 v[205:206], vcc_lo, 1.0, v[184:185], 1.0
	v_mul_f64 v[207:208], v[205:206], v[203:204]
	s_delay_alu instid0(VALU_DEP_1) | instskip(NEXT) | instid1(VALU_DEP_1)
	v_fma_f64 v[186:187], -v[186:187], v[207:208], v[205:206]
	v_div_fmas_f64 v[186:187], v[186:187], v[203:204], v[207:208]
	s_delay_alu instid0(VALU_DEP_1) | instskip(NEXT) | instid1(VALU_DEP_1)
	v_div_fixup_f64 v[184:185], v[186:187], v[184:185], 1.0
	v_mul_f64 v[186:187], v[201:202], -v[184:185]
.LBB90_492:
	s_or_b32 exec_lo, exec_lo, s2
.LBB90_493:
	s_delay_alu instid0(SALU_CYCLE_1) | instskip(NEXT) | instid1(SALU_CYCLE_1)
	s_or_b32 exec_lo, exec_lo, s3
	s_mov_b32 s2, exec_lo
	v_cmpx_ne_u32_e64 v200, v192
	s_xor_b32 s2, exec_lo, s2
	s_cbranch_execz .LBB90_499
; %bb.494:
	s_mov_b32 s3, exec_lo
	v_cmpx_eq_u32_e32 23, v200
	s_cbranch_execz .LBB90_498
; %bb.495:
	v_cmp_ne_u32_e32 vcc_lo, 23, v192
	s_xor_b32 s6, s4, -1
	s_delay_alu instid0(SALU_CYCLE_1) | instskip(NEXT) | instid1(SALU_CYCLE_1)
	s_and_b32 s7, s6, vcc_lo
	s_and_saveexec_b32 s6, s7
	s_cbranch_execz .LBB90_497
; %bb.496:
	v_ashrrev_i32_e32 v193, 31, v192
	s_delay_alu instid0(VALU_DEP_1) | instskip(NEXT) | instid1(VALU_DEP_1)
	v_lshlrev_b64 v[200:201], 2, v[192:193]
	v_add_co_u32 v200, vcc_lo, v190, v200
	s_delay_alu instid0(VALU_DEP_2)
	v_add_co_ci_u32_e32 v201, vcc_lo, v191, v201, vcc_lo
	s_clause 0x1
	flat_load_b32 v193, v[200:201]
	flat_load_b32 v198, v[190:191] offset:92
	s_waitcnt vmcnt(1) lgkmcnt(1)
	flat_store_b32 v[190:191], v193 offset:92
	s_waitcnt vmcnt(0) lgkmcnt(1)
	flat_store_b32 v[200:201], v198
.LBB90_497:
	s_or_b32 exec_lo, exec_lo, s6
	v_mov_b32_e32 v200, v192
	v_mov_b32_e32 v198, v192
.LBB90_498:
	s_or_b32 exec_lo, exec_lo, s3
.LBB90_499:
	s_and_not1_saveexec_b32 s2, s2
	s_cbranch_execz .LBB90_501
; %bb.500:
	v_mov_b32_e32 v200, 23
	ds_store_2addr_b64 v194, v[84:85], v[86:87] offset0:48 offset1:49
	ds_store_2addr_b64 v194, v[80:81], v[82:83] offset0:50 offset1:51
	;; [unrolled: 1-line block ×22, first 2 shown]
.LBB90_501:
	s_or_b32 exec_lo, exec_lo, s2
	s_delay_alu instid0(SALU_CYCLE_1)
	s_mov_b32 s2, exec_lo
	s_waitcnt lgkmcnt(0)
	s_waitcnt_vscnt null, 0x0
	s_barrier
	buffer_gl0_inv
	v_cmpx_lt_i32_e32 23, v200
	s_cbranch_execz .LBB90_503
; %bb.502:
	v_mul_f64 v[192:193], v[186:187], v[90:91]
	v_mul_f64 v[90:91], v[184:185], v[90:91]
	s_delay_alu instid0(VALU_DEP_2) | instskip(NEXT) | instid1(VALU_DEP_2)
	v_fma_f64 v[192:193], v[184:185], v[88:89], -v[192:193]
	v_fma_f64 v[90:91], v[186:187], v[88:89], v[90:91]
	ds_load_2addr_b64 v[184:187], v194 offset0:48 offset1:49
	s_waitcnt lgkmcnt(0)
	v_mul_f64 v[88:89], v[186:187], v[90:91]
	s_delay_alu instid0(VALU_DEP_1) | instskip(SKIP_1) | instid1(VALU_DEP_2)
	v_fma_f64 v[88:89], v[184:185], v[192:193], -v[88:89]
	v_mul_f64 v[184:185], v[184:185], v[90:91]
	v_add_f64 v[84:85], v[84:85], -v[88:89]
	s_delay_alu instid0(VALU_DEP_2) | instskip(NEXT) | instid1(VALU_DEP_1)
	v_fma_f64 v[184:185], v[186:187], v[192:193], v[184:185]
	v_add_f64 v[86:87], v[86:87], -v[184:185]
	ds_load_2addr_b64 v[184:187], v194 offset0:50 offset1:51
	s_waitcnt lgkmcnt(0)
	v_mul_f64 v[88:89], v[186:187], v[90:91]
	s_delay_alu instid0(VALU_DEP_1) | instskip(SKIP_1) | instid1(VALU_DEP_2)
	v_fma_f64 v[88:89], v[184:185], v[192:193], -v[88:89]
	v_mul_f64 v[184:185], v[184:185], v[90:91]
	v_add_f64 v[80:81], v[80:81], -v[88:89]
	s_delay_alu instid0(VALU_DEP_2) | instskip(NEXT) | instid1(VALU_DEP_1)
	v_fma_f64 v[184:185], v[186:187], v[192:193], v[184:185]
	v_add_f64 v[82:83], v[82:83], -v[184:185]
	;; [unrolled: 10-line block ×21, first 2 shown]
	ds_load_2addr_b64 v[184:187], v194 offset0:90 offset1:91
	s_waitcnt lgkmcnt(0)
	v_mul_f64 v[88:89], v[186:187], v[90:91]
	s_delay_alu instid0(VALU_DEP_1) | instskip(SKIP_1) | instid1(VALU_DEP_2)
	v_fma_f64 v[88:89], v[184:185], v[192:193], -v[88:89]
	v_mul_f64 v[184:185], v[184:185], v[90:91]
	v_add_f64 v[0:1], v[0:1], -v[88:89]
	s_delay_alu instid0(VALU_DEP_2) | instskip(SKIP_1) | instid1(VALU_DEP_2)
	v_fma_f64 v[184:185], v[186:187], v[192:193], v[184:185]
	v_dual_mov_b32 v88, v192 :: v_dual_mov_b32 v89, v193
	v_add_f64 v[2:3], v[2:3], -v[184:185]
.LBB90_503:
	s_or_b32 exec_lo, exec_lo, s2
	v_lshl_add_u32 v184, v200, 4, v194
	s_barrier
	buffer_gl0_inv
	v_mov_b32_e32 v192, 24
	ds_store_2addr_b64 v184, v[84:85], v[86:87] offset1:1
	s_waitcnt lgkmcnt(0)
	s_barrier
	buffer_gl0_inv
	ds_load_2addr_b64 v[184:187], v194 offset0:48 offset1:49
	s_cmp_lt_i32 s5, 26
	s_cbranch_scc1 .LBB90_506
; %bb.504:
	v_add3_u32 v193, v199, 0, 0x190
	v_mov_b32_e32 v192, 24
	s_mov_b32 s6, 25
	s_set_inst_prefetch_distance 0x1
	.p2align	6
.LBB90_505:                             ; =>This Inner Loop Header: Depth=1
	ds_load_2addr_b64 v[201:204], v193 offset1:1
	s_waitcnt lgkmcnt(1)
	v_cmp_gt_f64_e32 vcc_lo, 0, v[184:185]
	v_xor_b32_e32 v205, 0x80000000, v185
	v_cmp_gt_f64_e64 s2, 0, v[186:187]
	v_xor_b32_e32 v207, 0x80000000, v187
	v_add_nc_u32_e32 v193, 16, v193
	s_waitcnt lgkmcnt(0)
	v_cmp_gt_f64_e64 s3, 0, v[201:202]
	v_mov_b32_e32 v209, v201
	v_dual_mov_b32 v211, v203 :: v_dual_cndmask_b32 v206, v185, v205
	v_xor_b32_e32 v205, 0x80000000, v202
	v_cndmask_b32_e64 v208, v187, v207, s2
	v_xor_b32_e32 v207, 0x80000000, v204
	s_delay_alu instid0(VALU_DEP_3) | instskip(SKIP_2) | instid1(VALU_DEP_2)
	v_cndmask_b32_e64 v210, v202, v205, s3
	v_cmp_gt_f64_e64 s3, 0, v[203:204]
	v_cndmask_b32_e32 v205, v184, v184, vcc_lo
	v_cndmask_b32_e64 v212, v204, v207, s3
	v_cndmask_b32_e64 v207, v186, v186, s2
	s_delay_alu instid0(VALU_DEP_2) | instskip(NEXT) | instid1(VALU_DEP_2)
	v_add_f64 v[209:210], v[209:210], v[211:212]
	v_add_f64 v[205:206], v[205:206], v[207:208]
	s_delay_alu instid0(VALU_DEP_1) | instskip(SKIP_4) | instid1(SALU_CYCLE_1)
	v_cmp_lt_f64_e32 vcc_lo, v[205:206], v[209:210]
	v_dual_cndmask_b32 v186, v186, v203 :: v_dual_cndmask_b32 v185, v185, v202
	v_dual_cndmask_b32 v184, v184, v201 :: v_dual_cndmask_b32 v187, v187, v204
	v_cndmask_b32_e64 v192, v192, s6, vcc_lo
	s_add_i32 s6, s6, 1
	s_cmp_lg_u32 s5, s6
	s_cbranch_scc1 .LBB90_505
.LBB90_506:
	s_set_inst_prefetch_distance 0x2
	s_waitcnt lgkmcnt(0)
	v_cmp_eq_f64_e32 vcc_lo, 0, v[184:185]
	v_cmp_eq_f64_e64 s2, 0, v[186:187]
	s_delay_alu instid0(VALU_DEP_1) | instskip(NEXT) | instid1(SALU_CYCLE_1)
	s_and_b32 s2, vcc_lo, s2
	s_and_saveexec_b32 s3, s2
	s_delay_alu instid0(SALU_CYCLE_1)
	s_xor_b32 s2, exec_lo, s3
; %bb.507:
	v_cmp_ne_u32_e32 vcc_lo, 0, v197
	v_cndmask_b32_e32 v197, 25, v197, vcc_lo
; %bb.508:
	s_and_not1_saveexec_b32 s3, s2
	s_cbranch_execz .LBB90_514
; %bb.509:
	v_cmp_gt_f64_e32 vcc_lo, 0, v[184:185]
	v_cmp_gt_f64_e64 s2, 0, v[186:187]
	v_xor_b32_e32 v193, 0x80000000, v185
	v_xor_b32_e32 v201, 0x80000000, v187
	s_delay_alu instid0(VALU_DEP_2) | instskip(NEXT) | instid1(VALU_DEP_2)
	v_cndmask_b32_e32 v202, v185, v193, vcc_lo
	v_cndmask_b32_e64 v204, v187, v201, s2
	v_cndmask_b32_e32 v201, v184, v184, vcc_lo
	v_cndmask_b32_e64 v203, v186, v186, s2
	s_mov_b32 s2, exec_lo
	s_delay_alu instid0(VALU_DEP_1)
	v_cmpx_ngt_f64_e32 v[201:202], v[203:204]
	s_xor_b32 s2, exec_lo, s2
	s_cbranch_execz .LBB90_511
; %bb.510:
	v_div_scale_f64 v[201:202], null, v[186:187], v[186:187], v[184:185]
	v_div_scale_f64 v[207:208], vcc_lo, v[184:185], v[186:187], v[184:185]
	s_delay_alu instid0(VALU_DEP_2) | instskip(SKIP_2) | instid1(VALU_DEP_1)
	v_rcp_f64_e32 v[203:204], v[201:202]
	s_waitcnt_depctr 0xfff
	v_fma_f64 v[205:206], -v[201:202], v[203:204], 1.0
	v_fma_f64 v[203:204], v[203:204], v[205:206], v[203:204]
	s_delay_alu instid0(VALU_DEP_1) | instskip(NEXT) | instid1(VALU_DEP_1)
	v_fma_f64 v[205:206], -v[201:202], v[203:204], 1.0
	v_fma_f64 v[203:204], v[203:204], v[205:206], v[203:204]
	s_delay_alu instid0(VALU_DEP_1) | instskip(NEXT) | instid1(VALU_DEP_1)
	v_mul_f64 v[205:206], v[207:208], v[203:204]
	v_fma_f64 v[201:202], -v[201:202], v[205:206], v[207:208]
	s_delay_alu instid0(VALU_DEP_1) | instskip(NEXT) | instid1(VALU_DEP_1)
	v_div_fmas_f64 v[201:202], v[201:202], v[203:204], v[205:206]
	v_div_fixup_f64 v[201:202], v[201:202], v[186:187], v[184:185]
	s_delay_alu instid0(VALU_DEP_1) | instskip(NEXT) | instid1(VALU_DEP_1)
	v_fma_f64 v[184:185], v[184:185], v[201:202], v[186:187]
	v_div_scale_f64 v[186:187], null, v[184:185], v[184:185], 1.0
	s_delay_alu instid0(VALU_DEP_1) | instskip(SKIP_2) | instid1(VALU_DEP_1)
	v_rcp_f64_e32 v[203:204], v[186:187]
	s_waitcnt_depctr 0xfff
	v_fma_f64 v[205:206], -v[186:187], v[203:204], 1.0
	v_fma_f64 v[203:204], v[203:204], v[205:206], v[203:204]
	s_delay_alu instid0(VALU_DEP_1) | instskip(NEXT) | instid1(VALU_DEP_1)
	v_fma_f64 v[205:206], -v[186:187], v[203:204], 1.0
	v_fma_f64 v[203:204], v[203:204], v[205:206], v[203:204]
	v_div_scale_f64 v[205:206], vcc_lo, 1.0, v[184:185], 1.0
	s_delay_alu instid0(VALU_DEP_1) | instskip(NEXT) | instid1(VALU_DEP_1)
	v_mul_f64 v[207:208], v[205:206], v[203:204]
	v_fma_f64 v[186:187], -v[186:187], v[207:208], v[205:206]
	s_delay_alu instid0(VALU_DEP_1) | instskip(NEXT) | instid1(VALU_DEP_1)
	v_div_fmas_f64 v[186:187], v[186:187], v[203:204], v[207:208]
	v_div_fixup_f64 v[186:187], v[186:187], v[184:185], 1.0
	s_delay_alu instid0(VALU_DEP_1)
	v_mul_f64 v[184:185], v[201:202], v[186:187]
	v_xor_b32_e32 v187, 0x80000000, v187
.LBB90_511:
	s_and_not1_saveexec_b32 s2, s2
	s_cbranch_execz .LBB90_513
; %bb.512:
	s_delay_alu instid0(VALU_DEP_1) | instskip(SKIP_1) | instid1(VALU_DEP_2)
	v_div_scale_f64 v[201:202], null, v[184:185], v[184:185], v[186:187]
	v_div_scale_f64 v[207:208], vcc_lo, v[186:187], v[184:185], v[186:187]
	v_rcp_f64_e32 v[203:204], v[201:202]
	s_waitcnt_depctr 0xfff
	v_fma_f64 v[205:206], -v[201:202], v[203:204], 1.0
	s_delay_alu instid0(VALU_DEP_1) | instskip(NEXT) | instid1(VALU_DEP_1)
	v_fma_f64 v[203:204], v[203:204], v[205:206], v[203:204]
	v_fma_f64 v[205:206], -v[201:202], v[203:204], 1.0
	s_delay_alu instid0(VALU_DEP_1) | instskip(NEXT) | instid1(VALU_DEP_1)
	v_fma_f64 v[203:204], v[203:204], v[205:206], v[203:204]
	v_mul_f64 v[205:206], v[207:208], v[203:204]
	s_delay_alu instid0(VALU_DEP_1) | instskip(NEXT) | instid1(VALU_DEP_1)
	v_fma_f64 v[201:202], -v[201:202], v[205:206], v[207:208]
	v_div_fmas_f64 v[201:202], v[201:202], v[203:204], v[205:206]
	s_delay_alu instid0(VALU_DEP_1) | instskip(NEXT) | instid1(VALU_DEP_1)
	v_div_fixup_f64 v[201:202], v[201:202], v[184:185], v[186:187]
	v_fma_f64 v[184:185], v[186:187], v[201:202], v[184:185]
	s_delay_alu instid0(VALU_DEP_1) | instskip(NEXT) | instid1(VALU_DEP_1)
	v_div_scale_f64 v[186:187], null, v[184:185], v[184:185], 1.0
	v_rcp_f64_e32 v[203:204], v[186:187]
	s_waitcnt_depctr 0xfff
	v_fma_f64 v[205:206], -v[186:187], v[203:204], 1.0
	s_delay_alu instid0(VALU_DEP_1) | instskip(NEXT) | instid1(VALU_DEP_1)
	v_fma_f64 v[203:204], v[203:204], v[205:206], v[203:204]
	v_fma_f64 v[205:206], -v[186:187], v[203:204], 1.0
	s_delay_alu instid0(VALU_DEP_1) | instskip(SKIP_1) | instid1(VALU_DEP_1)
	v_fma_f64 v[203:204], v[203:204], v[205:206], v[203:204]
	v_div_scale_f64 v[205:206], vcc_lo, 1.0, v[184:185], 1.0
	v_mul_f64 v[207:208], v[205:206], v[203:204]
	s_delay_alu instid0(VALU_DEP_1) | instskip(NEXT) | instid1(VALU_DEP_1)
	v_fma_f64 v[186:187], -v[186:187], v[207:208], v[205:206]
	v_div_fmas_f64 v[186:187], v[186:187], v[203:204], v[207:208]
	s_delay_alu instid0(VALU_DEP_1) | instskip(NEXT) | instid1(VALU_DEP_1)
	v_div_fixup_f64 v[184:185], v[186:187], v[184:185], 1.0
	v_mul_f64 v[186:187], v[201:202], -v[184:185]
.LBB90_513:
	s_or_b32 exec_lo, exec_lo, s2
.LBB90_514:
	s_delay_alu instid0(SALU_CYCLE_1) | instskip(NEXT) | instid1(SALU_CYCLE_1)
	s_or_b32 exec_lo, exec_lo, s3
	s_mov_b32 s2, exec_lo
	v_cmpx_ne_u32_e64 v200, v192
	s_xor_b32 s2, exec_lo, s2
	s_cbranch_execz .LBB90_520
; %bb.515:
	s_mov_b32 s3, exec_lo
	v_cmpx_eq_u32_e32 24, v200
	s_cbranch_execz .LBB90_519
; %bb.516:
	v_cmp_ne_u32_e32 vcc_lo, 24, v192
	s_xor_b32 s6, s4, -1
	s_delay_alu instid0(SALU_CYCLE_1) | instskip(NEXT) | instid1(SALU_CYCLE_1)
	s_and_b32 s7, s6, vcc_lo
	s_and_saveexec_b32 s6, s7
	s_cbranch_execz .LBB90_518
; %bb.517:
	v_ashrrev_i32_e32 v193, 31, v192
	s_delay_alu instid0(VALU_DEP_1) | instskip(NEXT) | instid1(VALU_DEP_1)
	v_lshlrev_b64 v[200:201], 2, v[192:193]
	v_add_co_u32 v200, vcc_lo, v190, v200
	s_delay_alu instid0(VALU_DEP_2)
	v_add_co_ci_u32_e32 v201, vcc_lo, v191, v201, vcc_lo
	s_clause 0x1
	flat_load_b32 v193, v[200:201]
	flat_load_b32 v198, v[190:191] offset:96
	s_waitcnt vmcnt(1) lgkmcnt(1)
	flat_store_b32 v[190:191], v193 offset:96
	s_waitcnt vmcnt(0) lgkmcnt(1)
	flat_store_b32 v[200:201], v198
.LBB90_518:
	s_or_b32 exec_lo, exec_lo, s6
	v_mov_b32_e32 v200, v192
	v_mov_b32_e32 v198, v192
.LBB90_519:
	s_or_b32 exec_lo, exec_lo, s3
.LBB90_520:
	s_and_not1_saveexec_b32 s2, s2
	s_cbranch_execz .LBB90_522
; %bb.521:
	v_mov_b32_e32 v200, 24
	ds_store_2addr_b64 v194, v[80:81], v[82:83] offset0:50 offset1:51
	ds_store_2addr_b64 v194, v[76:77], v[78:79] offset0:52 offset1:53
	;; [unrolled: 1-line block ×21, first 2 shown]
.LBB90_522:
	s_or_b32 exec_lo, exec_lo, s2
	s_delay_alu instid0(SALU_CYCLE_1)
	s_mov_b32 s2, exec_lo
	s_waitcnt lgkmcnt(0)
	s_waitcnt_vscnt null, 0x0
	s_barrier
	buffer_gl0_inv
	v_cmpx_lt_i32_e32 24, v200
	s_cbranch_execz .LBB90_524
; %bb.523:
	v_mul_f64 v[192:193], v[186:187], v[86:87]
	v_mul_f64 v[86:87], v[184:185], v[86:87]
	s_delay_alu instid0(VALU_DEP_2) | instskip(NEXT) | instid1(VALU_DEP_2)
	v_fma_f64 v[192:193], v[184:185], v[84:85], -v[192:193]
	v_fma_f64 v[86:87], v[186:187], v[84:85], v[86:87]
	ds_load_2addr_b64 v[184:187], v194 offset0:50 offset1:51
	s_waitcnt lgkmcnt(0)
	v_mul_f64 v[84:85], v[186:187], v[86:87]
	s_delay_alu instid0(VALU_DEP_1) | instskip(SKIP_1) | instid1(VALU_DEP_2)
	v_fma_f64 v[84:85], v[184:185], v[192:193], -v[84:85]
	v_mul_f64 v[184:185], v[184:185], v[86:87]
	v_add_f64 v[80:81], v[80:81], -v[84:85]
	s_delay_alu instid0(VALU_DEP_2) | instskip(NEXT) | instid1(VALU_DEP_1)
	v_fma_f64 v[184:185], v[186:187], v[192:193], v[184:185]
	v_add_f64 v[82:83], v[82:83], -v[184:185]
	ds_load_2addr_b64 v[184:187], v194 offset0:52 offset1:53
	s_waitcnt lgkmcnt(0)
	v_mul_f64 v[84:85], v[186:187], v[86:87]
	s_delay_alu instid0(VALU_DEP_1) | instskip(SKIP_1) | instid1(VALU_DEP_2)
	v_fma_f64 v[84:85], v[184:185], v[192:193], -v[84:85]
	v_mul_f64 v[184:185], v[184:185], v[86:87]
	v_add_f64 v[76:77], v[76:77], -v[84:85]
	s_delay_alu instid0(VALU_DEP_2) | instskip(NEXT) | instid1(VALU_DEP_1)
	v_fma_f64 v[184:185], v[186:187], v[192:193], v[184:185]
	v_add_f64 v[78:79], v[78:79], -v[184:185]
	;; [unrolled: 10-line block ×20, first 2 shown]
	ds_load_2addr_b64 v[184:187], v194 offset0:90 offset1:91
	s_waitcnt lgkmcnt(0)
	v_mul_f64 v[84:85], v[186:187], v[86:87]
	s_delay_alu instid0(VALU_DEP_1) | instskip(SKIP_1) | instid1(VALU_DEP_2)
	v_fma_f64 v[84:85], v[184:185], v[192:193], -v[84:85]
	v_mul_f64 v[184:185], v[184:185], v[86:87]
	v_add_f64 v[0:1], v[0:1], -v[84:85]
	s_delay_alu instid0(VALU_DEP_2) | instskip(SKIP_1) | instid1(VALU_DEP_2)
	v_fma_f64 v[184:185], v[186:187], v[192:193], v[184:185]
	v_dual_mov_b32 v84, v192 :: v_dual_mov_b32 v85, v193
	v_add_f64 v[2:3], v[2:3], -v[184:185]
.LBB90_524:
	s_or_b32 exec_lo, exec_lo, s2
	v_lshl_add_u32 v184, v200, 4, v194
	s_barrier
	buffer_gl0_inv
	v_mov_b32_e32 v192, 25
	ds_store_2addr_b64 v184, v[80:81], v[82:83] offset1:1
	s_waitcnt lgkmcnt(0)
	s_barrier
	buffer_gl0_inv
	ds_load_2addr_b64 v[184:187], v194 offset0:50 offset1:51
	s_cmp_lt_i32 s5, 27
	s_cbranch_scc1 .LBB90_527
; %bb.525:
	v_add3_u32 v193, v199, 0, 0x1a0
	v_mov_b32_e32 v192, 25
	s_mov_b32 s6, 26
	s_set_inst_prefetch_distance 0x1
	.p2align	6
.LBB90_526:                             ; =>This Inner Loop Header: Depth=1
	ds_load_2addr_b64 v[201:204], v193 offset1:1
	s_waitcnt lgkmcnt(1)
	v_cmp_gt_f64_e32 vcc_lo, 0, v[184:185]
	v_xor_b32_e32 v205, 0x80000000, v185
	v_cmp_gt_f64_e64 s2, 0, v[186:187]
	v_xor_b32_e32 v207, 0x80000000, v187
	v_add_nc_u32_e32 v193, 16, v193
	s_waitcnt lgkmcnt(0)
	v_cmp_gt_f64_e64 s3, 0, v[201:202]
	v_mov_b32_e32 v209, v201
	v_dual_mov_b32 v211, v203 :: v_dual_cndmask_b32 v206, v185, v205
	v_xor_b32_e32 v205, 0x80000000, v202
	v_cndmask_b32_e64 v208, v187, v207, s2
	v_xor_b32_e32 v207, 0x80000000, v204
	s_delay_alu instid0(VALU_DEP_3) | instskip(SKIP_2) | instid1(VALU_DEP_2)
	v_cndmask_b32_e64 v210, v202, v205, s3
	v_cmp_gt_f64_e64 s3, 0, v[203:204]
	v_cndmask_b32_e32 v205, v184, v184, vcc_lo
	v_cndmask_b32_e64 v212, v204, v207, s3
	v_cndmask_b32_e64 v207, v186, v186, s2
	s_delay_alu instid0(VALU_DEP_2) | instskip(NEXT) | instid1(VALU_DEP_2)
	v_add_f64 v[209:210], v[209:210], v[211:212]
	v_add_f64 v[205:206], v[205:206], v[207:208]
	s_delay_alu instid0(VALU_DEP_1) | instskip(SKIP_4) | instid1(SALU_CYCLE_1)
	v_cmp_lt_f64_e32 vcc_lo, v[205:206], v[209:210]
	v_dual_cndmask_b32 v186, v186, v203 :: v_dual_cndmask_b32 v185, v185, v202
	v_dual_cndmask_b32 v184, v184, v201 :: v_dual_cndmask_b32 v187, v187, v204
	v_cndmask_b32_e64 v192, v192, s6, vcc_lo
	s_add_i32 s6, s6, 1
	s_cmp_lg_u32 s5, s6
	s_cbranch_scc1 .LBB90_526
.LBB90_527:
	s_set_inst_prefetch_distance 0x2
	s_waitcnt lgkmcnt(0)
	v_cmp_eq_f64_e32 vcc_lo, 0, v[184:185]
	v_cmp_eq_f64_e64 s2, 0, v[186:187]
	s_delay_alu instid0(VALU_DEP_1) | instskip(NEXT) | instid1(SALU_CYCLE_1)
	s_and_b32 s2, vcc_lo, s2
	s_and_saveexec_b32 s3, s2
	s_delay_alu instid0(SALU_CYCLE_1)
	s_xor_b32 s2, exec_lo, s3
; %bb.528:
	v_cmp_ne_u32_e32 vcc_lo, 0, v197
	v_cndmask_b32_e32 v197, 26, v197, vcc_lo
; %bb.529:
	s_and_not1_saveexec_b32 s3, s2
	s_cbranch_execz .LBB90_535
; %bb.530:
	v_cmp_gt_f64_e32 vcc_lo, 0, v[184:185]
	v_cmp_gt_f64_e64 s2, 0, v[186:187]
	v_xor_b32_e32 v193, 0x80000000, v185
	v_xor_b32_e32 v201, 0x80000000, v187
	s_delay_alu instid0(VALU_DEP_2) | instskip(NEXT) | instid1(VALU_DEP_2)
	v_cndmask_b32_e32 v202, v185, v193, vcc_lo
	v_cndmask_b32_e64 v204, v187, v201, s2
	v_cndmask_b32_e32 v201, v184, v184, vcc_lo
	v_cndmask_b32_e64 v203, v186, v186, s2
	s_mov_b32 s2, exec_lo
	s_delay_alu instid0(VALU_DEP_1)
	v_cmpx_ngt_f64_e32 v[201:202], v[203:204]
	s_xor_b32 s2, exec_lo, s2
	s_cbranch_execz .LBB90_532
; %bb.531:
	v_div_scale_f64 v[201:202], null, v[186:187], v[186:187], v[184:185]
	v_div_scale_f64 v[207:208], vcc_lo, v[184:185], v[186:187], v[184:185]
	s_delay_alu instid0(VALU_DEP_2) | instskip(SKIP_2) | instid1(VALU_DEP_1)
	v_rcp_f64_e32 v[203:204], v[201:202]
	s_waitcnt_depctr 0xfff
	v_fma_f64 v[205:206], -v[201:202], v[203:204], 1.0
	v_fma_f64 v[203:204], v[203:204], v[205:206], v[203:204]
	s_delay_alu instid0(VALU_DEP_1) | instskip(NEXT) | instid1(VALU_DEP_1)
	v_fma_f64 v[205:206], -v[201:202], v[203:204], 1.0
	v_fma_f64 v[203:204], v[203:204], v[205:206], v[203:204]
	s_delay_alu instid0(VALU_DEP_1) | instskip(NEXT) | instid1(VALU_DEP_1)
	v_mul_f64 v[205:206], v[207:208], v[203:204]
	v_fma_f64 v[201:202], -v[201:202], v[205:206], v[207:208]
	s_delay_alu instid0(VALU_DEP_1) | instskip(NEXT) | instid1(VALU_DEP_1)
	v_div_fmas_f64 v[201:202], v[201:202], v[203:204], v[205:206]
	v_div_fixup_f64 v[201:202], v[201:202], v[186:187], v[184:185]
	s_delay_alu instid0(VALU_DEP_1) | instskip(NEXT) | instid1(VALU_DEP_1)
	v_fma_f64 v[184:185], v[184:185], v[201:202], v[186:187]
	v_div_scale_f64 v[186:187], null, v[184:185], v[184:185], 1.0
	s_delay_alu instid0(VALU_DEP_1) | instskip(SKIP_2) | instid1(VALU_DEP_1)
	v_rcp_f64_e32 v[203:204], v[186:187]
	s_waitcnt_depctr 0xfff
	v_fma_f64 v[205:206], -v[186:187], v[203:204], 1.0
	v_fma_f64 v[203:204], v[203:204], v[205:206], v[203:204]
	s_delay_alu instid0(VALU_DEP_1) | instskip(NEXT) | instid1(VALU_DEP_1)
	v_fma_f64 v[205:206], -v[186:187], v[203:204], 1.0
	v_fma_f64 v[203:204], v[203:204], v[205:206], v[203:204]
	v_div_scale_f64 v[205:206], vcc_lo, 1.0, v[184:185], 1.0
	s_delay_alu instid0(VALU_DEP_1) | instskip(NEXT) | instid1(VALU_DEP_1)
	v_mul_f64 v[207:208], v[205:206], v[203:204]
	v_fma_f64 v[186:187], -v[186:187], v[207:208], v[205:206]
	s_delay_alu instid0(VALU_DEP_1) | instskip(NEXT) | instid1(VALU_DEP_1)
	v_div_fmas_f64 v[186:187], v[186:187], v[203:204], v[207:208]
	v_div_fixup_f64 v[186:187], v[186:187], v[184:185], 1.0
	s_delay_alu instid0(VALU_DEP_1)
	v_mul_f64 v[184:185], v[201:202], v[186:187]
	v_xor_b32_e32 v187, 0x80000000, v187
.LBB90_532:
	s_and_not1_saveexec_b32 s2, s2
	s_cbranch_execz .LBB90_534
; %bb.533:
	s_delay_alu instid0(VALU_DEP_1) | instskip(SKIP_1) | instid1(VALU_DEP_2)
	v_div_scale_f64 v[201:202], null, v[184:185], v[184:185], v[186:187]
	v_div_scale_f64 v[207:208], vcc_lo, v[186:187], v[184:185], v[186:187]
	v_rcp_f64_e32 v[203:204], v[201:202]
	s_waitcnt_depctr 0xfff
	v_fma_f64 v[205:206], -v[201:202], v[203:204], 1.0
	s_delay_alu instid0(VALU_DEP_1) | instskip(NEXT) | instid1(VALU_DEP_1)
	v_fma_f64 v[203:204], v[203:204], v[205:206], v[203:204]
	v_fma_f64 v[205:206], -v[201:202], v[203:204], 1.0
	s_delay_alu instid0(VALU_DEP_1) | instskip(NEXT) | instid1(VALU_DEP_1)
	v_fma_f64 v[203:204], v[203:204], v[205:206], v[203:204]
	v_mul_f64 v[205:206], v[207:208], v[203:204]
	s_delay_alu instid0(VALU_DEP_1) | instskip(NEXT) | instid1(VALU_DEP_1)
	v_fma_f64 v[201:202], -v[201:202], v[205:206], v[207:208]
	v_div_fmas_f64 v[201:202], v[201:202], v[203:204], v[205:206]
	s_delay_alu instid0(VALU_DEP_1) | instskip(NEXT) | instid1(VALU_DEP_1)
	v_div_fixup_f64 v[201:202], v[201:202], v[184:185], v[186:187]
	v_fma_f64 v[184:185], v[186:187], v[201:202], v[184:185]
	s_delay_alu instid0(VALU_DEP_1) | instskip(NEXT) | instid1(VALU_DEP_1)
	v_div_scale_f64 v[186:187], null, v[184:185], v[184:185], 1.0
	v_rcp_f64_e32 v[203:204], v[186:187]
	s_waitcnt_depctr 0xfff
	v_fma_f64 v[205:206], -v[186:187], v[203:204], 1.0
	s_delay_alu instid0(VALU_DEP_1) | instskip(NEXT) | instid1(VALU_DEP_1)
	v_fma_f64 v[203:204], v[203:204], v[205:206], v[203:204]
	v_fma_f64 v[205:206], -v[186:187], v[203:204], 1.0
	s_delay_alu instid0(VALU_DEP_1) | instskip(SKIP_1) | instid1(VALU_DEP_1)
	v_fma_f64 v[203:204], v[203:204], v[205:206], v[203:204]
	v_div_scale_f64 v[205:206], vcc_lo, 1.0, v[184:185], 1.0
	v_mul_f64 v[207:208], v[205:206], v[203:204]
	s_delay_alu instid0(VALU_DEP_1) | instskip(NEXT) | instid1(VALU_DEP_1)
	v_fma_f64 v[186:187], -v[186:187], v[207:208], v[205:206]
	v_div_fmas_f64 v[186:187], v[186:187], v[203:204], v[207:208]
	s_delay_alu instid0(VALU_DEP_1) | instskip(NEXT) | instid1(VALU_DEP_1)
	v_div_fixup_f64 v[184:185], v[186:187], v[184:185], 1.0
	v_mul_f64 v[186:187], v[201:202], -v[184:185]
.LBB90_534:
	s_or_b32 exec_lo, exec_lo, s2
.LBB90_535:
	s_delay_alu instid0(SALU_CYCLE_1) | instskip(NEXT) | instid1(SALU_CYCLE_1)
	s_or_b32 exec_lo, exec_lo, s3
	s_mov_b32 s2, exec_lo
	v_cmpx_ne_u32_e64 v200, v192
	s_xor_b32 s2, exec_lo, s2
	s_cbranch_execz .LBB90_541
; %bb.536:
	s_mov_b32 s3, exec_lo
	v_cmpx_eq_u32_e32 25, v200
	s_cbranch_execz .LBB90_540
; %bb.537:
	v_cmp_ne_u32_e32 vcc_lo, 25, v192
	s_xor_b32 s6, s4, -1
	s_delay_alu instid0(SALU_CYCLE_1) | instskip(NEXT) | instid1(SALU_CYCLE_1)
	s_and_b32 s7, s6, vcc_lo
	s_and_saveexec_b32 s6, s7
	s_cbranch_execz .LBB90_539
; %bb.538:
	v_ashrrev_i32_e32 v193, 31, v192
	s_delay_alu instid0(VALU_DEP_1) | instskip(NEXT) | instid1(VALU_DEP_1)
	v_lshlrev_b64 v[200:201], 2, v[192:193]
	v_add_co_u32 v200, vcc_lo, v190, v200
	s_delay_alu instid0(VALU_DEP_2)
	v_add_co_ci_u32_e32 v201, vcc_lo, v191, v201, vcc_lo
	s_clause 0x1
	flat_load_b32 v193, v[200:201]
	flat_load_b32 v198, v[190:191] offset:100
	s_waitcnt vmcnt(1) lgkmcnt(1)
	flat_store_b32 v[190:191], v193 offset:100
	s_waitcnt vmcnt(0) lgkmcnt(1)
	flat_store_b32 v[200:201], v198
.LBB90_539:
	s_or_b32 exec_lo, exec_lo, s6
	v_mov_b32_e32 v200, v192
	v_mov_b32_e32 v198, v192
.LBB90_540:
	s_or_b32 exec_lo, exec_lo, s3
.LBB90_541:
	s_and_not1_saveexec_b32 s2, s2
	s_cbranch_execz .LBB90_543
; %bb.542:
	v_mov_b32_e32 v200, 25
	ds_store_2addr_b64 v194, v[76:77], v[78:79] offset0:52 offset1:53
	ds_store_2addr_b64 v194, v[72:73], v[74:75] offset0:54 offset1:55
	;; [unrolled: 1-line block ×20, first 2 shown]
.LBB90_543:
	s_or_b32 exec_lo, exec_lo, s2
	s_delay_alu instid0(SALU_CYCLE_1)
	s_mov_b32 s2, exec_lo
	s_waitcnt lgkmcnt(0)
	s_waitcnt_vscnt null, 0x0
	s_barrier
	buffer_gl0_inv
	v_cmpx_lt_i32_e32 25, v200
	s_cbranch_execz .LBB90_545
; %bb.544:
	v_mul_f64 v[192:193], v[186:187], v[82:83]
	v_mul_f64 v[82:83], v[184:185], v[82:83]
	s_delay_alu instid0(VALU_DEP_2) | instskip(NEXT) | instid1(VALU_DEP_2)
	v_fma_f64 v[192:193], v[184:185], v[80:81], -v[192:193]
	v_fma_f64 v[82:83], v[186:187], v[80:81], v[82:83]
	ds_load_2addr_b64 v[184:187], v194 offset0:52 offset1:53
	s_waitcnt lgkmcnt(0)
	v_mul_f64 v[80:81], v[186:187], v[82:83]
	s_delay_alu instid0(VALU_DEP_1) | instskip(SKIP_1) | instid1(VALU_DEP_2)
	v_fma_f64 v[80:81], v[184:185], v[192:193], -v[80:81]
	v_mul_f64 v[184:185], v[184:185], v[82:83]
	v_add_f64 v[76:77], v[76:77], -v[80:81]
	s_delay_alu instid0(VALU_DEP_2) | instskip(NEXT) | instid1(VALU_DEP_1)
	v_fma_f64 v[184:185], v[186:187], v[192:193], v[184:185]
	v_add_f64 v[78:79], v[78:79], -v[184:185]
	ds_load_2addr_b64 v[184:187], v194 offset0:54 offset1:55
	s_waitcnt lgkmcnt(0)
	v_mul_f64 v[80:81], v[186:187], v[82:83]
	s_delay_alu instid0(VALU_DEP_1) | instskip(SKIP_1) | instid1(VALU_DEP_2)
	v_fma_f64 v[80:81], v[184:185], v[192:193], -v[80:81]
	v_mul_f64 v[184:185], v[184:185], v[82:83]
	v_add_f64 v[72:73], v[72:73], -v[80:81]
	s_delay_alu instid0(VALU_DEP_2) | instskip(NEXT) | instid1(VALU_DEP_1)
	v_fma_f64 v[184:185], v[186:187], v[192:193], v[184:185]
	v_add_f64 v[74:75], v[74:75], -v[184:185]
	ds_load_2addr_b64 v[184:187], v194 offset0:56 offset1:57
	s_waitcnt lgkmcnt(0)
	v_mul_f64 v[80:81], v[186:187], v[82:83]
	s_delay_alu instid0(VALU_DEP_1) | instskip(SKIP_1) | instid1(VALU_DEP_2)
	v_fma_f64 v[80:81], v[184:185], v[192:193], -v[80:81]
	v_mul_f64 v[184:185], v[184:185], v[82:83]
	v_add_f64 v[68:69], v[68:69], -v[80:81]
	s_delay_alu instid0(VALU_DEP_2) | instskip(NEXT) | instid1(VALU_DEP_1)
	v_fma_f64 v[184:185], v[186:187], v[192:193], v[184:185]
	v_add_f64 v[70:71], v[70:71], -v[184:185]
	ds_load_2addr_b64 v[184:187], v194 offset0:58 offset1:59
	s_waitcnt lgkmcnt(0)
	v_mul_f64 v[80:81], v[186:187], v[82:83]
	s_delay_alu instid0(VALU_DEP_1) | instskip(SKIP_1) | instid1(VALU_DEP_2)
	v_fma_f64 v[80:81], v[184:185], v[192:193], -v[80:81]
	v_mul_f64 v[184:185], v[184:185], v[82:83]
	v_add_f64 v[64:65], v[64:65], -v[80:81]
	s_delay_alu instid0(VALU_DEP_2) | instskip(NEXT) | instid1(VALU_DEP_1)
	v_fma_f64 v[184:185], v[186:187], v[192:193], v[184:185]
	v_add_f64 v[66:67], v[66:67], -v[184:185]
	ds_load_2addr_b64 v[184:187], v194 offset0:60 offset1:61
	s_waitcnt lgkmcnt(0)
	v_mul_f64 v[80:81], v[186:187], v[82:83]
	s_delay_alu instid0(VALU_DEP_1) | instskip(SKIP_1) | instid1(VALU_DEP_2)
	v_fma_f64 v[80:81], v[184:185], v[192:193], -v[80:81]
	v_mul_f64 v[184:185], v[184:185], v[82:83]
	v_add_f64 v[60:61], v[60:61], -v[80:81]
	s_delay_alu instid0(VALU_DEP_2) | instskip(NEXT) | instid1(VALU_DEP_1)
	v_fma_f64 v[184:185], v[186:187], v[192:193], v[184:185]
	v_add_f64 v[62:63], v[62:63], -v[184:185]
	ds_load_2addr_b64 v[184:187], v194 offset0:62 offset1:63
	s_waitcnt lgkmcnt(0)
	v_mul_f64 v[80:81], v[186:187], v[82:83]
	s_delay_alu instid0(VALU_DEP_1) | instskip(SKIP_1) | instid1(VALU_DEP_2)
	v_fma_f64 v[80:81], v[184:185], v[192:193], -v[80:81]
	v_mul_f64 v[184:185], v[184:185], v[82:83]
	v_add_f64 v[56:57], v[56:57], -v[80:81]
	s_delay_alu instid0(VALU_DEP_2) | instskip(NEXT) | instid1(VALU_DEP_1)
	v_fma_f64 v[184:185], v[186:187], v[192:193], v[184:185]
	v_add_f64 v[58:59], v[58:59], -v[184:185]
	ds_load_2addr_b64 v[184:187], v194 offset0:64 offset1:65
	s_waitcnt lgkmcnt(0)
	v_mul_f64 v[80:81], v[186:187], v[82:83]
	s_delay_alu instid0(VALU_DEP_1) | instskip(SKIP_1) | instid1(VALU_DEP_2)
	v_fma_f64 v[80:81], v[184:185], v[192:193], -v[80:81]
	v_mul_f64 v[184:185], v[184:185], v[82:83]
	v_add_f64 v[52:53], v[52:53], -v[80:81]
	s_delay_alu instid0(VALU_DEP_2) | instskip(NEXT) | instid1(VALU_DEP_1)
	v_fma_f64 v[184:185], v[186:187], v[192:193], v[184:185]
	v_add_f64 v[54:55], v[54:55], -v[184:185]
	ds_load_2addr_b64 v[184:187], v194 offset0:66 offset1:67
	s_waitcnt lgkmcnt(0)
	v_mul_f64 v[80:81], v[186:187], v[82:83]
	s_delay_alu instid0(VALU_DEP_1) | instskip(SKIP_1) | instid1(VALU_DEP_2)
	v_fma_f64 v[80:81], v[184:185], v[192:193], -v[80:81]
	v_mul_f64 v[184:185], v[184:185], v[82:83]
	v_add_f64 v[48:49], v[48:49], -v[80:81]
	s_delay_alu instid0(VALU_DEP_2) | instskip(NEXT) | instid1(VALU_DEP_1)
	v_fma_f64 v[184:185], v[186:187], v[192:193], v[184:185]
	v_add_f64 v[50:51], v[50:51], -v[184:185]
	ds_load_2addr_b64 v[184:187], v194 offset0:68 offset1:69
	s_waitcnt lgkmcnt(0)
	v_mul_f64 v[80:81], v[186:187], v[82:83]
	s_delay_alu instid0(VALU_DEP_1) | instskip(SKIP_1) | instid1(VALU_DEP_2)
	v_fma_f64 v[80:81], v[184:185], v[192:193], -v[80:81]
	v_mul_f64 v[184:185], v[184:185], v[82:83]
	v_add_f64 v[44:45], v[44:45], -v[80:81]
	s_delay_alu instid0(VALU_DEP_2) | instskip(NEXT) | instid1(VALU_DEP_1)
	v_fma_f64 v[184:185], v[186:187], v[192:193], v[184:185]
	v_add_f64 v[46:47], v[46:47], -v[184:185]
	ds_load_2addr_b64 v[184:187], v194 offset0:70 offset1:71
	s_waitcnt lgkmcnt(0)
	v_mul_f64 v[80:81], v[186:187], v[82:83]
	s_delay_alu instid0(VALU_DEP_1) | instskip(SKIP_1) | instid1(VALU_DEP_2)
	v_fma_f64 v[80:81], v[184:185], v[192:193], -v[80:81]
	v_mul_f64 v[184:185], v[184:185], v[82:83]
	v_add_f64 v[40:41], v[40:41], -v[80:81]
	s_delay_alu instid0(VALU_DEP_2) | instskip(NEXT) | instid1(VALU_DEP_1)
	v_fma_f64 v[184:185], v[186:187], v[192:193], v[184:185]
	v_add_f64 v[42:43], v[42:43], -v[184:185]
	ds_load_2addr_b64 v[184:187], v194 offset0:72 offset1:73
	s_waitcnt lgkmcnt(0)
	v_mul_f64 v[80:81], v[186:187], v[82:83]
	s_delay_alu instid0(VALU_DEP_1) | instskip(SKIP_1) | instid1(VALU_DEP_2)
	v_fma_f64 v[80:81], v[184:185], v[192:193], -v[80:81]
	v_mul_f64 v[184:185], v[184:185], v[82:83]
	v_add_f64 v[36:37], v[36:37], -v[80:81]
	s_delay_alu instid0(VALU_DEP_2) | instskip(NEXT) | instid1(VALU_DEP_1)
	v_fma_f64 v[184:185], v[186:187], v[192:193], v[184:185]
	v_add_f64 v[38:39], v[38:39], -v[184:185]
	ds_load_2addr_b64 v[184:187], v194 offset0:74 offset1:75
	s_waitcnt lgkmcnt(0)
	v_mul_f64 v[80:81], v[186:187], v[82:83]
	s_delay_alu instid0(VALU_DEP_1) | instskip(SKIP_1) | instid1(VALU_DEP_2)
	v_fma_f64 v[80:81], v[184:185], v[192:193], -v[80:81]
	v_mul_f64 v[184:185], v[184:185], v[82:83]
	v_add_f64 v[32:33], v[32:33], -v[80:81]
	s_delay_alu instid0(VALU_DEP_2) | instskip(NEXT) | instid1(VALU_DEP_1)
	v_fma_f64 v[184:185], v[186:187], v[192:193], v[184:185]
	v_add_f64 v[34:35], v[34:35], -v[184:185]
	ds_load_2addr_b64 v[184:187], v194 offset0:76 offset1:77
	s_waitcnt lgkmcnt(0)
	v_mul_f64 v[80:81], v[186:187], v[82:83]
	s_delay_alu instid0(VALU_DEP_1) | instskip(SKIP_1) | instid1(VALU_DEP_2)
	v_fma_f64 v[80:81], v[184:185], v[192:193], -v[80:81]
	v_mul_f64 v[184:185], v[184:185], v[82:83]
	v_add_f64 v[28:29], v[28:29], -v[80:81]
	s_delay_alu instid0(VALU_DEP_2) | instskip(NEXT) | instid1(VALU_DEP_1)
	v_fma_f64 v[184:185], v[186:187], v[192:193], v[184:185]
	v_add_f64 v[30:31], v[30:31], -v[184:185]
	ds_load_2addr_b64 v[184:187], v194 offset0:78 offset1:79
	s_waitcnt lgkmcnt(0)
	v_mul_f64 v[80:81], v[186:187], v[82:83]
	s_delay_alu instid0(VALU_DEP_1) | instskip(SKIP_1) | instid1(VALU_DEP_2)
	v_fma_f64 v[80:81], v[184:185], v[192:193], -v[80:81]
	v_mul_f64 v[184:185], v[184:185], v[82:83]
	v_add_f64 v[24:25], v[24:25], -v[80:81]
	s_delay_alu instid0(VALU_DEP_2) | instskip(NEXT) | instid1(VALU_DEP_1)
	v_fma_f64 v[184:185], v[186:187], v[192:193], v[184:185]
	v_add_f64 v[26:27], v[26:27], -v[184:185]
	ds_load_2addr_b64 v[184:187], v194 offset0:80 offset1:81
	s_waitcnt lgkmcnt(0)
	v_mul_f64 v[80:81], v[186:187], v[82:83]
	s_delay_alu instid0(VALU_DEP_1) | instskip(SKIP_1) | instid1(VALU_DEP_2)
	v_fma_f64 v[80:81], v[184:185], v[192:193], -v[80:81]
	v_mul_f64 v[184:185], v[184:185], v[82:83]
	v_add_f64 v[20:21], v[20:21], -v[80:81]
	s_delay_alu instid0(VALU_DEP_2) | instskip(NEXT) | instid1(VALU_DEP_1)
	v_fma_f64 v[184:185], v[186:187], v[192:193], v[184:185]
	v_add_f64 v[22:23], v[22:23], -v[184:185]
	ds_load_2addr_b64 v[184:187], v194 offset0:82 offset1:83
	s_waitcnt lgkmcnt(0)
	v_mul_f64 v[80:81], v[186:187], v[82:83]
	s_delay_alu instid0(VALU_DEP_1) | instskip(SKIP_1) | instid1(VALU_DEP_2)
	v_fma_f64 v[80:81], v[184:185], v[192:193], -v[80:81]
	v_mul_f64 v[184:185], v[184:185], v[82:83]
	v_add_f64 v[16:17], v[16:17], -v[80:81]
	s_delay_alu instid0(VALU_DEP_2) | instskip(NEXT) | instid1(VALU_DEP_1)
	v_fma_f64 v[184:185], v[186:187], v[192:193], v[184:185]
	v_add_f64 v[18:19], v[18:19], -v[184:185]
	ds_load_2addr_b64 v[184:187], v194 offset0:84 offset1:85
	s_waitcnt lgkmcnt(0)
	v_mul_f64 v[80:81], v[186:187], v[82:83]
	s_delay_alu instid0(VALU_DEP_1) | instskip(SKIP_1) | instid1(VALU_DEP_2)
	v_fma_f64 v[80:81], v[184:185], v[192:193], -v[80:81]
	v_mul_f64 v[184:185], v[184:185], v[82:83]
	v_add_f64 v[12:13], v[12:13], -v[80:81]
	s_delay_alu instid0(VALU_DEP_2) | instskip(NEXT) | instid1(VALU_DEP_1)
	v_fma_f64 v[184:185], v[186:187], v[192:193], v[184:185]
	v_add_f64 v[14:15], v[14:15], -v[184:185]
	ds_load_2addr_b64 v[184:187], v194 offset0:86 offset1:87
	s_waitcnt lgkmcnt(0)
	v_mul_f64 v[80:81], v[186:187], v[82:83]
	s_delay_alu instid0(VALU_DEP_1) | instskip(SKIP_1) | instid1(VALU_DEP_2)
	v_fma_f64 v[80:81], v[184:185], v[192:193], -v[80:81]
	v_mul_f64 v[184:185], v[184:185], v[82:83]
	v_add_f64 v[8:9], v[8:9], -v[80:81]
	s_delay_alu instid0(VALU_DEP_2) | instskip(NEXT) | instid1(VALU_DEP_1)
	v_fma_f64 v[184:185], v[186:187], v[192:193], v[184:185]
	v_add_f64 v[10:11], v[10:11], -v[184:185]
	ds_load_2addr_b64 v[184:187], v194 offset0:88 offset1:89
	s_waitcnt lgkmcnt(0)
	v_mul_f64 v[80:81], v[186:187], v[82:83]
	s_delay_alu instid0(VALU_DEP_1) | instskip(SKIP_1) | instid1(VALU_DEP_2)
	v_fma_f64 v[80:81], v[184:185], v[192:193], -v[80:81]
	v_mul_f64 v[184:185], v[184:185], v[82:83]
	v_add_f64 v[4:5], v[4:5], -v[80:81]
	s_delay_alu instid0(VALU_DEP_2) | instskip(NEXT) | instid1(VALU_DEP_1)
	v_fma_f64 v[184:185], v[186:187], v[192:193], v[184:185]
	v_add_f64 v[6:7], v[6:7], -v[184:185]
	ds_load_2addr_b64 v[184:187], v194 offset0:90 offset1:91
	s_waitcnt lgkmcnt(0)
	v_mul_f64 v[80:81], v[186:187], v[82:83]
	s_delay_alu instid0(VALU_DEP_1) | instskip(SKIP_1) | instid1(VALU_DEP_2)
	v_fma_f64 v[80:81], v[184:185], v[192:193], -v[80:81]
	v_mul_f64 v[184:185], v[184:185], v[82:83]
	v_add_f64 v[0:1], v[0:1], -v[80:81]
	s_delay_alu instid0(VALU_DEP_2) | instskip(SKIP_1) | instid1(VALU_DEP_2)
	v_fma_f64 v[184:185], v[186:187], v[192:193], v[184:185]
	v_dual_mov_b32 v80, v192 :: v_dual_mov_b32 v81, v193
	v_add_f64 v[2:3], v[2:3], -v[184:185]
.LBB90_545:
	s_or_b32 exec_lo, exec_lo, s2
	v_lshl_add_u32 v184, v200, 4, v194
	s_barrier
	buffer_gl0_inv
	v_mov_b32_e32 v192, 26
	ds_store_2addr_b64 v184, v[76:77], v[78:79] offset1:1
	s_waitcnt lgkmcnt(0)
	s_barrier
	buffer_gl0_inv
	ds_load_2addr_b64 v[184:187], v194 offset0:52 offset1:53
	s_cmp_lt_i32 s5, 28
	s_cbranch_scc1 .LBB90_548
; %bb.546:
	v_add3_u32 v193, v199, 0, 0x1b0
	v_mov_b32_e32 v192, 26
	s_mov_b32 s6, 27
	s_set_inst_prefetch_distance 0x1
	.p2align	6
.LBB90_547:                             ; =>This Inner Loop Header: Depth=1
	ds_load_2addr_b64 v[201:204], v193 offset1:1
	s_waitcnt lgkmcnt(1)
	v_cmp_gt_f64_e32 vcc_lo, 0, v[184:185]
	v_xor_b32_e32 v205, 0x80000000, v185
	v_cmp_gt_f64_e64 s2, 0, v[186:187]
	v_xor_b32_e32 v207, 0x80000000, v187
	v_add_nc_u32_e32 v193, 16, v193
	s_waitcnt lgkmcnt(0)
	v_cmp_gt_f64_e64 s3, 0, v[201:202]
	v_mov_b32_e32 v209, v201
	v_dual_mov_b32 v211, v203 :: v_dual_cndmask_b32 v206, v185, v205
	v_xor_b32_e32 v205, 0x80000000, v202
	v_cndmask_b32_e64 v208, v187, v207, s2
	v_xor_b32_e32 v207, 0x80000000, v204
	s_delay_alu instid0(VALU_DEP_3) | instskip(SKIP_2) | instid1(VALU_DEP_2)
	v_cndmask_b32_e64 v210, v202, v205, s3
	v_cmp_gt_f64_e64 s3, 0, v[203:204]
	v_cndmask_b32_e32 v205, v184, v184, vcc_lo
	v_cndmask_b32_e64 v212, v204, v207, s3
	v_cndmask_b32_e64 v207, v186, v186, s2
	s_delay_alu instid0(VALU_DEP_2) | instskip(NEXT) | instid1(VALU_DEP_2)
	v_add_f64 v[209:210], v[209:210], v[211:212]
	v_add_f64 v[205:206], v[205:206], v[207:208]
	s_delay_alu instid0(VALU_DEP_1) | instskip(SKIP_4) | instid1(SALU_CYCLE_1)
	v_cmp_lt_f64_e32 vcc_lo, v[205:206], v[209:210]
	v_dual_cndmask_b32 v186, v186, v203 :: v_dual_cndmask_b32 v185, v185, v202
	v_dual_cndmask_b32 v184, v184, v201 :: v_dual_cndmask_b32 v187, v187, v204
	v_cndmask_b32_e64 v192, v192, s6, vcc_lo
	s_add_i32 s6, s6, 1
	s_cmp_lg_u32 s5, s6
	s_cbranch_scc1 .LBB90_547
.LBB90_548:
	s_set_inst_prefetch_distance 0x2
	s_waitcnt lgkmcnt(0)
	v_cmp_eq_f64_e32 vcc_lo, 0, v[184:185]
	v_cmp_eq_f64_e64 s2, 0, v[186:187]
	s_delay_alu instid0(VALU_DEP_1) | instskip(NEXT) | instid1(SALU_CYCLE_1)
	s_and_b32 s2, vcc_lo, s2
	s_and_saveexec_b32 s3, s2
	s_delay_alu instid0(SALU_CYCLE_1)
	s_xor_b32 s2, exec_lo, s3
; %bb.549:
	v_cmp_ne_u32_e32 vcc_lo, 0, v197
	v_cndmask_b32_e32 v197, 27, v197, vcc_lo
; %bb.550:
	s_and_not1_saveexec_b32 s3, s2
	s_cbranch_execz .LBB90_556
; %bb.551:
	v_cmp_gt_f64_e32 vcc_lo, 0, v[184:185]
	v_cmp_gt_f64_e64 s2, 0, v[186:187]
	v_xor_b32_e32 v193, 0x80000000, v185
	v_xor_b32_e32 v201, 0x80000000, v187
	s_delay_alu instid0(VALU_DEP_2) | instskip(NEXT) | instid1(VALU_DEP_2)
	v_cndmask_b32_e32 v202, v185, v193, vcc_lo
	v_cndmask_b32_e64 v204, v187, v201, s2
	v_cndmask_b32_e32 v201, v184, v184, vcc_lo
	v_cndmask_b32_e64 v203, v186, v186, s2
	s_mov_b32 s2, exec_lo
	s_delay_alu instid0(VALU_DEP_1)
	v_cmpx_ngt_f64_e32 v[201:202], v[203:204]
	s_xor_b32 s2, exec_lo, s2
	s_cbranch_execz .LBB90_553
; %bb.552:
	v_div_scale_f64 v[201:202], null, v[186:187], v[186:187], v[184:185]
	v_div_scale_f64 v[207:208], vcc_lo, v[184:185], v[186:187], v[184:185]
	s_delay_alu instid0(VALU_DEP_2) | instskip(SKIP_2) | instid1(VALU_DEP_1)
	v_rcp_f64_e32 v[203:204], v[201:202]
	s_waitcnt_depctr 0xfff
	v_fma_f64 v[205:206], -v[201:202], v[203:204], 1.0
	v_fma_f64 v[203:204], v[203:204], v[205:206], v[203:204]
	s_delay_alu instid0(VALU_DEP_1) | instskip(NEXT) | instid1(VALU_DEP_1)
	v_fma_f64 v[205:206], -v[201:202], v[203:204], 1.0
	v_fma_f64 v[203:204], v[203:204], v[205:206], v[203:204]
	s_delay_alu instid0(VALU_DEP_1) | instskip(NEXT) | instid1(VALU_DEP_1)
	v_mul_f64 v[205:206], v[207:208], v[203:204]
	v_fma_f64 v[201:202], -v[201:202], v[205:206], v[207:208]
	s_delay_alu instid0(VALU_DEP_1) | instskip(NEXT) | instid1(VALU_DEP_1)
	v_div_fmas_f64 v[201:202], v[201:202], v[203:204], v[205:206]
	v_div_fixup_f64 v[201:202], v[201:202], v[186:187], v[184:185]
	s_delay_alu instid0(VALU_DEP_1) | instskip(NEXT) | instid1(VALU_DEP_1)
	v_fma_f64 v[184:185], v[184:185], v[201:202], v[186:187]
	v_div_scale_f64 v[186:187], null, v[184:185], v[184:185], 1.0
	s_delay_alu instid0(VALU_DEP_1) | instskip(SKIP_2) | instid1(VALU_DEP_1)
	v_rcp_f64_e32 v[203:204], v[186:187]
	s_waitcnt_depctr 0xfff
	v_fma_f64 v[205:206], -v[186:187], v[203:204], 1.0
	v_fma_f64 v[203:204], v[203:204], v[205:206], v[203:204]
	s_delay_alu instid0(VALU_DEP_1) | instskip(NEXT) | instid1(VALU_DEP_1)
	v_fma_f64 v[205:206], -v[186:187], v[203:204], 1.0
	v_fma_f64 v[203:204], v[203:204], v[205:206], v[203:204]
	v_div_scale_f64 v[205:206], vcc_lo, 1.0, v[184:185], 1.0
	s_delay_alu instid0(VALU_DEP_1) | instskip(NEXT) | instid1(VALU_DEP_1)
	v_mul_f64 v[207:208], v[205:206], v[203:204]
	v_fma_f64 v[186:187], -v[186:187], v[207:208], v[205:206]
	s_delay_alu instid0(VALU_DEP_1) | instskip(NEXT) | instid1(VALU_DEP_1)
	v_div_fmas_f64 v[186:187], v[186:187], v[203:204], v[207:208]
	v_div_fixup_f64 v[186:187], v[186:187], v[184:185], 1.0
	s_delay_alu instid0(VALU_DEP_1)
	v_mul_f64 v[184:185], v[201:202], v[186:187]
	v_xor_b32_e32 v187, 0x80000000, v187
.LBB90_553:
	s_and_not1_saveexec_b32 s2, s2
	s_cbranch_execz .LBB90_555
; %bb.554:
	s_delay_alu instid0(VALU_DEP_1) | instskip(SKIP_1) | instid1(VALU_DEP_2)
	v_div_scale_f64 v[201:202], null, v[184:185], v[184:185], v[186:187]
	v_div_scale_f64 v[207:208], vcc_lo, v[186:187], v[184:185], v[186:187]
	v_rcp_f64_e32 v[203:204], v[201:202]
	s_waitcnt_depctr 0xfff
	v_fma_f64 v[205:206], -v[201:202], v[203:204], 1.0
	s_delay_alu instid0(VALU_DEP_1) | instskip(NEXT) | instid1(VALU_DEP_1)
	v_fma_f64 v[203:204], v[203:204], v[205:206], v[203:204]
	v_fma_f64 v[205:206], -v[201:202], v[203:204], 1.0
	s_delay_alu instid0(VALU_DEP_1) | instskip(NEXT) | instid1(VALU_DEP_1)
	v_fma_f64 v[203:204], v[203:204], v[205:206], v[203:204]
	v_mul_f64 v[205:206], v[207:208], v[203:204]
	s_delay_alu instid0(VALU_DEP_1) | instskip(NEXT) | instid1(VALU_DEP_1)
	v_fma_f64 v[201:202], -v[201:202], v[205:206], v[207:208]
	v_div_fmas_f64 v[201:202], v[201:202], v[203:204], v[205:206]
	s_delay_alu instid0(VALU_DEP_1) | instskip(NEXT) | instid1(VALU_DEP_1)
	v_div_fixup_f64 v[201:202], v[201:202], v[184:185], v[186:187]
	v_fma_f64 v[184:185], v[186:187], v[201:202], v[184:185]
	s_delay_alu instid0(VALU_DEP_1) | instskip(NEXT) | instid1(VALU_DEP_1)
	v_div_scale_f64 v[186:187], null, v[184:185], v[184:185], 1.0
	v_rcp_f64_e32 v[203:204], v[186:187]
	s_waitcnt_depctr 0xfff
	v_fma_f64 v[205:206], -v[186:187], v[203:204], 1.0
	s_delay_alu instid0(VALU_DEP_1) | instskip(NEXT) | instid1(VALU_DEP_1)
	v_fma_f64 v[203:204], v[203:204], v[205:206], v[203:204]
	v_fma_f64 v[205:206], -v[186:187], v[203:204], 1.0
	s_delay_alu instid0(VALU_DEP_1) | instskip(SKIP_1) | instid1(VALU_DEP_1)
	v_fma_f64 v[203:204], v[203:204], v[205:206], v[203:204]
	v_div_scale_f64 v[205:206], vcc_lo, 1.0, v[184:185], 1.0
	v_mul_f64 v[207:208], v[205:206], v[203:204]
	s_delay_alu instid0(VALU_DEP_1) | instskip(NEXT) | instid1(VALU_DEP_1)
	v_fma_f64 v[186:187], -v[186:187], v[207:208], v[205:206]
	v_div_fmas_f64 v[186:187], v[186:187], v[203:204], v[207:208]
	s_delay_alu instid0(VALU_DEP_1) | instskip(NEXT) | instid1(VALU_DEP_1)
	v_div_fixup_f64 v[184:185], v[186:187], v[184:185], 1.0
	v_mul_f64 v[186:187], v[201:202], -v[184:185]
.LBB90_555:
	s_or_b32 exec_lo, exec_lo, s2
.LBB90_556:
	s_delay_alu instid0(SALU_CYCLE_1) | instskip(NEXT) | instid1(SALU_CYCLE_1)
	s_or_b32 exec_lo, exec_lo, s3
	s_mov_b32 s2, exec_lo
	v_cmpx_ne_u32_e64 v200, v192
	s_xor_b32 s2, exec_lo, s2
	s_cbranch_execz .LBB90_562
; %bb.557:
	s_mov_b32 s3, exec_lo
	v_cmpx_eq_u32_e32 26, v200
	s_cbranch_execz .LBB90_561
; %bb.558:
	v_cmp_ne_u32_e32 vcc_lo, 26, v192
	s_xor_b32 s6, s4, -1
	s_delay_alu instid0(SALU_CYCLE_1) | instskip(NEXT) | instid1(SALU_CYCLE_1)
	s_and_b32 s7, s6, vcc_lo
	s_and_saveexec_b32 s6, s7
	s_cbranch_execz .LBB90_560
; %bb.559:
	v_ashrrev_i32_e32 v193, 31, v192
	s_delay_alu instid0(VALU_DEP_1) | instskip(NEXT) | instid1(VALU_DEP_1)
	v_lshlrev_b64 v[200:201], 2, v[192:193]
	v_add_co_u32 v200, vcc_lo, v190, v200
	s_delay_alu instid0(VALU_DEP_2)
	v_add_co_ci_u32_e32 v201, vcc_lo, v191, v201, vcc_lo
	s_clause 0x1
	flat_load_b32 v193, v[200:201]
	flat_load_b32 v198, v[190:191] offset:104
	s_waitcnt vmcnt(1) lgkmcnt(1)
	flat_store_b32 v[190:191], v193 offset:104
	s_waitcnt vmcnt(0) lgkmcnt(1)
	flat_store_b32 v[200:201], v198
.LBB90_560:
	s_or_b32 exec_lo, exec_lo, s6
	v_mov_b32_e32 v200, v192
	v_mov_b32_e32 v198, v192
.LBB90_561:
	s_or_b32 exec_lo, exec_lo, s3
.LBB90_562:
	s_and_not1_saveexec_b32 s2, s2
	s_cbranch_execz .LBB90_564
; %bb.563:
	v_mov_b32_e32 v200, 26
	ds_store_2addr_b64 v194, v[72:73], v[74:75] offset0:54 offset1:55
	ds_store_2addr_b64 v194, v[68:69], v[70:71] offset0:56 offset1:57
	;; [unrolled: 1-line block ×19, first 2 shown]
.LBB90_564:
	s_or_b32 exec_lo, exec_lo, s2
	s_delay_alu instid0(SALU_CYCLE_1)
	s_mov_b32 s2, exec_lo
	s_waitcnt lgkmcnt(0)
	s_waitcnt_vscnt null, 0x0
	s_barrier
	buffer_gl0_inv
	v_cmpx_lt_i32_e32 26, v200
	s_cbranch_execz .LBB90_566
; %bb.565:
	v_mul_f64 v[192:193], v[186:187], v[78:79]
	v_mul_f64 v[78:79], v[184:185], v[78:79]
	s_delay_alu instid0(VALU_DEP_2) | instskip(NEXT) | instid1(VALU_DEP_2)
	v_fma_f64 v[192:193], v[184:185], v[76:77], -v[192:193]
	v_fma_f64 v[78:79], v[186:187], v[76:77], v[78:79]
	ds_load_2addr_b64 v[184:187], v194 offset0:54 offset1:55
	s_waitcnt lgkmcnt(0)
	v_mul_f64 v[76:77], v[186:187], v[78:79]
	s_delay_alu instid0(VALU_DEP_1) | instskip(SKIP_1) | instid1(VALU_DEP_2)
	v_fma_f64 v[76:77], v[184:185], v[192:193], -v[76:77]
	v_mul_f64 v[184:185], v[184:185], v[78:79]
	v_add_f64 v[72:73], v[72:73], -v[76:77]
	s_delay_alu instid0(VALU_DEP_2) | instskip(NEXT) | instid1(VALU_DEP_1)
	v_fma_f64 v[184:185], v[186:187], v[192:193], v[184:185]
	v_add_f64 v[74:75], v[74:75], -v[184:185]
	ds_load_2addr_b64 v[184:187], v194 offset0:56 offset1:57
	s_waitcnt lgkmcnt(0)
	v_mul_f64 v[76:77], v[186:187], v[78:79]
	s_delay_alu instid0(VALU_DEP_1) | instskip(SKIP_1) | instid1(VALU_DEP_2)
	v_fma_f64 v[76:77], v[184:185], v[192:193], -v[76:77]
	v_mul_f64 v[184:185], v[184:185], v[78:79]
	v_add_f64 v[68:69], v[68:69], -v[76:77]
	s_delay_alu instid0(VALU_DEP_2) | instskip(NEXT) | instid1(VALU_DEP_1)
	v_fma_f64 v[184:185], v[186:187], v[192:193], v[184:185]
	v_add_f64 v[70:71], v[70:71], -v[184:185]
	;; [unrolled: 10-line block ×18, first 2 shown]
	ds_load_2addr_b64 v[184:187], v194 offset0:90 offset1:91
	s_waitcnt lgkmcnt(0)
	v_mul_f64 v[76:77], v[186:187], v[78:79]
	s_delay_alu instid0(VALU_DEP_1) | instskip(SKIP_1) | instid1(VALU_DEP_2)
	v_fma_f64 v[76:77], v[184:185], v[192:193], -v[76:77]
	v_mul_f64 v[184:185], v[184:185], v[78:79]
	v_add_f64 v[0:1], v[0:1], -v[76:77]
	s_delay_alu instid0(VALU_DEP_2) | instskip(SKIP_1) | instid1(VALU_DEP_2)
	v_fma_f64 v[184:185], v[186:187], v[192:193], v[184:185]
	v_dual_mov_b32 v76, v192 :: v_dual_mov_b32 v77, v193
	v_add_f64 v[2:3], v[2:3], -v[184:185]
.LBB90_566:
	s_or_b32 exec_lo, exec_lo, s2
	v_lshl_add_u32 v184, v200, 4, v194
	s_barrier
	buffer_gl0_inv
	v_mov_b32_e32 v192, 27
	ds_store_2addr_b64 v184, v[72:73], v[74:75] offset1:1
	s_waitcnt lgkmcnt(0)
	s_barrier
	buffer_gl0_inv
	ds_load_2addr_b64 v[184:187], v194 offset0:54 offset1:55
	s_cmp_lt_i32 s5, 29
	s_cbranch_scc1 .LBB90_569
; %bb.567:
	v_add3_u32 v193, v199, 0, 0x1c0
	v_mov_b32_e32 v192, 27
	s_mov_b32 s6, 28
	s_set_inst_prefetch_distance 0x1
	.p2align	6
.LBB90_568:                             ; =>This Inner Loop Header: Depth=1
	ds_load_2addr_b64 v[201:204], v193 offset1:1
	s_waitcnt lgkmcnt(1)
	v_cmp_gt_f64_e32 vcc_lo, 0, v[184:185]
	v_xor_b32_e32 v205, 0x80000000, v185
	v_cmp_gt_f64_e64 s2, 0, v[186:187]
	v_xor_b32_e32 v207, 0x80000000, v187
	v_add_nc_u32_e32 v193, 16, v193
	s_waitcnt lgkmcnt(0)
	v_cmp_gt_f64_e64 s3, 0, v[201:202]
	v_mov_b32_e32 v209, v201
	v_dual_mov_b32 v211, v203 :: v_dual_cndmask_b32 v206, v185, v205
	v_xor_b32_e32 v205, 0x80000000, v202
	v_cndmask_b32_e64 v208, v187, v207, s2
	v_xor_b32_e32 v207, 0x80000000, v204
	s_delay_alu instid0(VALU_DEP_3) | instskip(SKIP_2) | instid1(VALU_DEP_2)
	v_cndmask_b32_e64 v210, v202, v205, s3
	v_cmp_gt_f64_e64 s3, 0, v[203:204]
	v_cndmask_b32_e32 v205, v184, v184, vcc_lo
	v_cndmask_b32_e64 v212, v204, v207, s3
	v_cndmask_b32_e64 v207, v186, v186, s2
	s_delay_alu instid0(VALU_DEP_2) | instskip(NEXT) | instid1(VALU_DEP_2)
	v_add_f64 v[209:210], v[209:210], v[211:212]
	v_add_f64 v[205:206], v[205:206], v[207:208]
	s_delay_alu instid0(VALU_DEP_1) | instskip(SKIP_4) | instid1(SALU_CYCLE_1)
	v_cmp_lt_f64_e32 vcc_lo, v[205:206], v[209:210]
	v_dual_cndmask_b32 v186, v186, v203 :: v_dual_cndmask_b32 v185, v185, v202
	v_dual_cndmask_b32 v184, v184, v201 :: v_dual_cndmask_b32 v187, v187, v204
	v_cndmask_b32_e64 v192, v192, s6, vcc_lo
	s_add_i32 s6, s6, 1
	s_cmp_lg_u32 s5, s6
	s_cbranch_scc1 .LBB90_568
.LBB90_569:
	s_set_inst_prefetch_distance 0x2
	s_waitcnt lgkmcnt(0)
	v_cmp_eq_f64_e32 vcc_lo, 0, v[184:185]
	v_cmp_eq_f64_e64 s2, 0, v[186:187]
	s_delay_alu instid0(VALU_DEP_1) | instskip(NEXT) | instid1(SALU_CYCLE_1)
	s_and_b32 s2, vcc_lo, s2
	s_and_saveexec_b32 s3, s2
	s_delay_alu instid0(SALU_CYCLE_1)
	s_xor_b32 s2, exec_lo, s3
; %bb.570:
	v_cmp_ne_u32_e32 vcc_lo, 0, v197
	v_cndmask_b32_e32 v197, 28, v197, vcc_lo
; %bb.571:
	s_and_not1_saveexec_b32 s3, s2
	s_cbranch_execz .LBB90_577
; %bb.572:
	v_cmp_gt_f64_e32 vcc_lo, 0, v[184:185]
	v_cmp_gt_f64_e64 s2, 0, v[186:187]
	v_xor_b32_e32 v193, 0x80000000, v185
	v_xor_b32_e32 v201, 0x80000000, v187
	s_delay_alu instid0(VALU_DEP_2) | instskip(NEXT) | instid1(VALU_DEP_2)
	v_cndmask_b32_e32 v202, v185, v193, vcc_lo
	v_cndmask_b32_e64 v204, v187, v201, s2
	v_cndmask_b32_e32 v201, v184, v184, vcc_lo
	v_cndmask_b32_e64 v203, v186, v186, s2
	s_mov_b32 s2, exec_lo
	s_delay_alu instid0(VALU_DEP_1)
	v_cmpx_ngt_f64_e32 v[201:202], v[203:204]
	s_xor_b32 s2, exec_lo, s2
	s_cbranch_execz .LBB90_574
; %bb.573:
	v_div_scale_f64 v[201:202], null, v[186:187], v[186:187], v[184:185]
	v_div_scale_f64 v[207:208], vcc_lo, v[184:185], v[186:187], v[184:185]
	s_delay_alu instid0(VALU_DEP_2) | instskip(SKIP_2) | instid1(VALU_DEP_1)
	v_rcp_f64_e32 v[203:204], v[201:202]
	s_waitcnt_depctr 0xfff
	v_fma_f64 v[205:206], -v[201:202], v[203:204], 1.0
	v_fma_f64 v[203:204], v[203:204], v[205:206], v[203:204]
	s_delay_alu instid0(VALU_DEP_1) | instskip(NEXT) | instid1(VALU_DEP_1)
	v_fma_f64 v[205:206], -v[201:202], v[203:204], 1.0
	v_fma_f64 v[203:204], v[203:204], v[205:206], v[203:204]
	s_delay_alu instid0(VALU_DEP_1) | instskip(NEXT) | instid1(VALU_DEP_1)
	v_mul_f64 v[205:206], v[207:208], v[203:204]
	v_fma_f64 v[201:202], -v[201:202], v[205:206], v[207:208]
	s_delay_alu instid0(VALU_DEP_1) | instskip(NEXT) | instid1(VALU_DEP_1)
	v_div_fmas_f64 v[201:202], v[201:202], v[203:204], v[205:206]
	v_div_fixup_f64 v[201:202], v[201:202], v[186:187], v[184:185]
	s_delay_alu instid0(VALU_DEP_1) | instskip(NEXT) | instid1(VALU_DEP_1)
	v_fma_f64 v[184:185], v[184:185], v[201:202], v[186:187]
	v_div_scale_f64 v[186:187], null, v[184:185], v[184:185], 1.0
	s_delay_alu instid0(VALU_DEP_1) | instskip(SKIP_2) | instid1(VALU_DEP_1)
	v_rcp_f64_e32 v[203:204], v[186:187]
	s_waitcnt_depctr 0xfff
	v_fma_f64 v[205:206], -v[186:187], v[203:204], 1.0
	v_fma_f64 v[203:204], v[203:204], v[205:206], v[203:204]
	s_delay_alu instid0(VALU_DEP_1) | instskip(NEXT) | instid1(VALU_DEP_1)
	v_fma_f64 v[205:206], -v[186:187], v[203:204], 1.0
	v_fma_f64 v[203:204], v[203:204], v[205:206], v[203:204]
	v_div_scale_f64 v[205:206], vcc_lo, 1.0, v[184:185], 1.0
	s_delay_alu instid0(VALU_DEP_1) | instskip(NEXT) | instid1(VALU_DEP_1)
	v_mul_f64 v[207:208], v[205:206], v[203:204]
	v_fma_f64 v[186:187], -v[186:187], v[207:208], v[205:206]
	s_delay_alu instid0(VALU_DEP_1) | instskip(NEXT) | instid1(VALU_DEP_1)
	v_div_fmas_f64 v[186:187], v[186:187], v[203:204], v[207:208]
	v_div_fixup_f64 v[186:187], v[186:187], v[184:185], 1.0
	s_delay_alu instid0(VALU_DEP_1)
	v_mul_f64 v[184:185], v[201:202], v[186:187]
	v_xor_b32_e32 v187, 0x80000000, v187
.LBB90_574:
	s_and_not1_saveexec_b32 s2, s2
	s_cbranch_execz .LBB90_576
; %bb.575:
	s_delay_alu instid0(VALU_DEP_1) | instskip(SKIP_1) | instid1(VALU_DEP_2)
	v_div_scale_f64 v[201:202], null, v[184:185], v[184:185], v[186:187]
	v_div_scale_f64 v[207:208], vcc_lo, v[186:187], v[184:185], v[186:187]
	v_rcp_f64_e32 v[203:204], v[201:202]
	s_waitcnt_depctr 0xfff
	v_fma_f64 v[205:206], -v[201:202], v[203:204], 1.0
	s_delay_alu instid0(VALU_DEP_1) | instskip(NEXT) | instid1(VALU_DEP_1)
	v_fma_f64 v[203:204], v[203:204], v[205:206], v[203:204]
	v_fma_f64 v[205:206], -v[201:202], v[203:204], 1.0
	s_delay_alu instid0(VALU_DEP_1) | instskip(NEXT) | instid1(VALU_DEP_1)
	v_fma_f64 v[203:204], v[203:204], v[205:206], v[203:204]
	v_mul_f64 v[205:206], v[207:208], v[203:204]
	s_delay_alu instid0(VALU_DEP_1) | instskip(NEXT) | instid1(VALU_DEP_1)
	v_fma_f64 v[201:202], -v[201:202], v[205:206], v[207:208]
	v_div_fmas_f64 v[201:202], v[201:202], v[203:204], v[205:206]
	s_delay_alu instid0(VALU_DEP_1) | instskip(NEXT) | instid1(VALU_DEP_1)
	v_div_fixup_f64 v[201:202], v[201:202], v[184:185], v[186:187]
	v_fma_f64 v[184:185], v[186:187], v[201:202], v[184:185]
	s_delay_alu instid0(VALU_DEP_1) | instskip(NEXT) | instid1(VALU_DEP_1)
	v_div_scale_f64 v[186:187], null, v[184:185], v[184:185], 1.0
	v_rcp_f64_e32 v[203:204], v[186:187]
	s_waitcnt_depctr 0xfff
	v_fma_f64 v[205:206], -v[186:187], v[203:204], 1.0
	s_delay_alu instid0(VALU_DEP_1) | instskip(NEXT) | instid1(VALU_DEP_1)
	v_fma_f64 v[203:204], v[203:204], v[205:206], v[203:204]
	v_fma_f64 v[205:206], -v[186:187], v[203:204], 1.0
	s_delay_alu instid0(VALU_DEP_1) | instskip(SKIP_1) | instid1(VALU_DEP_1)
	v_fma_f64 v[203:204], v[203:204], v[205:206], v[203:204]
	v_div_scale_f64 v[205:206], vcc_lo, 1.0, v[184:185], 1.0
	v_mul_f64 v[207:208], v[205:206], v[203:204]
	s_delay_alu instid0(VALU_DEP_1) | instskip(NEXT) | instid1(VALU_DEP_1)
	v_fma_f64 v[186:187], -v[186:187], v[207:208], v[205:206]
	v_div_fmas_f64 v[186:187], v[186:187], v[203:204], v[207:208]
	s_delay_alu instid0(VALU_DEP_1) | instskip(NEXT) | instid1(VALU_DEP_1)
	v_div_fixup_f64 v[184:185], v[186:187], v[184:185], 1.0
	v_mul_f64 v[186:187], v[201:202], -v[184:185]
.LBB90_576:
	s_or_b32 exec_lo, exec_lo, s2
.LBB90_577:
	s_delay_alu instid0(SALU_CYCLE_1) | instskip(NEXT) | instid1(SALU_CYCLE_1)
	s_or_b32 exec_lo, exec_lo, s3
	s_mov_b32 s2, exec_lo
	v_cmpx_ne_u32_e64 v200, v192
	s_xor_b32 s2, exec_lo, s2
	s_cbranch_execz .LBB90_583
; %bb.578:
	s_mov_b32 s3, exec_lo
	v_cmpx_eq_u32_e32 27, v200
	s_cbranch_execz .LBB90_582
; %bb.579:
	v_cmp_ne_u32_e32 vcc_lo, 27, v192
	s_xor_b32 s6, s4, -1
	s_delay_alu instid0(SALU_CYCLE_1) | instskip(NEXT) | instid1(SALU_CYCLE_1)
	s_and_b32 s7, s6, vcc_lo
	s_and_saveexec_b32 s6, s7
	s_cbranch_execz .LBB90_581
; %bb.580:
	v_ashrrev_i32_e32 v193, 31, v192
	s_delay_alu instid0(VALU_DEP_1) | instskip(NEXT) | instid1(VALU_DEP_1)
	v_lshlrev_b64 v[200:201], 2, v[192:193]
	v_add_co_u32 v200, vcc_lo, v190, v200
	s_delay_alu instid0(VALU_DEP_2)
	v_add_co_ci_u32_e32 v201, vcc_lo, v191, v201, vcc_lo
	s_clause 0x1
	flat_load_b32 v193, v[200:201]
	flat_load_b32 v198, v[190:191] offset:108
	s_waitcnt vmcnt(1) lgkmcnt(1)
	flat_store_b32 v[190:191], v193 offset:108
	s_waitcnt vmcnt(0) lgkmcnt(1)
	flat_store_b32 v[200:201], v198
.LBB90_581:
	s_or_b32 exec_lo, exec_lo, s6
	v_mov_b32_e32 v200, v192
	v_mov_b32_e32 v198, v192
.LBB90_582:
	s_or_b32 exec_lo, exec_lo, s3
.LBB90_583:
	s_and_not1_saveexec_b32 s2, s2
	s_cbranch_execz .LBB90_585
; %bb.584:
	v_mov_b32_e32 v200, 27
	ds_store_2addr_b64 v194, v[68:69], v[70:71] offset0:56 offset1:57
	ds_store_2addr_b64 v194, v[64:65], v[66:67] offset0:58 offset1:59
	;; [unrolled: 1-line block ×18, first 2 shown]
.LBB90_585:
	s_or_b32 exec_lo, exec_lo, s2
	s_delay_alu instid0(SALU_CYCLE_1)
	s_mov_b32 s2, exec_lo
	s_waitcnt lgkmcnt(0)
	s_waitcnt_vscnt null, 0x0
	s_barrier
	buffer_gl0_inv
	v_cmpx_lt_i32_e32 27, v200
	s_cbranch_execz .LBB90_587
; %bb.586:
	v_mul_f64 v[192:193], v[186:187], v[74:75]
	v_mul_f64 v[74:75], v[184:185], v[74:75]
	s_delay_alu instid0(VALU_DEP_2) | instskip(NEXT) | instid1(VALU_DEP_2)
	v_fma_f64 v[192:193], v[184:185], v[72:73], -v[192:193]
	v_fma_f64 v[74:75], v[186:187], v[72:73], v[74:75]
	ds_load_2addr_b64 v[184:187], v194 offset0:56 offset1:57
	s_waitcnt lgkmcnt(0)
	v_mul_f64 v[72:73], v[186:187], v[74:75]
	s_delay_alu instid0(VALU_DEP_1) | instskip(SKIP_1) | instid1(VALU_DEP_2)
	v_fma_f64 v[72:73], v[184:185], v[192:193], -v[72:73]
	v_mul_f64 v[184:185], v[184:185], v[74:75]
	v_add_f64 v[68:69], v[68:69], -v[72:73]
	s_delay_alu instid0(VALU_DEP_2) | instskip(NEXT) | instid1(VALU_DEP_1)
	v_fma_f64 v[184:185], v[186:187], v[192:193], v[184:185]
	v_add_f64 v[70:71], v[70:71], -v[184:185]
	ds_load_2addr_b64 v[184:187], v194 offset0:58 offset1:59
	s_waitcnt lgkmcnt(0)
	v_mul_f64 v[72:73], v[186:187], v[74:75]
	s_delay_alu instid0(VALU_DEP_1) | instskip(SKIP_1) | instid1(VALU_DEP_2)
	v_fma_f64 v[72:73], v[184:185], v[192:193], -v[72:73]
	v_mul_f64 v[184:185], v[184:185], v[74:75]
	v_add_f64 v[64:65], v[64:65], -v[72:73]
	s_delay_alu instid0(VALU_DEP_2) | instskip(NEXT) | instid1(VALU_DEP_1)
	v_fma_f64 v[184:185], v[186:187], v[192:193], v[184:185]
	v_add_f64 v[66:67], v[66:67], -v[184:185]
	;; [unrolled: 10-line block ×17, first 2 shown]
	ds_load_2addr_b64 v[184:187], v194 offset0:90 offset1:91
	s_waitcnt lgkmcnt(0)
	v_mul_f64 v[72:73], v[186:187], v[74:75]
	s_delay_alu instid0(VALU_DEP_1) | instskip(SKIP_1) | instid1(VALU_DEP_2)
	v_fma_f64 v[72:73], v[184:185], v[192:193], -v[72:73]
	v_mul_f64 v[184:185], v[184:185], v[74:75]
	v_add_f64 v[0:1], v[0:1], -v[72:73]
	s_delay_alu instid0(VALU_DEP_2) | instskip(SKIP_1) | instid1(VALU_DEP_2)
	v_fma_f64 v[184:185], v[186:187], v[192:193], v[184:185]
	v_dual_mov_b32 v72, v192 :: v_dual_mov_b32 v73, v193
	v_add_f64 v[2:3], v[2:3], -v[184:185]
.LBB90_587:
	s_or_b32 exec_lo, exec_lo, s2
	v_lshl_add_u32 v184, v200, 4, v194
	s_barrier
	buffer_gl0_inv
	v_mov_b32_e32 v192, 28
	ds_store_2addr_b64 v184, v[68:69], v[70:71] offset1:1
	s_waitcnt lgkmcnt(0)
	s_barrier
	buffer_gl0_inv
	ds_load_2addr_b64 v[184:187], v194 offset0:56 offset1:57
	s_cmp_lt_i32 s5, 30
	s_cbranch_scc1 .LBB90_590
; %bb.588:
	v_add3_u32 v193, v199, 0, 0x1d0
	v_mov_b32_e32 v192, 28
	s_mov_b32 s6, 29
	s_set_inst_prefetch_distance 0x1
	.p2align	6
.LBB90_589:                             ; =>This Inner Loop Header: Depth=1
	ds_load_2addr_b64 v[201:204], v193 offset1:1
	s_waitcnt lgkmcnt(1)
	v_cmp_gt_f64_e32 vcc_lo, 0, v[184:185]
	v_xor_b32_e32 v205, 0x80000000, v185
	v_cmp_gt_f64_e64 s2, 0, v[186:187]
	v_xor_b32_e32 v207, 0x80000000, v187
	v_add_nc_u32_e32 v193, 16, v193
	s_waitcnt lgkmcnt(0)
	v_cmp_gt_f64_e64 s3, 0, v[201:202]
	v_mov_b32_e32 v209, v201
	v_dual_mov_b32 v211, v203 :: v_dual_cndmask_b32 v206, v185, v205
	v_xor_b32_e32 v205, 0x80000000, v202
	v_cndmask_b32_e64 v208, v187, v207, s2
	v_xor_b32_e32 v207, 0x80000000, v204
	s_delay_alu instid0(VALU_DEP_3) | instskip(SKIP_2) | instid1(VALU_DEP_2)
	v_cndmask_b32_e64 v210, v202, v205, s3
	v_cmp_gt_f64_e64 s3, 0, v[203:204]
	v_cndmask_b32_e32 v205, v184, v184, vcc_lo
	v_cndmask_b32_e64 v212, v204, v207, s3
	v_cndmask_b32_e64 v207, v186, v186, s2
	s_delay_alu instid0(VALU_DEP_2) | instskip(NEXT) | instid1(VALU_DEP_2)
	v_add_f64 v[209:210], v[209:210], v[211:212]
	v_add_f64 v[205:206], v[205:206], v[207:208]
	s_delay_alu instid0(VALU_DEP_1) | instskip(SKIP_4) | instid1(SALU_CYCLE_1)
	v_cmp_lt_f64_e32 vcc_lo, v[205:206], v[209:210]
	v_dual_cndmask_b32 v186, v186, v203 :: v_dual_cndmask_b32 v185, v185, v202
	v_dual_cndmask_b32 v184, v184, v201 :: v_dual_cndmask_b32 v187, v187, v204
	v_cndmask_b32_e64 v192, v192, s6, vcc_lo
	s_add_i32 s6, s6, 1
	s_cmp_lg_u32 s5, s6
	s_cbranch_scc1 .LBB90_589
.LBB90_590:
	s_set_inst_prefetch_distance 0x2
	s_waitcnt lgkmcnt(0)
	v_cmp_eq_f64_e32 vcc_lo, 0, v[184:185]
	v_cmp_eq_f64_e64 s2, 0, v[186:187]
	s_delay_alu instid0(VALU_DEP_1) | instskip(NEXT) | instid1(SALU_CYCLE_1)
	s_and_b32 s2, vcc_lo, s2
	s_and_saveexec_b32 s3, s2
	s_delay_alu instid0(SALU_CYCLE_1)
	s_xor_b32 s2, exec_lo, s3
; %bb.591:
	v_cmp_ne_u32_e32 vcc_lo, 0, v197
	v_cndmask_b32_e32 v197, 29, v197, vcc_lo
; %bb.592:
	s_and_not1_saveexec_b32 s3, s2
	s_cbranch_execz .LBB90_598
; %bb.593:
	v_cmp_gt_f64_e32 vcc_lo, 0, v[184:185]
	v_cmp_gt_f64_e64 s2, 0, v[186:187]
	v_xor_b32_e32 v193, 0x80000000, v185
	v_xor_b32_e32 v201, 0x80000000, v187
	s_delay_alu instid0(VALU_DEP_2) | instskip(NEXT) | instid1(VALU_DEP_2)
	v_cndmask_b32_e32 v202, v185, v193, vcc_lo
	v_cndmask_b32_e64 v204, v187, v201, s2
	v_cndmask_b32_e32 v201, v184, v184, vcc_lo
	v_cndmask_b32_e64 v203, v186, v186, s2
	s_mov_b32 s2, exec_lo
	s_delay_alu instid0(VALU_DEP_1)
	v_cmpx_ngt_f64_e32 v[201:202], v[203:204]
	s_xor_b32 s2, exec_lo, s2
	s_cbranch_execz .LBB90_595
; %bb.594:
	v_div_scale_f64 v[201:202], null, v[186:187], v[186:187], v[184:185]
	v_div_scale_f64 v[207:208], vcc_lo, v[184:185], v[186:187], v[184:185]
	s_delay_alu instid0(VALU_DEP_2) | instskip(SKIP_2) | instid1(VALU_DEP_1)
	v_rcp_f64_e32 v[203:204], v[201:202]
	s_waitcnt_depctr 0xfff
	v_fma_f64 v[205:206], -v[201:202], v[203:204], 1.0
	v_fma_f64 v[203:204], v[203:204], v[205:206], v[203:204]
	s_delay_alu instid0(VALU_DEP_1) | instskip(NEXT) | instid1(VALU_DEP_1)
	v_fma_f64 v[205:206], -v[201:202], v[203:204], 1.0
	v_fma_f64 v[203:204], v[203:204], v[205:206], v[203:204]
	s_delay_alu instid0(VALU_DEP_1) | instskip(NEXT) | instid1(VALU_DEP_1)
	v_mul_f64 v[205:206], v[207:208], v[203:204]
	v_fma_f64 v[201:202], -v[201:202], v[205:206], v[207:208]
	s_delay_alu instid0(VALU_DEP_1) | instskip(NEXT) | instid1(VALU_DEP_1)
	v_div_fmas_f64 v[201:202], v[201:202], v[203:204], v[205:206]
	v_div_fixup_f64 v[201:202], v[201:202], v[186:187], v[184:185]
	s_delay_alu instid0(VALU_DEP_1) | instskip(NEXT) | instid1(VALU_DEP_1)
	v_fma_f64 v[184:185], v[184:185], v[201:202], v[186:187]
	v_div_scale_f64 v[186:187], null, v[184:185], v[184:185], 1.0
	s_delay_alu instid0(VALU_DEP_1) | instskip(SKIP_2) | instid1(VALU_DEP_1)
	v_rcp_f64_e32 v[203:204], v[186:187]
	s_waitcnt_depctr 0xfff
	v_fma_f64 v[205:206], -v[186:187], v[203:204], 1.0
	v_fma_f64 v[203:204], v[203:204], v[205:206], v[203:204]
	s_delay_alu instid0(VALU_DEP_1) | instskip(NEXT) | instid1(VALU_DEP_1)
	v_fma_f64 v[205:206], -v[186:187], v[203:204], 1.0
	v_fma_f64 v[203:204], v[203:204], v[205:206], v[203:204]
	v_div_scale_f64 v[205:206], vcc_lo, 1.0, v[184:185], 1.0
	s_delay_alu instid0(VALU_DEP_1) | instskip(NEXT) | instid1(VALU_DEP_1)
	v_mul_f64 v[207:208], v[205:206], v[203:204]
	v_fma_f64 v[186:187], -v[186:187], v[207:208], v[205:206]
	s_delay_alu instid0(VALU_DEP_1) | instskip(NEXT) | instid1(VALU_DEP_1)
	v_div_fmas_f64 v[186:187], v[186:187], v[203:204], v[207:208]
	v_div_fixup_f64 v[186:187], v[186:187], v[184:185], 1.0
	s_delay_alu instid0(VALU_DEP_1)
	v_mul_f64 v[184:185], v[201:202], v[186:187]
	v_xor_b32_e32 v187, 0x80000000, v187
.LBB90_595:
	s_and_not1_saveexec_b32 s2, s2
	s_cbranch_execz .LBB90_597
; %bb.596:
	s_delay_alu instid0(VALU_DEP_1) | instskip(SKIP_1) | instid1(VALU_DEP_2)
	v_div_scale_f64 v[201:202], null, v[184:185], v[184:185], v[186:187]
	v_div_scale_f64 v[207:208], vcc_lo, v[186:187], v[184:185], v[186:187]
	v_rcp_f64_e32 v[203:204], v[201:202]
	s_waitcnt_depctr 0xfff
	v_fma_f64 v[205:206], -v[201:202], v[203:204], 1.0
	s_delay_alu instid0(VALU_DEP_1) | instskip(NEXT) | instid1(VALU_DEP_1)
	v_fma_f64 v[203:204], v[203:204], v[205:206], v[203:204]
	v_fma_f64 v[205:206], -v[201:202], v[203:204], 1.0
	s_delay_alu instid0(VALU_DEP_1) | instskip(NEXT) | instid1(VALU_DEP_1)
	v_fma_f64 v[203:204], v[203:204], v[205:206], v[203:204]
	v_mul_f64 v[205:206], v[207:208], v[203:204]
	s_delay_alu instid0(VALU_DEP_1) | instskip(NEXT) | instid1(VALU_DEP_1)
	v_fma_f64 v[201:202], -v[201:202], v[205:206], v[207:208]
	v_div_fmas_f64 v[201:202], v[201:202], v[203:204], v[205:206]
	s_delay_alu instid0(VALU_DEP_1) | instskip(NEXT) | instid1(VALU_DEP_1)
	v_div_fixup_f64 v[201:202], v[201:202], v[184:185], v[186:187]
	v_fma_f64 v[184:185], v[186:187], v[201:202], v[184:185]
	s_delay_alu instid0(VALU_DEP_1) | instskip(NEXT) | instid1(VALU_DEP_1)
	v_div_scale_f64 v[186:187], null, v[184:185], v[184:185], 1.0
	v_rcp_f64_e32 v[203:204], v[186:187]
	s_waitcnt_depctr 0xfff
	v_fma_f64 v[205:206], -v[186:187], v[203:204], 1.0
	s_delay_alu instid0(VALU_DEP_1) | instskip(NEXT) | instid1(VALU_DEP_1)
	v_fma_f64 v[203:204], v[203:204], v[205:206], v[203:204]
	v_fma_f64 v[205:206], -v[186:187], v[203:204], 1.0
	s_delay_alu instid0(VALU_DEP_1) | instskip(SKIP_1) | instid1(VALU_DEP_1)
	v_fma_f64 v[203:204], v[203:204], v[205:206], v[203:204]
	v_div_scale_f64 v[205:206], vcc_lo, 1.0, v[184:185], 1.0
	v_mul_f64 v[207:208], v[205:206], v[203:204]
	s_delay_alu instid0(VALU_DEP_1) | instskip(NEXT) | instid1(VALU_DEP_1)
	v_fma_f64 v[186:187], -v[186:187], v[207:208], v[205:206]
	v_div_fmas_f64 v[186:187], v[186:187], v[203:204], v[207:208]
	s_delay_alu instid0(VALU_DEP_1) | instskip(NEXT) | instid1(VALU_DEP_1)
	v_div_fixup_f64 v[184:185], v[186:187], v[184:185], 1.0
	v_mul_f64 v[186:187], v[201:202], -v[184:185]
.LBB90_597:
	s_or_b32 exec_lo, exec_lo, s2
.LBB90_598:
	s_delay_alu instid0(SALU_CYCLE_1) | instskip(NEXT) | instid1(SALU_CYCLE_1)
	s_or_b32 exec_lo, exec_lo, s3
	s_mov_b32 s2, exec_lo
	v_cmpx_ne_u32_e64 v200, v192
	s_xor_b32 s2, exec_lo, s2
	s_cbranch_execz .LBB90_604
; %bb.599:
	s_mov_b32 s3, exec_lo
	v_cmpx_eq_u32_e32 28, v200
	s_cbranch_execz .LBB90_603
; %bb.600:
	v_cmp_ne_u32_e32 vcc_lo, 28, v192
	s_xor_b32 s6, s4, -1
	s_delay_alu instid0(SALU_CYCLE_1) | instskip(NEXT) | instid1(SALU_CYCLE_1)
	s_and_b32 s7, s6, vcc_lo
	s_and_saveexec_b32 s6, s7
	s_cbranch_execz .LBB90_602
; %bb.601:
	v_ashrrev_i32_e32 v193, 31, v192
	s_delay_alu instid0(VALU_DEP_1) | instskip(NEXT) | instid1(VALU_DEP_1)
	v_lshlrev_b64 v[200:201], 2, v[192:193]
	v_add_co_u32 v200, vcc_lo, v190, v200
	s_delay_alu instid0(VALU_DEP_2)
	v_add_co_ci_u32_e32 v201, vcc_lo, v191, v201, vcc_lo
	s_clause 0x1
	flat_load_b32 v193, v[200:201]
	flat_load_b32 v198, v[190:191] offset:112
	s_waitcnt vmcnt(1) lgkmcnt(1)
	flat_store_b32 v[190:191], v193 offset:112
	s_waitcnt vmcnt(0) lgkmcnt(1)
	flat_store_b32 v[200:201], v198
.LBB90_602:
	s_or_b32 exec_lo, exec_lo, s6
	v_mov_b32_e32 v200, v192
	v_mov_b32_e32 v198, v192
.LBB90_603:
	s_or_b32 exec_lo, exec_lo, s3
.LBB90_604:
	s_and_not1_saveexec_b32 s2, s2
	s_cbranch_execz .LBB90_606
; %bb.605:
	v_mov_b32_e32 v200, 28
	ds_store_2addr_b64 v194, v[64:65], v[66:67] offset0:58 offset1:59
	ds_store_2addr_b64 v194, v[60:61], v[62:63] offset0:60 offset1:61
	;; [unrolled: 1-line block ×17, first 2 shown]
.LBB90_606:
	s_or_b32 exec_lo, exec_lo, s2
	s_delay_alu instid0(SALU_CYCLE_1)
	s_mov_b32 s2, exec_lo
	s_waitcnt lgkmcnt(0)
	s_waitcnt_vscnt null, 0x0
	s_barrier
	buffer_gl0_inv
	v_cmpx_lt_i32_e32 28, v200
	s_cbranch_execz .LBB90_608
; %bb.607:
	v_mul_f64 v[192:193], v[186:187], v[70:71]
	v_mul_f64 v[70:71], v[184:185], v[70:71]
	s_delay_alu instid0(VALU_DEP_2) | instskip(NEXT) | instid1(VALU_DEP_2)
	v_fma_f64 v[192:193], v[184:185], v[68:69], -v[192:193]
	v_fma_f64 v[70:71], v[186:187], v[68:69], v[70:71]
	ds_load_2addr_b64 v[184:187], v194 offset0:58 offset1:59
	s_waitcnt lgkmcnt(0)
	v_mul_f64 v[68:69], v[186:187], v[70:71]
	s_delay_alu instid0(VALU_DEP_1) | instskip(SKIP_1) | instid1(VALU_DEP_2)
	v_fma_f64 v[68:69], v[184:185], v[192:193], -v[68:69]
	v_mul_f64 v[184:185], v[184:185], v[70:71]
	v_add_f64 v[64:65], v[64:65], -v[68:69]
	s_delay_alu instid0(VALU_DEP_2) | instskip(NEXT) | instid1(VALU_DEP_1)
	v_fma_f64 v[184:185], v[186:187], v[192:193], v[184:185]
	v_add_f64 v[66:67], v[66:67], -v[184:185]
	ds_load_2addr_b64 v[184:187], v194 offset0:60 offset1:61
	s_waitcnt lgkmcnt(0)
	v_mul_f64 v[68:69], v[186:187], v[70:71]
	s_delay_alu instid0(VALU_DEP_1) | instskip(SKIP_1) | instid1(VALU_DEP_2)
	v_fma_f64 v[68:69], v[184:185], v[192:193], -v[68:69]
	v_mul_f64 v[184:185], v[184:185], v[70:71]
	v_add_f64 v[60:61], v[60:61], -v[68:69]
	s_delay_alu instid0(VALU_DEP_2) | instskip(NEXT) | instid1(VALU_DEP_1)
	v_fma_f64 v[184:185], v[186:187], v[192:193], v[184:185]
	v_add_f64 v[62:63], v[62:63], -v[184:185]
	;; [unrolled: 10-line block ×16, first 2 shown]
	ds_load_2addr_b64 v[184:187], v194 offset0:90 offset1:91
	s_waitcnt lgkmcnt(0)
	v_mul_f64 v[68:69], v[186:187], v[70:71]
	s_delay_alu instid0(VALU_DEP_1) | instskip(SKIP_1) | instid1(VALU_DEP_2)
	v_fma_f64 v[68:69], v[184:185], v[192:193], -v[68:69]
	v_mul_f64 v[184:185], v[184:185], v[70:71]
	v_add_f64 v[0:1], v[0:1], -v[68:69]
	s_delay_alu instid0(VALU_DEP_2) | instskip(SKIP_1) | instid1(VALU_DEP_2)
	v_fma_f64 v[184:185], v[186:187], v[192:193], v[184:185]
	v_dual_mov_b32 v68, v192 :: v_dual_mov_b32 v69, v193
	v_add_f64 v[2:3], v[2:3], -v[184:185]
.LBB90_608:
	s_or_b32 exec_lo, exec_lo, s2
	v_lshl_add_u32 v184, v200, 4, v194
	s_barrier
	buffer_gl0_inv
	v_mov_b32_e32 v192, 29
	ds_store_2addr_b64 v184, v[64:65], v[66:67] offset1:1
	s_waitcnt lgkmcnt(0)
	s_barrier
	buffer_gl0_inv
	ds_load_2addr_b64 v[184:187], v194 offset0:58 offset1:59
	s_cmp_lt_i32 s5, 31
	s_cbranch_scc1 .LBB90_611
; %bb.609:
	v_add3_u32 v193, v199, 0, 0x1e0
	v_mov_b32_e32 v192, 29
	s_mov_b32 s6, 30
	s_set_inst_prefetch_distance 0x1
	.p2align	6
.LBB90_610:                             ; =>This Inner Loop Header: Depth=1
	ds_load_2addr_b64 v[201:204], v193 offset1:1
	s_waitcnt lgkmcnt(1)
	v_cmp_gt_f64_e32 vcc_lo, 0, v[184:185]
	v_xor_b32_e32 v205, 0x80000000, v185
	v_cmp_gt_f64_e64 s2, 0, v[186:187]
	v_xor_b32_e32 v207, 0x80000000, v187
	v_add_nc_u32_e32 v193, 16, v193
	s_waitcnt lgkmcnt(0)
	v_cmp_gt_f64_e64 s3, 0, v[201:202]
	v_mov_b32_e32 v209, v201
	v_dual_mov_b32 v211, v203 :: v_dual_cndmask_b32 v206, v185, v205
	v_xor_b32_e32 v205, 0x80000000, v202
	v_cndmask_b32_e64 v208, v187, v207, s2
	v_xor_b32_e32 v207, 0x80000000, v204
	s_delay_alu instid0(VALU_DEP_3) | instskip(SKIP_2) | instid1(VALU_DEP_2)
	v_cndmask_b32_e64 v210, v202, v205, s3
	v_cmp_gt_f64_e64 s3, 0, v[203:204]
	v_cndmask_b32_e32 v205, v184, v184, vcc_lo
	v_cndmask_b32_e64 v212, v204, v207, s3
	v_cndmask_b32_e64 v207, v186, v186, s2
	s_delay_alu instid0(VALU_DEP_2) | instskip(NEXT) | instid1(VALU_DEP_2)
	v_add_f64 v[209:210], v[209:210], v[211:212]
	v_add_f64 v[205:206], v[205:206], v[207:208]
	s_delay_alu instid0(VALU_DEP_1) | instskip(SKIP_4) | instid1(SALU_CYCLE_1)
	v_cmp_lt_f64_e32 vcc_lo, v[205:206], v[209:210]
	v_dual_cndmask_b32 v186, v186, v203 :: v_dual_cndmask_b32 v185, v185, v202
	v_dual_cndmask_b32 v184, v184, v201 :: v_dual_cndmask_b32 v187, v187, v204
	v_cndmask_b32_e64 v192, v192, s6, vcc_lo
	s_add_i32 s6, s6, 1
	s_cmp_lg_u32 s5, s6
	s_cbranch_scc1 .LBB90_610
.LBB90_611:
	s_set_inst_prefetch_distance 0x2
	s_waitcnt lgkmcnt(0)
	v_cmp_eq_f64_e32 vcc_lo, 0, v[184:185]
	v_cmp_eq_f64_e64 s2, 0, v[186:187]
	s_delay_alu instid0(VALU_DEP_1) | instskip(NEXT) | instid1(SALU_CYCLE_1)
	s_and_b32 s2, vcc_lo, s2
	s_and_saveexec_b32 s3, s2
	s_delay_alu instid0(SALU_CYCLE_1)
	s_xor_b32 s2, exec_lo, s3
; %bb.612:
	v_cmp_ne_u32_e32 vcc_lo, 0, v197
	v_cndmask_b32_e32 v197, 30, v197, vcc_lo
; %bb.613:
	s_and_not1_saveexec_b32 s3, s2
	s_cbranch_execz .LBB90_619
; %bb.614:
	v_cmp_gt_f64_e32 vcc_lo, 0, v[184:185]
	v_cmp_gt_f64_e64 s2, 0, v[186:187]
	v_xor_b32_e32 v193, 0x80000000, v185
	v_xor_b32_e32 v201, 0x80000000, v187
	s_delay_alu instid0(VALU_DEP_2) | instskip(NEXT) | instid1(VALU_DEP_2)
	v_cndmask_b32_e32 v202, v185, v193, vcc_lo
	v_cndmask_b32_e64 v204, v187, v201, s2
	v_cndmask_b32_e32 v201, v184, v184, vcc_lo
	v_cndmask_b32_e64 v203, v186, v186, s2
	s_mov_b32 s2, exec_lo
	s_delay_alu instid0(VALU_DEP_1)
	v_cmpx_ngt_f64_e32 v[201:202], v[203:204]
	s_xor_b32 s2, exec_lo, s2
	s_cbranch_execz .LBB90_616
; %bb.615:
	v_div_scale_f64 v[201:202], null, v[186:187], v[186:187], v[184:185]
	v_div_scale_f64 v[207:208], vcc_lo, v[184:185], v[186:187], v[184:185]
	s_delay_alu instid0(VALU_DEP_2) | instskip(SKIP_2) | instid1(VALU_DEP_1)
	v_rcp_f64_e32 v[203:204], v[201:202]
	s_waitcnt_depctr 0xfff
	v_fma_f64 v[205:206], -v[201:202], v[203:204], 1.0
	v_fma_f64 v[203:204], v[203:204], v[205:206], v[203:204]
	s_delay_alu instid0(VALU_DEP_1) | instskip(NEXT) | instid1(VALU_DEP_1)
	v_fma_f64 v[205:206], -v[201:202], v[203:204], 1.0
	v_fma_f64 v[203:204], v[203:204], v[205:206], v[203:204]
	s_delay_alu instid0(VALU_DEP_1) | instskip(NEXT) | instid1(VALU_DEP_1)
	v_mul_f64 v[205:206], v[207:208], v[203:204]
	v_fma_f64 v[201:202], -v[201:202], v[205:206], v[207:208]
	s_delay_alu instid0(VALU_DEP_1) | instskip(NEXT) | instid1(VALU_DEP_1)
	v_div_fmas_f64 v[201:202], v[201:202], v[203:204], v[205:206]
	v_div_fixup_f64 v[201:202], v[201:202], v[186:187], v[184:185]
	s_delay_alu instid0(VALU_DEP_1) | instskip(NEXT) | instid1(VALU_DEP_1)
	v_fma_f64 v[184:185], v[184:185], v[201:202], v[186:187]
	v_div_scale_f64 v[186:187], null, v[184:185], v[184:185], 1.0
	s_delay_alu instid0(VALU_DEP_1) | instskip(SKIP_2) | instid1(VALU_DEP_1)
	v_rcp_f64_e32 v[203:204], v[186:187]
	s_waitcnt_depctr 0xfff
	v_fma_f64 v[205:206], -v[186:187], v[203:204], 1.0
	v_fma_f64 v[203:204], v[203:204], v[205:206], v[203:204]
	s_delay_alu instid0(VALU_DEP_1) | instskip(NEXT) | instid1(VALU_DEP_1)
	v_fma_f64 v[205:206], -v[186:187], v[203:204], 1.0
	v_fma_f64 v[203:204], v[203:204], v[205:206], v[203:204]
	v_div_scale_f64 v[205:206], vcc_lo, 1.0, v[184:185], 1.0
	s_delay_alu instid0(VALU_DEP_1) | instskip(NEXT) | instid1(VALU_DEP_1)
	v_mul_f64 v[207:208], v[205:206], v[203:204]
	v_fma_f64 v[186:187], -v[186:187], v[207:208], v[205:206]
	s_delay_alu instid0(VALU_DEP_1) | instskip(NEXT) | instid1(VALU_DEP_1)
	v_div_fmas_f64 v[186:187], v[186:187], v[203:204], v[207:208]
	v_div_fixup_f64 v[186:187], v[186:187], v[184:185], 1.0
	s_delay_alu instid0(VALU_DEP_1)
	v_mul_f64 v[184:185], v[201:202], v[186:187]
	v_xor_b32_e32 v187, 0x80000000, v187
.LBB90_616:
	s_and_not1_saveexec_b32 s2, s2
	s_cbranch_execz .LBB90_618
; %bb.617:
	s_delay_alu instid0(VALU_DEP_1) | instskip(SKIP_1) | instid1(VALU_DEP_2)
	v_div_scale_f64 v[201:202], null, v[184:185], v[184:185], v[186:187]
	v_div_scale_f64 v[207:208], vcc_lo, v[186:187], v[184:185], v[186:187]
	v_rcp_f64_e32 v[203:204], v[201:202]
	s_waitcnt_depctr 0xfff
	v_fma_f64 v[205:206], -v[201:202], v[203:204], 1.0
	s_delay_alu instid0(VALU_DEP_1) | instskip(NEXT) | instid1(VALU_DEP_1)
	v_fma_f64 v[203:204], v[203:204], v[205:206], v[203:204]
	v_fma_f64 v[205:206], -v[201:202], v[203:204], 1.0
	s_delay_alu instid0(VALU_DEP_1) | instskip(NEXT) | instid1(VALU_DEP_1)
	v_fma_f64 v[203:204], v[203:204], v[205:206], v[203:204]
	v_mul_f64 v[205:206], v[207:208], v[203:204]
	s_delay_alu instid0(VALU_DEP_1) | instskip(NEXT) | instid1(VALU_DEP_1)
	v_fma_f64 v[201:202], -v[201:202], v[205:206], v[207:208]
	v_div_fmas_f64 v[201:202], v[201:202], v[203:204], v[205:206]
	s_delay_alu instid0(VALU_DEP_1) | instskip(NEXT) | instid1(VALU_DEP_1)
	v_div_fixup_f64 v[201:202], v[201:202], v[184:185], v[186:187]
	v_fma_f64 v[184:185], v[186:187], v[201:202], v[184:185]
	s_delay_alu instid0(VALU_DEP_1) | instskip(NEXT) | instid1(VALU_DEP_1)
	v_div_scale_f64 v[186:187], null, v[184:185], v[184:185], 1.0
	v_rcp_f64_e32 v[203:204], v[186:187]
	s_waitcnt_depctr 0xfff
	v_fma_f64 v[205:206], -v[186:187], v[203:204], 1.0
	s_delay_alu instid0(VALU_DEP_1) | instskip(NEXT) | instid1(VALU_DEP_1)
	v_fma_f64 v[203:204], v[203:204], v[205:206], v[203:204]
	v_fma_f64 v[205:206], -v[186:187], v[203:204], 1.0
	s_delay_alu instid0(VALU_DEP_1) | instskip(SKIP_1) | instid1(VALU_DEP_1)
	v_fma_f64 v[203:204], v[203:204], v[205:206], v[203:204]
	v_div_scale_f64 v[205:206], vcc_lo, 1.0, v[184:185], 1.0
	v_mul_f64 v[207:208], v[205:206], v[203:204]
	s_delay_alu instid0(VALU_DEP_1) | instskip(NEXT) | instid1(VALU_DEP_1)
	v_fma_f64 v[186:187], -v[186:187], v[207:208], v[205:206]
	v_div_fmas_f64 v[186:187], v[186:187], v[203:204], v[207:208]
	s_delay_alu instid0(VALU_DEP_1) | instskip(NEXT) | instid1(VALU_DEP_1)
	v_div_fixup_f64 v[184:185], v[186:187], v[184:185], 1.0
	v_mul_f64 v[186:187], v[201:202], -v[184:185]
.LBB90_618:
	s_or_b32 exec_lo, exec_lo, s2
.LBB90_619:
	s_delay_alu instid0(SALU_CYCLE_1) | instskip(NEXT) | instid1(SALU_CYCLE_1)
	s_or_b32 exec_lo, exec_lo, s3
	s_mov_b32 s2, exec_lo
	v_cmpx_ne_u32_e64 v200, v192
	s_xor_b32 s2, exec_lo, s2
	s_cbranch_execz .LBB90_625
; %bb.620:
	s_mov_b32 s3, exec_lo
	v_cmpx_eq_u32_e32 29, v200
	s_cbranch_execz .LBB90_624
; %bb.621:
	v_cmp_ne_u32_e32 vcc_lo, 29, v192
	s_xor_b32 s6, s4, -1
	s_delay_alu instid0(SALU_CYCLE_1) | instskip(NEXT) | instid1(SALU_CYCLE_1)
	s_and_b32 s7, s6, vcc_lo
	s_and_saveexec_b32 s6, s7
	s_cbranch_execz .LBB90_623
; %bb.622:
	v_ashrrev_i32_e32 v193, 31, v192
	s_delay_alu instid0(VALU_DEP_1) | instskip(NEXT) | instid1(VALU_DEP_1)
	v_lshlrev_b64 v[200:201], 2, v[192:193]
	v_add_co_u32 v200, vcc_lo, v190, v200
	s_delay_alu instid0(VALU_DEP_2)
	v_add_co_ci_u32_e32 v201, vcc_lo, v191, v201, vcc_lo
	s_clause 0x1
	flat_load_b32 v193, v[200:201]
	flat_load_b32 v198, v[190:191] offset:116
	s_waitcnt vmcnt(1) lgkmcnt(1)
	flat_store_b32 v[190:191], v193 offset:116
	s_waitcnt vmcnt(0) lgkmcnt(1)
	flat_store_b32 v[200:201], v198
.LBB90_623:
	s_or_b32 exec_lo, exec_lo, s6
	v_mov_b32_e32 v200, v192
	v_mov_b32_e32 v198, v192
.LBB90_624:
	s_or_b32 exec_lo, exec_lo, s3
.LBB90_625:
	s_and_not1_saveexec_b32 s2, s2
	s_cbranch_execz .LBB90_627
; %bb.626:
	v_mov_b32_e32 v200, 29
	ds_store_2addr_b64 v194, v[60:61], v[62:63] offset0:60 offset1:61
	ds_store_2addr_b64 v194, v[56:57], v[58:59] offset0:62 offset1:63
	;; [unrolled: 1-line block ×16, first 2 shown]
.LBB90_627:
	s_or_b32 exec_lo, exec_lo, s2
	s_delay_alu instid0(SALU_CYCLE_1)
	s_mov_b32 s2, exec_lo
	s_waitcnt lgkmcnt(0)
	s_waitcnt_vscnt null, 0x0
	s_barrier
	buffer_gl0_inv
	v_cmpx_lt_i32_e32 29, v200
	s_cbranch_execz .LBB90_629
; %bb.628:
	v_mul_f64 v[192:193], v[184:185], v[66:67]
	v_mul_f64 v[66:67], v[186:187], v[66:67]
	s_delay_alu instid0(VALU_DEP_2) | instskip(NEXT) | instid1(VALU_DEP_2)
	v_fma_f64 v[192:193], v[186:187], v[64:65], v[192:193]
	v_fma_f64 v[64:65], v[184:185], v[64:65], -v[66:67]
	ds_load_2addr_b64 v[184:187], v194 offset0:60 offset1:61
	s_waitcnt lgkmcnt(0)
	v_mul_f64 v[66:67], v[186:187], v[192:193]
	s_delay_alu instid0(VALU_DEP_1) | instskip(SKIP_1) | instid1(VALU_DEP_2)
	v_fma_f64 v[66:67], v[184:185], v[64:65], -v[66:67]
	v_mul_f64 v[184:185], v[184:185], v[192:193]
	v_add_f64 v[60:61], v[60:61], -v[66:67]
	s_delay_alu instid0(VALU_DEP_2) | instskip(NEXT) | instid1(VALU_DEP_1)
	v_fma_f64 v[184:185], v[186:187], v[64:65], v[184:185]
	v_add_f64 v[62:63], v[62:63], -v[184:185]
	ds_load_2addr_b64 v[184:187], v194 offset0:62 offset1:63
	s_waitcnt lgkmcnt(0)
	v_mul_f64 v[66:67], v[186:187], v[192:193]
	s_delay_alu instid0(VALU_DEP_1) | instskip(SKIP_1) | instid1(VALU_DEP_2)
	v_fma_f64 v[66:67], v[184:185], v[64:65], -v[66:67]
	v_mul_f64 v[184:185], v[184:185], v[192:193]
	v_add_f64 v[56:57], v[56:57], -v[66:67]
	s_delay_alu instid0(VALU_DEP_2) | instskip(NEXT) | instid1(VALU_DEP_1)
	v_fma_f64 v[184:185], v[186:187], v[64:65], v[184:185]
	v_add_f64 v[58:59], v[58:59], -v[184:185]
	;; [unrolled: 10-line block ×15, first 2 shown]
	ds_load_2addr_b64 v[184:187], v194 offset0:90 offset1:91
	s_waitcnt lgkmcnt(0)
	v_mul_f64 v[66:67], v[186:187], v[192:193]
	s_delay_alu instid0(VALU_DEP_1) | instskip(SKIP_1) | instid1(VALU_DEP_2)
	v_fma_f64 v[66:67], v[184:185], v[64:65], -v[66:67]
	v_mul_f64 v[184:185], v[184:185], v[192:193]
	v_add_f64 v[0:1], v[0:1], -v[66:67]
	s_delay_alu instid0(VALU_DEP_2) | instskip(SKIP_1) | instid1(VALU_DEP_2)
	v_fma_f64 v[184:185], v[186:187], v[64:65], v[184:185]
	v_dual_mov_b32 v66, v192 :: v_dual_mov_b32 v67, v193
	v_add_f64 v[2:3], v[2:3], -v[184:185]
.LBB90_629:
	s_or_b32 exec_lo, exec_lo, s2
	v_lshl_add_u32 v184, v200, 4, v194
	s_barrier
	buffer_gl0_inv
	v_mov_b32_e32 v192, 30
	ds_store_2addr_b64 v184, v[60:61], v[62:63] offset1:1
	s_waitcnt lgkmcnt(0)
	s_barrier
	buffer_gl0_inv
	ds_load_2addr_b64 v[184:187], v194 offset0:60 offset1:61
	s_cmp_lt_i32 s5, 32
	s_cbranch_scc1 .LBB90_632
; %bb.630:
	v_add3_u32 v193, v199, 0, 0x1f0
	v_mov_b32_e32 v192, 30
	s_mov_b32 s6, 31
	s_set_inst_prefetch_distance 0x1
	.p2align	6
.LBB90_631:                             ; =>This Inner Loop Header: Depth=1
	ds_load_2addr_b64 v[201:204], v193 offset1:1
	s_waitcnt lgkmcnt(1)
	v_cmp_gt_f64_e32 vcc_lo, 0, v[184:185]
	v_xor_b32_e32 v205, 0x80000000, v185
	v_cmp_gt_f64_e64 s2, 0, v[186:187]
	v_xor_b32_e32 v207, 0x80000000, v187
	v_add_nc_u32_e32 v193, 16, v193
	s_waitcnt lgkmcnt(0)
	v_cmp_gt_f64_e64 s3, 0, v[201:202]
	v_mov_b32_e32 v209, v201
	v_dual_mov_b32 v211, v203 :: v_dual_cndmask_b32 v206, v185, v205
	v_xor_b32_e32 v205, 0x80000000, v202
	v_cndmask_b32_e64 v208, v187, v207, s2
	v_xor_b32_e32 v207, 0x80000000, v204
	s_delay_alu instid0(VALU_DEP_3) | instskip(SKIP_2) | instid1(VALU_DEP_2)
	v_cndmask_b32_e64 v210, v202, v205, s3
	v_cmp_gt_f64_e64 s3, 0, v[203:204]
	v_cndmask_b32_e32 v205, v184, v184, vcc_lo
	v_cndmask_b32_e64 v212, v204, v207, s3
	v_cndmask_b32_e64 v207, v186, v186, s2
	s_delay_alu instid0(VALU_DEP_2) | instskip(NEXT) | instid1(VALU_DEP_2)
	v_add_f64 v[209:210], v[209:210], v[211:212]
	v_add_f64 v[205:206], v[205:206], v[207:208]
	s_delay_alu instid0(VALU_DEP_1) | instskip(SKIP_4) | instid1(SALU_CYCLE_1)
	v_cmp_lt_f64_e32 vcc_lo, v[205:206], v[209:210]
	v_dual_cndmask_b32 v186, v186, v203 :: v_dual_cndmask_b32 v185, v185, v202
	v_dual_cndmask_b32 v184, v184, v201 :: v_dual_cndmask_b32 v187, v187, v204
	v_cndmask_b32_e64 v192, v192, s6, vcc_lo
	s_add_i32 s6, s6, 1
	s_cmp_lg_u32 s5, s6
	s_cbranch_scc1 .LBB90_631
.LBB90_632:
	s_set_inst_prefetch_distance 0x2
	s_waitcnt lgkmcnt(0)
	v_cmp_eq_f64_e32 vcc_lo, 0, v[184:185]
	v_cmp_eq_f64_e64 s2, 0, v[186:187]
	s_delay_alu instid0(VALU_DEP_1) | instskip(NEXT) | instid1(SALU_CYCLE_1)
	s_and_b32 s2, vcc_lo, s2
	s_and_saveexec_b32 s3, s2
	s_delay_alu instid0(SALU_CYCLE_1)
	s_xor_b32 s2, exec_lo, s3
; %bb.633:
	v_cmp_ne_u32_e32 vcc_lo, 0, v197
	v_cndmask_b32_e32 v197, 31, v197, vcc_lo
; %bb.634:
	s_and_not1_saveexec_b32 s3, s2
	s_cbranch_execz .LBB90_640
; %bb.635:
	v_cmp_gt_f64_e32 vcc_lo, 0, v[184:185]
	v_cmp_gt_f64_e64 s2, 0, v[186:187]
	v_xor_b32_e32 v193, 0x80000000, v185
	v_xor_b32_e32 v201, 0x80000000, v187
	s_delay_alu instid0(VALU_DEP_2) | instskip(NEXT) | instid1(VALU_DEP_2)
	v_cndmask_b32_e32 v202, v185, v193, vcc_lo
	v_cndmask_b32_e64 v204, v187, v201, s2
	v_cndmask_b32_e32 v201, v184, v184, vcc_lo
	v_cndmask_b32_e64 v203, v186, v186, s2
	s_mov_b32 s2, exec_lo
	s_delay_alu instid0(VALU_DEP_1)
	v_cmpx_ngt_f64_e32 v[201:202], v[203:204]
	s_xor_b32 s2, exec_lo, s2
	s_cbranch_execz .LBB90_637
; %bb.636:
	v_div_scale_f64 v[201:202], null, v[186:187], v[186:187], v[184:185]
	v_div_scale_f64 v[207:208], vcc_lo, v[184:185], v[186:187], v[184:185]
	s_delay_alu instid0(VALU_DEP_2) | instskip(SKIP_2) | instid1(VALU_DEP_1)
	v_rcp_f64_e32 v[203:204], v[201:202]
	s_waitcnt_depctr 0xfff
	v_fma_f64 v[205:206], -v[201:202], v[203:204], 1.0
	v_fma_f64 v[203:204], v[203:204], v[205:206], v[203:204]
	s_delay_alu instid0(VALU_DEP_1) | instskip(NEXT) | instid1(VALU_DEP_1)
	v_fma_f64 v[205:206], -v[201:202], v[203:204], 1.0
	v_fma_f64 v[203:204], v[203:204], v[205:206], v[203:204]
	s_delay_alu instid0(VALU_DEP_1) | instskip(NEXT) | instid1(VALU_DEP_1)
	v_mul_f64 v[205:206], v[207:208], v[203:204]
	v_fma_f64 v[201:202], -v[201:202], v[205:206], v[207:208]
	s_delay_alu instid0(VALU_DEP_1) | instskip(NEXT) | instid1(VALU_DEP_1)
	v_div_fmas_f64 v[201:202], v[201:202], v[203:204], v[205:206]
	v_div_fixup_f64 v[201:202], v[201:202], v[186:187], v[184:185]
	s_delay_alu instid0(VALU_DEP_1) | instskip(NEXT) | instid1(VALU_DEP_1)
	v_fma_f64 v[184:185], v[184:185], v[201:202], v[186:187]
	v_div_scale_f64 v[186:187], null, v[184:185], v[184:185], 1.0
	s_delay_alu instid0(VALU_DEP_1) | instskip(SKIP_2) | instid1(VALU_DEP_1)
	v_rcp_f64_e32 v[203:204], v[186:187]
	s_waitcnt_depctr 0xfff
	v_fma_f64 v[205:206], -v[186:187], v[203:204], 1.0
	v_fma_f64 v[203:204], v[203:204], v[205:206], v[203:204]
	s_delay_alu instid0(VALU_DEP_1) | instskip(NEXT) | instid1(VALU_DEP_1)
	v_fma_f64 v[205:206], -v[186:187], v[203:204], 1.0
	v_fma_f64 v[203:204], v[203:204], v[205:206], v[203:204]
	v_div_scale_f64 v[205:206], vcc_lo, 1.0, v[184:185], 1.0
	s_delay_alu instid0(VALU_DEP_1) | instskip(NEXT) | instid1(VALU_DEP_1)
	v_mul_f64 v[207:208], v[205:206], v[203:204]
	v_fma_f64 v[186:187], -v[186:187], v[207:208], v[205:206]
	s_delay_alu instid0(VALU_DEP_1) | instskip(NEXT) | instid1(VALU_DEP_1)
	v_div_fmas_f64 v[186:187], v[186:187], v[203:204], v[207:208]
	v_div_fixup_f64 v[186:187], v[186:187], v[184:185], 1.0
	s_delay_alu instid0(VALU_DEP_1)
	v_mul_f64 v[184:185], v[201:202], v[186:187]
	v_xor_b32_e32 v187, 0x80000000, v187
.LBB90_637:
	s_and_not1_saveexec_b32 s2, s2
	s_cbranch_execz .LBB90_639
; %bb.638:
	s_delay_alu instid0(VALU_DEP_1) | instskip(SKIP_1) | instid1(VALU_DEP_2)
	v_div_scale_f64 v[201:202], null, v[184:185], v[184:185], v[186:187]
	v_div_scale_f64 v[207:208], vcc_lo, v[186:187], v[184:185], v[186:187]
	v_rcp_f64_e32 v[203:204], v[201:202]
	s_waitcnt_depctr 0xfff
	v_fma_f64 v[205:206], -v[201:202], v[203:204], 1.0
	s_delay_alu instid0(VALU_DEP_1) | instskip(NEXT) | instid1(VALU_DEP_1)
	v_fma_f64 v[203:204], v[203:204], v[205:206], v[203:204]
	v_fma_f64 v[205:206], -v[201:202], v[203:204], 1.0
	s_delay_alu instid0(VALU_DEP_1) | instskip(NEXT) | instid1(VALU_DEP_1)
	v_fma_f64 v[203:204], v[203:204], v[205:206], v[203:204]
	v_mul_f64 v[205:206], v[207:208], v[203:204]
	s_delay_alu instid0(VALU_DEP_1) | instskip(NEXT) | instid1(VALU_DEP_1)
	v_fma_f64 v[201:202], -v[201:202], v[205:206], v[207:208]
	v_div_fmas_f64 v[201:202], v[201:202], v[203:204], v[205:206]
	s_delay_alu instid0(VALU_DEP_1) | instskip(NEXT) | instid1(VALU_DEP_1)
	v_div_fixup_f64 v[201:202], v[201:202], v[184:185], v[186:187]
	v_fma_f64 v[184:185], v[186:187], v[201:202], v[184:185]
	s_delay_alu instid0(VALU_DEP_1) | instskip(NEXT) | instid1(VALU_DEP_1)
	v_div_scale_f64 v[186:187], null, v[184:185], v[184:185], 1.0
	v_rcp_f64_e32 v[203:204], v[186:187]
	s_waitcnt_depctr 0xfff
	v_fma_f64 v[205:206], -v[186:187], v[203:204], 1.0
	s_delay_alu instid0(VALU_DEP_1) | instskip(NEXT) | instid1(VALU_DEP_1)
	v_fma_f64 v[203:204], v[203:204], v[205:206], v[203:204]
	v_fma_f64 v[205:206], -v[186:187], v[203:204], 1.0
	s_delay_alu instid0(VALU_DEP_1) | instskip(SKIP_1) | instid1(VALU_DEP_1)
	v_fma_f64 v[203:204], v[203:204], v[205:206], v[203:204]
	v_div_scale_f64 v[205:206], vcc_lo, 1.0, v[184:185], 1.0
	v_mul_f64 v[207:208], v[205:206], v[203:204]
	s_delay_alu instid0(VALU_DEP_1) | instskip(NEXT) | instid1(VALU_DEP_1)
	v_fma_f64 v[186:187], -v[186:187], v[207:208], v[205:206]
	v_div_fmas_f64 v[186:187], v[186:187], v[203:204], v[207:208]
	s_delay_alu instid0(VALU_DEP_1) | instskip(NEXT) | instid1(VALU_DEP_1)
	v_div_fixup_f64 v[184:185], v[186:187], v[184:185], 1.0
	v_mul_f64 v[186:187], v[201:202], -v[184:185]
.LBB90_639:
	s_or_b32 exec_lo, exec_lo, s2
.LBB90_640:
	s_delay_alu instid0(SALU_CYCLE_1) | instskip(NEXT) | instid1(SALU_CYCLE_1)
	s_or_b32 exec_lo, exec_lo, s3
	s_mov_b32 s2, exec_lo
	v_cmpx_ne_u32_e64 v200, v192
	s_xor_b32 s2, exec_lo, s2
	s_cbranch_execz .LBB90_646
; %bb.641:
	s_mov_b32 s3, exec_lo
	v_cmpx_eq_u32_e32 30, v200
	s_cbranch_execz .LBB90_645
; %bb.642:
	v_cmp_ne_u32_e32 vcc_lo, 30, v192
	s_xor_b32 s6, s4, -1
	s_delay_alu instid0(SALU_CYCLE_1) | instskip(NEXT) | instid1(SALU_CYCLE_1)
	s_and_b32 s7, s6, vcc_lo
	s_and_saveexec_b32 s6, s7
	s_cbranch_execz .LBB90_644
; %bb.643:
	v_ashrrev_i32_e32 v193, 31, v192
	s_delay_alu instid0(VALU_DEP_1) | instskip(NEXT) | instid1(VALU_DEP_1)
	v_lshlrev_b64 v[200:201], 2, v[192:193]
	v_add_co_u32 v200, vcc_lo, v190, v200
	s_delay_alu instid0(VALU_DEP_2)
	v_add_co_ci_u32_e32 v201, vcc_lo, v191, v201, vcc_lo
	s_clause 0x1
	flat_load_b32 v193, v[200:201]
	flat_load_b32 v198, v[190:191] offset:120
	s_waitcnt vmcnt(1) lgkmcnt(1)
	flat_store_b32 v[190:191], v193 offset:120
	s_waitcnt vmcnt(0) lgkmcnt(1)
	flat_store_b32 v[200:201], v198
.LBB90_644:
	s_or_b32 exec_lo, exec_lo, s6
	v_mov_b32_e32 v200, v192
	v_mov_b32_e32 v198, v192
.LBB90_645:
	s_or_b32 exec_lo, exec_lo, s3
.LBB90_646:
	s_and_not1_saveexec_b32 s2, s2
	s_cbranch_execz .LBB90_648
; %bb.647:
	v_mov_b32_e32 v200, 30
	ds_store_2addr_b64 v194, v[56:57], v[58:59] offset0:62 offset1:63
	ds_store_2addr_b64 v194, v[52:53], v[54:55] offset0:64 offset1:65
	;; [unrolled: 1-line block ×15, first 2 shown]
.LBB90_648:
	s_or_b32 exec_lo, exec_lo, s2
	s_delay_alu instid0(SALU_CYCLE_1)
	s_mov_b32 s2, exec_lo
	s_waitcnt lgkmcnt(0)
	s_waitcnt_vscnt null, 0x0
	s_barrier
	buffer_gl0_inv
	v_cmpx_lt_i32_e32 30, v200
	s_cbranch_execz .LBB90_650
; %bb.649:
	v_mul_f64 v[192:193], v[184:185], v[62:63]
	v_mul_f64 v[62:63], v[186:187], v[62:63]
	s_delay_alu instid0(VALU_DEP_2) | instskip(NEXT) | instid1(VALU_DEP_2)
	v_fma_f64 v[192:193], v[186:187], v[60:61], v[192:193]
	v_fma_f64 v[60:61], v[184:185], v[60:61], -v[62:63]
	ds_load_2addr_b64 v[184:187], v194 offset0:62 offset1:63
	s_waitcnt lgkmcnt(0)
	v_mul_f64 v[62:63], v[186:187], v[192:193]
	s_delay_alu instid0(VALU_DEP_1) | instskip(SKIP_1) | instid1(VALU_DEP_2)
	v_fma_f64 v[62:63], v[184:185], v[60:61], -v[62:63]
	v_mul_f64 v[184:185], v[184:185], v[192:193]
	v_add_f64 v[56:57], v[56:57], -v[62:63]
	s_delay_alu instid0(VALU_DEP_2) | instskip(NEXT) | instid1(VALU_DEP_1)
	v_fma_f64 v[184:185], v[186:187], v[60:61], v[184:185]
	v_add_f64 v[58:59], v[58:59], -v[184:185]
	ds_load_2addr_b64 v[184:187], v194 offset0:64 offset1:65
	s_waitcnt lgkmcnt(0)
	v_mul_f64 v[62:63], v[186:187], v[192:193]
	s_delay_alu instid0(VALU_DEP_1) | instskip(SKIP_1) | instid1(VALU_DEP_2)
	v_fma_f64 v[62:63], v[184:185], v[60:61], -v[62:63]
	v_mul_f64 v[184:185], v[184:185], v[192:193]
	v_add_f64 v[52:53], v[52:53], -v[62:63]
	s_delay_alu instid0(VALU_DEP_2) | instskip(NEXT) | instid1(VALU_DEP_1)
	v_fma_f64 v[184:185], v[186:187], v[60:61], v[184:185]
	v_add_f64 v[54:55], v[54:55], -v[184:185]
	;; [unrolled: 10-line block ×14, first 2 shown]
	ds_load_2addr_b64 v[184:187], v194 offset0:90 offset1:91
	s_waitcnt lgkmcnt(0)
	v_mul_f64 v[62:63], v[186:187], v[192:193]
	s_delay_alu instid0(VALU_DEP_1) | instskip(SKIP_1) | instid1(VALU_DEP_2)
	v_fma_f64 v[62:63], v[184:185], v[60:61], -v[62:63]
	v_mul_f64 v[184:185], v[184:185], v[192:193]
	v_add_f64 v[0:1], v[0:1], -v[62:63]
	s_delay_alu instid0(VALU_DEP_2) | instskip(SKIP_1) | instid1(VALU_DEP_2)
	v_fma_f64 v[184:185], v[186:187], v[60:61], v[184:185]
	v_dual_mov_b32 v62, v192 :: v_dual_mov_b32 v63, v193
	v_add_f64 v[2:3], v[2:3], -v[184:185]
.LBB90_650:
	s_or_b32 exec_lo, exec_lo, s2
	v_lshl_add_u32 v184, v200, 4, v194
	s_barrier
	buffer_gl0_inv
	v_mov_b32_e32 v192, 31
	ds_store_2addr_b64 v184, v[56:57], v[58:59] offset1:1
	s_waitcnt lgkmcnt(0)
	s_barrier
	buffer_gl0_inv
	ds_load_2addr_b64 v[184:187], v194 offset0:62 offset1:63
	s_cmp_lt_i32 s5, 33
	s_cbranch_scc1 .LBB90_653
; %bb.651:
	v_add3_u32 v193, v199, 0, 0x200
	v_mov_b32_e32 v192, 31
	s_mov_b32 s6, 32
	s_set_inst_prefetch_distance 0x1
	.p2align	6
.LBB90_652:                             ; =>This Inner Loop Header: Depth=1
	ds_load_2addr_b64 v[201:204], v193 offset1:1
	s_waitcnt lgkmcnt(1)
	v_cmp_gt_f64_e32 vcc_lo, 0, v[184:185]
	v_xor_b32_e32 v205, 0x80000000, v185
	v_cmp_gt_f64_e64 s2, 0, v[186:187]
	v_xor_b32_e32 v207, 0x80000000, v187
	v_add_nc_u32_e32 v193, 16, v193
	s_waitcnt lgkmcnt(0)
	v_cmp_gt_f64_e64 s3, 0, v[201:202]
	v_mov_b32_e32 v209, v201
	v_dual_mov_b32 v211, v203 :: v_dual_cndmask_b32 v206, v185, v205
	v_xor_b32_e32 v205, 0x80000000, v202
	v_cndmask_b32_e64 v208, v187, v207, s2
	v_xor_b32_e32 v207, 0x80000000, v204
	s_delay_alu instid0(VALU_DEP_3) | instskip(SKIP_2) | instid1(VALU_DEP_2)
	v_cndmask_b32_e64 v210, v202, v205, s3
	v_cmp_gt_f64_e64 s3, 0, v[203:204]
	v_cndmask_b32_e32 v205, v184, v184, vcc_lo
	v_cndmask_b32_e64 v212, v204, v207, s3
	v_cndmask_b32_e64 v207, v186, v186, s2
	s_delay_alu instid0(VALU_DEP_2) | instskip(NEXT) | instid1(VALU_DEP_2)
	v_add_f64 v[209:210], v[209:210], v[211:212]
	v_add_f64 v[205:206], v[205:206], v[207:208]
	s_delay_alu instid0(VALU_DEP_1) | instskip(SKIP_4) | instid1(SALU_CYCLE_1)
	v_cmp_lt_f64_e32 vcc_lo, v[205:206], v[209:210]
	v_dual_cndmask_b32 v186, v186, v203 :: v_dual_cndmask_b32 v185, v185, v202
	v_dual_cndmask_b32 v184, v184, v201 :: v_dual_cndmask_b32 v187, v187, v204
	v_cndmask_b32_e64 v192, v192, s6, vcc_lo
	s_add_i32 s6, s6, 1
	s_cmp_lg_u32 s5, s6
	s_cbranch_scc1 .LBB90_652
.LBB90_653:
	s_set_inst_prefetch_distance 0x2
	s_waitcnt lgkmcnt(0)
	v_cmp_eq_f64_e32 vcc_lo, 0, v[184:185]
	v_cmp_eq_f64_e64 s2, 0, v[186:187]
	s_delay_alu instid0(VALU_DEP_1) | instskip(NEXT) | instid1(SALU_CYCLE_1)
	s_and_b32 s2, vcc_lo, s2
	s_and_saveexec_b32 s3, s2
	s_delay_alu instid0(SALU_CYCLE_1)
	s_xor_b32 s2, exec_lo, s3
; %bb.654:
	v_cmp_ne_u32_e32 vcc_lo, 0, v197
	v_cndmask_b32_e32 v197, 32, v197, vcc_lo
; %bb.655:
	s_and_not1_saveexec_b32 s3, s2
	s_cbranch_execz .LBB90_661
; %bb.656:
	v_cmp_gt_f64_e32 vcc_lo, 0, v[184:185]
	v_cmp_gt_f64_e64 s2, 0, v[186:187]
	v_xor_b32_e32 v193, 0x80000000, v185
	v_xor_b32_e32 v201, 0x80000000, v187
	s_delay_alu instid0(VALU_DEP_2) | instskip(NEXT) | instid1(VALU_DEP_2)
	v_cndmask_b32_e32 v202, v185, v193, vcc_lo
	v_cndmask_b32_e64 v204, v187, v201, s2
	v_cndmask_b32_e32 v201, v184, v184, vcc_lo
	v_cndmask_b32_e64 v203, v186, v186, s2
	s_mov_b32 s2, exec_lo
	s_delay_alu instid0(VALU_DEP_1)
	v_cmpx_ngt_f64_e32 v[201:202], v[203:204]
	s_xor_b32 s2, exec_lo, s2
	s_cbranch_execz .LBB90_658
; %bb.657:
	v_div_scale_f64 v[201:202], null, v[186:187], v[186:187], v[184:185]
	v_div_scale_f64 v[207:208], vcc_lo, v[184:185], v[186:187], v[184:185]
	s_delay_alu instid0(VALU_DEP_2) | instskip(SKIP_2) | instid1(VALU_DEP_1)
	v_rcp_f64_e32 v[203:204], v[201:202]
	s_waitcnt_depctr 0xfff
	v_fma_f64 v[205:206], -v[201:202], v[203:204], 1.0
	v_fma_f64 v[203:204], v[203:204], v[205:206], v[203:204]
	s_delay_alu instid0(VALU_DEP_1) | instskip(NEXT) | instid1(VALU_DEP_1)
	v_fma_f64 v[205:206], -v[201:202], v[203:204], 1.0
	v_fma_f64 v[203:204], v[203:204], v[205:206], v[203:204]
	s_delay_alu instid0(VALU_DEP_1) | instskip(NEXT) | instid1(VALU_DEP_1)
	v_mul_f64 v[205:206], v[207:208], v[203:204]
	v_fma_f64 v[201:202], -v[201:202], v[205:206], v[207:208]
	s_delay_alu instid0(VALU_DEP_1) | instskip(NEXT) | instid1(VALU_DEP_1)
	v_div_fmas_f64 v[201:202], v[201:202], v[203:204], v[205:206]
	v_div_fixup_f64 v[201:202], v[201:202], v[186:187], v[184:185]
	s_delay_alu instid0(VALU_DEP_1) | instskip(NEXT) | instid1(VALU_DEP_1)
	v_fma_f64 v[184:185], v[184:185], v[201:202], v[186:187]
	v_div_scale_f64 v[186:187], null, v[184:185], v[184:185], 1.0
	s_delay_alu instid0(VALU_DEP_1) | instskip(SKIP_2) | instid1(VALU_DEP_1)
	v_rcp_f64_e32 v[203:204], v[186:187]
	s_waitcnt_depctr 0xfff
	v_fma_f64 v[205:206], -v[186:187], v[203:204], 1.0
	v_fma_f64 v[203:204], v[203:204], v[205:206], v[203:204]
	s_delay_alu instid0(VALU_DEP_1) | instskip(NEXT) | instid1(VALU_DEP_1)
	v_fma_f64 v[205:206], -v[186:187], v[203:204], 1.0
	v_fma_f64 v[203:204], v[203:204], v[205:206], v[203:204]
	v_div_scale_f64 v[205:206], vcc_lo, 1.0, v[184:185], 1.0
	s_delay_alu instid0(VALU_DEP_1) | instskip(NEXT) | instid1(VALU_DEP_1)
	v_mul_f64 v[207:208], v[205:206], v[203:204]
	v_fma_f64 v[186:187], -v[186:187], v[207:208], v[205:206]
	s_delay_alu instid0(VALU_DEP_1) | instskip(NEXT) | instid1(VALU_DEP_1)
	v_div_fmas_f64 v[186:187], v[186:187], v[203:204], v[207:208]
	v_div_fixup_f64 v[186:187], v[186:187], v[184:185], 1.0
	s_delay_alu instid0(VALU_DEP_1)
	v_mul_f64 v[184:185], v[201:202], v[186:187]
	v_xor_b32_e32 v187, 0x80000000, v187
.LBB90_658:
	s_and_not1_saveexec_b32 s2, s2
	s_cbranch_execz .LBB90_660
; %bb.659:
	s_delay_alu instid0(VALU_DEP_1) | instskip(SKIP_1) | instid1(VALU_DEP_2)
	v_div_scale_f64 v[201:202], null, v[184:185], v[184:185], v[186:187]
	v_div_scale_f64 v[207:208], vcc_lo, v[186:187], v[184:185], v[186:187]
	v_rcp_f64_e32 v[203:204], v[201:202]
	s_waitcnt_depctr 0xfff
	v_fma_f64 v[205:206], -v[201:202], v[203:204], 1.0
	s_delay_alu instid0(VALU_DEP_1) | instskip(NEXT) | instid1(VALU_DEP_1)
	v_fma_f64 v[203:204], v[203:204], v[205:206], v[203:204]
	v_fma_f64 v[205:206], -v[201:202], v[203:204], 1.0
	s_delay_alu instid0(VALU_DEP_1) | instskip(NEXT) | instid1(VALU_DEP_1)
	v_fma_f64 v[203:204], v[203:204], v[205:206], v[203:204]
	v_mul_f64 v[205:206], v[207:208], v[203:204]
	s_delay_alu instid0(VALU_DEP_1) | instskip(NEXT) | instid1(VALU_DEP_1)
	v_fma_f64 v[201:202], -v[201:202], v[205:206], v[207:208]
	v_div_fmas_f64 v[201:202], v[201:202], v[203:204], v[205:206]
	s_delay_alu instid0(VALU_DEP_1) | instskip(NEXT) | instid1(VALU_DEP_1)
	v_div_fixup_f64 v[201:202], v[201:202], v[184:185], v[186:187]
	v_fma_f64 v[184:185], v[186:187], v[201:202], v[184:185]
	s_delay_alu instid0(VALU_DEP_1) | instskip(NEXT) | instid1(VALU_DEP_1)
	v_div_scale_f64 v[186:187], null, v[184:185], v[184:185], 1.0
	v_rcp_f64_e32 v[203:204], v[186:187]
	s_waitcnt_depctr 0xfff
	v_fma_f64 v[205:206], -v[186:187], v[203:204], 1.0
	s_delay_alu instid0(VALU_DEP_1) | instskip(NEXT) | instid1(VALU_DEP_1)
	v_fma_f64 v[203:204], v[203:204], v[205:206], v[203:204]
	v_fma_f64 v[205:206], -v[186:187], v[203:204], 1.0
	s_delay_alu instid0(VALU_DEP_1) | instskip(SKIP_1) | instid1(VALU_DEP_1)
	v_fma_f64 v[203:204], v[203:204], v[205:206], v[203:204]
	v_div_scale_f64 v[205:206], vcc_lo, 1.0, v[184:185], 1.0
	v_mul_f64 v[207:208], v[205:206], v[203:204]
	s_delay_alu instid0(VALU_DEP_1) | instskip(NEXT) | instid1(VALU_DEP_1)
	v_fma_f64 v[186:187], -v[186:187], v[207:208], v[205:206]
	v_div_fmas_f64 v[186:187], v[186:187], v[203:204], v[207:208]
	s_delay_alu instid0(VALU_DEP_1) | instskip(NEXT) | instid1(VALU_DEP_1)
	v_div_fixup_f64 v[184:185], v[186:187], v[184:185], 1.0
	v_mul_f64 v[186:187], v[201:202], -v[184:185]
.LBB90_660:
	s_or_b32 exec_lo, exec_lo, s2
.LBB90_661:
	s_delay_alu instid0(SALU_CYCLE_1) | instskip(NEXT) | instid1(SALU_CYCLE_1)
	s_or_b32 exec_lo, exec_lo, s3
	s_mov_b32 s2, exec_lo
	v_cmpx_ne_u32_e64 v200, v192
	s_xor_b32 s2, exec_lo, s2
	s_cbranch_execz .LBB90_667
; %bb.662:
	s_mov_b32 s3, exec_lo
	v_cmpx_eq_u32_e32 31, v200
	s_cbranch_execz .LBB90_666
; %bb.663:
	v_cmp_ne_u32_e32 vcc_lo, 31, v192
	s_xor_b32 s6, s4, -1
	s_delay_alu instid0(SALU_CYCLE_1) | instskip(NEXT) | instid1(SALU_CYCLE_1)
	s_and_b32 s7, s6, vcc_lo
	s_and_saveexec_b32 s6, s7
	s_cbranch_execz .LBB90_665
; %bb.664:
	v_ashrrev_i32_e32 v193, 31, v192
	s_delay_alu instid0(VALU_DEP_1) | instskip(NEXT) | instid1(VALU_DEP_1)
	v_lshlrev_b64 v[200:201], 2, v[192:193]
	v_add_co_u32 v200, vcc_lo, v190, v200
	s_delay_alu instid0(VALU_DEP_2)
	v_add_co_ci_u32_e32 v201, vcc_lo, v191, v201, vcc_lo
	s_clause 0x1
	flat_load_b32 v193, v[200:201]
	flat_load_b32 v198, v[190:191] offset:124
	s_waitcnt vmcnt(1) lgkmcnt(1)
	flat_store_b32 v[190:191], v193 offset:124
	s_waitcnt vmcnt(0) lgkmcnt(1)
	flat_store_b32 v[200:201], v198
.LBB90_665:
	s_or_b32 exec_lo, exec_lo, s6
	v_mov_b32_e32 v200, v192
	v_mov_b32_e32 v198, v192
.LBB90_666:
	s_or_b32 exec_lo, exec_lo, s3
.LBB90_667:
	s_and_not1_saveexec_b32 s2, s2
	s_cbranch_execz .LBB90_669
; %bb.668:
	v_mov_b32_e32 v200, 31
	ds_store_2addr_b64 v194, v[52:53], v[54:55] offset0:64 offset1:65
	ds_store_2addr_b64 v194, v[48:49], v[50:51] offset0:66 offset1:67
	;; [unrolled: 1-line block ×14, first 2 shown]
.LBB90_669:
	s_or_b32 exec_lo, exec_lo, s2
	s_delay_alu instid0(SALU_CYCLE_1)
	s_mov_b32 s2, exec_lo
	s_waitcnt lgkmcnt(0)
	s_waitcnt_vscnt null, 0x0
	s_barrier
	buffer_gl0_inv
	v_cmpx_lt_i32_e32 31, v200
	s_cbranch_execz .LBB90_671
; %bb.670:
	v_mul_f64 v[192:193], v[184:185], v[58:59]
	v_mul_f64 v[58:59], v[186:187], v[58:59]
	s_delay_alu instid0(VALU_DEP_2) | instskip(NEXT) | instid1(VALU_DEP_2)
	v_fma_f64 v[192:193], v[186:187], v[56:57], v[192:193]
	v_fma_f64 v[56:57], v[184:185], v[56:57], -v[58:59]
	ds_load_2addr_b64 v[184:187], v194 offset0:64 offset1:65
	s_waitcnt lgkmcnt(0)
	v_mul_f64 v[58:59], v[186:187], v[192:193]
	s_delay_alu instid0(VALU_DEP_1) | instskip(SKIP_1) | instid1(VALU_DEP_2)
	v_fma_f64 v[58:59], v[184:185], v[56:57], -v[58:59]
	v_mul_f64 v[184:185], v[184:185], v[192:193]
	v_add_f64 v[52:53], v[52:53], -v[58:59]
	s_delay_alu instid0(VALU_DEP_2) | instskip(NEXT) | instid1(VALU_DEP_1)
	v_fma_f64 v[184:185], v[186:187], v[56:57], v[184:185]
	v_add_f64 v[54:55], v[54:55], -v[184:185]
	ds_load_2addr_b64 v[184:187], v194 offset0:66 offset1:67
	s_waitcnt lgkmcnt(0)
	v_mul_f64 v[58:59], v[186:187], v[192:193]
	s_delay_alu instid0(VALU_DEP_1) | instskip(SKIP_1) | instid1(VALU_DEP_2)
	v_fma_f64 v[58:59], v[184:185], v[56:57], -v[58:59]
	v_mul_f64 v[184:185], v[184:185], v[192:193]
	v_add_f64 v[48:49], v[48:49], -v[58:59]
	s_delay_alu instid0(VALU_DEP_2) | instskip(NEXT) | instid1(VALU_DEP_1)
	v_fma_f64 v[184:185], v[186:187], v[56:57], v[184:185]
	v_add_f64 v[50:51], v[50:51], -v[184:185]
	;; [unrolled: 10-line block ×13, first 2 shown]
	ds_load_2addr_b64 v[184:187], v194 offset0:90 offset1:91
	s_waitcnt lgkmcnt(0)
	v_mul_f64 v[58:59], v[186:187], v[192:193]
	s_delay_alu instid0(VALU_DEP_1) | instskip(SKIP_1) | instid1(VALU_DEP_2)
	v_fma_f64 v[58:59], v[184:185], v[56:57], -v[58:59]
	v_mul_f64 v[184:185], v[184:185], v[192:193]
	v_add_f64 v[0:1], v[0:1], -v[58:59]
	s_delay_alu instid0(VALU_DEP_2) | instskip(SKIP_1) | instid1(VALU_DEP_2)
	v_fma_f64 v[184:185], v[186:187], v[56:57], v[184:185]
	v_dual_mov_b32 v58, v192 :: v_dual_mov_b32 v59, v193
	v_add_f64 v[2:3], v[2:3], -v[184:185]
.LBB90_671:
	s_or_b32 exec_lo, exec_lo, s2
	v_lshl_add_u32 v184, v200, 4, v194
	s_barrier
	buffer_gl0_inv
	v_mov_b32_e32 v192, 32
	ds_store_2addr_b64 v184, v[52:53], v[54:55] offset1:1
	s_waitcnt lgkmcnt(0)
	s_barrier
	buffer_gl0_inv
	ds_load_2addr_b64 v[184:187], v194 offset0:64 offset1:65
	s_cmp_lt_i32 s5, 34
	s_cbranch_scc1 .LBB90_674
; %bb.672:
	v_add3_u32 v193, v199, 0, 0x210
	v_mov_b32_e32 v192, 32
	s_mov_b32 s6, 33
	s_set_inst_prefetch_distance 0x1
	.p2align	6
.LBB90_673:                             ; =>This Inner Loop Header: Depth=1
	ds_load_2addr_b64 v[201:204], v193 offset1:1
	s_waitcnt lgkmcnt(1)
	v_cmp_gt_f64_e32 vcc_lo, 0, v[184:185]
	v_xor_b32_e32 v205, 0x80000000, v185
	v_cmp_gt_f64_e64 s2, 0, v[186:187]
	v_xor_b32_e32 v207, 0x80000000, v187
	v_add_nc_u32_e32 v193, 16, v193
	s_waitcnt lgkmcnt(0)
	v_cmp_gt_f64_e64 s3, 0, v[201:202]
	v_mov_b32_e32 v209, v201
	v_dual_mov_b32 v211, v203 :: v_dual_cndmask_b32 v206, v185, v205
	v_xor_b32_e32 v205, 0x80000000, v202
	v_cndmask_b32_e64 v208, v187, v207, s2
	v_xor_b32_e32 v207, 0x80000000, v204
	s_delay_alu instid0(VALU_DEP_3) | instskip(SKIP_2) | instid1(VALU_DEP_2)
	v_cndmask_b32_e64 v210, v202, v205, s3
	v_cmp_gt_f64_e64 s3, 0, v[203:204]
	v_cndmask_b32_e32 v205, v184, v184, vcc_lo
	v_cndmask_b32_e64 v212, v204, v207, s3
	v_cndmask_b32_e64 v207, v186, v186, s2
	s_delay_alu instid0(VALU_DEP_2) | instskip(NEXT) | instid1(VALU_DEP_2)
	v_add_f64 v[209:210], v[209:210], v[211:212]
	v_add_f64 v[205:206], v[205:206], v[207:208]
	s_delay_alu instid0(VALU_DEP_1) | instskip(SKIP_4) | instid1(SALU_CYCLE_1)
	v_cmp_lt_f64_e32 vcc_lo, v[205:206], v[209:210]
	v_dual_cndmask_b32 v186, v186, v203 :: v_dual_cndmask_b32 v185, v185, v202
	v_dual_cndmask_b32 v184, v184, v201 :: v_dual_cndmask_b32 v187, v187, v204
	v_cndmask_b32_e64 v192, v192, s6, vcc_lo
	s_add_i32 s6, s6, 1
	s_cmp_lg_u32 s5, s6
	s_cbranch_scc1 .LBB90_673
.LBB90_674:
	s_set_inst_prefetch_distance 0x2
	s_waitcnt lgkmcnt(0)
	v_cmp_eq_f64_e32 vcc_lo, 0, v[184:185]
	v_cmp_eq_f64_e64 s2, 0, v[186:187]
	s_delay_alu instid0(VALU_DEP_1) | instskip(NEXT) | instid1(SALU_CYCLE_1)
	s_and_b32 s2, vcc_lo, s2
	s_and_saveexec_b32 s3, s2
	s_delay_alu instid0(SALU_CYCLE_1)
	s_xor_b32 s2, exec_lo, s3
; %bb.675:
	v_cmp_ne_u32_e32 vcc_lo, 0, v197
	v_cndmask_b32_e32 v197, 33, v197, vcc_lo
; %bb.676:
	s_and_not1_saveexec_b32 s3, s2
	s_cbranch_execz .LBB90_682
; %bb.677:
	v_cmp_gt_f64_e32 vcc_lo, 0, v[184:185]
	v_cmp_gt_f64_e64 s2, 0, v[186:187]
	v_xor_b32_e32 v193, 0x80000000, v185
	v_xor_b32_e32 v201, 0x80000000, v187
	s_delay_alu instid0(VALU_DEP_2) | instskip(NEXT) | instid1(VALU_DEP_2)
	v_cndmask_b32_e32 v202, v185, v193, vcc_lo
	v_cndmask_b32_e64 v204, v187, v201, s2
	v_cndmask_b32_e32 v201, v184, v184, vcc_lo
	v_cndmask_b32_e64 v203, v186, v186, s2
	s_mov_b32 s2, exec_lo
	s_delay_alu instid0(VALU_DEP_1)
	v_cmpx_ngt_f64_e32 v[201:202], v[203:204]
	s_xor_b32 s2, exec_lo, s2
	s_cbranch_execz .LBB90_679
; %bb.678:
	v_div_scale_f64 v[201:202], null, v[186:187], v[186:187], v[184:185]
	v_div_scale_f64 v[207:208], vcc_lo, v[184:185], v[186:187], v[184:185]
	s_delay_alu instid0(VALU_DEP_2) | instskip(SKIP_2) | instid1(VALU_DEP_1)
	v_rcp_f64_e32 v[203:204], v[201:202]
	s_waitcnt_depctr 0xfff
	v_fma_f64 v[205:206], -v[201:202], v[203:204], 1.0
	v_fma_f64 v[203:204], v[203:204], v[205:206], v[203:204]
	s_delay_alu instid0(VALU_DEP_1) | instskip(NEXT) | instid1(VALU_DEP_1)
	v_fma_f64 v[205:206], -v[201:202], v[203:204], 1.0
	v_fma_f64 v[203:204], v[203:204], v[205:206], v[203:204]
	s_delay_alu instid0(VALU_DEP_1) | instskip(NEXT) | instid1(VALU_DEP_1)
	v_mul_f64 v[205:206], v[207:208], v[203:204]
	v_fma_f64 v[201:202], -v[201:202], v[205:206], v[207:208]
	s_delay_alu instid0(VALU_DEP_1) | instskip(NEXT) | instid1(VALU_DEP_1)
	v_div_fmas_f64 v[201:202], v[201:202], v[203:204], v[205:206]
	v_div_fixup_f64 v[201:202], v[201:202], v[186:187], v[184:185]
	s_delay_alu instid0(VALU_DEP_1) | instskip(NEXT) | instid1(VALU_DEP_1)
	v_fma_f64 v[184:185], v[184:185], v[201:202], v[186:187]
	v_div_scale_f64 v[186:187], null, v[184:185], v[184:185], 1.0
	s_delay_alu instid0(VALU_DEP_1) | instskip(SKIP_2) | instid1(VALU_DEP_1)
	v_rcp_f64_e32 v[203:204], v[186:187]
	s_waitcnt_depctr 0xfff
	v_fma_f64 v[205:206], -v[186:187], v[203:204], 1.0
	v_fma_f64 v[203:204], v[203:204], v[205:206], v[203:204]
	s_delay_alu instid0(VALU_DEP_1) | instskip(NEXT) | instid1(VALU_DEP_1)
	v_fma_f64 v[205:206], -v[186:187], v[203:204], 1.0
	v_fma_f64 v[203:204], v[203:204], v[205:206], v[203:204]
	v_div_scale_f64 v[205:206], vcc_lo, 1.0, v[184:185], 1.0
	s_delay_alu instid0(VALU_DEP_1) | instskip(NEXT) | instid1(VALU_DEP_1)
	v_mul_f64 v[207:208], v[205:206], v[203:204]
	v_fma_f64 v[186:187], -v[186:187], v[207:208], v[205:206]
	s_delay_alu instid0(VALU_DEP_1) | instskip(NEXT) | instid1(VALU_DEP_1)
	v_div_fmas_f64 v[186:187], v[186:187], v[203:204], v[207:208]
	v_div_fixup_f64 v[186:187], v[186:187], v[184:185], 1.0
	s_delay_alu instid0(VALU_DEP_1)
	v_mul_f64 v[184:185], v[201:202], v[186:187]
	v_xor_b32_e32 v187, 0x80000000, v187
.LBB90_679:
	s_and_not1_saveexec_b32 s2, s2
	s_cbranch_execz .LBB90_681
; %bb.680:
	s_delay_alu instid0(VALU_DEP_1) | instskip(SKIP_1) | instid1(VALU_DEP_2)
	v_div_scale_f64 v[201:202], null, v[184:185], v[184:185], v[186:187]
	v_div_scale_f64 v[207:208], vcc_lo, v[186:187], v[184:185], v[186:187]
	v_rcp_f64_e32 v[203:204], v[201:202]
	s_waitcnt_depctr 0xfff
	v_fma_f64 v[205:206], -v[201:202], v[203:204], 1.0
	s_delay_alu instid0(VALU_DEP_1) | instskip(NEXT) | instid1(VALU_DEP_1)
	v_fma_f64 v[203:204], v[203:204], v[205:206], v[203:204]
	v_fma_f64 v[205:206], -v[201:202], v[203:204], 1.0
	s_delay_alu instid0(VALU_DEP_1) | instskip(NEXT) | instid1(VALU_DEP_1)
	v_fma_f64 v[203:204], v[203:204], v[205:206], v[203:204]
	v_mul_f64 v[205:206], v[207:208], v[203:204]
	s_delay_alu instid0(VALU_DEP_1) | instskip(NEXT) | instid1(VALU_DEP_1)
	v_fma_f64 v[201:202], -v[201:202], v[205:206], v[207:208]
	v_div_fmas_f64 v[201:202], v[201:202], v[203:204], v[205:206]
	s_delay_alu instid0(VALU_DEP_1) | instskip(NEXT) | instid1(VALU_DEP_1)
	v_div_fixup_f64 v[201:202], v[201:202], v[184:185], v[186:187]
	v_fma_f64 v[184:185], v[186:187], v[201:202], v[184:185]
	s_delay_alu instid0(VALU_DEP_1) | instskip(NEXT) | instid1(VALU_DEP_1)
	v_div_scale_f64 v[186:187], null, v[184:185], v[184:185], 1.0
	v_rcp_f64_e32 v[203:204], v[186:187]
	s_waitcnt_depctr 0xfff
	v_fma_f64 v[205:206], -v[186:187], v[203:204], 1.0
	s_delay_alu instid0(VALU_DEP_1) | instskip(NEXT) | instid1(VALU_DEP_1)
	v_fma_f64 v[203:204], v[203:204], v[205:206], v[203:204]
	v_fma_f64 v[205:206], -v[186:187], v[203:204], 1.0
	s_delay_alu instid0(VALU_DEP_1) | instskip(SKIP_1) | instid1(VALU_DEP_1)
	v_fma_f64 v[203:204], v[203:204], v[205:206], v[203:204]
	v_div_scale_f64 v[205:206], vcc_lo, 1.0, v[184:185], 1.0
	v_mul_f64 v[207:208], v[205:206], v[203:204]
	s_delay_alu instid0(VALU_DEP_1) | instskip(NEXT) | instid1(VALU_DEP_1)
	v_fma_f64 v[186:187], -v[186:187], v[207:208], v[205:206]
	v_div_fmas_f64 v[186:187], v[186:187], v[203:204], v[207:208]
	s_delay_alu instid0(VALU_DEP_1) | instskip(NEXT) | instid1(VALU_DEP_1)
	v_div_fixup_f64 v[184:185], v[186:187], v[184:185], 1.0
	v_mul_f64 v[186:187], v[201:202], -v[184:185]
.LBB90_681:
	s_or_b32 exec_lo, exec_lo, s2
.LBB90_682:
	s_delay_alu instid0(SALU_CYCLE_1) | instskip(NEXT) | instid1(SALU_CYCLE_1)
	s_or_b32 exec_lo, exec_lo, s3
	s_mov_b32 s2, exec_lo
	v_cmpx_ne_u32_e64 v200, v192
	s_xor_b32 s2, exec_lo, s2
	s_cbranch_execz .LBB90_688
; %bb.683:
	s_mov_b32 s3, exec_lo
	v_cmpx_eq_u32_e32 32, v200
	s_cbranch_execz .LBB90_687
; %bb.684:
	v_cmp_ne_u32_e32 vcc_lo, 32, v192
	s_xor_b32 s6, s4, -1
	s_delay_alu instid0(SALU_CYCLE_1) | instskip(NEXT) | instid1(SALU_CYCLE_1)
	s_and_b32 s7, s6, vcc_lo
	s_and_saveexec_b32 s6, s7
	s_cbranch_execz .LBB90_686
; %bb.685:
	v_ashrrev_i32_e32 v193, 31, v192
	s_delay_alu instid0(VALU_DEP_1) | instskip(NEXT) | instid1(VALU_DEP_1)
	v_lshlrev_b64 v[200:201], 2, v[192:193]
	v_add_co_u32 v200, vcc_lo, v190, v200
	s_delay_alu instid0(VALU_DEP_2)
	v_add_co_ci_u32_e32 v201, vcc_lo, v191, v201, vcc_lo
	s_clause 0x1
	flat_load_b32 v193, v[200:201]
	flat_load_b32 v198, v[190:191] offset:128
	s_waitcnt vmcnt(1) lgkmcnt(1)
	flat_store_b32 v[190:191], v193 offset:128
	s_waitcnt vmcnt(0) lgkmcnt(1)
	flat_store_b32 v[200:201], v198
.LBB90_686:
	s_or_b32 exec_lo, exec_lo, s6
	v_mov_b32_e32 v200, v192
	v_mov_b32_e32 v198, v192
.LBB90_687:
	s_or_b32 exec_lo, exec_lo, s3
.LBB90_688:
	s_and_not1_saveexec_b32 s2, s2
	s_cbranch_execz .LBB90_690
; %bb.689:
	v_mov_b32_e32 v200, 32
	ds_store_2addr_b64 v194, v[48:49], v[50:51] offset0:66 offset1:67
	ds_store_2addr_b64 v194, v[44:45], v[46:47] offset0:68 offset1:69
	;; [unrolled: 1-line block ×13, first 2 shown]
.LBB90_690:
	s_or_b32 exec_lo, exec_lo, s2
	s_delay_alu instid0(SALU_CYCLE_1)
	s_mov_b32 s2, exec_lo
	s_waitcnt lgkmcnt(0)
	s_waitcnt_vscnt null, 0x0
	s_barrier
	buffer_gl0_inv
	v_cmpx_lt_i32_e32 32, v200
	s_cbranch_execz .LBB90_692
; %bb.691:
	v_mul_f64 v[192:193], v[184:185], v[54:55]
	v_mul_f64 v[54:55], v[186:187], v[54:55]
	s_delay_alu instid0(VALU_DEP_2) | instskip(NEXT) | instid1(VALU_DEP_2)
	v_fma_f64 v[192:193], v[186:187], v[52:53], v[192:193]
	v_fma_f64 v[52:53], v[184:185], v[52:53], -v[54:55]
	ds_load_2addr_b64 v[184:187], v194 offset0:66 offset1:67
	s_waitcnt lgkmcnt(0)
	v_mul_f64 v[54:55], v[186:187], v[192:193]
	s_delay_alu instid0(VALU_DEP_1) | instskip(SKIP_1) | instid1(VALU_DEP_2)
	v_fma_f64 v[54:55], v[184:185], v[52:53], -v[54:55]
	v_mul_f64 v[184:185], v[184:185], v[192:193]
	v_add_f64 v[48:49], v[48:49], -v[54:55]
	s_delay_alu instid0(VALU_DEP_2) | instskip(NEXT) | instid1(VALU_DEP_1)
	v_fma_f64 v[184:185], v[186:187], v[52:53], v[184:185]
	v_add_f64 v[50:51], v[50:51], -v[184:185]
	ds_load_2addr_b64 v[184:187], v194 offset0:68 offset1:69
	s_waitcnt lgkmcnt(0)
	v_mul_f64 v[54:55], v[186:187], v[192:193]
	s_delay_alu instid0(VALU_DEP_1) | instskip(SKIP_1) | instid1(VALU_DEP_2)
	v_fma_f64 v[54:55], v[184:185], v[52:53], -v[54:55]
	v_mul_f64 v[184:185], v[184:185], v[192:193]
	v_add_f64 v[44:45], v[44:45], -v[54:55]
	s_delay_alu instid0(VALU_DEP_2) | instskip(NEXT) | instid1(VALU_DEP_1)
	v_fma_f64 v[184:185], v[186:187], v[52:53], v[184:185]
	v_add_f64 v[46:47], v[46:47], -v[184:185]
	;; [unrolled: 10-line block ×12, first 2 shown]
	ds_load_2addr_b64 v[184:187], v194 offset0:90 offset1:91
	s_waitcnt lgkmcnt(0)
	v_mul_f64 v[54:55], v[186:187], v[192:193]
	s_delay_alu instid0(VALU_DEP_1) | instskip(SKIP_1) | instid1(VALU_DEP_2)
	v_fma_f64 v[54:55], v[184:185], v[52:53], -v[54:55]
	v_mul_f64 v[184:185], v[184:185], v[192:193]
	v_add_f64 v[0:1], v[0:1], -v[54:55]
	s_delay_alu instid0(VALU_DEP_2) | instskip(SKIP_1) | instid1(VALU_DEP_2)
	v_fma_f64 v[184:185], v[186:187], v[52:53], v[184:185]
	v_dual_mov_b32 v54, v192 :: v_dual_mov_b32 v55, v193
	v_add_f64 v[2:3], v[2:3], -v[184:185]
.LBB90_692:
	s_or_b32 exec_lo, exec_lo, s2
	v_lshl_add_u32 v184, v200, 4, v194
	s_barrier
	buffer_gl0_inv
	v_mov_b32_e32 v192, 33
	ds_store_2addr_b64 v184, v[48:49], v[50:51] offset1:1
	s_waitcnt lgkmcnt(0)
	s_barrier
	buffer_gl0_inv
	ds_load_2addr_b64 v[184:187], v194 offset0:66 offset1:67
	s_cmp_lt_i32 s5, 35
	s_cbranch_scc1 .LBB90_695
; %bb.693:
	v_add3_u32 v193, v199, 0, 0x220
	v_mov_b32_e32 v192, 33
	s_mov_b32 s6, 34
	s_set_inst_prefetch_distance 0x1
	.p2align	6
.LBB90_694:                             ; =>This Inner Loop Header: Depth=1
	ds_load_2addr_b64 v[201:204], v193 offset1:1
	s_waitcnt lgkmcnt(1)
	v_cmp_gt_f64_e32 vcc_lo, 0, v[184:185]
	v_xor_b32_e32 v205, 0x80000000, v185
	v_cmp_gt_f64_e64 s2, 0, v[186:187]
	v_xor_b32_e32 v207, 0x80000000, v187
	v_add_nc_u32_e32 v193, 16, v193
	s_waitcnt lgkmcnt(0)
	v_cmp_gt_f64_e64 s3, 0, v[201:202]
	v_mov_b32_e32 v209, v201
	v_dual_mov_b32 v211, v203 :: v_dual_cndmask_b32 v206, v185, v205
	v_xor_b32_e32 v205, 0x80000000, v202
	v_cndmask_b32_e64 v208, v187, v207, s2
	v_xor_b32_e32 v207, 0x80000000, v204
	s_delay_alu instid0(VALU_DEP_3) | instskip(SKIP_2) | instid1(VALU_DEP_2)
	v_cndmask_b32_e64 v210, v202, v205, s3
	v_cmp_gt_f64_e64 s3, 0, v[203:204]
	v_cndmask_b32_e32 v205, v184, v184, vcc_lo
	v_cndmask_b32_e64 v212, v204, v207, s3
	v_cndmask_b32_e64 v207, v186, v186, s2
	s_delay_alu instid0(VALU_DEP_2) | instskip(NEXT) | instid1(VALU_DEP_2)
	v_add_f64 v[209:210], v[209:210], v[211:212]
	v_add_f64 v[205:206], v[205:206], v[207:208]
	s_delay_alu instid0(VALU_DEP_1) | instskip(SKIP_4) | instid1(SALU_CYCLE_1)
	v_cmp_lt_f64_e32 vcc_lo, v[205:206], v[209:210]
	v_dual_cndmask_b32 v186, v186, v203 :: v_dual_cndmask_b32 v185, v185, v202
	v_dual_cndmask_b32 v184, v184, v201 :: v_dual_cndmask_b32 v187, v187, v204
	v_cndmask_b32_e64 v192, v192, s6, vcc_lo
	s_add_i32 s6, s6, 1
	s_cmp_lg_u32 s5, s6
	s_cbranch_scc1 .LBB90_694
.LBB90_695:
	s_set_inst_prefetch_distance 0x2
	s_waitcnt lgkmcnt(0)
	v_cmp_eq_f64_e32 vcc_lo, 0, v[184:185]
	v_cmp_eq_f64_e64 s2, 0, v[186:187]
	s_delay_alu instid0(VALU_DEP_1) | instskip(NEXT) | instid1(SALU_CYCLE_1)
	s_and_b32 s2, vcc_lo, s2
	s_and_saveexec_b32 s3, s2
	s_delay_alu instid0(SALU_CYCLE_1)
	s_xor_b32 s2, exec_lo, s3
; %bb.696:
	v_cmp_ne_u32_e32 vcc_lo, 0, v197
	v_cndmask_b32_e32 v197, 34, v197, vcc_lo
; %bb.697:
	s_and_not1_saveexec_b32 s3, s2
	s_cbranch_execz .LBB90_703
; %bb.698:
	v_cmp_gt_f64_e32 vcc_lo, 0, v[184:185]
	v_cmp_gt_f64_e64 s2, 0, v[186:187]
	v_xor_b32_e32 v193, 0x80000000, v185
	v_xor_b32_e32 v201, 0x80000000, v187
	s_delay_alu instid0(VALU_DEP_2) | instskip(NEXT) | instid1(VALU_DEP_2)
	v_cndmask_b32_e32 v202, v185, v193, vcc_lo
	v_cndmask_b32_e64 v204, v187, v201, s2
	v_cndmask_b32_e32 v201, v184, v184, vcc_lo
	v_cndmask_b32_e64 v203, v186, v186, s2
	s_mov_b32 s2, exec_lo
	s_delay_alu instid0(VALU_DEP_1)
	v_cmpx_ngt_f64_e32 v[201:202], v[203:204]
	s_xor_b32 s2, exec_lo, s2
	s_cbranch_execz .LBB90_700
; %bb.699:
	v_div_scale_f64 v[201:202], null, v[186:187], v[186:187], v[184:185]
	v_div_scale_f64 v[207:208], vcc_lo, v[184:185], v[186:187], v[184:185]
	s_delay_alu instid0(VALU_DEP_2) | instskip(SKIP_2) | instid1(VALU_DEP_1)
	v_rcp_f64_e32 v[203:204], v[201:202]
	s_waitcnt_depctr 0xfff
	v_fma_f64 v[205:206], -v[201:202], v[203:204], 1.0
	v_fma_f64 v[203:204], v[203:204], v[205:206], v[203:204]
	s_delay_alu instid0(VALU_DEP_1) | instskip(NEXT) | instid1(VALU_DEP_1)
	v_fma_f64 v[205:206], -v[201:202], v[203:204], 1.0
	v_fma_f64 v[203:204], v[203:204], v[205:206], v[203:204]
	s_delay_alu instid0(VALU_DEP_1) | instskip(NEXT) | instid1(VALU_DEP_1)
	v_mul_f64 v[205:206], v[207:208], v[203:204]
	v_fma_f64 v[201:202], -v[201:202], v[205:206], v[207:208]
	s_delay_alu instid0(VALU_DEP_1) | instskip(NEXT) | instid1(VALU_DEP_1)
	v_div_fmas_f64 v[201:202], v[201:202], v[203:204], v[205:206]
	v_div_fixup_f64 v[201:202], v[201:202], v[186:187], v[184:185]
	s_delay_alu instid0(VALU_DEP_1) | instskip(NEXT) | instid1(VALU_DEP_1)
	v_fma_f64 v[184:185], v[184:185], v[201:202], v[186:187]
	v_div_scale_f64 v[186:187], null, v[184:185], v[184:185], 1.0
	s_delay_alu instid0(VALU_DEP_1) | instskip(SKIP_2) | instid1(VALU_DEP_1)
	v_rcp_f64_e32 v[203:204], v[186:187]
	s_waitcnt_depctr 0xfff
	v_fma_f64 v[205:206], -v[186:187], v[203:204], 1.0
	v_fma_f64 v[203:204], v[203:204], v[205:206], v[203:204]
	s_delay_alu instid0(VALU_DEP_1) | instskip(NEXT) | instid1(VALU_DEP_1)
	v_fma_f64 v[205:206], -v[186:187], v[203:204], 1.0
	v_fma_f64 v[203:204], v[203:204], v[205:206], v[203:204]
	v_div_scale_f64 v[205:206], vcc_lo, 1.0, v[184:185], 1.0
	s_delay_alu instid0(VALU_DEP_1) | instskip(NEXT) | instid1(VALU_DEP_1)
	v_mul_f64 v[207:208], v[205:206], v[203:204]
	v_fma_f64 v[186:187], -v[186:187], v[207:208], v[205:206]
	s_delay_alu instid0(VALU_DEP_1) | instskip(NEXT) | instid1(VALU_DEP_1)
	v_div_fmas_f64 v[186:187], v[186:187], v[203:204], v[207:208]
	v_div_fixup_f64 v[186:187], v[186:187], v[184:185], 1.0
	s_delay_alu instid0(VALU_DEP_1)
	v_mul_f64 v[184:185], v[201:202], v[186:187]
	v_xor_b32_e32 v187, 0x80000000, v187
.LBB90_700:
	s_and_not1_saveexec_b32 s2, s2
	s_cbranch_execz .LBB90_702
; %bb.701:
	s_delay_alu instid0(VALU_DEP_1) | instskip(SKIP_1) | instid1(VALU_DEP_2)
	v_div_scale_f64 v[201:202], null, v[184:185], v[184:185], v[186:187]
	v_div_scale_f64 v[207:208], vcc_lo, v[186:187], v[184:185], v[186:187]
	v_rcp_f64_e32 v[203:204], v[201:202]
	s_waitcnt_depctr 0xfff
	v_fma_f64 v[205:206], -v[201:202], v[203:204], 1.0
	s_delay_alu instid0(VALU_DEP_1) | instskip(NEXT) | instid1(VALU_DEP_1)
	v_fma_f64 v[203:204], v[203:204], v[205:206], v[203:204]
	v_fma_f64 v[205:206], -v[201:202], v[203:204], 1.0
	s_delay_alu instid0(VALU_DEP_1) | instskip(NEXT) | instid1(VALU_DEP_1)
	v_fma_f64 v[203:204], v[203:204], v[205:206], v[203:204]
	v_mul_f64 v[205:206], v[207:208], v[203:204]
	s_delay_alu instid0(VALU_DEP_1) | instskip(NEXT) | instid1(VALU_DEP_1)
	v_fma_f64 v[201:202], -v[201:202], v[205:206], v[207:208]
	v_div_fmas_f64 v[201:202], v[201:202], v[203:204], v[205:206]
	s_delay_alu instid0(VALU_DEP_1) | instskip(NEXT) | instid1(VALU_DEP_1)
	v_div_fixup_f64 v[201:202], v[201:202], v[184:185], v[186:187]
	v_fma_f64 v[184:185], v[186:187], v[201:202], v[184:185]
	s_delay_alu instid0(VALU_DEP_1) | instskip(NEXT) | instid1(VALU_DEP_1)
	v_div_scale_f64 v[186:187], null, v[184:185], v[184:185], 1.0
	v_rcp_f64_e32 v[203:204], v[186:187]
	s_waitcnt_depctr 0xfff
	v_fma_f64 v[205:206], -v[186:187], v[203:204], 1.0
	s_delay_alu instid0(VALU_DEP_1) | instskip(NEXT) | instid1(VALU_DEP_1)
	v_fma_f64 v[203:204], v[203:204], v[205:206], v[203:204]
	v_fma_f64 v[205:206], -v[186:187], v[203:204], 1.0
	s_delay_alu instid0(VALU_DEP_1) | instskip(SKIP_1) | instid1(VALU_DEP_1)
	v_fma_f64 v[203:204], v[203:204], v[205:206], v[203:204]
	v_div_scale_f64 v[205:206], vcc_lo, 1.0, v[184:185], 1.0
	v_mul_f64 v[207:208], v[205:206], v[203:204]
	s_delay_alu instid0(VALU_DEP_1) | instskip(NEXT) | instid1(VALU_DEP_1)
	v_fma_f64 v[186:187], -v[186:187], v[207:208], v[205:206]
	v_div_fmas_f64 v[186:187], v[186:187], v[203:204], v[207:208]
	s_delay_alu instid0(VALU_DEP_1) | instskip(NEXT) | instid1(VALU_DEP_1)
	v_div_fixup_f64 v[184:185], v[186:187], v[184:185], 1.0
	v_mul_f64 v[186:187], v[201:202], -v[184:185]
.LBB90_702:
	s_or_b32 exec_lo, exec_lo, s2
.LBB90_703:
	s_delay_alu instid0(SALU_CYCLE_1) | instskip(NEXT) | instid1(SALU_CYCLE_1)
	s_or_b32 exec_lo, exec_lo, s3
	s_mov_b32 s2, exec_lo
	v_cmpx_ne_u32_e64 v200, v192
	s_xor_b32 s2, exec_lo, s2
	s_cbranch_execz .LBB90_709
; %bb.704:
	s_mov_b32 s3, exec_lo
	v_cmpx_eq_u32_e32 33, v200
	s_cbranch_execz .LBB90_708
; %bb.705:
	v_cmp_ne_u32_e32 vcc_lo, 33, v192
	s_xor_b32 s6, s4, -1
	s_delay_alu instid0(SALU_CYCLE_1) | instskip(NEXT) | instid1(SALU_CYCLE_1)
	s_and_b32 s7, s6, vcc_lo
	s_and_saveexec_b32 s6, s7
	s_cbranch_execz .LBB90_707
; %bb.706:
	v_ashrrev_i32_e32 v193, 31, v192
	s_delay_alu instid0(VALU_DEP_1) | instskip(NEXT) | instid1(VALU_DEP_1)
	v_lshlrev_b64 v[200:201], 2, v[192:193]
	v_add_co_u32 v200, vcc_lo, v190, v200
	s_delay_alu instid0(VALU_DEP_2)
	v_add_co_ci_u32_e32 v201, vcc_lo, v191, v201, vcc_lo
	s_clause 0x1
	flat_load_b32 v193, v[200:201]
	flat_load_b32 v198, v[190:191] offset:132
	s_waitcnt vmcnt(1) lgkmcnt(1)
	flat_store_b32 v[190:191], v193 offset:132
	s_waitcnt vmcnt(0) lgkmcnt(1)
	flat_store_b32 v[200:201], v198
.LBB90_707:
	s_or_b32 exec_lo, exec_lo, s6
	v_mov_b32_e32 v200, v192
	v_mov_b32_e32 v198, v192
.LBB90_708:
	s_or_b32 exec_lo, exec_lo, s3
.LBB90_709:
	s_and_not1_saveexec_b32 s2, s2
	s_cbranch_execz .LBB90_711
; %bb.710:
	v_mov_b32_e32 v200, 33
	ds_store_2addr_b64 v194, v[44:45], v[46:47] offset0:68 offset1:69
	ds_store_2addr_b64 v194, v[40:41], v[42:43] offset0:70 offset1:71
	;; [unrolled: 1-line block ×12, first 2 shown]
.LBB90_711:
	s_or_b32 exec_lo, exec_lo, s2
	s_delay_alu instid0(SALU_CYCLE_1)
	s_mov_b32 s2, exec_lo
	s_waitcnt lgkmcnt(0)
	s_waitcnt_vscnt null, 0x0
	s_barrier
	buffer_gl0_inv
	v_cmpx_lt_i32_e32 33, v200
	s_cbranch_execz .LBB90_713
; %bb.712:
	v_mul_f64 v[192:193], v[184:185], v[50:51]
	v_mul_f64 v[50:51], v[186:187], v[50:51]
	s_delay_alu instid0(VALU_DEP_2) | instskip(NEXT) | instid1(VALU_DEP_2)
	v_fma_f64 v[192:193], v[186:187], v[48:49], v[192:193]
	v_fma_f64 v[48:49], v[184:185], v[48:49], -v[50:51]
	ds_load_2addr_b64 v[184:187], v194 offset0:68 offset1:69
	s_waitcnt lgkmcnt(0)
	v_mul_f64 v[50:51], v[186:187], v[192:193]
	s_delay_alu instid0(VALU_DEP_1) | instskip(SKIP_1) | instid1(VALU_DEP_2)
	v_fma_f64 v[50:51], v[184:185], v[48:49], -v[50:51]
	v_mul_f64 v[184:185], v[184:185], v[192:193]
	v_add_f64 v[44:45], v[44:45], -v[50:51]
	s_delay_alu instid0(VALU_DEP_2) | instskip(NEXT) | instid1(VALU_DEP_1)
	v_fma_f64 v[184:185], v[186:187], v[48:49], v[184:185]
	v_add_f64 v[46:47], v[46:47], -v[184:185]
	ds_load_2addr_b64 v[184:187], v194 offset0:70 offset1:71
	s_waitcnt lgkmcnt(0)
	v_mul_f64 v[50:51], v[186:187], v[192:193]
	s_delay_alu instid0(VALU_DEP_1) | instskip(SKIP_1) | instid1(VALU_DEP_2)
	v_fma_f64 v[50:51], v[184:185], v[48:49], -v[50:51]
	v_mul_f64 v[184:185], v[184:185], v[192:193]
	v_add_f64 v[40:41], v[40:41], -v[50:51]
	s_delay_alu instid0(VALU_DEP_2) | instskip(NEXT) | instid1(VALU_DEP_1)
	v_fma_f64 v[184:185], v[186:187], v[48:49], v[184:185]
	v_add_f64 v[42:43], v[42:43], -v[184:185]
	;; [unrolled: 10-line block ×11, first 2 shown]
	ds_load_2addr_b64 v[184:187], v194 offset0:90 offset1:91
	s_waitcnt lgkmcnt(0)
	v_mul_f64 v[50:51], v[186:187], v[192:193]
	s_delay_alu instid0(VALU_DEP_1) | instskip(SKIP_1) | instid1(VALU_DEP_2)
	v_fma_f64 v[50:51], v[184:185], v[48:49], -v[50:51]
	v_mul_f64 v[184:185], v[184:185], v[192:193]
	v_add_f64 v[0:1], v[0:1], -v[50:51]
	s_delay_alu instid0(VALU_DEP_2) | instskip(SKIP_1) | instid1(VALU_DEP_2)
	v_fma_f64 v[184:185], v[186:187], v[48:49], v[184:185]
	v_dual_mov_b32 v50, v192 :: v_dual_mov_b32 v51, v193
	v_add_f64 v[2:3], v[2:3], -v[184:185]
.LBB90_713:
	s_or_b32 exec_lo, exec_lo, s2
	v_lshl_add_u32 v184, v200, 4, v194
	s_barrier
	buffer_gl0_inv
	v_mov_b32_e32 v192, 34
	ds_store_2addr_b64 v184, v[44:45], v[46:47] offset1:1
	s_waitcnt lgkmcnt(0)
	s_barrier
	buffer_gl0_inv
	ds_load_2addr_b64 v[184:187], v194 offset0:68 offset1:69
	s_cmp_lt_i32 s5, 36
	s_cbranch_scc1 .LBB90_716
; %bb.714:
	v_add3_u32 v193, v199, 0, 0x230
	v_mov_b32_e32 v192, 34
	s_mov_b32 s6, 35
	s_set_inst_prefetch_distance 0x1
	.p2align	6
.LBB90_715:                             ; =>This Inner Loop Header: Depth=1
	ds_load_2addr_b64 v[201:204], v193 offset1:1
	s_waitcnt lgkmcnt(1)
	v_cmp_gt_f64_e32 vcc_lo, 0, v[184:185]
	v_xor_b32_e32 v205, 0x80000000, v185
	v_cmp_gt_f64_e64 s2, 0, v[186:187]
	v_xor_b32_e32 v207, 0x80000000, v187
	v_add_nc_u32_e32 v193, 16, v193
	s_waitcnt lgkmcnt(0)
	v_cmp_gt_f64_e64 s3, 0, v[201:202]
	v_mov_b32_e32 v209, v201
	v_dual_mov_b32 v211, v203 :: v_dual_cndmask_b32 v206, v185, v205
	v_xor_b32_e32 v205, 0x80000000, v202
	v_cndmask_b32_e64 v208, v187, v207, s2
	v_xor_b32_e32 v207, 0x80000000, v204
	s_delay_alu instid0(VALU_DEP_3) | instskip(SKIP_2) | instid1(VALU_DEP_2)
	v_cndmask_b32_e64 v210, v202, v205, s3
	v_cmp_gt_f64_e64 s3, 0, v[203:204]
	v_cndmask_b32_e32 v205, v184, v184, vcc_lo
	v_cndmask_b32_e64 v212, v204, v207, s3
	v_cndmask_b32_e64 v207, v186, v186, s2
	s_delay_alu instid0(VALU_DEP_2) | instskip(NEXT) | instid1(VALU_DEP_2)
	v_add_f64 v[209:210], v[209:210], v[211:212]
	v_add_f64 v[205:206], v[205:206], v[207:208]
	s_delay_alu instid0(VALU_DEP_1) | instskip(SKIP_4) | instid1(SALU_CYCLE_1)
	v_cmp_lt_f64_e32 vcc_lo, v[205:206], v[209:210]
	v_dual_cndmask_b32 v186, v186, v203 :: v_dual_cndmask_b32 v185, v185, v202
	v_dual_cndmask_b32 v184, v184, v201 :: v_dual_cndmask_b32 v187, v187, v204
	v_cndmask_b32_e64 v192, v192, s6, vcc_lo
	s_add_i32 s6, s6, 1
	s_cmp_lg_u32 s5, s6
	s_cbranch_scc1 .LBB90_715
.LBB90_716:
	s_set_inst_prefetch_distance 0x2
	s_waitcnt lgkmcnt(0)
	v_cmp_eq_f64_e32 vcc_lo, 0, v[184:185]
	v_cmp_eq_f64_e64 s2, 0, v[186:187]
	s_delay_alu instid0(VALU_DEP_1) | instskip(NEXT) | instid1(SALU_CYCLE_1)
	s_and_b32 s2, vcc_lo, s2
	s_and_saveexec_b32 s3, s2
	s_delay_alu instid0(SALU_CYCLE_1)
	s_xor_b32 s2, exec_lo, s3
; %bb.717:
	v_cmp_ne_u32_e32 vcc_lo, 0, v197
	v_cndmask_b32_e32 v197, 35, v197, vcc_lo
; %bb.718:
	s_and_not1_saveexec_b32 s3, s2
	s_cbranch_execz .LBB90_724
; %bb.719:
	v_cmp_gt_f64_e32 vcc_lo, 0, v[184:185]
	v_cmp_gt_f64_e64 s2, 0, v[186:187]
	v_xor_b32_e32 v193, 0x80000000, v185
	v_xor_b32_e32 v201, 0x80000000, v187
	s_delay_alu instid0(VALU_DEP_2) | instskip(NEXT) | instid1(VALU_DEP_2)
	v_cndmask_b32_e32 v202, v185, v193, vcc_lo
	v_cndmask_b32_e64 v204, v187, v201, s2
	v_cndmask_b32_e32 v201, v184, v184, vcc_lo
	v_cndmask_b32_e64 v203, v186, v186, s2
	s_mov_b32 s2, exec_lo
	s_delay_alu instid0(VALU_DEP_1)
	v_cmpx_ngt_f64_e32 v[201:202], v[203:204]
	s_xor_b32 s2, exec_lo, s2
	s_cbranch_execz .LBB90_721
; %bb.720:
	v_div_scale_f64 v[201:202], null, v[186:187], v[186:187], v[184:185]
	v_div_scale_f64 v[207:208], vcc_lo, v[184:185], v[186:187], v[184:185]
	s_delay_alu instid0(VALU_DEP_2) | instskip(SKIP_2) | instid1(VALU_DEP_1)
	v_rcp_f64_e32 v[203:204], v[201:202]
	s_waitcnt_depctr 0xfff
	v_fma_f64 v[205:206], -v[201:202], v[203:204], 1.0
	v_fma_f64 v[203:204], v[203:204], v[205:206], v[203:204]
	s_delay_alu instid0(VALU_DEP_1) | instskip(NEXT) | instid1(VALU_DEP_1)
	v_fma_f64 v[205:206], -v[201:202], v[203:204], 1.0
	v_fma_f64 v[203:204], v[203:204], v[205:206], v[203:204]
	s_delay_alu instid0(VALU_DEP_1) | instskip(NEXT) | instid1(VALU_DEP_1)
	v_mul_f64 v[205:206], v[207:208], v[203:204]
	v_fma_f64 v[201:202], -v[201:202], v[205:206], v[207:208]
	s_delay_alu instid0(VALU_DEP_1) | instskip(NEXT) | instid1(VALU_DEP_1)
	v_div_fmas_f64 v[201:202], v[201:202], v[203:204], v[205:206]
	v_div_fixup_f64 v[201:202], v[201:202], v[186:187], v[184:185]
	s_delay_alu instid0(VALU_DEP_1) | instskip(NEXT) | instid1(VALU_DEP_1)
	v_fma_f64 v[184:185], v[184:185], v[201:202], v[186:187]
	v_div_scale_f64 v[186:187], null, v[184:185], v[184:185], 1.0
	s_delay_alu instid0(VALU_DEP_1) | instskip(SKIP_2) | instid1(VALU_DEP_1)
	v_rcp_f64_e32 v[203:204], v[186:187]
	s_waitcnt_depctr 0xfff
	v_fma_f64 v[205:206], -v[186:187], v[203:204], 1.0
	v_fma_f64 v[203:204], v[203:204], v[205:206], v[203:204]
	s_delay_alu instid0(VALU_DEP_1) | instskip(NEXT) | instid1(VALU_DEP_1)
	v_fma_f64 v[205:206], -v[186:187], v[203:204], 1.0
	v_fma_f64 v[203:204], v[203:204], v[205:206], v[203:204]
	v_div_scale_f64 v[205:206], vcc_lo, 1.0, v[184:185], 1.0
	s_delay_alu instid0(VALU_DEP_1) | instskip(NEXT) | instid1(VALU_DEP_1)
	v_mul_f64 v[207:208], v[205:206], v[203:204]
	v_fma_f64 v[186:187], -v[186:187], v[207:208], v[205:206]
	s_delay_alu instid0(VALU_DEP_1) | instskip(NEXT) | instid1(VALU_DEP_1)
	v_div_fmas_f64 v[186:187], v[186:187], v[203:204], v[207:208]
	v_div_fixup_f64 v[186:187], v[186:187], v[184:185], 1.0
	s_delay_alu instid0(VALU_DEP_1)
	v_mul_f64 v[184:185], v[201:202], v[186:187]
	v_xor_b32_e32 v187, 0x80000000, v187
.LBB90_721:
	s_and_not1_saveexec_b32 s2, s2
	s_cbranch_execz .LBB90_723
; %bb.722:
	s_delay_alu instid0(VALU_DEP_1) | instskip(SKIP_1) | instid1(VALU_DEP_2)
	v_div_scale_f64 v[201:202], null, v[184:185], v[184:185], v[186:187]
	v_div_scale_f64 v[207:208], vcc_lo, v[186:187], v[184:185], v[186:187]
	v_rcp_f64_e32 v[203:204], v[201:202]
	s_waitcnt_depctr 0xfff
	v_fma_f64 v[205:206], -v[201:202], v[203:204], 1.0
	s_delay_alu instid0(VALU_DEP_1) | instskip(NEXT) | instid1(VALU_DEP_1)
	v_fma_f64 v[203:204], v[203:204], v[205:206], v[203:204]
	v_fma_f64 v[205:206], -v[201:202], v[203:204], 1.0
	s_delay_alu instid0(VALU_DEP_1) | instskip(NEXT) | instid1(VALU_DEP_1)
	v_fma_f64 v[203:204], v[203:204], v[205:206], v[203:204]
	v_mul_f64 v[205:206], v[207:208], v[203:204]
	s_delay_alu instid0(VALU_DEP_1) | instskip(NEXT) | instid1(VALU_DEP_1)
	v_fma_f64 v[201:202], -v[201:202], v[205:206], v[207:208]
	v_div_fmas_f64 v[201:202], v[201:202], v[203:204], v[205:206]
	s_delay_alu instid0(VALU_DEP_1) | instskip(NEXT) | instid1(VALU_DEP_1)
	v_div_fixup_f64 v[201:202], v[201:202], v[184:185], v[186:187]
	v_fma_f64 v[184:185], v[186:187], v[201:202], v[184:185]
	s_delay_alu instid0(VALU_DEP_1) | instskip(NEXT) | instid1(VALU_DEP_1)
	v_div_scale_f64 v[186:187], null, v[184:185], v[184:185], 1.0
	v_rcp_f64_e32 v[203:204], v[186:187]
	s_waitcnt_depctr 0xfff
	v_fma_f64 v[205:206], -v[186:187], v[203:204], 1.0
	s_delay_alu instid0(VALU_DEP_1) | instskip(NEXT) | instid1(VALU_DEP_1)
	v_fma_f64 v[203:204], v[203:204], v[205:206], v[203:204]
	v_fma_f64 v[205:206], -v[186:187], v[203:204], 1.0
	s_delay_alu instid0(VALU_DEP_1) | instskip(SKIP_1) | instid1(VALU_DEP_1)
	v_fma_f64 v[203:204], v[203:204], v[205:206], v[203:204]
	v_div_scale_f64 v[205:206], vcc_lo, 1.0, v[184:185], 1.0
	v_mul_f64 v[207:208], v[205:206], v[203:204]
	s_delay_alu instid0(VALU_DEP_1) | instskip(NEXT) | instid1(VALU_DEP_1)
	v_fma_f64 v[186:187], -v[186:187], v[207:208], v[205:206]
	v_div_fmas_f64 v[186:187], v[186:187], v[203:204], v[207:208]
	s_delay_alu instid0(VALU_DEP_1) | instskip(NEXT) | instid1(VALU_DEP_1)
	v_div_fixup_f64 v[184:185], v[186:187], v[184:185], 1.0
	v_mul_f64 v[186:187], v[201:202], -v[184:185]
.LBB90_723:
	s_or_b32 exec_lo, exec_lo, s2
.LBB90_724:
	s_delay_alu instid0(SALU_CYCLE_1) | instskip(NEXT) | instid1(SALU_CYCLE_1)
	s_or_b32 exec_lo, exec_lo, s3
	s_mov_b32 s2, exec_lo
	v_cmpx_ne_u32_e64 v200, v192
	s_xor_b32 s2, exec_lo, s2
	s_cbranch_execz .LBB90_730
; %bb.725:
	s_mov_b32 s3, exec_lo
	v_cmpx_eq_u32_e32 34, v200
	s_cbranch_execz .LBB90_729
; %bb.726:
	v_cmp_ne_u32_e32 vcc_lo, 34, v192
	s_xor_b32 s6, s4, -1
	s_delay_alu instid0(SALU_CYCLE_1) | instskip(NEXT) | instid1(SALU_CYCLE_1)
	s_and_b32 s7, s6, vcc_lo
	s_and_saveexec_b32 s6, s7
	s_cbranch_execz .LBB90_728
; %bb.727:
	v_ashrrev_i32_e32 v193, 31, v192
	s_delay_alu instid0(VALU_DEP_1) | instskip(NEXT) | instid1(VALU_DEP_1)
	v_lshlrev_b64 v[200:201], 2, v[192:193]
	v_add_co_u32 v200, vcc_lo, v190, v200
	s_delay_alu instid0(VALU_DEP_2)
	v_add_co_ci_u32_e32 v201, vcc_lo, v191, v201, vcc_lo
	s_clause 0x1
	flat_load_b32 v193, v[200:201]
	flat_load_b32 v198, v[190:191] offset:136
	s_waitcnt vmcnt(1) lgkmcnt(1)
	flat_store_b32 v[190:191], v193 offset:136
	s_waitcnt vmcnt(0) lgkmcnt(1)
	flat_store_b32 v[200:201], v198
.LBB90_728:
	s_or_b32 exec_lo, exec_lo, s6
	v_mov_b32_e32 v200, v192
	v_mov_b32_e32 v198, v192
.LBB90_729:
	s_or_b32 exec_lo, exec_lo, s3
.LBB90_730:
	s_and_not1_saveexec_b32 s2, s2
	s_cbranch_execz .LBB90_732
; %bb.731:
	v_mov_b32_e32 v200, 34
	ds_store_2addr_b64 v194, v[40:41], v[42:43] offset0:70 offset1:71
	ds_store_2addr_b64 v194, v[36:37], v[38:39] offset0:72 offset1:73
	;; [unrolled: 1-line block ×11, first 2 shown]
.LBB90_732:
	s_or_b32 exec_lo, exec_lo, s2
	s_delay_alu instid0(SALU_CYCLE_1)
	s_mov_b32 s2, exec_lo
	s_waitcnt lgkmcnt(0)
	s_waitcnt_vscnt null, 0x0
	s_barrier
	buffer_gl0_inv
	v_cmpx_lt_i32_e32 34, v200
	s_cbranch_execz .LBB90_734
; %bb.733:
	v_mul_f64 v[192:193], v[184:185], v[46:47]
	v_mul_f64 v[46:47], v[186:187], v[46:47]
	s_delay_alu instid0(VALU_DEP_2) | instskip(NEXT) | instid1(VALU_DEP_2)
	v_fma_f64 v[192:193], v[186:187], v[44:45], v[192:193]
	v_fma_f64 v[44:45], v[184:185], v[44:45], -v[46:47]
	ds_load_2addr_b64 v[184:187], v194 offset0:70 offset1:71
	s_waitcnt lgkmcnt(0)
	v_mul_f64 v[46:47], v[186:187], v[192:193]
	s_delay_alu instid0(VALU_DEP_1) | instskip(SKIP_1) | instid1(VALU_DEP_2)
	v_fma_f64 v[46:47], v[184:185], v[44:45], -v[46:47]
	v_mul_f64 v[184:185], v[184:185], v[192:193]
	v_add_f64 v[40:41], v[40:41], -v[46:47]
	s_delay_alu instid0(VALU_DEP_2) | instskip(NEXT) | instid1(VALU_DEP_1)
	v_fma_f64 v[184:185], v[186:187], v[44:45], v[184:185]
	v_add_f64 v[42:43], v[42:43], -v[184:185]
	ds_load_2addr_b64 v[184:187], v194 offset0:72 offset1:73
	s_waitcnt lgkmcnt(0)
	v_mul_f64 v[46:47], v[186:187], v[192:193]
	s_delay_alu instid0(VALU_DEP_1) | instskip(SKIP_1) | instid1(VALU_DEP_2)
	v_fma_f64 v[46:47], v[184:185], v[44:45], -v[46:47]
	v_mul_f64 v[184:185], v[184:185], v[192:193]
	v_add_f64 v[36:37], v[36:37], -v[46:47]
	s_delay_alu instid0(VALU_DEP_2) | instskip(NEXT) | instid1(VALU_DEP_1)
	v_fma_f64 v[184:185], v[186:187], v[44:45], v[184:185]
	v_add_f64 v[38:39], v[38:39], -v[184:185]
	;; [unrolled: 10-line block ×10, first 2 shown]
	ds_load_2addr_b64 v[184:187], v194 offset0:90 offset1:91
	s_waitcnt lgkmcnt(0)
	v_mul_f64 v[46:47], v[186:187], v[192:193]
	s_delay_alu instid0(VALU_DEP_1) | instskip(SKIP_1) | instid1(VALU_DEP_2)
	v_fma_f64 v[46:47], v[184:185], v[44:45], -v[46:47]
	v_mul_f64 v[184:185], v[184:185], v[192:193]
	v_add_f64 v[0:1], v[0:1], -v[46:47]
	s_delay_alu instid0(VALU_DEP_2) | instskip(SKIP_1) | instid1(VALU_DEP_2)
	v_fma_f64 v[184:185], v[186:187], v[44:45], v[184:185]
	v_dual_mov_b32 v46, v192 :: v_dual_mov_b32 v47, v193
	v_add_f64 v[2:3], v[2:3], -v[184:185]
.LBB90_734:
	s_or_b32 exec_lo, exec_lo, s2
	v_lshl_add_u32 v184, v200, 4, v194
	s_barrier
	buffer_gl0_inv
	v_mov_b32_e32 v192, 35
	ds_store_2addr_b64 v184, v[40:41], v[42:43] offset1:1
	s_waitcnt lgkmcnt(0)
	s_barrier
	buffer_gl0_inv
	ds_load_2addr_b64 v[184:187], v194 offset0:70 offset1:71
	s_cmp_lt_i32 s5, 37
	s_cbranch_scc1 .LBB90_737
; %bb.735:
	v_add3_u32 v193, v199, 0, 0x240
	v_mov_b32_e32 v192, 35
	s_mov_b32 s6, 36
	s_set_inst_prefetch_distance 0x1
	.p2align	6
.LBB90_736:                             ; =>This Inner Loop Header: Depth=1
	ds_load_2addr_b64 v[201:204], v193 offset1:1
	s_waitcnt lgkmcnt(1)
	v_cmp_gt_f64_e32 vcc_lo, 0, v[184:185]
	v_xor_b32_e32 v205, 0x80000000, v185
	v_cmp_gt_f64_e64 s2, 0, v[186:187]
	v_xor_b32_e32 v207, 0x80000000, v187
	v_add_nc_u32_e32 v193, 16, v193
	s_waitcnt lgkmcnt(0)
	v_cmp_gt_f64_e64 s3, 0, v[201:202]
	v_mov_b32_e32 v209, v201
	v_dual_mov_b32 v211, v203 :: v_dual_cndmask_b32 v206, v185, v205
	v_xor_b32_e32 v205, 0x80000000, v202
	v_cndmask_b32_e64 v208, v187, v207, s2
	v_xor_b32_e32 v207, 0x80000000, v204
	s_delay_alu instid0(VALU_DEP_3) | instskip(SKIP_2) | instid1(VALU_DEP_2)
	v_cndmask_b32_e64 v210, v202, v205, s3
	v_cmp_gt_f64_e64 s3, 0, v[203:204]
	v_cndmask_b32_e32 v205, v184, v184, vcc_lo
	v_cndmask_b32_e64 v212, v204, v207, s3
	v_cndmask_b32_e64 v207, v186, v186, s2
	s_delay_alu instid0(VALU_DEP_2) | instskip(NEXT) | instid1(VALU_DEP_2)
	v_add_f64 v[209:210], v[209:210], v[211:212]
	v_add_f64 v[205:206], v[205:206], v[207:208]
	s_delay_alu instid0(VALU_DEP_1) | instskip(SKIP_4) | instid1(SALU_CYCLE_1)
	v_cmp_lt_f64_e32 vcc_lo, v[205:206], v[209:210]
	v_dual_cndmask_b32 v186, v186, v203 :: v_dual_cndmask_b32 v185, v185, v202
	v_dual_cndmask_b32 v184, v184, v201 :: v_dual_cndmask_b32 v187, v187, v204
	v_cndmask_b32_e64 v192, v192, s6, vcc_lo
	s_add_i32 s6, s6, 1
	s_cmp_lg_u32 s5, s6
	s_cbranch_scc1 .LBB90_736
.LBB90_737:
	s_set_inst_prefetch_distance 0x2
	s_waitcnt lgkmcnt(0)
	v_cmp_eq_f64_e32 vcc_lo, 0, v[184:185]
	v_cmp_eq_f64_e64 s2, 0, v[186:187]
	s_delay_alu instid0(VALU_DEP_1) | instskip(NEXT) | instid1(SALU_CYCLE_1)
	s_and_b32 s2, vcc_lo, s2
	s_and_saveexec_b32 s3, s2
	s_delay_alu instid0(SALU_CYCLE_1)
	s_xor_b32 s2, exec_lo, s3
; %bb.738:
	v_cmp_ne_u32_e32 vcc_lo, 0, v197
	v_cndmask_b32_e32 v197, 36, v197, vcc_lo
; %bb.739:
	s_and_not1_saveexec_b32 s3, s2
	s_cbranch_execz .LBB90_745
; %bb.740:
	v_cmp_gt_f64_e32 vcc_lo, 0, v[184:185]
	v_cmp_gt_f64_e64 s2, 0, v[186:187]
	v_xor_b32_e32 v193, 0x80000000, v185
	v_xor_b32_e32 v201, 0x80000000, v187
	s_delay_alu instid0(VALU_DEP_2) | instskip(NEXT) | instid1(VALU_DEP_2)
	v_cndmask_b32_e32 v202, v185, v193, vcc_lo
	v_cndmask_b32_e64 v204, v187, v201, s2
	v_cndmask_b32_e32 v201, v184, v184, vcc_lo
	v_cndmask_b32_e64 v203, v186, v186, s2
	s_mov_b32 s2, exec_lo
	s_delay_alu instid0(VALU_DEP_1)
	v_cmpx_ngt_f64_e32 v[201:202], v[203:204]
	s_xor_b32 s2, exec_lo, s2
	s_cbranch_execz .LBB90_742
; %bb.741:
	v_div_scale_f64 v[201:202], null, v[186:187], v[186:187], v[184:185]
	v_div_scale_f64 v[207:208], vcc_lo, v[184:185], v[186:187], v[184:185]
	s_delay_alu instid0(VALU_DEP_2) | instskip(SKIP_2) | instid1(VALU_DEP_1)
	v_rcp_f64_e32 v[203:204], v[201:202]
	s_waitcnt_depctr 0xfff
	v_fma_f64 v[205:206], -v[201:202], v[203:204], 1.0
	v_fma_f64 v[203:204], v[203:204], v[205:206], v[203:204]
	s_delay_alu instid0(VALU_DEP_1) | instskip(NEXT) | instid1(VALU_DEP_1)
	v_fma_f64 v[205:206], -v[201:202], v[203:204], 1.0
	v_fma_f64 v[203:204], v[203:204], v[205:206], v[203:204]
	s_delay_alu instid0(VALU_DEP_1) | instskip(NEXT) | instid1(VALU_DEP_1)
	v_mul_f64 v[205:206], v[207:208], v[203:204]
	v_fma_f64 v[201:202], -v[201:202], v[205:206], v[207:208]
	s_delay_alu instid0(VALU_DEP_1) | instskip(NEXT) | instid1(VALU_DEP_1)
	v_div_fmas_f64 v[201:202], v[201:202], v[203:204], v[205:206]
	v_div_fixup_f64 v[201:202], v[201:202], v[186:187], v[184:185]
	s_delay_alu instid0(VALU_DEP_1) | instskip(NEXT) | instid1(VALU_DEP_1)
	v_fma_f64 v[184:185], v[184:185], v[201:202], v[186:187]
	v_div_scale_f64 v[186:187], null, v[184:185], v[184:185], 1.0
	s_delay_alu instid0(VALU_DEP_1) | instskip(SKIP_2) | instid1(VALU_DEP_1)
	v_rcp_f64_e32 v[203:204], v[186:187]
	s_waitcnt_depctr 0xfff
	v_fma_f64 v[205:206], -v[186:187], v[203:204], 1.0
	v_fma_f64 v[203:204], v[203:204], v[205:206], v[203:204]
	s_delay_alu instid0(VALU_DEP_1) | instskip(NEXT) | instid1(VALU_DEP_1)
	v_fma_f64 v[205:206], -v[186:187], v[203:204], 1.0
	v_fma_f64 v[203:204], v[203:204], v[205:206], v[203:204]
	v_div_scale_f64 v[205:206], vcc_lo, 1.0, v[184:185], 1.0
	s_delay_alu instid0(VALU_DEP_1) | instskip(NEXT) | instid1(VALU_DEP_1)
	v_mul_f64 v[207:208], v[205:206], v[203:204]
	v_fma_f64 v[186:187], -v[186:187], v[207:208], v[205:206]
	s_delay_alu instid0(VALU_DEP_1) | instskip(NEXT) | instid1(VALU_DEP_1)
	v_div_fmas_f64 v[186:187], v[186:187], v[203:204], v[207:208]
	v_div_fixup_f64 v[186:187], v[186:187], v[184:185], 1.0
	s_delay_alu instid0(VALU_DEP_1)
	v_mul_f64 v[184:185], v[201:202], v[186:187]
	v_xor_b32_e32 v187, 0x80000000, v187
.LBB90_742:
	s_and_not1_saveexec_b32 s2, s2
	s_cbranch_execz .LBB90_744
; %bb.743:
	s_delay_alu instid0(VALU_DEP_1) | instskip(SKIP_1) | instid1(VALU_DEP_2)
	v_div_scale_f64 v[201:202], null, v[184:185], v[184:185], v[186:187]
	v_div_scale_f64 v[207:208], vcc_lo, v[186:187], v[184:185], v[186:187]
	v_rcp_f64_e32 v[203:204], v[201:202]
	s_waitcnt_depctr 0xfff
	v_fma_f64 v[205:206], -v[201:202], v[203:204], 1.0
	s_delay_alu instid0(VALU_DEP_1) | instskip(NEXT) | instid1(VALU_DEP_1)
	v_fma_f64 v[203:204], v[203:204], v[205:206], v[203:204]
	v_fma_f64 v[205:206], -v[201:202], v[203:204], 1.0
	s_delay_alu instid0(VALU_DEP_1) | instskip(NEXT) | instid1(VALU_DEP_1)
	v_fma_f64 v[203:204], v[203:204], v[205:206], v[203:204]
	v_mul_f64 v[205:206], v[207:208], v[203:204]
	s_delay_alu instid0(VALU_DEP_1) | instskip(NEXT) | instid1(VALU_DEP_1)
	v_fma_f64 v[201:202], -v[201:202], v[205:206], v[207:208]
	v_div_fmas_f64 v[201:202], v[201:202], v[203:204], v[205:206]
	s_delay_alu instid0(VALU_DEP_1) | instskip(NEXT) | instid1(VALU_DEP_1)
	v_div_fixup_f64 v[201:202], v[201:202], v[184:185], v[186:187]
	v_fma_f64 v[184:185], v[186:187], v[201:202], v[184:185]
	s_delay_alu instid0(VALU_DEP_1) | instskip(NEXT) | instid1(VALU_DEP_1)
	v_div_scale_f64 v[186:187], null, v[184:185], v[184:185], 1.0
	v_rcp_f64_e32 v[203:204], v[186:187]
	s_waitcnt_depctr 0xfff
	v_fma_f64 v[205:206], -v[186:187], v[203:204], 1.0
	s_delay_alu instid0(VALU_DEP_1) | instskip(NEXT) | instid1(VALU_DEP_1)
	v_fma_f64 v[203:204], v[203:204], v[205:206], v[203:204]
	v_fma_f64 v[205:206], -v[186:187], v[203:204], 1.0
	s_delay_alu instid0(VALU_DEP_1) | instskip(SKIP_1) | instid1(VALU_DEP_1)
	v_fma_f64 v[203:204], v[203:204], v[205:206], v[203:204]
	v_div_scale_f64 v[205:206], vcc_lo, 1.0, v[184:185], 1.0
	v_mul_f64 v[207:208], v[205:206], v[203:204]
	s_delay_alu instid0(VALU_DEP_1) | instskip(NEXT) | instid1(VALU_DEP_1)
	v_fma_f64 v[186:187], -v[186:187], v[207:208], v[205:206]
	v_div_fmas_f64 v[186:187], v[186:187], v[203:204], v[207:208]
	s_delay_alu instid0(VALU_DEP_1) | instskip(NEXT) | instid1(VALU_DEP_1)
	v_div_fixup_f64 v[184:185], v[186:187], v[184:185], 1.0
	v_mul_f64 v[186:187], v[201:202], -v[184:185]
.LBB90_744:
	s_or_b32 exec_lo, exec_lo, s2
.LBB90_745:
	s_delay_alu instid0(SALU_CYCLE_1) | instskip(NEXT) | instid1(SALU_CYCLE_1)
	s_or_b32 exec_lo, exec_lo, s3
	s_mov_b32 s2, exec_lo
	v_cmpx_ne_u32_e64 v200, v192
	s_xor_b32 s2, exec_lo, s2
	s_cbranch_execz .LBB90_751
; %bb.746:
	s_mov_b32 s3, exec_lo
	v_cmpx_eq_u32_e32 35, v200
	s_cbranch_execz .LBB90_750
; %bb.747:
	v_cmp_ne_u32_e32 vcc_lo, 35, v192
	s_xor_b32 s6, s4, -1
	s_delay_alu instid0(SALU_CYCLE_1) | instskip(NEXT) | instid1(SALU_CYCLE_1)
	s_and_b32 s7, s6, vcc_lo
	s_and_saveexec_b32 s6, s7
	s_cbranch_execz .LBB90_749
; %bb.748:
	v_ashrrev_i32_e32 v193, 31, v192
	s_delay_alu instid0(VALU_DEP_1) | instskip(NEXT) | instid1(VALU_DEP_1)
	v_lshlrev_b64 v[200:201], 2, v[192:193]
	v_add_co_u32 v200, vcc_lo, v190, v200
	s_delay_alu instid0(VALU_DEP_2)
	v_add_co_ci_u32_e32 v201, vcc_lo, v191, v201, vcc_lo
	s_clause 0x1
	flat_load_b32 v193, v[200:201]
	flat_load_b32 v198, v[190:191] offset:140
	s_waitcnt vmcnt(1) lgkmcnt(1)
	flat_store_b32 v[190:191], v193 offset:140
	s_waitcnt vmcnt(0) lgkmcnt(1)
	flat_store_b32 v[200:201], v198
.LBB90_749:
	s_or_b32 exec_lo, exec_lo, s6
	v_mov_b32_e32 v200, v192
	v_mov_b32_e32 v198, v192
.LBB90_750:
	s_or_b32 exec_lo, exec_lo, s3
.LBB90_751:
	s_and_not1_saveexec_b32 s2, s2
	s_cbranch_execz .LBB90_753
; %bb.752:
	v_mov_b32_e32 v200, 35
	ds_store_2addr_b64 v194, v[36:37], v[38:39] offset0:72 offset1:73
	ds_store_2addr_b64 v194, v[32:33], v[34:35] offset0:74 offset1:75
	;; [unrolled: 1-line block ×10, first 2 shown]
.LBB90_753:
	s_or_b32 exec_lo, exec_lo, s2
	s_delay_alu instid0(SALU_CYCLE_1)
	s_mov_b32 s2, exec_lo
	s_waitcnt lgkmcnt(0)
	s_waitcnt_vscnt null, 0x0
	s_barrier
	buffer_gl0_inv
	v_cmpx_lt_i32_e32 35, v200
	s_cbranch_execz .LBB90_755
; %bb.754:
	v_mul_f64 v[192:193], v[184:185], v[42:43]
	v_mul_f64 v[42:43], v[186:187], v[42:43]
	s_delay_alu instid0(VALU_DEP_2) | instskip(NEXT) | instid1(VALU_DEP_2)
	v_fma_f64 v[192:193], v[186:187], v[40:41], v[192:193]
	v_fma_f64 v[40:41], v[184:185], v[40:41], -v[42:43]
	ds_load_2addr_b64 v[184:187], v194 offset0:72 offset1:73
	s_waitcnt lgkmcnt(0)
	v_mul_f64 v[42:43], v[186:187], v[192:193]
	s_delay_alu instid0(VALU_DEP_1) | instskip(SKIP_1) | instid1(VALU_DEP_2)
	v_fma_f64 v[42:43], v[184:185], v[40:41], -v[42:43]
	v_mul_f64 v[184:185], v[184:185], v[192:193]
	v_add_f64 v[36:37], v[36:37], -v[42:43]
	s_delay_alu instid0(VALU_DEP_2) | instskip(NEXT) | instid1(VALU_DEP_1)
	v_fma_f64 v[184:185], v[186:187], v[40:41], v[184:185]
	v_add_f64 v[38:39], v[38:39], -v[184:185]
	ds_load_2addr_b64 v[184:187], v194 offset0:74 offset1:75
	s_waitcnt lgkmcnt(0)
	v_mul_f64 v[42:43], v[186:187], v[192:193]
	s_delay_alu instid0(VALU_DEP_1) | instskip(SKIP_1) | instid1(VALU_DEP_2)
	v_fma_f64 v[42:43], v[184:185], v[40:41], -v[42:43]
	v_mul_f64 v[184:185], v[184:185], v[192:193]
	v_add_f64 v[32:33], v[32:33], -v[42:43]
	s_delay_alu instid0(VALU_DEP_2) | instskip(NEXT) | instid1(VALU_DEP_1)
	v_fma_f64 v[184:185], v[186:187], v[40:41], v[184:185]
	v_add_f64 v[34:35], v[34:35], -v[184:185]
	;; [unrolled: 10-line block ×9, first 2 shown]
	ds_load_2addr_b64 v[184:187], v194 offset0:90 offset1:91
	s_waitcnt lgkmcnt(0)
	v_mul_f64 v[42:43], v[186:187], v[192:193]
	s_delay_alu instid0(VALU_DEP_1) | instskip(SKIP_1) | instid1(VALU_DEP_2)
	v_fma_f64 v[42:43], v[184:185], v[40:41], -v[42:43]
	v_mul_f64 v[184:185], v[184:185], v[192:193]
	v_add_f64 v[0:1], v[0:1], -v[42:43]
	s_delay_alu instid0(VALU_DEP_2) | instskip(SKIP_1) | instid1(VALU_DEP_2)
	v_fma_f64 v[184:185], v[186:187], v[40:41], v[184:185]
	v_dual_mov_b32 v42, v192 :: v_dual_mov_b32 v43, v193
	v_add_f64 v[2:3], v[2:3], -v[184:185]
.LBB90_755:
	s_or_b32 exec_lo, exec_lo, s2
	v_lshl_add_u32 v184, v200, 4, v194
	s_barrier
	buffer_gl0_inv
	v_mov_b32_e32 v192, 36
	ds_store_2addr_b64 v184, v[36:37], v[38:39] offset1:1
	s_waitcnt lgkmcnt(0)
	s_barrier
	buffer_gl0_inv
	ds_load_2addr_b64 v[184:187], v194 offset0:72 offset1:73
	s_cmp_lt_i32 s5, 38
	s_cbranch_scc1 .LBB90_758
; %bb.756:
	v_add3_u32 v193, v199, 0, 0x250
	v_mov_b32_e32 v192, 36
	s_mov_b32 s6, 37
	s_set_inst_prefetch_distance 0x1
	.p2align	6
.LBB90_757:                             ; =>This Inner Loop Header: Depth=1
	ds_load_2addr_b64 v[201:204], v193 offset1:1
	s_waitcnt lgkmcnt(1)
	v_cmp_gt_f64_e32 vcc_lo, 0, v[184:185]
	v_xor_b32_e32 v205, 0x80000000, v185
	v_cmp_gt_f64_e64 s2, 0, v[186:187]
	v_xor_b32_e32 v207, 0x80000000, v187
	v_add_nc_u32_e32 v193, 16, v193
	s_waitcnt lgkmcnt(0)
	v_cmp_gt_f64_e64 s3, 0, v[201:202]
	v_mov_b32_e32 v209, v201
	v_dual_mov_b32 v211, v203 :: v_dual_cndmask_b32 v206, v185, v205
	v_xor_b32_e32 v205, 0x80000000, v202
	v_cndmask_b32_e64 v208, v187, v207, s2
	v_xor_b32_e32 v207, 0x80000000, v204
	s_delay_alu instid0(VALU_DEP_3) | instskip(SKIP_2) | instid1(VALU_DEP_2)
	v_cndmask_b32_e64 v210, v202, v205, s3
	v_cmp_gt_f64_e64 s3, 0, v[203:204]
	v_cndmask_b32_e32 v205, v184, v184, vcc_lo
	v_cndmask_b32_e64 v212, v204, v207, s3
	v_cndmask_b32_e64 v207, v186, v186, s2
	s_delay_alu instid0(VALU_DEP_2) | instskip(NEXT) | instid1(VALU_DEP_2)
	v_add_f64 v[209:210], v[209:210], v[211:212]
	v_add_f64 v[205:206], v[205:206], v[207:208]
	s_delay_alu instid0(VALU_DEP_1) | instskip(SKIP_4) | instid1(SALU_CYCLE_1)
	v_cmp_lt_f64_e32 vcc_lo, v[205:206], v[209:210]
	v_dual_cndmask_b32 v186, v186, v203 :: v_dual_cndmask_b32 v185, v185, v202
	v_dual_cndmask_b32 v184, v184, v201 :: v_dual_cndmask_b32 v187, v187, v204
	v_cndmask_b32_e64 v192, v192, s6, vcc_lo
	s_add_i32 s6, s6, 1
	s_cmp_lg_u32 s5, s6
	s_cbranch_scc1 .LBB90_757
.LBB90_758:
	s_set_inst_prefetch_distance 0x2
	s_waitcnt lgkmcnt(0)
	v_cmp_eq_f64_e32 vcc_lo, 0, v[184:185]
	v_cmp_eq_f64_e64 s2, 0, v[186:187]
	s_delay_alu instid0(VALU_DEP_1) | instskip(NEXT) | instid1(SALU_CYCLE_1)
	s_and_b32 s2, vcc_lo, s2
	s_and_saveexec_b32 s3, s2
	s_delay_alu instid0(SALU_CYCLE_1)
	s_xor_b32 s2, exec_lo, s3
; %bb.759:
	v_cmp_ne_u32_e32 vcc_lo, 0, v197
	v_cndmask_b32_e32 v197, 37, v197, vcc_lo
; %bb.760:
	s_and_not1_saveexec_b32 s3, s2
	s_cbranch_execz .LBB90_766
; %bb.761:
	v_cmp_gt_f64_e32 vcc_lo, 0, v[184:185]
	v_cmp_gt_f64_e64 s2, 0, v[186:187]
	v_xor_b32_e32 v193, 0x80000000, v185
	v_xor_b32_e32 v201, 0x80000000, v187
	s_delay_alu instid0(VALU_DEP_2) | instskip(NEXT) | instid1(VALU_DEP_2)
	v_cndmask_b32_e32 v202, v185, v193, vcc_lo
	v_cndmask_b32_e64 v204, v187, v201, s2
	v_cndmask_b32_e32 v201, v184, v184, vcc_lo
	v_cndmask_b32_e64 v203, v186, v186, s2
	s_mov_b32 s2, exec_lo
	s_delay_alu instid0(VALU_DEP_1)
	v_cmpx_ngt_f64_e32 v[201:202], v[203:204]
	s_xor_b32 s2, exec_lo, s2
	s_cbranch_execz .LBB90_763
; %bb.762:
	v_div_scale_f64 v[201:202], null, v[186:187], v[186:187], v[184:185]
	v_div_scale_f64 v[207:208], vcc_lo, v[184:185], v[186:187], v[184:185]
	s_delay_alu instid0(VALU_DEP_2) | instskip(SKIP_2) | instid1(VALU_DEP_1)
	v_rcp_f64_e32 v[203:204], v[201:202]
	s_waitcnt_depctr 0xfff
	v_fma_f64 v[205:206], -v[201:202], v[203:204], 1.0
	v_fma_f64 v[203:204], v[203:204], v[205:206], v[203:204]
	s_delay_alu instid0(VALU_DEP_1) | instskip(NEXT) | instid1(VALU_DEP_1)
	v_fma_f64 v[205:206], -v[201:202], v[203:204], 1.0
	v_fma_f64 v[203:204], v[203:204], v[205:206], v[203:204]
	s_delay_alu instid0(VALU_DEP_1) | instskip(NEXT) | instid1(VALU_DEP_1)
	v_mul_f64 v[205:206], v[207:208], v[203:204]
	v_fma_f64 v[201:202], -v[201:202], v[205:206], v[207:208]
	s_delay_alu instid0(VALU_DEP_1) | instskip(NEXT) | instid1(VALU_DEP_1)
	v_div_fmas_f64 v[201:202], v[201:202], v[203:204], v[205:206]
	v_div_fixup_f64 v[201:202], v[201:202], v[186:187], v[184:185]
	s_delay_alu instid0(VALU_DEP_1) | instskip(NEXT) | instid1(VALU_DEP_1)
	v_fma_f64 v[184:185], v[184:185], v[201:202], v[186:187]
	v_div_scale_f64 v[186:187], null, v[184:185], v[184:185], 1.0
	s_delay_alu instid0(VALU_DEP_1) | instskip(SKIP_2) | instid1(VALU_DEP_1)
	v_rcp_f64_e32 v[203:204], v[186:187]
	s_waitcnt_depctr 0xfff
	v_fma_f64 v[205:206], -v[186:187], v[203:204], 1.0
	v_fma_f64 v[203:204], v[203:204], v[205:206], v[203:204]
	s_delay_alu instid0(VALU_DEP_1) | instskip(NEXT) | instid1(VALU_DEP_1)
	v_fma_f64 v[205:206], -v[186:187], v[203:204], 1.0
	v_fma_f64 v[203:204], v[203:204], v[205:206], v[203:204]
	v_div_scale_f64 v[205:206], vcc_lo, 1.0, v[184:185], 1.0
	s_delay_alu instid0(VALU_DEP_1) | instskip(NEXT) | instid1(VALU_DEP_1)
	v_mul_f64 v[207:208], v[205:206], v[203:204]
	v_fma_f64 v[186:187], -v[186:187], v[207:208], v[205:206]
	s_delay_alu instid0(VALU_DEP_1) | instskip(NEXT) | instid1(VALU_DEP_1)
	v_div_fmas_f64 v[186:187], v[186:187], v[203:204], v[207:208]
	v_div_fixup_f64 v[186:187], v[186:187], v[184:185], 1.0
	s_delay_alu instid0(VALU_DEP_1)
	v_mul_f64 v[184:185], v[201:202], v[186:187]
	v_xor_b32_e32 v187, 0x80000000, v187
.LBB90_763:
	s_and_not1_saveexec_b32 s2, s2
	s_cbranch_execz .LBB90_765
; %bb.764:
	s_delay_alu instid0(VALU_DEP_1) | instskip(SKIP_1) | instid1(VALU_DEP_2)
	v_div_scale_f64 v[201:202], null, v[184:185], v[184:185], v[186:187]
	v_div_scale_f64 v[207:208], vcc_lo, v[186:187], v[184:185], v[186:187]
	v_rcp_f64_e32 v[203:204], v[201:202]
	s_waitcnt_depctr 0xfff
	v_fma_f64 v[205:206], -v[201:202], v[203:204], 1.0
	s_delay_alu instid0(VALU_DEP_1) | instskip(NEXT) | instid1(VALU_DEP_1)
	v_fma_f64 v[203:204], v[203:204], v[205:206], v[203:204]
	v_fma_f64 v[205:206], -v[201:202], v[203:204], 1.0
	s_delay_alu instid0(VALU_DEP_1) | instskip(NEXT) | instid1(VALU_DEP_1)
	v_fma_f64 v[203:204], v[203:204], v[205:206], v[203:204]
	v_mul_f64 v[205:206], v[207:208], v[203:204]
	s_delay_alu instid0(VALU_DEP_1) | instskip(NEXT) | instid1(VALU_DEP_1)
	v_fma_f64 v[201:202], -v[201:202], v[205:206], v[207:208]
	v_div_fmas_f64 v[201:202], v[201:202], v[203:204], v[205:206]
	s_delay_alu instid0(VALU_DEP_1) | instskip(NEXT) | instid1(VALU_DEP_1)
	v_div_fixup_f64 v[201:202], v[201:202], v[184:185], v[186:187]
	v_fma_f64 v[184:185], v[186:187], v[201:202], v[184:185]
	s_delay_alu instid0(VALU_DEP_1) | instskip(NEXT) | instid1(VALU_DEP_1)
	v_div_scale_f64 v[186:187], null, v[184:185], v[184:185], 1.0
	v_rcp_f64_e32 v[203:204], v[186:187]
	s_waitcnt_depctr 0xfff
	v_fma_f64 v[205:206], -v[186:187], v[203:204], 1.0
	s_delay_alu instid0(VALU_DEP_1) | instskip(NEXT) | instid1(VALU_DEP_1)
	v_fma_f64 v[203:204], v[203:204], v[205:206], v[203:204]
	v_fma_f64 v[205:206], -v[186:187], v[203:204], 1.0
	s_delay_alu instid0(VALU_DEP_1) | instskip(SKIP_1) | instid1(VALU_DEP_1)
	v_fma_f64 v[203:204], v[203:204], v[205:206], v[203:204]
	v_div_scale_f64 v[205:206], vcc_lo, 1.0, v[184:185], 1.0
	v_mul_f64 v[207:208], v[205:206], v[203:204]
	s_delay_alu instid0(VALU_DEP_1) | instskip(NEXT) | instid1(VALU_DEP_1)
	v_fma_f64 v[186:187], -v[186:187], v[207:208], v[205:206]
	v_div_fmas_f64 v[186:187], v[186:187], v[203:204], v[207:208]
	s_delay_alu instid0(VALU_DEP_1) | instskip(NEXT) | instid1(VALU_DEP_1)
	v_div_fixup_f64 v[184:185], v[186:187], v[184:185], 1.0
	v_mul_f64 v[186:187], v[201:202], -v[184:185]
.LBB90_765:
	s_or_b32 exec_lo, exec_lo, s2
.LBB90_766:
	s_delay_alu instid0(SALU_CYCLE_1) | instskip(NEXT) | instid1(SALU_CYCLE_1)
	s_or_b32 exec_lo, exec_lo, s3
	s_mov_b32 s2, exec_lo
	v_cmpx_ne_u32_e64 v200, v192
	s_xor_b32 s2, exec_lo, s2
	s_cbranch_execz .LBB90_772
; %bb.767:
	s_mov_b32 s3, exec_lo
	v_cmpx_eq_u32_e32 36, v200
	s_cbranch_execz .LBB90_771
; %bb.768:
	v_cmp_ne_u32_e32 vcc_lo, 36, v192
	s_xor_b32 s6, s4, -1
	s_delay_alu instid0(SALU_CYCLE_1) | instskip(NEXT) | instid1(SALU_CYCLE_1)
	s_and_b32 s7, s6, vcc_lo
	s_and_saveexec_b32 s6, s7
	s_cbranch_execz .LBB90_770
; %bb.769:
	v_ashrrev_i32_e32 v193, 31, v192
	s_delay_alu instid0(VALU_DEP_1) | instskip(NEXT) | instid1(VALU_DEP_1)
	v_lshlrev_b64 v[200:201], 2, v[192:193]
	v_add_co_u32 v200, vcc_lo, v190, v200
	s_delay_alu instid0(VALU_DEP_2)
	v_add_co_ci_u32_e32 v201, vcc_lo, v191, v201, vcc_lo
	s_clause 0x1
	flat_load_b32 v193, v[200:201]
	flat_load_b32 v198, v[190:191] offset:144
	s_waitcnt vmcnt(1) lgkmcnt(1)
	flat_store_b32 v[190:191], v193 offset:144
	s_waitcnt vmcnt(0) lgkmcnt(1)
	flat_store_b32 v[200:201], v198
.LBB90_770:
	s_or_b32 exec_lo, exec_lo, s6
	v_mov_b32_e32 v200, v192
	v_mov_b32_e32 v198, v192
.LBB90_771:
	s_or_b32 exec_lo, exec_lo, s3
.LBB90_772:
	s_and_not1_saveexec_b32 s2, s2
	s_cbranch_execz .LBB90_774
; %bb.773:
	v_mov_b32_e32 v200, 36
	ds_store_2addr_b64 v194, v[32:33], v[34:35] offset0:74 offset1:75
	ds_store_2addr_b64 v194, v[28:29], v[30:31] offset0:76 offset1:77
	;; [unrolled: 1-line block ×9, first 2 shown]
.LBB90_774:
	s_or_b32 exec_lo, exec_lo, s2
	s_delay_alu instid0(SALU_CYCLE_1)
	s_mov_b32 s2, exec_lo
	s_waitcnt lgkmcnt(0)
	s_waitcnt_vscnt null, 0x0
	s_barrier
	buffer_gl0_inv
	v_cmpx_lt_i32_e32 36, v200
	s_cbranch_execz .LBB90_776
; %bb.775:
	v_mul_f64 v[192:193], v[184:185], v[38:39]
	v_mul_f64 v[38:39], v[186:187], v[38:39]
	s_delay_alu instid0(VALU_DEP_2) | instskip(NEXT) | instid1(VALU_DEP_2)
	v_fma_f64 v[192:193], v[186:187], v[36:37], v[192:193]
	v_fma_f64 v[36:37], v[184:185], v[36:37], -v[38:39]
	ds_load_2addr_b64 v[184:187], v194 offset0:74 offset1:75
	s_waitcnt lgkmcnt(0)
	v_mul_f64 v[38:39], v[186:187], v[192:193]
	s_delay_alu instid0(VALU_DEP_1) | instskip(SKIP_1) | instid1(VALU_DEP_2)
	v_fma_f64 v[38:39], v[184:185], v[36:37], -v[38:39]
	v_mul_f64 v[184:185], v[184:185], v[192:193]
	v_add_f64 v[32:33], v[32:33], -v[38:39]
	s_delay_alu instid0(VALU_DEP_2) | instskip(NEXT) | instid1(VALU_DEP_1)
	v_fma_f64 v[184:185], v[186:187], v[36:37], v[184:185]
	v_add_f64 v[34:35], v[34:35], -v[184:185]
	ds_load_2addr_b64 v[184:187], v194 offset0:76 offset1:77
	s_waitcnt lgkmcnt(0)
	v_mul_f64 v[38:39], v[186:187], v[192:193]
	s_delay_alu instid0(VALU_DEP_1) | instskip(SKIP_1) | instid1(VALU_DEP_2)
	v_fma_f64 v[38:39], v[184:185], v[36:37], -v[38:39]
	v_mul_f64 v[184:185], v[184:185], v[192:193]
	v_add_f64 v[28:29], v[28:29], -v[38:39]
	s_delay_alu instid0(VALU_DEP_2) | instskip(NEXT) | instid1(VALU_DEP_1)
	v_fma_f64 v[184:185], v[186:187], v[36:37], v[184:185]
	v_add_f64 v[30:31], v[30:31], -v[184:185]
	;; [unrolled: 10-line block ×8, first 2 shown]
	ds_load_2addr_b64 v[184:187], v194 offset0:90 offset1:91
	s_waitcnt lgkmcnt(0)
	v_mul_f64 v[38:39], v[186:187], v[192:193]
	s_delay_alu instid0(VALU_DEP_1) | instskip(SKIP_1) | instid1(VALU_DEP_2)
	v_fma_f64 v[38:39], v[184:185], v[36:37], -v[38:39]
	v_mul_f64 v[184:185], v[184:185], v[192:193]
	v_add_f64 v[0:1], v[0:1], -v[38:39]
	s_delay_alu instid0(VALU_DEP_2) | instskip(SKIP_1) | instid1(VALU_DEP_2)
	v_fma_f64 v[184:185], v[186:187], v[36:37], v[184:185]
	v_dual_mov_b32 v38, v192 :: v_dual_mov_b32 v39, v193
	v_add_f64 v[2:3], v[2:3], -v[184:185]
.LBB90_776:
	s_or_b32 exec_lo, exec_lo, s2
	v_lshl_add_u32 v184, v200, 4, v194
	s_barrier
	buffer_gl0_inv
	v_mov_b32_e32 v192, 37
	ds_store_2addr_b64 v184, v[32:33], v[34:35] offset1:1
	s_waitcnt lgkmcnt(0)
	s_barrier
	buffer_gl0_inv
	ds_load_2addr_b64 v[184:187], v194 offset0:74 offset1:75
	s_cmp_lt_i32 s5, 39
	s_cbranch_scc1 .LBB90_779
; %bb.777:
	v_add3_u32 v193, v199, 0, 0x260
	v_mov_b32_e32 v192, 37
	s_mov_b32 s6, 38
	s_set_inst_prefetch_distance 0x1
	.p2align	6
.LBB90_778:                             ; =>This Inner Loop Header: Depth=1
	ds_load_2addr_b64 v[201:204], v193 offset1:1
	s_waitcnt lgkmcnt(1)
	v_cmp_gt_f64_e32 vcc_lo, 0, v[184:185]
	v_xor_b32_e32 v205, 0x80000000, v185
	v_cmp_gt_f64_e64 s2, 0, v[186:187]
	v_xor_b32_e32 v207, 0x80000000, v187
	v_add_nc_u32_e32 v193, 16, v193
	s_waitcnt lgkmcnt(0)
	v_cmp_gt_f64_e64 s3, 0, v[201:202]
	v_mov_b32_e32 v209, v201
	v_dual_mov_b32 v211, v203 :: v_dual_cndmask_b32 v206, v185, v205
	v_xor_b32_e32 v205, 0x80000000, v202
	v_cndmask_b32_e64 v208, v187, v207, s2
	v_xor_b32_e32 v207, 0x80000000, v204
	s_delay_alu instid0(VALU_DEP_3) | instskip(SKIP_2) | instid1(VALU_DEP_2)
	v_cndmask_b32_e64 v210, v202, v205, s3
	v_cmp_gt_f64_e64 s3, 0, v[203:204]
	v_cndmask_b32_e32 v205, v184, v184, vcc_lo
	v_cndmask_b32_e64 v212, v204, v207, s3
	v_cndmask_b32_e64 v207, v186, v186, s2
	s_delay_alu instid0(VALU_DEP_2) | instskip(NEXT) | instid1(VALU_DEP_2)
	v_add_f64 v[209:210], v[209:210], v[211:212]
	v_add_f64 v[205:206], v[205:206], v[207:208]
	s_delay_alu instid0(VALU_DEP_1) | instskip(SKIP_4) | instid1(SALU_CYCLE_1)
	v_cmp_lt_f64_e32 vcc_lo, v[205:206], v[209:210]
	v_dual_cndmask_b32 v186, v186, v203 :: v_dual_cndmask_b32 v185, v185, v202
	v_dual_cndmask_b32 v184, v184, v201 :: v_dual_cndmask_b32 v187, v187, v204
	v_cndmask_b32_e64 v192, v192, s6, vcc_lo
	s_add_i32 s6, s6, 1
	s_cmp_lg_u32 s5, s6
	s_cbranch_scc1 .LBB90_778
.LBB90_779:
	s_set_inst_prefetch_distance 0x2
	s_waitcnt lgkmcnt(0)
	v_cmp_eq_f64_e32 vcc_lo, 0, v[184:185]
	v_cmp_eq_f64_e64 s2, 0, v[186:187]
	s_delay_alu instid0(VALU_DEP_1) | instskip(NEXT) | instid1(SALU_CYCLE_1)
	s_and_b32 s2, vcc_lo, s2
	s_and_saveexec_b32 s3, s2
	s_delay_alu instid0(SALU_CYCLE_1)
	s_xor_b32 s2, exec_lo, s3
; %bb.780:
	v_cmp_ne_u32_e32 vcc_lo, 0, v197
	v_cndmask_b32_e32 v197, 38, v197, vcc_lo
; %bb.781:
	s_and_not1_saveexec_b32 s3, s2
	s_cbranch_execz .LBB90_787
; %bb.782:
	v_cmp_gt_f64_e32 vcc_lo, 0, v[184:185]
	v_cmp_gt_f64_e64 s2, 0, v[186:187]
	v_xor_b32_e32 v193, 0x80000000, v185
	v_xor_b32_e32 v201, 0x80000000, v187
	s_delay_alu instid0(VALU_DEP_2) | instskip(NEXT) | instid1(VALU_DEP_2)
	v_cndmask_b32_e32 v202, v185, v193, vcc_lo
	v_cndmask_b32_e64 v204, v187, v201, s2
	v_cndmask_b32_e32 v201, v184, v184, vcc_lo
	v_cndmask_b32_e64 v203, v186, v186, s2
	s_mov_b32 s2, exec_lo
	s_delay_alu instid0(VALU_DEP_1)
	v_cmpx_ngt_f64_e32 v[201:202], v[203:204]
	s_xor_b32 s2, exec_lo, s2
	s_cbranch_execz .LBB90_784
; %bb.783:
	v_div_scale_f64 v[201:202], null, v[186:187], v[186:187], v[184:185]
	v_div_scale_f64 v[207:208], vcc_lo, v[184:185], v[186:187], v[184:185]
	s_delay_alu instid0(VALU_DEP_2) | instskip(SKIP_2) | instid1(VALU_DEP_1)
	v_rcp_f64_e32 v[203:204], v[201:202]
	s_waitcnt_depctr 0xfff
	v_fma_f64 v[205:206], -v[201:202], v[203:204], 1.0
	v_fma_f64 v[203:204], v[203:204], v[205:206], v[203:204]
	s_delay_alu instid0(VALU_DEP_1) | instskip(NEXT) | instid1(VALU_DEP_1)
	v_fma_f64 v[205:206], -v[201:202], v[203:204], 1.0
	v_fma_f64 v[203:204], v[203:204], v[205:206], v[203:204]
	s_delay_alu instid0(VALU_DEP_1) | instskip(NEXT) | instid1(VALU_DEP_1)
	v_mul_f64 v[205:206], v[207:208], v[203:204]
	v_fma_f64 v[201:202], -v[201:202], v[205:206], v[207:208]
	s_delay_alu instid0(VALU_DEP_1) | instskip(NEXT) | instid1(VALU_DEP_1)
	v_div_fmas_f64 v[201:202], v[201:202], v[203:204], v[205:206]
	v_div_fixup_f64 v[201:202], v[201:202], v[186:187], v[184:185]
	s_delay_alu instid0(VALU_DEP_1) | instskip(NEXT) | instid1(VALU_DEP_1)
	v_fma_f64 v[184:185], v[184:185], v[201:202], v[186:187]
	v_div_scale_f64 v[186:187], null, v[184:185], v[184:185], 1.0
	s_delay_alu instid0(VALU_DEP_1) | instskip(SKIP_2) | instid1(VALU_DEP_1)
	v_rcp_f64_e32 v[203:204], v[186:187]
	s_waitcnt_depctr 0xfff
	v_fma_f64 v[205:206], -v[186:187], v[203:204], 1.0
	v_fma_f64 v[203:204], v[203:204], v[205:206], v[203:204]
	s_delay_alu instid0(VALU_DEP_1) | instskip(NEXT) | instid1(VALU_DEP_1)
	v_fma_f64 v[205:206], -v[186:187], v[203:204], 1.0
	v_fma_f64 v[203:204], v[203:204], v[205:206], v[203:204]
	v_div_scale_f64 v[205:206], vcc_lo, 1.0, v[184:185], 1.0
	s_delay_alu instid0(VALU_DEP_1) | instskip(NEXT) | instid1(VALU_DEP_1)
	v_mul_f64 v[207:208], v[205:206], v[203:204]
	v_fma_f64 v[186:187], -v[186:187], v[207:208], v[205:206]
	s_delay_alu instid0(VALU_DEP_1) | instskip(NEXT) | instid1(VALU_DEP_1)
	v_div_fmas_f64 v[186:187], v[186:187], v[203:204], v[207:208]
	v_div_fixup_f64 v[186:187], v[186:187], v[184:185], 1.0
	s_delay_alu instid0(VALU_DEP_1)
	v_mul_f64 v[184:185], v[201:202], v[186:187]
	v_xor_b32_e32 v187, 0x80000000, v187
.LBB90_784:
	s_and_not1_saveexec_b32 s2, s2
	s_cbranch_execz .LBB90_786
; %bb.785:
	s_delay_alu instid0(VALU_DEP_1) | instskip(SKIP_1) | instid1(VALU_DEP_2)
	v_div_scale_f64 v[201:202], null, v[184:185], v[184:185], v[186:187]
	v_div_scale_f64 v[207:208], vcc_lo, v[186:187], v[184:185], v[186:187]
	v_rcp_f64_e32 v[203:204], v[201:202]
	s_waitcnt_depctr 0xfff
	v_fma_f64 v[205:206], -v[201:202], v[203:204], 1.0
	s_delay_alu instid0(VALU_DEP_1) | instskip(NEXT) | instid1(VALU_DEP_1)
	v_fma_f64 v[203:204], v[203:204], v[205:206], v[203:204]
	v_fma_f64 v[205:206], -v[201:202], v[203:204], 1.0
	s_delay_alu instid0(VALU_DEP_1) | instskip(NEXT) | instid1(VALU_DEP_1)
	v_fma_f64 v[203:204], v[203:204], v[205:206], v[203:204]
	v_mul_f64 v[205:206], v[207:208], v[203:204]
	s_delay_alu instid0(VALU_DEP_1) | instskip(NEXT) | instid1(VALU_DEP_1)
	v_fma_f64 v[201:202], -v[201:202], v[205:206], v[207:208]
	v_div_fmas_f64 v[201:202], v[201:202], v[203:204], v[205:206]
	s_delay_alu instid0(VALU_DEP_1) | instskip(NEXT) | instid1(VALU_DEP_1)
	v_div_fixup_f64 v[201:202], v[201:202], v[184:185], v[186:187]
	v_fma_f64 v[184:185], v[186:187], v[201:202], v[184:185]
	s_delay_alu instid0(VALU_DEP_1) | instskip(NEXT) | instid1(VALU_DEP_1)
	v_div_scale_f64 v[186:187], null, v[184:185], v[184:185], 1.0
	v_rcp_f64_e32 v[203:204], v[186:187]
	s_waitcnt_depctr 0xfff
	v_fma_f64 v[205:206], -v[186:187], v[203:204], 1.0
	s_delay_alu instid0(VALU_DEP_1) | instskip(NEXT) | instid1(VALU_DEP_1)
	v_fma_f64 v[203:204], v[203:204], v[205:206], v[203:204]
	v_fma_f64 v[205:206], -v[186:187], v[203:204], 1.0
	s_delay_alu instid0(VALU_DEP_1) | instskip(SKIP_1) | instid1(VALU_DEP_1)
	v_fma_f64 v[203:204], v[203:204], v[205:206], v[203:204]
	v_div_scale_f64 v[205:206], vcc_lo, 1.0, v[184:185], 1.0
	v_mul_f64 v[207:208], v[205:206], v[203:204]
	s_delay_alu instid0(VALU_DEP_1) | instskip(NEXT) | instid1(VALU_DEP_1)
	v_fma_f64 v[186:187], -v[186:187], v[207:208], v[205:206]
	v_div_fmas_f64 v[186:187], v[186:187], v[203:204], v[207:208]
	s_delay_alu instid0(VALU_DEP_1) | instskip(NEXT) | instid1(VALU_DEP_1)
	v_div_fixup_f64 v[184:185], v[186:187], v[184:185], 1.0
	v_mul_f64 v[186:187], v[201:202], -v[184:185]
.LBB90_786:
	s_or_b32 exec_lo, exec_lo, s2
.LBB90_787:
	s_delay_alu instid0(SALU_CYCLE_1) | instskip(NEXT) | instid1(SALU_CYCLE_1)
	s_or_b32 exec_lo, exec_lo, s3
	s_mov_b32 s2, exec_lo
	v_cmpx_ne_u32_e64 v200, v192
	s_xor_b32 s2, exec_lo, s2
	s_cbranch_execz .LBB90_793
; %bb.788:
	s_mov_b32 s3, exec_lo
	v_cmpx_eq_u32_e32 37, v200
	s_cbranch_execz .LBB90_792
; %bb.789:
	v_cmp_ne_u32_e32 vcc_lo, 37, v192
	s_xor_b32 s6, s4, -1
	s_delay_alu instid0(SALU_CYCLE_1) | instskip(NEXT) | instid1(SALU_CYCLE_1)
	s_and_b32 s7, s6, vcc_lo
	s_and_saveexec_b32 s6, s7
	s_cbranch_execz .LBB90_791
; %bb.790:
	v_ashrrev_i32_e32 v193, 31, v192
	s_delay_alu instid0(VALU_DEP_1) | instskip(NEXT) | instid1(VALU_DEP_1)
	v_lshlrev_b64 v[200:201], 2, v[192:193]
	v_add_co_u32 v200, vcc_lo, v190, v200
	s_delay_alu instid0(VALU_DEP_2)
	v_add_co_ci_u32_e32 v201, vcc_lo, v191, v201, vcc_lo
	s_clause 0x1
	flat_load_b32 v193, v[200:201]
	flat_load_b32 v198, v[190:191] offset:148
	s_waitcnt vmcnt(1) lgkmcnt(1)
	flat_store_b32 v[190:191], v193 offset:148
	s_waitcnt vmcnt(0) lgkmcnt(1)
	flat_store_b32 v[200:201], v198
.LBB90_791:
	s_or_b32 exec_lo, exec_lo, s6
	v_mov_b32_e32 v200, v192
	v_mov_b32_e32 v198, v192
.LBB90_792:
	s_or_b32 exec_lo, exec_lo, s3
.LBB90_793:
	s_and_not1_saveexec_b32 s2, s2
	s_cbranch_execz .LBB90_795
; %bb.794:
	v_mov_b32_e32 v200, 37
	ds_store_2addr_b64 v194, v[28:29], v[30:31] offset0:76 offset1:77
	ds_store_2addr_b64 v194, v[24:25], v[26:27] offset0:78 offset1:79
	;; [unrolled: 1-line block ×8, first 2 shown]
.LBB90_795:
	s_or_b32 exec_lo, exec_lo, s2
	s_delay_alu instid0(SALU_CYCLE_1)
	s_mov_b32 s2, exec_lo
	s_waitcnt lgkmcnt(0)
	s_waitcnt_vscnt null, 0x0
	s_barrier
	buffer_gl0_inv
	v_cmpx_lt_i32_e32 37, v200
	s_cbranch_execz .LBB90_797
; %bb.796:
	v_mul_f64 v[192:193], v[184:185], v[34:35]
	v_mul_f64 v[34:35], v[186:187], v[34:35]
	s_delay_alu instid0(VALU_DEP_2) | instskip(NEXT) | instid1(VALU_DEP_2)
	v_fma_f64 v[192:193], v[186:187], v[32:33], v[192:193]
	v_fma_f64 v[32:33], v[184:185], v[32:33], -v[34:35]
	ds_load_2addr_b64 v[184:187], v194 offset0:76 offset1:77
	s_waitcnt lgkmcnt(0)
	v_mul_f64 v[34:35], v[186:187], v[192:193]
	s_delay_alu instid0(VALU_DEP_1) | instskip(SKIP_1) | instid1(VALU_DEP_2)
	v_fma_f64 v[34:35], v[184:185], v[32:33], -v[34:35]
	v_mul_f64 v[184:185], v[184:185], v[192:193]
	v_add_f64 v[28:29], v[28:29], -v[34:35]
	s_delay_alu instid0(VALU_DEP_2) | instskip(NEXT) | instid1(VALU_DEP_1)
	v_fma_f64 v[184:185], v[186:187], v[32:33], v[184:185]
	v_add_f64 v[30:31], v[30:31], -v[184:185]
	ds_load_2addr_b64 v[184:187], v194 offset0:78 offset1:79
	s_waitcnt lgkmcnt(0)
	v_mul_f64 v[34:35], v[186:187], v[192:193]
	s_delay_alu instid0(VALU_DEP_1) | instskip(SKIP_1) | instid1(VALU_DEP_2)
	v_fma_f64 v[34:35], v[184:185], v[32:33], -v[34:35]
	v_mul_f64 v[184:185], v[184:185], v[192:193]
	v_add_f64 v[24:25], v[24:25], -v[34:35]
	s_delay_alu instid0(VALU_DEP_2) | instskip(NEXT) | instid1(VALU_DEP_1)
	v_fma_f64 v[184:185], v[186:187], v[32:33], v[184:185]
	v_add_f64 v[26:27], v[26:27], -v[184:185]
	;; [unrolled: 10-line block ×7, first 2 shown]
	ds_load_2addr_b64 v[184:187], v194 offset0:90 offset1:91
	s_waitcnt lgkmcnt(0)
	v_mul_f64 v[34:35], v[186:187], v[192:193]
	s_delay_alu instid0(VALU_DEP_1) | instskip(SKIP_1) | instid1(VALU_DEP_2)
	v_fma_f64 v[34:35], v[184:185], v[32:33], -v[34:35]
	v_mul_f64 v[184:185], v[184:185], v[192:193]
	v_add_f64 v[0:1], v[0:1], -v[34:35]
	s_delay_alu instid0(VALU_DEP_2) | instskip(SKIP_1) | instid1(VALU_DEP_2)
	v_fma_f64 v[184:185], v[186:187], v[32:33], v[184:185]
	v_dual_mov_b32 v34, v192 :: v_dual_mov_b32 v35, v193
	v_add_f64 v[2:3], v[2:3], -v[184:185]
.LBB90_797:
	s_or_b32 exec_lo, exec_lo, s2
	v_lshl_add_u32 v184, v200, 4, v194
	s_barrier
	buffer_gl0_inv
	v_mov_b32_e32 v192, 38
	ds_store_2addr_b64 v184, v[28:29], v[30:31] offset1:1
	s_waitcnt lgkmcnt(0)
	s_barrier
	buffer_gl0_inv
	ds_load_2addr_b64 v[184:187], v194 offset0:76 offset1:77
	s_cmp_lt_i32 s5, 40
	s_cbranch_scc1 .LBB90_800
; %bb.798:
	v_add3_u32 v193, v199, 0, 0x270
	v_mov_b32_e32 v192, 38
	s_mov_b32 s6, 39
	s_set_inst_prefetch_distance 0x1
	.p2align	6
.LBB90_799:                             ; =>This Inner Loop Header: Depth=1
	ds_load_2addr_b64 v[201:204], v193 offset1:1
	s_waitcnt lgkmcnt(1)
	v_cmp_gt_f64_e32 vcc_lo, 0, v[184:185]
	v_xor_b32_e32 v205, 0x80000000, v185
	v_cmp_gt_f64_e64 s2, 0, v[186:187]
	v_xor_b32_e32 v207, 0x80000000, v187
	v_add_nc_u32_e32 v193, 16, v193
	s_waitcnt lgkmcnt(0)
	v_cmp_gt_f64_e64 s3, 0, v[201:202]
	v_mov_b32_e32 v209, v201
	v_dual_mov_b32 v211, v203 :: v_dual_cndmask_b32 v206, v185, v205
	v_xor_b32_e32 v205, 0x80000000, v202
	v_cndmask_b32_e64 v208, v187, v207, s2
	v_xor_b32_e32 v207, 0x80000000, v204
	s_delay_alu instid0(VALU_DEP_3) | instskip(SKIP_2) | instid1(VALU_DEP_2)
	v_cndmask_b32_e64 v210, v202, v205, s3
	v_cmp_gt_f64_e64 s3, 0, v[203:204]
	v_cndmask_b32_e32 v205, v184, v184, vcc_lo
	v_cndmask_b32_e64 v212, v204, v207, s3
	v_cndmask_b32_e64 v207, v186, v186, s2
	s_delay_alu instid0(VALU_DEP_2) | instskip(NEXT) | instid1(VALU_DEP_2)
	v_add_f64 v[209:210], v[209:210], v[211:212]
	v_add_f64 v[205:206], v[205:206], v[207:208]
	s_delay_alu instid0(VALU_DEP_1) | instskip(SKIP_4) | instid1(SALU_CYCLE_1)
	v_cmp_lt_f64_e32 vcc_lo, v[205:206], v[209:210]
	v_dual_cndmask_b32 v186, v186, v203 :: v_dual_cndmask_b32 v185, v185, v202
	v_dual_cndmask_b32 v184, v184, v201 :: v_dual_cndmask_b32 v187, v187, v204
	v_cndmask_b32_e64 v192, v192, s6, vcc_lo
	s_add_i32 s6, s6, 1
	s_cmp_lg_u32 s5, s6
	s_cbranch_scc1 .LBB90_799
.LBB90_800:
	s_set_inst_prefetch_distance 0x2
	s_waitcnt lgkmcnt(0)
	v_cmp_eq_f64_e32 vcc_lo, 0, v[184:185]
	v_cmp_eq_f64_e64 s2, 0, v[186:187]
	s_delay_alu instid0(VALU_DEP_1) | instskip(NEXT) | instid1(SALU_CYCLE_1)
	s_and_b32 s2, vcc_lo, s2
	s_and_saveexec_b32 s3, s2
	s_delay_alu instid0(SALU_CYCLE_1)
	s_xor_b32 s2, exec_lo, s3
; %bb.801:
	v_cmp_ne_u32_e32 vcc_lo, 0, v197
	v_cndmask_b32_e32 v197, 39, v197, vcc_lo
; %bb.802:
	s_and_not1_saveexec_b32 s3, s2
	s_cbranch_execz .LBB90_808
; %bb.803:
	v_cmp_gt_f64_e32 vcc_lo, 0, v[184:185]
	v_cmp_gt_f64_e64 s2, 0, v[186:187]
	v_xor_b32_e32 v193, 0x80000000, v185
	v_xor_b32_e32 v201, 0x80000000, v187
	s_delay_alu instid0(VALU_DEP_2) | instskip(NEXT) | instid1(VALU_DEP_2)
	v_cndmask_b32_e32 v202, v185, v193, vcc_lo
	v_cndmask_b32_e64 v204, v187, v201, s2
	v_cndmask_b32_e32 v201, v184, v184, vcc_lo
	v_cndmask_b32_e64 v203, v186, v186, s2
	s_mov_b32 s2, exec_lo
	s_delay_alu instid0(VALU_DEP_1)
	v_cmpx_ngt_f64_e32 v[201:202], v[203:204]
	s_xor_b32 s2, exec_lo, s2
	s_cbranch_execz .LBB90_805
; %bb.804:
	v_div_scale_f64 v[201:202], null, v[186:187], v[186:187], v[184:185]
	v_div_scale_f64 v[207:208], vcc_lo, v[184:185], v[186:187], v[184:185]
	s_delay_alu instid0(VALU_DEP_2) | instskip(SKIP_2) | instid1(VALU_DEP_1)
	v_rcp_f64_e32 v[203:204], v[201:202]
	s_waitcnt_depctr 0xfff
	v_fma_f64 v[205:206], -v[201:202], v[203:204], 1.0
	v_fma_f64 v[203:204], v[203:204], v[205:206], v[203:204]
	s_delay_alu instid0(VALU_DEP_1) | instskip(NEXT) | instid1(VALU_DEP_1)
	v_fma_f64 v[205:206], -v[201:202], v[203:204], 1.0
	v_fma_f64 v[203:204], v[203:204], v[205:206], v[203:204]
	s_delay_alu instid0(VALU_DEP_1) | instskip(NEXT) | instid1(VALU_DEP_1)
	v_mul_f64 v[205:206], v[207:208], v[203:204]
	v_fma_f64 v[201:202], -v[201:202], v[205:206], v[207:208]
	s_delay_alu instid0(VALU_DEP_1) | instskip(NEXT) | instid1(VALU_DEP_1)
	v_div_fmas_f64 v[201:202], v[201:202], v[203:204], v[205:206]
	v_div_fixup_f64 v[201:202], v[201:202], v[186:187], v[184:185]
	s_delay_alu instid0(VALU_DEP_1) | instskip(NEXT) | instid1(VALU_DEP_1)
	v_fma_f64 v[184:185], v[184:185], v[201:202], v[186:187]
	v_div_scale_f64 v[186:187], null, v[184:185], v[184:185], 1.0
	s_delay_alu instid0(VALU_DEP_1) | instskip(SKIP_2) | instid1(VALU_DEP_1)
	v_rcp_f64_e32 v[203:204], v[186:187]
	s_waitcnt_depctr 0xfff
	v_fma_f64 v[205:206], -v[186:187], v[203:204], 1.0
	v_fma_f64 v[203:204], v[203:204], v[205:206], v[203:204]
	s_delay_alu instid0(VALU_DEP_1) | instskip(NEXT) | instid1(VALU_DEP_1)
	v_fma_f64 v[205:206], -v[186:187], v[203:204], 1.0
	v_fma_f64 v[203:204], v[203:204], v[205:206], v[203:204]
	v_div_scale_f64 v[205:206], vcc_lo, 1.0, v[184:185], 1.0
	s_delay_alu instid0(VALU_DEP_1) | instskip(NEXT) | instid1(VALU_DEP_1)
	v_mul_f64 v[207:208], v[205:206], v[203:204]
	v_fma_f64 v[186:187], -v[186:187], v[207:208], v[205:206]
	s_delay_alu instid0(VALU_DEP_1) | instskip(NEXT) | instid1(VALU_DEP_1)
	v_div_fmas_f64 v[186:187], v[186:187], v[203:204], v[207:208]
	v_div_fixup_f64 v[186:187], v[186:187], v[184:185], 1.0
	s_delay_alu instid0(VALU_DEP_1)
	v_mul_f64 v[184:185], v[201:202], v[186:187]
	v_xor_b32_e32 v187, 0x80000000, v187
.LBB90_805:
	s_and_not1_saveexec_b32 s2, s2
	s_cbranch_execz .LBB90_807
; %bb.806:
	s_delay_alu instid0(VALU_DEP_1) | instskip(SKIP_1) | instid1(VALU_DEP_2)
	v_div_scale_f64 v[201:202], null, v[184:185], v[184:185], v[186:187]
	v_div_scale_f64 v[207:208], vcc_lo, v[186:187], v[184:185], v[186:187]
	v_rcp_f64_e32 v[203:204], v[201:202]
	s_waitcnt_depctr 0xfff
	v_fma_f64 v[205:206], -v[201:202], v[203:204], 1.0
	s_delay_alu instid0(VALU_DEP_1) | instskip(NEXT) | instid1(VALU_DEP_1)
	v_fma_f64 v[203:204], v[203:204], v[205:206], v[203:204]
	v_fma_f64 v[205:206], -v[201:202], v[203:204], 1.0
	s_delay_alu instid0(VALU_DEP_1) | instskip(NEXT) | instid1(VALU_DEP_1)
	v_fma_f64 v[203:204], v[203:204], v[205:206], v[203:204]
	v_mul_f64 v[205:206], v[207:208], v[203:204]
	s_delay_alu instid0(VALU_DEP_1) | instskip(NEXT) | instid1(VALU_DEP_1)
	v_fma_f64 v[201:202], -v[201:202], v[205:206], v[207:208]
	v_div_fmas_f64 v[201:202], v[201:202], v[203:204], v[205:206]
	s_delay_alu instid0(VALU_DEP_1) | instskip(NEXT) | instid1(VALU_DEP_1)
	v_div_fixup_f64 v[201:202], v[201:202], v[184:185], v[186:187]
	v_fma_f64 v[184:185], v[186:187], v[201:202], v[184:185]
	s_delay_alu instid0(VALU_DEP_1) | instskip(NEXT) | instid1(VALU_DEP_1)
	v_div_scale_f64 v[186:187], null, v[184:185], v[184:185], 1.0
	v_rcp_f64_e32 v[203:204], v[186:187]
	s_waitcnt_depctr 0xfff
	v_fma_f64 v[205:206], -v[186:187], v[203:204], 1.0
	s_delay_alu instid0(VALU_DEP_1) | instskip(NEXT) | instid1(VALU_DEP_1)
	v_fma_f64 v[203:204], v[203:204], v[205:206], v[203:204]
	v_fma_f64 v[205:206], -v[186:187], v[203:204], 1.0
	s_delay_alu instid0(VALU_DEP_1) | instskip(SKIP_1) | instid1(VALU_DEP_1)
	v_fma_f64 v[203:204], v[203:204], v[205:206], v[203:204]
	v_div_scale_f64 v[205:206], vcc_lo, 1.0, v[184:185], 1.0
	v_mul_f64 v[207:208], v[205:206], v[203:204]
	s_delay_alu instid0(VALU_DEP_1) | instskip(NEXT) | instid1(VALU_DEP_1)
	v_fma_f64 v[186:187], -v[186:187], v[207:208], v[205:206]
	v_div_fmas_f64 v[186:187], v[186:187], v[203:204], v[207:208]
	s_delay_alu instid0(VALU_DEP_1) | instskip(NEXT) | instid1(VALU_DEP_1)
	v_div_fixup_f64 v[184:185], v[186:187], v[184:185], 1.0
	v_mul_f64 v[186:187], v[201:202], -v[184:185]
.LBB90_807:
	s_or_b32 exec_lo, exec_lo, s2
.LBB90_808:
	s_delay_alu instid0(SALU_CYCLE_1) | instskip(NEXT) | instid1(SALU_CYCLE_1)
	s_or_b32 exec_lo, exec_lo, s3
	s_mov_b32 s2, exec_lo
	v_cmpx_ne_u32_e64 v200, v192
	s_xor_b32 s2, exec_lo, s2
	s_cbranch_execz .LBB90_814
; %bb.809:
	s_mov_b32 s3, exec_lo
	v_cmpx_eq_u32_e32 38, v200
	s_cbranch_execz .LBB90_813
; %bb.810:
	v_cmp_ne_u32_e32 vcc_lo, 38, v192
	s_xor_b32 s6, s4, -1
	s_delay_alu instid0(SALU_CYCLE_1) | instskip(NEXT) | instid1(SALU_CYCLE_1)
	s_and_b32 s7, s6, vcc_lo
	s_and_saveexec_b32 s6, s7
	s_cbranch_execz .LBB90_812
; %bb.811:
	v_ashrrev_i32_e32 v193, 31, v192
	s_delay_alu instid0(VALU_DEP_1) | instskip(NEXT) | instid1(VALU_DEP_1)
	v_lshlrev_b64 v[200:201], 2, v[192:193]
	v_add_co_u32 v200, vcc_lo, v190, v200
	s_delay_alu instid0(VALU_DEP_2)
	v_add_co_ci_u32_e32 v201, vcc_lo, v191, v201, vcc_lo
	s_clause 0x1
	flat_load_b32 v193, v[200:201]
	flat_load_b32 v198, v[190:191] offset:152
	s_waitcnt vmcnt(1) lgkmcnt(1)
	flat_store_b32 v[190:191], v193 offset:152
	s_waitcnt vmcnt(0) lgkmcnt(1)
	flat_store_b32 v[200:201], v198
.LBB90_812:
	s_or_b32 exec_lo, exec_lo, s6
	v_mov_b32_e32 v200, v192
	v_mov_b32_e32 v198, v192
.LBB90_813:
	s_or_b32 exec_lo, exec_lo, s3
.LBB90_814:
	s_and_not1_saveexec_b32 s2, s2
	s_cbranch_execz .LBB90_816
; %bb.815:
	v_mov_b32_e32 v200, 38
	ds_store_2addr_b64 v194, v[24:25], v[26:27] offset0:78 offset1:79
	ds_store_2addr_b64 v194, v[20:21], v[22:23] offset0:80 offset1:81
	;; [unrolled: 1-line block ×7, first 2 shown]
.LBB90_816:
	s_or_b32 exec_lo, exec_lo, s2
	s_delay_alu instid0(SALU_CYCLE_1)
	s_mov_b32 s2, exec_lo
	s_waitcnt lgkmcnt(0)
	s_waitcnt_vscnt null, 0x0
	s_barrier
	buffer_gl0_inv
	v_cmpx_lt_i32_e32 38, v200
	s_cbranch_execz .LBB90_818
; %bb.817:
	v_mul_f64 v[192:193], v[184:185], v[30:31]
	v_mul_f64 v[30:31], v[186:187], v[30:31]
	ds_load_2addr_b64 v[201:204], v194 offset0:78 offset1:79
	ds_load_2addr_b64 v[205:208], v194 offset0:80 offset1:81
	;; [unrolled: 1-line block ×7, first 2 shown]
	v_fma_f64 v[186:187], v[186:187], v[28:29], v[192:193]
	v_fma_f64 v[28:29], v[184:185], v[28:29], -v[30:31]
	s_waitcnt lgkmcnt(6)
	s_delay_alu instid0(VALU_DEP_2)
	v_mul_f64 v[30:31], v[203:204], v[186:187]
	v_mul_f64 v[184:185], v[201:202], v[186:187]
	s_waitcnt lgkmcnt(5)
	v_mul_f64 v[192:193], v[207:208], v[186:187]
	v_mul_f64 v[229:230], v[205:206], v[186:187]
	s_waitcnt lgkmcnt(4)
	;; [unrolled: 3-line block ×6, first 2 shown]
	v_mul_f64 v[247:248], v[227:228], v[186:187]
	v_mul_f64 v[249:250], v[225:226], v[186:187]
	v_fma_f64 v[30:31], v[201:202], v[28:29], -v[30:31]
	v_fma_f64 v[184:185], v[203:204], v[28:29], v[184:185]
	v_fma_f64 v[192:193], v[205:206], v[28:29], -v[192:193]
	v_fma_f64 v[201:202], v[207:208], v[28:29], v[229:230]
	v_fma_f64 v[203:204], v[209:210], v[28:29], -v[231:232]
	v_fma_f64 v[205:206], v[211:212], v[28:29], v[233:234]
	v_fma_f64 v[207:208], v[213:214], v[28:29], -v[235:236]
	v_fma_f64 v[209:210], v[215:216], v[28:29], v[237:238]
	v_fma_f64 v[211:212], v[217:218], v[28:29], -v[239:240]
	v_fma_f64 v[213:214], v[219:220], v[28:29], v[241:242]
	v_fma_f64 v[215:216], v[221:222], v[28:29], -v[243:244]
	v_fma_f64 v[217:218], v[223:224], v[28:29], v[245:246]
	v_fma_f64 v[219:220], v[225:226], v[28:29], -v[247:248]
	v_fma_f64 v[221:222], v[227:228], v[28:29], v[249:250]
	v_add_f64 v[24:25], v[24:25], -v[30:31]
	v_add_f64 v[26:27], v[26:27], -v[184:185]
	;; [unrolled: 1-line block ×14, first 2 shown]
	v_dual_mov_b32 v30, v186 :: v_dual_mov_b32 v31, v187
.LBB90_818:
	s_or_b32 exec_lo, exec_lo, s2
	v_lshl_add_u32 v184, v200, 4, v194
	s_barrier
	buffer_gl0_inv
	v_mov_b32_e32 v192, 39
	ds_store_2addr_b64 v184, v[24:25], v[26:27] offset1:1
	s_waitcnt lgkmcnt(0)
	s_barrier
	buffer_gl0_inv
	ds_load_2addr_b64 v[184:187], v194 offset0:78 offset1:79
	s_cmp_lt_i32 s5, 41
	s_cbranch_scc1 .LBB90_821
; %bb.819:
	v_add3_u32 v193, v199, 0, 0x280
	v_mov_b32_e32 v192, 39
	s_mov_b32 s6, 40
	s_set_inst_prefetch_distance 0x1
	.p2align	6
.LBB90_820:                             ; =>This Inner Loop Header: Depth=1
	ds_load_2addr_b64 v[201:204], v193 offset1:1
	s_waitcnt lgkmcnt(1)
	v_cmp_gt_f64_e32 vcc_lo, 0, v[184:185]
	v_xor_b32_e32 v205, 0x80000000, v185
	v_cmp_gt_f64_e64 s2, 0, v[186:187]
	v_xor_b32_e32 v207, 0x80000000, v187
	v_add_nc_u32_e32 v193, 16, v193
	s_waitcnt lgkmcnt(0)
	v_cmp_gt_f64_e64 s3, 0, v[201:202]
	v_mov_b32_e32 v209, v201
	v_dual_mov_b32 v211, v203 :: v_dual_cndmask_b32 v206, v185, v205
	v_xor_b32_e32 v205, 0x80000000, v202
	v_cndmask_b32_e64 v208, v187, v207, s2
	v_xor_b32_e32 v207, 0x80000000, v204
	s_delay_alu instid0(VALU_DEP_3) | instskip(SKIP_2) | instid1(VALU_DEP_2)
	v_cndmask_b32_e64 v210, v202, v205, s3
	v_cmp_gt_f64_e64 s3, 0, v[203:204]
	v_cndmask_b32_e32 v205, v184, v184, vcc_lo
	v_cndmask_b32_e64 v212, v204, v207, s3
	v_cndmask_b32_e64 v207, v186, v186, s2
	s_delay_alu instid0(VALU_DEP_2) | instskip(NEXT) | instid1(VALU_DEP_2)
	v_add_f64 v[209:210], v[209:210], v[211:212]
	v_add_f64 v[205:206], v[205:206], v[207:208]
	s_delay_alu instid0(VALU_DEP_1) | instskip(SKIP_4) | instid1(SALU_CYCLE_1)
	v_cmp_lt_f64_e32 vcc_lo, v[205:206], v[209:210]
	v_dual_cndmask_b32 v186, v186, v203 :: v_dual_cndmask_b32 v185, v185, v202
	v_dual_cndmask_b32 v184, v184, v201 :: v_dual_cndmask_b32 v187, v187, v204
	v_cndmask_b32_e64 v192, v192, s6, vcc_lo
	s_add_i32 s6, s6, 1
	s_cmp_lg_u32 s5, s6
	s_cbranch_scc1 .LBB90_820
.LBB90_821:
	s_set_inst_prefetch_distance 0x2
	s_waitcnt lgkmcnt(0)
	v_cmp_eq_f64_e32 vcc_lo, 0, v[184:185]
	v_cmp_eq_f64_e64 s2, 0, v[186:187]
	s_delay_alu instid0(VALU_DEP_1) | instskip(NEXT) | instid1(SALU_CYCLE_1)
	s_and_b32 s2, vcc_lo, s2
	s_and_saveexec_b32 s3, s2
	s_delay_alu instid0(SALU_CYCLE_1)
	s_xor_b32 s2, exec_lo, s3
; %bb.822:
	v_cmp_ne_u32_e32 vcc_lo, 0, v197
	v_cndmask_b32_e32 v197, 40, v197, vcc_lo
; %bb.823:
	s_and_not1_saveexec_b32 s3, s2
	s_cbranch_execz .LBB90_829
; %bb.824:
	v_cmp_gt_f64_e32 vcc_lo, 0, v[184:185]
	v_cmp_gt_f64_e64 s2, 0, v[186:187]
	v_xor_b32_e32 v193, 0x80000000, v185
	v_xor_b32_e32 v201, 0x80000000, v187
	s_delay_alu instid0(VALU_DEP_2) | instskip(NEXT) | instid1(VALU_DEP_2)
	v_cndmask_b32_e32 v202, v185, v193, vcc_lo
	v_cndmask_b32_e64 v204, v187, v201, s2
	v_cndmask_b32_e32 v201, v184, v184, vcc_lo
	v_cndmask_b32_e64 v203, v186, v186, s2
	s_mov_b32 s2, exec_lo
	s_delay_alu instid0(VALU_DEP_1)
	v_cmpx_ngt_f64_e32 v[201:202], v[203:204]
	s_xor_b32 s2, exec_lo, s2
	s_cbranch_execz .LBB90_826
; %bb.825:
	v_div_scale_f64 v[201:202], null, v[186:187], v[186:187], v[184:185]
	v_div_scale_f64 v[207:208], vcc_lo, v[184:185], v[186:187], v[184:185]
	s_delay_alu instid0(VALU_DEP_2) | instskip(SKIP_2) | instid1(VALU_DEP_1)
	v_rcp_f64_e32 v[203:204], v[201:202]
	s_waitcnt_depctr 0xfff
	v_fma_f64 v[205:206], -v[201:202], v[203:204], 1.0
	v_fma_f64 v[203:204], v[203:204], v[205:206], v[203:204]
	s_delay_alu instid0(VALU_DEP_1) | instskip(NEXT) | instid1(VALU_DEP_1)
	v_fma_f64 v[205:206], -v[201:202], v[203:204], 1.0
	v_fma_f64 v[203:204], v[203:204], v[205:206], v[203:204]
	s_delay_alu instid0(VALU_DEP_1) | instskip(NEXT) | instid1(VALU_DEP_1)
	v_mul_f64 v[205:206], v[207:208], v[203:204]
	v_fma_f64 v[201:202], -v[201:202], v[205:206], v[207:208]
	s_delay_alu instid0(VALU_DEP_1) | instskip(NEXT) | instid1(VALU_DEP_1)
	v_div_fmas_f64 v[201:202], v[201:202], v[203:204], v[205:206]
	v_div_fixup_f64 v[201:202], v[201:202], v[186:187], v[184:185]
	s_delay_alu instid0(VALU_DEP_1) | instskip(NEXT) | instid1(VALU_DEP_1)
	v_fma_f64 v[184:185], v[184:185], v[201:202], v[186:187]
	v_div_scale_f64 v[186:187], null, v[184:185], v[184:185], 1.0
	s_delay_alu instid0(VALU_DEP_1) | instskip(SKIP_2) | instid1(VALU_DEP_1)
	v_rcp_f64_e32 v[203:204], v[186:187]
	s_waitcnt_depctr 0xfff
	v_fma_f64 v[205:206], -v[186:187], v[203:204], 1.0
	v_fma_f64 v[203:204], v[203:204], v[205:206], v[203:204]
	s_delay_alu instid0(VALU_DEP_1) | instskip(NEXT) | instid1(VALU_DEP_1)
	v_fma_f64 v[205:206], -v[186:187], v[203:204], 1.0
	v_fma_f64 v[203:204], v[203:204], v[205:206], v[203:204]
	v_div_scale_f64 v[205:206], vcc_lo, 1.0, v[184:185], 1.0
	s_delay_alu instid0(VALU_DEP_1) | instskip(NEXT) | instid1(VALU_DEP_1)
	v_mul_f64 v[207:208], v[205:206], v[203:204]
	v_fma_f64 v[186:187], -v[186:187], v[207:208], v[205:206]
	s_delay_alu instid0(VALU_DEP_1) | instskip(NEXT) | instid1(VALU_DEP_1)
	v_div_fmas_f64 v[186:187], v[186:187], v[203:204], v[207:208]
	v_div_fixup_f64 v[186:187], v[186:187], v[184:185], 1.0
	s_delay_alu instid0(VALU_DEP_1)
	v_mul_f64 v[184:185], v[201:202], v[186:187]
	v_xor_b32_e32 v187, 0x80000000, v187
.LBB90_826:
	s_and_not1_saveexec_b32 s2, s2
	s_cbranch_execz .LBB90_828
; %bb.827:
	s_delay_alu instid0(VALU_DEP_1) | instskip(SKIP_1) | instid1(VALU_DEP_2)
	v_div_scale_f64 v[201:202], null, v[184:185], v[184:185], v[186:187]
	v_div_scale_f64 v[207:208], vcc_lo, v[186:187], v[184:185], v[186:187]
	v_rcp_f64_e32 v[203:204], v[201:202]
	s_waitcnt_depctr 0xfff
	v_fma_f64 v[205:206], -v[201:202], v[203:204], 1.0
	s_delay_alu instid0(VALU_DEP_1) | instskip(NEXT) | instid1(VALU_DEP_1)
	v_fma_f64 v[203:204], v[203:204], v[205:206], v[203:204]
	v_fma_f64 v[205:206], -v[201:202], v[203:204], 1.0
	s_delay_alu instid0(VALU_DEP_1) | instskip(NEXT) | instid1(VALU_DEP_1)
	v_fma_f64 v[203:204], v[203:204], v[205:206], v[203:204]
	v_mul_f64 v[205:206], v[207:208], v[203:204]
	s_delay_alu instid0(VALU_DEP_1) | instskip(NEXT) | instid1(VALU_DEP_1)
	v_fma_f64 v[201:202], -v[201:202], v[205:206], v[207:208]
	v_div_fmas_f64 v[201:202], v[201:202], v[203:204], v[205:206]
	s_delay_alu instid0(VALU_DEP_1) | instskip(NEXT) | instid1(VALU_DEP_1)
	v_div_fixup_f64 v[201:202], v[201:202], v[184:185], v[186:187]
	v_fma_f64 v[184:185], v[186:187], v[201:202], v[184:185]
	s_delay_alu instid0(VALU_DEP_1) | instskip(NEXT) | instid1(VALU_DEP_1)
	v_div_scale_f64 v[186:187], null, v[184:185], v[184:185], 1.0
	v_rcp_f64_e32 v[203:204], v[186:187]
	s_waitcnt_depctr 0xfff
	v_fma_f64 v[205:206], -v[186:187], v[203:204], 1.0
	s_delay_alu instid0(VALU_DEP_1) | instskip(NEXT) | instid1(VALU_DEP_1)
	v_fma_f64 v[203:204], v[203:204], v[205:206], v[203:204]
	v_fma_f64 v[205:206], -v[186:187], v[203:204], 1.0
	s_delay_alu instid0(VALU_DEP_1) | instskip(SKIP_1) | instid1(VALU_DEP_1)
	v_fma_f64 v[203:204], v[203:204], v[205:206], v[203:204]
	v_div_scale_f64 v[205:206], vcc_lo, 1.0, v[184:185], 1.0
	v_mul_f64 v[207:208], v[205:206], v[203:204]
	s_delay_alu instid0(VALU_DEP_1) | instskip(NEXT) | instid1(VALU_DEP_1)
	v_fma_f64 v[186:187], -v[186:187], v[207:208], v[205:206]
	v_div_fmas_f64 v[186:187], v[186:187], v[203:204], v[207:208]
	s_delay_alu instid0(VALU_DEP_1) | instskip(NEXT) | instid1(VALU_DEP_1)
	v_div_fixup_f64 v[184:185], v[186:187], v[184:185], 1.0
	v_mul_f64 v[186:187], v[201:202], -v[184:185]
.LBB90_828:
	s_or_b32 exec_lo, exec_lo, s2
.LBB90_829:
	s_delay_alu instid0(SALU_CYCLE_1) | instskip(NEXT) | instid1(SALU_CYCLE_1)
	s_or_b32 exec_lo, exec_lo, s3
	s_mov_b32 s2, exec_lo
	v_cmpx_ne_u32_e64 v200, v192
	s_xor_b32 s2, exec_lo, s2
	s_cbranch_execz .LBB90_835
; %bb.830:
	s_mov_b32 s3, exec_lo
	v_cmpx_eq_u32_e32 39, v200
	s_cbranch_execz .LBB90_834
; %bb.831:
	v_cmp_ne_u32_e32 vcc_lo, 39, v192
	s_xor_b32 s6, s4, -1
	s_delay_alu instid0(SALU_CYCLE_1) | instskip(NEXT) | instid1(SALU_CYCLE_1)
	s_and_b32 s7, s6, vcc_lo
	s_and_saveexec_b32 s6, s7
	s_cbranch_execz .LBB90_833
; %bb.832:
	v_ashrrev_i32_e32 v193, 31, v192
	s_delay_alu instid0(VALU_DEP_1) | instskip(NEXT) | instid1(VALU_DEP_1)
	v_lshlrev_b64 v[200:201], 2, v[192:193]
	v_add_co_u32 v200, vcc_lo, v190, v200
	s_delay_alu instid0(VALU_DEP_2)
	v_add_co_ci_u32_e32 v201, vcc_lo, v191, v201, vcc_lo
	s_clause 0x1
	flat_load_b32 v193, v[200:201]
	flat_load_b32 v198, v[190:191] offset:156
	s_waitcnt vmcnt(1) lgkmcnt(1)
	flat_store_b32 v[190:191], v193 offset:156
	s_waitcnt vmcnt(0) lgkmcnt(1)
	flat_store_b32 v[200:201], v198
.LBB90_833:
	s_or_b32 exec_lo, exec_lo, s6
	v_mov_b32_e32 v200, v192
	v_mov_b32_e32 v198, v192
.LBB90_834:
	s_or_b32 exec_lo, exec_lo, s3
.LBB90_835:
	s_and_not1_saveexec_b32 s2, s2
	s_cbranch_execz .LBB90_837
; %bb.836:
	v_mov_b32_e32 v200, 39
	ds_store_2addr_b64 v194, v[20:21], v[22:23] offset0:80 offset1:81
	ds_store_2addr_b64 v194, v[16:17], v[18:19] offset0:82 offset1:83
	ds_store_2addr_b64 v194, v[12:13], v[14:15] offset0:84 offset1:85
	ds_store_2addr_b64 v194, v[8:9], v[10:11] offset0:86 offset1:87
	ds_store_2addr_b64 v194, v[4:5], v[6:7] offset0:88 offset1:89
	ds_store_2addr_b64 v194, v[0:1], v[2:3] offset0:90 offset1:91
.LBB90_837:
	s_or_b32 exec_lo, exec_lo, s2
	s_delay_alu instid0(SALU_CYCLE_1)
	s_mov_b32 s2, exec_lo
	s_waitcnt lgkmcnt(0)
	s_waitcnt_vscnt null, 0x0
	s_barrier
	buffer_gl0_inv
	v_cmpx_lt_i32_e32 39, v200
	s_cbranch_execz .LBB90_839
; %bb.838:
	v_mul_f64 v[192:193], v[184:185], v[26:27]
	v_mul_f64 v[26:27], v[186:187], v[26:27]
	ds_load_2addr_b64 v[201:204], v194 offset0:80 offset1:81
	ds_load_2addr_b64 v[205:208], v194 offset0:82 offset1:83
	;; [unrolled: 1-line block ×6, first 2 shown]
	v_fma_f64 v[186:187], v[186:187], v[24:25], v[192:193]
	v_fma_f64 v[24:25], v[184:185], v[24:25], -v[26:27]
	s_waitcnt lgkmcnt(5)
	s_delay_alu instid0(VALU_DEP_2)
	v_mul_f64 v[26:27], v[203:204], v[186:187]
	v_mul_f64 v[184:185], v[201:202], v[186:187]
	s_waitcnt lgkmcnt(4)
	v_mul_f64 v[192:193], v[207:208], v[186:187]
	v_mul_f64 v[225:226], v[205:206], v[186:187]
	s_waitcnt lgkmcnt(3)
	;; [unrolled: 3-line block ×5, first 2 shown]
	v_mul_f64 v[239:240], v[223:224], v[186:187]
	v_mul_f64 v[241:242], v[221:222], v[186:187]
	v_fma_f64 v[26:27], v[201:202], v[24:25], -v[26:27]
	v_fma_f64 v[184:185], v[203:204], v[24:25], v[184:185]
	v_fma_f64 v[192:193], v[205:206], v[24:25], -v[192:193]
	v_fma_f64 v[201:202], v[207:208], v[24:25], v[225:226]
	;; [unrolled: 2-line block ×6, first 2 shown]
	v_add_f64 v[20:21], v[20:21], -v[26:27]
	v_add_f64 v[22:23], v[22:23], -v[184:185]
	;; [unrolled: 1-line block ×12, first 2 shown]
	v_dual_mov_b32 v26, v186 :: v_dual_mov_b32 v27, v187
.LBB90_839:
	s_or_b32 exec_lo, exec_lo, s2
	v_lshl_add_u32 v184, v200, 4, v194
	s_barrier
	buffer_gl0_inv
	v_mov_b32_e32 v192, 40
	ds_store_2addr_b64 v184, v[20:21], v[22:23] offset1:1
	s_waitcnt lgkmcnt(0)
	s_barrier
	buffer_gl0_inv
	ds_load_2addr_b64 v[184:187], v194 offset0:80 offset1:81
	s_cmp_lt_i32 s5, 42
	s_cbranch_scc1 .LBB90_842
; %bb.840:
	v_add3_u32 v193, v199, 0, 0x290
	v_mov_b32_e32 v192, 40
	s_mov_b32 s6, 41
	s_set_inst_prefetch_distance 0x1
	.p2align	6
.LBB90_841:                             ; =>This Inner Loop Header: Depth=1
	ds_load_2addr_b64 v[201:204], v193 offset1:1
	s_waitcnt lgkmcnt(1)
	v_cmp_gt_f64_e32 vcc_lo, 0, v[184:185]
	v_xor_b32_e32 v205, 0x80000000, v185
	v_cmp_gt_f64_e64 s2, 0, v[186:187]
	v_xor_b32_e32 v207, 0x80000000, v187
	v_add_nc_u32_e32 v193, 16, v193
	s_waitcnt lgkmcnt(0)
	v_cmp_gt_f64_e64 s3, 0, v[201:202]
	v_mov_b32_e32 v209, v201
	v_dual_mov_b32 v211, v203 :: v_dual_cndmask_b32 v206, v185, v205
	v_xor_b32_e32 v205, 0x80000000, v202
	v_cndmask_b32_e64 v208, v187, v207, s2
	v_xor_b32_e32 v207, 0x80000000, v204
	s_delay_alu instid0(VALU_DEP_3) | instskip(SKIP_2) | instid1(VALU_DEP_2)
	v_cndmask_b32_e64 v210, v202, v205, s3
	v_cmp_gt_f64_e64 s3, 0, v[203:204]
	v_cndmask_b32_e32 v205, v184, v184, vcc_lo
	v_cndmask_b32_e64 v212, v204, v207, s3
	v_cndmask_b32_e64 v207, v186, v186, s2
	s_delay_alu instid0(VALU_DEP_2) | instskip(NEXT) | instid1(VALU_DEP_2)
	v_add_f64 v[209:210], v[209:210], v[211:212]
	v_add_f64 v[205:206], v[205:206], v[207:208]
	s_delay_alu instid0(VALU_DEP_1) | instskip(SKIP_4) | instid1(SALU_CYCLE_1)
	v_cmp_lt_f64_e32 vcc_lo, v[205:206], v[209:210]
	v_dual_cndmask_b32 v186, v186, v203 :: v_dual_cndmask_b32 v185, v185, v202
	v_dual_cndmask_b32 v184, v184, v201 :: v_dual_cndmask_b32 v187, v187, v204
	v_cndmask_b32_e64 v192, v192, s6, vcc_lo
	s_add_i32 s6, s6, 1
	s_cmp_lg_u32 s5, s6
	s_cbranch_scc1 .LBB90_841
.LBB90_842:
	s_set_inst_prefetch_distance 0x2
	s_waitcnt lgkmcnt(0)
	v_cmp_eq_f64_e32 vcc_lo, 0, v[184:185]
	v_cmp_eq_f64_e64 s2, 0, v[186:187]
	s_delay_alu instid0(VALU_DEP_1) | instskip(NEXT) | instid1(SALU_CYCLE_1)
	s_and_b32 s2, vcc_lo, s2
	s_and_saveexec_b32 s3, s2
	s_delay_alu instid0(SALU_CYCLE_1)
	s_xor_b32 s2, exec_lo, s3
; %bb.843:
	v_cmp_ne_u32_e32 vcc_lo, 0, v197
	v_cndmask_b32_e32 v197, 41, v197, vcc_lo
; %bb.844:
	s_and_not1_saveexec_b32 s3, s2
	s_cbranch_execz .LBB90_850
; %bb.845:
	v_cmp_gt_f64_e32 vcc_lo, 0, v[184:185]
	v_cmp_gt_f64_e64 s2, 0, v[186:187]
	v_xor_b32_e32 v193, 0x80000000, v185
	v_xor_b32_e32 v201, 0x80000000, v187
	s_delay_alu instid0(VALU_DEP_2) | instskip(NEXT) | instid1(VALU_DEP_2)
	v_cndmask_b32_e32 v202, v185, v193, vcc_lo
	v_cndmask_b32_e64 v204, v187, v201, s2
	v_cndmask_b32_e32 v201, v184, v184, vcc_lo
	v_cndmask_b32_e64 v203, v186, v186, s2
	s_mov_b32 s2, exec_lo
	s_delay_alu instid0(VALU_DEP_1)
	v_cmpx_ngt_f64_e32 v[201:202], v[203:204]
	s_xor_b32 s2, exec_lo, s2
	s_cbranch_execz .LBB90_847
; %bb.846:
	v_div_scale_f64 v[201:202], null, v[186:187], v[186:187], v[184:185]
	v_div_scale_f64 v[207:208], vcc_lo, v[184:185], v[186:187], v[184:185]
	s_delay_alu instid0(VALU_DEP_2) | instskip(SKIP_2) | instid1(VALU_DEP_1)
	v_rcp_f64_e32 v[203:204], v[201:202]
	s_waitcnt_depctr 0xfff
	v_fma_f64 v[205:206], -v[201:202], v[203:204], 1.0
	v_fma_f64 v[203:204], v[203:204], v[205:206], v[203:204]
	s_delay_alu instid0(VALU_DEP_1) | instskip(NEXT) | instid1(VALU_DEP_1)
	v_fma_f64 v[205:206], -v[201:202], v[203:204], 1.0
	v_fma_f64 v[203:204], v[203:204], v[205:206], v[203:204]
	s_delay_alu instid0(VALU_DEP_1) | instskip(NEXT) | instid1(VALU_DEP_1)
	v_mul_f64 v[205:206], v[207:208], v[203:204]
	v_fma_f64 v[201:202], -v[201:202], v[205:206], v[207:208]
	s_delay_alu instid0(VALU_DEP_1) | instskip(NEXT) | instid1(VALU_DEP_1)
	v_div_fmas_f64 v[201:202], v[201:202], v[203:204], v[205:206]
	v_div_fixup_f64 v[201:202], v[201:202], v[186:187], v[184:185]
	s_delay_alu instid0(VALU_DEP_1) | instskip(NEXT) | instid1(VALU_DEP_1)
	v_fma_f64 v[184:185], v[184:185], v[201:202], v[186:187]
	v_div_scale_f64 v[186:187], null, v[184:185], v[184:185], 1.0
	s_delay_alu instid0(VALU_DEP_1) | instskip(SKIP_2) | instid1(VALU_DEP_1)
	v_rcp_f64_e32 v[203:204], v[186:187]
	s_waitcnt_depctr 0xfff
	v_fma_f64 v[205:206], -v[186:187], v[203:204], 1.0
	v_fma_f64 v[203:204], v[203:204], v[205:206], v[203:204]
	s_delay_alu instid0(VALU_DEP_1) | instskip(NEXT) | instid1(VALU_DEP_1)
	v_fma_f64 v[205:206], -v[186:187], v[203:204], 1.0
	v_fma_f64 v[203:204], v[203:204], v[205:206], v[203:204]
	v_div_scale_f64 v[205:206], vcc_lo, 1.0, v[184:185], 1.0
	s_delay_alu instid0(VALU_DEP_1) | instskip(NEXT) | instid1(VALU_DEP_1)
	v_mul_f64 v[207:208], v[205:206], v[203:204]
	v_fma_f64 v[186:187], -v[186:187], v[207:208], v[205:206]
	s_delay_alu instid0(VALU_DEP_1) | instskip(NEXT) | instid1(VALU_DEP_1)
	v_div_fmas_f64 v[186:187], v[186:187], v[203:204], v[207:208]
	v_div_fixup_f64 v[186:187], v[186:187], v[184:185], 1.0
	s_delay_alu instid0(VALU_DEP_1)
	v_mul_f64 v[184:185], v[201:202], v[186:187]
	v_xor_b32_e32 v187, 0x80000000, v187
.LBB90_847:
	s_and_not1_saveexec_b32 s2, s2
	s_cbranch_execz .LBB90_849
; %bb.848:
	s_delay_alu instid0(VALU_DEP_1) | instskip(SKIP_1) | instid1(VALU_DEP_2)
	v_div_scale_f64 v[201:202], null, v[184:185], v[184:185], v[186:187]
	v_div_scale_f64 v[207:208], vcc_lo, v[186:187], v[184:185], v[186:187]
	v_rcp_f64_e32 v[203:204], v[201:202]
	s_waitcnt_depctr 0xfff
	v_fma_f64 v[205:206], -v[201:202], v[203:204], 1.0
	s_delay_alu instid0(VALU_DEP_1) | instskip(NEXT) | instid1(VALU_DEP_1)
	v_fma_f64 v[203:204], v[203:204], v[205:206], v[203:204]
	v_fma_f64 v[205:206], -v[201:202], v[203:204], 1.0
	s_delay_alu instid0(VALU_DEP_1) | instskip(NEXT) | instid1(VALU_DEP_1)
	v_fma_f64 v[203:204], v[203:204], v[205:206], v[203:204]
	v_mul_f64 v[205:206], v[207:208], v[203:204]
	s_delay_alu instid0(VALU_DEP_1) | instskip(NEXT) | instid1(VALU_DEP_1)
	v_fma_f64 v[201:202], -v[201:202], v[205:206], v[207:208]
	v_div_fmas_f64 v[201:202], v[201:202], v[203:204], v[205:206]
	s_delay_alu instid0(VALU_DEP_1) | instskip(NEXT) | instid1(VALU_DEP_1)
	v_div_fixup_f64 v[201:202], v[201:202], v[184:185], v[186:187]
	v_fma_f64 v[184:185], v[186:187], v[201:202], v[184:185]
	s_delay_alu instid0(VALU_DEP_1) | instskip(NEXT) | instid1(VALU_DEP_1)
	v_div_scale_f64 v[186:187], null, v[184:185], v[184:185], 1.0
	v_rcp_f64_e32 v[203:204], v[186:187]
	s_waitcnt_depctr 0xfff
	v_fma_f64 v[205:206], -v[186:187], v[203:204], 1.0
	s_delay_alu instid0(VALU_DEP_1) | instskip(NEXT) | instid1(VALU_DEP_1)
	v_fma_f64 v[203:204], v[203:204], v[205:206], v[203:204]
	v_fma_f64 v[205:206], -v[186:187], v[203:204], 1.0
	s_delay_alu instid0(VALU_DEP_1) | instskip(SKIP_1) | instid1(VALU_DEP_1)
	v_fma_f64 v[203:204], v[203:204], v[205:206], v[203:204]
	v_div_scale_f64 v[205:206], vcc_lo, 1.0, v[184:185], 1.0
	v_mul_f64 v[207:208], v[205:206], v[203:204]
	s_delay_alu instid0(VALU_DEP_1) | instskip(NEXT) | instid1(VALU_DEP_1)
	v_fma_f64 v[186:187], -v[186:187], v[207:208], v[205:206]
	v_div_fmas_f64 v[186:187], v[186:187], v[203:204], v[207:208]
	s_delay_alu instid0(VALU_DEP_1) | instskip(NEXT) | instid1(VALU_DEP_1)
	v_div_fixup_f64 v[184:185], v[186:187], v[184:185], 1.0
	v_mul_f64 v[186:187], v[201:202], -v[184:185]
.LBB90_849:
	s_or_b32 exec_lo, exec_lo, s2
.LBB90_850:
	s_delay_alu instid0(SALU_CYCLE_1) | instskip(NEXT) | instid1(SALU_CYCLE_1)
	s_or_b32 exec_lo, exec_lo, s3
	s_mov_b32 s2, exec_lo
	v_cmpx_ne_u32_e64 v200, v192
	s_xor_b32 s2, exec_lo, s2
	s_cbranch_execz .LBB90_856
; %bb.851:
	s_mov_b32 s3, exec_lo
	v_cmpx_eq_u32_e32 40, v200
	s_cbranch_execz .LBB90_855
; %bb.852:
	v_cmp_ne_u32_e32 vcc_lo, 40, v192
	s_xor_b32 s6, s4, -1
	s_delay_alu instid0(SALU_CYCLE_1) | instskip(NEXT) | instid1(SALU_CYCLE_1)
	s_and_b32 s7, s6, vcc_lo
	s_and_saveexec_b32 s6, s7
	s_cbranch_execz .LBB90_854
; %bb.853:
	v_ashrrev_i32_e32 v193, 31, v192
	s_delay_alu instid0(VALU_DEP_1) | instskip(NEXT) | instid1(VALU_DEP_1)
	v_lshlrev_b64 v[200:201], 2, v[192:193]
	v_add_co_u32 v200, vcc_lo, v190, v200
	s_delay_alu instid0(VALU_DEP_2)
	v_add_co_ci_u32_e32 v201, vcc_lo, v191, v201, vcc_lo
	s_clause 0x1
	flat_load_b32 v193, v[200:201]
	flat_load_b32 v198, v[190:191] offset:160
	s_waitcnt vmcnt(1) lgkmcnt(1)
	flat_store_b32 v[190:191], v193 offset:160
	s_waitcnt vmcnt(0) lgkmcnt(1)
	flat_store_b32 v[200:201], v198
.LBB90_854:
	s_or_b32 exec_lo, exec_lo, s6
	v_mov_b32_e32 v200, v192
	v_mov_b32_e32 v198, v192
.LBB90_855:
	s_or_b32 exec_lo, exec_lo, s3
.LBB90_856:
	s_and_not1_saveexec_b32 s2, s2
	s_cbranch_execz .LBB90_858
; %bb.857:
	v_mov_b32_e32 v200, 40
	ds_store_2addr_b64 v194, v[16:17], v[18:19] offset0:82 offset1:83
	ds_store_2addr_b64 v194, v[12:13], v[14:15] offset0:84 offset1:85
	;; [unrolled: 1-line block ×5, first 2 shown]
.LBB90_858:
	s_or_b32 exec_lo, exec_lo, s2
	s_delay_alu instid0(SALU_CYCLE_1)
	s_mov_b32 s2, exec_lo
	s_waitcnt lgkmcnt(0)
	s_waitcnt_vscnt null, 0x0
	s_barrier
	buffer_gl0_inv
	v_cmpx_lt_i32_e32 40, v200
	s_cbranch_execz .LBB90_860
; %bb.859:
	v_mul_f64 v[192:193], v[184:185], v[22:23]
	v_mul_f64 v[22:23], v[186:187], v[22:23]
	ds_load_2addr_b64 v[201:204], v194 offset0:82 offset1:83
	ds_load_2addr_b64 v[205:208], v194 offset0:84 offset1:85
	;; [unrolled: 1-line block ×5, first 2 shown]
	v_fma_f64 v[186:187], v[186:187], v[20:21], v[192:193]
	v_fma_f64 v[20:21], v[184:185], v[20:21], -v[22:23]
	s_waitcnt lgkmcnt(4)
	s_delay_alu instid0(VALU_DEP_2)
	v_mul_f64 v[22:23], v[203:204], v[186:187]
	v_mul_f64 v[184:185], v[201:202], v[186:187]
	s_waitcnt lgkmcnt(3)
	v_mul_f64 v[192:193], v[207:208], v[186:187]
	v_mul_f64 v[221:222], v[205:206], v[186:187]
	s_waitcnt lgkmcnt(2)
	;; [unrolled: 3-line block ×4, first 2 shown]
	v_mul_f64 v[231:232], v[219:220], v[186:187]
	v_mul_f64 v[233:234], v[217:218], v[186:187]
	v_fma_f64 v[22:23], v[201:202], v[20:21], -v[22:23]
	v_fma_f64 v[184:185], v[203:204], v[20:21], v[184:185]
	v_fma_f64 v[192:193], v[205:206], v[20:21], -v[192:193]
	v_fma_f64 v[201:202], v[207:208], v[20:21], v[221:222]
	;; [unrolled: 2-line block ×5, first 2 shown]
	v_add_f64 v[16:17], v[16:17], -v[22:23]
	v_add_f64 v[18:19], v[18:19], -v[184:185]
	;; [unrolled: 1-line block ×10, first 2 shown]
	v_dual_mov_b32 v22, v186 :: v_dual_mov_b32 v23, v187
.LBB90_860:
	s_or_b32 exec_lo, exec_lo, s2
	v_lshl_add_u32 v184, v200, 4, v194
	s_barrier
	buffer_gl0_inv
	v_mov_b32_e32 v192, 41
	ds_store_2addr_b64 v184, v[16:17], v[18:19] offset1:1
	s_waitcnt lgkmcnt(0)
	s_barrier
	buffer_gl0_inv
	ds_load_2addr_b64 v[184:187], v194 offset0:82 offset1:83
	s_cmp_lt_i32 s5, 43
	s_cbranch_scc1 .LBB90_863
; %bb.861:
	v_add3_u32 v193, v199, 0, 0x2a0
	v_mov_b32_e32 v192, 41
	s_mov_b32 s6, 42
	s_set_inst_prefetch_distance 0x1
	.p2align	6
.LBB90_862:                             ; =>This Inner Loop Header: Depth=1
	ds_load_2addr_b64 v[201:204], v193 offset1:1
	s_waitcnt lgkmcnt(1)
	v_cmp_gt_f64_e32 vcc_lo, 0, v[184:185]
	v_xor_b32_e32 v205, 0x80000000, v185
	v_cmp_gt_f64_e64 s2, 0, v[186:187]
	v_xor_b32_e32 v207, 0x80000000, v187
	v_add_nc_u32_e32 v193, 16, v193
	s_waitcnt lgkmcnt(0)
	v_cmp_gt_f64_e64 s3, 0, v[201:202]
	v_mov_b32_e32 v209, v201
	v_dual_mov_b32 v211, v203 :: v_dual_cndmask_b32 v206, v185, v205
	v_xor_b32_e32 v205, 0x80000000, v202
	v_cndmask_b32_e64 v208, v187, v207, s2
	v_xor_b32_e32 v207, 0x80000000, v204
	s_delay_alu instid0(VALU_DEP_3) | instskip(SKIP_2) | instid1(VALU_DEP_2)
	v_cndmask_b32_e64 v210, v202, v205, s3
	v_cmp_gt_f64_e64 s3, 0, v[203:204]
	v_cndmask_b32_e32 v205, v184, v184, vcc_lo
	v_cndmask_b32_e64 v212, v204, v207, s3
	v_cndmask_b32_e64 v207, v186, v186, s2
	s_delay_alu instid0(VALU_DEP_2) | instskip(NEXT) | instid1(VALU_DEP_2)
	v_add_f64 v[209:210], v[209:210], v[211:212]
	v_add_f64 v[205:206], v[205:206], v[207:208]
	s_delay_alu instid0(VALU_DEP_1) | instskip(SKIP_4) | instid1(SALU_CYCLE_1)
	v_cmp_lt_f64_e32 vcc_lo, v[205:206], v[209:210]
	v_dual_cndmask_b32 v186, v186, v203 :: v_dual_cndmask_b32 v185, v185, v202
	v_dual_cndmask_b32 v184, v184, v201 :: v_dual_cndmask_b32 v187, v187, v204
	v_cndmask_b32_e64 v192, v192, s6, vcc_lo
	s_add_i32 s6, s6, 1
	s_cmp_lg_u32 s5, s6
	s_cbranch_scc1 .LBB90_862
.LBB90_863:
	s_set_inst_prefetch_distance 0x2
	s_waitcnt lgkmcnt(0)
	v_cmp_eq_f64_e32 vcc_lo, 0, v[184:185]
	v_cmp_eq_f64_e64 s2, 0, v[186:187]
	s_delay_alu instid0(VALU_DEP_1) | instskip(NEXT) | instid1(SALU_CYCLE_1)
	s_and_b32 s2, vcc_lo, s2
	s_and_saveexec_b32 s3, s2
	s_delay_alu instid0(SALU_CYCLE_1)
	s_xor_b32 s2, exec_lo, s3
; %bb.864:
	v_cmp_ne_u32_e32 vcc_lo, 0, v197
	v_cndmask_b32_e32 v197, 42, v197, vcc_lo
; %bb.865:
	s_and_not1_saveexec_b32 s3, s2
	s_cbranch_execz .LBB90_871
; %bb.866:
	v_cmp_gt_f64_e32 vcc_lo, 0, v[184:185]
	v_cmp_gt_f64_e64 s2, 0, v[186:187]
	v_xor_b32_e32 v193, 0x80000000, v185
	v_xor_b32_e32 v201, 0x80000000, v187
	s_delay_alu instid0(VALU_DEP_2) | instskip(NEXT) | instid1(VALU_DEP_2)
	v_cndmask_b32_e32 v202, v185, v193, vcc_lo
	v_cndmask_b32_e64 v204, v187, v201, s2
	v_cndmask_b32_e32 v201, v184, v184, vcc_lo
	v_cndmask_b32_e64 v203, v186, v186, s2
	s_mov_b32 s2, exec_lo
	s_delay_alu instid0(VALU_DEP_1)
	v_cmpx_ngt_f64_e32 v[201:202], v[203:204]
	s_xor_b32 s2, exec_lo, s2
	s_cbranch_execz .LBB90_868
; %bb.867:
	v_div_scale_f64 v[201:202], null, v[186:187], v[186:187], v[184:185]
	v_div_scale_f64 v[207:208], vcc_lo, v[184:185], v[186:187], v[184:185]
	s_delay_alu instid0(VALU_DEP_2) | instskip(SKIP_2) | instid1(VALU_DEP_1)
	v_rcp_f64_e32 v[203:204], v[201:202]
	s_waitcnt_depctr 0xfff
	v_fma_f64 v[205:206], -v[201:202], v[203:204], 1.0
	v_fma_f64 v[203:204], v[203:204], v[205:206], v[203:204]
	s_delay_alu instid0(VALU_DEP_1) | instskip(NEXT) | instid1(VALU_DEP_1)
	v_fma_f64 v[205:206], -v[201:202], v[203:204], 1.0
	v_fma_f64 v[203:204], v[203:204], v[205:206], v[203:204]
	s_delay_alu instid0(VALU_DEP_1) | instskip(NEXT) | instid1(VALU_DEP_1)
	v_mul_f64 v[205:206], v[207:208], v[203:204]
	v_fma_f64 v[201:202], -v[201:202], v[205:206], v[207:208]
	s_delay_alu instid0(VALU_DEP_1) | instskip(NEXT) | instid1(VALU_DEP_1)
	v_div_fmas_f64 v[201:202], v[201:202], v[203:204], v[205:206]
	v_div_fixup_f64 v[201:202], v[201:202], v[186:187], v[184:185]
	s_delay_alu instid0(VALU_DEP_1) | instskip(NEXT) | instid1(VALU_DEP_1)
	v_fma_f64 v[184:185], v[184:185], v[201:202], v[186:187]
	v_div_scale_f64 v[186:187], null, v[184:185], v[184:185], 1.0
	s_delay_alu instid0(VALU_DEP_1) | instskip(SKIP_2) | instid1(VALU_DEP_1)
	v_rcp_f64_e32 v[203:204], v[186:187]
	s_waitcnt_depctr 0xfff
	v_fma_f64 v[205:206], -v[186:187], v[203:204], 1.0
	v_fma_f64 v[203:204], v[203:204], v[205:206], v[203:204]
	s_delay_alu instid0(VALU_DEP_1) | instskip(NEXT) | instid1(VALU_DEP_1)
	v_fma_f64 v[205:206], -v[186:187], v[203:204], 1.0
	v_fma_f64 v[203:204], v[203:204], v[205:206], v[203:204]
	v_div_scale_f64 v[205:206], vcc_lo, 1.0, v[184:185], 1.0
	s_delay_alu instid0(VALU_DEP_1) | instskip(NEXT) | instid1(VALU_DEP_1)
	v_mul_f64 v[207:208], v[205:206], v[203:204]
	v_fma_f64 v[186:187], -v[186:187], v[207:208], v[205:206]
	s_delay_alu instid0(VALU_DEP_1) | instskip(NEXT) | instid1(VALU_DEP_1)
	v_div_fmas_f64 v[186:187], v[186:187], v[203:204], v[207:208]
	v_div_fixup_f64 v[186:187], v[186:187], v[184:185], 1.0
	s_delay_alu instid0(VALU_DEP_1)
	v_mul_f64 v[184:185], v[201:202], v[186:187]
	v_xor_b32_e32 v187, 0x80000000, v187
.LBB90_868:
	s_and_not1_saveexec_b32 s2, s2
	s_cbranch_execz .LBB90_870
; %bb.869:
	s_delay_alu instid0(VALU_DEP_1) | instskip(SKIP_1) | instid1(VALU_DEP_2)
	v_div_scale_f64 v[201:202], null, v[184:185], v[184:185], v[186:187]
	v_div_scale_f64 v[207:208], vcc_lo, v[186:187], v[184:185], v[186:187]
	v_rcp_f64_e32 v[203:204], v[201:202]
	s_waitcnt_depctr 0xfff
	v_fma_f64 v[205:206], -v[201:202], v[203:204], 1.0
	s_delay_alu instid0(VALU_DEP_1) | instskip(NEXT) | instid1(VALU_DEP_1)
	v_fma_f64 v[203:204], v[203:204], v[205:206], v[203:204]
	v_fma_f64 v[205:206], -v[201:202], v[203:204], 1.0
	s_delay_alu instid0(VALU_DEP_1) | instskip(NEXT) | instid1(VALU_DEP_1)
	v_fma_f64 v[203:204], v[203:204], v[205:206], v[203:204]
	v_mul_f64 v[205:206], v[207:208], v[203:204]
	s_delay_alu instid0(VALU_DEP_1) | instskip(NEXT) | instid1(VALU_DEP_1)
	v_fma_f64 v[201:202], -v[201:202], v[205:206], v[207:208]
	v_div_fmas_f64 v[201:202], v[201:202], v[203:204], v[205:206]
	s_delay_alu instid0(VALU_DEP_1) | instskip(NEXT) | instid1(VALU_DEP_1)
	v_div_fixup_f64 v[201:202], v[201:202], v[184:185], v[186:187]
	v_fma_f64 v[184:185], v[186:187], v[201:202], v[184:185]
	s_delay_alu instid0(VALU_DEP_1) | instskip(NEXT) | instid1(VALU_DEP_1)
	v_div_scale_f64 v[186:187], null, v[184:185], v[184:185], 1.0
	v_rcp_f64_e32 v[203:204], v[186:187]
	s_waitcnt_depctr 0xfff
	v_fma_f64 v[205:206], -v[186:187], v[203:204], 1.0
	s_delay_alu instid0(VALU_DEP_1) | instskip(NEXT) | instid1(VALU_DEP_1)
	v_fma_f64 v[203:204], v[203:204], v[205:206], v[203:204]
	v_fma_f64 v[205:206], -v[186:187], v[203:204], 1.0
	s_delay_alu instid0(VALU_DEP_1) | instskip(SKIP_1) | instid1(VALU_DEP_1)
	v_fma_f64 v[203:204], v[203:204], v[205:206], v[203:204]
	v_div_scale_f64 v[205:206], vcc_lo, 1.0, v[184:185], 1.0
	v_mul_f64 v[207:208], v[205:206], v[203:204]
	s_delay_alu instid0(VALU_DEP_1) | instskip(NEXT) | instid1(VALU_DEP_1)
	v_fma_f64 v[186:187], -v[186:187], v[207:208], v[205:206]
	v_div_fmas_f64 v[186:187], v[186:187], v[203:204], v[207:208]
	s_delay_alu instid0(VALU_DEP_1) | instskip(NEXT) | instid1(VALU_DEP_1)
	v_div_fixup_f64 v[184:185], v[186:187], v[184:185], 1.0
	v_mul_f64 v[186:187], v[201:202], -v[184:185]
.LBB90_870:
	s_or_b32 exec_lo, exec_lo, s2
.LBB90_871:
	s_delay_alu instid0(SALU_CYCLE_1) | instskip(NEXT) | instid1(SALU_CYCLE_1)
	s_or_b32 exec_lo, exec_lo, s3
	s_mov_b32 s2, exec_lo
	v_cmpx_ne_u32_e64 v200, v192
	s_xor_b32 s2, exec_lo, s2
	s_cbranch_execz .LBB90_877
; %bb.872:
	s_mov_b32 s3, exec_lo
	v_cmpx_eq_u32_e32 41, v200
	s_cbranch_execz .LBB90_876
; %bb.873:
	v_cmp_ne_u32_e32 vcc_lo, 41, v192
	s_xor_b32 s6, s4, -1
	s_delay_alu instid0(SALU_CYCLE_1) | instskip(NEXT) | instid1(SALU_CYCLE_1)
	s_and_b32 s7, s6, vcc_lo
	s_and_saveexec_b32 s6, s7
	s_cbranch_execz .LBB90_875
; %bb.874:
	v_ashrrev_i32_e32 v193, 31, v192
	s_delay_alu instid0(VALU_DEP_1) | instskip(NEXT) | instid1(VALU_DEP_1)
	v_lshlrev_b64 v[200:201], 2, v[192:193]
	v_add_co_u32 v200, vcc_lo, v190, v200
	s_delay_alu instid0(VALU_DEP_2)
	v_add_co_ci_u32_e32 v201, vcc_lo, v191, v201, vcc_lo
	s_clause 0x1
	flat_load_b32 v193, v[200:201]
	flat_load_b32 v198, v[190:191] offset:164
	s_waitcnt vmcnt(1) lgkmcnt(1)
	flat_store_b32 v[190:191], v193 offset:164
	s_waitcnt vmcnt(0) lgkmcnt(1)
	flat_store_b32 v[200:201], v198
.LBB90_875:
	s_or_b32 exec_lo, exec_lo, s6
	v_mov_b32_e32 v200, v192
	v_mov_b32_e32 v198, v192
.LBB90_876:
	s_or_b32 exec_lo, exec_lo, s3
.LBB90_877:
	s_and_not1_saveexec_b32 s2, s2
	s_cbranch_execz .LBB90_879
; %bb.878:
	v_mov_b32_e32 v200, 41
	ds_store_2addr_b64 v194, v[12:13], v[14:15] offset0:84 offset1:85
	ds_store_2addr_b64 v194, v[8:9], v[10:11] offset0:86 offset1:87
	;; [unrolled: 1-line block ×4, first 2 shown]
.LBB90_879:
	s_or_b32 exec_lo, exec_lo, s2
	s_delay_alu instid0(SALU_CYCLE_1)
	s_mov_b32 s2, exec_lo
	s_waitcnt lgkmcnt(0)
	s_waitcnt_vscnt null, 0x0
	s_barrier
	buffer_gl0_inv
	v_cmpx_lt_i32_e32 41, v200
	s_cbranch_execz .LBB90_881
; %bb.880:
	v_mul_f64 v[192:193], v[184:185], v[18:19]
	v_mul_f64 v[18:19], v[186:187], v[18:19]
	ds_load_2addr_b64 v[201:204], v194 offset0:84 offset1:85
	ds_load_2addr_b64 v[205:208], v194 offset0:86 offset1:87
	;; [unrolled: 1-line block ×4, first 2 shown]
	v_fma_f64 v[186:187], v[186:187], v[16:17], v[192:193]
	v_fma_f64 v[16:17], v[184:185], v[16:17], -v[18:19]
	s_waitcnt lgkmcnt(3)
	s_delay_alu instid0(VALU_DEP_2)
	v_mul_f64 v[18:19], v[203:204], v[186:187]
	v_mul_f64 v[184:185], v[201:202], v[186:187]
	s_waitcnt lgkmcnt(2)
	v_mul_f64 v[192:193], v[207:208], v[186:187]
	v_mul_f64 v[217:218], v[205:206], v[186:187]
	s_waitcnt lgkmcnt(1)
	;; [unrolled: 3-line block ×3, first 2 shown]
	v_mul_f64 v[223:224], v[215:216], v[186:187]
	v_mul_f64 v[225:226], v[213:214], v[186:187]
	v_fma_f64 v[18:19], v[201:202], v[16:17], -v[18:19]
	v_fma_f64 v[184:185], v[203:204], v[16:17], v[184:185]
	v_fma_f64 v[192:193], v[205:206], v[16:17], -v[192:193]
	v_fma_f64 v[201:202], v[207:208], v[16:17], v[217:218]
	;; [unrolled: 2-line block ×4, first 2 shown]
	v_add_f64 v[12:13], v[12:13], -v[18:19]
	v_add_f64 v[14:15], v[14:15], -v[184:185]
	;; [unrolled: 1-line block ×8, first 2 shown]
	v_dual_mov_b32 v18, v186 :: v_dual_mov_b32 v19, v187
.LBB90_881:
	s_or_b32 exec_lo, exec_lo, s2
	v_lshl_add_u32 v184, v200, 4, v194
	s_barrier
	buffer_gl0_inv
	v_mov_b32_e32 v192, 42
	ds_store_2addr_b64 v184, v[12:13], v[14:15] offset1:1
	s_waitcnt lgkmcnt(0)
	s_barrier
	buffer_gl0_inv
	ds_load_2addr_b64 v[184:187], v194 offset0:84 offset1:85
	s_cmp_lt_i32 s5, 44
	s_cbranch_scc1 .LBB90_884
; %bb.882:
	v_add3_u32 v193, v199, 0, 0x2b0
	v_mov_b32_e32 v192, 42
	s_mov_b32 s6, 43
	s_set_inst_prefetch_distance 0x1
	.p2align	6
.LBB90_883:                             ; =>This Inner Loop Header: Depth=1
	ds_load_2addr_b64 v[201:204], v193 offset1:1
	s_waitcnt lgkmcnt(1)
	v_cmp_gt_f64_e32 vcc_lo, 0, v[184:185]
	v_xor_b32_e32 v205, 0x80000000, v185
	v_cmp_gt_f64_e64 s2, 0, v[186:187]
	v_xor_b32_e32 v207, 0x80000000, v187
	v_add_nc_u32_e32 v193, 16, v193
	s_waitcnt lgkmcnt(0)
	v_cmp_gt_f64_e64 s3, 0, v[201:202]
	v_mov_b32_e32 v209, v201
	v_dual_mov_b32 v211, v203 :: v_dual_cndmask_b32 v206, v185, v205
	v_xor_b32_e32 v205, 0x80000000, v202
	v_cndmask_b32_e64 v208, v187, v207, s2
	v_xor_b32_e32 v207, 0x80000000, v204
	s_delay_alu instid0(VALU_DEP_3) | instskip(SKIP_2) | instid1(VALU_DEP_2)
	v_cndmask_b32_e64 v210, v202, v205, s3
	v_cmp_gt_f64_e64 s3, 0, v[203:204]
	v_cndmask_b32_e32 v205, v184, v184, vcc_lo
	v_cndmask_b32_e64 v212, v204, v207, s3
	v_cndmask_b32_e64 v207, v186, v186, s2
	s_delay_alu instid0(VALU_DEP_2) | instskip(NEXT) | instid1(VALU_DEP_2)
	v_add_f64 v[209:210], v[209:210], v[211:212]
	v_add_f64 v[205:206], v[205:206], v[207:208]
	s_delay_alu instid0(VALU_DEP_1) | instskip(SKIP_4) | instid1(SALU_CYCLE_1)
	v_cmp_lt_f64_e32 vcc_lo, v[205:206], v[209:210]
	v_dual_cndmask_b32 v186, v186, v203 :: v_dual_cndmask_b32 v185, v185, v202
	v_dual_cndmask_b32 v184, v184, v201 :: v_dual_cndmask_b32 v187, v187, v204
	v_cndmask_b32_e64 v192, v192, s6, vcc_lo
	s_add_i32 s6, s6, 1
	s_cmp_lg_u32 s5, s6
	s_cbranch_scc1 .LBB90_883
.LBB90_884:
	s_set_inst_prefetch_distance 0x2
	s_waitcnt lgkmcnt(0)
	v_cmp_eq_f64_e32 vcc_lo, 0, v[184:185]
	v_cmp_eq_f64_e64 s2, 0, v[186:187]
	s_delay_alu instid0(VALU_DEP_1) | instskip(NEXT) | instid1(SALU_CYCLE_1)
	s_and_b32 s2, vcc_lo, s2
	s_and_saveexec_b32 s3, s2
	s_delay_alu instid0(SALU_CYCLE_1)
	s_xor_b32 s2, exec_lo, s3
; %bb.885:
	v_cmp_ne_u32_e32 vcc_lo, 0, v197
	v_cndmask_b32_e32 v197, 43, v197, vcc_lo
; %bb.886:
	s_and_not1_saveexec_b32 s3, s2
	s_cbranch_execz .LBB90_892
; %bb.887:
	v_cmp_gt_f64_e32 vcc_lo, 0, v[184:185]
	v_cmp_gt_f64_e64 s2, 0, v[186:187]
	v_xor_b32_e32 v193, 0x80000000, v185
	v_xor_b32_e32 v201, 0x80000000, v187
	s_delay_alu instid0(VALU_DEP_2) | instskip(NEXT) | instid1(VALU_DEP_2)
	v_cndmask_b32_e32 v202, v185, v193, vcc_lo
	v_cndmask_b32_e64 v204, v187, v201, s2
	v_cndmask_b32_e32 v201, v184, v184, vcc_lo
	v_cndmask_b32_e64 v203, v186, v186, s2
	s_mov_b32 s2, exec_lo
	s_delay_alu instid0(VALU_DEP_1)
	v_cmpx_ngt_f64_e32 v[201:202], v[203:204]
	s_xor_b32 s2, exec_lo, s2
	s_cbranch_execz .LBB90_889
; %bb.888:
	v_div_scale_f64 v[201:202], null, v[186:187], v[186:187], v[184:185]
	v_div_scale_f64 v[207:208], vcc_lo, v[184:185], v[186:187], v[184:185]
	s_delay_alu instid0(VALU_DEP_2) | instskip(SKIP_2) | instid1(VALU_DEP_1)
	v_rcp_f64_e32 v[203:204], v[201:202]
	s_waitcnt_depctr 0xfff
	v_fma_f64 v[205:206], -v[201:202], v[203:204], 1.0
	v_fma_f64 v[203:204], v[203:204], v[205:206], v[203:204]
	s_delay_alu instid0(VALU_DEP_1) | instskip(NEXT) | instid1(VALU_DEP_1)
	v_fma_f64 v[205:206], -v[201:202], v[203:204], 1.0
	v_fma_f64 v[203:204], v[203:204], v[205:206], v[203:204]
	s_delay_alu instid0(VALU_DEP_1) | instskip(NEXT) | instid1(VALU_DEP_1)
	v_mul_f64 v[205:206], v[207:208], v[203:204]
	v_fma_f64 v[201:202], -v[201:202], v[205:206], v[207:208]
	s_delay_alu instid0(VALU_DEP_1) | instskip(NEXT) | instid1(VALU_DEP_1)
	v_div_fmas_f64 v[201:202], v[201:202], v[203:204], v[205:206]
	v_div_fixup_f64 v[201:202], v[201:202], v[186:187], v[184:185]
	s_delay_alu instid0(VALU_DEP_1) | instskip(NEXT) | instid1(VALU_DEP_1)
	v_fma_f64 v[184:185], v[184:185], v[201:202], v[186:187]
	v_div_scale_f64 v[186:187], null, v[184:185], v[184:185], 1.0
	s_delay_alu instid0(VALU_DEP_1) | instskip(SKIP_2) | instid1(VALU_DEP_1)
	v_rcp_f64_e32 v[203:204], v[186:187]
	s_waitcnt_depctr 0xfff
	v_fma_f64 v[205:206], -v[186:187], v[203:204], 1.0
	v_fma_f64 v[203:204], v[203:204], v[205:206], v[203:204]
	s_delay_alu instid0(VALU_DEP_1) | instskip(NEXT) | instid1(VALU_DEP_1)
	v_fma_f64 v[205:206], -v[186:187], v[203:204], 1.0
	v_fma_f64 v[203:204], v[203:204], v[205:206], v[203:204]
	v_div_scale_f64 v[205:206], vcc_lo, 1.0, v[184:185], 1.0
	s_delay_alu instid0(VALU_DEP_1) | instskip(NEXT) | instid1(VALU_DEP_1)
	v_mul_f64 v[207:208], v[205:206], v[203:204]
	v_fma_f64 v[186:187], -v[186:187], v[207:208], v[205:206]
	s_delay_alu instid0(VALU_DEP_1) | instskip(NEXT) | instid1(VALU_DEP_1)
	v_div_fmas_f64 v[186:187], v[186:187], v[203:204], v[207:208]
	v_div_fixup_f64 v[186:187], v[186:187], v[184:185], 1.0
	s_delay_alu instid0(VALU_DEP_1)
	v_mul_f64 v[184:185], v[201:202], v[186:187]
	v_xor_b32_e32 v187, 0x80000000, v187
.LBB90_889:
	s_and_not1_saveexec_b32 s2, s2
	s_cbranch_execz .LBB90_891
; %bb.890:
	s_delay_alu instid0(VALU_DEP_1) | instskip(SKIP_1) | instid1(VALU_DEP_2)
	v_div_scale_f64 v[201:202], null, v[184:185], v[184:185], v[186:187]
	v_div_scale_f64 v[207:208], vcc_lo, v[186:187], v[184:185], v[186:187]
	v_rcp_f64_e32 v[203:204], v[201:202]
	s_waitcnt_depctr 0xfff
	v_fma_f64 v[205:206], -v[201:202], v[203:204], 1.0
	s_delay_alu instid0(VALU_DEP_1) | instskip(NEXT) | instid1(VALU_DEP_1)
	v_fma_f64 v[203:204], v[203:204], v[205:206], v[203:204]
	v_fma_f64 v[205:206], -v[201:202], v[203:204], 1.0
	s_delay_alu instid0(VALU_DEP_1) | instskip(NEXT) | instid1(VALU_DEP_1)
	v_fma_f64 v[203:204], v[203:204], v[205:206], v[203:204]
	v_mul_f64 v[205:206], v[207:208], v[203:204]
	s_delay_alu instid0(VALU_DEP_1) | instskip(NEXT) | instid1(VALU_DEP_1)
	v_fma_f64 v[201:202], -v[201:202], v[205:206], v[207:208]
	v_div_fmas_f64 v[201:202], v[201:202], v[203:204], v[205:206]
	s_delay_alu instid0(VALU_DEP_1) | instskip(NEXT) | instid1(VALU_DEP_1)
	v_div_fixup_f64 v[201:202], v[201:202], v[184:185], v[186:187]
	v_fma_f64 v[184:185], v[186:187], v[201:202], v[184:185]
	s_delay_alu instid0(VALU_DEP_1) | instskip(NEXT) | instid1(VALU_DEP_1)
	v_div_scale_f64 v[186:187], null, v[184:185], v[184:185], 1.0
	v_rcp_f64_e32 v[203:204], v[186:187]
	s_waitcnt_depctr 0xfff
	v_fma_f64 v[205:206], -v[186:187], v[203:204], 1.0
	s_delay_alu instid0(VALU_DEP_1) | instskip(NEXT) | instid1(VALU_DEP_1)
	v_fma_f64 v[203:204], v[203:204], v[205:206], v[203:204]
	v_fma_f64 v[205:206], -v[186:187], v[203:204], 1.0
	s_delay_alu instid0(VALU_DEP_1) | instskip(SKIP_1) | instid1(VALU_DEP_1)
	v_fma_f64 v[203:204], v[203:204], v[205:206], v[203:204]
	v_div_scale_f64 v[205:206], vcc_lo, 1.0, v[184:185], 1.0
	v_mul_f64 v[207:208], v[205:206], v[203:204]
	s_delay_alu instid0(VALU_DEP_1) | instskip(NEXT) | instid1(VALU_DEP_1)
	v_fma_f64 v[186:187], -v[186:187], v[207:208], v[205:206]
	v_div_fmas_f64 v[186:187], v[186:187], v[203:204], v[207:208]
	s_delay_alu instid0(VALU_DEP_1) | instskip(NEXT) | instid1(VALU_DEP_1)
	v_div_fixup_f64 v[184:185], v[186:187], v[184:185], 1.0
	v_mul_f64 v[186:187], v[201:202], -v[184:185]
.LBB90_891:
	s_or_b32 exec_lo, exec_lo, s2
.LBB90_892:
	s_delay_alu instid0(SALU_CYCLE_1) | instskip(NEXT) | instid1(SALU_CYCLE_1)
	s_or_b32 exec_lo, exec_lo, s3
	s_mov_b32 s2, exec_lo
	v_cmpx_ne_u32_e64 v200, v192
	s_xor_b32 s2, exec_lo, s2
	s_cbranch_execz .LBB90_898
; %bb.893:
	s_mov_b32 s3, exec_lo
	v_cmpx_eq_u32_e32 42, v200
	s_cbranch_execz .LBB90_897
; %bb.894:
	v_cmp_ne_u32_e32 vcc_lo, 42, v192
	s_xor_b32 s6, s4, -1
	s_delay_alu instid0(SALU_CYCLE_1) | instskip(NEXT) | instid1(SALU_CYCLE_1)
	s_and_b32 s7, s6, vcc_lo
	s_and_saveexec_b32 s6, s7
	s_cbranch_execz .LBB90_896
; %bb.895:
	v_ashrrev_i32_e32 v193, 31, v192
	s_delay_alu instid0(VALU_DEP_1) | instskip(NEXT) | instid1(VALU_DEP_1)
	v_lshlrev_b64 v[200:201], 2, v[192:193]
	v_add_co_u32 v200, vcc_lo, v190, v200
	s_delay_alu instid0(VALU_DEP_2)
	v_add_co_ci_u32_e32 v201, vcc_lo, v191, v201, vcc_lo
	s_clause 0x1
	flat_load_b32 v193, v[200:201]
	flat_load_b32 v198, v[190:191] offset:168
	s_waitcnt vmcnt(1) lgkmcnt(1)
	flat_store_b32 v[190:191], v193 offset:168
	s_waitcnt vmcnt(0) lgkmcnt(1)
	flat_store_b32 v[200:201], v198
.LBB90_896:
	s_or_b32 exec_lo, exec_lo, s6
	v_mov_b32_e32 v200, v192
	v_mov_b32_e32 v198, v192
.LBB90_897:
	s_or_b32 exec_lo, exec_lo, s3
.LBB90_898:
	s_and_not1_saveexec_b32 s2, s2
	s_cbranch_execz .LBB90_900
; %bb.899:
	v_mov_b32_e32 v200, 42
	ds_store_2addr_b64 v194, v[8:9], v[10:11] offset0:86 offset1:87
	ds_store_2addr_b64 v194, v[4:5], v[6:7] offset0:88 offset1:89
	;; [unrolled: 1-line block ×3, first 2 shown]
.LBB90_900:
	s_or_b32 exec_lo, exec_lo, s2
	s_delay_alu instid0(SALU_CYCLE_1)
	s_mov_b32 s2, exec_lo
	s_waitcnt lgkmcnt(0)
	s_waitcnt_vscnt null, 0x0
	s_barrier
	buffer_gl0_inv
	v_cmpx_lt_i32_e32 42, v200
	s_cbranch_execz .LBB90_902
; %bb.901:
	v_mul_f64 v[192:193], v[184:185], v[14:15]
	v_mul_f64 v[14:15], v[186:187], v[14:15]
	ds_load_2addr_b64 v[201:204], v194 offset0:86 offset1:87
	ds_load_2addr_b64 v[205:208], v194 offset0:88 offset1:89
	;; [unrolled: 1-line block ×3, first 2 shown]
	v_fma_f64 v[186:187], v[186:187], v[12:13], v[192:193]
	v_fma_f64 v[12:13], v[184:185], v[12:13], -v[14:15]
	s_waitcnt lgkmcnt(2)
	s_delay_alu instid0(VALU_DEP_2)
	v_mul_f64 v[14:15], v[203:204], v[186:187]
	v_mul_f64 v[184:185], v[201:202], v[186:187]
	s_waitcnt lgkmcnt(1)
	v_mul_f64 v[192:193], v[207:208], v[186:187]
	v_mul_f64 v[213:214], v[205:206], v[186:187]
	s_waitcnt lgkmcnt(0)
	v_mul_f64 v[215:216], v[211:212], v[186:187]
	v_mul_f64 v[217:218], v[209:210], v[186:187]
	v_fma_f64 v[14:15], v[201:202], v[12:13], -v[14:15]
	v_fma_f64 v[184:185], v[203:204], v[12:13], v[184:185]
	v_fma_f64 v[192:193], v[205:206], v[12:13], -v[192:193]
	v_fma_f64 v[201:202], v[207:208], v[12:13], v[213:214]
	;; [unrolled: 2-line block ×3, first 2 shown]
	v_add_f64 v[8:9], v[8:9], -v[14:15]
	v_add_f64 v[10:11], v[10:11], -v[184:185]
	;; [unrolled: 1-line block ×6, first 2 shown]
	v_dual_mov_b32 v14, v186 :: v_dual_mov_b32 v15, v187
.LBB90_902:
	s_or_b32 exec_lo, exec_lo, s2
	v_lshl_add_u32 v184, v200, 4, v194
	s_barrier
	buffer_gl0_inv
	v_mov_b32_e32 v192, 43
	ds_store_2addr_b64 v184, v[8:9], v[10:11] offset1:1
	s_waitcnt lgkmcnt(0)
	s_barrier
	buffer_gl0_inv
	ds_load_2addr_b64 v[184:187], v194 offset0:86 offset1:87
	s_cmp_lt_i32 s5, 45
	s_cbranch_scc1 .LBB90_905
; %bb.903:
	v_add3_u32 v193, v199, 0, 0x2c0
	v_mov_b32_e32 v192, 43
	s_mov_b32 s6, 44
	s_set_inst_prefetch_distance 0x1
	.p2align	6
.LBB90_904:                             ; =>This Inner Loop Header: Depth=1
	ds_load_2addr_b64 v[201:204], v193 offset1:1
	s_waitcnt lgkmcnt(1)
	v_cmp_gt_f64_e32 vcc_lo, 0, v[184:185]
	v_xor_b32_e32 v205, 0x80000000, v185
	v_cmp_gt_f64_e64 s2, 0, v[186:187]
	v_xor_b32_e32 v207, 0x80000000, v187
	v_add_nc_u32_e32 v193, 16, v193
	s_waitcnt lgkmcnt(0)
	v_cmp_gt_f64_e64 s3, 0, v[201:202]
	v_mov_b32_e32 v209, v201
	v_dual_mov_b32 v211, v203 :: v_dual_cndmask_b32 v206, v185, v205
	v_xor_b32_e32 v205, 0x80000000, v202
	v_cndmask_b32_e64 v208, v187, v207, s2
	v_xor_b32_e32 v207, 0x80000000, v204
	s_delay_alu instid0(VALU_DEP_3) | instskip(SKIP_2) | instid1(VALU_DEP_2)
	v_cndmask_b32_e64 v210, v202, v205, s3
	v_cmp_gt_f64_e64 s3, 0, v[203:204]
	v_cndmask_b32_e32 v205, v184, v184, vcc_lo
	v_cndmask_b32_e64 v212, v204, v207, s3
	v_cndmask_b32_e64 v207, v186, v186, s2
	s_delay_alu instid0(VALU_DEP_2) | instskip(NEXT) | instid1(VALU_DEP_2)
	v_add_f64 v[209:210], v[209:210], v[211:212]
	v_add_f64 v[205:206], v[205:206], v[207:208]
	s_delay_alu instid0(VALU_DEP_1) | instskip(SKIP_4) | instid1(SALU_CYCLE_1)
	v_cmp_lt_f64_e32 vcc_lo, v[205:206], v[209:210]
	v_dual_cndmask_b32 v186, v186, v203 :: v_dual_cndmask_b32 v185, v185, v202
	v_dual_cndmask_b32 v184, v184, v201 :: v_dual_cndmask_b32 v187, v187, v204
	v_cndmask_b32_e64 v192, v192, s6, vcc_lo
	s_add_i32 s6, s6, 1
	s_cmp_lg_u32 s5, s6
	s_cbranch_scc1 .LBB90_904
.LBB90_905:
	s_set_inst_prefetch_distance 0x2
	s_waitcnt lgkmcnt(0)
	v_cmp_eq_f64_e32 vcc_lo, 0, v[184:185]
	v_cmp_eq_f64_e64 s2, 0, v[186:187]
	s_delay_alu instid0(VALU_DEP_1) | instskip(NEXT) | instid1(SALU_CYCLE_1)
	s_and_b32 s2, vcc_lo, s2
	s_and_saveexec_b32 s3, s2
	s_delay_alu instid0(SALU_CYCLE_1)
	s_xor_b32 s2, exec_lo, s3
; %bb.906:
	v_cmp_ne_u32_e32 vcc_lo, 0, v197
	v_cndmask_b32_e32 v197, 44, v197, vcc_lo
; %bb.907:
	s_and_not1_saveexec_b32 s3, s2
	s_cbranch_execz .LBB90_913
; %bb.908:
	v_cmp_gt_f64_e32 vcc_lo, 0, v[184:185]
	v_cmp_gt_f64_e64 s2, 0, v[186:187]
	v_xor_b32_e32 v193, 0x80000000, v185
	v_xor_b32_e32 v201, 0x80000000, v187
	s_delay_alu instid0(VALU_DEP_2) | instskip(NEXT) | instid1(VALU_DEP_2)
	v_cndmask_b32_e32 v202, v185, v193, vcc_lo
	v_cndmask_b32_e64 v204, v187, v201, s2
	v_cndmask_b32_e32 v201, v184, v184, vcc_lo
	v_cndmask_b32_e64 v203, v186, v186, s2
	s_mov_b32 s2, exec_lo
	s_delay_alu instid0(VALU_DEP_1)
	v_cmpx_ngt_f64_e32 v[201:202], v[203:204]
	s_xor_b32 s2, exec_lo, s2
	s_cbranch_execz .LBB90_910
; %bb.909:
	v_div_scale_f64 v[201:202], null, v[186:187], v[186:187], v[184:185]
	v_div_scale_f64 v[207:208], vcc_lo, v[184:185], v[186:187], v[184:185]
	s_delay_alu instid0(VALU_DEP_2) | instskip(SKIP_2) | instid1(VALU_DEP_1)
	v_rcp_f64_e32 v[203:204], v[201:202]
	s_waitcnt_depctr 0xfff
	v_fma_f64 v[205:206], -v[201:202], v[203:204], 1.0
	v_fma_f64 v[203:204], v[203:204], v[205:206], v[203:204]
	s_delay_alu instid0(VALU_DEP_1) | instskip(NEXT) | instid1(VALU_DEP_1)
	v_fma_f64 v[205:206], -v[201:202], v[203:204], 1.0
	v_fma_f64 v[203:204], v[203:204], v[205:206], v[203:204]
	s_delay_alu instid0(VALU_DEP_1) | instskip(NEXT) | instid1(VALU_DEP_1)
	v_mul_f64 v[205:206], v[207:208], v[203:204]
	v_fma_f64 v[201:202], -v[201:202], v[205:206], v[207:208]
	s_delay_alu instid0(VALU_DEP_1) | instskip(NEXT) | instid1(VALU_DEP_1)
	v_div_fmas_f64 v[201:202], v[201:202], v[203:204], v[205:206]
	v_div_fixup_f64 v[201:202], v[201:202], v[186:187], v[184:185]
	s_delay_alu instid0(VALU_DEP_1) | instskip(NEXT) | instid1(VALU_DEP_1)
	v_fma_f64 v[184:185], v[184:185], v[201:202], v[186:187]
	v_div_scale_f64 v[186:187], null, v[184:185], v[184:185], 1.0
	s_delay_alu instid0(VALU_DEP_1) | instskip(SKIP_2) | instid1(VALU_DEP_1)
	v_rcp_f64_e32 v[203:204], v[186:187]
	s_waitcnt_depctr 0xfff
	v_fma_f64 v[205:206], -v[186:187], v[203:204], 1.0
	v_fma_f64 v[203:204], v[203:204], v[205:206], v[203:204]
	s_delay_alu instid0(VALU_DEP_1) | instskip(NEXT) | instid1(VALU_DEP_1)
	v_fma_f64 v[205:206], -v[186:187], v[203:204], 1.0
	v_fma_f64 v[203:204], v[203:204], v[205:206], v[203:204]
	v_div_scale_f64 v[205:206], vcc_lo, 1.0, v[184:185], 1.0
	s_delay_alu instid0(VALU_DEP_1) | instskip(NEXT) | instid1(VALU_DEP_1)
	v_mul_f64 v[207:208], v[205:206], v[203:204]
	v_fma_f64 v[186:187], -v[186:187], v[207:208], v[205:206]
	s_delay_alu instid0(VALU_DEP_1) | instskip(NEXT) | instid1(VALU_DEP_1)
	v_div_fmas_f64 v[186:187], v[186:187], v[203:204], v[207:208]
	v_div_fixup_f64 v[186:187], v[186:187], v[184:185], 1.0
	s_delay_alu instid0(VALU_DEP_1)
	v_mul_f64 v[184:185], v[201:202], v[186:187]
	v_xor_b32_e32 v187, 0x80000000, v187
.LBB90_910:
	s_and_not1_saveexec_b32 s2, s2
	s_cbranch_execz .LBB90_912
; %bb.911:
	s_delay_alu instid0(VALU_DEP_1) | instskip(SKIP_1) | instid1(VALU_DEP_2)
	v_div_scale_f64 v[201:202], null, v[184:185], v[184:185], v[186:187]
	v_div_scale_f64 v[207:208], vcc_lo, v[186:187], v[184:185], v[186:187]
	v_rcp_f64_e32 v[203:204], v[201:202]
	s_waitcnt_depctr 0xfff
	v_fma_f64 v[205:206], -v[201:202], v[203:204], 1.0
	s_delay_alu instid0(VALU_DEP_1) | instskip(NEXT) | instid1(VALU_DEP_1)
	v_fma_f64 v[203:204], v[203:204], v[205:206], v[203:204]
	v_fma_f64 v[205:206], -v[201:202], v[203:204], 1.0
	s_delay_alu instid0(VALU_DEP_1) | instskip(NEXT) | instid1(VALU_DEP_1)
	v_fma_f64 v[203:204], v[203:204], v[205:206], v[203:204]
	v_mul_f64 v[205:206], v[207:208], v[203:204]
	s_delay_alu instid0(VALU_DEP_1) | instskip(NEXT) | instid1(VALU_DEP_1)
	v_fma_f64 v[201:202], -v[201:202], v[205:206], v[207:208]
	v_div_fmas_f64 v[201:202], v[201:202], v[203:204], v[205:206]
	s_delay_alu instid0(VALU_DEP_1) | instskip(NEXT) | instid1(VALU_DEP_1)
	v_div_fixup_f64 v[201:202], v[201:202], v[184:185], v[186:187]
	v_fma_f64 v[184:185], v[186:187], v[201:202], v[184:185]
	s_delay_alu instid0(VALU_DEP_1) | instskip(NEXT) | instid1(VALU_DEP_1)
	v_div_scale_f64 v[186:187], null, v[184:185], v[184:185], 1.0
	v_rcp_f64_e32 v[203:204], v[186:187]
	s_waitcnt_depctr 0xfff
	v_fma_f64 v[205:206], -v[186:187], v[203:204], 1.0
	s_delay_alu instid0(VALU_DEP_1) | instskip(NEXT) | instid1(VALU_DEP_1)
	v_fma_f64 v[203:204], v[203:204], v[205:206], v[203:204]
	v_fma_f64 v[205:206], -v[186:187], v[203:204], 1.0
	s_delay_alu instid0(VALU_DEP_1) | instskip(SKIP_1) | instid1(VALU_DEP_1)
	v_fma_f64 v[203:204], v[203:204], v[205:206], v[203:204]
	v_div_scale_f64 v[205:206], vcc_lo, 1.0, v[184:185], 1.0
	v_mul_f64 v[207:208], v[205:206], v[203:204]
	s_delay_alu instid0(VALU_DEP_1) | instskip(NEXT) | instid1(VALU_DEP_1)
	v_fma_f64 v[186:187], -v[186:187], v[207:208], v[205:206]
	v_div_fmas_f64 v[186:187], v[186:187], v[203:204], v[207:208]
	s_delay_alu instid0(VALU_DEP_1) | instskip(NEXT) | instid1(VALU_DEP_1)
	v_div_fixup_f64 v[184:185], v[186:187], v[184:185], 1.0
	v_mul_f64 v[186:187], v[201:202], -v[184:185]
.LBB90_912:
	s_or_b32 exec_lo, exec_lo, s2
.LBB90_913:
	s_delay_alu instid0(SALU_CYCLE_1) | instskip(NEXT) | instid1(SALU_CYCLE_1)
	s_or_b32 exec_lo, exec_lo, s3
	s_mov_b32 s2, exec_lo
	v_cmpx_ne_u32_e64 v200, v192
	s_xor_b32 s2, exec_lo, s2
	s_cbranch_execz .LBB90_919
; %bb.914:
	s_mov_b32 s3, exec_lo
	v_cmpx_eq_u32_e32 43, v200
	s_cbranch_execz .LBB90_918
; %bb.915:
	v_cmp_ne_u32_e32 vcc_lo, 43, v192
	s_xor_b32 s6, s4, -1
	s_delay_alu instid0(SALU_CYCLE_1) | instskip(NEXT) | instid1(SALU_CYCLE_1)
	s_and_b32 s7, s6, vcc_lo
	s_and_saveexec_b32 s6, s7
	s_cbranch_execz .LBB90_917
; %bb.916:
	v_ashrrev_i32_e32 v193, 31, v192
	s_delay_alu instid0(VALU_DEP_1) | instskip(NEXT) | instid1(VALU_DEP_1)
	v_lshlrev_b64 v[200:201], 2, v[192:193]
	v_add_co_u32 v200, vcc_lo, v190, v200
	s_delay_alu instid0(VALU_DEP_2)
	v_add_co_ci_u32_e32 v201, vcc_lo, v191, v201, vcc_lo
	s_clause 0x1
	flat_load_b32 v193, v[200:201]
	flat_load_b32 v198, v[190:191] offset:172
	s_waitcnt vmcnt(1) lgkmcnt(1)
	flat_store_b32 v[190:191], v193 offset:172
	s_waitcnt vmcnt(0) lgkmcnt(1)
	flat_store_b32 v[200:201], v198
.LBB90_917:
	s_or_b32 exec_lo, exec_lo, s6
	v_mov_b32_e32 v200, v192
	v_mov_b32_e32 v198, v192
.LBB90_918:
	s_or_b32 exec_lo, exec_lo, s3
.LBB90_919:
	s_and_not1_saveexec_b32 s2, s2
	s_cbranch_execz .LBB90_921
; %bb.920:
	v_mov_b32_e32 v200, 43
	ds_store_2addr_b64 v194, v[4:5], v[6:7] offset0:88 offset1:89
	ds_store_2addr_b64 v194, v[0:1], v[2:3] offset0:90 offset1:91
.LBB90_921:
	s_or_b32 exec_lo, exec_lo, s2
	s_delay_alu instid0(SALU_CYCLE_1)
	s_mov_b32 s2, exec_lo
	s_waitcnt lgkmcnt(0)
	s_waitcnt_vscnt null, 0x0
	s_barrier
	buffer_gl0_inv
	v_cmpx_lt_i32_e32 43, v200
	s_cbranch_execz .LBB90_923
; %bb.922:
	v_mul_f64 v[192:193], v[184:185], v[10:11]
	v_mul_f64 v[10:11], v[186:187], v[10:11]
	ds_load_2addr_b64 v[201:204], v194 offset0:88 offset1:89
	ds_load_2addr_b64 v[205:208], v194 offset0:90 offset1:91
	v_fma_f64 v[186:187], v[186:187], v[8:9], v[192:193]
	v_fma_f64 v[8:9], v[184:185], v[8:9], -v[10:11]
	s_waitcnt lgkmcnt(1)
	s_delay_alu instid0(VALU_DEP_2) | instskip(SKIP_4) | instid1(VALU_DEP_4)
	v_mul_f64 v[10:11], v[203:204], v[186:187]
	v_mul_f64 v[184:185], v[201:202], v[186:187]
	s_waitcnt lgkmcnt(0)
	v_mul_f64 v[192:193], v[207:208], v[186:187]
	v_mul_f64 v[209:210], v[205:206], v[186:187]
	v_fma_f64 v[10:11], v[201:202], v[8:9], -v[10:11]
	s_delay_alu instid0(VALU_DEP_4) | instskip(NEXT) | instid1(VALU_DEP_4)
	v_fma_f64 v[184:185], v[203:204], v[8:9], v[184:185]
	v_fma_f64 v[192:193], v[205:206], v[8:9], -v[192:193]
	s_delay_alu instid0(VALU_DEP_4) | instskip(NEXT) | instid1(VALU_DEP_4)
	v_fma_f64 v[201:202], v[207:208], v[8:9], v[209:210]
	v_add_f64 v[4:5], v[4:5], -v[10:11]
	s_delay_alu instid0(VALU_DEP_4) | instskip(NEXT) | instid1(VALU_DEP_4)
	v_add_f64 v[6:7], v[6:7], -v[184:185]
	v_add_f64 v[0:1], v[0:1], -v[192:193]
	s_delay_alu instid0(VALU_DEP_4)
	v_add_f64 v[2:3], v[2:3], -v[201:202]
	v_dual_mov_b32 v10, v186 :: v_dual_mov_b32 v11, v187
.LBB90_923:
	s_or_b32 exec_lo, exec_lo, s2
	v_lshl_add_u32 v184, v200, 4, v194
	s_barrier
	buffer_gl0_inv
	v_mov_b32_e32 v192, 44
	ds_store_2addr_b64 v184, v[4:5], v[6:7] offset1:1
	s_waitcnt lgkmcnt(0)
	s_barrier
	buffer_gl0_inv
	ds_load_2addr_b64 v[184:187], v194 offset0:88 offset1:89
	s_cmp_lt_i32 s5, 46
	s_cbranch_scc1 .LBB90_926
; %bb.924:
	v_add3_u32 v193, v199, 0, 0x2d0
	v_mov_b32_e32 v192, 44
	s_mov_b32 s6, 45
	s_set_inst_prefetch_distance 0x1
	.p2align	6
.LBB90_925:                             ; =>This Inner Loop Header: Depth=1
	ds_load_2addr_b64 v[201:204], v193 offset1:1
	s_waitcnt lgkmcnt(1)
	v_cmp_gt_f64_e32 vcc_lo, 0, v[184:185]
	v_xor_b32_e32 v205, 0x80000000, v185
	v_cmp_gt_f64_e64 s2, 0, v[186:187]
	v_xor_b32_e32 v207, 0x80000000, v187
	v_add_nc_u32_e32 v193, 16, v193
	s_waitcnt lgkmcnt(0)
	v_cmp_gt_f64_e64 s3, 0, v[201:202]
	v_mov_b32_e32 v209, v201
	v_dual_mov_b32 v211, v203 :: v_dual_cndmask_b32 v206, v185, v205
	v_xor_b32_e32 v205, 0x80000000, v202
	v_cndmask_b32_e64 v208, v187, v207, s2
	v_xor_b32_e32 v207, 0x80000000, v204
	s_delay_alu instid0(VALU_DEP_3) | instskip(SKIP_2) | instid1(VALU_DEP_2)
	v_cndmask_b32_e64 v210, v202, v205, s3
	v_cmp_gt_f64_e64 s3, 0, v[203:204]
	v_cndmask_b32_e32 v205, v184, v184, vcc_lo
	v_cndmask_b32_e64 v212, v204, v207, s3
	v_cndmask_b32_e64 v207, v186, v186, s2
	s_delay_alu instid0(VALU_DEP_2) | instskip(NEXT) | instid1(VALU_DEP_2)
	v_add_f64 v[209:210], v[209:210], v[211:212]
	v_add_f64 v[205:206], v[205:206], v[207:208]
	s_delay_alu instid0(VALU_DEP_1) | instskip(SKIP_4) | instid1(SALU_CYCLE_1)
	v_cmp_lt_f64_e32 vcc_lo, v[205:206], v[209:210]
	v_dual_cndmask_b32 v186, v186, v203 :: v_dual_cndmask_b32 v185, v185, v202
	v_dual_cndmask_b32 v184, v184, v201 :: v_dual_cndmask_b32 v187, v187, v204
	v_cndmask_b32_e64 v192, v192, s6, vcc_lo
	s_add_i32 s6, s6, 1
	s_cmp_lg_u32 s5, s6
	s_cbranch_scc1 .LBB90_925
.LBB90_926:
	s_set_inst_prefetch_distance 0x2
	s_waitcnt lgkmcnt(0)
	v_cmp_eq_f64_e32 vcc_lo, 0, v[184:185]
	v_cmp_eq_f64_e64 s2, 0, v[186:187]
	s_delay_alu instid0(VALU_DEP_1) | instskip(NEXT) | instid1(SALU_CYCLE_1)
	s_and_b32 s2, vcc_lo, s2
	s_and_saveexec_b32 s3, s2
	s_delay_alu instid0(SALU_CYCLE_1)
	s_xor_b32 s2, exec_lo, s3
; %bb.927:
	v_cmp_ne_u32_e32 vcc_lo, 0, v197
	v_cndmask_b32_e32 v197, 45, v197, vcc_lo
; %bb.928:
	s_and_not1_saveexec_b32 s3, s2
	s_cbranch_execz .LBB90_934
; %bb.929:
	v_cmp_gt_f64_e32 vcc_lo, 0, v[184:185]
	v_cmp_gt_f64_e64 s2, 0, v[186:187]
	v_xor_b32_e32 v193, 0x80000000, v185
	v_xor_b32_e32 v201, 0x80000000, v187
	s_delay_alu instid0(VALU_DEP_2) | instskip(NEXT) | instid1(VALU_DEP_2)
	v_cndmask_b32_e32 v202, v185, v193, vcc_lo
	v_cndmask_b32_e64 v204, v187, v201, s2
	v_cndmask_b32_e32 v201, v184, v184, vcc_lo
	v_cndmask_b32_e64 v203, v186, v186, s2
	s_mov_b32 s2, exec_lo
	s_delay_alu instid0(VALU_DEP_1)
	v_cmpx_ngt_f64_e32 v[201:202], v[203:204]
	s_xor_b32 s2, exec_lo, s2
	s_cbranch_execz .LBB90_931
; %bb.930:
	v_div_scale_f64 v[201:202], null, v[186:187], v[186:187], v[184:185]
	v_div_scale_f64 v[207:208], vcc_lo, v[184:185], v[186:187], v[184:185]
	s_delay_alu instid0(VALU_DEP_2) | instskip(SKIP_2) | instid1(VALU_DEP_1)
	v_rcp_f64_e32 v[203:204], v[201:202]
	s_waitcnt_depctr 0xfff
	v_fma_f64 v[205:206], -v[201:202], v[203:204], 1.0
	v_fma_f64 v[203:204], v[203:204], v[205:206], v[203:204]
	s_delay_alu instid0(VALU_DEP_1) | instskip(NEXT) | instid1(VALU_DEP_1)
	v_fma_f64 v[205:206], -v[201:202], v[203:204], 1.0
	v_fma_f64 v[203:204], v[203:204], v[205:206], v[203:204]
	s_delay_alu instid0(VALU_DEP_1) | instskip(NEXT) | instid1(VALU_DEP_1)
	v_mul_f64 v[205:206], v[207:208], v[203:204]
	v_fma_f64 v[201:202], -v[201:202], v[205:206], v[207:208]
	s_delay_alu instid0(VALU_DEP_1) | instskip(NEXT) | instid1(VALU_DEP_1)
	v_div_fmas_f64 v[201:202], v[201:202], v[203:204], v[205:206]
	v_div_fixup_f64 v[201:202], v[201:202], v[186:187], v[184:185]
	s_delay_alu instid0(VALU_DEP_1) | instskip(NEXT) | instid1(VALU_DEP_1)
	v_fma_f64 v[184:185], v[184:185], v[201:202], v[186:187]
	v_div_scale_f64 v[186:187], null, v[184:185], v[184:185], 1.0
	s_delay_alu instid0(VALU_DEP_1) | instskip(SKIP_2) | instid1(VALU_DEP_1)
	v_rcp_f64_e32 v[203:204], v[186:187]
	s_waitcnt_depctr 0xfff
	v_fma_f64 v[205:206], -v[186:187], v[203:204], 1.0
	v_fma_f64 v[203:204], v[203:204], v[205:206], v[203:204]
	s_delay_alu instid0(VALU_DEP_1) | instskip(NEXT) | instid1(VALU_DEP_1)
	v_fma_f64 v[205:206], -v[186:187], v[203:204], 1.0
	v_fma_f64 v[203:204], v[203:204], v[205:206], v[203:204]
	v_div_scale_f64 v[205:206], vcc_lo, 1.0, v[184:185], 1.0
	s_delay_alu instid0(VALU_DEP_1) | instskip(NEXT) | instid1(VALU_DEP_1)
	v_mul_f64 v[207:208], v[205:206], v[203:204]
	v_fma_f64 v[186:187], -v[186:187], v[207:208], v[205:206]
	s_delay_alu instid0(VALU_DEP_1) | instskip(NEXT) | instid1(VALU_DEP_1)
	v_div_fmas_f64 v[186:187], v[186:187], v[203:204], v[207:208]
	v_div_fixup_f64 v[186:187], v[186:187], v[184:185], 1.0
	s_delay_alu instid0(VALU_DEP_1)
	v_mul_f64 v[184:185], v[201:202], v[186:187]
	v_xor_b32_e32 v187, 0x80000000, v187
.LBB90_931:
	s_and_not1_saveexec_b32 s2, s2
	s_cbranch_execz .LBB90_933
; %bb.932:
	s_delay_alu instid0(VALU_DEP_1) | instskip(SKIP_1) | instid1(VALU_DEP_2)
	v_div_scale_f64 v[201:202], null, v[184:185], v[184:185], v[186:187]
	v_div_scale_f64 v[207:208], vcc_lo, v[186:187], v[184:185], v[186:187]
	v_rcp_f64_e32 v[203:204], v[201:202]
	s_waitcnt_depctr 0xfff
	v_fma_f64 v[205:206], -v[201:202], v[203:204], 1.0
	s_delay_alu instid0(VALU_DEP_1) | instskip(NEXT) | instid1(VALU_DEP_1)
	v_fma_f64 v[203:204], v[203:204], v[205:206], v[203:204]
	v_fma_f64 v[205:206], -v[201:202], v[203:204], 1.0
	s_delay_alu instid0(VALU_DEP_1) | instskip(NEXT) | instid1(VALU_DEP_1)
	v_fma_f64 v[203:204], v[203:204], v[205:206], v[203:204]
	v_mul_f64 v[205:206], v[207:208], v[203:204]
	s_delay_alu instid0(VALU_DEP_1) | instskip(NEXT) | instid1(VALU_DEP_1)
	v_fma_f64 v[201:202], -v[201:202], v[205:206], v[207:208]
	v_div_fmas_f64 v[201:202], v[201:202], v[203:204], v[205:206]
	s_delay_alu instid0(VALU_DEP_1) | instskip(NEXT) | instid1(VALU_DEP_1)
	v_div_fixup_f64 v[201:202], v[201:202], v[184:185], v[186:187]
	v_fma_f64 v[184:185], v[186:187], v[201:202], v[184:185]
	s_delay_alu instid0(VALU_DEP_1) | instskip(NEXT) | instid1(VALU_DEP_1)
	v_div_scale_f64 v[186:187], null, v[184:185], v[184:185], 1.0
	v_rcp_f64_e32 v[203:204], v[186:187]
	s_waitcnt_depctr 0xfff
	v_fma_f64 v[205:206], -v[186:187], v[203:204], 1.0
	s_delay_alu instid0(VALU_DEP_1) | instskip(NEXT) | instid1(VALU_DEP_1)
	v_fma_f64 v[203:204], v[203:204], v[205:206], v[203:204]
	v_fma_f64 v[205:206], -v[186:187], v[203:204], 1.0
	s_delay_alu instid0(VALU_DEP_1) | instskip(SKIP_1) | instid1(VALU_DEP_1)
	v_fma_f64 v[203:204], v[203:204], v[205:206], v[203:204]
	v_div_scale_f64 v[205:206], vcc_lo, 1.0, v[184:185], 1.0
	v_mul_f64 v[207:208], v[205:206], v[203:204]
	s_delay_alu instid0(VALU_DEP_1) | instskip(NEXT) | instid1(VALU_DEP_1)
	v_fma_f64 v[186:187], -v[186:187], v[207:208], v[205:206]
	v_div_fmas_f64 v[186:187], v[186:187], v[203:204], v[207:208]
	s_delay_alu instid0(VALU_DEP_1) | instskip(NEXT) | instid1(VALU_DEP_1)
	v_div_fixup_f64 v[184:185], v[186:187], v[184:185], 1.0
	v_mul_f64 v[186:187], v[201:202], -v[184:185]
.LBB90_933:
	s_or_b32 exec_lo, exec_lo, s2
.LBB90_934:
	s_delay_alu instid0(SALU_CYCLE_1) | instskip(NEXT) | instid1(SALU_CYCLE_1)
	s_or_b32 exec_lo, exec_lo, s3
	s_mov_b32 s2, exec_lo
	v_cmpx_ne_u32_e64 v200, v192
	s_xor_b32 s2, exec_lo, s2
	s_cbranch_execz .LBB90_940
; %bb.935:
	s_mov_b32 s3, exec_lo
	v_cmpx_eq_u32_e32 44, v200
	s_cbranch_execz .LBB90_939
; %bb.936:
	v_cmp_ne_u32_e32 vcc_lo, 44, v192
	s_xor_b32 s6, s4, -1
	s_delay_alu instid0(SALU_CYCLE_1) | instskip(NEXT) | instid1(SALU_CYCLE_1)
	s_and_b32 s7, s6, vcc_lo
	s_and_saveexec_b32 s6, s7
	s_cbranch_execz .LBB90_938
; %bb.937:
	v_ashrrev_i32_e32 v193, 31, v192
	s_delay_alu instid0(VALU_DEP_1) | instskip(NEXT) | instid1(VALU_DEP_1)
	v_lshlrev_b64 v[200:201], 2, v[192:193]
	v_add_co_u32 v200, vcc_lo, v190, v200
	s_delay_alu instid0(VALU_DEP_2)
	v_add_co_ci_u32_e32 v201, vcc_lo, v191, v201, vcc_lo
	s_clause 0x1
	flat_load_b32 v193, v[200:201]
	flat_load_b32 v198, v[190:191] offset:176
	s_waitcnt vmcnt(1) lgkmcnt(1)
	flat_store_b32 v[190:191], v193 offset:176
	s_waitcnt vmcnt(0) lgkmcnt(1)
	flat_store_b32 v[200:201], v198
.LBB90_938:
	s_or_b32 exec_lo, exec_lo, s6
	v_mov_b32_e32 v200, v192
	v_mov_b32_e32 v198, v192
.LBB90_939:
	s_or_b32 exec_lo, exec_lo, s3
.LBB90_940:
	s_and_not1_saveexec_b32 s2, s2
	s_cbranch_execz .LBB90_942
; %bb.941:
	v_mov_b32_e32 v200, 44
	ds_store_2addr_b64 v194, v[0:1], v[2:3] offset0:90 offset1:91
.LBB90_942:
	s_or_b32 exec_lo, exec_lo, s2
	s_delay_alu instid0(SALU_CYCLE_1)
	s_mov_b32 s2, exec_lo
	s_waitcnt lgkmcnt(0)
	s_waitcnt_vscnt null, 0x0
	s_barrier
	buffer_gl0_inv
	v_cmpx_lt_i32_e32 44, v200
	s_cbranch_execz .LBB90_944
; %bb.943:
	v_mul_f64 v[192:193], v[184:185], v[6:7]
	v_mul_f64 v[6:7], v[186:187], v[6:7]
	ds_load_2addr_b64 v[201:204], v194 offset0:90 offset1:91
	v_fma_f64 v[186:187], v[186:187], v[4:5], v[192:193]
	v_fma_f64 v[4:5], v[184:185], v[4:5], -v[6:7]
	s_waitcnt lgkmcnt(0)
	s_delay_alu instid0(VALU_DEP_2) | instskip(SKIP_1) | instid1(VALU_DEP_2)
	v_mul_f64 v[6:7], v[203:204], v[186:187]
	v_mul_f64 v[184:185], v[201:202], v[186:187]
	v_fma_f64 v[6:7], v[201:202], v[4:5], -v[6:7]
	s_delay_alu instid0(VALU_DEP_2) | instskip(NEXT) | instid1(VALU_DEP_2)
	v_fma_f64 v[184:185], v[203:204], v[4:5], v[184:185]
	v_add_f64 v[0:1], v[0:1], -v[6:7]
	s_delay_alu instid0(VALU_DEP_2)
	v_add_f64 v[2:3], v[2:3], -v[184:185]
	v_dual_mov_b32 v6, v186 :: v_dual_mov_b32 v7, v187
.LBB90_944:
	s_or_b32 exec_lo, exec_lo, s2
	v_lshl_add_u32 v184, v200, 4, v194
	s_barrier
	buffer_gl0_inv
	v_mov_b32_e32 v192, 45
	ds_store_2addr_b64 v184, v[0:1], v[2:3] offset1:1
	s_waitcnt lgkmcnt(0)
	s_barrier
	buffer_gl0_inv
	ds_load_2addr_b64 v[184:187], v194 offset0:90 offset1:91
	s_cmp_lt_i32 s5, 47
	s_cbranch_scc1 .LBB90_947
; %bb.945:
	v_add3_u32 v193, v199, 0, 0x2e0
	v_mov_b32_e32 v192, 45
	s_mov_b32 s6, 46
	s_set_inst_prefetch_distance 0x1
	.p2align	6
.LBB90_946:                             ; =>This Inner Loop Header: Depth=1
	ds_load_2addr_b64 v[201:204], v193 offset1:1
	s_waitcnt lgkmcnt(1)
	v_cmp_gt_f64_e32 vcc_lo, 0, v[184:185]
	v_xor_b32_e32 v194, 0x80000000, v185
	v_cmp_gt_f64_e64 s2, 0, v[186:187]
	v_xor_b32_e32 v199, 0x80000000, v187
	v_add_nc_u32_e32 v193, 16, v193
	s_waitcnt lgkmcnt(0)
	v_cmp_gt_f64_e64 s3, 0, v[201:202]
	v_mov_b32_e32 v209, v201
	v_dual_mov_b32 v211, v203 :: v_dual_cndmask_b32 v206, v185, v194
	v_xor_b32_e32 v194, 0x80000000, v202
	v_cndmask_b32_e64 v208, v187, v199, s2
	v_xor_b32_e32 v199, 0x80000000, v204
	v_cndmask_b32_e32 v205, v184, v184, vcc_lo
	v_cndmask_b32_e64 v207, v186, v186, s2
	s_delay_alu instid0(VALU_DEP_1) | instskip(SKIP_2) | instid1(VALU_DEP_1)
	v_add_f64 v[205:206], v[205:206], v[207:208]
	v_cndmask_b32_e64 v210, v202, v194, s3
	v_cmp_gt_f64_e64 s3, 0, v[203:204]
	v_cndmask_b32_e64 v212, v204, v199, s3
	s_delay_alu instid0(VALU_DEP_1) | instskip(NEXT) | instid1(VALU_DEP_1)
	v_add_f64 v[209:210], v[209:210], v[211:212]
	v_cmp_lt_f64_e32 vcc_lo, v[205:206], v[209:210]
	v_dual_cndmask_b32 v186, v186, v203 :: v_dual_cndmask_b32 v185, v185, v202
	v_dual_cndmask_b32 v184, v184, v201 :: v_dual_cndmask_b32 v187, v187, v204
	v_cndmask_b32_e64 v192, v192, s6, vcc_lo
	s_add_i32 s6, s6, 1
	s_delay_alu instid0(SALU_CYCLE_1)
	s_cmp_lg_u32 s5, s6
	s_cbranch_scc1 .LBB90_946
.LBB90_947:
	s_set_inst_prefetch_distance 0x2
	s_waitcnt lgkmcnt(0)
	v_cmp_eq_f64_e32 vcc_lo, 0, v[184:185]
	v_cmp_eq_f64_e64 s2, 0, v[186:187]
	s_delay_alu instid0(VALU_DEP_1) | instskip(NEXT) | instid1(SALU_CYCLE_1)
	s_and_b32 s2, vcc_lo, s2
	s_and_saveexec_b32 s3, s2
	s_delay_alu instid0(SALU_CYCLE_1)
	s_xor_b32 s2, exec_lo, s3
; %bb.948:
	v_cmp_ne_u32_e32 vcc_lo, 0, v197
	v_cndmask_b32_e32 v197, 46, v197, vcc_lo
; %bb.949:
	s_and_not1_saveexec_b32 s3, s2
	s_cbranch_execz .LBB90_955
; %bb.950:
	v_cmp_gt_f64_e32 vcc_lo, 0, v[184:185]
	v_cmp_gt_f64_e64 s2, 0, v[186:187]
	v_xor_b32_e32 v193, 0x80000000, v185
	v_xor_b32_e32 v199, 0x80000000, v187
	s_delay_alu instid0(VALU_DEP_2) | instskip(NEXT) | instid1(VALU_DEP_2)
	v_dual_cndmask_b32 v194, v185, v193 :: v_dual_cndmask_b32 v193, v184, v184
	v_cndmask_b32_e64 v202, v187, v199, s2
	v_cndmask_b32_e64 v201, v186, v186, s2
	s_mov_b32 s2, exec_lo
	s_delay_alu instid0(VALU_DEP_1)
	v_cmpx_ngt_f64_e32 v[193:194], v[201:202]
	s_xor_b32 s2, exec_lo, s2
	s_cbranch_execz .LBB90_952
; %bb.951:
	v_div_scale_f64 v[193:194], null, v[186:187], v[186:187], v[184:185]
	v_div_scale_f64 v[205:206], vcc_lo, v[184:185], v[186:187], v[184:185]
	s_delay_alu instid0(VALU_DEP_2) | instskip(SKIP_2) | instid1(VALU_DEP_1)
	v_rcp_f64_e32 v[201:202], v[193:194]
	s_waitcnt_depctr 0xfff
	v_fma_f64 v[203:204], -v[193:194], v[201:202], 1.0
	v_fma_f64 v[201:202], v[201:202], v[203:204], v[201:202]
	s_delay_alu instid0(VALU_DEP_1) | instskip(NEXT) | instid1(VALU_DEP_1)
	v_fma_f64 v[203:204], -v[193:194], v[201:202], 1.0
	v_fma_f64 v[201:202], v[201:202], v[203:204], v[201:202]
	s_delay_alu instid0(VALU_DEP_1) | instskip(NEXT) | instid1(VALU_DEP_1)
	v_mul_f64 v[203:204], v[205:206], v[201:202]
	v_fma_f64 v[193:194], -v[193:194], v[203:204], v[205:206]
	s_delay_alu instid0(VALU_DEP_1) | instskip(NEXT) | instid1(VALU_DEP_1)
	v_div_fmas_f64 v[193:194], v[193:194], v[201:202], v[203:204]
	v_div_fixup_f64 v[193:194], v[193:194], v[186:187], v[184:185]
	s_delay_alu instid0(VALU_DEP_1) | instskip(NEXT) | instid1(VALU_DEP_1)
	v_fma_f64 v[184:185], v[184:185], v[193:194], v[186:187]
	v_div_scale_f64 v[186:187], null, v[184:185], v[184:185], 1.0
	s_delay_alu instid0(VALU_DEP_1) | instskip(SKIP_2) | instid1(VALU_DEP_1)
	v_rcp_f64_e32 v[201:202], v[186:187]
	s_waitcnt_depctr 0xfff
	v_fma_f64 v[203:204], -v[186:187], v[201:202], 1.0
	v_fma_f64 v[201:202], v[201:202], v[203:204], v[201:202]
	s_delay_alu instid0(VALU_DEP_1) | instskip(NEXT) | instid1(VALU_DEP_1)
	v_fma_f64 v[203:204], -v[186:187], v[201:202], 1.0
	v_fma_f64 v[201:202], v[201:202], v[203:204], v[201:202]
	v_div_scale_f64 v[203:204], vcc_lo, 1.0, v[184:185], 1.0
	s_delay_alu instid0(VALU_DEP_1) | instskip(NEXT) | instid1(VALU_DEP_1)
	v_mul_f64 v[205:206], v[203:204], v[201:202]
	v_fma_f64 v[186:187], -v[186:187], v[205:206], v[203:204]
	s_delay_alu instid0(VALU_DEP_1) | instskip(NEXT) | instid1(VALU_DEP_1)
	v_div_fmas_f64 v[186:187], v[186:187], v[201:202], v[205:206]
	v_div_fixup_f64 v[186:187], v[186:187], v[184:185], 1.0
	s_delay_alu instid0(VALU_DEP_1)
	v_mul_f64 v[184:185], v[193:194], v[186:187]
	v_xor_b32_e32 v187, 0x80000000, v187
.LBB90_952:
	s_and_not1_saveexec_b32 s2, s2
	s_cbranch_execz .LBB90_954
; %bb.953:
	s_delay_alu instid0(VALU_DEP_1) | instskip(SKIP_1) | instid1(VALU_DEP_2)
	v_div_scale_f64 v[193:194], null, v[184:185], v[184:185], v[186:187]
	v_div_scale_f64 v[205:206], vcc_lo, v[186:187], v[184:185], v[186:187]
	v_rcp_f64_e32 v[201:202], v[193:194]
	s_waitcnt_depctr 0xfff
	v_fma_f64 v[203:204], -v[193:194], v[201:202], 1.0
	s_delay_alu instid0(VALU_DEP_1) | instskip(NEXT) | instid1(VALU_DEP_1)
	v_fma_f64 v[201:202], v[201:202], v[203:204], v[201:202]
	v_fma_f64 v[203:204], -v[193:194], v[201:202], 1.0
	s_delay_alu instid0(VALU_DEP_1) | instskip(NEXT) | instid1(VALU_DEP_1)
	v_fma_f64 v[201:202], v[201:202], v[203:204], v[201:202]
	v_mul_f64 v[203:204], v[205:206], v[201:202]
	s_delay_alu instid0(VALU_DEP_1) | instskip(NEXT) | instid1(VALU_DEP_1)
	v_fma_f64 v[193:194], -v[193:194], v[203:204], v[205:206]
	v_div_fmas_f64 v[193:194], v[193:194], v[201:202], v[203:204]
	s_delay_alu instid0(VALU_DEP_1) | instskip(NEXT) | instid1(VALU_DEP_1)
	v_div_fixup_f64 v[193:194], v[193:194], v[184:185], v[186:187]
	v_fma_f64 v[184:185], v[186:187], v[193:194], v[184:185]
	s_delay_alu instid0(VALU_DEP_1) | instskip(NEXT) | instid1(VALU_DEP_1)
	v_div_scale_f64 v[186:187], null, v[184:185], v[184:185], 1.0
	v_rcp_f64_e32 v[201:202], v[186:187]
	s_waitcnt_depctr 0xfff
	v_fma_f64 v[203:204], -v[186:187], v[201:202], 1.0
	s_delay_alu instid0(VALU_DEP_1) | instskip(NEXT) | instid1(VALU_DEP_1)
	v_fma_f64 v[201:202], v[201:202], v[203:204], v[201:202]
	v_fma_f64 v[203:204], -v[186:187], v[201:202], 1.0
	s_delay_alu instid0(VALU_DEP_1) | instskip(SKIP_1) | instid1(VALU_DEP_1)
	v_fma_f64 v[201:202], v[201:202], v[203:204], v[201:202]
	v_div_scale_f64 v[203:204], vcc_lo, 1.0, v[184:185], 1.0
	v_mul_f64 v[205:206], v[203:204], v[201:202]
	s_delay_alu instid0(VALU_DEP_1) | instskip(NEXT) | instid1(VALU_DEP_1)
	v_fma_f64 v[186:187], -v[186:187], v[205:206], v[203:204]
	v_div_fmas_f64 v[186:187], v[186:187], v[201:202], v[205:206]
	s_delay_alu instid0(VALU_DEP_1) | instskip(NEXT) | instid1(VALU_DEP_1)
	v_div_fixup_f64 v[184:185], v[186:187], v[184:185], 1.0
	v_mul_f64 v[186:187], v[193:194], -v[184:185]
.LBB90_954:
	s_or_b32 exec_lo, exec_lo, s2
.LBB90_955:
	s_delay_alu instid0(SALU_CYCLE_1)
	s_or_b32 exec_lo, exec_lo, s3
	v_mov_b32_e32 v193, 45
	s_mov_b32 s2, exec_lo
	v_cmpx_ne_u32_e64 v200, v192
	s_cbranch_execz .LBB90_961
; %bb.956:
	s_mov_b32 s3, exec_lo
	v_cmpx_eq_u32_e32 45, v200
	s_cbranch_execz .LBB90_960
; %bb.957:
	v_cmp_ne_u32_e32 vcc_lo, 45, v192
	s_xor_b32 s4, s4, -1
	s_delay_alu instid0(SALU_CYCLE_1) | instskip(NEXT) | instid1(SALU_CYCLE_1)
	s_and_b32 s5, s4, vcc_lo
	s_and_saveexec_b32 s4, s5
	s_cbranch_execz .LBB90_959
; %bb.958:
	v_ashrrev_i32_e32 v193, 31, v192
	s_delay_alu instid0(VALU_DEP_1) | instskip(NEXT) | instid1(VALU_DEP_1)
	v_lshlrev_b64 v[193:194], 2, v[192:193]
	v_add_co_u32 v193, vcc_lo, v190, v193
	s_delay_alu instid0(VALU_DEP_2)
	v_add_co_ci_u32_e32 v194, vcc_lo, v191, v194, vcc_lo
	s_clause 0x1
	flat_load_b32 v198, v[193:194]
	flat_load_b32 v199, v[190:191] offset:180
	s_waitcnt vmcnt(1) lgkmcnt(1)
	flat_store_b32 v[190:191], v198 offset:180
	s_waitcnt vmcnt(0) lgkmcnt(1)
	flat_store_b32 v[193:194], v199
.LBB90_959:
	s_or_b32 exec_lo, exec_lo, s4
	v_mov_b32_e32 v200, v192
	v_mov_b32_e32 v198, v192
.LBB90_960:
	s_or_b32 exec_lo, exec_lo, s3
	s_delay_alu instid0(VALU_DEP_2)
	v_mov_b32_e32 v193, v200
.LBB90_961:
	s_or_b32 exec_lo, exec_lo, s2
	s_delay_alu instid0(SALU_CYCLE_1)
	s_mov_b32 s2, exec_lo
	s_waitcnt lgkmcnt(0)
	s_waitcnt_vscnt null, 0x0
	s_barrier
	buffer_gl0_inv
	v_cmpx_lt_i32_e32 45, v193
; %bb.962:
	v_mul_f64 v[190:191], v[186:187], v[2:3]
	v_mul_f64 v[2:3], v[184:185], v[2:3]
	s_delay_alu instid0(VALU_DEP_2) | instskip(NEXT) | instid1(VALU_DEP_2)
	v_fma_f64 v[184:185], v[184:185], v[0:1], -v[190:191]
	v_fma_f64 v[2:3], v[186:187], v[0:1], v[2:3]
	s_delay_alu instid0(VALU_DEP_2)
	v_dual_mov_b32 v0, v184 :: v_dual_mov_b32 v1, v185
; %bb.963:
	s_or_b32 exec_lo, exec_lo, s2
	s_load_b256 s[0:7], s[0:1], 0x28
	v_ashrrev_i32_e32 v194, 31, v193
	s_mov_b32 s9, exec_lo
	s_waitcnt lgkmcnt(0)
	s_barrier
	buffer_gl0_inv
	v_cmpx_gt_i32_e32 46, v193
	s_cbranch_execz .LBB90_965
; %bb.964:
	v_mul_lo_u32 v186, v189, s4
	v_mul_lo_u32 v187, v188, s5
	v_mad_u64_u32 v[184:185], null, v188, s4, 0
	s_lshl_b64 s[2:3], s[2:3], 2
	s_delay_alu instid0(SALU_CYCLE_1) | instskip(SKIP_1) | instid1(VALU_DEP_1)
	s_add_u32 s0, s2, s0
	s_addc_u32 s1, s3, s1
	v_add3_u32 v185, v185, v187, v186
	v_lshlrev_b64 v[186:187], 2, v[193:194]
	s_delay_alu instid0(VALU_DEP_2) | instskip(NEXT) | instid1(VALU_DEP_1)
	v_lshlrev_b64 v[184:185], 2, v[184:185]
	v_add_co_u32 v184, vcc_lo, s0, v184
	s_delay_alu instid0(VALU_DEP_2) | instskip(NEXT) | instid1(VALU_DEP_2)
	v_add_co_ci_u32_e32 v185, vcc_lo, s1, v185, vcc_lo
	v_add_co_u32 v184, vcc_lo, v184, v186
	s_delay_alu instid0(VALU_DEP_2)
	v_add_co_ci_u32_e32 v185, vcc_lo, v185, v187, vcc_lo
	v_add3_u32 v186, v198, s13, 1
	global_store_b32 v[184:185], v186, off
.LBB90_965:
	s_or_b32 exec_lo, exec_lo, s9
	s_delay_alu instid0(SALU_CYCLE_1)
	s_mov_b32 s1, exec_lo
	v_cmpx_eq_u32_e32 0, v193
	s_cbranch_execz .LBB90_968
; %bb.966:
	v_lshlrev_b64 v[184:185], 2, v[188:189]
	v_cmp_lt_i32_e64 s0, 0, v197
	s_delay_alu instid0(VALU_DEP_2) | instskip(NEXT) | instid1(VALU_DEP_3)
	v_add_co_u32 v184, vcc_lo, s6, v184
	v_add_co_ci_u32_e32 v185, vcc_lo, s7, v185, vcc_lo
	global_load_b32 v186, v[184:185], off
	s_waitcnt vmcnt(0)
	v_cmp_eq_u32_e32 vcc_lo, 0, v186
	s_and_b32 s0, vcc_lo, s0
	s_delay_alu instid0(SALU_CYCLE_1)
	s_and_b32 exec_lo, exec_lo, s0
	s_cbranch_execz .LBB90_968
; %bb.967:
	v_add_nc_u32_e32 v186, s13, v197
	global_store_b32 v[184:185], v186, off
.LBB90_968:
	s_or_b32 exec_lo, exec_lo, s1
	v_add3_u32 v184, s8, s8, v193
	v_lshlrev_b64 v[186:187], 4, v[193:194]
	s_delay_alu instid0(VALU_DEP_2) | instskip(SKIP_1) | instid1(VALU_DEP_3)
	v_add_nc_u32_e32 v188, s8, v184
	v_ashrrev_i32_e32 v185, 31, v184
	v_add_co_u32 v186, vcc_lo, v195, v186
	s_delay_alu instid0(VALU_DEP_4) | instskip(NEXT) | instid1(VALU_DEP_4)
	v_add_co_ci_u32_e32 v187, vcc_lo, v196, v187, vcc_lo
	v_ashrrev_i32_e32 v189, 31, v188
	s_delay_alu instid0(VALU_DEP_4)
	v_lshlrev_b64 v[184:185], 4, v[184:185]
	global_store_b128 v[186:187], v[180:183], off
	v_add_co_u32 v180, vcc_lo, v186, s10
	v_lshlrev_b64 v[182:183], 4, v[188:189]
	v_add_co_ci_u32_e32 v181, vcc_lo, s11, v187, vcc_lo
	v_add_nc_u32_e32 v186, s8, v188
	v_add_co_u32 v184, vcc_lo, v195, v184
	v_add_co_ci_u32_e32 v185, vcc_lo, v196, v185, vcc_lo
	v_add_co_u32 v182, vcc_lo, v195, v182
	s_delay_alu instid0(VALU_DEP_4)
	v_add_nc_u32_e32 v188, s8, v186
	v_add_co_ci_u32_e32 v183, vcc_lo, v196, v183, vcc_lo
	v_ashrrev_i32_e32 v187, 31, v186
	global_store_b128 v[180:181], v[176:179], off
	v_ashrrev_i32_e32 v189, 31, v188
	s_clause 0x1
	global_store_b128 v[184:185], v[172:175], off
	global_store_b128 v[182:183], v[168:171], off
	v_add_nc_u32_e32 v170, s8, v188
	v_lshlrev_b64 v[176:177], 4, v[186:187]
	v_lshlrev_b64 v[168:169], 4, v[188:189]
	s_delay_alu instid0(VALU_DEP_3) | instskip(SKIP_1) | instid1(VALU_DEP_4)
	v_add_nc_u32_e32 v174, s8, v170
	v_ashrrev_i32_e32 v171, 31, v170
	v_add_co_u32 v172, vcc_lo, v195, v176
	v_add_co_ci_u32_e32 v173, vcc_lo, v196, v177, vcc_lo
	s_delay_alu instid0(VALU_DEP_4)
	v_add_nc_u32_e32 v176, s8, v174
	v_add_co_u32 v168, vcc_lo, v195, v168
	v_ashrrev_i32_e32 v175, 31, v174
	v_add_co_ci_u32_e32 v169, vcc_lo, v196, v169, vcc_lo
	v_lshlrev_b64 v[170:171], 4, v[170:171]
	v_ashrrev_i32_e32 v177, 31, v176
	s_clause 0x1
	global_store_b128 v[172:173], v[164:167], off
	global_store_b128 v[168:169], v[160:163], off
	v_lshlrev_b64 v[160:161], 4, v[174:175]
	v_add_nc_u32_e32 v166, s8, v176
	v_add_co_u32 v162, vcc_lo, v195, v170
	v_lshlrev_b64 v[164:165], 4, v[176:177]
	v_add_co_ci_u32_e32 v163, vcc_lo, v196, v171, vcc_lo
	v_add_co_u32 v160, vcc_lo, v195, v160
	v_add_co_ci_u32_e32 v161, vcc_lo, v196, v161, vcc_lo
	s_delay_alu instid0(VALU_DEP_4)
	v_add_co_u32 v164, vcc_lo, v195, v164
	v_add_nc_u32_e32 v168, s8, v166
	v_add_co_ci_u32_e32 v165, vcc_lo, v196, v165, vcc_lo
	v_ashrrev_i32_e32 v167, 31, v166
	global_store_b128 v[162:163], v[156:159], off
	v_ashrrev_i32_e32 v169, 31, v168
	s_clause 0x1
	global_store_b128 v[160:161], v[152:155], off
	global_store_b128 v[164:165], v[148:151], off
	v_add_nc_u32_e32 v150, s8, v168
	v_lshlrev_b64 v[156:157], 4, v[166:167]
	v_lshlrev_b64 v[148:149], 4, v[168:169]
	s_delay_alu instid0(VALU_DEP_3) | instskip(SKIP_1) | instid1(VALU_DEP_4)
	v_add_nc_u32_e32 v154, s8, v150
	v_ashrrev_i32_e32 v151, 31, v150
	v_add_co_u32 v152, vcc_lo, v195, v156
	v_add_co_ci_u32_e32 v153, vcc_lo, v196, v157, vcc_lo
	s_delay_alu instid0(VALU_DEP_4)
	v_add_nc_u32_e32 v156, s8, v154
	v_add_co_u32 v148, vcc_lo, v195, v148
	v_ashrrev_i32_e32 v155, 31, v154
	v_add_co_ci_u32_e32 v149, vcc_lo, v196, v149, vcc_lo
	v_lshlrev_b64 v[150:151], 4, v[150:151]
	v_ashrrev_i32_e32 v157, 31, v156
	s_clause 0x1
	global_store_b128 v[152:153], v[144:147], off
	global_store_b128 v[148:149], v[140:143], off
	v_lshlrev_b64 v[140:141], 4, v[154:155]
	v_add_nc_u32_e32 v146, s8, v156
	v_add_co_u32 v142, vcc_lo, v195, v150
	v_lshlrev_b64 v[144:145], 4, v[156:157]
	v_add_co_ci_u32_e32 v143, vcc_lo, v196, v151, vcc_lo
	v_add_co_u32 v140, vcc_lo, v195, v140
	v_add_co_ci_u32_e32 v141, vcc_lo, v196, v141, vcc_lo
	s_delay_alu instid0(VALU_DEP_4)
	v_add_co_u32 v144, vcc_lo, v195, v144
	;; [unrolled: 35-line block ×6, first 2 shown]
	v_add_nc_u32_e32 v68, s8, v66
	v_add_co_ci_u32_e32 v65, vcc_lo, v196, v65, vcc_lo
	v_ashrrev_i32_e32 v67, 31, v66
	global_store_b128 v[62:63], v[56:59], off
	v_ashrrev_i32_e32 v69, 31, v68
	s_clause 0x1
	global_store_b128 v[60:61], v[52:55], off
	global_store_b128 v[64:65], v[48:51], off
	v_add_nc_u32_e32 v50, s8, v68
	v_lshlrev_b64 v[56:57], 4, v[66:67]
	v_lshlrev_b64 v[48:49], 4, v[68:69]
	s_delay_alu instid0(VALU_DEP_3) | instskip(SKIP_1) | instid1(VALU_DEP_4)
	v_add_nc_u32_e32 v54, s8, v50
	v_ashrrev_i32_e32 v51, 31, v50
	v_add_co_u32 v52, vcc_lo, v195, v56
	v_add_co_ci_u32_e32 v53, vcc_lo, v196, v57, vcc_lo
	s_delay_alu instid0(VALU_DEP_4)
	v_add_nc_u32_e32 v56, s8, v54
	v_add_co_u32 v48, vcc_lo, v195, v48
	v_ashrrev_i32_e32 v55, 31, v54
	v_add_co_ci_u32_e32 v49, vcc_lo, v196, v49, vcc_lo
	v_lshlrev_b64 v[50:51], 4, v[50:51]
	v_ashrrev_i32_e32 v57, 31, v56
	s_clause 0x1
	global_store_b128 v[52:53], v[44:47], off
	global_store_b128 v[48:49], v[40:43], off
	v_lshlrev_b64 v[40:41], 4, v[54:55]
	v_add_nc_u32_e32 v46, s8, v56
	v_add_co_u32 v42, vcc_lo, v195, v50
	v_lshlrev_b64 v[44:45], 4, v[56:57]
	v_add_co_ci_u32_e32 v43, vcc_lo, v196, v51, vcc_lo
	v_add_co_u32 v40, vcc_lo, v195, v40
	v_add_nc_u32_e32 v48, s8, v46
	v_add_co_ci_u32_e32 v41, vcc_lo, v196, v41, vcc_lo
	v_ashrrev_i32_e32 v47, 31, v46
	v_add_co_u32 v44, vcc_lo, v195, v44
	v_add_co_ci_u32_e32 v45, vcc_lo, v196, v45, vcc_lo
	v_ashrrev_i32_e32 v49, 31, v48
	global_store_b128 v[42:43], v[36:39], off
	v_lshlrev_b64 v[36:37], 4, v[46:47]
	s_clause 0x1
	global_store_b128 v[40:41], v[32:35], off
	global_store_b128 v[44:45], v[28:31], off
	v_add_nc_u32_e32 v30, s8, v48
	v_lshlrev_b64 v[28:29], 4, v[48:49]
	v_add_co_u32 v32, vcc_lo, v195, v36
	s_delay_alu instid0(VALU_DEP_3) | instskip(SKIP_1) | instid1(VALU_DEP_4)
	v_add_nc_u32_e32 v34, s8, v30
	v_add_co_ci_u32_e32 v33, vcc_lo, v196, v37, vcc_lo
	v_add_co_u32 v28, vcc_lo, v195, v28
	v_add_co_ci_u32_e32 v29, vcc_lo, v196, v29, vcc_lo
	s_delay_alu instid0(VALU_DEP_4)
	v_add_nc_u32_e32 v36, s8, v34
	v_ashrrev_i32_e32 v31, 31, v30
	s_clause 0x1
	global_store_b128 v[32:33], v[24:27], off
	global_store_b128 v[28:29], v[20:23], off
	v_ashrrev_i32_e32 v35, 31, v34
	v_add_nc_u32_e32 v22, s8, v36
	v_lshlrev_b64 v[24:25], 4, v[30:31]
	v_ashrrev_i32_e32 v37, 31, v36
	s_delay_alu instid0(VALU_DEP_4) | instskip(NEXT) | instid1(VALU_DEP_4)
	v_lshlrev_b64 v[20:21], 4, v[34:35]
	v_add_nc_u32_e32 v28, s8, v22
	v_ashrrev_i32_e32 v23, 31, v22
	v_add_co_u32 v24, vcc_lo, v195, v24
	v_lshlrev_b64 v[26:27], 4, v[36:37]
	s_delay_alu instid0(VALU_DEP_4)
	v_ashrrev_i32_e32 v29, 31, v28
	v_add_co_ci_u32_e32 v25, vcc_lo, v196, v25, vcc_lo
	v_add_co_u32 v20, vcc_lo, v195, v20
	v_lshlrev_b64 v[22:23], 4, v[22:23]
	v_add_co_ci_u32_e32 v21, vcc_lo, v196, v21, vcc_lo
	v_add_co_u32 v26, vcc_lo, v195, v26
	v_lshlrev_b64 v[28:29], 4, v[28:29]
	v_add_co_ci_u32_e32 v27, vcc_lo, v196, v27, vcc_lo
	v_add_co_u32 v22, vcc_lo, v195, v22
	v_add_co_ci_u32_e32 v23, vcc_lo, v196, v23, vcc_lo
	s_delay_alu instid0(VALU_DEP_4)
	v_add_co_u32 v28, vcc_lo, v195, v28
	v_add_co_ci_u32_e32 v29, vcc_lo, v196, v29, vcc_lo
	s_clause 0x4
	global_store_b128 v[24:25], v[16:19], off
	global_store_b128 v[20:21], v[12:15], off
	;; [unrolled: 1-line block ×5, first 2 shown]
.LBB90_969:
	s_nop 0
	s_sendmsg sendmsg(MSG_DEALLOC_VGPRS)
	s_endpgm
	.section	.rodata,"a",@progbits
	.p2align	6, 0x0
	.amdhsa_kernel _ZN9rocsolver6v33100L18getf2_small_kernelILi46E19rocblas_complex_numIdEiiPKPS3_EEvT1_T3_lS7_lPS7_llPT2_S7_S7_S9_l
		.amdhsa_group_segment_fixed_size 0
		.amdhsa_private_segment_fixed_size 0
		.amdhsa_kernarg_size 352
		.amdhsa_user_sgpr_count 14
		.amdhsa_user_sgpr_dispatch_ptr 0
		.amdhsa_user_sgpr_queue_ptr 0
		.amdhsa_user_sgpr_kernarg_segment_ptr 1
		.amdhsa_user_sgpr_dispatch_id 0
		.amdhsa_user_sgpr_private_segment_size 0
		.amdhsa_wavefront_size32 1
		.amdhsa_uses_dynamic_stack 0
		.amdhsa_enable_private_segment 0
		.amdhsa_system_sgpr_workgroup_id_x 1
		.amdhsa_system_sgpr_workgroup_id_y 1
		.amdhsa_system_sgpr_workgroup_id_z 0
		.amdhsa_system_sgpr_workgroup_info 0
		.amdhsa_system_vgpr_workitem_id 1
		.amdhsa_next_free_vgpr 251
		.amdhsa_next_free_sgpr 18
		.amdhsa_reserve_vcc 1
		.amdhsa_float_round_mode_32 0
		.amdhsa_float_round_mode_16_64 0
		.amdhsa_float_denorm_mode_32 3
		.amdhsa_float_denorm_mode_16_64 3
		.amdhsa_dx10_clamp 1
		.amdhsa_ieee_mode 1
		.amdhsa_fp16_overflow 0
		.amdhsa_workgroup_processor_mode 1
		.amdhsa_memory_ordered 1
		.amdhsa_forward_progress 0
		.amdhsa_shared_vgpr_count 0
		.amdhsa_exception_fp_ieee_invalid_op 0
		.amdhsa_exception_fp_denorm_src 0
		.amdhsa_exception_fp_ieee_div_zero 0
		.amdhsa_exception_fp_ieee_overflow 0
		.amdhsa_exception_fp_ieee_underflow 0
		.amdhsa_exception_fp_ieee_inexact 0
		.amdhsa_exception_int_div_zero 0
	.end_amdhsa_kernel
	.section	.text._ZN9rocsolver6v33100L18getf2_small_kernelILi46E19rocblas_complex_numIdEiiPKPS3_EEvT1_T3_lS7_lPS7_llPT2_S7_S7_S9_l,"axG",@progbits,_ZN9rocsolver6v33100L18getf2_small_kernelILi46E19rocblas_complex_numIdEiiPKPS3_EEvT1_T3_lS7_lPS7_llPT2_S7_S7_S9_l,comdat
.Lfunc_end90:
	.size	_ZN9rocsolver6v33100L18getf2_small_kernelILi46E19rocblas_complex_numIdEiiPKPS3_EEvT1_T3_lS7_lPS7_llPT2_S7_S7_S9_l, .Lfunc_end90-_ZN9rocsolver6v33100L18getf2_small_kernelILi46E19rocblas_complex_numIdEiiPKPS3_EEvT1_T3_lS7_lPS7_llPT2_S7_S7_S9_l
                                        ; -- End function
	.section	.AMDGPU.csdata,"",@progbits
; Kernel info:
; codeLenInByte = 135780
; NumSgprs: 20
; NumVgprs: 251
; ScratchSize: 0
; MemoryBound: 0
; FloatMode: 240
; IeeeMode: 1
; LDSByteSize: 0 bytes/workgroup (compile time only)
; SGPRBlocks: 2
; VGPRBlocks: 31
; NumSGPRsForWavesPerEU: 20
; NumVGPRsForWavesPerEU: 251
; Occupancy: 5
; WaveLimiterHint : 1
; COMPUTE_PGM_RSRC2:SCRATCH_EN: 0
; COMPUTE_PGM_RSRC2:USER_SGPR: 14
; COMPUTE_PGM_RSRC2:TRAP_HANDLER: 0
; COMPUTE_PGM_RSRC2:TGID_X_EN: 1
; COMPUTE_PGM_RSRC2:TGID_Y_EN: 1
; COMPUTE_PGM_RSRC2:TGID_Z_EN: 0
; COMPUTE_PGM_RSRC2:TIDIG_COMP_CNT: 1
	.section	.text._ZN9rocsolver6v33100L23getf2_npvt_small_kernelILi46E19rocblas_complex_numIdEiiPKPS3_EEvT1_T3_lS7_lPT2_S7_S7_,"axG",@progbits,_ZN9rocsolver6v33100L23getf2_npvt_small_kernelILi46E19rocblas_complex_numIdEiiPKPS3_EEvT1_T3_lS7_lPT2_S7_S7_,comdat
	.globl	_ZN9rocsolver6v33100L23getf2_npvt_small_kernelILi46E19rocblas_complex_numIdEiiPKPS3_EEvT1_T3_lS7_lPT2_S7_S7_ ; -- Begin function _ZN9rocsolver6v33100L23getf2_npvt_small_kernelILi46E19rocblas_complex_numIdEiiPKPS3_EEvT1_T3_lS7_lPT2_S7_S7_
	.p2align	8
	.type	_ZN9rocsolver6v33100L23getf2_npvt_small_kernelILi46E19rocblas_complex_numIdEiiPKPS3_EEvT1_T3_lS7_lPT2_S7_S7_,@function
_ZN9rocsolver6v33100L23getf2_npvt_small_kernelILi46E19rocblas_complex_numIdEiiPKPS3_EEvT1_T3_lS7_lPT2_S7_S7_: ; @_ZN9rocsolver6v33100L23getf2_npvt_small_kernelILi46E19rocblas_complex_numIdEiiPKPS3_EEvT1_T3_lS7_lPT2_S7_S7_
; %bb.0:
	s_clause 0x1
	s_load_b32 s2, s[0:1], 0x44
	s_load_b64 s[10:11], s[0:1], 0x30
	v_bfe_u32 v1, v0, 10, 10
	s_waitcnt lgkmcnt(0)
	s_lshr_b32 s9, s2, 16
	s_mov_b32 s2, exec_lo
	s_delay_alu instid0(VALU_DEP_1) | instskip(NEXT) | instid1(VALU_DEP_1)
	v_mad_u64_u32 v[233:234], null, s15, s9, v[1:2]
	v_cmpx_gt_i32_e64 s10, v233
	s_cbranch_execz .LBB91_419
; %bb.1:
	s_clause 0x1
	s_load_b128 s[4:7], s[0:1], 0x8
	s_load_b32 s8, s[0:1], 0x18
	v_ashrrev_i32_e32 v234, 31, v233
	v_and_b32_e32 v226, 0x3ff, v0
	v_mad_u32_u24 v228, 0x2e0, v1, 0
	v_lshlrev_b32_e32 v1, 4, v1
	s_mulk_i32 s9, 0x2e0
	v_lshlrev_b64 v[2:3], 3, v[233:234]
	s_delay_alu instid0(VALU_DEP_2) | instskip(SKIP_1) | instid1(VALU_DEP_2)
	v_add3_u32 v227, 0, s9, v1
	s_waitcnt lgkmcnt(0)
	v_add_co_u32 v2, vcc_lo, s4, v2
	s_delay_alu instid0(VALU_DEP_3)
	v_add_co_ci_u32_e32 v3, vcc_lo, s5, v3, vcc_lo
	v_add3_u32 v4, s8, s8, v226
	s_lshl_b64 s[2:3], s[6:7], 4
	s_ashr_i32 s9, s8, 31
	global_load_b64 v[2:3], v[2:3], off
	s_lshl_b64 s[4:5], s[8:9], 4
	v_add_nc_u32_e32 v6, s8, v4
	v_ashrrev_i32_e32 v5, 31, v4
	s_delay_alu instid0(VALU_DEP_2) | instskip(NEXT) | instid1(VALU_DEP_2)
	v_add_nc_u32_e32 v10, s8, v6
	v_lshlrev_b64 v[8:9], 4, v[4:5]
	v_ashrrev_i32_e32 v7, 31, v6
	s_delay_alu instid0(VALU_DEP_3) | instskip(SKIP_1) | instid1(VALU_DEP_3)
	v_add_nc_u32_e32 v12, s8, v10
	v_ashrrev_i32_e32 v11, 31, v10
	v_lshlrev_b64 v[6:7], 4, v[6:7]
	s_delay_alu instid0(VALU_DEP_3) | instskip(SKIP_1) | instid1(VALU_DEP_4)
	v_add_nc_u32_e32 v14, s8, v12
	v_ashrrev_i32_e32 v13, 31, v12
	v_lshlrev_b64 v[4:5], 4, v[10:11]
	s_delay_alu instid0(VALU_DEP_3) | instskip(NEXT) | instid1(VALU_DEP_3)
	v_add_nc_u32_e32 v16, s8, v14
	v_lshlrev_b64 v[10:11], 4, v[12:13]
	v_ashrrev_i32_e32 v15, 31, v14
	s_delay_alu instid0(VALU_DEP_3) | instskip(SKIP_1) | instid1(VALU_DEP_3)
	v_add_nc_u32_e32 v18, s8, v16
	v_ashrrev_i32_e32 v17, 31, v16
	v_lshlrev_b64 v[14:15], 4, v[14:15]
	s_delay_alu instid0(VALU_DEP_3) | instskip(SKIP_1) | instid1(VALU_DEP_4)
	v_add_nc_u32_e32 v20, s8, v18
	v_ashrrev_i32_e32 v19, 31, v18
	v_lshlrev_b64 v[16:17], 4, v[16:17]
	s_delay_alu instid0(VALU_DEP_3) | instskip(SKIP_1) | instid1(VALU_DEP_4)
	;; [unrolled: 4-line block ×22, first 2 shown]
	v_ashrrev_i32_e32 v59, 31, v58
	v_add_nc_u32_e32 v60, s8, v58
	v_lshlrev_b64 v[56:57], 4, v[56:57]
	s_delay_alu instid0(VALU_DEP_2) | instskip(SKIP_4) | instid1(VALU_DEP_3)
	v_ashrrev_i32_e32 v61, 31, v60
	s_waitcnt vmcnt(0)
	v_add_co_u32 v0, vcc_lo, v2, s2
	v_add_co_ci_u32_e32 v62, vcc_lo, s3, v3, vcc_lo
	v_lshlrev_b64 v[2:3], 4, v[58:59]
	v_add_co_u32 v89, vcc_lo, v0, v8
	s_delay_alu instid0(VALU_DEP_3)
	v_add_co_ci_u32_e32 v90, vcc_lo, v62, v9, vcc_lo
	v_add_co_u32 v87, vcc_lo, v0, v6
	v_add_co_ci_u32_e32 v88, vcc_lo, v62, v7, vcc_lo
	v_add_co_u32 v85, vcc_lo, v0, v4
	;; [unrolled: 2-line block ×27, first 2 shown]
	v_add_co_ci_u32_e32 v10, vcc_lo, v62, v3, vcc_lo
	v_lshlrev_b64 v[2:3], 4, v[60:61]
	s_clause 0x7
	scratch_store_b64 off, v[87:88], off offset:240
	scratch_store_b64 off, v[85:86], off offset:232
	;; [unrolled: 1-line block ×8, first 2 shown]
	v_add_co_u32 v5, vcc_lo, v0, v2
	v_add_nc_u32_e32 v2, s8, v60
	v_add_co_ci_u32_e32 v6, vcc_lo, v62, v3, vcc_lo
	s_clause 0x3
	scratch_store_b64 off, v[71:72], off offset:176
	scratch_store_b64 off, v[69:70], off offset:168
	scratch_store_b64 off, v[67:68], off offset:160
	scratch_store_b64 off, v[65:66], off offset:152
	v_ashrrev_i32_e32 v3, 31, v2
	s_clause 0x3
	scratch_store_b64 off, v[63:64], off offset:144
	scratch_store_b64 off, v[58:59], off offset:136
	;; [unrolled: 1-line block ×4, first 2 shown]
	v_lshlrev_b64 v[3:4], 4, v[2:3]
	v_add_nc_u32_e32 v2, s8, v2
	s_clause 0x3
	scratch_store_b64 off, v[29:30], off offset:112
	scratch_store_b64 off, v[27:28], off offset:104
	;; [unrolled: 1-line block ×4, first 2 shown]
	v_add_co_u32 v229, vcc_lo, v0, v3
	v_ashrrev_i32_e32 v3, 31, v2
	v_add_co_ci_u32_e32 v230, vcc_lo, v62, v4, vcc_lo
	s_clause 0x3
	scratch_store_b64 off, v[21:22], off offset:80
	scratch_store_b64 off, v[19:20], off offset:72
	;; [unrolled: 1-line block ×4, first 2 shown]
	v_lshlrev_b64 v[3:4], 4, v[2:3]
	v_add_nc_u32_e32 v2, s8, v2
	s_clause 0x3
	scratch_store_b64 off, v[13:14], off offset:32
	scratch_store_b64 off, v[11:12], off offset:24
	;; [unrolled: 1-line block ×3, first 2 shown]
	scratch_store_b64 off, v[5:6], off
	v_add_co_u32 v251, vcc_lo, v0, v3
	v_ashrrev_i32_e32 v3, 31, v2
	v_add_co_ci_u32_e32 v252, vcc_lo, v62, v4, vcc_lo
	s_clause 0x1
	global_load_b128 v[172:175], v[89:90], off
	global_load_b128 v[168:171], v[87:88], off
	v_lshlrev_b64 v[3:4], 4, v[2:3]
	v_add_nc_u32_e32 v2, s8, v2
	s_clause 0x3
	global_load_b128 v[164:167], v[85:86], off
	global_load_b128 v[160:163], v[83:84], off
	global_load_b128 v[156:159], v[81:82], off
	global_load_b128 v[152:155], v[79:80], off
	v_add_co_u32 v253, vcc_lo, v0, v3
	v_ashrrev_i32_e32 v3, 31, v2
	v_add_co_ci_u32_e32 v254, vcc_lo, v62, v4, vcc_lo
	s_clause 0x1
	global_load_b128 v[148:151], v[77:78], off
	global_load_b128 v[144:147], v[75:76], off
	v_lshlrev_b64 v[3:4], 4, v[2:3]
	v_add_nc_u32_e32 v2, s8, v2
	s_clause 0x3
	global_load_b128 v[140:143], v[73:74], off
	global_load_b128 v[136:139], v[71:72], off
	global_load_b128 v[132:135], v[69:70], off
	global_load_b128 v[128:131], v[67:68], off
	v_add_co_u32 v247, vcc_lo, v0, v3
	v_ashrrev_i32_e32 v3, 31, v2
	v_add_co_ci_u32_e32 v248, vcc_lo, v62, v4, vcc_lo
	s_clause 0x1
	global_load_b128 v[124:127], v[65:66], off
	global_load_b128 v[120:123], v[63:64], off
	v_lshlrev_b64 v[3:4], 4, v[2:3]
	v_add_nc_u32_e32 v2, s8, v2
	s_clause 0x3
	global_load_b128 v[116:119], v[58:59], off
	global_load_b128 v[112:115], v[33:34], off
	global_load_b128 v[108:111], v[31:32], off
	global_load_b128 v[104:107], v[29:30], off
	v_add_co_u32 v249, vcc_lo, v0, v3
	v_ashrrev_i32_e32 v3, 31, v2
	v_add_co_ci_u32_e32 v250, vcc_lo, v62, v4, vcc_lo
	s_clause 0x1
	global_load_b128 v[100:103], v[27:28], off
	global_load_b128 v[96:99], v[25:26], off
	v_lshlrev_b64 v[3:4], 4, v[2:3]
	v_add_nc_u32_e32 v2, s8, v2
	s_clause 0x4
	global_load_b128 v[92:95], v[23:24], off
	global_load_b128 v[84:87], v[19:20], off
	global_load_b128 v[80:83], v[17:18], off
	global_load_b128 v[76:79], v[15:16], off
	global_load_b128 v[72:75], v[13:14], off
	v_add_co_u32 v243, vcc_lo, v0, v3
	v_ashrrev_i32_e32 v3, 31, v2
	v_add_co_ci_u32_e32 v244, vcc_lo, v62, v4, vcc_lo
	s_clause 0x1
	global_load_b128 v[68:71], v[11:12], off
	global_load_b128 v[64:67], v[9:10], off
	v_lshlrev_b64 v[3:4], 4, v[2:3]
	v_add_nc_u32_e32 v2, s8, v2
	v_cmp_ne_u32_e64 s3, 0, v226
	v_cmp_eq_u32_e64 s2, 0, v226
	s_delay_alu instid0(VALU_DEP_4) | instskip(NEXT) | instid1(VALU_DEP_4)
	v_add_co_u32 v245, vcc_lo, v0, v3
	v_ashrrev_i32_e32 v3, 31, v2
	v_add_co_ci_u32_e32 v246, vcc_lo, v62, v4, vcc_lo
	s_delay_alu instid0(VALU_DEP_2) | instskip(SKIP_1) | instid1(VALU_DEP_2)
	v_lshlrev_b64 v[3:4], 4, v[2:3]
	v_add_nc_u32_e32 v2, s8, v2
	v_add_co_u32 v239, vcc_lo, v0, v3
	s_delay_alu instid0(VALU_DEP_2) | instskip(NEXT) | instid1(VALU_DEP_4)
	v_ashrrev_i32_e32 v3, 31, v2
	v_add_co_ci_u32_e32 v240, vcc_lo, v62, v4, vcc_lo
	s_delay_alu instid0(VALU_DEP_2) | instskip(SKIP_1) | instid1(VALU_DEP_2)
	v_lshlrev_b64 v[3:4], 4, v[2:3]
	v_add_nc_u32_e32 v2, s8, v2
	v_add_co_u32 v241, vcc_lo, v0, v3
	s_delay_alu instid0(VALU_DEP_2) | instskip(NEXT) | instid1(VALU_DEP_4)
	;; [unrolled: 7-line block ×7, first 2 shown]
	v_ashrrev_i32_e32 v3, 31, v2
	v_add_co_ci_u32_e32 v185, vcc_lo, v62, v4, vcc_lo
	s_delay_alu instid0(VALU_DEP_2) | instskip(NEXT) | instid1(VALU_DEP_1)
	v_lshlrev_b64 v[2:3], 4, v[2:3]
	v_add_co_u32 v186, vcc_lo, v0, v2
	v_lshlrev_b32_e32 v2, 4, v226
	s_delay_alu instid0(VALU_DEP_3) | instskip(NEXT) | instid1(VALU_DEP_2)
	v_add_co_ci_u32_e32 v187, vcc_lo, v62, v3, vcc_lo
	v_add_co_u32 v2, vcc_lo, v0, v2
	v_add_co_ci_u32_e32 v3, vcc_lo, 0, v62, vcc_lo
	s_delay_alu instid0(VALU_DEP_2) | instskip(NEXT) | instid1(VALU_DEP_2)
	v_add_co_u32 v0, vcc_lo, v2, s4
	v_add_co_ci_u32_e32 v1, vcc_lo, s5, v3, vcc_lo
	s_clause 0x1
	scratch_store_b64 off, v[89:90], off offset:248
	scratch_store_b64 off, v[2:3], off offset:264
	s_clause 0x1
	global_load_b128 v[180:183], v[2:3], off
	global_load_b128 v[176:179], v[0:1], off
	scratch_store_b64 off, v[0:1], off offset:256 ; 8-byte Folded Spill
	s_clause 0xd
	global_load_b128 v[88:91], v[21:22], off
	global_load_b128 v[60:63], v[5:6], off
	;; [unrolled: 1-line block ×14, first 2 shown]
	s_clause 0x2
	scratch_store_b64 off, v[7:8], off offset:8
	scratch_store_b64 off, v[184:185], off offset:40
	;; [unrolled: 1-line block ×3, first 2 shown]
	s_clause 0x2
	global_load_b128 v[8:11], v[7:8], off
	global_load_b128 v[0:3], v[186:187], off
	;; [unrolled: 1-line block ×3, first 2 shown]
	s_and_saveexec_b32 s5, s2
	s_cbranch_execz .LBB91_8
; %bb.2:
	s_waitcnt vmcnt(18)
	ds_store_2addr_b64 v227, v[180:181], v[182:183] offset1:1
	s_waitcnt vmcnt(17)
	ds_store_2addr_b64 v228, v[176:177], v[178:179] offset0:2 offset1:3
	ds_store_2addr_b64 v228, v[172:173], v[174:175] offset0:4 offset1:5
	;; [unrolled: 1-line block ×22, first 2 shown]
	s_waitcnt vmcnt(16)
	ds_store_2addr_b64 v228, v[88:89], v[90:91] offset0:46 offset1:47
	ds_store_2addr_b64 v228, v[84:85], v[86:87] offset0:48 offset1:49
	;; [unrolled: 1-line block ×7, first 2 shown]
	s_waitcnt vmcnt(15)
	ds_store_2addr_b64 v228, v[60:61], v[62:63] offset0:60 offset1:61
	s_waitcnt vmcnt(14)
	ds_store_2addr_b64 v228, v[56:57], v[58:59] offset0:62 offset1:63
	s_waitcnt vmcnt(13)
	ds_store_2addr_b64 v228, v[52:53], v[54:55] offset0:64 offset1:65
	s_waitcnt vmcnt(12)
	ds_store_2addr_b64 v228, v[48:49], v[50:51] offset0:66 offset1:67
	s_waitcnt vmcnt(11)
	ds_store_2addr_b64 v228, v[44:45], v[46:47] offset0:68 offset1:69
	s_waitcnt vmcnt(10)
	ds_store_2addr_b64 v228, v[40:41], v[42:43] offset0:70 offset1:71
	s_waitcnt vmcnt(9)
	ds_store_2addr_b64 v228, v[36:37], v[38:39] offset0:72 offset1:73
	s_waitcnt vmcnt(8)
	ds_store_2addr_b64 v228, v[32:33], v[34:35] offset0:74 offset1:75
	s_waitcnt vmcnt(7)
	ds_store_2addr_b64 v228, v[28:29], v[30:31] offset0:76 offset1:77
	s_waitcnt vmcnt(6)
	ds_store_2addr_b64 v228, v[24:25], v[26:27] offset0:78 offset1:79
	s_waitcnt vmcnt(5)
	ds_store_2addr_b64 v228, v[20:21], v[22:23] offset0:80 offset1:81
	s_waitcnt vmcnt(4)
	ds_store_2addr_b64 v228, v[16:17], v[18:19] offset0:82 offset1:83
	s_waitcnt vmcnt(3)
	ds_store_2addr_b64 v228, v[12:13], v[14:15] offset0:84 offset1:85
	s_waitcnt vmcnt(2)
	ds_store_2addr_b64 v228, v[8:9], v[10:11] offset0:86 offset1:87
	s_waitcnt vmcnt(0)
	ds_store_2addr_b64 v228, v[4:5], v[6:7] offset0:88 offset1:89
	ds_store_2addr_b64 v228, v[0:1], v[2:3] offset0:90 offset1:91
	ds_load_2addr_b64 v[184:187], v227 offset1:1
	s_waitcnt lgkmcnt(0)
	v_cmp_neq_f64_e32 vcc_lo, 0, v[184:185]
	v_cmp_neq_f64_e64 s4, 0, v[186:187]
	s_delay_alu instid0(VALU_DEP_1) | instskip(NEXT) | instid1(SALU_CYCLE_1)
	s_or_b32 s4, vcc_lo, s4
	s_and_b32 exec_lo, exec_lo, s4
	s_cbranch_execz .LBB91_8
; %bb.3:
	v_cmp_gt_f64_e32 vcc_lo, 0, v[184:185]
	v_xor_b32_e32 v188, 0x80000000, v185
	v_xor_b32_e32 v190, 0x80000000, v187
	s_mov_b32 s4, exec_lo
                                        ; implicit-def: $vgpr192_vgpr193
	s_delay_alu instid0(VALU_DEP_2) | instskip(SKIP_4) | instid1(VALU_DEP_1)
	v_cndmask_b32_e32 v189, v185, v188, vcc_lo
	v_cndmask_b32_e32 v188, v184, v184, vcc_lo
	v_cmp_gt_f64_e32 vcc_lo, 0, v[186:187]
	v_cndmask_b32_e32 v191, v187, v190, vcc_lo
	v_cndmask_b32_e32 v190, v186, v186, vcc_lo
	v_cmpx_ngt_f64_e32 v[188:189], v[190:191]
	s_xor_b32 s4, exec_lo, s4
                                        ; implicit-def: $vgpr188_vgpr189_vgpr190_vgpr191
	s_cbranch_execz .LBB91_5
; %bb.4:
	v_div_scale_f64 v[188:189], null, v[186:187], v[186:187], v[184:185]
	v_div_scale_f64 v[194:195], vcc_lo, v[184:185], v[186:187], v[184:185]
	s_delay_alu instid0(VALU_DEP_2) | instskip(SKIP_2) | instid1(VALU_DEP_1)
	v_rcp_f64_e32 v[190:191], v[188:189]
	s_waitcnt_depctr 0xfff
	v_fma_f64 v[192:193], -v[188:189], v[190:191], 1.0
	v_fma_f64 v[190:191], v[190:191], v[192:193], v[190:191]
	s_delay_alu instid0(VALU_DEP_1) | instskip(NEXT) | instid1(VALU_DEP_1)
	v_fma_f64 v[192:193], -v[188:189], v[190:191], 1.0
	v_fma_f64 v[190:191], v[190:191], v[192:193], v[190:191]
	s_delay_alu instid0(VALU_DEP_1) | instskip(NEXT) | instid1(VALU_DEP_1)
	v_mul_f64 v[192:193], v[194:195], v[190:191]
	v_fma_f64 v[188:189], -v[188:189], v[192:193], v[194:195]
	s_delay_alu instid0(VALU_DEP_1) | instskip(NEXT) | instid1(VALU_DEP_1)
	v_div_fmas_f64 v[188:189], v[188:189], v[190:191], v[192:193]
	v_div_fixup_f64 v[188:189], v[188:189], v[186:187], v[184:185]
	s_delay_alu instid0(VALU_DEP_1) | instskip(NEXT) | instid1(VALU_DEP_1)
	v_fma_f64 v[184:185], v[184:185], v[188:189], v[186:187]
	v_div_scale_f64 v[186:187], null, v[184:185], v[184:185], 1.0
	s_delay_alu instid0(VALU_DEP_1) | instskip(SKIP_2) | instid1(VALU_DEP_1)
	v_rcp_f64_e32 v[190:191], v[186:187]
	s_waitcnt_depctr 0xfff
	v_fma_f64 v[192:193], -v[186:187], v[190:191], 1.0
	v_fma_f64 v[190:191], v[190:191], v[192:193], v[190:191]
	s_delay_alu instid0(VALU_DEP_1) | instskip(NEXT) | instid1(VALU_DEP_1)
	v_fma_f64 v[192:193], -v[186:187], v[190:191], 1.0
	v_fma_f64 v[190:191], v[190:191], v[192:193], v[190:191]
	v_div_scale_f64 v[192:193], vcc_lo, 1.0, v[184:185], 1.0
	s_delay_alu instid0(VALU_DEP_1) | instskip(NEXT) | instid1(VALU_DEP_1)
	v_mul_f64 v[194:195], v[192:193], v[190:191]
	v_fma_f64 v[186:187], -v[186:187], v[194:195], v[192:193]
	s_delay_alu instid0(VALU_DEP_1) | instskip(NEXT) | instid1(VALU_DEP_1)
	v_div_fmas_f64 v[186:187], v[186:187], v[190:191], v[194:195]
	v_div_fixup_f64 v[190:191], v[186:187], v[184:185], 1.0
                                        ; implicit-def: $vgpr184_vgpr185
	s_delay_alu instid0(VALU_DEP_1)
	v_mul_f64 v[192:193], v[188:189], v[190:191]
	v_xor_b32_e32 v191, 0x80000000, v191
.LBB91_5:
	s_and_not1_saveexec_b32 s4, s4
	s_cbranch_execz .LBB91_7
; %bb.6:
	v_div_scale_f64 v[188:189], null, v[184:185], v[184:185], v[186:187]
	v_div_scale_f64 v[194:195], vcc_lo, v[186:187], v[184:185], v[186:187]
	s_delay_alu instid0(VALU_DEP_2) | instskip(SKIP_2) | instid1(VALU_DEP_1)
	v_rcp_f64_e32 v[190:191], v[188:189]
	s_waitcnt_depctr 0xfff
	v_fma_f64 v[192:193], -v[188:189], v[190:191], 1.0
	v_fma_f64 v[190:191], v[190:191], v[192:193], v[190:191]
	s_delay_alu instid0(VALU_DEP_1) | instskip(NEXT) | instid1(VALU_DEP_1)
	v_fma_f64 v[192:193], -v[188:189], v[190:191], 1.0
	v_fma_f64 v[190:191], v[190:191], v[192:193], v[190:191]
	s_delay_alu instid0(VALU_DEP_1) | instskip(NEXT) | instid1(VALU_DEP_1)
	v_mul_f64 v[192:193], v[194:195], v[190:191]
	v_fma_f64 v[188:189], -v[188:189], v[192:193], v[194:195]
	s_delay_alu instid0(VALU_DEP_1) | instskip(NEXT) | instid1(VALU_DEP_1)
	v_div_fmas_f64 v[188:189], v[188:189], v[190:191], v[192:193]
	v_div_fixup_f64 v[188:189], v[188:189], v[184:185], v[186:187]
	s_delay_alu instid0(VALU_DEP_1) | instskip(NEXT) | instid1(VALU_DEP_1)
	v_fma_f64 v[184:185], v[186:187], v[188:189], v[184:185]
	v_div_scale_f64 v[186:187], null, v[184:185], v[184:185], 1.0
	s_delay_alu instid0(VALU_DEP_1) | instskip(SKIP_2) | instid1(VALU_DEP_1)
	v_rcp_f64_e32 v[190:191], v[186:187]
	s_waitcnt_depctr 0xfff
	v_fma_f64 v[192:193], -v[186:187], v[190:191], 1.0
	v_fma_f64 v[190:191], v[190:191], v[192:193], v[190:191]
	s_delay_alu instid0(VALU_DEP_1) | instskip(NEXT) | instid1(VALU_DEP_1)
	v_fma_f64 v[192:193], -v[186:187], v[190:191], 1.0
	v_fma_f64 v[190:191], v[190:191], v[192:193], v[190:191]
	v_div_scale_f64 v[192:193], vcc_lo, 1.0, v[184:185], 1.0
	s_delay_alu instid0(VALU_DEP_1) | instskip(NEXT) | instid1(VALU_DEP_1)
	v_mul_f64 v[194:195], v[192:193], v[190:191]
	v_fma_f64 v[186:187], -v[186:187], v[194:195], v[192:193]
	s_delay_alu instid0(VALU_DEP_1) | instskip(NEXT) | instid1(VALU_DEP_1)
	v_div_fmas_f64 v[186:187], v[186:187], v[190:191], v[194:195]
	v_div_fixup_f64 v[192:193], v[186:187], v[184:185], 1.0
	s_delay_alu instid0(VALU_DEP_1)
	v_mul_f64 v[190:191], v[188:189], -v[192:193]
.LBB91_7:
	s_or_b32 exec_lo, exec_lo, s4
	ds_store_2addr_b64 v227, v[192:193], v[190:191] offset1:1
.LBB91_8:
	s_or_b32 exec_lo, exec_lo, s5
	s_waitcnt vmcnt(0) lgkmcnt(0)
	s_waitcnt_vscnt null, 0x0
	s_barrier
	buffer_gl0_inv
	ds_load_2addr_b64 v[184:187], v227 offset1:1
	s_waitcnt lgkmcnt(0)
	scratch_store_b128 off, v[184:187], off offset:272 ; 16-byte Folded Spill
	s_and_saveexec_b32 s4, s3
	s_cbranch_execz .LBB91_10
; %bb.9:
	scratch_load_b128 v[186:189], off, off offset:272 ; 16-byte Folded Reload
	s_waitcnt vmcnt(0)
	v_mul_f64 v[184:185], v[188:189], v[182:183]
	v_mul_f64 v[182:183], v[186:187], v[182:183]
	s_delay_alu instid0(VALU_DEP_2) | instskip(NEXT) | instid1(VALU_DEP_2)
	v_fma_f64 v[184:185], v[186:187], v[180:181], -v[184:185]
	v_fma_f64 v[182:183], v[188:189], v[180:181], v[182:183]
	ds_load_2addr_b64 v[186:189], v228 offset0:2 offset1:3
	s_waitcnt lgkmcnt(0)
	v_mul_f64 v[180:181], v[188:189], v[182:183]
	s_delay_alu instid0(VALU_DEP_1) | instskip(SKIP_1) | instid1(VALU_DEP_2)
	v_fma_f64 v[180:181], v[186:187], v[184:185], -v[180:181]
	v_mul_f64 v[186:187], v[186:187], v[182:183]
	v_add_f64 v[176:177], v[176:177], -v[180:181]
	s_delay_alu instid0(VALU_DEP_2) | instskip(NEXT) | instid1(VALU_DEP_1)
	v_fma_f64 v[186:187], v[188:189], v[184:185], v[186:187]
	v_add_f64 v[178:179], v[178:179], -v[186:187]
	ds_load_2addr_b64 v[186:189], v228 offset0:4 offset1:5
	s_waitcnt lgkmcnt(0)
	v_mul_f64 v[180:181], v[188:189], v[182:183]
	s_delay_alu instid0(VALU_DEP_1) | instskip(SKIP_1) | instid1(VALU_DEP_2)
	v_fma_f64 v[180:181], v[186:187], v[184:185], -v[180:181]
	v_mul_f64 v[186:187], v[186:187], v[182:183]
	v_add_f64 v[172:173], v[172:173], -v[180:181]
	s_delay_alu instid0(VALU_DEP_2) | instskip(NEXT) | instid1(VALU_DEP_1)
	v_fma_f64 v[186:187], v[188:189], v[184:185], v[186:187]
	v_add_f64 v[174:175], v[174:175], -v[186:187]
	;; [unrolled: 10-line block ×44, first 2 shown]
	ds_load_2addr_b64 v[186:189], v228 offset0:90 offset1:91
	s_waitcnt lgkmcnt(0)
	v_mul_f64 v[180:181], v[188:189], v[182:183]
	s_delay_alu instid0(VALU_DEP_1) | instskip(SKIP_1) | instid1(VALU_DEP_2)
	v_fma_f64 v[180:181], v[186:187], v[184:185], -v[180:181]
	v_mul_f64 v[186:187], v[186:187], v[182:183]
	v_add_f64 v[0:1], v[0:1], -v[180:181]
	s_delay_alu instid0(VALU_DEP_2) | instskip(SKIP_1) | instid1(VALU_DEP_2)
	v_fma_f64 v[186:187], v[188:189], v[184:185], v[186:187]
	v_dual_mov_b32 v180, v184 :: v_dual_mov_b32 v181, v185
	v_add_f64 v[2:3], v[2:3], -v[186:187]
.LBB91_10:
	s_or_b32 exec_lo, exec_lo, s4
	s_delay_alu instid0(SALU_CYCLE_1)
	s_mov_b32 s4, exec_lo
	s_waitcnt_vscnt null, 0x0
	s_barrier
	buffer_gl0_inv
	v_cmpx_eq_u32_e32 1, v226
	s_cbranch_execz .LBB91_17
; %bb.11:
	ds_store_2addr_b64 v227, v[176:177], v[178:179] offset1:1
	ds_store_2addr_b64 v228, v[172:173], v[174:175] offset0:4 offset1:5
	ds_store_2addr_b64 v228, v[168:169], v[170:171] offset0:6 offset1:7
	;; [unrolled: 1-line block ×44, first 2 shown]
	ds_load_2addr_b64 v[184:187], v227 offset1:1
	s_waitcnt lgkmcnt(0)
	v_cmp_neq_f64_e32 vcc_lo, 0, v[184:185]
	v_cmp_neq_f64_e64 s3, 0, v[186:187]
	s_delay_alu instid0(VALU_DEP_1) | instskip(NEXT) | instid1(SALU_CYCLE_1)
	s_or_b32 s3, vcc_lo, s3
	s_and_b32 exec_lo, exec_lo, s3
	s_cbranch_execz .LBB91_17
; %bb.12:
	v_cmp_gt_f64_e32 vcc_lo, 0, v[184:185]
	v_xor_b32_e32 v188, 0x80000000, v185
	v_xor_b32_e32 v190, 0x80000000, v187
	s_mov_b32 s3, exec_lo
                                        ; implicit-def: $vgpr192_vgpr193
	s_delay_alu instid0(VALU_DEP_2) | instskip(SKIP_4) | instid1(VALU_DEP_1)
	v_cndmask_b32_e32 v189, v185, v188, vcc_lo
	v_cndmask_b32_e32 v188, v184, v184, vcc_lo
	v_cmp_gt_f64_e32 vcc_lo, 0, v[186:187]
	v_cndmask_b32_e32 v191, v187, v190, vcc_lo
	v_cndmask_b32_e32 v190, v186, v186, vcc_lo
	v_cmpx_ngt_f64_e32 v[188:189], v[190:191]
	s_xor_b32 s3, exec_lo, s3
                                        ; implicit-def: $vgpr188_vgpr189_vgpr190_vgpr191
	s_cbranch_execz .LBB91_14
; %bb.13:
	v_div_scale_f64 v[188:189], null, v[186:187], v[186:187], v[184:185]
	v_div_scale_f64 v[194:195], vcc_lo, v[184:185], v[186:187], v[184:185]
	s_delay_alu instid0(VALU_DEP_2) | instskip(SKIP_2) | instid1(VALU_DEP_1)
	v_rcp_f64_e32 v[190:191], v[188:189]
	s_waitcnt_depctr 0xfff
	v_fma_f64 v[192:193], -v[188:189], v[190:191], 1.0
	v_fma_f64 v[190:191], v[190:191], v[192:193], v[190:191]
	s_delay_alu instid0(VALU_DEP_1) | instskip(NEXT) | instid1(VALU_DEP_1)
	v_fma_f64 v[192:193], -v[188:189], v[190:191], 1.0
	v_fma_f64 v[190:191], v[190:191], v[192:193], v[190:191]
	s_delay_alu instid0(VALU_DEP_1) | instskip(NEXT) | instid1(VALU_DEP_1)
	v_mul_f64 v[192:193], v[194:195], v[190:191]
	v_fma_f64 v[188:189], -v[188:189], v[192:193], v[194:195]
	s_delay_alu instid0(VALU_DEP_1) | instskip(NEXT) | instid1(VALU_DEP_1)
	v_div_fmas_f64 v[188:189], v[188:189], v[190:191], v[192:193]
	v_div_fixup_f64 v[188:189], v[188:189], v[186:187], v[184:185]
	s_delay_alu instid0(VALU_DEP_1) | instskip(NEXT) | instid1(VALU_DEP_1)
	v_fma_f64 v[184:185], v[184:185], v[188:189], v[186:187]
	v_div_scale_f64 v[186:187], null, v[184:185], v[184:185], 1.0
	s_delay_alu instid0(VALU_DEP_1) | instskip(SKIP_2) | instid1(VALU_DEP_1)
	v_rcp_f64_e32 v[190:191], v[186:187]
	s_waitcnt_depctr 0xfff
	v_fma_f64 v[192:193], -v[186:187], v[190:191], 1.0
	v_fma_f64 v[190:191], v[190:191], v[192:193], v[190:191]
	s_delay_alu instid0(VALU_DEP_1) | instskip(NEXT) | instid1(VALU_DEP_1)
	v_fma_f64 v[192:193], -v[186:187], v[190:191], 1.0
	v_fma_f64 v[190:191], v[190:191], v[192:193], v[190:191]
	v_div_scale_f64 v[192:193], vcc_lo, 1.0, v[184:185], 1.0
	s_delay_alu instid0(VALU_DEP_1) | instskip(NEXT) | instid1(VALU_DEP_1)
	v_mul_f64 v[194:195], v[192:193], v[190:191]
	v_fma_f64 v[186:187], -v[186:187], v[194:195], v[192:193]
	s_delay_alu instid0(VALU_DEP_1) | instskip(NEXT) | instid1(VALU_DEP_1)
	v_div_fmas_f64 v[186:187], v[186:187], v[190:191], v[194:195]
	v_div_fixup_f64 v[190:191], v[186:187], v[184:185], 1.0
                                        ; implicit-def: $vgpr184_vgpr185
	s_delay_alu instid0(VALU_DEP_1)
	v_mul_f64 v[192:193], v[188:189], v[190:191]
	v_xor_b32_e32 v191, 0x80000000, v191
.LBB91_14:
	s_and_not1_saveexec_b32 s3, s3
	s_cbranch_execz .LBB91_16
; %bb.15:
	v_div_scale_f64 v[188:189], null, v[184:185], v[184:185], v[186:187]
	v_div_scale_f64 v[194:195], vcc_lo, v[186:187], v[184:185], v[186:187]
	s_delay_alu instid0(VALU_DEP_2) | instskip(SKIP_2) | instid1(VALU_DEP_1)
	v_rcp_f64_e32 v[190:191], v[188:189]
	s_waitcnt_depctr 0xfff
	v_fma_f64 v[192:193], -v[188:189], v[190:191], 1.0
	v_fma_f64 v[190:191], v[190:191], v[192:193], v[190:191]
	s_delay_alu instid0(VALU_DEP_1) | instskip(NEXT) | instid1(VALU_DEP_1)
	v_fma_f64 v[192:193], -v[188:189], v[190:191], 1.0
	v_fma_f64 v[190:191], v[190:191], v[192:193], v[190:191]
	s_delay_alu instid0(VALU_DEP_1) | instskip(NEXT) | instid1(VALU_DEP_1)
	v_mul_f64 v[192:193], v[194:195], v[190:191]
	v_fma_f64 v[188:189], -v[188:189], v[192:193], v[194:195]
	s_delay_alu instid0(VALU_DEP_1) | instskip(NEXT) | instid1(VALU_DEP_1)
	v_div_fmas_f64 v[188:189], v[188:189], v[190:191], v[192:193]
	v_div_fixup_f64 v[188:189], v[188:189], v[184:185], v[186:187]
	s_delay_alu instid0(VALU_DEP_1) | instskip(NEXT) | instid1(VALU_DEP_1)
	v_fma_f64 v[184:185], v[186:187], v[188:189], v[184:185]
	v_div_scale_f64 v[186:187], null, v[184:185], v[184:185], 1.0
	s_delay_alu instid0(VALU_DEP_1) | instskip(SKIP_2) | instid1(VALU_DEP_1)
	v_rcp_f64_e32 v[190:191], v[186:187]
	s_waitcnt_depctr 0xfff
	v_fma_f64 v[192:193], -v[186:187], v[190:191], 1.0
	v_fma_f64 v[190:191], v[190:191], v[192:193], v[190:191]
	s_delay_alu instid0(VALU_DEP_1) | instskip(NEXT) | instid1(VALU_DEP_1)
	v_fma_f64 v[192:193], -v[186:187], v[190:191], 1.0
	v_fma_f64 v[190:191], v[190:191], v[192:193], v[190:191]
	v_div_scale_f64 v[192:193], vcc_lo, 1.0, v[184:185], 1.0
	s_delay_alu instid0(VALU_DEP_1) | instskip(NEXT) | instid1(VALU_DEP_1)
	v_mul_f64 v[194:195], v[192:193], v[190:191]
	v_fma_f64 v[186:187], -v[186:187], v[194:195], v[192:193]
	s_delay_alu instid0(VALU_DEP_1) | instskip(NEXT) | instid1(VALU_DEP_1)
	v_div_fmas_f64 v[186:187], v[186:187], v[190:191], v[194:195]
	v_div_fixup_f64 v[192:193], v[186:187], v[184:185], 1.0
	s_delay_alu instid0(VALU_DEP_1)
	v_mul_f64 v[190:191], v[188:189], -v[192:193]
.LBB91_16:
	s_or_b32 exec_lo, exec_lo, s3
	ds_store_2addr_b64 v227, v[192:193], v[190:191] offset1:1
.LBB91_17:
	s_or_b32 exec_lo, exec_lo, s4
	s_waitcnt lgkmcnt(0)
	s_barrier
	buffer_gl0_inv
	ds_load_2addr_b64 v[184:187], v227 offset1:1
	s_mov_b32 s3, exec_lo
	s_waitcnt lgkmcnt(0)
	scratch_store_b128 off, v[184:187], off offset:288 ; 16-byte Folded Spill
	v_cmpx_lt_u32_e32 1, v226
	s_cbranch_execz .LBB91_19
; %bb.18:
	scratch_load_b128 v[186:189], off, off offset:288 ; 16-byte Folded Reload
	s_waitcnt vmcnt(0)
	v_mul_f64 v[184:185], v[188:189], v[178:179]
	v_mul_f64 v[178:179], v[186:187], v[178:179]
	s_delay_alu instid0(VALU_DEP_2) | instskip(NEXT) | instid1(VALU_DEP_2)
	v_fma_f64 v[184:185], v[186:187], v[176:177], -v[184:185]
	v_fma_f64 v[178:179], v[188:189], v[176:177], v[178:179]
	ds_load_2addr_b64 v[186:189], v228 offset0:4 offset1:5
	s_waitcnt lgkmcnt(0)
	v_mul_f64 v[176:177], v[188:189], v[178:179]
	s_delay_alu instid0(VALU_DEP_1) | instskip(SKIP_1) | instid1(VALU_DEP_2)
	v_fma_f64 v[176:177], v[186:187], v[184:185], -v[176:177]
	v_mul_f64 v[186:187], v[186:187], v[178:179]
	v_add_f64 v[172:173], v[172:173], -v[176:177]
	s_delay_alu instid0(VALU_DEP_2) | instskip(NEXT) | instid1(VALU_DEP_1)
	v_fma_f64 v[186:187], v[188:189], v[184:185], v[186:187]
	v_add_f64 v[174:175], v[174:175], -v[186:187]
	ds_load_2addr_b64 v[186:189], v228 offset0:6 offset1:7
	s_waitcnt lgkmcnt(0)
	v_mul_f64 v[176:177], v[188:189], v[178:179]
	s_delay_alu instid0(VALU_DEP_1) | instskip(SKIP_1) | instid1(VALU_DEP_2)
	v_fma_f64 v[176:177], v[186:187], v[184:185], -v[176:177]
	v_mul_f64 v[186:187], v[186:187], v[178:179]
	v_add_f64 v[168:169], v[168:169], -v[176:177]
	s_delay_alu instid0(VALU_DEP_2) | instskip(NEXT) | instid1(VALU_DEP_1)
	v_fma_f64 v[186:187], v[188:189], v[184:185], v[186:187]
	v_add_f64 v[170:171], v[170:171], -v[186:187]
	;; [unrolled: 10-line block ×43, first 2 shown]
	ds_load_2addr_b64 v[186:189], v228 offset0:90 offset1:91
	s_waitcnt lgkmcnt(0)
	v_mul_f64 v[176:177], v[188:189], v[178:179]
	s_delay_alu instid0(VALU_DEP_1) | instskip(SKIP_1) | instid1(VALU_DEP_2)
	v_fma_f64 v[176:177], v[186:187], v[184:185], -v[176:177]
	v_mul_f64 v[186:187], v[186:187], v[178:179]
	v_add_f64 v[0:1], v[0:1], -v[176:177]
	s_delay_alu instid0(VALU_DEP_2) | instskip(SKIP_1) | instid1(VALU_DEP_2)
	v_fma_f64 v[186:187], v[188:189], v[184:185], v[186:187]
	v_dual_mov_b32 v176, v184 :: v_dual_mov_b32 v177, v185
	v_add_f64 v[2:3], v[2:3], -v[186:187]
.LBB91_19:
	s_or_b32 exec_lo, exec_lo, s3
	s_delay_alu instid0(SALU_CYCLE_1)
	s_mov_b32 s4, exec_lo
	s_waitcnt_vscnt null, 0x0
	s_barrier
	buffer_gl0_inv
	v_cmpx_eq_u32_e32 2, v226
	s_cbranch_execz .LBB91_26
; %bb.20:
	ds_store_2addr_b64 v227, v[172:173], v[174:175] offset1:1
	ds_store_2addr_b64 v228, v[168:169], v[170:171] offset0:6 offset1:7
	ds_store_2addr_b64 v228, v[164:165], v[166:167] offset0:8 offset1:9
	;; [unrolled: 1-line block ×43, first 2 shown]
	ds_load_2addr_b64 v[184:187], v227 offset1:1
	s_waitcnt lgkmcnt(0)
	v_cmp_neq_f64_e32 vcc_lo, 0, v[184:185]
	v_cmp_neq_f64_e64 s3, 0, v[186:187]
	s_delay_alu instid0(VALU_DEP_1) | instskip(NEXT) | instid1(SALU_CYCLE_1)
	s_or_b32 s3, vcc_lo, s3
	s_and_b32 exec_lo, exec_lo, s3
	s_cbranch_execz .LBB91_26
; %bb.21:
	v_cmp_gt_f64_e32 vcc_lo, 0, v[184:185]
	v_xor_b32_e32 v188, 0x80000000, v185
	v_xor_b32_e32 v190, 0x80000000, v187
	s_mov_b32 s3, exec_lo
                                        ; implicit-def: $vgpr192_vgpr193
	s_delay_alu instid0(VALU_DEP_2) | instskip(SKIP_4) | instid1(VALU_DEP_1)
	v_cndmask_b32_e32 v189, v185, v188, vcc_lo
	v_cndmask_b32_e32 v188, v184, v184, vcc_lo
	v_cmp_gt_f64_e32 vcc_lo, 0, v[186:187]
	v_cndmask_b32_e32 v191, v187, v190, vcc_lo
	v_cndmask_b32_e32 v190, v186, v186, vcc_lo
	v_cmpx_ngt_f64_e32 v[188:189], v[190:191]
	s_xor_b32 s3, exec_lo, s3
                                        ; implicit-def: $vgpr188_vgpr189_vgpr190_vgpr191
	s_cbranch_execz .LBB91_23
; %bb.22:
	v_div_scale_f64 v[188:189], null, v[186:187], v[186:187], v[184:185]
	v_div_scale_f64 v[194:195], vcc_lo, v[184:185], v[186:187], v[184:185]
	s_delay_alu instid0(VALU_DEP_2) | instskip(SKIP_2) | instid1(VALU_DEP_1)
	v_rcp_f64_e32 v[190:191], v[188:189]
	s_waitcnt_depctr 0xfff
	v_fma_f64 v[192:193], -v[188:189], v[190:191], 1.0
	v_fma_f64 v[190:191], v[190:191], v[192:193], v[190:191]
	s_delay_alu instid0(VALU_DEP_1) | instskip(NEXT) | instid1(VALU_DEP_1)
	v_fma_f64 v[192:193], -v[188:189], v[190:191], 1.0
	v_fma_f64 v[190:191], v[190:191], v[192:193], v[190:191]
	s_delay_alu instid0(VALU_DEP_1) | instskip(NEXT) | instid1(VALU_DEP_1)
	v_mul_f64 v[192:193], v[194:195], v[190:191]
	v_fma_f64 v[188:189], -v[188:189], v[192:193], v[194:195]
	s_delay_alu instid0(VALU_DEP_1) | instskip(NEXT) | instid1(VALU_DEP_1)
	v_div_fmas_f64 v[188:189], v[188:189], v[190:191], v[192:193]
	v_div_fixup_f64 v[188:189], v[188:189], v[186:187], v[184:185]
	s_delay_alu instid0(VALU_DEP_1) | instskip(NEXT) | instid1(VALU_DEP_1)
	v_fma_f64 v[184:185], v[184:185], v[188:189], v[186:187]
	v_div_scale_f64 v[186:187], null, v[184:185], v[184:185], 1.0
	s_delay_alu instid0(VALU_DEP_1) | instskip(SKIP_2) | instid1(VALU_DEP_1)
	v_rcp_f64_e32 v[190:191], v[186:187]
	s_waitcnt_depctr 0xfff
	v_fma_f64 v[192:193], -v[186:187], v[190:191], 1.0
	v_fma_f64 v[190:191], v[190:191], v[192:193], v[190:191]
	s_delay_alu instid0(VALU_DEP_1) | instskip(NEXT) | instid1(VALU_DEP_1)
	v_fma_f64 v[192:193], -v[186:187], v[190:191], 1.0
	v_fma_f64 v[190:191], v[190:191], v[192:193], v[190:191]
	v_div_scale_f64 v[192:193], vcc_lo, 1.0, v[184:185], 1.0
	s_delay_alu instid0(VALU_DEP_1) | instskip(NEXT) | instid1(VALU_DEP_1)
	v_mul_f64 v[194:195], v[192:193], v[190:191]
	v_fma_f64 v[186:187], -v[186:187], v[194:195], v[192:193]
	s_delay_alu instid0(VALU_DEP_1) | instskip(NEXT) | instid1(VALU_DEP_1)
	v_div_fmas_f64 v[186:187], v[186:187], v[190:191], v[194:195]
	v_div_fixup_f64 v[190:191], v[186:187], v[184:185], 1.0
                                        ; implicit-def: $vgpr184_vgpr185
	s_delay_alu instid0(VALU_DEP_1)
	v_mul_f64 v[192:193], v[188:189], v[190:191]
	v_xor_b32_e32 v191, 0x80000000, v191
.LBB91_23:
	s_and_not1_saveexec_b32 s3, s3
	s_cbranch_execz .LBB91_25
; %bb.24:
	v_div_scale_f64 v[188:189], null, v[184:185], v[184:185], v[186:187]
	v_div_scale_f64 v[194:195], vcc_lo, v[186:187], v[184:185], v[186:187]
	s_delay_alu instid0(VALU_DEP_2) | instskip(SKIP_2) | instid1(VALU_DEP_1)
	v_rcp_f64_e32 v[190:191], v[188:189]
	s_waitcnt_depctr 0xfff
	v_fma_f64 v[192:193], -v[188:189], v[190:191], 1.0
	v_fma_f64 v[190:191], v[190:191], v[192:193], v[190:191]
	s_delay_alu instid0(VALU_DEP_1) | instskip(NEXT) | instid1(VALU_DEP_1)
	v_fma_f64 v[192:193], -v[188:189], v[190:191], 1.0
	v_fma_f64 v[190:191], v[190:191], v[192:193], v[190:191]
	s_delay_alu instid0(VALU_DEP_1) | instskip(NEXT) | instid1(VALU_DEP_1)
	v_mul_f64 v[192:193], v[194:195], v[190:191]
	v_fma_f64 v[188:189], -v[188:189], v[192:193], v[194:195]
	s_delay_alu instid0(VALU_DEP_1) | instskip(NEXT) | instid1(VALU_DEP_1)
	v_div_fmas_f64 v[188:189], v[188:189], v[190:191], v[192:193]
	v_div_fixup_f64 v[188:189], v[188:189], v[184:185], v[186:187]
	s_delay_alu instid0(VALU_DEP_1) | instskip(NEXT) | instid1(VALU_DEP_1)
	v_fma_f64 v[184:185], v[186:187], v[188:189], v[184:185]
	v_div_scale_f64 v[186:187], null, v[184:185], v[184:185], 1.0
	s_delay_alu instid0(VALU_DEP_1) | instskip(SKIP_2) | instid1(VALU_DEP_1)
	v_rcp_f64_e32 v[190:191], v[186:187]
	s_waitcnt_depctr 0xfff
	v_fma_f64 v[192:193], -v[186:187], v[190:191], 1.0
	v_fma_f64 v[190:191], v[190:191], v[192:193], v[190:191]
	s_delay_alu instid0(VALU_DEP_1) | instskip(NEXT) | instid1(VALU_DEP_1)
	v_fma_f64 v[192:193], -v[186:187], v[190:191], 1.0
	v_fma_f64 v[190:191], v[190:191], v[192:193], v[190:191]
	v_div_scale_f64 v[192:193], vcc_lo, 1.0, v[184:185], 1.0
	s_delay_alu instid0(VALU_DEP_1) | instskip(NEXT) | instid1(VALU_DEP_1)
	v_mul_f64 v[194:195], v[192:193], v[190:191]
	v_fma_f64 v[186:187], -v[186:187], v[194:195], v[192:193]
	s_delay_alu instid0(VALU_DEP_1) | instskip(NEXT) | instid1(VALU_DEP_1)
	v_div_fmas_f64 v[186:187], v[186:187], v[190:191], v[194:195]
	v_div_fixup_f64 v[192:193], v[186:187], v[184:185], 1.0
	s_delay_alu instid0(VALU_DEP_1)
	v_mul_f64 v[190:191], v[188:189], -v[192:193]
.LBB91_25:
	s_or_b32 exec_lo, exec_lo, s3
	ds_store_2addr_b64 v227, v[192:193], v[190:191] offset1:1
.LBB91_26:
	s_or_b32 exec_lo, exec_lo, s4
	s_waitcnt lgkmcnt(0)
	s_barrier
	buffer_gl0_inv
	ds_load_2addr_b64 v[184:187], v227 offset1:1
	s_mov_b32 s3, exec_lo
	s_waitcnt lgkmcnt(0)
	scratch_store_b128 off, v[184:187], off offset:304 ; 16-byte Folded Spill
	v_cmpx_lt_u32_e32 2, v226
	s_cbranch_execz .LBB91_28
; %bb.27:
	scratch_load_b128 v[186:189], off, off offset:304 ; 16-byte Folded Reload
	s_waitcnt vmcnt(0)
	v_mul_f64 v[184:185], v[188:189], v[174:175]
	v_mul_f64 v[174:175], v[186:187], v[174:175]
	s_delay_alu instid0(VALU_DEP_2) | instskip(NEXT) | instid1(VALU_DEP_2)
	v_fma_f64 v[184:185], v[186:187], v[172:173], -v[184:185]
	v_fma_f64 v[174:175], v[188:189], v[172:173], v[174:175]
	ds_load_2addr_b64 v[186:189], v228 offset0:6 offset1:7
	s_waitcnt lgkmcnt(0)
	v_mul_f64 v[172:173], v[188:189], v[174:175]
	s_delay_alu instid0(VALU_DEP_1) | instskip(SKIP_1) | instid1(VALU_DEP_2)
	v_fma_f64 v[172:173], v[186:187], v[184:185], -v[172:173]
	v_mul_f64 v[186:187], v[186:187], v[174:175]
	v_add_f64 v[168:169], v[168:169], -v[172:173]
	s_delay_alu instid0(VALU_DEP_2) | instskip(NEXT) | instid1(VALU_DEP_1)
	v_fma_f64 v[186:187], v[188:189], v[184:185], v[186:187]
	v_add_f64 v[170:171], v[170:171], -v[186:187]
	ds_load_2addr_b64 v[186:189], v228 offset0:8 offset1:9
	s_waitcnt lgkmcnt(0)
	v_mul_f64 v[172:173], v[188:189], v[174:175]
	s_delay_alu instid0(VALU_DEP_1) | instskip(SKIP_1) | instid1(VALU_DEP_2)
	v_fma_f64 v[172:173], v[186:187], v[184:185], -v[172:173]
	v_mul_f64 v[186:187], v[186:187], v[174:175]
	v_add_f64 v[164:165], v[164:165], -v[172:173]
	s_delay_alu instid0(VALU_DEP_2) | instskip(NEXT) | instid1(VALU_DEP_1)
	v_fma_f64 v[186:187], v[188:189], v[184:185], v[186:187]
	v_add_f64 v[166:167], v[166:167], -v[186:187]
	;; [unrolled: 10-line block ×42, first 2 shown]
	ds_load_2addr_b64 v[186:189], v228 offset0:90 offset1:91
	s_waitcnt lgkmcnt(0)
	v_mul_f64 v[172:173], v[188:189], v[174:175]
	s_delay_alu instid0(VALU_DEP_1) | instskip(SKIP_1) | instid1(VALU_DEP_2)
	v_fma_f64 v[172:173], v[186:187], v[184:185], -v[172:173]
	v_mul_f64 v[186:187], v[186:187], v[174:175]
	v_add_f64 v[0:1], v[0:1], -v[172:173]
	s_delay_alu instid0(VALU_DEP_2) | instskip(SKIP_1) | instid1(VALU_DEP_2)
	v_fma_f64 v[186:187], v[188:189], v[184:185], v[186:187]
	v_dual_mov_b32 v172, v184 :: v_dual_mov_b32 v173, v185
	v_add_f64 v[2:3], v[2:3], -v[186:187]
.LBB91_28:
	s_or_b32 exec_lo, exec_lo, s3
	s_delay_alu instid0(SALU_CYCLE_1)
	s_mov_b32 s4, exec_lo
	s_waitcnt_vscnt null, 0x0
	s_barrier
	buffer_gl0_inv
	v_cmpx_eq_u32_e32 3, v226
	s_cbranch_execz .LBB91_35
; %bb.29:
	ds_store_2addr_b64 v227, v[168:169], v[170:171] offset1:1
	ds_store_2addr_b64 v228, v[164:165], v[166:167] offset0:8 offset1:9
	ds_store_2addr_b64 v228, v[160:161], v[162:163] offset0:10 offset1:11
	;; [unrolled: 1-line block ×42, first 2 shown]
	ds_load_2addr_b64 v[184:187], v227 offset1:1
	s_waitcnt lgkmcnt(0)
	v_cmp_neq_f64_e32 vcc_lo, 0, v[184:185]
	v_cmp_neq_f64_e64 s3, 0, v[186:187]
	s_delay_alu instid0(VALU_DEP_1) | instskip(NEXT) | instid1(SALU_CYCLE_1)
	s_or_b32 s3, vcc_lo, s3
	s_and_b32 exec_lo, exec_lo, s3
	s_cbranch_execz .LBB91_35
; %bb.30:
	v_cmp_gt_f64_e32 vcc_lo, 0, v[184:185]
	v_xor_b32_e32 v188, 0x80000000, v185
	v_xor_b32_e32 v190, 0x80000000, v187
	s_mov_b32 s3, exec_lo
                                        ; implicit-def: $vgpr192_vgpr193
	s_delay_alu instid0(VALU_DEP_2) | instskip(SKIP_4) | instid1(VALU_DEP_1)
	v_cndmask_b32_e32 v189, v185, v188, vcc_lo
	v_cndmask_b32_e32 v188, v184, v184, vcc_lo
	v_cmp_gt_f64_e32 vcc_lo, 0, v[186:187]
	v_cndmask_b32_e32 v191, v187, v190, vcc_lo
	v_cndmask_b32_e32 v190, v186, v186, vcc_lo
	v_cmpx_ngt_f64_e32 v[188:189], v[190:191]
	s_xor_b32 s3, exec_lo, s3
                                        ; implicit-def: $vgpr188_vgpr189_vgpr190_vgpr191
	s_cbranch_execz .LBB91_32
; %bb.31:
	v_div_scale_f64 v[188:189], null, v[186:187], v[186:187], v[184:185]
	v_div_scale_f64 v[194:195], vcc_lo, v[184:185], v[186:187], v[184:185]
	s_delay_alu instid0(VALU_DEP_2) | instskip(SKIP_2) | instid1(VALU_DEP_1)
	v_rcp_f64_e32 v[190:191], v[188:189]
	s_waitcnt_depctr 0xfff
	v_fma_f64 v[192:193], -v[188:189], v[190:191], 1.0
	v_fma_f64 v[190:191], v[190:191], v[192:193], v[190:191]
	s_delay_alu instid0(VALU_DEP_1) | instskip(NEXT) | instid1(VALU_DEP_1)
	v_fma_f64 v[192:193], -v[188:189], v[190:191], 1.0
	v_fma_f64 v[190:191], v[190:191], v[192:193], v[190:191]
	s_delay_alu instid0(VALU_DEP_1) | instskip(NEXT) | instid1(VALU_DEP_1)
	v_mul_f64 v[192:193], v[194:195], v[190:191]
	v_fma_f64 v[188:189], -v[188:189], v[192:193], v[194:195]
	s_delay_alu instid0(VALU_DEP_1) | instskip(NEXT) | instid1(VALU_DEP_1)
	v_div_fmas_f64 v[188:189], v[188:189], v[190:191], v[192:193]
	v_div_fixup_f64 v[188:189], v[188:189], v[186:187], v[184:185]
	s_delay_alu instid0(VALU_DEP_1) | instskip(NEXT) | instid1(VALU_DEP_1)
	v_fma_f64 v[184:185], v[184:185], v[188:189], v[186:187]
	v_div_scale_f64 v[186:187], null, v[184:185], v[184:185], 1.0
	s_delay_alu instid0(VALU_DEP_1) | instskip(SKIP_2) | instid1(VALU_DEP_1)
	v_rcp_f64_e32 v[190:191], v[186:187]
	s_waitcnt_depctr 0xfff
	v_fma_f64 v[192:193], -v[186:187], v[190:191], 1.0
	v_fma_f64 v[190:191], v[190:191], v[192:193], v[190:191]
	s_delay_alu instid0(VALU_DEP_1) | instskip(NEXT) | instid1(VALU_DEP_1)
	v_fma_f64 v[192:193], -v[186:187], v[190:191], 1.0
	v_fma_f64 v[190:191], v[190:191], v[192:193], v[190:191]
	v_div_scale_f64 v[192:193], vcc_lo, 1.0, v[184:185], 1.0
	s_delay_alu instid0(VALU_DEP_1) | instskip(NEXT) | instid1(VALU_DEP_1)
	v_mul_f64 v[194:195], v[192:193], v[190:191]
	v_fma_f64 v[186:187], -v[186:187], v[194:195], v[192:193]
	s_delay_alu instid0(VALU_DEP_1) | instskip(NEXT) | instid1(VALU_DEP_1)
	v_div_fmas_f64 v[186:187], v[186:187], v[190:191], v[194:195]
	v_div_fixup_f64 v[190:191], v[186:187], v[184:185], 1.0
                                        ; implicit-def: $vgpr184_vgpr185
	s_delay_alu instid0(VALU_DEP_1)
	v_mul_f64 v[192:193], v[188:189], v[190:191]
	v_xor_b32_e32 v191, 0x80000000, v191
.LBB91_32:
	s_and_not1_saveexec_b32 s3, s3
	s_cbranch_execz .LBB91_34
; %bb.33:
	v_div_scale_f64 v[188:189], null, v[184:185], v[184:185], v[186:187]
	v_div_scale_f64 v[194:195], vcc_lo, v[186:187], v[184:185], v[186:187]
	s_delay_alu instid0(VALU_DEP_2) | instskip(SKIP_2) | instid1(VALU_DEP_1)
	v_rcp_f64_e32 v[190:191], v[188:189]
	s_waitcnt_depctr 0xfff
	v_fma_f64 v[192:193], -v[188:189], v[190:191], 1.0
	v_fma_f64 v[190:191], v[190:191], v[192:193], v[190:191]
	s_delay_alu instid0(VALU_DEP_1) | instskip(NEXT) | instid1(VALU_DEP_1)
	v_fma_f64 v[192:193], -v[188:189], v[190:191], 1.0
	v_fma_f64 v[190:191], v[190:191], v[192:193], v[190:191]
	s_delay_alu instid0(VALU_DEP_1) | instskip(NEXT) | instid1(VALU_DEP_1)
	v_mul_f64 v[192:193], v[194:195], v[190:191]
	v_fma_f64 v[188:189], -v[188:189], v[192:193], v[194:195]
	s_delay_alu instid0(VALU_DEP_1) | instskip(NEXT) | instid1(VALU_DEP_1)
	v_div_fmas_f64 v[188:189], v[188:189], v[190:191], v[192:193]
	v_div_fixup_f64 v[188:189], v[188:189], v[184:185], v[186:187]
	s_delay_alu instid0(VALU_DEP_1) | instskip(NEXT) | instid1(VALU_DEP_1)
	v_fma_f64 v[184:185], v[186:187], v[188:189], v[184:185]
	v_div_scale_f64 v[186:187], null, v[184:185], v[184:185], 1.0
	s_delay_alu instid0(VALU_DEP_1) | instskip(SKIP_2) | instid1(VALU_DEP_1)
	v_rcp_f64_e32 v[190:191], v[186:187]
	s_waitcnt_depctr 0xfff
	v_fma_f64 v[192:193], -v[186:187], v[190:191], 1.0
	v_fma_f64 v[190:191], v[190:191], v[192:193], v[190:191]
	s_delay_alu instid0(VALU_DEP_1) | instskip(NEXT) | instid1(VALU_DEP_1)
	v_fma_f64 v[192:193], -v[186:187], v[190:191], 1.0
	v_fma_f64 v[190:191], v[190:191], v[192:193], v[190:191]
	v_div_scale_f64 v[192:193], vcc_lo, 1.0, v[184:185], 1.0
	s_delay_alu instid0(VALU_DEP_1) | instskip(NEXT) | instid1(VALU_DEP_1)
	v_mul_f64 v[194:195], v[192:193], v[190:191]
	v_fma_f64 v[186:187], -v[186:187], v[194:195], v[192:193]
	s_delay_alu instid0(VALU_DEP_1) | instskip(NEXT) | instid1(VALU_DEP_1)
	v_div_fmas_f64 v[186:187], v[186:187], v[190:191], v[194:195]
	v_div_fixup_f64 v[192:193], v[186:187], v[184:185], 1.0
	s_delay_alu instid0(VALU_DEP_1)
	v_mul_f64 v[190:191], v[188:189], -v[192:193]
.LBB91_34:
	s_or_b32 exec_lo, exec_lo, s3
	ds_store_2addr_b64 v227, v[192:193], v[190:191] offset1:1
.LBB91_35:
	s_or_b32 exec_lo, exec_lo, s4
	s_waitcnt lgkmcnt(0)
	s_barrier
	buffer_gl0_inv
	ds_load_2addr_b64 v[184:187], v227 offset1:1
	s_mov_b32 s3, exec_lo
	s_waitcnt lgkmcnt(0)
	scratch_store_b128 off, v[184:187], off offset:320 ; 16-byte Folded Spill
	v_cmpx_lt_u32_e32 3, v226
	s_cbranch_execz .LBB91_37
; %bb.36:
	scratch_load_b128 v[186:189], off, off offset:320 ; 16-byte Folded Reload
	s_waitcnt vmcnt(0)
	v_mul_f64 v[184:185], v[188:189], v[170:171]
	v_mul_f64 v[170:171], v[186:187], v[170:171]
	s_delay_alu instid0(VALU_DEP_2) | instskip(NEXT) | instid1(VALU_DEP_2)
	v_fma_f64 v[184:185], v[186:187], v[168:169], -v[184:185]
	v_fma_f64 v[170:171], v[188:189], v[168:169], v[170:171]
	ds_load_2addr_b64 v[186:189], v228 offset0:8 offset1:9
	s_waitcnt lgkmcnt(0)
	v_mul_f64 v[168:169], v[188:189], v[170:171]
	s_delay_alu instid0(VALU_DEP_1) | instskip(SKIP_1) | instid1(VALU_DEP_2)
	v_fma_f64 v[168:169], v[186:187], v[184:185], -v[168:169]
	v_mul_f64 v[186:187], v[186:187], v[170:171]
	v_add_f64 v[164:165], v[164:165], -v[168:169]
	s_delay_alu instid0(VALU_DEP_2) | instskip(NEXT) | instid1(VALU_DEP_1)
	v_fma_f64 v[186:187], v[188:189], v[184:185], v[186:187]
	v_add_f64 v[166:167], v[166:167], -v[186:187]
	ds_load_2addr_b64 v[186:189], v228 offset0:10 offset1:11
	s_waitcnt lgkmcnt(0)
	v_mul_f64 v[168:169], v[188:189], v[170:171]
	s_delay_alu instid0(VALU_DEP_1) | instskip(SKIP_1) | instid1(VALU_DEP_2)
	v_fma_f64 v[168:169], v[186:187], v[184:185], -v[168:169]
	v_mul_f64 v[186:187], v[186:187], v[170:171]
	v_add_f64 v[160:161], v[160:161], -v[168:169]
	s_delay_alu instid0(VALU_DEP_2) | instskip(NEXT) | instid1(VALU_DEP_1)
	v_fma_f64 v[186:187], v[188:189], v[184:185], v[186:187]
	v_add_f64 v[162:163], v[162:163], -v[186:187]
	;; [unrolled: 10-line block ×41, first 2 shown]
	ds_load_2addr_b64 v[186:189], v228 offset0:90 offset1:91
	s_waitcnt lgkmcnt(0)
	v_mul_f64 v[168:169], v[188:189], v[170:171]
	s_delay_alu instid0(VALU_DEP_1) | instskip(SKIP_1) | instid1(VALU_DEP_2)
	v_fma_f64 v[168:169], v[186:187], v[184:185], -v[168:169]
	v_mul_f64 v[186:187], v[186:187], v[170:171]
	v_add_f64 v[0:1], v[0:1], -v[168:169]
	s_delay_alu instid0(VALU_DEP_2) | instskip(SKIP_1) | instid1(VALU_DEP_2)
	v_fma_f64 v[186:187], v[188:189], v[184:185], v[186:187]
	v_dual_mov_b32 v168, v184 :: v_dual_mov_b32 v169, v185
	v_add_f64 v[2:3], v[2:3], -v[186:187]
.LBB91_37:
	s_or_b32 exec_lo, exec_lo, s3
	s_delay_alu instid0(SALU_CYCLE_1)
	s_mov_b32 s4, exec_lo
	s_waitcnt_vscnt null, 0x0
	s_barrier
	buffer_gl0_inv
	v_cmpx_eq_u32_e32 4, v226
	s_cbranch_execz .LBB91_44
; %bb.38:
	ds_store_2addr_b64 v227, v[164:165], v[166:167] offset1:1
	ds_store_2addr_b64 v228, v[160:161], v[162:163] offset0:10 offset1:11
	ds_store_2addr_b64 v228, v[156:157], v[158:159] offset0:12 offset1:13
	;; [unrolled: 1-line block ×41, first 2 shown]
	ds_load_2addr_b64 v[184:187], v227 offset1:1
	s_waitcnt lgkmcnt(0)
	v_cmp_neq_f64_e32 vcc_lo, 0, v[184:185]
	v_cmp_neq_f64_e64 s3, 0, v[186:187]
	s_delay_alu instid0(VALU_DEP_1) | instskip(NEXT) | instid1(SALU_CYCLE_1)
	s_or_b32 s3, vcc_lo, s3
	s_and_b32 exec_lo, exec_lo, s3
	s_cbranch_execz .LBB91_44
; %bb.39:
	v_cmp_gt_f64_e32 vcc_lo, 0, v[184:185]
	v_xor_b32_e32 v188, 0x80000000, v185
	v_xor_b32_e32 v190, 0x80000000, v187
	s_mov_b32 s3, exec_lo
                                        ; implicit-def: $vgpr192_vgpr193
	s_delay_alu instid0(VALU_DEP_2) | instskip(SKIP_4) | instid1(VALU_DEP_1)
	v_cndmask_b32_e32 v189, v185, v188, vcc_lo
	v_cndmask_b32_e32 v188, v184, v184, vcc_lo
	v_cmp_gt_f64_e32 vcc_lo, 0, v[186:187]
	v_cndmask_b32_e32 v191, v187, v190, vcc_lo
	v_cndmask_b32_e32 v190, v186, v186, vcc_lo
	v_cmpx_ngt_f64_e32 v[188:189], v[190:191]
	s_xor_b32 s3, exec_lo, s3
                                        ; implicit-def: $vgpr188_vgpr189_vgpr190_vgpr191
	s_cbranch_execz .LBB91_41
; %bb.40:
	v_div_scale_f64 v[188:189], null, v[186:187], v[186:187], v[184:185]
	v_div_scale_f64 v[194:195], vcc_lo, v[184:185], v[186:187], v[184:185]
	s_delay_alu instid0(VALU_DEP_2) | instskip(SKIP_2) | instid1(VALU_DEP_1)
	v_rcp_f64_e32 v[190:191], v[188:189]
	s_waitcnt_depctr 0xfff
	v_fma_f64 v[192:193], -v[188:189], v[190:191], 1.0
	v_fma_f64 v[190:191], v[190:191], v[192:193], v[190:191]
	s_delay_alu instid0(VALU_DEP_1) | instskip(NEXT) | instid1(VALU_DEP_1)
	v_fma_f64 v[192:193], -v[188:189], v[190:191], 1.0
	v_fma_f64 v[190:191], v[190:191], v[192:193], v[190:191]
	s_delay_alu instid0(VALU_DEP_1) | instskip(NEXT) | instid1(VALU_DEP_1)
	v_mul_f64 v[192:193], v[194:195], v[190:191]
	v_fma_f64 v[188:189], -v[188:189], v[192:193], v[194:195]
	s_delay_alu instid0(VALU_DEP_1) | instskip(NEXT) | instid1(VALU_DEP_1)
	v_div_fmas_f64 v[188:189], v[188:189], v[190:191], v[192:193]
	v_div_fixup_f64 v[188:189], v[188:189], v[186:187], v[184:185]
	s_delay_alu instid0(VALU_DEP_1) | instskip(NEXT) | instid1(VALU_DEP_1)
	v_fma_f64 v[184:185], v[184:185], v[188:189], v[186:187]
	v_div_scale_f64 v[186:187], null, v[184:185], v[184:185], 1.0
	s_delay_alu instid0(VALU_DEP_1) | instskip(SKIP_2) | instid1(VALU_DEP_1)
	v_rcp_f64_e32 v[190:191], v[186:187]
	s_waitcnt_depctr 0xfff
	v_fma_f64 v[192:193], -v[186:187], v[190:191], 1.0
	v_fma_f64 v[190:191], v[190:191], v[192:193], v[190:191]
	s_delay_alu instid0(VALU_DEP_1) | instskip(NEXT) | instid1(VALU_DEP_1)
	v_fma_f64 v[192:193], -v[186:187], v[190:191], 1.0
	v_fma_f64 v[190:191], v[190:191], v[192:193], v[190:191]
	v_div_scale_f64 v[192:193], vcc_lo, 1.0, v[184:185], 1.0
	s_delay_alu instid0(VALU_DEP_1) | instskip(NEXT) | instid1(VALU_DEP_1)
	v_mul_f64 v[194:195], v[192:193], v[190:191]
	v_fma_f64 v[186:187], -v[186:187], v[194:195], v[192:193]
	s_delay_alu instid0(VALU_DEP_1) | instskip(NEXT) | instid1(VALU_DEP_1)
	v_div_fmas_f64 v[186:187], v[186:187], v[190:191], v[194:195]
	v_div_fixup_f64 v[190:191], v[186:187], v[184:185], 1.0
                                        ; implicit-def: $vgpr184_vgpr185
	s_delay_alu instid0(VALU_DEP_1)
	v_mul_f64 v[192:193], v[188:189], v[190:191]
	v_xor_b32_e32 v191, 0x80000000, v191
.LBB91_41:
	s_and_not1_saveexec_b32 s3, s3
	s_cbranch_execz .LBB91_43
; %bb.42:
	v_div_scale_f64 v[188:189], null, v[184:185], v[184:185], v[186:187]
	v_div_scale_f64 v[194:195], vcc_lo, v[186:187], v[184:185], v[186:187]
	s_delay_alu instid0(VALU_DEP_2) | instskip(SKIP_2) | instid1(VALU_DEP_1)
	v_rcp_f64_e32 v[190:191], v[188:189]
	s_waitcnt_depctr 0xfff
	v_fma_f64 v[192:193], -v[188:189], v[190:191], 1.0
	v_fma_f64 v[190:191], v[190:191], v[192:193], v[190:191]
	s_delay_alu instid0(VALU_DEP_1) | instskip(NEXT) | instid1(VALU_DEP_1)
	v_fma_f64 v[192:193], -v[188:189], v[190:191], 1.0
	v_fma_f64 v[190:191], v[190:191], v[192:193], v[190:191]
	s_delay_alu instid0(VALU_DEP_1) | instskip(NEXT) | instid1(VALU_DEP_1)
	v_mul_f64 v[192:193], v[194:195], v[190:191]
	v_fma_f64 v[188:189], -v[188:189], v[192:193], v[194:195]
	s_delay_alu instid0(VALU_DEP_1) | instskip(NEXT) | instid1(VALU_DEP_1)
	v_div_fmas_f64 v[188:189], v[188:189], v[190:191], v[192:193]
	v_div_fixup_f64 v[188:189], v[188:189], v[184:185], v[186:187]
	s_delay_alu instid0(VALU_DEP_1) | instskip(NEXT) | instid1(VALU_DEP_1)
	v_fma_f64 v[184:185], v[186:187], v[188:189], v[184:185]
	v_div_scale_f64 v[186:187], null, v[184:185], v[184:185], 1.0
	s_delay_alu instid0(VALU_DEP_1) | instskip(SKIP_2) | instid1(VALU_DEP_1)
	v_rcp_f64_e32 v[190:191], v[186:187]
	s_waitcnt_depctr 0xfff
	v_fma_f64 v[192:193], -v[186:187], v[190:191], 1.0
	v_fma_f64 v[190:191], v[190:191], v[192:193], v[190:191]
	s_delay_alu instid0(VALU_DEP_1) | instskip(NEXT) | instid1(VALU_DEP_1)
	v_fma_f64 v[192:193], -v[186:187], v[190:191], 1.0
	v_fma_f64 v[190:191], v[190:191], v[192:193], v[190:191]
	v_div_scale_f64 v[192:193], vcc_lo, 1.0, v[184:185], 1.0
	s_delay_alu instid0(VALU_DEP_1) | instskip(NEXT) | instid1(VALU_DEP_1)
	v_mul_f64 v[194:195], v[192:193], v[190:191]
	v_fma_f64 v[186:187], -v[186:187], v[194:195], v[192:193]
	s_delay_alu instid0(VALU_DEP_1) | instskip(NEXT) | instid1(VALU_DEP_1)
	v_div_fmas_f64 v[186:187], v[186:187], v[190:191], v[194:195]
	v_div_fixup_f64 v[192:193], v[186:187], v[184:185], 1.0
	s_delay_alu instid0(VALU_DEP_1)
	v_mul_f64 v[190:191], v[188:189], -v[192:193]
.LBB91_43:
	s_or_b32 exec_lo, exec_lo, s3
	ds_store_2addr_b64 v227, v[192:193], v[190:191] offset1:1
.LBB91_44:
	s_or_b32 exec_lo, exec_lo, s4
	s_waitcnt lgkmcnt(0)
	s_barrier
	buffer_gl0_inv
	ds_load_2addr_b64 v[184:187], v227 offset1:1
	s_mov_b32 s3, exec_lo
	s_waitcnt lgkmcnt(0)
	scratch_store_b128 off, v[184:187], off offset:336 ; 16-byte Folded Spill
	v_cmpx_lt_u32_e32 4, v226
	s_cbranch_execz .LBB91_46
; %bb.45:
	scratch_load_b128 v[186:189], off, off offset:336 ; 16-byte Folded Reload
	s_waitcnt vmcnt(0)
	v_mul_f64 v[184:185], v[188:189], v[166:167]
	v_mul_f64 v[166:167], v[186:187], v[166:167]
	s_delay_alu instid0(VALU_DEP_2) | instskip(NEXT) | instid1(VALU_DEP_2)
	v_fma_f64 v[184:185], v[186:187], v[164:165], -v[184:185]
	v_fma_f64 v[166:167], v[188:189], v[164:165], v[166:167]
	ds_load_2addr_b64 v[186:189], v228 offset0:10 offset1:11
	s_waitcnt lgkmcnt(0)
	v_mul_f64 v[164:165], v[188:189], v[166:167]
	s_delay_alu instid0(VALU_DEP_1) | instskip(SKIP_1) | instid1(VALU_DEP_2)
	v_fma_f64 v[164:165], v[186:187], v[184:185], -v[164:165]
	v_mul_f64 v[186:187], v[186:187], v[166:167]
	v_add_f64 v[160:161], v[160:161], -v[164:165]
	s_delay_alu instid0(VALU_DEP_2) | instskip(NEXT) | instid1(VALU_DEP_1)
	v_fma_f64 v[186:187], v[188:189], v[184:185], v[186:187]
	v_add_f64 v[162:163], v[162:163], -v[186:187]
	ds_load_2addr_b64 v[186:189], v228 offset0:12 offset1:13
	s_waitcnt lgkmcnt(0)
	v_mul_f64 v[164:165], v[188:189], v[166:167]
	s_delay_alu instid0(VALU_DEP_1) | instskip(SKIP_1) | instid1(VALU_DEP_2)
	v_fma_f64 v[164:165], v[186:187], v[184:185], -v[164:165]
	v_mul_f64 v[186:187], v[186:187], v[166:167]
	v_add_f64 v[156:157], v[156:157], -v[164:165]
	s_delay_alu instid0(VALU_DEP_2) | instskip(NEXT) | instid1(VALU_DEP_1)
	v_fma_f64 v[186:187], v[188:189], v[184:185], v[186:187]
	v_add_f64 v[158:159], v[158:159], -v[186:187]
	;; [unrolled: 10-line block ×40, first 2 shown]
	ds_load_2addr_b64 v[186:189], v228 offset0:90 offset1:91
	s_waitcnt lgkmcnt(0)
	v_mul_f64 v[164:165], v[188:189], v[166:167]
	s_delay_alu instid0(VALU_DEP_1) | instskip(SKIP_1) | instid1(VALU_DEP_2)
	v_fma_f64 v[164:165], v[186:187], v[184:185], -v[164:165]
	v_mul_f64 v[186:187], v[186:187], v[166:167]
	v_add_f64 v[0:1], v[0:1], -v[164:165]
	s_delay_alu instid0(VALU_DEP_2) | instskip(SKIP_1) | instid1(VALU_DEP_2)
	v_fma_f64 v[186:187], v[188:189], v[184:185], v[186:187]
	v_dual_mov_b32 v164, v184 :: v_dual_mov_b32 v165, v185
	v_add_f64 v[2:3], v[2:3], -v[186:187]
.LBB91_46:
	s_or_b32 exec_lo, exec_lo, s3
	s_delay_alu instid0(SALU_CYCLE_1)
	s_mov_b32 s4, exec_lo
	s_waitcnt_vscnt null, 0x0
	s_barrier
	buffer_gl0_inv
	v_cmpx_eq_u32_e32 5, v226
	s_cbranch_execz .LBB91_53
; %bb.47:
	ds_store_2addr_b64 v227, v[160:161], v[162:163] offset1:1
	ds_store_2addr_b64 v228, v[156:157], v[158:159] offset0:12 offset1:13
	ds_store_2addr_b64 v228, v[152:153], v[154:155] offset0:14 offset1:15
	;; [unrolled: 1-line block ×40, first 2 shown]
	ds_load_2addr_b64 v[184:187], v227 offset1:1
	s_waitcnt lgkmcnt(0)
	v_cmp_neq_f64_e32 vcc_lo, 0, v[184:185]
	v_cmp_neq_f64_e64 s3, 0, v[186:187]
	s_delay_alu instid0(VALU_DEP_1) | instskip(NEXT) | instid1(SALU_CYCLE_1)
	s_or_b32 s3, vcc_lo, s3
	s_and_b32 exec_lo, exec_lo, s3
	s_cbranch_execz .LBB91_53
; %bb.48:
	v_cmp_gt_f64_e32 vcc_lo, 0, v[184:185]
	v_xor_b32_e32 v188, 0x80000000, v185
	v_xor_b32_e32 v190, 0x80000000, v187
	s_mov_b32 s3, exec_lo
                                        ; implicit-def: $vgpr192_vgpr193
	s_delay_alu instid0(VALU_DEP_2) | instskip(SKIP_4) | instid1(VALU_DEP_1)
	v_cndmask_b32_e32 v189, v185, v188, vcc_lo
	v_cndmask_b32_e32 v188, v184, v184, vcc_lo
	v_cmp_gt_f64_e32 vcc_lo, 0, v[186:187]
	v_cndmask_b32_e32 v191, v187, v190, vcc_lo
	v_cndmask_b32_e32 v190, v186, v186, vcc_lo
	v_cmpx_ngt_f64_e32 v[188:189], v[190:191]
	s_xor_b32 s3, exec_lo, s3
                                        ; implicit-def: $vgpr188_vgpr189_vgpr190_vgpr191
	s_cbranch_execz .LBB91_50
; %bb.49:
	v_div_scale_f64 v[188:189], null, v[186:187], v[186:187], v[184:185]
	v_div_scale_f64 v[194:195], vcc_lo, v[184:185], v[186:187], v[184:185]
	s_delay_alu instid0(VALU_DEP_2) | instskip(SKIP_2) | instid1(VALU_DEP_1)
	v_rcp_f64_e32 v[190:191], v[188:189]
	s_waitcnt_depctr 0xfff
	v_fma_f64 v[192:193], -v[188:189], v[190:191], 1.0
	v_fma_f64 v[190:191], v[190:191], v[192:193], v[190:191]
	s_delay_alu instid0(VALU_DEP_1) | instskip(NEXT) | instid1(VALU_DEP_1)
	v_fma_f64 v[192:193], -v[188:189], v[190:191], 1.0
	v_fma_f64 v[190:191], v[190:191], v[192:193], v[190:191]
	s_delay_alu instid0(VALU_DEP_1) | instskip(NEXT) | instid1(VALU_DEP_1)
	v_mul_f64 v[192:193], v[194:195], v[190:191]
	v_fma_f64 v[188:189], -v[188:189], v[192:193], v[194:195]
	s_delay_alu instid0(VALU_DEP_1) | instskip(NEXT) | instid1(VALU_DEP_1)
	v_div_fmas_f64 v[188:189], v[188:189], v[190:191], v[192:193]
	v_div_fixup_f64 v[188:189], v[188:189], v[186:187], v[184:185]
	s_delay_alu instid0(VALU_DEP_1) | instskip(NEXT) | instid1(VALU_DEP_1)
	v_fma_f64 v[184:185], v[184:185], v[188:189], v[186:187]
	v_div_scale_f64 v[186:187], null, v[184:185], v[184:185], 1.0
	s_delay_alu instid0(VALU_DEP_1) | instskip(SKIP_2) | instid1(VALU_DEP_1)
	v_rcp_f64_e32 v[190:191], v[186:187]
	s_waitcnt_depctr 0xfff
	v_fma_f64 v[192:193], -v[186:187], v[190:191], 1.0
	v_fma_f64 v[190:191], v[190:191], v[192:193], v[190:191]
	s_delay_alu instid0(VALU_DEP_1) | instskip(NEXT) | instid1(VALU_DEP_1)
	v_fma_f64 v[192:193], -v[186:187], v[190:191], 1.0
	v_fma_f64 v[190:191], v[190:191], v[192:193], v[190:191]
	v_div_scale_f64 v[192:193], vcc_lo, 1.0, v[184:185], 1.0
	s_delay_alu instid0(VALU_DEP_1) | instskip(NEXT) | instid1(VALU_DEP_1)
	v_mul_f64 v[194:195], v[192:193], v[190:191]
	v_fma_f64 v[186:187], -v[186:187], v[194:195], v[192:193]
	s_delay_alu instid0(VALU_DEP_1) | instskip(NEXT) | instid1(VALU_DEP_1)
	v_div_fmas_f64 v[186:187], v[186:187], v[190:191], v[194:195]
	v_div_fixup_f64 v[190:191], v[186:187], v[184:185], 1.0
                                        ; implicit-def: $vgpr184_vgpr185
	s_delay_alu instid0(VALU_DEP_1)
	v_mul_f64 v[192:193], v[188:189], v[190:191]
	v_xor_b32_e32 v191, 0x80000000, v191
.LBB91_50:
	s_and_not1_saveexec_b32 s3, s3
	s_cbranch_execz .LBB91_52
; %bb.51:
	v_div_scale_f64 v[188:189], null, v[184:185], v[184:185], v[186:187]
	v_div_scale_f64 v[194:195], vcc_lo, v[186:187], v[184:185], v[186:187]
	s_delay_alu instid0(VALU_DEP_2) | instskip(SKIP_2) | instid1(VALU_DEP_1)
	v_rcp_f64_e32 v[190:191], v[188:189]
	s_waitcnt_depctr 0xfff
	v_fma_f64 v[192:193], -v[188:189], v[190:191], 1.0
	v_fma_f64 v[190:191], v[190:191], v[192:193], v[190:191]
	s_delay_alu instid0(VALU_DEP_1) | instskip(NEXT) | instid1(VALU_DEP_1)
	v_fma_f64 v[192:193], -v[188:189], v[190:191], 1.0
	v_fma_f64 v[190:191], v[190:191], v[192:193], v[190:191]
	s_delay_alu instid0(VALU_DEP_1) | instskip(NEXT) | instid1(VALU_DEP_1)
	v_mul_f64 v[192:193], v[194:195], v[190:191]
	v_fma_f64 v[188:189], -v[188:189], v[192:193], v[194:195]
	s_delay_alu instid0(VALU_DEP_1) | instskip(NEXT) | instid1(VALU_DEP_1)
	v_div_fmas_f64 v[188:189], v[188:189], v[190:191], v[192:193]
	v_div_fixup_f64 v[188:189], v[188:189], v[184:185], v[186:187]
	s_delay_alu instid0(VALU_DEP_1) | instskip(NEXT) | instid1(VALU_DEP_1)
	v_fma_f64 v[184:185], v[186:187], v[188:189], v[184:185]
	v_div_scale_f64 v[186:187], null, v[184:185], v[184:185], 1.0
	s_delay_alu instid0(VALU_DEP_1) | instskip(SKIP_2) | instid1(VALU_DEP_1)
	v_rcp_f64_e32 v[190:191], v[186:187]
	s_waitcnt_depctr 0xfff
	v_fma_f64 v[192:193], -v[186:187], v[190:191], 1.0
	v_fma_f64 v[190:191], v[190:191], v[192:193], v[190:191]
	s_delay_alu instid0(VALU_DEP_1) | instskip(NEXT) | instid1(VALU_DEP_1)
	v_fma_f64 v[192:193], -v[186:187], v[190:191], 1.0
	v_fma_f64 v[190:191], v[190:191], v[192:193], v[190:191]
	v_div_scale_f64 v[192:193], vcc_lo, 1.0, v[184:185], 1.0
	s_delay_alu instid0(VALU_DEP_1) | instskip(NEXT) | instid1(VALU_DEP_1)
	v_mul_f64 v[194:195], v[192:193], v[190:191]
	v_fma_f64 v[186:187], -v[186:187], v[194:195], v[192:193]
	s_delay_alu instid0(VALU_DEP_1) | instskip(NEXT) | instid1(VALU_DEP_1)
	v_div_fmas_f64 v[186:187], v[186:187], v[190:191], v[194:195]
	v_div_fixup_f64 v[192:193], v[186:187], v[184:185], 1.0
	s_delay_alu instid0(VALU_DEP_1)
	v_mul_f64 v[190:191], v[188:189], -v[192:193]
.LBB91_52:
	s_or_b32 exec_lo, exec_lo, s3
	ds_store_2addr_b64 v227, v[192:193], v[190:191] offset1:1
.LBB91_53:
	s_or_b32 exec_lo, exec_lo, s4
	s_waitcnt lgkmcnt(0)
	s_barrier
	buffer_gl0_inv
	ds_load_2addr_b64 v[184:187], v227 offset1:1
	s_mov_b32 s3, exec_lo
	s_waitcnt lgkmcnt(0)
	scratch_store_b128 off, v[184:187], off offset:352 ; 16-byte Folded Spill
	v_cmpx_lt_u32_e32 5, v226
	s_cbranch_execz .LBB91_55
; %bb.54:
	scratch_load_b128 v[186:189], off, off offset:352 ; 16-byte Folded Reload
	s_waitcnt vmcnt(0)
	v_mul_f64 v[184:185], v[188:189], v[162:163]
	v_mul_f64 v[162:163], v[186:187], v[162:163]
	s_delay_alu instid0(VALU_DEP_2) | instskip(NEXT) | instid1(VALU_DEP_2)
	v_fma_f64 v[184:185], v[186:187], v[160:161], -v[184:185]
	v_fma_f64 v[162:163], v[188:189], v[160:161], v[162:163]
	ds_load_2addr_b64 v[186:189], v228 offset0:12 offset1:13
	s_waitcnt lgkmcnt(0)
	v_mul_f64 v[160:161], v[188:189], v[162:163]
	s_delay_alu instid0(VALU_DEP_1) | instskip(SKIP_1) | instid1(VALU_DEP_2)
	v_fma_f64 v[160:161], v[186:187], v[184:185], -v[160:161]
	v_mul_f64 v[186:187], v[186:187], v[162:163]
	v_add_f64 v[156:157], v[156:157], -v[160:161]
	s_delay_alu instid0(VALU_DEP_2) | instskip(NEXT) | instid1(VALU_DEP_1)
	v_fma_f64 v[186:187], v[188:189], v[184:185], v[186:187]
	v_add_f64 v[158:159], v[158:159], -v[186:187]
	ds_load_2addr_b64 v[186:189], v228 offset0:14 offset1:15
	s_waitcnt lgkmcnt(0)
	v_mul_f64 v[160:161], v[188:189], v[162:163]
	s_delay_alu instid0(VALU_DEP_1) | instskip(SKIP_1) | instid1(VALU_DEP_2)
	v_fma_f64 v[160:161], v[186:187], v[184:185], -v[160:161]
	v_mul_f64 v[186:187], v[186:187], v[162:163]
	v_add_f64 v[152:153], v[152:153], -v[160:161]
	s_delay_alu instid0(VALU_DEP_2) | instskip(NEXT) | instid1(VALU_DEP_1)
	v_fma_f64 v[186:187], v[188:189], v[184:185], v[186:187]
	v_add_f64 v[154:155], v[154:155], -v[186:187]
	;; [unrolled: 10-line block ×39, first 2 shown]
	ds_load_2addr_b64 v[186:189], v228 offset0:90 offset1:91
	s_waitcnt lgkmcnt(0)
	v_mul_f64 v[160:161], v[188:189], v[162:163]
	s_delay_alu instid0(VALU_DEP_1) | instskip(SKIP_1) | instid1(VALU_DEP_2)
	v_fma_f64 v[160:161], v[186:187], v[184:185], -v[160:161]
	v_mul_f64 v[186:187], v[186:187], v[162:163]
	v_add_f64 v[0:1], v[0:1], -v[160:161]
	s_delay_alu instid0(VALU_DEP_2) | instskip(SKIP_1) | instid1(VALU_DEP_2)
	v_fma_f64 v[186:187], v[188:189], v[184:185], v[186:187]
	v_dual_mov_b32 v160, v184 :: v_dual_mov_b32 v161, v185
	v_add_f64 v[2:3], v[2:3], -v[186:187]
.LBB91_55:
	s_or_b32 exec_lo, exec_lo, s3
	s_delay_alu instid0(SALU_CYCLE_1)
	s_mov_b32 s4, exec_lo
	s_waitcnt_vscnt null, 0x0
	s_barrier
	buffer_gl0_inv
	v_cmpx_eq_u32_e32 6, v226
	s_cbranch_execz .LBB91_62
; %bb.56:
	ds_store_2addr_b64 v227, v[156:157], v[158:159] offset1:1
	ds_store_2addr_b64 v228, v[152:153], v[154:155] offset0:14 offset1:15
	ds_store_2addr_b64 v228, v[148:149], v[150:151] offset0:16 offset1:17
	;; [unrolled: 1-line block ×39, first 2 shown]
	ds_load_2addr_b64 v[184:187], v227 offset1:1
	s_waitcnt lgkmcnt(0)
	v_cmp_neq_f64_e32 vcc_lo, 0, v[184:185]
	v_cmp_neq_f64_e64 s3, 0, v[186:187]
	s_delay_alu instid0(VALU_DEP_1) | instskip(NEXT) | instid1(SALU_CYCLE_1)
	s_or_b32 s3, vcc_lo, s3
	s_and_b32 exec_lo, exec_lo, s3
	s_cbranch_execz .LBB91_62
; %bb.57:
	v_cmp_gt_f64_e32 vcc_lo, 0, v[184:185]
	v_xor_b32_e32 v188, 0x80000000, v185
	v_xor_b32_e32 v190, 0x80000000, v187
	s_mov_b32 s3, exec_lo
                                        ; implicit-def: $vgpr192_vgpr193
	s_delay_alu instid0(VALU_DEP_2) | instskip(SKIP_4) | instid1(VALU_DEP_1)
	v_cndmask_b32_e32 v189, v185, v188, vcc_lo
	v_cndmask_b32_e32 v188, v184, v184, vcc_lo
	v_cmp_gt_f64_e32 vcc_lo, 0, v[186:187]
	v_cndmask_b32_e32 v191, v187, v190, vcc_lo
	v_cndmask_b32_e32 v190, v186, v186, vcc_lo
	v_cmpx_ngt_f64_e32 v[188:189], v[190:191]
	s_xor_b32 s3, exec_lo, s3
                                        ; implicit-def: $vgpr188_vgpr189_vgpr190_vgpr191
	s_cbranch_execz .LBB91_59
; %bb.58:
	v_div_scale_f64 v[188:189], null, v[186:187], v[186:187], v[184:185]
	v_div_scale_f64 v[194:195], vcc_lo, v[184:185], v[186:187], v[184:185]
	s_delay_alu instid0(VALU_DEP_2) | instskip(SKIP_2) | instid1(VALU_DEP_1)
	v_rcp_f64_e32 v[190:191], v[188:189]
	s_waitcnt_depctr 0xfff
	v_fma_f64 v[192:193], -v[188:189], v[190:191], 1.0
	v_fma_f64 v[190:191], v[190:191], v[192:193], v[190:191]
	s_delay_alu instid0(VALU_DEP_1) | instskip(NEXT) | instid1(VALU_DEP_1)
	v_fma_f64 v[192:193], -v[188:189], v[190:191], 1.0
	v_fma_f64 v[190:191], v[190:191], v[192:193], v[190:191]
	s_delay_alu instid0(VALU_DEP_1) | instskip(NEXT) | instid1(VALU_DEP_1)
	v_mul_f64 v[192:193], v[194:195], v[190:191]
	v_fma_f64 v[188:189], -v[188:189], v[192:193], v[194:195]
	s_delay_alu instid0(VALU_DEP_1) | instskip(NEXT) | instid1(VALU_DEP_1)
	v_div_fmas_f64 v[188:189], v[188:189], v[190:191], v[192:193]
	v_div_fixup_f64 v[188:189], v[188:189], v[186:187], v[184:185]
	s_delay_alu instid0(VALU_DEP_1) | instskip(NEXT) | instid1(VALU_DEP_1)
	v_fma_f64 v[184:185], v[184:185], v[188:189], v[186:187]
	v_div_scale_f64 v[186:187], null, v[184:185], v[184:185], 1.0
	s_delay_alu instid0(VALU_DEP_1) | instskip(SKIP_2) | instid1(VALU_DEP_1)
	v_rcp_f64_e32 v[190:191], v[186:187]
	s_waitcnt_depctr 0xfff
	v_fma_f64 v[192:193], -v[186:187], v[190:191], 1.0
	v_fma_f64 v[190:191], v[190:191], v[192:193], v[190:191]
	s_delay_alu instid0(VALU_DEP_1) | instskip(NEXT) | instid1(VALU_DEP_1)
	v_fma_f64 v[192:193], -v[186:187], v[190:191], 1.0
	v_fma_f64 v[190:191], v[190:191], v[192:193], v[190:191]
	v_div_scale_f64 v[192:193], vcc_lo, 1.0, v[184:185], 1.0
	s_delay_alu instid0(VALU_DEP_1) | instskip(NEXT) | instid1(VALU_DEP_1)
	v_mul_f64 v[194:195], v[192:193], v[190:191]
	v_fma_f64 v[186:187], -v[186:187], v[194:195], v[192:193]
	s_delay_alu instid0(VALU_DEP_1) | instskip(NEXT) | instid1(VALU_DEP_1)
	v_div_fmas_f64 v[186:187], v[186:187], v[190:191], v[194:195]
	v_div_fixup_f64 v[190:191], v[186:187], v[184:185], 1.0
                                        ; implicit-def: $vgpr184_vgpr185
	s_delay_alu instid0(VALU_DEP_1)
	v_mul_f64 v[192:193], v[188:189], v[190:191]
	v_xor_b32_e32 v191, 0x80000000, v191
.LBB91_59:
	s_and_not1_saveexec_b32 s3, s3
	s_cbranch_execz .LBB91_61
; %bb.60:
	v_div_scale_f64 v[188:189], null, v[184:185], v[184:185], v[186:187]
	v_div_scale_f64 v[194:195], vcc_lo, v[186:187], v[184:185], v[186:187]
	s_delay_alu instid0(VALU_DEP_2) | instskip(SKIP_2) | instid1(VALU_DEP_1)
	v_rcp_f64_e32 v[190:191], v[188:189]
	s_waitcnt_depctr 0xfff
	v_fma_f64 v[192:193], -v[188:189], v[190:191], 1.0
	v_fma_f64 v[190:191], v[190:191], v[192:193], v[190:191]
	s_delay_alu instid0(VALU_DEP_1) | instskip(NEXT) | instid1(VALU_DEP_1)
	v_fma_f64 v[192:193], -v[188:189], v[190:191], 1.0
	v_fma_f64 v[190:191], v[190:191], v[192:193], v[190:191]
	s_delay_alu instid0(VALU_DEP_1) | instskip(NEXT) | instid1(VALU_DEP_1)
	v_mul_f64 v[192:193], v[194:195], v[190:191]
	v_fma_f64 v[188:189], -v[188:189], v[192:193], v[194:195]
	s_delay_alu instid0(VALU_DEP_1) | instskip(NEXT) | instid1(VALU_DEP_1)
	v_div_fmas_f64 v[188:189], v[188:189], v[190:191], v[192:193]
	v_div_fixup_f64 v[188:189], v[188:189], v[184:185], v[186:187]
	s_delay_alu instid0(VALU_DEP_1) | instskip(NEXT) | instid1(VALU_DEP_1)
	v_fma_f64 v[184:185], v[186:187], v[188:189], v[184:185]
	v_div_scale_f64 v[186:187], null, v[184:185], v[184:185], 1.0
	s_delay_alu instid0(VALU_DEP_1) | instskip(SKIP_2) | instid1(VALU_DEP_1)
	v_rcp_f64_e32 v[190:191], v[186:187]
	s_waitcnt_depctr 0xfff
	v_fma_f64 v[192:193], -v[186:187], v[190:191], 1.0
	v_fma_f64 v[190:191], v[190:191], v[192:193], v[190:191]
	s_delay_alu instid0(VALU_DEP_1) | instskip(NEXT) | instid1(VALU_DEP_1)
	v_fma_f64 v[192:193], -v[186:187], v[190:191], 1.0
	v_fma_f64 v[190:191], v[190:191], v[192:193], v[190:191]
	v_div_scale_f64 v[192:193], vcc_lo, 1.0, v[184:185], 1.0
	s_delay_alu instid0(VALU_DEP_1) | instskip(NEXT) | instid1(VALU_DEP_1)
	v_mul_f64 v[194:195], v[192:193], v[190:191]
	v_fma_f64 v[186:187], -v[186:187], v[194:195], v[192:193]
	s_delay_alu instid0(VALU_DEP_1) | instskip(NEXT) | instid1(VALU_DEP_1)
	v_div_fmas_f64 v[186:187], v[186:187], v[190:191], v[194:195]
	v_div_fixup_f64 v[192:193], v[186:187], v[184:185], 1.0
	s_delay_alu instid0(VALU_DEP_1)
	v_mul_f64 v[190:191], v[188:189], -v[192:193]
.LBB91_61:
	s_or_b32 exec_lo, exec_lo, s3
	ds_store_2addr_b64 v227, v[192:193], v[190:191] offset1:1
.LBB91_62:
	s_or_b32 exec_lo, exec_lo, s4
	s_waitcnt lgkmcnt(0)
	s_barrier
	buffer_gl0_inv
	ds_load_2addr_b64 v[184:187], v227 offset1:1
	s_mov_b32 s3, exec_lo
	s_waitcnt lgkmcnt(0)
	scratch_store_b128 off, v[184:187], off offset:368 ; 16-byte Folded Spill
	v_cmpx_lt_u32_e32 6, v226
	s_cbranch_execz .LBB91_64
; %bb.63:
	scratch_load_b128 v[186:189], off, off offset:368 ; 16-byte Folded Reload
	s_waitcnt vmcnt(0)
	v_mul_f64 v[184:185], v[188:189], v[158:159]
	v_mul_f64 v[158:159], v[186:187], v[158:159]
	s_delay_alu instid0(VALU_DEP_2) | instskip(NEXT) | instid1(VALU_DEP_2)
	v_fma_f64 v[184:185], v[186:187], v[156:157], -v[184:185]
	v_fma_f64 v[158:159], v[188:189], v[156:157], v[158:159]
	ds_load_2addr_b64 v[186:189], v228 offset0:14 offset1:15
	s_waitcnt lgkmcnt(0)
	v_mul_f64 v[156:157], v[188:189], v[158:159]
	s_delay_alu instid0(VALU_DEP_1) | instskip(SKIP_1) | instid1(VALU_DEP_2)
	v_fma_f64 v[156:157], v[186:187], v[184:185], -v[156:157]
	v_mul_f64 v[186:187], v[186:187], v[158:159]
	v_add_f64 v[152:153], v[152:153], -v[156:157]
	s_delay_alu instid0(VALU_DEP_2) | instskip(NEXT) | instid1(VALU_DEP_1)
	v_fma_f64 v[186:187], v[188:189], v[184:185], v[186:187]
	v_add_f64 v[154:155], v[154:155], -v[186:187]
	ds_load_2addr_b64 v[186:189], v228 offset0:16 offset1:17
	s_waitcnt lgkmcnt(0)
	v_mul_f64 v[156:157], v[188:189], v[158:159]
	s_delay_alu instid0(VALU_DEP_1) | instskip(SKIP_1) | instid1(VALU_DEP_2)
	v_fma_f64 v[156:157], v[186:187], v[184:185], -v[156:157]
	v_mul_f64 v[186:187], v[186:187], v[158:159]
	v_add_f64 v[148:149], v[148:149], -v[156:157]
	s_delay_alu instid0(VALU_DEP_2) | instskip(NEXT) | instid1(VALU_DEP_1)
	v_fma_f64 v[186:187], v[188:189], v[184:185], v[186:187]
	v_add_f64 v[150:151], v[150:151], -v[186:187]
	;; [unrolled: 10-line block ×38, first 2 shown]
	ds_load_2addr_b64 v[186:189], v228 offset0:90 offset1:91
	s_waitcnt lgkmcnt(0)
	v_mul_f64 v[156:157], v[188:189], v[158:159]
	s_delay_alu instid0(VALU_DEP_1) | instskip(SKIP_1) | instid1(VALU_DEP_2)
	v_fma_f64 v[156:157], v[186:187], v[184:185], -v[156:157]
	v_mul_f64 v[186:187], v[186:187], v[158:159]
	v_add_f64 v[0:1], v[0:1], -v[156:157]
	s_delay_alu instid0(VALU_DEP_2) | instskip(SKIP_1) | instid1(VALU_DEP_2)
	v_fma_f64 v[186:187], v[188:189], v[184:185], v[186:187]
	v_dual_mov_b32 v156, v184 :: v_dual_mov_b32 v157, v185
	v_add_f64 v[2:3], v[2:3], -v[186:187]
.LBB91_64:
	s_or_b32 exec_lo, exec_lo, s3
	s_delay_alu instid0(SALU_CYCLE_1)
	s_mov_b32 s4, exec_lo
	s_waitcnt_vscnt null, 0x0
	s_barrier
	buffer_gl0_inv
	v_cmpx_eq_u32_e32 7, v226
	s_cbranch_execz .LBB91_71
; %bb.65:
	ds_store_2addr_b64 v227, v[152:153], v[154:155] offset1:1
	ds_store_2addr_b64 v228, v[148:149], v[150:151] offset0:16 offset1:17
	ds_store_2addr_b64 v228, v[144:145], v[146:147] offset0:18 offset1:19
	;; [unrolled: 1-line block ×38, first 2 shown]
	ds_load_2addr_b64 v[184:187], v227 offset1:1
	s_waitcnt lgkmcnt(0)
	v_cmp_neq_f64_e32 vcc_lo, 0, v[184:185]
	v_cmp_neq_f64_e64 s3, 0, v[186:187]
	s_delay_alu instid0(VALU_DEP_1) | instskip(NEXT) | instid1(SALU_CYCLE_1)
	s_or_b32 s3, vcc_lo, s3
	s_and_b32 exec_lo, exec_lo, s3
	s_cbranch_execz .LBB91_71
; %bb.66:
	v_cmp_gt_f64_e32 vcc_lo, 0, v[184:185]
	v_xor_b32_e32 v188, 0x80000000, v185
	v_xor_b32_e32 v190, 0x80000000, v187
	s_mov_b32 s3, exec_lo
                                        ; implicit-def: $vgpr192_vgpr193
	s_delay_alu instid0(VALU_DEP_2) | instskip(SKIP_4) | instid1(VALU_DEP_1)
	v_cndmask_b32_e32 v189, v185, v188, vcc_lo
	v_cndmask_b32_e32 v188, v184, v184, vcc_lo
	v_cmp_gt_f64_e32 vcc_lo, 0, v[186:187]
	v_cndmask_b32_e32 v191, v187, v190, vcc_lo
	v_cndmask_b32_e32 v190, v186, v186, vcc_lo
	v_cmpx_ngt_f64_e32 v[188:189], v[190:191]
	s_xor_b32 s3, exec_lo, s3
                                        ; implicit-def: $vgpr188_vgpr189_vgpr190_vgpr191
	s_cbranch_execz .LBB91_68
; %bb.67:
	v_div_scale_f64 v[188:189], null, v[186:187], v[186:187], v[184:185]
	v_div_scale_f64 v[194:195], vcc_lo, v[184:185], v[186:187], v[184:185]
	s_delay_alu instid0(VALU_DEP_2) | instskip(SKIP_2) | instid1(VALU_DEP_1)
	v_rcp_f64_e32 v[190:191], v[188:189]
	s_waitcnt_depctr 0xfff
	v_fma_f64 v[192:193], -v[188:189], v[190:191], 1.0
	v_fma_f64 v[190:191], v[190:191], v[192:193], v[190:191]
	s_delay_alu instid0(VALU_DEP_1) | instskip(NEXT) | instid1(VALU_DEP_1)
	v_fma_f64 v[192:193], -v[188:189], v[190:191], 1.0
	v_fma_f64 v[190:191], v[190:191], v[192:193], v[190:191]
	s_delay_alu instid0(VALU_DEP_1) | instskip(NEXT) | instid1(VALU_DEP_1)
	v_mul_f64 v[192:193], v[194:195], v[190:191]
	v_fma_f64 v[188:189], -v[188:189], v[192:193], v[194:195]
	s_delay_alu instid0(VALU_DEP_1) | instskip(NEXT) | instid1(VALU_DEP_1)
	v_div_fmas_f64 v[188:189], v[188:189], v[190:191], v[192:193]
	v_div_fixup_f64 v[188:189], v[188:189], v[186:187], v[184:185]
	s_delay_alu instid0(VALU_DEP_1) | instskip(NEXT) | instid1(VALU_DEP_1)
	v_fma_f64 v[184:185], v[184:185], v[188:189], v[186:187]
	v_div_scale_f64 v[186:187], null, v[184:185], v[184:185], 1.0
	s_delay_alu instid0(VALU_DEP_1) | instskip(SKIP_2) | instid1(VALU_DEP_1)
	v_rcp_f64_e32 v[190:191], v[186:187]
	s_waitcnt_depctr 0xfff
	v_fma_f64 v[192:193], -v[186:187], v[190:191], 1.0
	v_fma_f64 v[190:191], v[190:191], v[192:193], v[190:191]
	s_delay_alu instid0(VALU_DEP_1) | instskip(NEXT) | instid1(VALU_DEP_1)
	v_fma_f64 v[192:193], -v[186:187], v[190:191], 1.0
	v_fma_f64 v[190:191], v[190:191], v[192:193], v[190:191]
	v_div_scale_f64 v[192:193], vcc_lo, 1.0, v[184:185], 1.0
	s_delay_alu instid0(VALU_DEP_1) | instskip(NEXT) | instid1(VALU_DEP_1)
	v_mul_f64 v[194:195], v[192:193], v[190:191]
	v_fma_f64 v[186:187], -v[186:187], v[194:195], v[192:193]
	s_delay_alu instid0(VALU_DEP_1) | instskip(NEXT) | instid1(VALU_DEP_1)
	v_div_fmas_f64 v[186:187], v[186:187], v[190:191], v[194:195]
	v_div_fixup_f64 v[190:191], v[186:187], v[184:185], 1.0
                                        ; implicit-def: $vgpr184_vgpr185
	s_delay_alu instid0(VALU_DEP_1)
	v_mul_f64 v[192:193], v[188:189], v[190:191]
	v_xor_b32_e32 v191, 0x80000000, v191
.LBB91_68:
	s_and_not1_saveexec_b32 s3, s3
	s_cbranch_execz .LBB91_70
; %bb.69:
	v_div_scale_f64 v[188:189], null, v[184:185], v[184:185], v[186:187]
	v_div_scale_f64 v[194:195], vcc_lo, v[186:187], v[184:185], v[186:187]
	s_delay_alu instid0(VALU_DEP_2) | instskip(SKIP_2) | instid1(VALU_DEP_1)
	v_rcp_f64_e32 v[190:191], v[188:189]
	s_waitcnt_depctr 0xfff
	v_fma_f64 v[192:193], -v[188:189], v[190:191], 1.0
	v_fma_f64 v[190:191], v[190:191], v[192:193], v[190:191]
	s_delay_alu instid0(VALU_DEP_1) | instskip(NEXT) | instid1(VALU_DEP_1)
	v_fma_f64 v[192:193], -v[188:189], v[190:191], 1.0
	v_fma_f64 v[190:191], v[190:191], v[192:193], v[190:191]
	s_delay_alu instid0(VALU_DEP_1) | instskip(NEXT) | instid1(VALU_DEP_1)
	v_mul_f64 v[192:193], v[194:195], v[190:191]
	v_fma_f64 v[188:189], -v[188:189], v[192:193], v[194:195]
	s_delay_alu instid0(VALU_DEP_1) | instskip(NEXT) | instid1(VALU_DEP_1)
	v_div_fmas_f64 v[188:189], v[188:189], v[190:191], v[192:193]
	v_div_fixup_f64 v[188:189], v[188:189], v[184:185], v[186:187]
	s_delay_alu instid0(VALU_DEP_1) | instskip(NEXT) | instid1(VALU_DEP_1)
	v_fma_f64 v[184:185], v[186:187], v[188:189], v[184:185]
	v_div_scale_f64 v[186:187], null, v[184:185], v[184:185], 1.0
	s_delay_alu instid0(VALU_DEP_1) | instskip(SKIP_2) | instid1(VALU_DEP_1)
	v_rcp_f64_e32 v[190:191], v[186:187]
	s_waitcnt_depctr 0xfff
	v_fma_f64 v[192:193], -v[186:187], v[190:191], 1.0
	v_fma_f64 v[190:191], v[190:191], v[192:193], v[190:191]
	s_delay_alu instid0(VALU_DEP_1) | instskip(NEXT) | instid1(VALU_DEP_1)
	v_fma_f64 v[192:193], -v[186:187], v[190:191], 1.0
	v_fma_f64 v[190:191], v[190:191], v[192:193], v[190:191]
	v_div_scale_f64 v[192:193], vcc_lo, 1.0, v[184:185], 1.0
	s_delay_alu instid0(VALU_DEP_1) | instskip(NEXT) | instid1(VALU_DEP_1)
	v_mul_f64 v[194:195], v[192:193], v[190:191]
	v_fma_f64 v[186:187], -v[186:187], v[194:195], v[192:193]
	s_delay_alu instid0(VALU_DEP_1) | instskip(NEXT) | instid1(VALU_DEP_1)
	v_div_fmas_f64 v[186:187], v[186:187], v[190:191], v[194:195]
	v_div_fixup_f64 v[192:193], v[186:187], v[184:185], 1.0
	s_delay_alu instid0(VALU_DEP_1)
	v_mul_f64 v[190:191], v[188:189], -v[192:193]
.LBB91_70:
	s_or_b32 exec_lo, exec_lo, s3
	ds_store_2addr_b64 v227, v[192:193], v[190:191] offset1:1
.LBB91_71:
	s_or_b32 exec_lo, exec_lo, s4
	s_waitcnt lgkmcnt(0)
	s_barrier
	buffer_gl0_inv
	ds_load_2addr_b64 v[184:187], v227 offset1:1
	s_mov_b32 s3, exec_lo
	s_waitcnt lgkmcnt(0)
	scratch_store_b128 off, v[184:187], off offset:384 ; 16-byte Folded Spill
	v_cmpx_lt_u32_e32 7, v226
	s_cbranch_execz .LBB91_73
; %bb.72:
	scratch_load_b128 v[186:189], off, off offset:384 ; 16-byte Folded Reload
	s_waitcnt vmcnt(0)
	v_mul_f64 v[184:185], v[188:189], v[154:155]
	v_mul_f64 v[154:155], v[186:187], v[154:155]
	s_delay_alu instid0(VALU_DEP_2) | instskip(NEXT) | instid1(VALU_DEP_2)
	v_fma_f64 v[184:185], v[186:187], v[152:153], -v[184:185]
	v_fma_f64 v[154:155], v[188:189], v[152:153], v[154:155]
	ds_load_2addr_b64 v[186:189], v228 offset0:16 offset1:17
	s_waitcnt lgkmcnt(0)
	v_mul_f64 v[152:153], v[188:189], v[154:155]
	s_delay_alu instid0(VALU_DEP_1) | instskip(SKIP_1) | instid1(VALU_DEP_2)
	v_fma_f64 v[152:153], v[186:187], v[184:185], -v[152:153]
	v_mul_f64 v[186:187], v[186:187], v[154:155]
	v_add_f64 v[148:149], v[148:149], -v[152:153]
	s_delay_alu instid0(VALU_DEP_2) | instskip(NEXT) | instid1(VALU_DEP_1)
	v_fma_f64 v[186:187], v[188:189], v[184:185], v[186:187]
	v_add_f64 v[150:151], v[150:151], -v[186:187]
	ds_load_2addr_b64 v[186:189], v228 offset0:18 offset1:19
	s_waitcnt lgkmcnt(0)
	v_mul_f64 v[152:153], v[188:189], v[154:155]
	s_delay_alu instid0(VALU_DEP_1) | instskip(SKIP_1) | instid1(VALU_DEP_2)
	v_fma_f64 v[152:153], v[186:187], v[184:185], -v[152:153]
	v_mul_f64 v[186:187], v[186:187], v[154:155]
	v_add_f64 v[144:145], v[144:145], -v[152:153]
	s_delay_alu instid0(VALU_DEP_2) | instskip(NEXT) | instid1(VALU_DEP_1)
	v_fma_f64 v[186:187], v[188:189], v[184:185], v[186:187]
	v_add_f64 v[146:147], v[146:147], -v[186:187]
	ds_load_2addr_b64 v[186:189], v228 offset0:20 offset1:21
	s_waitcnt lgkmcnt(0)
	v_mul_f64 v[152:153], v[188:189], v[154:155]
	s_delay_alu instid0(VALU_DEP_1) | instskip(SKIP_1) | instid1(VALU_DEP_2)
	v_fma_f64 v[152:153], v[186:187], v[184:185], -v[152:153]
	v_mul_f64 v[186:187], v[186:187], v[154:155]
	v_add_f64 v[140:141], v[140:141], -v[152:153]
	s_delay_alu instid0(VALU_DEP_2) | instskip(NEXT) | instid1(VALU_DEP_1)
	v_fma_f64 v[186:187], v[188:189], v[184:185], v[186:187]
	v_add_f64 v[142:143], v[142:143], -v[186:187]
	ds_load_2addr_b64 v[186:189], v228 offset0:22 offset1:23
	s_waitcnt lgkmcnt(0)
	v_mul_f64 v[152:153], v[188:189], v[154:155]
	s_delay_alu instid0(VALU_DEP_1) | instskip(SKIP_1) | instid1(VALU_DEP_2)
	v_fma_f64 v[152:153], v[186:187], v[184:185], -v[152:153]
	v_mul_f64 v[186:187], v[186:187], v[154:155]
	v_add_f64 v[136:137], v[136:137], -v[152:153]
	s_delay_alu instid0(VALU_DEP_2) | instskip(NEXT) | instid1(VALU_DEP_1)
	v_fma_f64 v[186:187], v[188:189], v[184:185], v[186:187]
	v_add_f64 v[138:139], v[138:139], -v[186:187]
	ds_load_2addr_b64 v[186:189], v228 offset0:24 offset1:25
	s_waitcnt lgkmcnt(0)
	v_mul_f64 v[152:153], v[188:189], v[154:155]
	s_delay_alu instid0(VALU_DEP_1) | instskip(SKIP_1) | instid1(VALU_DEP_2)
	v_fma_f64 v[152:153], v[186:187], v[184:185], -v[152:153]
	v_mul_f64 v[186:187], v[186:187], v[154:155]
	v_add_f64 v[132:133], v[132:133], -v[152:153]
	s_delay_alu instid0(VALU_DEP_2) | instskip(NEXT) | instid1(VALU_DEP_1)
	v_fma_f64 v[186:187], v[188:189], v[184:185], v[186:187]
	v_add_f64 v[134:135], v[134:135], -v[186:187]
	ds_load_2addr_b64 v[186:189], v228 offset0:26 offset1:27
	s_waitcnt lgkmcnt(0)
	v_mul_f64 v[152:153], v[188:189], v[154:155]
	s_delay_alu instid0(VALU_DEP_1) | instskip(SKIP_1) | instid1(VALU_DEP_2)
	v_fma_f64 v[152:153], v[186:187], v[184:185], -v[152:153]
	v_mul_f64 v[186:187], v[186:187], v[154:155]
	v_add_f64 v[128:129], v[128:129], -v[152:153]
	s_delay_alu instid0(VALU_DEP_2) | instskip(NEXT) | instid1(VALU_DEP_1)
	v_fma_f64 v[186:187], v[188:189], v[184:185], v[186:187]
	v_add_f64 v[130:131], v[130:131], -v[186:187]
	ds_load_2addr_b64 v[186:189], v228 offset0:28 offset1:29
	s_waitcnt lgkmcnt(0)
	v_mul_f64 v[152:153], v[188:189], v[154:155]
	s_delay_alu instid0(VALU_DEP_1) | instskip(SKIP_1) | instid1(VALU_DEP_2)
	v_fma_f64 v[152:153], v[186:187], v[184:185], -v[152:153]
	v_mul_f64 v[186:187], v[186:187], v[154:155]
	v_add_f64 v[124:125], v[124:125], -v[152:153]
	s_delay_alu instid0(VALU_DEP_2) | instskip(NEXT) | instid1(VALU_DEP_1)
	v_fma_f64 v[186:187], v[188:189], v[184:185], v[186:187]
	v_add_f64 v[126:127], v[126:127], -v[186:187]
	ds_load_2addr_b64 v[186:189], v228 offset0:30 offset1:31
	s_waitcnt lgkmcnt(0)
	v_mul_f64 v[152:153], v[188:189], v[154:155]
	s_delay_alu instid0(VALU_DEP_1) | instskip(SKIP_1) | instid1(VALU_DEP_2)
	v_fma_f64 v[152:153], v[186:187], v[184:185], -v[152:153]
	v_mul_f64 v[186:187], v[186:187], v[154:155]
	v_add_f64 v[120:121], v[120:121], -v[152:153]
	s_delay_alu instid0(VALU_DEP_2) | instskip(NEXT) | instid1(VALU_DEP_1)
	v_fma_f64 v[186:187], v[188:189], v[184:185], v[186:187]
	v_add_f64 v[122:123], v[122:123], -v[186:187]
	ds_load_2addr_b64 v[186:189], v228 offset0:32 offset1:33
	s_waitcnt lgkmcnt(0)
	v_mul_f64 v[152:153], v[188:189], v[154:155]
	s_delay_alu instid0(VALU_DEP_1) | instskip(SKIP_1) | instid1(VALU_DEP_2)
	v_fma_f64 v[152:153], v[186:187], v[184:185], -v[152:153]
	v_mul_f64 v[186:187], v[186:187], v[154:155]
	v_add_f64 v[116:117], v[116:117], -v[152:153]
	s_delay_alu instid0(VALU_DEP_2) | instskip(NEXT) | instid1(VALU_DEP_1)
	v_fma_f64 v[186:187], v[188:189], v[184:185], v[186:187]
	v_add_f64 v[118:119], v[118:119], -v[186:187]
	ds_load_2addr_b64 v[186:189], v228 offset0:34 offset1:35
	s_waitcnt lgkmcnt(0)
	v_mul_f64 v[152:153], v[188:189], v[154:155]
	s_delay_alu instid0(VALU_DEP_1) | instskip(SKIP_1) | instid1(VALU_DEP_2)
	v_fma_f64 v[152:153], v[186:187], v[184:185], -v[152:153]
	v_mul_f64 v[186:187], v[186:187], v[154:155]
	v_add_f64 v[112:113], v[112:113], -v[152:153]
	s_delay_alu instid0(VALU_DEP_2) | instskip(NEXT) | instid1(VALU_DEP_1)
	v_fma_f64 v[186:187], v[188:189], v[184:185], v[186:187]
	v_add_f64 v[114:115], v[114:115], -v[186:187]
	ds_load_2addr_b64 v[186:189], v228 offset0:36 offset1:37
	s_waitcnt lgkmcnt(0)
	v_mul_f64 v[152:153], v[188:189], v[154:155]
	s_delay_alu instid0(VALU_DEP_1) | instskip(SKIP_1) | instid1(VALU_DEP_2)
	v_fma_f64 v[152:153], v[186:187], v[184:185], -v[152:153]
	v_mul_f64 v[186:187], v[186:187], v[154:155]
	v_add_f64 v[108:109], v[108:109], -v[152:153]
	s_delay_alu instid0(VALU_DEP_2) | instskip(NEXT) | instid1(VALU_DEP_1)
	v_fma_f64 v[186:187], v[188:189], v[184:185], v[186:187]
	v_add_f64 v[110:111], v[110:111], -v[186:187]
	ds_load_2addr_b64 v[186:189], v228 offset0:38 offset1:39
	s_waitcnt lgkmcnt(0)
	v_mul_f64 v[152:153], v[188:189], v[154:155]
	s_delay_alu instid0(VALU_DEP_1) | instskip(SKIP_1) | instid1(VALU_DEP_2)
	v_fma_f64 v[152:153], v[186:187], v[184:185], -v[152:153]
	v_mul_f64 v[186:187], v[186:187], v[154:155]
	v_add_f64 v[104:105], v[104:105], -v[152:153]
	s_delay_alu instid0(VALU_DEP_2) | instskip(NEXT) | instid1(VALU_DEP_1)
	v_fma_f64 v[186:187], v[188:189], v[184:185], v[186:187]
	v_add_f64 v[106:107], v[106:107], -v[186:187]
	ds_load_2addr_b64 v[186:189], v228 offset0:40 offset1:41
	s_waitcnt lgkmcnt(0)
	v_mul_f64 v[152:153], v[188:189], v[154:155]
	s_delay_alu instid0(VALU_DEP_1) | instskip(SKIP_1) | instid1(VALU_DEP_2)
	v_fma_f64 v[152:153], v[186:187], v[184:185], -v[152:153]
	v_mul_f64 v[186:187], v[186:187], v[154:155]
	v_add_f64 v[100:101], v[100:101], -v[152:153]
	s_delay_alu instid0(VALU_DEP_2) | instskip(NEXT) | instid1(VALU_DEP_1)
	v_fma_f64 v[186:187], v[188:189], v[184:185], v[186:187]
	v_add_f64 v[102:103], v[102:103], -v[186:187]
	ds_load_2addr_b64 v[186:189], v228 offset0:42 offset1:43
	s_waitcnt lgkmcnt(0)
	v_mul_f64 v[152:153], v[188:189], v[154:155]
	s_delay_alu instid0(VALU_DEP_1) | instskip(SKIP_1) | instid1(VALU_DEP_2)
	v_fma_f64 v[152:153], v[186:187], v[184:185], -v[152:153]
	v_mul_f64 v[186:187], v[186:187], v[154:155]
	v_add_f64 v[96:97], v[96:97], -v[152:153]
	s_delay_alu instid0(VALU_DEP_2) | instskip(NEXT) | instid1(VALU_DEP_1)
	v_fma_f64 v[186:187], v[188:189], v[184:185], v[186:187]
	v_add_f64 v[98:99], v[98:99], -v[186:187]
	ds_load_2addr_b64 v[186:189], v228 offset0:44 offset1:45
	s_waitcnt lgkmcnt(0)
	v_mul_f64 v[152:153], v[188:189], v[154:155]
	s_delay_alu instid0(VALU_DEP_1) | instskip(SKIP_1) | instid1(VALU_DEP_2)
	v_fma_f64 v[152:153], v[186:187], v[184:185], -v[152:153]
	v_mul_f64 v[186:187], v[186:187], v[154:155]
	v_add_f64 v[92:93], v[92:93], -v[152:153]
	s_delay_alu instid0(VALU_DEP_2) | instskip(NEXT) | instid1(VALU_DEP_1)
	v_fma_f64 v[186:187], v[188:189], v[184:185], v[186:187]
	v_add_f64 v[94:95], v[94:95], -v[186:187]
	ds_load_2addr_b64 v[186:189], v228 offset0:46 offset1:47
	s_waitcnt lgkmcnt(0)
	v_mul_f64 v[152:153], v[188:189], v[154:155]
	s_delay_alu instid0(VALU_DEP_1) | instskip(SKIP_1) | instid1(VALU_DEP_2)
	v_fma_f64 v[152:153], v[186:187], v[184:185], -v[152:153]
	v_mul_f64 v[186:187], v[186:187], v[154:155]
	v_add_f64 v[88:89], v[88:89], -v[152:153]
	s_delay_alu instid0(VALU_DEP_2) | instskip(NEXT) | instid1(VALU_DEP_1)
	v_fma_f64 v[186:187], v[188:189], v[184:185], v[186:187]
	v_add_f64 v[90:91], v[90:91], -v[186:187]
	ds_load_2addr_b64 v[186:189], v228 offset0:48 offset1:49
	s_waitcnt lgkmcnt(0)
	v_mul_f64 v[152:153], v[188:189], v[154:155]
	s_delay_alu instid0(VALU_DEP_1) | instskip(SKIP_1) | instid1(VALU_DEP_2)
	v_fma_f64 v[152:153], v[186:187], v[184:185], -v[152:153]
	v_mul_f64 v[186:187], v[186:187], v[154:155]
	v_add_f64 v[84:85], v[84:85], -v[152:153]
	s_delay_alu instid0(VALU_DEP_2) | instskip(NEXT) | instid1(VALU_DEP_1)
	v_fma_f64 v[186:187], v[188:189], v[184:185], v[186:187]
	v_add_f64 v[86:87], v[86:87], -v[186:187]
	ds_load_2addr_b64 v[186:189], v228 offset0:50 offset1:51
	s_waitcnt lgkmcnt(0)
	v_mul_f64 v[152:153], v[188:189], v[154:155]
	s_delay_alu instid0(VALU_DEP_1) | instskip(SKIP_1) | instid1(VALU_DEP_2)
	v_fma_f64 v[152:153], v[186:187], v[184:185], -v[152:153]
	v_mul_f64 v[186:187], v[186:187], v[154:155]
	v_add_f64 v[80:81], v[80:81], -v[152:153]
	s_delay_alu instid0(VALU_DEP_2) | instskip(NEXT) | instid1(VALU_DEP_1)
	v_fma_f64 v[186:187], v[188:189], v[184:185], v[186:187]
	v_add_f64 v[82:83], v[82:83], -v[186:187]
	ds_load_2addr_b64 v[186:189], v228 offset0:52 offset1:53
	s_waitcnt lgkmcnt(0)
	v_mul_f64 v[152:153], v[188:189], v[154:155]
	s_delay_alu instid0(VALU_DEP_1) | instskip(SKIP_1) | instid1(VALU_DEP_2)
	v_fma_f64 v[152:153], v[186:187], v[184:185], -v[152:153]
	v_mul_f64 v[186:187], v[186:187], v[154:155]
	v_add_f64 v[76:77], v[76:77], -v[152:153]
	s_delay_alu instid0(VALU_DEP_2) | instskip(NEXT) | instid1(VALU_DEP_1)
	v_fma_f64 v[186:187], v[188:189], v[184:185], v[186:187]
	v_add_f64 v[78:79], v[78:79], -v[186:187]
	ds_load_2addr_b64 v[186:189], v228 offset0:54 offset1:55
	s_waitcnt lgkmcnt(0)
	v_mul_f64 v[152:153], v[188:189], v[154:155]
	s_delay_alu instid0(VALU_DEP_1) | instskip(SKIP_1) | instid1(VALU_DEP_2)
	v_fma_f64 v[152:153], v[186:187], v[184:185], -v[152:153]
	v_mul_f64 v[186:187], v[186:187], v[154:155]
	v_add_f64 v[72:73], v[72:73], -v[152:153]
	s_delay_alu instid0(VALU_DEP_2) | instskip(NEXT) | instid1(VALU_DEP_1)
	v_fma_f64 v[186:187], v[188:189], v[184:185], v[186:187]
	v_add_f64 v[74:75], v[74:75], -v[186:187]
	ds_load_2addr_b64 v[186:189], v228 offset0:56 offset1:57
	s_waitcnt lgkmcnt(0)
	v_mul_f64 v[152:153], v[188:189], v[154:155]
	s_delay_alu instid0(VALU_DEP_1) | instskip(SKIP_1) | instid1(VALU_DEP_2)
	v_fma_f64 v[152:153], v[186:187], v[184:185], -v[152:153]
	v_mul_f64 v[186:187], v[186:187], v[154:155]
	v_add_f64 v[68:69], v[68:69], -v[152:153]
	s_delay_alu instid0(VALU_DEP_2) | instskip(NEXT) | instid1(VALU_DEP_1)
	v_fma_f64 v[186:187], v[188:189], v[184:185], v[186:187]
	v_add_f64 v[70:71], v[70:71], -v[186:187]
	ds_load_2addr_b64 v[186:189], v228 offset0:58 offset1:59
	s_waitcnt lgkmcnt(0)
	v_mul_f64 v[152:153], v[188:189], v[154:155]
	s_delay_alu instid0(VALU_DEP_1) | instskip(SKIP_1) | instid1(VALU_DEP_2)
	v_fma_f64 v[152:153], v[186:187], v[184:185], -v[152:153]
	v_mul_f64 v[186:187], v[186:187], v[154:155]
	v_add_f64 v[64:65], v[64:65], -v[152:153]
	s_delay_alu instid0(VALU_DEP_2) | instskip(NEXT) | instid1(VALU_DEP_1)
	v_fma_f64 v[186:187], v[188:189], v[184:185], v[186:187]
	v_add_f64 v[66:67], v[66:67], -v[186:187]
	ds_load_2addr_b64 v[186:189], v228 offset0:60 offset1:61
	s_waitcnt lgkmcnt(0)
	v_mul_f64 v[152:153], v[188:189], v[154:155]
	s_delay_alu instid0(VALU_DEP_1) | instskip(SKIP_1) | instid1(VALU_DEP_2)
	v_fma_f64 v[152:153], v[186:187], v[184:185], -v[152:153]
	v_mul_f64 v[186:187], v[186:187], v[154:155]
	v_add_f64 v[60:61], v[60:61], -v[152:153]
	s_delay_alu instid0(VALU_DEP_2) | instskip(NEXT) | instid1(VALU_DEP_1)
	v_fma_f64 v[186:187], v[188:189], v[184:185], v[186:187]
	v_add_f64 v[62:63], v[62:63], -v[186:187]
	ds_load_2addr_b64 v[186:189], v228 offset0:62 offset1:63
	s_waitcnt lgkmcnt(0)
	v_mul_f64 v[152:153], v[188:189], v[154:155]
	s_delay_alu instid0(VALU_DEP_1) | instskip(SKIP_1) | instid1(VALU_DEP_2)
	v_fma_f64 v[152:153], v[186:187], v[184:185], -v[152:153]
	v_mul_f64 v[186:187], v[186:187], v[154:155]
	v_add_f64 v[56:57], v[56:57], -v[152:153]
	s_delay_alu instid0(VALU_DEP_2) | instskip(NEXT) | instid1(VALU_DEP_1)
	v_fma_f64 v[186:187], v[188:189], v[184:185], v[186:187]
	v_add_f64 v[58:59], v[58:59], -v[186:187]
	ds_load_2addr_b64 v[186:189], v228 offset0:64 offset1:65
	s_waitcnt lgkmcnt(0)
	v_mul_f64 v[152:153], v[188:189], v[154:155]
	s_delay_alu instid0(VALU_DEP_1) | instskip(SKIP_1) | instid1(VALU_DEP_2)
	v_fma_f64 v[152:153], v[186:187], v[184:185], -v[152:153]
	v_mul_f64 v[186:187], v[186:187], v[154:155]
	v_add_f64 v[52:53], v[52:53], -v[152:153]
	s_delay_alu instid0(VALU_DEP_2) | instskip(NEXT) | instid1(VALU_DEP_1)
	v_fma_f64 v[186:187], v[188:189], v[184:185], v[186:187]
	v_add_f64 v[54:55], v[54:55], -v[186:187]
	ds_load_2addr_b64 v[186:189], v228 offset0:66 offset1:67
	s_waitcnt lgkmcnt(0)
	v_mul_f64 v[152:153], v[188:189], v[154:155]
	s_delay_alu instid0(VALU_DEP_1) | instskip(SKIP_1) | instid1(VALU_DEP_2)
	v_fma_f64 v[152:153], v[186:187], v[184:185], -v[152:153]
	v_mul_f64 v[186:187], v[186:187], v[154:155]
	v_add_f64 v[48:49], v[48:49], -v[152:153]
	s_delay_alu instid0(VALU_DEP_2) | instskip(NEXT) | instid1(VALU_DEP_1)
	v_fma_f64 v[186:187], v[188:189], v[184:185], v[186:187]
	v_add_f64 v[50:51], v[50:51], -v[186:187]
	ds_load_2addr_b64 v[186:189], v228 offset0:68 offset1:69
	s_waitcnt lgkmcnt(0)
	v_mul_f64 v[152:153], v[188:189], v[154:155]
	s_delay_alu instid0(VALU_DEP_1) | instskip(SKIP_1) | instid1(VALU_DEP_2)
	v_fma_f64 v[152:153], v[186:187], v[184:185], -v[152:153]
	v_mul_f64 v[186:187], v[186:187], v[154:155]
	v_add_f64 v[44:45], v[44:45], -v[152:153]
	s_delay_alu instid0(VALU_DEP_2) | instskip(NEXT) | instid1(VALU_DEP_1)
	v_fma_f64 v[186:187], v[188:189], v[184:185], v[186:187]
	v_add_f64 v[46:47], v[46:47], -v[186:187]
	ds_load_2addr_b64 v[186:189], v228 offset0:70 offset1:71
	s_waitcnt lgkmcnt(0)
	v_mul_f64 v[152:153], v[188:189], v[154:155]
	s_delay_alu instid0(VALU_DEP_1) | instskip(SKIP_1) | instid1(VALU_DEP_2)
	v_fma_f64 v[152:153], v[186:187], v[184:185], -v[152:153]
	v_mul_f64 v[186:187], v[186:187], v[154:155]
	v_add_f64 v[40:41], v[40:41], -v[152:153]
	s_delay_alu instid0(VALU_DEP_2) | instskip(NEXT) | instid1(VALU_DEP_1)
	v_fma_f64 v[186:187], v[188:189], v[184:185], v[186:187]
	v_add_f64 v[42:43], v[42:43], -v[186:187]
	ds_load_2addr_b64 v[186:189], v228 offset0:72 offset1:73
	s_waitcnt lgkmcnt(0)
	v_mul_f64 v[152:153], v[188:189], v[154:155]
	s_delay_alu instid0(VALU_DEP_1) | instskip(SKIP_1) | instid1(VALU_DEP_2)
	v_fma_f64 v[152:153], v[186:187], v[184:185], -v[152:153]
	v_mul_f64 v[186:187], v[186:187], v[154:155]
	v_add_f64 v[36:37], v[36:37], -v[152:153]
	s_delay_alu instid0(VALU_DEP_2) | instskip(NEXT) | instid1(VALU_DEP_1)
	v_fma_f64 v[186:187], v[188:189], v[184:185], v[186:187]
	v_add_f64 v[38:39], v[38:39], -v[186:187]
	ds_load_2addr_b64 v[186:189], v228 offset0:74 offset1:75
	s_waitcnt lgkmcnt(0)
	v_mul_f64 v[152:153], v[188:189], v[154:155]
	s_delay_alu instid0(VALU_DEP_1) | instskip(SKIP_1) | instid1(VALU_DEP_2)
	v_fma_f64 v[152:153], v[186:187], v[184:185], -v[152:153]
	v_mul_f64 v[186:187], v[186:187], v[154:155]
	v_add_f64 v[32:33], v[32:33], -v[152:153]
	s_delay_alu instid0(VALU_DEP_2) | instskip(NEXT) | instid1(VALU_DEP_1)
	v_fma_f64 v[186:187], v[188:189], v[184:185], v[186:187]
	v_add_f64 v[34:35], v[34:35], -v[186:187]
	ds_load_2addr_b64 v[186:189], v228 offset0:76 offset1:77
	s_waitcnt lgkmcnt(0)
	v_mul_f64 v[152:153], v[188:189], v[154:155]
	s_delay_alu instid0(VALU_DEP_1) | instskip(SKIP_1) | instid1(VALU_DEP_2)
	v_fma_f64 v[152:153], v[186:187], v[184:185], -v[152:153]
	v_mul_f64 v[186:187], v[186:187], v[154:155]
	v_add_f64 v[28:29], v[28:29], -v[152:153]
	s_delay_alu instid0(VALU_DEP_2) | instskip(NEXT) | instid1(VALU_DEP_1)
	v_fma_f64 v[186:187], v[188:189], v[184:185], v[186:187]
	v_add_f64 v[30:31], v[30:31], -v[186:187]
	ds_load_2addr_b64 v[186:189], v228 offset0:78 offset1:79
	s_waitcnt lgkmcnt(0)
	v_mul_f64 v[152:153], v[188:189], v[154:155]
	s_delay_alu instid0(VALU_DEP_1) | instskip(SKIP_1) | instid1(VALU_DEP_2)
	v_fma_f64 v[152:153], v[186:187], v[184:185], -v[152:153]
	v_mul_f64 v[186:187], v[186:187], v[154:155]
	v_add_f64 v[24:25], v[24:25], -v[152:153]
	s_delay_alu instid0(VALU_DEP_2) | instskip(NEXT) | instid1(VALU_DEP_1)
	v_fma_f64 v[186:187], v[188:189], v[184:185], v[186:187]
	v_add_f64 v[26:27], v[26:27], -v[186:187]
	ds_load_2addr_b64 v[186:189], v228 offset0:80 offset1:81
	s_waitcnt lgkmcnt(0)
	v_mul_f64 v[152:153], v[188:189], v[154:155]
	s_delay_alu instid0(VALU_DEP_1) | instskip(SKIP_1) | instid1(VALU_DEP_2)
	v_fma_f64 v[152:153], v[186:187], v[184:185], -v[152:153]
	v_mul_f64 v[186:187], v[186:187], v[154:155]
	v_add_f64 v[20:21], v[20:21], -v[152:153]
	s_delay_alu instid0(VALU_DEP_2) | instskip(NEXT) | instid1(VALU_DEP_1)
	v_fma_f64 v[186:187], v[188:189], v[184:185], v[186:187]
	v_add_f64 v[22:23], v[22:23], -v[186:187]
	ds_load_2addr_b64 v[186:189], v228 offset0:82 offset1:83
	s_waitcnt lgkmcnt(0)
	v_mul_f64 v[152:153], v[188:189], v[154:155]
	s_delay_alu instid0(VALU_DEP_1) | instskip(SKIP_1) | instid1(VALU_DEP_2)
	v_fma_f64 v[152:153], v[186:187], v[184:185], -v[152:153]
	v_mul_f64 v[186:187], v[186:187], v[154:155]
	v_add_f64 v[16:17], v[16:17], -v[152:153]
	s_delay_alu instid0(VALU_DEP_2) | instskip(NEXT) | instid1(VALU_DEP_1)
	v_fma_f64 v[186:187], v[188:189], v[184:185], v[186:187]
	v_add_f64 v[18:19], v[18:19], -v[186:187]
	ds_load_2addr_b64 v[186:189], v228 offset0:84 offset1:85
	s_waitcnt lgkmcnt(0)
	v_mul_f64 v[152:153], v[188:189], v[154:155]
	s_delay_alu instid0(VALU_DEP_1) | instskip(SKIP_1) | instid1(VALU_DEP_2)
	v_fma_f64 v[152:153], v[186:187], v[184:185], -v[152:153]
	v_mul_f64 v[186:187], v[186:187], v[154:155]
	v_add_f64 v[12:13], v[12:13], -v[152:153]
	s_delay_alu instid0(VALU_DEP_2) | instskip(NEXT) | instid1(VALU_DEP_1)
	v_fma_f64 v[186:187], v[188:189], v[184:185], v[186:187]
	v_add_f64 v[14:15], v[14:15], -v[186:187]
	ds_load_2addr_b64 v[186:189], v228 offset0:86 offset1:87
	s_waitcnt lgkmcnt(0)
	v_mul_f64 v[152:153], v[188:189], v[154:155]
	s_delay_alu instid0(VALU_DEP_1) | instskip(SKIP_1) | instid1(VALU_DEP_2)
	v_fma_f64 v[152:153], v[186:187], v[184:185], -v[152:153]
	v_mul_f64 v[186:187], v[186:187], v[154:155]
	v_add_f64 v[8:9], v[8:9], -v[152:153]
	s_delay_alu instid0(VALU_DEP_2) | instskip(NEXT) | instid1(VALU_DEP_1)
	v_fma_f64 v[186:187], v[188:189], v[184:185], v[186:187]
	v_add_f64 v[10:11], v[10:11], -v[186:187]
	ds_load_2addr_b64 v[186:189], v228 offset0:88 offset1:89
	s_waitcnt lgkmcnt(0)
	v_mul_f64 v[152:153], v[188:189], v[154:155]
	s_delay_alu instid0(VALU_DEP_1) | instskip(SKIP_1) | instid1(VALU_DEP_2)
	v_fma_f64 v[152:153], v[186:187], v[184:185], -v[152:153]
	v_mul_f64 v[186:187], v[186:187], v[154:155]
	v_add_f64 v[4:5], v[4:5], -v[152:153]
	s_delay_alu instid0(VALU_DEP_2) | instskip(NEXT) | instid1(VALU_DEP_1)
	v_fma_f64 v[186:187], v[188:189], v[184:185], v[186:187]
	v_add_f64 v[6:7], v[6:7], -v[186:187]
	ds_load_2addr_b64 v[186:189], v228 offset0:90 offset1:91
	s_waitcnt lgkmcnt(0)
	v_mul_f64 v[152:153], v[188:189], v[154:155]
	s_delay_alu instid0(VALU_DEP_1) | instskip(SKIP_1) | instid1(VALU_DEP_2)
	v_fma_f64 v[152:153], v[186:187], v[184:185], -v[152:153]
	v_mul_f64 v[186:187], v[186:187], v[154:155]
	v_add_f64 v[0:1], v[0:1], -v[152:153]
	s_delay_alu instid0(VALU_DEP_2) | instskip(SKIP_1) | instid1(VALU_DEP_2)
	v_fma_f64 v[186:187], v[188:189], v[184:185], v[186:187]
	v_dual_mov_b32 v152, v184 :: v_dual_mov_b32 v153, v185
	v_add_f64 v[2:3], v[2:3], -v[186:187]
.LBB91_73:
	s_or_b32 exec_lo, exec_lo, s3
	s_delay_alu instid0(SALU_CYCLE_1)
	s_mov_b32 s4, exec_lo
	s_waitcnt_vscnt null, 0x0
	s_barrier
	buffer_gl0_inv
	v_cmpx_eq_u32_e32 8, v226
	s_cbranch_execz .LBB91_80
; %bb.74:
	ds_store_2addr_b64 v227, v[148:149], v[150:151] offset1:1
	ds_store_2addr_b64 v228, v[144:145], v[146:147] offset0:18 offset1:19
	ds_store_2addr_b64 v228, v[140:141], v[142:143] offset0:20 offset1:21
	;; [unrolled: 1-line block ×37, first 2 shown]
	ds_load_2addr_b64 v[184:187], v227 offset1:1
	s_waitcnt lgkmcnt(0)
	v_cmp_neq_f64_e32 vcc_lo, 0, v[184:185]
	v_cmp_neq_f64_e64 s3, 0, v[186:187]
	s_delay_alu instid0(VALU_DEP_1) | instskip(NEXT) | instid1(SALU_CYCLE_1)
	s_or_b32 s3, vcc_lo, s3
	s_and_b32 exec_lo, exec_lo, s3
	s_cbranch_execz .LBB91_80
; %bb.75:
	v_cmp_gt_f64_e32 vcc_lo, 0, v[184:185]
	v_xor_b32_e32 v188, 0x80000000, v185
	v_xor_b32_e32 v190, 0x80000000, v187
	s_mov_b32 s3, exec_lo
                                        ; implicit-def: $vgpr192_vgpr193
	s_delay_alu instid0(VALU_DEP_2) | instskip(SKIP_4) | instid1(VALU_DEP_1)
	v_cndmask_b32_e32 v189, v185, v188, vcc_lo
	v_cndmask_b32_e32 v188, v184, v184, vcc_lo
	v_cmp_gt_f64_e32 vcc_lo, 0, v[186:187]
	v_cndmask_b32_e32 v191, v187, v190, vcc_lo
	v_cndmask_b32_e32 v190, v186, v186, vcc_lo
	v_cmpx_ngt_f64_e32 v[188:189], v[190:191]
	s_xor_b32 s3, exec_lo, s3
                                        ; implicit-def: $vgpr188_vgpr189_vgpr190_vgpr191
	s_cbranch_execz .LBB91_77
; %bb.76:
	v_div_scale_f64 v[188:189], null, v[186:187], v[186:187], v[184:185]
	v_div_scale_f64 v[194:195], vcc_lo, v[184:185], v[186:187], v[184:185]
	s_delay_alu instid0(VALU_DEP_2) | instskip(SKIP_2) | instid1(VALU_DEP_1)
	v_rcp_f64_e32 v[190:191], v[188:189]
	s_waitcnt_depctr 0xfff
	v_fma_f64 v[192:193], -v[188:189], v[190:191], 1.0
	v_fma_f64 v[190:191], v[190:191], v[192:193], v[190:191]
	s_delay_alu instid0(VALU_DEP_1) | instskip(NEXT) | instid1(VALU_DEP_1)
	v_fma_f64 v[192:193], -v[188:189], v[190:191], 1.0
	v_fma_f64 v[190:191], v[190:191], v[192:193], v[190:191]
	s_delay_alu instid0(VALU_DEP_1) | instskip(NEXT) | instid1(VALU_DEP_1)
	v_mul_f64 v[192:193], v[194:195], v[190:191]
	v_fma_f64 v[188:189], -v[188:189], v[192:193], v[194:195]
	s_delay_alu instid0(VALU_DEP_1) | instskip(NEXT) | instid1(VALU_DEP_1)
	v_div_fmas_f64 v[188:189], v[188:189], v[190:191], v[192:193]
	v_div_fixup_f64 v[188:189], v[188:189], v[186:187], v[184:185]
	s_delay_alu instid0(VALU_DEP_1) | instskip(NEXT) | instid1(VALU_DEP_1)
	v_fma_f64 v[184:185], v[184:185], v[188:189], v[186:187]
	v_div_scale_f64 v[186:187], null, v[184:185], v[184:185], 1.0
	s_delay_alu instid0(VALU_DEP_1) | instskip(SKIP_2) | instid1(VALU_DEP_1)
	v_rcp_f64_e32 v[190:191], v[186:187]
	s_waitcnt_depctr 0xfff
	v_fma_f64 v[192:193], -v[186:187], v[190:191], 1.0
	v_fma_f64 v[190:191], v[190:191], v[192:193], v[190:191]
	s_delay_alu instid0(VALU_DEP_1) | instskip(NEXT) | instid1(VALU_DEP_1)
	v_fma_f64 v[192:193], -v[186:187], v[190:191], 1.0
	v_fma_f64 v[190:191], v[190:191], v[192:193], v[190:191]
	v_div_scale_f64 v[192:193], vcc_lo, 1.0, v[184:185], 1.0
	s_delay_alu instid0(VALU_DEP_1) | instskip(NEXT) | instid1(VALU_DEP_1)
	v_mul_f64 v[194:195], v[192:193], v[190:191]
	v_fma_f64 v[186:187], -v[186:187], v[194:195], v[192:193]
	s_delay_alu instid0(VALU_DEP_1) | instskip(NEXT) | instid1(VALU_DEP_1)
	v_div_fmas_f64 v[186:187], v[186:187], v[190:191], v[194:195]
	v_div_fixup_f64 v[190:191], v[186:187], v[184:185], 1.0
                                        ; implicit-def: $vgpr184_vgpr185
	s_delay_alu instid0(VALU_DEP_1)
	v_mul_f64 v[192:193], v[188:189], v[190:191]
	v_xor_b32_e32 v191, 0x80000000, v191
.LBB91_77:
	s_and_not1_saveexec_b32 s3, s3
	s_cbranch_execz .LBB91_79
; %bb.78:
	v_div_scale_f64 v[188:189], null, v[184:185], v[184:185], v[186:187]
	v_div_scale_f64 v[194:195], vcc_lo, v[186:187], v[184:185], v[186:187]
	s_delay_alu instid0(VALU_DEP_2) | instskip(SKIP_2) | instid1(VALU_DEP_1)
	v_rcp_f64_e32 v[190:191], v[188:189]
	s_waitcnt_depctr 0xfff
	v_fma_f64 v[192:193], -v[188:189], v[190:191], 1.0
	v_fma_f64 v[190:191], v[190:191], v[192:193], v[190:191]
	s_delay_alu instid0(VALU_DEP_1) | instskip(NEXT) | instid1(VALU_DEP_1)
	v_fma_f64 v[192:193], -v[188:189], v[190:191], 1.0
	v_fma_f64 v[190:191], v[190:191], v[192:193], v[190:191]
	s_delay_alu instid0(VALU_DEP_1) | instskip(NEXT) | instid1(VALU_DEP_1)
	v_mul_f64 v[192:193], v[194:195], v[190:191]
	v_fma_f64 v[188:189], -v[188:189], v[192:193], v[194:195]
	s_delay_alu instid0(VALU_DEP_1) | instskip(NEXT) | instid1(VALU_DEP_1)
	v_div_fmas_f64 v[188:189], v[188:189], v[190:191], v[192:193]
	v_div_fixup_f64 v[188:189], v[188:189], v[184:185], v[186:187]
	s_delay_alu instid0(VALU_DEP_1) | instskip(NEXT) | instid1(VALU_DEP_1)
	v_fma_f64 v[184:185], v[186:187], v[188:189], v[184:185]
	v_div_scale_f64 v[186:187], null, v[184:185], v[184:185], 1.0
	s_delay_alu instid0(VALU_DEP_1) | instskip(SKIP_2) | instid1(VALU_DEP_1)
	v_rcp_f64_e32 v[190:191], v[186:187]
	s_waitcnt_depctr 0xfff
	v_fma_f64 v[192:193], -v[186:187], v[190:191], 1.0
	v_fma_f64 v[190:191], v[190:191], v[192:193], v[190:191]
	s_delay_alu instid0(VALU_DEP_1) | instskip(NEXT) | instid1(VALU_DEP_1)
	v_fma_f64 v[192:193], -v[186:187], v[190:191], 1.0
	v_fma_f64 v[190:191], v[190:191], v[192:193], v[190:191]
	v_div_scale_f64 v[192:193], vcc_lo, 1.0, v[184:185], 1.0
	s_delay_alu instid0(VALU_DEP_1) | instskip(NEXT) | instid1(VALU_DEP_1)
	v_mul_f64 v[194:195], v[192:193], v[190:191]
	v_fma_f64 v[186:187], -v[186:187], v[194:195], v[192:193]
	s_delay_alu instid0(VALU_DEP_1) | instskip(NEXT) | instid1(VALU_DEP_1)
	v_div_fmas_f64 v[186:187], v[186:187], v[190:191], v[194:195]
	v_div_fixup_f64 v[192:193], v[186:187], v[184:185], 1.0
	s_delay_alu instid0(VALU_DEP_1)
	v_mul_f64 v[190:191], v[188:189], -v[192:193]
.LBB91_79:
	s_or_b32 exec_lo, exec_lo, s3
	ds_store_2addr_b64 v227, v[192:193], v[190:191] offset1:1
.LBB91_80:
	s_or_b32 exec_lo, exec_lo, s4
	s_waitcnt lgkmcnt(0)
	s_barrier
	buffer_gl0_inv
	ds_load_2addr_b64 v[184:187], v227 offset1:1
	s_mov_b32 s3, exec_lo
	s_waitcnt lgkmcnt(0)
	scratch_store_b128 off, v[184:187], off offset:400 ; 16-byte Folded Spill
	v_cmpx_lt_u32_e32 8, v226
	s_cbranch_execz .LBB91_82
; %bb.81:
	scratch_load_b128 v[186:189], off, off offset:400 ; 16-byte Folded Reload
	s_waitcnt vmcnt(0)
	v_mul_f64 v[184:185], v[188:189], v[150:151]
	v_mul_f64 v[150:151], v[186:187], v[150:151]
	s_delay_alu instid0(VALU_DEP_2) | instskip(NEXT) | instid1(VALU_DEP_2)
	v_fma_f64 v[184:185], v[186:187], v[148:149], -v[184:185]
	v_fma_f64 v[150:151], v[188:189], v[148:149], v[150:151]
	ds_load_2addr_b64 v[186:189], v228 offset0:18 offset1:19
	s_waitcnt lgkmcnt(0)
	v_mul_f64 v[148:149], v[188:189], v[150:151]
	s_delay_alu instid0(VALU_DEP_1) | instskip(SKIP_1) | instid1(VALU_DEP_2)
	v_fma_f64 v[148:149], v[186:187], v[184:185], -v[148:149]
	v_mul_f64 v[186:187], v[186:187], v[150:151]
	v_add_f64 v[144:145], v[144:145], -v[148:149]
	s_delay_alu instid0(VALU_DEP_2) | instskip(NEXT) | instid1(VALU_DEP_1)
	v_fma_f64 v[186:187], v[188:189], v[184:185], v[186:187]
	v_add_f64 v[146:147], v[146:147], -v[186:187]
	ds_load_2addr_b64 v[186:189], v228 offset0:20 offset1:21
	s_waitcnt lgkmcnt(0)
	v_mul_f64 v[148:149], v[188:189], v[150:151]
	s_delay_alu instid0(VALU_DEP_1) | instskip(SKIP_1) | instid1(VALU_DEP_2)
	v_fma_f64 v[148:149], v[186:187], v[184:185], -v[148:149]
	v_mul_f64 v[186:187], v[186:187], v[150:151]
	v_add_f64 v[140:141], v[140:141], -v[148:149]
	s_delay_alu instid0(VALU_DEP_2) | instskip(NEXT) | instid1(VALU_DEP_1)
	v_fma_f64 v[186:187], v[188:189], v[184:185], v[186:187]
	v_add_f64 v[142:143], v[142:143], -v[186:187]
	;; [unrolled: 10-line block ×36, first 2 shown]
	ds_load_2addr_b64 v[186:189], v228 offset0:90 offset1:91
	s_waitcnt lgkmcnt(0)
	v_mul_f64 v[148:149], v[188:189], v[150:151]
	s_delay_alu instid0(VALU_DEP_1) | instskip(SKIP_1) | instid1(VALU_DEP_2)
	v_fma_f64 v[148:149], v[186:187], v[184:185], -v[148:149]
	v_mul_f64 v[186:187], v[186:187], v[150:151]
	v_add_f64 v[0:1], v[0:1], -v[148:149]
	s_delay_alu instid0(VALU_DEP_2) | instskip(SKIP_1) | instid1(VALU_DEP_2)
	v_fma_f64 v[186:187], v[188:189], v[184:185], v[186:187]
	v_dual_mov_b32 v148, v184 :: v_dual_mov_b32 v149, v185
	v_add_f64 v[2:3], v[2:3], -v[186:187]
.LBB91_82:
	s_or_b32 exec_lo, exec_lo, s3
	s_delay_alu instid0(SALU_CYCLE_1)
	s_mov_b32 s4, exec_lo
	s_waitcnt_vscnt null, 0x0
	s_barrier
	buffer_gl0_inv
	v_cmpx_eq_u32_e32 9, v226
	s_cbranch_execz .LBB91_89
; %bb.83:
	ds_store_2addr_b64 v227, v[144:145], v[146:147] offset1:1
	ds_store_2addr_b64 v228, v[140:141], v[142:143] offset0:20 offset1:21
	ds_store_2addr_b64 v228, v[136:137], v[138:139] offset0:22 offset1:23
	;; [unrolled: 1-line block ×36, first 2 shown]
	ds_load_2addr_b64 v[184:187], v227 offset1:1
	s_waitcnt lgkmcnt(0)
	v_cmp_neq_f64_e32 vcc_lo, 0, v[184:185]
	v_cmp_neq_f64_e64 s3, 0, v[186:187]
	s_delay_alu instid0(VALU_DEP_1) | instskip(NEXT) | instid1(SALU_CYCLE_1)
	s_or_b32 s3, vcc_lo, s3
	s_and_b32 exec_lo, exec_lo, s3
	s_cbranch_execz .LBB91_89
; %bb.84:
	v_cmp_gt_f64_e32 vcc_lo, 0, v[184:185]
	v_xor_b32_e32 v188, 0x80000000, v185
	v_xor_b32_e32 v190, 0x80000000, v187
	s_mov_b32 s3, exec_lo
                                        ; implicit-def: $vgpr192_vgpr193
	s_delay_alu instid0(VALU_DEP_2) | instskip(SKIP_4) | instid1(VALU_DEP_1)
	v_cndmask_b32_e32 v189, v185, v188, vcc_lo
	v_cndmask_b32_e32 v188, v184, v184, vcc_lo
	v_cmp_gt_f64_e32 vcc_lo, 0, v[186:187]
	v_cndmask_b32_e32 v191, v187, v190, vcc_lo
	v_cndmask_b32_e32 v190, v186, v186, vcc_lo
	v_cmpx_ngt_f64_e32 v[188:189], v[190:191]
	s_xor_b32 s3, exec_lo, s3
                                        ; implicit-def: $vgpr188_vgpr189_vgpr190_vgpr191
	s_cbranch_execz .LBB91_86
; %bb.85:
	v_div_scale_f64 v[188:189], null, v[186:187], v[186:187], v[184:185]
	v_div_scale_f64 v[194:195], vcc_lo, v[184:185], v[186:187], v[184:185]
	s_delay_alu instid0(VALU_DEP_2) | instskip(SKIP_2) | instid1(VALU_DEP_1)
	v_rcp_f64_e32 v[190:191], v[188:189]
	s_waitcnt_depctr 0xfff
	v_fma_f64 v[192:193], -v[188:189], v[190:191], 1.0
	v_fma_f64 v[190:191], v[190:191], v[192:193], v[190:191]
	s_delay_alu instid0(VALU_DEP_1) | instskip(NEXT) | instid1(VALU_DEP_1)
	v_fma_f64 v[192:193], -v[188:189], v[190:191], 1.0
	v_fma_f64 v[190:191], v[190:191], v[192:193], v[190:191]
	s_delay_alu instid0(VALU_DEP_1) | instskip(NEXT) | instid1(VALU_DEP_1)
	v_mul_f64 v[192:193], v[194:195], v[190:191]
	v_fma_f64 v[188:189], -v[188:189], v[192:193], v[194:195]
	s_delay_alu instid0(VALU_DEP_1) | instskip(NEXT) | instid1(VALU_DEP_1)
	v_div_fmas_f64 v[188:189], v[188:189], v[190:191], v[192:193]
	v_div_fixup_f64 v[188:189], v[188:189], v[186:187], v[184:185]
	s_delay_alu instid0(VALU_DEP_1) | instskip(NEXT) | instid1(VALU_DEP_1)
	v_fma_f64 v[184:185], v[184:185], v[188:189], v[186:187]
	v_div_scale_f64 v[186:187], null, v[184:185], v[184:185], 1.0
	s_delay_alu instid0(VALU_DEP_1) | instskip(SKIP_2) | instid1(VALU_DEP_1)
	v_rcp_f64_e32 v[190:191], v[186:187]
	s_waitcnt_depctr 0xfff
	v_fma_f64 v[192:193], -v[186:187], v[190:191], 1.0
	v_fma_f64 v[190:191], v[190:191], v[192:193], v[190:191]
	s_delay_alu instid0(VALU_DEP_1) | instskip(NEXT) | instid1(VALU_DEP_1)
	v_fma_f64 v[192:193], -v[186:187], v[190:191], 1.0
	v_fma_f64 v[190:191], v[190:191], v[192:193], v[190:191]
	v_div_scale_f64 v[192:193], vcc_lo, 1.0, v[184:185], 1.0
	s_delay_alu instid0(VALU_DEP_1) | instskip(NEXT) | instid1(VALU_DEP_1)
	v_mul_f64 v[194:195], v[192:193], v[190:191]
	v_fma_f64 v[186:187], -v[186:187], v[194:195], v[192:193]
	s_delay_alu instid0(VALU_DEP_1) | instskip(NEXT) | instid1(VALU_DEP_1)
	v_div_fmas_f64 v[186:187], v[186:187], v[190:191], v[194:195]
	v_div_fixup_f64 v[190:191], v[186:187], v[184:185], 1.0
                                        ; implicit-def: $vgpr184_vgpr185
	s_delay_alu instid0(VALU_DEP_1)
	v_mul_f64 v[192:193], v[188:189], v[190:191]
	v_xor_b32_e32 v191, 0x80000000, v191
.LBB91_86:
	s_and_not1_saveexec_b32 s3, s3
	s_cbranch_execz .LBB91_88
; %bb.87:
	v_div_scale_f64 v[188:189], null, v[184:185], v[184:185], v[186:187]
	v_div_scale_f64 v[194:195], vcc_lo, v[186:187], v[184:185], v[186:187]
	s_delay_alu instid0(VALU_DEP_2) | instskip(SKIP_2) | instid1(VALU_DEP_1)
	v_rcp_f64_e32 v[190:191], v[188:189]
	s_waitcnt_depctr 0xfff
	v_fma_f64 v[192:193], -v[188:189], v[190:191], 1.0
	v_fma_f64 v[190:191], v[190:191], v[192:193], v[190:191]
	s_delay_alu instid0(VALU_DEP_1) | instskip(NEXT) | instid1(VALU_DEP_1)
	v_fma_f64 v[192:193], -v[188:189], v[190:191], 1.0
	v_fma_f64 v[190:191], v[190:191], v[192:193], v[190:191]
	s_delay_alu instid0(VALU_DEP_1) | instskip(NEXT) | instid1(VALU_DEP_1)
	v_mul_f64 v[192:193], v[194:195], v[190:191]
	v_fma_f64 v[188:189], -v[188:189], v[192:193], v[194:195]
	s_delay_alu instid0(VALU_DEP_1) | instskip(NEXT) | instid1(VALU_DEP_1)
	v_div_fmas_f64 v[188:189], v[188:189], v[190:191], v[192:193]
	v_div_fixup_f64 v[188:189], v[188:189], v[184:185], v[186:187]
	s_delay_alu instid0(VALU_DEP_1) | instskip(NEXT) | instid1(VALU_DEP_1)
	v_fma_f64 v[184:185], v[186:187], v[188:189], v[184:185]
	v_div_scale_f64 v[186:187], null, v[184:185], v[184:185], 1.0
	s_delay_alu instid0(VALU_DEP_1) | instskip(SKIP_2) | instid1(VALU_DEP_1)
	v_rcp_f64_e32 v[190:191], v[186:187]
	s_waitcnt_depctr 0xfff
	v_fma_f64 v[192:193], -v[186:187], v[190:191], 1.0
	v_fma_f64 v[190:191], v[190:191], v[192:193], v[190:191]
	s_delay_alu instid0(VALU_DEP_1) | instskip(NEXT) | instid1(VALU_DEP_1)
	v_fma_f64 v[192:193], -v[186:187], v[190:191], 1.0
	v_fma_f64 v[190:191], v[190:191], v[192:193], v[190:191]
	v_div_scale_f64 v[192:193], vcc_lo, 1.0, v[184:185], 1.0
	s_delay_alu instid0(VALU_DEP_1) | instskip(NEXT) | instid1(VALU_DEP_1)
	v_mul_f64 v[194:195], v[192:193], v[190:191]
	v_fma_f64 v[186:187], -v[186:187], v[194:195], v[192:193]
	s_delay_alu instid0(VALU_DEP_1) | instskip(NEXT) | instid1(VALU_DEP_1)
	v_div_fmas_f64 v[186:187], v[186:187], v[190:191], v[194:195]
	v_div_fixup_f64 v[192:193], v[186:187], v[184:185], 1.0
	s_delay_alu instid0(VALU_DEP_1)
	v_mul_f64 v[190:191], v[188:189], -v[192:193]
.LBB91_88:
	s_or_b32 exec_lo, exec_lo, s3
	ds_store_2addr_b64 v227, v[192:193], v[190:191] offset1:1
.LBB91_89:
	s_or_b32 exec_lo, exec_lo, s4
	s_waitcnt lgkmcnt(0)
	s_barrier
	buffer_gl0_inv
	ds_load_2addr_b64 v[184:187], v227 offset1:1
	s_mov_b32 s3, exec_lo
	s_waitcnt lgkmcnt(0)
	scratch_store_b128 off, v[184:187], off offset:416 ; 16-byte Folded Spill
	v_cmpx_lt_u32_e32 9, v226
	s_cbranch_execz .LBB91_91
; %bb.90:
	scratch_load_b128 v[186:189], off, off offset:416 ; 16-byte Folded Reload
	s_waitcnt vmcnt(0)
	v_mul_f64 v[184:185], v[188:189], v[146:147]
	v_mul_f64 v[146:147], v[186:187], v[146:147]
	s_delay_alu instid0(VALU_DEP_2) | instskip(NEXT) | instid1(VALU_DEP_2)
	v_fma_f64 v[184:185], v[186:187], v[144:145], -v[184:185]
	v_fma_f64 v[146:147], v[188:189], v[144:145], v[146:147]
	ds_load_2addr_b64 v[186:189], v228 offset0:20 offset1:21
	s_waitcnt lgkmcnt(0)
	v_mul_f64 v[144:145], v[188:189], v[146:147]
	s_delay_alu instid0(VALU_DEP_1) | instskip(SKIP_1) | instid1(VALU_DEP_2)
	v_fma_f64 v[144:145], v[186:187], v[184:185], -v[144:145]
	v_mul_f64 v[186:187], v[186:187], v[146:147]
	v_add_f64 v[140:141], v[140:141], -v[144:145]
	s_delay_alu instid0(VALU_DEP_2) | instskip(NEXT) | instid1(VALU_DEP_1)
	v_fma_f64 v[186:187], v[188:189], v[184:185], v[186:187]
	v_add_f64 v[142:143], v[142:143], -v[186:187]
	ds_load_2addr_b64 v[186:189], v228 offset0:22 offset1:23
	s_waitcnt lgkmcnt(0)
	v_mul_f64 v[144:145], v[188:189], v[146:147]
	s_delay_alu instid0(VALU_DEP_1) | instskip(SKIP_1) | instid1(VALU_DEP_2)
	v_fma_f64 v[144:145], v[186:187], v[184:185], -v[144:145]
	v_mul_f64 v[186:187], v[186:187], v[146:147]
	v_add_f64 v[136:137], v[136:137], -v[144:145]
	s_delay_alu instid0(VALU_DEP_2) | instskip(NEXT) | instid1(VALU_DEP_1)
	v_fma_f64 v[186:187], v[188:189], v[184:185], v[186:187]
	v_add_f64 v[138:139], v[138:139], -v[186:187]
	;; [unrolled: 10-line block ×35, first 2 shown]
	ds_load_2addr_b64 v[186:189], v228 offset0:90 offset1:91
	s_waitcnt lgkmcnt(0)
	v_mul_f64 v[144:145], v[188:189], v[146:147]
	s_delay_alu instid0(VALU_DEP_1) | instskip(SKIP_1) | instid1(VALU_DEP_2)
	v_fma_f64 v[144:145], v[186:187], v[184:185], -v[144:145]
	v_mul_f64 v[186:187], v[186:187], v[146:147]
	v_add_f64 v[0:1], v[0:1], -v[144:145]
	s_delay_alu instid0(VALU_DEP_2) | instskip(SKIP_1) | instid1(VALU_DEP_2)
	v_fma_f64 v[186:187], v[188:189], v[184:185], v[186:187]
	v_dual_mov_b32 v144, v184 :: v_dual_mov_b32 v145, v185
	v_add_f64 v[2:3], v[2:3], -v[186:187]
.LBB91_91:
	s_or_b32 exec_lo, exec_lo, s3
	s_delay_alu instid0(SALU_CYCLE_1)
	s_mov_b32 s4, exec_lo
	s_waitcnt_vscnt null, 0x0
	s_barrier
	buffer_gl0_inv
	v_cmpx_eq_u32_e32 10, v226
	s_cbranch_execz .LBB91_98
; %bb.92:
	ds_store_2addr_b64 v227, v[140:141], v[142:143] offset1:1
	ds_store_2addr_b64 v228, v[136:137], v[138:139] offset0:22 offset1:23
	ds_store_2addr_b64 v228, v[132:133], v[134:135] offset0:24 offset1:25
	;; [unrolled: 1-line block ×35, first 2 shown]
	ds_load_2addr_b64 v[184:187], v227 offset1:1
	s_waitcnt lgkmcnt(0)
	v_cmp_neq_f64_e32 vcc_lo, 0, v[184:185]
	v_cmp_neq_f64_e64 s3, 0, v[186:187]
	s_delay_alu instid0(VALU_DEP_1) | instskip(NEXT) | instid1(SALU_CYCLE_1)
	s_or_b32 s3, vcc_lo, s3
	s_and_b32 exec_lo, exec_lo, s3
	s_cbranch_execz .LBB91_98
; %bb.93:
	v_cmp_gt_f64_e32 vcc_lo, 0, v[184:185]
	v_xor_b32_e32 v188, 0x80000000, v185
	v_xor_b32_e32 v190, 0x80000000, v187
	s_mov_b32 s3, exec_lo
                                        ; implicit-def: $vgpr192_vgpr193
	s_delay_alu instid0(VALU_DEP_2) | instskip(SKIP_4) | instid1(VALU_DEP_1)
	v_cndmask_b32_e32 v189, v185, v188, vcc_lo
	v_cndmask_b32_e32 v188, v184, v184, vcc_lo
	v_cmp_gt_f64_e32 vcc_lo, 0, v[186:187]
	v_cndmask_b32_e32 v191, v187, v190, vcc_lo
	v_cndmask_b32_e32 v190, v186, v186, vcc_lo
	v_cmpx_ngt_f64_e32 v[188:189], v[190:191]
	s_xor_b32 s3, exec_lo, s3
                                        ; implicit-def: $vgpr188_vgpr189_vgpr190_vgpr191
	s_cbranch_execz .LBB91_95
; %bb.94:
	v_div_scale_f64 v[188:189], null, v[186:187], v[186:187], v[184:185]
	v_div_scale_f64 v[194:195], vcc_lo, v[184:185], v[186:187], v[184:185]
	s_delay_alu instid0(VALU_DEP_2) | instskip(SKIP_2) | instid1(VALU_DEP_1)
	v_rcp_f64_e32 v[190:191], v[188:189]
	s_waitcnt_depctr 0xfff
	v_fma_f64 v[192:193], -v[188:189], v[190:191], 1.0
	v_fma_f64 v[190:191], v[190:191], v[192:193], v[190:191]
	s_delay_alu instid0(VALU_DEP_1) | instskip(NEXT) | instid1(VALU_DEP_1)
	v_fma_f64 v[192:193], -v[188:189], v[190:191], 1.0
	v_fma_f64 v[190:191], v[190:191], v[192:193], v[190:191]
	s_delay_alu instid0(VALU_DEP_1) | instskip(NEXT) | instid1(VALU_DEP_1)
	v_mul_f64 v[192:193], v[194:195], v[190:191]
	v_fma_f64 v[188:189], -v[188:189], v[192:193], v[194:195]
	s_delay_alu instid0(VALU_DEP_1) | instskip(NEXT) | instid1(VALU_DEP_1)
	v_div_fmas_f64 v[188:189], v[188:189], v[190:191], v[192:193]
	v_div_fixup_f64 v[188:189], v[188:189], v[186:187], v[184:185]
	s_delay_alu instid0(VALU_DEP_1) | instskip(NEXT) | instid1(VALU_DEP_1)
	v_fma_f64 v[184:185], v[184:185], v[188:189], v[186:187]
	v_div_scale_f64 v[186:187], null, v[184:185], v[184:185], 1.0
	s_delay_alu instid0(VALU_DEP_1) | instskip(SKIP_2) | instid1(VALU_DEP_1)
	v_rcp_f64_e32 v[190:191], v[186:187]
	s_waitcnt_depctr 0xfff
	v_fma_f64 v[192:193], -v[186:187], v[190:191], 1.0
	v_fma_f64 v[190:191], v[190:191], v[192:193], v[190:191]
	s_delay_alu instid0(VALU_DEP_1) | instskip(NEXT) | instid1(VALU_DEP_1)
	v_fma_f64 v[192:193], -v[186:187], v[190:191], 1.0
	v_fma_f64 v[190:191], v[190:191], v[192:193], v[190:191]
	v_div_scale_f64 v[192:193], vcc_lo, 1.0, v[184:185], 1.0
	s_delay_alu instid0(VALU_DEP_1) | instskip(NEXT) | instid1(VALU_DEP_1)
	v_mul_f64 v[194:195], v[192:193], v[190:191]
	v_fma_f64 v[186:187], -v[186:187], v[194:195], v[192:193]
	s_delay_alu instid0(VALU_DEP_1) | instskip(NEXT) | instid1(VALU_DEP_1)
	v_div_fmas_f64 v[186:187], v[186:187], v[190:191], v[194:195]
	v_div_fixup_f64 v[190:191], v[186:187], v[184:185], 1.0
                                        ; implicit-def: $vgpr184_vgpr185
	s_delay_alu instid0(VALU_DEP_1)
	v_mul_f64 v[192:193], v[188:189], v[190:191]
	v_xor_b32_e32 v191, 0x80000000, v191
.LBB91_95:
	s_and_not1_saveexec_b32 s3, s3
	s_cbranch_execz .LBB91_97
; %bb.96:
	v_div_scale_f64 v[188:189], null, v[184:185], v[184:185], v[186:187]
	v_div_scale_f64 v[194:195], vcc_lo, v[186:187], v[184:185], v[186:187]
	s_delay_alu instid0(VALU_DEP_2) | instskip(SKIP_2) | instid1(VALU_DEP_1)
	v_rcp_f64_e32 v[190:191], v[188:189]
	s_waitcnt_depctr 0xfff
	v_fma_f64 v[192:193], -v[188:189], v[190:191], 1.0
	v_fma_f64 v[190:191], v[190:191], v[192:193], v[190:191]
	s_delay_alu instid0(VALU_DEP_1) | instskip(NEXT) | instid1(VALU_DEP_1)
	v_fma_f64 v[192:193], -v[188:189], v[190:191], 1.0
	v_fma_f64 v[190:191], v[190:191], v[192:193], v[190:191]
	s_delay_alu instid0(VALU_DEP_1) | instskip(NEXT) | instid1(VALU_DEP_1)
	v_mul_f64 v[192:193], v[194:195], v[190:191]
	v_fma_f64 v[188:189], -v[188:189], v[192:193], v[194:195]
	s_delay_alu instid0(VALU_DEP_1) | instskip(NEXT) | instid1(VALU_DEP_1)
	v_div_fmas_f64 v[188:189], v[188:189], v[190:191], v[192:193]
	v_div_fixup_f64 v[188:189], v[188:189], v[184:185], v[186:187]
	s_delay_alu instid0(VALU_DEP_1) | instskip(NEXT) | instid1(VALU_DEP_1)
	v_fma_f64 v[184:185], v[186:187], v[188:189], v[184:185]
	v_div_scale_f64 v[186:187], null, v[184:185], v[184:185], 1.0
	s_delay_alu instid0(VALU_DEP_1) | instskip(SKIP_2) | instid1(VALU_DEP_1)
	v_rcp_f64_e32 v[190:191], v[186:187]
	s_waitcnt_depctr 0xfff
	v_fma_f64 v[192:193], -v[186:187], v[190:191], 1.0
	v_fma_f64 v[190:191], v[190:191], v[192:193], v[190:191]
	s_delay_alu instid0(VALU_DEP_1) | instskip(NEXT) | instid1(VALU_DEP_1)
	v_fma_f64 v[192:193], -v[186:187], v[190:191], 1.0
	v_fma_f64 v[190:191], v[190:191], v[192:193], v[190:191]
	v_div_scale_f64 v[192:193], vcc_lo, 1.0, v[184:185], 1.0
	s_delay_alu instid0(VALU_DEP_1) | instskip(NEXT) | instid1(VALU_DEP_1)
	v_mul_f64 v[194:195], v[192:193], v[190:191]
	v_fma_f64 v[186:187], -v[186:187], v[194:195], v[192:193]
	s_delay_alu instid0(VALU_DEP_1) | instskip(NEXT) | instid1(VALU_DEP_1)
	v_div_fmas_f64 v[186:187], v[186:187], v[190:191], v[194:195]
	v_div_fixup_f64 v[192:193], v[186:187], v[184:185], 1.0
	s_delay_alu instid0(VALU_DEP_1)
	v_mul_f64 v[190:191], v[188:189], -v[192:193]
.LBB91_97:
	s_or_b32 exec_lo, exec_lo, s3
	ds_store_2addr_b64 v227, v[192:193], v[190:191] offset1:1
.LBB91_98:
	s_or_b32 exec_lo, exec_lo, s4
	s_waitcnt lgkmcnt(0)
	s_barrier
	buffer_gl0_inv
	ds_load_2addr_b64 v[184:187], v227 offset1:1
	s_mov_b32 s3, exec_lo
	s_waitcnt lgkmcnt(0)
	scratch_store_b128 off, v[184:187], off offset:432 ; 16-byte Folded Spill
	v_cmpx_lt_u32_e32 10, v226
	s_cbranch_execz .LBB91_100
; %bb.99:
	scratch_load_b128 v[186:189], off, off offset:432 ; 16-byte Folded Reload
	s_waitcnt vmcnt(0)
	v_mul_f64 v[184:185], v[188:189], v[142:143]
	v_mul_f64 v[142:143], v[186:187], v[142:143]
	s_delay_alu instid0(VALU_DEP_2) | instskip(NEXT) | instid1(VALU_DEP_2)
	v_fma_f64 v[184:185], v[186:187], v[140:141], -v[184:185]
	v_fma_f64 v[142:143], v[188:189], v[140:141], v[142:143]
	ds_load_2addr_b64 v[186:189], v228 offset0:22 offset1:23
	s_waitcnt lgkmcnt(0)
	v_mul_f64 v[140:141], v[188:189], v[142:143]
	s_delay_alu instid0(VALU_DEP_1) | instskip(SKIP_1) | instid1(VALU_DEP_2)
	v_fma_f64 v[140:141], v[186:187], v[184:185], -v[140:141]
	v_mul_f64 v[186:187], v[186:187], v[142:143]
	v_add_f64 v[136:137], v[136:137], -v[140:141]
	s_delay_alu instid0(VALU_DEP_2) | instskip(NEXT) | instid1(VALU_DEP_1)
	v_fma_f64 v[186:187], v[188:189], v[184:185], v[186:187]
	v_add_f64 v[138:139], v[138:139], -v[186:187]
	ds_load_2addr_b64 v[186:189], v228 offset0:24 offset1:25
	s_waitcnt lgkmcnt(0)
	v_mul_f64 v[140:141], v[188:189], v[142:143]
	s_delay_alu instid0(VALU_DEP_1) | instskip(SKIP_1) | instid1(VALU_DEP_2)
	v_fma_f64 v[140:141], v[186:187], v[184:185], -v[140:141]
	v_mul_f64 v[186:187], v[186:187], v[142:143]
	v_add_f64 v[132:133], v[132:133], -v[140:141]
	s_delay_alu instid0(VALU_DEP_2) | instskip(NEXT) | instid1(VALU_DEP_1)
	v_fma_f64 v[186:187], v[188:189], v[184:185], v[186:187]
	v_add_f64 v[134:135], v[134:135], -v[186:187]
	ds_load_2addr_b64 v[186:189], v228 offset0:26 offset1:27
	s_waitcnt lgkmcnt(0)
	v_mul_f64 v[140:141], v[188:189], v[142:143]
	s_delay_alu instid0(VALU_DEP_1) | instskip(SKIP_1) | instid1(VALU_DEP_2)
	v_fma_f64 v[140:141], v[186:187], v[184:185], -v[140:141]
	v_mul_f64 v[186:187], v[186:187], v[142:143]
	v_add_f64 v[128:129], v[128:129], -v[140:141]
	s_delay_alu instid0(VALU_DEP_2) | instskip(NEXT) | instid1(VALU_DEP_1)
	v_fma_f64 v[186:187], v[188:189], v[184:185], v[186:187]
	v_add_f64 v[130:131], v[130:131], -v[186:187]
	ds_load_2addr_b64 v[186:189], v228 offset0:28 offset1:29
	s_waitcnt lgkmcnt(0)
	v_mul_f64 v[140:141], v[188:189], v[142:143]
	s_delay_alu instid0(VALU_DEP_1) | instskip(SKIP_1) | instid1(VALU_DEP_2)
	v_fma_f64 v[140:141], v[186:187], v[184:185], -v[140:141]
	v_mul_f64 v[186:187], v[186:187], v[142:143]
	v_add_f64 v[124:125], v[124:125], -v[140:141]
	s_delay_alu instid0(VALU_DEP_2) | instskip(NEXT) | instid1(VALU_DEP_1)
	v_fma_f64 v[186:187], v[188:189], v[184:185], v[186:187]
	v_add_f64 v[126:127], v[126:127], -v[186:187]
	ds_load_2addr_b64 v[186:189], v228 offset0:30 offset1:31
	s_waitcnt lgkmcnt(0)
	v_mul_f64 v[140:141], v[188:189], v[142:143]
	s_delay_alu instid0(VALU_DEP_1) | instskip(SKIP_1) | instid1(VALU_DEP_2)
	v_fma_f64 v[140:141], v[186:187], v[184:185], -v[140:141]
	v_mul_f64 v[186:187], v[186:187], v[142:143]
	v_add_f64 v[120:121], v[120:121], -v[140:141]
	s_delay_alu instid0(VALU_DEP_2) | instskip(NEXT) | instid1(VALU_DEP_1)
	v_fma_f64 v[186:187], v[188:189], v[184:185], v[186:187]
	v_add_f64 v[122:123], v[122:123], -v[186:187]
	ds_load_2addr_b64 v[186:189], v228 offset0:32 offset1:33
	s_waitcnt lgkmcnt(0)
	v_mul_f64 v[140:141], v[188:189], v[142:143]
	s_delay_alu instid0(VALU_DEP_1) | instskip(SKIP_1) | instid1(VALU_DEP_2)
	v_fma_f64 v[140:141], v[186:187], v[184:185], -v[140:141]
	v_mul_f64 v[186:187], v[186:187], v[142:143]
	v_add_f64 v[116:117], v[116:117], -v[140:141]
	s_delay_alu instid0(VALU_DEP_2) | instskip(NEXT) | instid1(VALU_DEP_1)
	v_fma_f64 v[186:187], v[188:189], v[184:185], v[186:187]
	v_add_f64 v[118:119], v[118:119], -v[186:187]
	ds_load_2addr_b64 v[186:189], v228 offset0:34 offset1:35
	s_waitcnt lgkmcnt(0)
	v_mul_f64 v[140:141], v[188:189], v[142:143]
	s_delay_alu instid0(VALU_DEP_1) | instskip(SKIP_1) | instid1(VALU_DEP_2)
	v_fma_f64 v[140:141], v[186:187], v[184:185], -v[140:141]
	v_mul_f64 v[186:187], v[186:187], v[142:143]
	v_add_f64 v[112:113], v[112:113], -v[140:141]
	s_delay_alu instid0(VALU_DEP_2) | instskip(NEXT) | instid1(VALU_DEP_1)
	v_fma_f64 v[186:187], v[188:189], v[184:185], v[186:187]
	v_add_f64 v[114:115], v[114:115], -v[186:187]
	ds_load_2addr_b64 v[186:189], v228 offset0:36 offset1:37
	s_waitcnt lgkmcnt(0)
	v_mul_f64 v[140:141], v[188:189], v[142:143]
	s_delay_alu instid0(VALU_DEP_1) | instskip(SKIP_1) | instid1(VALU_DEP_2)
	v_fma_f64 v[140:141], v[186:187], v[184:185], -v[140:141]
	v_mul_f64 v[186:187], v[186:187], v[142:143]
	v_add_f64 v[108:109], v[108:109], -v[140:141]
	s_delay_alu instid0(VALU_DEP_2) | instskip(NEXT) | instid1(VALU_DEP_1)
	v_fma_f64 v[186:187], v[188:189], v[184:185], v[186:187]
	v_add_f64 v[110:111], v[110:111], -v[186:187]
	ds_load_2addr_b64 v[186:189], v228 offset0:38 offset1:39
	s_waitcnt lgkmcnt(0)
	v_mul_f64 v[140:141], v[188:189], v[142:143]
	s_delay_alu instid0(VALU_DEP_1) | instskip(SKIP_1) | instid1(VALU_DEP_2)
	v_fma_f64 v[140:141], v[186:187], v[184:185], -v[140:141]
	v_mul_f64 v[186:187], v[186:187], v[142:143]
	v_add_f64 v[104:105], v[104:105], -v[140:141]
	s_delay_alu instid0(VALU_DEP_2) | instskip(NEXT) | instid1(VALU_DEP_1)
	v_fma_f64 v[186:187], v[188:189], v[184:185], v[186:187]
	v_add_f64 v[106:107], v[106:107], -v[186:187]
	ds_load_2addr_b64 v[186:189], v228 offset0:40 offset1:41
	s_waitcnt lgkmcnt(0)
	v_mul_f64 v[140:141], v[188:189], v[142:143]
	s_delay_alu instid0(VALU_DEP_1) | instskip(SKIP_1) | instid1(VALU_DEP_2)
	v_fma_f64 v[140:141], v[186:187], v[184:185], -v[140:141]
	v_mul_f64 v[186:187], v[186:187], v[142:143]
	v_add_f64 v[100:101], v[100:101], -v[140:141]
	s_delay_alu instid0(VALU_DEP_2) | instskip(NEXT) | instid1(VALU_DEP_1)
	v_fma_f64 v[186:187], v[188:189], v[184:185], v[186:187]
	v_add_f64 v[102:103], v[102:103], -v[186:187]
	ds_load_2addr_b64 v[186:189], v228 offset0:42 offset1:43
	s_waitcnt lgkmcnt(0)
	v_mul_f64 v[140:141], v[188:189], v[142:143]
	s_delay_alu instid0(VALU_DEP_1) | instskip(SKIP_1) | instid1(VALU_DEP_2)
	v_fma_f64 v[140:141], v[186:187], v[184:185], -v[140:141]
	v_mul_f64 v[186:187], v[186:187], v[142:143]
	v_add_f64 v[96:97], v[96:97], -v[140:141]
	s_delay_alu instid0(VALU_DEP_2) | instskip(NEXT) | instid1(VALU_DEP_1)
	v_fma_f64 v[186:187], v[188:189], v[184:185], v[186:187]
	v_add_f64 v[98:99], v[98:99], -v[186:187]
	ds_load_2addr_b64 v[186:189], v228 offset0:44 offset1:45
	s_waitcnt lgkmcnt(0)
	v_mul_f64 v[140:141], v[188:189], v[142:143]
	s_delay_alu instid0(VALU_DEP_1) | instskip(SKIP_1) | instid1(VALU_DEP_2)
	v_fma_f64 v[140:141], v[186:187], v[184:185], -v[140:141]
	v_mul_f64 v[186:187], v[186:187], v[142:143]
	v_add_f64 v[92:93], v[92:93], -v[140:141]
	s_delay_alu instid0(VALU_DEP_2) | instskip(NEXT) | instid1(VALU_DEP_1)
	v_fma_f64 v[186:187], v[188:189], v[184:185], v[186:187]
	v_add_f64 v[94:95], v[94:95], -v[186:187]
	ds_load_2addr_b64 v[186:189], v228 offset0:46 offset1:47
	s_waitcnt lgkmcnt(0)
	v_mul_f64 v[140:141], v[188:189], v[142:143]
	s_delay_alu instid0(VALU_DEP_1) | instskip(SKIP_1) | instid1(VALU_DEP_2)
	v_fma_f64 v[140:141], v[186:187], v[184:185], -v[140:141]
	v_mul_f64 v[186:187], v[186:187], v[142:143]
	v_add_f64 v[88:89], v[88:89], -v[140:141]
	s_delay_alu instid0(VALU_DEP_2) | instskip(NEXT) | instid1(VALU_DEP_1)
	v_fma_f64 v[186:187], v[188:189], v[184:185], v[186:187]
	v_add_f64 v[90:91], v[90:91], -v[186:187]
	ds_load_2addr_b64 v[186:189], v228 offset0:48 offset1:49
	s_waitcnt lgkmcnt(0)
	v_mul_f64 v[140:141], v[188:189], v[142:143]
	s_delay_alu instid0(VALU_DEP_1) | instskip(SKIP_1) | instid1(VALU_DEP_2)
	v_fma_f64 v[140:141], v[186:187], v[184:185], -v[140:141]
	v_mul_f64 v[186:187], v[186:187], v[142:143]
	v_add_f64 v[84:85], v[84:85], -v[140:141]
	s_delay_alu instid0(VALU_DEP_2) | instskip(NEXT) | instid1(VALU_DEP_1)
	v_fma_f64 v[186:187], v[188:189], v[184:185], v[186:187]
	v_add_f64 v[86:87], v[86:87], -v[186:187]
	ds_load_2addr_b64 v[186:189], v228 offset0:50 offset1:51
	s_waitcnt lgkmcnt(0)
	v_mul_f64 v[140:141], v[188:189], v[142:143]
	s_delay_alu instid0(VALU_DEP_1) | instskip(SKIP_1) | instid1(VALU_DEP_2)
	v_fma_f64 v[140:141], v[186:187], v[184:185], -v[140:141]
	v_mul_f64 v[186:187], v[186:187], v[142:143]
	v_add_f64 v[80:81], v[80:81], -v[140:141]
	s_delay_alu instid0(VALU_DEP_2) | instskip(NEXT) | instid1(VALU_DEP_1)
	v_fma_f64 v[186:187], v[188:189], v[184:185], v[186:187]
	v_add_f64 v[82:83], v[82:83], -v[186:187]
	ds_load_2addr_b64 v[186:189], v228 offset0:52 offset1:53
	s_waitcnt lgkmcnt(0)
	v_mul_f64 v[140:141], v[188:189], v[142:143]
	s_delay_alu instid0(VALU_DEP_1) | instskip(SKIP_1) | instid1(VALU_DEP_2)
	v_fma_f64 v[140:141], v[186:187], v[184:185], -v[140:141]
	v_mul_f64 v[186:187], v[186:187], v[142:143]
	v_add_f64 v[76:77], v[76:77], -v[140:141]
	s_delay_alu instid0(VALU_DEP_2) | instskip(NEXT) | instid1(VALU_DEP_1)
	v_fma_f64 v[186:187], v[188:189], v[184:185], v[186:187]
	v_add_f64 v[78:79], v[78:79], -v[186:187]
	ds_load_2addr_b64 v[186:189], v228 offset0:54 offset1:55
	s_waitcnt lgkmcnt(0)
	v_mul_f64 v[140:141], v[188:189], v[142:143]
	s_delay_alu instid0(VALU_DEP_1) | instskip(SKIP_1) | instid1(VALU_DEP_2)
	v_fma_f64 v[140:141], v[186:187], v[184:185], -v[140:141]
	v_mul_f64 v[186:187], v[186:187], v[142:143]
	v_add_f64 v[72:73], v[72:73], -v[140:141]
	s_delay_alu instid0(VALU_DEP_2) | instskip(NEXT) | instid1(VALU_DEP_1)
	v_fma_f64 v[186:187], v[188:189], v[184:185], v[186:187]
	v_add_f64 v[74:75], v[74:75], -v[186:187]
	ds_load_2addr_b64 v[186:189], v228 offset0:56 offset1:57
	s_waitcnt lgkmcnt(0)
	v_mul_f64 v[140:141], v[188:189], v[142:143]
	s_delay_alu instid0(VALU_DEP_1) | instskip(SKIP_1) | instid1(VALU_DEP_2)
	v_fma_f64 v[140:141], v[186:187], v[184:185], -v[140:141]
	v_mul_f64 v[186:187], v[186:187], v[142:143]
	v_add_f64 v[68:69], v[68:69], -v[140:141]
	s_delay_alu instid0(VALU_DEP_2) | instskip(NEXT) | instid1(VALU_DEP_1)
	v_fma_f64 v[186:187], v[188:189], v[184:185], v[186:187]
	v_add_f64 v[70:71], v[70:71], -v[186:187]
	ds_load_2addr_b64 v[186:189], v228 offset0:58 offset1:59
	s_waitcnt lgkmcnt(0)
	v_mul_f64 v[140:141], v[188:189], v[142:143]
	s_delay_alu instid0(VALU_DEP_1) | instskip(SKIP_1) | instid1(VALU_DEP_2)
	v_fma_f64 v[140:141], v[186:187], v[184:185], -v[140:141]
	v_mul_f64 v[186:187], v[186:187], v[142:143]
	v_add_f64 v[64:65], v[64:65], -v[140:141]
	s_delay_alu instid0(VALU_DEP_2) | instskip(NEXT) | instid1(VALU_DEP_1)
	v_fma_f64 v[186:187], v[188:189], v[184:185], v[186:187]
	v_add_f64 v[66:67], v[66:67], -v[186:187]
	ds_load_2addr_b64 v[186:189], v228 offset0:60 offset1:61
	s_waitcnt lgkmcnt(0)
	v_mul_f64 v[140:141], v[188:189], v[142:143]
	s_delay_alu instid0(VALU_DEP_1) | instskip(SKIP_1) | instid1(VALU_DEP_2)
	v_fma_f64 v[140:141], v[186:187], v[184:185], -v[140:141]
	v_mul_f64 v[186:187], v[186:187], v[142:143]
	v_add_f64 v[60:61], v[60:61], -v[140:141]
	s_delay_alu instid0(VALU_DEP_2) | instskip(NEXT) | instid1(VALU_DEP_1)
	v_fma_f64 v[186:187], v[188:189], v[184:185], v[186:187]
	v_add_f64 v[62:63], v[62:63], -v[186:187]
	ds_load_2addr_b64 v[186:189], v228 offset0:62 offset1:63
	s_waitcnt lgkmcnt(0)
	v_mul_f64 v[140:141], v[188:189], v[142:143]
	s_delay_alu instid0(VALU_DEP_1) | instskip(SKIP_1) | instid1(VALU_DEP_2)
	v_fma_f64 v[140:141], v[186:187], v[184:185], -v[140:141]
	v_mul_f64 v[186:187], v[186:187], v[142:143]
	v_add_f64 v[56:57], v[56:57], -v[140:141]
	s_delay_alu instid0(VALU_DEP_2) | instskip(NEXT) | instid1(VALU_DEP_1)
	v_fma_f64 v[186:187], v[188:189], v[184:185], v[186:187]
	v_add_f64 v[58:59], v[58:59], -v[186:187]
	ds_load_2addr_b64 v[186:189], v228 offset0:64 offset1:65
	s_waitcnt lgkmcnt(0)
	v_mul_f64 v[140:141], v[188:189], v[142:143]
	s_delay_alu instid0(VALU_DEP_1) | instskip(SKIP_1) | instid1(VALU_DEP_2)
	v_fma_f64 v[140:141], v[186:187], v[184:185], -v[140:141]
	v_mul_f64 v[186:187], v[186:187], v[142:143]
	v_add_f64 v[52:53], v[52:53], -v[140:141]
	s_delay_alu instid0(VALU_DEP_2) | instskip(NEXT) | instid1(VALU_DEP_1)
	v_fma_f64 v[186:187], v[188:189], v[184:185], v[186:187]
	v_add_f64 v[54:55], v[54:55], -v[186:187]
	ds_load_2addr_b64 v[186:189], v228 offset0:66 offset1:67
	s_waitcnt lgkmcnt(0)
	v_mul_f64 v[140:141], v[188:189], v[142:143]
	s_delay_alu instid0(VALU_DEP_1) | instskip(SKIP_1) | instid1(VALU_DEP_2)
	v_fma_f64 v[140:141], v[186:187], v[184:185], -v[140:141]
	v_mul_f64 v[186:187], v[186:187], v[142:143]
	v_add_f64 v[48:49], v[48:49], -v[140:141]
	s_delay_alu instid0(VALU_DEP_2) | instskip(NEXT) | instid1(VALU_DEP_1)
	v_fma_f64 v[186:187], v[188:189], v[184:185], v[186:187]
	v_add_f64 v[50:51], v[50:51], -v[186:187]
	ds_load_2addr_b64 v[186:189], v228 offset0:68 offset1:69
	s_waitcnt lgkmcnt(0)
	v_mul_f64 v[140:141], v[188:189], v[142:143]
	s_delay_alu instid0(VALU_DEP_1) | instskip(SKIP_1) | instid1(VALU_DEP_2)
	v_fma_f64 v[140:141], v[186:187], v[184:185], -v[140:141]
	v_mul_f64 v[186:187], v[186:187], v[142:143]
	v_add_f64 v[44:45], v[44:45], -v[140:141]
	s_delay_alu instid0(VALU_DEP_2) | instskip(NEXT) | instid1(VALU_DEP_1)
	v_fma_f64 v[186:187], v[188:189], v[184:185], v[186:187]
	v_add_f64 v[46:47], v[46:47], -v[186:187]
	ds_load_2addr_b64 v[186:189], v228 offset0:70 offset1:71
	s_waitcnt lgkmcnt(0)
	v_mul_f64 v[140:141], v[188:189], v[142:143]
	s_delay_alu instid0(VALU_DEP_1) | instskip(SKIP_1) | instid1(VALU_DEP_2)
	v_fma_f64 v[140:141], v[186:187], v[184:185], -v[140:141]
	v_mul_f64 v[186:187], v[186:187], v[142:143]
	v_add_f64 v[40:41], v[40:41], -v[140:141]
	s_delay_alu instid0(VALU_DEP_2) | instskip(NEXT) | instid1(VALU_DEP_1)
	v_fma_f64 v[186:187], v[188:189], v[184:185], v[186:187]
	v_add_f64 v[42:43], v[42:43], -v[186:187]
	ds_load_2addr_b64 v[186:189], v228 offset0:72 offset1:73
	s_waitcnt lgkmcnt(0)
	v_mul_f64 v[140:141], v[188:189], v[142:143]
	s_delay_alu instid0(VALU_DEP_1) | instskip(SKIP_1) | instid1(VALU_DEP_2)
	v_fma_f64 v[140:141], v[186:187], v[184:185], -v[140:141]
	v_mul_f64 v[186:187], v[186:187], v[142:143]
	v_add_f64 v[36:37], v[36:37], -v[140:141]
	s_delay_alu instid0(VALU_DEP_2) | instskip(NEXT) | instid1(VALU_DEP_1)
	v_fma_f64 v[186:187], v[188:189], v[184:185], v[186:187]
	v_add_f64 v[38:39], v[38:39], -v[186:187]
	ds_load_2addr_b64 v[186:189], v228 offset0:74 offset1:75
	s_waitcnt lgkmcnt(0)
	v_mul_f64 v[140:141], v[188:189], v[142:143]
	s_delay_alu instid0(VALU_DEP_1) | instskip(SKIP_1) | instid1(VALU_DEP_2)
	v_fma_f64 v[140:141], v[186:187], v[184:185], -v[140:141]
	v_mul_f64 v[186:187], v[186:187], v[142:143]
	v_add_f64 v[32:33], v[32:33], -v[140:141]
	s_delay_alu instid0(VALU_DEP_2) | instskip(NEXT) | instid1(VALU_DEP_1)
	v_fma_f64 v[186:187], v[188:189], v[184:185], v[186:187]
	v_add_f64 v[34:35], v[34:35], -v[186:187]
	ds_load_2addr_b64 v[186:189], v228 offset0:76 offset1:77
	s_waitcnt lgkmcnt(0)
	v_mul_f64 v[140:141], v[188:189], v[142:143]
	s_delay_alu instid0(VALU_DEP_1) | instskip(SKIP_1) | instid1(VALU_DEP_2)
	v_fma_f64 v[140:141], v[186:187], v[184:185], -v[140:141]
	v_mul_f64 v[186:187], v[186:187], v[142:143]
	v_add_f64 v[28:29], v[28:29], -v[140:141]
	s_delay_alu instid0(VALU_DEP_2) | instskip(NEXT) | instid1(VALU_DEP_1)
	v_fma_f64 v[186:187], v[188:189], v[184:185], v[186:187]
	v_add_f64 v[30:31], v[30:31], -v[186:187]
	ds_load_2addr_b64 v[186:189], v228 offset0:78 offset1:79
	s_waitcnt lgkmcnt(0)
	v_mul_f64 v[140:141], v[188:189], v[142:143]
	s_delay_alu instid0(VALU_DEP_1) | instskip(SKIP_1) | instid1(VALU_DEP_2)
	v_fma_f64 v[140:141], v[186:187], v[184:185], -v[140:141]
	v_mul_f64 v[186:187], v[186:187], v[142:143]
	v_add_f64 v[24:25], v[24:25], -v[140:141]
	s_delay_alu instid0(VALU_DEP_2) | instskip(NEXT) | instid1(VALU_DEP_1)
	v_fma_f64 v[186:187], v[188:189], v[184:185], v[186:187]
	v_add_f64 v[26:27], v[26:27], -v[186:187]
	ds_load_2addr_b64 v[186:189], v228 offset0:80 offset1:81
	s_waitcnt lgkmcnt(0)
	v_mul_f64 v[140:141], v[188:189], v[142:143]
	s_delay_alu instid0(VALU_DEP_1) | instskip(SKIP_1) | instid1(VALU_DEP_2)
	v_fma_f64 v[140:141], v[186:187], v[184:185], -v[140:141]
	v_mul_f64 v[186:187], v[186:187], v[142:143]
	v_add_f64 v[20:21], v[20:21], -v[140:141]
	s_delay_alu instid0(VALU_DEP_2) | instskip(NEXT) | instid1(VALU_DEP_1)
	v_fma_f64 v[186:187], v[188:189], v[184:185], v[186:187]
	v_add_f64 v[22:23], v[22:23], -v[186:187]
	ds_load_2addr_b64 v[186:189], v228 offset0:82 offset1:83
	s_waitcnt lgkmcnt(0)
	v_mul_f64 v[140:141], v[188:189], v[142:143]
	s_delay_alu instid0(VALU_DEP_1) | instskip(SKIP_1) | instid1(VALU_DEP_2)
	v_fma_f64 v[140:141], v[186:187], v[184:185], -v[140:141]
	v_mul_f64 v[186:187], v[186:187], v[142:143]
	v_add_f64 v[16:17], v[16:17], -v[140:141]
	s_delay_alu instid0(VALU_DEP_2) | instskip(NEXT) | instid1(VALU_DEP_1)
	v_fma_f64 v[186:187], v[188:189], v[184:185], v[186:187]
	v_add_f64 v[18:19], v[18:19], -v[186:187]
	ds_load_2addr_b64 v[186:189], v228 offset0:84 offset1:85
	s_waitcnt lgkmcnt(0)
	v_mul_f64 v[140:141], v[188:189], v[142:143]
	s_delay_alu instid0(VALU_DEP_1) | instskip(SKIP_1) | instid1(VALU_DEP_2)
	v_fma_f64 v[140:141], v[186:187], v[184:185], -v[140:141]
	v_mul_f64 v[186:187], v[186:187], v[142:143]
	v_add_f64 v[12:13], v[12:13], -v[140:141]
	s_delay_alu instid0(VALU_DEP_2) | instskip(NEXT) | instid1(VALU_DEP_1)
	v_fma_f64 v[186:187], v[188:189], v[184:185], v[186:187]
	v_add_f64 v[14:15], v[14:15], -v[186:187]
	ds_load_2addr_b64 v[186:189], v228 offset0:86 offset1:87
	s_waitcnt lgkmcnt(0)
	v_mul_f64 v[140:141], v[188:189], v[142:143]
	s_delay_alu instid0(VALU_DEP_1) | instskip(SKIP_1) | instid1(VALU_DEP_2)
	v_fma_f64 v[140:141], v[186:187], v[184:185], -v[140:141]
	v_mul_f64 v[186:187], v[186:187], v[142:143]
	v_add_f64 v[8:9], v[8:9], -v[140:141]
	s_delay_alu instid0(VALU_DEP_2) | instskip(NEXT) | instid1(VALU_DEP_1)
	v_fma_f64 v[186:187], v[188:189], v[184:185], v[186:187]
	v_add_f64 v[10:11], v[10:11], -v[186:187]
	ds_load_2addr_b64 v[186:189], v228 offset0:88 offset1:89
	s_waitcnt lgkmcnt(0)
	v_mul_f64 v[140:141], v[188:189], v[142:143]
	s_delay_alu instid0(VALU_DEP_1) | instskip(SKIP_1) | instid1(VALU_DEP_2)
	v_fma_f64 v[140:141], v[186:187], v[184:185], -v[140:141]
	v_mul_f64 v[186:187], v[186:187], v[142:143]
	v_add_f64 v[4:5], v[4:5], -v[140:141]
	s_delay_alu instid0(VALU_DEP_2) | instskip(NEXT) | instid1(VALU_DEP_1)
	v_fma_f64 v[186:187], v[188:189], v[184:185], v[186:187]
	v_add_f64 v[6:7], v[6:7], -v[186:187]
	ds_load_2addr_b64 v[186:189], v228 offset0:90 offset1:91
	s_waitcnt lgkmcnt(0)
	v_mul_f64 v[140:141], v[188:189], v[142:143]
	s_delay_alu instid0(VALU_DEP_1) | instskip(SKIP_1) | instid1(VALU_DEP_2)
	v_fma_f64 v[140:141], v[186:187], v[184:185], -v[140:141]
	v_mul_f64 v[186:187], v[186:187], v[142:143]
	v_add_f64 v[0:1], v[0:1], -v[140:141]
	s_delay_alu instid0(VALU_DEP_2) | instskip(SKIP_1) | instid1(VALU_DEP_2)
	v_fma_f64 v[186:187], v[188:189], v[184:185], v[186:187]
	v_dual_mov_b32 v140, v184 :: v_dual_mov_b32 v141, v185
	v_add_f64 v[2:3], v[2:3], -v[186:187]
.LBB91_100:
	s_or_b32 exec_lo, exec_lo, s3
	s_delay_alu instid0(SALU_CYCLE_1)
	s_mov_b32 s4, exec_lo
	s_waitcnt_vscnt null, 0x0
	s_barrier
	buffer_gl0_inv
	v_cmpx_eq_u32_e32 11, v226
	s_cbranch_execz .LBB91_107
; %bb.101:
	ds_store_2addr_b64 v227, v[136:137], v[138:139] offset1:1
	ds_store_2addr_b64 v228, v[132:133], v[134:135] offset0:24 offset1:25
	ds_store_2addr_b64 v228, v[128:129], v[130:131] offset0:26 offset1:27
	ds_store_2addr_b64 v228, v[124:125], v[126:127] offset0:28 offset1:29
	ds_store_2addr_b64 v228, v[120:121], v[122:123] offset0:30 offset1:31
	ds_store_2addr_b64 v228, v[116:117], v[118:119] offset0:32 offset1:33
	ds_store_2addr_b64 v228, v[112:113], v[114:115] offset0:34 offset1:35
	ds_store_2addr_b64 v228, v[108:109], v[110:111] offset0:36 offset1:37
	ds_store_2addr_b64 v228, v[104:105], v[106:107] offset0:38 offset1:39
	ds_store_2addr_b64 v228, v[100:101], v[102:103] offset0:40 offset1:41
	ds_store_2addr_b64 v228, v[96:97], v[98:99] offset0:42 offset1:43
	ds_store_2addr_b64 v228, v[92:93], v[94:95] offset0:44 offset1:45
	ds_store_2addr_b64 v228, v[88:89], v[90:91] offset0:46 offset1:47
	ds_store_2addr_b64 v228, v[84:85], v[86:87] offset0:48 offset1:49
	ds_store_2addr_b64 v228, v[80:81], v[82:83] offset0:50 offset1:51
	ds_store_2addr_b64 v228, v[76:77], v[78:79] offset0:52 offset1:53
	ds_store_2addr_b64 v228, v[72:73], v[74:75] offset0:54 offset1:55
	ds_store_2addr_b64 v228, v[68:69], v[70:71] offset0:56 offset1:57
	ds_store_2addr_b64 v228, v[64:65], v[66:67] offset0:58 offset1:59
	ds_store_2addr_b64 v228, v[60:61], v[62:63] offset0:60 offset1:61
	ds_store_2addr_b64 v228, v[56:57], v[58:59] offset0:62 offset1:63
	ds_store_2addr_b64 v228, v[52:53], v[54:55] offset0:64 offset1:65
	ds_store_2addr_b64 v228, v[48:49], v[50:51] offset0:66 offset1:67
	ds_store_2addr_b64 v228, v[44:45], v[46:47] offset0:68 offset1:69
	ds_store_2addr_b64 v228, v[40:41], v[42:43] offset0:70 offset1:71
	ds_store_2addr_b64 v228, v[36:37], v[38:39] offset0:72 offset1:73
	ds_store_2addr_b64 v228, v[32:33], v[34:35] offset0:74 offset1:75
	ds_store_2addr_b64 v228, v[28:29], v[30:31] offset0:76 offset1:77
	ds_store_2addr_b64 v228, v[24:25], v[26:27] offset0:78 offset1:79
	ds_store_2addr_b64 v228, v[20:21], v[22:23] offset0:80 offset1:81
	ds_store_2addr_b64 v228, v[16:17], v[18:19] offset0:82 offset1:83
	ds_store_2addr_b64 v228, v[12:13], v[14:15] offset0:84 offset1:85
	ds_store_2addr_b64 v228, v[8:9], v[10:11] offset0:86 offset1:87
	ds_store_2addr_b64 v228, v[4:5], v[6:7] offset0:88 offset1:89
	ds_store_2addr_b64 v228, v[0:1], v[2:3] offset0:90 offset1:91
	ds_load_2addr_b64 v[184:187], v227 offset1:1
	s_waitcnt lgkmcnt(0)
	v_cmp_neq_f64_e32 vcc_lo, 0, v[184:185]
	v_cmp_neq_f64_e64 s3, 0, v[186:187]
	s_delay_alu instid0(VALU_DEP_1) | instskip(NEXT) | instid1(SALU_CYCLE_1)
	s_or_b32 s3, vcc_lo, s3
	s_and_b32 exec_lo, exec_lo, s3
	s_cbranch_execz .LBB91_107
; %bb.102:
	v_cmp_gt_f64_e32 vcc_lo, 0, v[184:185]
	v_xor_b32_e32 v188, 0x80000000, v185
	v_xor_b32_e32 v190, 0x80000000, v187
	s_mov_b32 s3, exec_lo
                                        ; implicit-def: $vgpr192_vgpr193
	s_delay_alu instid0(VALU_DEP_2) | instskip(SKIP_4) | instid1(VALU_DEP_1)
	v_cndmask_b32_e32 v189, v185, v188, vcc_lo
	v_cndmask_b32_e32 v188, v184, v184, vcc_lo
	v_cmp_gt_f64_e32 vcc_lo, 0, v[186:187]
	v_cndmask_b32_e32 v191, v187, v190, vcc_lo
	v_cndmask_b32_e32 v190, v186, v186, vcc_lo
	v_cmpx_ngt_f64_e32 v[188:189], v[190:191]
	s_xor_b32 s3, exec_lo, s3
                                        ; implicit-def: $vgpr188_vgpr189_vgpr190_vgpr191
	s_cbranch_execz .LBB91_104
; %bb.103:
	v_div_scale_f64 v[188:189], null, v[186:187], v[186:187], v[184:185]
	v_div_scale_f64 v[194:195], vcc_lo, v[184:185], v[186:187], v[184:185]
	s_delay_alu instid0(VALU_DEP_2) | instskip(SKIP_2) | instid1(VALU_DEP_1)
	v_rcp_f64_e32 v[190:191], v[188:189]
	s_waitcnt_depctr 0xfff
	v_fma_f64 v[192:193], -v[188:189], v[190:191], 1.0
	v_fma_f64 v[190:191], v[190:191], v[192:193], v[190:191]
	s_delay_alu instid0(VALU_DEP_1) | instskip(NEXT) | instid1(VALU_DEP_1)
	v_fma_f64 v[192:193], -v[188:189], v[190:191], 1.0
	v_fma_f64 v[190:191], v[190:191], v[192:193], v[190:191]
	s_delay_alu instid0(VALU_DEP_1) | instskip(NEXT) | instid1(VALU_DEP_1)
	v_mul_f64 v[192:193], v[194:195], v[190:191]
	v_fma_f64 v[188:189], -v[188:189], v[192:193], v[194:195]
	s_delay_alu instid0(VALU_DEP_1) | instskip(NEXT) | instid1(VALU_DEP_1)
	v_div_fmas_f64 v[188:189], v[188:189], v[190:191], v[192:193]
	v_div_fixup_f64 v[188:189], v[188:189], v[186:187], v[184:185]
	s_delay_alu instid0(VALU_DEP_1) | instskip(NEXT) | instid1(VALU_DEP_1)
	v_fma_f64 v[184:185], v[184:185], v[188:189], v[186:187]
	v_div_scale_f64 v[186:187], null, v[184:185], v[184:185], 1.0
	s_delay_alu instid0(VALU_DEP_1) | instskip(SKIP_2) | instid1(VALU_DEP_1)
	v_rcp_f64_e32 v[190:191], v[186:187]
	s_waitcnt_depctr 0xfff
	v_fma_f64 v[192:193], -v[186:187], v[190:191], 1.0
	v_fma_f64 v[190:191], v[190:191], v[192:193], v[190:191]
	s_delay_alu instid0(VALU_DEP_1) | instskip(NEXT) | instid1(VALU_DEP_1)
	v_fma_f64 v[192:193], -v[186:187], v[190:191], 1.0
	v_fma_f64 v[190:191], v[190:191], v[192:193], v[190:191]
	v_div_scale_f64 v[192:193], vcc_lo, 1.0, v[184:185], 1.0
	s_delay_alu instid0(VALU_DEP_1) | instskip(NEXT) | instid1(VALU_DEP_1)
	v_mul_f64 v[194:195], v[192:193], v[190:191]
	v_fma_f64 v[186:187], -v[186:187], v[194:195], v[192:193]
	s_delay_alu instid0(VALU_DEP_1) | instskip(NEXT) | instid1(VALU_DEP_1)
	v_div_fmas_f64 v[186:187], v[186:187], v[190:191], v[194:195]
	v_div_fixup_f64 v[190:191], v[186:187], v[184:185], 1.0
                                        ; implicit-def: $vgpr184_vgpr185
	s_delay_alu instid0(VALU_DEP_1)
	v_mul_f64 v[192:193], v[188:189], v[190:191]
	v_xor_b32_e32 v191, 0x80000000, v191
.LBB91_104:
	s_and_not1_saveexec_b32 s3, s3
	s_cbranch_execz .LBB91_106
; %bb.105:
	v_div_scale_f64 v[188:189], null, v[184:185], v[184:185], v[186:187]
	v_div_scale_f64 v[194:195], vcc_lo, v[186:187], v[184:185], v[186:187]
	s_delay_alu instid0(VALU_DEP_2) | instskip(SKIP_2) | instid1(VALU_DEP_1)
	v_rcp_f64_e32 v[190:191], v[188:189]
	s_waitcnt_depctr 0xfff
	v_fma_f64 v[192:193], -v[188:189], v[190:191], 1.0
	v_fma_f64 v[190:191], v[190:191], v[192:193], v[190:191]
	s_delay_alu instid0(VALU_DEP_1) | instskip(NEXT) | instid1(VALU_DEP_1)
	v_fma_f64 v[192:193], -v[188:189], v[190:191], 1.0
	v_fma_f64 v[190:191], v[190:191], v[192:193], v[190:191]
	s_delay_alu instid0(VALU_DEP_1) | instskip(NEXT) | instid1(VALU_DEP_1)
	v_mul_f64 v[192:193], v[194:195], v[190:191]
	v_fma_f64 v[188:189], -v[188:189], v[192:193], v[194:195]
	s_delay_alu instid0(VALU_DEP_1) | instskip(NEXT) | instid1(VALU_DEP_1)
	v_div_fmas_f64 v[188:189], v[188:189], v[190:191], v[192:193]
	v_div_fixup_f64 v[188:189], v[188:189], v[184:185], v[186:187]
	s_delay_alu instid0(VALU_DEP_1) | instskip(NEXT) | instid1(VALU_DEP_1)
	v_fma_f64 v[184:185], v[186:187], v[188:189], v[184:185]
	v_div_scale_f64 v[186:187], null, v[184:185], v[184:185], 1.0
	s_delay_alu instid0(VALU_DEP_1) | instskip(SKIP_2) | instid1(VALU_DEP_1)
	v_rcp_f64_e32 v[190:191], v[186:187]
	s_waitcnt_depctr 0xfff
	v_fma_f64 v[192:193], -v[186:187], v[190:191], 1.0
	v_fma_f64 v[190:191], v[190:191], v[192:193], v[190:191]
	s_delay_alu instid0(VALU_DEP_1) | instskip(NEXT) | instid1(VALU_DEP_1)
	v_fma_f64 v[192:193], -v[186:187], v[190:191], 1.0
	v_fma_f64 v[190:191], v[190:191], v[192:193], v[190:191]
	v_div_scale_f64 v[192:193], vcc_lo, 1.0, v[184:185], 1.0
	s_delay_alu instid0(VALU_DEP_1) | instskip(NEXT) | instid1(VALU_DEP_1)
	v_mul_f64 v[194:195], v[192:193], v[190:191]
	v_fma_f64 v[186:187], -v[186:187], v[194:195], v[192:193]
	s_delay_alu instid0(VALU_DEP_1) | instskip(NEXT) | instid1(VALU_DEP_1)
	v_div_fmas_f64 v[186:187], v[186:187], v[190:191], v[194:195]
	v_div_fixup_f64 v[192:193], v[186:187], v[184:185], 1.0
	s_delay_alu instid0(VALU_DEP_1)
	v_mul_f64 v[190:191], v[188:189], -v[192:193]
.LBB91_106:
	s_or_b32 exec_lo, exec_lo, s3
	ds_store_2addr_b64 v227, v[192:193], v[190:191] offset1:1
.LBB91_107:
	s_or_b32 exec_lo, exec_lo, s4
	s_waitcnt lgkmcnt(0)
	s_barrier
	buffer_gl0_inv
	ds_load_2addr_b64 v[184:187], v227 offset1:1
	s_mov_b32 s3, exec_lo
	s_waitcnt lgkmcnt(0)
	scratch_store_b128 off, v[184:187], off offset:448 ; 16-byte Folded Spill
	v_cmpx_lt_u32_e32 11, v226
	s_cbranch_execz .LBB91_109
; %bb.108:
	scratch_load_b128 v[186:189], off, off offset:448 ; 16-byte Folded Reload
	s_waitcnt vmcnt(0)
	v_mul_f64 v[184:185], v[188:189], v[138:139]
	v_mul_f64 v[138:139], v[186:187], v[138:139]
	s_delay_alu instid0(VALU_DEP_2) | instskip(NEXT) | instid1(VALU_DEP_2)
	v_fma_f64 v[184:185], v[186:187], v[136:137], -v[184:185]
	v_fma_f64 v[138:139], v[188:189], v[136:137], v[138:139]
	ds_load_2addr_b64 v[186:189], v228 offset0:24 offset1:25
	s_waitcnt lgkmcnt(0)
	v_mul_f64 v[136:137], v[188:189], v[138:139]
	s_delay_alu instid0(VALU_DEP_1) | instskip(SKIP_1) | instid1(VALU_DEP_2)
	v_fma_f64 v[136:137], v[186:187], v[184:185], -v[136:137]
	v_mul_f64 v[186:187], v[186:187], v[138:139]
	v_add_f64 v[132:133], v[132:133], -v[136:137]
	s_delay_alu instid0(VALU_DEP_2) | instskip(NEXT) | instid1(VALU_DEP_1)
	v_fma_f64 v[186:187], v[188:189], v[184:185], v[186:187]
	v_add_f64 v[134:135], v[134:135], -v[186:187]
	ds_load_2addr_b64 v[186:189], v228 offset0:26 offset1:27
	s_waitcnt lgkmcnt(0)
	v_mul_f64 v[136:137], v[188:189], v[138:139]
	s_delay_alu instid0(VALU_DEP_1) | instskip(SKIP_1) | instid1(VALU_DEP_2)
	v_fma_f64 v[136:137], v[186:187], v[184:185], -v[136:137]
	v_mul_f64 v[186:187], v[186:187], v[138:139]
	v_add_f64 v[128:129], v[128:129], -v[136:137]
	s_delay_alu instid0(VALU_DEP_2) | instskip(NEXT) | instid1(VALU_DEP_1)
	v_fma_f64 v[186:187], v[188:189], v[184:185], v[186:187]
	v_add_f64 v[130:131], v[130:131], -v[186:187]
	;; [unrolled: 10-line block ×33, first 2 shown]
	ds_load_2addr_b64 v[186:189], v228 offset0:90 offset1:91
	s_waitcnt lgkmcnt(0)
	v_mul_f64 v[136:137], v[188:189], v[138:139]
	s_delay_alu instid0(VALU_DEP_1) | instskip(SKIP_1) | instid1(VALU_DEP_2)
	v_fma_f64 v[136:137], v[186:187], v[184:185], -v[136:137]
	v_mul_f64 v[186:187], v[186:187], v[138:139]
	v_add_f64 v[0:1], v[0:1], -v[136:137]
	s_delay_alu instid0(VALU_DEP_2) | instskip(SKIP_1) | instid1(VALU_DEP_2)
	v_fma_f64 v[186:187], v[188:189], v[184:185], v[186:187]
	v_dual_mov_b32 v136, v184 :: v_dual_mov_b32 v137, v185
	v_add_f64 v[2:3], v[2:3], -v[186:187]
.LBB91_109:
	s_or_b32 exec_lo, exec_lo, s3
	s_delay_alu instid0(SALU_CYCLE_1)
	s_mov_b32 s4, exec_lo
	s_waitcnt_vscnt null, 0x0
	s_barrier
	buffer_gl0_inv
	v_cmpx_eq_u32_e32 12, v226
	s_cbranch_execz .LBB91_116
; %bb.110:
	ds_store_2addr_b64 v227, v[132:133], v[134:135] offset1:1
	ds_store_2addr_b64 v228, v[128:129], v[130:131] offset0:26 offset1:27
	ds_store_2addr_b64 v228, v[124:125], v[126:127] offset0:28 offset1:29
	;; [unrolled: 1-line block ×33, first 2 shown]
	ds_load_2addr_b64 v[184:187], v227 offset1:1
	s_waitcnt lgkmcnt(0)
	v_cmp_neq_f64_e32 vcc_lo, 0, v[184:185]
	v_cmp_neq_f64_e64 s3, 0, v[186:187]
	s_delay_alu instid0(VALU_DEP_1) | instskip(NEXT) | instid1(SALU_CYCLE_1)
	s_or_b32 s3, vcc_lo, s3
	s_and_b32 exec_lo, exec_lo, s3
	s_cbranch_execz .LBB91_116
; %bb.111:
	v_cmp_gt_f64_e32 vcc_lo, 0, v[184:185]
	v_xor_b32_e32 v188, 0x80000000, v185
	v_xor_b32_e32 v190, 0x80000000, v187
	s_mov_b32 s3, exec_lo
                                        ; implicit-def: $vgpr192_vgpr193
	s_delay_alu instid0(VALU_DEP_2) | instskip(SKIP_4) | instid1(VALU_DEP_1)
	v_cndmask_b32_e32 v189, v185, v188, vcc_lo
	v_cndmask_b32_e32 v188, v184, v184, vcc_lo
	v_cmp_gt_f64_e32 vcc_lo, 0, v[186:187]
	v_cndmask_b32_e32 v191, v187, v190, vcc_lo
	v_cndmask_b32_e32 v190, v186, v186, vcc_lo
	v_cmpx_ngt_f64_e32 v[188:189], v[190:191]
	s_xor_b32 s3, exec_lo, s3
                                        ; implicit-def: $vgpr188_vgpr189_vgpr190_vgpr191
	s_cbranch_execz .LBB91_113
; %bb.112:
	v_div_scale_f64 v[188:189], null, v[186:187], v[186:187], v[184:185]
	v_div_scale_f64 v[194:195], vcc_lo, v[184:185], v[186:187], v[184:185]
	s_delay_alu instid0(VALU_DEP_2) | instskip(SKIP_2) | instid1(VALU_DEP_1)
	v_rcp_f64_e32 v[190:191], v[188:189]
	s_waitcnt_depctr 0xfff
	v_fma_f64 v[192:193], -v[188:189], v[190:191], 1.0
	v_fma_f64 v[190:191], v[190:191], v[192:193], v[190:191]
	s_delay_alu instid0(VALU_DEP_1) | instskip(NEXT) | instid1(VALU_DEP_1)
	v_fma_f64 v[192:193], -v[188:189], v[190:191], 1.0
	v_fma_f64 v[190:191], v[190:191], v[192:193], v[190:191]
	s_delay_alu instid0(VALU_DEP_1) | instskip(NEXT) | instid1(VALU_DEP_1)
	v_mul_f64 v[192:193], v[194:195], v[190:191]
	v_fma_f64 v[188:189], -v[188:189], v[192:193], v[194:195]
	s_delay_alu instid0(VALU_DEP_1) | instskip(NEXT) | instid1(VALU_DEP_1)
	v_div_fmas_f64 v[188:189], v[188:189], v[190:191], v[192:193]
	v_div_fixup_f64 v[188:189], v[188:189], v[186:187], v[184:185]
	s_delay_alu instid0(VALU_DEP_1) | instskip(NEXT) | instid1(VALU_DEP_1)
	v_fma_f64 v[184:185], v[184:185], v[188:189], v[186:187]
	v_div_scale_f64 v[186:187], null, v[184:185], v[184:185], 1.0
	s_delay_alu instid0(VALU_DEP_1) | instskip(SKIP_2) | instid1(VALU_DEP_1)
	v_rcp_f64_e32 v[190:191], v[186:187]
	s_waitcnt_depctr 0xfff
	v_fma_f64 v[192:193], -v[186:187], v[190:191], 1.0
	v_fma_f64 v[190:191], v[190:191], v[192:193], v[190:191]
	s_delay_alu instid0(VALU_DEP_1) | instskip(NEXT) | instid1(VALU_DEP_1)
	v_fma_f64 v[192:193], -v[186:187], v[190:191], 1.0
	v_fma_f64 v[190:191], v[190:191], v[192:193], v[190:191]
	v_div_scale_f64 v[192:193], vcc_lo, 1.0, v[184:185], 1.0
	s_delay_alu instid0(VALU_DEP_1) | instskip(NEXT) | instid1(VALU_DEP_1)
	v_mul_f64 v[194:195], v[192:193], v[190:191]
	v_fma_f64 v[186:187], -v[186:187], v[194:195], v[192:193]
	s_delay_alu instid0(VALU_DEP_1) | instskip(NEXT) | instid1(VALU_DEP_1)
	v_div_fmas_f64 v[186:187], v[186:187], v[190:191], v[194:195]
	v_div_fixup_f64 v[190:191], v[186:187], v[184:185], 1.0
                                        ; implicit-def: $vgpr184_vgpr185
	s_delay_alu instid0(VALU_DEP_1)
	v_mul_f64 v[192:193], v[188:189], v[190:191]
	v_xor_b32_e32 v191, 0x80000000, v191
.LBB91_113:
	s_and_not1_saveexec_b32 s3, s3
	s_cbranch_execz .LBB91_115
; %bb.114:
	v_div_scale_f64 v[188:189], null, v[184:185], v[184:185], v[186:187]
	v_div_scale_f64 v[194:195], vcc_lo, v[186:187], v[184:185], v[186:187]
	s_delay_alu instid0(VALU_DEP_2) | instskip(SKIP_2) | instid1(VALU_DEP_1)
	v_rcp_f64_e32 v[190:191], v[188:189]
	s_waitcnt_depctr 0xfff
	v_fma_f64 v[192:193], -v[188:189], v[190:191], 1.0
	v_fma_f64 v[190:191], v[190:191], v[192:193], v[190:191]
	s_delay_alu instid0(VALU_DEP_1) | instskip(NEXT) | instid1(VALU_DEP_1)
	v_fma_f64 v[192:193], -v[188:189], v[190:191], 1.0
	v_fma_f64 v[190:191], v[190:191], v[192:193], v[190:191]
	s_delay_alu instid0(VALU_DEP_1) | instskip(NEXT) | instid1(VALU_DEP_1)
	v_mul_f64 v[192:193], v[194:195], v[190:191]
	v_fma_f64 v[188:189], -v[188:189], v[192:193], v[194:195]
	s_delay_alu instid0(VALU_DEP_1) | instskip(NEXT) | instid1(VALU_DEP_1)
	v_div_fmas_f64 v[188:189], v[188:189], v[190:191], v[192:193]
	v_div_fixup_f64 v[188:189], v[188:189], v[184:185], v[186:187]
	s_delay_alu instid0(VALU_DEP_1) | instskip(NEXT) | instid1(VALU_DEP_1)
	v_fma_f64 v[184:185], v[186:187], v[188:189], v[184:185]
	v_div_scale_f64 v[186:187], null, v[184:185], v[184:185], 1.0
	s_delay_alu instid0(VALU_DEP_1) | instskip(SKIP_2) | instid1(VALU_DEP_1)
	v_rcp_f64_e32 v[190:191], v[186:187]
	s_waitcnt_depctr 0xfff
	v_fma_f64 v[192:193], -v[186:187], v[190:191], 1.0
	v_fma_f64 v[190:191], v[190:191], v[192:193], v[190:191]
	s_delay_alu instid0(VALU_DEP_1) | instskip(NEXT) | instid1(VALU_DEP_1)
	v_fma_f64 v[192:193], -v[186:187], v[190:191], 1.0
	v_fma_f64 v[190:191], v[190:191], v[192:193], v[190:191]
	v_div_scale_f64 v[192:193], vcc_lo, 1.0, v[184:185], 1.0
	s_delay_alu instid0(VALU_DEP_1) | instskip(NEXT) | instid1(VALU_DEP_1)
	v_mul_f64 v[194:195], v[192:193], v[190:191]
	v_fma_f64 v[186:187], -v[186:187], v[194:195], v[192:193]
	s_delay_alu instid0(VALU_DEP_1) | instskip(NEXT) | instid1(VALU_DEP_1)
	v_div_fmas_f64 v[186:187], v[186:187], v[190:191], v[194:195]
	v_div_fixup_f64 v[192:193], v[186:187], v[184:185], 1.0
	s_delay_alu instid0(VALU_DEP_1)
	v_mul_f64 v[190:191], v[188:189], -v[192:193]
.LBB91_115:
	s_or_b32 exec_lo, exec_lo, s3
	ds_store_2addr_b64 v227, v[192:193], v[190:191] offset1:1
.LBB91_116:
	s_or_b32 exec_lo, exec_lo, s4
	s_waitcnt lgkmcnt(0)
	s_barrier
	buffer_gl0_inv
	ds_load_2addr_b64 v[184:187], v227 offset1:1
	s_mov_b32 s3, exec_lo
	s_waitcnt lgkmcnt(0)
	scratch_store_b128 off, v[184:187], off offset:464 ; 16-byte Folded Spill
	v_cmpx_lt_u32_e32 12, v226
	s_cbranch_execz .LBB91_118
; %bb.117:
	scratch_load_b128 v[186:189], off, off offset:464 ; 16-byte Folded Reload
	s_waitcnt vmcnt(0)
	v_mul_f64 v[184:185], v[188:189], v[134:135]
	v_mul_f64 v[134:135], v[186:187], v[134:135]
	s_delay_alu instid0(VALU_DEP_2) | instskip(NEXT) | instid1(VALU_DEP_2)
	v_fma_f64 v[184:185], v[186:187], v[132:133], -v[184:185]
	v_fma_f64 v[134:135], v[188:189], v[132:133], v[134:135]
	ds_load_2addr_b64 v[186:189], v228 offset0:26 offset1:27
	s_waitcnt lgkmcnt(0)
	v_mul_f64 v[132:133], v[188:189], v[134:135]
	s_delay_alu instid0(VALU_DEP_1) | instskip(SKIP_1) | instid1(VALU_DEP_2)
	v_fma_f64 v[132:133], v[186:187], v[184:185], -v[132:133]
	v_mul_f64 v[186:187], v[186:187], v[134:135]
	v_add_f64 v[128:129], v[128:129], -v[132:133]
	s_delay_alu instid0(VALU_DEP_2) | instskip(NEXT) | instid1(VALU_DEP_1)
	v_fma_f64 v[186:187], v[188:189], v[184:185], v[186:187]
	v_add_f64 v[130:131], v[130:131], -v[186:187]
	ds_load_2addr_b64 v[186:189], v228 offset0:28 offset1:29
	s_waitcnt lgkmcnt(0)
	v_mul_f64 v[132:133], v[188:189], v[134:135]
	s_delay_alu instid0(VALU_DEP_1) | instskip(SKIP_1) | instid1(VALU_DEP_2)
	v_fma_f64 v[132:133], v[186:187], v[184:185], -v[132:133]
	v_mul_f64 v[186:187], v[186:187], v[134:135]
	v_add_f64 v[124:125], v[124:125], -v[132:133]
	s_delay_alu instid0(VALU_DEP_2) | instskip(NEXT) | instid1(VALU_DEP_1)
	v_fma_f64 v[186:187], v[188:189], v[184:185], v[186:187]
	v_add_f64 v[126:127], v[126:127], -v[186:187]
	;; [unrolled: 10-line block ×32, first 2 shown]
	ds_load_2addr_b64 v[186:189], v228 offset0:90 offset1:91
	s_waitcnt lgkmcnt(0)
	v_mul_f64 v[132:133], v[188:189], v[134:135]
	s_delay_alu instid0(VALU_DEP_1) | instskip(SKIP_1) | instid1(VALU_DEP_2)
	v_fma_f64 v[132:133], v[186:187], v[184:185], -v[132:133]
	v_mul_f64 v[186:187], v[186:187], v[134:135]
	v_add_f64 v[0:1], v[0:1], -v[132:133]
	s_delay_alu instid0(VALU_DEP_2) | instskip(SKIP_1) | instid1(VALU_DEP_2)
	v_fma_f64 v[186:187], v[188:189], v[184:185], v[186:187]
	v_dual_mov_b32 v132, v184 :: v_dual_mov_b32 v133, v185
	v_add_f64 v[2:3], v[2:3], -v[186:187]
.LBB91_118:
	s_or_b32 exec_lo, exec_lo, s3
	s_delay_alu instid0(SALU_CYCLE_1)
	s_mov_b32 s4, exec_lo
	s_waitcnt_vscnt null, 0x0
	s_barrier
	buffer_gl0_inv
	v_cmpx_eq_u32_e32 13, v226
	s_cbranch_execz .LBB91_125
; %bb.119:
	ds_store_2addr_b64 v227, v[128:129], v[130:131] offset1:1
	ds_store_2addr_b64 v228, v[124:125], v[126:127] offset0:28 offset1:29
	ds_store_2addr_b64 v228, v[120:121], v[122:123] offset0:30 offset1:31
	;; [unrolled: 1-line block ×32, first 2 shown]
	ds_load_2addr_b64 v[184:187], v227 offset1:1
	s_waitcnt lgkmcnt(0)
	v_cmp_neq_f64_e32 vcc_lo, 0, v[184:185]
	v_cmp_neq_f64_e64 s3, 0, v[186:187]
	s_delay_alu instid0(VALU_DEP_1) | instskip(NEXT) | instid1(SALU_CYCLE_1)
	s_or_b32 s3, vcc_lo, s3
	s_and_b32 exec_lo, exec_lo, s3
	s_cbranch_execz .LBB91_125
; %bb.120:
	v_cmp_gt_f64_e32 vcc_lo, 0, v[184:185]
	v_xor_b32_e32 v188, 0x80000000, v185
	v_xor_b32_e32 v190, 0x80000000, v187
	s_mov_b32 s3, exec_lo
                                        ; implicit-def: $vgpr192_vgpr193
	s_delay_alu instid0(VALU_DEP_2) | instskip(SKIP_4) | instid1(VALU_DEP_1)
	v_cndmask_b32_e32 v189, v185, v188, vcc_lo
	v_cndmask_b32_e32 v188, v184, v184, vcc_lo
	v_cmp_gt_f64_e32 vcc_lo, 0, v[186:187]
	v_cndmask_b32_e32 v191, v187, v190, vcc_lo
	v_cndmask_b32_e32 v190, v186, v186, vcc_lo
	v_cmpx_ngt_f64_e32 v[188:189], v[190:191]
	s_xor_b32 s3, exec_lo, s3
                                        ; implicit-def: $vgpr188_vgpr189_vgpr190_vgpr191
	s_cbranch_execz .LBB91_122
; %bb.121:
	v_div_scale_f64 v[188:189], null, v[186:187], v[186:187], v[184:185]
	v_div_scale_f64 v[194:195], vcc_lo, v[184:185], v[186:187], v[184:185]
	s_delay_alu instid0(VALU_DEP_2) | instskip(SKIP_2) | instid1(VALU_DEP_1)
	v_rcp_f64_e32 v[190:191], v[188:189]
	s_waitcnt_depctr 0xfff
	v_fma_f64 v[192:193], -v[188:189], v[190:191], 1.0
	v_fma_f64 v[190:191], v[190:191], v[192:193], v[190:191]
	s_delay_alu instid0(VALU_DEP_1) | instskip(NEXT) | instid1(VALU_DEP_1)
	v_fma_f64 v[192:193], -v[188:189], v[190:191], 1.0
	v_fma_f64 v[190:191], v[190:191], v[192:193], v[190:191]
	s_delay_alu instid0(VALU_DEP_1) | instskip(NEXT) | instid1(VALU_DEP_1)
	v_mul_f64 v[192:193], v[194:195], v[190:191]
	v_fma_f64 v[188:189], -v[188:189], v[192:193], v[194:195]
	s_delay_alu instid0(VALU_DEP_1) | instskip(NEXT) | instid1(VALU_DEP_1)
	v_div_fmas_f64 v[188:189], v[188:189], v[190:191], v[192:193]
	v_div_fixup_f64 v[188:189], v[188:189], v[186:187], v[184:185]
	s_delay_alu instid0(VALU_DEP_1) | instskip(NEXT) | instid1(VALU_DEP_1)
	v_fma_f64 v[184:185], v[184:185], v[188:189], v[186:187]
	v_div_scale_f64 v[186:187], null, v[184:185], v[184:185], 1.0
	s_delay_alu instid0(VALU_DEP_1) | instskip(SKIP_2) | instid1(VALU_DEP_1)
	v_rcp_f64_e32 v[190:191], v[186:187]
	s_waitcnt_depctr 0xfff
	v_fma_f64 v[192:193], -v[186:187], v[190:191], 1.0
	v_fma_f64 v[190:191], v[190:191], v[192:193], v[190:191]
	s_delay_alu instid0(VALU_DEP_1) | instskip(NEXT) | instid1(VALU_DEP_1)
	v_fma_f64 v[192:193], -v[186:187], v[190:191], 1.0
	v_fma_f64 v[190:191], v[190:191], v[192:193], v[190:191]
	v_div_scale_f64 v[192:193], vcc_lo, 1.0, v[184:185], 1.0
	s_delay_alu instid0(VALU_DEP_1) | instskip(NEXT) | instid1(VALU_DEP_1)
	v_mul_f64 v[194:195], v[192:193], v[190:191]
	v_fma_f64 v[186:187], -v[186:187], v[194:195], v[192:193]
	s_delay_alu instid0(VALU_DEP_1) | instskip(NEXT) | instid1(VALU_DEP_1)
	v_div_fmas_f64 v[186:187], v[186:187], v[190:191], v[194:195]
	v_div_fixup_f64 v[190:191], v[186:187], v[184:185], 1.0
                                        ; implicit-def: $vgpr184_vgpr185
	s_delay_alu instid0(VALU_DEP_1)
	v_mul_f64 v[192:193], v[188:189], v[190:191]
	v_xor_b32_e32 v191, 0x80000000, v191
.LBB91_122:
	s_and_not1_saveexec_b32 s3, s3
	s_cbranch_execz .LBB91_124
; %bb.123:
	v_div_scale_f64 v[188:189], null, v[184:185], v[184:185], v[186:187]
	v_div_scale_f64 v[194:195], vcc_lo, v[186:187], v[184:185], v[186:187]
	s_delay_alu instid0(VALU_DEP_2) | instskip(SKIP_2) | instid1(VALU_DEP_1)
	v_rcp_f64_e32 v[190:191], v[188:189]
	s_waitcnt_depctr 0xfff
	v_fma_f64 v[192:193], -v[188:189], v[190:191], 1.0
	v_fma_f64 v[190:191], v[190:191], v[192:193], v[190:191]
	s_delay_alu instid0(VALU_DEP_1) | instskip(NEXT) | instid1(VALU_DEP_1)
	v_fma_f64 v[192:193], -v[188:189], v[190:191], 1.0
	v_fma_f64 v[190:191], v[190:191], v[192:193], v[190:191]
	s_delay_alu instid0(VALU_DEP_1) | instskip(NEXT) | instid1(VALU_DEP_1)
	v_mul_f64 v[192:193], v[194:195], v[190:191]
	v_fma_f64 v[188:189], -v[188:189], v[192:193], v[194:195]
	s_delay_alu instid0(VALU_DEP_1) | instskip(NEXT) | instid1(VALU_DEP_1)
	v_div_fmas_f64 v[188:189], v[188:189], v[190:191], v[192:193]
	v_div_fixup_f64 v[188:189], v[188:189], v[184:185], v[186:187]
	s_delay_alu instid0(VALU_DEP_1) | instskip(NEXT) | instid1(VALU_DEP_1)
	v_fma_f64 v[184:185], v[186:187], v[188:189], v[184:185]
	v_div_scale_f64 v[186:187], null, v[184:185], v[184:185], 1.0
	s_delay_alu instid0(VALU_DEP_1) | instskip(SKIP_2) | instid1(VALU_DEP_1)
	v_rcp_f64_e32 v[190:191], v[186:187]
	s_waitcnt_depctr 0xfff
	v_fma_f64 v[192:193], -v[186:187], v[190:191], 1.0
	v_fma_f64 v[190:191], v[190:191], v[192:193], v[190:191]
	s_delay_alu instid0(VALU_DEP_1) | instskip(NEXT) | instid1(VALU_DEP_1)
	v_fma_f64 v[192:193], -v[186:187], v[190:191], 1.0
	v_fma_f64 v[190:191], v[190:191], v[192:193], v[190:191]
	v_div_scale_f64 v[192:193], vcc_lo, 1.0, v[184:185], 1.0
	s_delay_alu instid0(VALU_DEP_1) | instskip(NEXT) | instid1(VALU_DEP_1)
	v_mul_f64 v[194:195], v[192:193], v[190:191]
	v_fma_f64 v[186:187], -v[186:187], v[194:195], v[192:193]
	s_delay_alu instid0(VALU_DEP_1) | instskip(NEXT) | instid1(VALU_DEP_1)
	v_div_fmas_f64 v[186:187], v[186:187], v[190:191], v[194:195]
	v_div_fixup_f64 v[192:193], v[186:187], v[184:185], 1.0
	s_delay_alu instid0(VALU_DEP_1)
	v_mul_f64 v[190:191], v[188:189], -v[192:193]
.LBB91_124:
	s_or_b32 exec_lo, exec_lo, s3
	ds_store_2addr_b64 v227, v[192:193], v[190:191] offset1:1
.LBB91_125:
	s_or_b32 exec_lo, exec_lo, s4
	s_waitcnt lgkmcnt(0)
	s_barrier
	buffer_gl0_inv
	ds_load_2addr_b64 v[184:187], v227 offset1:1
	s_mov_b32 s3, exec_lo
	s_waitcnt lgkmcnt(0)
	scratch_store_b128 off, v[184:187], off offset:480 ; 16-byte Folded Spill
	v_cmpx_lt_u32_e32 13, v226
	s_cbranch_execz .LBB91_127
; %bb.126:
	scratch_load_b128 v[186:189], off, off offset:480 ; 16-byte Folded Reload
	s_waitcnt vmcnt(0)
	v_mul_f64 v[184:185], v[188:189], v[130:131]
	v_mul_f64 v[130:131], v[186:187], v[130:131]
	s_delay_alu instid0(VALU_DEP_2) | instskip(NEXT) | instid1(VALU_DEP_2)
	v_fma_f64 v[184:185], v[186:187], v[128:129], -v[184:185]
	v_fma_f64 v[130:131], v[188:189], v[128:129], v[130:131]
	ds_load_2addr_b64 v[186:189], v228 offset0:28 offset1:29
	s_waitcnt lgkmcnt(0)
	v_mul_f64 v[128:129], v[188:189], v[130:131]
	s_delay_alu instid0(VALU_DEP_1) | instskip(SKIP_1) | instid1(VALU_DEP_2)
	v_fma_f64 v[128:129], v[186:187], v[184:185], -v[128:129]
	v_mul_f64 v[186:187], v[186:187], v[130:131]
	v_add_f64 v[124:125], v[124:125], -v[128:129]
	s_delay_alu instid0(VALU_DEP_2) | instskip(NEXT) | instid1(VALU_DEP_1)
	v_fma_f64 v[186:187], v[188:189], v[184:185], v[186:187]
	v_add_f64 v[126:127], v[126:127], -v[186:187]
	ds_load_2addr_b64 v[186:189], v228 offset0:30 offset1:31
	s_waitcnt lgkmcnt(0)
	v_mul_f64 v[128:129], v[188:189], v[130:131]
	s_delay_alu instid0(VALU_DEP_1) | instskip(SKIP_1) | instid1(VALU_DEP_2)
	v_fma_f64 v[128:129], v[186:187], v[184:185], -v[128:129]
	v_mul_f64 v[186:187], v[186:187], v[130:131]
	v_add_f64 v[120:121], v[120:121], -v[128:129]
	s_delay_alu instid0(VALU_DEP_2) | instskip(NEXT) | instid1(VALU_DEP_1)
	v_fma_f64 v[186:187], v[188:189], v[184:185], v[186:187]
	v_add_f64 v[122:123], v[122:123], -v[186:187]
	ds_load_2addr_b64 v[186:189], v228 offset0:32 offset1:33
	s_waitcnt lgkmcnt(0)
	v_mul_f64 v[128:129], v[188:189], v[130:131]
	s_delay_alu instid0(VALU_DEP_1) | instskip(SKIP_1) | instid1(VALU_DEP_2)
	v_fma_f64 v[128:129], v[186:187], v[184:185], -v[128:129]
	v_mul_f64 v[186:187], v[186:187], v[130:131]
	v_add_f64 v[116:117], v[116:117], -v[128:129]
	s_delay_alu instid0(VALU_DEP_2) | instskip(NEXT) | instid1(VALU_DEP_1)
	v_fma_f64 v[186:187], v[188:189], v[184:185], v[186:187]
	v_add_f64 v[118:119], v[118:119], -v[186:187]
	ds_load_2addr_b64 v[186:189], v228 offset0:34 offset1:35
	s_waitcnt lgkmcnt(0)
	v_mul_f64 v[128:129], v[188:189], v[130:131]
	s_delay_alu instid0(VALU_DEP_1) | instskip(SKIP_1) | instid1(VALU_DEP_2)
	v_fma_f64 v[128:129], v[186:187], v[184:185], -v[128:129]
	v_mul_f64 v[186:187], v[186:187], v[130:131]
	v_add_f64 v[112:113], v[112:113], -v[128:129]
	s_delay_alu instid0(VALU_DEP_2) | instskip(NEXT) | instid1(VALU_DEP_1)
	v_fma_f64 v[186:187], v[188:189], v[184:185], v[186:187]
	v_add_f64 v[114:115], v[114:115], -v[186:187]
	ds_load_2addr_b64 v[186:189], v228 offset0:36 offset1:37
	s_waitcnt lgkmcnt(0)
	v_mul_f64 v[128:129], v[188:189], v[130:131]
	s_delay_alu instid0(VALU_DEP_1) | instskip(SKIP_1) | instid1(VALU_DEP_2)
	v_fma_f64 v[128:129], v[186:187], v[184:185], -v[128:129]
	v_mul_f64 v[186:187], v[186:187], v[130:131]
	v_add_f64 v[108:109], v[108:109], -v[128:129]
	s_delay_alu instid0(VALU_DEP_2) | instskip(NEXT) | instid1(VALU_DEP_1)
	v_fma_f64 v[186:187], v[188:189], v[184:185], v[186:187]
	v_add_f64 v[110:111], v[110:111], -v[186:187]
	ds_load_2addr_b64 v[186:189], v228 offset0:38 offset1:39
	s_waitcnt lgkmcnt(0)
	v_mul_f64 v[128:129], v[188:189], v[130:131]
	s_delay_alu instid0(VALU_DEP_1) | instskip(SKIP_1) | instid1(VALU_DEP_2)
	v_fma_f64 v[128:129], v[186:187], v[184:185], -v[128:129]
	v_mul_f64 v[186:187], v[186:187], v[130:131]
	v_add_f64 v[104:105], v[104:105], -v[128:129]
	s_delay_alu instid0(VALU_DEP_2) | instskip(NEXT) | instid1(VALU_DEP_1)
	v_fma_f64 v[186:187], v[188:189], v[184:185], v[186:187]
	v_add_f64 v[106:107], v[106:107], -v[186:187]
	ds_load_2addr_b64 v[186:189], v228 offset0:40 offset1:41
	s_waitcnt lgkmcnt(0)
	v_mul_f64 v[128:129], v[188:189], v[130:131]
	s_delay_alu instid0(VALU_DEP_1) | instskip(SKIP_1) | instid1(VALU_DEP_2)
	v_fma_f64 v[128:129], v[186:187], v[184:185], -v[128:129]
	v_mul_f64 v[186:187], v[186:187], v[130:131]
	v_add_f64 v[100:101], v[100:101], -v[128:129]
	s_delay_alu instid0(VALU_DEP_2) | instskip(NEXT) | instid1(VALU_DEP_1)
	v_fma_f64 v[186:187], v[188:189], v[184:185], v[186:187]
	v_add_f64 v[102:103], v[102:103], -v[186:187]
	ds_load_2addr_b64 v[186:189], v228 offset0:42 offset1:43
	s_waitcnt lgkmcnt(0)
	v_mul_f64 v[128:129], v[188:189], v[130:131]
	s_delay_alu instid0(VALU_DEP_1) | instskip(SKIP_1) | instid1(VALU_DEP_2)
	v_fma_f64 v[128:129], v[186:187], v[184:185], -v[128:129]
	v_mul_f64 v[186:187], v[186:187], v[130:131]
	v_add_f64 v[96:97], v[96:97], -v[128:129]
	s_delay_alu instid0(VALU_DEP_2) | instskip(NEXT) | instid1(VALU_DEP_1)
	v_fma_f64 v[186:187], v[188:189], v[184:185], v[186:187]
	v_add_f64 v[98:99], v[98:99], -v[186:187]
	ds_load_2addr_b64 v[186:189], v228 offset0:44 offset1:45
	s_waitcnt lgkmcnt(0)
	v_mul_f64 v[128:129], v[188:189], v[130:131]
	s_delay_alu instid0(VALU_DEP_1) | instskip(SKIP_1) | instid1(VALU_DEP_2)
	v_fma_f64 v[128:129], v[186:187], v[184:185], -v[128:129]
	v_mul_f64 v[186:187], v[186:187], v[130:131]
	v_add_f64 v[92:93], v[92:93], -v[128:129]
	s_delay_alu instid0(VALU_DEP_2) | instskip(NEXT) | instid1(VALU_DEP_1)
	v_fma_f64 v[186:187], v[188:189], v[184:185], v[186:187]
	v_add_f64 v[94:95], v[94:95], -v[186:187]
	ds_load_2addr_b64 v[186:189], v228 offset0:46 offset1:47
	s_waitcnt lgkmcnt(0)
	v_mul_f64 v[128:129], v[188:189], v[130:131]
	s_delay_alu instid0(VALU_DEP_1) | instskip(SKIP_1) | instid1(VALU_DEP_2)
	v_fma_f64 v[128:129], v[186:187], v[184:185], -v[128:129]
	v_mul_f64 v[186:187], v[186:187], v[130:131]
	v_add_f64 v[88:89], v[88:89], -v[128:129]
	s_delay_alu instid0(VALU_DEP_2) | instskip(NEXT) | instid1(VALU_DEP_1)
	v_fma_f64 v[186:187], v[188:189], v[184:185], v[186:187]
	v_add_f64 v[90:91], v[90:91], -v[186:187]
	ds_load_2addr_b64 v[186:189], v228 offset0:48 offset1:49
	s_waitcnt lgkmcnt(0)
	v_mul_f64 v[128:129], v[188:189], v[130:131]
	s_delay_alu instid0(VALU_DEP_1) | instskip(SKIP_1) | instid1(VALU_DEP_2)
	v_fma_f64 v[128:129], v[186:187], v[184:185], -v[128:129]
	v_mul_f64 v[186:187], v[186:187], v[130:131]
	v_add_f64 v[84:85], v[84:85], -v[128:129]
	s_delay_alu instid0(VALU_DEP_2) | instskip(NEXT) | instid1(VALU_DEP_1)
	v_fma_f64 v[186:187], v[188:189], v[184:185], v[186:187]
	v_add_f64 v[86:87], v[86:87], -v[186:187]
	ds_load_2addr_b64 v[186:189], v228 offset0:50 offset1:51
	s_waitcnt lgkmcnt(0)
	v_mul_f64 v[128:129], v[188:189], v[130:131]
	s_delay_alu instid0(VALU_DEP_1) | instskip(SKIP_1) | instid1(VALU_DEP_2)
	v_fma_f64 v[128:129], v[186:187], v[184:185], -v[128:129]
	v_mul_f64 v[186:187], v[186:187], v[130:131]
	v_add_f64 v[80:81], v[80:81], -v[128:129]
	s_delay_alu instid0(VALU_DEP_2) | instskip(NEXT) | instid1(VALU_DEP_1)
	v_fma_f64 v[186:187], v[188:189], v[184:185], v[186:187]
	v_add_f64 v[82:83], v[82:83], -v[186:187]
	ds_load_2addr_b64 v[186:189], v228 offset0:52 offset1:53
	s_waitcnt lgkmcnt(0)
	v_mul_f64 v[128:129], v[188:189], v[130:131]
	s_delay_alu instid0(VALU_DEP_1) | instskip(SKIP_1) | instid1(VALU_DEP_2)
	v_fma_f64 v[128:129], v[186:187], v[184:185], -v[128:129]
	v_mul_f64 v[186:187], v[186:187], v[130:131]
	v_add_f64 v[76:77], v[76:77], -v[128:129]
	s_delay_alu instid0(VALU_DEP_2) | instskip(NEXT) | instid1(VALU_DEP_1)
	v_fma_f64 v[186:187], v[188:189], v[184:185], v[186:187]
	v_add_f64 v[78:79], v[78:79], -v[186:187]
	ds_load_2addr_b64 v[186:189], v228 offset0:54 offset1:55
	s_waitcnt lgkmcnt(0)
	v_mul_f64 v[128:129], v[188:189], v[130:131]
	s_delay_alu instid0(VALU_DEP_1) | instskip(SKIP_1) | instid1(VALU_DEP_2)
	v_fma_f64 v[128:129], v[186:187], v[184:185], -v[128:129]
	v_mul_f64 v[186:187], v[186:187], v[130:131]
	v_add_f64 v[72:73], v[72:73], -v[128:129]
	s_delay_alu instid0(VALU_DEP_2) | instskip(NEXT) | instid1(VALU_DEP_1)
	v_fma_f64 v[186:187], v[188:189], v[184:185], v[186:187]
	v_add_f64 v[74:75], v[74:75], -v[186:187]
	ds_load_2addr_b64 v[186:189], v228 offset0:56 offset1:57
	s_waitcnt lgkmcnt(0)
	v_mul_f64 v[128:129], v[188:189], v[130:131]
	s_delay_alu instid0(VALU_DEP_1) | instskip(SKIP_1) | instid1(VALU_DEP_2)
	v_fma_f64 v[128:129], v[186:187], v[184:185], -v[128:129]
	v_mul_f64 v[186:187], v[186:187], v[130:131]
	v_add_f64 v[68:69], v[68:69], -v[128:129]
	s_delay_alu instid0(VALU_DEP_2) | instskip(NEXT) | instid1(VALU_DEP_1)
	v_fma_f64 v[186:187], v[188:189], v[184:185], v[186:187]
	v_add_f64 v[70:71], v[70:71], -v[186:187]
	ds_load_2addr_b64 v[186:189], v228 offset0:58 offset1:59
	s_waitcnt lgkmcnt(0)
	v_mul_f64 v[128:129], v[188:189], v[130:131]
	s_delay_alu instid0(VALU_DEP_1) | instskip(SKIP_1) | instid1(VALU_DEP_2)
	v_fma_f64 v[128:129], v[186:187], v[184:185], -v[128:129]
	v_mul_f64 v[186:187], v[186:187], v[130:131]
	v_add_f64 v[64:65], v[64:65], -v[128:129]
	s_delay_alu instid0(VALU_DEP_2) | instskip(NEXT) | instid1(VALU_DEP_1)
	v_fma_f64 v[186:187], v[188:189], v[184:185], v[186:187]
	v_add_f64 v[66:67], v[66:67], -v[186:187]
	ds_load_2addr_b64 v[186:189], v228 offset0:60 offset1:61
	s_waitcnt lgkmcnt(0)
	v_mul_f64 v[128:129], v[188:189], v[130:131]
	s_delay_alu instid0(VALU_DEP_1) | instskip(SKIP_1) | instid1(VALU_DEP_2)
	v_fma_f64 v[128:129], v[186:187], v[184:185], -v[128:129]
	v_mul_f64 v[186:187], v[186:187], v[130:131]
	v_add_f64 v[60:61], v[60:61], -v[128:129]
	s_delay_alu instid0(VALU_DEP_2) | instskip(NEXT) | instid1(VALU_DEP_1)
	v_fma_f64 v[186:187], v[188:189], v[184:185], v[186:187]
	v_add_f64 v[62:63], v[62:63], -v[186:187]
	ds_load_2addr_b64 v[186:189], v228 offset0:62 offset1:63
	s_waitcnt lgkmcnt(0)
	v_mul_f64 v[128:129], v[188:189], v[130:131]
	s_delay_alu instid0(VALU_DEP_1) | instskip(SKIP_1) | instid1(VALU_DEP_2)
	v_fma_f64 v[128:129], v[186:187], v[184:185], -v[128:129]
	v_mul_f64 v[186:187], v[186:187], v[130:131]
	v_add_f64 v[56:57], v[56:57], -v[128:129]
	s_delay_alu instid0(VALU_DEP_2) | instskip(NEXT) | instid1(VALU_DEP_1)
	v_fma_f64 v[186:187], v[188:189], v[184:185], v[186:187]
	v_add_f64 v[58:59], v[58:59], -v[186:187]
	ds_load_2addr_b64 v[186:189], v228 offset0:64 offset1:65
	s_waitcnt lgkmcnt(0)
	v_mul_f64 v[128:129], v[188:189], v[130:131]
	s_delay_alu instid0(VALU_DEP_1) | instskip(SKIP_1) | instid1(VALU_DEP_2)
	v_fma_f64 v[128:129], v[186:187], v[184:185], -v[128:129]
	v_mul_f64 v[186:187], v[186:187], v[130:131]
	v_add_f64 v[52:53], v[52:53], -v[128:129]
	s_delay_alu instid0(VALU_DEP_2) | instskip(NEXT) | instid1(VALU_DEP_1)
	v_fma_f64 v[186:187], v[188:189], v[184:185], v[186:187]
	v_add_f64 v[54:55], v[54:55], -v[186:187]
	ds_load_2addr_b64 v[186:189], v228 offset0:66 offset1:67
	s_waitcnt lgkmcnt(0)
	v_mul_f64 v[128:129], v[188:189], v[130:131]
	s_delay_alu instid0(VALU_DEP_1) | instskip(SKIP_1) | instid1(VALU_DEP_2)
	v_fma_f64 v[128:129], v[186:187], v[184:185], -v[128:129]
	v_mul_f64 v[186:187], v[186:187], v[130:131]
	v_add_f64 v[48:49], v[48:49], -v[128:129]
	s_delay_alu instid0(VALU_DEP_2) | instskip(NEXT) | instid1(VALU_DEP_1)
	v_fma_f64 v[186:187], v[188:189], v[184:185], v[186:187]
	v_add_f64 v[50:51], v[50:51], -v[186:187]
	ds_load_2addr_b64 v[186:189], v228 offset0:68 offset1:69
	s_waitcnt lgkmcnt(0)
	v_mul_f64 v[128:129], v[188:189], v[130:131]
	s_delay_alu instid0(VALU_DEP_1) | instskip(SKIP_1) | instid1(VALU_DEP_2)
	v_fma_f64 v[128:129], v[186:187], v[184:185], -v[128:129]
	v_mul_f64 v[186:187], v[186:187], v[130:131]
	v_add_f64 v[44:45], v[44:45], -v[128:129]
	s_delay_alu instid0(VALU_DEP_2) | instskip(NEXT) | instid1(VALU_DEP_1)
	v_fma_f64 v[186:187], v[188:189], v[184:185], v[186:187]
	v_add_f64 v[46:47], v[46:47], -v[186:187]
	ds_load_2addr_b64 v[186:189], v228 offset0:70 offset1:71
	s_waitcnt lgkmcnt(0)
	v_mul_f64 v[128:129], v[188:189], v[130:131]
	s_delay_alu instid0(VALU_DEP_1) | instskip(SKIP_1) | instid1(VALU_DEP_2)
	v_fma_f64 v[128:129], v[186:187], v[184:185], -v[128:129]
	v_mul_f64 v[186:187], v[186:187], v[130:131]
	v_add_f64 v[40:41], v[40:41], -v[128:129]
	s_delay_alu instid0(VALU_DEP_2) | instskip(NEXT) | instid1(VALU_DEP_1)
	v_fma_f64 v[186:187], v[188:189], v[184:185], v[186:187]
	v_add_f64 v[42:43], v[42:43], -v[186:187]
	ds_load_2addr_b64 v[186:189], v228 offset0:72 offset1:73
	s_waitcnt lgkmcnt(0)
	v_mul_f64 v[128:129], v[188:189], v[130:131]
	s_delay_alu instid0(VALU_DEP_1) | instskip(SKIP_1) | instid1(VALU_DEP_2)
	v_fma_f64 v[128:129], v[186:187], v[184:185], -v[128:129]
	v_mul_f64 v[186:187], v[186:187], v[130:131]
	v_add_f64 v[36:37], v[36:37], -v[128:129]
	s_delay_alu instid0(VALU_DEP_2) | instskip(NEXT) | instid1(VALU_DEP_1)
	v_fma_f64 v[186:187], v[188:189], v[184:185], v[186:187]
	v_add_f64 v[38:39], v[38:39], -v[186:187]
	ds_load_2addr_b64 v[186:189], v228 offset0:74 offset1:75
	s_waitcnt lgkmcnt(0)
	v_mul_f64 v[128:129], v[188:189], v[130:131]
	s_delay_alu instid0(VALU_DEP_1) | instskip(SKIP_1) | instid1(VALU_DEP_2)
	v_fma_f64 v[128:129], v[186:187], v[184:185], -v[128:129]
	v_mul_f64 v[186:187], v[186:187], v[130:131]
	v_add_f64 v[32:33], v[32:33], -v[128:129]
	s_delay_alu instid0(VALU_DEP_2) | instskip(NEXT) | instid1(VALU_DEP_1)
	v_fma_f64 v[186:187], v[188:189], v[184:185], v[186:187]
	v_add_f64 v[34:35], v[34:35], -v[186:187]
	ds_load_2addr_b64 v[186:189], v228 offset0:76 offset1:77
	s_waitcnt lgkmcnt(0)
	v_mul_f64 v[128:129], v[188:189], v[130:131]
	s_delay_alu instid0(VALU_DEP_1) | instskip(SKIP_1) | instid1(VALU_DEP_2)
	v_fma_f64 v[128:129], v[186:187], v[184:185], -v[128:129]
	v_mul_f64 v[186:187], v[186:187], v[130:131]
	v_add_f64 v[28:29], v[28:29], -v[128:129]
	s_delay_alu instid0(VALU_DEP_2) | instskip(NEXT) | instid1(VALU_DEP_1)
	v_fma_f64 v[186:187], v[188:189], v[184:185], v[186:187]
	v_add_f64 v[30:31], v[30:31], -v[186:187]
	ds_load_2addr_b64 v[186:189], v228 offset0:78 offset1:79
	s_waitcnt lgkmcnt(0)
	v_mul_f64 v[128:129], v[188:189], v[130:131]
	s_delay_alu instid0(VALU_DEP_1) | instskip(SKIP_1) | instid1(VALU_DEP_2)
	v_fma_f64 v[128:129], v[186:187], v[184:185], -v[128:129]
	v_mul_f64 v[186:187], v[186:187], v[130:131]
	v_add_f64 v[24:25], v[24:25], -v[128:129]
	s_delay_alu instid0(VALU_DEP_2) | instskip(NEXT) | instid1(VALU_DEP_1)
	v_fma_f64 v[186:187], v[188:189], v[184:185], v[186:187]
	v_add_f64 v[26:27], v[26:27], -v[186:187]
	ds_load_2addr_b64 v[186:189], v228 offset0:80 offset1:81
	s_waitcnt lgkmcnt(0)
	v_mul_f64 v[128:129], v[188:189], v[130:131]
	s_delay_alu instid0(VALU_DEP_1) | instskip(SKIP_1) | instid1(VALU_DEP_2)
	v_fma_f64 v[128:129], v[186:187], v[184:185], -v[128:129]
	v_mul_f64 v[186:187], v[186:187], v[130:131]
	v_add_f64 v[20:21], v[20:21], -v[128:129]
	s_delay_alu instid0(VALU_DEP_2) | instskip(NEXT) | instid1(VALU_DEP_1)
	v_fma_f64 v[186:187], v[188:189], v[184:185], v[186:187]
	v_add_f64 v[22:23], v[22:23], -v[186:187]
	ds_load_2addr_b64 v[186:189], v228 offset0:82 offset1:83
	s_waitcnt lgkmcnt(0)
	v_mul_f64 v[128:129], v[188:189], v[130:131]
	s_delay_alu instid0(VALU_DEP_1) | instskip(SKIP_1) | instid1(VALU_DEP_2)
	v_fma_f64 v[128:129], v[186:187], v[184:185], -v[128:129]
	v_mul_f64 v[186:187], v[186:187], v[130:131]
	v_add_f64 v[16:17], v[16:17], -v[128:129]
	s_delay_alu instid0(VALU_DEP_2) | instskip(NEXT) | instid1(VALU_DEP_1)
	v_fma_f64 v[186:187], v[188:189], v[184:185], v[186:187]
	v_add_f64 v[18:19], v[18:19], -v[186:187]
	ds_load_2addr_b64 v[186:189], v228 offset0:84 offset1:85
	s_waitcnt lgkmcnt(0)
	v_mul_f64 v[128:129], v[188:189], v[130:131]
	s_delay_alu instid0(VALU_DEP_1) | instskip(SKIP_1) | instid1(VALU_DEP_2)
	v_fma_f64 v[128:129], v[186:187], v[184:185], -v[128:129]
	v_mul_f64 v[186:187], v[186:187], v[130:131]
	v_add_f64 v[12:13], v[12:13], -v[128:129]
	s_delay_alu instid0(VALU_DEP_2) | instskip(NEXT) | instid1(VALU_DEP_1)
	v_fma_f64 v[186:187], v[188:189], v[184:185], v[186:187]
	v_add_f64 v[14:15], v[14:15], -v[186:187]
	ds_load_2addr_b64 v[186:189], v228 offset0:86 offset1:87
	s_waitcnt lgkmcnt(0)
	v_mul_f64 v[128:129], v[188:189], v[130:131]
	s_delay_alu instid0(VALU_DEP_1) | instskip(SKIP_1) | instid1(VALU_DEP_2)
	v_fma_f64 v[128:129], v[186:187], v[184:185], -v[128:129]
	v_mul_f64 v[186:187], v[186:187], v[130:131]
	v_add_f64 v[8:9], v[8:9], -v[128:129]
	s_delay_alu instid0(VALU_DEP_2) | instskip(NEXT) | instid1(VALU_DEP_1)
	v_fma_f64 v[186:187], v[188:189], v[184:185], v[186:187]
	v_add_f64 v[10:11], v[10:11], -v[186:187]
	ds_load_2addr_b64 v[186:189], v228 offset0:88 offset1:89
	s_waitcnt lgkmcnt(0)
	v_mul_f64 v[128:129], v[188:189], v[130:131]
	s_delay_alu instid0(VALU_DEP_1) | instskip(SKIP_1) | instid1(VALU_DEP_2)
	v_fma_f64 v[128:129], v[186:187], v[184:185], -v[128:129]
	v_mul_f64 v[186:187], v[186:187], v[130:131]
	v_add_f64 v[4:5], v[4:5], -v[128:129]
	s_delay_alu instid0(VALU_DEP_2) | instskip(NEXT) | instid1(VALU_DEP_1)
	v_fma_f64 v[186:187], v[188:189], v[184:185], v[186:187]
	v_add_f64 v[6:7], v[6:7], -v[186:187]
	ds_load_2addr_b64 v[186:189], v228 offset0:90 offset1:91
	s_waitcnt lgkmcnt(0)
	v_mul_f64 v[128:129], v[188:189], v[130:131]
	s_delay_alu instid0(VALU_DEP_1) | instskip(SKIP_1) | instid1(VALU_DEP_2)
	v_fma_f64 v[128:129], v[186:187], v[184:185], -v[128:129]
	v_mul_f64 v[186:187], v[186:187], v[130:131]
	v_add_f64 v[0:1], v[0:1], -v[128:129]
	s_delay_alu instid0(VALU_DEP_2) | instskip(SKIP_1) | instid1(VALU_DEP_2)
	v_fma_f64 v[186:187], v[188:189], v[184:185], v[186:187]
	v_dual_mov_b32 v128, v184 :: v_dual_mov_b32 v129, v185
	v_add_f64 v[2:3], v[2:3], -v[186:187]
.LBB91_127:
	s_or_b32 exec_lo, exec_lo, s3
	s_delay_alu instid0(SALU_CYCLE_1)
	s_mov_b32 s4, exec_lo
	s_waitcnt_vscnt null, 0x0
	s_barrier
	buffer_gl0_inv
	v_cmpx_eq_u32_e32 14, v226
	s_cbranch_execz .LBB91_134
; %bb.128:
	ds_store_2addr_b64 v227, v[124:125], v[126:127] offset1:1
	ds_store_2addr_b64 v228, v[120:121], v[122:123] offset0:30 offset1:31
	ds_store_2addr_b64 v228, v[116:117], v[118:119] offset0:32 offset1:33
	;; [unrolled: 1-line block ×31, first 2 shown]
	ds_load_2addr_b64 v[184:187], v227 offset1:1
	s_waitcnt lgkmcnt(0)
	v_cmp_neq_f64_e32 vcc_lo, 0, v[184:185]
	v_cmp_neq_f64_e64 s3, 0, v[186:187]
	s_delay_alu instid0(VALU_DEP_1) | instskip(NEXT) | instid1(SALU_CYCLE_1)
	s_or_b32 s3, vcc_lo, s3
	s_and_b32 exec_lo, exec_lo, s3
	s_cbranch_execz .LBB91_134
; %bb.129:
	v_cmp_gt_f64_e32 vcc_lo, 0, v[184:185]
	v_xor_b32_e32 v188, 0x80000000, v185
	v_xor_b32_e32 v190, 0x80000000, v187
	s_mov_b32 s3, exec_lo
                                        ; implicit-def: $vgpr192_vgpr193
	s_delay_alu instid0(VALU_DEP_2) | instskip(SKIP_4) | instid1(VALU_DEP_1)
	v_cndmask_b32_e32 v189, v185, v188, vcc_lo
	v_cndmask_b32_e32 v188, v184, v184, vcc_lo
	v_cmp_gt_f64_e32 vcc_lo, 0, v[186:187]
	v_cndmask_b32_e32 v191, v187, v190, vcc_lo
	v_cndmask_b32_e32 v190, v186, v186, vcc_lo
	v_cmpx_ngt_f64_e32 v[188:189], v[190:191]
	s_xor_b32 s3, exec_lo, s3
                                        ; implicit-def: $vgpr188_vgpr189_vgpr190_vgpr191
	s_cbranch_execz .LBB91_131
; %bb.130:
	v_div_scale_f64 v[188:189], null, v[186:187], v[186:187], v[184:185]
	v_div_scale_f64 v[194:195], vcc_lo, v[184:185], v[186:187], v[184:185]
	s_delay_alu instid0(VALU_DEP_2) | instskip(SKIP_2) | instid1(VALU_DEP_1)
	v_rcp_f64_e32 v[190:191], v[188:189]
	s_waitcnt_depctr 0xfff
	v_fma_f64 v[192:193], -v[188:189], v[190:191], 1.0
	v_fma_f64 v[190:191], v[190:191], v[192:193], v[190:191]
	s_delay_alu instid0(VALU_DEP_1) | instskip(NEXT) | instid1(VALU_DEP_1)
	v_fma_f64 v[192:193], -v[188:189], v[190:191], 1.0
	v_fma_f64 v[190:191], v[190:191], v[192:193], v[190:191]
	s_delay_alu instid0(VALU_DEP_1) | instskip(NEXT) | instid1(VALU_DEP_1)
	v_mul_f64 v[192:193], v[194:195], v[190:191]
	v_fma_f64 v[188:189], -v[188:189], v[192:193], v[194:195]
	s_delay_alu instid0(VALU_DEP_1) | instskip(NEXT) | instid1(VALU_DEP_1)
	v_div_fmas_f64 v[188:189], v[188:189], v[190:191], v[192:193]
	v_div_fixup_f64 v[188:189], v[188:189], v[186:187], v[184:185]
	s_delay_alu instid0(VALU_DEP_1) | instskip(NEXT) | instid1(VALU_DEP_1)
	v_fma_f64 v[184:185], v[184:185], v[188:189], v[186:187]
	v_div_scale_f64 v[186:187], null, v[184:185], v[184:185], 1.0
	s_delay_alu instid0(VALU_DEP_1) | instskip(SKIP_2) | instid1(VALU_DEP_1)
	v_rcp_f64_e32 v[190:191], v[186:187]
	s_waitcnt_depctr 0xfff
	v_fma_f64 v[192:193], -v[186:187], v[190:191], 1.0
	v_fma_f64 v[190:191], v[190:191], v[192:193], v[190:191]
	s_delay_alu instid0(VALU_DEP_1) | instskip(NEXT) | instid1(VALU_DEP_1)
	v_fma_f64 v[192:193], -v[186:187], v[190:191], 1.0
	v_fma_f64 v[190:191], v[190:191], v[192:193], v[190:191]
	v_div_scale_f64 v[192:193], vcc_lo, 1.0, v[184:185], 1.0
	s_delay_alu instid0(VALU_DEP_1) | instskip(NEXT) | instid1(VALU_DEP_1)
	v_mul_f64 v[194:195], v[192:193], v[190:191]
	v_fma_f64 v[186:187], -v[186:187], v[194:195], v[192:193]
	s_delay_alu instid0(VALU_DEP_1) | instskip(NEXT) | instid1(VALU_DEP_1)
	v_div_fmas_f64 v[186:187], v[186:187], v[190:191], v[194:195]
	v_div_fixup_f64 v[190:191], v[186:187], v[184:185], 1.0
                                        ; implicit-def: $vgpr184_vgpr185
	s_delay_alu instid0(VALU_DEP_1)
	v_mul_f64 v[192:193], v[188:189], v[190:191]
	v_xor_b32_e32 v191, 0x80000000, v191
.LBB91_131:
	s_and_not1_saveexec_b32 s3, s3
	s_cbranch_execz .LBB91_133
; %bb.132:
	v_div_scale_f64 v[188:189], null, v[184:185], v[184:185], v[186:187]
	v_div_scale_f64 v[194:195], vcc_lo, v[186:187], v[184:185], v[186:187]
	s_delay_alu instid0(VALU_DEP_2) | instskip(SKIP_2) | instid1(VALU_DEP_1)
	v_rcp_f64_e32 v[190:191], v[188:189]
	s_waitcnt_depctr 0xfff
	v_fma_f64 v[192:193], -v[188:189], v[190:191], 1.0
	v_fma_f64 v[190:191], v[190:191], v[192:193], v[190:191]
	s_delay_alu instid0(VALU_DEP_1) | instskip(NEXT) | instid1(VALU_DEP_1)
	v_fma_f64 v[192:193], -v[188:189], v[190:191], 1.0
	v_fma_f64 v[190:191], v[190:191], v[192:193], v[190:191]
	s_delay_alu instid0(VALU_DEP_1) | instskip(NEXT) | instid1(VALU_DEP_1)
	v_mul_f64 v[192:193], v[194:195], v[190:191]
	v_fma_f64 v[188:189], -v[188:189], v[192:193], v[194:195]
	s_delay_alu instid0(VALU_DEP_1) | instskip(NEXT) | instid1(VALU_DEP_1)
	v_div_fmas_f64 v[188:189], v[188:189], v[190:191], v[192:193]
	v_div_fixup_f64 v[188:189], v[188:189], v[184:185], v[186:187]
	s_delay_alu instid0(VALU_DEP_1) | instskip(NEXT) | instid1(VALU_DEP_1)
	v_fma_f64 v[184:185], v[186:187], v[188:189], v[184:185]
	v_div_scale_f64 v[186:187], null, v[184:185], v[184:185], 1.0
	s_delay_alu instid0(VALU_DEP_1) | instskip(SKIP_2) | instid1(VALU_DEP_1)
	v_rcp_f64_e32 v[190:191], v[186:187]
	s_waitcnt_depctr 0xfff
	v_fma_f64 v[192:193], -v[186:187], v[190:191], 1.0
	v_fma_f64 v[190:191], v[190:191], v[192:193], v[190:191]
	s_delay_alu instid0(VALU_DEP_1) | instskip(NEXT) | instid1(VALU_DEP_1)
	v_fma_f64 v[192:193], -v[186:187], v[190:191], 1.0
	v_fma_f64 v[190:191], v[190:191], v[192:193], v[190:191]
	v_div_scale_f64 v[192:193], vcc_lo, 1.0, v[184:185], 1.0
	s_delay_alu instid0(VALU_DEP_1) | instskip(NEXT) | instid1(VALU_DEP_1)
	v_mul_f64 v[194:195], v[192:193], v[190:191]
	v_fma_f64 v[186:187], -v[186:187], v[194:195], v[192:193]
	s_delay_alu instid0(VALU_DEP_1) | instskip(NEXT) | instid1(VALU_DEP_1)
	v_div_fmas_f64 v[186:187], v[186:187], v[190:191], v[194:195]
	v_div_fixup_f64 v[192:193], v[186:187], v[184:185], 1.0
	s_delay_alu instid0(VALU_DEP_1)
	v_mul_f64 v[190:191], v[188:189], -v[192:193]
.LBB91_133:
	s_or_b32 exec_lo, exec_lo, s3
	ds_store_2addr_b64 v227, v[192:193], v[190:191] offset1:1
.LBB91_134:
	s_or_b32 exec_lo, exec_lo, s4
	s_waitcnt lgkmcnt(0)
	s_barrier
	buffer_gl0_inv
	ds_load_2addr_b64 v[184:187], v227 offset1:1
	s_mov_b32 s3, exec_lo
	s_waitcnt lgkmcnt(0)
	scratch_store_b128 off, v[184:187], off offset:496 ; 16-byte Folded Spill
	v_cmpx_lt_u32_e32 14, v226
	s_cbranch_execz .LBB91_136
; %bb.135:
	scratch_load_b128 v[186:189], off, off offset:496 ; 16-byte Folded Reload
	s_waitcnt vmcnt(0)
	v_mul_f64 v[184:185], v[188:189], v[126:127]
	v_mul_f64 v[126:127], v[186:187], v[126:127]
	s_delay_alu instid0(VALU_DEP_2) | instskip(NEXT) | instid1(VALU_DEP_2)
	v_fma_f64 v[184:185], v[186:187], v[124:125], -v[184:185]
	v_fma_f64 v[126:127], v[188:189], v[124:125], v[126:127]
	ds_load_2addr_b64 v[186:189], v228 offset0:30 offset1:31
	s_waitcnt lgkmcnt(0)
	v_mul_f64 v[124:125], v[188:189], v[126:127]
	s_delay_alu instid0(VALU_DEP_1) | instskip(SKIP_1) | instid1(VALU_DEP_2)
	v_fma_f64 v[124:125], v[186:187], v[184:185], -v[124:125]
	v_mul_f64 v[186:187], v[186:187], v[126:127]
	v_add_f64 v[120:121], v[120:121], -v[124:125]
	s_delay_alu instid0(VALU_DEP_2) | instskip(NEXT) | instid1(VALU_DEP_1)
	v_fma_f64 v[186:187], v[188:189], v[184:185], v[186:187]
	v_add_f64 v[122:123], v[122:123], -v[186:187]
	ds_load_2addr_b64 v[186:189], v228 offset0:32 offset1:33
	s_waitcnt lgkmcnt(0)
	v_mul_f64 v[124:125], v[188:189], v[126:127]
	s_delay_alu instid0(VALU_DEP_1) | instskip(SKIP_1) | instid1(VALU_DEP_2)
	v_fma_f64 v[124:125], v[186:187], v[184:185], -v[124:125]
	v_mul_f64 v[186:187], v[186:187], v[126:127]
	v_add_f64 v[116:117], v[116:117], -v[124:125]
	s_delay_alu instid0(VALU_DEP_2) | instskip(NEXT) | instid1(VALU_DEP_1)
	v_fma_f64 v[186:187], v[188:189], v[184:185], v[186:187]
	v_add_f64 v[118:119], v[118:119], -v[186:187]
	;; [unrolled: 10-line block ×30, first 2 shown]
	ds_load_2addr_b64 v[186:189], v228 offset0:90 offset1:91
	s_waitcnt lgkmcnt(0)
	v_mul_f64 v[124:125], v[188:189], v[126:127]
	s_delay_alu instid0(VALU_DEP_1) | instskip(SKIP_1) | instid1(VALU_DEP_2)
	v_fma_f64 v[124:125], v[186:187], v[184:185], -v[124:125]
	v_mul_f64 v[186:187], v[186:187], v[126:127]
	v_add_f64 v[0:1], v[0:1], -v[124:125]
	s_delay_alu instid0(VALU_DEP_2) | instskip(SKIP_1) | instid1(VALU_DEP_2)
	v_fma_f64 v[186:187], v[188:189], v[184:185], v[186:187]
	v_dual_mov_b32 v124, v184 :: v_dual_mov_b32 v125, v185
	v_add_f64 v[2:3], v[2:3], -v[186:187]
.LBB91_136:
	s_or_b32 exec_lo, exec_lo, s3
	s_delay_alu instid0(SALU_CYCLE_1)
	s_mov_b32 s4, exec_lo
	s_waitcnt_vscnt null, 0x0
	s_barrier
	buffer_gl0_inv
	v_cmpx_eq_u32_e32 15, v226
	s_cbranch_execz .LBB91_143
; %bb.137:
	ds_store_2addr_b64 v227, v[120:121], v[122:123] offset1:1
	ds_store_2addr_b64 v228, v[116:117], v[118:119] offset0:32 offset1:33
	ds_store_2addr_b64 v228, v[112:113], v[114:115] offset0:34 offset1:35
	;; [unrolled: 1-line block ×30, first 2 shown]
	ds_load_2addr_b64 v[184:187], v227 offset1:1
	s_waitcnt lgkmcnt(0)
	v_cmp_neq_f64_e32 vcc_lo, 0, v[184:185]
	v_cmp_neq_f64_e64 s3, 0, v[186:187]
	s_delay_alu instid0(VALU_DEP_1) | instskip(NEXT) | instid1(SALU_CYCLE_1)
	s_or_b32 s3, vcc_lo, s3
	s_and_b32 exec_lo, exec_lo, s3
	s_cbranch_execz .LBB91_143
; %bb.138:
	v_cmp_gt_f64_e32 vcc_lo, 0, v[184:185]
	v_xor_b32_e32 v188, 0x80000000, v185
	v_xor_b32_e32 v190, 0x80000000, v187
	s_mov_b32 s3, exec_lo
                                        ; implicit-def: $vgpr192_vgpr193
	s_delay_alu instid0(VALU_DEP_2) | instskip(SKIP_4) | instid1(VALU_DEP_1)
	v_cndmask_b32_e32 v189, v185, v188, vcc_lo
	v_cndmask_b32_e32 v188, v184, v184, vcc_lo
	v_cmp_gt_f64_e32 vcc_lo, 0, v[186:187]
	v_cndmask_b32_e32 v191, v187, v190, vcc_lo
	v_cndmask_b32_e32 v190, v186, v186, vcc_lo
	v_cmpx_ngt_f64_e32 v[188:189], v[190:191]
	s_xor_b32 s3, exec_lo, s3
                                        ; implicit-def: $vgpr188_vgpr189_vgpr190_vgpr191
	s_cbranch_execz .LBB91_140
; %bb.139:
	v_div_scale_f64 v[188:189], null, v[186:187], v[186:187], v[184:185]
	v_div_scale_f64 v[194:195], vcc_lo, v[184:185], v[186:187], v[184:185]
	s_delay_alu instid0(VALU_DEP_2) | instskip(SKIP_2) | instid1(VALU_DEP_1)
	v_rcp_f64_e32 v[190:191], v[188:189]
	s_waitcnt_depctr 0xfff
	v_fma_f64 v[192:193], -v[188:189], v[190:191], 1.0
	v_fma_f64 v[190:191], v[190:191], v[192:193], v[190:191]
	s_delay_alu instid0(VALU_DEP_1) | instskip(NEXT) | instid1(VALU_DEP_1)
	v_fma_f64 v[192:193], -v[188:189], v[190:191], 1.0
	v_fma_f64 v[190:191], v[190:191], v[192:193], v[190:191]
	s_delay_alu instid0(VALU_DEP_1) | instskip(NEXT) | instid1(VALU_DEP_1)
	v_mul_f64 v[192:193], v[194:195], v[190:191]
	v_fma_f64 v[188:189], -v[188:189], v[192:193], v[194:195]
	s_delay_alu instid0(VALU_DEP_1) | instskip(NEXT) | instid1(VALU_DEP_1)
	v_div_fmas_f64 v[188:189], v[188:189], v[190:191], v[192:193]
	v_div_fixup_f64 v[188:189], v[188:189], v[186:187], v[184:185]
	s_delay_alu instid0(VALU_DEP_1) | instskip(NEXT) | instid1(VALU_DEP_1)
	v_fma_f64 v[184:185], v[184:185], v[188:189], v[186:187]
	v_div_scale_f64 v[186:187], null, v[184:185], v[184:185], 1.0
	s_delay_alu instid0(VALU_DEP_1) | instskip(SKIP_2) | instid1(VALU_DEP_1)
	v_rcp_f64_e32 v[190:191], v[186:187]
	s_waitcnt_depctr 0xfff
	v_fma_f64 v[192:193], -v[186:187], v[190:191], 1.0
	v_fma_f64 v[190:191], v[190:191], v[192:193], v[190:191]
	s_delay_alu instid0(VALU_DEP_1) | instskip(NEXT) | instid1(VALU_DEP_1)
	v_fma_f64 v[192:193], -v[186:187], v[190:191], 1.0
	v_fma_f64 v[190:191], v[190:191], v[192:193], v[190:191]
	v_div_scale_f64 v[192:193], vcc_lo, 1.0, v[184:185], 1.0
	s_delay_alu instid0(VALU_DEP_1) | instskip(NEXT) | instid1(VALU_DEP_1)
	v_mul_f64 v[194:195], v[192:193], v[190:191]
	v_fma_f64 v[186:187], -v[186:187], v[194:195], v[192:193]
	s_delay_alu instid0(VALU_DEP_1) | instskip(NEXT) | instid1(VALU_DEP_1)
	v_div_fmas_f64 v[186:187], v[186:187], v[190:191], v[194:195]
	v_div_fixup_f64 v[190:191], v[186:187], v[184:185], 1.0
                                        ; implicit-def: $vgpr184_vgpr185
	s_delay_alu instid0(VALU_DEP_1)
	v_mul_f64 v[192:193], v[188:189], v[190:191]
	v_xor_b32_e32 v191, 0x80000000, v191
.LBB91_140:
	s_and_not1_saveexec_b32 s3, s3
	s_cbranch_execz .LBB91_142
; %bb.141:
	v_div_scale_f64 v[188:189], null, v[184:185], v[184:185], v[186:187]
	v_div_scale_f64 v[194:195], vcc_lo, v[186:187], v[184:185], v[186:187]
	s_delay_alu instid0(VALU_DEP_2) | instskip(SKIP_2) | instid1(VALU_DEP_1)
	v_rcp_f64_e32 v[190:191], v[188:189]
	s_waitcnt_depctr 0xfff
	v_fma_f64 v[192:193], -v[188:189], v[190:191], 1.0
	v_fma_f64 v[190:191], v[190:191], v[192:193], v[190:191]
	s_delay_alu instid0(VALU_DEP_1) | instskip(NEXT) | instid1(VALU_DEP_1)
	v_fma_f64 v[192:193], -v[188:189], v[190:191], 1.0
	v_fma_f64 v[190:191], v[190:191], v[192:193], v[190:191]
	s_delay_alu instid0(VALU_DEP_1) | instskip(NEXT) | instid1(VALU_DEP_1)
	v_mul_f64 v[192:193], v[194:195], v[190:191]
	v_fma_f64 v[188:189], -v[188:189], v[192:193], v[194:195]
	s_delay_alu instid0(VALU_DEP_1) | instskip(NEXT) | instid1(VALU_DEP_1)
	v_div_fmas_f64 v[188:189], v[188:189], v[190:191], v[192:193]
	v_div_fixup_f64 v[188:189], v[188:189], v[184:185], v[186:187]
	s_delay_alu instid0(VALU_DEP_1) | instskip(NEXT) | instid1(VALU_DEP_1)
	v_fma_f64 v[184:185], v[186:187], v[188:189], v[184:185]
	v_div_scale_f64 v[186:187], null, v[184:185], v[184:185], 1.0
	s_delay_alu instid0(VALU_DEP_1) | instskip(SKIP_2) | instid1(VALU_DEP_1)
	v_rcp_f64_e32 v[190:191], v[186:187]
	s_waitcnt_depctr 0xfff
	v_fma_f64 v[192:193], -v[186:187], v[190:191], 1.0
	v_fma_f64 v[190:191], v[190:191], v[192:193], v[190:191]
	s_delay_alu instid0(VALU_DEP_1) | instskip(NEXT) | instid1(VALU_DEP_1)
	v_fma_f64 v[192:193], -v[186:187], v[190:191], 1.0
	v_fma_f64 v[190:191], v[190:191], v[192:193], v[190:191]
	v_div_scale_f64 v[192:193], vcc_lo, 1.0, v[184:185], 1.0
	s_delay_alu instid0(VALU_DEP_1) | instskip(NEXT) | instid1(VALU_DEP_1)
	v_mul_f64 v[194:195], v[192:193], v[190:191]
	v_fma_f64 v[186:187], -v[186:187], v[194:195], v[192:193]
	s_delay_alu instid0(VALU_DEP_1) | instskip(NEXT) | instid1(VALU_DEP_1)
	v_div_fmas_f64 v[186:187], v[186:187], v[190:191], v[194:195]
	v_div_fixup_f64 v[192:193], v[186:187], v[184:185], 1.0
	s_delay_alu instid0(VALU_DEP_1)
	v_mul_f64 v[190:191], v[188:189], -v[192:193]
.LBB91_142:
	s_or_b32 exec_lo, exec_lo, s3
	ds_store_2addr_b64 v227, v[192:193], v[190:191] offset1:1
.LBB91_143:
	s_or_b32 exec_lo, exec_lo, s4
	s_waitcnt lgkmcnt(0)
	s_barrier
	buffer_gl0_inv
	ds_load_2addr_b64 v[184:187], v227 offset1:1
	s_mov_b32 s3, exec_lo
	s_waitcnt lgkmcnt(0)
	scratch_store_b128 off, v[184:187], off offset:512 ; 16-byte Folded Spill
	v_cmpx_lt_u32_e32 15, v226
	s_cbranch_execz .LBB91_145
; %bb.144:
	scratch_load_b128 v[186:189], off, off offset:512 ; 16-byte Folded Reload
	s_waitcnt vmcnt(0)
	v_mul_f64 v[184:185], v[188:189], v[122:123]
	v_mul_f64 v[122:123], v[186:187], v[122:123]
	s_delay_alu instid0(VALU_DEP_2) | instskip(NEXT) | instid1(VALU_DEP_2)
	v_fma_f64 v[184:185], v[186:187], v[120:121], -v[184:185]
	v_fma_f64 v[122:123], v[188:189], v[120:121], v[122:123]
	ds_load_2addr_b64 v[186:189], v228 offset0:32 offset1:33
	s_waitcnt lgkmcnt(0)
	v_mul_f64 v[120:121], v[188:189], v[122:123]
	s_delay_alu instid0(VALU_DEP_1) | instskip(SKIP_1) | instid1(VALU_DEP_2)
	v_fma_f64 v[120:121], v[186:187], v[184:185], -v[120:121]
	v_mul_f64 v[186:187], v[186:187], v[122:123]
	v_add_f64 v[116:117], v[116:117], -v[120:121]
	s_delay_alu instid0(VALU_DEP_2) | instskip(NEXT) | instid1(VALU_DEP_1)
	v_fma_f64 v[186:187], v[188:189], v[184:185], v[186:187]
	v_add_f64 v[118:119], v[118:119], -v[186:187]
	ds_load_2addr_b64 v[186:189], v228 offset0:34 offset1:35
	s_waitcnt lgkmcnt(0)
	v_mul_f64 v[120:121], v[188:189], v[122:123]
	s_delay_alu instid0(VALU_DEP_1) | instskip(SKIP_1) | instid1(VALU_DEP_2)
	v_fma_f64 v[120:121], v[186:187], v[184:185], -v[120:121]
	v_mul_f64 v[186:187], v[186:187], v[122:123]
	v_add_f64 v[112:113], v[112:113], -v[120:121]
	s_delay_alu instid0(VALU_DEP_2) | instskip(NEXT) | instid1(VALU_DEP_1)
	v_fma_f64 v[186:187], v[188:189], v[184:185], v[186:187]
	v_add_f64 v[114:115], v[114:115], -v[186:187]
	;; [unrolled: 10-line block ×29, first 2 shown]
	ds_load_2addr_b64 v[186:189], v228 offset0:90 offset1:91
	s_waitcnt lgkmcnt(0)
	v_mul_f64 v[120:121], v[188:189], v[122:123]
	s_delay_alu instid0(VALU_DEP_1) | instskip(SKIP_1) | instid1(VALU_DEP_2)
	v_fma_f64 v[120:121], v[186:187], v[184:185], -v[120:121]
	v_mul_f64 v[186:187], v[186:187], v[122:123]
	v_add_f64 v[0:1], v[0:1], -v[120:121]
	s_delay_alu instid0(VALU_DEP_2) | instskip(SKIP_1) | instid1(VALU_DEP_2)
	v_fma_f64 v[186:187], v[188:189], v[184:185], v[186:187]
	v_dual_mov_b32 v120, v184 :: v_dual_mov_b32 v121, v185
	v_add_f64 v[2:3], v[2:3], -v[186:187]
.LBB91_145:
	s_or_b32 exec_lo, exec_lo, s3
	s_delay_alu instid0(SALU_CYCLE_1)
	s_mov_b32 s4, exec_lo
	s_waitcnt_vscnt null, 0x0
	s_barrier
	buffer_gl0_inv
	v_cmpx_eq_u32_e32 16, v226
	s_cbranch_execz .LBB91_152
; %bb.146:
	ds_store_2addr_b64 v227, v[116:117], v[118:119] offset1:1
	ds_store_2addr_b64 v228, v[112:113], v[114:115] offset0:34 offset1:35
	ds_store_2addr_b64 v228, v[108:109], v[110:111] offset0:36 offset1:37
	;; [unrolled: 1-line block ×29, first 2 shown]
	ds_load_2addr_b64 v[184:187], v227 offset1:1
	s_waitcnt lgkmcnt(0)
	v_cmp_neq_f64_e32 vcc_lo, 0, v[184:185]
	v_cmp_neq_f64_e64 s3, 0, v[186:187]
	s_delay_alu instid0(VALU_DEP_1) | instskip(NEXT) | instid1(SALU_CYCLE_1)
	s_or_b32 s3, vcc_lo, s3
	s_and_b32 exec_lo, exec_lo, s3
	s_cbranch_execz .LBB91_152
; %bb.147:
	v_cmp_gt_f64_e32 vcc_lo, 0, v[184:185]
	v_xor_b32_e32 v188, 0x80000000, v185
	v_xor_b32_e32 v190, 0x80000000, v187
	s_mov_b32 s3, exec_lo
                                        ; implicit-def: $vgpr192_vgpr193
	s_delay_alu instid0(VALU_DEP_2) | instskip(SKIP_4) | instid1(VALU_DEP_1)
	v_cndmask_b32_e32 v189, v185, v188, vcc_lo
	v_cndmask_b32_e32 v188, v184, v184, vcc_lo
	v_cmp_gt_f64_e32 vcc_lo, 0, v[186:187]
	v_cndmask_b32_e32 v191, v187, v190, vcc_lo
	v_cndmask_b32_e32 v190, v186, v186, vcc_lo
	v_cmpx_ngt_f64_e32 v[188:189], v[190:191]
	s_xor_b32 s3, exec_lo, s3
                                        ; implicit-def: $vgpr188_vgpr189_vgpr190_vgpr191
	s_cbranch_execz .LBB91_149
; %bb.148:
	v_div_scale_f64 v[188:189], null, v[186:187], v[186:187], v[184:185]
	v_div_scale_f64 v[194:195], vcc_lo, v[184:185], v[186:187], v[184:185]
	s_delay_alu instid0(VALU_DEP_2) | instskip(SKIP_2) | instid1(VALU_DEP_1)
	v_rcp_f64_e32 v[190:191], v[188:189]
	s_waitcnt_depctr 0xfff
	v_fma_f64 v[192:193], -v[188:189], v[190:191], 1.0
	v_fma_f64 v[190:191], v[190:191], v[192:193], v[190:191]
	s_delay_alu instid0(VALU_DEP_1) | instskip(NEXT) | instid1(VALU_DEP_1)
	v_fma_f64 v[192:193], -v[188:189], v[190:191], 1.0
	v_fma_f64 v[190:191], v[190:191], v[192:193], v[190:191]
	s_delay_alu instid0(VALU_DEP_1) | instskip(NEXT) | instid1(VALU_DEP_1)
	v_mul_f64 v[192:193], v[194:195], v[190:191]
	v_fma_f64 v[188:189], -v[188:189], v[192:193], v[194:195]
	s_delay_alu instid0(VALU_DEP_1) | instskip(NEXT) | instid1(VALU_DEP_1)
	v_div_fmas_f64 v[188:189], v[188:189], v[190:191], v[192:193]
	v_div_fixup_f64 v[188:189], v[188:189], v[186:187], v[184:185]
	s_delay_alu instid0(VALU_DEP_1) | instskip(NEXT) | instid1(VALU_DEP_1)
	v_fma_f64 v[184:185], v[184:185], v[188:189], v[186:187]
	v_div_scale_f64 v[186:187], null, v[184:185], v[184:185], 1.0
	s_delay_alu instid0(VALU_DEP_1) | instskip(SKIP_2) | instid1(VALU_DEP_1)
	v_rcp_f64_e32 v[190:191], v[186:187]
	s_waitcnt_depctr 0xfff
	v_fma_f64 v[192:193], -v[186:187], v[190:191], 1.0
	v_fma_f64 v[190:191], v[190:191], v[192:193], v[190:191]
	s_delay_alu instid0(VALU_DEP_1) | instskip(NEXT) | instid1(VALU_DEP_1)
	v_fma_f64 v[192:193], -v[186:187], v[190:191], 1.0
	v_fma_f64 v[190:191], v[190:191], v[192:193], v[190:191]
	v_div_scale_f64 v[192:193], vcc_lo, 1.0, v[184:185], 1.0
	s_delay_alu instid0(VALU_DEP_1) | instskip(NEXT) | instid1(VALU_DEP_1)
	v_mul_f64 v[194:195], v[192:193], v[190:191]
	v_fma_f64 v[186:187], -v[186:187], v[194:195], v[192:193]
	s_delay_alu instid0(VALU_DEP_1) | instskip(NEXT) | instid1(VALU_DEP_1)
	v_div_fmas_f64 v[186:187], v[186:187], v[190:191], v[194:195]
	v_div_fixup_f64 v[190:191], v[186:187], v[184:185], 1.0
                                        ; implicit-def: $vgpr184_vgpr185
	s_delay_alu instid0(VALU_DEP_1)
	v_mul_f64 v[192:193], v[188:189], v[190:191]
	v_xor_b32_e32 v191, 0x80000000, v191
.LBB91_149:
	s_and_not1_saveexec_b32 s3, s3
	s_cbranch_execz .LBB91_151
; %bb.150:
	v_div_scale_f64 v[188:189], null, v[184:185], v[184:185], v[186:187]
	v_div_scale_f64 v[194:195], vcc_lo, v[186:187], v[184:185], v[186:187]
	s_delay_alu instid0(VALU_DEP_2) | instskip(SKIP_2) | instid1(VALU_DEP_1)
	v_rcp_f64_e32 v[190:191], v[188:189]
	s_waitcnt_depctr 0xfff
	v_fma_f64 v[192:193], -v[188:189], v[190:191], 1.0
	v_fma_f64 v[190:191], v[190:191], v[192:193], v[190:191]
	s_delay_alu instid0(VALU_DEP_1) | instskip(NEXT) | instid1(VALU_DEP_1)
	v_fma_f64 v[192:193], -v[188:189], v[190:191], 1.0
	v_fma_f64 v[190:191], v[190:191], v[192:193], v[190:191]
	s_delay_alu instid0(VALU_DEP_1) | instskip(NEXT) | instid1(VALU_DEP_1)
	v_mul_f64 v[192:193], v[194:195], v[190:191]
	v_fma_f64 v[188:189], -v[188:189], v[192:193], v[194:195]
	s_delay_alu instid0(VALU_DEP_1) | instskip(NEXT) | instid1(VALU_DEP_1)
	v_div_fmas_f64 v[188:189], v[188:189], v[190:191], v[192:193]
	v_div_fixup_f64 v[188:189], v[188:189], v[184:185], v[186:187]
	s_delay_alu instid0(VALU_DEP_1) | instskip(NEXT) | instid1(VALU_DEP_1)
	v_fma_f64 v[184:185], v[186:187], v[188:189], v[184:185]
	v_div_scale_f64 v[186:187], null, v[184:185], v[184:185], 1.0
	s_delay_alu instid0(VALU_DEP_1) | instskip(SKIP_2) | instid1(VALU_DEP_1)
	v_rcp_f64_e32 v[190:191], v[186:187]
	s_waitcnt_depctr 0xfff
	v_fma_f64 v[192:193], -v[186:187], v[190:191], 1.0
	v_fma_f64 v[190:191], v[190:191], v[192:193], v[190:191]
	s_delay_alu instid0(VALU_DEP_1) | instskip(NEXT) | instid1(VALU_DEP_1)
	v_fma_f64 v[192:193], -v[186:187], v[190:191], 1.0
	v_fma_f64 v[190:191], v[190:191], v[192:193], v[190:191]
	v_div_scale_f64 v[192:193], vcc_lo, 1.0, v[184:185], 1.0
	s_delay_alu instid0(VALU_DEP_1) | instskip(NEXT) | instid1(VALU_DEP_1)
	v_mul_f64 v[194:195], v[192:193], v[190:191]
	v_fma_f64 v[186:187], -v[186:187], v[194:195], v[192:193]
	s_delay_alu instid0(VALU_DEP_1) | instskip(NEXT) | instid1(VALU_DEP_1)
	v_div_fmas_f64 v[186:187], v[186:187], v[190:191], v[194:195]
	v_div_fixup_f64 v[192:193], v[186:187], v[184:185], 1.0
	s_delay_alu instid0(VALU_DEP_1)
	v_mul_f64 v[190:191], v[188:189], -v[192:193]
.LBB91_151:
	s_or_b32 exec_lo, exec_lo, s3
	ds_store_2addr_b64 v227, v[192:193], v[190:191] offset1:1
.LBB91_152:
	s_or_b32 exec_lo, exec_lo, s4
	s_waitcnt lgkmcnt(0)
	s_barrier
	buffer_gl0_inv
	ds_load_2addr_b64 v[184:187], v227 offset1:1
	s_mov_b32 s3, exec_lo
	s_waitcnt lgkmcnt(0)
	scratch_store_b128 off, v[184:187], off offset:528 ; 16-byte Folded Spill
	v_cmpx_lt_u32_e32 16, v226
	s_cbranch_execz .LBB91_154
; %bb.153:
	scratch_load_b128 v[186:189], off, off offset:528 ; 16-byte Folded Reload
	s_waitcnt vmcnt(0)
	v_mul_f64 v[184:185], v[188:189], v[118:119]
	v_mul_f64 v[118:119], v[186:187], v[118:119]
	s_delay_alu instid0(VALU_DEP_2) | instskip(NEXT) | instid1(VALU_DEP_2)
	v_fma_f64 v[184:185], v[186:187], v[116:117], -v[184:185]
	v_fma_f64 v[118:119], v[188:189], v[116:117], v[118:119]
	ds_load_2addr_b64 v[186:189], v228 offset0:34 offset1:35
	s_waitcnt lgkmcnt(0)
	v_mul_f64 v[116:117], v[188:189], v[118:119]
	s_delay_alu instid0(VALU_DEP_1) | instskip(SKIP_1) | instid1(VALU_DEP_2)
	v_fma_f64 v[116:117], v[186:187], v[184:185], -v[116:117]
	v_mul_f64 v[186:187], v[186:187], v[118:119]
	v_add_f64 v[112:113], v[112:113], -v[116:117]
	s_delay_alu instid0(VALU_DEP_2) | instskip(NEXT) | instid1(VALU_DEP_1)
	v_fma_f64 v[186:187], v[188:189], v[184:185], v[186:187]
	v_add_f64 v[114:115], v[114:115], -v[186:187]
	ds_load_2addr_b64 v[186:189], v228 offset0:36 offset1:37
	s_waitcnt lgkmcnt(0)
	v_mul_f64 v[116:117], v[188:189], v[118:119]
	s_delay_alu instid0(VALU_DEP_1) | instskip(SKIP_1) | instid1(VALU_DEP_2)
	v_fma_f64 v[116:117], v[186:187], v[184:185], -v[116:117]
	v_mul_f64 v[186:187], v[186:187], v[118:119]
	v_add_f64 v[108:109], v[108:109], -v[116:117]
	s_delay_alu instid0(VALU_DEP_2) | instskip(NEXT) | instid1(VALU_DEP_1)
	v_fma_f64 v[186:187], v[188:189], v[184:185], v[186:187]
	v_add_f64 v[110:111], v[110:111], -v[186:187]
	;; [unrolled: 10-line block ×28, first 2 shown]
	ds_load_2addr_b64 v[186:189], v228 offset0:90 offset1:91
	s_waitcnt lgkmcnt(0)
	v_mul_f64 v[116:117], v[188:189], v[118:119]
	s_delay_alu instid0(VALU_DEP_1) | instskip(SKIP_1) | instid1(VALU_DEP_2)
	v_fma_f64 v[116:117], v[186:187], v[184:185], -v[116:117]
	v_mul_f64 v[186:187], v[186:187], v[118:119]
	v_add_f64 v[0:1], v[0:1], -v[116:117]
	s_delay_alu instid0(VALU_DEP_2) | instskip(SKIP_1) | instid1(VALU_DEP_2)
	v_fma_f64 v[186:187], v[188:189], v[184:185], v[186:187]
	v_dual_mov_b32 v116, v184 :: v_dual_mov_b32 v117, v185
	v_add_f64 v[2:3], v[2:3], -v[186:187]
.LBB91_154:
	s_or_b32 exec_lo, exec_lo, s3
	s_delay_alu instid0(SALU_CYCLE_1)
	s_mov_b32 s4, exec_lo
	s_waitcnt_vscnt null, 0x0
	s_barrier
	buffer_gl0_inv
	v_cmpx_eq_u32_e32 17, v226
	s_cbranch_execz .LBB91_161
; %bb.155:
	ds_store_2addr_b64 v227, v[112:113], v[114:115] offset1:1
	ds_store_2addr_b64 v228, v[108:109], v[110:111] offset0:36 offset1:37
	ds_store_2addr_b64 v228, v[104:105], v[106:107] offset0:38 offset1:39
	;; [unrolled: 1-line block ×28, first 2 shown]
	ds_load_2addr_b64 v[184:187], v227 offset1:1
	s_waitcnt lgkmcnt(0)
	v_cmp_neq_f64_e32 vcc_lo, 0, v[184:185]
	v_cmp_neq_f64_e64 s3, 0, v[186:187]
	s_delay_alu instid0(VALU_DEP_1) | instskip(NEXT) | instid1(SALU_CYCLE_1)
	s_or_b32 s3, vcc_lo, s3
	s_and_b32 exec_lo, exec_lo, s3
	s_cbranch_execz .LBB91_161
; %bb.156:
	v_cmp_gt_f64_e32 vcc_lo, 0, v[184:185]
	v_xor_b32_e32 v188, 0x80000000, v185
	v_xor_b32_e32 v190, 0x80000000, v187
	s_mov_b32 s3, exec_lo
                                        ; implicit-def: $vgpr192_vgpr193
	s_delay_alu instid0(VALU_DEP_2) | instskip(SKIP_4) | instid1(VALU_DEP_1)
	v_cndmask_b32_e32 v189, v185, v188, vcc_lo
	v_cndmask_b32_e32 v188, v184, v184, vcc_lo
	v_cmp_gt_f64_e32 vcc_lo, 0, v[186:187]
	v_cndmask_b32_e32 v191, v187, v190, vcc_lo
	v_cndmask_b32_e32 v190, v186, v186, vcc_lo
	v_cmpx_ngt_f64_e32 v[188:189], v[190:191]
	s_xor_b32 s3, exec_lo, s3
                                        ; implicit-def: $vgpr188_vgpr189_vgpr190_vgpr191
	s_cbranch_execz .LBB91_158
; %bb.157:
	v_div_scale_f64 v[188:189], null, v[186:187], v[186:187], v[184:185]
	v_div_scale_f64 v[194:195], vcc_lo, v[184:185], v[186:187], v[184:185]
	s_delay_alu instid0(VALU_DEP_2) | instskip(SKIP_2) | instid1(VALU_DEP_1)
	v_rcp_f64_e32 v[190:191], v[188:189]
	s_waitcnt_depctr 0xfff
	v_fma_f64 v[192:193], -v[188:189], v[190:191], 1.0
	v_fma_f64 v[190:191], v[190:191], v[192:193], v[190:191]
	s_delay_alu instid0(VALU_DEP_1) | instskip(NEXT) | instid1(VALU_DEP_1)
	v_fma_f64 v[192:193], -v[188:189], v[190:191], 1.0
	v_fma_f64 v[190:191], v[190:191], v[192:193], v[190:191]
	s_delay_alu instid0(VALU_DEP_1) | instskip(NEXT) | instid1(VALU_DEP_1)
	v_mul_f64 v[192:193], v[194:195], v[190:191]
	v_fma_f64 v[188:189], -v[188:189], v[192:193], v[194:195]
	s_delay_alu instid0(VALU_DEP_1) | instskip(NEXT) | instid1(VALU_DEP_1)
	v_div_fmas_f64 v[188:189], v[188:189], v[190:191], v[192:193]
	v_div_fixup_f64 v[188:189], v[188:189], v[186:187], v[184:185]
	s_delay_alu instid0(VALU_DEP_1) | instskip(NEXT) | instid1(VALU_DEP_1)
	v_fma_f64 v[184:185], v[184:185], v[188:189], v[186:187]
	v_div_scale_f64 v[186:187], null, v[184:185], v[184:185], 1.0
	s_delay_alu instid0(VALU_DEP_1) | instskip(SKIP_2) | instid1(VALU_DEP_1)
	v_rcp_f64_e32 v[190:191], v[186:187]
	s_waitcnt_depctr 0xfff
	v_fma_f64 v[192:193], -v[186:187], v[190:191], 1.0
	v_fma_f64 v[190:191], v[190:191], v[192:193], v[190:191]
	s_delay_alu instid0(VALU_DEP_1) | instskip(NEXT) | instid1(VALU_DEP_1)
	v_fma_f64 v[192:193], -v[186:187], v[190:191], 1.0
	v_fma_f64 v[190:191], v[190:191], v[192:193], v[190:191]
	v_div_scale_f64 v[192:193], vcc_lo, 1.0, v[184:185], 1.0
	s_delay_alu instid0(VALU_DEP_1) | instskip(NEXT) | instid1(VALU_DEP_1)
	v_mul_f64 v[194:195], v[192:193], v[190:191]
	v_fma_f64 v[186:187], -v[186:187], v[194:195], v[192:193]
	s_delay_alu instid0(VALU_DEP_1) | instskip(NEXT) | instid1(VALU_DEP_1)
	v_div_fmas_f64 v[186:187], v[186:187], v[190:191], v[194:195]
	v_div_fixup_f64 v[190:191], v[186:187], v[184:185], 1.0
                                        ; implicit-def: $vgpr184_vgpr185
	s_delay_alu instid0(VALU_DEP_1)
	v_mul_f64 v[192:193], v[188:189], v[190:191]
	v_xor_b32_e32 v191, 0x80000000, v191
.LBB91_158:
	s_and_not1_saveexec_b32 s3, s3
	s_cbranch_execz .LBB91_160
; %bb.159:
	v_div_scale_f64 v[188:189], null, v[184:185], v[184:185], v[186:187]
	v_div_scale_f64 v[194:195], vcc_lo, v[186:187], v[184:185], v[186:187]
	s_delay_alu instid0(VALU_DEP_2) | instskip(SKIP_2) | instid1(VALU_DEP_1)
	v_rcp_f64_e32 v[190:191], v[188:189]
	s_waitcnt_depctr 0xfff
	v_fma_f64 v[192:193], -v[188:189], v[190:191], 1.0
	v_fma_f64 v[190:191], v[190:191], v[192:193], v[190:191]
	s_delay_alu instid0(VALU_DEP_1) | instskip(NEXT) | instid1(VALU_DEP_1)
	v_fma_f64 v[192:193], -v[188:189], v[190:191], 1.0
	v_fma_f64 v[190:191], v[190:191], v[192:193], v[190:191]
	s_delay_alu instid0(VALU_DEP_1) | instskip(NEXT) | instid1(VALU_DEP_1)
	v_mul_f64 v[192:193], v[194:195], v[190:191]
	v_fma_f64 v[188:189], -v[188:189], v[192:193], v[194:195]
	s_delay_alu instid0(VALU_DEP_1) | instskip(NEXT) | instid1(VALU_DEP_1)
	v_div_fmas_f64 v[188:189], v[188:189], v[190:191], v[192:193]
	v_div_fixup_f64 v[188:189], v[188:189], v[184:185], v[186:187]
	s_delay_alu instid0(VALU_DEP_1) | instskip(NEXT) | instid1(VALU_DEP_1)
	v_fma_f64 v[184:185], v[186:187], v[188:189], v[184:185]
	v_div_scale_f64 v[186:187], null, v[184:185], v[184:185], 1.0
	s_delay_alu instid0(VALU_DEP_1) | instskip(SKIP_2) | instid1(VALU_DEP_1)
	v_rcp_f64_e32 v[190:191], v[186:187]
	s_waitcnt_depctr 0xfff
	v_fma_f64 v[192:193], -v[186:187], v[190:191], 1.0
	v_fma_f64 v[190:191], v[190:191], v[192:193], v[190:191]
	s_delay_alu instid0(VALU_DEP_1) | instskip(NEXT) | instid1(VALU_DEP_1)
	v_fma_f64 v[192:193], -v[186:187], v[190:191], 1.0
	v_fma_f64 v[190:191], v[190:191], v[192:193], v[190:191]
	v_div_scale_f64 v[192:193], vcc_lo, 1.0, v[184:185], 1.0
	s_delay_alu instid0(VALU_DEP_1) | instskip(NEXT) | instid1(VALU_DEP_1)
	v_mul_f64 v[194:195], v[192:193], v[190:191]
	v_fma_f64 v[186:187], -v[186:187], v[194:195], v[192:193]
	s_delay_alu instid0(VALU_DEP_1) | instskip(NEXT) | instid1(VALU_DEP_1)
	v_div_fmas_f64 v[186:187], v[186:187], v[190:191], v[194:195]
	v_div_fixup_f64 v[192:193], v[186:187], v[184:185], 1.0
	s_delay_alu instid0(VALU_DEP_1)
	v_mul_f64 v[190:191], v[188:189], -v[192:193]
.LBB91_160:
	s_or_b32 exec_lo, exec_lo, s3
	ds_store_2addr_b64 v227, v[192:193], v[190:191] offset1:1
.LBB91_161:
	s_or_b32 exec_lo, exec_lo, s4
	s_waitcnt lgkmcnt(0)
	s_barrier
	buffer_gl0_inv
	ds_load_2addr_b64 v[184:187], v227 offset1:1
	s_mov_b32 s3, exec_lo
	s_waitcnt lgkmcnt(0)
	scratch_store_b128 off, v[184:187], off offset:544 ; 16-byte Folded Spill
	v_cmpx_lt_u32_e32 17, v226
	s_cbranch_execz .LBB91_163
; %bb.162:
	scratch_load_b128 v[186:189], off, off offset:544 ; 16-byte Folded Reload
	s_waitcnt vmcnt(0)
	v_mul_f64 v[184:185], v[188:189], v[114:115]
	v_mul_f64 v[114:115], v[186:187], v[114:115]
	s_delay_alu instid0(VALU_DEP_2) | instskip(NEXT) | instid1(VALU_DEP_2)
	v_fma_f64 v[184:185], v[186:187], v[112:113], -v[184:185]
	v_fma_f64 v[114:115], v[188:189], v[112:113], v[114:115]
	ds_load_2addr_b64 v[186:189], v228 offset0:36 offset1:37
	s_waitcnt lgkmcnt(0)
	v_mul_f64 v[112:113], v[188:189], v[114:115]
	s_delay_alu instid0(VALU_DEP_1) | instskip(SKIP_1) | instid1(VALU_DEP_2)
	v_fma_f64 v[112:113], v[186:187], v[184:185], -v[112:113]
	v_mul_f64 v[186:187], v[186:187], v[114:115]
	v_add_f64 v[108:109], v[108:109], -v[112:113]
	s_delay_alu instid0(VALU_DEP_2) | instskip(NEXT) | instid1(VALU_DEP_1)
	v_fma_f64 v[186:187], v[188:189], v[184:185], v[186:187]
	v_add_f64 v[110:111], v[110:111], -v[186:187]
	ds_load_2addr_b64 v[186:189], v228 offset0:38 offset1:39
	s_waitcnt lgkmcnt(0)
	v_mul_f64 v[112:113], v[188:189], v[114:115]
	s_delay_alu instid0(VALU_DEP_1) | instskip(SKIP_1) | instid1(VALU_DEP_2)
	v_fma_f64 v[112:113], v[186:187], v[184:185], -v[112:113]
	v_mul_f64 v[186:187], v[186:187], v[114:115]
	v_add_f64 v[104:105], v[104:105], -v[112:113]
	s_delay_alu instid0(VALU_DEP_2) | instskip(NEXT) | instid1(VALU_DEP_1)
	v_fma_f64 v[186:187], v[188:189], v[184:185], v[186:187]
	v_add_f64 v[106:107], v[106:107], -v[186:187]
	;; [unrolled: 10-line block ×27, first 2 shown]
	ds_load_2addr_b64 v[186:189], v228 offset0:90 offset1:91
	s_waitcnt lgkmcnt(0)
	v_mul_f64 v[112:113], v[188:189], v[114:115]
	s_delay_alu instid0(VALU_DEP_1) | instskip(SKIP_1) | instid1(VALU_DEP_2)
	v_fma_f64 v[112:113], v[186:187], v[184:185], -v[112:113]
	v_mul_f64 v[186:187], v[186:187], v[114:115]
	v_add_f64 v[0:1], v[0:1], -v[112:113]
	s_delay_alu instid0(VALU_DEP_2) | instskip(SKIP_1) | instid1(VALU_DEP_2)
	v_fma_f64 v[186:187], v[188:189], v[184:185], v[186:187]
	v_dual_mov_b32 v112, v184 :: v_dual_mov_b32 v113, v185
	v_add_f64 v[2:3], v[2:3], -v[186:187]
.LBB91_163:
	s_or_b32 exec_lo, exec_lo, s3
	s_delay_alu instid0(SALU_CYCLE_1)
	s_mov_b32 s4, exec_lo
	s_waitcnt_vscnt null, 0x0
	s_barrier
	buffer_gl0_inv
	v_cmpx_eq_u32_e32 18, v226
	s_cbranch_execz .LBB91_170
; %bb.164:
	ds_store_2addr_b64 v227, v[108:109], v[110:111] offset1:1
	ds_store_2addr_b64 v228, v[104:105], v[106:107] offset0:38 offset1:39
	ds_store_2addr_b64 v228, v[100:101], v[102:103] offset0:40 offset1:41
	;; [unrolled: 1-line block ×27, first 2 shown]
	ds_load_2addr_b64 v[184:187], v227 offset1:1
	s_waitcnt lgkmcnt(0)
	v_cmp_neq_f64_e32 vcc_lo, 0, v[184:185]
	v_cmp_neq_f64_e64 s3, 0, v[186:187]
	s_delay_alu instid0(VALU_DEP_1) | instskip(NEXT) | instid1(SALU_CYCLE_1)
	s_or_b32 s3, vcc_lo, s3
	s_and_b32 exec_lo, exec_lo, s3
	s_cbranch_execz .LBB91_170
; %bb.165:
	v_cmp_gt_f64_e32 vcc_lo, 0, v[184:185]
	v_xor_b32_e32 v188, 0x80000000, v185
	v_xor_b32_e32 v190, 0x80000000, v187
	s_mov_b32 s3, exec_lo
                                        ; implicit-def: $vgpr192_vgpr193
	s_delay_alu instid0(VALU_DEP_2) | instskip(SKIP_4) | instid1(VALU_DEP_1)
	v_cndmask_b32_e32 v189, v185, v188, vcc_lo
	v_cndmask_b32_e32 v188, v184, v184, vcc_lo
	v_cmp_gt_f64_e32 vcc_lo, 0, v[186:187]
	v_cndmask_b32_e32 v191, v187, v190, vcc_lo
	v_cndmask_b32_e32 v190, v186, v186, vcc_lo
	v_cmpx_ngt_f64_e32 v[188:189], v[190:191]
	s_xor_b32 s3, exec_lo, s3
                                        ; implicit-def: $vgpr188_vgpr189_vgpr190_vgpr191
	s_cbranch_execz .LBB91_167
; %bb.166:
	v_div_scale_f64 v[188:189], null, v[186:187], v[186:187], v[184:185]
	v_div_scale_f64 v[194:195], vcc_lo, v[184:185], v[186:187], v[184:185]
	s_delay_alu instid0(VALU_DEP_2) | instskip(SKIP_2) | instid1(VALU_DEP_1)
	v_rcp_f64_e32 v[190:191], v[188:189]
	s_waitcnt_depctr 0xfff
	v_fma_f64 v[192:193], -v[188:189], v[190:191], 1.0
	v_fma_f64 v[190:191], v[190:191], v[192:193], v[190:191]
	s_delay_alu instid0(VALU_DEP_1) | instskip(NEXT) | instid1(VALU_DEP_1)
	v_fma_f64 v[192:193], -v[188:189], v[190:191], 1.0
	v_fma_f64 v[190:191], v[190:191], v[192:193], v[190:191]
	s_delay_alu instid0(VALU_DEP_1) | instskip(NEXT) | instid1(VALU_DEP_1)
	v_mul_f64 v[192:193], v[194:195], v[190:191]
	v_fma_f64 v[188:189], -v[188:189], v[192:193], v[194:195]
	s_delay_alu instid0(VALU_DEP_1) | instskip(NEXT) | instid1(VALU_DEP_1)
	v_div_fmas_f64 v[188:189], v[188:189], v[190:191], v[192:193]
	v_div_fixup_f64 v[188:189], v[188:189], v[186:187], v[184:185]
	s_delay_alu instid0(VALU_DEP_1) | instskip(NEXT) | instid1(VALU_DEP_1)
	v_fma_f64 v[184:185], v[184:185], v[188:189], v[186:187]
	v_div_scale_f64 v[186:187], null, v[184:185], v[184:185], 1.0
	s_delay_alu instid0(VALU_DEP_1) | instskip(SKIP_2) | instid1(VALU_DEP_1)
	v_rcp_f64_e32 v[190:191], v[186:187]
	s_waitcnt_depctr 0xfff
	v_fma_f64 v[192:193], -v[186:187], v[190:191], 1.0
	v_fma_f64 v[190:191], v[190:191], v[192:193], v[190:191]
	s_delay_alu instid0(VALU_DEP_1) | instskip(NEXT) | instid1(VALU_DEP_1)
	v_fma_f64 v[192:193], -v[186:187], v[190:191], 1.0
	v_fma_f64 v[190:191], v[190:191], v[192:193], v[190:191]
	v_div_scale_f64 v[192:193], vcc_lo, 1.0, v[184:185], 1.0
	s_delay_alu instid0(VALU_DEP_1) | instskip(NEXT) | instid1(VALU_DEP_1)
	v_mul_f64 v[194:195], v[192:193], v[190:191]
	v_fma_f64 v[186:187], -v[186:187], v[194:195], v[192:193]
	s_delay_alu instid0(VALU_DEP_1) | instskip(NEXT) | instid1(VALU_DEP_1)
	v_div_fmas_f64 v[186:187], v[186:187], v[190:191], v[194:195]
	v_div_fixup_f64 v[190:191], v[186:187], v[184:185], 1.0
                                        ; implicit-def: $vgpr184_vgpr185
	s_delay_alu instid0(VALU_DEP_1)
	v_mul_f64 v[192:193], v[188:189], v[190:191]
	v_xor_b32_e32 v191, 0x80000000, v191
.LBB91_167:
	s_and_not1_saveexec_b32 s3, s3
	s_cbranch_execz .LBB91_169
; %bb.168:
	v_div_scale_f64 v[188:189], null, v[184:185], v[184:185], v[186:187]
	v_div_scale_f64 v[194:195], vcc_lo, v[186:187], v[184:185], v[186:187]
	s_delay_alu instid0(VALU_DEP_2) | instskip(SKIP_2) | instid1(VALU_DEP_1)
	v_rcp_f64_e32 v[190:191], v[188:189]
	s_waitcnt_depctr 0xfff
	v_fma_f64 v[192:193], -v[188:189], v[190:191], 1.0
	v_fma_f64 v[190:191], v[190:191], v[192:193], v[190:191]
	s_delay_alu instid0(VALU_DEP_1) | instskip(NEXT) | instid1(VALU_DEP_1)
	v_fma_f64 v[192:193], -v[188:189], v[190:191], 1.0
	v_fma_f64 v[190:191], v[190:191], v[192:193], v[190:191]
	s_delay_alu instid0(VALU_DEP_1) | instskip(NEXT) | instid1(VALU_DEP_1)
	v_mul_f64 v[192:193], v[194:195], v[190:191]
	v_fma_f64 v[188:189], -v[188:189], v[192:193], v[194:195]
	s_delay_alu instid0(VALU_DEP_1) | instskip(NEXT) | instid1(VALU_DEP_1)
	v_div_fmas_f64 v[188:189], v[188:189], v[190:191], v[192:193]
	v_div_fixup_f64 v[188:189], v[188:189], v[184:185], v[186:187]
	s_delay_alu instid0(VALU_DEP_1) | instskip(NEXT) | instid1(VALU_DEP_1)
	v_fma_f64 v[184:185], v[186:187], v[188:189], v[184:185]
	v_div_scale_f64 v[186:187], null, v[184:185], v[184:185], 1.0
	s_delay_alu instid0(VALU_DEP_1) | instskip(SKIP_2) | instid1(VALU_DEP_1)
	v_rcp_f64_e32 v[190:191], v[186:187]
	s_waitcnt_depctr 0xfff
	v_fma_f64 v[192:193], -v[186:187], v[190:191], 1.0
	v_fma_f64 v[190:191], v[190:191], v[192:193], v[190:191]
	s_delay_alu instid0(VALU_DEP_1) | instskip(NEXT) | instid1(VALU_DEP_1)
	v_fma_f64 v[192:193], -v[186:187], v[190:191], 1.0
	v_fma_f64 v[190:191], v[190:191], v[192:193], v[190:191]
	v_div_scale_f64 v[192:193], vcc_lo, 1.0, v[184:185], 1.0
	s_delay_alu instid0(VALU_DEP_1) | instskip(NEXT) | instid1(VALU_DEP_1)
	v_mul_f64 v[194:195], v[192:193], v[190:191]
	v_fma_f64 v[186:187], -v[186:187], v[194:195], v[192:193]
	s_delay_alu instid0(VALU_DEP_1) | instskip(NEXT) | instid1(VALU_DEP_1)
	v_div_fmas_f64 v[186:187], v[186:187], v[190:191], v[194:195]
	v_div_fixup_f64 v[192:193], v[186:187], v[184:185], 1.0
	s_delay_alu instid0(VALU_DEP_1)
	v_mul_f64 v[190:191], v[188:189], -v[192:193]
.LBB91_169:
	s_or_b32 exec_lo, exec_lo, s3
	ds_store_2addr_b64 v227, v[192:193], v[190:191] offset1:1
.LBB91_170:
	s_or_b32 exec_lo, exec_lo, s4
	s_waitcnt lgkmcnt(0)
	s_barrier
	buffer_gl0_inv
	ds_load_2addr_b64 v[184:187], v227 offset1:1
	s_mov_b32 s3, exec_lo
	s_waitcnt lgkmcnt(0)
	scratch_store_b128 off, v[184:187], off offset:560 ; 16-byte Folded Spill
	v_cmpx_lt_u32_e32 18, v226
	s_cbranch_execz .LBB91_172
; %bb.171:
	scratch_load_b128 v[186:189], off, off offset:560 ; 16-byte Folded Reload
	s_waitcnt vmcnt(0)
	v_mul_f64 v[184:185], v[188:189], v[110:111]
	v_mul_f64 v[110:111], v[186:187], v[110:111]
	s_delay_alu instid0(VALU_DEP_2) | instskip(NEXT) | instid1(VALU_DEP_2)
	v_fma_f64 v[184:185], v[186:187], v[108:109], -v[184:185]
	v_fma_f64 v[110:111], v[188:189], v[108:109], v[110:111]
	ds_load_2addr_b64 v[186:189], v228 offset0:38 offset1:39
	s_waitcnt lgkmcnt(0)
	v_mul_f64 v[108:109], v[188:189], v[110:111]
	s_delay_alu instid0(VALU_DEP_1) | instskip(SKIP_1) | instid1(VALU_DEP_2)
	v_fma_f64 v[108:109], v[186:187], v[184:185], -v[108:109]
	v_mul_f64 v[186:187], v[186:187], v[110:111]
	v_add_f64 v[104:105], v[104:105], -v[108:109]
	s_delay_alu instid0(VALU_DEP_2) | instskip(NEXT) | instid1(VALU_DEP_1)
	v_fma_f64 v[186:187], v[188:189], v[184:185], v[186:187]
	v_add_f64 v[106:107], v[106:107], -v[186:187]
	ds_load_2addr_b64 v[186:189], v228 offset0:40 offset1:41
	s_waitcnt lgkmcnt(0)
	v_mul_f64 v[108:109], v[188:189], v[110:111]
	s_delay_alu instid0(VALU_DEP_1) | instskip(SKIP_1) | instid1(VALU_DEP_2)
	v_fma_f64 v[108:109], v[186:187], v[184:185], -v[108:109]
	v_mul_f64 v[186:187], v[186:187], v[110:111]
	v_add_f64 v[100:101], v[100:101], -v[108:109]
	s_delay_alu instid0(VALU_DEP_2) | instskip(NEXT) | instid1(VALU_DEP_1)
	v_fma_f64 v[186:187], v[188:189], v[184:185], v[186:187]
	v_add_f64 v[102:103], v[102:103], -v[186:187]
	;; [unrolled: 10-line block ×26, first 2 shown]
	ds_load_2addr_b64 v[186:189], v228 offset0:90 offset1:91
	s_waitcnt lgkmcnt(0)
	v_mul_f64 v[108:109], v[188:189], v[110:111]
	s_delay_alu instid0(VALU_DEP_1) | instskip(SKIP_1) | instid1(VALU_DEP_2)
	v_fma_f64 v[108:109], v[186:187], v[184:185], -v[108:109]
	v_mul_f64 v[186:187], v[186:187], v[110:111]
	v_add_f64 v[0:1], v[0:1], -v[108:109]
	s_delay_alu instid0(VALU_DEP_2) | instskip(SKIP_1) | instid1(VALU_DEP_2)
	v_fma_f64 v[186:187], v[188:189], v[184:185], v[186:187]
	v_dual_mov_b32 v108, v184 :: v_dual_mov_b32 v109, v185
	v_add_f64 v[2:3], v[2:3], -v[186:187]
.LBB91_172:
	s_or_b32 exec_lo, exec_lo, s3
	s_delay_alu instid0(SALU_CYCLE_1)
	s_mov_b32 s4, exec_lo
	s_waitcnt_vscnt null, 0x0
	s_barrier
	buffer_gl0_inv
	v_cmpx_eq_u32_e32 19, v226
	s_cbranch_execz .LBB91_179
; %bb.173:
	ds_store_2addr_b64 v227, v[104:105], v[106:107] offset1:1
	ds_store_2addr_b64 v228, v[100:101], v[102:103] offset0:40 offset1:41
	ds_store_2addr_b64 v228, v[96:97], v[98:99] offset0:42 offset1:43
	;; [unrolled: 1-line block ×26, first 2 shown]
	ds_load_2addr_b64 v[184:187], v227 offset1:1
	s_waitcnt lgkmcnt(0)
	v_cmp_neq_f64_e32 vcc_lo, 0, v[184:185]
	v_cmp_neq_f64_e64 s3, 0, v[186:187]
	s_delay_alu instid0(VALU_DEP_1) | instskip(NEXT) | instid1(SALU_CYCLE_1)
	s_or_b32 s3, vcc_lo, s3
	s_and_b32 exec_lo, exec_lo, s3
	s_cbranch_execz .LBB91_179
; %bb.174:
	v_cmp_gt_f64_e32 vcc_lo, 0, v[184:185]
	v_xor_b32_e32 v188, 0x80000000, v185
	v_xor_b32_e32 v190, 0x80000000, v187
	s_mov_b32 s3, exec_lo
                                        ; implicit-def: $vgpr192_vgpr193
	s_delay_alu instid0(VALU_DEP_2) | instskip(SKIP_4) | instid1(VALU_DEP_1)
	v_cndmask_b32_e32 v189, v185, v188, vcc_lo
	v_cndmask_b32_e32 v188, v184, v184, vcc_lo
	v_cmp_gt_f64_e32 vcc_lo, 0, v[186:187]
	v_cndmask_b32_e32 v191, v187, v190, vcc_lo
	v_cndmask_b32_e32 v190, v186, v186, vcc_lo
	v_cmpx_ngt_f64_e32 v[188:189], v[190:191]
	s_xor_b32 s3, exec_lo, s3
                                        ; implicit-def: $vgpr188_vgpr189_vgpr190_vgpr191
	s_cbranch_execz .LBB91_176
; %bb.175:
	v_div_scale_f64 v[188:189], null, v[186:187], v[186:187], v[184:185]
	v_div_scale_f64 v[194:195], vcc_lo, v[184:185], v[186:187], v[184:185]
	s_delay_alu instid0(VALU_DEP_2) | instskip(SKIP_2) | instid1(VALU_DEP_1)
	v_rcp_f64_e32 v[190:191], v[188:189]
	s_waitcnt_depctr 0xfff
	v_fma_f64 v[192:193], -v[188:189], v[190:191], 1.0
	v_fma_f64 v[190:191], v[190:191], v[192:193], v[190:191]
	s_delay_alu instid0(VALU_DEP_1) | instskip(NEXT) | instid1(VALU_DEP_1)
	v_fma_f64 v[192:193], -v[188:189], v[190:191], 1.0
	v_fma_f64 v[190:191], v[190:191], v[192:193], v[190:191]
	s_delay_alu instid0(VALU_DEP_1) | instskip(NEXT) | instid1(VALU_DEP_1)
	v_mul_f64 v[192:193], v[194:195], v[190:191]
	v_fma_f64 v[188:189], -v[188:189], v[192:193], v[194:195]
	s_delay_alu instid0(VALU_DEP_1) | instskip(NEXT) | instid1(VALU_DEP_1)
	v_div_fmas_f64 v[188:189], v[188:189], v[190:191], v[192:193]
	v_div_fixup_f64 v[188:189], v[188:189], v[186:187], v[184:185]
	s_delay_alu instid0(VALU_DEP_1) | instskip(NEXT) | instid1(VALU_DEP_1)
	v_fma_f64 v[184:185], v[184:185], v[188:189], v[186:187]
	v_div_scale_f64 v[186:187], null, v[184:185], v[184:185], 1.0
	s_delay_alu instid0(VALU_DEP_1) | instskip(SKIP_2) | instid1(VALU_DEP_1)
	v_rcp_f64_e32 v[190:191], v[186:187]
	s_waitcnt_depctr 0xfff
	v_fma_f64 v[192:193], -v[186:187], v[190:191], 1.0
	v_fma_f64 v[190:191], v[190:191], v[192:193], v[190:191]
	s_delay_alu instid0(VALU_DEP_1) | instskip(NEXT) | instid1(VALU_DEP_1)
	v_fma_f64 v[192:193], -v[186:187], v[190:191], 1.0
	v_fma_f64 v[190:191], v[190:191], v[192:193], v[190:191]
	v_div_scale_f64 v[192:193], vcc_lo, 1.0, v[184:185], 1.0
	s_delay_alu instid0(VALU_DEP_1) | instskip(NEXT) | instid1(VALU_DEP_1)
	v_mul_f64 v[194:195], v[192:193], v[190:191]
	v_fma_f64 v[186:187], -v[186:187], v[194:195], v[192:193]
	s_delay_alu instid0(VALU_DEP_1) | instskip(NEXT) | instid1(VALU_DEP_1)
	v_div_fmas_f64 v[186:187], v[186:187], v[190:191], v[194:195]
	v_div_fixup_f64 v[190:191], v[186:187], v[184:185], 1.0
                                        ; implicit-def: $vgpr184_vgpr185
	s_delay_alu instid0(VALU_DEP_1)
	v_mul_f64 v[192:193], v[188:189], v[190:191]
	v_xor_b32_e32 v191, 0x80000000, v191
.LBB91_176:
	s_and_not1_saveexec_b32 s3, s3
	s_cbranch_execz .LBB91_178
; %bb.177:
	v_div_scale_f64 v[188:189], null, v[184:185], v[184:185], v[186:187]
	v_div_scale_f64 v[194:195], vcc_lo, v[186:187], v[184:185], v[186:187]
	s_delay_alu instid0(VALU_DEP_2) | instskip(SKIP_2) | instid1(VALU_DEP_1)
	v_rcp_f64_e32 v[190:191], v[188:189]
	s_waitcnt_depctr 0xfff
	v_fma_f64 v[192:193], -v[188:189], v[190:191], 1.0
	v_fma_f64 v[190:191], v[190:191], v[192:193], v[190:191]
	s_delay_alu instid0(VALU_DEP_1) | instskip(NEXT) | instid1(VALU_DEP_1)
	v_fma_f64 v[192:193], -v[188:189], v[190:191], 1.0
	v_fma_f64 v[190:191], v[190:191], v[192:193], v[190:191]
	s_delay_alu instid0(VALU_DEP_1) | instskip(NEXT) | instid1(VALU_DEP_1)
	v_mul_f64 v[192:193], v[194:195], v[190:191]
	v_fma_f64 v[188:189], -v[188:189], v[192:193], v[194:195]
	s_delay_alu instid0(VALU_DEP_1) | instskip(NEXT) | instid1(VALU_DEP_1)
	v_div_fmas_f64 v[188:189], v[188:189], v[190:191], v[192:193]
	v_div_fixup_f64 v[188:189], v[188:189], v[184:185], v[186:187]
	s_delay_alu instid0(VALU_DEP_1) | instskip(NEXT) | instid1(VALU_DEP_1)
	v_fma_f64 v[184:185], v[186:187], v[188:189], v[184:185]
	v_div_scale_f64 v[186:187], null, v[184:185], v[184:185], 1.0
	s_delay_alu instid0(VALU_DEP_1) | instskip(SKIP_2) | instid1(VALU_DEP_1)
	v_rcp_f64_e32 v[190:191], v[186:187]
	s_waitcnt_depctr 0xfff
	v_fma_f64 v[192:193], -v[186:187], v[190:191], 1.0
	v_fma_f64 v[190:191], v[190:191], v[192:193], v[190:191]
	s_delay_alu instid0(VALU_DEP_1) | instskip(NEXT) | instid1(VALU_DEP_1)
	v_fma_f64 v[192:193], -v[186:187], v[190:191], 1.0
	v_fma_f64 v[190:191], v[190:191], v[192:193], v[190:191]
	v_div_scale_f64 v[192:193], vcc_lo, 1.0, v[184:185], 1.0
	s_delay_alu instid0(VALU_DEP_1) | instskip(NEXT) | instid1(VALU_DEP_1)
	v_mul_f64 v[194:195], v[192:193], v[190:191]
	v_fma_f64 v[186:187], -v[186:187], v[194:195], v[192:193]
	s_delay_alu instid0(VALU_DEP_1) | instskip(NEXT) | instid1(VALU_DEP_1)
	v_div_fmas_f64 v[186:187], v[186:187], v[190:191], v[194:195]
	v_div_fixup_f64 v[192:193], v[186:187], v[184:185], 1.0
	s_delay_alu instid0(VALU_DEP_1)
	v_mul_f64 v[190:191], v[188:189], -v[192:193]
.LBB91_178:
	s_or_b32 exec_lo, exec_lo, s3
	ds_store_2addr_b64 v227, v[192:193], v[190:191] offset1:1
.LBB91_179:
	s_or_b32 exec_lo, exec_lo, s4
	s_waitcnt lgkmcnt(0)
	s_barrier
	buffer_gl0_inv
	ds_load_2addr_b64 v[184:187], v227 offset1:1
	s_mov_b32 s3, exec_lo
	s_waitcnt lgkmcnt(0)
	scratch_store_b128 off, v[184:187], off offset:576 ; 16-byte Folded Spill
	v_cmpx_lt_u32_e32 19, v226
	s_cbranch_execz .LBB91_181
; %bb.180:
	scratch_load_b128 v[186:189], off, off offset:576 ; 16-byte Folded Reload
	s_waitcnt vmcnt(0)
	v_mul_f64 v[184:185], v[188:189], v[106:107]
	v_mul_f64 v[106:107], v[186:187], v[106:107]
	s_delay_alu instid0(VALU_DEP_2) | instskip(NEXT) | instid1(VALU_DEP_2)
	v_fma_f64 v[184:185], v[186:187], v[104:105], -v[184:185]
	v_fma_f64 v[106:107], v[188:189], v[104:105], v[106:107]
	ds_load_2addr_b64 v[186:189], v228 offset0:40 offset1:41
	s_waitcnt lgkmcnt(0)
	v_mul_f64 v[104:105], v[188:189], v[106:107]
	s_delay_alu instid0(VALU_DEP_1) | instskip(SKIP_1) | instid1(VALU_DEP_2)
	v_fma_f64 v[104:105], v[186:187], v[184:185], -v[104:105]
	v_mul_f64 v[186:187], v[186:187], v[106:107]
	v_add_f64 v[100:101], v[100:101], -v[104:105]
	s_delay_alu instid0(VALU_DEP_2) | instskip(NEXT) | instid1(VALU_DEP_1)
	v_fma_f64 v[186:187], v[188:189], v[184:185], v[186:187]
	v_add_f64 v[102:103], v[102:103], -v[186:187]
	ds_load_2addr_b64 v[186:189], v228 offset0:42 offset1:43
	s_waitcnt lgkmcnt(0)
	v_mul_f64 v[104:105], v[188:189], v[106:107]
	s_delay_alu instid0(VALU_DEP_1) | instskip(SKIP_1) | instid1(VALU_DEP_2)
	v_fma_f64 v[104:105], v[186:187], v[184:185], -v[104:105]
	v_mul_f64 v[186:187], v[186:187], v[106:107]
	v_add_f64 v[96:97], v[96:97], -v[104:105]
	s_delay_alu instid0(VALU_DEP_2) | instskip(NEXT) | instid1(VALU_DEP_1)
	v_fma_f64 v[186:187], v[188:189], v[184:185], v[186:187]
	v_add_f64 v[98:99], v[98:99], -v[186:187]
	;; [unrolled: 10-line block ×25, first 2 shown]
	ds_load_2addr_b64 v[186:189], v228 offset0:90 offset1:91
	s_waitcnt lgkmcnt(0)
	v_mul_f64 v[104:105], v[188:189], v[106:107]
	s_delay_alu instid0(VALU_DEP_1) | instskip(SKIP_1) | instid1(VALU_DEP_2)
	v_fma_f64 v[104:105], v[186:187], v[184:185], -v[104:105]
	v_mul_f64 v[186:187], v[186:187], v[106:107]
	v_add_f64 v[0:1], v[0:1], -v[104:105]
	s_delay_alu instid0(VALU_DEP_2) | instskip(SKIP_1) | instid1(VALU_DEP_2)
	v_fma_f64 v[186:187], v[188:189], v[184:185], v[186:187]
	v_dual_mov_b32 v104, v184 :: v_dual_mov_b32 v105, v185
	v_add_f64 v[2:3], v[2:3], -v[186:187]
.LBB91_181:
	s_or_b32 exec_lo, exec_lo, s3
	s_delay_alu instid0(SALU_CYCLE_1)
	s_mov_b32 s4, exec_lo
	s_waitcnt_vscnt null, 0x0
	s_barrier
	buffer_gl0_inv
	v_cmpx_eq_u32_e32 20, v226
	s_cbranch_execz .LBB91_188
; %bb.182:
	ds_store_2addr_b64 v227, v[100:101], v[102:103] offset1:1
	ds_store_2addr_b64 v228, v[96:97], v[98:99] offset0:42 offset1:43
	ds_store_2addr_b64 v228, v[92:93], v[94:95] offset0:44 offset1:45
	ds_store_2addr_b64 v228, v[88:89], v[90:91] offset0:46 offset1:47
	ds_store_2addr_b64 v228, v[84:85], v[86:87] offset0:48 offset1:49
	ds_store_2addr_b64 v228, v[80:81], v[82:83] offset0:50 offset1:51
	ds_store_2addr_b64 v228, v[76:77], v[78:79] offset0:52 offset1:53
	ds_store_2addr_b64 v228, v[72:73], v[74:75] offset0:54 offset1:55
	ds_store_2addr_b64 v228, v[68:69], v[70:71] offset0:56 offset1:57
	ds_store_2addr_b64 v228, v[64:65], v[66:67] offset0:58 offset1:59
	ds_store_2addr_b64 v228, v[60:61], v[62:63] offset0:60 offset1:61
	ds_store_2addr_b64 v228, v[56:57], v[58:59] offset0:62 offset1:63
	ds_store_2addr_b64 v228, v[52:53], v[54:55] offset0:64 offset1:65
	ds_store_2addr_b64 v228, v[48:49], v[50:51] offset0:66 offset1:67
	ds_store_2addr_b64 v228, v[44:45], v[46:47] offset0:68 offset1:69
	ds_store_2addr_b64 v228, v[40:41], v[42:43] offset0:70 offset1:71
	ds_store_2addr_b64 v228, v[36:37], v[38:39] offset0:72 offset1:73
	ds_store_2addr_b64 v228, v[32:33], v[34:35] offset0:74 offset1:75
	ds_store_2addr_b64 v228, v[28:29], v[30:31] offset0:76 offset1:77
	ds_store_2addr_b64 v228, v[24:25], v[26:27] offset0:78 offset1:79
	ds_store_2addr_b64 v228, v[20:21], v[22:23] offset0:80 offset1:81
	ds_store_2addr_b64 v228, v[16:17], v[18:19] offset0:82 offset1:83
	ds_store_2addr_b64 v228, v[12:13], v[14:15] offset0:84 offset1:85
	ds_store_2addr_b64 v228, v[8:9], v[10:11] offset0:86 offset1:87
	ds_store_2addr_b64 v228, v[4:5], v[6:7] offset0:88 offset1:89
	ds_store_2addr_b64 v228, v[0:1], v[2:3] offset0:90 offset1:91
	ds_load_2addr_b64 v[184:187], v227 offset1:1
	s_waitcnt lgkmcnt(0)
	v_cmp_neq_f64_e32 vcc_lo, 0, v[184:185]
	v_cmp_neq_f64_e64 s3, 0, v[186:187]
	s_delay_alu instid0(VALU_DEP_1) | instskip(NEXT) | instid1(SALU_CYCLE_1)
	s_or_b32 s3, vcc_lo, s3
	s_and_b32 exec_lo, exec_lo, s3
	s_cbranch_execz .LBB91_188
; %bb.183:
	v_cmp_gt_f64_e32 vcc_lo, 0, v[184:185]
	v_xor_b32_e32 v188, 0x80000000, v185
	v_xor_b32_e32 v190, 0x80000000, v187
	s_mov_b32 s3, exec_lo
                                        ; implicit-def: $vgpr192_vgpr193
	s_delay_alu instid0(VALU_DEP_2) | instskip(SKIP_4) | instid1(VALU_DEP_1)
	v_cndmask_b32_e32 v189, v185, v188, vcc_lo
	v_cndmask_b32_e32 v188, v184, v184, vcc_lo
	v_cmp_gt_f64_e32 vcc_lo, 0, v[186:187]
	v_cndmask_b32_e32 v191, v187, v190, vcc_lo
	v_cndmask_b32_e32 v190, v186, v186, vcc_lo
	v_cmpx_ngt_f64_e32 v[188:189], v[190:191]
	s_xor_b32 s3, exec_lo, s3
                                        ; implicit-def: $vgpr188_vgpr189_vgpr190_vgpr191
	s_cbranch_execz .LBB91_185
; %bb.184:
	v_div_scale_f64 v[188:189], null, v[186:187], v[186:187], v[184:185]
	v_div_scale_f64 v[194:195], vcc_lo, v[184:185], v[186:187], v[184:185]
	s_delay_alu instid0(VALU_DEP_2) | instskip(SKIP_2) | instid1(VALU_DEP_1)
	v_rcp_f64_e32 v[190:191], v[188:189]
	s_waitcnt_depctr 0xfff
	v_fma_f64 v[192:193], -v[188:189], v[190:191], 1.0
	v_fma_f64 v[190:191], v[190:191], v[192:193], v[190:191]
	s_delay_alu instid0(VALU_DEP_1) | instskip(NEXT) | instid1(VALU_DEP_1)
	v_fma_f64 v[192:193], -v[188:189], v[190:191], 1.0
	v_fma_f64 v[190:191], v[190:191], v[192:193], v[190:191]
	s_delay_alu instid0(VALU_DEP_1) | instskip(NEXT) | instid1(VALU_DEP_1)
	v_mul_f64 v[192:193], v[194:195], v[190:191]
	v_fma_f64 v[188:189], -v[188:189], v[192:193], v[194:195]
	s_delay_alu instid0(VALU_DEP_1) | instskip(NEXT) | instid1(VALU_DEP_1)
	v_div_fmas_f64 v[188:189], v[188:189], v[190:191], v[192:193]
	v_div_fixup_f64 v[188:189], v[188:189], v[186:187], v[184:185]
	s_delay_alu instid0(VALU_DEP_1) | instskip(NEXT) | instid1(VALU_DEP_1)
	v_fma_f64 v[184:185], v[184:185], v[188:189], v[186:187]
	v_div_scale_f64 v[186:187], null, v[184:185], v[184:185], 1.0
	s_delay_alu instid0(VALU_DEP_1) | instskip(SKIP_2) | instid1(VALU_DEP_1)
	v_rcp_f64_e32 v[190:191], v[186:187]
	s_waitcnt_depctr 0xfff
	v_fma_f64 v[192:193], -v[186:187], v[190:191], 1.0
	v_fma_f64 v[190:191], v[190:191], v[192:193], v[190:191]
	s_delay_alu instid0(VALU_DEP_1) | instskip(NEXT) | instid1(VALU_DEP_1)
	v_fma_f64 v[192:193], -v[186:187], v[190:191], 1.0
	v_fma_f64 v[190:191], v[190:191], v[192:193], v[190:191]
	v_div_scale_f64 v[192:193], vcc_lo, 1.0, v[184:185], 1.0
	s_delay_alu instid0(VALU_DEP_1) | instskip(NEXT) | instid1(VALU_DEP_1)
	v_mul_f64 v[194:195], v[192:193], v[190:191]
	v_fma_f64 v[186:187], -v[186:187], v[194:195], v[192:193]
	s_delay_alu instid0(VALU_DEP_1) | instskip(NEXT) | instid1(VALU_DEP_1)
	v_div_fmas_f64 v[186:187], v[186:187], v[190:191], v[194:195]
	v_div_fixup_f64 v[190:191], v[186:187], v[184:185], 1.0
                                        ; implicit-def: $vgpr184_vgpr185
	s_delay_alu instid0(VALU_DEP_1)
	v_mul_f64 v[192:193], v[188:189], v[190:191]
	v_xor_b32_e32 v191, 0x80000000, v191
.LBB91_185:
	s_and_not1_saveexec_b32 s3, s3
	s_cbranch_execz .LBB91_187
; %bb.186:
	v_div_scale_f64 v[188:189], null, v[184:185], v[184:185], v[186:187]
	v_div_scale_f64 v[194:195], vcc_lo, v[186:187], v[184:185], v[186:187]
	s_delay_alu instid0(VALU_DEP_2) | instskip(SKIP_2) | instid1(VALU_DEP_1)
	v_rcp_f64_e32 v[190:191], v[188:189]
	s_waitcnt_depctr 0xfff
	v_fma_f64 v[192:193], -v[188:189], v[190:191], 1.0
	v_fma_f64 v[190:191], v[190:191], v[192:193], v[190:191]
	s_delay_alu instid0(VALU_DEP_1) | instskip(NEXT) | instid1(VALU_DEP_1)
	v_fma_f64 v[192:193], -v[188:189], v[190:191], 1.0
	v_fma_f64 v[190:191], v[190:191], v[192:193], v[190:191]
	s_delay_alu instid0(VALU_DEP_1) | instskip(NEXT) | instid1(VALU_DEP_1)
	v_mul_f64 v[192:193], v[194:195], v[190:191]
	v_fma_f64 v[188:189], -v[188:189], v[192:193], v[194:195]
	s_delay_alu instid0(VALU_DEP_1) | instskip(NEXT) | instid1(VALU_DEP_1)
	v_div_fmas_f64 v[188:189], v[188:189], v[190:191], v[192:193]
	v_div_fixup_f64 v[188:189], v[188:189], v[184:185], v[186:187]
	s_delay_alu instid0(VALU_DEP_1) | instskip(NEXT) | instid1(VALU_DEP_1)
	v_fma_f64 v[184:185], v[186:187], v[188:189], v[184:185]
	v_div_scale_f64 v[186:187], null, v[184:185], v[184:185], 1.0
	s_delay_alu instid0(VALU_DEP_1) | instskip(SKIP_2) | instid1(VALU_DEP_1)
	v_rcp_f64_e32 v[190:191], v[186:187]
	s_waitcnt_depctr 0xfff
	v_fma_f64 v[192:193], -v[186:187], v[190:191], 1.0
	v_fma_f64 v[190:191], v[190:191], v[192:193], v[190:191]
	s_delay_alu instid0(VALU_DEP_1) | instskip(NEXT) | instid1(VALU_DEP_1)
	v_fma_f64 v[192:193], -v[186:187], v[190:191], 1.0
	v_fma_f64 v[190:191], v[190:191], v[192:193], v[190:191]
	v_div_scale_f64 v[192:193], vcc_lo, 1.0, v[184:185], 1.0
	s_delay_alu instid0(VALU_DEP_1) | instskip(NEXT) | instid1(VALU_DEP_1)
	v_mul_f64 v[194:195], v[192:193], v[190:191]
	v_fma_f64 v[186:187], -v[186:187], v[194:195], v[192:193]
	s_delay_alu instid0(VALU_DEP_1) | instskip(NEXT) | instid1(VALU_DEP_1)
	v_div_fmas_f64 v[186:187], v[186:187], v[190:191], v[194:195]
	v_div_fixup_f64 v[192:193], v[186:187], v[184:185], 1.0
	s_delay_alu instid0(VALU_DEP_1)
	v_mul_f64 v[190:191], v[188:189], -v[192:193]
.LBB91_187:
	s_or_b32 exec_lo, exec_lo, s3
	ds_store_2addr_b64 v227, v[192:193], v[190:191] offset1:1
.LBB91_188:
	s_or_b32 exec_lo, exec_lo, s4
	s_waitcnt lgkmcnt(0)
	s_barrier
	buffer_gl0_inv
	ds_load_2addr_b64 v[184:187], v227 offset1:1
	s_mov_b32 s3, exec_lo
	s_waitcnt lgkmcnt(0)
	scratch_store_b128 off, v[184:187], off offset:592 ; 16-byte Folded Spill
	v_cmpx_lt_u32_e32 20, v226
	s_cbranch_execz .LBB91_190
; %bb.189:
	scratch_load_b128 v[186:189], off, off offset:592 ; 16-byte Folded Reload
	s_waitcnt vmcnt(0)
	v_mul_f64 v[184:185], v[188:189], v[102:103]
	v_mul_f64 v[102:103], v[186:187], v[102:103]
	s_delay_alu instid0(VALU_DEP_2) | instskip(NEXT) | instid1(VALU_DEP_2)
	v_fma_f64 v[184:185], v[186:187], v[100:101], -v[184:185]
	v_fma_f64 v[102:103], v[188:189], v[100:101], v[102:103]
	ds_load_2addr_b64 v[186:189], v228 offset0:42 offset1:43
	s_waitcnt lgkmcnt(0)
	v_mul_f64 v[100:101], v[188:189], v[102:103]
	s_delay_alu instid0(VALU_DEP_1) | instskip(SKIP_1) | instid1(VALU_DEP_2)
	v_fma_f64 v[100:101], v[186:187], v[184:185], -v[100:101]
	v_mul_f64 v[186:187], v[186:187], v[102:103]
	v_add_f64 v[96:97], v[96:97], -v[100:101]
	s_delay_alu instid0(VALU_DEP_2) | instskip(NEXT) | instid1(VALU_DEP_1)
	v_fma_f64 v[186:187], v[188:189], v[184:185], v[186:187]
	v_add_f64 v[98:99], v[98:99], -v[186:187]
	ds_load_2addr_b64 v[186:189], v228 offset0:44 offset1:45
	s_waitcnt lgkmcnt(0)
	v_mul_f64 v[100:101], v[188:189], v[102:103]
	s_delay_alu instid0(VALU_DEP_1) | instskip(SKIP_1) | instid1(VALU_DEP_2)
	v_fma_f64 v[100:101], v[186:187], v[184:185], -v[100:101]
	v_mul_f64 v[186:187], v[186:187], v[102:103]
	v_add_f64 v[92:93], v[92:93], -v[100:101]
	s_delay_alu instid0(VALU_DEP_2) | instskip(NEXT) | instid1(VALU_DEP_1)
	v_fma_f64 v[186:187], v[188:189], v[184:185], v[186:187]
	v_add_f64 v[94:95], v[94:95], -v[186:187]
	;; [unrolled: 10-line block ×24, first 2 shown]
	ds_load_2addr_b64 v[186:189], v228 offset0:90 offset1:91
	s_waitcnt lgkmcnt(0)
	v_mul_f64 v[100:101], v[188:189], v[102:103]
	s_delay_alu instid0(VALU_DEP_1) | instskip(SKIP_1) | instid1(VALU_DEP_2)
	v_fma_f64 v[100:101], v[186:187], v[184:185], -v[100:101]
	v_mul_f64 v[186:187], v[186:187], v[102:103]
	v_add_f64 v[0:1], v[0:1], -v[100:101]
	s_delay_alu instid0(VALU_DEP_2) | instskip(SKIP_1) | instid1(VALU_DEP_2)
	v_fma_f64 v[186:187], v[188:189], v[184:185], v[186:187]
	v_dual_mov_b32 v100, v184 :: v_dual_mov_b32 v101, v185
	v_add_f64 v[2:3], v[2:3], -v[186:187]
.LBB91_190:
	s_or_b32 exec_lo, exec_lo, s3
	s_delay_alu instid0(SALU_CYCLE_1)
	s_mov_b32 s4, exec_lo
	s_waitcnt_vscnt null, 0x0
	s_barrier
	buffer_gl0_inv
	v_cmpx_eq_u32_e32 21, v226
	s_cbranch_execz .LBB91_197
; %bb.191:
	ds_store_2addr_b64 v227, v[96:97], v[98:99] offset1:1
	ds_store_2addr_b64 v228, v[92:93], v[94:95] offset0:44 offset1:45
	ds_store_2addr_b64 v228, v[88:89], v[90:91] offset0:46 offset1:47
	;; [unrolled: 1-line block ×24, first 2 shown]
	ds_load_2addr_b64 v[184:187], v227 offset1:1
	s_waitcnt lgkmcnt(0)
	v_cmp_neq_f64_e32 vcc_lo, 0, v[184:185]
	v_cmp_neq_f64_e64 s3, 0, v[186:187]
	s_delay_alu instid0(VALU_DEP_1) | instskip(NEXT) | instid1(SALU_CYCLE_1)
	s_or_b32 s3, vcc_lo, s3
	s_and_b32 exec_lo, exec_lo, s3
	s_cbranch_execz .LBB91_197
; %bb.192:
	v_cmp_gt_f64_e32 vcc_lo, 0, v[184:185]
	v_xor_b32_e32 v188, 0x80000000, v185
	v_xor_b32_e32 v190, 0x80000000, v187
	s_mov_b32 s3, exec_lo
                                        ; implicit-def: $vgpr192_vgpr193
	s_delay_alu instid0(VALU_DEP_2) | instskip(SKIP_4) | instid1(VALU_DEP_1)
	v_cndmask_b32_e32 v189, v185, v188, vcc_lo
	v_cndmask_b32_e32 v188, v184, v184, vcc_lo
	v_cmp_gt_f64_e32 vcc_lo, 0, v[186:187]
	v_cndmask_b32_e32 v191, v187, v190, vcc_lo
	v_cndmask_b32_e32 v190, v186, v186, vcc_lo
	v_cmpx_ngt_f64_e32 v[188:189], v[190:191]
	s_xor_b32 s3, exec_lo, s3
                                        ; implicit-def: $vgpr188_vgpr189_vgpr190_vgpr191
	s_cbranch_execz .LBB91_194
; %bb.193:
	v_div_scale_f64 v[188:189], null, v[186:187], v[186:187], v[184:185]
	v_div_scale_f64 v[194:195], vcc_lo, v[184:185], v[186:187], v[184:185]
	s_delay_alu instid0(VALU_DEP_2) | instskip(SKIP_2) | instid1(VALU_DEP_1)
	v_rcp_f64_e32 v[190:191], v[188:189]
	s_waitcnt_depctr 0xfff
	v_fma_f64 v[192:193], -v[188:189], v[190:191], 1.0
	v_fma_f64 v[190:191], v[190:191], v[192:193], v[190:191]
	s_delay_alu instid0(VALU_DEP_1) | instskip(NEXT) | instid1(VALU_DEP_1)
	v_fma_f64 v[192:193], -v[188:189], v[190:191], 1.0
	v_fma_f64 v[190:191], v[190:191], v[192:193], v[190:191]
	s_delay_alu instid0(VALU_DEP_1) | instskip(NEXT) | instid1(VALU_DEP_1)
	v_mul_f64 v[192:193], v[194:195], v[190:191]
	v_fma_f64 v[188:189], -v[188:189], v[192:193], v[194:195]
	s_delay_alu instid0(VALU_DEP_1) | instskip(NEXT) | instid1(VALU_DEP_1)
	v_div_fmas_f64 v[188:189], v[188:189], v[190:191], v[192:193]
	v_div_fixup_f64 v[188:189], v[188:189], v[186:187], v[184:185]
	s_delay_alu instid0(VALU_DEP_1) | instskip(NEXT) | instid1(VALU_DEP_1)
	v_fma_f64 v[184:185], v[184:185], v[188:189], v[186:187]
	v_div_scale_f64 v[186:187], null, v[184:185], v[184:185], 1.0
	s_delay_alu instid0(VALU_DEP_1) | instskip(SKIP_2) | instid1(VALU_DEP_1)
	v_rcp_f64_e32 v[190:191], v[186:187]
	s_waitcnt_depctr 0xfff
	v_fma_f64 v[192:193], -v[186:187], v[190:191], 1.0
	v_fma_f64 v[190:191], v[190:191], v[192:193], v[190:191]
	s_delay_alu instid0(VALU_DEP_1) | instskip(NEXT) | instid1(VALU_DEP_1)
	v_fma_f64 v[192:193], -v[186:187], v[190:191], 1.0
	v_fma_f64 v[190:191], v[190:191], v[192:193], v[190:191]
	v_div_scale_f64 v[192:193], vcc_lo, 1.0, v[184:185], 1.0
	s_delay_alu instid0(VALU_DEP_1) | instskip(NEXT) | instid1(VALU_DEP_1)
	v_mul_f64 v[194:195], v[192:193], v[190:191]
	v_fma_f64 v[186:187], -v[186:187], v[194:195], v[192:193]
	s_delay_alu instid0(VALU_DEP_1) | instskip(NEXT) | instid1(VALU_DEP_1)
	v_div_fmas_f64 v[186:187], v[186:187], v[190:191], v[194:195]
	v_div_fixup_f64 v[190:191], v[186:187], v[184:185], 1.0
                                        ; implicit-def: $vgpr184_vgpr185
	s_delay_alu instid0(VALU_DEP_1)
	v_mul_f64 v[192:193], v[188:189], v[190:191]
	v_xor_b32_e32 v191, 0x80000000, v191
.LBB91_194:
	s_and_not1_saveexec_b32 s3, s3
	s_cbranch_execz .LBB91_196
; %bb.195:
	v_div_scale_f64 v[188:189], null, v[184:185], v[184:185], v[186:187]
	v_div_scale_f64 v[194:195], vcc_lo, v[186:187], v[184:185], v[186:187]
	s_delay_alu instid0(VALU_DEP_2) | instskip(SKIP_2) | instid1(VALU_DEP_1)
	v_rcp_f64_e32 v[190:191], v[188:189]
	s_waitcnt_depctr 0xfff
	v_fma_f64 v[192:193], -v[188:189], v[190:191], 1.0
	v_fma_f64 v[190:191], v[190:191], v[192:193], v[190:191]
	s_delay_alu instid0(VALU_DEP_1) | instskip(NEXT) | instid1(VALU_DEP_1)
	v_fma_f64 v[192:193], -v[188:189], v[190:191], 1.0
	v_fma_f64 v[190:191], v[190:191], v[192:193], v[190:191]
	s_delay_alu instid0(VALU_DEP_1) | instskip(NEXT) | instid1(VALU_DEP_1)
	v_mul_f64 v[192:193], v[194:195], v[190:191]
	v_fma_f64 v[188:189], -v[188:189], v[192:193], v[194:195]
	s_delay_alu instid0(VALU_DEP_1) | instskip(NEXT) | instid1(VALU_DEP_1)
	v_div_fmas_f64 v[188:189], v[188:189], v[190:191], v[192:193]
	v_div_fixup_f64 v[188:189], v[188:189], v[184:185], v[186:187]
	s_delay_alu instid0(VALU_DEP_1) | instskip(NEXT) | instid1(VALU_DEP_1)
	v_fma_f64 v[184:185], v[186:187], v[188:189], v[184:185]
	v_div_scale_f64 v[186:187], null, v[184:185], v[184:185], 1.0
	s_delay_alu instid0(VALU_DEP_1) | instskip(SKIP_2) | instid1(VALU_DEP_1)
	v_rcp_f64_e32 v[190:191], v[186:187]
	s_waitcnt_depctr 0xfff
	v_fma_f64 v[192:193], -v[186:187], v[190:191], 1.0
	v_fma_f64 v[190:191], v[190:191], v[192:193], v[190:191]
	s_delay_alu instid0(VALU_DEP_1) | instskip(NEXT) | instid1(VALU_DEP_1)
	v_fma_f64 v[192:193], -v[186:187], v[190:191], 1.0
	v_fma_f64 v[190:191], v[190:191], v[192:193], v[190:191]
	v_div_scale_f64 v[192:193], vcc_lo, 1.0, v[184:185], 1.0
	s_delay_alu instid0(VALU_DEP_1) | instskip(NEXT) | instid1(VALU_DEP_1)
	v_mul_f64 v[194:195], v[192:193], v[190:191]
	v_fma_f64 v[186:187], -v[186:187], v[194:195], v[192:193]
	s_delay_alu instid0(VALU_DEP_1) | instskip(NEXT) | instid1(VALU_DEP_1)
	v_div_fmas_f64 v[186:187], v[186:187], v[190:191], v[194:195]
	v_div_fixup_f64 v[192:193], v[186:187], v[184:185], 1.0
	s_delay_alu instid0(VALU_DEP_1)
	v_mul_f64 v[190:191], v[188:189], -v[192:193]
.LBB91_196:
	s_or_b32 exec_lo, exec_lo, s3
	ds_store_2addr_b64 v227, v[192:193], v[190:191] offset1:1
.LBB91_197:
	s_or_b32 exec_lo, exec_lo, s4
	s_waitcnt lgkmcnt(0)
	s_barrier
	buffer_gl0_inv
	ds_load_2addr_b64 v[184:187], v227 offset1:1
	s_mov_b32 s3, exec_lo
	s_waitcnt lgkmcnt(0)
	scratch_store_b128 off, v[184:187], off offset:608 ; 16-byte Folded Spill
	v_cmpx_lt_u32_e32 21, v226
	s_cbranch_execz .LBB91_199
; %bb.198:
	scratch_load_b128 v[186:189], off, off offset:608 ; 16-byte Folded Reload
	s_waitcnt vmcnt(0)
	v_mul_f64 v[184:185], v[188:189], v[98:99]
	v_mul_f64 v[98:99], v[186:187], v[98:99]
	s_delay_alu instid0(VALU_DEP_2) | instskip(NEXT) | instid1(VALU_DEP_2)
	v_fma_f64 v[184:185], v[186:187], v[96:97], -v[184:185]
	v_fma_f64 v[98:99], v[188:189], v[96:97], v[98:99]
	ds_load_2addr_b64 v[186:189], v228 offset0:44 offset1:45
	s_waitcnt lgkmcnt(0)
	v_mul_f64 v[96:97], v[188:189], v[98:99]
	s_delay_alu instid0(VALU_DEP_1) | instskip(SKIP_1) | instid1(VALU_DEP_2)
	v_fma_f64 v[96:97], v[186:187], v[184:185], -v[96:97]
	v_mul_f64 v[186:187], v[186:187], v[98:99]
	v_add_f64 v[92:93], v[92:93], -v[96:97]
	s_delay_alu instid0(VALU_DEP_2) | instskip(NEXT) | instid1(VALU_DEP_1)
	v_fma_f64 v[186:187], v[188:189], v[184:185], v[186:187]
	v_add_f64 v[94:95], v[94:95], -v[186:187]
	ds_load_2addr_b64 v[186:189], v228 offset0:46 offset1:47
	s_waitcnt lgkmcnt(0)
	v_mul_f64 v[96:97], v[188:189], v[98:99]
	s_delay_alu instid0(VALU_DEP_1) | instskip(SKIP_1) | instid1(VALU_DEP_2)
	v_fma_f64 v[96:97], v[186:187], v[184:185], -v[96:97]
	v_mul_f64 v[186:187], v[186:187], v[98:99]
	v_add_f64 v[88:89], v[88:89], -v[96:97]
	s_delay_alu instid0(VALU_DEP_2) | instskip(NEXT) | instid1(VALU_DEP_1)
	v_fma_f64 v[186:187], v[188:189], v[184:185], v[186:187]
	v_add_f64 v[90:91], v[90:91], -v[186:187]
	;; [unrolled: 10-line block ×23, first 2 shown]
	ds_load_2addr_b64 v[186:189], v228 offset0:90 offset1:91
	s_waitcnt lgkmcnt(0)
	v_mul_f64 v[96:97], v[188:189], v[98:99]
	s_delay_alu instid0(VALU_DEP_1) | instskip(SKIP_1) | instid1(VALU_DEP_2)
	v_fma_f64 v[96:97], v[186:187], v[184:185], -v[96:97]
	v_mul_f64 v[186:187], v[186:187], v[98:99]
	v_add_f64 v[0:1], v[0:1], -v[96:97]
	s_delay_alu instid0(VALU_DEP_2) | instskip(SKIP_1) | instid1(VALU_DEP_2)
	v_fma_f64 v[186:187], v[188:189], v[184:185], v[186:187]
	v_dual_mov_b32 v96, v184 :: v_dual_mov_b32 v97, v185
	v_add_f64 v[2:3], v[2:3], -v[186:187]
.LBB91_199:
	s_or_b32 exec_lo, exec_lo, s3
	s_delay_alu instid0(SALU_CYCLE_1)
	s_mov_b32 s4, exec_lo
	s_waitcnt_vscnt null, 0x0
	s_barrier
	buffer_gl0_inv
	v_cmpx_eq_u32_e32 22, v226
	s_cbranch_execz .LBB91_206
; %bb.200:
	ds_store_2addr_b64 v227, v[92:93], v[94:95] offset1:1
	ds_store_2addr_b64 v228, v[88:89], v[90:91] offset0:46 offset1:47
	ds_store_2addr_b64 v228, v[84:85], v[86:87] offset0:48 offset1:49
	;; [unrolled: 1-line block ×23, first 2 shown]
	ds_load_2addr_b64 v[184:187], v227 offset1:1
	s_waitcnt lgkmcnt(0)
	v_cmp_neq_f64_e32 vcc_lo, 0, v[184:185]
	v_cmp_neq_f64_e64 s3, 0, v[186:187]
	s_delay_alu instid0(VALU_DEP_1) | instskip(NEXT) | instid1(SALU_CYCLE_1)
	s_or_b32 s3, vcc_lo, s3
	s_and_b32 exec_lo, exec_lo, s3
	s_cbranch_execz .LBB91_206
; %bb.201:
	v_cmp_gt_f64_e32 vcc_lo, 0, v[184:185]
	v_xor_b32_e32 v188, 0x80000000, v185
	v_xor_b32_e32 v190, 0x80000000, v187
	s_mov_b32 s3, exec_lo
                                        ; implicit-def: $vgpr192_vgpr193
	s_delay_alu instid0(VALU_DEP_2) | instskip(SKIP_4) | instid1(VALU_DEP_1)
	v_cndmask_b32_e32 v189, v185, v188, vcc_lo
	v_cndmask_b32_e32 v188, v184, v184, vcc_lo
	v_cmp_gt_f64_e32 vcc_lo, 0, v[186:187]
	v_cndmask_b32_e32 v191, v187, v190, vcc_lo
	v_cndmask_b32_e32 v190, v186, v186, vcc_lo
	v_cmpx_ngt_f64_e32 v[188:189], v[190:191]
	s_xor_b32 s3, exec_lo, s3
                                        ; implicit-def: $vgpr188_vgpr189_vgpr190_vgpr191
	s_cbranch_execz .LBB91_203
; %bb.202:
	v_div_scale_f64 v[188:189], null, v[186:187], v[186:187], v[184:185]
	v_div_scale_f64 v[194:195], vcc_lo, v[184:185], v[186:187], v[184:185]
	s_delay_alu instid0(VALU_DEP_2) | instskip(SKIP_2) | instid1(VALU_DEP_1)
	v_rcp_f64_e32 v[190:191], v[188:189]
	s_waitcnt_depctr 0xfff
	v_fma_f64 v[192:193], -v[188:189], v[190:191], 1.0
	v_fma_f64 v[190:191], v[190:191], v[192:193], v[190:191]
	s_delay_alu instid0(VALU_DEP_1) | instskip(NEXT) | instid1(VALU_DEP_1)
	v_fma_f64 v[192:193], -v[188:189], v[190:191], 1.0
	v_fma_f64 v[190:191], v[190:191], v[192:193], v[190:191]
	s_delay_alu instid0(VALU_DEP_1) | instskip(NEXT) | instid1(VALU_DEP_1)
	v_mul_f64 v[192:193], v[194:195], v[190:191]
	v_fma_f64 v[188:189], -v[188:189], v[192:193], v[194:195]
	s_delay_alu instid0(VALU_DEP_1) | instskip(NEXT) | instid1(VALU_DEP_1)
	v_div_fmas_f64 v[188:189], v[188:189], v[190:191], v[192:193]
	v_div_fixup_f64 v[188:189], v[188:189], v[186:187], v[184:185]
	s_delay_alu instid0(VALU_DEP_1) | instskip(NEXT) | instid1(VALU_DEP_1)
	v_fma_f64 v[184:185], v[184:185], v[188:189], v[186:187]
	v_div_scale_f64 v[186:187], null, v[184:185], v[184:185], 1.0
	s_delay_alu instid0(VALU_DEP_1) | instskip(SKIP_2) | instid1(VALU_DEP_1)
	v_rcp_f64_e32 v[190:191], v[186:187]
	s_waitcnt_depctr 0xfff
	v_fma_f64 v[192:193], -v[186:187], v[190:191], 1.0
	v_fma_f64 v[190:191], v[190:191], v[192:193], v[190:191]
	s_delay_alu instid0(VALU_DEP_1) | instskip(NEXT) | instid1(VALU_DEP_1)
	v_fma_f64 v[192:193], -v[186:187], v[190:191], 1.0
	v_fma_f64 v[190:191], v[190:191], v[192:193], v[190:191]
	v_div_scale_f64 v[192:193], vcc_lo, 1.0, v[184:185], 1.0
	s_delay_alu instid0(VALU_DEP_1) | instskip(NEXT) | instid1(VALU_DEP_1)
	v_mul_f64 v[194:195], v[192:193], v[190:191]
	v_fma_f64 v[186:187], -v[186:187], v[194:195], v[192:193]
	s_delay_alu instid0(VALU_DEP_1) | instskip(NEXT) | instid1(VALU_DEP_1)
	v_div_fmas_f64 v[186:187], v[186:187], v[190:191], v[194:195]
	v_div_fixup_f64 v[190:191], v[186:187], v[184:185], 1.0
                                        ; implicit-def: $vgpr184_vgpr185
	s_delay_alu instid0(VALU_DEP_1)
	v_mul_f64 v[192:193], v[188:189], v[190:191]
	v_xor_b32_e32 v191, 0x80000000, v191
.LBB91_203:
	s_and_not1_saveexec_b32 s3, s3
	s_cbranch_execz .LBB91_205
; %bb.204:
	v_div_scale_f64 v[188:189], null, v[184:185], v[184:185], v[186:187]
	v_div_scale_f64 v[194:195], vcc_lo, v[186:187], v[184:185], v[186:187]
	s_delay_alu instid0(VALU_DEP_2) | instskip(SKIP_2) | instid1(VALU_DEP_1)
	v_rcp_f64_e32 v[190:191], v[188:189]
	s_waitcnt_depctr 0xfff
	v_fma_f64 v[192:193], -v[188:189], v[190:191], 1.0
	v_fma_f64 v[190:191], v[190:191], v[192:193], v[190:191]
	s_delay_alu instid0(VALU_DEP_1) | instskip(NEXT) | instid1(VALU_DEP_1)
	v_fma_f64 v[192:193], -v[188:189], v[190:191], 1.0
	v_fma_f64 v[190:191], v[190:191], v[192:193], v[190:191]
	s_delay_alu instid0(VALU_DEP_1) | instskip(NEXT) | instid1(VALU_DEP_1)
	v_mul_f64 v[192:193], v[194:195], v[190:191]
	v_fma_f64 v[188:189], -v[188:189], v[192:193], v[194:195]
	s_delay_alu instid0(VALU_DEP_1) | instskip(NEXT) | instid1(VALU_DEP_1)
	v_div_fmas_f64 v[188:189], v[188:189], v[190:191], v[192:193]
	v_div_fixup_f64 v[188:189], v[188:189], v[184:185], v[186:187]
	s_delay_alu instid0(VALU_DEP_1) | instskip(NEXT) | instid1(VALU_DEP_1)
	v_fma_f64 v[184:185], v[186:187], v[188:189], v[184:185]
	v_div_scale_f64 v[186:187], null, v[184:185], v[184:185], 1.0
	s_delay_alu instid0(VALU_DEP_1) | instskip(SKIP_2) | instid1(VALU_DEP_1)
	v_rcp_f64_e32 v[190:191], v[186:187]
	s_waitcnt_depctr 0xfff
	v_fma_f64 v[192:193], -v[186:187], v[190:191], 1.0
	v_fma_f64 v[190:191], v[190:191], v[192:193], v[190:191]
	s_delay_alu instid0(VALU_DEP_1) | instskip(NEXT) | instid1(VALU_DEP_1)
	v_fma_f64 v[192:193], -v[186:187], v[190:191], 1.0
	v_fma_f64 v[190:191], v[190:191], v[192:193], v[190:191]
	v_div_scale_f64 v[192:193], vcc_lo, 1.0, v[184:185], 1.0
	s_delay_alu instid0(VALU_DEP_1) | instskip(NEXT) | instid1(VALU_DEP_1)
	v_mul_f64 v[194:195], v[192:193], v[190:191]
	v_fma_f64 v[186:187], -v[186:187], v[194:195], v[192:193]
	s_delay_alu instid0(VALU_DEP_1) | instskip(NEXT) | instid1(VALU_DEP_1)
	v_div_fmas_f64 v[186:187], v[186:187], v[190:191], v[194:195]
	v_div_fixup_f64 v[192:193], v[186:187], v[184:185], 1.0
	s_delay_alu instid0(VALU_DEP_1)
	v_mul_f64 v[190:191], v[188:189], -v[192:193]
.LBB91_205:
	s_or_b32 exec_lo, exec_lo, s3
	ds_store_2addr_b64 v227, v[192:193], v[190:191] offset1:1
.LBB91_206:
	s_or_b32 exec_lo, exec_lo, s4
	s_waitcnt lgkmcnt(0)
	s_barrier
	buffer_gl0_inv
	ds_load_2addr_b64 v[184:187], v227 offset1:1
	s_mov_b32 s3, exec_lo
	s_waitcnt lgkmcnt(0)
	scratch_store_b128 off, v[184:187], off offset:624 ; 16-byte Folded Spill
	v_cmpx_lt_u32_e32 22, v226
	s_cbranch_execz .LBB91_208
; %bb.207:
	scratch_load_b128 v[186:189], off, off offset:624 ; 16-byte Folded Reload
	s_waitcnt vmcnt(0)
	v_mul_f64 v[184:185], v[188:189], v[94:95]
	v_mul_f64 v[94:95], v[186:187], v[94:95]
	s_delay_alu instid0(VALU_DEP_2) | instskip(NEXT) | instid1(VALU_DEP_2)
	v_fma_f64 v[184:185], v[186:187], v[92:93], -v[184:185]
	v_fma_f64 v[94:95], v[188:189], v[92:93], v[94:95]
	ds_load_2addr_b64 v[186:189], v228 offset0:46 offset1:47
	s_waitcnt lgkmcnt(0)
	v_mul_f64 v[92:93], v[188:189], v[94:95]
	s_delay_alu instid0(VALU_DEP_1) | instskip(SKIP_1) | instid1(VALU_DEP_2)
	v_fma_f64 v[92:93], v[186:187], v[184:185], -v[92:93]
	v_mul_f64 v[186:187], v[186:187], v[94:95]
	v_add_f64 v[88:89], v[88:89], -v[92:93]
	s_delay_alu instid0(VALU_DEP_2) | instskip(NEXT) | instid1(VALU_DEP_1)
	v_fma_f64 v[186:187], v[188:189], v[184:185], v[186:187]
	v_add_f64 v[90:91], v[90:91], -v[186:187]
	ds_load_2addr_b64 v[186:189], v228 offset0:48 offset1:49
	s_waitcnt lgkmcnt(0)
	v_mul_f64 v[92:93], v[188:189], v[94:95]
	s_delay_alu instid0(VALU_DEP_1) | instskip(SKIP_1) | instid1(VALU_DEP_2)
	v_fma_f64 v[92:93], v[186:187], v[184:185], -v[92:93]
	v_mul_f64 v[186:187], v[186:187], v[94:95]
	v_add_f64 v[84:85], v[84:85], -v[92:93]
	s_delay_alu instid0(VALU_DEP_2) | instskip(NEXT) | instid1(VALU_DEP_1)
	v_fma_f64 v[186:187], v[188:189], v[184:185], v[186:187]
	v_add_f64 v[86:87], v[86:87], -v[186:187]
	;; [unrolled: 10-line block ×22, first 2 shown]
	ds_load_2addr_b64 v[186:189], v228 offset0:90 offset1:91
	s_waitcnt lgkmcnt(0)
	v_mul_f64 v[92:93], v[188:189], v[94:95]
	s_delay_alu instid0(VALU_DEP_1) | instskip(SKIP_1) | instid1(VALU_DEP_2)
	v_fma_f64 v[92:93], v[186:187], v[184:185], -v[92:93]
	v_mul_f64 v[186:187], v[186:187], v[94:95]
	v_add_f64 v[0:1], v[0:1], -v[92:93]
	s_delay_alu instid0(VALU_DEP_2) | instskip(SKIP_1) | instid1(VALU_DEP_2)
	v_fma_f64 v[186:187], v[188:189], v[184:185], v[186:187]
	v_dual_mov_b32 v92, v184 :: v_dual_mov_b32 v93, v185
	v_add_f64 v[2:3], v[2:3], -v[186:187]
.LBB91_208:
	s_or_b32 exec_lo, exec_lo, s3
	s_delay_alu instid0(SALU_CYCLE_1)
	s_mov_b32 s4, exec_lo
	s_waitcnt_vscnt null, 0x0
	s_barrier
	buffer_gl0_inv
	v_cmpx_eq_u32_e32 23, v226
	s_cbranch_execz .LBB91_215
; %bb.209:
	ds_store_2addr_b64 v227, v[88:89], v[90:91] offset1:1
	ds_store_2addr_b64 v228, v[84:85], v[86:87] offset0:48 offset1:49
	ds_store_2addr_b64 v228, v[80:81], v[82:83] offset0:50 offset1:51
	;; [unrolled: 1-line block ×22, first 2 shown]
	ds_load_2addr_b64 v[184:187], v227 offset1:1
	s_waitcnt lgkmcnt(0)
	v_cmp_neq_f64_e32 vcc_lo, 0, v[184:185]
	v_cmp_neq_f64_e64 s3, 0, v[186:187]
	s_delay_alu instid0(VALU_DEP_1) | instskip(NEXT) | instid1(SALU_CYCLE_1)
	s_or_b32 s3, vcc_lo, s3
	s_and_b32 exec_lo, exec_lo, s3
	s_cbranch_execz .LBB91_215
; %bb.210:
	v_cmp_gt_f64_e32 vcc_lo, 0, v[184:185]
	v_xor_b32_e32 v188, 0x80000000, v185
	v_xor_b32_e32 v190, 0x80000000, v187
	s_mov_b32 s3, exec_lo
                                        ; implicit-def: $vgpr192_vgpr193
	s_delay_alu instid0(VALU_DEP_2) | instskip(SKIP_4) | instid1(VALU_DEP_1)
	v_cndmask_b32_e32 v189, v185, v188, vcc_lo
	v_cndmask_b32_e32 v188, v184, v184, vcc_lo
	v_cmp_gt_f64_e32 vcc_lo, 0, v[186:187]
	v_cndmask_b32_e32 v191, v187, v190, vcc_lo
	v_cndmask_b32_e32 v190, v186, v186, vcc_lo
	v_cmpx_ngt_f64_e32 v[188:189], v[190:191]
	s_xor_b32 s3, exec_lo, s3
                                        ; implicit-def: $vgpr188_vgpr189_vgpr190_vgpr191
	s_cbranch_execz .LBB91_212
; %bb.211:
	v_div_scale_f64 v[188:189], null, v[186:187], v[186:187], v[184:185]
	v_div_scale_f64 v[194:195], vcc_lo, v[184:185], v[186:187], v[184:185]
	s_delay_alu instid0(VALU_DEP_2) | instskip(SKIP_2) | instid1(VALU_DEP_1)
	v_rcp_f64_e32 v[190:191], v[188:189]
	s_waitcnt_depctr 0xfff
	v_fma_f64 v[192:193], -v[188:189], v[190:191], 1.0
	v_fma_f64 v[190:191], v[190:191], v[192:193], v[190:191]
	s_delay_alu instid0(VALU_DEP_1) | instskip(NEXT) | instid1(VALU_DEP_1)
	v_fma_f64 v[192:193], -v[188:189], v[190:191], 1.0
	v_fma_f64 v[190:191], v[190:191], v[192:193], v[190:191]
	s_delay_alu instid0(VALU_DEP_1) | instskip(NEXT) | instid1(VALU_DEP_1)
	v_mul_f64 v[192:193], v[194:195], v[190:191]
	v_fma_f64 v[188:189], -v[188:189], v[192:193], v[194:195]
	s_delay_alu instid0(VALU_DEP_1) | instskip(NEXT) | instid1(VALU_DEP_1)
	v_div_fmas_f64 v[188:189], v[188:189], v[190:191], v[192:193]
	v_div_fixup_f64 v[188:189], v[188:189], v[186:187], v[184:185]
	s_delay_alu instid0(VALU_DEP_1) | instskip(NEXT) | instid1(VALU_DEP_1)
	v_fma_f64 v[184:185], v[184:185], v[188:189], v[186:187]
	v_div_scale_f64 v[186:187], null, v[184:185], v[184:185], 1.0
	s_delay_alu instid0(VALU_DEP_1) | instskip(SKIP_2) | instid1(VALU_DEP_1)
	v_rcp_f64_e32 v[190:191], v[186:187]
	s_waitcnt_depctr 0xfff
	v_fma_f64 v[192:193], -v[186:187], v[190:191], 1.0
	v_fma_f64 v[190:191], v[190:191], v[192:193], v[190:191]
	s_delay_alu instid0(VALU_DEP_1) | instskip(NEXT) | instid1(VALU_DEP_1)
	v_fma_f64 v[192:193], -v[186:187], v[190:191], 1.0
	v_fma_f64 v[190:191], v[190:191], v[192:193], v[190:191]
	v_div_scale_f64 v[192:193], vcc_lo, 1.0, v[184:185], 1.0
	s_delay_alu instid0(VALU_DEP_1) | instskip(NEXT) | instid1(VALU_DEP_1)
	v_mul_f64 v[194:195], v[192:193], v[190:191]
	v_fma_f64 v[186:187], -v[186:187], v[194:195], v[192:193]
	s_delay_alu instid0(VALU_DEP_1) | instskip(NEXT) | instid1(VALU_DEP_1)
	v_div_fmas_f64 v[186:187], v[186:187], v[190:191], v[194:195]
	v_div_fixup_f64 v[190:191], v[186:187], v[184:185], 1.0
                                        ; implicit-def: $vgpr184_vgpr185
	s_delay_alu instid0(VALU_DEP_1)
	v_mul_f64 v[192:193], v[188:189], v[190:191]
	v_xor_b32_e32 v191, 0x80000000, v191
.LBB91_212:
	s_and_not1_saveexec_b32 s3, s3
	s_cbranch_execz .LBB91_214
; %bb.213:
	v_div_scale_f64 v[188:189], null, v[184:185], v[184:185], v[186:187]
	v_div_scale_f64 v[194:195], vcc_lo, v[186:187], v[184:185], v[186:187]
	s_delay_alu instid0(VALU_DEP_2) | instskip(SKIP_2) | instid1(VALU_DEP_1)
	v_rcp_f64_e32 v[190:191], v[188:189]
	s_waitcnt_depctr 0xfff
	v_fma_f64 v[192:193], -v[188:189], v[190:191], 1.0
	v_fma_f64 v[190:191], v[190:191], v[192:193], v[190:191]
	s_delay_alu instid0(VALU_DEP_1) | instskip(NEXT) | instid1(VALU_DEP_1)
	v_fma_f64 v[192:193], -v[188:189], v[190:191], 1.0
	v_fma_f64 v[190:191], v[190:191], v[192:193], v[190:191]
	s_delay_alu instid0(VALU_DEP_1) | instskip(NEXT) | instid1(VALU_DEP_1)
	v_mul_f64 v[192:193], v[194:195], v[190:191]
	v_fma_f64 v[188:189], -v[188:189], v[192:193], v[194:195]
	s_delay_alu instid0(VALU_DEP_1) | instskip(NEXT) | instid1(VALU_DEP_1)
	v_div_fmas_f64 v[188:189], v[188:189], v[190:191], v[192:193]
	v_div_fixup_f64 v[188:189], v[188:189], v[184:185], v[186:187]
	s_delay_alu instid0(VALU_DEP_1) | instskip(NEXT) | instid1(VALU_DEP_1)
	v_fma_f64 v[184:185], v[186:187], v[188:189], v[184:185]
	v_div_scale_f64 v[186:187], null, v[184:185], v[184:185], 1.0
	s_delay_alu instid0(VALU_DEP_1) | instskip(SKIP_2) | instid1(VALU_DEP_1)
	v_rcp_f64_e32 v[190:191], v[186:187]
	s_waitcnt_depctr 0xfff
	v_fma_f64 v[192:193], -v[186:187], v[190:191], 1.0
	v_fma_f64 v[190:191], v[190:191], v[192:193], v[190:191]
	s_delay_alu instid0(VALU_DEP_1) | instskip(NEXT) | instid1(VALU_DEP_1)
	v_fma_f64 v[192:193], -v[186:187], v[190:191], 1.0
	v_fma_f64 v[190:191], v[190:191], v[192:193], v[190:191]
	v_div_scale_f64 v[192:193], vcc_lo, 1.0, v[184:185], 1.0
	s_delay_alu instid0(VALU_DEP_1) | instskip(NEXT) | instid1(VALU_DEP_1)
	v_mul_f64 v[194:195], v[192:193], v[190:191]
	v_fma_f64 v[186:187], -v[186:187], v[194:195], v[192:193]
	s_delay_alu instid0(VALU_DEP_1) | instskip(NEXT) | instid1(VALU_DEP_1)
	v_div_fmas_f64 v[186:187], v[186:187], v[190:191], v[194:195]
	v_div_fixup_f64 v[192:193], v[186:187], v[184:185], 1.0
	s_delay_alu instid0(VALU_DEP_1)
	v_mul_f64 v[190:191], v[188:189], -v[192:193]
.LBB91_214:
	s_or_b32 exec_lo, exec_lo, s3
	ds_store_2addr_b64 v227, v[192:193], v[190:191] offset1:1
.LBB91_215:
	s_or_b32 exec_lo, exec_lo, s4
	s_waitcnt lgkmcnt(0)
	s_barrier
	buffer_gl0_inv
	ds_load_2addr_b64 v[184:187], v227 offset1:1
	s_mov_b32 s3, exec_lo
	s_waitcnt lgkmcnt(0)
	scratch_store_b128 off, v[184:187], off offset:640 ; 16-byte Folded Spill
	v_cmpx_lt_u32_e32 23, v226
	s_cbranch_execz .LBB91_217
; %bb.216:
	scratch_load_b128 v[186:189], off, off offset:640 ; 16-byte Folded Reload
	s_waitcnt vmcnt(0)
	v_mul_f64 v[184:185], v[188:189], v[90:91]
	v_mul_f64 v[90:91], v[186:187], v[90:91]
	s_delay_alu instid0(VALU_DEP_2) | instskip(NEXT) | instid1(VALU_DEP_2)
	v_fma_f64 v[184:185], v[186:187], v[88:89], -v[184:185]
	v_fma_f64 v[90:91], v[188:189], v[88:89], v[90:91]
	ds_load_2addr_b64 v[186:189], v228 offset0:48 offset1:49
	s_waitcnt lgkmcnt(0)
	v_mul_f64 v[88:89], v[188:189], v[90:91]
	s_delay_alu instid0(VALU_DEP_1) | instskip(SKIP_1) | instid1(VALU_DEP_2)
	v_fma_f64 v[88:89], v[186:187], v[184:185], -v[88:89]
	v_mul_f64 v[186:187], v[186:187], v[90:91]
	v_add_f64 v[84:85], v[84:85], -v[88:89]
	s_delay_alu instid0(VALU_DEP_2) | instskip(NEXT) | instid1(VALU_DEP_1)
	v_fma_f64 v[186:187], v[188:189], v[184:185], v[186:187]
	v_add_f64 v[86:87], v[86:87], -v[186:187]
	ds_load_2addr_b64 v[186:189], v228 offset0:50 offset1:51
	s_waitcnt lgkmcnt(0)
	v_mul_f64 v[88:89], v[188:189], v[90:91]
	s_delay_alu instid0(VALU_DEP_1) | instskip(SKIP_1) | instid1(VALU_DEP_2)
	v_fma_f64 v[88:89], v[186:187], v[184:185], -v[88:89]
	v_mul_f64 v[186:187], v[186:187], v[90:91]
	v_add_f64 v[80:81], v[80:81], -v[88:89]
	s_delay_alu instid0(VALU_DEP_2) | instskip(NEXT) | instid1(VALU_DEP_1)
	v_fma_f64 v[186:187], v[188:189], v[184:185], v[186:187]
	v_add_f64 v[82:83], v[82:83], -v[186:187]
	;; [unrolled: 10-line block ×21, first 2 shown]
	ds_load_2addr_b64 v[186:189], v228 offset0:90 offset1:91
	s_waitcnt lgkmcnt(0)
	v_mul_f64 v[88:89], v[188:189], v[90:91]
	s_delay_alu instid0(VALU_DEP_1) | instskip(SKIP_1) | instid1(VALU_DEP_2)
	v_fma_f64 v[88:89], v[186:187], v[184:185], -v[88:89]
	v_mul_f64 v[186:187], v[186:187], v[90:91]
	v_add_f64 v[0:1], v[0:1], -v[88:89]
	s_delay_alu instid0(VALU_DEP_2) | instskip(SKIP_1) | instid1(VALU_DEP_2)
	v_fma_f64 v[186:187], v[188:189], v[184:185], v[186:187]
	v_dual_mov_b32 v88, v184 :: v_dual_mov_b32 v89, v185
	v_add_f64 v[2:3], v[2:3], -v[186:187]
.LBB91_217:
	s_or_b32 exec_lo, exec_lo, s3
	s_delay_alu instid0(SALU_CYCLE_1)
	s_mov_b32 s4, exec_lo
	s_waitcnt_vscnt null, 0x0
	s_barrier
	buffer_gl0_inv
	v_cmpx_eq_u32_e32 24, v226
	s_cbranch_execz .LBB91_224
; %bb.218:
	ds_store_2addr_b64 v227, v[84:85], v[86:87] offset1:1
	ds_store_2addr_b64 v228, v[80:81], v[82:83] offset0:50 offset1:51
	ds_store_2addr_b64 v228, v[76:77], v[78:79] offset0:52 offset1:53
	;; [unrolled: 1-line block ×21, first 2 shown]
	ds_load_2addr_b64 v[184:187], v227 offset1:1
	s_waitcnt lgkmcnt(0)
	v_cmp_neq_f64_e32 vcc_lo, 0, v[184:185]
	v_cmp_neq_f64_e64 s3, 0, v[186:187]
	s_delay_alu instid0(VALU_DEP_1) | instskip(NEXT) | instid1(SALU_CYCLE_1)
	s_or_b32 s3, vcc_lo, s3
	s_and_b32 exec_lo, exec_lo, s3
	s_cbranch_execz .LBB91_224
; %bb.219:
	v_cmp_gt_f64_e32 vcc_lo, 0, v[184:185]
	v_xor_b32_e32 v188, 0x80000000, v185
	v_xor_b32_e32 v190, 0x80000000, v187
	s_mov_b32 s3, exec_lo
                                        ; implicit-def: $vgpr192_vgpr193
	s_delay_alu instid0(VALU_DEP_2) | instskip(SKIP_4) | instid1(VALU_DEP_1)
	v_cndmask_b32_e32 v189, v185, v188, vcc_lo
	v_cndmask_b32_e32 v188, v184, v184, vcc_lo
	v_cmp_gt_f64_e32 vcc_lo, 0, v[186:187]
	v_cndmask_b32_e32 v191, v187, v190, vcc_lo
	v_cndmask_b32_e32 v190, v186, v186, vcc_lo
	v_cmpx_ngt_f64_e32 v[188:189], v[190:191]
	s_xor_b32 s3, exec_lo, s3
                                        ; implicit-def: $vgpr188_vgpr189_vgpr190_vgpr191
	s_cbranch_execz .LBB91_221
; %bb.220:
	v_div_scale_f64 v[188:189], null, v[186:187], v[186:187], v[184:185]
	v_div_scale_f64 v[194:195], vcc_lo, v[184:185], v[186:187], v[184:185]
	s_delay_alu instid0(VALU_DEP_2) | instskip(SKIP_2) | instid1(VALU_DEP_1)
	v_rcp_f64_e32 v[190:191], v[188:189]
	s_waitcnt_depctr 0xfff
	v_fma_f64 v[192:193], -v[188:189], v[190:191], 1.0
	v_fma_f64 v[190:191], v[190:191], v[192:193], v[190:191]
	s_delay_alu instid0(VALU_DEP_1) | instskip(NEXT) | instid1(VALU_DEP_1)
	v_fma_f64 v[192:193], -v[188:189], v[190:191], 1.0
	v_fma_f64 v[190:191], v[190:191], v[192:193], v[190:191]
	s_delay_alu instid0(VALU_DEP_1) | instskip(NEXT) | instid1(VALU_DEP_1)
	v_mul_f64 v[192:193], v[194:195], v[190:191]
	v_fma_f64 v[188:189], -v[188:189], v[192:193], v[194:195]
	s_delay_alu instid0(VALU_DEP_1) | instskip(NEXT) | instid1(VALU_DEP_1)
	v_div_fmas_f64 v[188:189], v[188:189], v[190:191], v[192:193]
	v_div_fixup_f64 v[188:189], v[188:189], v[186:187], v[184:185]
	s_delay_alu instid0(VALU_DEP_1) | instskip(NEXT) | instid1(VALU_DEP_1)
	v_fma_f64 v[184:185], v[184:185], v[188:189], v[186:187]
	v_div_scale_f64 v[186:187], null, v[184:185], v[184:185], 1.0
	s_delay_alu instid0(VALU_DEP_1) | instskip(SKIP_2) | instid1(VALU_DEP_1)
	v_rcp_f64_e32 v[190:191], v[186:187]
	s_waitcnt_depctr 0xfff
	v_fma_f64 v[192:193], -v[186:187], v[190:191], 1.0
	v_fma_f64 v[190:191], v[190:191], v[192:193], v[190:191]
	s_delay_alu instid0(VALU_DEP_1) | instskip(NEXT) | instid1(VALU_DEP_1)
	v_fma_f64 v[192:193], -v[186:187], v[190:191], 1.0
	v_fma_f64 v[190:191], v[190:191], v[192:193], v[190:191]
	v_div_scale_f64 v[192:193], vcc_lo, 1.0, v[184:185], 1.0
	s_delay_alu instid0(VALU_DEP_1) | instskip(NEXT) | instid1(VALU_DEP_1)
	v_mul_f64 v[194:195], v[192:193], v[190:191]
	v_fma_f64 v[186:187], -v[186:187], v[194:195], v[192:193]
	s_delay_alu instid0(VALU_DEP_1) | instskip(NEXT) | instid1(VALU_DEP_1)
	v_div_fmas_f64 v[186:187], v[186:187], v[190:191], v[194:195]
	v_div_fixup_f64 v[190:191], v[186:187], v[184:185], 1.0
                                        ; implicit-def: $vgpr184_vgpr185
	s_delay_alu instid0(VALU_DEP_1)
	v_mul_f64 v[192:193], v[188:189], v[190:191]
	v_xor_b32_e32 v191, 0x80000000, v191
.LBB91_221:
	s_and_not1_saveexec_b32 s3, s3
	s_cbranch_execz .LBB91_223
; %bb.222:
	v_div_scale_f64 v[188:189], null, v[184:185], v[184:185], v[186:187]
	v_div_scale_f64 v[194:195], vcc_lo, v[186:187], v[184:185], v[186:187]
	s_delay_alu instid0(VALU_DEP_2) | instskip(SKIP_2) | instid1(VALU_DEP_1)
	v_rcp_f64_e32 v[190:191], v[188:189]
	s_waitcnt_depctr 0xfff
	v_fma_f64 v[192:193], -v[188:189], v[190:191], 1.0
	v_fma_f64 v[190:191], v[190:191], v[192:193], v[190:191]
	s_delay_alu instid0(VALU_DEP_1) | instskip(NEXT) | instid1(VALU_DEP_1)
	v_fma_f64 v[192:193], -v[188:189], v[190:191], 1.0
	v_fma_f64 v[190:191], v[190:191], v[192:193], v[190:191]
	s_delay_alu instid0(VALU_DEP_1) | instskip(NEXT) | instid1(VALU_DEP_1)
	v_mul_f64 v[192:193], v[194:195], v[190:191]
	v_fma_f64 v[188:189], -v[188:189], v[192:193], v[194:195]
	s_delay_alu instid0(VALU_DEP_1) | instskip(NEXT) | instid1(VALU_DEP_1)
	v_div_fmas_f64 v[188:189], v[188:189], v[190:191], v[192:193]
	v_div_fixup_f64 v[188:189], v[188:189], v[184:185], v[186:187]
	s_delay_alu instid0(VALU_DEP_1) | instskip(NEXT) | instid1(VALU_DEP_1)
	v_fma_f64 v[184:185], v[186:187], v[188:189], v[184:185]
	v_div_scale_f64 v[186:187], null, v[184:185], v[184:185], 1.0
	s_delay_alu instid0(VALU_DEP_1) | instskip(SKIP_2) | instid1(VALU_DEP_1)
	v_rcp_f64_e32 v[190:191], v[186:187]
	s_waitcnt_depctr 0xfff
	v_fma_f64 v[192:193], -v[186:187], v[190:191], 1.0
	v_fma_f64 v[190:191], v[190:191], v[192:193], v[190:191]
	s_delay_alu instid0(VALU_DEP_1) | instskip(NEXT) | instid1(VALU_DEP_1)
	v_fma_f64 v[192:193], -v[186:187], v[190:191], 1.0
	v_fma_f64 v[190:191], v[190:191], v[192:193], v[190:191]
	v_div_scale_f64 v[192:193], vcc_lo, 1.0, v[184:185], 1.0
	s_delay_alu instid0(VALU_DEP_1) | instskip(NEXT) | instid1(VALU_DEP_1)
	v_mul_f64 v[194:195], v[192:193], v[190:191]
	v_fma_f64 v[186:187], -v[186:187], v[194:195], v[192:193]
	s_delay_alu instid0(VALU_DEP_1) | instskip(NEXT) | instid1(VALU_DEP_1)
	v_div_fmas_f64 v[186:187], v[186:187], v[190:191], v[194:195]
	v_div_fixup_f64 v[192:193], v[186:187], v[184:185], 1.0
	s_delay_alu instid0(VALU_DEP_1)
	v_mul_f64 v[190:191], v[188:189], -v[192:193]
.LBB91_223:
	s_or_b32 exec_lo, exec_lo, s3
	ds_store_2addr_b64 v227, v[192:193], v[190:191] offset1:1
.LBB91_224:
	s_or_b32 exec_lo, exec_lo, s4
	s_waitcnt lgkmcnt(0)
	s_barrier
	buffer_gl0_inv
	ds_load_2addr_b64 v[184:187], v227 offset1:1
	s_mov_b32 s3, exec_lo
	s_waitcnt lgkmcnt(0)
	scratch_store_b128 off, v[184:187], off offset:656 ; 16-byte Folded Spill
	v_cmpx_lt_u32_e32 24, v226
	s_cbranch_execz .LBB91_226
; %bb.225:
	scratch_load_b128 v[186:189], off, off offset:656 ; 16-byte Folded Reload
	s_waitcnt vmcnt(0)
	v_mul_f64 v[184:185], v[188:189], v[86:87]
	v_mul_f64 v[86:87], v[186:187], v[86:87]
	s_delay_alu instid0(VALU_DEP_2) | instskip(NEXT) | instid1(VALU_DEP_2)
	v_fma_f64 v[184:185], v[186:187], v[84:85], -v[184:185]
	v_fma_f64 v[86:87], v[188:189], v[84:85], v[86:87]
	ds_load_2addr_b64 v[186:189], v228 offset0:50 offset1:51
	s_waitcnt lgkmcnt(0)
	v_mul_f64 v[84:85], v[188:189], v[86:87]
	s_delay_alu instid0(VALU_DEP_1) | instskip(SKIP_1) | instid1(VALU_DEP_2)
	v_fma_f64 v[84:85], v[186:187], v[184:185], -v[84:85]
	v_mul_f64 v[186:187], v[186:187], v[86:87]
	v_add_f64 v[80:81], v[80:81], -v[84:85]
	s_delay_alu instid0(VALU_DEP_2) | instskip(NEXT) | instid1(VALU_DEP_1)
	v_fma_f64 v[186:187], v[188:189], v[184:185], v[186:187]
	v_add_f64 v[82:83], v[82:83], -v[186:187]
	ds_load_2addr_b64 v[186:189], v228 offset0:52 offset1:53
	s_waitcnt lgkmcnt(0)
	v_mul_f64 v[84:85], v[188:189], v[86:87]
	s_delay_alu instid0(VALU_DEP_1) | instskip(SKIP_1) | instid1(VALU_DEP_2)
	v_fma_f64 v[84:85], v[186:187], v[184:185], -v[84:85]
	v_mul_f64 v[186:187], v[186:187], v[86:87]
	v_add_f64 v[76:77], v[76:77], -v[84:85]
	s_delay_alu instid0(VALU_DEP_2) | instskip(NEXT) | instid1(VALU_DEP_1)
	v_fma_f64 v[186:187], v[188:189], v[184:185], v[186:187]
	v_add_f64 v[78:79], v[78:79], -v[186:187]
	;; [unrolled: 10-line block ×20, first 2 shown]
	ds_load_2addr_b64 v[186:189], v228 offset0:90 offset1:91
	s_waitcnt lgkmcnt(0)
	v_mul_f64 v[84:85], v[188:189], v[86:87]
	s_delay_alu instid0(VALU_DEP_1) | instskip(SKIP_1) | instid1(VALU_DEP_2)
	v_fma_f64 v[84:85], v[186:187], v[184:185], -v[84:85]
	v_mul_f64 v[186:187], v[186:187], v[86:87]
	v_add_f64 v[0:1], v[0:1], -v[84:85]
	s_delay_alu instid0(VALU_DEP_2) | instskip(SKIP_1) | instid1(VALU_DEP_2)
	v_fma_f64 v[186:187], v[188:189], v[184:185], v[186:187]
	v_dual_mov_b32 v84, v184 :: v_dual_mov_b32 v85, v185
	v_add_f64 v[2:3], v[2:3], -v[186:187]
.LBB91_226:
	s_or_b32 exec_lo, exec_lo, s3
	s_delay_alu instid0(SALU_CYCLE_1)
	s_mov_b32 s4, exec_lo
	s_waitcnt_vscnt null, 0x0
	s_barrier
	buffer_gl0_inv
	v_cmpx_eq_u32_e32 25, v226
	s_cbranch_execz .LBB91_233
; %bb.227:
	ds_store_2addr_b64 v227, v[80:81], v[82:83] offset1:1
	ds_store_2addr_b64 v228, v[76:77], v[78:79] offset0:52 offset1:53
	ds_store_2addr_b64 v228, v[72:73], v[74:75] offset0:54 offset1:55
	;; [unrolled: 1-line block ×20, first 2 shown]
	ds_load_2addr_b64 v[184:187], v227 offset1:1
	s_waitcnt lgkmcnt(0)
	v_cmp_neq_f64_e32 vcc_lo, 0, v[184:185]
	v_cmp_neq_f64_e64 s3, 0, v[186:187]
	s_delay_alu instid0(VALU_DEP_1) | instskip(NEXT) | instid1(SALU_CYCLE_1)
	s_or_b32 s3, vcc_lo, s3
	s_and_b32 exec_lo, exec_lo, s3
	s_cbranch_execz .LBB91_233
; %bb.228:
	v_cmp_gt_f64_e32 vcc_lo, 0, v[184:185]
	v_xor_b32_e32 v188, 0x80000000, v185
	v_xor_b32_e32 v190, 0x80000000, v187
	s_mov_b32 s3, exec_lo
                                        ; implicit-def: $vgpr192_vgpr193
	s_delay_alu instid0(VALU_DEP_2) | instskip(SKIP_4) | instid1(VALU_DEP_1)
	v_cndmask_b32_e32 v189, v185, v188, vcc_lo
	v_cndmask_b32_e32 v188, v184, v184, vcc_lo
	v_cmp_gt_f64_e32 vcc_lo, 0, v[186:187]
	v_cndmask_b32_e32 v191, v187, v190, vcc_lo
	v_cndmask_b32_e32 v190, v186, v186, vcc_lo
	v_cmpx_ngt_f64_e32 v[188:189], v[190:191]
	s_xor_b32 s3, exec_lo, s3
                                        ; implicit-def: $vgpr188_vgpr189_vgpr190_vgpr191
	s_cbranch_execz .LBB91_230
; %bb.229:
	v_div_scale_f64 v[188:189], null, v[186:187], v[186:187], v[184:185]
	v_div_scale_f64 v[194:195], vcc_lo, v[184:185], v[186:187], v[184:185]
	s_delay_alu instid0(VALU_DEP_2) | instskip(SKIP_2) | instid1(VALU_DEP_1)
	v_rcp_f64_e32 v[190:191], v[188:189]
	s_waitcnt_depctr 0xfff
	v_fma_f64 v[192:193], -v[188:189], v[190:191], 1.0
	v_fma_f64 v[190:191], v[190:191], v[192:193], v[190:191]
	s_delay_alu instid0(VALU_DEP_1) | instskip(NEXT) | instid1(VALU_DEP_1)
	v_fma_f64 v[192:193], -v[188:189], v[190:191], 1.0
	v_fma_f64 v[190:191], v[190:191], v[192:193], v[190:191]
	s_delay_alu instid0(VALU_DEP_1) | instskip(NEXT) | instid1(VALU_DEP_1)
	v_mul_f64 v[192:193], v[194:195], v[190:191]
	v_fma_f64 v[188:189], -v[188:189], v[192:193], v[194:195]
	s_delay_alu instid0(VALU_DEP_1) | instskip(NEXT) | instid1(VALU_DEP_1)
	v_div_fmas_f64 v[188:189], v[188:189], v[190:191], v[192:193]
	v_div_fixup_f64 v[188:189], v[188:189], v[186:187], v[184:185]
	s_delay_alu instid0(VALU_DEP_1) | instskip(NEXT) | instid1(VALU_DEP_1)
	v_fma_f64 v[184:185], v[184:185], v[188:189], v[186:187]
	v_div_scale_f64 v[186:187], null, v[184:185], v[184:185], 1.0
	s_delay_alu instid0(VALU_DEP_1) | instskip(SKIP_2) | instid1(VALU_DEP_1)
	v_rcp_f64_e32 v[190:191], v[186:187]
	s_waitcnt_depctr 0xfff
	v_fma_f64 v[192:193], -v[186:187], v[190:191], 1.0
	v_fma_f64 v[190:191], v[190:191], v[192:193], v[190:191]
	s_delay_alu instid0(VALU_DEP_1) | instskip(NEXT) | instid1(VALU_DEP_1)
	v_fma_f64 v[192:193], -v[186:187], v[190:191], 1.0
	v_fma_f64 v[190:191], v[190:191], v[192:193], v[190:191]
	v_div_scale_f64 v[192:193], vcc_lo, 1.0, v[184:185], 1.0
	s_delay_alu instid0(VALU_DEP_1) | instskip(NEXT) | instid1(VALU_DEP_1)
	v_mul_f64 v[194:195], v[192:193], v[190:191]
	v_fma_f64 v[186:187], -v[186:187], v[194:195], v[192:193]
	s_delay_alu instid0(VALU_DEP_1) | instskip(NEXT) | instid1(VALU_DEP_1)
	v_div_fmas_f64 v[186:187], v[186:187], v[190:191], v[194:195]
	v_div_fixup_f64 v[190:191], v[186:187], v[184:185], 1.0
                                        ; implicit-def: $vgpr184_vgpr185
	s_delay_alu instid0(VALU_DEP_1)
	v_mul_f64 v[192:193], v[188:189], v[190:191]
	v_xor_b32_e32 v191, 0x80000000, v191
.LBB91_230:
	s_and_not1_saveexec_b32 s3, s3
	s_cbranch_execz .LBB91_232
; %bb.231:
	v_div_scale_f64 v[188:189], null, v[184:185], v[184:185], v[186:187]
	v_div_scale_f64 v[194:195], vcc_lo, v[186:187], v[184:185], v[186:187]
	s_delay_alu instid0(VALU_DEP_2) | instskip(SKIP_2) | instid1(VALU_DEP_1)
	v_rcp_f64_e32 v[190:191], v[188:189]
	s_waitcnt_depctr 0xfff
	v_fma_f64 v[192:193], -v[188:189], v[190:191], 1.0
	v_fma_f64 v[190:191], v[190:191], v[192:193], v[190:191]
	s_delay_alu instid0(VALU_DEP_1) | instskip(NEXT) | instid1(VALU_DEP_1)
	v_fma_f64 v[192:193], -v[188:189], v[190:191], 1.0
	v_fma_f64 v[190:191], v[190:191], v[192:193], v[190:191]
	s_delay_alu instid0(VALU_DEP_1) | instskip(NEXT) | instid1(VALU_DEP_1)
	v_mul_f64 v[192:193], v[194:195], v[190:191]
	v_fma_f64 v[188:189], -v[188:189], v[192:193], v[194:195]
	s_delay_alu instid0(VALU_DEP_1) | instskip(NEXT) | instid1(VALU_DEP_1)
	v_div_fmas_f64 v[188:189], v[188:189], v[190:191], v[192:193]
	v_div_fixup_f64 v[188:189], v[188:189], v[184:185], v[186:187]
	s_delay_alu instid0(VALU_DEP_1) | instskip(NEXT) | instid1(VALU_DEP_1)
	v_fma_f64 v[184:185], v[186:187], v[188:189], v[184:185]
	v_div_scale_f64 v[186:187], null, v[184:185], v[184:185], 1.0
	s_delay_alu instid0(VALU_DEP_1) | instskip(SKIP_2) | instid1(VALU_DEP_1)
	v_rcp_f64_e32 v[190:191], v[186:187]
	s_waitcnt_depctr 0xfff
	v_fma_f64 v[192:193], -v[186:187], v[190:191], 1.0
	v_fma_f64 v[190:191], v[190:191], v[192:193], v[190:191]
	s_delay_alu instid0(VALU_DEP_1) | instskip(NEXT) | instid1(VALU_DEP_1)
	v_fma_f64 v[192:193], -v[186:187], v[190:191], 1.0
	v_fma_f64 v[190:191], v[190:191], v[192:193], v[190:191]
	v_div_scale_f64 v[192:193], vcc_lo, 1.0, v[184:185], 1.0
	s_delay_alu instid0(VALU_DEP_1) | instskip(NEXT) | instid1(VALU_DEP_1)
	v_mul_f64 v[194:195], v[192:193], v[190:191]
	v_fma_f64 v[186:187], -v[186:187], v[194:195], v[192:193]
	s_delay_alu instid0(VALU_DEP_1) | instskip(NEXT) | instid1(VALU_DEP_1)
	v_div_fmas_f64 v[186:187], v[186:187], v[190:191], v[194:195]
	v_div_fixup_f64 v[192:193], v[186:187], v[184:185], 1.0
	s_delay_alu instid0(VALU_DEP_1)
	v_mul_f64 v[190:191], v[188:189], -v[192:193]
.LBB91_232:
	s_or_b32 exec_lo, exec_lo, s3
	ds_store_2addr_b64 v227, v[192:193], v[190:191] offset1:1
.LBB91_233:
	s_or_b32 exec_lo, exec_lo, s4
	s_waitcnt lgkmcnt(0)
	s_barrier
	buffer_gl0_inv
	ds_load_2addr_b64 v[184:187], v227 offset1:1
	s_mov_b32 s3, exec_lo
	s_waitcnt lgkmcnt(0)
	scratch_store_b128 off, v[184:187], off offset:672 ; 16-byte Folded Spill
	v_cmpx_lt_u32_e32 25, v226
	s_cbranch_execz .LBB91_235
; %bb.234:
	scratch_load_b128 v[186:189], off, off offset:672 ; 16-byte Folded Reload
	s_waitcnt vmcnt(0)
	v_mul_f64 v[184:185], v[188:189], v[82:83]
	v_mul_f64 v[82:83], v[186:187], v[82:83]
	s_delay_alu instid0(VALU_DEP_2) | instskip(NEXT) | instid1(VALU_DEP_2)
	v_fma_f64 v[184:185], v[186:187], v[80:81], -v[184:185]
	v_fma_f64 v[82:83], v[188:189], v[80:81], v[82:83]
	ds_load_2addr_b64 v[186:189], v228 offset0:52 offset1:53
	s_waitcnt lgkmcnt(0)
	v_mul_f64 v[80:81], v[188:189], v[82:83]
	s_delay_alu instid0(VALU_DEP_1) | instskip(SKIP_1) | instid1(VALU_DEP_2)
	v_fma_f64 v[80:81], v[186:187], v[184:185], -v[80:81]
	v_mul_f64 v[186:187], v[186:187], v[82:83]
	v_add_f64 v[76:77], v[76:77], -v[80:81]
	s_delay_alu instid0(VALU_DEP_2) | instskip(NEXT) | instid1(VALU_DEP_1)
	v_fma_f64 v[186:187], v[188:189], v[184:185], v[186:187]
	v_add_f64 v[78:79], v[78:79], -v[186:187]
	ds_load_2addr_b64 v[186:189], v228 offset0:54 offset1:55
	s_waitcnt lgkmcnt(0)
	v_mul_f64 v[80:81], v[188:189], v[82:83]
	s_delay_alu instid0(VALU_DEP_1) | instskip(SKIP_1) | instid1(VALU_DEP_2)
	v_fma_f64 v[80:81], v[186:187], v[184:185], -v[80:81]
	v_mul_f64 v[186:187], v[186:187], v[82:83]
	v_add_f64 v[72:73], v[72:73], -v[80:81]
	s_delay_alu instid0(VALU_DEP_2) | instskip(NEXT) | instid1(VALU_DEP_1)
	v_fma_f64 v[186:187], v[188:189], v[184:185], v[186:187]
	v_add_f64 v[74:75], v[74:75], -v[186:187]
	;; [unrolled: 10-line block ×19, first 2 shown]
	ds_load_2addr_b64 v[186:189], v228 offset0:90 offset1:91
	s_waitcnt lgkmcnt(0)
	v_mul_f64 v[80:81], v[188:189], v[82:83]
	s_delay_alu instid0(VALU_DEP_1) | instskip(SKIP_1) | instid1(VALU_DEP_2)
	v_fma_f64 v[80:81], v[186:187], v[184:185], -v[80:81]
	v_mul_f64 v[186:187], v[186:187], v[82:83]
	v_add_f64 v[0:1], v[0:1], -v[80:81]
	s_delay_alu instid0(VALU_DEP_2) | instskip(SKIP_1) | instid1(VALU_DEP_2)
	v_fma_f64 v[186:187], v[188:189], v[184:185], v[186:187]
	v_dual_mov_b32 v80, v184 :: v_dual_mov_b32 v81, v185
	v_add_f64 v[2:3], v[2:3], -v[186:187]
.LBB91_235:
	s_or_b32 exec_lo, exec_lo, s3
	s_delay_alu instid0(SALU_CYCLE_1)
	s_mov_b32 s4, exec_lo
	s_waitcnt_vscnt null, 0x0
	s_barrier
	buffer_gl0_inv
	v_cmpx_eq_u32_e32 26, v226
	s_cbranch_execz .LBB91_242
; %bb.236:
	ds_store_2addr_b64 v227, v[76:77], v[78:79] offset1:1
	ds_store_2addr_b64 v228, v[72:73], v[74:75] offset0:54 offset1:55
	ds_store_2addr_b64 v228, v[68:69], v[70:71] offset0:56 offset1:57
	;; [unrolled: 1-line block ×19, first 2 shown]
	ds_load_2addr_b64 v[184:187], v227 offset1:1
	s_waitcnt lgkmcnt(0)
	v_cmp_neq_f64_e32 vcc_lo, 0, v[184:185]
	v_cmp_neq_f64_e64 s3, 0, v[186:187]
	s_delay_alu instid0(VALU_DEP_1) | instskip(NEXT) | instid1(SALU_CYCLE_1)
	s_or_b32 s3, vcc_lo, s3
	s_and_b32 exec_lo, exec_lo, s3
	s_cbranch_execz .LBB91_242
; %bb.237:
	v_cmp_gt_f64_e32 vcc_lo, 0, v[184:185]
	v_xor_b32_e32 v188, 0x80000000, v185
	v_xor_b32_e32 v190, 0x80000000, v187
	s_mov_b32 s3, exec_lo
                                        ; implicit-def: $vgpr192_vgpr193
	s_delay_alu instid0(VALU_DEP_2) | instskip(SKIP_4) | instid1(VALU_DEP_1)
	v_cndmask_b32_e32 v189, v185, v188, vcc_lo
	v_cndmask_b32_e32 v188, v184, v184, vcc_lo
	v_cmp_gt_f64_e32 vcc_lo, 0, v[186:187]
	v_cndmask_b32_e32 v191, v187, v190, vcc_lo
	v_cndmask_b32_e32 v190, v186, v186, vcc_lo
	v_cmpx_ngt_f64_e32 v[188:189], v[190:191]
	s_xor_b32 s3, exec_lo, s3
                                        ; implicit-def: $vgpr188_vgpr189_vgpr190_vgpr191
	s_cbranch_execz .LBB91_239
; %bb.238:
	v_div_scale_f64 v[188:189], null, v[186:187], v[186:187], v[184:185]
	v_div_scale_f64 v[194:195], vcc_lo, v[184:185], v[186:187], v[184:185]
	s_delay_alu instid0(VALU_DEP_2) | instskip(SKIP_2) | instid1(VALU_DEP_1)
	v_rcp_f64_e32 v[190:191], v[188:189]
	s_waitcnt_depctr 0xfff
	v_fma_f64 v[192:193], -v[188:189], v[190:191], 1.0
	v_fma_f64 v[190:191], v[190:191], v[192:193], v[190:191]
	s_delay_alu instid0(VALU_DEP_1) | instskip(NEXT) | instid1(VALU_DEP_1)
	v_fma_f64 v[192:193], -v[188:189], v[190:191], 1.0
	v_fma_f64 v[190:191], v[190:191], v[192:193], v[190:191]
	s_delay_alu instid0(VALU_DEP_1) | instskip(NEXT) | instid1(VALU_DEP_1)
	v_mul_f64 v[192:193], v[194:195], v[190:191]
	v_fma_f64 v[188:189], -v[188:189], v[192:193], v[194:195]
	s_delay_alu instid0(VALU_DEP_1) | instskip(NEXT) | instid1(VALU_DEP_1)
	v_div_fmas_f64 v[188:189], v[188:189], v[190:191], v[192:193]
	v_div_fixup_f64 v[188:189], v[188:189], v[186:187], v[184:185]
	s_delay_alu instid0(VALU_DEP_1) | instskip(NEXT) | instid1(VALU_DEP_1)
	v_fma_f64 v[184:185], v[184:185], v[188:189], v[186:187]
	v_div_scale_f64 v[186:187], null, v[184:185], v[184:185], 1.0
	s_delay_alu instid0(VALU_DEP_1) | instskip(SKIP_2) | instid1(VALU_DEP_1)
	v_rcp_f64_e32 v[190:191], v[186:187]
	s_waitcnt_depctr 0xfff
	v_fma_f64 v[192:193], -v[186:187], v[190:191], 1.0
	v_fma_f64 v[190:191], v[190:191], v[192:193], v[190:191]
	s_delay_alu instid0(VALU_DEP_1) | instskip(NEXT) | instid1(VALU_DEP_1)
	v_fma_f64 v[192:193], -v[186:187], v[190:191], 1.0
	v_fma_f64 v[190:191], v[190:191], v[192:193], v[190:191]
	v_div_scale_f64 v[192:193], vcc_lo, 1.0, v[184:185], 1.0
	s_delay_alu instid0(VALU_DEP_1) | instskip(NEXT) | instid1(VALU_DEP_1)
	v_mul_f64 v[194:195], v[192:193], v[190:191]
	v_fma_f64 v[186:187], -v[186:187], v[194:195], v[192:193]
	s_delay_alu instid0(VALU_DEP_1) | instskip(NEXT) | instid1(VALU_DEP_1)
	v_div_fmas_f64 v[186:187], v[186:187], v[190:191], v[194:195]
	v_div_fixup_f64 v[190:191], v[186:187], v[184:185], 1.0
                                        ; implicit-def: $vgpr184_vgpr185
	s_delay_alu instid0(VALU_DEP_1)
	v_mul_f64 v[192:193], v[188:189], v[190:191]
	v_xor_b32_e32 v191, 0x80000000, v191
.LBB91_239:
	s_and_not1_saveexec_b32 s3, s3
	s_cbranch_execz .LBB91_241
; %bb.240:
	v_div_scale_f64 v[188:189], null, v[184:185], v[184:185], v[186:187]
	v_div_scale_f64 v[194:195], vcc_lo, v[186:187], v[184:185], v[186:187]
	s_delay_alu instid0(VALU_DEP_2) | instskip(SKIP_2) | instid1(VALU_DEP_1)
	v_rcp_f64_e32 v[190:191], v[188:189]
	s_waitcnt_depctr 0xfff
	v_fma_f64 v[192:193], -v[188:189], v[190:191], 1.0
	v_fma_f64 v[190:191], v[190:191], v[192:193], v[190:191]
	s_delay_alu instid0(VALU_DEP_1) | instskip(NEXT) | instid1(VALU_DEP_1)
	v_fma_f64 v[192:193], -v[188:189], v[190:191], 1.0
	v_fma_f64 v[190:191], v[190:191], v[192:193], v[190:191]
	s_delay_alu instid0(VALU_DEP_1) | instskip(NEXT) | instid1(VALU_DEP_1)
	v_mul_f64 v[192:193], v[194:195], v[190:191]
	v_fma_f64 v[188:189], -v[188:189], v[192:193], v[194:195]
	s_delay_alu instid0(VALU_DEP_1) | instskip(NEXT) | instid1(VALU_DEP_1)
	v_div_fmas_f64 v[188:189], v[188:189], v[190:191], v[192:193]
	v_div_fixup_f64 v[188:189], v[188:189], v[184:185], v[186:187]
	s_delay_alu instid0(VALU_DEP_1) | instskip(NEXT) | instid1(VALU_DEP_1)
	v_fma_f64 v[184:185], v[186:187], v[188:189], v[184:185]
	v_div_scale_f64 v[186:187], null, v[184:185], v[184:185], 1.0
	s_delay_alu instid0(VALU_DEP_1) | instskip(SKIP_2) | instid1(VALU_DEP_1)
	v_rcp_f64_e32 v[190:191], v[186:187]
	s_waitcnt_depctr 0xfff
	v_fma_f64 v[192:193], -v[186:187], v[190:191], 1.0
	v_fma_f64 v[190:191], v[190:191], v[192:193], v[190:191]
	s_delay_alu instid0(VALU_DEP_1) | instskip(NEXT) | instid1(VALU_DEP_1)
	v_fma_f64 v[192:193], -v[186:187], v[190:191], 1.0
	v_fma_f64 v[190:191], v[190:191], v[192:193], v[190:191]
	v_div_scale_f64 v[192:193], vcc_lo, 1.0, v[184:185], 1.0
	s_delay_alu instid0(VALU_DEP_1) | instskip(NEXT) | instid1(VALU_DEP_1)
	v_mul_f64 v[194:195], v[192:193], v[190:191]
	v_fma_f64 v[186:187], -v[186:187], v[194:195], v[192:193]
	s_delay_alu instid0(VALU_DEP_1) | instskip(NEXT) | instid1(VALU_DEP_1)
	v_div_fmas_f64 v[186:187], v[186:187], v[190:191], v[194:195]
	v_div_fixup_f64 v[192:193], v[186:187], v[184:185], 1.0
	s_delay_alu instid0(VALU_DEP_1)
	v_mul_f64 v[190:191], v[188:189], -v[192:193]
.LBB91_241:
	s_or_b32 exec_lo, exec_lo, s3
	ds_store_2addr_b64 v227, v[192:193], v[190:191] offset1:1
.LBB91_242:
	s_or_b32 exec_lo, exec_lo, s4
	s_waitcnt lgkmcnt(0)
	s_barrier
	buffer_gl0_inv
	ds_load_2addr_b64 v[184:187], v227 offset1:1
	s_mov_b32 s3, exec_lo
	s_waitcnt lgkmcnt(0)
	scratch_store_b128 off, v[184:187], off offset:688 ; 16-byte Folded Spill
	v_cmpx_lt_u32_e32 26, v226
	s_cbranch_execz .LBB91_244
; %bb.243:
	scratch_load_b128 v[186:189], off, off offset:688 ; 16-byte Folded Reload
	s_waitcnt vmcnt(0)
	v_mul_f64 v[184:185], v[188:189], v[78:79]
	v_mul_f64 v[78:79], v[186:187], v[78:79]
	s_delay_alu instid0(VALU_DEP_2) | instskip(NEXT) | instid1(VALU_DEP_2)
	v_fma_f64 v[184:185], v[186:187], v[76:77], -v[184:185]
	v_fma_f64 v[78:79], v[188:189], v[76:77], v[78:79]
	ds_load_2addr_b64 v[186:189], v228 offset0:54 offset1:55
	s_waitcnt lgkmcnt(0)
	v_mul_f64 v[76:77], v[188:189], v[78:79]
	s_delay_alu instid0(VALU_DEP_1) | instskip(SKIP_1) | instid1(VALU_DEP_2)
	v_fma_f64 v[76:77], v[186:187], v[184:185], -v[76:77]
	v_mul_f64 v[186:187], v[186:187], v[78:79]
	v_add_f64 v[72:73], v[72:73], -v[76:77]
	s_delay_alu instid0(VALU_DEP_2) | instskip(NEXT) | instid1(VALU_DEP_1)
	v_fma_f64 v[186:187], v[188:189], v[184:185], v[186:187]
	v_add_f64 v[74:75], v[74:75], -v[186:187]
	ds_load_2addr_b64 v[186:189], v228 offset0:56 offset1:57
	s_waitcnt lgkmcnt(0)
	v_mul_f64 v[76:77], v[188:189], v[78:79]
	s_delay_alu instid0(VALU_DEP_1) | instskip(SKIP_1) | instid1(VALU_DEP_2)
	v_fma_f64 v[76:77], v[186:187], v[184:185], -v[76:77]
	v_mul_f64 v[186:187], v[186:187], v[78:79]
	v_add_f64 v[68:69], v[68:69], -v[76:77]
	s_delay_alu instid0(VALU_DEP_2) | instskip(NEXT) | instid1(VALU_DEP_1)
	v_fma_f64 v[186:187], v[188:189], v[184:185], v[186:187]
	v_add_f64 v[70:71], v[70:71], -v[186:187]
	;; [unrolled: 10-line block ×18, first 2 shown]
	ds_load_2addr_b64 v[186:189], v228 offset0:90 offset1:91
	s_waitcnt lgkmcnt(0)
	v_mul_f64 v[76:77], v[188:189], v[78:79]
	s_delay_alu instid0(VALU_DEP_1) | instskip(SKIP_1) | instid1(VALU_DEP_2)
	v_fma_f64 v[76:77], v[186:187], v[184:185], -v[76:77]
	v_mul_f64 v[186:187], v[186:187], v[78:79]
	v_add_f64 v[0:1], v[0:1], -v[76:77]
	s_delay_alu instid0(VALU_DEP_2) | instskip(SKIP_1) | instid1(VALU_DEP_2)
	v_fma_f64 v[186:187], v[188:189], v[184:185], v[186:187]
	v_dual_mov_b32 v76, v184 :: v_dual_mov_b32 v77, v185
	v_add_f64 v[2:3], v[2:3], -v[186:187]
.LBB91_244:
	s_or_b32 exec_lo, exec_lo, s3
	s_delay_alu instid0(SALU_CYCLE_1)
	s_mov_b32 s4, exec_lo
	s_waitcnt_vscnt null, 0x0
	s_barrier
	buffer_gl0_inv
	v_cmpx_eq_u32_e32 27, v226
	s_cbranch_execz .LBB91_251
; %bb.245:
	ds_store_2addr_b64 v227, v[72:73], v[74:75] offset1:1
	ds_store_2addr_b64 v228, v[68:69], v[70:71] offset0:56 offset1:57
	ds_store_2addr_b64 v228, v[64:65], v[66:67] offset0:58 offset1:59
	;; [unrolled: 1-line block ×18, first 2 shown]
	ds_load_2addr_b64 v[184:187], v227 offset1:1
	s_waitcnt lgkmcnt(0)
	v_cmp_neq_f64_e32 vcc_lo, 0, v[184:185]
	v_cmp_neq_f64_e64 s3, 0, v[186:187]
	s_delay_alu instid0(VALU_DEP_1) | instskip(NEXT) | instid1(SALU_CYCLE_1)
	s_or_b32 s3, vcc_lo, s3
	s_and_b32 exec_lo, exec_lo, s3
	s_cbranch_execz .LBB91_251
; %bb.246:
	v_cmp_gt_f64_e32 vcc_lo, 0, v[184:185]
	v_xor_b32_e32 v188, 0x80000000, v185
	v_xor_b32_e32 v190, 0x80000000, v187
	s_mov_b32 s3, exec_lo
                                        ; implicit-def: $vgpr192_vgpr193
	s_delay_alu instid0(VALU_DEP_2) | instskip(SKIP_4) | instid1(VALU_DEP_1)
	v_cndmask_b32_e32 v189, v185, v188, vcc_lo
	v_cndmask_b32_e32 v188, v184, v184, vcc_lo
	v_cmp_gt_f64_e32 vcc_lo, 0, v[186:187]
	v_cndmask_b32_e32 v191, v187, v190, vcc_lo
	v_cndmask_b32_e32 v190, v186, v186, vcc_lo
	v_cmpx_ngt_f64_e32 v[188:189], v[190:191]
	s_xor_b32 s3, exec_lo, s3
                                        ; implicit-def: $vgpr188_vgpr189_vgpr190_vgpr191
	s_cbranch_execz .LBB91_248
; %bb.247:
	v_div_scale_f64 v[188:189], null, v[186:187], v[186:187], v[184:185]
	v_div_scale_f64 v[194:195], vcc_lo, v[184:185], v[186:187], v[184:185]
	s_delay_alu instid0(VALU_DEP_2) | instskip(SKIP_2) | instid1(VALU_DEP_1)
	v_rcp_f64_e32 v[190:191], v[188:189]
	s_waitcnt_depctr 0xfff
	v_fma_f64 v[192:193], -v[188:189], v[190:191], 1.0
	v_fma_f64 v[190:191], v[190:191], v[192:193], v[190:191]
	s_delay_alu instid0(VALU_DEP_1) | instskip(NEXT) | instid1(VALU_DEP_1)
	v_fma_f64 v[192:193], -v[188:189], v[190:191], 1.0
	v_fma_f64 v[190:191], v[190:191], v[192:193], v[190:191]
	s_delay_alu instid0(VALU_DEP_1) | instskip(NEXT) | instid1(VALU_DEP_1)
	v_mul_f64 v[192:193], v[194:195], v[190:191]
	v_fma_f64 v[188:189], -v[188:189], v[192:193], v[194:195]
	s_delay_alu instid0(VALU_DEP_1) | instskip(NEXT) | instid1(VALU_DEP_1)
	v_div_fmas_f64 v[188:189], v[188:189], v[190:191], v[192:193]
	v_div_fixup_f64 v[188:189], v[188:189], v[186:187], v[184:185]
	s_delay_alu instid0(VALU_DEP_1) | instskip(NEXT) | instid1(VALU_DEP_1)
	v_fma_f64 v[184:185], v[184:185], v[188:189], v[186:187]
	v_div_scale_f64 v[186:187], null, v[184:185], v[184:185], 1.0
	s_delay_alu instid0(VALU_DEP_1) | instskip(SKIP_2) | instid1(VALU_DEP_1)
	v_rcp_f64_e32 v[190:191], v[186:187]
	s_waitcnt_depctr 0xfff
	v_fma_f64 v[192:193], -v[186:187], v[190:191], 1.0
	v_fma_f64 v[190:191], v[190:191], v[192:193], v[190:191]
	s_delay_alu instid0(VALU_DEP_1) | instskip(NEXT) | instid1(VALU_DEP_1)
	v_fma_f64 v[192:193], -v[186:187], v[190:191], 1.0
	v_fma_f64 v[190:191], v[190:191], v[192:193], v[190:191]
	v_div_scale_f64 v[192:193], vcc_lo, 1.0, v[184:185], 1.0
	s_delay_alu instid0(VALU_DEP_1) | instskip(NEXT) | instid1(VALU_DEP_1)
	v_mul_f64 v[194:195], v[192:193], v[190:191]
	v_fma_f64 v[186:187], -v[186:187], v[194:195], v[192:193]
	s_delay_alu instid0(VALU_DEP_1) | instskip(NEXT) | instid1(VALU_DEP_1)
	v_div_fmas_f64 v[186:187], v[186:187], v[190:191], v[194:195]
	v_div_fixup_f64 v[190:191], v[186:187], v[184:185], 1.0
                                        ; implicit-def: $vgpr184_vgpr185
	s_delay_alu instid0(VALU_DEP_1)
	v_mul_f64 v[192:193], v[188:189], v[190:191]
	v_xor_b32_e32 v191, 0x80000000, v191
.LBB91_248:
	s_and_not1_saveexec_b32 s3, s3
	s_cbranch_execz .LBB91_250
; %bb.249:
	v_div_scale_f64 v[188:189], null, v[184:185], v[184:185], v[186:187]
	v_div_scale_f64 v[194:195], vcc_lo, v[186:187], v[184:185], v[186:187]
	s_delay_alu instid0(VALU_DEP_2) | instskip(SKIP_2) | instid1(VALU_DEP_1)
	v_rcp_f64_e32 v[190:191], v[188:189]
	s_waitcnt_depctr 0xfff
	v_fma_f64 v[192:193], -v[188:189], v[190:191], 1.0
	v_fma_f64 v[190:191], v[190:191], v[192:193], v[190:191]
	s_delay_alu instid0(VALU_DEP_1) | instskip(NEXT) | instid1(VALU_DEP_1)
	v_fma_f64 v[192:193], -v[188:189], v[190:191], 1.0
	v_fma_f64 v[190:191], v[190:191], v[192:193], v[190:191]
	s_delay_alu instid0(VALU_DEP_1) | instskip(NEXT) | instid1(VALU_DEP_1)
	v_mul_f64 v[192:193], v[194:195], v[190:191]
	v_fma_f64 v[188:189], -v[188:189], v[192:193], v[194:195]
	s_delay_alu instid0(VALU_DEP_1) | instskip(NEXT) | instid1(VALU_DEP_1)
	v_div_fmas_f64 v[188:189], v[188:189], v[190:191], v[192:193]
	v_div_fixup_f64 v[188:189], v[188:189], v[184:185], v[186:187]
	s_delay_alu instid0(VALU_DEP_1) | instskip(NEXT) | instid1(VALU_DEP_1)
	v_fma_f64 v[184:185], v[186:187], v[188:189], v[184:185]
	v_div_scale_f64 v[186:187], null, v[184:185], v[184:185], 1.0
	s_delay_alu instid0(VALU_DEP_1) | instskip(SKIP_2) | instid1(VALU_DEP_1)
	v_rcp_f64_e32 v[190:191], v[186:187]
	s_waitcnt_depctr 0xfff
	v_fma_f64 v[192:193], -v[186:187], v[190:191], 1.0
	v_fma_f64 v[190:191], v[190:191], v[192:193], v[190:191]
	s_delay_alu instid0(VALU_DEP_1) | instskip(NEXT) | instid1(VALU_DEP_1)
	v_fma_f64 v[192:193], -v[186:187], v[190:191], 1.0
	v_fma_f64 v[190:191], v[190:191], v[192:193], v[190:191]
	v_div_scale_f64 v[192:193], vcc_lo, 1.0, v[184:185], 1.0
	s_delay_alu instid0(VALU_DEP_1) | instskip(NEXT) | instid1(VALU_DEP_1)
	v_mul_f64 v[194:195], v[192:193], v[190:191]
	v_fma_f64 v[186:187], -v[186:187], v[194:195], v[192:193]
	s_delay_alu instid0(VALU_DEP_1) | instskip(NEXT) | instid1(VALU_DEP_1)
	v_div_fmas_f64 v[186:187], v[186:187], v[190:191], v[194:195]
	v_div_fixup_f64 v[192:193], v[186:187], v[184:185], 1.0
	s_delay_alu instid0(VALU_DEP_1)
	v_mul_f64 v[190:191], v[188:189], -v[192:193]
.LBB91_250:
	s_or_b32 exec_lo, exec_lo, s3
	ds_store_2addr_b64 v227, v[192:193], v[190:191] offset1:1
.LBB91_251:
	s_or_b32 exec_lo, exec_lo, s4
	s_waitcnt lgkmcnt(0)
	s_barrier
	buffer_gl0_inv
	ds_load_2addr_b64 v[184:187], v227 offset1:1
	s_mov_b32 s3, exec_lo
	s_waitcnt lgkmcnt(0)
	scratch_store_b128 off, v[184:187], off offset:704 ; 16-byte Folded Spill
	v_cmpx_lt_u32_e32 27, v226
	s_cbranch_execz .LBB91_253
; %bb.252:
	scratch_load_b128 v[186:189], off, off offset:704 ; 16-byte Folded Reload
	s_waitcnt vmcnt(0)
	v_mul_f64 v[184:185], v[188:189], v[74:75]
	v_mul_f64 v[74:75], v[186:187], v[74:75]
	s_delay_alu instid0(VALU_DEP_2) | instskip(NEXT) | instid1(VALU_DEP_2)
	v_fma_f64 v[184:185], v[186:187], v[72:73], -v[184:185]
	v_fma_f64 v[74:75], v[188:189], v[72:73], v[74:75]
	ds_load_2addr_b64 v[186:189], v228 offset0:56 offset1:57
	s_waitcnt lgkmcnt(0)
	v_mul_f64 v[72:73], v[188:189], v[74:75]
	s_delay_alu instid0(VALU_DEP_1) | instskip(SKIP_1) | instid1(VALU_DEP_2)
	v_fma_f64 v[72:73], v[186:187], v[184:185], -v[72:73]
	v_mul_f64 v[186:187], v[186:187], v[74:75]
	v_add_f64 v[68:69], v[68:69], -v[72:73]
	s_delay_alu instid0(VALU_DEP_2) | instskip(NEXT) | instid1(VALU_DEP_1)
	v_fma_f64 v[186:187], v[188:189], v[184:185], v[186:187]
	v_add_f64 v[70:71], v[70:71], -v[186:187]
	ds_load_2addr_b64 v[186:189], v228 offset0:58 offset1:59
	s_waitcnt lgkmcnt(0)
	v_mul_f64 v[72:73], v[188:189], v[74:75]
	s_delay_alu instid0(VALU_DEP_1) | instskip(SKIP_1) | instid1(VALU_DEP_2)
	v_fma_f64 v[72:73], v[186:187], v[184:185], -v[72:73]
	v_mul_f64 v[186:187], v[186:187], v[74:75]
	v_add_f64 v[64:65], v[64:65], -v[72:73]
	s_delay_alu instid0(VALU_DEP_2) | instskip(NEXT) | instid1(VALU_DEP_1)
	v_fma_f64 v[186:187], v[188:189], v[184:185], v[186:187]
	v_add_f64 v[66:67], v[66:67], -v[186:187]
	;; [unrolled: 10-line block ×17, first 2 shown]
	ds_load_2addr_b64 v[186:189], v228 offset0:90 offset1:91
	s_waitcnt lgkmcnt(0)
	v_mul_f64 v[72:73], v[188:189], v[74:75]
	s_delay_alu instid0(VALU_DEP_1) | instskip(SKIP_1) | instid1(VALU_DEP_2)
	v_fma_f64 v[72:73], v[186:187], v[184:185], -v[72:73]
	v_mul_f64 v[186:187], v[186:187], v[74:75]
	v_add_f64 v[0:1], v[0:1], -v[72:73]
	s_delay_alu instid0(VALU_DEP_2) | instskip(SKIP_1) | instid1(VALU_DEP_2)
	v_fma_f64 v[186:187], v[188:189], v[184:185], v[186:187]
	v_dual_mov_b32 v72, v184 :: v_dual_mov_b32 v73, v185
	v_add_f64 v[2:3], v[2:3], -v[186:187]
.LBB91_253:
	s_or_b32 exec_lo, exec_lo, s3
	s_delay_alu instid0(SALU_CYCLE_1)
	s_mov_b32 s4, exec_lo
	s_waitcnt_vscnt null, 0x0
	s_barrier
	buffer_gl0_inv
	v_cmpx_eq_u32_e32 28, v226
	s_cbranch_execz .LBB91_260
; %bb.254:
	ds_store_2addr_b64 v227, v[68:69], v[70:71] offset1:1
	ds_store_2addr_b64 v228, v[64:65], v[66:67] offset0:58 offset1:59
	ds_store_2addr_b64 v228, v[60:61], v[62:63] offset0:60 offset1:61
	;; [unrolled: 1-line block ×17, first 2 shown]
	ds_load_2addr_b64 v[184:187], v227 offset1:1
	s_waitcnt lgkmcnt(0)
	v_cmp_neq_f64_e32 vcc_lo, 0, v[184:185]
	v_cmp_neq_f64_e64 s3, 0, v[186:187]
	s_delay_alu instid0(VALU_DEP_1) | instskip(NEXT) | instid1(SALU_CYCLE_1)
	s_or_b32 s3, vcc_lo, s3
	s_and_b32 exec_lo, exec_lo, s3
	s_cbranch_execz .LBB91_260
; %bb.255:
	v_cmp_gt_f64_e32 vcc_lo, 0, v[184:185]
	v_xor_b32_e32 v188, 0x80000000, v185
	v_xor_b32_e32 v190, 0x80000000, v187
	s_mov_b32 s3, exec_lo
                                        ; implicit-def: $vgpr192_vgpr193
	s_delay_alu instid0(VALU_DEP_2) | instskip(SKIP_4) | instid1(VALU_DEP_1)
	v_cndmask_b32_e32 v189, v185, v188, vcc_lo
	v_cndmask_b32_e32 v188, v184, v184, vcc_lo
	v_cmp_gt_f64_e32 vcc_lo, 0, v[186:187]
	v_cndmask_b32_e32 v191, v187, v190, vcc_lo
	v_cndmask_b32_e32 v190, v186, v186, vcc_lo
	v_cmpx_ngt_f64_e32 v[188:189], v[190:191]
	s_xor_b32 s3, exec_lo, s3
                                        ; implicit-def: $vgpr188_vgpr189_vgpr190_vgpr191
	s_cbranch_execz .LBB91_257
; %bb.256:
	v_div_scale_f64 v[188:189], null, v[186:187], v[186:187], v[184:185]
	v_div_scale_f64 v[194:195], vcc_lo, v[184:185], v[186:187], v[184:185]
	s_delay_alu instid0(VALU_DEP_2) | instskip(SKIP_2) | instid1(VALU_DEP_1)
	v_rcp_f64_e32 v[190:191], v[188:189]
	s_waitcnt_depctr 0xfff
	v_fma_f64 v[192:193], -v[188:189], v[190:191], 1.0
	v_fma_f64 v[190:191], v[190:191], v[192:193], v[190:191]
	s_delay_alu instid0(VALU_DEP_1) | instskip(NEXT) | instid1(VALU_DEP_1)
	v_fma_f64 v[192:193], -v[188:189], v[190:191], 1.0
	v_fma_f64 v[190:191], v[190:191], v[192:193], v[190:191]
	s_delay_alu instid0(VALU_DEP_1) | instskip(NEXT) | instid1(VALU_DEP_1)
	v_mul_f64 v[192:193], v[194:195], v[190:191]
	v_fma_f64 v[188:189], -v[188:189], v[192:193], v[194:195]
	s_delay_alu instid0(VALU_DEP_1) | instskip(NEXT) | instid1(VALU_DEP_1)
	v_div_fmas_f64 v[188:189], v[188:189], v[190:191], v[192:193]
	v_div_fixup_f64 v[188:189], v[188:189], v[186:187], v[184:185]
	s_delay_alu instid0(VALU_DEP_1) | instskip(NEXT) | instid1(VALU_DEP_1)
	v_fma_f64 v[184:185], v[184:185], v[188:189], v[186:187]
	v_div_scale_f64 v[186:187], null, v[184:185], v[184:185], 1.0
	s_delay_alu instid0(VALU_DEP_1) | instskip(SKIP_2) | instid1(VALU_DEP_1)
	v_rcp_f64_e32 v[190:191], v[186:187]
	s_waitcnt_depctr 0xfff
	v_fma_f64 v[192:193], -v[186:187], v[190:191], 1.0
	v_fma_f64 v[190:191], v[190:191], v[192:193], v[190:191]
	s_delay_alu instid0(VALU_DEP_1) | instskip(NEXT) | instid1(VALU_DEP_1)
	v_fma_f64 v[192:193], -v[186:187], v[190:191], 1.0
	v_fma_f64 v[190:191], v[190:191], v[192:193], v[190:191]
	v_div_scale_f64 v[192:193], vcc_lo, 1.0, v[184:185], 1.0
	s_delay_alu instid0(VALU_DEP_1) | instskip(NEXT) | instid1(VALU_DEP_1)
	v_mul_f64 v[194:195], v[192:193], v[190:191]
	v_fma_f64 v[186:187], -v[186:187], v[194:195], v[192:193]
	s_delay_alu instid0(VALU_DEP_1) | instskip(NEXT) | instid1(VALU_DEP_1)
	v_div_fmas_f64 v[186:187], v[186:187], v[190:191], v[194:195]
	v_div_fixup_f64 v[190:191], v[186:187], v[184:185], 1.0
                                        ; implicit-def: $vgpr184_vgpr185
	s_delay_alu instid0(VALU_DEP_1)
	v_mul_f64 v[192:193], v[188:189], v[190:191]
	v_xor_b32_e32 v191, 0x80000000, v191
.LBB91_257:
	s_and_not1_saveexec_b32 s3, s3
	s_cbranch_execz .LBB91_259
; %bb.258:
	v_div_scale_f64 v[188:189], null, v[184:185], v[184:185], v[186:187]
	v_div_scale_f64 v[194:195], vcc_lo, v[186:187], v[184:185], v[186:187]
	s_delay_alu instid0(VALU_DEP_2) | instskip(SKIP_2) | instid1(VALU_DEP_1)
	v_rcp_f64_e32 v[190:191], v[188:189]
	s_waitcnt_depctr 0xfff
	v_fma_f64 v[192:193], -v[188:189], v[190:191], 1.0
	v_fma_f64 v[190:191], v[190:191], v[192:193], v[190:191]
	s_delay_alu instid0(VALU_DEP_1) | instskip(NEXT) | instid1(VALU_DEP_1)
	v_fma_f64 v[192:193], -v[188:189], v[190:191], 1.0
	v_fma_f64 v[190:191], v[190:191], v[192:193], v[190:191]
	s_delay_alu instid0(VALU_DEP_1) | instskip(NEXT) | instid1(VALU_DEP_1)
	v_mul_f64 v[192:193], v[194:195], v[190:191]
	v_fma_f64 v[188:189], -v[188:189], v[192:193], v[194:195]
	s_delay_alu instid0(VALU_DEP_1) | instskip(NEXT) | instid1(VALU_DEP_1)
	v_div_fmas_f64 v[188:189], v[188:189], v[190:191], v[192:193]
	v_div_fixup_f64 v[188:189], v[188:189], v[184:185], v[186:187]
	s_delay_alu instid0(VALU_DEP_1) | instskip(NEXT) | instid1(VALU_DEP_1)
	v_fma_f64 v[184:185], v[186:187], v[188:189], v[184:185]
	v_div_scale_f64 v[186:187], null, v[184:185], v[184:185], 1.0
	s_delay_alu instid0(VALU_DEP_1) | instskip(SKIP_2) | instid1(VALU_DEP_1)
	v_rcp_f64_e32 v[190:191], v[186:187]
	s_waitcnt_depctr 0xfff
	v_fma_f64 v[192:193], -v[186:187], v[190:191], 1.0
	v_fma_f64 v[190:191], v[190:191], v[192:193], v[190:191]
	s_delay_alu instid0(VALU_DEP_1) | instskip(NEXT) | instid1(VALU_DEP_1)
	v_fma_f64 v[192:193], -v[186:187], v[190:191], 1.0
	v_fma_f64 v[190:191], v[190:191], v[192:193], v[190:191]
	v_div_scale_f64 v[192:193], vcc_lo, 1.0, v[184:185], 1.0
	s_delay_alu instid0(VALU_DEP_1) | instskip(NEXT) | instid1(VALU_DEP_1)
	v_mul_f64 v[194:195], v[192:193], v[190:191]
	v_fma_f64 v[186:187], -v[186:187], v[194:195], v[192:193]
	s_delay_alu instid0(VALU_DEP_1) | instskip(NEXT) | instid1(VALU_DEP_1)
	v_div_fmas_f64 v[186:187], v[186:187], v[190:191], v[194:195]
	v_div_fixup_f64 v[192:193], v[186:187], v[184:185], 1.0
	s_delay_alu instid0(VALU_DEP_1)
	v_mul_f64 v[190:191], v[188:189], -v[192:193]
.LBB91_259:
	s_or_b32 exec_lo, exec_lo, s3
	ds_store_2addr_b64 v227, v[192:193], v[190:191] offset1:1
.LBB91_260:
	s_or_b32 exec_lo, exec_lo, s4
	s_waitcnt lgkmcnt(0)
	s_barrier
	buffer_gl0_inv
	ds_load_2addr_b64 v[184:187], v227 offset1:1
	s_mov_b32 s3, exec_lo
	s_waitcnt lgkmcnt(0)
	scratch_store_b128 off, v[184:187], off offset:720 ; 16-byte Folded Spill
	v_cmpx_lt_u32_e32 28, v226
	s_cbranch_execz .LBB91_262
; %bb.261:
	scratch_load_b128 v[186:189], off, off offset:720 ; 16-byte Folded Reload
	s_waitcnt vmcnt(0)
	v_mul_f64 v[184:185], v[188:189], v[70:71]
	v_mul_f64 v[70:71], v[186:187], v[70:71]
	s_delay_alu instid0(VALU_DEP_2) | instskip(NEXT) | instid1(VALU_DEP_2)
	v_fma_f64 v[184:185], v[186:187], v[68:69], -v[184:185]
	v_fma_f64 v[70:71], v[188:189], v[68:69], v[70:71]
	ds_load_2addr_b64 v[186:189], v228 offset0:58 offset1:59
	s_waitcnt lgkmcnt(0)
	v_mul_f64 v[68:69], v[188:189], v[70:71]
	s_delay_alu instid0(VALU_DEP_1) | instskip(SKIP_1) | instid1(VALU_DEP_2)
	v_fma_f64 v[68:69], v[186:187], v[184:185], -v[68:69]
	v_mul_f64 v[186:187], v[186:187], v[70:71]
	v_add_f64 v[64:65], v[64:65], -v[68:69]
	s_delay_alu instid0(VALU_DEP_2) | instskip(NEXT) | instid1(VALU_DEP_1)
	v_fma_f64 v[186:187], v[188:189], v[184:185], v[186:187]
	v_add_f64 v[66:67], v[66:67], -v[186:187]
	ds_load_2addr_b64 v[186:189], v228 offset0:60 offset1:61
	s_waitcnt lgkmcnt(0)
	v_mul_f64 v[68:69], v[188:189], v[70:71]
	s_delay_alu instid0(VALU_DEP_1) | instskip(SKIP_1) | instid1(VALU_DEP_2)
	v_fma_f64 v[68:69], v[186:187], v[184:185], -v[68:69]
	v_mul_f64 v[186:187], v[186:187], v[70:71]
	v_add_f64 v[60:61], v[60:61], -v[68:69]
	s_delay_alu instid0(VALU_DEP_2) | instskip(NEXT) | instid1(VALU_DEP_1)
	v_fma_f64 v[186:187], v[188:189], v[184:185], v[186:187]
	v_add_f64 v[62:63], v[62:63], -v[186:187]
	;; [unrolled: 10-line block ×16, first 2 shown]
	ds_load_2addr_b64 v[186:189], v228 offset0:90 offset1:91
	s_waitcnt lgkmcnt(0)
	v_mul_f64 v[68:69], v[188:189], v[70:71]
	s_delay_alu instid0(VALU_DEP_1) | instskip(SKIP_1) | instid1(VALU_DEP_2)
	v_fma_f64 v[68:69], v[186:187], v[184:185], -v[68:69]
	v_mul_f64 v[186:187], v[186:187], v[70:71]
	v_add_f64 v[0:1], v[0:1], -v[68:69]
	s_delay_alu instid0(VALU_DEP_2) | instskip(SKIP_1) | instid1(VALU_DEP_2)
	v_fma_f64 v[186:187], v[188:189], v[184:185], v[186:187]
	v_dual_mov_b32 v68, v184 :: v_dual_mov_b32 v69, v185
	v_add_f64 v[2:3], v[2:3], -v[186:187]
.LBB91_262:
	s_or_b32 exec_lo, exec_lo, s3
	s_delay_alu instid0(SALU_CYCLE_1)
	s_mov_b32 s4, exec_lo
	s_waitcnt_vscnt null, 0x0
	s_barrier
	buffer_gl0_inv
	v_cmpx_eq_u32_e32 29, v226
	s_cbranch_execz .LBB91_269
; %bb.263:
	ds_store_2addr_b64 v227, v[64:65], v[66:67] offset1:1
	ds_store_2addr_b64 v228, v[60:61], v[62:63] offset0:60 offset1:61
	ds_store_2addr_b64 v228, v[56:57], v[58:59] offset0:62 offset1:63
	;; [unrolled: 1-line block ×16, first 2 shown]
	ds_load_2addr_b64 v[184:187], v227 offset1:1
	s_waitcnt lgkmcnt(0)
	v_cmp_neq_f64_e32 vcc_lo, 0, v[184:185]
	v_cmp_neq_f64_e64 s3, 0, v[186:187]
	s_delay_alu instid0(VALU_DEP_1) | instskip(NEXT) | instid1(SALU_CYCLE_1)
	s_or_b32 s3, vcc_lo, s3
	s_and_b32 exec_lo, exec_lo, s3
	s_cbranch_execz .LBB91_269
; %bb.264:
	v_cmp_gt_f64_e32 vcc_lo, 0, v[184:185]
	v_xor_b32_e32 v188, 0x80000000, v185
	v_xor_b32_e32 v190, 0x80000000, v187
	s_mov_b32 s3, exec_lo
                                        ; implicit-def: $vgpr192_vgpr193
	s_delay_alu instid0(VALU_DEP_2) | instskip(SKIP_4) | instid1(VALU_DEP_1)
	v_cndmask_b32_e32 v189, v185, v188, vcc_lo
	v_cndmask_b32_e32 v188, v184, v184, vcc_lo
	v_cmp_gt_f64_e32 vcc_lo, 0, v[186:187]
	v_cndmask_b32_e32 v191, v187, v190, vcc_lo
	v_cndmask_b32_e32 v190, v186, v186, vcc_lo
	v_cmpx_ngt_f64_e32 v[188:189], v[190:191]
	s_xor_b32 s3, exec_lo, s3
                                        ; implicit-def: $vgpr188_vgpr189_vgpr190_vgpr191
	s_cbranch_execz .LBB91_266
; %bb.265:
	v_div_scale_f64 v[188:189], null, v[186:187], v[186:187], v[184:185]
	v_div_scale_f64 v[194:195], vcc_lo, v[184:185], v[186:187], v[184:185]
	s_delay_alu instid0(VALU_DEP_2) | instskip(SKIP_2) | instid1(VALU_DEP_1)
	v_rcp_f64_e32 v[190:191], v[188:189]
	s_waitcnt_depctr 0xfff
	v_fma_f64 v[192:193], -v[188:189], v[190:191], 1.0
	v_fma_f64 v[190:191], v[190:191], v[192:193], v[190:191]
	s_delay_alu instid0(VALU_DEP_1) | instskip(NEXT) | instid1(VALU_DEP_1)
	v_fma_f64 v[192:193], -v[188:189], v[190:191], 1.0
	v_fma_f64 v[190:191], v[190:191], v[192:193], v[190:191]
	s_delay_alu instid0(VALU_DEP_1) | instskip(NEXT) | instid1(VALU_DEP_1)
	v_mul_f64 v[192:193], v[194:195], v[190:191]
	v_fma_f64 v[188:189], -v[188:189], v[192:193], v[194:195]
	s_delay_alu instid0(VALU_DEP_1) | instskip(NEXT) | instid1(VALU_DEP_1)
	v_div_fmas_f64 v[188:189], v[188:189], v[190:191], v[192:193]
	v_div_fixup_f64 v[188:189], v[188:189], v[186:187], v[184:185]
	s_delay_alu instid0(VALU_DEP_1) | instskip(NEXT) | instid1(VALU_DEP_1)
	v_fma_f64 v[184:185], v[184:185], v[188:189], v[186:187]
	v_div_scale_f64 v[186:187], null, v[184:185], v[184:185], 1.0
	s_delay_alu instid0(VALU_DEP_1) | instskip(SKIP_2) | instid1(VALU_DEP_1)
	v_rcp_f64_e32 v[190:191], v[186:187]
	s_waitcnt_depctr 0xfff
	v_fma_f64 v[192:193], -v[186:187], v[190:191], 1.0
	v_fma_f64 v[190:191], v[190:191], v[192:193], v[190:191]
	s_delay_alu instid0(VALU_DEP_1) | instskip(NEXT) | instid1(VALU_DEP_1)
	v_fma_f64 v[192:193], -v[186:187], v[190:191], 1.0
	v_fma_f64 v[190:191], v[190:191], v[192:193], v[190:191]
	v_div_scale_f64 v[192:193], vcc_lo, 1.0, v[184:185], 1.0
	s_delay_alu instid0(VALU_DEP_1) | instskip(NEXT) | instid1(VALU_DEP_1)
	v_mul_f64 v[194:195], v[192:193], v[190:191]
	v_fma_f64 v[186:187], -v[186:187], v[194:195], v[192:193]
	s_delay_alu instid0(VALU_DEP_1) | instskip(NEXT) | instid1(VALU_DEP_1)
	v_div_fmas_f64 v[186:187], v[186:187], v[190:191], v[194:195]
	v_div_fixup_f64 v[190:191], v[186:187], v[184:185], 1.0
                                        ; implicit-def: $vgpr184_vgpr185
	s_delay_alu instid0(VALU_DEP_1)
	v_mul_f64 v[192:193], v[188:189], v[190:191]
	v_xor_b32_e32 v191, 0x80000000, v191
.LBB91_266:
	s_and_not1_saveexec_b32 s3, s3
	s_cbranch_execz .LBB91_268
; %bb.267:
	v_div_scale_f64 v[188:189], null, v[184:185], v[184:185], v[186:187]
	v_div_scale_f64 v[194:195], vcc_lo, v[186:187], v[184:185], v[186:187]
	s_delay_alu instid0(VALU_DEP_2) | instskip(SKIP_2) | instid1(VALU_DEP_1)
	v_rcp_f64_e32 v[190:191], v[188:189]
	s_waitcnt_depctr 0xfff
	v_fma_f64 v[192:193], -v[188:189], v[190:191], 1.0
	v_fma_f64 v[190:191], v[190:191], v[192:193], v[190:191]
	s_delay_alu instid0(VALU_DEP_1) | instskip(NEXT) | instid1(VALU_DEP_1)
	v_fma_f64 v[192:193], -v[188:189], v[190:191], 1.0
	v_fma_f64 v[190:191], v[190:191], v[192:193], v[190:191]
	s_delay_alu instid0(VALU_DEP_1) | instskip(NEXT) | instid1(VALU_DEP_1)
	v_mul_f64 v[192:193], v[194:195], v[190:191]
	v_fma_f64 v[188:189], -v[188:189], v[192:193], v[194:195]
	s_delay_alu instid0(VALU_DEP_1) | instskip(NEXT) | instid1(VALU_DEP_1)
	v_div_fmas_f64 v[188:189], v[188:189], v[190:191], v[192:193]
	v_div_fixup_f64 v[188:189], v[188:189], v[184:185], v[186:187]
	s_delay_alu instid0(VALU_DEP_1) | instskip(NEXT) | instid1(VALU_DEP_1)
	v_fma_f64 v[184:185], v[186:187], v[188:189], v[184:185]
	v_div_scale_f64 v[186:187], null, v[184:185], v[184:185], 1.0
	s_delay_alu instid0(VALU_DEP_1) | instskip(SKIP_2) | instid1(VALU_DEP_1)
	v_rcp_f64_e32 v[190:191], v[186:187]
	s_waitcnt_depctr 0xfff
	v_fma_f64 v[192:193], -v[186:187], v[190:191], 1.0
	v_fma_f64 v[190:191], v[190:191], v[192:193], v[190:191]
	s_delay_alu instid0(VALU_DEP_1) | instskip(NEXT) | instid1(VALU_DEP_1)
	v_fma_f64 v[192:193], -v[186:187], v[190:191], 1.0
	v_fma_f64 v[190:191], v[190:191], v[192:193], v[190:191]
	v_div_scale_f64 v[192:193], vcc_lo, 1.0, v[184:185], 1.0
	s_delay_alu instid0(VALU_DEP_1) | instskip(NEXT) | instid1(VALU_DEP_1)
	v_mul_f64 v[194:195], v[192:193], v[190:191]
	v_fma_f64 v[186:187], -v[186:187], v[194:195], v[192:193]
	s_delay_alu instid0(VALU_DEP_1) | instskip(NEXT) | instid1(VALU_DEP_1)
	v_div_fmas_f64 v[186:187], v[186:187], v[190:191], v[194:195]
	v_div_fixup_f64 v[192:193], v[186:187], v[184:185], 1.0
	s_delay_alu instid0(VALU_DEP_1)
	v_mul_f64 v[190:191], v[188:189], -v[192:193]
.LBB91_268:
	s_or_b32 exec_lo, exec_lo, s3
	ds_store_2addr_b64 v227, v[192:193], v[190:191] offset1:1
.LBB91_269:
	s_or_b32 exec_lo, exec_lo, s4
	s_waitcnt lgkmcnt(0)
	s_barrier
	buffer_gl0_inv
	ds_load_2addr_b64 v[184:187], v227 offset1:1
	s_mov_b32 s3, exec_lo
	s_waitcnt lgkmcnt(0)
	scratch_store_b128 off, v[184:187], off offset:736 ; 16-byte Folded Spill
	v_cmpx_lt_u32_e32 29, v226
	s_cbranch_execz .LBB91_271
; %bb.270:
	scratch_load_b128 v[186:189], off, off offset:736 ; 16-byte Folded Reload
	s_waitcnt vmcnt(0)
	v_mul_f64 v[184:185], v[186:187], v[66:67]
	v_mul_f64 v[66:67], v[188:189], v[66:67]
	s_delay_alu instid0(VALU_DEP_2) | instskip(NEXT) | instid1(VALU_DEP_2)
	v_fma_f64 v[184:185], v[188:189], v[64:65], v[184:185]
	v_fma_f64 v[64:65], v[186:187], v[64:65], -v[66:67]
	ds_load_2addr_b64 v[186:189], v228 offset0:60 offset1:61
	s_waitcnt lgkmcnt(0)
	v_mul_f64 v[66:67], v[188:189], v[184:185]
	s_delay_alu instid0(VALU_DEP_1) | instskip(SKIP_1) | instid1(VALU_DEP_2)
	v_fma_f64 v[66:67], v[186:187], v[64:65], -v[66:67]
	v_mul_f64 v[186:187], v[186:187], v[184:185]
	v_add_f64 v[60:61], v[60:61], -v[66:67]
	s_delay_alu instid0(VALU_DEP_2) | instskip(NEXT) | instid1(VALU_DEP_1)
	v_fma_f64 v[186:187], v[188:189], v[64:65], v[186:187]
	v_add_f64 v[62:63], v[62:63], -v[186:187]
	ds_load_2addr_b64 v[186:189], v228 offset0:62 offset1:63
	s_waitcnt lgkmcnt(0)
	v_mul_f64 v[66:67], v[188:189], v[184:185]
	s_delay_alu instid0(VALU_DEP_1) | instskip(SKIP_1) | instid1(VALU_DEP_2)
	v_fma_f64 v[66:67], v[186:187], v[64:65], -v[66:67]
	v_mul_f64 v[186:187], v[186:187], v[184:185]
	v_add_f64 v[56:57], v[56:57], -v[66:67]
	s_delay_alu instid0(VALU_DEP_2) | instskip(NEXT) | instid1(VALU_DEP_1)
	v_fma_f64 v[186:187], v[188:189], v[64:65], v[186:187]
	v_add_f64 v[58:59], v[58:59], -v[186:187]
	ds_load_2addr_b64 v[186:189], v228 offset0:64 offset1:65
	s_waitcnt lgkmcnt(0)
	v_mul_f64 v[66:67], v[188:189], v[184:185]
	s_delay_alu instid0(VALU_DEP_1) | instskip(SKIP_1) | instid1(VALU_DEP_2)
	v_fma_f64 v[66:67], v[186:187], v[64:65], -v[66:67]
	v_mul_f64 v[186:187], v[186:187], v[184:185]
	v_add_f64 v[52:53], v[52:53], -v[66:67]
	s_delay_alu instid0(VALU_DEP_2) | instskip(NEXT) | instid1(VALU_DEP_1)
	v_fma_f64 v[186:187], v[188:189], v[64:65], v[186:187]
	v_add_f64 v[54:55], v[54:55], -v[186:187]
	ds_load_2addr_b64 v[186:189], v228 offset0:66 offset1:67
	s_waitcnt lgkmcnt(0)
	v_mul_f64 v[66:67], v[188:189], v[184:185]
	s_delay_alu instid0(VALU_DEP_1) | instskip(SKIP_1) | instid1(VALU_DEP_2)
	v_fma_f64 v[66:67], v[186:187], v[64:65], -v[66:67]
	v_mul_f64 v[186:187], v[186:187], v[184:185]
	v_add_f64 v[48:49], v[48:49], -v[66:67]
	s_delay_alu instid0(VALU_DEP_2) | instskip(NEXT) | instid1(VALU_DEP_1)
	v_fma_f64 v[186:187], v[188:189], v[64:65], v[186:187]
	v_add_f64 v[50:51], v[50:51], -v[186:187]
	ds_load_2addr_b64 v[186:189], v228 offset0:68 offset1:69
	s_waitcnt lgkmcnt(0)
	v_mul_f64 v[66:67], v[188:189], v[184:185]
	s_delay_alu instid0(VALU_DEP_1) | instskip(SKIP_1) | instid1(VALU_DEP_2)
	v_fma_f64 v[66:67], v[186:187], v[64:65], -v[66:67]
	v_mul_f64 v[186:187], v[186:187], v[184:185]
	v_add_f64 v[44:45], v[44:45], -v[66:67]
	s_delay_alu instid0(VALU_DEP_2) | instskip(NEXT) | instid1(VALU_DEP_1)
	v_fma_f64 v[186:187], v[188:189], v[64:65], v[186:187]
	v_add_f64 v[46:47], v[46:47], -v[186:187]
	ds_load_2addr_b64 v[186:189], v228 offset0:70 offset1:71
	s_waitcnt lgkmcnt(0)
	v_mul_f64 v[66:67], v[188:189], v[184:185]
	s_delay_alu instid0(VALU_DEP_1) | instskip(SKIP_1) | instid1(VALU_DEP_2)
	v_fma_f64 v[66:67], v[186:187], v[64:65], -v[66:67]
	v_mul_f64 v[186:187], v[186:187], v[184:185]
	v_add_f64 v[40:41], v[40:41], -v[66:67]
	s_delay_alu instid0(VALU_DEP_2) | instskip(NEXT) | instid1(VALU_DEP_1)
	v_fma_f64 v[186:187], v[188:189], v[64:65], v[186:187]
	v_add_f64 v[42:43], v[42:43], -v[186:187]
	ds_load_2addr_b64 v[186:189], v228 offset0:72 offset1:73
	s_waitcnt lgkmcnt(0)
	v_mul_f64 v[66:67], v[188:189], v[184:185]
	s_delay_alu instid0(VALU_DEP_1) | instskip(SKIP_1) | instid1(VALU_DEP_2)
	v_fma_f64 v[66:67], v[186:187], v[64:65], -v[66:67]
	v_mul_f64 v[186:187], v[186:187], v[184:185]
	v_add_f64 v[36:37], v[36:37], -v[66:67]
	s_delay_alu instid0(VALU_DEP_2) | instskip(NEXT) | instid1(VALU_DEP_1)
	v_fma_f64 v[186:187], v[188:189], v[64:65], v[186:187]
	v_add_f64 v[38:39], v[38:39], -v[186:187]
	ds_load_2addr_b64 v[186:189], v228 offset0:74 offset1:75
	s_waitcnt lgkmcnt(0)
	v_mul_f64 v[66:67], v[188:189], v[184:185]
	s_delay_alu instid0(VALU_DEP_1) | instskip(SKIP_1) | instid1(VALU_DEP_2)
	v_fma_f64 v[66:67], v[186:187], v[64:65], -v[66:67]
	v_mul_f64 v[186:187], v[186:187], v[184:185]
	v_add_f64 v[32:33], v[32:33], -v[66:67]
	s_delay_alu instid0(VALU_DEP_2) | instskip(NEXT) | instid1(VALU_DEP_1)
	v_fma_f64 v[186:187], v[188:189], v[64:65], v[186:187]
	v_add_f64 v[34:35], v[34:35], -v[186:187]
	ds_load_2addr_b64 v[186:189], v228 offset0:76 offset1:77
	s_waitcnt lgkmcnt(0)
	v_mul_f64 v[66:67], v[188:189], v[184:185]
	s_delay_alu instid0(VALU_DEP_1) | instskip(SKIP_1) | instid1(VALU_DEP_2)
	v_fma_f64 v[66:67], v[186:187], v[64:65], -v[66:67]
	v_mul_f64 v[186:187], v[186:187], v[184:185]
	v_add_f64 v[28:29], v[28:29], -v[66:67]
	s_delay_alu instid0(VALU_DEP_2) | instskip(NEXT) | instid1(VALU_DEP_1)
	v_fma_f64 v[186:187], v[188:189], v[64:65], v[186:187]
	v_add_f64 v[30:31], v[30:31], -v[186:187]
	ds_load_2addr_b64 v[186:189], v228 offset0:78 offset1:79
	s_waitcnt lgkmcnt(0)
	v_mul_f64 v[66:67], v[188:189], v[184:185]
	s_delay_alu instid0(VALU_DEP_1) | instskip(SKIP_1) | instid1(VALU_DEP_2)
	v_fma_f64 v[66:67], v[186:187], v[64:65], -v[66:67]
	v_mul_f64 v[186:187], v[186:187], v[184:185]
	v_add_f64 v[24:25], v[24:25], -v[66:67]
	s_delay_alu instid0(VALU_DEP_2) | instskip(NEXT) | instid1(VALU_DEP_1)
	v_fma_f64 v[186:187], v[188:189], v[64:65], v[186:187]
	v_add_f64 v[26:27], v[26:27], -v[186:187]
	ds_load_2addr_b64 v[186:189], v228 offset0:80 offset1:81
	s_waitcnt lgkmcnt(0)
	v_mul_f64 v[66:67], v[188:189], v[184:185]
	s_delay_alu instid0(VALU_DEP_1) | instskip(SKIP_1) | instid1(VALU_DEP_2)
	v_fma_f64 v[66:67], v[186:187], v[64:65], -v[66:67]
	v_mul_f64 v[186:187], v[186:187], v[184:185]
	v_add_f64 v[20:21], v[20:21], -v[66:67]
	s_delay_alu instid0(VALU_DEP_2) | instskip(NEXT) | instid1(VALU_DEP_1)
	v_fma_f64 v[186:187], v[188:189], v[64:65], v[186:187]
	v_add_f64 v[22:23], v[22:23], -v[186:187]
	ds_load_2addr_b64 v[186:189], v228 offset0:82 offset1:83
	s_waitcnt lgkmcnt(0)
	v_mul_f64 v[66:67], v[188:189], v[184:185]
	s_delay_alu instid0(VALU_DEP_1) | instskip(SKIP_1) | instid1(VALU_DEP_2)
	v_fma_f64 v[66:67], v[186:187], v[64:65], -v[66:67]
	v_mul_f64 v[186:187], v[186:187], v[184:185]
	v_add_f64 v[16:17], v[16:17], -v[66:67]
	s_delay_alu instid0(VALU_DEP_2) | instskip(NEXT) | instid1(VALU_DEP_1)
	v_fma_f64 v[186:187], v[188:189], v[64:65], v[186:187]
	v_add_f64 v[18:19], v[18:19], -v[186:187]
	ds_load_2addr_b64 v[186:189], v228 offset0:84 offset1:85
	s_waitcnt lgkmcnt(0)
	v_mul_f64 v[66:67], v[188:189], v[184:185]
	s_delay_alu instid0(VALU_DEP_1) | instskip(SKIP_1) | instid1(VALU_DEP_2)
	v_fma_f64 v[66:67], v[186:187], v[64:65], -v[66:67]
	v_mul_f64 v[186:187], v[186:187], v[184:185]
	v_add_f64 v[12:13], v[12:13], -v[66:67]
	s_delay_alu instid0(VALU_DEP_2) | instskip(NEXT) | instid1(VALU_DEP_1)
	v_fma_f64 v[186:187], v[188:189], v[64:65], v[186:187]
	v_add_f64 v[14:15], v[14:15], -v[186:187]
	ds_load_2addr_b64 v[186:189], v228 offset0:86 offset1:87
	s_waitcnt lgkmcnt(0)
	v_mul_f64 v[66:67], v[188:189], v[184:185]
	s_delay_alu instid0(VALU_DEP_1) | instskip(SKIP_1) | instid1(VALU_DEP_2)
	v_fma_f64 v[66:67], v[186:187], v[64:65], -v[66:67]
	v_mul_f64 v[186:187], v[186:187], v[184:185]
	v_add_f64 v[8:9], v[8:9], -v[66:67]
	s_delay_alu instid0(VALU_DEP_2) | instskip(NEXT) | instid1(VALU_DEP_1)
	v_fma_f64 v[186:187], v[188:189], v[64:65], v[186:187]
	v_add_f64 v[10:11], v[10:11], -v[186:187]
	ds_load_2addr_b64 v[186:189], v228 offset0:88 offset1:89
	s_waitcnt lgkmcnt(0)
	v_mul_f64 v[66:67], v[188:189], v[184:185]
	s_delay_alu instid0(VALU_DEP_1) | instskip(SKIP_1) | instid1(VALU_DEP_2)
	v_fma_f64 v[66:67], v[186:187], v[64:65], -v[66:67]
	v_mul_f64 v[186:187], v[186:187], v[184:185]
	v_add_f64 v[4:5], v[4:5], -v[66:67]
	s_delay_alu instid0(VALU_DEP_2) | instskip(NEXT) | instid1(VALU_DEP_1)
	v_fma_f64 v[186:187], v[188:189], v[64:65], v[186:187]
	v_add_f64 v[6:7], v[6:7], -v[186:187]
	ds_load_2addr_b64 v[186:189], v228 offset0:90 offset1:91
	s_waitcnt lgkmcnt(0)
	v_mul_f64 v[66:67], v[188:189], v[184:185]
	s_delay_alu instid0(VALU_DEP_1) | instskip(SKIP_1) | instid1(VALU_DEP_2)
	v_fma_f64 v[66:67], v[186:187], v[64:65], -v[66:67]
	v_mul_f64 v[186:187], v[186:187], v[184:185]
	v_add_f64 v[0:1], v[0:1], -v[66:67]
	s_delay_alu instid0(VALU_DEP_2) | instskip(SKIP_1) | instid1(VALU_DEP_2)
	v_fma_f64 v[186:187], v[188:189], v[64:65], v[186:187]
	v_dual_mov_b32 v66, v184 :: v_dual_mov_b32 v67, v185
	v_add_f64 v[2:3], v[2:3], -v[186:187]
.LBB91_271:
	s_or_b32 exec_lo, exec_lo, s3
	s_delay_alu instid0(SALU_CYCLE_1)
	s_mov_b32 s4, exec_lo
	s_waitcnt_vscnt null, 0x0
	s_barrier
	buffer_gl0_inv
	v_cmpx_eq_u32_e32 30, v226
	s_cbranch_execz .LBB91_278
; %bb.272:
	ds_store_2addr_b64 v227, v[60:61], v[62:63] offset1:1
	ds_store_2addr_b64 v228, v[56:57], v[58:59] offset0:62 offset1:63
	ds_store_2addr_b64 v228, v[52:53], v[54:55] offset0:64 offset1:65
	;; [unrolled: 1-line block ×15, first 2 shown]
	ds_load_2addr_b64 v[184:187], v227 offset1:1
	s_waitcnt lgkmcnt(0)
	v_cmp_neq_f64_e32 vcc_lo, 0, v[184:185]
	v_cmp_neq_f64_e64 s3, 0, v[186:187]
	s_delay_alu instid0(VALU_DEP_1) | instskip(NEXT) | instid1(SALU_CYCLE_1)
	s_or_b32 s3, vcc_lo, s3
	s_and_b32 exec_lo, exec_lo, s3
	s_cbranch_execz .LBB91_278
; %bb.273:
	v_cmp_gt_f64_e32 vcc_lo, 0, v[184:185]
	v_xor_b32_e32 v188, 0x80000000, v185
	v_xor_b32_e32 v190, 0x80000000, v187
	s_mov_b32 s3, exec_lo
                                        ; implicit-def: $vgpr192_vgpr193
	s_delay_alu instid0(VALU_DEP_2) | instskip(SKIP_4) | instid1(VALU_DEP_1)
	v_cndmask_b32_e32 v189, v185, v188, vcc_lo
	v_cndmask_b32_e32 v188, v184, v184, vcc_lo
	v_cmp_gt_f64_e32 vcc_lo, 0, v[186:187]
	v_cndmask_b32_e32 v191, v187, v190, vcc_lo
	v_cndmask_b32_e32 v190, v186, v186, vcc_lo
	v_cmpx_ngt_f64_e32 v[188:189], v[190:191]
	s_xor_b32 s3, exec_lo, s3
                                        ; implicit-def: $vgpr188_vgpr189_vgpr190_vgpr191
	s_cbranch_execz .LBB91_275
; %bb.274:
	v_div_scale_f64 v[188:189], null, v[186:187], v[186:187], v[184:185]
	v_div_scale_f64 v[194:195], vcc_lo, v[184:185], v[186:187], v[184:185]
	s_delay_alu instid0(VALU_DEP_2) | instskip(SKIP_2) | instid1(VALU_DEP_1)
	v_rcp_f64_e32 v[190:191], v[188:189]
	s_waitcnt_depctr 0xfff
	v_fma_f64 v[192:193], -v[188:189], v[190:191], 1.0
	v_fma_f64 v[190:191], v[190:191], v[192:193], v[190:191]
	s_delay_alu instid0(VALU_DEP_1) | instskip(NEXT) | instid1(VALU_DEP_1)
	v_fma_f64 v[192:193], -v[188:189], v[190:191], 1.0
	v_fma_f64 v[190:191], v[190:191], v[192:193], v[190:191]
	s_delay_alu instid0(VALU_DEP_1) | instskip(NEXT) | instid1(VALU_DEP_1)
	v_mul_f64 v[192:193], v[194:195], v[190:191]
	v_fma_f64 v[188:189], -v[188:189], v[192:193], v[194:195]
	s_delay_alu instid0(VALU_DEP_1) | instskip(NEXT) | instid1(VALU_DEP_1)
	v_div_fmas_f64 v[188:189], v[188:189], v[190:191], v[192:193]
	v_div_fixup_f64 v[188:189], v[188:189], v[186:187], v[184:185]
	s_delay_alu instid0(VALU_DEP_1) | instskip(NEXT) | instid1(VALU_DEP_1)
	v_fma_f64 v[184:185], v[184:185], v[188:189], v[186:187]
	v_div_scale_f64 v[186:187], null, v[184:185], v[184:185], 1.0
	s_delay_alu instid0(VALU_DEP_1) | instskip(SKIP_2) | instid1(VALU_DEP_1)
	v_rcp_f64_e32 v[190:191], v[186:187]
	s_waitcnt_depctr 0xfff
	v_fma_f64 v[192:193], -v[186:187], v[190:191], 1.0
	v_fma_f64 v[190:191], v[190:191], v[192:193], v[190:191]
	s_delay_alu instid0(VALU_DEP_1) | instskip(NEXT) | instid1(VALU_DEP_1)
	v_fma_f64 v[192:193], -v[186:187], v[190:191], 1.0
	v_fma_f64 v[190:191], v[190:191], v[192:193], v[190:191]
	v_div_scale_f64 v[192:193], vcc_lo, 1.0, v[184:185], 1.0
	s_delay_alu instid0(VALU_DEP_1) | instskip(NEXT) | instid1(VALU_DEP_1)
	v_mul_f64 v[194:195], v[192:193], v[190:191]
	v_fma_f64 v[186:187], -v[186:187], v[194:195], v[192:193]
	s_delay_alu instid0(VALU_DEP_1) | instskip(NEXT) | instid1(VALU_DEP_1)
	v_div_fmas_f64 v[186:187], v[186:187], v[190:191], v[194:195]
	v_div_fixup_f64 v[190:191], v[186:187], v[184:185], 1.0
                                        ; implicit-def: $vgpr184_vgpr185
	s_delay_alu instid0(VALU_DEP_1)
	v_mul_f64 v[192:193], v[188:189], v[190:191]
	v_xor_b32_e32 v191, 0x80000000, v191
.LBB91_275:
	s_and_not1_saveexec_b32 s3, s3
	s_cbranch_execz .LBB91_277
; %bb.276:
	v_div_scale_f64 v[188:189], null, v[184:185], v[184:185], v[186:187]
	v_div_scale_f64 v[194:195], vcc_lo, v[186:187], v[184:185], v[186:187]
	s_delay_alu instid0(VALU_DEP_2) | instskip(SKIP_2) | instid1(VALU_DEP_1)
	v_rcp_f64_e32 v[190:191], v[188:189]
	s_waitcnt_depctr 0xfff
	v_fma_f64 v[192:193], -v[188:189], v[190:191], 1.0
	v_fma_f64 v[190:191], v[190:191], v[192:193], v[190:191]
	s_delay_alu instid0(VALU_DEP_1) | instskip(NEXT) | instid1(VALU_DEP_1)
	v_fma_f64 v[192:193], -v[188:189], v[190:191], 1.0
	v_fma_f64 v[190:191], v[190:191], v[192:193], v[190:191]
	s_delay_alu instid0(VALU_DEP_1) | instskip(NEXT) | instid1(VALU_DEP_1)
	v_mul_f64 v[192:193], v[194:195], v[190:191]
	v_fma_f64 v[188:189], -v[188:189], v[192:193], v[194:195]
	s_delay_alu instid0(VALU_DEP_1) | instskip(NEXT) | instid1(VALU_DEP_1)
	v_div_fmas_f64 v[188:189], v[188:189], v[190:191], v[192:193]
	v_div_fixup_f64 v[188:189], v[188:189], v[184:185], v[186:187]
	s_delay_alu instid0(VALU_DEP_1) | instskip(NEXT) | instid1(VALU_DEP_1)
	v_fma_f64 v[184:185], v[186:187], v[188:189], v[184:185]
	v_div_scale_f64 v[186:187], null, v[184:185], v[184:185], 1.0
	s_delay_alu instid0(VALU_DEP_1) | instskip(SKIP_2) | instid1(VALU_DEP_1)
	v_rcp_f64_e32 v[190:191], v[186:187]
	s_waitcnt_depctr 0xfff
	v_fma_f64 v[192:193], -v[186:187], v[190:191], 1.0
	v_fma_f64 v[190:191], v[190:191], v[192:193], v[190:191]
	s_delay_alu instid0(VALU_DEP_1) | instskip(NEXT) | instid1(VALU_DEP_1)
	v_fma_f64 v[192:193], -v[186:187], v[190:191], 1.0
	v_fma_f64 v[190:191], v[190:191], v[192:193], v[190:191]
	v_div_scale_f64 v[192:193], vcc_lo, 1.0, v[184:185], 1.0
	s_delay_alu instid0(VALU_DEP_1) | instskip(NEXT) | instid1(VALU_DEP_1)
	v_mul_f64 v[194:195], v[192:193], v[190:191]
	v_fma_f64 v[186:187], -v[186:187], v[194:195], v[192:193]
	s_delay_alu instid0(VALU_DEP_1) | instskip(NEXT) | instid1(VALU_DEP_1)
	v_div_fmas_f64 v[186:187], v[186:187], v[190:191], v[194:195]
	v_div_fixup_f64 v[192:193], v[186:187], v[184:185], 1.0
	s_delay_alu instid0(VALU_DEP_1)
	v_mul_f64 v[190:191], v[188:189], -v[192:193]
.LBB91_277:
	s_or_b32 exec_lo, exec_lo, s3
	ds_store_2addr_b64 v227, v[192:193], v[190:191] offset1:1
.LBB91_278:
	s_or_b32 exec_lo, exec_lo, s4
	s_waitcnt lgkmcnt(0)
	s_barrier
	buffer_gl0_inv
	ds_load_2addr_b64 v[184:187], v227 offset1:1
	s_mov_b32 s3, exec_lo
	s_waitcnt lgkmcnt(0)
	scratch_store_b128 off, v[184:187], off offset:752 ; 16-byte Folded Spill
	v_cmpx_lt_u32_e32 30, v226
	s_cbranch_execz .LBB91_280
; %bb.279:
	scratch_load_b128 v[186:189], off, off offset:752 ; 16-byte Folded Reload
	s_waitcnt vmcnt(0)
	v_mul_f64 v[184:185], v[186:187], v[62:63]
	v_mul_f64 v[62:63], v[188:189], v[62:63]
	s_delay_alu instid0(VALU_DEP_2) | instskip(NEXT) | instid1(VALU_DEP_2)
	v_fma_f64 v[184:185], v[188:189], v[60:61], v[184:185]
	v_fma_f64 v[60:61], v[186:187], v[60:61], -v[62:63]
	ds_load_2addr_b64 v[186:189], v228 offset0:62 offset1:63
	s_waitcnt lgkmcnt(0)
	v_mul_f64 v[62:63], v[188:189], v[184:185]
	s_delay_alu instid0(VALU_DEP_1) | instskip(SKIP_1) | instid1(VALU_DEP_2)
	v_fma_f64 v[62:63], v[186:187], v[60:61], -v[62:63]
	v_mul_f64 v[186:187], v[186:187], v[184:185]
	v_add_f64 v[56:57], v[56:57], -v[62:63]
	s_delay_alu instid0(VALU_DEP_2) | instskip(NEXT) | instid1(VALU_DEP_1)
	v_fma_f64 v[186:187], v[188:189], v[60:61], v[186:187]
	v_add_f64 v[58:59], v[58:59], -v[186:187]
	ds_load_2addr_b64 v[186:189], v228 offset0:64 offset1:65
	s_waitcnt lgkmcnt(0)
	v_mul_f64 v[62:63], v[188:189], v[184:185]
	s_delay_alu instid0(VALU_DEP_1) | instskip(SKIP_1) | instid1(VALU_DEP_2)
	v_fma_f64 v[62:63], v[186:187], v[60:61], -v[62:63]
	v_mul_f64 v[186:187], v[186:187], v[184:185]
	v_add_f64 v[52:53], v[52:53], -v[62:63]
	s_delay_alu instid0(VALU_DEP_2) | instskip(NEXT) | instid1(VALU_DEP_1)
	v_fma_f64 v[186:187], v[188:189], v[60:61], v[186:187]
	v_add_f64 v[54:55], v[54:55], -v[186:187]
	ds_load_2addr_b64 v[186:189], v228 offset0:66 offset1:67
	s_waitcnt lgkmcnt(0)
	v_mul_f64 v[62:63], v[188:189], v[184:185]
	s_delay_alu instid0(VALU_DEP_1) | instskip(SKIP_1) | instid1(VALU_DEP_2)
	v_fma_f64 v[62:63], v[186:187], v[60:61], -v[62:63]
	v_mul_f64 v[186:187], v[186:187], v[184:185]
	v_add_f64 v[48:49], v[48:49], -v[62:63]
	s_delay_alu instid0(VALU_DEP_2) | instskip(NEXT) | instid1(VALU_DEP_1)
	v_fma_f64 v[186:187], v[188:189], v[60:61], v[186:187]
	v_add_f64 v[50:51], v[50:51], -v[186:187]
	ds_load_2addr_b64 v[186:189], v228 offset0:68 offset1:69
	s_waitcnt lgkmcnt(0)
	v_mul_f64 v[62:63], v[188:189], v[184:185]
	s_delay_alu instid0(VALU_DEP_1) | instskip(SKIP_1) | instid1(VALU_DEP_2)
	v_fma_f64 v[62:63], v[186:187], v[60:61], -v[62:63]
	v_mul_f64 v[186:187], v[186:187], v[184:185]
	v_add_f64 v[44:45], v[44:45], -v[62:63]
	s_delay_alu instid0(VALU_DEP_2) | instskip(NEXT) | instid1(VALU_DEP_1)
	v_fma_f64 v[186:187], v[188:189], v[60:61], v[186:187]
	v_add_f64 v[46:47], v[46:47], -v[186:187]
	ds_load_2addr_b64 v[186:189], v228 offset0:70 offset1:71
	s_waitcnt lgkmcnt(0)
	v_mul_f64 v[62:63], v[188:189], v[184:185]
	s_delay_alu instid0(VALU_DEP_1) | instskip(SKIP_1) | instid1(VALU_DEP_2)
	v_fma_f64 v[62:63], v[186:187], v[60:61], -v[62:63]
	v_mul_f64 v[186:187], v[186:187], v[184:185]
	v_add_f64 v[40:41], v[40:41], -v[62:63]
	s_delay_alu instid0(VALU_DEP_2) | instskip(NEXT) | instid1(VALU_DEP_1)
	v_fma_f64 v[186:187], v[188:189], v[60:61], v[186:187]
	v_add_f64 v[42:43], v[42:43], -v[186:187]
	ds_load_2addr_b64 v[186:189], v228 offset0:72 offset1:73
	s_waitcnt lgkmcnt(0)
	v_mul_f64 v[62:63], v[188:189], v[184:185]
	s_delay_alu instid0(VALU_DEP_1) | instskip(SKIP_1) | instid1(VALU_DEP_2)
	v_fma_f64 v[62:63], v[186:187], v[60:61], -v[62:63]
	v_mul_f64 v[186:187], v[186:187], v[184:185]
	v_add_f64 v[36:37], v[36:37], -v[62:63]
	s_delay_alu instid0(VALU_DEP_2) | instskip(NEXT) | instid1(VALU_DEP_1)
	v_fma_f64 v[186:187], v[188:189], v[60:61], v[186:187]
	v_add_f64 v[38:39], v[38:39], -v[186:187]
	ds_load_2addr_b64 v[186:189], v228 offset0:74 offset1:75
	s_waitcnt lgkmcnt(0)
	v_mul_f64 v[62:63], v[188:189], v[184:185]
	s_delay_alu instid0(VALU_DEP_1) | instskip(SKIP_1) | instid1(VALU_DEP_2)
	v_fma_f64 v[62:63], v[186:187], v[60:61], -v[62:63]
	v_mul_f64 v[186:187], v[186:187], v[184:185]
	v_add_f64 v[32:33], v[32:33], -v[62:63]
	s_delay_alu instid0(VALU_DEP_2) | instskip(NEXT) | instid1(VALU_DEP_1)
	v_fma_f64 v[186:187], v[188:189], v[60:61], v[186:187]
	v_add_f64 v[34:35], v[34:35], -v[186:187]
	ds_load_2addr_b64 v[186:189], v228 offset0:76 offset1:77
	s_waitcnt lgkmcnt(0)
	v_mul_f64 v[62:63], v[188:189], v[184:185]
	s_delay_alu instid0(VALU_DEP_1) | instskip(SKIP_1) | instid1(VALU_DEP_2)
	v_fma_f64 v[62:63], v[186:187], v[60:61], -v[62:63]
	v_mul_f64 v[186:187], v[186:187], v[184:185]
	v_add_f64 v[28:29], v[28:29], -v[62:63]
	s_delay_alu instid0(VALU_DEP_2) | instskip(NEXT) | instid1(VALU_DEP_1)
	v_fma_f64 v[186:187], v[188:189], v[60:61], v[186:187]
	v_add_f64 v[30:31], v[30:31], -v[186:187]
	ds_load_2addr_b64 v[186:189], v228 offset0:78 offset1:79
	s_waitcnt lgkmcnt(0)
	v_mul_f64 v[62:63], v[188:189], v[184:185]
	s_delay_alu instid0(VALU_DEP_1) | instskip(SKIP_1) | instid1(VALU_DEP_2)
	v_fma_f64 v[62:63], v[186:187], v[60:61], -v[62:63]
	v_mul_f64 v[186:187], v[186:187], v[184:185]
	v_add_f64 v[24:25], v[24:25], -v[62:63]
	s_delay_alu instid0(VALU_DEP_2) | instskip(NEXT) | instid1(VALU_DEP_1)
	v_fma_f64 v[186:187], v[188:189], v[60:61], v[186:187]
	v_add_f64 v[26:27], v[26:27], -v[186:187]
	ds_load_2addr_b64 v[186:189], v228 offset0:80 offset1:81
	s_waitcnt lgkmcnt(0)
	v_mul_f64 v[62:63], v[188:189], v[184:185]
	s_delay_alu instid0(VALU_DEP_1) | instskip(SKIP_1) | instid1(VALU_DEP_2)
	v_fma_f64 v[62:63], v[186:187], v[60:61], -v[62:63]
	v_mul_f64 v[186:187], v[186:187], v[184:185]
	v_add_f64 v[20:21], v[20:21], -v[62:63]
	s_delay_alu instid0(VALU_DEP_2) | instskip(NEXT) | instid1(VALU_DEP_1)
	v_fma_f64 v[186:187], v[188:189], v[60:61], v[186:187]
	v_add_f64 v[22:23], v[22:23], -v[186:187]
	ds_load_2addr_b64 v[186:189], v228 offset0:82 offset1:83
	s_waitcnt lgkmcnt(0)
	v_mul_f64 v[62:63], v[188:189], v[184:185]
	s_delay_alu instid0(VALU_DEP_1) | instskip(SKIP_1) | instid1(VALU_DEP_2)
	v_fma_f64 v[62:63], v[186:187], v[60:61], -v[62:63]
	v_mul_f64 v[186:187], v[186:187], v[184:185]
	v_add_f64 v[16:17], v[16:17], -v[62:63]
	s_delay_alu instid0(VALU_DEP_2) | instskip(NEXT) | instid1(VALU_DEP_1)
	v_fma_f64 v[186:187], v[188:189], v[60:61], v[186:187]
	v_add_f64 v[18:19], v[18:19], -v[186:187]
	ds_load_2addr_b64 v[186:189], v228 offset0:84 offset1:85
	s_waitcnt lgkmcnt(0)
	v_mul_f64 v[62:63], v[188:189], v[184:185]
	s_delay_alu instid0(VALU_DEP_1) | instskip(SKIP_1) | instid1(VALU_DEP_2)
	v_fma_f64 v[62:63], v[186:187], v[60:61], -v[62:63]
	v_mul_f64 v[186:187], v[186:187], v[184:185]
	v_add_f64 v[12:13], v[12:13], -v[62:63]
	s_delay_alu instid0(VALU_DEP_2) | instskip(NEXT) | instid1(VALU_DEP_1)
	v_fma_f64 v[186:187], v[188:189], v[60:61], v[186:187]
	v_add_f64 v[14:15], v[14:15], -v[186:187]
	ds_load_2addr_b64 v[186:189], v228 offset0:86 offset1:87
	s_waitcnt lgkmcnt(0)
	v_mul_f64 v[62:63], v[188:189], v[184:185]
	s_delay_alu instid0(VALU_DEP_1) | instskip(SKIP_1) | instid1(VALU_DEP_2)
	v_fma_f64 v[62:63], v[186:187], v[60:61], -v[62:63]
	v_mul_f64 v[186:187], v[186:187], v[184:185]
	v_add_f64 v[8:9], v[8:9], -v[62:63]
	s_delay_alu instid0(VALU_DEP_2) | instskip(NEXT) | instid1(VALU_DEP_1)
	v_fma_f64 v[186:187], v[188:189], v[60:61], v[186:187]
	v_add_f64 v[10:11], v[10:11], -v[186:187]
	ds_load_2addr_b64 v[186:189], v228 offset0:88 offset1:89
	s_waitcnt lgkmcnt(0)
	v_mul_f64 v[62:63], v[188:189], v[184:185]
	s_delay_alu instid0(VALU_DEP_1) | instskip(SKIP_1) | instid1(VALU_DEP_2)
	v_fma_f64 v[62:63], v[186:187], v[60:61], -v[62:63]
	v_mul_f64 v[186:187], v[186:187], v[184:185]
	v_add_f64 v[4:5], v[4:5], -v[62:63]
	s_delay_alu instid0(VALU_DEP_2) | instskip(NEXT) | instid1(VALU_DEP_1)
	v_fma_f64 v[186:187], v[188:189], v[60:61], v[186:187]
	v_add_f64 v[6:7], v[6:7], -v[186:187]
	ds_load_2addr_b64 v[186:189], v228 offset0:90 offset1:91
	s_waitcnt lgkmcnt(0)
	v_mul_f64 v[62:63], v[188:189], v[184:185]
	s_delay_alu instid0(VALU_DEP_1) | instskip(SKIP_1) | instid1(VALU_DEP_2)
	v_fma_f64 v[62:63], v[186:187], v[60:61], -v[62:63]
	v_mul_f64 v[186:187], v[186:187], v[184:185]
	v_add_f64 v[0:1], v[0:1], -v[62:63]
	s_delay_alu instid0(VALU_DEP_2) | instskip(SKIP_1) | instid1(VALU_DEP_2)
	v_fma_f64 v[186:187], v[188:189], v[60:61], v[186:187]
	v_dual_mov_b32 v62, v184 :: v_dual_mov_b32 v63, v185
	v_add_f64 v[2:3], v[2:3], -v[186:187]
.LBB91_280:
	s_or_b32 exec_lo, exec_lo, s3
	s_delay_alu instid0(SALU_CYCLE_1)
	s_mov_b32 s4, exec_lo
	s_waitcnt_vscnt null, 0x0
	s_barrier
	buffer_gl0_inv
	v_cmpx_eq_u32_e32 31, v226
	s_cbranch_execz .LBB91_287
; %bb.281:
	ds_store_2addr_b64 v227, v[56:57], v[58:59] offset1:1
	ds_store_2addr_b64 v228, v[52:53], v[54:55] offset0:64 offset1:65
	ds_store_2addr_b64 v228, v[48:49], v[50:51] offset0:66 offset1:67
	;; [unrolled: 1-line block ×14, first 2 shown]
	ds_load_2addr_b64 v[184:187], v227 offset1:1
	s_waitcnt lgkmcnt(0)
	v_cmp_neq_f64_e32 vcc_lo, 0, v[184:185]
	v_cmp_neq_f64_e64 s3, 0, v[186:187]
	s_delay_alu instid0(VALU_DEP_1) | instskip(NEXT) | instid1(SALU_CYCLE_1)
	s_or_b32 s3, vcc_lo, s3
	s_and_b32 exec_lo, exec_lo, s3
	s_cbranch_execz .LBB91_287
; %bb.282:
	v_cmp_gt_f64_e32 vcc_lo, 0, v[184:185]
	v_xor_b32_e32 v188, 0x80000000, v185
	v_xor_b32_e32 v190, 0x80000000, v187
	s_mov_b32 s3, exec_lo
                                        ; implicit-def: $vgpr192_vgpr193
	s_delay_alu instid0(VALU_DEP_2) | instskip(SKIP_4) | instid1(VALU_DEP_1)
	v_cndmask_b32_e32 v189, v185, v188, vcc_lo
	v_cndmask_b32_e32 v188, v184, v184, vcc_lo
	v_cmp_gt_f64_e32 vcc_lo, 0, v[186:187]
	v_cndmask_b32_e32 v191, v187, v190, vcc_lo
	v_cndmask_b32_e32 v190, v186, v186, vcc_lo
	v_cmpx_ngt_f64_e32 v[188:189], v[190:191]
	s_xor_b32 s3, exec_lo, s3
                                        ; implicit-def: $vgpr188_vgpr189_vgpr190_vgpr191
	s_cbranch_execz .LBB91_284
; %bb.283:
	v_div_scale_f64 v[188:189], null, v[186:187], v[186:187], v[184:185]
	v_div_scale_f64 v[194:195], vcc_lo, v[184:185], v[186:187], v[184:185]
	s_delay_alu instid0(VALU_DEP_2) | instskip(SKIP_2) | instid1(VALU_DEP_1)
	v_rcp_f64_e32 v[190:191], v[188:189]
	s_waitcnt_depctr 0xfff
	v_fma_f64 v[192:193], -v[188:189], v[190:191], 1.0
	v_fma_f64 v[190:191], v[190:191], v[192:193], v[190:191]
	s_delay_alu instid0(VALU_DEP_1) | instskip(NEXT) | instid1(VALU_DEP_1)
	v_fma_f64 v[192:193], -v[188:189], v[190:191], 1.0
	v_fma_f64 v[190:191], v[190:191], v[192:193], v[190:191]
	s_delay_alu instid0(VALU_DEP_1) | instskip(NEXT) | instid1(VALU_DEP_1)
	v_mul_f64 v[192:193], v[194:195], v[190:191]
	v_fma_f64 v[188:189], -v[188:189], v[192:193], v[194:195]
	s_delay_alu instid0(VALU_DEP_1) | instskip(NEXT) | instid1(VALU_DEP_1)
	v_div_fmas_f64 v[188:189], v[188:189], v[190:191], v[192:193]
	v_div_fixup_f64 v[188:189], v[188:189], v[186:187], v[184:185]
	s_delay_alu instid0(VALU_DEP_1) | instskip(NEXT) | instid1(VALU_DEP_1)
	v_fma_f64 v[184:185], v[184:185], v[188:189], v[186:187]
	v_div_scale_f64 v[186:187], null, v[184:185], v[184:185], 1.0
	s_delay_alu instid0(VALU_DEP_1) | instskip(SKIP_2) | instid1(VALU_DEP_1)
	v_rcp_f64_e32 v[190:191], v[186:187]
	s_waitcnt_depctr 0xfff
	v_fma_f64 v[192:193], -v[186:187], v[190:191], 1.0
	v_fma_f64 v[190:191], v[190:191], v[192:193], v[190:191]
	s_delay_alu instid0(VALU_DEP_1) | instskip(NEXT) | instid1(VALU_DEP_1)
	v_fma_f64 v[192:193], -v[186:187], v[190:191], 1.0
	v_fma_f64 v[190:191], v[190:191], v[192:193], v[190:191]
	v_div_scale_f64 v[192:193], vcc_lo, 1.0, v[184:185], 1.0
	s_delay_alu instid0(VALU_DEP_1) | instskip(NEXT) | instid1(VALU_DEP_1)
	v_mul_f64 v[194:195], v[192:193], v[190:191]
	v_fma_f64 v[186:187], -v[186:187], v[194:195], v[192:193]
	s_delay_alu instid0(VALU_DEP_1) | instskip(NEXT) | instid1(VALU_DEP_1)
	v_div_fmas_f64 v[186:187], v[186:187], v[190:191], v[194:195]
	v_div_fixup_f64 v[190:191], v[186:187], v[184:185], 1.0
                                        ; implicit-def: $vgpr184_vgpr185
	s_delay_alu instid0(VALU_DEP_1)
	v_mul_f64 v[192:193], v[188:189], v[190:191]
	v_xor_b32_e32 v191, 0x80000000, v191
.LBB91_284:
	s_and_not1_saveexec_b32 s3, s3
	s_cbranch_execz .LBB91_286
; %bb.285:
	v_div_scale_f64 v[188:189], null, v[184:185], v[184:185], v[186:187]
	v_div_scale_f64 v[194:195], vcc_lo, v[186:187], v[184:185], v[186:187]
	s_delay_alu instid0(VALU_DEP_2) | instskip(SKIP_2) | instid1(VALU_DEP_1)
	v_rcp_f64_e32 v[190:191], v[188:189]
	s_waitcnt_depctr 0xfff
	v_fma_f64 v[192:193], -v[188:189], v[190:191], 1.0
	v_fma_f64 v[190:191], v[190:191], v[192:193], v[190:191]
	s_delay_alu instid0(VALU_DEP_1) | instskip(NEXT) | instid1(VALU_DEP_1)
	v_fma_f64 v[192:193], -v[188:189], v[190:191], 1.0
	v_fma_f64 v[190:191], v[190:191], v[192:193], v[190:191]
	s_delay_alu instid0(VALU_DEP_1) | instskip(NEXT) | instid1(VALU_DEP_1)
	v_mul_f64 v[192:193], v[194:195], v[190:191]
	v_fma_f64 v[188:189], -v[188:189], v[192:193], v[194:195]
	s_delay_alu instid0(VALU_DEP_1) | instskip(NEXT) | instid1(VALU_DEP_1)
	v_div_fmas_f64 v[188:189], v[188:189], v[190:191], v[192:193]
	v_div_fixup_f64 v[188:189], v[188:189], v[184:185], v[186:187]
	s_delay_alu instid0(VALU_DEP_1) | instskip(NEXT) | instid1(VALU_DEP_1)
	v_fma_f64 v[184:185], v[186:187], v[188:189], v[184:185]
	v_div_scale_f64 v[186:187], null, v[184:185], v[184:185], 1.0
	s_delay_alu instid0(VALU_DEP_1) | instskip(SKIP_2) | instid1(VALU_DEP_1)
	v_rcp_f64_e32 v[190:191], v[186:187]
	s_waitcnt_depctr 0xfff
	v_fma_f64 v[192:193], -v[186:187], v[190:191], 1.0
	v_fma_f64 v[190:191], v[190:191], v[192:193], v[190:191]
	s_delay_alu instid0(VALU_DEP_1) | instskip(NEXT) | instid1(VALU_DEP_1)
	v_fma_f64 v[192:193], -v[186:187], v[190:191], 1.0
	v_fma_f64 v[190:191], v[190:191], v[192:193], v[190:191]
	v_div_scale_f64 v[192:193], vcc_lo, 1.0, v[184:185], 1.0
	s_delay_alu instid0(VALU_DEP_1) | instskip(NEXT) | instid1(VALU_DEP_1)
	v_mul_f64 v[194:195], v[192:193], v[190:191]
	v_fma_f64 v[186:187], -v[186:187], v[194:195], v[192:193]
	s_delay_alu instid0(VALU_DEP_1) | instskip(NEXT) | instid1(VALU_DEP_1)
	v_div_fmas_f64 v[186:187], v[186:187], v[190:191], v[194:195]
	v_div_fixup_f64 v[192:193], v[186:187], v[184:185], 1.0
	s_delay_alu instid0(VALU_DEP_1)
	v_mul_f64 v[190:191], v[188:189], -v[192:193]
.LBB91_286:
	s_or_b32 exec_lo, exec_lo, s3
	ds_store_2addr_b64 v227, v[192:193], v[190:191] offset1:1
.LBB91_287:
	s_or_b32 exec_lo, exec_lo, s4
	s_waitcnt lgkmcnt(0)
	s_barrier
	buffer_gl0_inv
	ds_load_2addr_b64 v[184:187], v227 offset1:1
	s_mov_b32 s3, exec_lo
	s_waitcnt lgkmcnt(0)
	scratch_store_b128 off, v[184:187], off offset:768 ; 16-byte Folded Spill
	v_cmpx_lt_u32_e32 31, v226
	s_cbranch_execz .LBB91_289
; %bb.288:
	scratch_load_b128 v[186:189], off, off offset:768 ; 16-byte Folded Reload
	s_waitcnt vmcnt(0)
	v_mul_f64 v[184:185], v[186:187], v[58:59]
	v_mul_f64 v[58:59], v[188:189], v[58:59]
	s_delay_alu instid0(VALU_DEP_2) | instskip(NEXT) | instid1(VALU_DEP_2)
	v_fma_f64 v[184:185], v[188:189], v[56:57], v[184:185]
	v_fma_f64 v[56:57], v[186:187], v[56:57], -v[58:59]
	ds_load_2addr_b64 v[186:189], v228 offset0:64 offset1:65
	s_waitcnt lgkmcnt(0)
	v_mul_f64 v[58:59], v[188:189], v[184:185]
	s_delay_alu instid0(VALU_DEP_1) | instskip(SKIP_1) | instid1(VALU_DEP_2)
	v_fma_f64 v[58:59], v[186:187], v[56:57], -v[58:59]
	v_mul_f64 v[186:187], v[186:187], v[184:185]
	v_add_f64 v[52:53], v[52:53], -v[58:59]
	s_delay_alu instid0(VALU_DEP_2) | instskip(NEXT) | instid1(VALU_DEP_1)
	v_fma_f64 v[186:187], v[188:189], v[56:57], v[186:187]
	v_add_f64 v[54:55], v[54:55], -v[186:187]
	ds_load_2addr_b64 v[186:189], v228 offset0:66 offset1:67
	s_waitcnt lgkmcnt(0)
	v_mul_f64 v[58:59], v[188:189], v[184:185]
	s_delay_alu instid0(VALU_DEP_1) | instskip(SKIP_1) | instid1(VALU_DEP_2)
	v_fma_f64 v[58:59], v[186:187], v[56:57], -v[58:59]
	v_mul_f64 v[186:187], v[186:187], v[184:185]
	v_add_f64 v[48:49], v[48:49], -v[58:59]
	s_delay_alu instid0(VALU_DEP_2) | instskip(NEXT) | instid1(VALU_DEP_1)
	v_fma_f64 v[186:187], v[188:189], v[56:57], v[186:187]
	v_add_f64 v[50:51], v[50:51], -v[186:187]
	;; [unrolled: 10-line block ×13, first 2 shown]
	ds_load_2addr_b64 v[186:189], v228 offset0:90 offset1:91
	s_waitcnt lgkmcnt(0)
	v_mul_f64 v[58:59], v[188:189], v[184:185]
	s_delay_alu instid0(VALU_DEP_1) | instskip(SKIP_1) | instid1(VALU_DEP_2)
	v_fma_f64 v[58:59], v[186:187], v[56:57], -v[58:59]
	v_mul_f64 v[186:187], v[186:187], v[184:185]
	v_add_f64 v[0:1], v[0:1], -v[58:59]
	s_delay_alu instid0(VALU_DEP_2) | instskip(SKIP_1) | instid1(VALU_DEP_2)
	v_fma_f64 v[186:187], v[188:189], v[56:57], v[186:187]
	v_dual_mov_b32 v58, v184 :: v_dual_mov_b32 v59, v185
	v_add_f64 v[2:3], v[2:3], -v[186:187]
.LBB91_289:
	s_or_b32 exec_lo, exec_lo, s3
	s_delay_alu instid0(SALU_CYCLE_1)
	s_mov_b32 s4, exec_lo
	s_waitcnt_vscnt null, 0x0
	s_barrier
	buffer_gl0_inv
	v_cmpx_eq_u32_e32 32, v226
	s_cbranch_execz .LBB91_296
; %bb.290:
	ds_store_2addr_b64 v227, v[52:53], v[54:55] offset1:1
	ds_store_2addr_b64 v228, v[48:49], v[50:51] offset0:66 offset1:67
	ds_store_2addr_b64 v228, v[44:45], v[46:47] offset0:68 offset1:69
	;; [unrolled: 1-line block ×13, first 2 shown]
	ds_load_2addr_b64 v[184:187], v227 offset1:1
	s_waitcnt lgkmcnt(0)
	v_cmp_neq_f64_e32 vcc_lo, 0, v[184:185]
	v_cmp_neq_f64_e64 s3, 0, v[186:187]
	s_delay_alu instid0(VALU_DEP_1) | instskip(NEXT) | instid1(SALU_CYCLE_1)
	s_or_b32 s3, vcc_lo, s3
	s_and_b32 exec_lo, exec_lo, s3
	s_cbranch_execz .LBB91_296
; %bb.291:
	v_cmp_gt_f64_e32 vcc_lo, 0, v[184:185]
	v_xor_b32_e32 v188, 0x80000000, v185
	v_xor_b32_e32 v190, 0x80000000, v187
	s_mov_b32 s3, exec_lo
                                        ; implicit-def: $vgpr192_vgpr193
	s_delay_alu instid0(VALU_DEP_2) | instskip(SKIP_4) | instid1(VALU_DEP_1)
	v_cndmask_b32_e32 v189, v185, v188, vcc_lo
	v_cndmask_b32_e32 v188, v184, v184, vcc_lo
	v_cmp_gt_f64_e32 vcc_lo, 0, v[186:187]
	v_cndmask_b32_e32 v191, v187, v190, vcc_lo
	v_cndmask_b32_e32 v190, v186, v186, vcc_lo
	v_cmpx_ngt_f64_e32 v[188:189], v[190:191]
	s_xor_b32 s3, exec_lo, s3
                                        ; implicit-def: $vgpr188_vgpr189_vgpr190_vgpr191
	s_cbranch_execz .LBB91_293
; %bb.292:
	v_div_scale_f64 v[188:189], null, v[186:187], v[186:187], v[184:185]
	v_div_scale_f64 v[194:195], vcc_lo, v[184:185], v[186:187], v[184:185]
	s_delay_alu instid0(VALU_DEP_2) | instskip(SKIP_2) | instid1(VALU_DEP_1)
	v_rcp_f64_e32 v[190:191], v[188:189]
	s_waitcnt_depctr 0xfff
	v_fma_f64 v[192:193], -v[188:189], v[190:191], 1.0
	v_fma_f64 v[190:191], v[190:191], v[192:193], v[190:191]
	s_delay_alu instid0(VALU_DEP_1) | instskip(NEXT) | instid1(VALU_DEP_1)
	v_fma_f64 v[192:193], -v[188:189], v[190:191], 1.0
	v_fma_f64 v[190:191], v[190:191], v[192:193], v[190:191]
	s_delay_alu instid0(VALU_DEP_1) | instskip(NEXT) | instid1(VALU_DEP_1)
	v_mul_f64 v[192:193], v[194:195], v[190:191]
	v_fma_f64 v[188:189], -v[188:189], v[192:193], v[194:195]
	s_delay_alu instid0(VALU_DEP_1) | instskip(NEXT) | instid1(VALU_DEP_1)
	v_div_fmas_f64 v[188:189], v[188:189], v[190:191], v[192:193]
	v_div_fixup_f64 v[188:189], v[188:189], v[186:187], v[184:185]
	s_delay_alu instid0(VALU_DEP_1) | instskip(NEXT) | instid1(VALU_DEP_1)
	v_fma_f64 v[184:185], v[184:185], v[188:189], v[186:187]
	v_div_scale_f64 v[186:187], null, v[184:185], v[184:185], 1.0
	s_delay_alu instid0(VALU_DEP_1) | instskip(SKIP_2) | instid1(VALU_DEP_1)
	v_rcp_f64_e32 v[190:191], v[186:187]
	s_waitcnt_depctr 0xfff
	v_fma_f64 v[192:193], -v[186:187], v[190:191], 1.0
	v_fma_f64 v[190:191], v[190:191], v[192:193], v[190:191]
	s_delay_alu instid0(VALU_DEP_1) | instskip(NEXT) | instid1(VALU_DEP_1)
	v_fma_f64 v[192:193], -v[186:187], v[190:191], 1.0
	v_fma_f64 v[190:191], v[190:191], v[192:193], v[190:191]
	v_div_scale_f64 v[192:193], vcc_lo, 1.0, v[184:185], 1.0
	s_delay_alu instid0(VALU_DEP_1) | instskip(NEXT) | instid1(VALU_DEP_1)
	v_mul_f64 v[194:195], v[192:193], v[190:191]
	v_fma_f64 v[186:187], -v[186:187], v[194:195], v[192:193]
	s_delay_alu instid0(VALU_DEP_1) | instskip(NEXT) | instid1(VALU_DEP_1)
	v_div_fmas_f64 v[186:187], v[186:187], v[190:191], v[194:195]
	v_div_fixup_f64 v[190:191], v[186:187], v[184:185], 1.0
                                        ; implicit-def: $vgpr184_vgpr185
	s_delay_alu instid0(VALU_DEP_1)
	v_mul_f64 v[192:193], v[188:189], v[190:191]
	v_xor_b32_e32 v191, 0x80000000, v191
.LBB91_293:
	s_and_not1_saveexec_b32 s3, s3
	s_cbranch_execz .LBB91_295
; %bb.294:
	v_div_scale_f64 v[188:189], null, v[184:185], v[184:185], v[186:187]
	v_div_scale_f64 v[194:195], vcc_lo, v[186:187], v[184:185], v[186:187]
	s_delay_alu instid0(VALU_DEP_2) | instskip(SKIP_2) | instid1(VALU_DEP_1)
	v_rcp_f64_e32 v[190:191], v[188:189]
	s_waitcnt_depctr 0xfff
	v_fma_f64 v[192:193], -v[188:189], v[190:191], 1.0
	v_fma_f64 v[190:191], v[190:191], v[192:193], v[190:191]
	s_delay_alu instid0(VALU_DEP_1) | instskip(NEXT) | instid1(VALU_DEP_1)
	v_fma_f64 v[192:193], -v[188:189], v[190:191], 1.0
	v_fma_f64 v[190:191], v[190:191], v[192:193], v[190:191]
	s_delay_alu instid0(VALU_DEP_1) | instskip(NEXT) | instid1(VALU_DEP_1)
	v_mul_f64 v[192:193], v[194:195], v[190:191]
	v_fma_f64 v[188:189], -v[188:189], v[192:193], v[194:195]
	s_delay_alu instid0(VALU_DEP_1) | instskip(NEXT) | instid1(VALU_DEP_1)
	v_div_fmas_f64 v[188:189], v[188:189], v[190:191], v[192:193]
	v_div_fixup_f64 v[188:189], v[188:189], v[184:185], v[186:187]
	s_delay_alu instid0(VALU_DEP_1) | instskip(NEXT) | instid1(VALU_DEP_1)
	v_fma_f64 v[184:185], v[186:187], v[188:189], v[184:185]
	v_div_scale_f64 v[186:187], null, v[184:185], v[184:185], 1.0
	s_delay_alu instid0(VALU_DEP_1) | instskip(SKIP_2) | instid1(VALU_DEP_1)
	v_rcp_f64_e32 v[190:191], v[186:187]
	s_waitcnt_depctr 0xfff
	v_fma_f64 v[192:193], -v[186:187], v[190:191], 1.0
	v_fma_f64 v[190:191], v[190:191], v[192:193], v[190:191]
	s_delay_alu instid0(VALU_DEP_1) | instskip(NEXT) | instid1(VALU_DEP_1)
	v_fma_f64 v[192:193], -v[186:187], v[190:191], 1.0
	v_fma_f64 v[190:191], v[190:191], v[192:193], v[190:191]
	v_div_scale_f64 v[192:193], vcc_lo, 1.0, v[184:185], 1.0
	s_delay_alu instid0(VALU_DEP_1) | instskip(NEXT) | instid1(VALU_DEP_1)
	v_mul_f64 v[194:195], v[192:193], v[190:191]
	v_fma_f64 v[186:187], -v[186:187], v[194:195], v[192:193]
	s_delay_alu instid0(VALU_DEP_1) | instskip(NEXT) | instid1(VALU_DEP_1)
	v_div_fmas_f64 v[186:187], v[186:187], v[190:191], v[194:195]
	v_div_fixup_f64 v[192:193], v[186:187], v[184:185], 1.0
	s_delay_alu instid0(VALU_DEP_1)
	v_mul_f64 v[190:191], v[188:189], -v[192:193]
.LBB91_295:
	s_or_b32 exec_lo, exec_lo, s3
	ds_store_2addr_b64 v227, v[192:193], v[190:191] offset1:1
.LBB91_296:
	s_or_b32 exec_lo, exec_lo, s4
	s_waitcnt lgkmcnt(0)
	s_barrier
	buffer_gl0_inv
	ds_load_2addr_b64 v[184:187], v227 offset1:1
	s_mov_b32 s3, exec_lo
	s_waitcnt lgkmcnt(0)
	scratch_store_b128 off, v[184:187], off offset:784 ; 16-byte Folded Spill
	v_cmpx_lt_u32_e32 32, v226
	s_cbranch_execz .LBB91_298
; %bb.297:
	scratch_load_b128 v[186:189], off, off offset:784 ; 16-byte Folded Reload
	s_waitcnt vmcnt(0)
	v_mul_f64 v[184:185], v[186:187], v[54:55]
	v_mul_f64 v[54:55], v[188:189], v[54:55]
	s_delay_alu instid0(VALU_DEP_2) | instskip(NEXT) | instid1(VALU_DEP_2)
	v_fma_f64 v[184:185], v[188:189], v[52:53], v[184:185]
	v_fma_f64 v[52:53], v[186:187], v[52:53], -v[54:55]
	ds_load_2addr_b64 v[186:189], v228 offset0:66 offset1:67
	s_waitcnt lgkmcnt(0)
	v_mul_f64 v[54:55], v[188:189], v[184:185]
	s_delay_alu instid0(VALU_DEP_1) | instskip(SKIP_1) | instid1(VALU_DEP_2)
	v_fma_f64 v[54:55], v[186:187], v[52:53], -v[54:55]
	v_mul_f64 v[186:187], v[186:187], v[184:185]
	v_add_f64 v[48:49], v[48:49], -v[54:55]
	s_delay_alu instid0(VALU_DEP_2) | instskip(NEXT) | instid1(VALU_DEP_1)
	v_fma_f64 v[186:187], v[188:189], v[52:53], v[186:187]
	v_add_f64 v[50:51], v[50:51], -v[186:187]
	ds_load_2addr_b64 v[186:189], v228 offset0:68 offset1:69
	s_waitcnt lgkmcnt(0)
	v_mul_f64 v[54:55], v[188:189], v[184:185]
	s_delay_alu instid0(VALU_DEP_1) | instskip(SKIP_1) | instid1(VALU_DEP_2)
	v_fma_f64 v[54:55], v[186:187], v[52:53], -v[54:55]
	v_mul_f64 v[186:187], v[186:187], v[184:185]
	v_add_f64 v[44:45], v[44:45], -v[54:55]
	s_delay_alu instid0(VALU_DEP_2) | instskip(NEXT) | instid1(VALU_DEP_1)
	v_fma_f64 v[186:187], v[188:189], v[52:53], v[186:187]
	v_add_f64 v[46:47], v[46:47], -v[186:187]
	;; [unrolled: 10-line block ×12, first 2 shown]
	ds_load_2addr_b64 v[186:189], v228 offset0:90 offset1:91
	s_waitcnt lgkmcnt(0)
	v_mul_f64 v[54:55], v[188:189], v[184:185]
	s_delay_alu instid0(VALU_DEP_1) | instskip(SKIP_1) | instid1(VALU_DEP_2)
	v_fma_f64 v[54:55], v[186:187], v[52:53], -v[54:55]
	v_mul_f64 v[186:187], v[186:187], v[184:185]
	v_add_f64 v[0:1], v[0:1], -v[54:55]
	s_delay_alu instid0(VALU_DEP_2) | instskip(SKIP_1) | instid1(VALU_DEP_2)
	v_fma_f64 v[186:187], v[188:189], v[52:53], v[186:187]
	v_dual_mov_b32 v54, v184 :: v_dual_mov_b32 v55, v185
	v_add_f64 v[2:3], v[2:3], -v[186:187]
.LBB91_298:
	s_or_b32 exec_lo, exec_lo, s3
	s_delay_alu instid0(SALU_CYCLE_1)
	s_mov_b32 s4, exec_lo
	s_waitcnt_vscnt null, 0x0
	s_barrier
	buffer_gl0_inv
	v_cmpx_eq_u32_e32 33, v226
	s_cbranch_execz .LBB91_305
; %bb.299:
	ds_store_2addr_b64 v227, v[48:49], v[50:51] offset1:1
	ds_store_2addr_b64 v228, v[44:45], v[46:47] offset0:68 offset1:69
	ds_store_2addr_b64 v228, v[40:41], v[42:43] offset0:70 offset1:71
	;; [unrolled: 1-line block ×12, first 2 shown]
	ds_load_2addr_b64 v[184:187], v227 offset1:1
	s_waitcnt lgkmcnt(0)
	v_cmp_neq_f64_e32 vcc_lo, 0, v[184:185]
	v_cmp_neq_f64_e64 s3, 0, v[186:187]
	s_delay_alu instid0(VALU_DEP_1) | instskip(NEXT) | instid1(SALU_CYCLE_1)
	s_or_b32 s3, vcc_lo, s3
	s_and_b32 exec_lo, exec_lo, s3
	s_cbranch_execz .LBB91_305
; %bb.300:
	v_cmp_gt_f64_e32 vcc_lo, 0, v[184:185]
	v_xor_b32_e32 v188, 0x80000000, v185
	v_xor_b32_e32 v190, 0x80000000, v187
	s_mov_b32 s3, exec_lo
                                        ; implicit-def: $vgpr192_vgpr193
	s_delay_alu instid0(VALU_DEP_2) | instskip(SKIP_4) | instid1(VALU_DEP_1)
	v_cndmask_b32_e32 v189, v185, v188, vcc_lo
	v_cndmask_b32_e32 v188, v184, v184, vcc_lo
	v_cmp_gt_f64_e32 vcc_lo, 0, v[186:187]
	v_cndmask_b32_e32 v191, v187, v190, vcc_lo
	v_cndmask_b32_e32 v190, v186, v186, vcc_lo
	v_cmpx_ngt_f64_e32 v[188:189], v[190:191]
	s_xor_b32 s3, exec_lo, s3
                                        ; implicit-def: $vgpr188_vgpr189_vgpr190_vgpr191
	s_cbranch_execz .LBB91_302
; %bb.301:
	v_div_scale_f64 v[188:189], null, v[186:187], v[186:187], v[184:185]
	v_div_scale_f64 v[194:195], vcc_lo, v[184:185], v[186:187], v[184:185]
	s_delay_alu instid0(VALU_DEP_2) | instskip(SKIP_2) | instid1(VALU_DEP_1)
	v_rcp_f64_e32 v[190:191], v[188:189]
	s_waitcnt_depctr 0xfff
	v_fma_f64 v[192:193], -v[188:189], v[190:191], 1.0
	v_fma_f64 v[190:191], v[190:191], v[192:193], v[190:191]
	s_delay_alu instid0(VALU_DEP_1) | instskip(NEXT) | instid1(VALU_DEP_1)
	v_fma_f64 v[192:193], -v[188:189], v[190:191], 1.0
	v_fma_f64 v[190:191], v[190:191], v[192:193], v[190:191]
	s_delay_alu instid0(VALU_DEP_1) | instskip(NEXT) | instid1(VALU_DEP_1)
	v_mul_f64 v[192:193], v[194:195], v[190:191]
	v_fma_f64 v[188:189], -v[188:189], v[192:193], v[194:195]
	s_delay_alu instid0(VALU_DEP_1) | instskip(NEXT) | instid1(VALU_DEP_1)
	v_div_fmas_f64 v[188:189], v[188:189], v[190:191], v[192:193]
	v_div_fixup_f64 v[188:189], v[188:189], v[186:187], v[184:185]
	s_delay_alu instid0(VALU_DEP_1) | instskip(NEXT) | instid1(VALU_DEP_1)
	v_fma_f64 v[184:185], v[184:185], v[188:189], v[186:187]
	v_div_scale_f64 v[186:187], null, v[184:185], v[184:185], 1.0
	s_delay_alu instid0(VALU_DEP_1) | instskip(SKIP_2) | instid1(VALU_DEP_1)
	v_rcp_f64_e32 v[190:191], v[186:187]
	s_waitcnt_depctr 0xfff
	v_fma_f64 v[192:193], -v[186:187], v[190:191], 1.0
	v_fma_f64 v[190:191], v[190:191], v[192:193], v[190:191]
	s_delay_alu instid0(VALU_DEP_1) | instskip(NEXT) | instid1(VALU_DEP_1)
	v_fma_f64 v[192:193], -v[186:187], v[190:191], 1.0
	v_fma_f64 v[190:191], v[190:191], v[192:193], v[190:191]
	v_div_scale_f64 v[192:193], vcc_lo, 1.0, v[184:185], 1.0
	s_delay_alu instid0(VALU_DEP_1) | instskip(NEXT) | instid1(VALU_DEP_1)
	v_mul_f64 v[194:195], v[192:193], v[190:191]
	v_fma_f64 v[186:187], -v[186:187], v[194:195], v[192:193]
	s_delay_alu instid0(VALU_DEP_1) | instskip(NEXT) | instid1(VALU_DEP_1)
	v_div_fmas_f64 v[186:187], v[186:187], v[190:191], v[194:195]
	v_div_fixup_f64 v[190:191], v[186:187], v[184:185], 1.0
                                        ; implicit-def: $vgpr184_vgpr185
	s_delay_alu instid0(VALU_DEP_1)
	v_mul_f64 v[192:193], v[188:189], v[190:191]
	v_xor_b32_e32 v191, 0x80000000, v191
.LBB91_302:
	s_and_not1_saveexec_b32 s3, s3
	s_cbranch_execz .LBB91_304
; %bb.303:
	v_div_scale_f64 v[188:189], null, v[184:185], v[184:185], v[186:187]
	v_div_scale_f64 v[194:195], vcc_lo, v[186:187], v[184:185], v[186:187]
	s_delay_alu instid0(VALU_DEP_2) | instskip(SKIP_2) | instid1(VALU_DEP_1)
	v_rcp_f64_e32 v[190:191], v[188:189]
	s_waitcnt_depctr 0xfff
	v_fma_f64 v[192:193], -v[188:189], v[190:191], 1.0
	v_fma_f64 v[190:191], v[190:191], v[192:193], v[190:191]
	s_delay_alu instid0(VALU_DEP_1) | instskip(NEXT) | instid1(VALU_DEP_1)
	v_fma_f64 v[192:193], -v[188:189], v[190:191], 1.0
	v_fma_f64 v[190:191], v[190:191], v[192:193], v[190:191]
	s_delay_alu instid0(VALU_DEP_1) | instskip(NEXT) | instid1(VALU_DEP_1)
	v_mul_f64 v[192:193], v[194:195], v[190:191]
	v_fma_f64 v[188:189], -v[188:189], v[192:193], v[194:195]
	s_delay_alu instid0(VALU_DEP_1) | instskip(NEXT) | instid1(VALU_DEP_1)
	v_div_fmas_f64 v[188:189], v[188:189], v[190:191], v[192:193]
	v_div_fixup_f64 v[188:189], v[188:189], v[184:185], v[186:187]
	s_delay_alu instid0(VALU_DEP_1) | instskip(NEXT) | instid1(VALU_DEP_1)
	v_fma_f64 v[184:185], v[186:187], v[188:189], v[184:185]
	v_div_scale_f64 v[186:187], null, v[184:185], v[184:185], 1.0
	s_delay_alu instid0(VALU_DEP_1) | instskip(SKIP_2) | instid1(VALU_DEP_1)
	v_rcp_f64_e32 v[190:191], v[186:187]
	s_waitcnt_depctr 0xfff
	v_fma_f64 v[192:193], -v[186:187], v[190:191], 1.0
	v_fma_f64 v[190:191], v[190:191], v[192:193], v[190:191]
	s_delay_alu instid0(VALU_DEP_1) | instskip(NEXT) | instid1(VALU_DEP_1)
	v_fma_f64 v[192:193], -v[186:187], v[190:191], 1.0
	v_fma_f64 v[190:191], v[190:191], v[192:193], v[190:191]
	v_div_scale_f64 v[192:193], vcc_lo, 1.0, v[184:185], 1.0
	s_delay_alu instid0(VALU_DEP_1) | instskip(NEXT) | instid1(VALU_DEP_1)
	v_mul_f64 v[194:195], v[192:193], v[190:191]
	v_fma_f64 v[186:187], -v[186:187], v[194:195], v[192:193]
	s_delay_alu instid0(VALU_DEP_1) | instskip(NEXT) | instid1(VALU_DEP_1)
	v_div_fmas_f64 v[186:187], v[186:187], v[190:191], v[194:195]
	v_div_fixup_f64 v[192:193], v[186:187], v[184:185], 1.0
	s_delay_alu instid0(VALU_DEP_1)
	v_mul_f64 v[190:191], v[188:189], -v[192:193]
.LBB91_304:
	s_or_b32 exec_lo, exec_lo, s3
	ds_store_2addr_b64 v227, v[192:193], v[190:191] offset1:1
.LBB91_305:
	s_or_b32 exec_lo, exec_lo, s4
	s_waitcnt lgkmcnt(0)
	s_barrier
	buffer_gl0_inv
	ds_load_2addr_b64 v[184:187], v227 offset1:1
	s_mov_b32 s3, exec_lo
	s_waitcnt lgkmcnt(0)
	scratch_store_b128 off, v[184:187], off offset:800 ; 16-byte Folded Spill
	v_cmpx_lt_u32_e32 33, v226
	s_cbranch_execz .LBB91_307
; %bb.306:
	scratch_load_b128 v[190:193], off, off offset:800 ; 16-byte Folded Reload
	s_waitcnt vmcnt(0)
	v_mul_f64 v[184:185], v[190:191], v[50:51]
	v_mul_f64 v[50:51], v[192:193], v[50:51]
	s_delay_alu instid0(VALU_DEP_2) | instskip(SKIP_4) | instid1(VALU_DEP_1)
	v_fma_f64 v[188:189], v[192:193], v[48:49], v[184:185]
	ds_load_2addr_b64 v[184:187], v228 offset0:68 offset1:69
	v_fma_f64 v[48:49], v[190:191], v[48:49], -v[50:51]
	s_waitcnt lgkmcnt(0)
	v_mul_f64 v[50:51], v[186:187], v[188:189]
	v_fma_f64 v[50:51], v[184:185], v[48:49], -v[50:51]
	v_mul_f64 v[184:185], v[184:185], v[188:189]
	s_delay_alu instid0(VALU_DEP_2) | instskip(NEXT) | instid1(VALU_DEP_2)
	v_add_f64 v[44:45], v[44:45], -v[50:51]
	v_fma_f64 v[184:185], v[186:187], v[48:49], v[184:185]
	s_delay_alu instid0(VALU_DEP_1) | instskip(SKIP_3) | instid1(VALU_DEP_1)
	v_add_f64 v[46:47], v[46:47], -v[184:185]
	ds_load_2addr_b64 v[184:187], v228 offset0:70 offset1:71
	s_waitcnt lgkmcnt(0)
	v_mul_f64 v[50:51], v[186:187], v[188:189]
	v_fma_f64 v[50:51], v[184:185], v[48:49], -v[50:51]
	v_mul_f64 v[184:185], v[184:185], v[188:189]
	s_delay_alu instid0(VALU_DEP_2) | instskip(NEXT) | instid1(VALU_DEP_2)
	v_add_f64 v[40:41], v[40:41], -v[50:51]
	v_fma_f64 v[184:185], v[186:187], v[48:49], v[184:185]
	s_delay_alu instid0(VALU_DEP_1) | instskip(SKIP_3) | instid1(VALU_DEP_1)
	v_add_f64 v[42:43], v[42:43], -v[184:185]
	ds_load_2addr_b64 v[184:187], v228 offset0:72 offset1:73
	;; [unrolled: 10-line block ×11, first 2 shown]
	s_waitcnt lgkmcnt(0)
	v_mul_f64 v[50:51], v[186:187], v[188:189]
	v_fma_f64 v[50:51], v[184:185], v[48:49], -v[50:51]
	v_mul_f64 v[184:185], v[184:185], v[188:189]
	s_delay_alu instid0(VALU_DEP_2) | instskip(NEXT) | instid1(VALU_DEP_2)
	v_add_f64 v[0:1], v[0:1], -v[50:51]
	v_fma_f64 v[184:185], v[186:187], v[48:49], v[184:185]
	v_dual_mov_b32 v50, v188 :: v_dual_mov_b32 v51, v189
	s_delay_alu instid0(VALU_DEP_2)
	v_add_f64 v[2:3], v[2:3], -v[184:185]
.LBB91_307:
	s_or_b32 exec_lo, exec_lo, s3
	s_delay_alu instid0(SALU_CYCLE_1)
	s_mov_b32 s4, exec_lo
	s_waitcnt_vscnt null, 0x0
	s_barrier
	buffer_gl0_inv
	v_cmpx_eq_u32_e32 34, v226
	s_cbranch_execz .LBB91_314
; %bb.308:
	ds_store_2addr_b64 v227, v[44:45], v[46:47] offset1:1
	ds_store_2addr_b64 v228, v[40:41], v[42:43] offset0:70 offset1:71
	ds_store_2addr_b64 v228, v[36:37], v[38:39] offset0:72 offset1:73
	;; [unrolled: 1-line block ×11, first 2 shown]
	ds_load_2addr_b64 v[184:187], v227 offset1:1
	s_waitcnt lgkmcnt(0)
	v_cmp_neq_f64_e32 vcc_lo, 0, v[184:185]
	v_cmp_neq_f64_e64 s3, 0, v[186:187]
	s_delay_alu instid0(VALU_DEP_1) | instskip(NEXT) | instid1(SALU_CYCLE_1)
	s_or_b32 s3, vcc_lo, s3
	s_and_b32 exec_lo, exec_lo, s3
	s_cbranch_execz .LBB91_314
; %bb.309:
	v_cmp_gt_f64_e32 vcc_lo, 0, v[184:185]
	v_xor_b32_e32 v188, 0x80000000, v185
	v_xor_b32_e32 v190, 0x80000000, v187
	s_mov_b32 s3, exec_lo
                                        ; implicit-def: $vgpr192_vgpr193
	s_delay_alu instid0(VALU_DEP_2) | instskip(SKIP_4) | instid1(VALU_DEP_1)
	v_cndmask_b32_e32 v189, v185, v188, vcc_lo
	v_cndmask_b32_e32 v188, v184, v184, vcc_lo
	v_cmp_gt_f64_e32 vcc_lo, 0, v[186:187]
	v_cndmask_b32_e32 v191, v187, v190, vcc_lo
	v_cndmask_b32_e32 v190, v186, v186, vcc_lo
	v_cmpx_ngt_f64_e32 v[188:189], v[190:191]
	s_xor_b32 s3, exec_lo, s3
                                        ; implicit-def: $vgpr188_vgpr189_vgpr190_vgpr191
	s_cbranch_execz .LBB91_311
; %bb.310:
	v_div_scale_f64 v[188:189], null, v[186:187], v[186:187], v[184:185]
	v_div_scale_f64 v[194:195], vcc_lo, v[184:185], v[186:187], v[184:185]
	s_delay_alu instid0(VALU_DEP_2) | instskip(SKIP_2) | instid1(VALU_DEP_1)
	v_rcp_f64_e32 v[190:191], v[188:189]
	s_waitcnt_depctr 0xfff
	v_fma_f64 v[192:193], -v[188:189], v[190:191], 1.0
	v_fma_f64 v[190:191], v[190:191], v[192:193], v[190:191]
	s_delay_alu instid0(VALU_DEP_1) | instskip(NEXT) | instid1(VALU_DEP_1)
	v_fma_f64 v[192:193], -v[188:189], v[190:191], 1.0
	v_fma_f64 v[190:191], v[190:191], v[192:193], v[190:191]
	s_delay_alu instid0(VALU_DEP_1) | instskip(NEXT) | instid1(VALU_DEP_1)
	v_mul_f64 v[192:193], v[194:195], v[190:191]
	v_fma_f64 v[188:189], -v[188:189], v[192:193], v[194:195]
	s_delay_alu instid0(VALU_DEP_1) | instskip(NEXT) | instid1(VALU_DEP_1)
	v_div_fmas_f64 v[188:189], v[188:189], v[190:191], v[192:193]
	v_div_fixup_f64 v[188:189], v[188:189], v[186:187], v[184:185]
	s_delay_alu instid0(VALU_DEP_1) | instskip(NEXT) | instid1(VALU_DEP_1)
	v_fma_f64 v[184:185], v[184:185], v[188:189], v[186:187]
	v_div_scale_f64 v[186:187], null, v[184:185], v[184:185], 1.0
	s_delay_alu instid0(VALU_DEP_1) | instskip(SKIP_2) | instid1(VALU_DEP_1)
	v_rcp_f64_e32 v[190:191], v[186:187]
	s_waitcnt_depctr 0xfff
	v_fma_f64 v[192:193], -v[186:187], v[190:191], 1.0
	v_fma_f64 v[190:191], v[190:191], v[192:193], v[190:191]
	s_delay_alu instid0(VALU_DEP_1) | instskip(NEXT) | instid1(VALU_DEP_1)
	v_fma_f64 v[192:193], -v[186:187], v[190:191], 1.0
	v_fma_f64 v[190:191], v[190:191], v[192:193], v[190:191]
	v_div_scale_f64 v[192:193], vcc_lo, 1.0, v[184:185], 1.0
	s_delay_alu instid0(VALU_DEP_1) | instskip(NEXT) | instid1(VALU_DEP_1)
	v_mul_f64 v[194:195], v[192:193], v[190:191]
	v_fma_f64 v[186:187], -v[186:187], v[194:195], v[192:193]
	s_delay_alu instid0(VALU_DEP_1) | instskip(NEXT) | instid1(VALU_DEP_1)
	v_div_fmas_f64 v[186:187], v[186:187], v[190:191], v[194:195]
	v_div_fixup_f64 v[190:191], v[186:187], v[184:185], 1.0
                                        ; implicit-def: $vgpr184_vgpr185
	s_delay_alu instid0(VALU_DEP_1)
	v_mul_f64 v[192:193], v[188:189], v[190:191]
	v_xor_b32_e32 v191, 0x80000000, v191
.LBB91_311:
	s_and_not1_saveexec_b32 s3, s3
	s_cbranch_execz .LBB91_313
; %bb.312:
	v_div_scale_f64 v[188:189], null, v[184:185], v[184:185], v[186:187]
	v_div_scale_f64 v[194:195], vcc_lo, v[186:187], v[184:185], v[186:187]
	s_delay_alu instid0(VALU_DEP_2) | instskip(SKIP_2) | instid1(VALU_DEP_1)
	v_rcp_f64_e32 v[190:191], v[188:189]
	s_waitcnt_depctr 0xfff
	v_fma_f64 v[192:193], -v[188:189], v[190:191], 1.0
	v_fma_f64 v[190:191], v[190:191], v[192:193], v[190:191]
	s_delay_alu instid0(VALU_DEP_1) | instskip(NEXT) | instid1(VALU_DEP_1)
	v_fma_f64 v[192:193], -v[188:189], v[190:191], 1.0
	v_fma_f64 v[190:191], v[190:191], v[192:193], v[190:191]
	s_delay_alu instid0(VALU_DEP_1) | instskip(NEXT) | instid1(VALU_DEP_1)
	v_mul_f64 v[192:193], v[194:195], v[190:191]
	v_fma_f64 v[188:189], -v[188:189], v[192:193], v[194:195]
	s_delay_alu instid0(VALU_DEP_1) | instskip(NEXT) | instid1(VALU_DEP_1)
	v_div_fmas_f64 v[188:189], v[188:189], v[190:191], v[192:193]
	v_div_fixup_f64 v[188:189], v[188:189], v[184:185], v[186:187]
	s_delay_alu instid0(VALU_DEP_1) | instskip(NEXT) | instid1(VALU_DEP_1)
	v_fma_f64 v[184:185], v[186:187], v[188:189], v[184:185]
	v_div_scale_f64 v[186:187], null, v[184:185], v[184:185], 1.0
	s_delay_alu instid0(VALU_DEP_1) | instskip(SKIP_2) | instid1(VALU_DEP_1)
	v_rcp_f64_e32 v[190:191], v[186:187]
	s_waitcnt_depctr 0xfff
	v_fma_f64 v[192:193], -v[186:187], v[190:191], 1.0
	v_fma_f64 v[190:191], v[190:191], v[192:193], v[190:191]
	s_delay_alu instid0(VALU_DEP_1) | instskip(NEXT) | instid1(VALU_DEP_1)
	v_fma_f64 v[192:193], -v[186:187], v[190:191], 1.0
	v_fma_f64 v[190:191], v[190:191], v[192:193], v[190:191]
	v_div_scale_f64 v[192:193], vcc_lo, 1.0, v[184:185], 1.0
	s_delay_alu instid0(VALU_DEP_1) | instskip(NEXT) | instid1(VALU_DEP_1)
	v_mul_f64 v[194:195], v[192:193], v[190:191]
	v_fma_f64 v[186:187], -v[186:187], v[194:195], v[192:193]
	s_delay_alu instid0(VALU_DEP_1) | instskip(NEXT) | instid1(VALU_DEP_1)
	v_div_fmas_f64 v[186:187], v[186:187], v[190:191], v[194:195]
	v_div_fixup_f64 v[192:193], v[186:187], v[184:185], 1.0
	s_delay_alu instid0(VALU_DEP_1)
	v_mul_f64 v[190:191], v[188:189], -v[192:193]
.LBB91_313:
	s_or_b32 exec_lo, exec_lo, s3
	ds_store_2addr_b64 v227, v[192:193], v[190:191] offset1:1
.LBB91_314:
	s_or_b32 exec_lo, exec_lo, s4
	s_waitcnt lgkmcnt(0)
	s_barrier
	buffer_gl0_inv
	ds_load_2addr_b64 v[184:187], v227 offset1:1
	s_mov_b32 s3, exec_lo
	s_waitcnt lgkmcnt(0)
	scratch_store_b128 off, v[184:187], off offset:816 ; 16-byte Folded Spill
	v_cmpx_lt_u32_e32 34, v226
	s_cbranch_execz .LBB91_316
; %bb.315:
	scratch_load_b128 v[190:193], off, off offset:816 ; 16-byte Folded Reload
	s_waitcnt vmcnt(0)
	v_mul_f64 v[184:185], v[190:191], v[46:47]
	v_mul_f64 v[46:47], v[192:193], v[46:47]
	s_delay_alu instid0(VALU_DEP_2) | instskip(SKIP_4) | instid1(VALU_DEP_1)
	v_fma_f64 v[188:189], v[192:193], v[44:45], v[184:185]
	ds_load_2addr_b64 v[184:187], v228 offset0:70 offset1:71
	v_fma_f64 v[44:45], v[190:191], v[44:45], -v[46:47]
	s_waitcnt lgkmcnt(0)
	v_mul_f64 v[46:47], v[186:187], v[188:189]
	v_fma_f64 v[46:47], v[184:185], v[44:45], -v[46:47]
	v_mul_f64 v[184:185], v[184:185], v[188:189]
	s_delay_alu instid0(VALU_DEP_2) | instskip(NEXT) | instid1(VALU_DEP_2)
	v_add_f64 v[40:41], v[40:41], -v[46:47]
	v_fma_f64 v[184:185], v[186:187], v[44:45], v[184:185]
	s_delay_alu instid0(VALU_DEP_1) | instskip(SKIP_3) | instid1(VALU_DEP_1)
	v_add_f64 v[42:43], v[42:43], -v[184:185]
	ds_load_2addr_b64 v[184:187], v228 offset0:72 offset1:73
	s_waitcnt lgkmcnt(0)
	v_mul_f64 v[46:47], v[186:187], v[188:189]
	v_fma_f64 v[46:47], v[184:185], v[44:45], -v[46:47]
	v_mul_f64 v[184:185], v[184:185], v[188:189]
	s_delay_alu instid0(VALU_DEP_2) | instskip(NEXT) | instid1(VALU_DEP_2)
	v_add_f64 v[36:37], v[36:37], -v[46:47]
	v_fma_f64 v[184:185], v[186:187], v[44:45], v[184:185]
	s_delay_alu instid0(VALU_DEP_1) | instskip(SKIP_3) | instid1(VALU_DEP_1)
	v_add_f64 v[38:39], v[38:39], -v[184:185]
	ds_load_2addr_b64 v[184:187], v228 offset0:74 offset1:75
	;; [unrolled: 10-line block ×10, first 2 shown]
	s_waitcnt lgkmcnt(0)
	v_mul_f64 v[46:47], v[186:187], v[188:189]
	v_fma_f64 v[46:47], v[184:185], v[44:45], -v[46:47]
	v_mul_f64 v[184:185], v[184:185], v[188:189]
	s_delay_alu instid0(VALU_DEP_2) | instskip(NEXT) | instid1(VALU_DEP_2)
	v_add_f64 v[0:1], v[0:1], -v[46:47]
	v_fma_f64 v[184:185], v[186:187], v[44:45], v[184:185]
	v_dual_mov_b32 v46, v188 :: v_dual_mov_b32 v47, v189
	s_delay_alu instid0(VALU_DEP_2)
	v_add_f64 v[2:3], v[2:3], -v[184:185]
.LBB91_316:
	s_or_b32 exec_lo, exec_lo, s3
	s_delay_alu instid0(SALU_CYCLE_1)
	s_mov_b32 s4, exec_lo
	s_waitcnt_vscnt null, 0x0
	s_barrier
	buffer_gl0_inv
	v_cmpx_eq_u32_e32 35, v226
	s_cbranch_execz .LBB91_323
; %bb.317:
	ds_store_2addr_b64 v227, v[40:41], v[42:43] offset1:1
	ds_store_2addr_b64 v228, v[36:37], v[38:39] offset0:72 offset1:73
	ds_store_2addr_b64 v228, v[32:33], v[34:35] offset0:74 offset1:75
	;; [unrolled: 1-line block ×10, first 2 shown]
	ds_load_2addr_b64 v[184:187], v227 offset1:1
	s_waitcnt lgkmcnt(0)
	v_cmp_neq_f64_e32 vcc_lo, 0, v[184:185]
	v_cmp_neq_f64_e64 s3, 0, v[186:187]
	s_delay_alu instid0(VALU_DEP_1) | instskip(NEXT) | instid1(SALU_CYCLE_1)
	s_or_b32 s3, vcc_lo, s3
	s_and_b32 exec_lo, exec_lo, s3
	s_cbranch_execz .LBB91_323
; %bb.318:
	v_cmp_gt_f64_e32 vcc_lo, 0, v[184:185]
	v_xor_b32_e32 v188, 0x80000000, v185
	v_xor_b32_e32 v190, 0x80000000, v187
	s_mov_b32 s3, exec_lo
                                        ; implicit-def: $vgpr192_vgpr193
	s_delay_alu instid0(VALU_DEP_2) | instskip(SKIP_4) | instid1(VALU_DEP_1)
	v_cndmask_b32_e32 v189, v185, v188, vcc_lo
	v_cndmask_b32_e32 v188, v184, v184, vcc_lo
	v_cmp_gt_f64_e32 vcc_lo, 0, v[186:187]
	v_cndmask_b32_e32 v191, v187, v190, vcc_lo
	v_cndmask_b32_e32 v190, v186, v186, vcc_lo
	v_cmpx_ngt_f64_e32 v[188:189], v[190:191]
	s_xor_b32 s3, exec_lo, s3
                                        ; implicit-def: $vgpr188_vgpr189_vgpr190_vgpr191
	s_cbranch_execz .LBB91_320
; %bb.319:
	v_div_scale_f64 v[188:189], null, v[186:187], v[186:187], v[184:185]
	v_div_scale_f64 v[194:195], vcc_lo, v[184:185], v[186:187], v[184:185]
	s_delay_alu instid0(VALU_DEP_2) | instskip(SKIP_2) | instid1(VALU_DEP_1)
	v_rcp_f64_e32 v[190:191], v[188:189]
	s_waitcnt_depctr 0xfff
	v_fma_f64 v[192:193], -v[188:189], v[190:191], 1.0
	v_fma_f64 v[190:191], v[190:191], v[192:193], v[190:191]
	s_delay_alu instid0(VALU_DEP_1) | instskip(NEXT) | instid1(VALU_DEP_1)
	v_fma_f64 v[192:193], -v[188:189], v[190:191], 1.0
	v_fma_f64 v[190:191], v[190:191], v[192:193], v[190:191]
	s_delay_alu instid0(VALU_DEP_1) | instskip(NEXT) | instid1(VALU_DEP_1)
	v_mul_f64 v[192:193], v[194:195], v[190:191]
	v_fma_f64 v[188:189], -v[188:189], v[192:193], v[194:195]
	s_delay_alu instid0(VALU_DEP_1) | instskip(NEXT) | instid1(VALU_DEP_1)
	v_div_fmas_f64 v[188:189], v[188:189], v[190:191], v[192:193]
	v_div_fixup_f64 v[188:189], v[188:189], v[186:187], v[184:185]
	s_delay_alu instid0(VALU_DEP_1) | instskip(NEXT) | instid1(VALU_DEP_1)
	v_fma_f64 v[184:185], v[184:185], v[188:189], v[186:187]
	v_div_scale_f64 v[186:187], null, v[184:185], v[184:185], 1.0
	s_delay_alu instid0(VALU_DEP_1) | instskip(SKIP_2) | instid1(VALU_DEP_1)
	v_rcp_f64_e32 v[190:191], v[186:187]
	s_waitcnt_depctr 0xfff
	v_fma_f64 v[192:193], -v[186:187], v[190:191], 1.0
	v_fma_f64 v[190:191], v[190:191], v[192:193], v[190:191]
	s_delay_alu instid0(VALU_DEP_1) | instskip(NEXT) | instid1(VALU_DEP_1)
	v_fma_f64 v[192:193], -v[186:187], v[190:191], 1.0
	v_fma_f64 v[190:191], v[190:191], v[192:193], v[190:191]
	v_div_scale_f64 v[192:193], vcc_lo, 1.0, v[184:185], 1.0
	s_delay_alu instid0(VALU_DEP_1) | instskip(NEXT) | instid1(VALU_DEP_1)
	v_mul_f64 v[194:195], v[192:193], v[190:191]
	v_fma_f64 v[186:187], -v[186:187], v[194:195], v[192:193]
	s_delay_alu instid0(VALU_DEP_1) | instskip(NEXT) | instid1(VALU_DEP_1)
	v_div_fmas_f64 v[186:187], v[186:187], v[190:191], v[194:195]
	v_div_fixup_f64 v[190:191], v[186:187], v[184:185], 1.0
                                        ; implicit-def: $vgpr184_vgpr185
	s_delay_alu instid0(VALU_DEP_1)
	v_mul_f64 v[192:193], v[188:189], v[190:191]
	v_xor_b32_e32 v191, 0x80000000, v191
.LBB91_320:
	s_and_not1_saveexec_b32 s3, s3
	s_cbranch_execz .LBB91_322
; %bb.321:
	v_div_scale_f64 v[188:189], null, v[184:185], v[184:185], v[186:187]
	v_div_scale_f64 v[194:195], vcc_lo, v[186:187], v[184:185], v[186:187]
	s_delay_alu instid0(VALU_DEP_2) | instskip(SKIP_2) | instid1(VALU_DEP_1)
	v_rcp_f64_e32 v[190:191], v[188:189]
	s_waitcnt_depctr 0xfff
	v_fma_f64 v[192:193], -v[188:189], v[190:191], 1.0
	v_fma_f64 v[190:191], v[190:191], v[192:193], v[190:191]
	s_delay_alu instid0(VALU_DEP_1) | instskip(NEXT) | instid1(VALU_DEP_1)
	v_fma_f64 v[192:193], -v[188:189], v[190:191], 1.0
	v_fma_f64 v[190:191], v[190:191], v[192:193], v[190:191]
	s_delay_alu instid0(VALU_DEP_1) | instskip(NEXT) | instid1(VALU_DEP_1)
	v_mul_f64 v[192:193], v[194:195], v[190:191]
	v_fma_f64 v[188:189], -v[188:189], v[192:193], v[194:195]
	s_delay_alu instid0(VALU_DEP_1) | instskip(NEXT) | instid1(VALU_DEP_1)
	v_div_fmas_f64 v[188:189], v[188:189], v[190:191], v[192:193]
	v_div_fixup_f64 v[188:189], v[188:189], v[184:185], v[186:187]
	s_delay_alu instid0(VALU_DEP_1) | instskip(NEXT) | instid1(VALU_DEP_1)
	v_fma_f64 v[184:185], v[186:187], v[188:189], v[184:185]
	v_div_scale_f64 v[186:187], null, v[184:185], v[184:185], 1.0
	s_delay_alu instid0(VALU_DEP_1) | instskip(SKIP_2) | instid1(VALU_DEP_1)
	v_rcp_f64_e32 v[190:191], v[186:187]
	s_waitcnt_depctr 0xfff
	v_fma_f64 v[192:193], -v[186:187], v[190:191], 1.0
	v_fma_f64 v[190:191], v[190:191], v[192:193], v[190:191]
	s_delay_alu instid0(VALU_DEP_1) | instskip(NEXT) | instid1(VALU_DEP_1)
	v_fma_f64 v[192:193], -v[186:187], v[190:191], 1.0
	v_fma_f64 v[190:191], v[190:191], v[192:193], v[190:191]
	v_div_scale_f64 v[192:193], vcc_lo, 1.0, v[184:185], 1.0
	s_delay_alu instid0(VALU_DEP_1) | instskip(NEXT) | instid1(VALU_DEP_1)
	v_mul_f64 v[194:195], v[192:193], v[190:191]
	v_fma_f64 v[186:187], -v[186:187], v[194:195], v[192:193]
	s_delay_alu instid0(VALU_DEP_1) | instskip(NEXT) | instid1(VALU_DEP_1)
	v_div_fmas_f64 v[186:187], v[186:187], v[190:191], v[194:195]
	v_div_fixup_f64 v[192:193], v[186:187], v[184:185], 1.0
	s_delay_alu instid0(VALU_DEP_1)
	v_mul_f64 v[190:191], v[188:189], -v[192:193]
.LBB91_322:
	s_or_b32 exec_lo, exec_lo, s3
	ds_store_2addr_b64 v227, v[192:193], v[190:191] offset1:1
.LBB91_323:
	s_or_b32 exec_lo, exec_lo, s4
	s_waitcnt lgkmcnt(0)
	s_barrier
	buffer_gl0_inv
	ds_load_2addr_b64 v[184:187], v227 offset1:1
	s_mov_b32 s3, exec_lo
	s_waitcnt lgkmcnt(0)
	scratch_store_b128 off, v[184:187], off offset:832 ; 16-byte Folded Spill
	v_cmpx_lt_u32_e32 35, v226
	s_cbranch_execz .LBB91_325
; %bb.324:
	scratch_load_b128 v[190:193], off, off offset:832 ; 16-byte Folded Reload
	s_waitcnt vmcnt(0)
	v_mul_f64 v[184:185], v[190:191], v[42:43]
	v_mul_f64 v[42:43], v[192:193], v[42:43]
	s_delay_alu instid0(VALU_DEP_2) | instskip(SKIP_4) | instid1(VALU_DEP_1)
	v_fma_f64 v[188:189], v[192:193], v[40:41], v[184:185]
	ds_load_2addr_b64 v[184:187], v228 offset0:72 offset1:73
	v_fma_f64 v[40:41], v[190:191], v[40:41], -v[42:43]
	s_waitcnt lgkmcnt(0)
	v_mul_f64 v[42:43], v[186:187], v[188:189]
	v_fma_f64 v[42:43], v[184:185], v[40:41], -v[42:43]
	v_mul_f64 v[184:185], v[184:185], v[188:189]
	s_delay_alu instid0(VALU_DEP_2) | instskip(NEXT) | instid1(VALU_DEP_2)
	v_add_f64 v[36:37], v[36:37], -v[42:43]
	v_fma_f64 v[184:185], v[186:187], v[40:41], v[184:185]
	s_delay_alu instid0(VALU_DEP_1) | instskip(SKIP_3) | instid1(VALU_DEP_1)
	v_add_f64 v[38:39], v[38:39], -v[184:185]
	ds_load_2addr_b64 v[184:187], v228 offset0:74 offset1:75
	s_waitcnt lgkmcnt(0)
	v_mul_f64 v[42:43], v[186:187], v[188:189]
	v_fma_f64 v[42:43], v[184:185], v[40:41], -v[42:43]
	v_mul_f64 v[184:185], v[184:185], v[188:189]
	s_delay_alu instid0(VALU_DEP_2) | instskip(NEXT) | instid1(VALU_DEP_2)
	v_add_f64 v[32:33], v[32:33], -v[42:43]
	v_fma_f64 v[184:185], v[186:187], v[40:41], v[184:185]
	s_delay_alu instid0(VALU_DEP_1) | instskip(SKIP_3) | instid1(VALU_DEP_1)
	v_add_f64 v[34:35], v[34:35], -v[184:185]
	ds_load_2addr_b64 v[184:187], v228 offset0:76 offset1:77
	;; [unrolled: 10-line block ×9, first 2 shown]
	s_waitcnt lgkmcnt(0)
	v_mul_f64 v[42:43], v[186:187], v[188:189]
	v_fma_f64 v[42:43], v[184:185], v[40:41], -v[42:43]
	v_mul_f64 v[184:185], v[184:185], v[188:189]
	s_delay_alu instid0(VALU_DEP_2) | instskip(NEXT) | instid1(VALU_DEP_2)
	v_add_f64 v[0:1], v[0:1], -v[42:43]
	v_fma_f64 v[184:185], v[186:187], v[40:41], v[184:185]
	v_dual_mov_b32 v42, v188 :: v_dual_mov_b32 v43, v189
	s_delay_alu instid0(VALU_DEP_2)
	v_add_f64 v[2:3], v[2:3], -v[184:185]
.LBB91_325:
	s_or_b32 exec_lo, exec_lo, s3
	s_delay_alu instid0(SALU_CYCLE_1)
	s_mov_b32 s4, exec_lo
	s_waitcnt_vscnt null, 0x0
	s_barrier
	buffer_gl0_inv
	v_cmpx_eq_u32_e32 36, v226
	s_cbranch_execz .LBB91_332
; %bb.326:
	ds_store_2addr_b64 v227, v[36:37], v[38:39] offset1:1
	ds_store_2addr_b64 v228, v[32:33], v[34:35] offset0:74 offset1:75
	ds_store_2addr_b64 v228, v[28:29], v[30:31] offset0:76 offset1:77
	;; [unrolled: 1-line block ×9, first 2 shown]
	ds_load_2addr_b64 v[184:187], v227 offset1:1
	s_waitcnt lgkmcnt(0)
	v_cmp_neq_f64_e32 vcc_lo, 0, v[184:185]
	v_cmp_neq_f64_e64 s3, 0, v[186:187]
	s_delay_alu instid0(VALU_DEP_1) | instskip(NEXT) | instid1(SALU_CYCLE_1)
	s_or_b32 s3, vcc_lo, s3
	s_and_b32 exec_lo, exec_lo, s3
	s_cbranch_execz .LBB91_332
; %bb.327:
	v_cmp_gt_f64_e32 vcc_lo, 0, v[184:185]
	v_xor_b32_e32 v188, 0x80000000, v185
	v_xor_b32_e32 v190, 0x80000000, v187
	s_mov_b32 s3, exec_lo
                                        ; implicit-def: $vgpr192_vgpr193
	s_delay_alu instid0(VALU_DEP_2) | instskip(SKIP_4) | instid1(VALU_DEP_1)
	v_cndmask_b32_e32 v189, v185, v188, vcc_lo
	v_cndmask_b32_e32 v188, v184, v184, vcc_lo
	v_cmp_gt_f64_e32 vcc_lo, 0, v[186:187]
	v_cndmask_b32_e32 v191, v187, v190, vcc_lo
	v_cndmask_b32_e32 v190, v186, v186, vcc_lo
	v_cmpx_ngt_f64_e32 v[188:189], v[190:191]
	s_xor_b32 s3, exec_lo, s3
                                        ; implicit-def: $vgpr188_vgpr189_vgpr190_vgpr191
	s_cbranch_execz .LBB91_329
; %bb.328:
	v_div_scale_f64 v[188:189], null, v[186:187], v[186:187], v[184:185]
	v_div_scale_f64 v[194:195], vcc_lo, v[184:185], v[186:187], v[184:185]
	s_delay_alu instid0(VALU_DEP_2) | instskip(SKIP_2) | instid1(VALU_DEP_1)
	v_rcp_f64_e32 v[190:191], v[188:189]
	s_waitcnt_depctr 0xfff
	v_fma_f64 v[192:193], -v[188:189], v[190:191], 1.0
	v_fma_f64 v[190:191], v[190:191], v[192:193], v[190:191]
	s_delay_alu instid0(VALU_DEP_1) | instskip(NEXT) | instid1(VALU_DEP_1)
	v_fma_f64 v[192:193], -v[188:189], v[190:191], 1.0
	v_fma_f64 v[190:191], v[190:191], v[192:193], v[190:191]
	s_delay_alu instid0(VALU_DEP_1) | instskip(NEXT) | instid1(VALU_DEP_1)
	v_mul_f64 v[192:193], v[194:195], v[190:191]
	v_fma_f64 v[188:189], -v[188:189], v[192:193], v[194:195]
	s_delay_alu instid0(VALU_DEP_1) | instskip(NEXT) | instid1(VALU_DEP_1)
	v_div_fmas_f64 v[188:189], v[188:189], v[190:191], v[192:193]
	v_div_fixup_f64 v[188:189], v[188:189], v[186:187], v[184:185]
	s_delay_alu instid0(VALU_DEP_1) | instskip(NEXT) | instid1(VALU_DEP_1)
	v_fma_f64 v[184:185], v[184:185], v[188:189], v[186:187]
	v_div_scale_f64 v[186:187], null, v[184:185], v[184:185], 1.0
	s_delay_alu instid0(VALU_DEP_1) | instskip(SKIP_2) | instid1(VALU_DEP_1)
	v_rcp_f64_e32 v[190:191], v[186:187]
	s_waitcnt_depctr 0xfff
	v_fma_f64 v[192:193], -v[186:187], v[190:191], 1.0
	v_fma_f64 v[190:191], v[190:191], v[192:193], v[190:191]
	s_delay_alu instid0(VALU_DEP_1) | instskip(NEXT) | instid1(VALU_DEP_1)
	v_fma_f64 v[192:193], -v[186:187], v[190:191], 1.0
	v_fma_f64 v[190:191], v[190:191], v[192:193], v[190:191]
	v_div_scale_f64 v[192:193], vcc_lo, 1.0, v[184:185], 1.0
	s_delay_alu instid0(VALU_DEP_1) | instskip(NEXT) | instid1(VALU_DEP_1)
	v_mul_f64 v[194:195], v[192:193], v[190:191]
	v_fma_f64 v[186:187], -v[186:187], v[194:195], v[192:193]
	s_delay_alu instid0(VALU_DEP_1) | instskip(NEXT) | instid1(VALU_DEP_1)
	v_div_fmas_f64 v[186:187], v[186:187], v[190:191], v[194:195]
	v_div_fixup_f64 v[190:191], v[186:187], v[184:185], 1.0
                                        ; implicit-def: $vgpr184_vgpr185
	s_delay_alu instid0(VALU_DEP_1)
	v_mul_f64 v[192:193], v[188:189], v[190:191]
	v_xor_b32_e32 v191, 0x80000000, v191
.LBB91_329:
	s_and_not1_saveexec_b32 s3, s3
	s_cbranch_execz .LBB91_331
; %bb.330:
	v_div_scale_f64 v[188:189], null, v[184:185], v[184:185], v[186:187]
	v_div_scale_f64 v[194:195], vcc_lo, v[186:187], v[184:185], v[186:187]
	s_delay_alu instid0(VALU_DEP_2) | instskip(SKIP_2) | instid1(VALU_DEP_1)
	v_rcp_f64_e32 v[190:191], v[188:189]
	s_waitcnt_depctr 0xfff
	v_fma_f64 v[192:193], -v[188:189], v[190:191], 1.0
	v_fma_f64 v[190:191], v[190:191], v[192:193], v[190:191]
	s_delay_alu instid0(VALU_DEP_1) | instskip(NEXT) | instid1(VALU_DEP_1)
	v_fma_f64 v[192:193], -v[188:189], v[190:191], 1.0
	v_fma_f64 v[190:191], v[190:191], v[192:193], v[190:191]
	s_delay_alu instid0(VALU_DEP_1) | instskip(NEXT) | instid1(VALU_DEP_1)
	v_mul_f64 v[192:193], v[194:195], v[190:191]
	v_fma_f64 v[188:189], -v[188:189], v[192:193], v[194:195]
	s_delay_alu instid0(VALU_DEP_1) | instskip(NEXT) | instid1(VALU_DEP_1)
	v_div_fmas_f64 v[188:189], v[188:189], v[190:191], v[192:193]
	v_div_fixup_f64 v[188:189], v[188:189], v[184:185], v[186:187]
	s_delay_alu instid0(VALU_DEP_1) | instskip(NEXT) | instid1(VALU_DEP_1)
	v_fma_f64 v[184:185], v[186:187], v[188:189], v[184:185]
	v_div_scale_f64 v[186:187], null, v[184:185], v[184:185], 1.0
	s_delay_alu instid0(VALU_DEP_1) | instskip(SKIP_2) | instid1(VALU_DEP_1)
	v_rcp_f64_e32 v[190:191], v[186:187]
	s_waitcnt_depctr 0xfff
	v_fma_f64 v[192:193], -v[186:187], v[190:191], 1.0
	v_fma_f64 v[190:191], v[190:191], v[192:193], v[190:191]
	s_delay_alu instid0(VALU_DEP_1) | instskip(NEXT) | instid1(VALU_DEP_1)
	v_fma_f64 v[192:193], -v[186:187], v[190:191], 1.0
	v_fma_f64 v[190:191], v[190:191], v[192:193], v[190:191]
	v_div_scale_f64 v[192:193], vcc_lo, 1.0, v[184:185], 1.0
	s_delay_alu instid0(VALU_DEP_1) | instskip(NEXT) | instid1(VALU_DEP_1)
	v_mul_f64 v[194:195], v[192:193], v[190:191]
	v_fma_f64 v[186:187], -v[186:187], v[194:195], v[192:193]
	s_delay_alu instid0(VALU_DEP_1) | instskip(NEXT) | instid1(VALU_DEP_1)
	v_div_fmas_f64 v[186:187], v[186:187], v[190:191], v[194:195]
	v_div_fixup_f64 v[192:193], v[186:187], v[184:185], 1.0
	s_delay_alu instid0(VALU_DEP_1)
	v_mul_f64 v[190:191], v[188:189], -v[192:193]
.LBB91_331:
	s_or_b32 exec_lo, exec_lo, s3
	ds_store_2addr_b64 v227, v[192:193], v[190:191] offset1:1
.LBB91_332:
	s_or_b32 exec_lo, exec_lo, s4
	s_waitcnt lgkmcnt(0)
	s_barrier
	buffer_gl0_inv
	ds_load_2addr_b64 v[184:187], v227 offset1:1
	s_mov_b32 s3, exec_lo
	s_waitcnt lgkmcnt(0)
	scratch_store_b128 off, v[184:187], off offset:848 ; 16-byte Folded Spill
	v_cmpx_lt_u32_e32 36, v226
	s_cbranch_execz .LBB91_334
; %bb.333:
	scratch_load_b128 v[184:187], off, off offset:848 ; 16-byte Folded Reload
	s_waitcnt vmcnt(0)
	v_mul_f64 v[188:189], v[184:185], v[38:39]
	v_mul_f64 v[38:39], v[186:187], v[38:39]
	s_delay_alu instid0(VALU_DEP_2) | instskip(SKIP_4) | instid1(VALU_DEP_1)
	v_fma_f64 v[192:193], v[186:187], v[36:37], v[188:189]
	ds_load_2addr_b64 v[188:191], v228 offset0:74 offset1:75
	v_fma_f64 v[36:37], v[184:185], v[36:37], -v[38:39]
	s_waitcnt lgkmcnt(0)
	v_mul_f64 v[38:39], v[190:191], v[192:193]
	v_fma_f64 v[38:39], v[188:189], v[36:37], -v[38:39]
	v_mul_f64 v[188:189], v[188:189], v[192:193]
	s_delay_alu instid0(VALU_DEP_2) | instskip(NEXT) | instid1(VALU_DEP_2)
	v_add_f64 v[32:33], v[32:33], -v[38:39]
	v_fma_f64 v[188:189], v[190:191], v[36:37], v[188:189]
	s_delay_alu instid0(VALU_DEP_1) | instskip(SKIP_3) | instid1(VALU_DEP_1)
	v_add_f64 v[34:35], v[34:35], -v[188:189]
	ds_load_2addr_b64 v[188:191], v228 offset0:76 offset1:77
	s_waitcnt lgkmcnt(0)
	v_mul_f64 v[38:39], v[190:191], v[192:193]
	v_fma_f64 v[38:39], v[188:189], v[36:37], -v[38:39]
	v_mul_f64 v[188:189], v[188:189], v[192:193]
	s_delay_alu instid0(VALU_DEP_2) | instskip(NEXT) | instid1(VALU_DEP_2)
	v_add_f64 v[28:29], v[28:29], -v[38:39]
	v_fma_f64 v[188:189], v[190:191], v[36:37], v[188:189]
	s_delay_alu instid0(VALU_DEP_1) | instskip(SKIP_3) | instid1(VALU_DEP_1)
	v_add_f64 v[30:31], v[30:31], -v[188:189]
	ds_load_2addr_b64 v[188:191], v228 offset0:78 offset1:79
	;; [unrolled: 10-line block ×8, first 2 shown]
	s_waitcnt lgkmcnt(0)
	v_mul_f64 v[38:39], v[190:191], v[192:193]
	v_fma_f64 v[38:39], v[188:189], v[36:37], -v[38:39]
	v_mul_f64 v[188:189], v[188:189], v[192:193]
	s_delay_alu instid0(VALU_DEP_2) | instskip(NEXT) | instid1(VALU_DEP_2)
	v_add_f64 v[0:1], v[0:1], -v[38:39]
	v_fma_f64 v[188:189], v[190:191], v[36:37], v[188:189]
	v_dual_mov_b32 v38, v192 :: v_dual_mov_b32 v39, v193
	s_delay_alu instid0(VALU_DEP_2)
	v_add_f64 v[2:3], v[2:3], -v[188:189]
.LBB91_334:
	s_or_b32 exec_lo, exec_lo, s3
	s_delay_alu instid0(SALU_CYCLE_1)
	s_mov_b32 s4, exec_lo
	s_waitcnt_vscnt null, 0x0
	s_barrier
	buffer_gl0_inv
	v_cmpx_eq_u32_e32 37, v226
	s_cbranch_execz .LBB91_341
; %bb.335:
	ds_store_2addr_b64 v227, v[32:33], v[34:35] offset1:1
	ds_store_2addr_b64 v228, v[28:29], v[30:31] offset0:76 offset1:77
	ds_store_2addr_b64 v228, v[24:25], v[26:27] offset0:78 offset1:79
	ds_store_2addr_b64 v228, v[20:21], v[22:23] offset0:80 offset1:81
	ds_store_2addr_b64 v228, v[16:17], v[18:19] offset0:82 offset1:83
	ds_store_2addr_b64 v228, v[12:13], v[14:15] offset0:84 offset1:85
	ds_store_2addr_b64 v228, v[8:9], v[10:11] offset0:86 offset1:87
	ds_store_2addr_b64 v228, v[4:5], v[6:7] offset0:88 offset1:89
	ds_store_2addr_b64 v228, v[0:1], v[2:3] offset0:90 offset1:91
	ds_load_2addr_b64 v[188:191], v227 offset1:1
	s_waitcnt lgkmcnt(0)
	v_cmp_neq_f64_e32 vcc_lo, 0, v[188:189]
	v_cmp_neq_f64_e64 s3, 0, v[190:191]
	s_delay_alu instid0(VALU_DEP_1) | instskip(NEXT) | instid1(SALU_CYCLE_1)
	s_or_b32 s3, vcc_lo, s3
	s_and_b32 exec_lo, exec_lo, s3
	s_cbranch_execz .LBB91_341
; %bb.336:
	v_cmp_gt_f64_e32 vcc_lo, 0, v[188:189]
	v_xor_b32_e32 v192, 0x80000000, v189
	v_xor_b32_e32 v194, 0x80000000, v191
	s_mov_b32 s3, exec_lo
                                        ; implicit-def: $vgpr196_vgpr197
	s_delay_alu instid0(VALU_DEP_2) | instskip(SKIP_4) | instid1(VALU_DEP_1)
	v_cndmask_b32_e32 v193, v189, v192, vcc_lo
	v_cndmask_b32_e32 v192, v188, v188, vcc_lo
	v_cmp_gt_f64_e32 vcc_lo, 0, v[190:191]
	v_cndmask_b32_e32 v195, v191, v194, vcc_lo
	v_cndmask_b32_e32 v194, v190, v190, vcc_lo
	v_cmpx_ngt_f64_e32 v[192:193], v[194:195]
	s_xor_b32 s3, exec_lo, s3
                                        ; implicit-def: $vgpr192_vgpr193_vgpr194_vgpr195
	s_cbranch_execz .LBB91_338
; %bb.337:
	v_div_scale_f64 v[192:193], null, v[190:191], v[190:191], v[188:189]
	v_div_scale_f64 v[198:199], vcc_lo, v[188:189], v[190:191], v[188:189]
	s_delay_alu instid0(VALU_DEP_2) | instskip(SKIP_2) | instid1(VALU_DEP_1)
	v_rcp_f64_e32 v[194:195], v[192:193]
	s_waitcnt_depctr 0xfff
	v_fma_f64 v[196:197], -v[192:193], v[194:195], 1.0
	v_fma_f64 v[194:195], v[194:195], v[196:197], v[194:195]
	s_delay_alu instid0(VALU_DEP_1) | instskip(NEXT) | instid1(VALU_DEP_1)
	v_fma_f64 v[196:197], -v[192:193], v[194:195], 1.0
	v_fma_f64 v[194:195], v[194:195], v[196:197], v[194:195]
	s_delay_alu instid0(VALU_DEP_1) | instskip(NEXT) | instid1(VALU_DEP_1)
	v_mul_f64 v[196:197], v[198:199], v[194:195]
	v_fma_f64 v[192:193], -v[192:193], v[196:197], v[198:199]
	s_delay_alu instid0(VALU_DEP_1) | instskip(NEXT) | instid1(VALU_DEP_1)
	v_div_fmas_f64 v[192:193], v[192:193], v[194:195], v[196:197]
	v_div_fixup_f64 v[192:193], v[192:193], v[190:191], v[188:189]
	s_delay_alu instid0(VALU_DEP_1) | instskip(NEXT) | instid1(VALU_DEP_1)
	v_fma_f64 v[188:189], v[188:189], v[192:193], v[190:191]
	v_div_scale_f64 v[190:191], null, v[188:189], v[188:189], 1.0
	s_delay_alu instid0(VALU_DEP_1) | instskip(SKIP_2) | instid1(VALU_DEP_1)
	v_rcp_f64_e32 v[194:195], v[190:191]
	s_waitcnt_depctr 0xfff
	v_fma_f64 v[196:197], -v[190:191], v[194:195], 1.0
	v_fma_f64 v[194:195], v[194:195], v[196:197], v[194:195]
	s_delay_alu instid0(VALU_DEP_1) | instskip(NEXT) | instid1(VALU_DEP_1)
	v_fma_f64 v[196:197], -v[190:191], v[194:195], 1.0
	v_fma_f64 v[194:195], v[194:195], v[196:197], v[194:195]
	v_div_scale_f64 v[196:197], vcc_lo, 1.0, v[188:189], 1.0
	s_delay_alu instid0(VALU_DEP_1) | instskip(NEXT) | instid1(VALU_DEP_1)
	v_mul_f64 v[198:199], v[196:197], v[194:195]
	v_fma_f64 v[190:191], -v[190:191], v[198:199], v[196:197]
	s_delay_alu instid0(VALU_DEP_1) | instskip(NEXT) | instid1(VALU_DEP_1)
	v_div_fmas_f64 v[190:191], v[190:191], v[194:195], v[198:199]
	v_div_fixup_f64 v[194:195], v[190:191], v[188:189], 1.0
                                        ; implicit-def: $vgpr188_vgpr189
	s_delay_alu instid0(VALU_DEP_1)
	v_mul_f64 v[196:197], v[192:193], v[194:195]
	v_xor_b32_e32 v195, 0x80000000, v195
.LBB91_338:
	s_and_not1_saveexec_b32 s3, s3
	s_cbranch_execz .LBB91_340
; %bb.339:
	v_div_scale_f64 v[192:193], null, v[188:189], v[188:189], v[190:191]
	v_div_scale_f64 v[198:199], vcc_lo, v[190:191], v[188:189], v[190:191]
	s_delay_alu instid0(VALU_DEP_2) | instskip(SKIP_2) | instid1(VALU_DEP_1)
	v_rcp_f64_e32 v[194:195], v[192:193]
	s_waitcnt_depctr 0xfff
	v_fma_f64 v[196:197], -v[192:193], v[194:195], 1.0
	v_fma_f64 v[194:195], v[194:195], v[196:197], v[194:195]
	s_delay_alu instid0(VALU_DEP_1) | instskip(NEXT) | instid1(VALU_DEP_1)
	v_fma_f64 v[196:197], -v[192:193], v[194:195], 1.0
	v_fma_f64 v[194:195], v[194:195], v[196:197], v[194:195]
	s_delay_alu instid0(VALU_DEP_1) | instskip(NEXT) | instid1(VALU_DEP_1)
	v_mul_f64 v[196:197], v[198:199], v[194:195]
	v_fma_f64 v[192:193], -v[192:193], v[196:197], v[198:199]
	s_delay_alu instid0(VALU_DEP_1) | instskip(NEXT) | instid1(VALU_DEP_1)
	v_div_fmas_f64 v[192:193], v[192:193], v[194:195], v[196:197]
	v_div_fixup_f64 v[192:193], v[192:193], v[188:189], v[190:191]
	s_delay_alu instid0(VALU_DEP_1) | instskip(NEXT) | instid1(VALU_DEP_1)
	v_fma_f64 v[188:189], v[190:191], v[192:193], v[188:189]
	v_div_scale_f64 v[190:191], null, v[188:189], v[188:189], 1.0
	s_delay_alu instid0(VALU_DEP_1) | instskip(SKIP_2) | instid1(VALU_DEP_1)
	v_rcp_f64_e32 v[194:195], v[190:191]
	s_waitcnt_depctr 0xfff
	v_fma_f64 v[196:197], -v[190:191], v[194:195], 1.0
	v_fma_f64 v[194:195], v[194:195], v[196:197], v[194:195]
	s_delay_alu instid0(VALU_DEP_1) | instskip(NEXT) | instid1(VALU_DEP_1)
	v_fma_f64 v[196:197], -v[190:191], v[194:195], 1.0
	v_fma_f64 v[194:195], v[194:195], v[196:197], v[194:195]
	v_div_scale_f64 v[196:197], vcc_lo, 1.0, v[188:189], 1.0
	s_delay_alu instid0(VALU_DEP_1) | instskip(NEXT) | instid1(VALU_DEP_1)
	v_mul_f64 v[198:199], v[196:197], v[194:195]
	v_fma_f64 v[190:191], -v[190:191], v[198:199], v[196:197]
	s_delay_alu instid0(VALU_DEP_1) | instskip(NEXT) | instid1(VALU_DEP_1)
	v_div_fmas_f64 v[190:191], v[190:191], v[194:195], v[198:199]
	v_div_fixup_f64 v[196:197], v[190:191], v[188:189], 1.0
	s_delay_alu instid0(VALU_DEP_1)
	v_mul_f64 v[194:195], v[192:193], -v[196:197]
.LBB91_340:
	s_or_b32 exec_lo, exec_lo, s3
	ds_store_2addr_b64 v227, v[196:197], v[194:195] offset1:1
.LBB91_341:
	s_or_b32 exec_lo, exec_lo, s4
	s_waitcnt lgkmcnt(0)
	s_barrier
	buffer_gl0_inv
	ds_load_2addr_b64 v[188:191], v227 offset1:1
	s_mov_b32 s3, exec_lo
	v_cmpx_lt_u32_e32 37, v226
	s_cbranch_execz .LBB91_343
; %bb.342:
	s_waitcnt lgkmcnt(0)
	v_mul_f64 v[192:193], v[188:189], v[34:35]
	v_mul_f64 v[34:35], v[190:191], v[34:35]
	s_delay_alu instid0(VALU_DEP_2) | instskip(SKIP_4) | instid1(VALU_DEP_1)
	v_fma_f64 v[196:197], v[190:191], v[32:33], v[192:193]
	ds_load_2addr_b64 v[192:195], v228 offset0:76 offset1:77
	v_fma_f64 v[32:33], v[188:189], v[32:33], -v[34:35]
	s_waitcnt lgkmcnt(0)
	v_mul_f64 v[34:35], v[194:195], v[196:197]
	v_fma_f64 v[34:35], v[192:193], v[32:33], -v[34:35]
	v_mul_f64 v[192:193], v[192:193], v[196:197]
	s_delay_alu instid0(VALU_DEP_2) | instskip(NEXT) | instid1(VALU_DEP_2)
	v_add_f64 v[28:29], v[28:29], -v[34:35]
	v_fma_f64 v[192:193], v[194:195], v[32:33], v[192:193]
	s_delay_alu instid0(VALU_DEP_1) | instskip(SKIP_3) | instid1(VALU_DEP_1)
	v_add_f64 v[30:31], v[30:31], -v[192:193]
	ds_load_2addr_b64 v[192:195], v228 offset0:78 offset1:79
	s_waitcnt lgkmcnt(0)
	v_mul_f64 v[34:35], v[194:195], v[196:197]
	v_fma_f64 v[34:35], v[192:193], v[32:33], -v[34:35]
	v_mul_f64 v[192:193], v[192:193], v[196:197]
	s_delay_alu instid0(VALU_DEP_2) | instskip(NEXT) | instid1(VALU_DEP_2)
	v_add_f64 v[24:25], v[24:25], -v[34:35]
	v_fma_f64 v[192:193], v[194:195], v[32:33], v[192:193]
	s_delay_alu instid0(VALU_DEP_1) | instskip(SKIP_3) | instid1(VALU_DEP_1)
	v_add_f64 v[26:27], v[26:27], -v[192:193]
	ds_load_2addr_b64 v[192:195], v228 offset0:80 offset1:81
	;; [unrolled: 10-line block ×7, first 2 shown]
	s_waitcnt lgkmcnt(0)
	v_mul_f64 v[34:35], v[194:195], v[196:197]
	v_fma_f64 v[34:35], v[192:193], v[32:33], -v[34:35]
	v_mul_f64 v[192:193], v[192:193], v[196:197]
	s_delay_alu instid0(VALU_DEP_2) | instskip(NEXT) | instid1(VALU_DEP_2)
	v_add_f64 v[0:1], v[0:1], -v[34:35]
	v_fma_f64 v[192:193], v[194:195], v[32:33], v[192:193]
	v_dual_mov_b32 v34, v196 :: v_dual_mov_b32 v35, v197
	s_delay_alu instid0(VALU_DEP_2)
	v_add_f64 v[2:3], v[2:3], -v[192:193]
.LBB91_343:
	s_or_b32 exec_lo, exec_lo, s3
	s_delay_alu instid0(SALU_CYCLE_1)
	s_mov_b32 s4, exec_lo
	s_waitcnt lgkmcnt(0)
	s_barrier
	buffer_gl0_inv
	v_cmpx_eq_u32_e32 38, v226
	s_cbranch_execz .LBB91_350
; %bb.344:
	ds_store_2addr_b64 v227, v[28:29], v[30:31] offset1:1
	ds_store_2addr_b64 v228, v[24:25], v[26:27] offset0:78 offset1:79
	ds_store_2addr_b64 v228, v[20:21], v[22:23] offset0:80 offset1:81
	;; [unrolled: 1-line block ×7, first 2 shown]
	ds_load_2addr_b64 v[192:195], v227 offset1:1
	s_waitcnt lgkmcnt(0)
	v_cmp_neq_f64_e32 vcc_lo, 0, v[192:193]
	v_cmp_neq_f64_e64 s3, 0, v[194:195]
	s_delay_alu instid0(VALU_DEP_1) | instskip(NEXT) | instid1(SALU_CYCLE_1)
	s_or_b32 s3, vcc_lo, s3
	s_and_b32 exec_lo, exec_lo, s3
	s_cbranch_execz .LBB91_350
; %bb.345:
	v_cmp_gt_f64_e32 vcc_lo, 0, v[192:193]
	v_xor_b32_e32 v196, 0x80000000, v193
	v_xor_b32_e32 v198, 0x80000000, v195
	s_mov_b32 s3, exec_lo
                                        ; implicit-def: $vgpr200_vgpr201
	s_delay_alu instid0(VALU_DEP_2) | instskip(SKIP_4) | instid1(VALU_DEP_1)
	v_cndmask_b32_e32 v197, v193, v196, vcc_lo
	v_cndmask_b32_e32 v196, v192, v192, vcc_lo
	v_cmp_gt_f64_e32 vcc_lo, 0, v[194:195]
	v_cndmask_b32_e32 v199, v195, v198, vcc_lo
	v_cndmask_b32_e32 v198, v194, v194, vcc_lo
	v_cmpx_ngt_f64_e32 v[196:197], v[198:199]
	s_xor_b32 s3, exec_lo, s3
                                        ; implicit-def: $vgpr196_vgpr197_vgpr198_vgpr199
	s_cbranch_execz .LBB91_347
; %bb.346:
	v_div_scale_f64 v[196:197], null, v[194:195], v[194:195], v[192:193]
	v_div_scale_f64 v[202:203], vcc_lo, v[192:193], v[194:195], v[192:193]
	s_delay_alu instid0(VALU_DEP_2) | instskip(SKIP_2) | instid1(VALU_DEP_1)
	v_rcp_f64_e32 v[198:199], v[196:197]
	s_waitcnt_depctr 0xfff
	v_fma_f64 v[200:201], -v[196:197], v[198:199], 1.0
	v_fma_f64 v[198:199], v[198:199], v[200:201], v[198:199]
	s_delay_alu instid0(VALU_DEP_1) | instskip(NEXT) | instid1(VALU_DEP_1)
	v_fma_f64 v[200:201], -v[196:197], v[198:199], 1.0
	v_fma_f64 v[198:199], v[198:199], v[200:201], v[198:199]
	s_delay_alu instid0(VALU_DEP_1) | instskip(NEXT) | instid1(VALU_DEP_1)
	v_mul_f64 v[200:201], v[202:203], v[198:199]
	v_fma_f64 v[196:197], -v[196:197], v[200:201], v[202:203]
	s_delay_alu instid0(VALU_DEP_1) | instskip(NEXT) | instid1(VALU_DEP_1)
	v_div_fmas_f64 v[196:197], v[196:197], v[198:199], v[200:201]
	v_div_fixup_f64 v[196:197], v[196:197], v[194:195], v[192:193]
	s_delay_alu instid0(VALU_DEP_1) | instskip(NEXT) | instid1(VALU_DEP_1)
	v_fma_f64 v[192:193], v[192:193], v[196:197], v[194:195]
	v_div_scale_f64 v[194:195], null, v[192:193], v[192:193], 1.0
	s_delay_alu instid0(VALU_DEP_1) | instskip(SKIP_2) | instid1(VALU_DEP_1)
	v_rcp_f64_e32 v[198:199], v[194:195]
	s_waitcnt_depctr 0xfff
	v_fma_f64 v[200:201], -v[194:195], v[198:199], 1.0
	v_fma_f64 v[198:199], v[198:199], v[200:201], v[198:199]
	s_delay_alu instid0(VALU_DEP_1) | instskip(NEXT) | instid1(VALU_DEP_1)
	v_fma_f64 v[200:201], -v[194:195], v[198:199], 1.0
	v_fma_f64 v[198:199], v[198:199], v[200:201], v[198:199]
	v_div_scale_f64 v[200:201], vcc_lo, 1.0, v[192:193], 1.0
	s_delay_alu instid0(VALU_DEP_1) | instskip(NEXT) | instid1(VALU_DEP_1)
	v_mul_f64 v[202:203], v[200:201], v[198:199]
	v_fma_f64 v[194:195], -v[194:195], v[202:203], v[200:201]
	s_delay_alu instid0(VALU_DEP_1) | instskip(NEXT) | instid1(VALU_DEP_1)
	v_div_fmas_f64 v[194:195], v[194:195], v[198:199], v[202:203]
	v_div_fixup_f64 v[198:199], v[194:195], v[192:193], 1.0
                                        ; implicit-def: $vgpr192_vgpr193
	s_delay_alu instid0(VALU_DEP_1)
	v_mul_f64 v[200:201], v[196:197], v[198:199]
	v_xor_b32_e32 v199, 0x80000000, v199
.LBB91_347:
	s_and_not1_saveexec_b32 s3, s3
	s_cbranch_execz .LBB91_349
; %bb.348:
	v_div_scale_f64 v[196:197], null, v[192:193], v[192:193], v[194:195]
	v_div_scale_f64 v[202:203], vcc_lo, v[194:195], v[192:193], v[194:195]
	s_delay_alu instid0(VALU_DEP_2) | instskip(SKIP_2) | instid1(VALU_DEP_1)
	v_rcp_f64_e32 v[198:199], v[196:197]
	s_waitcnt_depctr 0xfff
	v_fma_f64 v[200:201], -v[196:197], v[198:199], 1.0
	v_fma_f64 v[198:199], v[198:199], v[200:201], v[198:199]
	s_delay_alu instid0(VALU_DEP_1) | instskip(NEXT) | instid1(VALU_DEP_1)
	v_fma_f64 v[200:201], -v[196:197], v[198:199], 1.0
	v_fma_f64 v[198:199], v[198:199], v[200:201], v[198:199]
	s_delay_alu instid0(VALU_DEP_1) | instskip(NEXT) | instid1(VALU_DEP_1)
	v_mul_f64 v[200:201], v[202:203], v[198:199]
	v_fma_f64 v[196:197], -v[196:197], v[200:201], v[202:203]
	s_delay_alu instid0(VALU_DEP_1) | instskip(NEXT) | instid1(VALU_DEP_1)
	v_div_fmas_f64 v[196:197], v[196:197], v[198:199], v[200:201]
	v_div_fixup_f64 v[196:197], v[196:197], v[192:193], v[194:195]
	s_delay_alu instid0(VALU_DEP_1) | instskip(NEXT) | instid1(VALU_DEP_1)
	v_fma_f64 v[192:193], v[194:195], v[196:197], v[192:193]
	v_div_scale_f64 v[194:195], null, v[192:193], v[192:193], 1.0
	s_delay_alu instid0(VALU_DEP_1) | instskip(SKIP_2) | instid1(VALU_DEP_1)
	v_rcp_f64_e32 v[198:199], v[194:195]
	s_waitcnt_depctr 0xfff
	v_fma_f64 v[200:201], -v[194:195], v[198:199], 1.0
	v_fma_f64 v[198:199], v[198:199], v[200:201], v[198:199]
	s_delay_alu instid0(VALU_DEP_1) | instskip(NEXT) | instid1(VALU_DEP_1)
	v_fma_f64 v[200:201], -v[194:195], v[198:199], 1.0
	v_fma_f64 v[198:199], v[198:199], v[200:201], v[198:199]
	v_div_scale_f64 v[200:201], vcc_lo, 1.0, v[192:193], 1.0
	s_delay_alu instid0(VALU_DEP_1) | instskip(NEXT) | instid1(VALU_DEP_1)
	v_mul_f64 v[202:203], v[200:201], v[198:199]
	v_fma_f64 v[194:195], -v[194:195], v[202:203], v[200:201]
	s_delay_alu instid0(VALU_DEP_1) | instskip(NEXT) | instid1(VALU_DEP_1)
	v_div_fmas_f64 v[194:195], v[194:195], v[198:199], v[202:203]
	v_div_fixup_f64 v[200:201], v[194:195], v[192:193], 1.0
	s_delay_alu instid0(VALU_DEP_1)
	v_mul_f64 v[198:199], v[196:197], -v[200:201]
.LBB91_349:
	s_or_b32 exec_lo, exec_lo, s3
	ds_store_2addr_b64 v227, v[200:201], v[198:199] offset1:1
.LBB91_350:
	s_or_b32 exec_lo, exec_lo, s4
	s_waitcnt lgkmcnt(0)
	s_barrier
	buffer_gl0_inv
	ds_load_2addr_b64 v[192:195], v227 offset1:1
	s_mov_b32 s3, exec_lo
	v_cmpx_lt_u32_e32 38, v226
	s_cbranch_execz .LBB91_352
; %bb.351:
	s_waitcnt lgkmcnt(0)
	v_mul_f64 v[196:197], v[192:193], v[30:31]
	v_mul_f64 v[30:31], v[194:195], v[30:31]
	s_delay_alu instid0(VALU_DEP_2) | instskip(SKIP_4) | instid1(VALU_DEP_1)
	v_fma_f64 v[200:201], v[194:195], v[28:29], v[196:197]
	ds_load_2addr_b64 v[196:199], v228 offset0:78 offset1:79
	v_fma_f64 v[28:29], v[192:193], v[28:29], -v[30:31]
	s_waitcnt lgkmcnt(0)
	v_mul_f64 v[30:31], v[198:199], v[200:201]
	v_fma_f64 v[30:31], v[196:197], v[28:29], -v[30:31]
	v_mul_f64 v[196:197], v[196:197], v[200:201]
	s_delay_alu instid0(VALU_DEP_2) | instskip(NEXT) | instid1(VALU_DEP_2)
	v_add_f64 v[24:25], v[24:25], -v[30:31]
	v_fma_f64 v[196:197], v[198:199], v[28:29], v[196:197]
	s_delay_alu instid0(VALU_DEP_1) | instskip(SKIP_3) | instid1(VALU_DEP_1)
	v_add_f64 v[26:27], v[26:27], -v[196:197]
	ds_load_2addr_b64 v[196:199], v228 offset0:80 offset1:81
	s_waitcnt lgkmcnt(0)
	v_mul_f64 v[30:31], v[198:199], v[200:201]
	v_fma_f64 v[30:31], v[196:197], v[28:29], -v[30:31]
	v_mul_f64 v[196:197], v[196:197], v[200:201]
	s_delay_alu instid0(VALU_DEP_2) | instskip(NEXT) | instid1(VALU_DEP_2)
	v_add_f64 v[20:21], v[20:21], -v[30:31]
	v_fma_f64 v[196:197], v[198:199], v[28:29], v[196:197]
	s_delay_alu instid0(VALU_DEP_1) | instskip(SKIP_3) | instid1(VALU_DEP_1)
	v_add_f64 v[22:23], v[22:23], -v[196:197]
	ds_load_2addr_b64 v[196:199], v228 offset0:82 offset1:83
	;; [unrolled: 10-line block ×6, first 2 shown]
	s_waitcnt lgkmcnt(0)
	v_mul_f64 v[30:31], v[198:199], v[200:201]
	v_fma_f64 v[30:31], v[196:197], v[28:29], -v[30:31]
	v_mul_f64 v[196:197], v[196:197], v[200:201]
	s_delay_alu instid0(VALU_DEP_2) | instskip(NEXT) | instid1(VALU_DEP_2)
	v_add_f64 v[0:1], v[0:1], -v[30:31]
	v_fma_f64 v[196:197], v[198:199], v[28:29], v[196:197]
	v_dual_mov_b32 v30, v200 :: v_dual_mov_b32 v31, v201
	s_delay_alu instid0(VALU_DEP_2)
	v_add_f64 v[2:3], v[2:3], -v[196:197]
.LBB91_352:
	s_or_b32 exec_lo, exec_lo, s3
	s_delay_alu instid0(SALU_CYCLE_1)
	s_mov_b32 s4, exec_lo
	s_waitcnt lgkmcnt(0)
	s_barrier
	buffer_gl0_inv
	v_cmpx_eq_u32_e32 39, v226
	s_cbranch_execz .LBB91_359
; %bb.353:
	ds_store_2addr_b64 v227, v[24:25], v[26:27] offset1:1
	ds_store_2addr_b64 v228, v[20:21], v[22:23] offset0:80 offset1:81
	ds_store_2addr_b64 v228, v[16:17], v[18:19] offset0:82 offset1:83
	;; [unrolled: 1-line block ×6, first 2 shown]
	ds_load_2addr_b64 v[196:199], v227 offset1:1
	s_waitcnt lgkmcnt(0)
	v_cmp_neq_f64_e32 vcc_lo, 0, v[196:197]
	v_cmp_neq_f64_e64 s3, 0, v[198:199]
	s_delay_alu instid0(VALU_DEP_1) | instskip(NEXT) | instid1(SALU_CYCLE_1)
	s_or_b32 s3, vcc_lo, s3
	s_and_b32 exec_lo, exec_lo, s3
	s_cbranch_execz .LBB91_359
; %bb.354:
	v_cmp_gt_f64_e32 vcc_lo, 0, v[196:197]
	v_xor_b32_e32 v200, 0x80000000, v197
	v_xor_b32_e32 v202, 0x80000000, v199
	s_mov_b32 s3, exec_lo
                                        ; implicit-def: $vgpr204_vgpr205
	s_delay_alu instid0(VALU_DEP_2) | instskip(SKIP_4) | instid1(VALU_DEP_1)
	v_cndmask_b32_e32 v201, v197, v200, vcc_lo
	v_cndmask_b32_e32 v200, v196, v196, vcc_lo
	v_cmp_gt_f64_e32 vcc_lo, 0, v[198:199]
	v_cndmask_b32_e32 v203, v199, v202, vcc_lo
	v_cndmask_b32_e32 v202, v198, v198, vcc_lo
	v_cmpx_ngt_f64_e32 v[200:201], v[202:203]
	s_xor_b32 s3, exec_lo, s3
                                        ; implicit-def: $vgpr200_vgpr201_vgpr202_vgpr203
	s_cbranch_execz .LBB91_356
; %bb.355:
	v_div_scale_f64 v[200:201], null, v[198:199], v[198:199], v[196:197]
	v_div_scale_f64 v[206:207], vcc_lo, v[196:197], v[198:199], v[196:197]
	s_delay_alu instid0(VALU_DEP_2) | instskip(SKIP_2) | instid1(VALU_DEP_1)
	v_rcp_f64_e32 v[202:203], v[200:201]
	s_waitcnt_depctr 0xfff
	v_fma_f64 v[204:205], -v[200:201], v[202:203], 1.0
	v_fma_f64 v[202:203], v[202:203], v[204:205], v[202:203]
	s_delay_alu instid0(VALU_DEP_1) | instskip(NEXT) | instid1(VALU_DEP_1)
	v_fma_f64 v[204:205], -v[200:201], v[202:203], 1.0
	v_fma_f64 v[202:203], v[202:203], v[204:205], v[202:203]
	s_delay_alu instid0(VALU_DEP_1) | instskip(NEXT) | instid1(VALU_DEP_1)
	v_mul_f64 v[204:205], v[206:207], v[202:203]
	v_fma_f64 v[200:201], -v[200:201], v[204:205], v[206:207]
	s_delay_alu instid0(VALU_DEP_1) | instskip(NEXT) | instid1(VALU_DEP_1)
	v_div_fmas_f64 v[200:201], v[200:201], v[202:203], v[204:205]
	v_div_fixup_f64 v[200:201], v[200:201], v[198:199], v[196:197]
	s_delay_alu instid0(VALU_DEP_1) | instskip(NEXT) | instid1(VALU_DEP_1)
	v_fma_f64 v[196:197], v[196:197], v[200:201], v[198:199]
	v_div_scale_f64 v[198:199], null, v[196:197], v[196:197], 1.0
	s_delay_alu instid0(VALU_DEP_1) | instskip(SKIP_2) | instid1(VALU_DEP_1)
	v_rcp_f64_e32 v[202:203], v[198:199]
	s_waitcnt_depctr 0xfff
	v_fma_f64 v[204:205], -v[198:199], v[202:203], 1.0
	v_fma_f64 v[202:203], v[202:203], v[204:205], v[202:203]
	s_delay_alu instid0(VALU_DEP_1) | instskip(NEXT) | instid1(VALU_DEP_1)
	v_fma_f64 v[204:205], -v[198:199], v[202:203], 1.0
	v_fma_f64 v[202:203], v[202:203], v[204:205], v[202:203]
	v_div_scale_f64 v[204:205], vcc_lo, 1.0, v[196:197], 1.0
	s_delay_alu instid0(VALU_DEP_1) | instskip(NEXT) | instid1(VALU_DEP_1)
	v_mul_f64 v[206:207], v[204:205], v[202:203]
	v_fma_f64 v[198:199], -v[198:199], v[206:207], v[204:205]
	s_delay_alu instid0(VALU_DEP_1) | instskip(NEXT) | instid1(VALU_DEP_1)
	v_div_fmas_f64 v[198:199], v[198:199], v[202:203], v[206:207]
	v_div_fixup_f64 v[202:203], v[198:199], v[196:197], 1.0
                                        ; implicit-def: $vgpr196_vgpr197
	s_delay_alu instid0(VALU_DEP_1)
	v_mul_f64 v[204:205], v[200:201], v[202:203]
	v_xor_b32_e32 v203, 0x80000000, v203
.LBB91_356:
	s_and_not1_saveexec_b32 s3, s3
	s_cbranch_execz .LBB91_358
; %bb.357:
	v_div_scale_f64 v[200:201], null, v[196:197], v[196:197], v[198:199]
	v_div_scale_f64 v[206:207], vcc_lo, v[198:199], v[196:197], v[198:199]
	s_delay_alu instid0(VALU_DEP_2) | instskip(SKIP_2) | instid1(VALU_DEP_1)
	v_rcp_f64_e32 v[202:203], v[200:201]
	s_waitcnt_depctr 0xfff
	v_fma_f64 v[204:205], -v[200:201], v[202:203], 1.0
	v_fma_f64 v[202:203], v[202:203], v[204:205], v[202:203]
	s_delay_alu instid0(VALU_DEP_1) | instskip(NEXT) | instid1(VALU_DEP_1)
	v_fma_f64 v[204:205], -v[200:201], v[202:203], 1.0
	v_fma_f64 v[202:203], v[202:203], v[204:205], v[202:203]
	s_delay_alu instid0(VALU_DEP_1) | instskip(NEXT) | instid1(VALU_DEP_1)
	v_mul_f64 v[204:205], v[206:207], v[202:203]
	v_fma_f64 v[200:201], -v[200:201], v[204:205], v[206:207]
	s_delay_alu instid0(VALU_DEP_1) | instskip(NEXT) | instid1(VALU_DEP_1)
	v_div_fmas_f64 v[200:201], v[200:201], v[202:203], v[204:205]
	v_div_fixup_f64 v[200:201], v[200:201], v[196:197], v[198:199]
	s_delay_alu instid0(VALU_DEP_1) | instskip(NEXT) | instid1(VALU_DEP_1)
	v_fma_f64 v[196:197], v[198:199], v[200:201], v[196:197]
	v_div_scale_f64 v[198:199], null, v[196:197], v[196:197], 1.0
	s_delay_alu instid0(VALU_DEP_1) | instskip(SKIP_2) | instid1(VALU_DEP_1)
	v_rcp_f64_e32 v[202:203], v[198:199]
	s_waitcnt_depctr 0xfff
	v_fma_f64 v[204:205], -v[198:199], v[202:203], 1.0
	v_fma_f64 v[202:203], v[202:203], v[204:205], v[202:203]
	s_delay_alu instid0(VALU_DEP_1) | instskip(NEXT) | instid1(VALU_DEP_1)
	v_fma_f64 v[204:205], -v[198:199], v[202:203], 1.0
	v_fma_f64 v[202:203], v[202:203], v[204:205], v[202:203]
	v_div_scale_f64 v[204:205], vcc_lo, 1.0, v[196:197], 1.0
	s_delay_alu instid0(VALU_DEP_1) | instskip(NEXT) | instid1(VALU_DEP_1)
	v_mul_f64 v[206:207], v[204:205], v[202:203]
	v_fma_f64 v[198:199], -v[198:199], v[206:207], v[204:205]
	s_delay_alu instid0(VALU_DEP_1) | instskip(NEXT) | instid1(VALU_DEP_1)
	v_div_fmas_f64 v[198:199], v[198:199], v[202:203], v[206:207]
	v_div_fixup_f64 v[204:205], v[198:199], v[196:197], 1.0
	s_delay_alu instid0(VALU_DEP_1)
	v_mul_f64 v[202:203], v[200:201], -v[204:205]
.LBB91_358:
	s_or_b32 exec_lo, exec_lo, s3
	ds_store_2addr_b64 v227, v[204:205], v[202:203] offset1:1
.LBB91_359:
	s_or_b32 exec_lo, exec_lo, s4
	s_waitcnt lgkmcnt(0)
	s_barrier
	buffer_gl0_inv
	ds_load_2addr_b64 v[196:199], v227 offset1:1
	s_mov_b32 s3, exec_lo
	v_cmpx_lt_u32_e32 39, v226
	s_cbranch_execz .LBB91_361
; %bb.360:
	s_waitcnt lgkmcnt(0)
	v_mul_f64 v[200:201], v[196:197], v[26:27]
	v_mul_f64 v[26:27], v[198:199], v[26:27]
	s_delay_alu instid0(VALU_DEP_2) | instskip(SKIP_4) | instid1(VALU_DEP_1)
	v_fma_f64 v[204:205], v[198:199], v[24:25], v[200:201]
	ds_load_2addr_b64 v[200:203], v228 offset0:80 offset1:81
	v_fma_f64 v[24:25], v[196:197], v[24:25], -v[26:27]
	s_waitcnt lgkmcnt(0)
	v_mul_f64 v[26:27], v[202:203], v[204:205]
	v_fma_f64 v[26:27], v[200:201], v[24:25], -v[26:27]
	v_mul_f64 v[200:201], v[200:201], v[204:205]
	s_delay_alu instid0(VALU_DEP_2) | instskip(NEXT) | instid1(VALU_DEP_2)
	v_add_f64 v[20:21], v[20:21], -v[26:27]
	v_fma_f64 v[200:201], v[202:203], v[24:25], v[200:201]
	s_delay_alu instid0(VALU_DEP_1) | instskip(SKIP_3) | instid1(VALU_DEP_1)
	v_add_f64 v[22:23], v[22:23], -v[200:201]
	ds_load_2addr_b64 v[200:203], v228 offset0:82 offset1:83
	s_waitcnt lgkmcnt(0)
	v_mul_f64 v[26:27], v[202:203], v[204:205]
	v_fma_f64 v[26:27], v[200:201], v[24:25], -v[26:27]
	v_mul_f64 v[200:201], v[200:201], v[204:205]
	s_delay_alu instid0(VALU_DEP_2) | instskip(NEXT) | instid1(VALU_DEP_2)
	v_add_f64 v[16:17], v[16:17], -v[26:27]
	v_fma_f64 v[200:201], v[202:203], v[24:25], v[200:201]
	s_delay_alu instid0(VALU_DEP_1) | instskip(SKIP_3) | instid1(VALU_DEP_1)
	v_add_f64 v[18:19], v[18:19], -v[200:201]
	ds_load_2addr_b64 v[200:203], v228 offset0:84 offset1:85
	s_waitcnt lgkmcnt(0)
	v_mul_f64 v[26:27], v[202:203], v[204:205]
	v_fma_f64 v[26:27], v[200:201], v[24:25], -v[26:27]
	v_mul_f64 v[200:201], v[200:201], v[204:205]
	s_delay_alu instid0(VALU_DEP_2) | instskip(NEXT) | instid1(VALU_DEP_2)
	v_add_f64 v[12:13], v[12:13], -v[26:27]
	v_fma_f64 v[200:201], v[202:203], v[24:25], v[200:201]
	s_delay_alu instid0(VALU_DEP_1) | instskip(SKIP_3) | instid1(VALU_DEP_1)
	v_add_f64 v[14:15], v[14:15], -v[200:201]
	ds_load_2addr_b64 v[200:203], v228 offset0:86 offset1:87
	s_waitcnt lgkmcnt(0)
	v_mul_f64 v[26:27], v[202:203], v[204:205]
	v_fma_f64 v[26:27], v[200:201], v[24:25], -v[26:27]
	v_mul_f64 v[200:201], v[200:201], v[204:205]
	s_delay_alu instid0(VALU_DEP_2) | instskip(NEXT) | instid1(VALU_DEP_2)
	v_add_f64 v[8:9], v[8:9], -v[26:27]
	v_fma_f64 v[200:201], v[202:203], v[24:25], v[200:201]
	s_delay_alu instid0(VALU_DEP_1) | instskip(SKIP_3) | instid1(VALU_DEP_1)
	v_add_f64 v[10:11], v[10:11], -v[200:201]
	ds_load_2addr_b64 v[200:203], v228 offset0:88 offset1:89
	s_waitcnt lgkmcnt(0)
	v_mul_f64 v[26:27], v[202:203], v[204:205]
	v_fma_f64 v[26:27], v[200:201], v[24:25], -v[26:27]
	v_mul_f64 v[200:201], v[200:201], v[204:205]
	s_delay_alu instid0(VALU_DEP_2) | instskip(NEXT) | instid1(VALU_DEP_2)
	v_add_f64 v[4:5], v[4:5], -v[26:27]
	v_fma_f64 v[200:201], v[202:203], v[24:25], v[200:201]
	s_delay_alu instid0(VALU_DEP_1) | instskip(SKIP_3) | instid1(VALU_DEP_1)
	v_add_f64 v[6:7], v[6:7], -v[200:201]
	ds_load_2addr_b64 v[200:203], v228 offset0:90 offset1:91
	s_waitcnt lgkmcnt(0)
	v_mul_f64 v[26:27], v[202:203], v[204:205]
	v_fma_f64 v[26:27], v[200:201], v[24:25], -v[26:27]
	v_mul_f64 v[200:201], v[200:201], v[204:205]
	s_delay_alu instid0(VALU_DEP_2) | instskip(NEXT) | instid1(VALU_DEP_2)
	v_add_f64 v[0:1], v[0:1], -v[26:27]
	v_fma_f64 v[200:201], v[202:203], v[24:25], v[200:201]
	v_dual_mov_b32 v26, v204 :: v_dual_mov_b32 v27, v205
	s_delay_alu instid0(VALU_DEP_2)
	v_add_f64 v[2:3], v[2:3], -v[200:201]
.LBB91_361:
	s_or_b32 exec_lo, exec_lo, s3
	s_delay_alu instid0(SALU_CYCLE_1)
	s_mov_b32 s4, exec_lo
	s_waitcnt lgkmcnt(0)
	s_barrier
	buffer_gl0_inv
	v_cmpx_eq_u32_e32 40, v226
	s_cbranch_execz .LBB91_368
; %bb.362:
	ds_store_2addr_b64 v227, v[20:21], v[22:23] offset1:1
	ds_store_2addr_b64 v228, v[16:17], v[18:19] offset0:82 offset1:83
	ds_store_2addr_b64 v228, v[12:13], v[14:15] offset0:84 offset1:85
	;; [unrolled: 1-line block ×5, first 2 shown]
	ds_load_2addr_b64 v[200:203], v227 offset1:1
	s_waitcnt lgkmcnt(0)
	v_cmp_neq_f64_e32 vcc_lo, 0, v[200:201]
	v_cmp_neq_f64_e64 s3, 0, v[202:203]
	s_delay_alu instid0(VALU_DEP_1) | instskip(NEXT) | instid1(SALU_CYCLE_1)
	s_or_b32 s3, vcc_lo, s3
	s_and_b32 exec_lo, exec_lo, s3
	s_cbranch_execz .LBB91_368
; %bb.363:
	v_cmp_gt_f64_e32 vcc_lo, 0, v[200:201]
	v_xor_b32_e32 v204, 0x80000000, v201
	v_xor_b32_e32 v206, 0x80000000, v203
	s_mov_b32 s3, exec_lo
                                        ; implicit-def: $vgpr208_vgpr209
	s_delay_alu instid0(VALU_DEP_2) | instskip(SKIP_4) | instid1(VALU_DEP_1)
	v_cndmask_b32_e32 v205, v201, v204, vcc_lo
	v_cndmask_b32_e32 v204, v200, v200, vcc_lo
	v_cmp_gt_f64_e32 vcc_lo, 0, v[202:203]
	v_cndmask_b32_e32 v207, v203, v206, vcc_lo
	v_cndmask_b32_e32 v206, v202, v202, vcc_lo
	v_cmpx_ngt_f64_e32 v[204:205], v[206:207]
	s_xor_b32 s3, exec_lo, s3
                                        ; implicit-def: $vgpr204_vgpr205_vgpr206_vgpr207
	s_cbranch_execz .LBB91_365
; %bb.364:
	v_div_scale_f64 v[204:205], null, v[202:203], v[202:203], v[200:201]
	v_div_scale_f64 v[210:211], vcc_lo, v[200:201], v[202:203], v[200:201]
	s_delay_alu instid0(VALU_DEP_2) | instskip(SKIP_2) | instid1(VALU_DEP_1)
	v_rcp_f64_e32 v[206:207], v[204:205]
	s_waitcnt_depctr 0xfff
	v_fma_f64 v[208:209], -v[204:205], v[206:207], 1.0
	v_fma_f64 v[206:207], v[206:207], v[208:209], v[206:207]
	s_delay_alu instid0(VALU_DEP_1) | instskip(NEXT) | instid1(VALU_DEP_1)
	v_fma_f64 v[208:209], -v[204:205], v[206:207], 1.0
	v_fma_f64 v[206:207], v[206:207], v[208:209], v[206:207]
	s_delay_alu instid0(VALU_DEP_1) | instskip(NEXT) | instid1(VALU_DEP_1)
	v_mul_f64 v[208:209], v[210:211], v[206:207]
	v_fma_f64 v[204:205], -v[204:205], v[208:209], v[210:211]
	s_delay_alu instid0(VALU_DEP_1) | instskip(NEXT) | instid1(VALU_DEP_1)
	v_div_fmas_f64 v[204:205], v[204:205], v[206:207], v[208:209]
	v_div_fixup_f64 v[204:205], v[204:205], v[202:203], v[200:201]
	s_delay_alu instid0(VALU_DEP_1) | instskip(NEXT) | instid1(VALU_DEP_1)
	v_fma_f64 v[200:201], v[200:201], v[204:205], v[202:203]
	v_div_scale_f64 v[202:203], null, v[200:201], v[200:201], 1.0
	s_delay_alu instid0(VALU_DEP_1) | instskip(SKIP_2) | instid1(VALU_DEP_1)
	v_rcp_f64_e32 v[206:207], v[202:203]
	s_waitcnt_depctr 0xfff
	v_fma_f64 v[208:209], -v[202:203], v[206:207], 1.0
	v_fma_f64 v[206:207], v[206:207], v[208:209], v[206:207]
	s_delay_alu instid0(VALU_DEP_1) | instskip(NEXT) | instid1(VALU_DEP_1)
	v_fma_f64 v[208:209], -v[202:203], v[206:207], 1.0
	v_fma_f64 v[206:207], v[206:207], v[208:209], v[206:207]
	v_div_scale_f64 v[208:209], vcc_lo, 1.0, v[200:201], 1.0
	s_delay_alu instid0(VALU_DEP_1) | instskip(NEXT) | instid1(VALU_DEP_1)
	v_mul_f64 v[210:211], v[208:209], v[206:207]
	v_fma_f64 v[202:203], -v[202:203], v[210:211], v[208:209]
	s_delay_alu instid0(VALU_DEP_1) | instskip(NEXT) | instid1(VALU_DEP_1)
	v_div_fmas_f64 v[202:203], v[202:203], v[206:207], v[210:211]
	v_div_fixup_f64 v[206:207], v[202:203], v[200:201], 1.0
                                        ; implicit-def: $vgpr200_vgpr201
	s_delay_alu instid0(VALU_DEP_1)
	v_mul_f64 v[208:209], v[204:205], v[206:207]
	v_xor_b32_e32 v207, 0x80000000, v207
.LBB91_365:
	s_and_not1_saveexec_b32 s3, s3
	s_cbranch_execz .LBB91_367
; %bb.366:
	v_div_scale_f64 v[204:205], null, v[200:201], v[200:201], v[202:203]
	v_div_scale_f64 v[210:211], vcc_lo, v[202:203], v[200:201], v[202:203]
	s_delay_alu instid0(VALU_DEP_2) | instskip(SKIP_2) | instid1(VALU_DEP_1)
	v_rcp_f64_e32 v[206:207], v[204:205]
	s_waitcnt_depctr 0xfff
	v_fma_f64 v[208:209], -v[204:205], v[206:207], 1.0
	v_fma_f64 v[206:207], v[206:207], v[208:209], v[206:207]
	s_delay_alu instid0(VALU_DEP_1) | instskip(NEXT) | instid1(VALU_DEP_1)
	v_fma_f64 v[208:209], -v[204:205], v[206:207], 1.0
	v_fma_f64 v[206:207], v[206:207], v[208:209], v[206:207]
	s_delay_alu instid0(VALU_DEP_1) | instskip(NEXT) | instid1(VALU_DEP_1)
	v_mul_f64 v[208:209], v[210:211], v[206:207]
	v_fma_f64 v[204:205], -v[204:205], v[208:209], v[210:211]
	s_delay_alu instid0(VALU_DEP_1) | instskip(NEXT) | instid1(VALU_DEP_1)
	v_div_fmas_f64 v[204:205], v[204:205], v[206:207], v[208:209]
	v_div_fixup_f64 v[204:205], v[204:205], v[200:201], v[202:203]
	s_delay_alu instid0(VALU_DEP_1) | instskip(NEXT) | instid1(VALU_DEP_1)
	v_fma_f64 v[200:201], v[202:203], v[204:205], v[200:201]
	v_div_scale_f64 v[202:203], null, v[200:201], v[200:201], 1.0
	s_delay_alu instid0(VALU_DEP_1) | instskip(SKIP_2) | instid1(VALU_DEP_1)
	v_rcp_f64_e32 v[206:207], v[202:203]
	s_waitcnt_depctr 0xfff
	v_fma_f64 v[208:209], -v[202:203], v[206:207], 1.0
	v_fma_f64 v[206:207], v[206:207], v[208:209], v[206:207]
	s_delay_alu instid0(VALU_DEP_1) | instskip(NEXT) | instid1(VALU_DEP_1)
	v_fma_f64 v[208:209], -v[202:203], v[206:207], 1.0
	v_fma_f64 v[206:207], v[206:207], v[208:209], v[206:207]
	v_div_scale_f64 v[208:209], vcc_lo, 1.0, v[200:201], 1.0
	s_delay_alu instid0(VALU_DEP_1) | instskip(NEXT) | instid1(VALU_DEP_1)
	v_mul_f64 v[210:211], v[208:209], v[206:207]
	v_fma_f64 v[202:203], -v[202:203], v[210:211], v[208:209]
	s_delay_alu instid0(VALU_DEP_1) | instskip(NEXT) | instid1(VALU_DEP_1)
	v_div_fmas_f64 v[202:203], v[202:203], v[206:207], v[210:211]
	v_div_fixup_f64 v[208:209], v[202:203], v[200:201], 1.0
	s_delay_alu instid0(VALU_DEP_1)
	v_mul_f64 v[206:207], v[204:205], -v[208:209]
.LBB91_367:
	s_or_b32 exec_lo, exec_lo, s3
	ds_store_2addr_b64 v227, v[208:209], v[206:207] offset1:1
.LBB91_368:
	s_or_b32 exec_lo, exec_lo, s4
	s_waitcnt lgkmcnt(0)
	s_barrier
	buffer_gl0_inv
	ds_load_2addr_b64 v[200:203], v227 offset1:1
	s_mov_b32 s3, exec_lo
	v_cmpx_lt_u32_e32 40, v226
	s_cbranch_execz .LBB91_370
; %bb.369:
	s_waitcnt lgkmcnt(0)
	v_mul_f64 v[204:205], v[200:201], v[22:23]
	v_mul_f64 v[22:23], v[202:203], v[22:23]
	s_delay_alu instid0(VALU_DEP_2) | instskip(SKIP_4) | instid1(VALU_DEP_1)
	v_fma_f64 v[208:209], v[202:203], v[20:21], v[204:205]
	ds_load_2addr_b64 v[204:207], v228 offset0:82 offset1:83
	v_fma_f64 v[20:21], v[200:201], v[20:21], -v[22:23]
	s_waitcnt lgkmcnt(0)
	v_mul_f64 v[22:23], v[206:207], v[208:209]
	v_fma_f64 v[22:23], v[204:205], v[20:21], -v[22:23]
	v_mul_f64 v[204:205], v[204:205], v[208:209]
	s_delay_alu instid0(VALU_DEP_2) | instskip(NEXT) | instid1(VALU_DEP_2)
	v_add_f64 v[16:17], v[16:17], -v[22:23]
	v_fma_f64 v[204:205], v[206:207], v[20:21], v[204:205]
	s_delay_alu instid0(VALU_DEP_1) | instskip(SKIP_3) | instid1(VALU_DEP_1)
	v_add_f64 v[18:19], v[18:19], -v[204:205]
	ds_load_2addr_b64 v[204:207], v228 offset0:84 offset1:85
	s_waitcnt lgkmcnt(0)
	v_mul_f64 v[22:23], v[206:207], v[208:209]
	v_fma_f64 v[22:23], v[204:205], v[20:21], -v[22:23]
	v_mul_f64 v[204:205], v[204:205], v[208:209]
	s_delay_alu instid0(VALU_DEP_2) | instskip(NEXT) | instid1(VALU_DEP_2)
	v_add_f64 v[12:13], v[12:13], -v[22:23]
	v_fma_f64 v[204:205], v[206:207], v[20:21], v[204:205]
	s_delay_alu instid0(VALU_DEP_1) | instskip(SKIP_3) | instid1(VALU_DEP_1)
	v_add_f64 v[14:15], v[14:15], -v[204:205]
	ds_load_2addr_b64 v[204:207], v228 offset0:86 offset1:87
	;; [unrolled: 10-line block ×4, first 2 shown]
	s_waitcnt lgkmcnt(0)
	v_mul_f64 v[22:23], v[206:207], v[208:209]
	v_fma_f64 v[22:23], v[204:205], v[20:21], -v[22:23]
	v_mul_f64 v[204:205], v[204:205], v[208:209]
	s_delay_alu instid0(VALU_DEP_2) | instskip(NEXT) | instid1(VALU_DEP_2)
	v_add_f64 v[0:1], v[0:1], -v[22:23]
	v_fma_f64 v[204:205], v[206:207], v[20:21], v[204:205]
	v_dual_mov_b32 v22, v208 :: v_dual_mov_b32 v23, v209
	s_delay_alu instid0(VALU_DEP_2)
	v_add_f64 v[2:3], v[2:3], -v[204:205]
.LBB91_370:
	s_or_b32 exec_lo, exec_lo, s3
	s_delay_alu instid0(SALU_CYCLE_1)
	s_mov_b32 s4, exec_lo
	s_waitcnt lgkmcnt(0)
	s_barrier
	buffer_gl0_inv
	v_cmpx_eq_u32_e32 41, v226
	s_cbranch_execz .LBB91_377
; %bb.371:
	ds_store_2addr_b64 v227, v[16:17], v[18:19] offset1:1
	ds_store_2addr_b64 v228, v[12:13], v[14:15] offset0:84 offset1:85
	ds_store_2addr_b64 v228, v[8:9], v[10:11] offset0:86 offset1:87
	;; [unrolled: 1-line block ×4, first 2 shown]
	ds_load_2addr_b64 v[204:207], v227 offset1:1
	s_waitcnt lgkmcnt(0)
	v_cmp_neq_f64_e32 vcc_lo, 0, v[204:205]
	v_cmp_neq_f64_e64 s3, 0, v[206:207]
	s_delay_alu instid0(VALU_DEP_1) | instskip(NEXT) | instid1(SALU_CYCLE_1)
	s_or_b32 s3, vcc_lo, s3
	s_and_b32 exec_lo, exec_lo, s3
	s_cbranch_execz .LBB91_377
; %bb.372:
	v_cmp_gt_f64_e32 vcc_lo, 0, v[204:205]
	v_xor_b32_e32 v208, 0x80000000, v205
	v_xor_b32_e32 v210, 0x80000000, v207
	s_mov_b32 s3, exec_lo
                                        ; implicit-def: $vgpr212_vgpr213
	s_delay_alu instid0(VALU_DEP_2) | instskip(SKIP_4) | instid1(VALU_DEP_1)
	v_cndmask_b32_e32 v209, v205, v208, vcc_lo
	v_cndmask_b32_e32 v208, v204, v204, vcc_lo
	v_cmp_gt_f64_e32 vcc_lo, 0, v[206:207]
	v_cndmask_b32_e32 v211, v207, v210, vcc_lo
	v_cndmask_b32_e32 v210, v206, v206, vcc_lo
	v_cmpx_ngt_f64_e32 v[208:209], v[210:211]
	s_xor_b32 s3, exec_lo, s3
                                        ; implicit-def: $vgpr208_vgpr209_vgpr210_vgpr211
	s_cbranch_execz .LBB91_374
; %bb.373:
	v_div_scale_f64 v[208:209], null, v[206:207], v[206:207], v[204:205]
	v_div_scale_f64 v[214:215], vcc_lo, v[204:205], v[206:207], v[204:205]
	s_delay_alu instid0(VALU_DEP_2) | instskip(SKIP_2) | instid1(VALU_DEP_1)
	v_rcp_f64_e32 v[210:211], v[208:209]
	s_waitcnt_depctr 0xfff
	v_fma_f64 v[212:213], -v[208:209], v[210:211], 1.0
	v_fma_f64 v[210:211], v[210:211], v[212:213], v[210:211]
	s_delay_alu instid0(VALU_DEP_1) | instskip(NEXT) | instid1(VALU_DEP_1)
	v_fma_f64 v[212:213], -v[208:209], v[210:211], 1.0
	v_fma_f64 v[210:211], v[210:211], v[212:213], v[210:211]
	s_delay_alu instid0(VALU_DEP_1) | instskip(NEXT) | instid1(VALU_DEP_1)
	v_mul_f64 v[212:213], v[214:215], v[210:211]
	v_fma_f64 v[208:209], -v[208:209], v[212:213], v[214:215]
	s_delay_alu instid0(VALU_DEP_1) | instskip(NEXT) | instid1(VALU_DEP_1)
	v_div_fmas_f64 v[208:209], v[208:209], v[210:211], v[212:213]
	v_div_fixup_f64 v[208:209], v[208:209], v[206:207], v[204:205]
	s_delay_alu instid0(VALU_DEP_1) | instskip(NEXT) | instid1(VALU_DEP_1)
	v_fma_f64 v[204:205], v[204:205], v[208:209], v[206:207]
	v_div_scale_f64 v[206:207], null, v[204:205], v[204:205], 1.0
	s_delay_alu instid0(VALU_DEP_1) | instskip(SKIP_2) | instid1(VALU_DEP_1)
	v_rcp_f64_e32 v[210:211], v[206:207]
	s_waitcnt_depctr 0xfff
	v_fma_f64 v[212:213], -v[206:207], v[210:211], 1.0
	v_fma_f64 v[210:211], v[210:211], v[212:213], v[210:211]
	s_delay_alu instid0(VALU_DEP_1) | instskip(NEXT) | instid1(VALU_DEP_1)
	v_fma_f64 v[212:213], -v[206:207], v[210:211], 1.0
	v_fma_f64 v[210:211], v[210:211], v[212:213], v[210:211]
	v_div_scale_f64 v[212:213], vcc_lo, 1.0, v[204:205], 1.0
	s_delay_alu instid0(VALU_DEP_1) | instskip(NEXT) | instid1(VALU_DEP_1)
	v_mul_f64 v[214:215], v[212:213], v[210:211]
	v_fma_f64 v[206:207], -v[206:207], v[214:215], v[212:213]
	s_delay_alu instid0(VALU_DEP_1) | instskip(NEXT) | instid1(VALU_DEP_1)
	v_div_fmas_f64 v[206:207], v[206:207], v[210:211], v[214:215]
	v_div_fixup_f64 v[210:211], v[206:207], v[204:205], 1.0
                                        ; implicit-def: $vgpr204_vgpr205
	s_delay_alu instid0(VALU_DEP_1)
	v_mul_f64 v[212:213], v[208:209], v[210:211]
	v_xor_b32_e32 v211, 0x80000000, v211
.LBB91_374:
	s_and_not1_saveexec_b32 s3, s3
	s_cbranch_execz .LBB91_376
; %bb.375:
	v_div_scale_f64 v[208:209], null, v[204:205], v[204:205], v[206:207]
	v_div_scale_f64 v[214:215], vcc_lo, v[206:207], v[204:205], v[206:207]
	s_delay_alu instid0(VALU_DEP_2) | instskip(SKIP_2) | instid1(VALU_DEP_1)
	v_rcp_f64_e32 v[210:211], v[208:209]
	s_waitcnt_depctr 0xfff
	v_fma_f64 v[212:213], -v[208:209], v[210:211], 1.0
	v_fma_f64 v[210:211], v[210:211], v[212:213], v[210:211]
	s_delay_alu instid0(VALU_DEP_1) | instskip(NEXT) | instid1(VALU_DEP_1)
	v_fma_f64 v[212:213], -v[208:209], v[210:211], 1.0
	v_fma_f64 v[210:211], v[210:211], v[212:213], v[210:211]
	s_delay_alu instid0(VALU_DEP_1) | instskip(NEXT) | instid1(VALU_DEP_1)
	v_mul_f64 v[212:213], v[214:215], v[210:211]
	v_fma_f64 v[208:209], -v[208:209], v[212:213], v[214:215]
	s_delay_alu instid0(VALU_DEP_1) | instskip(NEXT) | instid1(VALU_DEP_1)
	v_div_fmas_f64 v[208:209], v[208:209], v[210:211], v[212:213]
	v_div_fixup_f64 v[208:209], v[208:209], v[204:205], v[206:207]
	s_delay_alu instid0(VALU_DEP_1) | instskip(NEXT) | instid1(VALU_DEP_1)
	v_fma_f64 v[204:205], v[206:207], v[208:209], v[204:205]
	v_div_scale_f64 v[206:207], null, v[204:205], v[204:205], 1.0
	s_delay_alu instid0(VALU_DEP_1) | instskip(SKIP_2) | instid1(VALU_DEP_1)
	v_rcp_f64_e32 v[210:211], v[206:207]
	s_waitcnt_depctr 0xfff
	v_fma_f64 v[212:213], -v[206:207], v[210:211], 1.0
	v_fma_f64 v[210:211], v[210:211], v[212:213], v[210:211]
	s_delay_alu instid0(VALU_DEP_1) | instskip(NEXT) | instid1(VALU_DEP_1)
	v_fma_f64 v[212:213], -v[206:207], v[210:211], 1.0
	v_fma_f64 v[210:211], v[210:211], v[212:213], v[210:211]
	v_div_scale_f64 v[212:213], vcc_lo, 1.0, v[204:205], 1.0
	s_delay_alu instid0(VALU_DEP_1) | instskip(NEXT) | instid1(VALU_DEP_1)
	v_mul_f64 v[214:215], v[212:213], v[210:211]
	v_fma_f64 v[206:207], -v[206:207], v[214:215], v[212:213]
	s_delay_alu instid0(VALU_DEP_1) | instskip(NEXT) | instid1(VALU_DEP_1)
	v_div_fmas_f64 v[206:207], v[206:207], v[210:211], v[214:215]
	v_div_fixup_f64 v[212:213], v[206:207], v[204:205], 1.0
	s_delay_alu instid0(VALU_DEP_1)
	v_mul_f64 v[210:211], v[208:209], -v[212:213]
.LBB91_376:
	s_or_b32 exec_lo, exec_lo, s3
	ds_store_2addr_b64 v227, v[212:213], v[210:211] offset1:1
.LBB91_377:
	s_or_b32 exec_lo, exec_lo, s4
	s_waitcnt lgkmcnt(0)
	s_barrier
	buffer_gl0_inv
	ds_load_2addr_b64 v[204:207], v227 offset1:1
	s_mov_b32 s3, exec_lo
	v_cmpx_lt_u32_e32 41, v226
	s_cbranch_execz .LBB91_379
; %bb.378:
	s_waitcnt lgkmcnt(0)
	v_mul_f64 v[208:209], v[204:205], v[18:19]
	v_mul_f64 v[18:19], v[206:207], v[18:19]
	s_delay_alu instid0(VALU_DEP_2) | instskip(SKIP_4) | instid1(VALU_DEP_1)
	v_fma_f64 v[212:213], v[206:207], v[16:17], v[208:209]
	ds_load_2addr_b64 v[208:211], v228 offset0:84 offset1:85
	v_fma_f64 v[16:17], v[204:205], v[16:17], -v[18:19]
	s_waitcnt lgkmcnt(0)
	v_mul_f64 v[18:19], v[210:211], v[212:213]
	v_fma_f64 v[18:19], v[208:209], v[16:17], -v[18:19]
	v_mul_f64 v[208:209], v[208:209], v[212:213]
	s_delay_alu instid0(VALU_DEP_2) | instskip(NEXT) | instid1(VALU_DEP_2)
	v_add_f64 v[12:13], v[12:13], -v[18:19]
	v_fma_f64 v[208:209], v[210:211], v[16:17], v[208:209]
	s_delay_alu instid0(VALU_DEP_1) | instskip(SKIP_3) | instid1(VALU_DEP_1)
	v_add_f64 v[14:15], v[14:15], -v[208:209]
	ds_load_2addr_b64 v[208:211], v228 offset0:86 offset1:87
	s_waitcnt lgkmcnt(0)
	v_mul_f64 v[18:19], v[210:211], v[212:213]
	v_fma_f64 v[18:19], v[208:209], v[16:17], -v[18:19]
	v_mul_f64 v[208:209], v[208:209], v[212:213]
	s_delay_alu instid0(VALU_DEP_2) | instskip(NEXT) | instid1(VALU_DEP_2)
	v_add_f64 v[8:9], v[8:9], -v[18:19]
	v_fma_f64 v[208:209], v[210:211], v[16:17], v[208:209]
	s_delay_alu instid0(VALU_DEP_1) | instskip(SKIP_3) | instid1(VALU_DEP_1)
	v_add_f64 v[10:11], v[10:11], -v[208:209]
	ds_load_2addr_b64 v[208:211], v228 offset0:88 offset1:89
	;; [unrolled: 10-line block ×3, first 2 shown]
	s_waitcnt lgkmcnt(0)
	v_mul_f64 v[18:19], v[210:211], v[212:213]
	v_fma_f64 v[18:19], v[208:209], v[16:17], -v[18:19]
	v_mul_f64 v[208:209], v[208:209], v[212:213]
	s_delay_alu instid0(VALU_DEP_2) | instskip(NEXT) | instid1(VALU_DEP_2)
	v_add_f64 v[0:1], v[0:1], -v[18:19]
	v_fma_f64 v[208:209], v[210:211], v[16:17], v[208:209]
	v_dual_mov_b32 v18, v212 :: v_dual_mov_b32 v19, v213
	s_delay_alu instid0(VALU_DEP_2)
	v_add_f64 v[2:3], v[2:3], -v[208:209]
.LBB91_379:
	s_or_b32 exec_lo, exec_lo, s3
	s_delay_alu instid0(SALU_CYCLE_1)
	s_mov_b32 s4, exec_lo
	s_waitcnt lgkmcnt(0)
	s_barrier
	buffer_gl0_inv
	v_cmpx_eq_u32_e32 42, v226
	s_cbranch_execz .LBB91_386
; %bb.380:
	ds_store_2addr_b64 v227, v[12:13], v[14:15] offset1:1
	ds_store_2addr_b64 v228, v[8:9], v[10:11] offset0:86 offset1:87
	ds_store_2addr_b64 v228, v[4:5], v[6:7] offset0:88 offset1:89
	;; [unrolled: 1-line block ×3, first 2 shown]
	ds_load_2addr_b64 v[208:211], v227 offset1:1
	s_waitcnt lgkmcnt(0)
	v_cmp_neq_f64_e32 vcc_lo, 0, v[208:209]
	v_cmp_neq_f64_e64 s3, 0, v[210:211]
	s_delay_alu instid0(VALU_DEP_1) | instskip(NEXT) | instid1(SALU_CYCLE_1)
	s_or_b32 s3, vcc_lo, s3
	s_and_b32 exec_lo, exec_lo, s3
	s_cbranch_execz .LBB91_386
; %bb.381:
	v_cmp_gt_f64_e32 vcc_lo, 0, v[208:209]
	v_xor_b32_e32 v212, 0x80000000, v209
	v_xor_b32_e32 v214, 0x80000000, v211
	s_mov_b32 s3, exec_lo
                                        ; implicit-def: $vgpr216_vgpr217
	s_delay_alu instid0(VALU_DEP_2) | instskip(SKIP_4) | instid1(VALU_DEP_1)
	v_cndmask_b32_e32 v213, v209, v212, vcc_lo
	v_cndmask_b32_e32 v212, v208, v208, vcc_lo
	v_cmp_gt_f64_e32 vcc_lo, 0, v[210:211]
	v_cndmask_b32_e32 v215, v211, v214, vcc_lo
	v_cndmask_b32_e32 v214, v210, v210, vcc_lo
	v_cmpx_ngt_f64_e32 v[212:213], v[214:215]
	s_xor_b32 s3, exec_lo, s3
                                        ; implicit-def: $vgpr212_vgpr213_vgpr214_vgpr215
	s_cbranch_execz .LBB91_383
; %bb.382:
	v_div_scale_f64 v[212:213], null, v[210:211], v[210:211], v[208:209]
	v_div_scale_f64 v[218:219], vcc_lo, v[208:209], v[210:211], v[208:209]
	s_delay_alu instid0(VALU_DEP_2) | instskip(SKIP_2) | instid1(VALU_DEP_1)
	v_rcp_f64_e32 v[214:215], v[212:213]
	s_waitcnt_depctr 0xfff
	v_fma_f64 v[216:217], -v[212:213], v[214:215], 1.0
	v_fma_f64 v[214:215], v[214:215], v[216:217], v[214:215]
	s_delay_alu instid0(VALU_DEP_1) | instskip(NEXT) | instid1(VALU_DEP_1)
	v_fma_f64 v[216:217], -v[212:213], v[214:215], 1.0
	v_fma_f64 v[214:215], v[214:215], v[216:217], v[214:215]
	s_delay_alu instid0(VALU_DEP_1) | instskip(NEXT) | instid1(VALU_DEP_1)
	v_mul_f64 v[216:217], v[218:219], v[214:215]
	v_fma_f64 v[212:213], -v[212:213], v[216:217], v[218:219]
	s_delay_alu instid0(VALU_DEP_1) | instskip(NEXT) | instid1(VALU_DEP_1)
	v_div_fmas_f64 v[212:213], v[212:213], v[214:215], v[216:217]
	v_div_fixup_f64 v[212:213], v[212:213], v[210:211], v[208:209]
	s_delay_alu instid0(VALU_DEP_1) | instskip(NEXT) | instid1(VALU_DEP_1)
	v_fma_f64 v[208:209], v[208:209], v[212:213], v[210:211]
	v_div_scale_f64 v[210:211], null, v[208:209], v[208:209], 1.0
	s_delay_alu instid0(VALU_DEP_1) | instskip(SKIP_2) | instid1(VALU_DEP_1)
	v_rcp_f64_e32 v[214:215], v[210:211]
	s_waitcnt_depctr 0xfff
	v_fma_f64 v[216:217], -v[210:211], v[214:215], 1.0
	v_fma_f64 v[214:215], v[214:215], v[216:217], v[214:215]
	s_delay_alu instid0(VALU_DEP_1) | instskip(NEXT) | instid1(VALU_DEP_1)
	v_fma_f64 v[216:217], -v[210:211], v[214:215], 1.0
	v_fma_f64 v[214:215], v[214:215], v[216:217], v[214:215]
	v_div_scale_f64 v[216:217], vcc_lo, 1.0, v[208:209], 1.0
	s_delay_alu instid0(VALU_DEP_1) | instskip(NEXT) | instid1(VALU_DEP_1)
	v_mul_f64 v[218:219], v[216:217], v[214:215]
	v_fma_f64 v[210:211], -v[210:211], v[218:219], v[216:217]
	s_delay_alu instid0(VALU_DEP_1) | instskip(NEXT) | instid1(VALU_DEP_1)
	v_div_fmas_f64 v[210:211], v[210:211], v[214:215], v[218:219]
	v_div_fixup_f64 v[214:215], v[210:211], v[208:209], 1.0
                                        ; implicit-def: $vgpr208_vgpr209
	s_delay_alu instid0(VALU_DEP_1)
	v_mul_f64 v[216:217], v[212:213], v[214:215]
	v_xor_b32_e32 v215, 0x80000000, v215
.LBB91_383:
	s_and_not1_saveexec_b32 s3, s3
	s_cbranch_execz .LBB91_385
; %bb.384:
	v_div_scale_f64 v[212:213], null, v[208:209], v[208:209], v[210:211]
	v_div_scale_f64 v[218:219], vcc_lo, v[210:211], v[208:209], v[210:211]
	s_delay_alu instid0(VALU_DEP_2) | instskip(SKIP_2) | instid1(VALU_DEP_1)
	v_rcp_f64_e32 v[214:215], v[212:213]
	s_waitcnt_depctr 0xfff
	v_fma_f64 v[216:217], -v[212:213], v[214:215], 1.0
	v_fma_f64 v[214:215], v[214:215], v[216:217], v[214:215]
	s_delay_alu instid0(VALU_DEP_1) | instskip(NEXT) | instid1(VALU_DEP_1)
	v_fma_f64 v[216:217], -v[212:213], v[214:215], 1.0
	v_fma_f64 v[214:215], v[214:215], v[216:217], v[214:215]
	s_delay_alu instid0(VALU_DEP_1) | instskip(NEXT) | instid1(VALU_DEP_1)
	v_mul_f64 v[216:217], v[218:219], v[214:215]
	v_fma_f64 v[212:213], -v[212:213], v[216:217], v[218:219]
	s_delay_alu instid0(VALU_DEP_1) | instskip(NEXT) | instid1(VALU_DEP_1)
	v_div_fmas_f64 v[212:213], v[212:213], v[214:215], v[216:217]
	v_div_fixup_f64 v[212:213], v[212:213], v[208:209], v[210:211]
	s_delay_alu instid0(VALU_DEP_1) | instskip(NEXT) | instid1(VALU_DEP_1)
	v_fma_f64 v[208:209], v[210:211], v[212:213], v[208:209]
	v_div_scale_f64 v[210:211], null, v[208:209], v[208:209], 1.0
	s_delay_alu instid0(VALU_DEP_1) | instskip(SKIP_2) | instid1(VALU_DEP_1)
	v_rcp_f64_e32 v[214:215], v[210:211]
	s_waitcnt_depctr 0xfff
	v_fma_f64 v[216:217], -v[210:211], v[214:215], 1.0
	v_fma_f64 v[214:215], v[214:215], v[216:217], v[214:215]
	s_delay_alu instid0(VALU_DEP_1) | instskip(NEXT) | instid1(VALU_DEP_1)
	v_fma_f64 v[216:217], -v[210:211], v[214:215], 1.0
	v_fma_f64 v[214:215], v[214:215], v[216:217], v[214:215]
	v_div_scale_f64 v[216:217], vcc_lo, 1.0, v[208:209], 1.0
	s_delay_alu instid0(VALU_DEP_1) | instskip(NEXT) | instid1(VALU_DEP_1)
	v_mul_f64 v[218:219], v[216:217], v[214:215]
	v_fma_f64 v[210:211], -v[210:211], v[218:219], v[216:217]
	s_delay_alu instid0(VALU_DEP_1) | instskip(NEXT) | instid1(VALU_DEP_1)
	v_div_fmas_f64 v[210:211], v[210:211], v[214:215], v[218:219]
	v_div_fixup_f64 v[216:217], v[210:211], v[208:209], 1.0
	s_delay_alu instid0(VALU_DEP_1)
	v_mul_f64 v[214:215], v[212:213], -v[216:217]
.LBB91_385:
	s_or_b32 exec_lo, exec_lo, s3
	ds_store_2addr_b64 v227, v[216:217], v[214:215] offset1:1
.LBB91_386:
	s_or_b32 exec_lo, exec_lo, s4
	s_waitcnt lgkmcnt(0)
	s_barrier
	buffer_gl0_inv
	ds_load_2addr_b64 v[208:211], v227 offset1:1
	s_mov_b32 s3, exec_lo
	v_cmpx_lt_u32_e32 42, v226
	s_cbranch_execz .LBB91_388
; %bb.387:
	s_waitcnt lgkmcnt(0)
	v_mul_f64 v[212:213], v[208:209], v[14:15]
	v_mul_f64 v[14:15], v[210:211], v[14:15]
	s_delay_alu instid0(VALU_DEP_2) | instskip(SKIP_4) | instid1(VALU_DEP_1)
	v_fma_f64 v[216:217], v[210:211], v[12:13], v[212:213]
	ds_load_2addr_b64 v[212:215], v228 offset0:86 offset1:87
	v_fma_f64 v[12:13], v[208:209], v[12:13], -v[14:15]
	s_waitcnt lgkmcnt(0)
	v_mul_f64 v[14:15], v[214:215], v[216:217]
	v_fma_f64 v[14:15], v[212:213], v[12:13], -v[14:15]
	v_mul_f64 v[212:213], v[212:213], v[216:217]
	s_delay_alu instid0(VALU_DEP_2) | instskip(NEXT) | instid1(VALU_DEP_2)
	v_add_f64 v[8:9], v[8:9], -v[14:15]
	v_fma_f64 v[212:213], v[214:215], v[12:13], v[212:213]
	s_delay_alu instid0(VALU_DEP_1) | instskip(SKIP_3) | instid1(VALU_DEP_1)
	v_add_f64 v[10:11], v[10:11], -v[212:213]
	ds_load_2addr_b64 v[212:215], v228 offset0:88 offset1:89
	s_waitcnt lgkmcnt(0)
	v_mul_f64 v[14:15], v[214:215], v[216:217]
	v_fma_f64 v[14:15], v[212:213], v[12:13], -v[14:15]
	v_mul_f64 v[212:213], v[212:213], v[216:217]
	s_delay_alu instid0(VALU_DEP_2) | instskip(NEXT) | instid1(VALU_DEP_2)
	v_add_f64 v[4:5], v[4:5], -v[14:15]
	v_fma_f64 v[212:213], v[214:215], v[12:13], v[212:213]
	s_delay_alu instid0(VALU_DEP_1) | instskip(SKIP_3) | instid1(VALU_DEP_1)
	v_add_f64 v[6:7], v[6:7], -v[212:213]
	ds_load_2addr_b64 v[212:215], v228 offset0:90 offset1:91
	s_waitcnt lgkmcnt(0)
	v_mul_f64 v[14:15], v[214:215], v[216:217]
	v_fma_f64 v[14:15], v[212:213], v[12:13], -v[14:15]
	v_mul_f64 v[212:213], v[212:213], v[216:217]
	s_delay_alu instid0(VALU_DEP_2) | instskip(NEXT) | instid1(VALU_DEP_2)
	v_add_f64 v[0:1], v[0:1], -v[14:15]
	v_fma_f64 v[212:213], v[214:215], v[12:13], v[212:213]
	v_dual_mov_b32 v14, v216 :: v_dual_mov_b32 v15, v217
	s_delay_alu instid0(VALU_DEP_2)
	v_add_f64 v[2:3], v[2:3], -v[212:213]
.LBB91_388:
	s_or_b32 exec_lo, exec_lo, s3
	s_delay_alu instid0(SALU_CYCLE_1)
	s_mov_b32 s4, exec_lo
	s_waitcnt lgkmcnt(0)
	s_barrier
	buffer_gl0_inv
	v_cmpx_eq_u32_e32 43, v226
	s_cbranch_execz .LBB91_395
; %bb.389:
	ds_store_2addr_b64 v227, v[8:9], v[10:11] offset1:1
	ds_store_2addr_b64 v228, v[4:5], v[6:7] offset0:88 offset1:89
	ds_store_2addr_b64 v228, v[0:1], v[2:3] offset0:90 offset1:91
	ds_load_2addr_b64 v[212:215], v227 offset1:1
	s_waitcnt lgkmcnt(0)
	v_cmp_neq_f64_e32 vcc_lo, 0, v[212:213]
	v_cmp_neq_f64_e64 s3, 0, v[214:215]
	s_delay_alu instid0(VALU_DEP_1) | instskip(NEXT) | instid1(SALU_CYCLE_1)
	s_or_b32 s3, vcc_lo, s3
	s_and_b32 exec_lo, exec_lo, s3
	s_cbranch_execz .LBB91_395
; %bb.390:
	v_cmp_gt_f64_e32 vcc_lo, 0, v[212:213]
	v_xor_b32_e32 v216, 0x80000000, v213
	v_xor_b32_e32 v218, 0x80000000, v215
	s_mov_b32 s3, exec_lo
                                        ; implicit-def: $vgpr220_vgpr221
	s_delay_alu instid0(VALU_DEP_2) | instskip(SKIP_4) | instid1(VALU_DEP_1)
	v_cndmask_b32_e32 v217, v213, v216, vcc_lo
	v_cndmask_b32_e32 v216, v212, v212, vcc_lo
	v_cmp_gt_f64_e32 vcc_lo, 0, v[214:215]
	v_cndmask_b32_e32 v219, v215, v218, vcc_lo
	v_cndmask_b32_e32 v218, v214, v214, vcc_lo
	v_cmpx_ngt_f64_e32 v[216:217], v[218:219]
	s_xor_b32 s3, exec_lo, s3
                                        ; implicit-def: $vgpr216_vgpr217_vgpr218_vgpr219
	s_cbranch_execz .LBB91_392
; %bb.391:
	v_div_scale_f64 v[216:217], null, v[214:215], v[214:215], v[212:213]
	v_div_scale_f64 v[222:223], vcc_lo, v[212:213], v[214:215], v[212:213]
	s_delay_alu instid0(VALU_DEP_2) | instskip(SKIP_2) | instid1(VALU_DEP_1)
	v_rcp_f64_e32 v[218:219], v[216:217]
	s_waitcnt_depctr 0xfff
	v_fma_f64 v[220:221], -v[216:217], v[218:219], 1.0
	v_fma_f64 v[218:219], v[218:219], v[220:221], v[218:219]
	s_delay_alu instid0(VALU_DEP_1) | instskip(NEXT) | instid1(VALU_DEP_1)
	v_fma_f64 v[220:221], -v[216:217], v[218:219], 1.0
	v_fma_f64 v[218:219], v[218:219], v[220:221], v[218:219]
	s_delay_alu instid0(VALU_DEP_1) | instskip(NEXT) | instid1(VALU_DEP_1)
	v_mul_f64 v[220:221], v[222:223], v[218:219]
	v_fma_f64 v[216:217], -v[216:217], v[220:221], v[222:223]
	s_delay_alu instid0(VALU_DEP_1) | instskip(NEXT) | instid1(VALU_DEP_1)
	v_div_fmas_f64 v[216:217], v[216:217], v[218:219], v[220:221]
	v_div_fixup_f64 v[216:217], v[216:217], v[214:215], v[212:213]
	s_delay_alu instid0(VALU_DEP_1) | instskip(NEXT) | instid1(VALU_DEP_1)
	v_fma_f64 v[212:213], v[212:213], v[216:217], v[214:215]
	v_div_scale_f64 v[214:215], null, v[212:213], v[212:213], 1.0
	s_delay_alu instid0(VALU_DEP_1) | instskip(SKIP_2) | instid1(VALU_DEP_1)
	v_rcp_f64_e32 v[218:219], v[214:215]
	s_waitcnt_depctr 0xfff
	v_fma_f64 v[220:221], -v[214:215], v[218:219], 1.0
	v_fma_f64 v[218:219], v[218:219], v[220:221], v[218:219]
	s_delay_alu instid0(VALU_DEP_1) | instskip(NEXT) | instid1(VALU_DEP_1)
	v_fma_f64 v[220:221], -v[214:215], v[218:219], 1.0
	v_fma_f64 v[218:219], v[218:219], v[220:221], v[218:219]
	v_div_scale_f64 v[220:221], vcc_lo, 1.0, v[212:213], 1.0
	s_delay_alu instid0(VALU_DEP_1) | instskip(NEXT) | instid1(VALU_DEP_1)
	v_mul_f64 v[222:223], v[220:221], v[218:219]
	v_fma_f64 v[214:215], -v[214:215], v[222:223], v[220:221]
	s_delay_alu instid0(VALU_DEP_1) | instskip(NEXT) | instid1(VALU_DEP_1)
	v_div_fmas_f64 v[214:215], v[214:215], v[218:219], v[222:223]
	v_div_fixup_f64 v[218:219], v[214:215], v[212:213], 1.0
                                        ; implicit-def: $vgpr212_vgpr213
	s_delay_alu instid0(VALU_DEP_1)
	v_mul_f64 v[220:221], v[216:217], v[218:219]
	v_xor_b32_e32 v219, 0x80000000, v219
.LBB91_392:
	s_and_not1_saveexec_b32 s3, s3
	s_cbranch_execz .LBB91_394
; %bb.393:
	v_div_scale_f64 v[216:217], null, v[212:213], v[212:213], v[214:215]
	v_div_scale_f64 v[222:223], vcc_lo, v[214:215], v[212:213], v[214:215]
	s_delay_alu instid0(VALU_DEP_2) | instskip(SKIP_2) | instid1(VALU_DEP_1)
	v_rcp_f64_e32 v[218:219], v[216:217]
	s_waitcnt_depctr 0xfff
	v_fma_f64 v[220:221], -v[216:217], v[218:219], 1.0
	v_fma_f64 v[218:219], v[218:219], v[220:221], v[218:219]
	s_delay_alu instid0(VALU_DEP_1) | instskip(NEXT) | instid1(VALU_DEP_1)
	v_fma_f64 v[220:221], -v[216:217], v[218:219], 1.0
	v_fma_f64 v[218:219], v[218:219], v[220:221], v[218:219]
	s_delay_alu instid0(VALU_DEP_1) | instskip(NEXT) | instid1(VALU_DEP_1)
	v_mul_f64 v[220:221], v[222:223], v[218:219]
	v_fma_f64 v[216:217], -v[216:217], v[220:221], v[222:223]
	s_delay_alu instid0(VALU_DEP_1) | instskip(NEXT) | instid1(VALU_DEP_1)
	v_div_fmas_f64 v[216:217], v[216:217], v[218:219], v[220:221]
	v_div_fixup_f64 v[216:217], v[216:217], v[212:213], v[214:215]
	s_delay_alu instid0(VALU_DEP_1) | instskip(NEXT) | instid1(VALU_DEP_1)
	v_fma_f64 v[212:213], v[214:215], v[216:217], v[212:213]
	v_div_scale_f64 v[214:215], null, v[212:213], v[212:213], 1.0
	s_delay_alu instid0(VALU_DEP_1) | instskip(SKIP_2) | instid1(VALU_DEP_1)
	v_rcp_f64_e32 v[218:219], v[214:215]
	s_waitcnt_depctr 0xfff
	v_fma_f64 v[220:221], -v[214:215], v[218:219], 1.0
	v_fma_f64 v[218:219], v[218:219], v[220:221], v[218:219]
	s_delay_alu instid0(VALU_DEP_1) | instskip(NEXT) | instid1(VALU_DEP_1)
	v_fma_f64 v[220:221], -v[214:215], v[218:219], 1.0
	v_fma_f64 v[218:219], v[218:219], v[220:221], v[218:219]
	v_div_scale_f64 v[220:221], vcc_lo, 1.0, v[212:213], 1.0
	s_delay_alu instid0(VALU_DEP_1) | instskip(NEXT) | instid1(VALU_DEP_1)
	v_mul_f64 v[222:223], v[220:221], v[218:219]
	v_fma_f64 v[214:215], -v[214:215], v[222:223], v[220:221]
	s_delay_alu instid0(VALU_DEP_1) | instskip(NEXT) | instid1(VALU_DEP_1)
	v_div_fmas_f64 v[214:215], v[214:215], v[218:219], v[222:223]
	v_div_fixup_f64 v[220:221], v[214:215], v[212:213], 1.0
	s_delay_alu instid0(VALU_DEP_1)
	v_mul_f64 v[218:219], v[216:217], -v[220:221]
.LBB91_394:
	s_or_b32 exec_lo, exec_lo, s3
	ds_store_2addr_b64 v227, v[220:221], v[218:219] offset1:1
.LBB91_395:
	s_or_b32 exec_lo, exec_lo, s4
	s_waitcnt lgkmcnt(0)
	s_barrier
	buffer_gl0_inv
	ds_load_2addr_b64 v[212:215], v227 offset1:1
	s_mov_b32 s3, exec_lo
	v_cmpx_lt_u32_e32 43, v226
	s_cbranch_execz .LBB91_397
; %bb.396:
	s_waitcnt lgkmcnt(0)
	v_mul_f64 v[216:217], v[212:213], v[10:11]
	v_mul_f64 v[10:11], v[214:215], v[10:11]
	s_delay_alu instid0(VALU_DEP_2) | instskip(SKIP_4) | instid1(VALU_DEP_1)
	v_fma_f64 v[220:221], v[214:215], v[8:9], v[216:217]
	ds_load_2addr_b64 v[216:219], v228 offset0:88 offset1:89
	v_fma_f64 v[8:9], v[212:213], v[8:9], -v[10:11]
	s_waitcnt lgkmcnt(0)
	v_mul_f64 v[10:11], v[218:219], v[220:221]
	v_fma_f64 v[10:11], v[216:217], v[8:9], -v[10:11]
	v_mul_f64 v[216:217], v[216:217], v[220:221]
	s_delay_alu instid0(VALU_DEP_2) | instskip(NEXT) | instid1(VALU_DEP_2)
	v_add_f64 v[4:5], v[4:5], -v[10:11]
	v_fma_f64 v[216:217], v[218:219], v[8:9], v[216:217]
	s_delay_alu instid0(VALU_DEP_1) | instskip(SKIP_3) | instid1(VALU_DEP_1)
	v_add_f64 v[6:7], v[6:7], -v[216:217]
	ds_load_2addr_b64 v[216:219], v228 offset0:90 offset1:91
	s_waitcnt lgkmcnt(0)
	v_mul_f64 v[10:11], v[218:219], v[220:221]
	v_fma_f64 v[10:11], v[216:217], v[8:9], -v[10:11]
	v_mul_f64 v[216:217], v[216:217], v[220:221]
	s_delay_alu instid0(VALU_DEP_2) | instskip(NEXT) | instid1(VALU_DEP_2)
	v_add_f64 v[0:1], v[0:1], -v[10:11]
	v_fma_f64 v[216:217], v[218:219], v[8:9], v[216:217]
	v_dual_mov_b32 v10, v220 :: v_dual_mov_b32 v11, v221
	s_delay_alu instid0(VALU_DEP_2)
	v_add_f64 v[2:3], v[2:3], -v[216:217]
.LBB91_397:
	s_or_b32 exec_lo, exec_lo, s3
	s_delay_alu instid0(SALU_CYCLE_1)
	s_mov_b32 s4, exec_lo
	s_waitcnt lgkmcnt(0)
	s_barrier
	buffer_gl0_inv
	v_cmpx_eq_u32_e32 44, v226
	s_cbranch_execz .LBB91_404
; %bb.398:
	ds_store_2addr_b64 v227, v[4:5], v[6:7] offset1:1
	ds_store_2addr_b64 v228, v[0:1], v[2:3] offset0:90 offset1:91
	ds_load_2addr_b64 v[216:219], v227 offset1:1
	s_waitcnt lgkmcnt(0)
	v_cmp_neq_f64_e32 vcc_lo, 0, v[216:217]
	v_cmp_neq_f64_e64 s3, 0, v[218:219]
	s_delay_alu instid0(VALU_DEP_1) | instskip(NEXT) | instid1(SALU_CYCLE_1)
	s_or_b32 s3, vcc_lo, s3
	s_and_b32 exec_lo, exec_lo, s3
	s_cbranch_execz .LBB91_404
; %bb.399:
	v_cmp_gt_f64_e32 vcc_lo, 0, v[216:217]
	v_xor_b32_e32 v220, 0x80000000, v217
	v_xor_b32_e32 v222, 0x80000000, v219
	s_mov_b32 s3, exec_lo
                                        ; implicit-def: $vgpr224_vgpr225
	s_delay_alu instid0(VALU_DEP_2) | instskip(SKIP_4) | instid1(VALU_DEP_1)
	v_cndmask_b32_e32 v221, v217, v220, vcc_lo
	v_cndmask_b32_e32 v220, v216, v216, vcc_lo
	v_cmp_gt_f64_e32 vcc_lo, 0, v[218:219]
	v_cndmask_b32_e32 v223, v219, v222, vcc_lo
	v_cndmask_b32_e32 v222, v218, v218, vcc_lo
	v_cmpx_ngt_f64_e32 v[220:221], v[222:223]
	s_xor_b32 s3, exec_lo, s3
                                        ; implicit-def: $vgpr220_vgpr221_vgpr222_vgpr223
	s_cbranch_execz .LBB91_401
; %bb.400:
	v_div_scale_f64 v[220:221], null, v[218:219], v[218:219], v[216:217]
	v_dual_mov_b32 v184, v229 :: v_dual_mov_b32 v185, v230
	v_div_scale_f64 v[229:230], vcc_lo, v[216:217], v[218:219], v[216:217]
	s_delay_alu instid0(VALU_DEP_3) | instskip(SKIP_2) | instid1(VALU_DEP_1)
	v_rcp_f64_e32 v[222:223], v[220:221]
	s_waitcnt_depctr 0xfff
	v_fma_f64 v[224:225], -v[220:221], v[222:223], 1.0
	v_fma_f64 v[222:223], v[222:223], v[224:225], v[222:223]
	s_delay_alu instid0(VALU_DEP_1) | instskip(NEXT) | instid1(VALU_DEP_1)
	v_fma_f64 v[224:225], -v[220:221], v[222:223], 1.0
	v_fma_f64 v[222:223], v[222:223], v[224:225], v[222:223]
	s_delay_alu instid0(VALU_DEP_1) | instskip(NEXT) | instid1(VALU_DEP_1)
	v_mul_f64 v[224:225], v[229:230], v[222:223]
	v_fma_f64 v[220:221], -v[220:221], v[224:225], v[229:230]
	s_delay_alu instid0(VALU_DEP_1) | instskip(NEXT) | instid1(VALU_DEP_1)
	v_div_fmas_f64 v[220:221], v[220:221], v[222:223], v[224:225]
	v_div_fixup_f64 v[220:221], v[220:221], v[218:219], v[216:217]
	s_delay_alu instid0(VALU_DEP_1) | instskip(NEXT) | instid1(VALU_DEP_1)
	v_fma_f64 v[216:217], v[216:217], v[220:221], v[218:219]
	v_div_scale_f64 v[218:219], null, v[216:217], v[216:217], 1.0
	s_delay_alu instid0(VALU_DEP_1) | instskip(SKIP_2) | instid1(VALU_DEP_1)
	v_rcp_f64_e32 v[222:223], v[218:219]
	s_waitcnt_depctr 0xfff
	v_fma_f64 v[224:225], -v[218:219], v[222:223], 1.0
	v_fma_f64 v[222:223], v[222:223], v[224:225], v[222:223]
	s_delay_alu instid0(VALU_DEP_1) | instskip(NEXT) | instid1(VALU_DEP_1)
	v_fma_f64 v[224:225], -v[218:219], v[222:223], 1.0
	v_fma_f64 v[222:223], v[222:223], v[224:225], v[222:223]
	v_div_scale_f64 v[224:225], vcc_lo, 1.0, v[216:217], 1.0
	s_delay_alu instid0(VALU_DEP_1) | instskip(NEXT) | instid1(VALU_DEP_1)
	v_mul_f64 v[229:230], v[224:225], v[222:223]
	v_fma_f64 v[218:219], -v[218:219], v[229:230], v[224:225]
	s_delay_alu instid0(VALU_DEP_1) | instskip(SKIP_1) | instid1(VALU_DEP_2)
	v_div_fmas_f64 v[218:219], v[218:219], v[222:223], v[229:230]
	v_dual_mov_b32 v230, v185 :: v_dual_mov_b32 v229, v184
	v_div_fixup_f64 v[222:223], v[218:219], v[216:217], 1.0
                                        ; implicit-def: $vgpr216_vgpr217
	s_delay_alu instid0(VALU_DEP_1)
	v_mul_f64 v[224:225], v[220:221], v[222:223]
	v_xor_b32_e32 v223, 0x80000000, v223
.LBB91_401:
	s_and_not1_saveexec_b32 s3, s3
	s_cbranch_execz .LBB91_403
; %bb.402:
	v_div_scale_f64 v[220:221], null, v[216:217], v[216:217], v[218:219]
	v_dual_mov_b32 v184, v229 :: v_dual_mov_b32 v185, v230
	v_div_scale_f64 v[229:230], vcc_lo, v[218:219], v[216:217], v[218:219]
	s_delay_alu instid0(VALU_DEP_3) | instskip(SKIP_2) | instid1(VALU_DEP_1)
	v_rcp_f64_e32 v[222:223], v[220:221]
	s_waitcnt_depctr 0xfff
	v_fma_f64 v[224:225], -v[220:221], v[222:223], 1.0
	v_fma_f64 v[222:223], v[222:223], v[224:225], v[222:223]
	s_delay_alu instid0(VALU_DEP_1) | instskip(NEXT) | instid1(VALU_DEP_1)
	v_fma_f64 v[224:225], -v[220:221], v[222:223], 1.0
	v_fma_f64 v[222:223], v[222:223], v[224:225], v[222:223]
	s_delay_alu instid0(VALU_DEP_1) | instskip(NEXT) | instid1(VALU_DEP_1)
	v_mul_f64 v[224:225], v[229:230], v[222:223]
	v_fma_f64 v[220:221], -v[220:221], v[224:225], v[229:230]
	s_delay_alu instid0(VALU_DEP_1) | instskip(NEXT) | instid1(VALU_DEP_1)
	v_div_fmas_f64 v[220:221], v[220:221], v[222:223], v[224:225]
	v_div_fixup_f64 v[220:221], v[220:221], v[216:217], v[218:219]
	s_delay_alu instid0(VALU_DEP_1) | instskip(NEXT) | instid1(VALU_DEP_1)
	v_fma_f64 v[216:217], v[218:219], v[220:221], v[216:217]
	v_div_scale_f64 v[218:219], null, v[216:217], v[216:217], 1.0
	s_delay_alu instid0(VALU_DEP_1) | instskip(SKIP_2) | instid1(VALU_DEP_1)
	v_rcp_f64_e32 v[222:223], v[218:219]
	s_waitcnt_depctr 0xfff
	v_fma_f64 v[224:225], -v[218:219], v[222:223], 1.0
	v_fma_f64 v[222:223], v[222:223], v[224:225], v[222:223]
	s_delay_alu instid0(VALU_DEP_1) | instskip(NEXT) | instid1(VALU_DEP_1)
	v_fma_f64 v[224:225], -v[218:219], v[222:223], 1.0
	v_fma_f64 v[222:223], v[222:223], v[224:225], v[222:223]
	v_div_scale_f64 v[224:225], vcc_lo, 1.0, v[216:217], 1.0
	s_delay_alu instid0(VALU_DEP_1) | instskip(NEXT) | instid1(VALU_DEP_1)
	v_mul_f64 v[229:230], v[224:225], v[222:223]
	v_fma_f64 v[218:219], -v[218:219], v[229:230], v[224:225]
	s_delay_alu instid0(VALU_DEP_1) | instskip(SKIP_1) | instid1(VALU_DEP_2)
	v_div_fmas_f64 v[218:219], v[218:219], v[222:223], v[229:230]
	v_dual_mov_b32 v230, v185 :: v_dual_mov_b32 v229, v184
	v_div_fixup_f64 v[224:225], v[218:219], v[216:217], 1.0
	s_delay_alu instid0(VALU_DEP_1)
	v_mul_f64 v[222:223], v[220:221], -v[224:225]
.LBB91_403:
	s_or_b32 exec_lo, exec_lo, s3
	ds_store_2addr_b64 v227, v[224:225], v[222:223] offset1:1
.LBB91_404:
	s_or_b32 exec_lo, exec_lo, s4
	s_waitcnt lgkmcnt(0)
	s_barrier
	buffer_gl0_inv
	ds_load_2addr_b64 v[216:219], v227 offset1:1
	s_mov_b32 s3, exec_lo
	v_cmpx_lt_u32_e32 44, v226
	s_cbranch_execz .LBB91_406
; %bb.405:
	s_waitcnt lgkmcnt(0)
	v_mul_f64 v[220:221], v[216:217], v[6:7]
	v_mul_f64 v[6:7], v[218:219], v[6:7]
	s_delay_alu instid0(VALU_DEP_2) | instskip(SKIP_4) | instid1(VALU_DEP_1)
	v_fma_f64 v[224:225], v[218:219], v[4:5], v[220:221]
	ds_load_2addr_b64 v[220:223], v228 offset0:90 offset1:91
	v_fma_f64 v[4:5], v[216:217], v[4:5], -v[6:7]
	s_waitcnt lgkmcnt(0)
	v_mul_f64 v[6:7], v[222:223], v[224:225]
	v_fma_f64 v[6:7], v[220:221], v[4:5], -v[6:7]
	v_mul_f64 v[220:221], v[220:221], v[224:225]
	s_delay_alu instid0(VALU_DEP_2) | instskip(NEXT) | instid1(VALU_DEP_2)
	v_add_f64 v[0:1], v[0:1], -v[6:7]
	v_fma_f64 v[220:221], v[222:223], v[4:5], v[220:221]
	v_dual_mov_b32 v6, v224 :: v_dual_mov_b32 v7, v225
	s_delay_alu instid0(VALU_DEP_2)
	v_add_f64 v[2:3], v[2:3], -v[220:221]
.LBB91_406:
	s_or_b32 exec_lo, exec_lo, s3
	s_delay_alu instid0(SALU_CYCLE_1)
	s_mov_b32 s4, exec_lo
	s_waitcnt lgkmcnt(0)
	s_barrier
	buffer_gl0_inv
	v_cmpx_eq_u32_e32 45, v226
	s_cbranch_execz .LBB91_413
; %bb.407:
	v_cmp_neq_f64_e32 vcc_lo, 0, v[0:1]
	v_cmp_neq_f64_e64 s3, 0, v[2:3]
	ds_store_2addr_b64 v227, v[0:1], v[2:3] offset1:1
	s_or_b32 s3, vcc_lo, s3
	s_delay_alu instid0(SALU_CYCLE_1)
	s_and_b32 exec_lo, exec_lo, s3
	s_cbranch_execz .LBB91_413
; %bb.408:
	v_cmp_gt_f64_e32 vcc_lo, 0, v[0:1]
	v_xor_b32_e32 v220, 0x80000000, v1
	v_xor_b32_e32 v222, 0x80000000, v3
	s_mov_b32 s3, exec_lo
                                        ; implicit-def: $vgpr224_vgpr225
	s_delay_alu instid0(VALU_DEP_2) | instskip(SKIP_4) | instid1(VALU_DEP_1)
	v_cndmask_b32_e32 v221, v1, v220, vcc_lo
	v_cndmask_b32_e32 v220, v0, v0, vcc_lo
	v_cmp_gt_f64_e32 vcc_lo, 0, v[2:3]
	v_cndmask_b32_e32 v223, v3, v222, vcc_lo
	v_cndmask_b32_e32 v222, v2, v2, vcc_lo
	v_cmpx_ngt_f64_e32 v[220:221], v[222:223]
	s_xor_b32 s3, exec_lo, s3
                                        ; implicit-def: $vgpr220_vgpr221_vgpr222_vgpr223
	s_cbranch_execz .LBB91_410
; %bb.409:
	v_div_scale_f64 v[220:221], null, v[2:3], v[2:3], v[0:1]
	v_dual_mov_b32 v186, v229 :: v_dual_mov_b32 v187, v230
	v_div_scale_f64 v[228:229], vcc_lo, v[0:1], v[2:3], v[0:1]
	v_dual_mov_b32 v184, v253 :: v_dual_mov_b32 v185, v254
	v_dual_mov_b32 v255, v252 :: v_dual_mov_b32 v254, v251
	;; [unrolled: 1-line block ×12, first 2 shown]
	v_rcp_f64_e32 v[222:223], v[220:221]
	s_waitcnt_depctr 0xfff
	v_fma_f64 v[224:225], -v[220:221], v[222:223], 1.0
	s_delay_alu instid0(VALU_DEP_1) | instskip(NEXT) | instid1(VALU_DEP_1)
	v_fma_f64 v[222:223], v[222:223], v[224:225], v[222:223]
	v_fma_f64 v[224:225], -v[220:221], v[222:223], 1.0
	s_delay_alu instid0(VALU_DEP_1) | instskip(NEXT) | instid1(VALU_DEP_1)
	v_fma_f64 v[222:223], v[222:223], v[224:225], v[222:223]
	v_mul_f64 v[224:225], v[228:229], v[222:223]
	s_delay_alu instid0(VALU_DEP_1) | instskip(NEXT) | instid1(VALU_DEP_1)
	v_fma_f64 v[220:221], -v[220:221], v[224:225], v[228:229]
	v_div_fmas_f64 v[220:221], v[220:221], v[222:223], v[224:225]
	s_delay_alu instid0(VALU_DEP_1) | instskip(NEXT) | instid1(VALU_DEP_1)
	v_div_fixup_f64 v[220:221], v[220:221], v[2:3], v[0:1]
	v_fma_f64 v[222:223], v[0:1], v[220:221], v[2:3]
	s_delay_alu instid0(VALU_DEP_1) | instskip(NEXT) | instid1(VALU_DEP_1)
	v_div_scale_f64 v[224:225], null, v[222:223], v[222:223], 1.0
	v_rcp_f64_e32 v[228:229], v[224:225]
	s_waitcnt_depctr 0xfff
	v_fma_f64 v[230:231], -v[224:225], v[228:229], 1.0
	s_delay_alu instid0(VALU_DEP_1) | instskip(NEXT) | instid1(VALU_DEP_1)
	v_fma_f64 v[228:229], v[228:229], v[230:231], v[228:229]
	v_fma_f64 v[230:231], -v[224:225], v[228:229], 1.0
	s_delay_alu instid0(VALU_DEP_1) | instskip(SKIP_1) | instid1(VALU_DEP_1)
	v_fma_f64 v[228:229], v[228:229], v[230:231], v[228:229]
	v_div_scale_f64 v[230:231], vcc_lo, 1.0, v[222:223], 1.0
	v_mul_f64 v[232:233], v[230:231], v[228:229]
	s_delay_alu instid0(VALU_DEP_1) | instskip(NEXT) | instid1(VALU_DEP_1)
	v_fma_f64 v[224:225], -v[224:225], v[232:233], v[230:231]
	v_div_fmas_f64 v[224:225], v[224:225], v[228:229], v[232:233]
	v_dual_mov_b32 v230, v187 :: v_dual_mov_b32 v229, v186
	v_dual_mov_b32 v231, v234 :: v_dual_mov_b32 v232, v235
	;; [unrolled: 1-line block ×13, first 2 shown]
	v_div_fixup_f64 v[222:223], v[224:225], v[222:223], 1.0
	s_delay_alu instid0(VALU_DEP_1)
	v_mul_f64 v[224:225], v[220:221], v[222:223]
	v_xor_b32_e32 v223, 0x80000000, v223
.LBB91_410:
	s_and_not1_saveexec_b32 s3, s3
	s_cbranch_execz .LBB91_412
; %bb.411:
	v_div_scale_f64 v[220:221], null, v[0:1], v[0:1], v[2:3]
	v_dual_mov_b32 v186, v229 :: v_dual_mov_b32 v187, v230
	v_div_scale_f64 v[228:229], vcc_lo, v[2:3], v[0:1], v[2:3]
	v_dual_mov_b32 v184, v253 :: v_dual_mov_b32 v185, v254
	v_dual_mov_b32 v255, v252 :: v_dual_mov_b32 v254, v251
	;; [unrolled: 1-line block ×12, first 2 shown]
	v_rcp_f64_e32 v[222:223], v[220:221]
	s_waitcnt_depctr 0xfff
	v_fma_f64 v[224:225], -v[220:221], v[222:223], 1.0
	s_delay_alu instid0(VALU_DEP_1) | instskip(NEXT) | instid1(VALU_DEP_1)
	v_fma_f64 v[222:223], v[222:223], v[224:225], v[222:223]
	v_fma_f64 v[224:225], -v[220:221], v[222:223], 1.0
	s_delay_alu instid0(VALU_DEP_1) | instskip(NEXT) | instid1(VALU_DEP_1)
	v_fma_f64 v[222:223], v[222:223], v[224:225], v[222:223]
	v_mul_f64 v[224:225], v[228:229], v[222:223]
	s_delay_alu instid0(VALU_DEP_1) | instskip(NEXT) | instid1(VALU_DEP_1)
	v_fma_f64 v[220:221], -v[220:221], v[224:225], v[228:229]
	v_div_fmas_f64 v[220:221], v[220:221], v[222:223], v[224:225]
	s_delay_alu instid0(VALU_DEP_1) | instskip(NEXT) | instid1(VALU_DEP_1)
	v_div_fixup_f64 v[220:221], v[220:221], v[0:1], v[2:3]
	v_fma_f64 v[222:223], v[2:3], v[220:221], v[0:1]
	s_delay_alu instid0(VALU_DEP_1) | instskip(NEXT) | instid1(VALU_DEP_1)
	v_div_scale_f64 v[224:225], null, v[222:223], v[222:223], 1.0
	v_rcp_f64_e32 v[228:229], v[224:225]
	s_waitcnt_depctr 0xfff
	v_fma_f64 v[230:231], -v[224:225], v[228:229], 1.0
	s_delay_alu instid0(VALU_DEP_1) | instskip(NEXT) | instid1(VALU_DEP_1)
	v_fma_f64 v[228:229], v[228:229], v[230:231], v[228:229]
	v_fma_f64 v[230:231], -v[224:225], v[228:229], 1.0
	s_delay_alu instid0(VALU_DEP_1) | instskip(SKIP_1) | instid1(VALU_DEP_1)
	v_fma_f64 v[228:229], v[228:229], v[230:231], v[228:229]
	v_div_scale_f64 v[230:231], vcc_lo, 1.0, v[222:223], 1.0
	v_mul_f64 v[232:233], v[230:231], v[228:229]
	s_delay_alu instid0(VALU_DEP_1) | instskip(NEXT) | instid1(VALU_DEP_1)
	v_fma_f64 v[224:225], -v[224:225], v[232:233], v[230:231]
	v_div_fmas_f64 v[224:225], v[224:225], v[228:229], v[232:233]
	v_dual_mov_b32 v230, v187 :: v_dual_mov_b32 v229, v186
	v_dual_mov_b32 v231, v234 :: v_dual_mov_b32 v232, v235
	;; [unrolled: 1-line block ×13, first 2 shown]
	v_div_fixup_f64 v[224:225], v[224:225], v[222:223], 1.0
	s_delay_alu instid0(VALU_DEP_1)
	v_mul_f64 v[222:223], v[220:221], -v[224:225]
.LBB91_412:
	s_or_b32 exec_lo, exec_lo, s3
	ds_store_2addr_b64 v227, v[224:225], v[222:223] offset1:1
.LBB91_413:
	s_or_b32 exec_lo, exec_lo, s4
	s_waitcnt lgkmcnt(0)
	s_barrier
	buffer_gl0_inv
	ds_load_2addr_b64 v[220:223], v227 offset1:1
	s_mov_b32 s3, exec_lo
	v_cmpx_lt_u32_e32 45, v226
	s_cbranch_execz .LBB91_415
; %bb.414:
	s_waitcnt lgkmcnt(0)
	v_mul_f64 v[224:225], v[222:223], v[2:3]
	v_mul_f64 v[2:3], v[220:221], v[2:3]
	s_delay_alu instid0(VALU_DEP_2) | instskip(NEXT) | instid1(VALU_DEP_2)
	v_fma_f64 v[224:225], v[220:221], v[0:1], -v[224:225]
	v_fma_f64 v[2:3], v[222:223], v[0:1], v[2:3]
	s_delay_alu instid0(VALU_DEP_2)
	v_dual_mov_b32 v0, v224 :: v_dual_mov_b32 v1, v225
.LBB91_415:
	s_or_b32 exec_lo, exec_lo, s3
	s_waitcnt lgkmcnt(0)
	s_barrier
	buffer_gl0_inv
	s_and_saveexec_b32 s12, s2
	s_cbranch_execz .LBB91_418
; %bb.416:
	scratch_load_b128 v[184:187], off, off offset:272 ; 16-byte Folded Reload
	s_load_b64 s[14:15], s[0:1], 0x28
	s_waitcnt vmcnt(0)
	v_cmp_eq_f64_e32 vcc_lo, 0, v[184:185]
	v_cmp_eq_f64_e64 s2, 0, v[186:187]
	scratch_load_b128 v[184:187], off, off offset:288 ; 16-byte Folded Reload
	s_and_b32 s2, vcc_lo, s2
	s_delay_alu instid0(SALU_CYCLE_1)
	v_cndmask_b32_e64 v224, 0, 1, s2
	s_waitcnt vmcnt(0)
	v_cmp_neq_f64_e64 s3, 0, v[184:185]
	v_cmp_neq_f64_e64 s4, 0, v[186:187]
	scratch_load_b128 v[184:187], off, off offset:304 ; 16-byte Folded Reload
	s_or_b32 s3, s3, s4
	s_delay_alu instid0(SALU_CYCLE_1) | instskip(SKIP_1) | instid1(VALU_DEP_1)
	s_or_b32 vcc_lo, s3, s2
	v_cndmask_b32_e32 v224, 2, v224, vcc_lo
	v_cmp_eq_u32_e64 s3, 0, v224
	s_waitcnt vmcnt(0)
	v_cmp_eq_f64_e64 s5, 0, v[184:185]
	v_cmp_eq_f64_e64 s6, 0, v[186:187]
	scratch_load_b128 v[184:187], off, off offset:320 ; 16-byte Folded Reload
	s_and_b32 s4, s5, s6
	s_delay_alu instid0(SALU_CYCLE_1) | instskip(NEXT) | instid1(SALU_CYCLE_1)
	s_and_b32 s3, s4, s3
	v_cndmask_b32_e64 v224, v224, 3, s3
	s_delay_alu instid0(VALU_DEP_1)
	v_cmp_eq_u32_e64 s5, 0, v224
	s_waitcnt vmcnt(0)
	v_cmp_eq_f64_e64 s7, 0, v[184:185]
	v_cmp_eq_f64_e64 s8, 0, v[186:187]
	scratch_load_b128 v[184:187], off, off offset:336 ; 16-byte Folded Reload
	s_and_b32 s6, s7, s8
	s_delay_alu instid0(SALU_CYCLE_1) | instskip(NEXT) | instid1(SALU_CYCLE_1)
	s_and_b32 s5, s6, s5
	v_cndmask_b32_e64 v224, v224, 4, s5
	s_delay_alu instid0(VALU_DEP_1)
	v_cmp_eq_u32_e64 s7, 0, v224
	s_waitcnt vmcnt(0)
	v_cmp_eq_f64_e64 s9, 0, v[184:185]
	v_cmp_eq_f64_e64 s10, 0, v[186:187]
	scratch_load_b128 v[184:187], off, off offset:352 ; 16-byte Folded Reload
	s_and_b32 s8, s9, s10
	s_delay_alu instid0(SALU_CYCLE_1) | instskip(NEXT) | instid1(SALU_CYCLE_1)
	s_and_b32 s7, s8, s7
	v_cndmask_b32_e64 v224, v224, 5, s7
	s_delay_alu instid0(VALU_DEP_1)
	v_cmp_eq_u32_e64 s9, 0, v224
	s_waitcnt vmcnt(0)
	v_cmp_eq_f64_e32 vcc_lo, 0, v[184:185]
	v_cmp_eq_f64_e64 s2, 0, v[186:187]
	scratch_load_b128 v[184:187], off, off offset:368 ; 16-byte Folded Reload
	s_and_b32 s2, vcc_lo, s2
	s_delay_alu instid0(SALU_CYCLE_1) | instskip(NEXT) | instid1(SALU_CYCLE_1)
	s_and_b32 s2, s2, s9
	v_cndmask_b32_e64 v224, v224, 6, s2
	s_delay_alu instid0(VALU_DEP_1)
	v_cmp_eq_u32_e64 s9, 0, v224
	s_waitcnt vmcnt(0)
	v_cmp_eq_f64_e64 s3, 0, v[184:185]
	v_cmp_eq_f64_e64 s4, 0, v[186:187]
	scratch_load_b128 v[184:187], off, off offset:384 ; 16-byte Folded Reload
	s_and_b32 s3, s3, s4
	s_delay_alu instid0(SALU_CYCLE_1) | instskip(NEXT) | instid1(SALU_CYCLE_1)
	s_and_b32 s3, s3, s9
	v_cndmask_b32_e64 v224, v224, 7, s3
	s_delay_alu instid0(VALU_DEP_1)
	v_cmp_eq_u32_e64 s9, 0, v224
	s_waitcnt vmcnt(0)
	v_cmp_eq_f64_e64 s5, 0, v[184:185]
	v_cmp_eq_f64_e64 s6, 0, v[186:187]
	scratch_load_b128 v[184:187], off, off offset:400 ; 16-byte Folded Reload
	s_and_b32 s5, s5, s6
	s_delay_alu instid0(SALU_CYCLE_1) | instskip(NEXT) | instid1(SALU_CYCLE_1)
	s_and_b32 s5, s5, s9
	v_cndmask_b32_e64 v224, v224, 8, s5
	s_delay_alu instid0(VALU_DEP_1)
	v_cmp_eq_u32_e64 s9, 0, v224
	s_waitcnt vmcnt(0)
	v_cmp_eq_f64_e64 s7, 0, v[184:185]
	v_cmp_eq_f64_e64 s8, 0, v[186:187]
	scratch_load_b128 v[184:187], off, off offset:416 ; 16-byte Folded Reload
	s_and_b32 s7, s7, s8
	s_delay_alu instid0(SALU_CYCLE_1) | instskip(NEXT) | instid1(SALU_CYCLE_1)
	s_and_b32 s7, s7, s9
	v_cndmask_b32_e64 v224, v224, 9, s7
	s_delay_alu instid0(VALU_DEP_1)
	v_cmp_eq_u32_e64 s9, 0, v224
	s_waitcnt vmcnt(0)
	v_cmp_eq_f64_e32 vcc_lo, 0, v[184:185]
	v_cmp_eq_f64_e64 s2, 0, v[186:187]
	scratch_load_b128 v[184:187], off, off offset:432 ; 16-byte Folded Reload
	s_and_b32 s2, vcc_lo, s2
	s_delay_alu instid0(SALU_CYCLE_1) | instskip(NEXT) | instid1(SALU_CYCLE_1)
	s_and_b32 s2, s2, s9
	v_cndmask_b32_e64 v224, v224, 10, s2
	s_delay_alu instid0(VALU_DEP_1)
	;; [unrolled: 40-line block ×3, first 2 shown]
	v_cmp_eq_u32_e32 vcc_lo, 0, v224
	s_waitcnt vmcnt(0)
	v_cmp_eq_f64_e64 s3, 0, v[184:185]
	v_cmp_eq_f64_e64 s4, 0, v[186:187]
	scratch_load_b128 v[184:187], off, off offset:512 ; 16-byte Folded Reload
	s_and_b32 s3, s3, s4
	s_delay_alu instid0(SALU_CYCLE_1) | instskip(NEXT) | instid1(SALU_CYCLE_1)
	s_and_b32 s0, s3, vcc_lo
	v_cndmask_b32_e64 v224, v224, 15, s0
	s_delay_alu instid0(VALU_DEP_1)
	v_cmp_eq_u32_e64 s1, 0, v224
	s_waitcnt vmcnt(0)
	v_cmp_eq_f64_e64 s5, 0, v[184:185]
	v_cmp_eq_f64_e64 s6, 0, v[186:187]
	scratch_load_b128 v[184:187], off, off offset:528 ; 16-byte Folded Reload
	s_and_b32 s3, s5, s6
	s_delay_alu instid0(SALU_CYCLE_1) | instskip(NEXT) | instid1(SALU_CYCLE_1)
	s_and_b32 s1, s3, s1
	v_cndmask_b32_e64 v226, v224, 16, s1
	v_lshlrev_b64 v[224:225], 2, v[233:234]
	s_delay_alu instid0(VALU_DEP_2) | instskip(SKIP_1) | instid1(VALU_DEP_2)
	v_cmp_eq_u32_e64 s4, 0, v226
	s_waitcnt lgkmcnt(0)
	v_add_co_u32 v224, s5, s14, v224
	s_delay_alu instid0(VALU_DEP_1)
	v_add_co_ci_u32_e64 v225, s5, s15, v225, s5
	s_waitcnt vmcnt(0)
	v_cmp_eq_f64_e64 s10, 0, v[184:185]
	v_cmp_eq_f64_e64 s7, 0, v[186:187]
	scratch_load_b128 v[184:187], off, off offset:544 ; 16-byte Folded Reload
	s_and_b32 s6, s10, s7
	s_delay_alu instid0(SALU_CYCLE_1) | instskip(NEXT) | instid1(SALU_CYCLE_1)
	s_and_b32 s4, s6, s4
	v_cndmask_b32_e64 v227, v226, 17, s4
	global_load_b32 v226, v[224:225], off
	v_cmp_eq_u32_e64 s6, 0, v227
	s_waitcnt vmcnt(1)
	v_cmp_eq_f64_e64 s2, 0, v[184:185]
	v_cmp_eq_f64_e64 s8, 0, v[186:187]
	scratch_load_b128 v[184:187], off, off offset:560 ; 16-byte Folded Reload
	s_and_b32 s2, s2, s8
	s_delay_alu instid0(SALU_CYCLE_1) | instskip(NEXT) | instid1(SALU_CYCLE_1)
	s_and_b32 s2, s2, s6
	v_cndmask_b32_e64 v227, v227, 18, s2
	s_delay_alu instid0(VALU_DEP_1)
	v_cmp_eq_u32_e64 s7, 0, v227
	s_waitcnt vmcnt(0)
	v_cmp_eq_f64_e32 vcc_lo, 0, v[184:185]
	v_cmp_eq_f64_e64 s0, 0, v[186:187]
	scratch_load_b128 v[184:187], off, off offset:576 ; 16-byte Folded Reload
	s_and_b32 s0, vcc_lo, s0
	s_delay_alu instid0(SALU_CYCLE_1) | instskip(NEXT) | instid1(SALU_CYCLE_1)
	s_and_b32 s0, s0, s7
	v_cndmask_b32_e64 v227, v227, 19, s0
	s_delay_alu instid0(VALU_DEP_1)
	v_cmp_eq_u32_e64 s7, 0, v227
	s_waitcnt vmcnt(0)
	v_cmp_eq_f64_e64 s1, 0, v[184:185]
	v_cmp_eq_f64_e64 s3, 0, v[186:187]
	scratch_load_b128 v[184:187], off, off offset:592 ; 16-byte Folded Reload
	s_and_b32 s1, s1, s3
	s_delay_alu instid0(SALU_CYCLE_1) | instskip(NEXT) | instid1(SALU_CYCLE_1)
	s_and_b32 s1, s1, s7
	v_cndmask_b32_e64 v227, v227, 20, s1
	s_delay_alu instid0(VALU_DEP_1)
	v_cmp_eq_u32_e64 s7, 0, v227
	s_waitcnt vmcnt(0)
	v_cmp_eq_f64_e64 s4, 0, v[184:185]
	v_cmp_eq_f64_e64 s5, 0, v[186:187]
	scratch_load_b128 v[184:187], off, off offset:608 ; 16-byte Folded Reload
	s_and_b32 s4, s4, s5
	s_delay_alu instid0(SALU_CYCLE_1) | instskip(NEXT) | instid1(SALU_CYCLE_1)
	s_and_b32 s4, s4, s7
	v_cndmask_b32_e64 v227, v227, 21, s4
	s_delay_alu instid0(VALU_DEP_1)
	v_cmp_eq_u32_e64 s7, 0, v227
	s_waitcnt vmcnt(0)
	v_cmp_eq_f64_e64 s2, 0, v[184:185]
	v_cmp_eq_f64_e64 s6, 0, v[186:187]
	scratch_load_b128 v[184:187], off, off offset:624 ; 16-byte Folded Reload
	s_and_b32 s2, s2, s6
	s_delay_alu instid0(SALU_CYCLE_1) | instskip(NEXT) | instid1(SALU_CYCLE_1)
	s_and_b32 s2, s2, s7
	v_cndmask_b32_e64 v227, v227, 22, s2
	s_delay_alu instid0(VALU_DEP_1)
	v_cmp_eq_u32_e64 s7, 0, v227
	s_waitcnt vmcnt(0)
	v_cmp_eq_f64_e32 vcc_lo, 0, v[184:185]
	v_cmp_eq_f64_e64 s0, 0, v[186:187]
	scratch_load_b128 v[184:187], off, off offset:640 ; 16-byte Folded Reload
	s_and_b32 s0, vcc_lo, s0
	s_delay_alu instid0(SALU_CYCLE_1) | instskip(NEXT) | instid1(SALU_CYCLE_1)
	s_and_b32 s0, s0, s7
	v_cndmask_b32_e64 v227, v227, 23, s0
	s_delay_alu instid0(VALU_DEP_1)
	v_cmp_eq_u32_e32 vcc_lo, 0, v227
	s_waitcnt vmcnt(0)
	v_cmp_eq_f64_e64 s1, 0, v[184:185]
	v_cmp_eq_f64_e64 s3, 0, v[186:187]
	scratch_load_b128 v[184:187], off, off offset:656 ; 16-byte Folded Reload
	s_and_b32 s0, s1, s3
	s_delay_alu instid0(SALU_CYCLE_1) | instskip(NEXT) | instid1(SALU_CYCLE_1)
	s_and_b32 s0, s0, vcc_lo
	v_cndmask_b32_e64 v227, v227, 24, s0
	s_delay_alu instid0(VALU_DEP_1)
	v_cmp_eq_u32_e32 vcc_lo, 0, v227
	s_waitcnt vmcnt(0)
	v_cmp_eq_f64_e64 s4, 0, v[184:185]
	v_cmp_eq_f64_e64 s5, 0, v[186:187]
	scratch_load_b128 v[184:187], off, off offset:672 ; 16-byte Folded Reload
	s_and_b32 s0, s4, s5
	s_delay_alu instid0(SALU_CYCLE_1) | instskip(NEXT) | instid1(SALU_CYCLE_1)
	s_and_b32 s0, s0, vcc_lo
	v_cndmask_b32_e64 v227, v227, 25, s0
	s_delay_alu instid0(VALU_DEP_1)
	v_cmp_eq_u32_e64 s1, 0, v227
	s_waitcnt vmcnt(0)
	v_cmp_eq_f64_e64 s2, 0, v[184:185]
	v_cmp_eq_f64_e64 s6, 0, v[186:187]
	scratch_load_b128 v[184:187], off, off offset:688 ; 16-byte Folded Reload
	s_and_b32 s2, s2, s6
	s_delay_alu instid0(SALU_CYCLE_1) | instskip(NEXT) | instid1(SALU_CYCLE_1)
	s_and_b32 s1, s2, s1
	v_cndmask_b32_e64 v227, v227, 26, s1
	s_delay_alu instid0(VALU_DEP_1)
	v_cmp_eq_u32_e64 s4, 0, v227
	s_waitcnt vmcnt(0)
	v_cmp_eq_f64_e64 s7, 0, v[184:185]
	v_cmp_eq_f64_e64 s8, 0, v[186:187]
	scratch_load_b128 v[184:187], off, off offset:704 ; 16-byte Folded Reload
	s_and_b32 s5, s7, s8
	s_delay_alu instid0(SALU_CYCLE_1) | instskip(NEXT) | instid1(SALU_CYCLE_1)
	s_and_b32 s4, s5, s4
	;; [unrolled: 10-line block ×3, first 2 shown]
	v_cndmask_b32_e64 v227, v227, 28, s3
	s_delay_alu instid0(VALU_DEP_1)
	v_cmp_eq_u32_e64 s7, 0, v227
	s_waitcnt vmcnt(0)
	v_cmp_eq_f64_e32 vcc_lo, 0, v[184:185]
	v_cmp_eq_f64_e64 s0, 0, v[186:187]
	scratch_load_b128 v[184:187], off, off offset:736 ; 16-byte Folded Reload
	s_and_b32 s0, vcc_lo, s0
	s_delay_alu instid0(SALU_CYCLE_1) | instskip(NEXT) | instid1(SALU_CYCLE_1)
	s_and_b32 s0, s0, s7
	v_cndmask_b32_e64 v227, v227, 29, s0
	s_delay_alu instid0(VALU_DEP_1)
	v_cmp_eq_u32_e64 s7, 0, v227
	s_waitcnt vmcnt(0)
	v_cmp_eq_f64_e64 s1, 0, v[184:185]
	v_cmp_eq_f64_e64 s2, 0, v[186:187]
	scratch_load_b128 v[184:187], off, off offset:752 ; 16-byte Folded Reload
	s_and_b32 s1, s1, s2
	s_delay_alu instid0(SALU_CYCLE_1) | instskip(NEXT) | instid1(SALU_CYCLE_1)
	s_and_b32 s1, s1, s7
	v_cndmask_b32_e64 v227, v227, 30, s1
	s_delay_alu instid0(VALU_DEP_1)
	v_cmp_eq_u32_e64 s7, 0, v227
	s_waitcnt vmcnt(0)
	v_cmp_eq_f64_e64 s4, 0, v[184:185]
	v_cmp_eq_f64_e64 s5, 0, v[186:187]
	scratch_load_b128 v[184:187], off, off offset:768 ; 16-byte Folded Reload
	s_and_b32 s4, s4, s5
	;; [unrolled: 10-line block ×3, first 2 shown]
	s_delay_alu instid0(SALU_CYCLE_1) | instskip(NEXT) | instid1(SALU_CYCLE_1)
	s_and_b32 s3, s3, s7
	v_cndmask_b32_e64 v227, v227, 32, s3
	s_delay_alu instid0(VALU_DEP_1)
	v_cmp_eq_u32_e64 s7, 0, v227
	s_waitcnt vmcnt(0)
	v_cmp_eq_f64_e32 vcc_lo, 0, v[184:185]
	v_cmp_eq_f64_e64 s0, 0, v[186:187]
	scratch_load_b128 v[184:187], off, off offset:800 ; 16-byte Folded Reload
	s_and_b32 s0, vcc_lo, s0
	s_delay_alu instid0(SALU_CYCLE_1) | instskip(NEXT) | instid1(SALU_CYCLE_1)
	s_and_b32 s0, s0, s7
	v_cndmask_b32_e64 v227, v227, 33, s0
	s_delay_alu instid0(VALU_DEP_1)
	v_cmp_eq_u32_e64 s7, 0, v227
	s_waitcnt vmcnt(0)
	v_cmp_eq_f64_e64 s1, 0, v[184:185]
	v_cmp_eq_f64_e64 s2, 0, v[186:187]
	scratch_load_b128 v[184:187], off, off offset:816 ; 16-byte Folded Reload
	s_and_b32 s1, s1, s2
	v_cmp_eq_f64_e64 s2, 0, v[190:191]
	s_and_b32 s1, s1, s7
	s_waitcnt vmcnt(0)
	v_cmp_eq_f64_e64 s4, 0, v[184:185]
	v_cmp_eq_f64_e64 s5, 0, v[186:187]
	scratch_load_b128 v[184:187], off, off offset:832 ; 16-byte Folded Reload
	s_and_b32 s4, s4, s5
	v_cmp_eq_f64_e64 s5, 0, v[194:195]
	s_waitcnt vmcnt(0)
	v_cmp_eq_f64_e64 s3, 0, v[184:185]
	v_cmp_eq_f64_e64 s6, 0, v[186:187]
	scratch_load_b128 v[184:187], off, off offset:848 ; 16-byte Folded Reload
	s_and_b32 s3, s3, s6
	v_cmp_eq_f64_e64 s6, 0, v[198:199]
	s_waitcnt vmcnt(0)
	v_cmp_eq_f64_e32 vcc_lo, 0, v[184:185]
	v_cmp_eq_f64_e64 s0, 0, v[186:187]
	v_cndmask_b32_e64 v184, v227, 34, s1
	v_cmp_eq_f64_e64 s1, 0, v[188:189]
	s_delay_alu instid0(VALU_DEP_2) | instskip(NEXT) | instid1(VALU_DEP_1)
	v_cmp_eq_u32_e64 s7, 0, v184
	s_and_b32 s4, s4, s7
	s_delay_alu instid0(SALU_CYCLE_1) | instskip(SKIP_1) | instid1(VALU_DEP_2)
	v_cndmask_b32_e64 v184, v184, 35, s4
	v_cmp_eq_f64_e64 s4, 0, v[192:193]
	v_cmp_eq_u32_e64 s7, 0, v184
	s_delay_alu instid0(VALU_DEP_1) | instskip(NEXT) | instid1(SALU_CYCLE_1)
	s_and_b32 s3, s3, s7
	v_cndmask_b32_e64 v184, v184, 36, s3
	v_cmp_eq_f64_e64 s3, 0, v[196:197]
	s_delay_alu instid0(VALU_DEP_2) | instskip(SKIP_2) | instid1(VALU_DEP_2)
	v_cmp_eq_u32_e64 s7, 0, v184
	s_and_b32 s0, vcc_lo, s0
	v_cmp_eq_f64_e32 vcc_lo, 0, v[200:201]
	s_and_b32 s0, s0, s7
	s_and_b32 s1, s1, s2
	v_cndmask_b32_e64 v184, v184, 37, s0
	v_cmp_eq_f64_e64 s0, 0, v[202:203]
	v_cmp_eq_f64_e64 s2, 0, v[206:207]
	s_delay_alu instid0(VALU_DEP_3) | instskip(NEXT) | instid1(VALU_DEP_1)
	v_cmp_eq_u32_e64 s7, 0, v184
	s_and_b32 s1, s1, s7
	s_and_b32 s4, s4, s5
	v_cndmask_b32_e64 v184, v184, 38, s1
	v_cmp_eq_f64_e64 s1, 0, v[204:205]
	v_cmp_eq_f64_e64 s5, 0, v[210:211]
	s_delay_alu instid0(VALU_DEP_3) | instskip(NEXT) | instid1(VALU_DEP_1)
	v_cmp_eq_u32_e64 s7, 0, v184
	;; [unrolled: 7-line block ×3, first 2 shown]
	s_and_b32 s3, s3, s7
	s_delay_alu instid0(SALU_CYCLE_1) | instskip(SKIP_3) | instid1(VALU_DEP_3)
	v_cndmask_b32_e64 v184, v184, 40, s3
	v_cmp_eq_f64_e64 s3, 0, v[212:213]
	s_and_b32 s0, vcc_lo, s0
	v_cmp_eq_f64_e32 vcc_lo, 0, v[216:217]
	v_cmp_eq_u32_e64 s7, 0, v184
	s_delay_alu instid0(VALU_DEP_1) | instskip(NEXT) | instid1(SALU_CYCLE_1)
	s_and_b32 s0, s0, s7
	v_cndmask_b32_e64 v184, v184, 41, s0
	v_cmp_eq_f64_e64 s0, 0, v[218:219]
	s_and_b32 s1, s1, s2
	v_cmp_eq_f64_e64 s2, 0, v[222:223]
	s_delay_alu instid0(VALU_DEP_3) | instskip(NEXT) | instid1(VALU_DEP_1)
	v_cmp_eq_u32_e64 s7, 0, v184
	s_and_b32 s1, s1, s7
	s_delay_alu instid0(SALU_CYCLE_1) | instskip(SKIP_2) | instid1(VALU_DEP_2)
	v_cndmask_b32_e64 v184, v184, 42, s1
	v_cmp_eq_f64_e64 s1, 0, v[220:221]
	s_and_b32 s4, s4, s5
	v_cmp_eq_u32_e64 s7, 0, v184
	s_delay_alu instid0(VALU_DEP_1) | instskip(NEXT) | instid1(SALU_CYCLE_1)
	s_and_b32 s4, s4, s7
	v_cndmask_b32_e64 v184, v184, 43, s4
	s_and_b32 s3, s3, s6
	s_delay_alu instid0(VALU_DEP_1) | instskip(NEXT) | instid1(VALU_DEP_1)
	v_cmp_eq_u32_e64 s4, 0, v184
	s_and_b32 s3, s3, s4
	s_delay_alu instid0(SALU_CYCLE_1) | instskip(SKIP_1) | instid1(VALU_DEP_1)
	v_cndmask_b32_e64 v184, v184, 44, s3
	s_and_b32 s0, vcc_lo, s0
	v_cmp_eq_u32_e64 s3, 0, v184
	s_delay_alu instid0(VALU_DEP_1) | instskip(NEXT) | instid1(SALU_CYCLE_1)
	s_and_b32 s0, s0, s3
	v_cndmask_b32_e64 v184, v184, 45, s0
	s_and_b32 s0, s1, s2
	s_delay_alu instid0(VALU_DEP_1) | instskip(SKIP_3) | instid1(VALU_DEP_1)
	v_cmp_eq_u32_e32 vcc_lo, 0, v184
	s_and_b32 s0, s0, vcc_lo
	v_cmp_eq_u32_e32 vcc_lo, 0, v226
	v_cndmask_b32_e64 v184, v184, 46, s0
	v_cmp_ne_u32_e64 s0, 0, v184
	s_delay_alu instid0(VALU_DEP_1) | instskip(NEXT) | instid1(SALU_CYCLE_1)
	s_and_b32 s0, vcc_lo, s0
	s_and_b32 exec_lo, exec_lo, s0
	s_cbranch_execz .LBB91_418
; %bb.417:
	v_add_nc_u32_e32 v184, s11, v184
	global_store_b32 v[224:225], v184, off
.LBB91_418:
	s_or_b32 exec_lo, exec_lo, s12
	scratch_load_b64 v[184:185], off, off offset:264 ; 8-byte Folded Reload
	s_waitcnt vmcnt(0)
	global_store_b128 v[184:185], v[180:183], off
	scratch_load_b64 v[180:181], off, off offset:256 ; 8-byte Folded Reload
	s_waitcnt vmcnt(0)
	global_store_b128 v[180:181], v[176:179], off
	;; [unrolled: 3-line block ×30, first 2 shown]
	scratch_load_b64 v[64:65], off, off     ; 8-byte Folded Reload
	s_waitcnt vmcnt(0)
	s_clause 0xc
	global_store_b128 v[64:65], v[60:63], off
	global_store_b128 v[229:230], v[56:59], off
	;; [unrolled: 1-line block ×13, first 2 shown]
	scratch_load_b64 v[12:13], off, off offset:8 ; 8-byte Folded Reload
	s_waitcnt vmcnt(0)
	global_store_b128 v[12:13], v[8:11], off
	scratch_load_b64 v[8:9], off, off offset:40 ; 8-byte Folded Reload
	s_waitcnt vmcnt(0)
	global_store_b128 v[8:9], v[4:7], off
	;; [unrolled: 3-line block ×3, first 2 shown]
.LBB91_419:
	s_nop 0
	s_sendmsg sendmsg(MSG_DEALLOC_VGPRS)
	s_endpgm
	.section	.rodata,"a",@progbits
	.p2align	6, 0x0
	.amdhsa_kernel _ZN9rocsolver6v33100L23getf2_npvt_small_kernelILi46E19rocblas_complex_numIdEiiPKPS3_EEvT1_T3_lS7_lPT2_S7_S7_
		.amdhsa_group_segment_fixed_size 0
		.amdhsa_private_segment_fixed_size 868
		.amdhsa_kernarg_size 312
		.amdhsa_user_sgpr_count 14
		.amdhsa_user_sgpr_dispatch_ptr 0
		.amdhsa_user_sgpr_queue_ptr 0
		.amdhsa_user_sgpr_kernarg_segment_ptr 1
		.amdhsa_user_sgpr_dispatch_id 0
		.amdhsa_user_sgpr_private_segment_size 0
		.amdhsa_wavefront_size32 1
		.amdhsa_uses_dynamic_stack 0
		.amdhsa_enable_private_segment 1
		.amdhsa_system_sgpr_workgroup_id_x 1
		.amdhsa_system_sgpr_workgroup_id_y 1
		.amdhsa_system_sgpr_workgroup_id_z 0
		.amdhsa_system_sgpr_workgroup_info 0
		.amdhsa_system_vgpr_workitem_id 1
		.amdhsa_next_free_vgpr 256
		.amdhsa_next_free_sgpr 16
		.amdhsa_reserve_vcc 1
		.amdhsa_float_round_mode_32 0
		.amdhsa_float_round_mode_16_64 0
		.amdhsa_float_denorm_mode_32 3
		.amdhsa_float_denorm_mode_16_64 3
		.amdhsa_dx10_clamp 1
		.amdhsa_ieee_mode 1
		.amdhsa_fp16_overflow 0
		.amdhsa_workgroup_processor_mode 1
		.amdhsa_memory_ordered 1
		.amdhsa_forward_progress 0
		.amdhsa_shared_vgpr_count 0
		.amdhsa_exception_fp_ieee_invalid_op 0
		.amdhsa_exception_fp_denorm_src 0
		.amdhsa_exception_fp_ieee_div_zero 0
		.amdhsa_exception_fp_ieee_overflow 0
		.amdhsa_exception_fp_ieee_underflow 0
		.amdhsa_exception_fp_ieee_inexact 0
		.amdhsa_exception_int_div_zero 0
	.end_amdhsa_kernel
	.section	.text._ZN9rocsolver6v33100L23getf2_npvt_small_kernelILi46E19rocblas_complex_numIdEiiPKPS3_EEvT1_T3_lS7_lPT2_S7_S7_,"axG",@progbits,_ZN9rocsolver6v33100L23getf2_npvt_small_kernelILi46E19rocblas_complex_numIdEiiPKPS3_EEvT1_T3_lS7_lPT2_S7_S7_,comdat
.Lfunc_end91:
	.size	_ZN9rocsolver6v33100L23getf2_npvt_small_kernelILi46E19rocblas_complex_numIdEiiPKPS3_EEvT1_T3_lS7_lPT2_S7_S7_, .Lfunc_end91-_ZN9rocsolver6v33100L23getf2_npvt_small_kernelILi46E19rocblas_complex_numIdEiiPKPS3_EEvT1_T3_lS7_lPT2_S7_S7_
                                        ; -- End function
	.section	.AMDGPU.csdata,"",@progbits
; Kernel info:
; codeLenInByte = 118988
; NumSgprs: 18
; NumVgprs: 256
; ScratchSize: 868
; MemoryBound: 1
; FloatMode: 240
; IeeeMode: 1
; LDSByteSize: 0 bytes/workgroup (compile time only)
; SGPRBlocks: 2
; VGPRBlocks: 31
; NumSGPRsForWavesPerEU: 18
; NumVGPRsForWavesPerEU: 256
; Occupancy: 5
; WaveLimiterHint : 1
; COMPUTE_PGM_RSRC2:SCRATCH_EN: 1
; COMPUTE_PGM_RSRC2:USER_SGPR: 14
; COMPUTE_PGM_RSRC2:TRAP_HANDLER: 0
; COMPUTE_PGM_RSRC2:TGID_X_EN: 1
; COMPUTE_PGM_RSRC2:TGID_Y_EN: 1
; COMPUTE_PGM_RSRC2:TGID_Z_EN: 0
; COMPUTE_PGM_RSRC2:TIDIG_COMP_CNT: 1
	.section	.text._ZN9rocsolver6v33100L18getf2_small_kernelILi47E19rocblas_complex_numIdEiiPKPS3_EEvT1_T3_lS7_lPS7_llPT2_S7_S7_S9_l,"axG",@progbits,_ZN9rocsolver6v33100L18getf2_small_kernelILi47E19rocblas_complex_numIdEiiPKPS3_EEvT1_T3_lS7_lPS7_llPT2_S7_S7_S9_l,comdat
	.globl	_ZN9rocsolver6v33100L18getf2_small_kernelILi47E19rocblas_complex_numIdEiiPKPS3_EEvT1_T3_lS7_lPS7_llPT2_S7_S7_S9_l ; -- Begin function _ZN9rocsolver6v33100L18getf2_small_kernelILi47E19rocblas_complex_numIdEiiPKPS3_EEvT1_T3_lS7_lPS7_llPT2_S7_S7_S9_l
	.p2align	8
	.type	_ZN9rocsolver6v33100L18getf2_small_kernelILi47E19rocblas_complex_numIdEiiPKPS3_EEvT1_T3_lS7_lPS7_llPT2_S7_S7_S9_l,@function
_ZN9rocsolver6v33100L18getf2_small_kernelILi47E19rocblas_complex_numIdEiiPKPS3_EEvT1_T3_lS7_lPS7_llPT2_S7_S7_S9_l: ; @_ZN9rocsolver6v33100L18getf2_small_kernelILi47E19rocblas_complex_numIdEiiPKPS3_EEvT1_T3_lS7_lPS7_llPT2_S7_S7_S9_l
; %bb.0:
	s_clause 0x1
	s_load_b32 s2, s[0:1], 0x6c
	s_load_b64 s[12:13], s[0:1], 0x48
	v_bfe_u32 v188, v0, 10, 10
	s_waitcnt lgkmcnt(0)
	s_lshr_b32 s2, s2, 16
	s_delay_alu instid0(VALU_DEP_1) | instid1(SALU_CYCLE_1)
	v_mad_u64_u32 v[192:193], null, s15, s2, v[188:189]
	s_mov_b32 s2, exec_lo
	s_delay_alu instid0(VALU_DEP_1)
	v_cmpx_gt_i32_e64 s12, v192
	s_cbranch_execnz .LBB92_1
; %bb.991:
	s_getpc_b64 s[16:17]
.Lpost_getpc2:
	s_add_u32 s16, s16, (.LBB92_990-.Lpost_getpc2)&4294967295
	s_addc_u32 s17, s17, (.LBB92_990-.Lpost_getpc2)>>32
	s_setpc_b64 s[16:17]
.LBB92_1:
	s_clause 0x1
	s_load_b128 s[4:7], s[0:1], 0x8
	s_load_b128 s[8:11], s[0:1], 0x50
	v_ashrrev_i32_e32 v193, 31, v192
	v_mov_b32_e32 v194, 0
	v_mov_b32_e32 v195, 0
	s_delay_alu instid0(VALU_DEP_3) | instskip(SKIP_1) | instid1(VALU_DEP_1)
	v_lshlrev_b64 v[1:2], 3, v[192:193]
	s_waitcnt lgkmcnt(0)
	v_add_co_u32 v1, vcc_lo, s4, v1
	s_delay_alu instid0(VALU_DEP_2)
	v_add_co_ci_u32_e32 v2, vcc_lo, s5, v2, vcc_lo
	s_cmp_eq_u64 s[8:9], 0
	s_cselect_b32 s4, -1, 0
	global_load_b64 v[1:2], v[1:2], off
	s_and_b32 vcc_lo, exec_lo, s4
	s_cbranch_vccnz .LBB92_3
; %bb.2:
	v_mul_lo_u32 v5, v193, s10
	v_mul_lo_u32 v6, v192, s11
	v_mad_u64_u32 v[3:4], null, v192, s10, 0
	s_delay_alu instid0(VALU_DEP_1) | instskip(NEXT) | instid1(VALU_DEP_1)
	v_add3_u32 v4, v4, v6, v5
	v_lshlrev_b64 v[3:4], 2, v[3:4]
	s_delay_alu instid0(VALU_DEP_1) | instskip(NEXT) | instid1(VALU_DEP_2)
	v_add_co_u32 v194, vcc_lo, s8, v3
	v_add_co_ci_u32_e32 v195, vcc_lo, s9, v4, vcc_lo
.LBB92_3:
	s_clause 0x1
	s_load_b32 s8, s[0:1], 0x18
	s_load_b32 s5, s[0:1], 0x0
	v_and_b32_e32 v202, 0x3ff, v0
	s_lshl_b64 s[2:3], s[6:7], 4
	s_waitcnt vmcnt(0)
	v_add_co_u32 v199, vcc_lo, v1, s2
	v_add_co_ci_u32_e32 v200, vcc_lo, s3, v2, vcc_lo
	v_lshlrev_b32_e32 v191, 4, v202
	s_waitcnt lgkmcnt(0)
	v_add3_u32 v3, s8, s8, v202
	s_ashr_i32 s9, s8, 31
	s_max_i32 s2, s5, 47
	s_lshl_b64 s[10:11], s[8:9], 4
	s_cmp_lt_i32 s5, 2
	v_add_nc_u32_e32 v5, s8, v3
	v_ashrrev_i32_e32 v4, 31, v3
	s_delay_alu instid0(VALU_DEP_2) | instskip(NEXT) | instid1(VALU_DEP_2)
	v_add_nc_u32_e32 v0, s8, v5
	v_lshlrev_b64 v[3:4], 4, v[3:4]
	v_ashrrev_i32_e32 v6, 31, v5
	s_delay_alu instid0(VALU_DEP_3) | instskip(SKIP_1) | instid1(VALU_DEP_4)
	v_add_nc_u32_e32 v2, s8, v0
	v_ashrrev_i32_e32 v1, 31, v0
	v_add_co_u32 v7, vcc_lo, v199, v3
	v_add_co_ci_u32_e32 v8, vcc_lo, v200, v4, vcc_lo
	s_delay_alu instid0(VALU_DEP_4) | instskip(SKIP_3) | instid1(VALU_DEP_4)
	v_add_nc_u32_e32 v4, s8, v2
	v_lshlrev_b64 v[5:6], 4, v[5:6]
	v_ashrrev_i32_e32 v3, 31, v2
	v_lshlrev_b64 v[0:1], 4, v[0:1]
	v_add_nc_u32_e32 v11, s8, v4
	s_delay_alu instid0(VALU_DEP_4) | instskip(SKIP_1) | instid1(VALU_DEP_3)
	v_add_co_u32 v9, vcc_lo, v199, v5
	v_ashrrev_i32_e32 v5, 31, v4
	v_add_nc_u32_e32 v13, s8, v11
	v_lshlrev_b64 v[2:3], 4, v[2:3]
	v_ashrrev_i32_e32 v12, 31, v11
	v_add_co_ci_u32_e32 v10, vcc_lo, v200, v6, vcc_lo
	s_delay_alu instid0(VALU_DEP_4) | instskip(SKIP_3) | instid1(VALU_DEP_4)
	v_add_nc_u32_e32 v15, s8, v13
	v_add_co_u32 v0, vcc_lo, v199, v0
	v_lshlrev_b64 v[4:5], 4, v[4:5]
	v_ashrrev_i32_e32 v14, 31, v13
	v_add_nc_u32_e32 v17, s8, v15
	v_add_co_ci_u32_e32 v1, vcc_lo, v200, v1, vcc_lo
	v_add_co_u32 v2, vcc_lo, v199, v2
	s_delay_alu instid0(VALU_DEP_3) | instskip(SKIP_3) | instid1(VALU_DEP_4)
	v_add_nc_u32_e32 v19, s8, v17
	v_lshlrev_b64 v[11:12], 4, v[11:12]
	v_ashrrev_i32_e32 v16, 31, v15
	v_add_co_ci_u32_e32 v3, vcc_lo, v200, v3, vcc_lo
	v_add_nc_u32_e32 v21, s8, v19
	v_add_co_u32 v4, vcc_lo, v199, v4
	v_lshlrev_b64 v[13:14], 4, v[13:14]
	v_ashrrev_i32_e32 v18, 31, v17
	s_delay_alu instid0(VALU_DEP_4) | instskip(SKIP_2) | instid1(VALU_DEP_3)
	v_add_nc_u32_e32 v23, s8, v21
	v_add_co_ci_u32_e32 v5, vcc_lo, v200, v5, vcc_lo
	v_add_co_u32 v11, vcc_lo, v199, v11
	v_add_nc_u32_e32 v25, s8, v23
	v_lshlrev_b64 v[15:16], 4, v[15:16]
	v_ashrrev_i32_e32 v20, 31, v19
	v_add_co_ci_u32_e32 v12, vcc_lo, v200, v12, vcc_lo
	s_delay_alu instid0(VALU_DEP_4) | instskip(SKIP_3) | instid1(VALU_DEP_4)
	v_add_nc_u32_e32 v27, s8, v25
	v_add_co_u32 v13, vcc_lo, v199, v13
	v_lshlrev_b64 v[17:18], 4, v[17:18]
	v_ashrrev_i32_e32 v22, 31, v21
	v_add_nc_u32_e32 v29, s8, v27
	v_add_co_ci_u32_e32 v14, vcc_lo, v200, v14, vcc_lo
	v_add_co_u32 v15, vcc_lo, v199, v15
	s_delay_alu instid0(VALU_DEP_3) | instskip(SKIP_3) | instid1(VALU_DEP_4)
	v_add_nc_u32_e32 v31, s8, v29
	v_lshlrev_b64 v[19:20], 4, v[19:20]
	v_ashrrev_i32_e32 v24, 31, v23
	v_add_co_ci_u32_e32 v16, vcc_lo, v200, v16, vcc_lo
	v_add_nc_u32_e32 v33, s8, v31
	v_add_co_u32 v17, vcc_lo, v199, v17
	v_lshlrev_b64 v[21:22], 4, v[21:22]
	v_ashrrev_i32_e32 v26, 31, v25
	s_delay_alu instid0(VALU_DEP_4) | instskip(SKIP_2) | instid1(VALU_DEP_3)
	v_add_nc_u32_e32 v35, s8, v33
	v_add_co_ci_u32_e32 v18, vcc_lo, v200, v18, vcc_lo
	v_add_co_u32 v19, vcc_lo, v199, v19
	v_add_nc_u32_e32 v37, s8, v35
	v_lshlrev_b64 v[23:24], 4, v[23:24]
	v_ashrrev_i32_e32 v28, 31, v27
	v_add_co_ci_u32_e32 v20, vcc_lo, v200, v20, vcc_lo
	s_delay_alu instid0(VALU_DEP_4) | instskip(SKIP_3) | instid1(VALU_DEP_4)
	v_add_nc_u32_e32 v39, s8, v37
	v_add_co_u32 v21, vcc_lo, v199, v21
	v_lshlrev_b64 v[25:26], 4, v[25:26]
	v_ashrrev_i32_e32 v30, 31, v29
	v_add_nc_u32_e32 v41, s8, v39
	v_add_co_ci_u32_e32 v22, vcc_lo, v200, v22, vcc_lo
	v_add_co_u32 v23, vcc_lo, v199, v23
	s_delay_alu instid0(VALU_DEP_3) | instskip(SKIP_3) | instid1(VALU_DEP_4)
	v_add_nc_u32_e32 v43, s8, v41
	v_lshlrev_b64 v[27:28], 4, v[27:28]
	v_ashrrev_i32_e32 v32, 31, v31
	v_add_co_ci_u32_e32 v24, vcc_lo, v200, v24, vcc_lo
	v_add_nc_u32_e32 v45, s8, v43
	v_add_co_u32 v25, vcc_lo, v199, v25
	v_lshlrev_b64 v[29:30], 4, v[29:30]
	v_ashrrev_i32_e32 v34, 31, v33
	s_delay_alu instid0(VALU_DEP_4)
	v_add_nc_u32_e32 v47, s8, v45
	v_add_co_ci_u32_e32 v26, vcc_lo, v200, v26, vcc_lo
	v_add_co_u32 v27, vcc_lo, v199, v27
	v_lshlrev_b64 v[31:32], 4, v[31:32]
	v_ashrrev_i32_e32 v36, 31, v35
	v_add_co_ci_u32_e32 v28, vcc_lo, v200, v28, vcc_lo
	v_add_co_u32 v29, vcc_lo, v199, v29
	v_lshlrev_b64 v[33:34], 4, v[33:34]
	v_add_nc_u32_e32 v49, s8, v47
	v_ashrrev_i32_e32 v38, 31, v37
	v_add_co_ci_u32_e32 v30, vcc_lo, v200, v30, vcc_lo
	v_add_co_u32 v31, vcc_lo, v199, v31
	v_lshlrev_b64 v[35:36], 4, v[35:36]
	v_ashrrev_i32_e32 v40, 31, v39
	v_add_co_ci_u32_e32 v32, vcc_lo, v200, v32, vcc_lo
	v_add_nc_u32_e32 v51, s8, v49
	v_add_co_u32 v33, vcc_lo, v199, v33
	v_lshlrev_b64 v[37:38], 4, v[37:38]
	v_ashrrev_i32_e32 v42, 31, v41
	v_add_co_ci_u32_e32 v34, vcc_lo, v200, v34, vcc_lo
	v_add_co_u32 v35, vcc_lo, v199, v35
	v_lshlrev_b64 v[39:40], 4, v[39:40]
	v_ashrrev_i32_e32 v44, 31, v43
	v_add_nc_u32_e32 v53, s8, v51
	v_add_co_ci_u32_e32 v36, vcc_lo, v200, v36, vcc_lo
	v_add_co_u32 v37, vcc_lo, v199, v37
	v_lshlrev_b64 v[41:42], 4, v[41:42]
	v_ashrrev_i32_e32 v46, 31, v45
	v_add_co_ci_u32_e32 v38, vcc_lo, v200, v38, vcc_lo
	v_add_co_u32 v39, vcc_lo, v199, v39
	v_lshlrev_b64 v[43:44], 4, v[43:44]
	v_add_nc_u32_e32 v55, s8, v53
	v_ashrrev_i32_e32 v48, 31, v47
	v_add_co_ci_u32_e32 v40, vcc_lo, v200, v40, vcc_lo
	v_add_co_u32 v41, vcc_lo, v199, v41
	v_lshlrev_b64 v[45:46], 4, v[45:46]
	v_ashrrev_i32_e32 v50, 31, v49
	v_add_co_ci_u32_e32 v42, vcc_lo, v200, v42, vcc_lo
	v_add_nc_u32_e32 v57, s8, v55
	v_add_co_u32 v43, vcc_lo, v199, v43
	v_lshlrev_b64 v[47:48], 4, v[47:48]
	v_ashrrev_i32_e32 v52, 31, v51
	v_add_co_ci_u32_e32 v44, vcc_lo, v200, v44, vcc_lo
	v_add_co_u32 v45, vcc_lo, v199, v45
	v_lshlrev_b64 v[49:50], 4, v[49:50]
	v_ashrrev_i32_e32 v54, 31, v53
	v_add_nc_u32_e32 v59, s8, v57
	v_add_co_ci_u32_e32 v46, vcc_lo, v200, v46, vcc_lo
	v_add_co_u32 v47, vcc_lo, v199, v47
	v_lshlrev_b64 v[51:52], 4, v[51:52]
	v_ashrrev_i32_e32 v56, 31, v55
	v_add_co_ci_u32_e32 v48, vcc_lo, v200, v48, vcc_lo
	v_add_co_u32 v49, vcc_lo, v199, v49
	v_lshlrev_b64 v[53:54], 4, v[53:54]
	v_add_nc_u32_e32 v61, s8, v59
	v_ashrrev_i32_e32 v58, 31, v57
	v_add_co_ci_u32_e32 v50, vcc_lo, v200, v50, vcc_lo
	v_add_co_u32 v51, vcc_lo, v199, v51
	v_lshlrev_b64 v[55:56], 4, v[55:56]
	v_ashrrev_i32_e32 v60, 31, v59
	v_add_co_ci_u32_e32 v52, vcc_lo, v200, v52, vcc_lo
	v_add_nc_u32_e32 v63, s8, v61
	v_add_co_u32 v53, vcc_lo, v199, v53
	v_lshlrev_b64 v[57:58], 4, v[57:58]
	v_ashrrev_i32_e32 v62, 31, v61
	v_add_co_ci_u32_e32 v54, vcc_lo, v200, v54, vcc_lo
	v_add_co_u32 v55, vcc_lo, v199, v55
	v_lshlrev_b64 v[59:60], 4, v[59:60]
	v_add_nc_u32_e32 v65, s8, v63
	v_add_co_ci_u32_e32 v56, vcc_lo, v200, v56, vcc_lo
	v_add_co_u32 v57, vcc_lo, v199, v57
	v_lshlrev_b64 v[61:62], 4, v[61:62]
	v_ashrrev_i32_e32 v64, 31, v63
	v_add_co_ci_u32_e32 v58, vcc_lo, v200, v58, vcc_lo
	v_add_co_u32 v59, vcc_lo, v199, v59
	v_ashrrev_i32_e32 v66, 31, v65
	v_add_nc_u32_e32 v67, s8, v65
	v_add_co_ci_u32_e32 v60, vcc_lo, v200, v60, vcc_lo
	v_lshlrev_b64 v[63:64], 4, v[63:64]
	v_add_co_u32 v189, vcc_lo, v199, v61
	v_add_co_ci_u32_e32 v190, vcc_lo, v200, v62, vcc_lo
	v_lshlrev_b64 v[61:62], 4, v[65:66]
	v_ashrrev_i32_e32 v68, 31, v67
	v_add_nc_u32_e32 v65, s8, v67
	v_add_co_u32 v196, vcc_lo, v199, v63
	v_add_co_ci_u32_e32 v197, vcc_lo, v200, v64, vcc_lo
	s_delay_alu instid0(VALU_DEP_4) | instskip(NEXT) | instid1(VALU_DEP_4)
	v_lshlrev_b64 v[63:64], 4, v[67:68]
	v_ashrrev_i32_e32 v66, 31, v65
	v_add_nc_u32_e32 v67, s8, v65
	v_add_co_u32 v203, vcc_lo, v199, v61
	v_add_co_ci_u32_e32 v204, vcc_lo, v200, v62, vcc_lo
	s_delay_alu instid0(VALU_DEP_4) | instskip(NEXT) | instid1(VALU_DEP_4)
	;; [unrolled: 6-line block ×9, first 2 shown]
	v_lshlrev_b64 v[63:64], 4, v[67:68]
	v_add_nc_u32_e32 v67, s8, v65
	v_ashrrev_i32_e32 v66, 31, v65
	v_add_co_u32 v219, vcc_lo, v199, v61
	v_add_co_ci_u32_e32 v220, vcc_lo, v200, v62, vcc_lo
	s_delay_alu instid0(VALU_DEP_4) | instskip(NEXT) | instid1(VALU_DEP_4)
	v_ashrrev_i32_e32 v68, 31, v67
	v_lshlrev_b64 v[61:62], 4, v[65:66]
	v_add_co_u32 v221, vcc_lo, v199, v63
	v_add_co_ci_u32_e32 v222, vcc_lo, v200, v64, vcc_lo
	s_delay_alu instid0(VALU_DEP_4) | instskip(SKIP_3) | instid1(VALU_DEP_4)
	v_lshlrev_b64 v[63:64], 4, v[67:68]
	v_add_nc_u32_e32 v65, s8, v67
	v_add_co_u32 v223, vcc_lo, v199, v61
	v_add_co_ci_u32_e32 v224, vcc_lo, v200, v62, vcc_lo
	v_add_co_u32 v225, vcc_lo, v199, v63
	s_delay_alu instid0(VALU_DEP_4) | instskip(SKIP_3) | instid1(VALU_DEP_4)
	v_ashrrev_i32_e32 v66, 31, v65
	v_add_co_ci_u32_e32 v226, vcc_lo, v200, v64, vcc_lo
	v_add_co_u32 v63, vcc_lo, v199, v191
	v_add_co_ci_u32_e32 v64, vcc_lo, 0, v200, vcc_lo
	v_lshlrev_b64 v[61:62], 4, v[65:66]
	s_delay_alu instid0(VALU_DEP_3) | instskip(NEXT) | instid1(VALU_DEP_3)
	v_add_co_u32 v65, vcc_lo, v63, s10
	v_add_co_ci_u32_e32 v66, vcc_lo, s11, v64, vcc_lo
	s_delay_alu instid0(VALU_DEP_3) | instskip(NEXT) | instid1(VALU_DEP_4)
	v_add_co_u32 v227, vcc_lo, v199, v61
	v_add_co_ci_u32_e32 v228, vcc_lo, v200, v62, vcc_lo
	s_clause 0x1f
	global_load_b128 v[180:183], v[63:64], off
	global_load_b128 v[184:187], v[65:66], off
	;; [unrolled: 1-line block ×32, first 2 shown]
	s_clause 0xe
	global_load_b128 v[56:59], v[189:190], off
	global_load_b128 v[52:55], v[196:197], off
	;; [unrolled: 1-line block ×15, first 2 shown]
	v_mul_lo_u32 v196, s2, v188
	s_delay_alu instid0(VALU_DEP_1) | instskip(SKIP_1) | instid1(VALU_DEP_2)
	v_lshl_add_u32 v198, v196, 4, 0
	v_dual_mov_b32 v196, 0 :: v_dual_lshlrev_b32 v203, 4, v196
	v_add_nc_u32_e32 v188, v198, v191
	s_waitcnt vmcnt(46)
	ds_store_2addr_b64 v188, v[180:181], v[182:183] offset1:1
	s_waitcnt vmcnt(0) lgkmcnt(0)
	s_barrier
	buffer_gl0_inv
	ds_load_2addr_b64 v[188:191], v198 offset1:1
	s_cbranch_scc1 .LBB92_6
; %bb.4:
	v_add3_u32 v197, v203, 0, 16
	v_mov_b32_e32 v196, 0
	s_mov_b32 s6, 1
	s_set_inst_prefetch_distance 0x1
	.p2align	6
.LBB92_5:                               ; =>This Inner Loop Header: Depth=1
	ds_load_2addr_b64 v[204:207], v197 offset1:1
	s_waitcnt lgkmcnt(1)
	v_cmp_gt_f64_e32 vcc_lo, 0, v[188:189]
	v_xor_b32_e32 v201, 0x80000000, v189
	v_cmp_gt_f64_e64 s2, 0, v[190:191]
	v_xor_b32_e32 v208, 0x80000000, v191
	v_add_nc_u32_e32 v197, 16, v197
	s_waitcnt lgkmcnt(0)
	v_cmp_gt_f64_e64 s3, 0, v[204:205]
	v_mov_b32_e32 v212, v204
	v_dual_mov_b32 v214, v206 :: v_dual_cndmask_b32 v209, v189, v201
	v_xor_b32_e32 v201, 0x80000000, v205
	v_cndmask_b32_e64 v211, v191, v208, s2
	v_xor_b32_e32 v208, 0x80000000, v207
	v_cndmask_b32_e64 v210, v190, v190, s2
	s_delay_alu instid0(VALU_DEP_4) | instskip(SKIP_1) | instid1(VALU_DEP_1)
	v_cndmask_b32_e64 v213, v205, v201, s3
	v_cmp_gt_f64_e64 s3, 0, v[206:207]
	v_cndmask_b32_e64 v215, v207, v208, s3
	v_cndmask_b32_e32 v208, v188, v188, vcc_lo
	s_delay_alu instid0(VALU_DEP_2) | instskip(NEXT) | instid1(VALU_DEP_2)
	v_add_f64 v[212:213], v[212:213], v[214:215]
	v_add_f64 v[208:209], v[208:209], v[210:211]
	s_delay_alu instid0(VALU_DEP_1)
	v_cmp_lt_f64_e32 vcc_lo, v[208:209], v[212:213]
	v_cndmask_b32_e32 v191, v191, v207, vcc_lo
	v_dual_cndmask_b32 v189, v189, v205 :: v_dual_cndmask_b32 v188, v188, v204
	v_cndmask_b32_e32 v190, v190, v206, vcc_lo
	v_cndmask_b32_e64 v196, v196, s6, vcc_lo
	s_add_i32 s6, s6, 1
	s_delay_alu instid0(SALU_CYCLE_1)
	s_cmp_eq_u32 s5, s6
	s_cbranch_scc0 .LBB92_5
.LBB92_6:
	s_set_inst_prefetch_distance 0x2
	s_waitcnt lgkmcnt(0)
	v_cmp_neq_f64_e32 vcc_lo, 0, v[188:189]
	v_cmp_neq_f64_e64 s2, 0, v[190:191]
	v_mov_b32_e32 v201, 1
	v_mov_b32_e32 v205, 1
	s_delay_alu instid0(VALU_DEP_3) | instskip(NEXT) | instid1(SALU_CYCLE_1)
	s_or_b32 s2, vcc_lo, s2
	s_and_saveexec_b32 s3, s2
	s_cbranch_execz .LBB92_12
; %bb.7:
	v_cmp_gt_f64_e32 vcc_lo, 0, v[188:189]
	v_cmp_gt_f64_e64 s2, 0, v[190:191]
	v_xor_b32_e32 v197, 0x80000000, v189
	v_xor_b32_e32 v201, 0x80000000, v191
                                        ; implicit-def: $sgpr6
                                        ; implicit-def: $sgpr7
	s_delay_alu instid0(VALU_DEP_2) | instskip(NEXT) | instid1(VALU_DEP_2)
	v_dual_cndmask_b32 v205, v189, v197 :: v_dual_cndmask_b32 v204, v188, v188
	v_cndmask_b32_e64 v207, v191, v201, s2
	v_cndmask_b32_e64 v206, v190, v190, s2
	s_mov_b32 s2, exec_lo
	s_delay_alu instid0(VALU_DEP_1)
	v_cmpx_ngt_f64_e32 v[204:205], v[206:207]
	s_xor_b32 s2, exec_lo, s2
	s_cbranch_execz .LBB92_9
; %bb.8:
	v_div_scale_f64 v[204:205], null, v[190:191], v[190:191], v[188:189]
	v_div_scale_f64 v[210:211], vcc_lo, v[188:189], v[190:191], v[188:189]
	s_mov_b32 s7, 2
	s_mov_b32 s6, 0
	s_delay_alu instid0(VALU_DEP_2) | instskip(SKIP_2) | instid1(VALU_DEP_1)
	v_rcp_f64_e32 v[206:207], v[204:205]
	s_waitcnt_depctr 0xfff
	v_fma_f64 v[208:209], -v[204:205], v[206:207], 1.0
	v_fma_f64 v[206:207], v[206:207], v[208:209], v[206:207]
	s_delay_alu instid0(VALU_DEP_1) | instskip(NEXT) | instid1(VALU_DEP_1)
	v_fma_f64 v[208:209], -v[204:205], v[206:207], 1.0
	v_fma_f64 v[206:207], v[206:207], v[208:209], v[206:207]
	s_delay_alu instid0(VALU_DEP_1) | instskip(NEXT) | instid1(VALU_DEP_1)
	v_mul_f64 v[208:209], v[210:211], v[206:207]
	v_fma_f64 v[204:205], -v[204:205], v[208:209], v[210:211]
	s_delay_alu instid0(VALU_DEP_1) | instskip(NEXT) | instid1(VALU_DEP_1)
	v_div_fmas_f64 v[204:205], v[204:205], v[206:207], v[208:209]
	v_div_fixup_f64 v[204:205], v[204:205], v[190:191], v[188:189]
	s_delay_alu instid0(VALU_DEP_1) | instskip(NEXT) | instid1(VALU_DEP_1)
	v_fma_f64 v[188:189], v[188:189], v[204:205], v[190:191]
	v_div_scale_f64 v[190:191], null, v[188:189], v[188:189], 1.0
	s_delay_alu instid0(VALU_DEP_1) | instskip(SKIP_2) | instid1(VALU_DEP_1)
	v_rcp_f64_e32 v[206:207], v[190:191]
	s_waitcnt_depctr 0xfff
	v_fma_f64 v[208:209], -v[190:191], v[206:207], 1.0
	v_fma_f64 v[206:207], v[206:207], v[208:209], v[206:207]
	s_delay_alu instid0(VALU_DEP_1) | instskip(NEXT) | instid1(VALU_DEP_1)
	v_fma_f64 v[208:209], -v[190:191], v[206:207], 1.0
	v_fma_f64 v[206:207], v[206:207], v[208:209], v[206:207]
	v_div_scale_f64 v[208:209], vcc_lo, 1.0, v[188:189], 1.0
	s_delay_alu instid0(VALU_DEP_1) | instskip(NEXT) | instid1(VALU_DEP_1)
	v_mul_f64 v[210:211], v[208:209], v[206:207]
	v_fma_f64 v[190:191], -v[190:191], v[210:211], v[208:209]
	s_delay_alu instid0(VALU_DEP_1) | instskip(NEXT) | instid1(VALU_DEP_1)
	v_div_fmas_f64 v[190:191], v[190:191], v[206:207], v[210:211]
	v_div_fixup_f64 v[190:191], v[190:191], v[188:189], 1.0
	s_delay_alu instid0(VALU_DEP_1)
	v_mul_f64 v[188:189], v[204:205], v[190:191]
	v_xor_b32_e32 v191, 0x80000000, v191
.LBB92_9:
	s_or_saveexec_b32 s2, s2
	v_mov_b32_e32 v205, s6
	v_mov_b32_e32 v201, s7
	s_xor_b32 exec_lo, exec_lo, s2
	s_cbranch_execz .LBB92_11
; %bb.10:
	s_delay_alu instid0(VALU_DEP_4) | instskip(SKIP_2) | instid1(VALU_DEP_3)
	v_div_scale_f64 v[204:205], null, v[188:189], v[188:189], v[190:191]
	v_div_scale_f64 v[210:211], vcc_lo, v[190:191], v[188:189], v[190:191]
	v_mov_b32_e32 v201, 2
	v_rcp_f64_e32 v[206:207], v[204:205]
	s_waitcnt_depctr 0xfff
	v_fma_f64 v[208:209], -v[204:205], v[206:207], 1.0
	s_delay_alu instid0(VALU_DEP_1) | instskip(NEXT) | instid1(VALU_DEP_1)
	v_fma_f64 v[206:207], v[206:207], v[208:209], v[206:207]
	v_fma_f64 v[208:209], -v[204:205], v[206:207], 1.0
	s_delay_alu instid0(VALU_DEP_1) | instskip(NEXT) | instid1(VALU_DEP_1)
	v_fma_f64 v[206:207], v[206:207], v[208:209], v[206:207]
	v_mul_f64 v[208:209], v[210:211], v[206:207]
	s_delay_alu instid0(VALU_DEP_1) | instskip(NEXT) | instid1(VALU_DEP_1)
	v_fma_f64 v[204:205], -v[204:205], v[208:209], v[210:211]
	v_div_fmas_f64 v[204:205], v[204:205], v[206:207], v[208:209]
	s_delay_alu instid0(VALU_DEP_1) | instskip(NEXT) | instid1(VALU_DEP_1)
	v_div_fixup_f64 v[204:205], v[204:205], v[188:189], v[190:191]
	v_fma_f64 v[188:189], v[190:191], v[204:205], v[188:189]
	s_delay_alu instid0(VALU_DEP_1) | instskip(NEXT) | instid1(VALU_DEP_1)
	v_div_scale_f64 v[190:191], null, v[188:189], v[188:189], 1.0
	v_rcp_f64_e32 v[206:207], v[190:191]
	s_waitcnt_depctr 0xfff
	v_fma_f64 v[208:209], -v[190:191], v[206:207], 1.0
	s_delay_alu instid0(VALU_DEP_1) | instskip(NEXT) | instid1(VALU_DEP_1)
	v_fma_f64 v[206:207], v[206:207], v[208:209], v[206:207]
	v_fma_f64 v[208:209], -v[190:191], v[206:207], 1.0
	s_delay_alu instid0(VALU_DEP_1) | instskip(SKIP_1) | instid1(VALU_DEP_1)
	v_fma_f64 v[206:207], v[206:207], v[208:209], v[206:207]
	v_div_scale_f64 v[208:209], vcc_lo, 1.0, v[188:189], 1.0
	v_mul_f64 v[210:211], v[208:209], v[206:207]
	s_delay_alu instid0(VALU_DEP_1) | instskip(NEXT) | instid1(VALU_DEP_1)
	v_fma_f64 v[190:191], -v[190:191], v[210:211], v[208:209]
	v_div_fmas_f64 v[190:191], v[190:191], v[206:207], v[210:211]
	s_delay_alu instid0(VALU_DEP_1) | instskip(NEXT) | instid1(VALU_DEP_1)
	v_div_fixup_f64 v[188:189], v[190:191], v[188:189], 1.0
	v_mul_f64 v[190:191], v[204:205], -v[188:189]
	v_mov_b32_e32 v205, 0
.LBB92_11:
	s_or_b32 exec_lo, exec_lo, s2
.LBB92_12:
	s_delay_alu instid0(SALU_CYCLE_1) | instskip(NEXT) | instid1(SALU_CYCLE_1)
	s_or_b32 exec_lo, exec_lo, s3
	s_mov_b32 s2, exec_lo
	v_cmpx_ne_u32_e64 v202, v196
	s_xor_b32 s2, exec_lo, s2
	s_cbranch_execz .LBB92_18
; %bb.13:
	s_mov_b32 s3, exec_lo
	v_cmpx_eq_u32_e32 0, v202
	s_cbranch_execz .LBB92_17
; %bb.14:
	v_cmp_ne_u32_e32 vcc_lo, 0, v196
	s_xor_b32 s6, s4, -1
	s_delay_alu instid0(SALU_CYCLE_1) | instskip(NEXT) | instid1(SALU_CYCLE_1)
	s_and_b32 s7, s6, vcc_lo
	s_and_saveexec_b32 s6, s7
	s_cbranch_execz .LBB92_16
; %bb.15:
	v_ashrrev_i32_e32 v197, 31, v196
	s_delay_alu instid0(VALU_DEP_1) | instskip(NEXT) | instid1(VALU_DEP_1)
	v_lshlrev_b64 v[206:207], 2, v[196:197]
	v_add_co_u32 v206, vcc_lo, v194, v206
	s_delay_alu instid0(VALU_DEP_2)
	v_add_co_ci_u32_e32 v207, vcc_lo, v195, v207, vcc_lo
	s_clause 0x1
	flat_load_b32 v197, v[206:207]
	flat_load_b32 v202, v[194:195]
	s_waitcnt vmcnt(1) lgkmcnt(1)
	flat_store_b32 v[194:195], v197
	s_waitcnt vmcnt(0) lgkmcnt(1)
	flat_store_b32 v[206:207], v202
.LBB92_16:
	s_or_b32 exec_lo, exec_lo, s6
	v_mov_b32_e32 v202, v196
.LBB92_17:
	s_or_b32 exec_lo, exec_lo, s3
.LBB92_18:
	s_or_saveexec_b32 s2, s2
	s_delay_alu instid0(VALU_DEP_1)
	v_mov_b32_e32 v204, v202
	s_xor_b32 exec_lo, exec_lo, s2
	s_cbranch_execz .LBB92_20
; %bb.19:
	v_mov_b32_e32 v204, 0
	ds_store_2addr_b64 v198, v[184:185], v[186:187] offset0:2 offset1:3
	ds_store_2addr_b64 v198, v[176:177], v[178:179] offset0:4 offset1:5
	;; [unrolled: 1-line block ×46, first 2 shown]
.LBB92_20:
	s_or_b32 exec_lo, exec_lo, s2
	s_delay_alu instid0(SALU_CYCLE_1)
	s_mov_b32 s2, exec_lo
	s_waitcnt lgkmcnt(0)
	s_waitcnt_vscnt null, 0x0
	s_barrier
	buffer_gl0_inv
	v_cmpx_lt_i32_e32 0, v204
	s_cbranch_execz .LBB92_22
; %bb.21:
	v_mul_f64 v[196:197], v[190:191], v[182:183]
	v_mul_f64 v[182:183], v[188:189], v[182:183]
	s_delay_alu instid0(VALU_DEP_2) | instskip(NEXT) | instid1(VALU_DEP_2)
	v_fma_f64 v[196:197], v[188:189], v[180:181], -v[196:197]
	v_fma_f64 v[182:183], v[190:191], v[180:181], v[182:183]
	ds_load_2addr_b64 v[188:191], v198 offset0:2 offset1:3
	s_waitcnt lgkmcnt(0)
	v_mul_f64 v[180:181], v[190:191], v[182:183]
	s_delay_alu instid0(VALU_DEP_1) | instskip(SKIP_1) | instid1(VALU_DEP_2)
	v_fma_f64 v[180:181], v[188:189], v[196:197], -v[180:181]
	v_mul_f64 v[188:189], v[188:189], v[182:183]
	v_add_f64 v[184:185], v[184:185], -v[180:181]
	s_delay_alu instid0(VALU_DEP_2) | instskip(NEXT) | instid1(VALU_DEP_1)
	v_fma_f64 v[188:189], v[190:191], v[196:197], v[188:189]
	v_add_f64 v[186:187], v[186:187], -v[188:189]
	ds_load_2addr_b64 v[188:191], v198 offset0:4 offset1:5
	s_waitcnt lgkmcnt(0)
	v_mul_f64 v[180:181], v[190:191], v[182:183]
	s_delay_alu instid0(VALU_DEP_1) | instskip(SKIP_1) | instid1(VALU_DEP_2)
	v_fma_f64 v[180:181], v[188:189], v[196:197], -v[180:181]
	v_mul_f64 v[188:189], v[188:189], v[182:183]
	v_add_f64 v[176:177], v[176:177], -v[180:181]
	s_delay_alu instid0(VALU_DEP_2) | instskip(NEXT) | instid1(VALU_DEP_1)
	v_fma_f64 v[188:189], v[190:191], v[196:197], v[188:189]
	v_add_f64 v[178:179], v[178:179], -v[188:189]
	;; [unrolled: 10-line block ×45, first 2 shown]
	ds_load_2addr_b64 v[188:191], v198 offset0:92 offset1:93
	s_waitcnt lgkmcnt(0)
	v_mul_f64 v[180:181], v[190:191], v[182:183]
	s_delay_alu instid0(VALU_DEP_1) | instskip(SKIP_1) | instid1(VALU_DEP_2)
	v_fma_f64 v[180:181], v[188:189], v[196:197], -v[180:181]
	v_mul_f64 v[188:189], v[188:189], v[182:183]
	v_add_f64 v[0:1], v[0:1], -v[180:181]
	s_delay_alu instid0(VALU_DEP_2) | instskip(SKIP_1) | instid1(VALU_DEP_2)
	v_fma_f64 v[188:189], v[190:191], v[196:197], v[188:189]
	v_dual_mov_b32 v180, v196 :: v_dual_mov_b32 v181, v197
	v_add_f64 v[2:3], v[2:3], -v[188:189]
.LBB92_22:
	s_or_b32 exec_lo, exec_lo, s2
	v_lshl_add_u32 v188, v204, 4, v198
	s_barrier
	buffer_gl0_inv
	v_mov_b32_e32 v196, 1
	ds_store_2addr_b64 v188, v[184:185], v[186:187] offset1:1
	s_waitcnt lgkmcnt(0)
	s_barrier
	buffer_gl0_inv
	ds_load_2addr_b64 v[188:191], v198 offset0:2 offset1:3
	s_cmp_lt_i32 s5, 3
	s_cbranch_scc1 .LBB92_25
; %bb.23:
	v_add3_u32 v197, v203, 0, 32
	v_mov_b32_e32 v196, 1
	s_mov_b32 s6, 2
	s_set_inst_prefetch_distance 0x1
	.p2align	6
.LBB92_24:                              ; =>This Inner Loop Header: Depth=1
	ds_load_2addr_b64 v[206:209], v197 offset1:1
	s_waitcnt lgkmcnt(1)
	v_cmp_gt_f64_e32 vcc_lo, 0, v[188:189]
	v_xor_b32_e32 v210, 0x80000000, v189
	v_cmp_gt_f64_e64 s2, 0, v[190:191]
	v_xor_b32_e32 v212, 0x80000000, v191
	v_add_nc_u32_e32 v197, 16, v197
	s_waitcnt lgkmcnt(0)
	v_cmp_gt_f64_e64 s3, 0, v[206:207]
	v_mov_b32_e32 v214, v206
	v_dual_mov_b32 v216, v208 :: v_dual_cndmask_b32 v211, v189, v210
	v_xor_b32_e32 v210, 0x80000000, v207
	v_cndmask_b32_e64 v213, v191, v212, s2
	v_xor_b32_e32 v212, 0x80000000, v209
	s_delay_alu instid0(VALU_DEP_3) | instskip(SKIP_2) | instid1(VALU_DEP_2)
	v_cndmask_b32_e64 v215, v207, v210, s3
	v_cmp_gt_f64_e64 s3, 0, v[208:209]
	v_cndmask_b32_e32 v210, v188, v188, vcc_lo
	v_cndmask_b32_e64 v217, v209, v212, s3
	v_cndmask_b32_e64 v212, v190, v190, s2
	s_delay_alu instid0(VALU_DEP_2) | instskip(NEXT) | instid1(VALU_DEP_2)
	v_add_f64 v[214:215], v[214:215], v[216:217]
	v_add_f64 v[210:211], v[210:211], v[212:213]
	s_delay_alu instid0(VALU_DEP_1)
	v_cmp_lt_f64_e32 vcc_lo, v[210:211], v[214:215]
	v_cndmask_b32_e32 v191, v191, v209, vcc_lo
	v_dual_cndmask_b32 v189, v189, v207 :: v_dual_cndmask_b32 v188, v188, v206
	v_cndmask_b32_e32 v190, v190, v208, vcc_lo
	v_cndmask_b32_e64 v196, v196, s6, vcc_lo
	s_add_i32 s6, s6, 1
	s_delay_alu instid0(SALU_CYCLE_1)
	s_cmp_lg_u32 s5, s6
	s_cbranch_scc1 .LBB92_24
.LBB92_25:
	s_set_inst_prefetch_distance 0x2
	s_waitcnt lgkmcnt(0)
	v_cmp_neq_f64_e32 vcc_lo, 0, v[188:189]
	v_cmp_neq_f64_e64 s2, 0, v[190:191]
	s_delay_alu instid0(VALU_DEP_1) | instskip(NEXT) | instid1(SALU_CYCLE_1)
	s_or_b32 s2, vcc_lo, s2
	s_and_saveexec_b32 s3, s2
	s_cbranch_execz .LBB92_31
; %bb.26:
	v_cmp_gt_f64_e32 vcc_lo, 0, v[188:189]
	v_cmp_gt_f64_e64 s2, 0, v[190:191]
	v_xor_b32_e32 v197, 0x80000000, v189
	v_xor_b32_e32 v201, 0x80000000, v191
	s_delay_alu instid0(VALU_DEP_2) | instskip(NEXT) | instid1(VALU_DEP_2)
	v_dual_cndmask_b32 v207, v189, v197 :: v_dual_cndmask_b32 v206, v188, v188
	v_cndmask_b32_e64 v209, v191, v201, s2
	v_cndmask_b32_e64 v208, v190, v190, s2
	s_mov_b32 s2, exec_lo
	s_delay_alu instid0(VALU_DEP_1)
	v_cmpx_ngt_f64_e32 v[206:207], v[208:209]
	s_xor_b32 s2, exec_lo, s2
	s_cbranch_execz .LBB92_28
; %bb.27:
	v_div_scale_f64 v[206:207], null, v[190:191], v[190:191], v[188:189]
	v_div_scale_f64 v[212:213], vcc_lo, v[188:189], v[190:191], v[188:189]
	s_delay_alu instid0(VALU_DEP_2) | instskip(SKIP_2) | instid1(VALU_DEP_1)
	v_rcp_f64_e32 v[208:209], v[206:207]
	s_waitcnt_depctr 0xfff
	v_fma_f64 v[210:211], -v[206:207], v[208:209], 1.0
	v_fma_f64 v[208:209], v[208:209], v[210:211], v[208:209]
	s_delay_alu instid0(VALU_DEP_1) | instskip(NEXT) | instid1(VALU_DEP_1)
	v_fma_f64 v[210:211], -v[206:207], v[208:209], 1.0
	v_fma_f64 v[208:209], v[208:209], v[210:211], v[208:209]
	s_delay_alu instid0(VALU_DEP_1) | instskip(NEXT) | instid1(VALU_DEP_1)
	v_mul_f64 v[210:211], v[212:213], v[208:209]
	v_fma_f64 v[206:207], -v[206:207], v[210:211], v[212:213]
	s_delay_alu instid0(VALU_DEP_1) | instskip(NEXT) | instid1(VALU_DEP_1)
	v_div_fmas_f64 v[206:207], v[206:207], v[208:209], v[210:211]
	v_div_fixup_f64 v[206:207], v[206:207], v[190:191], v[188:189]
	s_delay_alu instid0(VALU_DEP_1) | instskip(NEXT) | instid1(VALU_DEP_1)
	v_fma_f64 v[188:189], v[188:189], v[206:207], v[190:191]
	v_div_scale_f64 v[190:191], null, v[188:189], v[188:189], 1.0
	s_delay_alu instid0(VALU_DEP_1) | instskip(SKIP_2) | instid1(VALU_DEP_1)
	v_rcp_f64_e32 v[208:209], v[190:191]
	s_waitcnt_depctr 0xfff
	v_fma_f64 v[210:211], -v[190:191], v[208:209], 1.0
	v_fma_f64 v[208:209], v[208:209], v[210:211], v[208:209]
	s_delay_alu instid0(VALU_DEP_1) | instskip(NEXT) | instid1(VALU_DEP_1)
	v_fma_f64 v[210:211], -v[190:191], v[208:209], 1.0
	v_fma_f64 v[208:209], v[208:209], v[210:211], v[208:209]
	v_div_scale_f64 v[210:211], vcc_lo, 1.0, v[188:189], 1.0
	s_delay_alu instid0(VALU_DEP_1) | instskip(NEXT) | instid1(VALU_DEP_1)
	v_mul_f64 v[212:213], v[210:211], v[208:209]
	v_fma_f64 v[190:191], -v[190:191], v[212:213], v[210:211]
	s_delay_alu instid0(VALU_DEP_1) | instskip(NEXT) | instid1(VALU_DEP_1)
	v_div_fmas_f64 v[190:191], v[190:191], v[208:209], v[212:213]
	v_div_fixup_f64 v[190:191], v[190:191], v[188:189], 1.0
	s_delay_alu instid0(VALU_DEP_1)
	v_mul_f64 v[188:189], v[206:207], v[190:191]
	v_xor_b32_e32 v191, 0x80000000, v191
.LBB92_28:
	s_and_not1_saveexec_b32 s2, s2
	s_cbranch_execz .LBB92_30
; %bb.29:
	s_delay_alu instid0(VALU_DEP_1) | instskip(SKIP_1) | instid1(VALU_DEP_2)
	v_div_scale_f64 v[206:207], null, v[188:189], v[188:189], v[190:191]
	v_div_scale_f64 v[212:213], vcc_lo, v[190:191], v[188:189], v[190:191]
	v_rcp_f64_e32 v[208:209], v[206:207]
	s_waitcnt_depctr 0xfff
	v_fma_f64 v[210:211], -v[206:207], v[208:209], 1.0
	s_delay_alu instid0(VALU_DEP_1) | instskip(NEXT) | instid1(VALU_DEP_1)
	v_fma_f64 v[208:209], v[208:209], v[210:211], v[208:209]
	v_fma_f64 v[210:211], -v[206:207], v[208:209], 1.0
	s_delay_alu instid0(VALU_DEP_1) | instskip(NEXT) | instid1(VALU_DEP_1)
	v_fma_f64 v[208:209], v[208:209], v[210:211], v[208:209]
	v_mul_f64 v[210:211], v[212:213], v[208:209]
	s_delay_alu instid0(VALU_DEP_1) | instskip(NEXT) | instid1(VALU_DEP_1)
	v_fma_f64 v[206:207], -v[206:207], v[210:211], v[212:213]
	v_div_fmas_f64 v[206:207], v[206:207], v[208:209], v[210:211]
	s_delay_alu instid0(VALU_DEP_1) | instskip(NEXT) | instid1(VALU_DEP_1)
	v_div_fixup_f64 v[206:207], v[206:207], v[188:189], v[190:191]
	v_fma_f64 v[188:189], v[190:191], v[206:207], v[188:189]
	s_delay_alu instid0(VALU_DEP_1) | instskip(NEXT) | instid1(VALU_DEP_1)
	v_div_scale_f64 v[190:191], null, v[188:189], v[188:189], 1.0
	v_rcp_f64_e32 v[208:209], v[190:191]
	s_waitcnt_depctr 0xfff
	v_fma_f64 v[210:211], -v[190:191], v[208:209], 1.0
	s_delay_alu instid0(VALU_DEP_1) | instskip(NEXT) | instid1(VALU_DEP_1)
	v_fma_f64 v[208:209], v[208:209], v[210:211], v[208:209]
	v_fma_f64 v[210:211], -v[190:191], v[208:209], 1.0
	s_delay_alu instid0(VALU_DEP_1) | instskip(SKIP_1) | instid1(VALU_DEP_1)
	v_fma_f64 v[208:209], v[208:209], v[210:211], v[208:209]
	v_div_scale_f64 v[210:211], vcc_lo, 1.0, v[188:189], 1.0
	v_mul_f64 v[212:213], v[210:211], v[208:209]
	s_delay_alu instid0(VALU_DEP_1) | instskip(NEXT) | instid1(VALU_DEP_1)
	v_fma_f64 v[190:191], -v[190:191], v[212:213], v[210:211]
	v_div_fmas_f64 v[190:191], v[190:191], v[208:209], v[212:213]
	s_delay_alu instid0(VALU_DEP_1) | instskip(NEXT) | instid1(VALU_DEP_1)
	v_div_fixup_f64 v[188:189], v[190:191], v[188:189], 1.0
	v_mul_f64 v[190:191], v[206:207], -v[188:189]
.LBB92_30:
	s_or_b32 exec_lo, exec_lo, s2
	v_mov_b32_e32 v201, v205
.LBB92_31:
	s_or_b32 exec_lo, exec_lo, s3
	s_delay_alu instid0(SALU_CYCLE_1)
	s_mov_b32 s2, exec_lo
	v_cmpx_ne_u32_e64 v204, v196
	s_xor_b32 s2, exec_lo, s2
	s_cbranch_execz .LBB92_37
; %bb.32:
	s_mov_b32 s3, exec_lo
	v_cmpx_eq_u32_e32 1, v204
	s_cbranch_execz .LBB92_36
; %bb.33:
	v_cmp_ne_u32_e32 vcc_lo, 1, v196
	s_xor_b32 s6, s4, -1
	s_delay_alu instid0(SALU_CYCLE_1) | instskip(NEXT) | instid1(SALU_CYCLE_1)
	s_and_b32 s7, s6, vcc_lo
	s_and_saveexec_b32 s6, s7
	s_cbranch_execz .LBB92_35
; %bb.34:
	v_ashrrev_i32_e32 v197, 31, v196
	s_delay_alu instid0(VALU_DEP_1) | instskip(NEXT) | instid1(VALU_DEP_1)
	v_lshlrev_b64 v[204:205], 2, v[196:197]
	v_add_co_u32 v204, vcc_lo, v194, v204
	s_delay_alu instid0(VALU_DEP_2)
	v_add_co_ci_u32_e32 v205, vcc_lo, v195, v205, vcc_lo
	s_clause 0x1
	flat_load_b32 v197, v[204:205]
	flat_load_b32 v202, v[194:195] offset:4
	s_waitcnt vmcnt(1) lgkmcnt(1)
	flat_store_b32 v[194:195], v197 offset:4
	s_waitcnt vmcnt(0) lgkmcnt(1)
	flat_store_b32 v[204:205], v202
.LBB92_35:
	s_or_b32 exec_lo, exec_lo, s6
	v_mov_b32_e32 v204, v196
	v_mov_b32_e32 v202, v196
.LBB92_36:
	s_or_b32 exec_lo, exec_lo, s3
.LBB92_37:
	s_and_not1_saveexec_b32 s2, s2
	s_cbranch_execz .LBB92_39
; %bb.38:
	v_mov_b32_e32 v204, 1
	ds_store_2addr_b64 v198, v[176:177], v[178:179] offset0:4 offset1:5
	ds_store_2addr_b64 v198, v[172:173], v[174:175] offset0:6 offset1:7
	;; [unrolled: 1-line block ×45, first 2 shown]
.LBB92_39:
	s_or_b32 exec_lo, exec_lo, s2
	s_delay_alu instid0(SALU_CYCLE_1)
	s_mov_b32 s2, exec_lo
	s_waitcnt lgkmcnt(0)
	s_waitcnt_vscnt null, 0x0
	s_barrier
	buffer_gl0_inv
	v_cmpx_lt_i32_e32 1, v204
	s_cbranch_execz .LBB92_41
; %bb.40:
	v_mul_f64 v[196:197], v[190:191], v[186:187]
	v_mul_f64 v[186:187], v[188:189], v[186:187]
	s_delay_alu instid0(VALU_DEP_2) | instskip(NEXT) | instid1(VALU_DEP_2)
	v_fma_f64 v[196:197], v[188:189], v[184:185], -v[196:197]
	v_fma_f64 v[186:187], v[190:191], v[184:185], v[186:187]
	ds_load_2addr_b64 v[188:191], v198 offset0:4 offset1:5
	s_waitcnt lgkmcnt(0)
	v_mul_f64 v[184:185], v[190:191], v[186:187]
	s_delay_alu instid0(VALU_DEP_1) | instskip(SKIP_1) | instid1(VALU_DEP_2)
	v_fma_f64 v[184:185], v[188:189], v[196:197], -v[184:185]
	v_mul_f64 v[188:189], v[188:189], v[186:187]
	v_add_f64 v[176:177], v[176:177], -v[184:185]
	s_delay_alu instid0(VALU_DEP_2) | instskip(NEXT) | instid1(VALU_DEP_1)
	v_fma_f64 v[188:189], v[190:191], v[196:197], v[188:189]
	v_add_f64 v[178:179], v[178:179], -v[188:189]
	ds_load_2addr_b64 v[188:191], v198 offset0:6 offset1:7
	s_waitcnt lgkmcnt(0)
	v_mul_f64 v[184:185], v[190:191], v[186:187]
	s_delay_alu instid0(VALU_DEP_1) | instskip(SKIP_1) | instid1(VALU_DEP_2)
	v_fma_f64 v[184:185], v[188:189], v[196:197], -v[184:185]
	v_mul_f64 v[188:189], v[188:189], v[186:187]
	v_add_f64 v[172:173], v[172:173], -v[184:185]
	s_delay_alu instid0(VALU_DEP_2) | instskip(NEXT) | instid1(VALU_DEP_1)
	v_fma_f64 v[188:189], v[190:191], v[196:197], v[188:189]
	v_add_f64 v[174:175], v[174:175], -v[188:189]
	;; [unrolled: 10-line block ×44, first 2 shown]
	ds_load_2addr_b64 v[188:191], v198 offset0:92 offset1:93
	s_waitcnt lgkmcnt(0)
	v_mul_f64 v[184:185], v[190:191], v[186:187]
	s_delay_alu instid0(VALU_DEP_1) | instskip(SKIP_1) | instid1(VALU_DEP_2)
	v_fma_f64 v[184:185], v[188:189], v[196:197], -v[184:185]
	v_mul_f64 v[188:189], v[188:189], v[186:187]
	v_add_f64 v[0:1], v[0:1], -v[184:185]
	s_delay_alu instid0(VALU_DEP_2) | instskip(SKIP_1) | instid1(VALU_DEP_2)
	v_fma_f64 v[188:189], v[190:191], v[196:197], v[188:189]
	v_dual_mov_b32 v184, v196 :: v_dual_mov_b32 v185, v197
	v_add_f64 v[2:3], v[2:3], -v[188:189]
.LBB92_41:
	s_or_b32 exec_lo, exec_lo, s2
	v_lshl_add_u32 v188, v204, 4, v198
	s_barrier
	buffer_gl0_inv
	v_mov_b32_e32 v196, 2
	ds_store_2addr_b64 v188, v[176:177], v[178:179] offset1:1
	s_waitcnt lgkmcnt(0)
	s_barrier
	buffer_gl0_inv
	ds_load_2addr_b64 v[188:191], v198 offset0:4 offset1:5
	s_cmp_lt_i32 s5, 4
	s_cbranch_scc1 .LBB92_44
; %bb.42:
	v_add3_u32 v197, v203, 0, 48
	v_mov_b32_e32 v196, 2
	s_mov_b32 s6, 3
	s_set_inst_prefetch_distance 0x1
	.p2align	6
.LBB92_43:                              ; =>This Inner Loop Header: Depth=1
	ds_load_2addr_b64 v[205:208], v197 offset1:1
	s_waitcnt lgkmcnt(1)
	v_cmp_gt_f64_e32 vcc_lo, 0, v[188:189]
	v_xor_b32_e32 v209, 0x80000000, v189
	v_cmp_gt_f64_e64 s2, 0, v[190:191]
	v_xor_b32_e32 v211, 0x80000000, v191
	v_add_nc_u32_e32 v197, 16, v197
	s_waitcnt lgkmcnt(0)
	v_cmp_gt_f64_e64 s3, 0, v[205:206]
	v_mov_b32_e32 v213, v205
	v_dual_mov_b32 v215, v207 :: v_dual_cndmask_b32 v210, v189, v209
	v_xor_b32_e32 v209, 0x80000000, v206
	v_cndmask_b32_e64 v212, v191, v211, s2
	v_xor_b32_e32 v211, 0x80000000, v208
	s_delay_alu instid0(VALU_DEP_3) | instskip(SKIP_2) | instid1(VALU_DEP_2)
	v_cndmask_b32_e64 v214, v206, v209, s3
	v_cmp_gt_f64_e64 s3, 0, v[207:208]
	v_cndmask_b32_e32 v209, v188, v188, vcc_lo
	v_cndmask_b32_e64 v216, v208, v211, s3
	v_cndmask_b32_e64 v211, v190, v190, s2
	s_delay_alu instid0(VALU_DEP_2) | instskip(NEXT) | instid1(VALU_DEP_2)
	v_add_f64 v[213:214], v[213:214], v[215:216]
	v_add_f64 v[209:210], v[209:210], v[211:212]
	s_delay_alu instid0(VALU_DEP_1) | instskip(SKIP_4) | instid1(SALU_CYCLE_1)
	v_cmp_lt_f64_e32 vcc_lo, v[209:210], v[213:214]
	v_dual_cndmask_b32 v190, v190, v207 :: v_dual_cndmask_b32 v189, v189, v206
	v_dual_cndmask_b32 v188, v188, v205 :: v_dual_cndmask_b32 v191, v191, v208
	v_cndmask_b32_e64 v196, v196, s6, vcc_lo
	s_add_i32 s6, s6, 1
	s_cmp_lg_u32 s5, s6
	s_cbranch_scc1 .LBB92_43
.LBB92_44:
	s_set_inst_prefetch_distance 0x2
	s_waitcnt lgkmcnt(0)
	v_cmp_eq_f64_e32 vcc_lo, 0, v[188:189]
	v_cmp_eq_f64_e64 s2, 0, v[190:191]
	s_delay_alu instid0(VALU_DEP_1) | instskip(NEXT) | instid1(SALU_CYCLE_1)
	s_and_b32 s2, vcc_lo, s2
	s_and_saveexec_b32 s3, s2
	s_delay_alu instid0(SALU_CYCLE_1)
	s_xor_b32 s2, exec_lo, s3
; %bb.45:
	v_cmp_ne_u32_e32 vcc_lo, 0, v201
	v_cndmask_b32_e32 v201, 3, v201, vcc_lo
; %bb.46:
	s_and_not1_saveexec_b32 s3, s2
	s_cbranch_execz .LBB92_52
; %bb.47:
	v_cmp_gt_f64_e32 vcc_lo, 0, v[188:189]
	v_cmp_gt_f64_e64 s2, 0, v[190:191]
	v_xor_b32_e32 v197, 0x80000000, v189
	v_xor_b32_e32 v205, 0x80000000, v191
	s_delay_alu instid0(VALU_DEP_2) | instskip(NEXT) | instid1(VALU_DEP_2)
	v_cndmask_b32_e32 v206, v189, v197, vcc_lo
	v_cndmask_b32_e64 v208, v191, v205, s2
	v_cndmask_b32_e32 v205, v188, v188, vcc_lo
	v_cndmask_b32_e64 v207, v190, v190, s2
	s_mov_b32 s2, exec_lo
	s_delay_alu instid0(VALU_DEP_1)
	v_cmpx_ngt_f64_e32 v[205:206], v[207:208]
	s_xor_b32 s2, exec_lo, s2
	s_cbranch_execz .LBB92_49
; %bb.48:
	v_div_scale_f64 v[205:206], null, v[190:191], v[190:191], v[188:189]
	v_div_scale_f64 v[211:212], vcc_lo, v[188:189], v[190:191], v[188:189]
	s_delay_alu instid0(VALU_DEP_2) | instskip(SKIP_2) | instid1(VALU_DEP_1)
	v_rcp_f64_e32 v[207:208], v[205:206]
	s_waitcnt_depctr 0xfff
	v_fma_f64 v[209:210], -v[205:206], v[207:208], 1.0
	v_fma_f64 v[207:208], v[207:208], v[209:210], v[207:208]
	s_delay_alu instid0(VALU_DEP_1) | instskip(NEXT) | instid1(VALU_DEP_1)
	v_fma_f64 v[209:210], -v[205:206], v[207:208], 1.0
	v_fma_f64 v[207:208], v[207:208], v[209:210], v[207:208]
	s_delay_alu instid0(VALU_DEP_1) | instskip(NEXT) | instid1(VALU_DEP_1)
	v_mul_f64 v[209:210], v[211:212], v[207:208]
	v_fma_f64 v[205:206], -v[205:206], v[209:210], v[211:212]
	s_delay_alu instid0(VALU_DEP_1) | instskip(NEXT) | instid1(VALU_DEP_1)
	v_div_fmas_f64 v[205:206], v[205:206], v[207:208], v[209:210]
	v_div_fixup_f64 v[205:206], v[205:206], v[190:191], v[188:189]
	s_delay_alu instid0(VALU_DEP_1) | instskip(NEXT) | instid1(VALU_DEP_1)
	v_fma_f64 v[188:189], v[188:189], v[205:206], v[190:191]
	v_div_scale_f64 v[190:191], null, v[188:189], v[188:189], 1.0
	s_delay_alu instid0(VALU_DEP_1) | instskip(SKIP_2) | instid1(VALU_DEP_1)
	v_rcp_f64_e32 v[207:208], v[190:191]
	s_waitcnt_depctr 0xfff
	v_fma_f64 v[209:210], -v[190:191], v[207:208], 1.0
	v_fma_f64 v[207:208], v[207:208], v[209:210], v[207:208]
	s_delay_alu instid0(VALU_DEP_1) | instskip(NEXT) | instid1(VALU_DEP_1)
	v_fma_f64 v[209:210], -v[190:191], v[207:208], 1.0
	v_fma_f64 v[207:208], v[207:208], v[209:210], v[207:208]
	v_div_scale_f64 v[209:210], vcc_lo, 1.0, v[188:189], 1.0
	s_delay_alu instid0(VALU_DEP_1) | instskip(NEXT) | instid1(VALU_DEP_1)
	v_mul_f64 v[211:212], v[209:210], v[207:208]
	v_fma_f64 v[190:191], -v[190:191], v[211:212], v[209:210]
	s_delay_alu instid0(VALU_DEP_1) | instskip(NEXT) | instid1(VALU_DEP_1)
	v_div_fmas_f64 v[190:191], v[190:191], v[207:208], v[211:212]
	v_div_fixup_f64 v[190:191], v[190:191], v[188:189], 1.0
	s_delay_alu instid0(VALU_DEP_1)
	v_mul_f64 v[188:189], v[205:206], v[190:191]
	v_xor_b32_e32 v191, 0x80000000, v191
.LBB92_49:
	s_and_not1_saveexec_b32 s2, s2
	s_cbranch_execz .LBB92_51
; %bb.50:
	s_delay_alu instid0(VALU_DEP_1) | instskip(SKIP_1) | instid1(VALU_DEP_2)
	v_div_scale_f64 v[205:206], null, v[188:189], v[188:189], v[190:191]
	v_div_scale_f64 v[211:212], vcc_lo, v[190:191], v[188:189], v[190:191]
	v_rcp_f64_e32 v[207:208], v[205:206]
	s_waitcnt_depctr 0xfff
	v_fma_f64 v[209:210], -v[205:206], v[207:208], 1.0
	s_delay_alu instid0(VALU_DEP_1) | instskip(NEXT) | instid1(VALU_DEP_1)
	v_fma_f64 v[207:208], v[207:208], v[209:210], v[207:208]
	v_fma_f64 v[209:210], -v[205:206], v[207:208], 1.0
	s_delay_alu instid0(VALU_DEP_1) | instskip(NEXT) | instid1(VALU_DEP_1)
	v_fma_f64 v[207:208], v[207:208], v[209:210], v[207:208]
	v_mul_f64 v[209:210], v[211:212], v[207:208]
	s_delay_alu instid0(VALU_DEP_1) | instskip(NEXT) | instid1(VALU_DEP_1)
	v_fma_f64 v[205:206], -v[205:206], v[209:210], v[211:212]
	v_div_fmas_f64 v[205:206], v[205:206], v[207:208], v[209:210]
	s_delay_alu instid0(VALU_DEP_1) | instskip(NEXT) | instid1(VALU_DEP_1)
	v_div_fixup_f64 v[205:206], v[205:206], v[188:189], v[190:191]
	v_fma_f64 v[188:189], v[190:191], v[205:206], v[188:189]
	s_delay_alu instid0(VALU_DEP_1) | instskip(NEXT) | instid1(VALU_DEP_1)
	v_div_scale_f64 v[190:191], null, v[188:189], v[188:189], 1.0
	v_rcp_f64_e32 v[207:208], v[190:191]
	s_waitcnt_depctr 0xfff
	v_fma_f64 v[209:210], -v[190:191], v[207:208], 1.0
	s_delay_alu instid0(VALU_DEP_1) | instskip(NEXT) | instid1(VALU_DEP_1)
	v_fma_f64 v[207:208], v[207:208], v[209:210], v[207:208]
	v_fma_f64 v[209:210], -v[190:191], v[207:208], 1.0
	s_delay_alu instid0(VALU_DEP_1) | instskip(SKIP_1) | instid1(VALU_DEP_1)
	v_fma_f64 v[207:208], v[207:208], v[209:210], v[207:208]
	v_div_scale_f64 v[209:210], vcc_lo, 1.0, v[188:189], 1.0
	v_mul_f64 v[211:212], v[209:210], v[207:208]
	s_delay_alu instid0(VALU_DEP_1) | instskip(NEXT) | instid1(VALU_DEP_1)
	v_fma_f64 v[190:191], -v[190:191], v[211:212], v[209:210]
	v_div_fmas_f64 v[190:191], v[190:191], v[207:208], v[211:212]
	s_delay_alu instid0(VALU_DEP_1) | instskip(NEXT) | instid1(VALU_DEP_1)
	v_div_fixup_f64 v[188:189], v[190:191], v[188:189], 1.0
	v_mul_f64 v[190:191], v[205:206], -v[188:189]
.LBB92_51:
	s_or_b32 exec_lo, exec_lo, s2
.LBB92_52:
	s_delay_alu instid0(SALU_CYCLE_1) | instskip(NEXT) | instid1(SALU_CYCLE_1)
	s_or_b32 exec_lo, exec_lo, s3
	s_mov_b32 s2, exec_lo
	v_cmpx_ne_u32_e64 v204, v196
	s_xor_b32 s2, exec_lo, s2
	s_cbranch_execz .LBB92_58
; %bb.53:
	s_mov_b32 s3, exec_lo
	v_cmpx_eq_u32_e32 2, v204
	s_cbranch_execz .LBB92_57
; %bb.54:
	v_cmp_ne_u32_e32 vcc_lo, 2, v196
	s_xor_b32 s6, s4, -1
	s_delay_alu instid0(SALU_CYCLE_1) | instskip(NEXT) | instid1(SALU_CYCLE_1)
	s_and_b32 s7, s6, vcc_lo
	s_and_saveexec_b32 s6, s7
	s_cbranch_execz .LBB92_56
; %bb.55:
	v_ashrrev_i32_e32 v197, 31, v196
	s_delay_alu instid0(VALU_DEP_1) | instskip(NEXT) | instid1(VALU_DEP_1)
	v_lshlrev_b64 v[204:205], 2, v[196:197]
	v_add_co_u32 v204, vcc_lo, v194, v204
	s_delay_alu instid0(VALU_DEP_2)
	v_add_co_ci_u32_e32 v205, vcc_lo, v195, v205, vcc_lo
	s_clause 0x1
	flat_load_b32 v197, v[204:205]
	flat_load_b32 v202, v[194:195] offset:8
	s_waitcnt vmcnt(1) lgkmcnt(1)
	flat_store_b32 v[194:195], v197 offset:8
	s_waitcnt vmcnt(0) lgkmcnt(1)
	flat_store_b32 v[204:205], v202
.LBB92_56:
	s_or_b32 exec_lo, exec_lo, s6
	v_mov_b32_e32 v204, v196
	v_mov_b32_e32 v202, v196
.LBB92_57:
	s_or_b32 exec_lo, exec_lo, s3
.LBB92_58:
	s_and_not1_saveexec_b32 s2, s2
	s_cbranch_execz .LBB92_60
; %bb.59:
	v_mov_b32_e32 v204, 2
	ds_store_2addr_b64 v198, v[172:173], v[174:175] offset0:6 offset1:7
	ds_store_2addr_b64 v198, v[168:169], v[170:171] offset0:8 offset1:9
	;; [unrolled: 1-line block ×44, first 2 shown]
.LBB92_60:
	s_or_b32 exec_lo, exec_lo, s2
	s_delay_alu instid0(SALU_CYCLE_1)
	s_mov_b32 s2, exec_lo
	s_waitcnt lgkmcnt(0)
	s_waitcnt_vscnt null, 0x0
	s_barrier
	buffer_gl0_inv
	v_cmpx_lt_i32_e32 2, v204
	s_cbranch_execz .LBB92_62
; %bb.61:
	v_mul_f64 v[196:197], v[190:191], v[178:179]
	v_mul_f64 v[178:179], v[188:189], v[178:179]
	s_delay_alu instid0(VALU_DEP_2) | instskip(NEXT) | instid1(VALU_DEP_2)
	v_fma_f64 v[196:197], v[188:189], v[176:177], -v[196:197]
	v_fma_f64 v[178:179], v[190:191], v[176:177], v[178:179]
	ds_load_2addr_b64 v[188:191], v198 offset0:6 offset1:7
	s_waitcnt lgkmcnt(0)
	v_mul_f64 v[176:177], v[190:191], v[178:179]
	s_delay_alu instid0(VALU_DEP_1) | instskip(SKIP_1) | instid1(VALU_DEP_2)
	v_fma_f64 v[176:177], v[188:189], v[196:197], -v[176:177]
	v_mul_f64 v[188:189], v[188:189], v[178:179]
	v_add_f64 v[172:173], v[172:173], -v[176:177]
	s_delay_alu instid0(VALU_DEP_2) | instskip(NEXT) | instid1(VALU_DEP_1)
	v_fma_f64 v[188:189], v[190:191], v[196:197], v[188:189]
	v_add_f64 v[174:175], v[174:175], -v[188:189]
	ds_load_2addr_b64 v[188:191], v198 offset0:8 offset1:9
	s_waitcnt lgkmcnt(0)
	v_mul_f64 v[176:177], v[190:191], v[178:179]
	s_delay_alu instid0(VALU_DEP_1) | instskip(SKIP_1) | instid1(VALU_DEP_2)
	v_fma_f64 v[176:177], v[188:189], v[196:197], -v[176:177]
	v_mul_f64 v[188:189], v[188:189], v[178:179]
	v_add_f64 v[168:169], v[168:169], -v[176:177]
	s_delay_alu instid0(VALU_DEP_2) | instskip(NEXT) | instid1(VALU_DEP_1)
	v_fma_f64 v[188:189], v[190:191], v[196:197], v[188:189]
	v_add_f64 v[170:171], v[170:171], -v[188:189]
	;; [unrolled: 10-line block ×43, first 2 shown]
	ds_load_2addr_b64 v[188:191], v198 offset0:92 offset1:93
	s_waitcnt lgkmcnt(0)
	v_mul_f64 v[176:177], v[190:191], v[178:179]
	s_delay_alu instid0(VALU_DEP_1) | instskip(SKIP_1) | instid1(VALU_DEP_2)
	v_fma_f64 v[176:177], v[188:189], v[196:197], -v[176:177]
	v_mul_f64 v[188:189], v[188:189], v[178:179]
	v_add_f64 v[0:1], v[0:1], -v[176:177]
	s_delay_alu instid0(VALU_DEP_2) | instskip(SKIP_1) | instid1(VALU_DEP_2)
	v_fma_f64 v[188:189], v[190:191], v[196:197], v[188:189]
	v_dual_mov_b32 v176, v196 :: v_dual_mov_b32 v177, v197
	v_add_f64 v[2:3], v[2:3], -v[188:189]
.LBB92_62:
	s_or_b32 exec_lo, exec_lo, s2
	v_lshl_add_u32 v188, v204, 4, v198
	s_barrier
	buffer_gl0_inv
	v_mov_b32_e32 v196, 3
	ds_store_2addr_b64 v188, v[172:173], v[174:175] offset1:1
	s_waitcnt lgkmcnt(0)
	s_barrier
	buffer_gl0_inv
	ds_load_2addr_b64 v[188:191], v198 offset0:6 offset1:7
	s_cmp_lt_i32 s5, 5
	s_mov_b32 s6, 4
	s_cbranch_scc1 .LBB92_65
; %bb.63:
	v_add3_u32 v197, v203, 0, 64
	v_mov_b32_e32 v196, 3
	s_set_inst_prefetch_distance 0x1
	.p2align	6
.LBB92_64:                              ; =>This Inner Loop Header: Depth=1
	ds_load_2addr_b64 v[205:208], v197 offset1:1
	s_waitcnt lgkmcnt(1)
	v_cmp_gt_f64_e32 vcc_lo, 0, v[188:189]
	v_xor_b32_e32 v209, 0x80000000, v189
	v_cmp_gt_f64_e64 s2, 0, v[190:191]
	v_xor_b32_e32 v211, 0x80000000, v191
	v_add_nc_u32_e32 v197, 16, v197
	s_waitcnt lgkmcnt(0)
	v_cmp_gt_f64_e64 s3, 0, v[205:206]
	v_mov_b32_e32 v213, v205
	v_dual_mov_b32 v215, v207 :: v_dual_cndmask_b32 v210, v189, v209
	v_xor_b32_e32 v209, 0x80000000, v206
	v_cndmask_b32_e64 v212, v191, v211, s2
	v_xor_b32_e32 v211, 0x80000000, v208
	s_delay_alu instid0(VALU_DEP_3) | instskip(SKIP_2) | instid1(VALU_DEP_2)
	v_cndmask_b32_e64 v214, v206, v209, s3
	v_cmp_gt_f64_e64 s3, 0, v[207:208]
	v_cndmask_b32_e32 v209, v188, v188, vcc_lo
	v_cndmask_b32_e64 v216, v208, v211, s3
	v_cndmask_b32_e64 v211, v190, v190, s2
	s_delay_alu instid0(VALU_DEP_2) | instskip(NEXT) | instid1(VALU_DEP_2)
	v_add_f64 v[213:214], v[213:214], v[215:216]
	v_add_f64 v[209:210], v[209:210], v[211:212]
	s_delay_alu instid0(VALU_DEP_1) | instskip(SKIP_4) | instid1(SALU_CYCLE_1)
	v_cmp_lt_f64_e32 vcc_lo, v[209:210], v[213:214]
	v_dual_cndmask_b32 v190, v190, v207 :: v_dual_cndmask_b32 v189, v189, v206
	v_dual_cndmask_b32 v188, v188, v205 :: v_dual_cndmask_b32 v191, v191, v208
	v_cndmask_b32_e64 v196, v196, s6, vcc_lo
	s_add_i32 s6, s6, 1
	s_cmp_lg_u32 s5, s6
	s_cbranch_scc1 .LBB92_64
.LBB92_65:
	s_set_inst_prefetch_distance 0x2
	s_waitcnt lgkmcnt(0)
	v_cmp_eq_f64_e32 vcc_lo, 0, v[188:189]
	v_cmp_eq_f64_e64 s2, 0, v[190:191]
	s_delay_alu instid0(VALU_DEP_1) | instskip(NEXT) | instid1(SALU_CYCLE_1)
	s_and_b32 s2, vcc_lo, s2
	s_and_saveexec_b32 s3, s2
	s_delay_alu instid0(SALU_CYCLE_1)
	s_xor_b32 s2, exec_lo, s3
; %bb.66:
	v_cmp_ne_u32_e32 vcc_lo, 0, v201
	v_cndmask_b32_e32 v201, 4, v201, vcc_lo
; %bb.67:
	s_and_not1_saveexec_b32 s3, s2
	s_cbranch_execz .LBB92_73
; %bb.68:
	v_cmp_gt_f64_e32 vcc_lo, 0, v[188:189]
	v_cmp_gt_f64_e64 s2, 0, v[190:191]
	v_xor_b32_e32 v197, 0x80000000, v189
	v_xor_b32_e32 v205, 0x80000000, v191
	s_delay_alu instid0(VALU_DEP_2) | instskip(NEXT) | instid1(VALU_DEP_2)
	v_cndmask_b32_e32 v206, v189, v197, vcc_lo
	v_cndmask_b32_e64 v208, v191, v205, s2
	v_cndmask_b32_e32 v205, v188, v188, vcc_lo
	v_cndmask_b32_e64 v207, v190, v190, s2
	s_mov_b32 s2, exec_lo
	s_delay_alu instid0(VALU_DEP_1)
	v_cmpx_ngt_f64_e32 v[205:206], v[207:208]
	s_xor_b32 s2, exec_lo, s2
	s_cbranch_execz .LBB92_70
; %bb.69:
	v_div_scale_f64 v[205:206], null, v[190:191], v[190:191], v[188:189]
	v_div_scale_f64 v[211:212], vcc_lo, v[188:189], v[190:191], v[188:189]
	s_delay_alu instid0(VALU_DEP_2) | instskip(SKIP_2) | instid1(VALU_DEP_1)
	v_rcp_f64_e32 v[207:208], v[205:206]
	s_waitcnt_depctr 0xfff
	v_fma_f64 v[209:210], -v[205:206], v[207:208], 1.0
	v_fma_f64 v[207:208], v[207:208], v[209:210], v[207:208]
	s_delay_alu instid0(VALU_DEP_1) | instskip(NEXT) | instid1(VALU_DEP_1)
	v_fma_f64 v[209:210], -v[205:206], v[207:208], 1.0
	v_fma_f64 v[207:208], v[207:208], v[209:210], v[207:208]
	s_delay_alu instid0(VALU_DEP_1) | instskip(NEXT) | instid1(VALU_DEP_1)
	v_mul_f64 v[209:210], v[211:212], v[207:208]
	v_fma_f64 v[205:206], -v[205:206], v[209:210], v[211:212]
	s_delay_alu instid0(VALU_DEP_1) | instskip(NEXT) | instid1(VALU_DEP_1)
	v_div_fmas_f64 v[205:206], v[205:206], v[207:208], v[209:210]
	v_div_fixup_f64 v[205:206], v[205:206], v[190:191], v[188:189]
	s_delay_alu instid0(VALU_DEP_1) | instskip(NEXT) | instid1(VALU_DEP_1)
	v_fma_f64 v[188:189], v[188:189], v[205:206], v[190:191]
	v_div_scale_f64 v[190:191], null, v[188:189], v[188:189], 1.0
	s_delay_alu instid0(VALU_DEP_1) | instskip(SKIP_2) | instid1(VALU_DEP_1)
	v_rcp_f64_e32 v[207:208], v[190:191]
	s_waitcnt_depctr 0xfff
	v_fma_f64 v[209:210], -v[190:191], v[207:208], 1.0
	v_fma_f64 v[207:208], v[207:208], v[209:210], v[207:208]
	s_delay_alu instid0(VALU_DEP_1) | instskip(NEXT) | instid1(VALU_DEP_1)
	v_fma_f64 v[209:210], -v[190:191], v[207:208], 1.0
	v_fma_f64 v[207:208], v[207:208], v[209:210], v[207:208]
	v_div_scale_f64 v[209:210], vcc_lo, 1.0, v[188:189], 1.0
	s_delay_alu instid0(VALU_DEP_1) | instskip(NEXT) | instid1(VALU_DEP_1)
	v_mul_f64 v[211:212], v[209:210], v[207:208]
	v_fma_f64 v[190:191], -v[190:191], v[211:212], v[209:210]
	s_delay_alu instid0(VALU_DEP_1) | instskip(NEXT) | instid1(VALU_DEP_1)
	v_div_fmas_f64 v[190:191], v[190:191], v[207:208], v[211:212]
	v_div_fixup_f64 v[190:191], v[190:191], v[188:189], 1.0
	s_delay_alu instid0(VALU_DEP_1)
	v_mul_f64 v[188:189], v[205:206], v[190:191]
	v_xor_b32_e32 v191, 0x80000000, v191
.LBB92_70:
	s_and_not1_saveexec_b32 s2, s2
	s_cbranch_execz .LBB92_72
; %bb.71:
	s_delay_alu instid0(VALU_DEP_1) | instskip(SKIP_1) | instid1(VALU_DEP_2)
	v_div_scale_f64 v[205:206], null, v[188:189], v[188:189], v[190:191]
	v_div_scale_f64 v[211:212], vcc_lo, v[190:191], v[188:189], v[190:191]
	v_rcp_f64_e32 v[207:208], v[205:206]
	s_waitcnt_depctr 0xfff
	v_fma_f64 v[209:210], -v[205:206], v[207:208], 1.0
	s_delay_alu instid0(VALU_DEP_1) | instskip(NEXT) | instid1(VALU_DEP_1)
	v_fma_f64 v[207:208], v[207:208], v[209:210], v[207:208]
	v_fma_f64 v[209:210], -v[205:206], v[207:208], 1.0
	s_delay_alu instid0(VALU_DEP_1) | instskip(NEXT) | instid1(VALU_DEP_1)
	v_fma_f64 v[207:208], v[207:208], v[209:210], v[207:208]
	v_mul_f64 v[209:210], v[211:212], v[207:208]
	s_delay_alu instid0(VALU_DEP_1) | instskip(NEXT) | instid1(VALU_DEP_1)
	v_fma_f64 v[205:206], -v[205:206], v[209:210], v[211:212]
	v_div_fmas_f64 v[205:206], v[205:206], v[207:208], v[209:210]
	s_delay_alu instid0(VALU_DEP_1) | instskip(NEXT) | instid1(VALU_DEP_1)
	v_div_fixup_f64 v[205:206], v[205:206], v[188:189], v[190:191]
	v_fma_f64 v[188:189], v[190:191], v[205:206], v[188:189]
	s_delay_alu instid0(VALU_DEP_1) | instskip(NEXT) | instid1(VALU_DEP_1)
	v_div_scale_f64 v[190:191], null, v[188:189], v[188:189], 1.0
	v_rcp_f64_e32 v[207:208], v[190:191]
	s_waitcnt_depctr 0xfff
	v_fma_f64 v[209:210], -v[190:191], v[207:208], 1.0
	s_delay_alu instid0(VALU_DEP_1) | instskip(NEXT) | instid1(VALU_DEP_1)
	v_fma_f64 v[207:208], v[207:208], v[209:210], v[207:208]
	v_fma_f64 v[209:210], -v[190:191], v[207:208], 1.0
	s_delay_alu instid0(VALU_DEP_1) | instskip(SKIP_1) | instid1(VALU_DEP_1)
	v_fma_f64 v[207:208], v[207:208], v[209:210], v[207:208]
	v_div_scale_f64 v[209:210], vcc_lo, 1.0, v[188:189], 1.0
	v_mul_f64 v[211:212], v[209:210], v[207:208]
	s_delay_alu instid0(VALU_DEP_1) | instskip(NEXT) | instid1(VALU_DEP_1)
	v_fma_f64 v[190:191], -v[190:191], v[211:212], v[209:210]
	v_div_fmas_f64 v[190:191], v[190:191], v[207:208], v[211:212]
	s_delay_alu instid0(VALU_DEP_1) | instskip(NEXT) | instid1(VALU_DEP_1)
	v_div_fixup_f64 v[188:189], v[190:191], v[188:189], 1.0
	v_mul_f64 v[190:191], v[205:206], -v[188:189]
.LBB92_72:
	s_or_b32 exec_lo, exec_lo, s2
.LBB92_73:
	s_delay_alu instid0(SALU_CYCLE_1) | instskip(NEXT) | instid1(SALU_CYCLE_1)
	s_or_b32 exec_lo, exec_lo, s3
	s_mov_b32 s2, exec_lo
	v_cmpx_ne_u32_e64 v204, v196
	s_xor_b32 s2, exec_lo, s2
	s_cbranch_execz .LBB92_79
; %bb.74:
	s_mov_b32 s3, exec_lo
	v_cmpx_eq_u32_e32 3, v204
	s_cbranch_execz .LBB92_78
; %bb.75:
	v_cmp_ne_u32_e32 vcc_lo, 3, v196
	s_xor_b32 s6, s4, -1
	s_delay_alu instid0(SALU_CYCLE_1) | instskip(NEXT) | instid1(SALU_CYCLE_1)
	s_and_b32 s7, s6, vcc_lo
	s_and_saveexec_b32 s6, s7
	s_cbranch_execz .LBB92_77
; %bb.76:
	v_ashrrev_i32_e32 v197, 31, v196
	s_delay_alu instid0(VALU_DEP_1) | instskip(NEXT) | instid1(VALU_DEP_1)
	v_lshlrev_b64 v[204:205], 2, v[196:197]
	v_add_co_u32 v204, vcc_lo, v194, v204
	s_delay_alu instid0(VALU_DEP_2)
	v_add_co_ci_u32_e32 v205, vcc_lo, v195, v205, vcc_lo
	s_clause 0x1
	flat_load_b32 v197, v[204:205]
	flat_load_b32 v202, v[194:195] offset:12
	s_waitcnt vmcnt(1) lgkmcnt(1)
	flat_store_b32 v[194:195], v197 offset:12
	s_waitcnt vmcnt(0) lgkmcnt(1)
	flat_store_b32 v[204:205], v202
.LBB92_77:
	s_or_b32 exec_lo, exec_lo, s6
	v_mov_b32_e32 v204, v196
	v_mov_b32_e32 v202, v196
.LBB92_78:
	s_or_b32 exec_lo, exec_lo, s3
.LBB92_79:
	s_and_not1_saveexec_b32 s2, s2
	s_cbranch_execz .LBB92_81
; %bb.80:
	v_mov_b32_e32 v204, 3
	ds_store_2addr_b64 v198, v[168:169], v[170:171] offset0:8 offset1:9
	ds_store_2addr_b64 v198, v[164:165], v[166:167] offset0:10 offset1:11
	;; [unrolled: 1-line block ×43, first 2 shown]
.LBB92_81:
	s_or_b32 exec_lo, exec_lo, s2
	s_delay_alu instid0(SALU_CYCLE_1)
	s_mov_b32 s2, exec_lo
	s_waitcnt lgkmcnt(0)
	s_waitcnt_vscnt null, 0x0
	s_barrier
	buffer_gl0_inv
	v_cmpx_lt_i32_e32 3, v204
	s_cbranch_execz .LBB92_83
; %bb.82:
	v_mul_f64 v[196:197], v[190:191], v[174:175]
	v_mul_f64 v[174:175], v[188:189], v[174:175]
	s_delay_alu instid0(VALU_DEP_2) | instskip(NEXT) | instid1(VALU_DEP_2)
	v_fma_f64 v[196:197], v[188:189], v[172:173], -v[196:197]
	v_fma_f64 v[174:175], v[190:191], v[172:173], v[174:175]
	ds_load_2addr_b64 v[188:191], v198 offset0:8 offset1:9
	s_waitcnt lgkmcnt(0)
	v_mul_f64 v[172:173], v[190:191], v[174:175]
	s_delay_alu instid0(VALU_DEP_1) | instskip(SKIP_1) | instid1(VALU_DEP_2)
	v_fma_f64 v[172:173], v[188:189], v[196:197], -v[172:173]
	v_mul_f64 v[188:189], v[188:189], v[174:175]
	v_add_f64 v[168:169], v[168:169], -v[172:173]
	s_delay_alu instid0(VALU_DEP_2) | instskip(NEXT) | instid1(VALU_DEP_1)
	v_fma_f64 v[188:189], v[190:191], v[196:197], v[188:189]
	v_add_f64 v[170:171], v[170:171], -v[188:189]
	ds_load_2addr_b64 v[188:191], v198 offset0:10 offset1:11
	s_waitcnt lgkmcnt(0)
	v_mul_f64 v[172:173], v[190:191], v[174:175]
	s_delay_alu instid0(VALU_DEP_1) | instskip(SKIP_1) | instid1(VALU_DEP_2)
	v_fma_f64 v[172:173], v[188:189], v[196:197], -v[172:173]
	v_mul_f64 v[188:189], v[188:189], v[174:175]
	v_add_f64 v[164:165], v[164:165], -v[172:173]
	s_delay_alu instid0(VALU_DEP_2) | instskip(NEXT) | instid1(VALU_DEP_1)
	v_fma_f64 v[188:189], v[190:191], v[196:197], v[188:189]
	v_add_f64 v[166:167], v[166:167], -v[188:189]
	;; [unrolled: 10-line block ×42, first 2 shown]
	ds_load_2addr_b64 v[188:191], v198 offset0:92 offset1:93
	s_waitcnt lgkmcnt(0)
	v_mul_f64 v[172:173], v[190:191], v[174:175]
	s_delay_alu instid0(VALU_DEP_1) | instskip(SKIP_1) | instid1(VALU_DEP_2)
	v_fma_f64 v[172:173], v[188:189], v[196:197], -v[172:173]
	v_mul_f64 v[188:189], v[188:189], v[174:175]
	v_add_f64 v[0:1], v[0:1], -v[172:173]
	s_delay_alu instid0(VALU_DEP_2) | instskip(SKIP_1) | instid1(VALU_DEP_2)
	v_fma_f64 v[188:189], v[190:191], v[196:197], v[188:189]
	v_dual_mov_b32 v172, v196 :: v_dual_mov_b32 v173, v197
	v_add_f64 v[2:3], v[2:3], -v[188:189]
.LBB92_83:
	s_or_b32 exec_lo, exec_lo, s2
	v_lshl_add_u32 v188, v204, 4, v198
	s_barrier
	buffer_gl0_inv
	v_mov_b32_e32 v196, 4
	ds_store_2addr_b64 v188, v[168:169], v[170:171] offset1:1
	s_waitcnt lgkmcnt(0)
	s_barrier
	buffer_gl0_inv
	ds_load_2addr_b64 v[188:191], v198 offset0:8 offset1:9
	s_cmp_lt_i32 s5, 6
	s_cbranch_scc1 .LBB92_86
; %bb.84:
	v_add3_u32 v197, v203, 0, 0x50
	v_mov_b32_e32 v196, 4
	s_mov_b32 s6, 5
	s_set_inst_prefetch_distance 0x1
	.p2align	6
.LBB92_85:                              ; =>This Inner Loop Header: Depth=1
	ds_load_2addr_b64 v[205:208], v197 offset1:1
	s_waitcnt lgkmcnt(1)
	v_cmp_gt_f64_e32 vcc_lo, 0, v[188:189]
	v_xor_b32_e32 v209, 0x80000000, v189
	v_cmp_gt_f64_e64 s2, 0, v[190:191]
	v_xor_b32_e32 v211, 0x80000000, v191
	v_add_nc_u32_e32 v197, 16, v197
	s_waitcnt lgkmcnt(0)
	v_cmp_gt_f64_e64 s3, 0, v[205:206]
	v_mov_b32_e32 v213, v205
	v_dual_mov_b32 v215, v207 :: v_dual_cndmask_b32 v210, v189, v209
	v_xor_b32_e32 v209, 0x80000000, v206
	v_cndmask_b32_e64 v212, v191, v211, s2
	v_xor_b32_e32 v211, 0x80000000, v208
	s_delay_alu instid0(VALU_DEP_3) | instskip(SKIP_2) | instid1(VALU_DEP_2)
	v_cndmask_b32_e64 v214, v206, v209, s3
	v_cmp_gt_f64_e64 s3, 0, v[207:208]
	v_cndmask_b32_e32 v209, v188, v188, vcc_lo
	v_cndmask_b32_e64 v216, v208, v211, s3
	v_cndmask_b32_e64 v211, v190, v190, s2
	s_delay_alu instid0(VALU_DEP_2) | instskip(NEXT) | instid1(VALU_DEP_2)
	v_add_f64 v[213:214], v[213:214], v[215:216]
	v_add_f64 v[209:210], v[209:210], v[211:212]
	s_delay_alu instid0(VALU_DEP_1) | instskip(SKIP_4) | instid1(SALU_CYCLE_1)
	v_cmp_lt_f64_e32 vcc_lo, v[209:210], v[213:214]
	v_dual_cndmask_b32 v190, v190, v207 :: v_dual_cndmask_b32 v189, v189, v206
	v_dual_cndmask_b32 v188, v188, v205 :: v_dual_cndmask_b32 v191, v191, v208
	v_cndmask_b32_e64 v196, v196, s6, vcc_lo
	s_add_i32 s6, s6, 1
	s_cmp_lg_u32 s5, s6
	s_cbranch_scc1 .LBB92_85
.LBB92_86:
	s_set_inst_prefetch_distance 0x2
	s_waitcnt lgkmcnt(0)
	v_cmp_eq_f64_e32 vcc_lo, 0, v[188:189]
	v_cmp_eq_f64_e64 s2, 0, v[190:191]
	s_delay_alu instid0(VALU_DEP_1) | instskip(NEXT) | instid1(SALU_CYCLE_1)
	s_and_b32 s2, vcc_lo, s2
	s_and_saveexec_b32 s3, s2
	s_delay_alu instid0(SALU_CYCLE_1)
	s_xor_b32 s2, exec_lo, s3
; %bb.87:
	v_cmp_ne_u32_e32 vcc_lo, 0, v201
	v_cndmask_b32_e32 v201, 5, v201, vcc_lo
; %bb.88:
	s_and_not1_saveexec_b32 s3, s2
	s_cbranch_execz .LBB92_94
; %bb.89:
	v_cmp_gt_f64_e32 vcc_lo, 0, v[188:189]
	v_cmp_gt_f64_e64 s2, 0, v[190:191]
	v_xor_b32_e32 v197, 0x80000000, v189
	v_xor_b32_e32 v205, 0x80000000, v191
	s_delay_alu instid0(VALU_DEP_2) | instskip(NEXT) | instid1(VALU_DEP_2)
	v_cndmask_b32_e32 v206, v189, v197, vcc_lo
	v_cndmask_b32_e64 v208, v191, v205, s2
	v_cndmask_b32_e32 v205, v188, v188, vcc_lo
	v_cndmask_b32_e64 v207, v190, v190, s2
	s_mov_b32 s2, exec_lo
	s_delay_alu instid0(VALU_DEP_1)
	v_cmpx_ngt_f64_e32 v[205:206], v[207:208]
	s_xor_b32 s2, exec_lo, s2
	s_cbranch_execz .LBB92_91
; %bb.90:
	v_div_scale_f64 v[205:206], null, v[190:191], v[190:191], v[188:189]
	v_div_scale_f64 v[211:212], vcc_lo, v[188:189], v[190:191], v[188:189]
	s_delay_alu instid0(VALU_DEP_2) | instskip(SKIP_2) | instid1(VALU_DEP_1)
	v_rcp_f64_e32 v[207:208], v[205:206]
	s_waitcnt_depctr 0xfff
	v_fma_f64 v[209:210], -v[205:206], v[207:208], 1.0
	v_fma_f64 v[207:208], v[207:208], v[209:210], v[207:208]
	s_delay_alu instid0(VALU_DEP_1) | instskip(NEXT) | instid1(VALU_DEP_1)
	v_fma_f64 v[209:210], -v[205:206], v[207:208], 1.0
	v_fma_f64 v[207:208], v[207:208], v[209:210], v[207:208]
	s_delay_alu instid0(VALU_DEP_1) | instskip(NEXT) | instid1(VALU_DEP_1)
	v_mul_f64 v[209:210], v[211:212], v[207:208]
	v_fma_f64 v[205:206], -v[205:206], v[209:210], v[211:212]
	s_delay_alu instid0(VALU_DEP_1) | instskip(NEXT) | instid1(VALU_DEP_1)
	v_div_fmas_f64 v[205:206], v[205:206], v[207:208], v[209:210]
	v_div_fixup_f64 v[205:206], v[205:206], v[190:191], v[188:189]
	s_delay_alu instid0(VALU_DEP_1) | instskip(NEXT) | instid1(VALU_DEP_1)
	v_fma_f64 v[188:189], v[188:189], v[205:206], v[190:191]
	v_div_scale_f64 v[190:191], null, v[188:189], v[188:189], 1.0
	s_delay_alu instid0(VALU_DEP_1) | instskip(SKIP_2) | instid1(VALU_DEP_1)
	v_rcp_f64_e32 v[207:208], v[190:191]
	s_waitcnt_depctr 0xfff
	v_fma_f64 v[209:210], -v[190:191], v[207:208], 1.0
	v_fma_f64 v[207:208], v[207:208], v[209:210], v[207:208]
	s_delay_alu instid0(VALU_DEP_1) | instskip(NEXT) | instid1(VALU_DEP_1)
	v_fma_f64 v[209:210], -v[190:191], v[207:208], 1.0
	v_fma_f64 v[207:208], v[207:208], v[209:210], v[207:208]
	v_div_scale_f64 v[209:210], vcc_lo, 1.0, v[188:189], 1.0
	s_delay_alu instid0(VALU_DEP_1) | instskip(NEXT) | instid1(VALU_DEP_1)
	v_mul_f64 v[211:212], v[209:210], v[207:208]
	v_fma_f64 v[190:191], -v[190:191], v[211:212], v[209:210]
	s_delay_alu instid0(VALU_DEP_1) | instskip(NEXT) | instid1(VALU_DEP_1)
	v_div_fmas_f64 v[190:191], v[190:191], v[207:208], v[211:212]
	v_div_fixup_f64 v[190:191], v[190:191], v[188:189], 1.0
	s_delay_alu instid0(VALU_DEP_1)
	v_mul_f64 v[188:189], v[205:206], v[190:191]
	v_xor_b32_e32 v191, 0x80000000, v191
.LBB92_91:
	s_and_not1_saveexec_b32 s2, s2
	s_cbranch_execz .LBB92_93
; %bb.92:
	s_delay_alu instid0(VALU_DEP_1) | instskip(SKIP_1) | instid1(VALU_DEP_2)
	v_div_scale_f64 v[205:206], null, v[188:189], v[188:189], v[190:191]
	v_div_scale_f64 v[211:212], vcc_lo, v[190:191], v[188:189], v[190:191]
	v_rcp_f64_e32 v[207:208], v[205:206]
	s_waitcnt_depctr 0xfff
	v_fma_f64 v[209:210], -v[205:206], v[207:208], 1.0
	s_delay_alu instid0(VALU_DEP_1) | instskip(NEXT) | instid1(VALU_DEP_1)
	v_fma_f64 v[207:208], v[207:208], v[209:210], v[207:208]
	v_fma_f64 v[209:210], -v[205:206], v[207:208], 1.0
	s_delay_alu instid0(VALU_DEP_1) | instskip(NEXT) | instid1(VALU_DEP_1)
	v_fma_f64 v[207:208], v[207:208], v[209:210], v[207:208]
	v_mul_f64 v[209:210], v[211:212], v[207:208]
	s_delay_alu instid0(VALU_DEP_1) | instskip(NEXT) | instid1(VALU_DEP_1)
	v_fma_f64 v[205:206], -v[205:206], v[209:210], v[211:212]
	v_div_fmas_f64 v[205:206], v[205:206], v[207:208], v[209:210]
	s_delay_alu instid0(VALU_DEP_1) | instskip(NEXT) | instid1(VALU_DEP_1)
	v_div_fixup_f64 v[205:206], v[205:206], v[188:189], v[190:191]
	v_fma_f64 v[188:189], v[190:191], v[205:206], v[188:189]
	s_delay_alu instid0(VALU_DEP_1) | instskip(NEXT) | instid1(VALU_DEP_1)
	v_div_scale_f64 v[190:191], null, v[188:189], v[188:189], 1.0
	v_rcp_f64_e32 v[207:208], v[190:191]
	s_waitcnt_depctr 0xfff
	v_fma_f64 v[209:210], -v[190:191], v[207:208], 1.0
	s_delay_alu instid0(VALU_DEP_1) | instskip(NEXT) | instid1(VALU_DEP_1)
	v_fma_f64 v[207:208], v[207:208], v[209:210], v[207:208]
	v_fma_f64 v[209:210], -v[190:191], v[207:208], 1.0
	s_delay_alu instid0(VALU_DEP_1) | instskip(SKIP_1) | instid1(VALU_DEP_1)
	v_fma_f64 v[207:208], v[207:208], v[209:210], v[207:208]
	v_div_scale_f64 v[209:210], vcc_lo, 1.0, v[188:189], 1.0
	v_mul_f64 v[211:212], v[209:210], v[207:208]
	s_delay_alu instid0(VALU_DEP_1) | instskip(NEXT) | instid1(VALU_DEP_1)
	v_fma_f64 v[190:191], -v[190:191], v[211:212], v[209:210]
	v_div_fmas_f64 v[190:191], v[190:191], v[207:208], v[211:212]
	s_delay_alu instid0(VALU_DEP_1) | instskip(NEXT) | instid1(VALU_DEP_1)
	v_div_fixup_f64 v[188:189], v[190:191], v[188:189], 1.0
	v_mul_f64 v[190:191], v[205:206], -v[188:189]
.LBB92_93:
	s_or_b32 exec_lo, exec_lo, s2
.LBB92_94:
	s_delay_alu instid0(SALU_CYCLE_1) | instskip(NEXT) | instid1(SALU_CYCLE_1)
	s_or_b32 exec_lo, exec_lo, s3
	s_mov_b32 s2, exec_lo
	v_cmpx_ne_u32_e64 v204, v196
	s_xor_b32 s2, exec_lo, s2
	s_cbranch_execz .LBB92_100
; %bb.95:
	s_mov_b32 s3, exec_lo
	v_cmpx_eq_u32_e32 4, v204
	s_cbranch_execz .LBB92_99
; %bb.96:
	v_cmp_ne_u32_e32 vcc_lo, 4, v196
	s_xor_b32 s6, s4, -1
	s_delay_alu instid0(SALU_CYCLE_1) | instskip(NEXT) | instid1(SALU_CYCLE_1)
	s_and_b32 s7, s6, vcc_lo
	s_and_saveexec_b32 s6, s7
	s_cbranch_execz .LBB92_98
; %bb.97:
	v_ashrrev_i32_e32 v197, 31, v196
	s_delay_alu instid0(VALU_DEP_1) | instskip(NEXT) | instid1(VALU_DEP_1)
	v_lshlrev_b64 v[204:205], 2, v[196:197]
	v_add_co_u32 v204, vcc_lo, v194, v204
	s_delay_alu instid0(VALU_DEP_2)
	v_add_co_ci_u32_e32 v205, vcc_lo, v195, v205, vcc_lo
	s_clause 0x1
	flat_load_b32 v197, v[204:205]
	flat_load_b32 v202, v[194:195] offset:16
	s_waitcnt vmcnt(1) lgkmcnt(1)
	flat_store_b32 v[194:195], v197 offset:16
	s_waitcnt vmcnt(0) lgkmcnt(1)
	flat_store_b32 v[204:205], v202
.LBB92_98:
	s_or_b32 exec_lo, exec_lo, s6
	v_mov_b32_e32 v204, v196
	v_mov_b32_e32 v202, v196
.LBB92_99:
	s_or_b32 exec_lo, exec_lo, s3
.LBB92_100:
	s_and_not1_saveexec_b32 s2, s2
	s_cbranch_execz .LBB92_102
; %bb.101:
	v_mov_b32_e32 v204, 4
	ds_store_2addr_b64 v198, v[164:165], v[166:167] offset0:10 offset1:11
	ds_store_2addr_b64 v198, v[160:161], v[162:163] offset0:12 offset1:13
	;; [unrolled: 1-line block ×42, first 2 shown]
.LBB92_102:
	s_or_b32 exec_lo, exec_lo, s2
	s_delay_alu instid0(SALU_CYCLE_1)
	s_mov_b32 s2, exec_lo
	s_waitcnt lgkmcnt(0)
	s_waitcnt_vscnt null, 0x0
	s_barrier
	buffer_gl0_inv
	v_cmpx_lt_i32_e32 4, v204
	s_cbranch_execz .LBB92_104
; %bb.103:
	v_mul_f64 v[196:197], v[190:191], v[170:171]
	v_mul_f64 v[170:171], v[188:189], v[170:171]
	s_delay_alu instid0(VALU_DEP_2) | instskip(NEXT) | instid1(VALU_DEP_2)
	v_fma_f64 v[196:197], v[188:189], v[168:169], -v[196:197]
	v_fma_f64 v[170:171], v[190:191], v[168:169], v[170:171]
	ds_load_2addr_b64 v[188:191], v198 offset0:10 offset1:11
	s_waitcnt lgkmcnt(0)
	v_mul_f64 v[168:169], v[190:191], v[170:171]
	s_delay_alu instid0(VALU_DEP_1) | instskip(SKIP_1) | instid1(VALU_DEP_2)
	v_fma_f64 v[168:169], v[188:189], v[196:197], -v[168:169]
	v_mul_f64 v[188:189], v[188:189], v[170:171]
	v_add_f64 v[164:165], v[164:165], -v[168:169]
	s_delay_alu instid0(VALU_DEP_2) | instskip(NEXT) | instid1(VALU_DEP_1)
	v_fma_f64 v[188:189], v[190:191], v[196:197], v[188:189]
	v_add_f64 v[166:167], v[166:167], -v[188:189]
	ds_load_2addr_b64 v[188:191], v198 offset0:12 offset1:13
	s_waitcnt lgkmcnt(0)
	v_mul_f64 v[168:169], v[190:191], v[170:171]
	s_delay_alu instid0(VALU_DEP_1) | instskip(SKIP_1) | instid1(VALU_DEP_2)
	v_fma_f64 v[168:169], v[188:189], v[196:197], -v[168:169]
	v_mul_f64 v[188:189], v[188:189], v[170:171]
	v_add_f64 v[160:161], v[160:161], -v[168:169]
	s_delay_alu instid0(VALU_DEP_2) | instskip(NEXT) | instid1(VALU_DEP_1)
	v_fma_f64 v[188:189], v[190:191], v[196:197], v[188:189]
	v_add_f64 v[162:163], v[162:163], -v[188:189]
	;; [unrolled: 10-line block ×41, first 2 shown]
	ds_load_2addr_b64 v[188:191], v198 offset0:92 offset1:93
	s_waitcnt lgkmcnt(0)
	v_mul_f64 v[168:169], v[190:191], v[170:171]
	s_delay_alu instid0(VALU_DEP_1) | instskip(SKIP_1) | instid1(VALU_DEP_2)
	v_fma_f64 v[168:169], v[188:189], v[196:197], -v[168:169]
	v_mul_f64 v[188:189], v[188:189], v[170:171]
	v_add_f64 v[0:1], v[0:1], -v[168:169]
	s_delay_alu instid0(VALU_DEP_2) | instskip(SKIP_1) | instid1(VALU_DEP_2)
	v_fma_f64 v[188:189], v[190:191], v[196:197], v[188:189]
	v_dual_mov_b32 v168, v196 :: v_dual_mov_b32 v169, v197
	v_add_f64 v[2:3], v[2:3], -v[188:189]
.LBB92_104:
	s_or_b32 exec_lo, exec_lo, s2
	v_lshl_add_u32 v188, v204, 4, v198
	s_barrier
	buffer_gl0_inv
	v_mov_b32_e32 v196, 5
	ds_store_2addr_b64 v188, v[164:165], v[166:167] offset1:1
	s_waitcnt lgkmcnt(0)
	s_barrier
	buffer_gl0_inv
	ds_load_2addr_b64 v[188:191], v198 offset0:10 offset1:11
	s_cmp_lt_i32 s5, 7
	s_cbranch_scc1 .LBB92_107
; %bb.105:
	v_add3_u32 v197, v203, 0, 0x60
	v_mov_b32_e32 v196, 5
	s_mov_b32 s6, 6
	s_set_inst_prefetch_distance 0x1
	.p2align	6
.LBB92_106:                             ; =>This Inner Loop Header: Depth=1
	ds_load_2addr_b64 v[205:208], v197 offset1:1
	s_waitcnt lgkmcnt(1)
	v_cmp_gt_f64_e32 vcc_lo, 0, v[188:189]
	v_xor_b32_e32 v209, 0x80000000, v189
	v_cmp_gt_f64_e64 s2, 0, v[190:191]
	v_xor_b32_e32 v211, 0x80000000, v191
	v_add_nc_u32_e32 v197, 16, v197
	s_waitcnt lgkmcnt(0)
	v_cmp_gt_f64_e64 s3, 0, v[205:206]
	v_mov_b32_e32 v213, v205
	v_dual_mov_b32 v215, v207 :: v_dual_cndmask_b32 v210, v189, v209
	v_xor_b32_e32 v209, 0x80000000, v206
	v_cndmask_b32_e64 v212, v191, v211, s2
	v_xor_b32_e32 v211, 0x80000000, v208
	s_delay_alu instid0(VALU_DEP_3) | instskip(SKIP_2) | instid1(VALU_DEP_2)
	v_cndmask_b32_e64 v214, v206, v209, s3
	v_cmp_gt_f64_e64 s3, 0, v[207:208]
	v_cndmask_b32_e32 v209, v188, v188, vcc_lo
	v_cndmask_b32_e64 v216, v208, v211, s3
	v_cndmask_b32_e64 v211, v190, v190, s2
	s_delay_alu instid0(VALU_DEP_2) | instskip(NEXT) | instid1(VALU_DEP_2)
	v_add_f64 v[213:214], v[213:214], v[215:216]
	v_add_f64 v[209:210], v[209:210], v[211:212]
	s_delay_alu instid0(VALU_DEP_1) | instskip(SKIP_4) | instid1(SALU_CYCLE_1)
	v_cmp_lt_f64_e32 vcc_lo, v[209:210], v[213:214]
	v_dual_cndmask_b32 v190, v190, v207 :: v_dual_cndmask_b32 v189, v189, v206
	v_dual_cndmask_b32 v188, v188, v205 :: v_dual_cndmask_b32 v191, v191, v208
	v_cndmask_b32_e64 v196, v196, s6, vcc_lo
	s_add_i32 s6, s6, 1
	s_cmp_lg_u32 s5, s6
	s_cbranch_scc1 .LBB92_106
.LBB92_107:
	s_set_inst_prefetch_distance 0x2
	s_waitcnt lgkmcnt(0)
	v_cmp_eq_f64_e32 vcc_lo, 0, v[188:189]
	v_cmp_eq_f64_e64 s2, 0, v[190:191]
	s_delay_alu instid0(VALU_DEP_1) | instskip(NEXT) | instid1(SALU_CYCLE_1)
	s_and_b32 s2, vcc_lo, s2
	s_and_saveexec_b32 s3, s2
	s_delay_alu instid0(SALU_CYCLE_1)
	s_xor_b32 s2, exec_lo, s3
; %bb.108:
	v_cmp_ne_u32_e32 vcc_lo, 0, v201
	v_cndmask_b32_e32 v201, 6, v201, vcc_lo
; %bb.109:
	s_and_not1_saveexec_b32 s3, s2
	s_cbranch_execz .LBB92_115
; %bb.110:
	v_cmp_gt_f64_e32 vcc_lo, 0, v[188:189]
	v_cmp_gt_f64_e64 s2, 0, v[190:191]
	v_xor_b32_e32 v197, 0x80000000, v189
	v_xor_b32_e32 v205, 0x80000000, v191
	s_delay_alu instid0(VALU_DEP_2) | instskip(NEXT) | instid1(VALU_DEP_2)
	v_cndmask_b32_e32 v206, v189, v197, vcc_lo
	v_cndmask_b32_e64 v208, v191, v205, s2
	v_cndmask_b32_e32 v205, v188, v188, vcc_lo
	v_cndmask_b32_e64 v207, v190, v190, s2
	s_mov_b32 s2, exec_lo
	s_delay_alu instid0(VALU_DEP_1)
	v_cmpx_ngt_f64_e32 v[205:206], v[207:208]
	s_xor_b32 s2, exec_lo, s2
	s_cbranch_execz .LBB92_112
; %bb.111:
	v_div_scale_f64 v[205:206], null, v[190:191], v[190:191], v[188:189]
	v_div_scale_f64 v[211:212], vcc_lo, v[188:189], v[190:191], v[188:189]
	s_delay_alu instid0(VALU_DEP_2) | instskip(SKIP_2) | instid1(VALU_DEP_1)
	v_rcp_f64_e32 v[207:208], v[205:206]
	s_waitcnt_depctr 0xfff
	v_fma_f64 v[209:210], -v[205:206], v[207:208], 1.0
	v_fma_f64 v[207:208], v[207:208], v[209:210], v[207:208]
	s_delay_alu instid0(VALU_DEP_1) | instskip(NEXT) | instid1(VALU_DEP_1)
	v_fma_f64 v[209:210], -v[205:206], v[207:208], 1.0
	v_fma_f64 v[207:208], v[207:208], v[209:210], v[207:208]
	s_delay_alu instid0(VALU_DEP_1) | instskip(NEXT) | instid1(VALU_DEP_1)
	v_mul_f64 v[209:210], v[211:212], v[207:208]
	v_fma_f64 v[205:206], -v[205:206], v[209:210], v[211:212]
	s_delay_alu instid0(VALU_DEP_1) | instskip(NEXT) | instid1(VALU_DEP_1)
	v_div_fmas_f64 v[205:206], v[205:206], v[207:208], v[209:210]
	v_div_fixup_f64 v[205:206], v[205:206], v[190:191], v[188:189]
	s_delay_alu instid0(VALU_DEP_1) | instskip(NEXT) | instid1(VALU_DEP_1)
	v_fma_f64 v[188:189], v[188:189], v[205:206], v[190:191]
	v_div_scale_f64 v[190:191], null, v[188:189], v[188:189], 1.0
	s_delay_alu instid0(VALU_DEP_1) | instskip(SKIP_2) | instid1(VALU_DEP_1)
	v_rcp_f64_e32 v[207:208], v[190:191]
	s_waitcnt_depctr 0xfff
	v_fma_f64 v[209:210], -v[190:191], v[207:208], 1.0
	v_fma_f64 v[207:208], v[207:208], v[209:210], v[207:208]
	s_delay_alu instid0(VALU_DEP_1) | instskip(NEXT) | instid1(VALU_DEP_1)
	v_fma_f64 v[209:210], -v[190:191], v[207:208], 1.0
	v_fma_f64 v[207:208], v[207:208], v[209:210], v[207:208]
	v_div_scale_f64 v[209:210], vcc_lo, 1.0, v[188:189], 1.0
	s_delay_alu instid0(VALU_DEP_1) | instskip(NEXT) | instid1(VALU_DEP_1)
	v_mul_f64 v[211:212], v[209:210], v[207:208]
	v_fma_f64 v[190:191], -v[190:191], v[211:212], v[209:210]
	s_delay_alu instid0(VALU_DEP_1) | instskip(NEXT) | instid1(VALU_DEP_1)
	v_div_fmas_f64 v[190:191], v[190:191], v[207:208], v[211:212]
	v_div_fixup_f64 v[190:191], v[190:191], v[188:189], 1.0
	s_delay_alu instid0(VALU_DEP_1)
	v_mul_f64 v[188:189], v[205:206], v[190:191]
	v_xor_b32_e32 v191, 0x80000000, v191
.LBB92_112:
	s_and_not1_saveexec_b32 s2, s2
	s_cbranch_execz .LBB92_114
; %bb.113:
	s_delay_alu instid0(VALU_DEP_1) | instskip(SKIP_1) | instid1(VALU_DEP_2)
	v_div_scale_f64 v[205:206], null, v[188:189], v[188:189], v[190:191]
	v_div_scale_f64 v[211:212], vcc_lo, v[190:191], v[188:189], v[190:191]
	v_rcp_f64_e32 v[207:208], v[205:206]
	s_waitcnt_depctr 0xfff
	v_fma_f64 v[209:210], -v[205:206], v[207:208], 1.0
	s_delay_alu instid0(VALU_DEP_1) | instskip(NEXT) | instid1(VALU_DEP_1)
	v_fma_f64 v[207:208], v[207:208], v[209:210], v[207:208]
	v_fma_f64 v[209:210], -v[205:206], v[207:208], 1.0
	s_delay_alu instid0(VALU_DEP_1) | instskip(NEXT) | instid1(VALU_DEP_1)
	v_fma_f64 v[207:208], v[207:208], v[209:210], v[207:208]
	v_mul_f64 v[209:210], v[211:212], v[207:208]
	s_delay_alu instid0(VALU_DEP_1) | instskip(NEXT) | instid1(VALU_DEP_1)
	v_fma_f64 v[205:206], -v[205:206], v[209:210], v[211:212]
	v_div_fmas_f64 v[205:206], v[205:206], v[207:208], v[209:210]
	s_delay_alu instid0(VALU_DEP_1) | instskip(NEXT) | instid1(VALU_DEP_1)
	v_div_fixup_f64 v[205:206], v[205:206], v[188:189], v[190:191]
	v_fma_f64 v[188:189], v[190:191], v[205:206], v[188:189]
	s_delay_alu instid0(VALU_DEP_1) | instskip(NEXT) | instid1(VALU_DEP_1)
	v_div_scale_f64 v[190:191], null, v[188:189], v[188:189], 1.0
	v_rcp_f64_e32 v[207:208], v[190:191]
	s_waitcnt_depctr 0xfff
	v_fma_f64 v[209:210], -v[190:191], v[207:208], 1.0
	s_delay_alu instid0(VALU_DEP_1) | instskip(NEXT) | instid1(VALU_DEP_1)
	v_fma_f64 v[207:208], v[207:208], v[209:210], v[207:208]
	v_fma_f64 v[209:210], -v[190:191], v[207:208], 1.0
	s_delay_alu instid0(VALU_DEP_1) | instskip(SKIP_1) | instid1(VALU_DEP_1)
	v_fma_f64 v[207:208], v[207:208], v[209:210], v[207:208]
	v_div_scale_f64 v[209:210], vcc_lo, 1.0, v[188:189], 1.0
	v_mul_f64 v[211:212], v[209:210], v[207:208]
	s_delay_alu instid0(VALU_DEP_1) | instskip(NEXT) | instid1(VALU_DEP_1)
	v_fma_f64 v[190:191], -v[190:191], v[211:212], v[209:210]
	v_div_fmas_f64 v[190:191], v[190:191], v[207:208], v[211:212]
	s_delay_alu instid0(VALU_DEP_1) | instskip(NEXT) | instid1(VALU_DEP_1)
	v_div_fixup_f64 v[188:189], v[190:191], v[188:189], 1.0
	v_mul_f64 v[190:191], v[205:206], -v[188:189]
.LBB92_114:
	s_or_b32 exec_lo, exec_lo, s2
.LBB92_115:
	s_delay_alu instid0(SALU_CYCLE_1) | instskip(NEXT) | instid1(SALU_CYCLE_1)
	s_or_b32 exec_lo, exec_lo, s3
	s_mov_b32 s2, exec_lo
	v_cmpx_ne_u32_e64 v204, v196
	s_xor_b32 s2, exec_lo, s2
	s_cbranch_execz .LBB92_121
; %bb.116:
	s_mov_b32 s3, exec_lo
	v_cmpx_eq_u32_e32 5, v204
	s_cbranch_execz .LBB92_120
; %bb.117:
	v_cmp_ne_u32_e32 vcc_lo, 5, v196
	s_xor_b32 s6, s4, -1
	s_delay_alu instid0(SALU_CYCLE_1) | instskip(NEXT) | instid1(SALU_CYCLE_1)
	s_and_b32 s7, s6, vcc_lo
	s_and_saveexec_b32 s6, s7
	s_cbranch_execz .LBB92_119
; %bb.118:
	v_ashrrev_i32_e32 v197, 31, v196
	s_delay_alu instid0(VALU_DEP_1) | instskip(NEXT) | instid1(VALU_DEP_1)
	v_lshlrev_b64 v[204:205], 2, v[196:197]
	v_add_co_u32 v204, vcc_lo, v194, v204
	s_delay_alu instid0(VALU_DEP_2)
	v_add_co_ci_u32_e32 v205, vcc_lo, v195, v205, vcc_lo
	s_clause 0x1
	flat_load_b32 v197, v[204:205]
	flat_load_b32 v202, v[194:195] offset:20
	s_waitcnt vmcnt(1) lgkmcnt(1)
	flat_store_b32 v[194:195], v197 offset:20
	s_waitcnt vmcnt(0) lgkmcnt(1)
	flat_store_b32 v[204:205], v202
.LBB92_119:
	s_or_b32 exec_lo, exec_lo, s6
	v_mov_b32_e32 v204, v196
	v_mov_b32_e32 v202, v196
.LBB92_120:
	s_or_b32 exec_lo, exec_lo, s3
.LBB92_121:
	s_and_not1_saveexec_b32 s2, s2
	s_cbranch_execz .LBB92_123
; %bb.122:
	v_mov_b32_e32 v204, 5
	ds_store_2addr_b64 v198, v[160:161], v[162:163] offset0:12 offset1:13
	ds_store_2addr_b64 v198, v[156:157], v[158:159] offset0:14 offset1:15
	;; [unrolled: 1-line block ×41, first 2 shown]
.LBB92_123:
	s_or_b32 exec_lo, exec_lo, s2
	s_delay_alu instid0(SALU_CYCLE_1)
	s_mov_b32 s2, exec_lo
	s_waitcnt lgkmcnt(0)
	s_waitcnt_vscnt null, 0x0
	s_barrier
	buffer_gl0_inv
	v_cmpx_lt_i32_e32 5, v204
	s_cbranch_execz .LBB92_125
; %bb.124:
	v_mul_f64 v[196:197], v[190:191], v[166:167]
	v_mul_f64 v[166:167], v[188:189], v[166:167]
	s_delay_alu instid0(VALU_DEP_2) | instskip(NEXT) | instid1(VALU_DEP_2)
	v_fma_f64 v[196:197], v[188:189], v[164:165], -v[196:197]
	v_fma_f64 v[166:167], v[190:191], v[164:165], v[166:167]
	ds_load_2addr_b64 v[188:191], v198 offset0:12 offset1:13
	s_waitcnt lgkmcnt(0)
	v_mul_f64 v[164:165], v[190:191], v[166:167]
	s_delay_alu instid0(VALU_DEP_1) | instskip(SKIP_1) | instid1(VALU_DEP_2)
	v_fma_f64 v[164:165], v[188:189], v[196:197], -v[164:165]
	v_mul_f64 v[188:189], v[188:189], v[166:167]
	v_add_f64 v[160:161], v[160:161], -v[164:165]
	s_delay_alu instid0(VALU_DEP_2) | instskip(NEXT) | instid1(VALU_DEP_1)
	v_fma_f64 v[188:189], v[190:191], v[196:197], v[188:189]
	v_add_f64 v[162:163], v[162:163], -v[188:189]
	ds_load_2addr_b64 v[188:191], v198 offset0:14 offset1:15
	s_waitcnt lgkmcnt(0)
	v_mul_f64 v[164:165], v[190:191], v[166:167]
	s_delay_alu instid0(VALU_DEP_1) | instskip(SKIP_1) | instid1(VALU_DEP_2)
	v_fma_f64 v[164:165], v[188:189], v[196:197], -v[164:165]
	v_mul_f64 v[188:189], v[188:189], v[166:167]
	v_add_f64 v[156:157], v[156:157], -v[164:165]
	s_delay_alu instid0(VALU_DEP_2) | instskip(NEXT) | instid1(VALU_DEP_1)
	v_fma_f64 v[188:189], v[190:191], v[196:197], v[188:189]
	v_add_f64 v[158:159], v[158:159], -v[188:189]
	;; [unrolled: 10-line block ×40, first 2 shown]
	ds_load_2addr_b64 v[188:191], v198 offset0:92 offset1:93
	s_waitcnt lgkmcnt(0)
	v_mul_f64 v[164:165], v[190:191], v[166:167]
	s_delay_alu instid0(VALU_DEP_1) | instskip(SKIP_1) | instid1(VALU_DEP_2)
	v_fma_f64 v[164:165], v[188:189], v[196:197], -v[164:165]
	v_mul_f64 v[188:189], v[188:189], v[166:167]
	v_add_f64 v[0:1], v[0:1], -v[164:165]
	s_delay_alu instid0(VALU_DEP_2) | instskip(SKIP_1) | instid1(VALU_DEP_2)
	v_fma_f64 v[188:189], v[190:191], v[196:197], v[188:189]
	v_dual_mov_b32 v164, v196 :: v_dual_mov_b32 v165, v197
	v_add_f64 v[2:3], v[2:3], -v[188:189]
.LBB92_125:
	s_or_b32 exec_lo, exec_lo, s2
	v_lshl_add_u32 v188, v204, 4, v198
	s_barrier
	buffer_gl0_inv
	v_mov_b32_e32 v196, 6
	ds_store_2addr_b64 v188, v[160:161], v[162:163] offset1:1
	s_waitcnt lgkmcnt(0)
	s_barrier
	buffer_gl0_inv
	ds_load_2addr_b64 v[188:191], v198 offset0:12 offset1:13
	s_cmp_lt_i32 s5, 8
	s_cbranch_scc1 .LBB92_128
; %bb.126:
	v_add3_u32 v197, v203, 0, 0x70
	v_mov_b32_e32 v196, 6
	s_mov_b32 s6, 7
	s_set_inst_prefetch_distance 0x1
	.p2align	6
.LBB92_127:                             ; =>This Inner Loop Header: Depth=1
	ds_load_2addr_b64 v[205:208], v197 offset1:1
	s_waitcnt lgkmcnt(1)
	v_cmp_gt_f64_e32 vcc_lo, 0, v[188:189]
	v_xor_b32_e32 v209, 0x80000000, v189
	v_cmp_gt_f64_e64 s2, 0, v[190:191]
	v_xor_b32_e32 v211, 0x80000000, v191
	v_add_nc_u32_e32 v197, 16, v197
	s_waitcnt lgkmcnt(0)
	v_cmp_gt_f64_e64 s3, 0, v[205:206]
	v_mov_b32_e32 v213, v205
	v_dual_mov_b32 v215, v207 :: v_dual_cndmask_b32 v210, v189, v209
	v_xor_b32_e32 v209, 0x80000000, v206
	v_cndmask_b32_e64 v212, v191, v211, s2
	v_xor_b32_e32 v211, 0x80000000, v208
	s_delay_alu instid0(VALU_DEP_3) | instskip(SKIP_2) | instid1(VALU_DEP_2)
	v_cndmask_b32_e64 v214, v206, v209, s3
	v_cmp_gt_f64_e64 s3, 0, v[207:208]
	v_cndmask_b32_e32 v209, v188, v188, vcc_lo
	v_cndmask_b32_e64 v216, v208, v211, s3
	v_cndmask_b32_e64 v211, v190, v190, s2
	s_delay_alu instid0(VALU_DEP_2) | instskip(NEXT) | instid1(VALU_DEP_2)
	v_add_f64 v[213:214], v[213:214], v[215:216]
	v_add_f64 v[209:210], v[209:210], v[211:212]
	s_delay_alu instid0(VALU_DEP_1) | instskip(SKIP_4) | instid1(SALU_CYCLE_1)
	v_cmp_lt_f64_e32 vcc_lo, v[209:210], v[213:214]
	v_dual_cndmask_b32 v190, v190, v207 :: v_dual_cndmask_b32 v189, v189, v206
	v_dual_cndmask_b32 v188, v188, v205 :: v_dual_cndmask_b32 v191, v191, v208
	v_cndmask_b32_e64 v196, v196, s6, vcc_lo
	s_add_i32 s6, s6, 1
	s_cmp_lg_u32 s5, s6
	s_cbranch_scc1 .LBB92_127
.LBB92_128:
	s_set_inst_prefetch_distance 0x2
	s_waitcnt lgkmcnt(0)
	v_cmp_eq_f64_e32 vcc_lo, 0, v[188:189]
	v_cmp_eq_f64_e64 s2, 0, v[190:191]
	s_delay_alu instid0(VALU_DEP_1) | instskip(NEXT) | instid1(SALU_CYCLE_1)
	s_and_b32 s2, vcc_lo, s2
	s_and_saveexec_b32 s3, s2
	s_delay_alu instid0(SALU_CYCLE_1)
	s_xor_b32 s2, exec_lo, s3
; %bb.129:
	v_cmp_ne_u32_e32 vcc_lo, 0, v201
	v_cndmask_b32_e32 v201, 7, v201, vcc_lo
; %bb.130:
	s_and_not1_saveexec_b32 s3, s2
	s_cbranch_execz .LBB92_136
; %bb.131:
	v_cmp_gt_f64_e32 vcc_lo, 0, v[188:189]
	v_cmp_gt_f64_e64 s2, 0, v[190:191]
	v_xor_b32_e32 v197, 0x80000000, v189
	v_xor_b32_e32 v205, 0x80000000, v191
	s_delay_alu instid0(VALU_DEP_2) | instskip(NEXT) | instid1(VALU_DEP_2)
	v_cndmask_b32_e32 v206, v189, v197, vcc_lo
	v_cndmask_b32_e64 v208, v191, v205, s2
	v_cndmask_b32_e32 v205, v188, v188, vcc_lo
	v_cndmask_b32_e64 v207, v190, v190, s2
	s_mov_b32 s2, exec_lo
	s_delay_alu instid0(VALU_DEP_1)
	v_cmpx_ngt_f64_e32 v[205:206], v[207:208]
	s_xor_b32 s2, exec_lo, s2
	s_cbranch_execz .LBB92_133
; %bb.132:
	v_div_scale_f64 v[205:206], null, v[190:191], v[190:191], v[188:189]
	v_div_scale_f64 v[211:212], vcc_lo, v[188:189], v[190:191], v[188:189]
	s_delay_alu instid0(VALU_DEP_2) | instskip(SKIP_2) | instid1(VALU_DEP_1)
	v_rcp_f64_e32 v[207:208], v[205:206]
	s_waitcnt_depctr 0xfff
	v_fma_f64 v[209:210], -v[205:206], v[207:208], 1.0
	v_fma_f64 v[207:208], v[207:208], v[209:210], v[207:208]
	s_delay_alu instid0(VALU_DEP_1) | instskip(NEXT) | instid1(VALU_DEP_1)
	v_fma_f64 v[209:210], -v[205:206], v[207:208], 1.0
	v_fma_f64 v[207:208], v[207:208], v[209:210], v[207:208]
	s_delay_alu instid0(VALU_DEP_1) | instskip(NEXT) | instid1(VALU_DEP_1)
	v_mul_f64 v[209:210], v[211:212], v[207:208]
	v_fma_f64 v[205:206], -v[205:206], v[209:210], v[211:212]
	s_delay_alu instid0(VALU_DEP_1) | instskip(NEXT) | instid1(VALU_DEP_1)
	v_div_fmas_f64 v[205:206], v[205:206], v[207:208], v[209:210]
	v_div_fixup_f64 v[205:206], v[205:206], v[190:191], v[188:189]
	s_delay_alu instid0(VALU_DEP_1) | instskip(NEXT) | instid1(VALU_DEP_1)
	v_fma_f64 v[188:189], v[188:189], v[205:206], v[190:191]
	v_div_scale_f64 v[190:191], null, v[188:189], v[188:189], 1.0
	s_delay_alu instid0(VALU_DEP_1) | instskip(SKIP_2) | instid1(VALU_DEP_1)
	v_rcp_f64_e32 v[207:208], v[190:191]
	s_waitcnt_depctr 0xfff
	v_fma_f64 v[209:210], -v[190:191], v[207:208], 1.0
	v_fma_f64 v[207:208], v[207:208], v[209:210], v[207:208]
	s_delay_alu instid0(VALU_DEP_1) | instskip(NEXT) | instid1(VALU_DEP_1)
	v_fma_f64 v[209:210], -v[190:191], v[207:208], 1.0
	v_fma_f64 v[207:208], v[207:208], v[209:210], v[207:208]
	v_div_scale_f64 v[209:210], vcc_lo, 1.0, v[188:189], 1.0
	s_delay_alu instid0(VALU_DEP_1) | instskip(NEXT) | instid1(VALU_DEP_1)
	v_mul_f64 v[211:212], v[209:210], v[207:208]
	v_fma_f64 v[190:191], -v[190:191], v[211:212], v[209:210]
	s_delay_alu instid0(VALU_DEP_1) | instskip(NEXT) | instid1(VALU_DEP_1)
	v_div_fmas_f64 v[190:191], v[190:191], v[207:208], v[211:212]
	v_div_fixup_f64 v[190:191], v[190:191], v[188:189], 1.0
	s_delay_alu instid0(VALU_DEP_1)
	v_mul_f64 v[188:189], v[205:206], v[190:191]
	v_xor_b32_e32 v191, 0x80000000, v191
.LBB92_133:
	s_and_not1_saveexec_b32 s2, s2
	s_cbranch_execz .LBB92_135
; %bb.134:
	s_delay_alu instid0(VALU_DEP_1) | instskip(SKIP_1) | instid1(VALU_DEP_2)
	v_div_scale_f64 v[205:206], null, v[188:189], v[188:189], v[190:191]
	v_div_scale_f64 v[211:212], vcc_lo, v[190:191], v[188:189], v[190:191]
	v_rcp_f64_e32 v[207:208], v[205:206]
	s_waitcnt_depctr 0xfff
	v_fma_f64 v[209:210], -v[205:206], v[207:208], 1.0
	s_delay_alu instid0(VALU_DEP_1) | instskip(NEXT) | instid1(VALU_DEP_1)
	v_fma_f64 v[207:208], v[207:208], v[209:210], v[207:208]
	v_fma_f64 v[209:210], -v[205:206], v[207:208], 1.0
	s_delay_alu instid0(VALU_DEP_1) | instskip(NEXT) | instid1(VALU_DEP_1)
	v_fma_f64 v[207:208], v[207:208], v[209:210], v[207:208]
	v_mul_f64 v[209:210], v[211:212], v[207:208]
	s_delay_alu instid0(VALU_DEP_1) | instskip(NEXT) | instid1(VALU_DEP_1)
	v_fma_f64 v[205:206], -v[205:206], v[209:210], v[211:212]
	v_div_fmas_f64 v[205:206], v[205:206], v[207:208], v[209:210]
	s_delay_alu instid0(VALU_DEP_1) | instskip(NEXT) | instid1(VALU_DEP_1)
	v_div_fixup_f64 v[205:206], v[205:206], v[188:189], v[190:191]
	v_fma_f64 v[188:189], v[190:191], v[205:206], v[188:189]
	s_delay_alu instid0(VALU_DEP_1) | instskip(NEXT) | instid1(VALU_DEP_1)
	v_div_scale_f64 v[190:191], null, v[188:189], v[188:189], 1.0
	v_rcp_f64_e32 v[207:208], v[190:191]
	s_waitcnt_depctr 0xfff
	v_fma_f64 v[209:210], -v[190:191], v[207:208], 1.0
	s_delay_alu instid0(VALU_DEP_1) | instskip(NEXT) | instid1(VALU_DEP_1)
	v_fma_f64 v[207:208], v[207:208], v[209:210], v[207:208]
	v_fma_f64 v[209:210], -v[190:191], v[207:208], 1.0
	s_delay_alu instid0(VALU_DEP_1) | instskip(SKIP_1) | instid1(VALU_DEP_1)
	v_fma_f64 v[207:208], v[207:208], v[209:210], v[207:208]
	v_div_scale_f64 v[209:210], vcc_lo, 1.0, v[188:189], 1.0
	v_mul_f64 v[211:212], v[209:210], v[207:208]
	s_delay_alu instid0(VALU_DEP_1) | instskip(NEXT) | instid1(VALU_DEP_1)
	v_fma_f64 v[190:191], -v[190:191], v[211:212], v[209:210]
	v_div_fmas_f64 v[190:191], v[190:191], v[207:208], v[211:212]
	s_delay_alu instid0(VALU_DEP_1) | instskip(NEXT) | instid1(VALU_DEP_1)
	v_div_fixup_f64 v[188:189], v[190:191], v[188:189], 1.0
	v_mul_f64 v[190:191], v[205:206], -v[188:189]
.LBB92_135:
	s_or_b32 exec_lo, exec_lo, s2
.LBB92_136:
	s_delay_alu instid0(SALU_CYCLE_1) | instskip(NEXT) | instid1(SALU_CYCLE_1)
	s_or_b32 exec_lo, exec_lo, s3
	s_mov_b32 s2, exec_lo
	v_cmpx_ne_u32_e64 v204, v196
	s_xor_b32 s2, exec_lo, s2
	s_cbranch_execz .LBB92_142
; %bb.137:
	s_mov_b32 s3, exec_lo
	v_cmpx_eq_u32_e32 6, v204
	s_cbranch_execz .LBB92_141
; %bb.138:
	v_cmp_ne_u32_e32 vcc_lo, 6, v196
	s_xor_b32 s6, s4, -1
	s_delay_alu instid0(SALU_CYCLE_1) | instskip(NEXT) | instid1(SALU_CYCLE_1)
	s_and_b32 s7, s6, vcc_lo
	s_and_saveexec_b32 s6, s7
	s_cbranch_execz .LBB92_140
; %bb.139:
	v_ashrrev_i32_e32 v197, 31, v196
	s_delay_alu instid0(VALU_DEP_1) | instskip(NEXT) | instid1(VALU_DEP_1)
	v_lshlrev_b64 v[204:205], 2, v[196:197]
	v_add_co_u32 v204, vcc_lo, v194, v204
	s_delay_alu instid0(VALU_DEP_2)
	v_add_co_ci_u32_e32 v205, vcc_lo, v195, v205, vcc_lo
	s_clause 0x1
	flat_load_b32 v197, v[204:205]
	flat_load_b32 v202, v[194:195] offset:24
	s_waitcnt vmcnt(1) lgkmcnt(1)
	flat_store_b32 v[194:195], v197 offset:24
	s_waitcnt vmcnt(0) lgkmcnt(1)
	flat_store_b32 v[204:205], v202
.LBB92_140:
	s_or_b32 exec_lo, exec_lo, s6
	v_mov_b32_e32 v204, v196
	v_mov_b32_e32 v202, v196
.LBB92_141:
	s_or_b32 exec_lo, exec_lo, s3
.LBB92_142:
	s_and_not1_saveexec_b32 s2, s2
	s_cbranch_execz .LBB92_144
; %bb.143:
	v_mov_b32_e32 v204, 6
	ds_store_2addr_b64 v198, v[156:157], v[158:159] offset0:14 offset1:15
	ds_store_2addr_b64 v198, v[152:153], v[154:155] offset0:16 offset1:17
	;; [unrolled: 1-line block ×40, first 2 shown]
.LBB92_144:
	s_or_b32 exec_lo, exec_lo, s2
	s_delay_alu instid0(SALU_CYCLE_1)
	s_mov_b32 s2, exec_lo
	s_waitcnt lgkmcnt(0)
	s_waitcnt_vscnt null, 0x0
	s_barrier
	buffer_gl0_inv
	v_cmpx_lt_i32_e32 6, v204
	s_cbranch_execz .LBB92_146
; %bb.145:
	v_mul_f64 v[196:197], v[190:191], v[162:163]
	v_mul_f64 v[162:163], v[188:189], v[162:163]
	s_delay_alu instid0(VALU_DEP_2) | instskip(NEXT) | instid1(VALU_DEP_2)
	v_fma_f64 v[196:197], v[188:189], v[160:161], -v[196:197]
	v_fma_f64 v[162:163], v[190:191], v[160:161], v[162:163]
	ds_load_2addr_b64 v[188:191], v198 offset0:14 offset1:15
	s_waitcnt lgkmcnt(0)
	v_mul_f64 v[160:161], v[190:191], v[162:163]
	s_delay_alu instid0(VALU_DEP_1) | instskip(SKIP_1) | instid1(VALU_DEP_2)
	v_fma_f64 v[160:161], v[188:189], v[196:197], -v[160:161]
	v_mul_f64 v[188:189], v[188:189], v[162:163]
	v_add_f64 v[156:157], v[156:157], -v[160:161]
	s_delay_alu instid0(VALU_DEP_2) | instskip(NEXT) | instid1(VALU_DEP_1)
	v_fma_f64 v[188:189], v[190:191], v[196:197], v[188:189]
	v_add_f64 v[158:159], v[158:159], -v[188:189]
	ds_load_2addr_b64 v[188:191], v198 offset0:16 offset1:17
	s_waitcnt lgkmcnt(0)
	v_mul_f64 v[160:161], v[190:191], v[162:163]
	s_delay_alu instid0(VALU_DEP_1) | instskip(SKIP_1) | instid1(VALU_DEP_2)
	v_fma_f64 v[160:161], v[188:189], v[196:197], -v[160:161]
	v_mul_f64 v[188:189], v[188:189], v[162:163]
	v_add_f64 v[152:153], v[152:153], -v[160:161]
	s_delay_alu instid0(VALU_DEP_2) | instskip(NEXT) | instid1(VALU_DEP_1)
	v_fma_f64 v[188:189], v[190:191], v[196:197], v[188:189]
	v_add_f64 v[154:155], v[154:155], -v[188:189]
	;; [unrolled: 10-line block ×39, first 2 shown]
	ds_load_2addr_b64 v[188:191], v198 offset0:92 offset1:93
	s_waitcnt lgkmcnt(0)
	v_mul_f64 v[160:161], v[190:191], v[162:163]
	s_delay_alu instid0(VALU_DEP_1) | instskip(SKIP_1) | instid1(VALU_DEP_2)
	v_fma_f64 v[160:161], v[188:189], v[196:197], -v[160:161]
	v_mul_f64 v[188:189], v[188:189], v[162:163]
	v_add_f64 v[0:1], v[0:1], -v[160:161]
	s_delay_alu instid0(VALU_DEP_2) | instskip(SKIP_1) | instid1(VALU_DEP_2)
	v_fma_f64 v[188:189], v[190:191], v[196:197], v[188:189]
	v_dual_mov_b32 v160, v196 :: v_dual_mov_b32 v161, v197
	v_add_f64 v[2:3], v[2:3], -v[188:189]
.LBB92_146:
	s_or_b32 exec_lo, exec_lo, s2
	v_lshl_add_u32 v188, v204, 4, v198
	s_barrier
	buffer_gl0_inv
	v_mov_b32_e32 v196, 7
	ds_store_2addr_b64 v188, v[156:157], v[158:159] offset1:1
	s_waitcnt lgkmcnt(0)
	s_barrier
	buffer_gl0_inv
	ds_load_2addr_b64 v[188:191], v198 offset0:14 offset1:15
	s_cmp_lt_i32 s5, 9
	s_cbranch_scc1 .LBB92_149
; %bb.147:
	v_add3_u32 v197, v203, 0, 0x80
	v_mov_b32_e32 v196, 7
	s_mov_b32 s6, 8
	s_set_inst_prefetch_distance 0x1
	.p2align	6
.LBB92_148:                             ; =>This Inner Loop Header: Depth=1
	ds_load_2addr_b64 v[205:208], v197 offset1:1
	s_waitcnt lgkmcnt(1)
	v_cmp_gt_f64_e32 vcc_lo, 0, v[188:189]
	v_xor_b32_e32 v209, 0x80000000, v189
	v_cmp_gt_f64_e64 s2, 0, v[190:191]
	v_xor_b32_e32 v211, 0x80000000, v191
	v_add_nc_u32_e32 v197, 16, v197
	s_waitcnt lgkmcnt(0)
	v_cmp_gt_f64_e64 s3, 0, v[205:206]
	v_mov_b32_e32 v213, v205
	v_dual_mov_b32 v215, v207 :: v_dual_cndmask_b32 v210, v189, v209
	v_xor_b32_e32 v209, 0x80000000, v206
	v_cndmask_b32_e64 v212, v191, v211, s2
	v_xor_b32_e32 v211, 0x80000000, v208
	s_delay_alu instid0(VALU_DEP_3) | instskip(SKIP_2) | instid1(VALU_DEP_2)
	v_cndmask_b32_e64 v214, v206, v209, s3
	v_cmp_gt_f64_e64 s3, 0, v[207:208]
	v_cndmask_b32_e32 v209, v188, v188, vcc_lo
	v_cndmask_b32_e64 v216, v208, v211, s3
	v_cndmask_b32_e64 v211, v190, v190, s2
	s_delay_alu instid0(VALU_DEP_2) | instskip(NEXT) | instid1(VALU_DEP_2)
	v_add_f64 v[213:214], v[213:214], v[215:216]
	v_add_f64 v[209:210], v[209:210], v[211:212]
	s_delay_alu instid0(VALU_DEP_1) | instskip(SKIP_4) | instid1(SALU_CYCLE_1)
	v_cmp_lt_f64_e32 vcc_lo, v[209:210], v[213:214]
	v_dual_cndmask_b32 v190, v190, v207 :: v_dual_cndmask_b32 v189, v189, v206
	v_dual_cndmask_b32 v188, v188, v205 :: v_dual_cndmask_b32 v191, v191, v208
	v_cndmask_b32_e64 v196, v196, s6, vcc_lo
	s_add_i32 s6, s6, 1
	s_cmp_lg_u32 s5, s6
	s_cbranch_scc1 .LBB92_148
.LBB92_149:
	s_set_inst_prefetch_distance 0x2
	s_waitcnt lgkmcnt(0)
	v_cmp_eq_f64_e32 vcc_lo, 0, v[188:189]
	v_cmp_eq_f64_e64 s2, 0, v[190:191]
	s_delay_alu instid0(VALU_DEP_1) | instskip(NEXT) | instid1(SALU_CYCLE_1)
	s_and_b32 s2, vcc_lo, s2
	s_and_saveexec_b32 s3, s2
	s_delay_alu instid0(SALU_CYCLE_1)
	s_xor_b32 s2, exec_lo, s3
; %bb.150:
	v_cmp_ne_u32_e32 vcc_lo, 0, v201
	v_cndmask_b32_e32 v201, 8, v201, vcc_lo
; %bb.151:
	s_and_not1_saveexec_b32 s3, s2
	s_cbranch_execz .LBB92_157
; %bb.152:
	v_cmp_gt_f64_e32 vcc_lo, 0, v[188:189]
	v_cmp_gt_f64_e64 s2, 0, v[190:191]
	v_xor_b32_e32 v197, 0x80000000, v189
	v_xor_b32_e32 v205, 0x80000000, v191
	s_delay_alu instid0(VALU_DEP_2) | instskip(NEXT) | instid1(VALU_DEP_2)
	v_cndmask_b32_e32 v206, v189, v197, vcc_lo
	v_cndmask_b32_e64 v208, v191, v205, s2
	v_cndmask_b32_e32 v205, v188, v188, vcc_lo
	v_cndmask_b32_e64 v207, v190, v190, s2
	s_mov_b32 s2, exec_lo
	s_delay_alu instid0(VALU_DEP_1)
	v_cmpx_ngt_f64_e32 v[205:206], v[207:208]
	s_xor_b32 s2, exec_lo, s2
	s_cbranch_execz .LBB92_154
; %bb.153:
	v_div_scale_f64 v[205:206], null, v[190:191], v[190:191], v[188:189]
	v_div_scale_f64 v[211:212], vcc_lo, v[188:189], v[190:191], v[188:189]
	s_delay_alu instid0(VALU_DEP_2) | instskip(SKIP_2) | instid1(VALU_DEP_1)
	v_rcp_f64_e32 v[207:208], v[205:206]
	s_waitcnt_depctr 0xfff
	v_fma_f64 v[209:210], -v[205:206], v[207:208], 1.0
	v_fma_f64 v[207:208], v[207:208], v[209:210], v[207:208]
	s_delay_alu instid0(VALU_DEP_1) | instskip(NEXT) | instid1(VALU_DEP_1)
	v_fma_f64 v[209:210], -v[205:206], v[207:208], 1.0
	v_fma_f64 v[207:208], v[207:208], v[209:210], v[207:208]
	s_delay_alu instid0(VALU_DEP_1) | instskip(NEXT) | instid1(VALU_DEP_1)
	v_mul_f64 v[209:210], v[211:212], v[207:208]
	v_fma_f64 v[205:206], -v[205:206], v[209:210], v[211:212]
	s_delay_alu instid0(VALU_DEP_1) | instskip(NEXT) | instid1(VALU_DEP_1)
	v_div_fmas_f64 v[205:206], v[205:206], v[207:208], v[209:210]
	v_div_fixup_f64 v[205:206], v[205:206], v[190:191], v[188:189]
	s_delay_alu instid0(VALU_DEP_1) | instskip(NEXT) | instid1(VALU_DEP_1)
	v_fma_f64 v[188:189], v[188:189], v[205:206], v[190:191]
	v_div_scale_f64 v[190:191], null, v[188:189], v[188:189], 1.0
	s_delay_alu instid0(VALU_DEP_1) | instskip(SKIP_2) | instid1(VALU_DEP_1)
	v_rcp_f64_e32 v[207:208], v[190:191]
	s_waitcnt_depctr 0xfff
	v_fma_f64 v[209:210], -v[190:191], v[207:208], 1.0
	v_fma_f64 v[207:208], v[207:208], v[209:210], v[207:208]
	s_delay_alu instid0(VALU_DEP_1) | instskip(NEXT) | instid1(VALU_DEP_1)
	v_fma_f64 v[209:210], -v[190:191], v[207:208], 1.0
	v_fma_f64 v[207:208], v[207:208], v[209:210], v[207:208]
	v_div_scale_f64 v[209:210], vcc_lo, 1.0, v[188:189], 1.0
	s_delay_alu instid0(VALU_DEP_1) | instskip(NEXT) | instid1(VALU_DEP_1)
	v_mul_f64 v[211:212], v[209:210], v[207:208]
	v_fma_f64 v[190:191], -v[190:191], v[211:212], v[209:210]
	s_delay_alu instid0(VALU_DEP_1) | instskip(NEXT) | instid1(VALU_DEP_1)
	v_div_fmas_f64 v[190:191], v[190:191], v[207:208], v[211:212]
	v_div_fixup_f64 v[190:191], v[190:191], v[188:189], 1.0
	s_delay_alu instid0(VALU_DEP_1)
	v_mul_f64 v[188:189], v[205:206], v[190:191]
	v_xor_b32_e32 v191, 0x80000000, v191
.LBB92_154:
	s_and_not1_saveexec_b32 s2, s2
	s_cbranch_execz .LBB92_156
; %bb.155:
	s_delay_alu instid0(VALU_DEP_1) | instskip(SKIP_1) | instid1(VALU_DEP_2)
	v_div_scale_f64 v[205:206], null, v[188:189], v[188:189], v[190:191]
	v_div_scale_f64 v[211:212], vcc_lo, v[190:191], v[188:189], v[190:191]
	v_rcp_f64_e32 v[207:208], v[205:206]
	s_waitcnt_depctr 0xfff
	v_fma_f64 v[209:210], -v[205:206], v[207:208], 1.0
	s_delay_alu instid0(VALU_DEP_1) | instskip(NEXT) | instid1(VALU_DEP_1)
	v_fma_f64 v[207:208], v[207:208], v[209:210], v[207:208]
	v_fma_f64 v[209:210], -v[205:206], v[207:208], 1.0
	s_delay_alu instid0(VALU_DEP_1) | instskip(NEXT) | instid1(VALU_DEP_1)
	v_fma_f64 v[207:208], v[207:208], v[209:210], v[207:208]
	v_mul_f64 v[209:210], v[211:212], v[207:208]
	s_delay_alu instid0(VALU_DEP_1) | instskip(NEXT) | instid1(VALU_DEP_1)
	v_fma_f64 v[205:206], -v[205:206], v[209:210], v[211:212]
	v_div_fmas_f64 v[205:206], v[205:206], v[207:208], v[209:210]
	s_delay_alu instid0(VALU_DEP_1) | instskip(NEXT) | instid1(VALU_DEP_1)
	v_div_fixup_f64 v[205:206], v[205:206], v[188:189], v[190:191]
	v_fma_f64 v[188:189], v[190:191], v[205:206], v[188:189]
	s_delay_alu instid0(VALU_DEP_1) | instskip(NEXT) | instid1(VALU_DEP_1)
	v_div_scale_f64 v[190:191], null, v[188:189], v[188:189], 1.0
	v_rcp_f64_e32 v[207:208], v[190:191]
	s_waitcnt_depctr 0xfff
	v_fma_f64 v[209:210], -v[190:191], v[207:208], 1.0
	s_delay_alu instid0(VALU_DEP_1) | instskip(NEXT) | instid1(VALU_DEP_1)
	v_fma_f64 v[207:208], v[207:208], v[209:210], v[207:208]
	v_fma_f64 v[209:210], -v[190:191], v[207:208], 1.0
	s_delay_alu instid0(VALU_DEP_1) | instskip(SKIP_1) | instid1(VALU_DEP_1)
	v_fma_f64 v[207:208], v[207:208], v[209:210], v[207:208]
	v_div_scale_f64 v[209:210], vcc_lo, 1.0, v[188:189], 1.0
	v_mul_f64 v[211:212], v[209:210], v[207:208]
	s_delay_alu instid0(VALU_DEP_1) | instskip(NEXT) | instid1(VALU_DEP_1)
	v_fma_f64 v[190:191], -v[190:191], v[211:212], v[209:210]
	v_div_fmas_f64 v[190:191], v[190:191], v[207:208], v[211:212]
	s_delay_alu instid0(VALU_DEP_1) | instskip(NEXT) | instid1(VALU_DEP_1)
	v_div_fixup_f64 v[188:189], v[190:191], v[188:189], 1.0
	v_mul_f64 v[190:191], v[205:206], -v[188:189]
.LBB92_156:
	s_or_b32 exec_lo, exec_lo, s2
.LBB92_157:
	s_delay_alu instid0(SALU_CYCLE_1) | instskip(NEXT) | instid1(SALU_CYCLE_1)
	s_or_b32 exec_lo, exec_lo, s3
	s_mov_b32 s2, exec_lo
	v_cmpx_ne_u32_e64 v204, v196
	s_xor_b32 s2, exec_lo, s2
	s_cbranch_execz .LBB92_163
; %bb.158:
	s_mov_b32 s3, exec_lo
	v_cmpx_eq_u32_e32 7, v204
	s_cbranch_execz .LBB92_162
; %bb.159:
	v_cmp_ne_u32_e32 vcc_lo, 7, v196
	s_xor_b32 s6, s4, -1
	s_delay_alu instid0(SALU_CYCLE_1) | instskip(NEXT) | instid1(SALU_CYCLE_1)
	s_and_b32 s7, s6, vcc_lo
	s_and_saveexec_b32 s6, s7
	s_cbranch_execz .LBB92_161
; %bb.160:
	v_ashrrev_i32_e32 v197, 31, v196
	s_delay_alu instid0(VALU_DEP_1) | instskip(NEXT) | instid1(VALU_DEP_1)
	v_lshlrev_b64 v[204:205], 2, v[196:197]
	v_add_co_u32 v204, vcc_lo, v194, v204
	s_delay_alu instid0(VALU_DEP_2)
	v_add_co_ci_u32_e32 v205, vcc_lo, v195, v205, vcc_lo
	s_clause 0x1
	flat_load_b32 v197, v[204:205]
	flat_load_b32 v202, v[194:195] offset:28
	s_waitcnt vmcnt(1) lgkmcnt(1)
	flat_store_b32 v[194:195], v197 offset:28
	s_waitcnt vmcnt(0) lgkmcnt(1)
	flat_store_b32 v[204:205], v202
.LBB92_161:
	s_or_b32 exec_lo, exec_lo, s6
	v_mov_b32_e32 v204, v196
	v_mov_b32_e32 v202, v196
.LBB92_162:
	s_or_b32 exec_lo, exec_lo, s3
.LBB92_163:
	s_and_not1_saveexec_b32 s2, s2
	s_cbranch_execz .LBB92_165
; %bb.164:
	v_mov_b32_e32 v204, 7
	ds_store_2addr_b64 v198, v[152:153], v[154:155] offset0:16 offset1:17
	ds_store_2addr_b64 v198, v[148:149], v[150:151] offset0:18 offset1:19
	ds_store_2addr_b64 v198, v[144:145], v[146:147] offset0:20 offset1:21
	ds_store_2addr_b64 v198, v[140:141], v[142:143] offset0:22 offset1:23
	ds_store_2addr_b64 v198, v[136:137], v[138:139] offset0:24 offset1:25
	ds_store_2addr_b64 v198, v[132:133], v[134:135] offset0:26 offset1:27
	ds_store_2addr_b64 v198, v[128:129], v[130:131] offset0:28 offset1:29
	ds_store_2addr_b64 v198, v[124:125], v[126:127] offset0:30 offset1:31
	ds_store_2addr_b64 v198, v[120:121], v[122:123] offset0:32 offset1:33
	ds_store_2addr_b64 v198, v[116:117], v[118:119] offset0:34 offset1:35
	ds_store_2addr_b64 v198, v[112:113], v[114:115] offset0:36 offset1:37
	ds_store_2addr_b64 v198, v[108:109], v[110:111] offset0:38 offset1:39
	ds_store_2addr_b64 v198, v[104:105], v[106:107] offset0:40 offset1:41
	ds_store_2addr_b64 v198, v[100:101], v[102:103] offset0:42 offset1:43
	ds_store_2addr_b64 v198, v[96:97], v[98:99] offset0:44 offset1:45
	ds_store_2addr_b64 v198, v[92:93], v[94:95] offset0:46 offset1:47
	ds_store_2addr_b64 v198, v[88:89], v[90:91] offset0:48 offset1:49
	ds_store_2addr_b64 v198, v[84:85], v[86:87] offset0:50 offset1:51
	ds_store_2addr_b64 v198, v[80:81], v[82:83] offset0:52 offset1:53
	ds_store_2addr_b64 v198, v[76:77], v[78:79] offset0:54 offset1:55
	ds_store_2addr_b64 v198, v[72:73], v[74:75] offset0:56 offset1:57
	ds_store_2addr_b64 v198, v[68:69], v[70:71] offset0:58 offset1:59
	ds_store_2addr_b64 v198, v[64:65], v[66:67] offset0:60 offset1:61
	ds_store_2addr_b64 v198, v[60:61], v[62:63] offset0:62 offset1:63
	ds_store_2addr_b64 v198, v[56:57], v[58:59] offset0:64 offset1:65
	ds_store_2addr_b64 v198, v[52:53], v[54:55] offset0:66 offset1:67
	ds_store_2addr_b64 v198, v[48:49], v[50:51] offset0:68 offset1:69
	ds_store_2addr_b64 v198, v[44:45], v[46:47] offset0:70 offset1:71
	ds_store_2addr_b64 v198, v[40:41], v[42:43] offset0:72 offset1:73
	ds_store_2addr_b64 v198, v[36:37], v[38:39] offset0:74 offset1:75
	ds_store_2addr_b64 v198, v[32:33], v[34:35] offset0:76 offset1:77
	ds_store_2addr_b64 v198, v[28:29], v[30:31] offset0:78 offset1:79
	ds_store_2addr_b64 v198, v[24:25], v[26:27] offset0:80 offset1:81
	ds_store_2addr_b64 v198, v[20:21], v[22:23] offset0:82 offset1:83
	ds_store_2addr_b64 v198, v[16:17], v[18:19] offset0:84 offset1:85
	ds_store_2addr_b64 v198, v[12:13], v[14:15] offset0:86 offset1:87
	ds_store_2addr_b64 v198, v[8:9], v[10:11] offset0:88 offset1:89
	ds_store_2addr_b64 v198, v[4:5], v[6:7] offset0:90 offset1:91
	ds_store_2addr_b64 v198, v[0:1], v[2:3] offset0:92 offset1:93
.LBB92_165:
	s_or_b32 exec_lo, exec_lo, s2
	s_delay_alu instid0(SALU_CYCLE_1)
	s_mov_b32 s2, exec_lo
	s_waitcnt lgkmcnt(0)
	s_waitcnt_vscnt null, 0x0
	s_barrier
	buffer_gl0_inv
	v_cmpx_lt_i32_e32 7, v204
	s_cbranch_execz .LBB92_167
; %bb.166:
	v_mul_f64 v[196:197], v[190:191], v[158:159]
	v_mul_f64 v[158:159], v[188:189], v[158:159]
	s_delay_alu instid0(VALU_DEP_2) | instskip(NEXT) | instid1(VALU_DEP_2)
	v_fma_f64 v[196:197], v[188:189], v[156:157], -v[196:197]
	v_fma_f64 v[158:159], v[190:191], v[156:157], v[158:159]
	ds_load_2addr_b64 v[188:191], v198 offset0:16 offset1:17
	s_waitcnt lgkmcnt(0)
	v_mul_f64 v[156:157], v[190:191], v[158:159]
	s_delay_alu instid0(VALU_DEP_1) | instskip(SKIP_1) | instid1(VALU_DEP_2)
	v_fma_f64 v[156:157], v[188:189], v[196:197], -v[156:157]
	v_mul_f64 v[188:189], v[188:189], v[158:159]
	v_add_f64 v[152:153], v[152:153], -v[156:157]
	s_delay_alu instid0(VALU_DEP_2) | instskip(NEXT) | instid1(VALU_DEP_1)
	v_fma_f64 v[188:189], v[190:191], v[196:197], v[188:189]
	v_add_f64 v[154:155], v[154:155], -v[188:189]
	ds_load_2addr_b64 v[188:191], v198 offset0:18 offset1:19
	s_waitcnt lgkmcnt(0)
	v_mul_f64 v[156:157], v[190:191], v[158:159]
	s_delay_alu instid0(VALU_DEP_1) | instskip(SKIP_1) | instid1(VALU_DEP_2)
	v_fma_f64 v[156:157], v[188:189], v[196:197], -v[156:157]
	v_mul_f64 v[188:189], v[188:189], v[158:159]
	v_add_f64 v[148:149], v[148:149], -v[156:157]
	s_delay_alu instid0(VALU_DEP_2) | instskip(NEXT) | instid1(VALU_DEP_1)
	v_fma_f64 v[188:189], v[190:191], v[196:197], v[188:189]
	v_add_f64 v[150:151], v[150:151], -v[188:189]
	;; [unrolled: 10-line block ×38, first 2 shown]
	ds_load_2addr_b64 v[188:191], v198 offset0:92 offset1:93
	s_waitcnt lgkmcnt(0)
	v_mul_f64 v[156:157], v[190:191], v[158:159]
	s_delay_alu instid0(VALU_DEP_1) | instskip(SKIP_1) | instid1(VALU_DEP_2)
	v_fma_f64 v[156:157], v[188:189], v[196:197], -v[156:157]
	v_mul_f64 v[188:189], v[188:189], v[158:159]
	v_add_f64 v[0:1], v[0:1], -v[156:157]
	s_delay_alu instid0(VALU_DEP_2) | instskip(SKIP_1) | instid1(VALU_DEP_2)
	v_fma_f64 v[188:189], v[190:191], v[196:197], v[188:189]
	v_dual_mov_b32 v156, v196 :: v_dual_mov_b32 v157, v197
	v_add_f64 v[2:3], v[2:3], -v[188:189]
.LBB92_167:
	s_or_b32 exec_lo, exec_lo, s2
	v_lshl_add_u32 v188, v204, 4, v198
	s_barrier
	buffer_gl0_inv
	v_mov_b32_e32 v196, 8
	ds_store_2addr_b64 v188, v[152:153], v[154:155] offset1:1
	s_waitcnt lgkmcnt(0)
	s_barrier
	buffer_gl0_inv
	ds_load_2addr_b64 v[188:191], v198 offset0:16 offset1:17
	s_cmp_lt_i32 s5, 10
	s_cbranch_scc1 .LBB92_170
; %bb.168:
	v_add3_u32 v197, v203, 0, 0x90
	v_mov_b32_e32 v196, 8
	s_mov_b32 s6, 9
	s_set_inst_prefetch_distance 0x1
	.p2align	6
.LBB92_169:                             ; =>This Inner Loop Header: Depth=1
	ds_load_2addr_b64 v[205:208], v197 offset1:1
	s_waitcnt lgkmcnt(1)
	v_cmp_gt_f64_e32 vcc_lo, 0, v[188:189]
	v_xor_b32_e32 v209, 0x80000000, v189
	v_cmp_gt_f64_e64 s2, 0, v[190:191]
	v_xor_b32_e32 v211, 0x80000000, v191
	v_add_nc_u32_e32 v197, 16, v197
	s_waitcnt lgkmcnt(0)
	v_cmp_gt_f64_e64 s3, 0, v[205:206]
	v_mov_b32_e32 v213, v205
	v_dual_mov_b32 v215, v207 :: v_dual_cndmask_b32 v210, v189, v209
	v_xor_b32_e32 v209, 0x80000000, v206
	v_cndmask_b32_e64 v212, v191, v211, s2
	v_xor_b32_e32 v211, 0x80000000, v208
	s_delay_alu instid0(VALU_DEP_3) | instskip(SKIP_2) | instid1(VALU_DEP_2)
	v_cndmask_b32_e64 v214, v206, v209, s3
	v_cmp_gt_f64_e64 s3, 0, v[207:208]
	v_cndmask_b32_e32 v209, v188, v188, vcc_lo
	v_cndmask_b32_e64 v216, v208, v211, s3
	v_cndmask_b32_e64 v211, v190, v190, s2
	s_delay_alu instid0(VALU_DEP_2) | instskip(NEXT) | instid1(VALU_DEP_2)
	v_add_f64 v[213:214], v[213:214], v[215:216]
	v_add_f64 v[209:210], v[209:210], v[211:212]
	s_delay_alu instid0(VALU_DEP_1) | instskip(SKIP_4) | instid1(SALU_CYCLE_1)
	v_cmp_lt_f64_e32 vcc_lo, v[209:210], v[213:214]
	v_dual_cndmask_b32 v190, v190, v207 :: v_dual_cndmask_b32 v189, v189, v206
	v_dual_cndmask_b32 v188, v188, v205 :: v_dual_cndmask_b32 v191, v191, v208
	v_cndmask_b32_e64 v196, v196, s6, vcc_lo
	s_add_i32 s6, s6, 1
	s_cmp_lg_u32 s5, s6
	s_cbranch_scc1 .LBB92_169
.LBB92_170:
	s_set_inst_prefetch_distance 0x2
	s_waitcnt lgkmcnt(0)
	v_cmp_eq_f64_e32 vcc_lo, 0, v[188:189]
	v_cmp_eq_f64_e64 s2, 0, v[190:191]
	s_delay_alu instid0(VALU_DEP_1) | instskip(NEXT) | instid1(SALU_CYCLE_1)
	s_and_b32 s2, vcc_lo, s2
	s_and_saveexec_b32 s3, s2
	s_delay_alu instid0(SALU_CYCLE_1)
	s_xor_b32 s2, exec_lo, s3
; %bb.171:
	v_cmp_ne_u32_e32 vcc_lo, 0, v201
	v_cndmask_b32_e32 v201, 9, v201, vcc_lo
; %bb.172:
	s_and_not1_saveexec_b32 s3, s2
	s_cbranch_execz .LBB92_178
; %bb.173:
	v_cmp_gt_f64_e32 vcc_lo, 0, v[188:189]
	v_cmp_gt_f64_e64 s2, 0, v[190:191]
	v_xor_b32_e32 v197, 0x80000000, v189
	v_xor_b32_e32 v205, 0x80000000, v191
	s_delay_alu instid0(VALU_DEP_2) | instskip(NEXT) | instid1(VALU_DEP_2)
	v_cndmask_b32_e32 v206, v189, v197, vcc_lo
	v_cndmask_b32_e64 v208, v191, v205, s2
	v_cndmask_b32_e32 v205, v188, v188, vcc_lo
	v_cndmask_b32_e64 v207, v190, v190, s2
	s_mov_b32 s2, exec_lo
	s_delay_alu instid0(VALU_DEP_1)
	v_cmpx_ngt_f64_e32 v[205:206], v[207:208]
	s_xor_b32 s2, exec_lo, s2
	s_cbranch_execz .LBB92_175
; %bb.174:
	v_div_scale_f64 v[205:206], null, v[190:191], v[190:191], v[188:189]
	v_div_scale_f64 v[211:212], vcc_lo, v[188:189], v[190:191], v[188:189]
	s_delay_alu instid0(VALU_DEP_2) | instskip(SKIP_2) | instid1(VALU_DEP_1)
	v_rcp_f64_e32 v[207:208], v[205:206]
	s_waitcnt_depctr 0xfff
	v_fma_f64 v[209:210], -v[205:206], v[207:208], 1.0
	v_fma_f64 v[207:208], v[207:208], v[209:210], v[207:208]
	s_delay_alu instid0(VALU_DEP_1) | instskip(NEXT) | instid1(VALU_DEP_1)
	v_fma_f64 v[209:210], -v[205:206], v[207:208], 1.0
	v_fma_f64 v[207:208], v[207:208], v[209:210], v[207:208]
	s_delay_alu instid0(VALU_DEP_1) | instskip(NEXT) | instid1(VALU_DEP_1)
	v_mul_f64 v[209:210], v[211:212], v[207:208]
	v_fma_f64 v[205:206], -v[205:206], v[209:210], v[211:212]
	s_delay_alu instid0(VALU_DEP_1) | instskip(NEXT) | instid1(VALU_DEP_1)
	v_div_fmas_f64 v[205:206], v[205:206], v[207:208], v[209:210]
	v_div_fixup_f64 v[205:206], v[205:206], v[190:191], v[188:189]
	s_delay_alu instid0(VALU_DEP_1) | instskip(NEXT) | instid1(VALU_DEP_1)
	v_fma_f64 v[188:189], v[188:189], v[205:206], v[190:191]
	v_div_scale_f64 v[190:191], null, v[188:189], v[188:189], 1.0
	s_delay_alu instid0(VALU_DEP_1) | instskip(SKIP_2) | instid1(VALU_DEP_1)
	v_rcp_f64_e32 v[207:208], v[190:191]
	s_waitcnt_depctr 0xfff
	v_fma_f64 v[209:210], -v[190:191], v[207:208], 1.0
	v_fma_f64 v[207:208], v[207:208], v[209:210], v[207:208]
	s_delay_alu instid0(VALU_DEP_1) | instskip(NEXT) | instid1(VALU_DEP_1)
	v_fma_f64 v[209:210], -v[190:191], v[207:208], 1.0
	v_fma_f64 v[207:208], v[207:208], v[209:210], v[207:208]
	v_div_scale_f64 v[209:210], vcc_lo, 1.0, v[188:189], 1.0
	s_delay_alu instid0(VALU_DEP_1) | instskip(NEXT) | instid1(VALU_DEP_1)
	v_mul_f64 v[211:212], v[209:210], v[207:208]
	v_fma_f64 v[190:191], -v[190:191], v[211:212], v[209:210]
	s_delay_alu instid0(VALU_DEP_1) | instskip(NEXT) | instid1(VALU_DEP_1)
	v_div_fmas_f64 v[190:191], v[190:191], v[207:208], v[211:212]
	v_div_fixup_f64 v[190:191], v[190:191], v[188:189], 1.0
	s_delay_alu instid0(VALU_DEP_1)
	v_mul_f64 v[188:189], v[205:206], v[190:191]
	v_xor_b32_e32 v191, 0x80000000, v191
.LBB92_175:
	s_and_not1_saveexec_b32 s2, s2
	s_cbranch_execz .LBB92_177
; %bb.176:
	s_delay_alu instid0(VALU_DEP_1) | instskip(SKIP_1) | instid1(VALU_DEP_2)
	v_div_scale_f64 v[205:206], null, v[188:189], v[188:189], v[190:191]
	v_div_scale_f64 v[211:212], vcc_lo, v[190:191], v[188:189], v[190:191]
	v_rcp_f64_e32 v[207:208], v[205:206]
	s_waitcnt_depctr 0xfff
	v_fma_f64 v[209:210], -v[205:206], v[207:208], 1.0
	s_delay_alu instid0(VALU_DEP_1) | instskip(NEXT) | instid1(VALU_DEP_1)
	v_fma_f64 v[207:208], v[207:208], v[209:210], v[207:208]
	v_fma_f64 v[209:210], -v[205:206], v[207:208], 1.0
	s_delay_alu instid0(VALU_DEP_1) | instskip(NEXT) | instid1(VALU_DEP_1)
	v_fma_f64 v[207:208], v[207:208], v[209:210], v[207:208]
	v_mul_f64 v[209:210], v[211:212], v[207:208]
	s_delay_alu instid0(VALU_DEP_1) | instskip(NEXT) | instid1(VALU_DEP_1)
	v_fma_f64 v[205:206], -v[205:206], v[209:210], v[211:212]
	v_div_fmas_f64 v[205:206], v[205:206], v[207:208], v[209:210]
	s_delay_alu instid0(VALU_DEP_1) | instskip(NEXT) | instid1(VALU_DEP_1)
	v_div_fixup_f64 v[205:206], v[205:206], v[188:189], v[190:191]
	v_fma_f64 v[188:189], v[190:191], v[205:206], v[188:189]
	s_delay_alu instid0(VALU_DEP_1) | instskip(NEXT) | instid1(VALU_DEP_1)
	v_div_scale_f64 v[190:191], null, v[188:189], v[188:189], 1.0
	v_rcp_f64_e32 v[207:208], v[190:191]
	s_waitcnt_depctr 0xfff
	v_fma_f64 v[209:210], -v[190:191], v[207:208], 1.0
	s_delay_alu instid0(VALU_DEP_1) | instskip(NEXT) | instid1(VALU_DEP_1)
	v_fma_f64 v[207:208], v[207:208], v[209:210], v[207:208]
	v_fma_f64 v[209:210], -v[190:191], v[207:208], 1.0
	s_delay_alu instid0(VALU_DEP_1) | instskip(SKIP_1) | instid1(VALU_DEP_1)
	v_fma_f64 v[207:208], v[207:208], v[209:210], v[207:208]
	v_div_scale_f64 v[209:210], vcc_lo, 1.0, v[188:189], 1.0
	v_mul_f64 v[211:212], v[209:210], v[207:208]
	s_delay_alu instid0(VALU_DEP_1) | instskip(NEXT) | instid1(VALU_DEP_1)
	v_fma_f64 v[190:191], -v[190:191], v[211:212], v[209:210]
	v_div_fmas_f64 v[190:191], v[190:191], v[207:208], v[211:212]
	s_delay_alu instid0(VALU_DEP_1) | instskip(NEXT) | instid1(VALU_DEP_1)
	v_div_fixup_f64 v[188:189], v[190:191], v[188:189], 1.0
	v_mul_f64 v[190:191], v[205:206], -v[188:189]
.LBB92_177:
	s_or_b32 exec_lo, exec_lo, s2
.LBB92_178:
	s_delay_alu instid0(SALU_CYCLE_1) | instskip(NEXT) | instid1(SALU_CYCLE_1)
	s_or_b32 exec_lo, exec_lo, s3
	s_mov_b32 s2, exec_lo
	v_cmpx_ne_u32_e64 v204, v196
	s_xor_b32 s2, exec_lo, s2
	s_cbranch_execz .LBB92_184
; %bb.179:
	s_mov_b32 s3, exec_lo
	v_cmpx_eq_u32_e32 8, v204
	s_cbranch_execz .LBB92_183
; %bb.180:
	v_cmp_ne_u32_e32 vcc_lo, 8, v196
	s_xor_b32 s6, s4, -1
	s_delay_alu instid0(SALU_CYCLE_1) | instskip(NEXT) | instid1(SALU_CYCLE_1)
	s_and_b32 s7, s6, vcc_lo
	s_and_saveexec_b32 s6, s7
	s_cbranch_execz .LBB92_182
; %bb.181:
	v_ashrrev_i32_e32 v197, 31, v196
	s_delay_alu instid0(VALU_DEP_1) | instskip(NEXT) | instid1(VALU_DEP_1)
	v_lshlrev_b64 v[204:205], 2, v[196:197]
	v_add_co_u32 v204, vcc_lo, v194, v204
	s_delay_alu instid0(VALU_DEP_2)
	v_add_co_ci_u32_e32 v205, vcc_lo, v195, v205, vcc_lo
	s_clause 0x1
	flat_load_b32 v197, v[204:205]
	flat_load_b32 v202, v[194:195] offset:32
	s_waitcnt vmcnt(1) lgkmcnt(1)
	flat_store_b32 v[194:195], v197 offset:32
	s_waitcnt vmcnt(0) lgkmcnt(1)
	flat_store_b32 v[204:205], v202
.LBB92_182:
	s_or_b32 exec_lo, exec_lo, s6
	v_mov_b32_e32 v204, v196
	v_mov_b32_e32 v202, v196
.LBB92_183:
	s_or_b32 exec_lo, exec_lo, s3
.LBB92_184:
	s_and_not1_saveexec_b32 s2, s2
	s_cbranch_execz .LBB92_186
; %bb.185:
	v_mov_b32_e32 v204, 8
	ds_store_2addr_b64 v198, v[148:149], v[150:151] offset0:18 offset1:19
	ds_store_2addr_b64 v198, v[144:145], v[146:147] offset0:20 offset1:21
	;; [unrolled: 1-line block ×38, first 2 shown]
.LBB92_186:
	s_or_b32 exec_lo, exec_lo, s2
	s_delay_alu instid0(SALU_CYCLE_1)
	s_mov_b32 s2, exec_lo
	s_waitcnt lgkmcnt(0)
	s_waitcnt_vscnt null, 0x0
	s_barrier
	buffer_gl0_inv
	v_cmpx_lt_i32_e32 8, v204
	s_cbranch_execz .LBB92_188
; %bb.187:
	v_mul_f64 v[196:197], v[190:191], v[154:155]
	v_mul_f64 v[154:155], v[188:189], v[154:155]
	s_delay_alu instid0(VALU_DEP_2) | instskip(NEXT) | instid1(VALU_DEP_2)
	v_fma_f64 v[196:197], v[188:189], v[152:153], -v[196:197]
	v_fma_f64 v[154:155], v[190:191], v[152:153], v[154:155]
	ds_load_2addr_b64 v[188:191], v198 offset0:18 offset1:19
	s_waitcnt lgkmcnt(0)
	v_mul_f64 v[152:153], v[190:191], v[154:155]
	s_delay_alu instid0(VALU_DEP_1) | instskip(SKIP_1) | instid1(VALU_DEP_2)
	v_fma_f64 v[152:153], v[188:189], v[196:197], -v[152:153]
	v_mul_f64 v[188:189], v[188:189], v[154:155]
	v_add_f64 v[148:149], v[148:149], -v[152:153]
	s_delay_alu instid0(VALU_DEP_2) | instskip(NEXT) | instid1(VALU_DEP_1)
	v_fma_f64 v[188:189], v[190:191], v[196:197], v[188:189]
	v_add_f64 v[150:151], v[150:151], -v[188:189]
	ds_load_2addr_b64 v[188:191], v198 offset0:20 offset1:21
	s_waitcnt lgkmcnt(0)
	v_mul_f64 v[152:153], v[190:191], v[154:155]
	s_delay_alu instid0(VALU_DEP_1) | instskip(SKIP_1) | instid1(VALU_DEP_2)
	v_fma_f64 v[152:153], v[188:189], v[196:197], -v[152:153]
	v_mul_f64 v[188:189], v[188:189], v[154:155]
	v_add_f64 v[144:145], v[144:145], -v[152:153]
	s_delay_alu instid0(VALU_DEP_2) | instskip(NEXT) | instid1(VALU_DEP_1)
	v_fma_f64 v[188:189], v[190:191], v[196:197], v[188:189]
	v_add_f64 v[146:147], v[146:147], -v[188:189]
	;; [unrolled: 10-line block ×37, first 2 shown]
	ds_load_2addr_b64 v[188:191], v198 offset0:92 offset1:93
	s_waitcnt lgkmcnt(0)
	v_mul_f64 v[152:153], v[190:191], v[154:155]
	s_delay_alu instid0(VALU_DEP_1) | instskip(SKIP_1) | instid1(VALU_DEP_2)
	v_fma_f64 v[152:153], v[188:189], v[196:197], -v[152:153]
	v_mul_f64 v[188:189], v[188:189], v[154:155]
	v_add_f64 v[0:1], v[0:1], -v[152:153]
	s_delay_alu instid0(VALU_DEP_2) | instskip(SKIP_1) | instid1(VALU_DEP_2)
	v_fma_f64 v[188:189], v[190:191], v[196:197], v[188:189]
	v_dual_mov_b32 v152, v196 :: v_dual_mov_b32 v153, v197
	v_add_f64 v[2:3], v[2:3], -v[188:189]
.LBB92_188:
	s_or_b32 exec_lo, exec_lo, s2
	v_lshl_add_u32 v188, v204, 4, v198
	s_barrier
	buffer_gl0_inv
	v_mov_b32_e32 v196, 9
	ds_store_2addr_b64 v188, v[148:149], v[150:151] offset1:1
	s_waitcnt lgkmcnt(0)
	s_barrier
	buffer_gl0_inv
	ds_load_2addr_b64 v[188:191], v198 offset0:18 offset1:19
	s_cmp_lt_i32 s5, 11
	s_cbranch_scc1 .LBB92_191
; %bb.189:
	v_add3_u32 v197, v203, 0, 0xa0
	v_mov_b32_e32 v196, 9
	s_mov_b32 s6, 10
	s_set_inst_prefetch_distance 0x1
	.p2align	6
.LBB92_190:                             ; =>This Inner Loop Header: Depth=1
	ds_load_2addr_b64 v[205:208], v197 offset1:1
	s_waitcnt lgkmcnt(1)
	v_cmp_gt_f64_e32 vcc_lo, 0, v[188:189]
	v_xor_b32_e32 v209, 0x80000000, v189
	v_cmp_gt_f64_e64 s2, 0, v[190:191]
	v_xor_b32_e32 v211, 0x80000000, v191
	v_add_nc_u32_e32 v197, 16, v197
	s_waitcnt lgkmcnt(0)
	v_cmp_gt_f64_e64 s3, 0, v[205:206]
	v_mov_b32_e32 v213, v205
	v_dual_mov_b32 v215, v207 :: v_dual_cndmask_b32 v210, v189, v209
	v_xor_b32_e32 v209, 0x80000000, v206
	v_cndmask_b32_e64 v212, v191, v211, s2
	v_xor_b32_e32 v211, 0x80000000, v208
	s_delay_alu instid0(VALU_DEP_3) | instskip(SKIP_2) | instid1(VALU_DEP_2)
	v_cndmask_b32_e64 v214, v206, v209, s3
	v_cmp_gt_f64_e64 s3, 0, v[207:208]
	v_cndmask_b32_e32 v209, v188, v188, vcc_lo
	v_cndmask_b32_e64 v216, v208, v211, s3
	v_cndmask_b32_e64 v211, v190, v190, s2
	s_delay_alu instid0(VALU_DEP_2) | instskip(NEXT) | instid1(VALU_DEP_2)
	v_add_f64 v[213:214], v[213:214], v[215:216]
	v_add_f64 v[209:210], v[209:210], v[211:212]
	s_delay_alu instid0(VALU_DEP_1) | instskip(SKIP_4) | instid1(SALU_CYCLE_1)
	v_cmp_lt_f64_e32 vcc_lo, v[209:210], v[213:214]
	v_dual_cndmask_b32 v190, v190, v207 :: v_dual_cndmask_b32 v189, v189, v206
	v_dual_cndmask_b32 v188, v188, v205 :: v_dual_cndmask_b32 v191, v191, v208
	v_cndmask_b32_e64 v196, v196, s6, vcc_lo
	s_add_i32 s6, s6, 1
	s_cmp_lg_u32 s5, s6
	s_cbranch_scc1 .LBB92_190
.LBB92_191:
	s_set_inst_prefetch_distance 0x2
	s_waitcnt lgkmcnt(0)
	v_cmp_eq_f64_e32 vcc_lo, 0, v[188:189]
	v_cmp_eq_f64_e64 s2, 0, v[190:191]
	s_delay_alu instid0(VALU_DEP_1) | instskip(NEXT) | instid1(SALU_CYCLE_1)
	s_and_b32 s2, vcc_lo, s2
	s_and_saveexec_b32 s3, s2
	s_delay_alu instid0(SALU_CYCLE_1)
	s_xor_b32 s2, exec_lo, s3
; %bb.192:
	v_cmp_ne_u32_e32 vcc_lo, 0, v201
	v_cndmask_b32_e32 v201, 10, v201, vcc_lo
; %bb.193:
	s_and_not1_saveexec_b32 s3, s2
	s_cbranch_execz .LBB92_199
; %bb.194:
	v_cmp_gt_f64_e32 vcc_lo, 0, v[188:189]
	v_cmp_gt_f64_e64 s2, 0, v[190:191]
	v_xor_b32_e32 v197, 0x80000000, v189
	v_xor_b32_e32 v205, 0x80000000, v191
	s_delay_alu instid0(VALU_DEP_2) | instskip(NEXT) | instid1(VALU_DEP_2)
	v_cndmask_b32_e32 v206, v189, v197, vcc_lo
	v_cndmask_b32_e64 v208, v191, v205, s2
	v_cndmask_b32_e32 v205, v188, v188, vcc_lo
	v_cndmask_b32_e64 v207, v190, v190, s2
	s_mov_b32 s2, exec_lo
	s_delay_alu instid0(VALU_DEP_1)
	v_cmpx_ngt_f64_e32 v[205:206], v[207:208]
	s_xor_b32 s2, exec_lo, s2
	s_cbranch_execz .LBB92_196
; %bb.195:
	v_div_scale_f64 v[205:206], null, v[190:191], v[190:191], v[188:189]
	v_div_scale_f64 v[211:212], vcc_lo, v[188:189], v[190:191], v[188:189]
	s_delay_alu instid0(VALU_DEP_2) | instskip(SKIP_2) | instid1(VALU_DEP_1)
	v_rcp_f64_e32 v[207:208], v[205:206]
	s_waitcnt_depctr 0xfff
	v_fma_f64 v[209:210], -v[205:206], v[207:208], 1.0
	v_fma_f64 v[207:208], v[207:208], v[209:210], v[207:208]
	s_delay_alu instid0(VALU_DEP_1) | instskip(NEXT) | instid1(VALU_DEP_1)
	v_fma_f64 v[209:210], -v[205:206], v[207:208], 1.0
	v_fma_f64 v[207:208], v[207:208], v[209:210], v[207:208]
	s_delay_alu instid0(VALU_DEP_1) | instskip(NEXT) | instid1(VALU_DEP_1)
	v_mul_f64 v[209:210], v[211:212], v[207:208]
	v_fma_f64 v[205:206], -v[205:206], v[209:210], v[211:212]
	s_delay_alu instid0(VALU_DEP_1) | instskip(NEXT) | instid1(VALU_DEP_1)
	v_div_fmas_f64 v[205:206], v[205:206], v[207:208], v[209:210]
	v_div_fixup_f64 v[205:206], v[205:206], v[190:191], v[188:189]
	s_delay_alu instid0(VALU_DEP_1) | instskip(NEXT) | instid1(VALU_DEP_1)
	v_fma_f64 v[188:189], v[188:189], v[205:206], v[190:191]
	v_div_scale_f64 v[190:191], null, v[188:189], v[188:189], 1.0
	s_delay_alu instid0(VALU_DEP_1) | instskip(SKIP_2) | instid1(VALU_DEP_1)
	v_rcp_f64_e32 v[207:208], v[190:191]
	s_waitcnt_depctr 0xfff
	v_fma_f64 v[209:210], -v[190:191], v[207:208], 1.0
	v_fma_f64 v[207:208], v[207:208], v[209:210], v[207:208]
	s_delay_alu instid0(VALU_DEP_1) | instskip(NEXT) | instid1(VALU_DEP_1)
	v_fma_f64 v[209:210], -v[190:191], v[207:208], 1.0
	v_fma_f64 v[207:208], v[207:208], v[209:210], v[207:208]
	v_div_scale_f64 v[209:210], vcc_lo, 1.0, v[188:189], 1.0
	s_delay_alu instid0(VALU_DEP_1) | instskip(NEXT) | instid1(VALU_DEP_1)
	v_mul_f64 v[211:212], v[209:210], v[207:208]
	v_fma_f64 v[190:191], -v[190:191], v[211:212], v[209:210]
	s_delay_alu instid0(VALU_DEP_1) | instskip(NEXT) | instid1(VALU_DEP_1)
	v_div_fmas_f64 v[190:191], v[190:191], v[207:208], v[211:212]
	v_div_fixup_f64 v[190:191], v[190:191], v[188:189], 1.0
	s_delay_alu instid0(VALU_DEP_1)
	v_mul_f64 v[188:189], v[205:206], v[190:191]
	v_xor_b32_e32 v191, 0x80000000, v191
.LBB92_196:
	s_and_not1_saveexec_b32 s2, s2
	s_cbranch_execz .LBB92_198
; %bb.197:
	s_delay_alu instid0(VALU_DEP_1) | instskip(SKIP_1) | instid1(VALU_DEP_2)
	v_div_scale_f64 v[205:206], null, v[188:189], v[188:189], v[190:191]
	v_div_scale_f64 v[211:212], vcc_lo, v[190:191], v[188:189], v[190:191]
	v_rcp_f64_e32 v[207:208], v[205:206]
	s_waitcnt_depctr 0xfff
	v_fma_f64 v[209:210], -v[205:206], v[207:208], 1.0
	s_delay_alu instid0(VALU_DEP_1) | instskip(NEXT) | instid1(VALU_DEP_1)
	v_fma_f64 v[207:208], v[207:208], v[209:210], v[207:208]
	v_fma_f64 v[209:210], -v[205:206], v[207:208], 1.0
	s_delay_alu instid0(VALU_DEP_1) | instskip(NEXT) | instid1(VALU_DEP_1)
	v_fma_f64 v[207:208], v[207:208], v[209:210], v[207:208]
	v_mul_f64 v[209:210], v[211:212], v[207:208]
	s_delay_alu instid0(VALU_DEP_1) | instskip(NEXT) | instid1(VALU_DEP_1)
	v_fma_f64 v[205:206], -v[205:206], v[209:210], v[211:212]
	v_div_fmas_f64 v[205:206], v[205:206], v[207:208], v[209:210]
	s_delay_alu instid0(VALU_DEP_1) | instskip(NEXT) | instid1(VALU_DEP_1)
	v_div_fixup_f64 v[205:206], v[205:206], v[188:189], v[190:191]
	v_fma_f64 v[188:189], v[190:191], v[205:206], v[188:189]
	s_delay_alu instid0(VALU_DEP_1) | instskip(NEXT) | instid1(VALU_DEP_1)
	v_div_scale_f64 v[190:191], null, v[188:189], v[188:189], 1.0
	v_rcp_f64_e32 v[207:208], v[190:191]
	s_waitcnt_depctr 0xfff
	v_fma_f64 v[209:210], -v[190:191], v[207:208], 1.0
	s_delay_alu instid0(VALU_DEP_1) | instskip(NEXT) | instid1(VALU_DEP_1)
	v_fma_f64 v[207:208], v[207:208], v[209:210], v[207:208]
	v_fma_f64 v[209:210], -v[190:191], v[207:208], 1.0
	s_delay_alu instid0(VALU_DEP_1) | instskip(SKIP_1) | instid1(VALU_DEP_1)
	v_fma_f64 v[207:208], v[207:208], v[209:210], v[207:208]
	v_div_scale_f64 v[209:210], vcc_lo, 1.0, v[188:189], 1.0
	v_mul_f64 v[211:212], v[209:210], v[207:208]
	s_delay_alu instid0(VALU_DEP_1) | instskip(NEXT) | instid1(VALU_DEP_1)
	v_fma_f64 v[190:191], -v[190:191], v[211:212], v[209:210]
	v_div_fmas_f64 v[190:191], v[190:191], v[207:208], v[211:212]
	s_delay_alu instid0(VALU_DEP_1) | instskip(NEXT) | instid1(VALU_DEP_1)
	v_div_fixup_f64 v[188:189], v[190:191], v[188:189], 1.0
	v_mul_f64 v[190:191], v[205:206], -v[188:189]
.LBB92_198:
	s_or_b32 exec_lo, exec_lo, s2
.LBB92_199:
	s_delay_alu instid0(SALU_CYCLE_1) | instskip(NEXT) | instid1(SALU_CYCLE_1)
	s_or_b32 exec_lo, exec_lo, s3
	s_mov_b32 s2, exec_lo
	v_cmpx_ne_u32_e64 v204, v196
	s_xor_b32 s2, exec_lo, s2
	s_cbranch_execz .LBB92_205
; %bb.200:
	s_mov_b32 s3, exec_lo
	v_cmpx_eq_u32_e32 9, v204
	s_cbranch_execz .LBB92_204
; %bb.201:
	v_cmp_ne_u32_e32 vcc_lo, 9, v196
	s_xor_b32 s6, s4, -1
	s_delay_alu instid0(SALU_CYCLE_1) | instskip(NEXT) | instid1(SALU_CYCLE_1)
	s_and_b32 s7, s6, vcc_lo
	s_and_saveexec_b32 s6, s7
	s_cbranch_execz .LBB92_203
; %bb.202:
	v_ashrrev_i32_e32 v197, 31, v196
	s_delay_alu instid0(VALU_DEP_1) | instskip(NEXT) | instid1(VALU_DEP_1)
	v_lshlrev_b64 v[204:205], 2, v[196:197]
	v_add_co_u32 v204, vcc_lo, v194, v204
	s_delay_alu instid0(VALU_DEP_2)
	v_add_co_ci_u32_e32 v205, vcc_lo, v195, v205, vcc_lo
	s_clause 0x1
	flat_load_b32 v197, v[204:205]
	flat_load_b32 v202, v[194:195] offset:36
	s_waitcnt vmcnt(1) lgkmcnt(1)
	flat_store_b32 v[194:195], v197 offset:36
	s_waitcnt vmcnt(0) lgkmcnt(1)
	flat_store_b32 v[204:205], v202
.LBB92_203:
	s_or_b32 exec_lo, exec_lo, s6
	v_mov_b32_e32 v204, v196
	v_mov_b32_e32 v202, v196
.LBB92_204:
	s_or_b32 exec_lo, exec_lo, s3
.LBB92_205:
	s_and_not1_saveexec_b32 s2, s2
	s_cbranch_execz .LBB92_207
; %bb.206:
	v_mov_b32_e32 v204, 9
	ds_store_2addr_b64 v198, v[144:145], v[146:147] offset0:20 offset1:21
	ds_store_2addr_b64 v198, v[140:141], v[142:143] offset0:22 offset1:23
	;; [unrolled: 1-line block ×37, first 2 shown]
.LBB92_207:
	s_or_b32 exec_lo, exec_lo, s2
	s_delay_alu instid0(SALU_CYCLE_1)
	s_mov_b32 s2, exec_lo
	s_waitcnt lgkmcnt(0)
	s_waitcnt_vscnt null, 0x0
	s_barrier
	buffer_gl0_inv
	v_cmpx_lt_i32_e32 9, v204
	s_cbranch_execz .LBB92_209
; %bb.208:
	v_mul_f64 v[196:197], v[190:191], v[150:151]
	v_mul_f64 v[150:151], v[188:189], v[150:151]
	s_delay_alu instid0(VALU_DEP_2) | instskip(NEXT) | instid1(VALU_DEP_2)
	v_fma_f64 v[196:197], v[188:189], v[148:149], -v[196:197]
	v_fma_f64 v[150:151], v[190:191], v[148:149], v[150:151]
	ds_load_2addr_b64 v[188:191], v198 offset0:20 offset1:21
	s_waitcnt lgkmcnt(0)
	v_mul_f64 v[148:149], v[190:191], v[150:151]
	s_delay_alu instid0(VALU_DEP_1) | instskip(SKIP_1) | instid1(VALU_DEP_2)
	v_fma_f64 v[148:149], v[188:189], v[196:197], -v[148:149]
	v_mul_f64 v[188:189], v[188:189], v[150:151]
	v_add_f64 v[144:145], v[144:145], -v[148:149]
	s_delay_alu instid0(VALU_DEP_2) | instskip(NEXT) | instid1(VALU_DEP_1)
	v_fma_f64 v[188:189], v[190:191], v[196:197], v[188:189]
	v_add_f64 v[146:147], v[146:147], -v[188:189]
	ds_load_2addr_b64 v[188:191], v198 offset0:22 offset1:23
	s_waitcnt lgkmcnt(0)
	v_mul_f64 v[148:149], v[190:191], v[150:151]
	s_delay_alu instid0(VALU_DEP_1) | instskip(SKIP_1) | instid1(VALU_DEP_2)
	v_fma_f64 v[148:149], v[188:189], v[196:197], -v[148:149]
	v_mul_f64 v[188:189], v[188:189], v[150:151]
	v_add_f64 v[140:141], v[140:141], -v[148:149]
	s_delay_alu instid0(VALU_DEP_2) | instskip(NEXT) | instid1(VALU_DEP_1)
	v_fma_f64 v[188:189], v[190:191], v[196:197], v[188:189]
	v_add_f64 v[142:143], v[142:143], -v[188:189]
	;; [unrolled: 10-line block ×36, first 2 shown]
	ds_load_2addr_b64 v[188:191], v198 offset0:92 offset1:93
	s_waitcnt lgkmcnt(0)
	v_mul_f64 v[148:149], v[190:191], v[150:151]
	s_delay_alu instid0(VALU_DEP_1) | instskip(SKIP_1) | instid1(VALU_DEP_2)
	v_fma_f64 v[148:149], v[188:189], v[196:197], -v[148:149]
	v_mul_f64 v[188:189], v[188:189], v[150:151]
	v_add_f64 v[0:1], v[0:1], -v[148:149]
	s_delay_alu instid0(VALU_DEP_2) | instskip(SKIP_1) | instid1(VALU_DEP_2)
	v_fma_f64 v[188:189], v[190:191], v[196:197], v[188:189]
	v_dual_mov_b32 v148, v196 :: v_dual_mov_b32 v149, v197
	v_add_f64 v[2:3], v[2:3], -v[188:189]
.LBB92_209:
	s_or_b32 exec_lo, exec_lo, s2
	v_lshl_add_u32 v188, v204, 4, v198
	s_barrier
	buffer_gl0_inv
	v_mov_b32_e32 v196, 10
	ds_store_2addr_b64 v188, v[144:145], v[146:147] offset1:1
	s_waitcnt lgkmcnt(0)
	s_barrier
	buffer_gl0_inv
	ds_load_2addr_b64 v[188:191], v198 offset0:20 offset1:21
	s_cmp_lt_i32 s5, 12
	s_cbranch_scc1 .LBB92_212
; %bb.210:
	v_add3_u32 v197, v203, 0, 0xb0
	v_mov_b32_e32 v196, 10
	s_mov_b32 s6, 11
	s_set_inst_prefetch_distance 0x1
	.p2align	6
.LBB92_211:                             ; =>This Inner Loop Header: Depth=1
	ds_load_2addr_b64 v[205:208], v197 offset1:1
	s_waitcnt lgkmcnt(1)
	v_cmp_gt_f64_e32 vcc_lo, 0, v[188:189]
	v_xor_b32_e32 v209, 0x80000000, v189
	v_cmp_gt_f64_e64 s2, 0, v[190:191]
	v_xor_b32_e32 v211, 0x80000000, v191
	v_add_nc_u32_e32 v197, 16, v197
	s_waitcnt lgkmcnt(0)
	v_cmp_gt_f64_e64 s3, 0, v[205:206]
	v_mov_b32_e32 v213, v205
	v_dual_mov_b32 v215, v207 :: v_dual_cndmask_b32 v210, v189, v209
	v_xor_b32_e32 v209, 0x80000000, v206
	v_cndmask_b32_e64 v212, v191, v211, s2
	v_xor_b32_e32 v211, 0x80000000, v208
	s_delay_alu instid0(VALU_DEP_3) | instskip(SKIP_2) | instid1(VALU_DEP_2)
	v_cndmask_b32_e64 v214, v206, v209, s3
	v_cmp_gt_f64_e64 s3, 0, v[207:208]
	v_cndmask_b32_e32 v209, v188, v188, vcc_lo
	v_cndmask_b32_e64 v216, v208, v211, s3
	v_cndmask_b32_e64 v211, v190, v190, s2
	s_delay_alu instid0(VALU_DEP_2) | instskip(NEXT) | instid1(VALU_DEP_2)
	v_add_f64 v[213:214], v[213:214], v[215:216]
	v_add_f64 v[209:210], v[209:210], v[211:212]
	s_delay_alu instid0(VALU_DEP_1) | instskip(SKIP_4) | instid1(SALU_CYCLE_1)
	v_cmp_lt_f64_e32 vcc_lo, v[209:210], v[213:214]
	v_dual_cndmask_b32 v190, v190, v207 :: v_dual_cndmask_b32 v189, v189, v206
	v_dual_cndmask_b32 v188, v188, v205 :: v_dual_cndmask_b32 v191, v191, v208
	v_cndmask_b32_e64 v196, v196, s6, vcc_lo
	s_add_i32 s6, s6, 1
	s_cmp_lg_u32 s5, s6
	s_cbranch_scc1 .LBB92_211
.LBB92_212:
	s_set_inst_prefetch_distance 0x2
	s_waitcnt lgkmcnt(0)
	v_cmp_eq_f64_e32 vcc_lo, 0, v[188:189]
	v_cmp_eq_f64_e64 s2, 0, v[190:191]
	s_delay_alu instid0(VALU_DEP_1) | instskip(NEXT) | instid1(SALU_CYCLE_1)
	s_and_b32 s2, vcc_lo, s2
	s_and_saveexec_b32 s3, s2
	s_delay_alu instid0(SALU_CYCLE_1)
	s_xor_b32 s2, exec_lo, s3
; %bb.213:
	v_cmp_ne_u32_e32 vcc_lo, 0, v201
	v_cndmask_b32_e32 v201, 11, v201, vcc_lo
; %bb.214:
	s_and_not1_saveexec_b32 s3, s2
	s_cbranch_execz .LBB92_220
; %bb.215:
	v_cmp_gt_f64_e32 vcc_lo, 0, v[188:189]
	v_cmp_gt_f64_e64 s2, 0, v[190:191]
	v_xor_b32_e32 v197, 0x80000000, v189
	v_xor_b32_e32 v205, 0x80000000, v191
	s_delay_alu instid0(VALU_DEP_2) | instskip(NEXT) | instid1(VALU_DEP_2)
	v_cndmask_b32_e32 v206, v189, v197, vcc_lo
	v_cndmask_b32_e64 v208, v191, v205, s2
	v_cndmask_b32_e32 v205, v188, v188, vcc_lo
	v_cndmask_b32_e64 v207, v190, v190, s2
	s_mov_b32 s2, exec_lo
	s_delay_alu instid0(VALU_DEP_1)
	v_cmpx_ngt_f64_e32 v[205:206], v[207:208]
	s_xor_b32 s2, exec_lo, s2
	s_cbranch_execz .LBB92_217
; %bb.216:
	v_div_scale_f64 v[205:206], null, v[190:191], v[190:191], v[188:189]
	v_div_scale_f64 v[211:212], vcc_lo, v[188:189], v[190:191], v[188:189]
	s_delay_alu instid0(VALU_DEP_2) | instskip(SKIP_2) | instid1(VALU_DEP_1)
	v_rcp_f64_e32 v[207:208], v[205:206]
	s_waitcnt_depctr 0xfff
	v_fma_f64 v[209:210], -v[205:206], v[207:208], 1.0
	v_fma_f64 v[207:208], v[207:208], v[209:210], v[207:208]
	s_delay_alu instid0(VALU_DEP_1) | instskip(NEXT) | instid1(VALU_DEP_1)
	v_fma_f64 v[209:210], -v[205:206], v[207:208], 1.0
	v_fma_f64 v[207:208], v[207:208], v[209:210], v[207:208]
	s_delay_alu instid0(VALU_DEP_1) | instskip(NEXT) | instid1(VALU_DEP_1)
	v_mul_f64 v[209:210], v[211:212], v[207:208]
	v_fma_f64 v[205:206], -v[205:206], v[209:210], v[211:212]
	s_delay_alu instid0(VALU_DEP_1) | instskip(NEXT) | instid1(VALU_DEP_1)
	v_div_fmas_f64 v[205:206], v[205:206], v[207:208], v[209:210]
	v_div_fixup_f64 v[205:206], v[205:206], v[190:191], v[188:189]
	s_delay_alu instid0(VALU_DEP_1) | instskip(NEXT) | instid1(VALU_DEP_1)
	v_fma_f64 v[188:189], v[188:189], v[205:206], v[190:191]
	v_div_scale_f64 v[190:191], null, v[188:189], v[188:189], 1.0
	s_delay_alu instid0(VALU_DEP_1) | instskip(SKIP_2) | instid1(VALU_DEP_1)
	v_rcp_f64_e32 v[207:208], v[190:191]
	s_waitcnt_depctr 0xfff
	v_fma_f64 v[209:210], -v[190:191], v[207:208], 1.0
	v_fma_f64 v[207:208], v[207:208], v[209:210], v[207:208]
	s_delay_alu instid0(VALU_DEP_1) | instskip(NEXT) | instid1(VALU_DEP_1)
	v_fma_f64 v[209:210], -v[190:191], v[207:208], 1.0
	v_fma_f64 v[207:208], v[207:208], v[209:210], v[207:208]
	v_div_scale_f64 v[209:210], vcc_lo, 1.0, v[188:189], 1.0
	s_delay_alu instid0(VALU_DEP_1) | instskip(NEXT) | instid1(VALU_DEP_1)
	v_mul_f64 v[211:212], v[209:210], v[207:208]
	v_fma_f64 v[190:191], -v[190:191], v[211:212], v[209:210]
	s_delay_alu instid0(VALU_DEP_1) | instskip(NEXT) | instid1(VALU_DEP_1)
	v_div_fmas_f64 v[190:191], v[190:191], v[207:208], v[211:212]
	v_div_fixup_f64 v[190:191], v[190:191], v[188:189], 1.0
	s_delay_alu instid0(VALU_DEP_1)
	v_mul_f64 v[188:189], v[205:206], v[190:191]
	v_xor_b32_e32 v191, 0x80000000, v191
.LBB92_217:
	s_and_not1_saveexec_b32 s2, s2
	s_cbranch_execz .LBB92_219
; %bb.218:
	s_delay_alu instid0(VALU_DEP_1) | instskip(SKIP_1) | instid1(VALU_DEP_2)
	v_div_scale_f64 v[205:206], null, v[188:189], v[188:189], v[190:191]
	v_div_scale_f64 v[211:212], vcc_lo, v[190:191], v[188:189], v[190:191]
	v_rcp_f64_e32 v[207:208], v[205:206]
	s_waitcnt_depctr 0xfff
	v_fma_f64 v[209:210], -v[205:206], v[207:208], 1.0
	s_delay_alu instid0(VALU_DEP_1) | instskip(NEXT) | instid1(VALU_DEP_1)
	v_fma_f64 v[207:208], v[207:208], v[209:210], v[207:208]
	v_fma_f64 v[209:210], -v[205:206], v[207:208], 1.0
	s_delay_alu instid0(VALU_DEP_1) | instskip(NEXT) | instid1(VALU_DEP_1)
	v_fma_f64 v[207:208], v[207:208], v[209:210], v[207:208]
	v_mul_f64 v[209:210], v[211:212], v[207:208]
	s_delay_alu instid0(VALU_DEP_1) | instskip(NEXT) | instid1(VALU_DEP_1)
	v_fma_f64 v[205:206], -v[205:206], v[209:210], v[211:212]
	v_div_fmas_f64 v[205:206], v[205:206], v[207:208], v[209:210]
	s_delay_alu instid0(VALU_DEP_1) | instskip(NEXT) | instid1(VALU_DEP_1)
	v_div_fixup_f64 v[205:206], v[205:206], v[188:189], v[190:191]
	v_fma_f64 v[188:189], v[190:191], v[205:206], v[188:189]
	s_delay_alu instid0(VALU_DEP_1) | instskip(NEXT) | instid1(VALU_DEP_1)
	v_div_scale_f64 v[190:191], null, v[188:189], v[188:189], 1.0
	v_rcp_f64_e32 v[207:208], v[190:191]
	s_waitcnt_depctr 0xfff
	v_fma_f64 v[209:210], -v[190:191], v[207:208], 1.0
	s_delay_alu instid0(VALU_DEP_1) | instskip(NEXT) | instid1(VALU_DEP_1)
	v_fma_f64 v[207:208], v[207:208], v[209:210], v[207:208]
	v_fma_f64 v[209:210], -v[190:191], v[207:208], 1.0
	s_delay_alu instid0(VALU_DEP_1) | instskip(SKIP_1) | instid1(VALU_DEP_1)
	v_fma_f64 v[207:208], v[207:208], v[209:210], v[207:208]
	v_div_scale_f64 v[209:210], vcc_lo, 1.0, v[188:189], 1.0
	v_mul_f64 v[211:212], v[209:210], v[207:208]
	s_delay_alu instid0(VALU_DEP_1) | instskip(NEXT) | instid1(VALU_DEP_1)
	v_fma_f64 v[190:191], -v[190:191], v[211:212], v[209:210]
	v_div_fmas_f64 v[190:191], v[190:191], v[207:208], v[211:212]
	s_delay_alu instid0(VALU_DEP_1) | instskip(NEXT) | instid1(VALU_DEP_1)
	v_div_fixup_f64 v[188:189], v[190:191], v[188:189], 1.0
	v_mul_f64 v[190:191], v[205:206], -v[188:189]
.LBB92_219:
	s_or_b32 exec_lo, exec_lo, s2
.LBB92_220:
	s_delay_alu instid0(SALU_CYCLE_1) | instskip(NEXT) | instid1(SALU_CYCLE_1)
	s_or_b32 exec_lo, exec_lo, s3
	s_mov_b32 s2, exec_lo
	v_cmpx_ne_u32_e64 v204, v196
	s_xor_b32 s2, exec_lo, s2
	s_cbranch_execz .LBB92_226
; %bb.221:
	s_mov_b32 s3, exec_lo
	v_cmpx_eq_u32_e32 10, v204
	s_cbranch_execz .LBB92_225
; %bb.222:
	v_cmp_ne_u32_e32 vcc_lo, 10, v196
	s_xor_b32 s6, s4, -1
	s_delay_alu instid0(SALU_CYCLE_1) | instskip(NEXT) | instid1(SALU_CYCLE_1)
	s_and_b32 s7, s6, vcc_lo
	s_and_saveexec_b32 s6, s7
	s_cbranch_execz .LBB92_224
; %bb.223:
	v_ashrrev_i32_e32 v197, 31, v196
	s_delay_alu instid0(VALU_DEP_1) | instskip(NEXT) | instid1(VALU_DEP_1)
	v_lshlrev_b64 v[204:205], 2, v[196:197]
	v_add_co_u32 v204, vcc_lo, v194, v204
	s_delay_alu instid0(VALU_DEP_2)
	v_add_co_ci_u32_e32 v205, vcc_lo, v195, v205, vcc_lo
	s_clause 0x1
	flat_load_b32 v197, v[204:205]
	flat_load_b32 v202, v[194:195] offset:40
	s_waitcnt vmcnt(1) lgkmcnt(1)
	flat_store_b32 v[194:195], v197 offset:40
	s_waitcnt vmcnt(0) lgkmcnt(1)
	flat_store_b32 v[204:205], v202
.LBB92_224:
	s_or_b32 exec_lo, exec_lo, s6
	v_mov_b32_e32 v204, v196
	v_mov_b32_e32 v202, v196
.LBB92_225:
	s_or_b32 exec_lo, exec_lo, s3
.LBB92_226:
	s_and_not1_saveexec_b32 s2, s2
	s_cbranch_execz .LBB92_228
; %bb.227:
	v_mov_b32_e32 v204, 10
	ds_store_2addr_b64 v198, v[140:141], v[142:143] offset0:22 offset1:23
	ds_store_2addr_b64 v198, v[136:137], v[138:139] offset0:24 offset1:25
	;; [unrolled: 1-line block ×36, first 2 shown]
.LBB92_228:
	s_or_b32 exec_lo, exec_lo, s2
	s_delay_alu instid0(SALU_CYCLE_1)
	s_mov_b32 s2, exec_lo
	s_waitcnt lgkmcnt(0)
	s_waitcnt_vscnt null, 0x0
	s_barrier
	buffer_gl0_inv
	v_cmpx_lt_i32_e32 10, v204
	s_cbranch_execz .LBB92_230
; %bb.229:
	v_mul_f64 v[196:197], v[190:191], v[146:147]
	v_mul_f64 v[146:147], v[188:189], v[146:147]
	s_delay_alu instid0(VALU_DEP_2) | instskip(NEXT) | instid1(VALU_DEP_2)
	v_fma_f64 v[196:197], v[188:189], v[144:145], -v[196:197]
	v_fma_f64 v[146:147], v[190:191], v[144:145], v[146:147]
	ds_load_2addr_b64 v[188:191], v198 offset0:22 offset1:23
	s_waitcnt lgkmcnt(0)
	v_mul_f64 v[144:145], v[190:191], v[146:147]
	s_delay_alu instid0(VALU_DEP_1) | instskip(SKIP_1) | instid1(VALU_DEP_2)
	v_fma_f64 v[144:145], v[188:189], v[196:197], -v[144:145]
	v_mul_f64 v[188:189], v[188:189], v[146:147]
	v_add_f64 v[140:141], v[140:141], -v[144:145]
	s_delay_alu instid0(VALU_DEP_2) | instskip(NEXT) | instid1(VALU_DEP_1)
	v_fma_f64 v[188:189], v[190:191], v[196:197], v[188:189]
	v_add_f64 v[142:143], v[142:143], -v[188:189]
	ds_load_2addr_b64 v[188:191], v198 offset0:24 offset1:25
	s_waitcnt lgkmcnt(0)
	v_mul_f64 v[144:145], v[190:191], v[146:147]
	s_delay_alu instid0(VALU_DEP_1) | instskip(SKIP_1) | instid1(VALU_DEP_2)
	v_fma_f64 v[144:145], v[188:189], v[196:197], -v[144:145]
	v_mul_f64 v[188:189], v[188:189], v[146:147]
	v_add_f64 v[136:137], v[136:137], -v[144:145]
	s_delay_alu instid0(VALU_DEP_2) | instskip(NEXT) | instid1(VALU_DEP_1)
	v_fma_f64 v[188:189], v[190:191], v[196:197], v[188:189]
	v_add_f64 v[138:139], v[138:139], -v[188:189]
	;; [unrolled: 10-line block ×35, first 2 shown]
	ds_load_2addr_b64 v[188:191], v198 offset0:92 offset1:93
	s_waitcnt lgkmcnt(0)
	v_mul_f64 v[144:145], v[190:191], v[146:147]
	s_delay_alu instid0(VALU_DEP_1) | instskip(SKIP_1) | instid1(VALU_DEP_2)
	v_fma_f64 v[144:145], v[188:189], v[196:197], -v[144:145]
	v_mul_f64 v[188:189], v[188:189], v[146:147]
	v_add_f64 v[0:1], v[0:1], -v[144:145]
	s_delay_alu instid0(VALU_DEP_2) | instskip(SKIP_1) | instid1(VALU_DEP_2)
	v_fma_f64 v[188:189], v[190:191], v[196:197], v[188:189]
	v_dual_mov_b32 v144, v196 :: v_dual_mov_b32 v145, v197
	v_add_f64 v[2:3], v[2:3], -v[188:189]
.LBB92_230:
	s_or_b32 exec_lo, exec_lo, s2
	v_lshl_add_u32 v188, v204, 4, v198
	s_barrier
	buffer_gl0_inv
	v_mov_b32_e32 v196, 11
	ds_store_2addr_b64 v188, v[140:141], v[142:143] offset1:1
	s_waitcnt lgkmcnt(0)
	s_barrier
	buffer_gl0_inv
	ds_load_2addr_b64 v[188:191], v198 offset0:22 offset1:23
	s_cmp_lt_i32 s5, 13
	s_cbranch_scc1 .LBB92_233
; %bb.231:
	v_add3_u32 v197, v203, 0, 0xc0
	v_mov_b32_e32 v196, 11
	s_mov_b32 s6, 12
	s_set_inst_prefetch_distance 0x1
	.p2align	6
.LBB92_232:                             ; =>This Inner Loop Header: Depth=1
	ds_load_2addr_b64 v[205:208], v197 offset1:1
	s_waitcnt lgkmcnt(1)
	v_cmp_gt_f64_e32 vcc_lo, 0, v[188:189]
	v_xor_b32_e32 v209, 0x80000000, v189
	v_cmp_gt_f64_e64 s2, 0, v[190:191]
	v_xor_b32_e32 v211, 0x80000000, v191
	v_add_nc_u32_e32 v197, 16, v197
	s_waitcnt lgkmcnt(0)
	v_cmp_gt_f64_e64 s3, 0, v[205:206]
	v_mov_b32_e32 v213, v205
	v_dual_mov_b32 v215, v207 :: v_dual_cndmask_b32 v210, v189, v209
	v_xor_b32_e32 v209, 0x80000000, v206
	v_cndmask_b32_e64 v212, v191, v211, s2
	v_xor_b32_e32 v211, 0x80000000, v208
	s_delay_alu instid0(VALU_DEP_3) | instskip(SKIP_2) | instid1(VALU_DEP_2)
	v_cndmask_b32_e64 v214, v206, v209, s3
	v_cmp_gt_f64_e64 s3, 0, v[207:208]
	v_cndmask_b32_e32 v209, v188, v188, vcc_lo
	v_cndmask_b32_e64 v216, v208, v211, s3
	v_cndmask_b32_e64 v211, v190, v190, s2
	s_delay_alu instid0(VALU_DEP_2) | instskip(NEXT) | instid1(VALU_DEP_2)
	v_add_f64 v[213:214], v[213:214], v[215:216]
	v_add_f64 v[209:210], v[209:210], v[211:212]
	s_delay_alu instid0(VALU_DEP_1) | instskip(SKIP_4) | instid1(SALU_CYCLE_1)
	v_cmp_lt_f64_e32 vcc_lo, v[209:210], v[213:214]
	v_dual_cndmask_b32 v190, v190, v207 :: v_dual_cndmask_b32 v189, v189, v206
	v_dual_cndmask_b32 v188, v188, v205 :: v_dual_cndmask_b32 v191, v191, v208
	v_cndmask_b32_e64 v196, v196, s6, vcc_lo
	s_add_i32 s6, s6, 1
	s_cmp_lg_u32 s5, s6
	s_cbranch_scc1 .LBB92_232
.LBB92_233:
	s_set_inst_prefetch_distance 0x2
	s_waitcnt lgkmcnt(0)
	v_cmp_eq_f64_e32 vcc_lo, 0, v[188:189]
	v_cmp_eq_f64_e64 s2, 0, v[190:191]
	s_delay_alu instid0(VALU_DEP_1) | instskip(NEXT) | instid1(SALU_CYCLE_1)
	s_and_b32 s2, vcc_lo, s2
	s_and_saveexec_b32 s3, s2
	s_delay_alu instid0(SALU_CYCLE_1)
	s_xor_b32 s2, exec_lo, s3
; %bb.234:
	v_cmp_ne_u32_e32 vcc_lo, 0, v201
	v_cndmask_b32_e32 v201, 12, v201, vcc_lo
; %bb.235:
	s_and_not1_saveexec_b32 s3, s2
	s_cbranch_execz .LBB92_241
; %bb.236:
	v_cmp_gt_f64_e32 vcc_lo, 0, v[188:189]
	v_cmp_gt_f64_e64 s2, 0, v[190:191]
	v_xor_b32_e32 v197, 0x80000000, v189
	v_xor_b32_e32 v205, 0x80000000, v191
	s_delay_alu instid0(VALU_DEP_2) | instskip(NEXT) | instid1(VALU_DEP_2)
	v_cndmask_b32_e32 v206, v189, v197, vcc_lo
	v_cndmask_b32_e64 v208, v191, v205, s2
	v_cndmask_b32_e32 v205, v188, v188, vcc_lo
	v_cndmask_b32_e64 v207, v190, v190, s2
	s_mov_b32 s2, exec_lo
	s_delay_alu instid0(VALU_DEP_1)
	v_cmpx_ngt_f64_e32 v[205:206], v[207:208]
	s_xor_b32 s2, exec_lo, s2
	s_cbranch_execz .LBB92_238
; %bb.237:
	v_div_scale_f64 v[205:206], null, v[190:191], v[190:191], v[188:189]
	v_div_scale_f64 v[211:212], vcc_lo, v[188:189], v[190:191], v[188:189]
	s_delay_alu instid0(VALU_DEP_2) | instskip(SKIP_2) | instid1(VALU_DEP_1)
	v_rcp_f64_e32 v[207:208], v[205:206]
	s_waitcnt_depctr 0xfff
	v_fma_f64 v[209:210], -v[205:206], v[207:208], 1.0
	v_fma_f64 v[207:208], v[207:208], v[209:210], v[207:208]
	s_delay_alu instid0(VALU_DEP_1) | instskip(NEXT) | instid1(VALU_DEP_1)
	v_fma_f64 v[209:210], -v[205:206], v[207:208], 1.0
	v_fma_f64 v[207:208], v[207:208], v[209:210], v[207:208]
	s_delay_alu instid0(VALU_DEP_1) | instskip(NEXT) | instid1(VALU_DEP_1)
	v_mul_f64 v[209:210], v[211:212], v[207:208]
	v_fma_f64 v[205:206], -v[205:206], v[209:210], v[211:212]
	s_delay_alu instid0(VALU_DEP_1) | instskip(NEXT) | instid1(VALU_DEP_1)
	v_div_fmas_f64 v[205:206], v[205:206], v[207:208], v[209:210]
	v_div_fixup_f64 v[205:206], v[205:206], v[190:191], v[188:189]
	s_delay_alu instid0(VALU_DEP_1) | instskip(NEXT) | instid1(VALU_DEP_1)
	v_fma_f64 v[188:189], v[188:189], v[205:206], v[190:191]
	v_div_scale_f64 v[190:191], null, v[188:189], v[188:189], 1.0
	s_delay_alu instid0(VALU_DEP_1) | instskip(SKIP_2) | instid1(VALU_DEP_1)
	v_rcp_f64_e32 v[207:208], v[190:191]
	s_waitcnt_depctr 0xfff
	v_fma_f64 v[209:210], -v[190:191], v[207:208], 1.0
	v_fma_f64 v[207:208], v[207:208], v[209:210], v[207:208]
	s_delay_alu instid0(VALU_DEP_1) | instskip(NEXT) | instid1(VALU_DEP_1)
	v_fma_f64 v[209:210], -v[190:191], v[207:208], 1.0
	v_fma_f64 v[207:208], v[207:208], v[209:210], v[207:208]
	v_div_scale_f64 v[209:210], vcc_lo, 1.0, v[188:189], 1.0
	s_delay_alu instid0(VALU_DEP_1) | instskip(NEXT) | instid1(VALU_DEP_1)
	v_mul_f64 v[211:212], v[209:210], v[207:208]
	v_fma_f64 v[190:191], -v[190:191], v[211:212], v[209:210]
	s_delay_alu instid0(VALU_DEP_1) | instskip(NEXT) | instid1(VALU_DEP_1)
	v_div_fmas_f64 v[190:191], v[190:191], v[207:208], v[211:212]
	v_div_fixup_f64 v[190:191], v[190:191], v[188:189], 1.0
	s_delay_alu instid0(VALU_DEP_1)
	v_mul_f64 v[188:189], v[205:206], v[190:191]
	v_xor_b32_e32 v191, 0x80000000, v191
.LBB92_238:
	s_and_not1_saveexec_b32 s2, s2
	s_cbranch_execz .LBB92_240
; %bb.239:
	s_delay_alu instid0(VALU_DEP_1) | instskip(SKIP_1) | instid1(VALU_DEP_2)
	v_div_scale_f64 v[205:206], null, v[188:189], v[188:189], v[190:191]
	v_div_scale_f64 v[211:212], vcc_lo, v[190:191], v[188:189], v[190:191]
	v_rcp_f64_e32 v[207:208], v[205:206]
	s_waitcnt_depctr 0xfff
	v_fma_f64 v[209:210], -v[205:206], v[207:208], 1.0
	s_delay_alu instid0(VALU_DEP_1) | instskip(NEXT) | instid1(VALU_DEP_1)
	v_fma_f64 v[207:208], v[207:208], v[209:210], v[207:208]
	v_fma_f64 v[209:210], -v[205:206], v[207:208], 1.0
	s_delay_alu instid0(VALU_DEP_1) | instskip(NEXT) | instid1(VALU_DEP_1)
	v_fma_f64 v[207:208], v[207:208], v[209:210], v[207:208]
	v_mul_f64 v[209:210], v[211:212], v[207:208]
	s_delay_alu instid0(VALU_DEP_1) | instskip(NEXT) | instid1(VALU_DEP_1)
	v_fma_f64 v[205:206], -v[205:206], v[209:210], v[211:212]
	v_div_fmas_f64 v[205:206], v[205:206], v[207:208], v[209:210]
	s_delay_alu instid0(VALU_DEP_1) | instskip(NEXT) | instid1(VALU_DEP_1)
	v_div_fixup_f64 v[205:206], v[205:206], v[188:189], v[190:191]
	v_fma_f64 v[188:189], v[190:191], v[205:206], v[188:189]
	s_delay_alu instid0(VALU_DEP_1) | instskip(NEXT) | instid1(VALU_DEP_1)
	v_div_scale_f64 v[190:191], null, v[188:189], v[188:189], 1.0
	v_rcp_f64_e32 v[207:208], v[190:191]
	s_waitcnt_depctr 0xfff
	v_fma_f64 v[209:210], -v[190:191], v[207:208], 1.0
	s_delay_alu instid0(VALU_DEP_1) | instskip(NEXT) | instid1(VALU_DEP_1)
	v_fma_f64 v[207:208], v[207:208], v[209:210], v[207:208]
	v_fma_f64 v[209:210], -v[190:191], v[207:208], 1.0
	s_delay_alu instid0(VALU_DEP_1) | instskip(SKIP_1) | instid1(VALU_DEP_1)
	v_fma_f64 v[207:208], v[207:208], v[209:210], v[207:208]
	v_div_scale_f64 v[209:210], vcc_lo, 1.0, v[188:189], 1.0
	v_mul_f64 v[211:212], v[209:210], v[207:208]
	s_delay_alu instid0(VALU_DEP_1) | instskip(NEXT) | instid1(VALU_DEP_1)
	v_fma_f64 v[190:191], -v[190:191], v[211:212], v[209:210]
	v_div_fmas_f64 v[190:191], v[190:191], v[207:208], v[211:212]
	s_delay_alu instid0(VALU_DEP_1) | instskip(NEXT) | instid1(VALU_DEP_1)
	v_div_fixup_f64 v[188:189], v[190:191], v[188:189], 1.0
	v_mul_f64 v[190:191], v[205:206], -v[188:189]
.LBB92_240:
	s_or_b32 exec_lo, exec_lo, s2
.LBB92_241:
	s_delay_alu instid0(SALU_CYCLE_1) | instskip(NEXT) | instid1(SALU_CYCLE_1)
	s_or_b32 exec_lo, exec_lo, s3
	s_mov_b32 s2, exec_lo
	v_cmpx_ne_u32_e64 v204, v196
	s_xor_b32 s2, exec_lo, s2
	s_cbranch_execz .LBB92_247
; %bb.242:
	s_mov_b32 s3, exec_lo
	v_cmpx_eq_u32_e32 11, v204
	s_cbranch_execz .LBB92_246
; %bb.243:
	v_cmp_ne_u32_e32 vcc_lo, 11, v196
	s_xor_b32 s6, s4, -1
	s_delay_alu instid0(SALU_CYCLE_1) | instskip(NEXT) | instid1(SALU_CYCLE_1)
	s_and_b32 s7, s6, vcc_lo
	s_and_saveexec_b32 s6, s7
	s_cbranch_execz .LBB92_245
; %bb.244:
	v_ashrrev_i32_e32 v197, 31, v196
	s_delay_alu instid0(VALU_DEP_1) | instskip(NEXT) | instid1(VALU_DEP_1)
	v_lshlrev_b64 v[204:205], 2, v[196:197]
	v_add_co_u32 v204, vcc_lo, v194, v204
	s_delay_alu instid0(VALU_DEP_2)
	v_add_co_ci_u32_e32 v205, vcc_lo, v195, v205, vcc_lo
	s_clause 0x1
	flat_load_b32 v197, v[204:205]
	flat_load_b32 v202, v[194:195] offset:44
	s_waitcnt vmcnt(1) lgkmcnt(1)
	flat_store_b32 v[194:195], v197 offset:44
	s_waitcnt vmcnt(0) lgkmcnt(1)
	flat_store_b32 v[204:205], v202
.LBB92_245:
	s_or_b32 exec_lo, exec_lo, s6
	v_mov_b32_e32 v204, v196
	v_mov_b32_e32 v202, v196
.LBB92_246:
	s_or_b32 exec_lo, exec_lo, s3
.LBB92_247:
	s_and_not1_saveexec_b32 s2, s2
	s_cbranch_execz .LBB92_249
; %bb.248:
	v_mov_b32_e32 v204, 11
	ds_store_2addr_b64 v198, v[136:137], v[138:139] offset0:24 offset1:25
	ds_store_2addr_b64 v198, v[132:133], v[134:135] offset0:26 offset1:27
	;; [unrolled: 1-line block ×35, first 2 shown]
.LBB92_249:
	s_or_b32 exec_lo, exec_lo, s2
	s_delay_alu instid0(SALU_CYCLE_1)
	s_mov_b32 s2, exec_lo
	s_waitcnt lgkmcnt(0)
	s_waitcnt_vscnt null, 0x0
	s_barrier
	buffer_gl0_inv
	v_cmpx_lt_i32_e32 11, v204
	s_cbranch_execz .LBB92_251
; %bb.250:
	v_mul_f64 v[196:197], v[190:191], v[142:143]
	v_mul_f64 v[142:143], v[188:189], v[142:143]
	s_delay_alu instid0(VALU_DEP_2) | instskip(NEXT) | instid1(VALU_DEP_2)
	v_fma_f64 v[196:197], v[188:189], v[140:141], -v[196:197]
	v_fma_f64 v[142:143], v[190:191], v[140:141], v[142:143]
	ds_load_2addr_b64 v[188:191], v198 offset0:24 offset1:25
	s_waitcnt lgkmcnt(0)
	v_mul_f64 v[140:141], v[190:191], v[142:143]
	s_delay_alu instid0(VALU_DEP_1) | instskip(SKIP_1) | instid1(VALU_DEP_2)
	v_fma_f64 v[140:141], v[188:189], v[196:197], -v[140:141]
	v_mul_f64 v[188:189], v[188:189], v[142:143]
	v_add_f64 v[136:137], v[136:137], -v[140:141]
	s_delay_alu instid0(VALU_DEP_2) | instskip(NEXT) | instid1(VALU_DEP_1)
	v_fma_f64 v[188:189], v[190:191], v[196:197], v[188:189]
	v_add_f64 v[138:139], v[138:139], -v[188:189]
	ds_load_2addr_b64 v[188:191], v198 offset0:26 offset1:27
	s_waitcnt lgkmcnt(0)
	v_mul_f64 v[140:141], v[190:191], v[142:143]
	s_delay_alu instid0(VALU_DEP_1) | instskip(SKIP_1) | instid1(VALU_DEP_2)
	v_fma_f64 v[140:141], v[188:189], v[196:197], -v[140:141]
	v_mul_f64 v[188:189], v[188:189], v[142:143]
	v_add_f64 v[132:133], v[132:133], -v[140:141]
	s_delay_alu instid0(VALU_DEP_2) | instskip(NEXT) | instid1(VALU_DEP_1)
	v_fma_f64 v[188:189], v[190:191], v[196:197], v[188:189]
	v_add_f64 v[134:135], v[134:135], -v[188:189]
	;; [unrolled: 10-line block ×34, first 2 shown]
	ds_load_2addr_b64 v[188:191], v198 offset0:92 offset1:93
	s_waitcnt lgkmcnt(0)
	v_mul_f64 v[140:141], v[190:191], v[142:143]
	s_delay_alu instid0(VALU_DEP_1) | instskip(SKIP_1) | instid1(VALU_DEP_2)
	v_fma_f64 v[140:141], v[188:189], v[196:197], -v[140:141]
	v_mul_f64 v[188:189], v[188:189], v[142:143]
	v_add_f64 v[0:1], v[0:1], -v[140:141]
	s_delay_alu instid0(VALU_DEP_2) | instskip(SKIP_1) | instid1(VALU_DEP_2)
	v_fma_f64 v[188:189], v[190:191], v[196:197], v[188:189]
	v_dual_mov_b32 v140, v196 :: v_dual_mov_b32 v141, v197
	v_add_f64 v[2:3], v[2:3], -v[188:189]
.LBB92_251:
	s_or_b32 exec_lo, exec_lo, s2
	v_lshl_add_u32 v188, v204, 4, v198
	s_barrier
	buffer_gl0_inv
	v_mov_b32_e32 v196, 12
	ds_store_2addr_b64 v188, v[136:137], v[138:139] offset1:1
	s_waitcnt lgkmcnt(0)
	s_barrier
	buffer_gl0_inv
	ds_load_2addr_b64 v[188:191], v198 offset0:24 offset1:25
	s_cmp_lt_i32 s5, 14
	s_cbranch_scc1 .LBB92_254
; %bb.252:
	v_add3_u32 v197, v203, 0, 0xd0
	v_mov_b32_e32 v196, 12
	s_mov_b32 s6, 13
	s_set_inst_prefetch_distance 0x1
	.p2align	6
.LBB92_253:                             ; =>This Inner Loop Header: Depth=1
	ds_load_2addr_b64 v[205:208], v197 offset1:1
	s_waitcnt lgkmcnt(1)
	v_cmp_gt_f64_e32 vcc_lo, 0, v[188:189]
	v_xor_b32_e32 v209, 0x80000000, v189
	v_cmp_gt_f64_e64 s2, 0, v[190:191]
	v_xor_b32_e32 v211, 0x80000000, v191
	v_add_nc_u32_e32 v197, 16, v197
	s_waitcnt lgkmcnt(0)
	v_cmp_gt_f64_e64 s3, 0, v[205:206]
	v_mov_b32_e32 v213, v205
	v_dual_mov_b32 v215, v207 :: v_dual_cndmask_b32 v210, v189, v209
	v_xor_b32_e32 v209, 0x80000000, v206
	v_cndmask_b32_e64 v212, v191, v211, s2
	v_xor_b32_e32 v211, 0x80000000, v208
	s_delay_alu instid0(VALU_DEP_3) | instskip(SKIP_2) | instid1(VALU_DEP_2)
	v_cndmask_b32_e64 v214, v206, v209, s3
	v_cmp_gt_f64_e64 s3, 0, v[207:208]
	v_cndmask_b32_e32 v209, v188, v188, vcc_lo
	v_cndmask_b32_e64 v216, v208, v211, s3
	v_cndmask_b32_e64 v211, v190, v190, s2
	s_delay_alu instid0(VALU_DEP_2) | instskip(NEXT) | instid1(VALU_DEP_2)
	v_add_f64 v[213:214], v[213:214], v[215:216]
	v_add_f64 v[209:210], v[209:210], v[211:212]
	s_delay_alu instid0(VALU_DEP_1) | instskip(SKIP_4) | instid1(SALU_CYCLE_1)
	v_cmp_lt_f64_e32 vcc_lo, v[209:210], v[213:214]
	v_dual_cndmask_b32 v190, v190, v207 :: v_dual_cndmask_b32 v189, v189, v206
	v_dual_cndmask_b32 v188, v188, v205 :: v_dual_cndmask_b32 v191, v191, v208
	v_cndmask_b32_e64 v196, v196, s6, vcc_lo
	s_add_i32 s6, s6, 1
	s_cmp_lg_u32 s5, s6
	s_cbranch_scc1 .LBB92_253
.LBB92_254:
	s_set_inst_prefetch_distance 0x2
	s_waitcnt lgkmcnt(0)
	v_cmp_eq_f64_e32 vcc_lo, 0, v[188:189]
	v_cmp_eq_f64_e64 s2, 0, v[190:191]
	s_delay_alu instid0(VALU_DEP_1) | instskip(NEXT) | instid1(SALU_CYCLE_1)
	s_and_b32 s2, vcc_lo, s2
	s_and_saveexec_b32 s3, s2
	s_delay_alu instid0(SALU_CYCLE_1)
	s_xor_b32 s2, exec_lo, s3
; %bb.255:
	v_cmp_ne_u32_e32 vcc_lo, 0, v201
	v_cndmask_b32_e32 v201, 13, v201, vcc_lo
; %bb.256:
	s_and_not1_saveexec_b32 s3, s2
	s_cbranch_execz .LBB92_262
; %bb.257:
	v_cmp_gt_f64_e32 vcc_lo, 0, v[188:189]
	v_cmp_gt_f64_e64 s2, 0, v[190:191]
	v_xor_b32_e32 v197, 0x80000000, v189
	v_xor_b32_e32 v205, 0x80000000, v191
	s_delay_alu instid0(VALU_DEP_2) | instskip(NEXT) | instid1(VALU_DEP_2)
	v_cndmask_b32_e32 v206, v189, v197, vcc_lo
	v_cndmask_b32_e64 v208, v191, v205, s2
	v_cndmask_b32_e32 v205, v188, v188, vcc_lo
	v_cndmask_b32_e64 v207, v190, v190, s2
	s_mov_b32 s2, exec_lo
	s_delay_alu instid0(VALU_DEP_1)
	v_cmpx_ngt_f64_e32 v[205:206], v[207:208]
	s_xor_b32 s2, exec_lo, s2
	s_cbranch_execz .LBB92_259
; %bb.258:
	v_div_scale_f64 v[205:206], null, v[190:191], v[190:191], v[188:189]
	v_div_scale_f64 v[211:212], vcc_lo, v[188:189], v[190:191], v[188:189]
	s_delay_alu instid0(VALU_DEP_2) | instskip(SKIP_2) | instid1(VALU_DEP_1)
	v_rcp_f64_e32 v[207:208], v[205:206]
	s_waitcnt_depctr 0xfff
	v_fma_f64 v[209:210], -v[205:206], v[207:208], 1.0
	v_fma_f64 v[207:208], v[207:208], v[209:210], v[207:208]
	s_delay_alu instid0(VALU_DEP_1) | instskip(NEXT) | instid1(VALU_DEP_1)
	v_fma_f64 v[209:210], -v[205:206], v[207:208], 1.0
	v_fma_f64 v[207:208], v[207:208], v[209:210], v[207:208]
	s_delay_alu instid0(VALU_DEP_1) | instskip(NEXT) | instid1(VALU_DEP_1)
	v_mul_f64 v[209:210], v[211:212], v[207:208]
	v_fma_f64 v[205:206], -v[205:206], v[209:210], v[211:212]
	s_delay_alu instid0(VALU_DEP_1) | instskip(NEXT) | instid1(VALU_DEP_1)
	v_div_fmas_f64 v[205:206], v[205:206], v[207:208], v[209:210]
	v_div_fixup_f64 v[205:206], v[205:206], v[190:191], v[188:189]
	s_delay_alu instid0(VALU_DEP_1) | instskip(NEXT) | instid1(VALU_DEP_1)
	v_fma_f64 v[188:189], v[188:189], v[205:206], v[190:191]
	v_div_scale_f64 v[190:191], null, v[188:189], v[188:189], 1.0
	s_delay_alu instid0(VALU_DEP_1) | instskip(SKIP_2) | instid1(VALU_DEP_1)
	v_rcp_f64_e32 v[207:208], v[190:191]
	s_waitcnt_depctr 0xfff
	v_fma_f64 v[209:210], -v[190:191], v[207:208], 1.0
	v_fma_f64 v[207:208], v[207:208], v[209:210], v[207:208]
	s_delay_alu instid0(VALU_DEP_1) | instskip(NEXT) | instid1(VALU_DEP_1)
	v_fma_f64 v[209:210], -v[190:191], v[207:208], 1.0
	v_fma_f64 v[207:208], v[207:208], v[209:210], v[207:208]
	v_div_scale_f64 v[209:210], vcc_lo, 1.0, v[188:189], 1.0
	s_delay_alu instid0(VALU_DEP_1) | instskip(NEXT) | instid1(VALU_DEP_1)
	v_mul_f64 v[211:212], v[209:210], v[207:208]
	v_fma_f64 v[190:191], -v[190:191], v[211:212], v[209:210]
	s_delay_alu instid0(VALU_DEP_1) | instskip(NEXT) | instid1(VALU_DEP_1)
	v_div_fmas_f64 v[190:191], v[190:191], v[207:208], v[211:212]
	v_div_fixup_f64 v[190:191], v[190:191], v[188:189], 1.0
	s_delay_alu instid0(VALU_DEP_1)
	v_mul_f64 v[188:189], v[205:206], v[190:191]
	v_xor_b32_e32 v191, 0x80000000, v191
.LBB92_259:
	s_and_not1_saveexec_b32 s2, s2
	s_cbranch_execz .LBB92_261
; %bb.260:
	s_delay_alu instid0(VALU_DEP_1) | instskip(SKIP_1) | instid1(VALU_DEP_2)
	v_div_scale_f64 v[205:206], null, v[188:189], v[188:189], v[190:191]
	v_div_scale_f64 v[211:212], vcc_lo, v[190:191], v[188:189], v[190:191]
	v_rcp_f64_e32 v[207:208], v[205:206]
	s_waitcnt_depctr 0xfff
	v_fma_f64 v[209:210], -v[205:206], v[207:208], 1.0
	s_delay_alu instid0(VALU_DEP_1) | instskip(NEXT) | instid1(VALU_DEP_1)
	v_fma_f64 v[207:208], v[207:208], v[209:210], v[207:208]
	v_fma_f64 v[209:210], -v[205:206], v[207:208], 1.0
	s_delay_alu instid0(VALU_DEP_1) | instskip(NEXT) | instid1(VALU_DEP_1)
	v_fma_f64 v[207:208], v[207:208], v[209:210], v[207:208]
	v_mul_f64 v[209:210], v[211:212], v[207:208]
	s_delay_alu instid0(VALU_DEP_1) | instskip(NEXT) | instid1(VALU_DEP_1)
	v_fma_f64 v[205:206], -v[205:206], v[209:210], v[211:212]
	v_div_fmas_f64 v[205:206], v[205:206], v[207:208], v[209:210]
	s_delay_alu instid0(VALU_DEP_1) | instskip(NEXT) | instid1(VALU_DEP_1)
	v_div_fixup_f64 v[205:206], v[205:206], v[188:189], v[190:191]
	v_fma_f64 v[188:189], v[190:191], v[205:206], v[188:189]
	s_delay_alu instid0(VALU_DEP_1) | instskip(NEXT) | instid1(VALU_DEP_1)
	v_div_scale_f64 v[190:191], null, v[188:189], v[188:189], 1.0
	v_rcp_f64_e32 v[207:208], v[190:191]
	s_waitcnt_depctr 0xfff
	v_fma_f64 v[209:210], -v[190:191], v[207:208], 1.0
	s_delay_alu instid0(VALU_DEP_1) | instskip(NEXT) | instid1(VALU_DEP_1)
	v_fma_f64 v[207:208], v[207:208], v[209:210], v[207:208]
	v_fma_f64 v[209:210], -v[190:191], v[207:208], 1.0
	s_delay_alu instid0(VALU_DEP_1) | instskip(SKIP_1) | instid1(VALU_DEP_1)
	v_fma_f64 v[207:208], v[207:208], v[209:210], v[207:208]
	v_div_scale_f64 v[209:210], vcc_lo, 1.0, v[188:189], 1.0
	v_mul_f64 v[211:212], v[209:210], v[207:208]
	s_delay_alu instid0(VALU_DEP_1) | instskip(NEXT) | instid1(VALU_DEP_1)
	v_fma_f64 v[190:191], -v[190:191], v[211:212], v[209:210]
	v_div_fmas_f64 v[190:191], v[190:191], v[207:208], v[211:212]
	s_delay_alu instid0(VALU_DEP_1) | instskip(NEXT) | instid1(VALU_DEP_1)
	v_div_fixup_f64 v[188:189], v[190:191], v[188:189], 1.0
	v_mul_f64 v[190:191], v[205:206], -v[188:189]
.LBB92_261:
	s_or_b32 exec_lo, exec_lo, s2
.LBB92_262:
	s_delay_alu instid0(SALU_CYCLE_1) | instskip(NEXT) | instid1(SALU_CYCLE_1)
	s_or_b32 exec_lo, exec_lo, s3
	s_mov_b32 s2, exec_lo
	v_cmpx_ne_u32_e64 v204, v196
	s_xor_b32 s2, exec_lo, s2
	s_cbranch_execz .LBB92_268
; %bb.263:
	s_mov_b32 s3, exec_lo
	v_cmpx_eq_u32_e32 12, v204
	s_cbranch_execz .LBB92_267
; %bb.264:
	v_cmp_ne_u32_e32 vcc_lo, 12, v196
	s_xor_b32 s6, s4, -1
	s_delay_alu instid0(SALU_CYCLE_1) | instskip(NEXT) | instid1(SALU_CYCLE_1)
	s_and_b32 s7, s6, vcc_lo
	s_and_saveexec_b32 s6, s7
	s_cbranch_execz .LBB92_266
; %bb.265:
	v_ashrrev_i32_e32 v197, 31, v196
	s_delay_alu instid0(VALU_DEP_1) | instskip(NEXT) | instid1(VALU_DEP_1)
	v_lshlrev_b64 v[204:205], 2, v[196:197]
	v_add_co_u32 v204, vcc_lo, v194, v204
	s_delay_alu instid0(VALU_DEP_2)
	v_add_co_ci_u32_e32 v205, vcc_lo, v195, v205, vcc_lo
	s_clause 0x1
	flat_load_b32 v197, v[204:205]
	flat_load_b32 v202, v[194:195] offset:48
	s_waitcnt vmcnt(1) lgkmcnt(1)
	flat_store_b32 v[194:195], v197 offset:48
	s_waitcnt vmcnt(0) lgkmcnt(1)
	flat_store_b32 v[204:205], v202
.LBB92_266:
	s_or_b32 exec_lo, exec_lo, s6
	v_mov_b32_e32 v204, v196
	v_mov_b32_e32 v202, v196
.LBB92_267:
	s_or_b32 exec_lo, exec_lo, s3
.LBB92_268:
	s_and_not1_saveexec_b32 s2, s2
	s_cbranch_execz .LBB92_270
; %bb.269:
	v_mov_b32_e32 v204, 12
	ds_store_2addr_b64 v198, v[132:133], v[134:135] offset0:26 offset1:27
	ds_store_2addr_b64 v198, v[128:129], v[130:131] offset0:28 offset1:29
	;; [unrolled: 1-line block ×34, first 2 shown]
.LBB92_270:
	s_or_b32 exec_lo, exec_lo, s2
	s_delay_alu instid0(SALU_CYCLE_1)
	s_mov_b32 s2, exec_lo
	s_waitcnt lgkmcnt(0)
	s_waitcnt_vscnt null, 0x0
	s_barrier
	buffer_gl0_inv
	v_cmpx_lt_i32_e32 12, v204
	s_cbranch_execz .LBB92_272
; %bb.271:
	v_mul_f64 v[196:197], v[190:191], v[138:139]
	v_mul_f64 v[138:139], v[188:189], v[138:139]
	s_delay_alu instid0(VALU_DEP_2) | instskip(NEXT) | instid1(VALU_DEP_2)
	v_fma_f64 v[196:197], v[188:189], v[136:137], -v[196:197]
	v_fma_f64 v[138:139], v[190:191], v[136:137], v[138:139]
	ds_load_2addr_b64 v[188:191], v198 offset0:26 offset1:27
	s_waitcnt lgkmcnt(0)
	v_mul_f64 v[136:137], v[190:191], v[138:139]
	s_delay_alu instid0(VALU_DEP_1) | instskip(SKIP_1) | instid1(VALU_DEP_2)
	v_fma_f64 v[136:137], v[188:189], v[196:197], -v[136:137]
	v_mul_f64 v[188:189], v[188:189], v[138:139]
	v_add_f64 v[132:133], v[132:133], -v[136:137]
	s_delay_alu instid0(VALU_DEP_2) | instskip(NEXT) | instid1(VALU_DEP_1)
	v_fma_f64 v[188:189], v[190:191], v[196:197], v[188:189]
	v_add_f64 v[134:135], v[134:135], -v[188:189]
	ds_load_2addr_b64 v[188:191], v198 offset0:28 offset1:29
	s_waitcnt lgkmcnt(0)
	v_mul_f64 v[136:137], v[190:191], v[138:139]
	s_delay_alu instid0(VALU_DEP_1) | instskip(SKIP_1) | instid1(VALU_DEP_2)
	v_fma_f64 v[136:137], v[188:189], v[196:197], -v[136:137]
	v_mul_f64 v[188:189], v[188:189], v[138:139]
	v_add_f64 v[128:129], v[128:129], -v[136:137]
	s_delay_alu instid0(VALU_DEP_2) | instskip(NEXT) | instid1(VALU_DEP_1)
	v_fma_f64 v[188:189], v[190:191], v[196:197], v[188:189]
	v_add_f64 v[130:131], v[130:131], -v[188:189]
	;; [unrolled: 10-line block ×33, first 2 shown]
	ds_load_2addr_b64 v[188:191], v198 offset0:92 offset1:93
	s_waitcnt lgkmcnt(0)
	v_mul_f64 v[136:137], v[190:191], v[138:139]
	s_delay_alu instid0(VALU_DEP_1) | instskip(SKIP_1) | instid1(VALU_DEP_2)
	v_fma_f64 v[136:137], v[188:189], v[196:197], -v[136:137]
	v_mul_f64 v[188:189], v[188:189], v[138:139]
	v_add_f64 v[0:1], v[0:1], -v[136:137]
	s_delay_alu instid0(VALU_DEP_2) | instskip(SKIP_1) | instid1(VALU_DEP_2)
	v_fma_f64 v[188:189], v[190:191], v[196:197], v[188:189]
	v_dual_mov_b32 v136, v196 :: v_dual_mov_b32 v137, v197
	v_add_f64 v[2:3], v[2:3], -v[188:189]
.LBB92_272:
	s_or_b32 exec_lo, exec_lo, s2
	v_lshl_add_u32 v188, v204, 4, v198
	s_barrier
	buffer_gl0_inv
	v_mov_b32_e32 v196, 13
	ds_store_2addr_b64 v188, v[132:133], v[134:135] offset1:1
	s_waitcnt lgkmcnt(0)
	s_barrier
	buffer_gl0_inv
	ds_load_2addr_b64 v[188:191], v198 offset0:26 offset1:27
	s_cmp_lt_i32 s5, 15
	s_cbranch_scc1 .LBB92_275
; %bb.273:
	v_add3_u32 v197, v203, 0, 0xe0
	v_mov_b32_e32 v196, 13
	s_mov_b32 s6, 14
	s_set_inst_prefetch_distance 0x1
	.p2align	6
.LBB92_274:                             ; =>This Inner Loop Header: Depth=1
	ds_load_2addr_b64 v[205:208], v197 offset1:1
	s_waitcnt lgkmcnt(1)
	v_cmp_gt_f64_e32 vcc_lo, 0, v[188:189]
	v_xor_b32_e32 v209, 0x80000000, v189
	v_cmp_gt_f64_e64 s2, 0, v[190:191]
	v_xor_b32_e32 v211, 0x80000000, v191
	v_add_nc_u32_e32 v197, 16, v197
	s_waitcnt lgkmcnt(0)
	v_cmp_gt_f64_e64 s3, 0, v[205:206]
	v_mov_b32_e32 v213, v205
	v_dual_mov_b32 v215, v207 :: v_dual_cndmask_b32 v210, v189, v209
	v_xor_b32_e32 v209, 0x80000000, v206
	v_cndmask_b32_e64 v212, v191, v211, s2
	v_xor_b32_e32 v211, 0x80000000, v208
	s_delay_alu instid0(VALU_DEP_3) | instskip(SKIP_2) | instid1(VALU_DEP_2)
	v_cndmask_b32_e64 v214, v206, v209, s3
	v_cmp_gt_f64_e64 s3, 0, v[207:208]
	v_cndmask_b32_e32 v209, v188, v188, vcc_lo
	v_cndmask_b32_e64 v216, v208, v211, s3
	v_cndmask_b32_e64 v211, v190, v190, s2
	s_delay_alu instid0(VALU_DEP_2) | instskip(NEXT) | instid1(VALU_DEP_2)
	v_add_f64 v[213:214], v[213:214], v[215:216]
	v_add_f64 v[209:210], v[209:210], v[211:212]
	s_delay_alu instid0(VALU_DEP_1) | instskip(SKIP_4) | instid1(SALU_CYCLE_1)
	v_cmp_lt_f64_e32 vcc_lo, v[209:210], v[213:214]
	v_dual_cndmask_b32 v190, v190, v207 :: v_dual_cndmask_b32 v189, v189, v206
	v_dual_cndmask_b32 v188, v188, v205 :: v_dual_cndmask_b32 v191, v191, v208
	v_cndmask_b32_e64 v196, v196, s6, vcc_lo
	s_add_i32 s6, s6, 1
	s_cmp_lg_u32 s5, s6
	s_cbranch_scc1 .LBB92_274
.LBB92_275:
	s_set_inst_prefetch_distance 0x2
	s_waitcnt lgkmcnt(0)
	v_cmp_eq_f64_e32 vcc_lo, 0, v[188:189]
	v_cmp_eq_f64_e64 s2, 0, v[190:191]
	s_delay_alu instid0(VALU_DEP_1) | instskip(NEXT) | instid1(SALU_CYCLE_1)
	s_and_b32 s2, vcc_lo, s2
	s_and_saveexec_b32 s3, s2
	s_delay_alu instid0(SALU_CYCLE_1)
	s_xor_b32 s2, exec_lo, s3
; %bb.276:
	v_cmp_ne_u32_e32 vcc_lo, 0, v201
	v_cndmask_b32_e32 v201, 14, v201, vcc_lo
; %bb.277:
	s_and_not1_saveexec_b32 s3, s2
	s_cbranch_execz .LBB92_283
; %bb.278:
	v_cmp_gt_f64_e32 vcc_lo, 0, v[188:189]
	v_cmp_gt_f64_e64 s2, 0, v[190:191]
	v_xor_b32_e32 v197, 0x80000000, v189
	v_xor_b32_e32 v205, 0x80000000, v191
	s_delay_alu instid0(VALU_DEP_2) | instskip(NEXT) | instid1(VALU_DEP_2)
	v_cndmask_b32_e32 v206, v189, v197, vcc_lo
	v_cndmask_b32_e64 v208, v191, v205, s2
	v_cndmask_b32_e32 v205, v188, v188, vcc_lo
	v_cndmask_b32_e64 v207, v190, v190, s2
	s_mov_b32 s2, exec_lo
	s_delay_alu instid0(VALU_DEP_1)
	v_cmpx_ngt_f64_e32 v[205:206], v[207:208]
	s_xor_b32 s2, exec_lo, s2
	s_cbranch_execz .LBB92_280
; %bb.279:
	v_div_scale_f64 v[205:206], null, v[190:191], v[190:191], v[188:189]
	v_div_scale_f64 v[211:212], vcc_lo, v[188:189], v[190:191], v[188:189]
	s_delay_alu instid0(VALU_DEP_2) | instskip(SKIP_2) | instid1(VALU_DEP_1)
	v_rcp_f64_e32 v[207:208], v[205:206]
	s_waitcnt_depctr 0xfff
	v_fma_f64 v[209:210], -v[205:206], v[207:208], 1.0
	v_fma_f64 v[207:208], v[207:208], v[209:210], v[207:208]
	s_delay_alu instid0(VALU_DEP_1) | instskip(NEXT) | instid1(VALU_DEP_1)
	v_fma_f64 v[209:210], -v[205:206], v[207:208], 1.0
	v_fma_f64 v[207:208], v[207:208], v[209:210], v[207:208]
	s_delay_alu instid0(VALU_DEP_1) | instskip(NEXT) | instid1(VALU_DEP_1)
	v_mul_f64 v[209:210], v[211:212], v[207:208]
	v_fma_f64 v[205:206], -v[205:206], v[209:210], v[211:212]
	s_delay_alu instid0(VALU_DEP_1) | instskip(NEXT) | instid1(VALU_DEP_1)
	v_div_fmas_f64 v[205:206], v[205:206], v[207:208], v[209:210]
	v_div_fixup_f64 v[205:206], v[205:206], v[190:191], v[188:189]
	s_delay_alu instid0(VALU_DEP_1) | instskip(NEXT) | instid1(VALU_DEP_1)
	v_fma_f64 v[188:189], v[188:189], v[205:206], v[190:191]
	v_div_scale_f64 v[190:191], null, v[188:189], v[188:189], 1.0
	s_delay_alu instid0(VALU_DEP_1) | instskip(SKIP_2) | instid1(VALU_DEP_1)
	v_rcp_f64_e32 v[207:208], v[190:191]
	s_waitcnt_depctr 0xfff
	v_fma_f64 v[209:210], -v[190:191], v[207:208], 1.0
	v_fma_f64 v[207:208], v[207:208], v[209:210], v[207:208]
	s_delay_alu instid0(VALU_DEP_1) | instskip(NEXT) | instid1(VALU_DEP_1)
	v_fma_f64 v[209:210], -v[190:191], v[207:208], 1.0
	v_fma_f64 v[207:208], v[207:208], v[209:210], v[207:208]
	v_div_scale_f64 v[209:210], vcc_lo, 1.0, v[188:189], 1.0
	s_delay_alu instid0(VALU_DEP_1) | instskip(NEXT) | instid1(VALU_DEP_1)
	v_mul_f64 v[211:212], v[209:210], v[207:208]
	v_fma_f64 v[190:191], -v[190:191], v[211:212], v[209:210]
	s_delay_alu instid0(VALU_DEP_1) | instskip(NEXT) | instid1(VALU_DEP_1)
	v_div_fmas_f64 v[190:191], v[190:191], v[207:208], v[211:212]
	v_div_fixup_f64 v[190:191], v[190:191], v[188:189], 1.0
	s_delay_alu instid0(VALU_DEP_1)
	v_mul_f64 v[188:189], v[205:206], v[190:191]
	v_xor_b32_e32 v191, 0x80000000, v191
.LBB92_280:
	s_and_not1_saveexec_b32 s2, s2
	s_cbranch_execz .LBB92_282
; %bb.281:
	s_delay_alu instid0(VALU_DEP_1) | instskip(SKIP_1) | instid1(VALU_DEP_2)
	v_div_scale_f64 v[205:206], null, v[188:189], v[188:189], v[190:191]
	v_div_scale_f64 v[211:212], vcc_lo, v[190:191], v[188:189], v[190:191]
	v_rcp_f64_e32 v[207:208], v[205:206]
	s_waitcnt_depctr 0xfff
	v_fma_f64 v[209:210], -v[205:206], v[207:208], 1.0
	s_delay_alu instid0(VALU_DEP_1) | instskip(NEXT) | instid1(VALU_DEP_1)
	v_fma_f64 v[207:208], v[207:208], v[209:210], v[207:208]
	v_fma_f64 v[209:210], -v[205:206], v[207:208], 1.0
	s_delay_alu instid0(VALU_DEP_1) | instskip(NEXT) | instid1(VALU_DEP_1)
	v_fma_f64 v[207:208], v[207:208], v[209:210], v[207:208]
	v_mul_f64 v[209:210], v[211:212], v[207:208]
	s_delay_alu instid0(VALU_DEP_1) | instskip(NEXT) | instid1(VALU_DEP_1)
	v_fma_f64 v[205:206], -v[205:206], v[209:210], v[211:212]
	v_div_fmas_f64 v[205:206], v[205:206], v[207:208], v[209:210]
	s_delay_alu instid0(VALU_DEP_1) | instskip(NEXT) | instid1(VALU_DEP_1)
	v_div_fixup_f64 v[205:206], v[205:206], v[188:189], v[190:191]
	v_fma_f64 v[188:189], v[190:191], v[205:206], v[188:189]
	s_delay_alu instid0(VALU_DEP_1) | instskip(NEXT) | instid1(VALU_DEP_1)
	v_div_scale_f64 v[190:191], null, v[188:189], v[188:189], 1.0
	v_rcp_f64_e32 v[207:208], v[190:191]
	s_waitcnt_depctr 0xfff
	v_fma_f64 v[209:210], -v[190:191], v[207:208], 1.0
	s_delay_alu instid0(VALU_DEP_1) | instskip(NEXT) | instid1(VALU_DEP_1)
	v_fma_f64 v[207:208], v[207:208], v[209:210], v[207:208]
	v_fma_f64 v[209:210], -v[190:191], v[207:208], 1.0
	s_delay_alu instid0(VALU_DEP_1) | instskip(SKIP_1) | instid1(VALU_DEP_1)
	v_fma_f64 v[207:208], v[207:208], v[209:210], v[207:208]
	v_div_scale_f64 v[209:210], vcc_lo, 1.0, v[188:189], 1.0
	v_mul_f64 v[211:212], v[209:210], v[207:208]
	s_delay_alu instid0(VALU_DEP_1) | instskip(NEXT) | instid1(VALU_DEP_1)
	v_fma_f64 v[190:191], -v[190:191], v[211:212], v[209:210]
	v_div_fmas_f64 v[190:191], v[190:191], v[207:208], v[211:212]
	s_delay_alu instid0(VALU_DEP_1) | instskip(NEXT) | instid1(VALU_DEP_1)
	v_div_fixup_f64 v[188:189], v[190:191], v[188:189], 1.0
	v_mul_f64 v[190:191], v[205:206], -v[188:189]
.LBB92_282:
	s_or_b32 exec_lo, exec_lo, s2
.LBB92_283:
	s_delay_alu instid0(SALU_CYCLE_1) | instskip(NEXT) | instid1(SALU_CYCLE_1)
	s_or_b32 exec_lo, exec_lo, s3
	s_mov_b32 s2, exec_lo
	v_cmpx_ne_u32_e64 v204, v196
	s_xor_b32 s2, exec_lo, s2
	s_cbranch_execz .LBB92_289
; %bb.284:
	s_mov_b32 s3, exec_lo
	v_cmpx_eq_u32_e32 13, v204
	s_cbranch_execz .LBB92_288
; %bb.285:
	v_cmp_ne_u32_e32 vcc_lo, 13, v196
	s_xor_b32 s6, s4, -1
	s_delay_alu instid0(SALU_CYCLE_1) | instskip(NEXT) | instid1(SALU_CYCLE_1)
	s_and_b32 s7, s6, vcc_lo
	s_and_saveexec_b32 s6, s7
	s_cbranch_execz .LBB92_287
; %bb.286:
	v_ashrrev_i32_e32 v197, 31, v196
	s_delay_alu instid0(VALU_DEP_1) | instskip(NEXT) | instid1(VALU_DEP_1)
	v_lshlrev_b64 v[204:205], 2, v[196:197]
	v_add_co_u32 v204, vcc_lo, v194, v204
	s_delay_alu instid0(VALU_DEP_2)
	v_add_co_ci_u32_e32 v205, vcc_lo, v195, v205, vcc_lo
	s_clause 0x1
	flat_load_b32 v197, v[204:205]
	flat_load_b32 v202, v[194:195] offset:52
	s_waitcnt vmcnt(1) lgkmcnt(1)
	flat_store_b32 v[194:195], v197 offset:52
	s_waitcnt vmcnt(0) lgkmcnt(1)
	flat_store_b32 v[204:205], v202
.LBB92_287:
	s_or_b32 exec_lo, exec_lo, s6
	v_mov_b32_e32 v204, v196
	v_mov_b32_e32 v202, v196
.LBB92_288:
	s_or_b32 exec_lo, exec_lo, s3
.LBB92_289:
	s_and_not1_saveexec_b32 s2, s2
	s_cbranch_execz .LBB92_291
; %bb.290:
	v_mov_b32_e32 v204, 13
	ds_store_2addr_b64 v198, v[128:129], v[130:131] offset0:28 offset1:29
	ds_store_2addr_b64 v198, v[124:125], v[126:127] offset0:30 offset1:31
	;; [unrolled: 1-line block ×33, first 2 shown]
.LBB92_291:
	s_or_b32 exec_lo, exec_lo, s2
	s_delay_alu instid0(SALU_CYCLE_1)
	s_mov_b32 s2, exec_lo
	s_waitcnt lgkmcnt(0)
	s_waitcnt_vscnt null, 0x0
	s_barrier
	buffer_gl0_inv
	v_cmpx_lt_i32_e32 13, v204
	s_cbranch_execz .LBB92_293
; %bb.292:
	v_mul_f64 v[196:197], v[190:191], v[134:135]
	v_mul_f64 v[134:135], v[188:189], v[134:135]
	s_delay_alu instid0(VALU_DEP_2) | instskip(NEXT) | instid1(VALU_DEP_2)
	v_fma_f64 v[196:197], v[188:189], v[132:133], -v[196:197]
	v_fma_f64 v[134:135], v[190:191], v[132:133], v[134:135]
	ds_load_2addr_b64 v[188:191], v198 offset0:28 offset1:29
	s_waitcnt lgkmcnt(0)
	v_mul_f64 v[132:133], v[190:191], v[134:135]
	s_delay_alu instid0(VALU_DEP_1) | instskip(SKIP_1) | instid1(VALU_DEP_2)
	v_fma_f64 v[132:133], v[188:189], v[196:197], -v[132:133]
	v_mul_f64 v[188:189], v[188:189], v[134:135]
	v_add_f64 v[128:129], v[128:129], -v[132:133]
	s_delay_alu instid0(VALU_DEP_2) | instskip(NEXT) | instid1(VALU_DEP_1)
	v_fma_f64 v[188:189], v[190:191], v[196:197], v[188:189]
	v_add_f64 v[130:131], v[130:131], -v[188:189]
	ds_load_2addr_b64 v[188:191], v198 offset0:30 offset1:31
	s_waitcnt lgkmcnt(0)
	v_mul_f64 v[132:133], v[190:191], v[134:135]
	s_delay_alu instid0(VALU_DEP_1) | instskip(SKIP_1) | instid1(VALU_DEP_2)
	v_fma_f64 v[132:133], v[188:189], v[196:197], -v[132:133]
	v_mul_f64 v[188:189], v[188:189], v[134:135]
	v_add_f64 v[124:125], v[124:125], -v[132:133]
	s_delay_alu instid0(VALU_DEP_2) | instskip(NEXT) | instid1(VALU_DEP_1)
	v_fma_f64 v[188:189], v[190:191], v[196:197], v[188:189]
	v_add_f64 v[126:127], v[126:127], -v[188:189]
	;; [unrolled: 10-line block ×32, first 2 shown]
	ds_load_2addr_b64 v[188:191], v198 offset0:92 offset1:93
	s_waitcnt lgkmcnt(0)
	v_mul_f64 v[132:133], v[190:191], v[134:135]
	s_delay_alu instid0(VALU_DEP_1) | instskip(SKIP_1) | instid1(VALU_DEP_2)
	v_fma_f64 v[132:133], v[188:189], v[196:197], -v[132:133]
	v_mul_f64 v[188:189], v[188:189], v[134:135]
	v_add_f64 v[0:1], v[0:1], -v[132:133]
	s_delay_alu instid0(VALU_DEP_2) | instskip(SKIP_1) | instid1(VALU_DEP_2)
	v_fma_f64 v[188:189], v[190:191], v[196:197], v[188:189]
	v_dual_mov_b32 v132, v196 :: v_dual_mov_b32 v133, v197
	v_add_f64 v[2:3], v[2:3], -v[188:189]
.LBB92_293:
	s_or_b32 exec_lo, exec_lo, s2
	v_lshl_add_u32 v188, v204, 4, v198
	s_barrier
	buffer_gl0_inv
	v_mov_b32_e32 v196, 14
	ds_store_2addr_b64 v188, v[128:129], v[130:131] offset1:1
	s_waitcnt lgkmcnt(0)
	s_barrier
	buffer_gl0_inv
	ds_load_2addr_b64 v[188:191], v198 offset0:28 offset1:29
	s_cmp_lt_i32 s5, 16
	s_cbranch_scc1 .LBB92_296
; %bb.294:
	v_add3_u32 v197, v203, 0, 0xf0
	v_mov_b32_e32 v196, 14
	s_mov_b32 s6, 15
	s_set_inst_prefetch_distance 0x1
	.p2align	6
.LBB92_295:                             ; =>This Inner Loop Header: Depth=1
	ds_load_2addr_b64 v[205:208], v197 offset1:1
	s_waitcnt lgkmcnt(1)
	v_cmp_gt_f64_e32 vcc_lo, 0, v[188:189]
	v_xor_b32_e32 v209, 0x80000000, v189
	v_cmp_gt_f64_e64 s2, 0, v[190:191]
	v_xor_b32_e32 v211, 0x80000000, v191
	v_add_nc_u32_e32 v197, 16, v197
	s_waitcnt lgkmcnt(0)
	v_cmp_gt_f64_e64 s3, 0, v[205:206]
	v_mov_b32_e32 v213, v205
	v_dual_mov_b32 v215, v207 :: v_dual_cndmask_b32 v210, v189, v209
	v_xor_b32_e32 v209, 0x80000000, v206
	v_cndmask_b32_e64 v212, v191, v211, s2
	v_xor_b32_e32 v211, 0x80000000, v208
	s_delay_alu instid0(VALU_DEP_3) | instskip(SKIP_2) | instid1(VALU_DEP_2)
	v_cndmask_b32_e64 v214, v206, v209, s3
	v_cmp_gt_f64_e64 s3, 0, v[207:208]
	v_cndmask_b32_e32 v209, v188, v188, vcc_lo
	v_cndmask_b32_e64 v216, v208, v211, s3
	v_cndmask_b32_e64 v211, v190, v190, s2
	s_delay_alu instid0(VALU_DEP_2) | instskip(NEXT) | instid1(VALU_DEP_2)
	v_add_f64 v[213:214], v[213:214], v[215:216]
	v_add_f64 v[209:210], v[209:210], v[211:212]
	s_delay_alu instid0(VALU_DEP_1) | instskip(SKIP_4) | instid1(SALU_CYCLE_1)
	v_cmp_lt_f64_e32 vcc_lo, v[209:210], v[213:214]
	v_dual_cndmask_b32 v190, v190, v207 :: v_dual_cndmask_b32 v189, v189, v206
	v_dual_cndmask_b32 v188, v188, v205 :: v_dual_cndmask_b32 v191, v191, v208
	v_cndmask_b32_e64 v196, v196, s6, vcc_lo
	s_add_i32 s6, s6, 1
	s_cmp_lg_u32 s5, s6
	s_cbranch_scc1 .LBB92_295
.LBB92_296:
	s_set_inst_prefetch_distance 0x2
	s_waitcnt lgkmcnt(0)
	v_cmp_eq_f64_e32 vcc_lo, 0, v[188:189]
	v_cmp_eq_f64_e64 s2, 0, v[190:191]
	s_delay_alu instid0(VALU_DEP_1) | instskip(NEXT) | instid1(SALU_CYCLE_1)
	s_and_b32 s2, vcc_lo, s2
	s_and_saveexec_b32 s3, s2
	s_delay_alu instid0(SALU_CYCLE_1)
	s_xor_b32 s2, exec_lo, s3
; %bb.297:
	v_cmp_ne_u32_e32 vcc_lo, 0, v201
	v_cndmask_b32_e32 v201, 15, v201, vcc_lo
; %bb.298:
	s_and_not1_saveexec_b32 s3, s2
	s_cbranch_execz .LBB92_304
; %bb.299:
	v_cmp_gt_f64_e32 vcc_lo, 0, v[188:189]
	v_cmp_gt_f64_e64 s2, 0, v[190:191]
	v_xor_b32_e32 v197, 0x80000000, v189
	v_xor_b32_e32 v205, 0x80000000, v191
	s_delay_alu instid0(VALU_DEP_2) | instskip(NEXT) | instid1(VALU_DEP_2)
	v_cndmask_b32_e32 v206, v189, v197, vcc_lo
	v_cndmask_b32_e64 v208, v191, v205, s2
	v_cndmask_b32_e32 v205, v188, v188, vcc_lo
	v_cndmask_b32_e64 v207, v190, v190, s2
	s_mov_b32 s2, exec_lo
	s_delay_alu instid0(VALU_DEP_1)
	v_cmpx_ngt_f64_e32 v[205:206], v[207:208]
	s_xor_b32 s2, exec_lo, s2
	s_cbranch_execz .LBB92_301
; %bb.300:
	v_div_scale_f64 v[205:206], null, v[190:191], v[190:191], v[188:189]
	v_div_scale_f64 v[211:212], vcc_lo, v[188:189], v[190:191], v[188:189]
	s_delay_alu instid0(VALU_DEP_2) | instskip(SKIP_2) | instid1(VALU_DEP_1)
	v_rcp_f64_e32 v[207:208], v[205:206]
	s_waitcnt_depctr 0xfff
	v_fma_f64 v[209:210], -v[205:206], v[207:208], 1.0
	v_fma_f64 v[207:208], v[207:208], v[209:210], v[207:208]
	s_delay_alu instid0(VALU_DEP_1) | instskip(NEXT) | instid1(VALU_DEP_1)
	v_fma_f64 v[209:210], -v[205:206], v[207:208], 1.0
	v_fma_f64 v[207:208], v[207:208], v[209:210], v[207:208]
	s_delay_alu instid0(VALU_DEP_1) | instskip(NEXT) | instid1(VALU_DEP_1)
	v_mul_f64 v[209:210], v[211:212], v[207:208]
	v_fma_f64 v[205:206], -v[205:206], v[209:210], v[211:212]
	s_delay_alu instid0(VALU_DEP_1) | instskip(NEXT) | instid1(VALU_DEP_1)
	v_div_fmas_f64 v[205:206], v[205:206], v[207:208], v[209:210]
	v_div_fixup_f64 v[205:206], v[205:206], v[190:191], v[188:189]
	s_delay_alu instid0(VALU_DEP_1) | instskip(NEXT) | instid1(VALU_DEP_1)
	v_fma_f64 v[188:189], v[188:189], v[205:206], v[190:191]
	v_div_scale_f64 v[190:191], null, v[188:189], v[188:189], 1.0
	s_delay_alu instid0(VALU_DEP_1) | instskip(SKIP_2) | instid1(VALU_DEP_1)
	v_rcp_f64_e32 v[207:208], v[190:191]
	s_waitcnt_depctr 0xfff
	v_fma_f64 v[209:210], -v[190:191], v[207:208], 1.0
	v_fma_f64 v[207:208], v[207:208], v[209:210], v[207:208]
	s_delay_alu instid0(VALU_DEP_1) | instskip(NEXT) | instid1(VALU_DEP_1)
	v_fma_f64 v[209:210], -v[190:191], v[207:208], 1.0
	v_fma_f64 v[207:208], v[207:208], v[209:210], v[207:208]
	v_div_scale_f64 v[209:210], vcc_lo, 1.0, v[188:189], 1.0
	s_delay_alu instid0(VALU_DEP_1) | instskip(NEXT) | instid1(VALU_DEP_1)
	v_mul_f64 v[211:212], v[209:210], v[207:208]
	v_fma_f64 v[190:191], -v[190:191], v[211:212], v[209:210]
	s_delay_alu instid0(VALU_DEP_1) | instskip(NEXT) | instid1(VALU_DEP_1)
	v_div_fmas_f64 v[190:191], v[190:191], v[207:208], v[211:212]
	v_div_fixup_f64 v[190:191], v[190:191], v[188:189], 1.0
	s_delay_alu instid0(VALU_DEP_1)
	v_mul_f64 v[188:189], v[205:206], v[190:191]
	v_xor_b32_e32 v191, 0x80000000, v191
.LBB92_301:
	s_and_not1_saveexec_b32 s2, s2
	s_cbranch_execz .LBB92_303
; %bb.302:
	s_delay_alu instid0(VALU_DEP_1) | instskip(SKIP_1) | instid1(VALU_DEP_2)
	v_div_scale_f64 v[205:206], null, v[188:189], v[188:189], v[190:191]
	v_div_scale_f64 v[211:212], vcc_lo, v[190:191], v[188:189], v[190:191]
	v_rcp_f64_e32 v[207:208], v[205:206]
	s_waitcnt_depctr 0xfff
	v_fma_f64 v[209:210], -v[205:206], v[207:208], 1.0
	s_delay_alu instid0(VALU_DEP_1) | instskip(NEXT) | instid1(VALU_DEP_1)
	v_fma_f64 v[207:208], v[207:208], v[209:210], v[207:208]
	v_fma_f64 v[209:210], -v[205:206], v[207:208], 1.0
	s_delay_alu instid0(VALU_DEP_1) | instskip(NEXT) | instid1(VALU_DEP_1)
	v_fma_f64 v[207:208], v[207:208], v[209:210], v[207:208]
	v_mul_f64 v[209:210], v[211:212], v[207:208]
	s_delay_alu instid0(VALU_DEP_1) | instskip(NEXT) | instid1(VALU_DEP_1)
	v_fma_f64 v[205:206], -v[205:206], v[209:210], v[211:212]
	v_div_fmas_f64 v[205:206], v[205:206], v[207:208], v[209:210]
	s_delay_alu instid0(VALU_DEP_1) | instskip(NEXT) | instid1(VALU_DEP_1)
	v_div_fixup_f64 v[205:206], v[205:206], v[188:189], v[190:191]
	v_fma_f64 v[188:189], v[190:191], v[205:206], v[188:189]
	s_delay_alu instid0(VALU_DEP_1) | instskip(NEXT) | instid1(VALU_DEP_1)
	v_div_scale_f64 v[190:191], null, v[188:189], v[188:189], 1.0
	v_rcp_f64_e32 v[207:208], v[190:191]
	s_waitcnt_depctr 0xfff
	v_fma_f64 v[209:210], -v[190:191], v[207:208], 1.0
	s_delay_alu instid0(VALU_DEP_1) | instskip(NEXT) | instid1(VALU_DEP_1)
	v_fma_f64 v[207:208], v[207:208], v[209:210], v[207:208]
	v_fma_f64 v[209:210], -v[190:191], v[207:208], 1.0
	s_delay_alu instid0(VALU_DEP_1) | instskip(SKIP_1) | instid1(VALU_DEP_1)
	v_fma_f64 v[207:208], v[207:208], v[209:210], v[207:208]
	v_div_scale_f64 v[209:210], vcc_lo, 1.0, v[188:189], 1.0
	v_mul_f64 v[211:212], v[209:210], v[207:208]
	s_delay_alu instid0(VALU_DEP_1) | instskip(NEXT) | instid1(VALU_DEP_1)
	v_fma_f64 v[190:191], -v[190:191], v[211:212], v[209:210]
	v_div_fmas_f64 v[190:191], v[190:191], v[207:208], v[211:212]
	s_delay_alu instid0(VALU_DEP_1) | instskip(NEXT) | instid1(VALU_DEP_1)
	v_div_fixup_f64 v[188:189], v[190:191], v[188:189], 1.0
	v_mul_f64 v[190:191], v[205:206], -v[188:189]
.LBB92_303:
	s_or_b32 exec_lo, exec_lo, s2
.LBB92_304:
	s_delay_alu instid0(SALU_CYCLE_1) | instskip(NEXT) | instid1(SALU_CYCLE_1)
	s_or_b32 exec_lo, exec_lo, s3
	s_mov_b32 s2, exec_lo
	v_cmpx_ne_u32_e64 v204, v196
	s_xor_b32 s2, exec_lo, s2
	s_cbranch_execz .LBB92_310
; %bb.305:
	s_mov_b32 s3, exec_lo
	v_cmpx_eq_u32_e32 14, v204
	s_cbranch_execz .LBB92_309
; %bb.306:
	v_cmp_ne_u32_e32 vcc_lo, 14, v196
	s_xor_b32 s6, s4, -1
	s_delay_alu instid0(SALU_CYCLE_1) | instskip(NEXT) | instid1(SALU_CYCLE_1)
	s_and_b32 s7, s6, vcc_lo
	s_and_saveexec_b32 s6, s7
	s_cbranch_execz .LBB92_308
; %bb.307:
	v_ashrrev_i32_e32 v197, 31, v196
	s_delay_alu instid0(VALU_DEP_1) | instskip(NEXT) | instid1(VALU_DEP_1)
	v_lshlrev_b64 v[204:205], 2, v[196:197]
	v_add_co_u32 v204, vcc_lo, v194, v204
	s_delay_alu instid0(VALU_DEP_2)
	v_add_co_ci_u32_e32 v205, vcc_lo, v195, v205, vcc_lo
	s_clause 0x1
	flat_load_b32 v197, v[204:205]
	flat_load_b32 v202, v[194:195] offset:56
	s_waitcnt vmcnt(1) lgkmcnt(1)
	flat_store_b32 v[194:195], v197 offset:56
	s_waitcnt vmcnt(0) lgkmcnt(1)
	flat_store_b32 v[204:205], v202
.LBB92_308:
	s_or_b32 exec_lo, exec_lo, s6
	v_mov_b32_e32 v204, v196
	v_mov_b32_e32 v202, v196
.LBB92_309:
	s_or_b32 exec_lo, exec_lo, s3
.LBB92_310:
	s_and_not1_saveexec_b32 s2, s2
	s_cbranch_execz .LBB92_312
; %bb.311:
	v_mov_b32_e32 v204, 14
	ds_store_2addr_b64 v198, v[124:125], v[126:127] offset0:30 offset1:31
	ds_store_2addr_b64 v198, v[120:121], v[122:123] offset0:32 offset1:33
	;; [unrolled: 1-line block ×32, first 2 shown]
.LBB92_312:
	s_or_b32 exec_lo, exec_lo, s2
	s_delay_alu instid0(SALU_CYCLE_1)
	s_mov_b32 s2, exec_lo
	s_waitcnt lgkmcnt(0)
	s_waitcnt_vscnt null, 0x0
	s_barrier
	buffer_gl0_inv
	v_cmpx_lt_i32_e32 14, v204
	s_cbranch_execz .LBB92_314
; %bb.313:
	v_mul_f64 v[196:197], v[190:191], v[130:131]
	v_mul_f64 v[130:131], v[188:189], v[130:131]
	s_delay_alu instid0(VALU_DEP_2) | instskip(NEXT) | instid1(VALU_DEP_2)
	v_fma_f64 v[196:197], v[188:189], v[128:129], -v[196:197]
	v_fma_f64 v[130:131], v[190:191], v[128:129], v[130:131]
	ds_load_2addr_b64 v[188:191], v198 offset0:30 offset1:31
	s_waitcnt lgkmcnt(0)
	v_mul_f64 v[128:129], v[190:191], v[130:131]
	s_delay_alu instid0(VALU_DEP_1) | instskip(SKIP_1) | instid1(VALU_DEP_2)
	v_fma_f64 v[128:129], v[188:189], v[196:197], -v[128:129]
	v_mul_f64 v[188:189], v[188:189], v[130:131]
	v_add_f64 v[124:125], v[124:125], -v[128:129]
	s_delay_alu instid0(VALU_DEP_2) | instskip(NEXT) | instid1(VALU_DEP_1)
	v_fma_f64 v[188:189], v[190:191], v[196:197], v[188:189]
	v_add_f64 v[126:127], v[126:127], -v[188:189]
	ds_load_2addr_b64 v[188:191], v198 offset0:32 offset1:33
	s_waitcnt lgkmcnt(0)
	v_mul_f64 v[128:129], v[190:191], v[130:131]
	s_delay_alu instid0(VALU_DEP_1) | instskip(SKIP_1) | instid1(VALU_DEP_2)
	v_fma_f64 v[128:129], v[188:189], v[196:197], -v[128:129]
	v_mul_f64 v[188:189], v[188:189], v[130:131]
	v_add_f64 v[120:121], v[120:121], -v[128:129]
	s_delay_alu instid0(VALU_DEP_2) | instskip(NEXT) | instid1(VALU_DEP_1)
	v_fma_f64 v[188:189], v[190:191], v[196:197], v[188:189]
	v_add_f64 v[122:123], v[122:123], -v[188:189]
	;; [unrolled: 10-line block ×31, first 2 shown]
	ds_load_2addr_b64 v[188:191], v198 offset0:92 offset1:93
	s_waitcnt lgkmcnt(0)
	v_mul_f64 v[128:129], v[190:191], v[130:131]
	s_delay_alu instid0(VALU_DEP_1) | instskip(SKIP_1) | instid1(VALU_DEP_2)
	v_fma_f64 v[128:129], v[188:189], v[196:197], -v[128:129]
	v_mul_f64 v[188:189], v[188:189], v[130:131]
	v_add_f64 v[0:1], v[0:1], -v[128:129]
	s_delay_alu instid0(VALU_DEP_2) | instskip(SKIP_1) | instid1(VALU_DEP_2)
	v_fma_f64 v[188:189], v[190:191], v[196:197], v[188:189]
	v_dual_mov_b32 v128, v196 :: v_dual_mov_b32 v129, v197
	v_add_f64 v[2:3], v[2:3], -v[188:189]
.LBB92_314:
	s_or_b32 exec_lo, exec_lo, s2
	v_lshl_add_u32 v188, v204, 4, v198
	s_barrier
	buffer_gl0_inv
	v_mov_b32_e32 v196, 15
	ds_store_2addr_b64 v188, v[124:125], v[126:127] offset1:1
	s_waitcnt lgkmcnt(0)
	s_barrier
	buffer_gl0_inv
	ds_load_2addr_b64 v[188:191], v198 offset0:30 offset1:31
	s_cmp_lt_i32 s5, 17
	s_cbranch_scc1 .LBB92_317
; %bb.315:
	v_add3_u32 v197, v203, 0, 0x100
	v_mov_b32_e32 v196, 15
	s_mov_b32 s6, 16
	s_set_inst_prefetch_distance 0x1
	.p2align	6
.LBB92_316:                             ; =>This Inner Loop Header: Depth=1
	ds_load_2addr_b64 v[205:208], v197 offset1:1
	s_waitcnt lgkmcnt(1)
	v_cmp_gt_f64_e32 vcc_lo, 0, v[188:189]
	v_xor_b32_e32 v209, 0x80000000, v189
	v_cmp_gt_f64_e64 s2, 0, v[190:191]
	v_xor_b32_e32 v211, 0x80000000, v191
	v_add_nc_u32_e32 v197, 16, v197
	s_waitcnt lgkmcnt(0)
	v_cmp_gt_f64_e64 s3, 0, v[205:206]
	v_mov_b32_e32 v213, v205
	v_dual_mov_b32 v215, v207 :: v_dual_cndmask_b32 v210, v189, v209
	v_xor_b32_e32 v209, 0x80000000, v206
	v_cndmask_b32_e64 v212, v191, v211, s2
	v_xor_b32_e32 v211, 0x80000000, v208
	s_delay_alu instid0(VALU_DEP_3) | instskip(SKIP_2) | instid1(VALU_DEP_2)
	v_cndmask_b32_e64 v214, v206, v209, s3
	v_cmp_gt_f64_e64 s3, 0, v[207:208]
	v_cndmask_b32_e32 v209, v188, v188, vcc_lo
	v_cndmask_b32_e64 v216, v208, v211, s3
	v_cndmask_b32_e64 v211, v190, v190, s2
	s_delay_alu instid0(VALU_DEP_2) | instskip(NEXT) | instid1(VALU_DEP_2)
	v_add_f64 v[213:214], v[213:214], v[215:216]
	v_add_f64 v[209:210], v[209:210], v[211:212]
	s_delay_alu instid0(VALU_DEP_1) | instskip(SKIP_4) | instid1(SALU_CYCLE_1)
	v_cmp_lt_f64_e32 vcc_lo, v[209:210], v[213:214]
	v_dual_cndmask_b32 v190, v190, v207 :: v_dual_cndmask_b32 v189, v189, v206
	v_dual_cndmask_b32 v188, v188, v205 :: v_dual_cndmask_b32 v191, v191, v208
	v_cndmask_b32_e64 v196, v196, s6, vcc_lo
	s_add_i32 s6, s6, 1
	s_cmp_lg_u32 s5, s6
	s_cbranch_scc1 .LBB92_316
.LBB92_317:
	s_set_inst_prefetch_distance 0x2
	s_waitcnt lgkmcnt(0)
	v_cmp_eq_f64_e32 vcc_lo, 0, v[188:189]
	v_cmp_eq_f64_e64 s2, 0, v[190:191]
	s_delay_alu instid0(VALU_DEP_1) | instskip(NEXT) | instid1(SALU_CYCLE_1)
	s_and_b32 s2, vcc_lo, s2
	s_and_saveexec_b32 s3, s2
	s_delay_alu instid0(SALU_CYCLE_1)
	s_xor_b32 s2, exec_lo, s3
; %bb.318:
	v_cmp_ne_u32_e32 vcc_lo, 0, v201
	v_cndmask_b32_e32 v201, 16, v201, vcc_lo
; %bb.319:
	s_and_not1_saveexec_b32 s3, s2
	s_cbranch_execz .LBB92_325
; %bb.320:
	v_cmp_gt_f64_e32 vcc_lo, 0, v[188:189]
	v_cmp_gt_f64_e64 s2, 0, v[190:191]
	v_xor_b32_e32 v197, 0x80000000, v189
	v_xor_b32_e32 v205, 0x80000000, v191
	s_delay_alu instid0(VALU_DEP_2) | instskip(NEXT) | instid1(VALU_DEP_2)
	v_cndmask_b32_e32 v206, v189, v197, vcc_lo
	v_cndmask_b32_e64 v208, v191, v205, s2
	v_cndmask_b32_e32 v205, v188, v188, vcc_lo
	v_cndmask_b32_e64 v207, v190, v190, s2
	s_mov_b32 s2, exec_lo
	s_delay_alu instid0(VALU_DEP_1)
	v_cmpx_ngt_f64_e32 v[205:206], v[207:208]
	s_xor_b32 s2, exec_lo, s2
	s_cbranch_execz .LBB92_322
; %bb.321:
	v_div_scale_f64 v[205:206], null, v[190:191], v[190:191], v[188:189]
	v_div_scale_f64 v[211:212], vcc_lo, v[188:189], v[190:191], v[188:189]
	s_delay_alu instid0(VALU_DEP_2) | instskip(SKIP_2) | instid1(VALU_DEP_1)
	v_rcp_f64_e32 v[207:208], v[205:206]
	s_waitcnt_depctr 0xfff
	v_fma_f64 v[209:210], -v[205:206], v[207:208], 1.0
	v_fma_f64 v[207:208], v[207:208], v[209:210], v[207:208]
	s_delay_alu instid0(VALU_DEP_1) | instskip(NEXT) | instid1(VALU_DEP_1)
	v_fma_f64 v[209:210], -v[205:206], v[207:208], 1.0
	v_fma_f64 v[207:208], v[207:208], v[209:210], v[207:208]
	s_delay_alu instid0(VALU_DEP_1) | instskip(NEXT) | instid1(VALU_DEP_1)
	v_mul_f64 v[209:210], v[211:212], v[207:208]
	v_fma_f64 v[205:206], -v[205:206], v[209:210], v[211:212]
	s_delay_alu instid0(VALU_DEP_1) | instskip(NEXT) | instid1(VALU_DEP_1)
	v_div_fmas_f64 v[205:206], v[205:206], v[207:208], v[209:210]
	v_div_fixup_f64 v[205:206], v[205:206], v[190:191], v[188:189]
	s_delay_alu instid0(VALU_DEP_1) | instskip(NEXT) | instid1(VALU_DEP_1)
	v_fma_f64 v[188:189], v[188:189], v[205:206], v[190:191]
	v_div_scale_f64 v[190:191], null, v[188:189], v[188:189], 1.0
	s_delay_alu instid0(VALU_DEP_1) | instskip(SKIP_2) | instid1(VALU_DEP_1)
	v_rcp_f64_e32 v[207:208], v[190:191]
	s_waitcnt_depctr 0xfff
	v_fma_f64 v[209:210], -v[190:191], v[207:208], 1.0
	v_fma_f64 v[207:208], v[207:208], v[209:210], v[207:208]
	s_delay_alu instid0(VALU_DEP_1) | instskip(NEXT) | instid1(VALU_DEP_1)
	v_fma_f64 v[209:210], -v[190:191], v[207:208], 1.0
	v_fma_f64 v[207:208], v[207:208], v[209:210], v[207:208]
	v_div_scale_f64 v[209:210], vcc_lo, 1.0, v[188:189], 1.0
	s_delay_alu instid0(VALU_DEP_1) | instskip(NEXT) | instid1(VALU_DEP_1)
	v_mul_f64 v[211:212], v[209:210], v[207:208]
	v_fma_f64 v[190:191], -v[190:191], v[211:212], v[209:210]
	s_delay_alu instid0(VALU_DEP_1) | instskip(NEXT) | instid1(VALU_DEP_1)
	v_div_fmas_f64 v[190:191], v[190:191], v[207:208], v[211:212]
	v_div_fixup_f64 v[190:191], v[190:191], v[188:189], 1.0
	s_delay_alu instid0(VALU_DEP_1)
	v_mul_f64 v[188:189], v[205:206], v[190:191]
	v_xor_b32_e32 v191, 0x80000000, v191
.LBB92_322:
	s_and_not1_saveexec_b32 s2, s2
	s_cbranch_execz .LBB92_324
; %bb.323:
	s_delay_alu instid0(VALU_DEP_1) | instskip(SKIP_1) | instid1(VALU_DEP_2)
	v_div_scale_f64 v[205:206], null, v[188:189], v[188:189], v[190:191]
	v_div_scale_f64 v[211:212], vcc_lo, v[190:191], v[188:189], v[190:191]
	v_rcp_f64_e32 v[207:208], v[205:206]
	s_waitcnt_depctr 0xfff
	v_fma_f64 v[209:210], -v[205:206], v[207:208], 1.0
	s_delay_alu instid0(VALU_DEP_1) | instskip(NEXT) | instid1(VALU_DEP_1)
	v_fma_f64 v[207:208], v[207:208], v[209:210], v[207:208]
	v_fma_f64 v[209:210], -v[205:206], v[207:208], 1.0
	s_delay_alu instid0(VALU_DEP_1) | instskip(NEXT) | instid1(VALU_DEP_1)
	v_fma_f64 v[207:208], v[207:208], v[209:210], v[207:208]
	v_mul_f64 v[209:210], v[211:212], v[207:208]
	s_delay_alu instid0(VALU_DEP_1) | instskip(NEXT) | instid1(VALU_DEP_1)
	v_fma_f64 v[205:206], -v[205:206], v[209:210], v[211:212]
	v_div_fmas_f64 v[205:206], v[205:206], v[207:208], v[209:210]
	s_delay_alu instid0(VALU_DEP_1) | instskip(NEXT) | instid1(VALU_DEP_1)
	v_div_fixup_f64 v[205:206], v[205:206], v[188:189], v[190:191]
	v_fma_f64 v[188:189], v[190:191], v[205:206], v[188:189]
	s_delay_alu instid0(VALU_DEP_1) | instskip(NEXT) | instid1(VALU_DEP_1)
	v_div_scale_f64 v[190:191], null, v[188:189], v[188:189], 1.0
	v_rcp_f64_e32 v[207:208], v[190:191]
	s_waitcnt_depctr 0xfff
	v_fma_f64 v[209:210], -v[190:191], v[207:208], 1.0
	s_delay_alu instid0(VALU_DEP_1) | instskip(NEXT) | instid1(VALU_DEP_1)
	v_fma_f64 v[207:208], v[207:208], v[209:210], v[207:208]
	v_fma_f64 v[209:210], -v[190:191], v[207:208], 1.0
	s_delay_alu instid0(VALU_DEP_1) | instskip(SKIP_1) | instid1(VALU_DEP_1)
	v_fma_f64 v[207:208], v[207:208], v[209:210], v[207:208]
	v_div_scale_f64 v[209:210], vcc_lo, 1.0, v[188:189], 1.0
	v_mul_f64 v[211:212], v[209:210], v[207:208]
	s_delay_alu instid0(VALU_DEP_1) | instskip(NEXT) | instid1(VALU_DEP_1)
	v_fma_f64 v[190:191], -v[190:191], v[211:212], v[209:210]
	v_div_fmas_f64 v[190:191], v[190:191], v[207:208], v[211:212]
	s_delay_alu instid0(VALU_DEP_1) | instskip(NEXT) | instid1(VALU_DEP_1)
	v_div_fixup_f64 v[188:189], v[190:191], v[188:189], 1.0
	v_mul_f64 v[190:191], v[205:206], -v[188:189]
.LBB92_324:
	s_or_b32 exec_lo, exec_lo, s2
.LBB92_325:
	s_delay_alu instid0(SALU_CYCLE_1) | instskip(NEXT) | instid1(SALU_CYCLE_1)
	s_or_b32 exec_lo, exec_lo, s3
	s_mov_b32 s2, exec_lo
	v_cmpx_ne_u32_e64 v204, v196
	s_xor_b32 s2, exec_lo, s2
	s_cbranch_execz .LBB92_331
; %bb.326:
	s_mov_b32 s3, exec_lo
	v_cmpx_eq_u32_e32 15, v204
	s_cbranch_execz .LBB92_330
; %bb.327:
	v_cmp_ne_u32_e32 vcc_lo, 15, v196
	s_xor_b32 s6, s4, -1
	s_delay_alu instid0(SALU_CYCLE_1) | instskip(NEXT) | instid1(SALU_CYCLE_1)
	s_and_b32 s7, s6, vcc_lo
	s_and_saveexec_b32 s6, s7
	s_cbranch_execz .LBB92_329
; %bb.328:
	v_ashrrev_i32_e32 v197, 31, v196
	s_delay_alu instid0(VALU_DEP_1) | instskip(NEXT) | instid1(VALU_DEP_1)
	v_lshlrev_b64 v[204:205], 2, v[196:197]
	v_add_co_u32 v204, vcc_lo, v194, v204
	s_delay_alu instid0(VALU_DEP_2)
	v_add_co_ci_u32_e32 v205, vcc_lo, v195, v205, vcc_lo
	s_clause 0x1
	flat_load_b32 v197, v[204:205]
	flat_load_b32 v202, v[194:195] offset:60
	s_waitcnt vmcnt(1) lgkmcnt(1)
	flat_store_b32 v[194:195], v197 offset:60
	s_waitcnt vmcnt(0) lgkmcnt(1)
	flat_store_b32 v[204:205], v202
.LBB92_329:
	s_or_b32 exec_lo, exec_lo, s6
	v_mov_b32_e32 v204, v196
	v_mov_b32_e32 v202, v196
.LBB92_330:
	s_or_b32 exec_lo, exec_lo, s3
.LBB92_331:
	s_and_not1_saveexec_b32 s2, s2
	s_cbranch_execz .LBB92_333
; %bb.332:
	v_mov_b32_e32 v204, 15
	ds_store_2addr_b64 v198, v[120:121], v[122:123] offset0:32 offset1:33
	ds_store_2addr_b64 v198, v[116:117], v[118:119] offset0:34 offset1:35
	;; [unrolled: 1-line block ×31, first 2 shown]
.LBB92_333:
	s_or_b32 exec_lo, exec_lo, s2
	s_delay_alu instid0(SALU_CYCLE_1)
	s_mov_b32 s2, exec_lo
	s_waitcnt lgkmcnt(0)
	s_waitcnt_vscnt null, 0x0
	s_barrier
	buffer_gl0_inv
	v_cmpx_lt_i32_e32 15, v204
	s_cbranch_execz .LBB92_335
; %bb.334:
	v_mul_f64 v[196:197], v[190:191], v[126:127]
	v_mul_f64 v[126:127], v[188:189], v[126:127]
	s_delay_alu instid0(VALU_DEP_2) | instskip(NEXT) | instid1(VALU_DEP_2)
	v_fma_f64 v[196:197], v[188:189], v[124:125], -v[196:197]
	v_fma_f64 v[126:127], v[190:191], v[124:125], v[126:127]
	ds_load_2addr_b64 v[188:191], v198 offset0:32 offset1:33
	s_waitcnt lgkmcnt(0)
	v_mul_f64 v[124:125], v[190:191], v[126:127]
	s_delay_alu instid0(VALU_DEP_1) | instskip(SKIP_1) | instid1(VALU_DEP_2)
	v_fma_f64 v[124:125], v[188:189], v[196:197], -v[124:125]
	v_mul_f64 v[188:189], v[188:189], v[126:127]
	v_add_f64 v[120:121], v[120:121], -v[124:125]
	s_delay_alu instid0(VALU_DEP_2) | instskip(NEXT) | instid1(VALU_DEP_1)
	v_fma_f64 v[188:189], v[190:191], v[196:197], v[188:189]
	v_add_f64 v[122:123], v[122:123], -v[188:189]
	ds_load_2addr_b64 v[188:191], v198 offset0:34 offset1:35
	s_waitcnt lgkmcnt(0)
	v_mul_f64 v[124:125], v[190:191], v[126:127]
	s_delay_alu instid0(VALU_DEP_1) | instskip(SKIP_1) | instid1(VALU_DEP_2)
	v_fma_f64 v[124:125], v[188:189], v[196:197], -v[124:125]
	v_mul_f64 v[188:189], v[188:189], v[126:127]
	v_add_f64 v[116:117], v[116:117], -v[124:125]
	s_delay_alu instid0(VALU_DEP_2) | instskip(NEXT) | instid1(VALU_DEP_1)
	v_fma_f64 v[188:189], v[190:191], v[196:197], v[188:189]
	v_add_f64 v[118:119], v[118:119], -v[188:189]
	;; [unrolled: 10-line block ×30, first 2 shown]
	ds_load_2addr_b64 v[188:191], v198 offset0:92 offset1:93
	s_waitcnt lgkmcnt(0)
	v_mul_f64 v[124:125], v[190:191], v[126:127]
	s_delay_alu instid0(VALU_DEP_1) | instskip(SKIP_1) | instid1(VALU_DEP_2)
	v_fma_f64 v[124:125], v[188:189], v[196:197], -v[124:125]
	v_mul_f64 v[188:189], v[188:189], v[126:127]
	v_add_f64 v[0:1], v[0:1], -v[124:125]
	s_delay_alu instid0(VALU_DEP_2) | instskip(SKIP_1) | instid1(VALU_DEP_2)
	v_fma_f64 v[188:189], v[190:191], v[196:197], v[188:189]
	v_dual_mov_b32 v124, v196 :: v_dual_mov_b32 v125, v197
	v_add_f64 v[2:3], v[2:3], -v[188:189]
.LBB92_335:
	s_or_b32 exec_lo, exec_lo, s2
	v_lshl_add_u32 v188, v204, 4, v198
	s_barrier
	buffer_gl0_inv
	v_mov_b32_e32 v196, 16
	ds_store_2addr_b64 v188, v[120:121], v[122:123] offset1:1
	s_waitcnt lgkmcnt(0)
	s_barrier
	buffer_gl0_inv
	ds_load_2addr_b64 v[188:191], v198 offset0:32 offset1:33
	s_cmp_lt_i32 s5, 18
	s_cbranch_scc1 .LBB92_338
; %bb.336:
	v_add3_u32 v197, v203, 0, 0x110
	v_mov_b32_e32 v196, 16
	s_mov_b32 s6, 17
	s_set_inst_prefetch_distance 0x1
	.p2align	6
.LBB92_337:                             ; =>This Inner Loop Header: Depth=1
	ds_load_2addr_b64 v[205:208], v197 offset1:1
	s_waitcnt lgkmcnt(1)
	v_cmp_gt_f64_e32 vcc_lo, 0, v[188:189]
	v_xor_b32_e32 v209, 0x80000000, v189
	v_cmp_gt_f64_e64 s2, 0, v[190:191]
	v_xor_b32_e32 v211, 0x80000000, v191
	v_add_nc_u32_e32 v197, 16, v197
	s_waitcnt lgkmcnt(0)
	v_cmp_gt_f64_e64 s3, 0, v[205:206]
	v_mov_b32_e32 v213, v205
	v_dual_mov_b32 v215, v207 :: v_dual_cndmask_b32 v210, v189, v209
	v_xor_b32_e32 v209, 0x80000000, v206
	v_cndmask_b32_e64 v212, v191, v211, s2
	v_xor_b32_e32 v211, 0x80000000, v208
	s_delay_alu instid0(VALU_DEP_3) | instskip(SKIP_2) | instid1(VALU_DEP_2)
	v_cndmask_b32_e64 v214, v206, v209, s3
	v_cmp_gt_f64_e64 s3, 0, v[207:208]
	v_cndmask_b32_e32 v209, v188, v188, vcc_lo
	v_cndmask_b32_e64 v216, v208, v211, s3
	v_cndmask_b32_e64 v211, v190, v190, s2
	s_delay_alu instid0(VALU_DEP_2) | instskip(NEXT) | instid1(VALU_DEP_2)
	v_add_f64 v[213:214], v[213:214], v[215:216]
	v_add_f64 v[209:210], v[209:210], v[211:212]
	s_delay_alu instid0(VALU_DEP_1) | instskip(SKIP_4) | instid1(SALU_CYCLE_1)
	v_cmp_lt_f64_e32 vcc_lo, v[209:210], v[213:214]
	v_dual_cndmask_b32 v190, v190, v207 :: v_dual_cndmask_b32 v189, v189, v206
	v_dual_cndmask_b32 v188, v188, v205 :: v_dual_cndmask_b32 v191, v191, v208
	v_cndmask_b32_e64 v196, v196, s6, vcc_lo
	s_add_i32 s6, s6, 1
	s_cmp_lg_u32 s5, s6
	s_cbranch_scc1 .LBB92_337
.LBB92_338:
	s_set_inst_prefetch_distance 0x2
	s_waitcnt lgkmcnt(0)
	v_cmp_eq_f64_e32 vcc_lo, 0, v[188:189]
	v_cmp_eq_f64_e64 s2, 0, v[190:191]
	s_delay_alu instid0(VALU_DEP_1) | instskip(NEXT) | instid1(SALU_CYCLE_1)
	s_and_b32 s2, vcc_lo, s2
	s_and_saveexec_b32 s3, s2
	s_delay_alu instid0(SALU_CYCLE_1)
	s_xor_b32 s2, exec_lo, s3
; %bb.339:
	v_cmp_ne_u32_e32 vcc_lo, 0, v201
	v_cndmask_b32_e32 v201, 17, v201, vcc_lo
; %bb.340:
	s_and_not1_saveexec_b32 s3, s2
	s_cbranch_execz .LBB92_346
; %bb.341:
	v_cmp_gt_f64_e32 vcc_lo, 0, v[188:189]
	v_cmp_gt_f64_e64 s2, 0, v[190:191]
	v_xor_b32_e32 v197, 0x80000000, v189
	v_xor_b32_e32 v205, 0x80000000, v191
	s_delay_alu instid0(VALU_DEP_2) | instskip(NEXT) | instid1(VALU_DEP_2)
	v_cndmask_b32_e32 v206, v189, v197, vcc_lo
	v_cndmask_b32_e64 v208, v191, v205, s2
	v_cndmask_b32_e32 v205, v188, v188, vcc_lo
	v_cndmask_b32_e64 v207, v190, v190, s2
	s_mov_b32 s2, exec_lo
	s_delay_alu instid0(VALU_DEP_1)
	v_cmpx_ngt_f64_e32 v[205:206], v[207:208]
	s_xor_b32 s2, exec_lo, s2
	s_cbranch_execz .LBB92_343
; %bb.342:
	v_div_scale_f64 v[205:206], null, v[190:191], v[190:191], v[188:189]
	v_div_scale_f64 v[211:212], vcc_lo, v[188:189], v[190:191], v[188:189]
	s_delay_alu instid0(VALU_DEP_2) | instskip(SKIP_2) | instid1(VALU_DEP_1)
	v_rcp_f64_e32 v[207:208], v[205:206]
	s_waitcnt_depctr 0xfff
	v_fma_f64 v[209:210], -v[205:206], v[207:208], 1.0
	v_fma_f64 v[207:208], v[207:208], v[209:210], v[207:208]
	s_delay_alu instid0(VALU_DEP_1) | instskip(NEXT) | instid1(VALU_DEP_1)
	v_fma_f64 v[209:210], -v[205:206], v[207:208], 1.0
	v_fma_f64 v[207:208], v[207:208], v[209:210], v[207:208]
	s_delay_alu instid0(VALU_DEP_1) | instskip(NEXT) | instid1(VALU_DEP_1)
	v_mul_f64 v[209:210], v[211:212], v[207:208]
	v_fma_f64 v[205:206], -v[205:206], v[209:210], v[211:212]
	s_delay_alu instid0(VALU_DEP_1) | instskip(NEXT) | instid1(VALU_DEP_1)
	v_div_fmas_f64 v[205:206], v[205:206], v[207:208], v[209:210]
	v_div_fixup_f64 v[205:206], v[205:206], v[190:191], v[188:189]
	s_delay_alu instid0(VALU_DEP_1) | instskip(NEXT) | instid1(VALU_DEP_1)
	v_fma_f64 v[188:189], v[188:189], v[205:206], v[190:191]
	v_div_scale_f64 v[190:191], null, v[188:189], v[188:189], 1.0
	s_delay_alu instid0(VALU_DEP_1) | instskip(SKIP_2) | instid1(VALU_DEP_1)
	v_rcp_f64_e32 v[207:208], v[190:191]
	s_waitcnt_depctr 0xfff
	v_fma_f64 v[209:210], -v[190:191], v[207:208], 1.0
	v_fma_f64 v[207:208], v[207:208], v[209:210], v[207:208]
	s_delay_alu instid0(VALU_DEP_1) | instskip(NEXT) | instid1(VALU_DEP_1)
	v_fma_f64 v[209:210], -v[190:191], v[207:208], 1.0
	v_fma_f64 v[207:208], v[207:208], v[209:210], v[207:208]
	v_div_scale_f64 v[209:210], vcc_lo, 1.0, v[188:189], 1.0
	s_delay_alu instid0(VALU_DEP_1) | instskip(NEXT) | instid1(VALU_DEP_1)
	v_mul_f64 v[211:212], v[209:210], v[207:208]
	v_fma_f64 v[190:191], -v[190:191], v[211:212], v[209:210]
	s_delay_alu instid0(VALU_DEP_1) | instskip(NEXT) | instid1(VALU_DEP_1)
	v_div_fmas_f64 v[190:191], v[190:191], v[207:208], v[211:212]
	v_div_fixup_f64 v[190:191], v[190:191], v[188:189], 1.0
	s_delay_alu instid0(VALU_DEP_1)
	v_mul_f64 v[188:189], v[205:206], v[190:191]
	v_xor_b32_e32 v191, 0x80000000, v191
.LBB92_343:
	s_and_not1_saveexec_b32 s2, s2
	s_cbranch_execz .LBB92_345
; %bb.344:
	s_delay_alu instid0(VALU_DEP_1) | instskip(SKIP_1) | instid1(VALU_DEP_2)
	v_div_scale_f64 v[205:206], null, v[188:189], v[188:189], v[190:191]
	v_div_scale_f64 v[211:212], vcc_lo, v[190:191], v[188:189], v[190:191]
	v_rcp_f64_e32 v[207:208], v[205:206]
	s_waitcnt_depctr 0xfff
	v_fma_f64 v[209:210], -v[205:206], v[207:208], 1.0
	s_delay_alu instid0(VALU_DEP_1) | instskip(NEXT) | instid1(VALU_DEP_1)
	v_fma_f64 v[207:208], v[207:208], v[209:210], v[207:208]
	v_fma_f64 v[209:210], -v[205:206], v[207:208], 1.0
	s_delay_alu instid0(VALU_DEP_1) | instskip(NEXT) | instid1(VALU_DEP_1)
	v_fma_f64 v[207:208], v[207:208], v[209:210], v[207:208]
	v_mul_f64 v[209:210], v[211:212], v[207:208]
	s_delay_alu instid0(VALU_DEP_1) | instskip(NEXT) | instid1(VALU_DEP_1)
	v_fma_f64 v[205:206], -v[205:206], v[209:210], v[211:212]
	v_div_fmas_f64 v[205:206], v[205:206], v[207:208], v[209:210]
	s_delay_alu instid0(VALU_DEP_1) | instskip(NEXT) | instid1(VALU_DEP_1)
	v_div_fixup_f64 v[205:206], v[205:206], v[188:189], v[190:191]
	v_fma_f64 v[188:189], v[190:191], v[205:206], v[188:189]
	s_delay_alu instid0(VALU_DEP_1) | instskip(NEXT) | instid1(VALU_DEP_1)
	v_div_scale_f64 v[190:191], null, v[188:189], v[188:189], 1.0
	v_rcp_f64_e32 v[207:208], v[190:191]
	s_waitcnt_depctr 0xfff
	v_fma_f64 v[209:210], -v[190:191], v[207:208], 1.0
	s_delay_alu instid0(VALU_DEP_1) | instskip(NEXT) | instid1(VALU_DEP_1)
	v_fma_f64 v[207:208], v[207:208], v[209:210], v[207:208]
	v_fma_f64 v[209:210], -v[190:191], v[207:208], 1.0
	s_delay_alu instid0(VALU_DEP_1) | instskip(SKIP_1) | instid1(VALU_DEP_1)
	v_fma_f64 v[207:208], v[207:208], v[209:210], v[207:208]
	v_div_scale_f64 v[209:210], vcc_lo, 1.0, v[188:189], 1.0
	v_mul_f64 v[211:212], v[209:210], v[207:208]
	s_delay_alu instid0(VALU_DEP_1) | instskip(NEXT) | instid1(VALU_DEP_1)
	v_fma_f64 v[190:191], -v[190:191], v[211:212], v[209:210]
	v_div_fmas_f64 v[190:191], v[190:191], v[207:208], v[211:212]
	s_delay_alu instid0(VALU_DEP_1) | instskip(NEXT) | instid1(VALU_DEP_1)
	v_div_fixup_f64 v[188:189], v[190:191], v[188:189], 1.0
	v_mul_f64 v[190:191], v[205:206], -v[188:189]
.LBB92_345:
	s_or_b32 exec_lo, exec_lo, s2
.LBB92_346:
	s_delay_alu instid0(SALU_CYCLE_1) | instskip(NEXT) | instid1(SALU_CYCLE_1)
	s_or_b32 exec_lo, exec_lo, s3
	s_mov_b32 s2, exec_lo
	v_cmpx_ne_u32_e64 v204, v196
	s_xor_b32 s2, exec_lo, s2
	s_cbranch_execz .LBB92_352
; %bb.347:
	s_mov_b32 s3, exec_lo
	v_cmpx_eq_u32_e32 16, v204
	s_cbranch_execz .LBB92_351
; %bb.348:
	v_cmp_ne_u32_e32 vcc_lo, 16, v196
	s_xor_b32 s6, s4, -1
	s_delay_alu instid0(SALU_CYCLE_1) | instskip(NEXT) | instid1(SALU_CYCLE_1)
	s_and_b32 s7, s6, vcc_lo
	s_and_saveexec_b32 s6, s7
	s_cbranch_execz .LBB92_350
; %bb.349:
	v_ashrrev_i32_e32 v197, 31, v196
	s_delay_alu instid0(VALU_DEP_1) | instskip(NEXT) | instid1(VALU_DEP_1)
	v_lshlrev_b64 v[204:205], 2, v[196:197]
	v_add_co_u32 v204, vcc_lo, v194, v204
	s_delay_alu instid0(VALU_DEP_2)
	v_add_co_ci_u32_e32 v205, vcc_lo, v195, v205, vcc_lo
	s_clause 0x1
	flat_load_b32 v197, v[204:205]
	flat_load_b32 v202, v[194:195] offset:64
	s_waitcnt vmcnt(1) lgkmcnt(1)
	flat_store_b32 v[194:195], v197 offset:64
	s_waitcnt vmcnt(0) lgkmcnt(1)
	flat_store_b32 v[204:205], v202
.LBB92_350:
	s_or_b32 exec_lo, exec_lo, s6
	v_mov_b32_e32 v204, v196
	v_mov_b32_e32 v202, v196
.LBB92_351:
	s_or_b32 exec_lo, exec_lo, s3
.LBB92_352:
	s_and_not1_saveexec_b32 s2, s2
	s_cbranch_execz .LBB92_354
; %bb.353:
	v_mov_b32_e32 v204, 16
	ds_store_2addr_b64 v198, v[116:117], v[118:119] offset0:34 offset1:35
	ds_store_2addr_b64 v198, v[112:113], v[114:115] offset0:36 offset1:37
	;; [unrolled: 1-line block ×30, first 2 shown]
.LBB92_354:
	s_or_b32 exec_lo, exec_lo, s2
	s_delay_alu instid0(SALU_CYCLE_1)
	s_mov_b32 s2, exec_lo
	s_waitcnt lgkmcnt(0)
	s_waitcnt_vscnt null, 0x0
	s_barrier
	buffer_gl0_inv
	v_cmpx_lt_i32_e32 16, v204
	s_cbranch_execz .LBB92_356
; %bb.355:
	v_mul_f64 v[196:197], v[190:191], v[122:123]
	v_mul_f64 v[122:123], v[188:189], v[122:123]
	s_delay_alu instid0(VALU_DEP_2) | instskip(NEXT) | instid1(VALU_DEP_2)
	v_fma_f64 v[196:197], v[188:189], v[120:121], -v[196:197]
	v_fma_f64 v[122:123], v[190:191], v[120:121], v[122:123]
	ds_load_2addr_b64 v[188:191], v198 offset0:34 offset1:35
	s_waitcnt lgkmcnt(0)
	v_mul_f64 v[120:121], v[190:191], v[122:123]
	s_delay_alu instid0(VALU_DEP_1) | instskip(SKIP_1) | instid1(VALU_DEP_2)
	v_fma_f64 v[120:121], v[188:189], v[196:197], -v[120:121]
	v_mul_f64 v[188:189], v[188:189], v[122:123]
	v_add_f64 v[116:117], v[116:117], -v[120:121]
	s_delay_alu instid0(VALU_DEP_2) | instskip(NEXT) | instid1(VALU_DEP_1)
	v_fma_f64 v[188:189], v[190:191], v[196:197], v[188:189]
	v_add_f64 v[118:119], v[118:119], -v[188:189]
	ds_load_2addr_b64 v[188:191], v198 offset0:36 offset1:37
	s_waitcnt lgkmcnt(0)
	v_mul_f64 v[120:121], v[190:191], v[122:123]
	s_delay_alu instid0(VALU_DEP_1) | instskip(SKIP_1) | instid1(VALU_DEP_2)
	v_fma_f64 v[120:121], v[188:189], v[196:197], -v[120:121]
	v_mul_f64 v[188:189], v[188:189], v[122:123]
	v_add_f64 v[112:113], v[112:113], -v[120:121]
	s_delay_alu instid0(VALU_DEP_2) | instskip(NEXT) | instid1(VALU_DEP_1)
	v_fma_f64 v[188:189], v[190:191], v[196:197], v[188:189]
	v_add_f64 v[114:115], v[114:115], -v[188:189]
	;; [unrolled: 10-line block ×29, first 2 shown]
	ds_load_2addr_b64 v[188:191], v198 offset0:92 offset1:93
	s_waitcnt lgkmcnt(0)
	v_mul_f64 v[120:121], v[190:191], v[122:123]
	s_delay_alu instid0(VALU_DEP_1) | instskip(SKIP_1) | instid1(VALU_DEP_2)
	v_fma_f64 v[120:121], v[188:189], v[196:197], -v[120:121]
	v_mul_f64 v[188:189], v[188:189], v[122:123]
	v_add_f64 v[0:1], v[0:1], -v[120:121]
	s_delay_alu instid0(VALU_DEP_2) | instskip(SKIP_1) | instid1(VALU_DEP_2)
	v_fma_f64 v[188:189], v[190:191], v[196:197], v[188:189]
	v_dual_mov_b32 v120, v196 :: v_dual_mov_b32 v121, v197
	v_add_f64 v[2:3], v[2:3], -v[188:189]
.LBB92_356:
	s_or_b32 exec_lo, exec_lo, s2
	v_lshl_add_u32 v188, v204, 4, v198
	s_barrier
	buffer_gl0_inv
	v_mov_b32_e32 v196, 17
	ds_store_2addr_b64 v188, v[116:117], v[118:119] offset1:1
	s_waitcnt lgkmcnt(0)
	s_barrier
	buffer_gl0_inv
	ds_load_2addr_b64 v[188:191], v198 offset0:34 offset1:35
	s_cmp_lt_i32 s5, 19
	s_cbranch_scc1 .LBB92_359
; %bb.357:
	v_add3_u32 v197, v203, 0, 0x120
	v_mov_b32_e32 v196, 17
	s_mov_b32 s6, 18
	s_set_inst_prefetch_distance 0x1
	.p2align	6
.LBB92_358:                             ; =>This Inner Loop Header: Depth=1
	ds_load_2addr_b64 v[205:208], v197 offset1:1
	s_waitcnt lgkmcnt(1)
	v_cmp_gt_f64_e32 vcc_lo, 0, v[188:189]
	v_xor_b32_e32 v209, 0x80000000, v189
	v_cmp_gt_f64_e64 s2, 0, v[190:191]
	v_xor_b32_e32 v211, 0x80000000, v191
	v_add_nc_u32_e32 v197, 16, v197
	s_waitcnt lgkmcnt(0)
	v_cmp_gt_f64_e64 s3, 0, v[205:206]
	v_mov_b32_e32 v213, v205
	v_dual_mov_b32 v215, v207 :: v_dual_cndmask_b32 v210, v189, v209
	v_xor_b32_e32 v209, 0x80000000, v206
	v_cndmask_b32_e64 v212, v191, v211, s2
	v_xor_b32_e32 v211, 0x80000000, v208
	s_delay_alu instid0(VALU_DEP_3) | instskip(SKIP_2) | instid1(VALU_DEP_2)
	v_cndmask_b32_e64 v214, v206, v209, s3
	v_cmp_gt_f64_e64 s3, 0, v[207:208]
	v_cndmask_b32_e32 v209, v188, v188, vcc_lo
	v_cndmask_b32_e64 v216, v208, v211, s3
	v_cndmask_b32_e64 v211, v190, v190, s2
	s_delay_alu instid0(VALU_DEP_2) | instskip(NEXT) | instid1(VALU_DEP_2)
	v_add_f64 v[213:214], v[213:214], v[215:216]
	v_add_f64 v[209:210], v[209:210], v[211:212]
	s_delay_alu instid0(VALU_DEP_1) | instskip(SKIP_4) | instid1(SALU_CYCLE_1)
	v_cmp_lt_f64_e32 vcc_lo, v[209:210], v[213:214]
	v_dual_cndmask_b32 v190, v190, v207 :: v_dual_cndmask_b32 v189, v189, v206
	v_dual_cndmask_b32 v188, v188, v205 :: v_dual_cndmask_b32 v191, v191, v208
	v_cndmask_b32_e64 v196, v196, s6, vcc_lo
	s_add_i32 s6, s6, 1
	s_cmp_lg_u32 s5, s6
	s_cbranch_scc1 .LBB92_358
.LBB92_359:
	s_set_inst_prefetch_distance 0x2
	s_waitcnt lgkmcnt(0)
	v_cmp_eq_f64_e32 vcc_lo, 0, v[188:189]
	v_cmp_eq_f64_e64 s2, 0, v[190:191]
	s_delay_alu instid0(VALU_DEP_1) | instskip(NEXT) | instid1(SALU_CYCLE_1)
	s_and_b32 s2, vcc_lo, s2
	s_and_saveexec_b32 s3, s2
	s_delay_alu instid0(SALU_CYCLE_1)
	s_xor_b32 s2, exec_lo, s3
; %bb.360:
	v_cmp_ne_u32_e32 vcc_lo, 0, v201
	v_cndmask_b32_e32 v201, 18, v201, vcc_lo
; %bb.361:
	s_and_not1_saveexec_b32 s3, s2
	s_cbranch_execz .LBB92_367
; %bb.362:
	v_cmp_gt_f64_e32 vcc_lo, 0, v[188:189]
	v_cmp_gt_f64_e64 s2, 0, v[190:191]
	v_xor_b32_e32 v197, 0x80000000, v189
	v_xor_b32_e32 v205, 0x80000000, v191
	s_delay_alu instid0(VALU_DEP_2) | instskip(NEXT) | instid1(VALU_DEP_2)
	v_cndmask_b32_e32 v206, v189, v197, vcc_lo
	v_cndmask_b32_e64 v208, v191, v205, s2
	v_cndmask_b32_e32 v205, v188, v188, vcc_lo
	v_cndmask_b32_e64 v207, v190, v190, s2
	s_mov_b32 s2, exec_lo
	s_delay_alu instid0(VALU_DEP_1)
	v_cmpx_ngt_f64_e32 v[205:206], v[207:208]
	s_xor_b32 s2, exec_lo, s2
	s_cbranch_execz .LBB92_364
; %bb.363:
	v_div_scale_f64 v[205:206], null, v[190:191], v[190:191], v[188:189]
	v_div_scale_f64 v[211:212], vcc_lo, v[188:189], v[190:191], v[188:189]
	s_delay_alu instid0(VALU_DEP_2) | instskip(SKIP_2) | instid1(VALU_DEP_1)
	v_rcp_f64_e32 v[207:208], v[205:206]
	s_waitcnt_depctr 0xfff
	v_fma_f64 v[209:210], -v[205:206], v[207:208], 1.0
	v_fma_f64 v[207:208], v[207:208], v[209:210], v[207:208]
	s_delay_alu instid0(VALU_DEP_1) | instskip(NEXT) | instid1(VALU_DEP_1)
	v_fma_f64 v[209:210], -v[205:206], v[207:208], 1.0
	v_fma_f64 v[207:208], v[207:208], v[209:210], v[207:208]
	s_delay_alu instid0(VALU_DEP_1) | instskip(NEXT) | instid1(VALU_DEP_1)
	v_mul_f64 v[209:210], v[211:212], v[207:208]
	v_fma_f64 v[205:206], -v[205:206], v[209:210], v[211:212]
	s_delay_alu instid0(VALU_DEP_1) | instskip(NEXT) | instid1(VALU_DEP_1)
	v_div_fmas_f64 v[205:206], v[205:206], v[207:208], v[209:210]
	v_div_fixup_f64 v[205:206], v[205:206], v[190:191], v[188:189]
	s_delay_alu instid0(VALU_DEP_1) | instskip(NEXT) | instid1(VALU_DEP_1)
	v_fma_f64 v[188:189], v[188:189], v[205:206], v[190:191]
	v_div_scale_f64 v[190:191], null, v[188:189], v[188:189], 1.0
	s_delay_alu instid0(VALU_DEP_1) | instskip(SKIP_2) | instid1(VALU_DEP_1)
	v_rcp_f64_e32 v[207:208], v[190:191]
	s_waitcnt_depctr 0xfff
	v_fma_f64 v[209:210], -v[190:191], v[207:208], 1.0
	v_fma_f64 v[207:208], v[207:208], v[209:210], v[207:208]
	s_delay_alu instid0(VALU_DEP_1) | instskip(NEXT) | instid1(VALU_DEP_1)
	v_fma_f64 v[209:210], -v[190:191], v[207:208], 1.0
	v_fma_f64 v[207:208], v[207:208], v[209:210], v[207:208]
	v_div_scale_f64 v[209:210], vcc_lo, 1.0, v[188:189], 1.0
	s_delay_alu instid0(VALU_DEP_1) | instskip(NEXT) | instid1(VALU_DEP_1)
	v_mul_f64 v[211:212], v[209:210], v[207:208]
	v_fma_f64 v[190:191], -v[190:191], v[211:212], v[209:210]
	s_delay_alu instid0(VALU_DEP_1) | instskip(NEXT) | instid1(VALU_DEP_1)
	v_div_fmas_f64 v[190:191], v[190:191], v[207:208], v[211:212]
	v_div_fixup_f64 v[190:191], v[190:191], v[188:189], 1.0
	s_delay_alu instid0(VALU_DEP_1)
	v_mul_f64 v[188:189], v[205:206], v[190:191]
	v_xor_b32_e32 v191, 0x80000000, v191
.LBB92_364:
	s_and_not1_saveexec_b32 s2, s2
	s_cbranch_execz .LBB92_366
; %bb.365:
	s_delay_alu instid0(VALU_DEP_1) | instskip(SKIP_1) | instid1(VALU_DEP_2)
	v_div_scale_f64 v[205:206], null, v[188:189], v[188:189], v[190:191]
	v_div_scale_f64 v[211:212], vcc_lo, v[190:191], v[188:189], v[190:191]
	v_rcp_f64_e32 v[207:208], v[205:206]
	s_waitcnt_depctr 0xfff
	v_fma_f64 v[209:210], -v[205:206], v[207:208], 1.0
	s_delay_alu instid0(VALU_DEP_1) | instskip(NEXT) | instid1(VALU_DEP_1)
	v_fma_f64 v[207:208], v[207:208], v[209:210], v[207:208]
	v_fma_f64 v[209:210], -v[205:206], v[207:208], 1.0
	s_delay_alu instid0(VALU_DEP_1) | instskip(NEXT) | instid1(VALU_DEP_1)
	v_fma_f64 v[207:208], v[207:208], v[209:210], v[207:208]
	v_mul_f64 v[209:210], v[211:212], v[207:208]
	s_delay_alu instid0(VALU_DEP_1) | instskip(NEXT) | instid1(VALU_DEP_1)
	v_fma_f64 v[205:206], -v[205:206], v[209:210], v[211:212]
	v_div_fmas_f64 v[205:206], v[205:206], v[207:208], v[209:210]
	s_delay_alu instid0(VALU_DEP_1) | instskip(NEXT) | instid1(VALU_DEP_1)
	v_div_fixup_f64 v[205:206], v[205:206], v[188:189], v[190:191]
	v_fma_f64 v[188:189], v[190:191], v[205:206], v[188:189]
	s_delay_alu instid0(VALU_DEP_1) | instskip(NEXT) | instid1(VALU_DEP_1)
	v_div_scale_f64 v[190:191], null, v[188:189], v[188:189], 1.0
	v_rcp_f64_e32 v[207:208], v[190:191]
	s_waitcnt_depctr 0xfff
	v_fma_f64 v[209:210], -v[190:191], v[207:208], 1.0
	s_delay_alu instid0(VALU_DEP_1) | instskip(NEXT) | instid1(VALU_DEP_1)
	v_fma_f64 v[207:208], v[207:208], v[209:210], v[207:208]
	v_fma_f64 v[209:210], -v[190:191], v[207:208], 1.0
	s_delay_alu instid0(VALU_DEP_1) | instskip(SKIP_1) | instid1(VALU_DEP_1)
	v_fma_f64 v[207:208], v[207:208], v[209:210], v[207:208]
	v_div_scale_f64 v[209:210], vcc_lo, 1.0, v[188:189], 1.0
	v_mul_f64 v[211:212], v[209:210], v[207:208]
	s_delay_alu instid0(VALU_DEP_1) | instskip(NEXT) | instid1(VALU_DEP_1)
	v_fma_f64 v[190:191], -v[190:191], v[211:212], v[209:210]
	v_div_fmas_f64 v[190:191], v[190:191], v[207:208], v[211:212]
	s_delay_alu instid0(VALU_DEP_1) | instskip(NEXT) | instid1(VALU_DEP_1)
	v_div_fixup_f64 v[188:189], v[190:191], v[188:189], 1.0
	v_mul_f64 v[190:191], v[205:206], -v[188:189]
.LBB92_366:
	s_or_b32 exec_lo, exec_lo, s2
.LBB92_367:
	s_delay_alu instid0(SALU_CYCLE_1) | instskip(NEXT) | instid1(SALU_CYCLE_1)
	s_or_b32 exec_lo, exec_lo, s3
	s_mov_b32 s2, exec_lo
	v_cmpx_ne_u32_e64 v204, v196
	s_xor_b32 s2, exec_lo, s2
	s_cbranch_execz .LBB92_373
; %bb.368:
	s_mov_b32 s3, exec_lo
	v_cmpx_eq_u32_e32 17, v204
	s_cbranch_execz .LBB92_372
; %bb.369:
	v_cmp_ne_u32_e32 vcc_lo, 17, v196
	s_xor_b32 s6, s4, -1
	s_delay_alu instid0(SALU_CYCLE_1) | instskip(NEXT) | instid1(SALU_CYCLE_1)
	s_and_b32 s7, s6, vcc_lo
	s_and_saveexec_b32 s6, s7
	s_cbranch_execz .LBB92_371
; %bb.370:
	v_ashrrev_i32_e32 v197, 31, v196
	s_delay_alu instid0(VALU_DEP_1) | instskip(NEXT) | instid1(VALU_DEP_1)
	v_lshlrev_b64 v[204:205], 2, v[196:197]
	v_add_co_u32 v204, vcc_lo, v194, v204
	s_delay_alu instid0(VALU_DEP_2)
	v_add_co_ci_u32_e32 v205, vcc_lo, v195, v205, vcc_lo
	s_clause 0x1
	flat_load_b32 v197, v[204:205]
	flat_load_b32 v202, v[194:195] offset:68
	s_waitcnt vmcnt(1) lgkmcnt(1)
	flat_store_b32 v[194:195], v197 offset:68
	s_waitcnt vmcnt(0) lgkmcnt(1)
	flat_store_b32 v[204:205], v202
.LBB92_371:
	s_or_b32 exec_lo, exec_lo, s6
	v_mov_b32_e32 v204, v196
	v_mov_b32_e32 v202, v196
.LBB92_372:
	s_or_b32 exec_lo, exec_lo, s3
.LBB92_373:
	s_and_not1_saveexec_b32 s2, s2
	s_cbranch_execz .LBB92_375
; %bb.374:
	v_mov_b32_e32 v204, 17
	ds_store_2addr_b64 v198, v[112:113], v[114:115] offset0:36 offset1:37
	ds_store_2addr_b64 v198, v[108:109], v[110:111] offset0:38 offset1:39
	;; [unrolled: 1-line block ×29, first 2 shown]
.LBB92_375:
	s_or_b32 exec_lo, exec_lo, s2
	s_delay_alu instid0(SALU_CYCLE_1)
	s_mov_b32 s2, exec_lo
	s_waitcnt lgkmcnt(0)
	s_waitcnt_vscnt null, 0x0
	s_barrier
	buffer_gl0_inv
	v_cmpx_lt_i32_e32 17, v204
	s_cbranch_execz .LBB92_377
; %bb.376:
	v_mul_f64 v[196:197], v[190:191], v[118:119]
	v_mul_f64 v[118:119], v[188:189], v[118:119]
	s_delay_alu instid0(VALU_DEP_2) | instskip(NEXT) | instid1(VALU_DEP_2)
	v_fma_f64 v[196:197], v[188:189], v[116:117], -v[196:197]
	v_fma_f64 v[118:119], v[190:191], v[116:117], v[118:119]
	ds_load_2addr_b64 v[188:191], v198 offset0:36 offset1:37
	s_waitcnt lgkmcnt(0)
	v_mul_f64 v[116:117], v[190:191], v[118:119]
	s_delay_alu instid0(VALU_DEP_1) | instskip(SKIP_1) | instid1(VALU_DEP_2)
	v_fma_f64 v[116:117], v[188:189], v[196:197], -v[116:117]
	v_mul_f64 v[188:189], v[188:189], v[118:119]
	v_add_f64 v[112:113], v[112:113], -v[116:117]
	s_delay_alu instid0(VALU_DEP_2) | instskip(NEXT) | instid1(VALU_DEP_1)
	v_fma_f64 v[188:189], v[190:191], v[196:197], v[188:189]
	v_add_f64 v[114:115], v[114:115], -v[188:189]
	ds_load_2addr_b64 v[188:191], v198 offset0:38 offset1:39
	s_waitcnt lgkmcnt(0)
	v_mul_f64 v[116:117], v[190:191], v[118:119]
	s_delay_alu instid0(VALU_DEP_1) | instskip(SKIP_1) | instid1(VALU_DEP_2)
	v_fma_f64 v[116:117], v[188:189], v[196:197], -v[116:117]
	v_mul_f64 v[188:189], v[188:189], v[118:119]
	v_add_f64 v[108:109], v[108:109], -v[116:117]
	s_delay_alu instid0(VALU_DEP_2) | instskip(NEXT) | instid1(VALU_DEP_1)
	v_fma_f64 v[188:189], v[190:191], v[196:197], v[188:189]
	v_add_f64 v[110:111], v[110:111], -v[188:189]
	;; [unrolled: 10-line block ×28, first 2 shown]
	ds_load_2addr_b64 v[188:191], v198 offset0:92 offset1:93
	s_waitcnt lgkmcnt(0)
	v_mul_f64 v[116:117], v[190:191], v[118:119]
	s_delay_alu instid0(VALU_DEP_1) | instskip(SKIP_1) | instid1(VALU_DEP_2)
	v_fma_f64 v[116:117], v[188:189], v[196:197], -v[116:117]
	v_mul_f64 v[188:189], v[188:189], v[118:119]
	v_add_f64 v[0:1], v[0:1], -v[116:117]
	s_delay_alu instid0(VALU_DEP_2) | instskip(SKIP_1) | instid1(VALU_DEP_2)
	v_fma_f64 v[188:189], v[190:191], v[196:197], v[188:189]
	v_dual_mov_b32 v116, v196 :: v_dual_mov_b32 v117, v197
	v_add_f64 v[2:3], v[2:3], -v[188:189]
.LBB92_377:
	s_or_b32 exec_lo, exec_lo, s2
	v_lshl_add_u32 v188, v204, 4, v198
	s_barrier
	buffer_gl0_inv
	v_mov_b32_e32 v196, 18
	ds_store_2addr_b64 v188, v[112:113], v[114:115] offset1:1
	s_waitcnt lgkmcnt(0)
	s_barrier
	buffer_gl0_inv
	ds_load_2addr_b64 v[188:191], v198 offset0:36 offset1:37
	s_cmp_lt_i32 s5, 20
	s_cbranch_scc1 .LBB92_380
; %bb.378:
	v_add3_u32 v197, v203, 0, 0x130
	v_mov_b32_e32 v196, 18
	s_mov_b32 s6, 19
	s_set_inst_prefetch_distance 0x1
	.p2align	6
.LBB92_379:                             ; =>This Inner Loop Header: Depth=1
	ds_load_2addr_b64 v[205:208], v197 offset1:1
	s_waitcnt lgkmcnt(1)
	v_cmp_gt_f64_e32 vcc_lo, 0, v[188:189]
	v_xor_b32_e32 v209, 0x80000000, v189
	v_cmp_gt_f64_e64 s2, 0, v[190:191]
	v_xor_b32_e32 v211, 0x80000000, v191
	v_add_nc_u32_e32 v197, 16, v197
	s_waitcnt lgkmcnt(0)
	v_cmp_gt_f64_e64 s3, 0, v[205:206]
	v_mov_b32_e32 v213, v205
	v_dual_mov_b32 v215, v207 :: v_dual_cndmask_b32 v210, v189, v209
	v_xor_b32_e32 v209, 0x80000000, v206
	v_cndmask_b32_e64 v212, v191, v211, s2
	v_xor_b32_e32 v211, 0x80000000, v208
	s_delay_alu instid0(VALU_DEP_3) | instskip(SKIP_2) | instid1(VALU_DEP_2)
	v_cndmask_b32_e64 v214, v206, v209, s3
	v_cmp_gt_f64_e64 s3, 0, v[207:208]
	v_cndmask_b32_e32 v209, v188, v188, vcc_lo
	v_cndmask_b32_e64 v216, v208, v211, s3
	v_cndmask_b32_e64 v211, v190, v190, s2
	s_delay_alu instid0(VALU_DEP_2) | instskip(NEXT) | instid1(VALU_DEP_2)
	v_add_f64 v[213:214], v[213:214], v[215:216]
	v_add_f64 v[209:210], v[209:210], v[211:212]
	s_delay_alu instid0(VALU_DEP_1) | instskip(SKIP_4) | instid1(SALU_CYCLE_1)
	v_cmp_lt_f64_e32 vcc_lo, v[209:210], v[213:214]
	v_dual_cndmask_b32 v190, v190, v207 :: v_dual_cndmask_b32 v189, v189, v206
	v_dual_cndmask_b32 v188, v188, v205 :: v_dual_cndmask_b32 v191, v191, v208
	v_cndmask_b32_e64 v196, v196, s6, vcc_lo
	s_add_i32 s6, s6, 1
	s_cmp_lg_u32 s5, s6
	s_cbranch_scc1 .LBB92_379
.LBB92_380:
	s_set_inst_prefetch_distance 0x2
	s_waitcnt lgkmcnt(0)
	v_cmp_eq_f64_e32 vcc_lo, 0, v[188:189]
	v_cmp_eq_f64_e64 s2, 0, v[190:191]
	s_delay_alu instid0(VALU_DEP_1) | instskip(NEXT) | instid1(SALU_CYCLE_1)
	s_and_b32 s2, vcc_lo, s2
	s_and_saveexec_b32 s3, s2
	s_delay_alu instid0(SALU_CYCLE_1)
	s_xor_b32 s2, exec_lo, s3
; %bb.381:
	v_cmp_ne_u32_e32 vcc_lo, 0, v201
	v_cndmask_b32_e32 v201, 19, v201, vcc_lo
; %bb.382:
	s_and_not1_saveexec_b32 s3, s2
	s_cbranch_execz .LBB92_388
; %bb.383:
	v_cmp_gt_f64_e32 vcc_lo, 0, v[188:189]
	v_cmp_gt_f64_e64 s2, 0, v[190:191]
	v_xor_b32_e32 v197, 0x80000000, v189
	v_xor_b32_e32 v205, 0x80000000, v191
	s_delay_alu instid0(VALU_DEP_2) | instskip(NEXT) | instid1(VALU_DEP_2)
	v_cndmask_b32_e32 v206, v189, v197, vcc_lo
	v_cndmask_b32_e64 v208, v191, v205, s2
	v_cndmask_b32_e32 v205, v188, v188, vcc_lo
	v_cndmask_b32_e64 v207, v190, v190, s2
	s_mov_b32 s2, exec_lo
	s_delay_alu instid0(VALU_DEP_1)
	v_cmpx_ngt_f64_e32 v[205:206], v[207:208]
	s_xor_b32 s2, exec_lo, s2
	s_cbranch_execz .LBB92_385
; %bb.384:
	v_div_scale_f64 v[205:206], null, v[190:191], v[190:191], v[188:189]
	v_div_scale_f64 v[211:212], vcc_lo, v[188:189], v[190:191], v[188:189]
	s_delay_alu instid0(VALU_DEP_2) | instskip(SKIP_2) | instid1(VALU_DEP_1)
	v_rcp_f64_e32 v[207:208], v[205:206]
	s_waitcnt_depctr 0xfff
	v_fma_f64 v[209:210], -v[205:206], v[207:208], 1.0
	v_fma_f64 v[207:208], v[207:208], v[209:210], v[207:208]
	s_delay_alu instid0(VALU_DEP_1) | instskip(NEXT) | instid1(VALU_DEP_1)
	v_fma_f64 v[209:210], -v[205:206], v[207:208], 1.0
	v_fma_f64 v[207:208], v[207:208], v[209:210], v[207:208]
	s_delay_alu instid0(VALU_DEP_1) | instskip(NEXT) | instid1(VALU_DEP_1)
	v_mul_f64 v[209:210], v[211:212], v[207:208]
	v_fma_f64 v[205:206], -v[205:206], v[209:210], v[211:212]
	s_delay_alu instid0(VALU_DEP_1) | instskip(NEXT) | instid1(VALU_DEP_1)
	v_div_fmas_f64 v[205:206], v[205:206], v[207:208], v[209:210]
	v_div_fixup_f64 v[205:206], v[205:206], v[190:191], v[188:189]
	s_delay_alu instid0(VALU_DEP_1) | instskip(NEXT) | instid1(VALU_DEP_1)
	v_fma_f64 v[188:189], v[188:189], v[205:206], v[190:191]
	v_div_scale_f64 v[190:191], null, v[188:189], v[188:189], 1.0
	s_delay_alu instid0(VALU_DEP_1) | instskip(SKIP_2) | instid1(VALU_DEP_1)
	v_rcp_f64_e32 v[207:208], v[190:191]
	s_waitcnt_depctr 0xfff
	v_fma_f64 v[209:210], -v[190:191], v[207:208], 1.0
	v_fma_f64 v[207:208], v[207:208], v[209:210], v[207:208]
	s_delay_alu instid0(VALU_DEP_1) | instskip(NEXT) | instid1(VALU_DEP_1)
	v_fma_f64 v[209:210], -v[190:191], v[207:208], 1.0
	v_fma_f64 v[207:208], v[207:208], v[209:210], v[207:208]
	v_div_scale_f64 v[209:210], vcc_lo, 1.0, v[188:189], 1.0
	s_delay_alu instid0(VALU_DEP_1) | instskip(NEXT) | instid1(VALU_DEP_1)
	v_mul_f64 v[211:212], v[209:210], v[207:208]
	v_fma_f64 v[190:191], -v[190:191], v[211:212], v[209:210]
	s_delay_alu instid0(VALU_DEP_1) | instskip(NEXT) | instid1(VALU_DEP_1)
	v_div_fmas_f64 v[190:191], v[190:191], v[207:208], v[211:212]
	v_div_fixup_f64 v[190:191], v[190:191], v[188:189], 1.0
	s_delay_alu instid0(VALU_DEP_1)
	v_mul_f64 v[188:189], v[205:206], v[190:191]
	v_xor_b32_e32 v191, 0x80000000, v191
.LBB92_385:
	s_and_not1_saveexec_b32 s2, s2
	s_cbranch_execz .LBB92_387
; %bb.386:
	s_delay_alu instid0(VALU_DEP_1) | instskip(SKIP_1) | instid1(VALU_DEP_2)
	v_div_scale_f64 v[205:206], null, v[188:189], v[188:189], v[190:191]
	v_div_scale_f64 v[211:212], vcc_lo, v[190:191], v[188:189], v[190:191]
	v_rcp_f64_e32 v[207:208], v[205:206]
	s_waitcnt_depctr 0xfff
	v_fma_f64 v[209:210], -v[205:206], v[207:208], 1.0
	s_delay_alu instid0(VALU_DEP_1) | instskip(NEXT) | instid1(VALU_DEP_1)
	v_fma_f64 v[207:208], v[207:208], v[209:210], v[207:208]
	v_fma_f64 v[209:210], -v[205:206], v[207:208], 1.0
	s_delay_alu instid0(VALU_DEP_1) | instskip(NEXT) | instid1(VALU_DEP_1)
	v_fma_f64 v[207:208], v[207:208], v[209:210], v[207:208]
	v_mul_f64 v[209:210], v[211:212], v[207:208]
	s_delay_alu instid0(VALU_DEP_1) | instskip(NEXT) | instid1(VALU_DEP_1)
	v_fma_f64 v[205:206], -v[205:206], v[209:210], v[211:212]
	v_div_fmas_f64 v[205:206], v[205:206], v[207:208], v[209:210]
	s_delay_alu instid0(VALU_DEP_1) | instskip(NEXT) | instid1(VALU_DEP_1)
	v_div_fixup_f64 v[205:206], v[205:206], v[188:189], v[190:191]
	v_fma_f64 v[188:189], v[190:191], v[205:206], v[188:189]
	s_delay_alu instid0(VALU_DEP_1) | instskip(NEXT) | instid1(VALU_DEP_1)
	v_div_scale_f64 v[190:191], null, v[188:189], v[188:189], 1.0
	v_rcp_f64_e32 v[207:208], v[190:191]
	s_waitcnt_depctr 0xfff
	v_fma_f64 v[209:210], -v[190:191], v[207:208], 1.0
	s_delay_alu instid0(VALU_DEP_1) | instskip(NEXT) | instid1(VALU_DEP_1)
	v_fma_f64 v[207:208], v[207:208], v[209:210], v[207:208]
	v_fma_f64 v[209:210], -v[190:191], v[207:208], 1.0
	s_delay_alu instid0(VALU_DEP_1) | instskip(SKIP_1) | instid1(VALU_DEP_1)
	v_fma_f64 v[207:208], v[207:208], v[209:210], v[207:208]
	v_div_scale_f64 v[209:210], vcc_lo, 1.0, v[188:189], 1.0
	v_mul_f64 v[211:212], v[209:210], v[207:208]
	s_delay_alu instid0(VALU_DEP_1) | instskip(NEXT) | instid1(VALU_DEP_1)
	v_fma_f64 v[190:191], -v[190:191], v[211:212], v[209:210]
	v_div_fmas_f64 v[190:191], v[190:191], v[207:208], v[211:212]
	s_delay_alu instid0(VALU_DEP_1) | instskip(NEXT) | instid1(VALU_DEP_1)
	v_div_fixup_f64 v[188:189], v[190:191], v[188:189], 1.0
	v_mul_f64 v[190:191], v[205:206], -v[188:189]
.LBB92_387:
	s_or_b32 exec_lo, exec_lo, s2
.LBB92_388:
	s_delay_alu instid0(SALU_CYCLE_1) | instskip(NEXT) | instid1(SALU_CYCLE_1)
	s_or_b32 exec_lo, exec_lo, s3
	s_mov_b32 s2, exec_lo
	v_cmpx_ne_u32_e64 v204, v196
	s_xor_b32 s2, exec_lo, s2
	s_cbranch_execz .LBB92_394
; %bb.389:
	s_mov_b32 s3, exec_lo
	v_cmpx_eq_u32_e32 18, v204
	s_cbranch_execz .LBB92_393
; %bb.390:
	v_cmp_ne_u32_e32 vcc_lo, 18, v196
	s_xor_b32 s6, s4, -1
	s_delay_alu instid0(SALU_CYCLE_1) | instskip(NEXT) | instid1(SALU_CYCLE_1)
	s_and_b32 s7, s6, vcc_lo
	s_and_saveexec_b32 s6, s7
	s_cbranch_execz .LBB92_392
; %bb.391:
	v_ashrrev_i32_e32 v197, 31, v196
	s_delay_alu instid0(VALU_DEP_1) | instskip(NEXT) | instid1(VALU_DEP_1)
	v_lshlrev_b64 v[204:205], 2, v[196:197]
	v_add_co_u32 v204, vcc_lo, v194, v204
	s_delay_alu instid0(VALU_DEP_2)
	v_add_co_ci_u32_e32 v205, vcc_lo, v195, v205, vcc_lo
	s_clause 0x1
	flat_load_b32 v197, v[204:205]
	flat_load_b32 v202, v[194:195] offset:72
	s_waitcnt vmcnt(1) lgkmcnt(1)
	flat_store_b32 v[194:195], v197 offset:72
	s_waitcnt vmcnt(0) lgkmcnt(1)
	flat_store_b32 v[204:205], v202
.LBB92_392:
	s_or_b32 exec_lo, exec_lo, s6
	v_mov_b32_e32 v204, v196
	v_mov_b32_e32 v202, v196
.LBB92_393:
	s_or_b32 exec_lo, exec_lo, s3
.LBB92_394:
	s_and_not1_saveexec_b32 s2, s2
	s_cbranch_execz .LBB92_396
; %bb.395:
	v_mov_b32_e32 v204, 18
	ds_store_2addr_b64 v198, v[108:109], v[110:111] offset0:38 offset1:39
	ds_store_2addr_b64 v198, v[104:105], v[106:107] offset0:40 offset1:41
	;; [unrolled: 1-line block ×28, first 2 shown]
.LBB92_396:
	s_or_b32 exec_lo, exec_lo, s2
	s_delay_alu instid0(SALU_CYCLE_1)
	s_mov_b32 s2, exec_lo
	s_waitcnt lgkmcnt(0)
	s_waitcnt_vscnt null, 0x0
	s_barrier
	buffer_gl0_inv
	v_cmpx_lt_i32_e32 18, v204
	s_cbranch_execz .LBB92_398
; %bb.397:
	v_mul_f64 v[196:197], v[190:191], v[114:115]
	v_mul_f64 v[114:115], v[188:189], v[114:115]
	s_delay_alu instid0(VALU_DEP_2) | instskip(NEXT) | instid1(VALU_DEP_2)
	v_fma_f64 v[196:197], v[188:189], v[112:113], -v[196:197]
	v_fma_f64 v[114:115], v[190:191], v[112:113], v[114:115]
	ds_load_2addr_b64 v[188:191], v198 offset0:38 offset1:39
	s_waitcnt lgkmcnt(0)
	v_mul_f64 v[112:113], v[190:191], v[114:115]
	s_delay_alu instid0(VALU_DEP_1) | instskip(SKIP_1) | instid1(VALU_DEP_2)
	v_fma_f64 v[112:113], v[188:189], v[196:197], -v[112:113]
	v_mul_f64 v[188:189], v[188:189], v[114:115]
	v_add_f64 v[108:109], v[108:109], -v[112:113]
	s_delay_alu instid0(VALU_DEP_2) | instskip(NEXT) | instid1(VALU_DEP_1)
	v_fma_f64 v[188:189], v[190:191], v[196:197], v[188:189]
	v_add_f64 v[110:111], v[110:111], -v[188:189]
	ds_load_2addr_b64 v[188:191], v198 offset0:40 offset1:41
	s_waitcnt lgkmcnt(0)
	v_mul_f64 v[112:113], v[190:191], v[114:115]
	s_delay_alu instid0(VALU_DEP_1) | instskip(SKIP_1) | instid1(VALU_DEP_2)
	v_fma_f64 v[112:113], v[188:189], v[196:197], -v[112:113]
	v_mul_f64 v[188:189], v[188:189], v[114:115]
	v_add_f64 v[104:105], v[104:105], -v[112:113]
	s_delay_alu instid0(VALU_DEP_2) | instskip(NEXT) | instid1(VALU_DEP_1)
	v_fma_f64 v[188:189], v[190:191], v[196:197], v[188:189]
	v_add_f64 v[106:107], v[106:107], -v[188:189]
	ds_load_2addr_b64 v[188:191], v198 offset0:42 offset1:43
	s_waitcnt lgkmcnt(0)
	v_mul_f64 v[112:113], v[190:191], v[114:115]
	s_delay_alu instid0(VALU_DEP_1) | instskip(SKIP_1) | instid1(VALU_DEP_2)
	v_fma_f64 v[112:113], v[188:189], v[196:197], -v[112:113]
	v_mul_f64 v[188:189], v[188:189], v[114:115]
	v_add_f64 v[100:101], v[100:101], -v[112:113]
	s_delay_alu instid0(VALU_DEP_2) | instskip(NEXT) | instid1(VALU_DEP_1)
	v_fma_f64 v[188:189], v[190:191], v[196:197], v[188:189]
	v_add_f64 v[102:103], v[102:103], -v[188:189]
	ds_load_2addr_b64 v[188:191], v198 offset0:44 offset1:45
	s_waitcnt lgkmcnt(0)
	v_mul_f64 v[112:113], v[190:191], v[114:115]
	s_delay_alu instid0(VALU_DEP_1) | instskip(SKIP_1) | instid1(VALU_DEP_2)
	v_fma_f64 v[112:113], v[188:189], v[196:197], -v[112:113]
	v_mul_f64 v[188:189], v[188:189], v[114:115]
	v_add_f64 v[96:97], v[96:97], -v[112:113]
	s_delay_alu instid0(VALU_DEP_2) | instskip(NEXT) | instid1(VALU_DEP_1)
	v_fma_f64 v[188:189], v[190:191], v[196:197], v[188:189]
	v_add_f64 v[98:99], v[98:99], -v[188:189]
	ds_load_2addr_b64 v[188:191], v198 offset0:46 offset1:47
	s_waitcnt lgkmcnt(0)
	v_mul_f64 v[112:113], v[190:191], v[114:115]
	s_delay_alu instid0(VALU_DEP_1) | instskip(SKIP_1) | instid1(VALU_DEP_2)
	v_fma_f64 v[112:113], v[188:189], v[196:197], -v[112:113]
	v_mul_f64 v[188:189], v[188:189], v[114:115]
	v_add_f64 v[92:93], v[92:93], -v[112:113]
	s_delay_alu instid0(VALU_DEP_2) | instskip(NEXT) | instid1(VALU_DEP_1)
	v_fma_f64 v[188:189], v[190:191], v[196:197], v[188:189]
	v_add_f64 v[94:95], v[94:95], -v[188:189]
	ds_load_2addr_b64 v[188:191], v198 offset0:48 offset1:49
	s_waitcnt lgkmcnt(0)
	v_mul_f64 v[112:113], v[190:191], v[114:115]
	s_delay_alu instid0(VALU_DEP_1) | instskip(SKIP_1) | instid1(VALU_DEP_2)
	v_fma_f64 v[112:113], v[188:189], v[196:197], -v[112:113]
	v_mul_f64 v[188:189], v[188:189], v[114:115]
	v_add_f64 v[88:89], v[88:89], -v[112:113]
	s_delay_alu instid0(VALU_DEP_2) | instskip(NEXT) | instid1(VALU_DEP_1)
	v_fma_f64 v[188:189], v[190:191], v[196:197], v[188:189]
	v_add_f64 v[90:91], v[90:91], -v[188:189]
	ds_load_2addr_b64 v[188:191], v198 offset0:50 offset1:51
	s_waitcnt lgkmcnt(0)
	v_mul_f64 v[112:113], v[190:191], v[114:115]
	s_delay_alu instid0(VALU_DEP_1) | instskip(SKIP_1) | instid1(VALU_DEP_2)
	v_fma_f64 v[112:113], v[188:189], v[196:197], -v[112:113]
	v_mul_f64 v[188:189], v[188:189], v[114:115]
	v_add_f64 v[84:85], v[84:85], -v[112:113]
	s_delay_alu instid0(VALU_DEP_2) | instskip(NEXT) | instid1(VALU_DEP_1)
	v_fma_f64 v[188:189], v[190:191], v[196:197], v[188:189]
	v_add_f64 v[86:87], v[86:87], -v[188:189]
	ds_load_2addr_b64 v[188:191], v198 offset0:52 offset1:53
	s_waitcnt lgkmcnt(0)
	v_mul_f64 v[112:113], v[190:191], v[114:115]
	s_delay_alu instid0(VALU_DEP_1) | instskip(SKIP_1) | instid1(VALU_DEP_2)
	v_fma_f64 v[112:113], v[188:189], v[196:197], -v[112:113]
	v_mul_f64 v[188:189], v[188:189], v[114:115]
	v_add_f64 v[80:81], v[80:81], -v[112:113]
	s_delay_alu instid0(VALU_DEP_2) | instskip(NEXT) | instid1(VALU_DEP_1)
	v_fma_f64 v[188:189], v[190:191], v[196:197], v[188:189]
	v_add_f64 v[82:83], v[82:83], -v[188:189]
	ds_load_2addr_b64 v[188:191], v198 offset0:54 offset1:55
	s_waitcnt lgkmcnt(0)
	v_mul_f64 v[112:113], v[190:191], v[114:115]
	s_delay_alu instid0(VALU_DEP_1) | instskip(SKIP_1) | instid1(VALU_DEP_2)
	v_fma_f64 v[112:113], v[188:189], v[196:197], -v[112:113]
	v_mul_f64 v[188:189], v[188:189], v[114:115]
	v_add_f64 v[76:77], v[76:77], -v[112:113]
	s_delay_alu instid0(VALU_DEP_2) | instskip(NEXT) | instid1(VALU_DEP_1)
	v_fma_f64 v[188:189], v[190:191], v[196:197], v[188:189]
	v_add_f64 v[78:79], v[78:79], -v[188:189]
	ds_load_2addr_b64 v[188:191], v198 offset0:56 offset1:57
	s_waitcnt lgkmcnt(0)
	v_mul_f64 v[112:113], v[190:191], v[114:115]
	s_delay_alu instid0(VALU_DEP_1) | instskip(SKIP_1) | instid1(VALU_DEP_2)
	v_fma_f64 v[112:113], v[188:189], v[196:197], -v[112:113]
	v_mul_f64 v[188:189], v[188:189], v[114:115]
	v_add_f64 v[72:73], v[72:73], -v[112:113]
	s_delay_alu instid0(VALU_DEP_2) | instskip(NEXT) | instid1(VALU_DEP_1)
	v_fma_f64 v[188:189], v[190:191], v[196:197], v[188:189]
	v_add_f64 v[74:75], v[74:75], -v[188:189]
	ds_load_2addr_b64 v[188:191], v198 offset0:58 offset1:59
	s_waitcnt lgkmcnt(0)
	v_mul_f64 v[112:113], v[190:191], v[114:115]
	s_delay_alu instid0(VALU_DEP_1) | instskip(SKIP_1) | instid1(VALU_DEP_2)
	v_fma_f64 v[112:113], v[188:189], v[196:197], -v[112:113]
	v_mul_f64 v[188:189], v[188:189], v[114:115]
	v_add_f64 v[68:69], v[68:69], -v[112:113]
	s_delay_alu instid0(VALU_DEP_2) | instskip(NEXT) | instid1(VALU_DEP_1)
	v_fma_f64 v[188:189], v[190:191], v[196:197], v[188:189]
	v_add_f64 v[70:71], v[70:71], -v[188:189]
	ds_load_2addr_b64 v[188:191], v198 offset0:60 offset1:61
	s_waitcnt lgkmcnt(0)
	v_mul_f64 v[112:113], v[190:191], v[114:115]
	s_delay_alu instid0(VALU_DEP_1) | instskip(SKIP_1) | instid1(VALU_DEP_2)
	v_fma_f64 v[112:113], v[188:189], v[196:197], -v[112:113]
	v_mul_f64 v[188:189], v[188:189], v[114:115]
	v_add_f64 v[64:65], v[64:65], -v[112:113]
	s_delay_alu instid0(VALU_DEP_2) | instskip(NEXT) | instid1(VALU_DEP_1)
	v_fma_f64 v[188:189], v[190:191], v[196:197], v[188:189]
	v_add_f64 v[66:67], v[66:67], -v[188:189]
	ds_load_2addr_b64 v[188:191], v198 offset0:62 offset1:63
	s_waitcnt lgkmcnt(0)
	v_mul_f64 v[112:113], v[190:191], v[114:115]
	s_delay_alu instid0(VALU_DEP_1) | instskip(SKIP_1) | instid1(VALU_DEP_2)
	v_fma_f64 v[112:113], v[188:189], v[196:197], -v[112:113]
	v_mul_f64 v[188:189], v[188:189], v[114:115]
	v_add_f64 v[60:61], v[60:61], -v[112:113]
	s_delay_alu instid0(VALU_DEP_2) | instskip(NEXT) | instid1(VALU_DEP_1)
	v_fma_f64 v[188:189], v[190:191], v[196:197], v[188:189]
	v_add_f64 v[62:63], v[62:63], -v[188:189]
	ds_load_2addr_b64 v[188:191], v198 offset0:64 offset1:65
	s_waitcnt lgkmcnt(0)
	v_mul_f64 v[112:113], v[190:191], v[114:115]
	s_delay_alu instid0(VALU_DEP_1) | instskip(SKIP_1) | instid1(VALU_DEP_2)
	v_fma_f64 v[112:113], v[188:189], v[196:197], -v[112:113]
	v_mul_f64 v[188:189], v[188:189], v[114:115]
	v_add_f64 v[56:57], v[56:57], -v[112:113]
	s_delay_alu instid0(VALU_DEP_2) | instskip(NEXT) | instid1(VALU_DEP_1)
	v_fma_f64 v[188:189], v[190:191], v[196:197], v[188:189]
	v_add_f64 v[58:59], v[58:59], -v[188:189]
	ds_load_2addr_b64 v[188:191], v198 offset0:66 offset1:67
	s_waitcnt lgkmcnt(0)
	v_mul_f64 v[112:113], v[190:191], v[114:115]
	s_delay_alu instid0(VALU_DEP_1) | instskip(SKIP_1) | instid1(VALU_DEP_2)
	v_fma_f64 v[112:113], v[188:189], v[196:197], -v[112:113]
	v_mul_f64 v[188:189], v[188:189], v[114:115]
	v_add_f64 v[52:53], v[52:53], -v[112:113]
	s_delay_alu instid0(VALU_DEP_2) | instskip(NEXT) | instid1(VALU_DEP_1)
	v_fma_f64 v[188:189], v[190:191], v[196:197], v[188:189]
	v_add_f64 v[54:55], v[54:55], -v[188:189]
	ds_load_2addr_b64 v[188:191], v198 offset0:68 offset1:69
	s_waitcnt lgkmcnt(0)
	v_mul_f64 v[112:113], v[190:191], v[114:115]
	s_delay_alu instid0(VALU_DEP_1) | instskip(SKIP_1) | instid1(VALU_DEP_2)
	v_fma_f64 v[112:113], v[188:189], v[196:197], -v[112:113]
	v_mul_f64 v[188:189], v[188:189], v[114:115]
	v_add_f64 v[48:49], v[48:49], -v[112:113]
	s_delay_alu instid0(VALU_DEP_2) | instskip(NEXT) | instid1(VALU_DEP_1)
	v_fma_f64 v[188:189], v[190:191], v[196:197], v[188:189]
	v_add_f64 v[50:51], v[50:51], -v[188:189]
	ds_load_2addr_b64 v[188:191], v198 offset0:70 offset1:71
	s_waitcnt lgkmcnt(0)
	v_mul_f64 v[112:113], v[190:191], v[114:115]
	s_delay_alu instid0(VALU_DEP_1) | instskip(SKIP_1) | instid1(VALU_DEP_2)
	v_fma_f64 v[112:113], v[188:189], v[196:197], -v[112:113]
	v_mul_f64 v[188:189], v[188:189], v[114:115]
	v_add_f64 v[44:45], v[44:45], -v[112:113]
	s_delay_alu instid0(VALU_DEP_2) | instskip(NEXT) | instid1(VALU_DEP_1)
	v_fma_f64 v[188:189], v[190:191], v[196:197], v[188:189]
	v_add_f64 v[46:47], v[46:47], -v[188:189]
	ds_load_2addr_b64 v[188:191], v198 offset0:72 offset1:73
	s_waitcnt lgkmcnt(0)
	v_mul_f64 v[112:113], v[190:191], v[114:115]
	s_delay_alu instid0(VALU_DEP_1) | instskip(SKIP_1) | instid1(VALU_DEP_2)
	v_fma_f64 v[112:113], v[188:189], v[196:197], -v[112:113]
	v_mul_f64 v[188:189], v[188:189], v[114:115]
	v_add_f64 v[40:41], v[40:41], -v[112:113]
	s_delay_alu instid0(VALU_DEP_2) | instskip(NEXT) | instid1(VALU_DEP_1)
	v_fma_f64 v[188:189], v[190:191], v[196:197], v[188:189]
	v_add_f64 v[42:43], v[42:43], -v[188:189]
	ds_load_2addr_b64 v[188:191], v198 offset0:74 offset1:75
	s_waitcnt lgkmcnt(0)
	v_mul_f64 v[112:113], v[190:191], v[114:115]
	s_delay_alu instid0(VALU_DEP_1) | instskip(SKIP_1) | instid1(VALU_DEP_2)
	v_fma_f64 v[112:113], v[188:189], v[196:197], -v[112:113]
	v_mul_f64 v[188:189], v[188:189], v[114:115]
	v_add_f64 v[36:37], v[36:37], -v[112:113]
	s_delay_alu instid0(VALU_DEP_2) | instskip(NEXT) | instid1(VALU_DEP_1)
	v_fma_f64 v[188:189], v[190:191], v[196:197], v[188:189]
	v_add_f64 v[38:39], v[38:39], -v[188:189]
	ds_load_2addr_b64 v[188:191], v198 offset0:76 offset1:77
	s_waitcnt lgkmcnt(0)
	v_mul_f64 v[112:113], v[190:191], v[114:115]
	s_delay_alu instid0(VALU_DEP_1) | instskip(SKIP_1) | instid1(VALU_DEP_2)
	v_fma_f64 v[112:113], v[188:189], v[196:197], -v[112:113]
	v_mul_f64 v[188:189], v[188:189], v[114:115]
	v_add_f64 v[32:33], v[32:33], -v[112:113]
	s_delay_alu instid0(VALU_DEP_2) | instskip(NEXT) | instid1(VALU_DEP_1)
	v_fma_f64 v[188:189], v[190:191], v[196:197], v[188:189]
	v_add_f64 v[34:35], v[34:35], -v[188:189]
	ds_load_2addr_b64 v[188:191], v198 offset0:78 offset1:79
	s_waitcnt lgkmcnt(0)
	v_mul_f64 v[112:113], v[190:191], v[114:115]
	s_delay_alu instid0(VALU_DEP_1) | instskip(SKIP_1) | instid1(VALU_DEP_2)
	v_fma_f64 v[112:113], v[188:189], v[196:197], -v[112:113]
	v_mul_f64 v[188:189], v[188:189], v[114:115]
	v_add_f64 v[28:29], v[28:29], -v[112:113]
	s_delay_alu instid0(VALU_DEP_2) | instskip(NEXT) | instid1(VALU_DEP_1)
	v_fma_f64 v[188:189], v[190:191], v[196:197], v[188:189]
	v_add_f64 v[30:31], v[30:31], -v[188:189]
	ds_load_2addr_b64 v[188:191], v198 offset0:80 offset1:81
	s_waitcnt lgkmcnt(0)
	v_mul_f64 v[112:113], v[190:191], v[114:115]
	s_delay_alu instid0(VALU_DEP_1) | instskip(SKIP_1) | instid1(VALU_DEP_2)
	v_fma_f64 v[112:113], v[188:189], v[196:197], -v[112:113]
	v_mul_f64 v[188:189], v[188:189], v[114:115]
	v_add_f64 v[24:25], v[24:25], -v[112:113]
	s_delay_alu instid0(VALU_DEP_2) | instskip(NEXT) | instid1(VALU_DEP_1)
	v_fma_f64 v[188:189], v[190:191], v[196:197], v[188:189]
	v_add_f64 v[26:27], v[26:27], -v[188:189]
	ds_load_2addr_b64 v[188:191], v198 offset0:82 offset1:83
	s_waitcnt lgkmcnt(0)
	v_mul_f64 v[112:113], v[190:191], v[114:115]
	s_delay_alu instid0(VALU_DEP_1) | instskip(SKIP_1) | instid1(VALU_DEP_2)
	v_fma_f64 v[112:113], v[188:189], v[196:197], -v[112:113]
	v_mul_f64 v[188:189], v[188:189], v[114:115]
	v_add_f64 v[20:21], v[20:21], -v[112:113]
	s_delay_alu instid0(VALU_DEP_2) | instskip(NEXT) | instid1(VALU_DEP_1)
	v_fma_f64 v[188:189], v[190:191], v[196:197], v[188:189]
	v_add_f64 v[22:23], v[22:23], -v[188:189]
	ds_load_2addr_b64 v[188:191], v198 offset0:84 offset1:85
	s_waitcnt lgkmcnt(0)
	v_mul_f64 v[112:113], v[190:191], v[114:115]
	s_delay_alu instid0(VALU_DEP_1) | instskip(SKIP_1) | instid1(VALU_DEP_2)
	v_fma_f64 v[112:113], v[188:189], v[196:197], -v[112:113]
	v_mul_f64 v[188:189], v[188:189], v[114:115]
	v_add_f64 v[16:17], v[16:17], -v[112:113]
	s_delay_alu instid0(VALU_DEP_2) | instskip(NEXT) | instid1(VALU_DEP_1)
	v_fma_f64 v[188:189], v[190:191], v[196:197], v[188:189]
	v_add_f64 v[18:19], v[18:19], -v[188:189]
	ds_load_2addr_b64 v[188:191], v198 offset0:86 offset1:87
	s_waitcnt lgkmcnt(0)
	v_mul_f64 v[112:113], v[190:191], v[114:115]
	s_delay_alu instid0(VALU_DEP_1) | instskip(SKIP_1) | instid1(VALU_DEP_2)
	v_fma_f64 v[112:113], v[188:189], v[196:197], -v[112:113]
	v_mul_f64 v[188:189], v[188:189], v[114:115]
	v_add_f64 v[12:13], v[12:13], -v[112:113]
	s_delay_alu instid0(VALU_DEP_2) | instskip(NEXT) | instid1(VALU_DEP_1)
	v_fma_f64 v[188:189], v[190:191], v[196:197], v[188:189]
	v_add_f64 v[14:15], v[14:15], -v[188:189]
	ds_load_2addr_b64 v[188:191], v198 offset0:88 offset1:89
	s_waitcnt lgkmcnt(0)
	v_mul_f64 v[112:113], v[190:191], v[114:115]
	s_delay_alu instid0(VALU_DEP_1) | instskip(SKIP_1) | instid1(VALU_DEP_2)
	v_fma_f64 v[112:113], v[188:189], v[196:197], -v[112:113]
	v_mul_f64 v[188:189], v[188:189], v[114:115]
	v_add_f64 v[8:9], v[8:9], -v[112:113]
	s_delay_alu instid0(VALU_DEP_2) | instskip(NEXT) | instid1(VALU_DEP_1)
	v_fma_f64 v[188:189], v[190:191], v[196:197], v[188:189]
	v_add_f64 v[10:11], v[10:11], -v[188:189]
	ds_load_2addr_b64 v[188:191], v198 offset0:90 offset1:91
	s_waitcnt lgkmcnt(0)
	v_mul_f64 v[112:113], v[190:191], v[114:115]
	s_delay_alu instid0(VALU_DEP_1) | instskip(SKIP_1) | instid1(VALU_DEP_2)
	v_fma_f64 v[112:113], v[188:189], v[196:197], -v[112:113]
	v_mul_f64 v[188:189], v[188:189], v[114:115]
	v_add_f64 v[4:5], v[4:5], -v[112:113]
	s_delay_alu instid0(VALU_DEP_2) | instskip(NEXT) | instid1(VALU_DEP_1)
	v_fma_f64 v[188:189], v[190:191], v[196:197], v[188:189]
	v_add_f64 v[6:7], v[6:7], -v[188:189]
	ds_load_2addr_b64 v[188:191], v198 offset0:92 offset1:93
	s_waitcnt lgkmcnt(0)
	v_mul_f64 v[112:113], v[190:191], v[114:115]
	s_delay_alu instid0(VALU_DEP_1) | instskip(SKIP_1) | instid1(VALU_DEP_2)
	v_fma_f64 v[112:113], v[188:189], v[196:197], -v[112:113]
	v_mul_f64 v[188:189], v[188:189], v[114:115]
	v_add_f64 v[0:1], v[0:1], -v[112:113]
	s_delay_alu instid0(VALU_DEP_2) | instskip(SKIP_1) | instid1(VALU_DEP_2)
	v_fma_f64 v[188:189], v[190:191], v[196:197], v[188:189]
	v_dual_mov_b32 v112, v196 :: v_dual_mov_b32 v113, v197
	v_add_f64 v[2:3], v[2:3], -v[188:189]
.LBB92_398:
	s_or_b32 exec_lo, exec_lo, s2
	v_lshl_add_u32 v188, v204, 4, v198
	s_barrier
	buffer_gl0_inv
	v_mov_b32_e32 v196, 19
	ds_store_2addr_b64 v188, v[108:109], v[110:111] offset1:1
	s_waitcnt lgkmcnt(0)
	s_barrier
	buffer_gl0_inv
	ds_load_2addr_b64 v[188:191], v198 offset0:38 offset1:39
	s_cmp_lt_i32 s5, 21
	s_cbranch_scc1 .LBB92_401
; %bb.399:
	v_add3_u32 v197, v203, 0, 0x140
	v_mov_b32_e32 v196, 19
	s_mov_b32 s6, 20
	s_set_inst_prefetch_distance 0x1
	.p2align	6
.LBB92_400:                             ; =>This Inner Loop Header: Depth=1
	ds_load_2addr_b64 v[205:208], v197 offset1:1
	s_waitcnt lgkmcnt(1)
	v_cmp_gt_f64_e32 vcc_lo, 0, v[188:189]
	v_xor_b32_e32 v209, 0x80000000, v189
	v_cmp_gt_f64_e64 s2, 0, v[190:191]
	v_xor_b32_e32 v211, 0x80000000, v191
	v_add_nc_u32_e32 v197, 16, v197
	s_waitcnt lgkmcnt(0)
	v_cmp_gt_f64_e64 s3, 0, v[205:206]
	v_mov_b32_e32 v213, v205
	v_dual_mov_b32 v215, v207 :: v_dual_cndmask_b32 v210, v189, v209
	v_xor_b32_e32 v209, 0x80000000, v206
	v_cndmask_b32_e64 v212, v191, v211, s2
	v_xor_b32_e32 v211, 0x80000000, v208
	s_delay_alu instid0(VALU_DEP_3) | instskip(SKIP_2) | instid1(VALU_DEP_2)
	v_cndmask_b32_e64 v214, v206, v209, s3
	v_cmp_gt_f64_e64 s3, 0, v[207:208]
	v_cndmask_b32_e32 v209, v188, v188, vcc_lo
	v_cndmask_b32_e64 v216, v208, v211, s3
	v_cndmask_b32_e64 v211, v190, v190, s2
	s_delay_alu instid0(VALU_DEP_2) | instskip(NEXT) | instid1(VALU_DEP_2)
	v_add_f64 v[213:214], v[213:214], v[215:216]
	v_add_f64 v[209:210], v[209:210], v[211:212]
	s_delay_alu instid0(VALU_DEP_1) | instskip(SKIP_4) | instid1(SALU_CYCLE_1)
	v_cmp_lt_f64_e32 vcc_lo, v[209:210], v[213:214]
	v_dual_cndmask_b32 v190, v190, v207 :: v_dual_cndmask_b32 v189, v189, v206
	v_dual_cndmask_b32 v188, v188, v205 :: v_dual_cndmask_b32 v191, v191, v208
	v_cndmask_b32_e64 v196, v196, s6, vcc_lo
	s_add_i32 s6, s6, 1
	s_cmp_lg_u32 s5, s6
	s_cbranch_scc1 .LBB92_400
.LBB92_401:
	s_set_inst_prefetch_distance 0x2
	s_waitcnt lgkmcnt(0)
	v_cmp_eq_f64_e32 vcc_lo, 0, v[188:189]
	v_cmp_eq_f64_e64 s2, 0, v[190:191]
	s_delay_alu instid0(VALU_DEP_1) | instskip(NEXT) | instid1(SALU_CYCLE_1)
	s_and_b32 s2, vcc_lo, s2
	s_and_saveexec_b32 s3, s2
	s_delay_alu instid0(SALU_CYCLE_1)
	s_xor_b32 s2, exec_lo, s3
; %bb.402:
	v_cmp_ne_u32_e32 vcc_lo, 0, v201
	v_cndmask_b32_e32 v201, 20, v201, vcc_lo
; %bb.403:
	s_and_not1_saveexec_b32 s3, s2
	s_cbranch_execz .LBB92_409
; %bb.404:
	v_cmp_gt_f64_e32 vcc_lo, 0, v[188:189]
	v_cmp_gt_f64_e64 s2, 0, v[190:191]
	v_xor_b32_e32 v197, 0x80000000, v189
	v_xor_b32_e32 v205, 0x80000000, v191
	s_delay_alu instid0(VALU_DEP_2) | instskip(NEXT) | instid1(VALU_DEP_2)
	v_cndmask_b32_e32 v206, v189, v197, vcc_lo
	v_cndmask_b32_e64 v208, v191, v205, s2
	v_cndmask_b32_e32 v205, v188, v188, vcc_lo
	v_cndmask_b32_e64 v207, v190, v190, s2
	s_mov_b32 s2, exec_lo
	s_delay_alu instid0(VALU_DEP_1)
	v_cmpx_ngt_f64_e32 v[205:206], v[207:208]
	s_xor_b32 s2, exec_lo, s2
	s_cbranch_execz .LBB92_406
; %bb.405:
	v_div_scale_f64 v[205:206], null, v[190:191], v[190:191], v[188:189]
	v_div_scale_f64 v[211:212], vcc_lo, v[188:189], v[190:191], v[188:189]
	s_delay_alu instid0(VALU_DEP_2) | instskip(SKIP_2) | instid1(VALU_DEP_1)
	v_rcp_f64_e32 v[207:208], v[205:206]
	s_waitcnt_depctr 0xfff
	v_fma_f64 v[209:210], -v[205:206], v[207:208], 1.0
	v_fma_f64 v[207:208], v[207:208], v[209:210], v[207:208]
	s_delay_alu instid0(VALU_DEP_1) | instskip(NEXT) | instid1(VALU_DEP_1)
	v_fma_f64 v[209:210], -v[205:206], v[207:208], 1.0
	v_fma_f64 v[207:208], v[207:208], v[209:210], v[207:208]
	s_delay_alu instid0(VALU_DEP_1) | instskip(NEXT) | instid1(VALU_DEP_1)
	v_mul_f64 v[209:210], v[211:212], v[207:208]
	v_fma_f64 v[205:206], -v[205:206], v[209:210], v[211:212]
	s_delay_alu instid0(VALU_DEP_1) | instskip(NEXT) | instid1(VALU_DEP_1)
	v_div_fmas_f64 v[205:206], v[205:206], v[207:208], v[209:210]
	v_div_fixup_f64 v[205:206], v[205:206], v[190:191], v[188:189]
	s_delay_alu instid0(VALU_DEP_1) | instskip(NEXT) | instid1(VALU_DEP_1)
	v_fma_f64 v[188:189], v[188:189], v[205:206], v[190:191]
	v_div_scale_f64 v[190:191], null, v[188:189], v[188:189], 1.0
	s_delay_alu instid0(VALU_DEP_1) | instskip(SKIP_2) | instid1(VALU_DEP_1)
	v_rcp_f64_e32 v[207:208], v[190:191]
	s_waitcnt_depctr 0xfff
	v_fma_f64 v[209:210], -v[190:191], v[207:208], 1.0
	v_fma_f64 v[207:208], v[207:208], v[209:210], v[207:208]
	s_delay_alu instid0(VALU_DEP_1) | instskip(NEXT) | instid1(VALU_DEP_1)
	v_fma_f64 v[209:210], -v[190:191], v[207:208], 1.0
	v_fma_f64 v[207:208], v[207:208], v[209:210], v[207:208]
	v_div_scale_f64 v[209:210], vcc_lo, 1.0, v[188:189], 1.0
	s_delay_alu instid0(VALU_DEP_1) | instskip(NEXT) | instid1(VALU_DEP_1)
	v_mul_f64 v[211:212], v[209:210], v[207:208]
	v_fma_f64 v[190:191], -v[190:191], v[211:212], v[209:210]
	s_delay_alu instid0(VALU_DEP_1) | instskip(NEXT) | instid1(VALU_DEP_1)
	v_div_fmas_f64 v[190:191], v[190:191], v[207:208], v[211:212]
	v_div_fixup_f64 v[190:191], v[190:191], v[188:189], 1.0
	s_delay_alu instid0(VALU_DEP_1)
	v_mul_f64 v[188:189], v[205:206], v[190:191]
	v_xor_b32_e32 v191, 0x80000000, v191
.LBB92_406:
	s_and_not1_saveexec_b32 s2, s2
	s_cbranch_execz .LBB92_408
; %bb.407:
	s_delay_alu instid0(VALU_DEP_1) | instskip(SKIP_1) | instid1(VALU_DEP_2)
	v_div_scale_f64 v[205:206], null, v[188:189], v[188:189], v[190:191]
	v_div_scale_f64 v[211:212], vcc_lo, v[190:191], v[188:189], v[190:191]
	v_rcp_f64_e32 v[207:208], v[205:206]
	s_waitcnt_depctr 0xfff
	v_fma_f64 v[209:210], -v[205:206], v[207:208], 1.0
	s_delay_alu instid0(VALU_DEP_1) | instskip(NEXT) | instid1(VALU_DEP_1)
	v_fma_f64 v[207:208], v[207:208], v[209:210], v[207:208]
	v_fma_f64 v[209:210], -v[205:206], v[207:208], 1.0
	s_delay_alu instid0(VALU_DEP_1) | instskip(NEXT) | instid1(VALU_DEP_1)
	v_fma_f64 v[207:208], v[207:208], v[209:210], v[207:208]
	v_mul_f64 v[209:210], v[211:212], v[207:208]
	s_delay_alu instid0(VALU_DEP_1) | instskip(NEXT) | instid1(VALU_DEP_1)
	v_fma_f64 v[205:206], -v[205:206], v[209:210], v[211:212]
	v_div_fmas_f64 v[205:206], v[205:206], v[207:208], v[209:210]
	s_delay_alu instid0(VALU_DEP_1) | instskip(NEXT) | instid1(VALU_DEP_1)
	v_div_fixup_f64 v[205:206], v[205:206], v[188:189], v[190:191]
	v_fma_f64 v[188:189], v[190:191], v[205:206], v[188:189]
	s_delay_alu instid0(VALU_DEP_1) | instskip(NEXT) | instid1(VALU_DEP_1)
	v_div_scale_f64 v[190:191], null, v[188:189], v[188:189], 1.0
	v_rcp_f64_e32 v[207:208], v[190:191]
	s_waitcnt_depctr 0xfff
	v_fma_f64 v[209:210], -v[190:191], v[207:208], 1.0
	s_delay_alu instid0(VALU_DEP_1) | instskip(NEXT) | instid1(VALU_DEP_1)
	v_fma_f64 v[207:208], v[207:208], v[209:210], v[207:208]
	v_fma_f64 v[209:210], -v[190:191], v[207:208], 1.0
	s_delay_alu instid0(VALU_DEP_1) | instskip(SKIP_1) | instid1(VALU_DEP_1)
	v_fma_f64 v[207:208], v[207:208], v[209:210], v[207:208]
	v_div_scale_f64 v[209:210], vcc_lo, 1.0, v[188:189], 1.0
	v_mul_f64 v[211:212], v[209:210], v[207:208]
	s_delay_alu instid0(VALU_DEP_1) | instskip(NEXT) | instid1(VALU_DEP_1)
	v_fma_f64 v[190:191], -v[190:191], v[211:212], v[209:210]
	v_div_fmas_f64 v[190:191], v[190:191], v[207:208], v[211:212]
	s_delay_alu instid0(VALU_DEP_1) | instskip(NEXT) | instid1(VALU_DEP_1)
	v_div_fixup_f64 v[188:189], v[190:191], v[188:189], 1.0
	v_mul_f64 v[190:191], v[205:206], -v[188:189]
.LBB92_408:
	s_or_b32 exec_lo, exec_lo, s2
.LBB92_409:
	s_delay_alu instid0(SALU_CYCLE_1) | instskip(NEXT) | instid1(SALU_CYCLE_1)
	s_or_b32 exec_lo, exec_lo, s3
	s_mov_b32 s2, exec_lo
	v_cmpx_ne_u32_e64 v204, v196
	s_xor_b32 s2, exec_lo, s2
	s_cbranch_execz .LBB92_415
; %bb.410:
	s_mov_b32 s3, exec_lo
	v_cmpx_eq_u32_e32 19, v204
	s_cbranch_execz .LBB92_414
; %bb.411:
	v_cmp_ne_u32_e32 vcc_lo, 19, v196
	s_xor_b32 s6, s4, -1
	s_delay_alu instid0(SALU_CYCLE_1) | instskip(NEXT) | instid1(SALU_CYCLE_1)
	s_and_b32 s7, s6, vcc_lo
	s_and_saveexec_b32 s6, s7
	s_cbranch_execz .LBB92_413
; %bb.412:
	v_ashrrev_i32_e32 v197, 31, v196
	s_delay_alu instid0(VALU_DEP_1) | instskip(NEXT) | instid1(VALU_DEP_1)
	v_lshlrev_b64 v[204:205], 2, v[196:197]
	v_add_co_u32 v204, vcc_lo, v194, v204
	s_delay_alu instid0(VALU_DEP_2)
	v_add_co_ci_u32_e32 v205, vcc_lo, v195, v205, vcc_lo
	s_clause 0x1
	flat_load_b32 v197, v[204:205]
	flat_load_b32 v202, v[194:195] offset:76
	s_waitcnt vmcnt(1) lgkmcnt(1)
	flat_store_b32 v[194:195], v197 offset:76
	s_waitcnt vmcnt(0) lgkmcnt(1)
	flat_store_b32 v[204:205], v202
.LBB92_413:
	s_or_b32 exec_lo, exec_lo, s6
	v_mov_b32_e32 v204, v196
	v_mov_b32_e32 v202, v196
.LBB92_414:
	s_or_b32 exec_lo, exec_lo, s3
.LBB92_415:
	s_and_not1_saveexec_b32 s2, s2
	s_cbranch_execz .LBB92_417
; %bb.416:
	v_mov_b32_e32 v204, 19
	ds_store_2addr_b64 v198, v[104:105], v[106:107] offset0:40 offset1:41
	ds_store_2addr_b64 v198, v[100:101], v[102:103] offset0:42 offset1:43
	;; [unrolled: 1-line block ×27, first 2 shown]
.LBB92_417:
	s_or_b32 exec_lo, exec_lo, s2
	s_delay_alu instid0(SALU_CYCLE_1)
	s_mov_b32 s2, exec_lo
	s_waitcnt lgkmcnt(0)
	s_waitcnt_vscnt null, 0x0
	s_barrier
	buffer_gl0_inv
	v_cmpx_lt_i32_e32 19, v204
	s_cbranch_execz .LBB92_419
; %bb.418:
	v_mul_f64 v[196:197], v[190:191], v[110:111]
	v_mul_f64 v[110:111], v[188:189], v[110:111]
	s_delay_alu instid0(VALU_DEP_2) | instskip(NEXT) | instid1(VALU_DEP_2)
	v_fma_f64 v[196:197], v[188:189], v[108:109], -v[196:197]
	v_fma_f64 v[110:111], v[190:191], v[108:109], v[110:111]
	ds_load_2addr_b64 v[188:191], v198 offset0:40 offset1:41
	s_waitcnt lgkmcnt(0)
	v_mul_f64 v[108:109], v[190:191], v[110:111]
	s_delay_alu instid0(VALU_DEP_1) | instskip(SKIP_1) | instid1(VALU_DEP_2)
	v_fma_f64 v[108:109], v[188:189], v[196:197], -v[108:109]
	v_mul_f64 v[188:189], v[188:189], v[110:111]
	v_add_f64 v[104:105], v[104:105], -v[108:109]
	s_delay_alu instid0(VALU_DEP_2) | instskip(NEXT) | instid1(VALU_DEP_1)
	v_fma_f64 v[188:189], v[190:191], v[196:197], v[188:189]
	v_add_f64 v[106:107], v[106:107], -v[188:189]
	ds_load_2addr_b64 v[188:191], v198 offset0:42 offset1:43
	s_waitcnt lgkmcnt(0)
	v_mul_f64 v[108:109], v[190:191], v[110:111]
	s_delay_alu instid0(VALU_DEP_1) | instskip(SKIP_1) | instid1(VALU_DEP_2)
	v_fma_f64 v[108:109], v[188:189], v[196:197], -v[108:109]
	v_mul_f64 v[188:189], v[188:189], v[110:111]
	v_add_f64 v[100:101], v[100:101], -v[108:109]
	s_delay_alu instid0(VALU_DEP_2) | instskip(NEXT) | instid1(VALU_DEP_1)
	v_fma_f64 v[188:189], v[190:191], v[196:197], v[188:189]
	v_add_f64 v[102:103], v[102:103], -v[188:189]
	;; [unrolled: 10-line block ×26, first 2 shown]
	ds_load_2addr_b64 v[188:191], v198 offset0:92 offset1:93
	s_waitcnt lgkmcnt(0)
	v_mul_f64 v[108:109], v[190:191], v[110:111]
	s_delay_alu instid0(VALU_DEP_1) | instskip(SKIP_1) | instid1(VALU_DEP_2)
	v_fma_f64 v[108:109], v[188:189], v[196:197], -v[108:109]
	v_mul_f64 v[188:189], v[188:189], v[110:111]
	v_add_f64 v[0:1], v[0:1], -v[108:109]
	s_delay_alu instid0(VALU_DEP_2) | instskip(SKIP_1) | instid1(VALU_DEP_2)
	v_fma_f64 v[188:189], v[190:191], v[196:197], v[188:189]
	v_dual_mov_b32 v108, v196 :: v_dual_mov_b32 v109, v197
	v_add_f64 v[2:3], v[2:3], -v[188:189]
.LBB92_419:
	s_or_b32 exec_lo, exec_lo, s2
	v_lshl_add_u32 v188, v204, 4, v198
	s_barrier
	buffer_gl0_inv
	v_mov_b32_e32 v196, 20
	ds_store_2addr_b64 v188, v[104:105], v[106:107] offset1:1
	s_waitcnt lgkmcnt(0)
	s_barrier
	buffer_gl0_inv
	ds_load_2addr_b64 v[188:191], v198 offset0:40 offset1:41
	s_cmp_lt_i32 s5, 22
	s_cbranch_scc1 .LBB92_422
; %bb.420:
	v_add3_u32 v197, v203, 0, 0x150
	v_mov_b32_e32 v196, 20
	s_mov_b32 s6, 21
	s_set_inst_prefetch_distance 0x1
	.p2align	6
.LBB92_421:                             ; =>This Inner Loop Header: Depth=1
	ds_load_2addr_b64 v[205:208], v197 offset1:1
	s_waitcnt lgkmcnt(1)
	v_cmp_gt_f64_e32 vcc_lo, 0, v[188:189]
	v_xor_b32_e32 v209, 0x80000000, v189
	v_cmp_gt_f64_e64 s2, 0, v[190:191]
	v_xor_b32_e32 v211, 0x80000000, v191
	v_add_nc_u32_e32 v197, 16, v197
	s_waitcnt lgkmcnt(0)
	v_cmp_gt_f64_e64 s3, 0, v[205:206]
	v_mov_b32_e32 v213, v205
	v_dual_mov_b32 v215, v207 :: v_dual_cndmask_b32 v210, v189, v209
	v_xor_b32_e32 v209, 0x80000000, v206
	v_cndmask_b32_e64 v212, v191, v211, s2
	v_xor_b32_e32 v211, 0x80000000, v208
	s_delay_alu instid0(VALU_DEP_3) | instskip(SKIP_2) | instid1(VALU_DEP_2)
	v_cndmask_b32_e64 v214, v206, v209, s3
	v_cmp_gt_f64_e64 s3, 0, v[207:208]
	v_cndmask_b32_e32 v209, v188, v188, vcc_lo
	v_cndmask_b32_e64 v216, v208, v211, s3
	v_cndmask_b32_e64 v211, v190, v190, s2
	s_delay_alu instid0(VALU_DEP_2) | instskip(NEXT) | instid1(VALU_DEP_2)
	v_add_f64 v[213:214], v[213:214], v[215:216]
	v_add_f64 v[209:210], v[209:210], v[211:212]
	s_delay_alu instid0(VALU_DEP_1) | instskip(SKIP_4) | instid1(SALU_CYCLE_1)
	v_cmp_lt_f64_e32 vcc_lo, v[209:210], v[213:214]
	v_dual_cndmask_b32 v190, v190, v207 :: v_dual_cndmask_b32 v189, v189, v206
	v_dual_cndmask_b32 v188, v188, v205 :: v_dual_cndmask_b32 v191, v191, v208
	v_cndmask_b32_e64 v196, v196, s6, vcc_lo
	s_add_i32 s6, s6, 1
	s_cmp_lg_u32 s5, s6
	s_cbranch_scc1 .LBB92_421
.LBB92_422:
	s_set_inst_prefetch_distance 0x2
	s_waitcnt lgkmcnt(0)
	v_cmp_eq_f64_e32 vcc_lo, 0, v[188:189]
	v_cmp_eq_f64_e64 s2, 0, v[190:191]
	s_delay_alu instid0(VALU_DEP_1) | instskip(NEXT) | instid1(SALU_CYCLE_1)
	s_and_b32 s2, vcc_lo, s2
	s_and_saveexec_b32 s3, s2
	s_delay_alu instid0(SALU_CYCLE_1)
	s_xor_b32 s2, exec_lo, s3
; %bb.423:
	v_cmp_ne_u32_e32 vcc_lo, 0, v201
	v_cndmask_b32_e32 v201, 21, v201, vcc_lo
; %bb.424:
	s_and_not1_saveexec_b32 s3, s2
	s_cbranch_execz .LBB92_430
; %bb.425:
	v_cmp_gt_f64_e32 vcc_lo, 0, v[188:189]
	v_cmp_gt_f64_e64 s2, 0, v[190:191]
	v_xor_b32_e32 v197, 0x80000000, v189
	v_xor_b32_e32 v205, 0x80000000, v191
	s_delay_alu instid0(VALU_DEP_2) | instskip(NEXT) | instid1(VALU_DEP_2)
	v_cndmask_b32_e32 v206, v189, v197, vcc_lo
	v_cndmask_b32_e64 v208, v191, v205, s2
	v_cndmask_b32_e32 v205, v188, v188, vcc_lo
	v_cndmask_b32_e64 v207, v190, v190, s2
	s_mov_b32 s2, exec_lo
	s_delay_alu instid0(VALU_DEP_1)
	v_cmpx_ngt_f64_e32 v[205:206], v[207:208]
	s_xor_b32 s2, exec_lo, s2
	s_cbranch_execz .LBB92_427
; %bb.426:
	v_div_scale_f64 v[205:206], null, v[190:191], v[190:191], v[188:189]
	v_div_scale_f64 v[211:212], vcc_lo, v[188:189], v[190:191], v[188:189]
	s_delay_alu instid0(VALU_DEP_2) | instskip(SKIP_2) | instid1(VALU_DEP_1)
	v_rcp_f64_e32 v[207:208], v[205:206]
	s_waitcnt_depctr 0xfff
	v_fma_f64 v[209:210], -v[205:206], v[207:208], 1.0
	v_fma_f64 v[207:208], v[207:208], v[209:210], v[207:208]
	s_delay_alu instid0(VALU_DEP_1) | instskip(NEXT) | instid1(VALU_DEP_1)
	v_fma_f64 v[209:210], -v[205:206], v[207:208], 1.0
	v_fma_f64 v[207:208], v[207:208], v[209:210], v[207:208]
	s_delay_alu instid0(VALU_DEP_1) | instskip(NEXT) | instid1(VALU_DEP_1)
	v_mul_f64 v[209:210], v[211:212], v[207:208]
	v_fma_f64 v[205:206], -v[205:206], v[209:210], v[211:212]
	s_delay_alu instid0(VALU_DEP_1) | instskip(NEXT) | instid1(VALU_DEP_1)
	v_div_fmas_f64 v[205:206], v[205:206], v[207:208], v[209:210]
	v_div_fixup_f64 v[205:206], v[205:206], v[190:191], v[188:189]
	s_delay_alu instid0(VALU_DEP_1) | instskip(NEXT) | instid1(VALU_DEP_1)
	v_fma_f64 v[188:189], v[188:189], v[205:206], v[190:191]
	v_div_scale_f64 v[190:191], null, v[188:189], v[188:189], 1.0
	s_delay_alu instid0(VALU_DEP_1) | instskip(SKIP_2) | instid1(VALU_DEP_1)
	v_rcp_f64_e32 v[207:208], v[190:191]
	s_waitcnt_depctr 0xfff
	v_fma_f64 v[209:210], -v[190:191], v[207:208], 1.0
	v_fma_f64 v[207:208], v[207:208], v[209:210], v[207:208]
	s_delay_alu instid0(VALU_DEP_1) | instskip(NEXT) | instid1(VALU_DEP_1)
	v_fma_f64 v[209:210], -v[190:191], v[207:208], 1.0
	v_fma_f64 v[207:208], v[207:208], v[209:210], v[207:208]
	v_div_scale_f64 v[209:210], vcc_lo, 1.0, v[188:189], 1.0
	s_delay_alu instid0(VALU_DEP_1) | instskip(NEXT) | instid1(VALU_DEP_1)
	v_mul_f64 v[211:212], v[209:210], v[207:208]
	v_fma_f64 v[190:191], -v[190:191], v[211:212], v[209:210]
	s_delay_alu instid0(VALU_DEP_1) | instskip(NEXT) | instid1(VALU_DEP_1)
	v_div_fmas_f64 v[190:191], v[190:191], v[207:208], v[211:212]
	v_div_fixup_f64 v[190:191], v[190:191], v[188:189], 1.0
	s_delay_alu instid0(VALU_DEP_1)
	v_mul_f64 v[188:189], v[205:206], v[190:191]
	v_xor_b32_e32 v191, 0x80000000, v191
.LBB92_427:
	s_and_not1_saveexec_b32 s2, s2
	s_cbranch_execz .LBB92_429
; %bb.428:
	s_delay_alu instid0(VALU_DEP_1) | instskip(SKIP_1) | instid1(VALU_DEP_2)
	v_div_scale_f64 v[205:206], null, v[188:189], v[188:189], v[190:191]
	v_div_scale_f64 v[211:212], vcc_lo, v[190:191], v[188:189], v[190:191]
	v_rcp_f64_e32 v[207:208], v[205:206]
	s_waitcnt_depctr 0xfff
	v_fma_f64 v[209:210], -v[205:206], v[207:208], 1.0
	s_delay_alu instid0(VALU_DEP_1) | instskip(NEXT) | instid1(VALU_DEP_1)
	v_fma_f64 v[207:208], v[207:208], v[209:210], v[207:208]
	v_fma_f64 v[209:210], -v[205:206], v[207:208], 1.0
	s_delay_alu instid0(VALU_DEP_1) | instskip(NEXT) | instid1(VALU_DEP_1)
	v_fma_f64 v[207:208], v[207:208], v[209:210], v[207:208]
	v_mul_f64 v[209:210], v[211:212], v[207:208]
	s_delay_alu instid0(VALU_DEP_1) | instskip(NEXT) | instid1(VALU_DEP_1)
	v_fma_f64 v[205:206], -v[205:206], v[209:210], v[211:212]
	v_div_fmas_f64 v[205:206], v[205:206], v[207:208], v[209:210]
	s_delay_alu instid0(VALU_DEP_1) | instskip(NEXT) | instid1(VALU_DEP_1)
	v_div_fixup_f64 v[205:206], v[205:206], v[188:189], v[190:191]
	v_fma_f64 v[188:189], v[190:191], v[205:206], v[188:189]
	s_delay_alu instid0(VALU_DEP_1) | instskip(NEXT) | instid1(VALU_DEP_1)
	v_div_scale_f64 v[190:191], null, v[188:189], v[188:189], 1.0
	v_rcp_f64_e32 v[207:208], v[190:191]
	s_waitcnt_depctr 0xfff
	v_fma_f64 v[209:210], -v[190:191], v[207:208], 1.0
	s_delay_alu instid0(VALU_DEP_1) | instskip(NEXT) | instid1(VALU_DEP_1)
	v_fma_f64 v[207:208], v[207:208], v[209:210], v[207:208]
	v_fma_f64 v[209:210], -v[190:191], v[207:208], 1.0
	s_delay_alu instid0(VALU_DEP_1) | instskip(SKIP_1) | instid1(VALU_DEP_1)
	v_fma_f64 v[207:208], v[207:208], v[209:210], v[207:208]
	v_div_scale_f64 v[209:210], vcc_lo, 1.0, v[188:189], 1.0
	v_mul_f64 v[211:212], v[209:210], v[207:208]
	s_delay_alu instid0(VALU_DEP_1) | instskip(NEXT) | instid1(VALU_DEP_1)
	v_fma_f64 v[190:191], -v[190:191], v[211:212], v[209:210]
	v_div_fmas_f64 v[190:191], v[190:191], v[207:208], v[211:212]
	s_delay_alu instid0(VALU_DEP_1) | instskip(NEXT) | instid1(VALU_DEP_1)
	v_div_fixup_f64 v[188:189], v[190:191], v[188:189], 1.0
	v_mul_f64 v[190:191], v[205:206], -v[188:189]
.LBB92_429:
	s_or_b32 exec_lo, exec_lo, s2
.LBB92_430:
	s_delay_alu instid0(SALU_CYCLE_1) | instskip(NEXT) | instid1(SALU_CYCLE_1)
	s_or_b32 exec_lo, exec_lo, s3
	s_mov_b32 s2, exec_lo
	v_cmpx_ne_u32_e64 v204, v196
	s_xor_b32 s2, exec_lo, s2
	s_cbranch_execz .LBB92_436
; %bb.431:
	s_mov_b32 s3, exec_lo
	v_cmpx_eq_u32_e32 20, v204
	s_cbranch_execz .LBB92_435
; %bb.432:
	v_cmp_ne_u32_e32 vcc_lo, 20, v196
	s_xor_b32 s6, s4, -1
	s_delay_alu instid0(SALU_CYCLE_1) | instskip(NEXT) | instid1(SALU_CYCLE_1)
	s_and_b32 s7, s6, vcc_lo
	s_and_saveexec_b32 s6, s7
	s_cbranch_execz .LBB92_434
; %bb.433:
	v_ashrrev_i32_e32 v197, 31, v196
	s_delay_alu instid0(VALU_DEP_1) | instskip(NEXT) | instid1(VALU_DEP_1)
	v_lshlrev_b64 v[204:205], 2, v[196:197]
	v_add_co_u32 v204, vcc_lo, v194, v204
	s_delay_alu instid0(VALU_DEP_2)
	v_add_co_ci_u32_e32 v205, vcc_lo, v195, v205, vcc_lo
	s_clause 0x1
	flat_load_b32 v197, v[204:205]
	flat_load_b32 v202, v[194:195] offset:80
	s_waitcnt vmcnt(1) lgkmcnt(1)
	flat_store_b32 v[194:195], v197 offset:80
	s_waitcnt vmcnt(0) lgkmcnt(1)
	flat_store_b32 v[204:205], v202
.LBB92_434:
	s_or_b32 exec_lo, exec_lo, s6
	v_mov_b32_e32 v204, v196
	v_mov_b32_e32 v202, v196
.LBB92_435:
	s_or_b32 exec_lo, exec_lo, s3
.LBB92_436:
	s_and_not1_saveexec_b32 s2, s2
	s_cbranch_execz .LBB92_438
; %bb.437:
	v_mov_b32_e32 v204, 20
	ds_store_2addr_b64 v198, v[100:101], v[102:103] offset0:42 offset1:43
	ds_store_2addr_b64 v198, v[96:97], v[98:99] offset0:44 offset1:45
	;; [unrolled: 1-line block ×26, first 2 shown]
.LBB92_438:
	s_or_b32 exec_lo, exec_lo, s2
	s_delay_alu instid0(SALU_CYCLE_1)
	s_mov_b32 s2, exec_lo
	s_waitcnt lgkmcnt(0)
	s_waitcnt_vscnt null, 0x0
	s_barrier
	buffer_gl0_inv
	v_cmpx_lt_i32_e32 20, v204
	s_cbranch_execz .LBB92_440
; %bb.439:
	v_mul_f64 v[196:197], v[190:191], v[106:107]
	v_mul_f64 v[106:107], v[188:189], v[106:107]
	s_delay_alu instid0(VALU_DEP_2) | instskip(NEXT) | instid1(VALU_DEP_2)
	v_fma_f64 v[196:197], v[188:189], v[104:105], -v[196:197]
	v_fma_f64 v[106:107], v[190:191], v[104:105], v[106:107]
	ds_load_2addr_b64 v[188:191], v198 offset0:42 offset1:43
	s_waitcnt lgkmcnt(0)
	v_mul_f64 v[104:105], v[190:191], v[106:107]
	s_delay_alu instid0(VALU_DEP_1) | instskip(SKIP_1) | instid1(VALU_DEP_2)
	v_fma_f64 v[104:105], v[188:189], v[196:197], -v[104:105]
	v_mul_f64 v[188:189], v[188:189], v[106:107]
	v_add_f64 v[100:101], v[100:101], -v[104:105]
	s_delay_alu instid0(VALU_DEP_2) | instskip(NEXT) | instid1(VALU_DEP_1)
	v_fma_f64 v[188:189], v[190:191], v[196:197], v[188:189]
	v_add_f64 v[102:103], v[102:103], -v[188:189]
	ds_load_2addr_b64 v[188:191], v198 offset0:44 offset1:45
	s_waitcnt lgkmcnt(0)
	v_mul_f64 v[104:105], v[190:191], v[106:107]
	s_delay_alu instid0(VALU_DEP_1) | instskip(SKIP_1) | instid1(VALU_DEP_2)
	v_fma_f64 v[104:105], v[188:189], v[196:197], -v[104:105]
	v_mul_f64 v[188:189], v[188:189], v[106:107]
	v_add_f64 v[96:97], v[96:97], -v[104:105]
	s_delay_alu instid0(VALU_DEP_2) | instskip(NEXT) | instid1(VALU_DEP_1)
	v_fma_f64 v[188:189], v[190:191], v[196:197], v[188:189]
	v_add_f64 v[98:99], v[98:99], -v[188:189]
	;; [unrolled: 10-line block ×25, first 2 shown]
	ds_load_2addr_b64 v[188:191], v198 offset0:92 offset1:93
	s_waitcnt lgkmcnt(0)
	v_mul_f64 v[104:105], v[190:191], v[106:107]
	s_delay_alu instid0(VALU_DEP_1) | instskip(SKIP_1) | instid1(VALU_DEP_2)
	v_fma_f64 v[104:105], v[188:189], v[196:197], -v[104:105]
	v_mul_f64 v[188:189], v[188:189], v[106:107]
	v_add_f64 v[0:1], v[0:1], -v[104:105]
	s_delay_alu instid0(VALU_DEP_2) | instskip(SKIP_1) | instid1(VALU_DEP_2)
	v_fma_f64 v[188:189], v[190:191], v[196:197], v[188:189]
	v_dual_mov_b32 v104, v196 :: v_dual_mov_b32 v105, v197
	v_add_f64 v[2:3], v[2:3], -v[188:189]
.LBB92_440:
	s_or_b32 exec_lo, exec_lo, s2
	v_lshl_add_u32 v188, v204, 4, v198
	s_barrier
	buffer_gl0_inv
	v_mov_b32_e32 v196, 21
	ds_store_2addr_b64 v188, v[100:101], v[102:103] offset1:1
	s_waitcnt lgkmcnt(0)
	s_barrier
	buffer_gl0_inv
	ds_load_2addr_b64 v[188:191], v198 offset0:42 offset1:43
	s_cmp_lt_i32 s5, 23
	s_cbranch_scc1 .LBB92_443
; %bb.441:
	v_add3_u32 v197, v203, 0, 0x160
	v_mov_b32_e32 v196, 21
	s_mov_b32 s6, 22
	s_set_inst_prefetch_distance 0x1
	.p2align	6
.LBB92_442:                             ; =>This Inner Loop Header: Depth=1
	ds_load_2addr_b64 v[205:208], v197 offset1:1
	s_waitcnt lgkmcnt(1)
	v_cmp_gt_f64_e32 vcc_lo, 0, v[188:189]
	v_xor_b32_e32 v209, 0x80000000, v189
	v_cmp_gt_f64_e64 s2, 0, v[190:191]
	v_xor_b32_e32 v211, 0x80000000, v191
	v_add_nc_u32_e32 v197, 16, v197
	s_waitcnt lgkmcnt(0)
	v_cmp_gt_f64_e64 s3, 0, v[205:206]
	v_mov_b32_e32 v213, v205
	v_dual_mov_b32 v215, v207 :: v_dual_cndmask_b32 v210, v189, v209
	v_xor_b32_e32 v209, 0x80000000, v206
	v_cndmask_b32_e64 v212, v191, v211, s2
	v_xor_b32_e32 v211, 0x80000000, v208
	s_delay_alu instid0(VALU_DEP_3) | instskip(SKIP_2) | instid1(VALU_DEP_2)
	v_cndmask_b32_e64 v214, v206, v209, s3
	v_cmp_gt_f64_e64 s3, 0, v[207:208]
	v_cndmask_b32_e32 v209, v188, v188, vcc_lo
	v_cndmask_b32_e64 v216, v208, v211, s3
	v_cndmask_b32_e64 v211, v190, v190, s2
	s_delay_alu instid0(VALU_DEP_2) | instskip(NEXT) | instid1(VALU_DEP_2)
	v_add_f64 v[213:214], v[213:214], v[215:216]
	v_add_f64 v[209:210], v[209:210], v[211:212]
	s_delay_alu instid0(VALU_DEP_1) | instskip(SKIP_4) | instid1(SALU_CYCLE_1)
	v_cmp_lt_f64_e32 vcc_lo, v[209:210], v[213:214]
	v_dual_cndmask_b32 v190, v190, v207 :: v_dual_cndmask_b32 v189, v189, v206
	v_dual_cndmask_b32 v188, v188, v205 :: v_dual_cndmask_b32 v191, v191, v208
	v_cndmask_b32_e64 v196, v196, s6, vcc_lo
	s_add_i32 s6, s6, 1
	s_cmp_lg_u32 s5, s6
	s_cbranch_scc1 .LBB92_442
.LBB92_443:
	s_set_inst_prefetch_distance 0x2
	s_waitcnt lgkmcnt(0)
	v_cmp_eq_f64_e32 vcc_lo, 0, v[188:189]
	v_cmp_eq_f64_e64 s2, 0, v[190:191]
	s_delay_alu instid0(VALU_DEP_1) | instskip(NEXT) | instid1(SALU_CYCLE_1)
	s_and_b32 s2, vcc_lo, s2
	s_and_saveexec_b32 s3, s2
	s_delay_alu instid0(SALU_CYCLE_1)
	s_xor_b32 s2, exec_lo, s3
; %bb.444:
	v_cmp_ne_u32_e32 vcc_lo, 0, v201
	v_cndmask_b32_e32 v201, 22, v201, vcc_lo
; %bb.445:
	s_and_not1_saveexec_b32 s3, s2
	s_cbranch_execz .LBB92_451
; %bb.446:
	v_cmp_gt_f64_e32 vcc_lo, 0, v[188:189]
	v_cmp_gt_f64_e64 s2, 0, v[190:191]
	v_xor_b32_e32 v197, 0x80000000, v189
	v_xor_b32_e32 v205, 0x80000000, v191
	s_delay_alu instid0(VALU_DEP_2) | instskip(NEXT) | instid1(VALU_DEP_2)
	v_cndmask_b32_e32 v206, v189, v197, vcc_lo
	v_cndmask_b32_e64 v208, v191, v205, s2
	v_cndmask_b32_e32 v205, v188, v188, vcc_lo
	v_cndmask_b32_e64 v207, v190, v190, s2
	s_mov_b32 s2, exec_lo
	s_delay_alu instid0(VALU_DEP_1)
	v_cmpx_ngt_f64_e32 v[205:206], v[207:208]
	s_xor_b32 s2, exec_lo, s2
	s_cbranch_execz .LBB92_448
; %bb.447:
	v_div_scale_f64 v[205:206], null, v[190:191], v[190:191], v[188:189]
	v_div_scale_f64 v[211:212], vcc_lo, v[188:189], v[190:191], v[188:189]
	s_delay_alu instid0(VALU_DEP_2) | instskip(SKIP_2) | instid1(VALU_DEP_1)
	v_rcp_f64_e32 v[207:208], v[205:206]
	s_waitcnt_depctr 0xfff
	v_fma_f64 v[209:210], -v[205:206], v[207:208], 1.0
	v_fma_f64 v[207:208], v[207:208], v[209:210], v[207:208]
	s_delay_alu instid0(VALU_DEP_1) | instskip(NEXT) | instid1(VALU_DEP_1)
	v_fma_f64 v[209:210], -v[205:206], v[207:208], 1.0
	v_fma_f64 v[207:208], v[207:208], v[209:210], v[207:208]
	s_delay_alu instid0(VALU_DEP_1) | instskip(NEXT) | instid1(VALU_DEP_1)
	v_mul_f64 v[209:210], v[211:212], v[207:208]
	v_fma_f64 v[205:206], -v[205:206], v[209:210], v[211:212]
	s_delay_alu instid0(VALU_DEP_1) | instskip(NEXT) | instid1(VALU_DEP_1)
	v_div_fmas_f64 v[205:206], v[205:206], v[207:208], v[209:210]
	v_div_fixup_f64 v[205:206], v[205:206], v[190:191], v[188:189]
	s_delay_alu instid0(VALU_DEP_1) | instskip(NEXT) | instid1(VALU_DEP_1)
	v_fma_f64 v[188:189], v[188:189], v[205:206], v[190:191]
	v_div_scale_f64 v[190:191], null, v[188:189], v[188:189], 1.0
	s_delay_alu instid0(VALU_DEP_1) | instskip(SKIP_2) | instid1(VALU_DEP_1)
	v_rcp_f64_e32 v[207:208], v[190:191]
	s_waitcnt_depctr 0xfff
	v_fma_f64 v[209:210], -v[190:191], v[207:208], 1.0
	v_fma_f64 v[207:208], v[207:208], v[209:210], v[207:208]
	s_delay_alu instid0(VALU_DEP_1) | instskip(NEXT) | instid1(VALU_DEP_1)
	v_fma_f64 v[209:210], -v[190:191], v[207:208], 1.0
	v_fma_f64 v[207:208], v[207:208], v[209:210], v[207:208]
	v_div_scale_f64 v[209:210], vcc_lo, 1.0, v[188:189], 1.0
	s_delay_alu instid0(VALU_DEP_1) | instskip(NEXT) | instid1(VALU_DEP_1)
	v_mul_f64 v[211:212], v[209:210], v[207:208]
	v_fma_f64 v[190:191], -v[190:191], v[211:212], v[209:210]
	s_delay_alu instid0(VALU_DEP_1) | instskip(NEXT) | instid1(VALU_DEP_1)
	v_div_fmas_f64 v[190:191], v[190:191], v[207:208], v[211:212]
	v_div_fixup_f64 v[190:191], v[190:191], v[188:189], 1.0
	s_delay_alu instid0(VALU_DEP_1)
	v_mul_f64 v[188:189], v[205:206], v[190:191]
	v_xor_b32_e32 v191, 0x80000000, v191
.LBB92_448:
	s_and_not1_saveexec_b32 s2, s2
	s_cbranch_execz .LBB92_450
; %bb.449:
	s_delay_alu instid0(VALU_DEP_1) | instskip(SKIP_1) | instid1(VALU_DEP_2)
	v_div_scale_f64 v[205:206], null, v[188:189], v[188:189], v[190:191]
	v_div_scale_f64 v[211:212], vcc_lo, v[190:191], v[188:189], v[190:191]
	v_rcp_f64_e32 v[207:208], v[205:206]
	s_waitcnt_depctr 0xfff
	v_fma_f64 v[209:210], -v[205:206], v[207:208], 1.0
	s_delay_alu instid0(VALU_DEP_1) | instskip(NEXT) | instid1(VALU_DEP_1)
	v_fma_f64 v[207:208], v[207:208], v[209:210], v[207:208]
	v_fma_f64 v[209:210], -v[205:206], v[207:208], 1.0
	s_delay_alu instid0(VALU_DEP_1) | instskip(NEXT) | instid1(VALU_DEP_1)
	v_fma_f64 v[207:208], v[207:208], v[209:210], v[207:208]
	v_mul_f64 v[209:210], v[211:212], v[207:208]
	s_delay_alu instid0(VALU_DEP_1) | instskip(NEXT) | instid1(VALU_DEP_1)
	v_fma_f64 v[205:206], -v[205:206], v[209:210], v[211:212]
	v_div_fmas_f64 v[205:206], v[205:206], v[207:208], v[209:210]
	s_delay_alu instid0(VALU_DEP_1) | instskip(NEXT) | instid1(VALU_DEP_1)
	v_div_fixup_f64 v[205:206], v[205:206], v[188:189], v[190:191]
	v_fma_f64 v[188:189], v[190:191], v[205:206], v[188:189]
	s_delay_alu instid0(VALU_DEP_1) | instskip(NEXT) | instid1(VALU_DEP_1)
	v_div_scale_f64 v[190:191], null, v[188:189], v[188:189], 1.0
	v_rcp_f64_e32 v[207:208], v[190:191]
	s_waitcnt_depctr 0xfff
	v_fma_f64 v[209:210], -v[190:191], v[207:208], 1.0
	s_delay_alu instid0(VALU_DEP_1) | instskip(NEXT) | instid1(VALU_DEP_1)
	v_fma_f64 v[207:208], v[207:208], v[209:210], v[207:208]
	v_fma_f64 v[209:210], -v[190:191], v[207:208], 1.0
	s_delay_alu instid0(VALU_DEP_1) | instskip(SKIP_1) | instid1(VALU_DEP_1)
	v_fma_f64 v[207:208], v[207:208], v[209:210], v[207:208]
	v_div_scale_f64 v[209:210], vcc_lo, 1.0, v[188:189], 1.0
	v_mul_f64 v[211:212], v[209:210], v[207:208]
	s_delay_alu instid0(VALU_DEP_1) | instskip(NEXT) | instid1(VALU_DEP_1)
	v_fma_f64 v[190:191], -v[190:191], v[211:212], v[209:210]
	v_div_fmas_f64 v[190:191], v[190:191], v[207:208], v[211:212]
	s_delay_alu instid0(VALU_DEP_1) | instskip(NEXT) | instid1(VALU_DEP_1)
	v_div_fixup_f64 v[188:189], v[190:191], v[188:189], 1.0
	v_mul_f64 v[190:191], v[205:206], -v[188:189]
.LBB92_450:
	s_or_b32 exec_lo, exec_lo, s2
.LBB92_451:
	s_delay_alu instid0(SALU_CYCLE_1) | instskip(NEXT) | instid1(SALU_CYCLE_1)
	s_or_b32 exec_lo, exec_lo, s3
	s_mov_b32 s2, exec_lo
	v_cmpx_ne_u32_e64 v204, v196
	s_xor_b32 s2, exec_lo, s2
	s_cbranch_execz .LBB92_457
; %bb.452:
	s_mov_b32 s3, exec_lo
	v_cmpx_eq_u32_e32 21, v204
	s_cbranch_execz .LBB92_456
; %bb.453:
	v_cmp_ne_u32_e32 vcc_lo, 21, v196
	s_xor_b32 s6, s4, -1
	s_delay_alu instid0(SALU_CYCLE_1) | instskip(NEXT) | instid1(SALU_CYCLE_1)
	s_and_b32 s7, s6, vcc_lo
	s_and_saveexec_b32 s6, s7
	s_cbranch_execz .LBB92_455
; %bb.454:
	v_ashrrev_i32_e32 v197, 31, v196
	s_delay_alu instid0(VALU_DEP_1) | instskip(NEXT) | instid1(VALU_DEP_1)
	v_lshlrev_b64 v[204:205], 2, v[196:197]
	v_add_co_u32 v204, vcc_lo, v194, v204
	s_delay_alu instid0(VALU_DEP_2)
	v_add_co_ci_u32_e32 v205, vcc_lo, v195, v205, vcc_lo
	s_clause 0x1
	flat_load_b32 v197, v[204:205]
	flat_load_b32 v202, v[194:195] offset:84
	s_waitcnt vmcnt(1) lgkmcnt(1)
	flat_store_b32 v[194:195], v197 offset:84
	s_waitcnt vmcnt(0) lgkmcnt(1)
	flat_store_b32 v[204:205], v202
.LBB92_455:
	s_or_b32 exec_lo, exec_lo, s6
	v_mov_b32_e32 v204, v196
	v_mov_b32_e32 v202, v196
.LBB92_456:
	s_or_b32 exec_lo, exec_lo, s3
.LBB92_457:
	s_and_not1_saveexec_b32 s2, s2
	s_cbranch_execz .LBB92_459
; %bb.458:
	v_mov_b32_e32 v204, 21
	ds_store_2addr_b64 v198, v[96:97], v[98:99] offset0:44 offset1:45
	ds_store_2addr_b64 v198, v[92:93], v[94:95] offset0:46 offset1:47
	;; [unrolled: 1-line block ×25, first 2 shown]
.LBB92_459:
	s_or_b32 exec_lo, exec_lo, s2
	s_delay_alu instid0(SALU_CYCLE_1)
	s_mov_b32 s2, exec_lo
	s_waitcnt lgkmcnt(0)
	s_waitcnt_vscnt null, 0x0
	s_barrier
	buffer_gl0_inv
	v_cmpx_lt_i32_e32 21, v204
	s_cbranch_execz .LBB92_461
; %bb.460:
	v_mul_f64 v[196:197], v[190:191], v[102:103]
	v_mul_f64 v[102:103], v[188:189], v[102:103]
	s_delay_alu instid0(VALU_DEP_2) | instskip(NEXT) | instid1(VALU_DEP_2)
	v_fma_f64 v[196:197], v[188:189], v[100:101], -v[196:197]
	v_fma_f64 v[102:103], v[190:191], v[100:101], v[102:103]
	ds_load_2addr_b64 v[188:191], v198 offset0:44 offset1:45
	s_waitcnt lgkmcnt(0)
	v_mul_f64 v[100:101], v[190:191], v[102:103]
	s_delay_alu instid0(VALU_DEP_1) | instskip(SKIP_1) | instid1(VALU_DEP_2)
	v_fma_f64 v[100:101], v[188:189], v[196:197], -v[100:101]
	v_mul_f64 v[188:189], v[188:189], v[102:103]
	v_add_f64 v[96:97], v[96:97], -v[100:101]
	s_delay_alu instid0(VALU_DEP_2) | instskip(NEXT) | instid1(VALU_DEP_1)
	v_fma_f64 v[188:189], v[190:191], v[196:197], v[188:189]
	v_add_f64 v[98:99], v[98:99], -v[188:189]
	ds_load_2addr_b64 v[188:191], v198 offset0:46 offset1:47
	s_waitcnt lgkmcnt(0)
	v_mul_f64 v[100:101], v[190:191], v[102:103]
	s_delay_alu instid0(VALU_DEP_1) | instskip(SKIP_1) | instid1(VALU_DEP_2)
	v_fma_f64 v[100:101], v[188:189], v[196:197], -v[100:101]
	v_mul_f64 v[188:189], v[188:189], v[102:103]
	v_add_f64 v[92:93], v[92:93], -v[100:101]
	s_delay_alu instid0(VALU_DEP_2) | instskip(NEXT) | instid1(VALU_DEP_1)
	v_fma_f64 v[188:189], v[190:191], v[196:197], v[188:189]
	v_add_f64 v[94:95], v[94:95], -v[188:189]
	;; [unrolled: 10-line block ×24, first 2 shown]
	ds_load_2addr_b64 v[188:191], v198 offset0:92 offset1:93
	s_waitcnt lgkmcnt(0)
	v_mul_f64 v[100:101], v[190:191], v[102:103]
	s_delay_alu instid0(VALU_DEP_1) | instskip(SKIP_1) | instid1(VALU_DEP_2)
	v_fma_f64 v[100:101], v[188:189], v[196:197], -v[100:101]
	v_mul_f64 v[188:189], v[188:189], v[102:103]
	v_add_f64 v[0:1], v[0:1], -v[100:101]
	s_delay_alu instid0(VALU_DEP_2) | instskip(SKIP_1) | instid1(VALU_DEP_2)
	v_fma_f64 v[188:189], v[190:191], v[196:197], v[188:189]
	v_dual_mov_b32 v100, v196 :: v_dual_mov_b32 v101, v197
	v_add_f64 v[2:3], v[2:3], -v[188:189]
.LBB92_461:
	s_or_b32 exec_lo, exec_lo, s2
	v_lshl_add_u32 v188, v204, 4, v198
	s_barrier
	buffer_gl0_inv
	v_mov_b32_e32 v196, 22
	ds_store_2addr_b64 v188, v[96:97], v[98:99] offset1:1
	s_waitcnt lgkmcnt(0)
	s_barrier
	buffer_gl0_inv
	ds_load_2addr_b64 v[188:191], v198 offset0:44 offset1:45
	s_cmp_lt_i32 s5, 24
	s_cbranch_scc1 .LBB92_464
; %bb.462:
	v_add3_u32 v197, v203, 0, 0x170
	v_mov_b32_e32 v196, 22
	s_mov_b32 s6, 23
	s_set_inst_prefetch_distance 0x1
	.p2align	6
.LBB92_463:                             ; =>This Inner Loop Header: Depth=1
	ds_load_2addr_b64 v[205:208], v197 offset1:1
	s_waitcnt lgkmcnt(1)
	v_cmp_gt_f64_e32 vcc_lo, 0, v[188:189]
	v_xor_b32_e32 v209, 0x80000000, v189
	v_cmp_gt_f64_e64 s2, 0, v[190:191]
	v_xor_b32_e32 v211, 0x80000000, v191
	v_add_nc_u32_e32 v197, 16, v197
	s_waitcnt lgkmcnt(0)
	v_cmp_gt_f64_e64 s3, 0, v[205:206]
	v_mov_b32_e32 v213, v205
	v_dual_mov_b32 v215, v207 :: v_dual_cndmask_b32 v210, v189, v209
	v_xor_b32_e32 v209, 0x80000000, v206
	v_cndmask_b32_e64 v212, v191, v211, s2
	v_xor_b32_e32 v211, 0x80000000, v208
	s_delay_alu instid0(VALU_DEP_3) | instskip(SKIP_2) | instid1(VALU_DEP_2)
	v_cndmask_b32_e64 v214, v206, v209, s3
	v_cmp_gt_f64_e64 s3, 0, v[207:208]
	v_cndmask_b32_e32 v209, v188, v188, vcc_lo
	v_cndmask_b32_e64 v216, v208, v211, s3
	v_cndmask_b32_e64 v211, v190, v190, s2
	s_delay_alu instid0(VALU_DEP_2) | instskip(NEXT) | instid1(VALU_DEP_2)
	v_add_f64 v[213:214], v[213:214], v[215:216]
	v_add_f64 v[209:210], v[209:210], v[211:212]
	s_delay_alu instid0(VALU_DEP_1) | instskip(SKIP_4) | instid1(SALU_CYCLE_1)
	v_cmp_lt_f64_e32 vcc_lo, v[209:210], v[213:214]
	v_dual_cndmask_b32 v190, v190, v207 :: v_dual_cndmask_b32 v189, v189, v206
	v_dual_cndmask_b32 v188, v188, v205 :: v_dual_cndmask_b32 v191, v191, v208
	v_cndmask_b32_e64 v196, v196, s6, vcc_lo
	s_add_i32 s6, s6, 1
	s_cmp_lg_u32 s5, s6
	s_cbranch_scc1 .LBB92_463
.LBB92_464:
	s_set_inst_prefetch_distance 0x2
	s_waitcnt lgkmcnt(0)
	v_cmp_eq_f64_e32 vcc_lo, 0, v[188:189]
	v_cmp_eq_f64_e64 s2, 0, v[190:191]
	s_delay_alu instid0(VALU_DEP_1) | instskip(NEXT) | instid1(SALU_CYCLE_1)
	s_and_b32 s2, vcc_lo, s2
	s_and_saveexec_b32 s3, s2
	s_delay_alu instid0(SALU_CYCLE_1)
	s_xor_b32 s2, exec_lo, s3
; %bb.465:
	v_cmp_ne_u32_e32 vcc_lo, 0, v201
	v_cndmask_b32_e32 v201, 23, v201, vcc_lo
; %bb.466:
	s_and_not1_saveexec_b32 s3, s2
	s_cbranch_execz .LBB92_472
; %bb.467:
	v_cmp_gt_f64_e32 vcc_lo, 0, v[188:189]
	v_cmp_gt_f64_e64 s2, 0, v[190:191]
	v_xor_b32_e32 v197, 0x80000000, v189
	v_xor_b32_e32 v205, 0x80000000, v191
	s_delay_alu instid0(VALU_DEP_2) | instskip(NEXT) | instid1(VALU_DEP_2)
	v_cndmask_b32_e32 v206, v189, v197, vcc_lo
	v_cndmask_b32_e64 v208, v191, v205, s2
	v_cndmask_b32_e32 v205, v188, v188, vcc_lo
	v_cndmask_b32_e64 v207, v190, v190, s2
	s_mov_b32 s2, exec_lo
	s_delay_alu instid0(VALU_DEP_1)
	v_cmpx_ngt_f64_e32 v[205:206], v[207:208]
	s_xor_b32 s2, exec_lo, s2
	s_cbranch_execz .LBB92_469
; %bb.468:
	v_div_scale_f64 v[205:206], null, v[190:191], v[190:191], v[188:189]
	v_div_scale_f64 v[211:212], vcc_lo, v[188:189], v[190:191], v[188:189]
	s_delay_alu instid0(VALU_DEP_2) | instskip(SKIP_2) | instid1(VALU_DEP_1)
	v_rcp_f64_e32 v[207:208], v[205:206]
	s_waitcnt_depctr 0xfff
	v_fma_f64 v[209:210], -v[205:206], v[207:208], 1.0
	v_fma_f64 v[207:208], v[207:208], v[209:210], v[207:208]
	s_delay_alu instid0(VALU_DEP_1) | instskip(NEXT) | instid1(VALU_DEP_1)
	v_fma_f64 v[209:210], -v[205:206], v[207:208], 1.0
	v_fma_f64 v[207:208], v[207:208], v[209:210], v[207:208]
	s_delay_alu instid0(VALU_DEP_1) | instskip(NEXT) | instid1(VALU_DEP_1)
	v_mul_f64 v[209:210], v[211:212], v[207:208]
	v_fma_f64 v[205:206], -v[205:206], v[209:210], v[211:212]
	s_delay_alu instid0(VALU_DEP_1) | instskip(NEXT) | instid1(VALU_DEP_1)
	v_div_fmas_f64 v[205:206], v[205:206], v[207:208], v[209:210]
	v_div_fixup_f64 v[205:206], v[205:206], v[190:191], v[188:189]
	s_delay_alu instid0(VALU_DEP_1) | instskip(NEXT) | instid1(VALU_DEP_1)
	v_fma_f64 v[188:189], v[188:189], v[205:206], v[190:191]
	v_div_scale_f64 v[190:191], null, v[188:189], v[188:189], 1.0
	s_delay_alu instid0(VALU_DEP_1) | instskip(SKIP_2) | instid1(VALU_DEP_1)
	v_rcp_f64_e32 v[207:208], v[190:191]
	s_waitcnt_depctr 0xfff
	v_fma_f64 v[209:210], -v[190:191], v[207:208], 1.0
	v_fma_f64 v[207:208], v[207:208], v[209:210], v[207:208]
	s_delay_alu instid0(VALU_DEP_1) | instskip(NEXT) | instid1(VALU_DEP_1)
	v_fma_f64 v[209:210], -v[190:191], v[207:208], 1.0
	v_fma_f64 v[207:208], v[207:208], v[209:210], v[207:208]
	v_div_scale_f64 v[209:210], vcc_lo, 1.0, v[188:189], 1.0
	s_delay_alu instid0(VALU_DEP_1) | instskip(NEXT) | instid1(VALU_DEP_1)
	v_mul_f64 v[211:212], v[209:210], v[207:208]
	v_fma_f64 v[190:191], -v[190:191], v[211:212], v[209:210]
	s_delay_alu instid0(VALU_DEP_1) | instskip(NEXT) | instid1(VALU_DEP_1)
	v_div_fmas_f64 v[190:191], v[190:191], v[207:208], v[211:212]
	v_div_fixup_f64 v[190:191], v[190:191], v[188:189], 1.0
	s_delay_alu instid0(VALU_DEP_1)
	v_mul_f64 v[188:189], v[205:206], v[190:191]
	v_xor_b32_e32 v191, 0x80000000, v191
.LBB92_469:
	s_and_not1_saveexec_b32 s2, s2
	s_cbranch_execz .LBB92_471
; %bb.470:
	s_delay_alu instid0(VALU_DEP_1) | instskip(SKIP_1) | instid1(VALU_DEP_2)
	v_div_scale_f64 v[205:206], null, v[188:189], v[188:189], v[190:191]
	v_div_scale_f64 v[211:212], vcc_lo, v[190:191], v[188:189], v[190:191]
	v_rcp_f64_e32 v[207:208], v[205:206]
	s_waitcnt_depctr 0xfff
	v_fma_f64 v[209:210], -v[205:206], v[207:208], 1.0
	s_delay_alu instid0(VALU_DEP_1) | instskip(NEXT) | instid1(VALU_DEP_1)
	v_fma_f64 v[207:208], v[207:208], v[209:210], v[207:208]
	v_fma_f64 v[209:210], -v[205:206], v[207:208], 1.0
	s_delay_alu instid0(VALU_DEP_1) | instskip(NEXT) | instid1(VALU_DEP_1)
	v_fma_f64 v[207:208], v[207:208], v[209:210], v[207:208]
	v_mul_f64 v[209:210], v[211:212], v[207:208]
	s_delay_alu instid0(VALU_DEP_1) | instskip(NEXT) | instid1(VALU_DEP_1)
	v_fma_f64 v[205:206], -v[205:206], v[209:210], v[211:212]
	v_div_fmas_f64 v[205:206], v[205:206], v[207:208], v[209:210]
	s_delay_alu instid0(VALU_DEP_1) | instskip(NEXT) | instid1(VALU_DEP_1)
	v_div_fixup_f64 v[205:206], v[205:206], v[188:189], v[190:191]
	v_fma_f64 v[188:189], v[190:191], v[205:206], v[188:189]
	s_delay_alu instid0(VALU_DEP_1) | instskip(NEXT) | instid1(VALU_DEP_1)
	v_div_scale_f64 v[190:191], null, v[188:189], v[188:189], 1.0
	v_rcp_f64_e32 v[207:208], v[190:191]
	s_waitcnt_depctr 0xfff
	v_fma_f64 v[209:210], -v[190:191], v[207:208], 1.0
	s_delay_alu instid0(VALU_DEP_1) | instskip(NEXT) | instid1(VALU_DEP_1)
	v_fma_f64 v[207:208], v[207:208], v[209:210], v[207:208]
	v_fma_f64 v[209:210], -v[190:191], v[207:208], 1.0
	s_delay_alu instid0(VALU_DEP_1) | instskip(SKIP_1) | instid1(VALU_DEP_1)
	v_fma_f64 v[207:208], v[207:208], v[209:210], v[207:208]
	v_div_scale_f64 v[209:210], vcc_lo, 1.0, v[188:189], 1.0
	v_mul_f64 v[211:212], v[209:210], v[207:208]
	s_delay_alu instid0(VALU_DEP_1) | instskip(NEXT) | instid1(VALU_DEP_1)
	v_fma_f64 v[190:191], -v[190:191], v[211:212], v[209:210]
	v_div_fmas_f64 v[190:191], v[190:191], v[207:208], v[211:212]
	s_delay_alu instid0(VALU_DEP_1) | instskip(NEXT) | instid1(VALU_DEP_1)
	v_div_fixup_f64 v[188:189], v[190:191], v[188:189], 1.0
	v_mul_f64 v[190:191], v[205:206], -v[188:189]
.LBB92_471:
	s_or_b32 exec_lo, exec_lo, s2
.LBB92_472:
	s_delay_alu instid0(SALU_CYCLE_1) | instskip(NEXT) | instid1(SALU_CYCLE_1)
	s_or_b32 exec_lo, exec_lo, s3
	s_mov_b32 s2, exec_lo
	v_cmpx_ne_u32_e64 v204, v196
	s_xor_b32 s2, exec_lo, s2
	s_cbranch_execz .LBB92_478
; %bb.473:
	s_mov_b32 s3, exec_lo
	v_cmpx_eq_u32_e32 22, v204
	s_cbranch_execz .LBB92_477
; %bb.474:
	v_cmp_ne_u32_e32 vcc_lo, 22, v196
	s_xor_b32 s6, s4, -1
	s_delay_alu instid0(SALU_CYCLE_1) | instskip(NEXT) | instid1(SALU_CYCLE_1)
	s_and_b32 s7, s6, vcc_lo
	s_and_saveexec_b32 s6, s7
	s_cbranch_execz .LBB92_476
; %bb.475:
	v_ashrrev_i32_e32 v197, 31, v196
	s_delay_alu instid0(VALU_DEP_1) | instskip(NEXT) | instid1(VALU_DEP_1)
	v_lshlrev_b64 v[204:205], 2, v[196:197]
	v_add_co_u32 v204, vcc_lo, v194, v204
	s_delay_alu instid0(VALU_DEP_2)
	v_add_co_ci_u32_e32 v205, vcc_lo, v195, v205, vcc_lo
	s_clause 0x1
	flat_load_b32 v197, v[204:205]
	flat_load_b32 v202, v[194:195] offset:88
	s_waitcnt vmcnt(1) lgkmcnt(1)
	flat_store_b32 v[194:195], v197 offset:88
	s_waitcnt vmcnt(0) lgkmcnt(1)
	flat_store_b32 v[204:205], v202
.LBB92_476:
	s_or_b32 exec_lo, exec_lo, s6
	v_mov_b32_e32 v204, v196
	v_mov_b32_e32 v202, v196
.LBB92_477:
	s_or_b32 exec_lo, exec_lo, s3
.LBB92_478:
	s_and_not1_saveexec_b32 s2, s2
	s_cbranch_execz .LBB92_480
; %bb.479:
	v_mov_b32_e32 v204, 22
	ds_store_2addr_b64 v198, v[92:93], v[94:95] offset0:46 offset1:47
	ds_store_2addr_b64 v198, v[88:89], v[90:91] offset0:48 offset1:49
	;; [unrolled: 1-line block ×24, first 2 shown]
.LBB92_480:
	s_or_b32 exec_lo, exec_lo, s2
	s_delay_alu instid0(SALU_CYCLE_1)
	s_mov_b32 s2, exec_lo
	s_waitcnt lgkmcnt(0)
	s_waitcnt_vscnt null, 0x0
	s_barrier
	buffer_gl0_inv
	v_cmpx_lt_i32_e32 22, v204
	s_cbranch_execz .LBB92_482
; %bb.481:
	v_mul_f64 v[196:197], v[190:191], v[98:99]
	v_mul_f64 v[98:99], v[188:189], v[98:99]
	s_delay_alu instid0(VALU_DEP_2) | instskip(NEXT) | instid1(VALU_DEP_2)
	v_fma_f64 v[196:197], v[188:189], v[96:97], -v[196:197]
	v_fma_f64 v[98:99], v[190:191], v[96:97], v[98:99]
	ds_load_2addr_b64 v[188:191], v198 offset0:46 offset1:47
	s_waitcnt lgkmcnt(0)
	v_mul_f64 v[96:97], v[190:191], v[98:99]
	s_delay_alu instid0(VALU_DEP_1) | instskip(SKIP_1) | instid1(VALU_DEP_2)
	v_fma_f64 v[96:97], v[188:189], v[196:197], -v[96:97]
	v_mul_f64 v[188:189], v[188:189], v[98:99]
	v_add_f64 v[92:93], v[92:93], -v[96:97]
	s_delay_alu instid0(VALU_DEP_2) | instskip(NEXT) | instid1(VALU_DEP_1)
	v_fma_f64 v[188:189], v[190:191], v[196:197], v[188:189]
	v_add_f64 v[94:95], v[94:95], -v[188:189]
	ds_load_2addr_b64 v[188:191], v198 offset0:48 offset1:49
	s_waitcnt lgkmcnt(0)
	v_mul_f64 v[96:97], v[190:191], v[98:99]
	s_delay_alu instid0(VALU_DEP_1) | instskip(SKIP_1) | instid1(VALU_DEP_2)
	v_fma_f64 v[96:97], v[188:189], v[196:197], -v[96:97]
	v_mul_f64 v[188:189], v[188:189], v[98:99]
	v_add_f64 v[88:89], v[88:89], -v[96:97]
	s_delay_alu instid0(VALU_DEP_2) | instskip(NEXT) | instid1(VALU_DEP_1)
	v_fma_f64 v[188:189], v[190:191], v[196:197], v[188:189]
	v_add_f64 v[90:91], v[90:91], -v[188:189]
	;; [unrolled: 10-line block ×23, first 2 shown]
	ds_load_2addr_b64 v[188:191], v198 offset0:92 offset1:93
	s_waitcnt lgkmcnt(0)
	v_mul_f64 v[96:97], v[190:191], v[98:99]
	s_delay_alu instid0(VALU_DEP_1) | instskip(SKIP_1) | instid1(VALU_DEP_2)
	v_fma_f64 v[96:97], v[188:189], v[196:197], -v[96:97]
	v_mul_f64 v[188:189], v[188:189], v[98:99]
	v_add_f64 v[0:1], v[0:1], -v[96:97]
	s_delay_alu instid0(VALU_DEP_2) | instskip(SKIP_1) | instid1(VALU_DEP_2)
	v_fma_f64 v[188:189], v[190:191], v[196:197], v[188:189]
	v_dual_mov_b32 v96, v196 :: v_dual_mov_b32 v97, v197
	v_add_f64 v[2:3], v[2:3], -v[188:189]
.LBB92_482:
	s_or_b32 exec_lo, exec_lo, s2
	v_lshl_add_u32 v188, v204, 4, v198
	s_barrier
	buffer_gl0_inv
	v_mov_b32_e32 v196, 23
	ds_store_2addr_b64 v188, v[92:93], v[94:95] offset1:1
	s_waitcnt lgkmcnt(0)
	s_barrier
	buffer_gl0_inv
	ds_load_2addr_b64 v[188:191], v198 offset0:46 offset1:47
	s_cmp_lt_i32 s5, 25
	s_cbranch_scc1 .LBB92_485
; %bb.483:
	v_add3_u32 v197, v203, 0, 0x180
	v_mov_b32_e32 v196, 23
	s_mov_b32 s6, 24
	s_set_inst_prefetch_distance 0x1
	.p2align	6
.LBB92_484:                             ; =>This Inner Loop Header: Depth=1
	ds_load_2addr_b64 v[205:208], v197 offset1:1
	s_waitcnt lgkmcnt(1)
	v_cmp_gt_f64_e32 vcc_lo, 0, v[188:189]
	v_xor_b32_e32 v209, 0x80000000, v189
	v_cmp_gt_f64_e64 s2, 0, v[190:191]
	v_xor_b32_e32 v211, 0x80000000, v191
	v_add_nc_u32_e32 v197, 16, v197
	s_waitcnt lgkmcnt(0)
	v_cmp_gt_f64_e64 s3, 0, v[205:206]
	v_mov_b32_e32 v213, v205
	v_dual_mov_b32 v215, v207 :: v_dual_cndmask_b32 v210, v189, v209
	v_xor_b32_e32 v209, 0x80000000, v206
	v_cndmask_b32_e64 v212, v191, v211, s2
	v_xor_b32_e32 v211, 0x80000000, v208
	s_delay_alu instid0(VALU_DEP_3) | instskip(SKIP_2) | instid1(VALU_DEP_2)
	v_cndmask_b32_e64 v214, v206, v209, s3
	v_cmp_gt_f64_e64 s3, 0, v[207:208]
	v_cndmask_b32_e32 v209, v188, v188, vcc_lo
	v_cndmask_b32_e64 v216, v208, v211, s3
	v_cndmask_b32_e64 v211, v190, v190, s2
	s_delay_alu instid0(VALU_DEP_2) | instskip(NEXT) | instid1(VALU_DEP_2)
	v_add_f64 v[213:214], v[213:214], v[215:216]
	v_add_f64 v[209:210], v[209:210], v[211:212]
	s_delay_alu instid0(VALU_DEP_1) | instskip(SKIP_4) | instid1(SALU_CYCLE_1)
	v_cmp_lt_f64_e32 vcc_lo, v[209:210], v[213:214]
	v_dual_cndmask_b32 v190, v190, v207 :: v_dual_cndmask_b32 v189, v189, v206
	v_dual_cndmask_b32 v188, v188, v205 :: v_dual_cndmask_b32 v191, v191, v208
	v_cndmask_b32_e64 v196, v196, s6, vcc_lo
	s_add_i32 s6, s6, 1
	s_cmp_lg_u32 s5, s6
	s_cbranch_scc1 .LBB92_484
.LBB92_485:
	s_set_inst_prefetch_distance 0x2
	s_waitcnt lgkmcnt(0)
	v_cmp_eq_f64_e32 vcc_lo, 0, v[188:189]
	v_cmp_eq_f64_e64 s2, 0, v[190:191]
	s_delay_alu instid0(VALU_DEP_1) | instskip(NEXT) | instid1(SALU_CYCLE_1)
	s_and_b32 s2, vcc_lo, s2
	s_and_saveexec_b32 s3, s2
	s_delay_alu instid0(SALU_CYCLE_1)
	s_xor_b32 s2, exec_lo, s3
; %bb.486:
	v_cmp_ne_u32_e32 vcc_lo, 0, v201
	v_cndmask_b32_e32 v201, 24, v201, vcc_lo
; %bb.487:
	s_and_not1_saveexec_b32 s3, s2
	s_cbranch_execz .LBB92_493
; %bb.488:
	v_cmp_gt_f64_e32 vcc_lo, 0, v[188:189]
	v_cmp_gt_f64_e64 s2, 0, v[190:191]
	v_xor_b32_e32 v197, 0x80000000, v189
	v_xor_b32_e32 v205, 0x80000000, v191
	s_delay_alu instid0(VALU_DEP_2) | instskip(NEXT) | instid1(VALU_DEP_2)
	v_cndmask_b32_e32 v206, v189, v197, vcc_lo
	v_cndmask_b32_e64 v208, v191, v205, s2
	v_cndmask_b32_e32 v205, v188, v188, vcc_lo
	v_cndmask_b32_e64 v207, v190, v190, s2
	s_mov_b32 s2, exec_lo
	s_delay_alu instid0(VALU_DEP_1)
	v_cmpx_ngt_f64_e32 v[205:206], v[207:208]
	s_xor_b32 s2, exec_lo, s2
	s_cbranch_execz .LBB92_490
; %bb.489:
	v_div_scale_f64 v[205:206], null, v[190:191], v[190:191], v[188:189]
	v_div_scale_f64 v[211:212], vcc_lo, v[188:189], v[190:191], v[188:189]
	s_delay_alu instid0(VALU_DEP_2) | instskip(SKIP_2) | instid1(VALU_DEP_1)
	v_rcp_f64_e32 v[207:208], v[205:206]
	s_waitcnt_depctr 0xfff
	v_fma_f64 v[209:210], -v[205:206], v[207:208], 1.0
	v_fma_f64 v[207:208], v[207:208], v[209:210], v[207:208]
	s_delay_alu instid0(VALU_DEP_1) | instskip(NEXT) | instid1(VALU_DEP_1)
	v_fma_f64 v[209:210], -v[205:206], v[207:208], 1.0
	v_fma_f64 v[207:208], v[207:208], v[209:210], v[207:208]
	s_delay_alu instid0(VALU_DEP_1) | instskip(NEXT) | instid1(VALU_DEP_1)
	v_mul_f64 v[209:210], v[211:212], v[207:208]
	v_fma_f64 v[205:206], -v[205:206], v[209:210], v[211:212]
	s_delay_alu instid0(VALU_DEP_1) | instskip(NEXT) | instid1(VALU_DEP_1)
	v_div_fmas_f64 v[205:206], v[205:206], v[207:208], v[209:210]
	v_div_fixup_f64 v[205:206], v[205:206], v[190:191], v[188:189]
	s_delay_alu instid0(VALU_DEP_1) | instskip(NEXT) | instid1(VALU_DEP_1)
	v_fma_f64 v[188:189], v[188:189], v[205:206], v[190:191]
	v_div_scale_f64 v[190:191], null, v[188:189], v[188:189], 1.0
	s_delay_alu instid0(VALU_DEP_1) | instskip(SKIP_2) | instid1(VALU_DEP_1)
	v_rcp_f64_e32 v[207:208], v[190:191]
	s_waitcnt_depctr 0xfff
	v_fma_f64 v[209:210], -v[190:191], v[207:208], 1.0
	v_fma_f64 v[207:208], v[207:208], v[209:210], v[207:208]
	s_delay_alu instid0(VALU_DEP_1) | instskip(NEXT) | instid1(VALU_DEP_1)
	v_fma_f64 v[209:210], -v[190:191], v[207:208], 1.0
	v_fma_f64 v[207:208], v[207:208], v[209:210], v[207:208]
	v_div_scale_f64 v[209:210], vcc_lo, 1.0, v[188:189], 1.0
	s_delay_alu instid0(VALU_DEP_1) | instskip(NEXT) | instid1(VALU_DEP_1)
	v_mul_f64 v[211:212], v[209:210], v[207:208]
	v_fma_f64 v[190:191], -v[190:191], v[211:212], v[209:210]
	s_delay_alu instid0(VALU_DEP_1) | instskip(NEXT) | instid1(VALU_DEP_1)
	v_div_fmas_f64 v[190:191], v[190:191], v[207:208], v[211:212]
	v_div_fixup_f64 v[190:191], v[190:191], v[188:189], 1.0
	s_delay_alu instid0(VALU_DEP_1)
	v_mul_f64 v[188:189], v[205:206], v[190:191]
	v_xor_b32_e32 v191, 0x80000000, v191
.LBB92_490:
	s_and_not1_saveexec_b32 s2, s2
	s_cbranch_execz .LBB92_492
; %bb.491:
	s_delay_alu instid0(VALU_DEP_1) | instskip(SKIP_1) | instid1(VALU_DEP_2)
	v_div_scale_f64 v[205:206], null, v[188:189], v[188:189], v[190:191]
	v_div_scale_f64 v[211:212], vcc_lo, v[190:191], v[188:189], v[190:191]
	v_rcp_f64_e32 v[207:208], v[205:206]
	s_waitcnt_depctr 0xfff
	v_fma_f64 v[209:210], -v[205:206], v[207:208], 1.0
	s_delay_alu instid0(VALU_DEP_1) | instskip(NEXT) | instid1(VALU_DEP_1)
	v_fma_f64 v[207:208], v[207:208], v[209:210], v[207:208]
	v_fma_f64 v[209:210], -v[205:206], v[207:208], 1.0
	s_delay_alu instid0(VALU_DEP_1) | instskip(NEXT) | instid1(VALU_DEP_1)
	v_fma_f64 v[207:208], v[207:208], v[209:210], v[207:208]
	v_mul_f64 v[209:210], v[211:212], v[207:208]
	s_delay_alu instid0(VALU_DEP_1) | instskip(NEXT) | instid1(VALU_DEP_1)
	v_fma_f64 v[205:206], -v[205:206], v[209:210], v[211:212]
	v_div_fmas_f64 v[205:206], v[205:206], v[207:208], v[209:210]
	s_delay_alu instid0(VALU_DEP_1) | instskip(NEXT) | instid1(VALU_DEP_1)
	v_div_fixup_f64 v[205:206], v[205:206], v[188:189], v[190:191]
	v_fma_f64 v[188:189], v[190:191], v[205:206], v[188:189]
	s_delay_alu instid0(VALU_DEP_1) | instskip(NEXT) | instid1(VALU_DEP_1)
	v_div_scale_f64 v[190:191], null, v[188:189], v[188:189], 1.0
	v_rcp_f64_e32 v[207:208], v[190:191]
	s_waitcnt_depctr 0xfff
	v_fma_f64 v[209:210], -v[190:191], v[207:208], 1.0
	s_delay_alu instid0(VALU_DEP_1) | instskip(NEXT) | instid1(VALU_DEP_1)
	v_fma_f64 v[207:208], v[207:208], v[209:210], v[207:208]
	v_fma_f64 v[209:210], -v[190:191], v[207:208], 1.0
	s_delay_alu instid0(VALU_DEP_1) | instskip(SKIP_1) | instid1(VALU_DEP_1)
	v_fma_f64 v[207:208], v[207:208], v[209:210], v[207:208]
	v_div_scale_f64 v[209:210], vcc_lo, 1.0, v[188:189], 1.0
	v_mul_f64 v[211:212], v[209:210], v[207:208]
	s_delay_alu instid0(VALU_DEP_1) | instskip(NEXT) | instid1(VALU_DEP_1)
	v_fma_f64 v[190:191], -v[190:191], v[211:212], v[209:210]
	v_div_fmas_f64 v[190:191], v[190:191], v[207:208], v[211:212]
	s_delay_alu instid0(VALU_DEP_1) | instskip(NEXT) | instid1(VALU_DEP_1)
	v_div_fixup_f64 v[188:189], v[190:191], v[188:189], 1.0
	v_mul_f64 v[190:191], v[205:206], -v[188:189]
.LBB92_492:
	s_or_b32 exec_lo, exec_lo, s2
.LBB92_493:
	s_delay_alu instid0(SALU_CYCLE_1) | instskip(NEXT) | instid1(SALU_CYCLE_1)
	s_or_b32 exec_lo, exec_lo, s3
	s_mov_b32 s2, exec_lo
	v_cmpx_ne_u32_e64 v204, v196
	s_xor_b32 s2, exec_lo, s2
	s_cbranch_execz .LBB92_499
; %bb.494:
	s_mov_b32 s3, exec_lo
	v_cmpx_eq_u32_e32 23, v204
	s_cbranch_execz .LBB92_498
; %bb.495:
	v_cmp_ne_u32_e32 vcc_lo, 23, v196
	s_xor_b32 s6, s4, -1
	s_delay_alu instid0(SALU_CYCLE_1) | instskip(NEXT) | instid1(SALU_CYCLE_1)
	s_and_b32 s7, s6, vcc_lo
	s_and_saveexec_b32 s6, s7
	s_cbranch_execz .LBB92_497
; %bb.496:
	v_ashrrev_i32_e32 v197, 31, v196
	s_delay_alu instid0(VALU_DEP_1) | instskip(NEXT) | instid1(VALU_DEP_1)
	v_lshlrev_b64 v[204:205], 2, v[196:197]
	v_add_co_u32 v204, vcc_lo, v194, v204
	s_delay_alu instid0(VALU_DEP_2)
	v_add_co_ci_u32_e32 v205, vcc_lo, v195, v205, vcc_lo
	s_clause 0x1
	flat_load_b32 v197, v[204:205]
	flat_load_b32 v202, v[194:195] offset:92
	s_waitcnt vmcnt(1) lgkmcnt(1)
	flat_store_b32 v[194:195], v197 offset:92
	s_waitcnt vmcnt(0) lgkmcnt(1)
	flat_store_b32 v[204:205], v202
.LBB92_497:
	s_or_b32 exec_lo, exec_lo, s6
	v_mov_b32_e32 v204, v196
	v_mov_b32_e32 v202, v196
.LBB92_498:
	s_or_b32 exec_lo, exec_lo, s3
.LBB92_499:
	s_and_not1_saveexec_b32 s2, s2
	s_cbranch_execz .LBB92_501
; %bb.500:
	v_mov_b32_e32 v204, 23
	ds_store_2addr_b64 v198, v[88:89], v[90:91] offset0:48 offset1:49
	ds_store_2addr_b64 v198, v[84:85], v[86:87] offset0:50 offset1:51
	;; [unrolled: 1-line block ×23, first 2 shown]
.LBB92_501:
	s_or_b32 exec_lo, exec_lo, s2
	s_delay_alu instid0(SALU_CYCLE_1)
	s_mov_b32 s2, exec_lo
	s_waitcnt lgkmcnt(0)
	s_waitcnt_vscnt null, 0x0
	s_barrier
	buffer_gl0_inv
	v_cmpx_lt_i32_e32 23, v204
	s_cbranch_execz .LBB92_503
; %bb.502:
	v_mul_f64 v[196:197], v[190:191], v[94:95]
	v_mul_f64 v[94:95], v[188:189], v[94:95]
	s_delay_alu instid0(VALU_DEP_2) | instskip(NEXT) | instid1(VALU_DEP_2)
	v_fma_f64 v[196:197], v[188:189], v[92:93], -v[196:197]
	v_fma_f64 v[94:95], v[190:191], v[92:93], v[94:95]
	ds_load_2addr_b64 v[188:191], v198 offset0:48 offset1:49
	s_waitcnt lgkmcnt(0)
	v_mul_f64 v[92:93], v[190:191], v[94:95]
	s_delay_alu instid0(VALU_DEP_1) | instskip(SKIP_1) | instid1(VALU_DEP_2)
	v_fma_f64 v[92:93], v[188:189], v[196:197], -v[92:93]
	v_mul_f64 v[188:189], v[188:189], v[94:95]
	v_add_f64 v[88:89], v[88:89], -v[92:93]
	s_delay_alu instid0(VALU_DEP_2) | instskip(NEXT) | instid1(VALU_DEP_1)
	v_fma_f64 v[188:189], v[190:191], v[196:197], v[188:189]
	v_add_f64 v[90:91], v[90:91], -v[188:189]
	ds_load_2addr_b64 v[188:191], v198 offset0:50 offset1:51
	s_waitcnt lgkmcnt(0)
	v_mul_f64 v[92:93], v[190:191], v[94:95]
	s_delay_alu instid0(VALU_DEP_1) | instskip(SKIP_1) | instid1(VALU_DEP_2)
	v_fma_f64 v[92:93], v[188:189], v[196:197], -v[92:93]
	v_mul_f64 v[188:189], v[188:189], v[94:95]
	v_add_f64 v[84:85], v[84:85], -v[92:93]
	s_delay_alu instid0(VALU_DEP_2) | instskip(NEXT) | instid1(VALU_DEP_1)
	v_fma_f64 v[188:189], v[190:191], v[196:197], v[188:189]
	v_add_f64 v[86:87], v[86:87], -v[188:189]
	;; [unrolled: 10-line block ×22, first 2 shown]
	ds_load_2addr_b64 v[188:191], v198 offset0:92 offset1:93
	s_waitcnt lgkmcnt(0)
	v_mul_f64 v[92:93], v[190:191], v[94:95]
	s_delay_alu instid0(VALU_DEP_1) | instskip(SKIP_1) | instid1(VALU_DEP_2)
	v_fma_f64 v[92:93], v[188:189], v[196:197], -v[92:93]
	v_mul_f64 v[188:189], v[188:189], v[94:95]
	v_add_f64 v[0:1], v[0:1], -v[92:93]
	s_delay_alu instid0(VALU_DEP_2) | instskip(SKIP_1) | instid1(VALU_DEP_2)
	v_fma_f64 v[188:189], v[190:191], v[196:197], v[188:189]
	v_dual_mov_b32 v92, v196 :: v_dual_mov_b32 v93, v197
	v_add_f64 v[2:3], v[2:3], -v[188:189]
.LBB92_503:
	s_or_b32 exec_lo, exec_lo, s2
	v_lshl_add_u32 v188, v204, 4, v198
	s_barrier
	buffer_gl0_inv
	v_mov_b32_e32 v196, 24
	ds_store_2addr_b64 v188, v[88:89], v[90:91] offset1:1
	s_waitcnt lgkmcnt(0)
	s_barrier
	buffer_gl0_inv
	ds_load_2addr_b64 v[188:191], v198 offset0:48 offset1:49
	s_cmp_lt_i32 s5, 26
	s_cbranch_scc1 .LBB92_506
; %bb.504:
	v_add3_u32 v197, v203, 0, 0x190
	v_mov_b32_e32 v196, 24
	s_mov_b32 s6, 25
	s_set_inst_prefetch_distance 0x1
	.p2align	6
.LBB92_505:                             ; =>This Inner Loop Header: Depth=1
	ds_load_2addr_b64 v[205:208], v197 offset1:1
	s_waitcnt lgkmcnt(1)
	v_cmp_gt_f64_e32 vcc_lo, 0, v[188:189]
	v_xor_b32_e32 v209, 0x80000000, v189
	v_cmp_gt_f64_e64 s2, 0, v[190:191]
	v_xor_b32_e32 v211, 0x80000000, v191
	v_add_nc_u32_e32 v197, 16, v197
	s_waitcnt lgkmcnt(0)
	v_cmp_gt_f64_e64 s3, 0, v[205:206]
	v_mov_b32_e32 v213, v205
	v_dual_mov_b32 v215, v207 :: v_dual_cndmask_b32 v210, v189, v209
	v_xor_b32_e32 v209, 0x80000000, v206
	v_cndmask_b32_e64 v212, v191, v211, s2
	v_xor_b32_e32 v211, 0x80000000, v208
	s_delay_alu instid0(VALU_DEP_3) | instskip(SKIP_2) | instid1(VALU_DEP_2)
	v_cndmask_b32_e64 v214, v206, v209, s3
	v_cmp_gt_f64_e64 s3, 0, v[207:208]
	v_cndmask_b32_e32 v209, v188, v188, vcc_lo
	v_cndmask_b32_e64 v216, v208, v211, s3
	v_cndmask_b32_e64 v211, v190, v190, s2
	s_delay_alu instid0(VALU_DEP_2) | instskip(NEXT) | instid1(VALU_DEP_2)
	v_add_f64 v[213:214], v[213:214], v[215:216]
	v_add_f64 v[209:210], v[209:210], v[211:212]
	s_delay_alu instid0(VALU_DEP_1) | instskip(SKIP_4) | instid1(SALU_CYCLE_1)
	v_cmp_lt_f64_e32 vcc_lo, v[209:210], v[213:214]
	v_dual_cndmask_b32 v190, v190, v207 :: v_dual_cndmask_b32 v189, v189, v206
	v_dual_cndmask_b32 v188, v188, v205 :: v_dual_cndmask_b32 v191, v191, v208
	v_cndmask_b32_e64 v196, v196, s6, vcc_lo
	s_add_i32 s6, s6, 1
	s_cmp_lg_u32 s5, s6
	s_cbranch_scc1 .LBB92_505
.LBB92_506:
	s_set_inst_prefetch_distance 0x2
	s_waitcnt lgkmcnt(0)
	v_cmp_eq_f64_e32 vcc_lo, 0, v[188:189]
	v_cmp_eq_f64_e64 s2, 0, v[190:191]
	s_delay_alu instid0(VALU_DEP_1) | instskip(NEXT) | instid1(SALU_CYCLE_1)
	s_and_b32 s2, vcc_lo, s2
	s_and_saveexec_b32 s3, s2
	s_delay_alu instid0(SALU_CYCLE_1)
	s_xor_b32 s2, exec_lo, s3
; %bb.507:
	v_cmp_ne_u32_e32 vcc_lo, 0, v201
	v_cndmask_b32_e32 v201, 25, v201, vcc_lo
; %bb.508:
	s_and_not1_saveexec_b32 s3, s2
	s_cbranch_execz .LBB92_514
; %bb.509:
	v_cmp_gt_f64_e32 vcc_lo, 0, v[188:189]
	v_cmp_gt_f64_e64 s2, 0, v[190:191]
	v_xor_b32_e32 v197, 0x80000000, v189
	v_xor_b32_e32 v205, 0x80000000, v191
	s_delay_alu instid0(VALU_DEP_2) | instskip(NEXT) | instid1(VALU_DEP_2)
	v_cndmask_b32_e32 v206, v189, v197, vcc_lo
	v_cndmask_b32_e64 v208, v191, v205, s2
	v_cndmask_b32_e32 v205, v188, v188, vcc_lo
	v_cndmask_b32_e64 v207, v190, v190, s2
	s_mov_b32 s2, exec_lo
	s_delay_alu instid0(VALU_DEP_1)
	v_cmpx_ngt_f64_e32 v[205:206], v[207:208]
	s_xor_b32 s2, exec_lo, s2
	s_cbranch_execz .LBB92_511
; %bb.510:
	v_div_scale_f64 v[205:206], null, v[190:191], v[190:191], v[188:189]
	v_div_scale_f64 v[211:212], vcc_lo, v[188:189], v[190:191], v[188:189]
	s_delay_alu instid0(VALU_DEP_2) | instskip(SKIP_2) | instid1(VALU_DEP_1)
	v_rcp_f64_e32 v[207:208], v[205:206]
	s_waitcnt_depctr 0xfff
	v_fma_f64 v[209:210], -v[205:206], v[207:208], 1.0
	v_fma_f64 v[207:208], v[207:208], v[209:210], v[207:208]
	s_delay_alu instid0(VALU_DEP_1) | instskip(NEXT) | instid1(VALU_DEP_1)
	v_fma_f64 v[209:210], -v[205:206], v[207:208], 1.0
	v_fma_f64 v[207:208], v[207:208], v[209:210], v[207:208]
	s_delay_alu instid0(VALU_DEP_1) | instskip(NEXT) | instid1(VALU_DEP_1)
	v_mul_f64 v[209:210], v[211:212], v[207:208]
	v_fma_f64 v[205:206], -v[205:206], v[209:210], v[211:212]
	s_delay_alu instid0(VALU_DEP_1) | instskip(NEXT) | instid1(VALU_DEP_1)
	v_div_fmas_f64 v[205:206], v[205:206], v[207:208], v[209:210]
	v_div_fixup_f64 v[205:206], v[205:206], v[190:191], v[188:189]
	s_delay_alu instid0(VALU_DEP_1) | instskip(NEXT) | instid1(VALU_DEP_1)
	v_fma_f64 v[188:189], v[188:189], v[205:206], v[190:191]
	v_div_scale_f64 v[190:191], null, v[188:189], v[188:189], 1.0
	s_delay_alu instid0(VALU_DEP_1) | instskip(SKIP_2) | instid1(VALU_DEP_1)
	v_rcp_f64_e32 v[207:208], v[190:191]
	s_waitcnt_depctr 0xfff
	v_fma_f64 v[209:210], -v[190:191], v[207:208], 1.0
	v_fma_f64 v[207:208], v[207:208], v[209:210], v[207:208]
	s_delay_alu instid0(VALU_DEP_1) | instskip(NEXT) | instid1(VALU_DEP_1)
	v_fma_f64 v[209:210], -v[190:191], v[207:208], 1.0
	v_fma_f64 v[207:208], v[207:208], v[209:210], v[207:208]
	v_div_scale_f64 v[209:210], vcc_lo, 1.0, v[188:189], 1.0
	s_delay_alu instid0(VALU_DEP_1) | instskip(NEXT) | instid1(VALU_DEP_1)
	v_mul_f64 v[211:212], v[209:210], v[207:208]
	v_fma_f64 v[190:191], -v[190:191], v[211:212], v[209:210]
	s_delay_alu instid0(VALU_DEP_1) | instskip(NEXT) | instid1(VALU_DEP_1)
	v_div_fmas_f64 v[190:191], v[190:191], v[207:208], v[211:212]
	v_div_fixup_f64 v[190:191], v[190:191], v[188:189], 1.0
	s_delay_alu instid0(VALU_DEP_1)
	v_mul_f64 v[188:189], v[205:206], v[190:191]
	v_xor_b32_e32 v191, 0x80000000, v191
.LBB92_511:
	s_and_not1_saveexec_b32 s2, s2
	s_cbranch_execz .LBB92_513
; %bb.512:
	s_delay_alu instid0(VALU_DEP_1) | instskip(SKIP_1) | instid1(VALU_DEP_2)
	v_div_scale_f64 v[205:206], null, v[188:189], v[188:189], v[190:191]
	v_div_scale_f64 v[211:212], vcc_lo, v[190:191], v[188:189], v[190:191]
	v_rcp_f64_e32 v[207:208], v[205:206]
	s_waitcnt_depctr 0xfff
	v_fma_f64 v[209:210], -v[205:206], v[207:208], 1.0
	s_delay_alu instid0(VALU_DEP_1) | instskip(NEXT) | instid1(VALU_DEP_1)
	v_fma_f64 v[207:208], v[207:208], v[209:210], v[207:208]
	v_fma_f64 v[209:210], -v[205:206], v[207:208], 1.0
	s_delay_alu instid0(VALU_DEP_1) | instskip(NEXT) | instid1(VALU_DEP_1)
	v_fma_f64 v[207:208], v[207:208], v[209:210], v[207:208]
	v_mul_f64 v[209:210], v[211:212], v[207:208]
	s_delay_alu instid0(VALU_DEP_1) | instskip(NEXT) | instid1(VALU_DEP_1)
	v_fma_f64 v[205:206], -v[205:206], v[209:210], v[211:212]
	v_div_fmas_f64 v[205:206], v[205:206], v[207:208], v[209:210]
	s_delay_alu instid0(VALU_DEP_1) | instskip(NEXT) | instid1(VALU_DEP_1)
	v_div_fixup_f64 v[205:206], v[205:206], v[188:189], v[190:191]
	v_fma_f64 v[188:189], v[190:191], v[205:206], v[188:189]
	s_delay_alu instid0(VALU_DEP_1) | instskip(NEXT) | instid1(VALU_DEP_1)
	v_div_scale_f64 v[190:191], null, v[188:189], v[188:189], 1.0
	v_rcp_f64_e32 v[207:208], v[190:191]
	s_waitcnt_depctr 0xfff
	v_fma_f64 v[209:210], -v[190:191], v[207:208], 1.0
	s_delay_alu instid0(VALU_DEP_1) | instskip(NEXT) | instid1(VALU_DEP_1)
	v_fma_f64 v[207:208], v[207:208], v[209:210], v[207:208]
	v_fma_f64 v[209:210], -v[190:191], v[207:208], 1.0
	s_delay_alu instid0(VALU_DEP_1) | instskip(SKIP_1) | instid1(VALU_DEP_1)
	v_fma_f64 v[207:208], v[207:208], v[209:210], v[207:208]
	v_div_scale_f64 v[209:210], vcc_lo, 1.0, v[188:189], 1.0
	v_mul_f64 v[211:212], v[209:210], v[207:208]
	s_delay_alu instid0(VALU_DEP_1) | instskip(NEXT) | instid1(VALU_DEP_1)
	v_fma_f64 v[190:191], -v[190:191], v[211:212], v[209:210]
	v_div_fmas_f64 v[190:191], v[190:191], v[207:208], v[211:212]
	s_delay_alu instid0(VALU_DEP_1) | instskip(NEXT) | instid1(VALU_DEP_1)
	v_div_fixup_f64 v[188:189], v[190:191], v[188:189], 1.0
	v_mul_f64 v[190:191], v[205:206], -v[188:189]
.LBB92_513:
	s_or_b32 exec_lo, exec_lo, s2
.LBB92_514:
	s_delay_alu instid0(SALU_CYCLE_1) | instskip(NEXT) | instid1(SALU_CYCLE_1)
	s_or_b32 exec_lo, exec_lo, s3
	s_mov_b32 s2, exec_lo
	v_cmpx_ne_u32_e64 v204, v196
	s_xor_b32 s2, exec_lo, s2
	s_cbranch_execz .LBB92_520
; %bb.515:
	s_mov_b32 s3, exec_lo
	v_cmpx_eq_u32_e32 24, v204
	s_cbranch_execz .LBB92_519
; %bb.516:
	v_cmp_ne_u32_e32 vcc_lo, 24, v196
	s_xor_b32 s6, s4, -1
	s_delay_alu instid0(SALU_CYCLE_1) | instskip(NEXT) | instid1(SALU_CYCLE_1)
	s_and_b32 s7, s6, vcc_lo
	s_and_saveexec_b32 s6, s7
	s_cbranch_execz .LBB92_518
; %bb.517:
	v_ashrrev_i32_e32 v197, 31, v196
	s_delay_alu instid0(VALU_DEP_1) | instskip(NEXT) | instid1(VALU_DEP_1)
	v_lshlrev_b64 v[204:205], 2, v[196:197]
	v_add_co_u32 v204, vcc_lo, v194, v204
	s_delay_alu instid0(VALU_DEP_2)
	v_add_co_ci_u32_e32 v205, vcc_lo, v195, v205, vcc_lo
	s_clause 0x1
	flat_load_b32 v197, v[204:205]
	flat_load_b32 v202, v[194:195] offset:96
	s_waitcnt vmcnt(1) lgkmcnt(1)
	flat_store_b32 v[194:195], v197 offset:96
	s_waitcnt vmcnt(0) lgkmcnt(1)
	flat_store_b32 v[204:205], v202
.LBB92_518:
	s_or_b32 exec_lo, exec_lo, s6
	v_mov_b32_e32 v204, v196
	v_mov_b32_e32 v202, v196
.LBB92_519:
	s_or_b32 exec_lo, exec_lo, s3
.LBB92_520:
	s_and_not1_saveexec_b32 s2, s2
	s_cbranch_execz .LBB92_522
; %bb.521:
	v_mov_b32_e32 v204, 24
	ds_store_2addr_b64 v198, v[84:85], v[86:87] offset0:50 offset1:51
	ds_store_2addr_b64 v198, v[80:81], v[82:83] offset0:52 offset1:53
	;; [unrolled: 1-line block ×22, first 2 shown]
.LBB92_522:
	s_or_b32 exec_lo, exec_lo, s2
	s_delay_alu instid0(SALU_CYCLE_1)
	s_mov_b32 s2, exec_lo
	s_waitcnt lgkmcnt(0)
	s_waitcnt_vscnt null, 0x0
	s_barrier
	buffer_gl0_inv
	v_cmpx_lt_i32_e32 24, v204
	s_cbranch_execz .LBB92_524
; %bb.523:
	v_mul_f64 v[196:197], v[190:191], v[90:91]
	v_mul_f64 v[90:91], v[188:189], v[90:91]
	s_delay_alu instid0(VALU_DEP_2) | instskip(NEXT) | instid1(VALU_DEP_2)
	v_fma_f64 v[196:197], v[188:189], v[88:89], -v[196:197]
	v_fma_f64 v[90:91], v[190:191], v[88:89], v[90:91]
	ds_load_2addr_b64 v[188:191], v198 offset0:50 offset1:51
	s_waitcnt lgkmcnt(0)
	v_mul_f64 v[88:89], v[190:191], v[90:91]
	s_delay_alu instid0(VALU_DEP_1) | instskip(SKIP_1) | instid1(VALU_DEP_2)
	v_fma_f64 v[88:89], v[188:189], v[196:197], -v[88:89]
	v_mul_f64 v[188:189], v[188:189], v[90:91]
	v_add_f64 v[84:85], v[84:85], -v[88:89]
	s_delay_alu instid0(VALU_DEP_2) | instskip(NEXT) | instid1(VALU_DEP_1)
	v_fma_f64 v[188:189], v[190:191], v[196:197], v[188:189]
	v_add_f64 v[86:87], v[86:87], -v[188:189]
	ds_load_2addr_b64 v[188:191], v198 offset0:52 offset1:53
	s_waitcnt lgkmcnt(0)
	v_mul_f64 v[88:89], v[190:191], v[90:91]
	s_delay_alu instid0(VALU_DEP_1) | instskip(SKIP_1) | instid1(VALU_DEP_2)
	v_fma_f64 v[88:89], v[188:189], v[196:197], -v[88:89]
	v_mul_f64 v[188:189], v[188:189], v[90:91]
	v_add_f64 v[80:81], v[80:81], -v[88:89]
	s_delay_alu instid0(VALU_DEP_2) | instskip(NEXT) | instid1(VALU_DEP_1)
	v_fma_f64 v[188:189], v[190:191], v[196:197], v[188:189]
	v_add_f64 v[82:83], v[82:83], -v[188:189]
	;; [unrolled: 10-line block ×21, first 2 shown]
	ds_load_2addr_b64 v[188:191], v198 offset0:92 offset1:93
	s_waitcnt lgkmcnt(0)
	v_mul_f64 v[88:89], v[190:191], v[90:91]
	s_delay_alu instid0(VALU_DEP_1) | instskip(SKIP_1) | instid1(VALU_DEP_2)
	v_fma_f64 v[88:89], v[188:189], v[196:197], -v[88:89]
	v_mul_f64 v[188:189], v[188:189], v[90:91]
	v_add_f64 v[0:1], v[0:1], -v[88:89]
	s_delay_alu instid0(VALU_DEP_2) | instskip(SKIP_1) | instid1(VALU_DEP_2)
	v_fma_f64 v[188:189], v[190:191], v[196:197], v[188:189]
	v_dual_mov_b32 v88, v196 :: v_dual_mov_b32 v89, v197
	v_add_f64 v[2:3], v[2:3], -v[188:189]
.LBB92_524:
	s_or_b32 exec_lo, exec_lo, s2
	v_lshl_add_u32 v188, v204, 4, v198
	s_barrier
	buffer_gl0_inv
	v_mov_b32_e32 v196, 25
	ds_store_2addr_b64 v188, v[84:85], v[86:87] offset1:1
	s_waitcnt lgkmcnt(0)
	s_barrier
	buffer_gl0_inv
	ds_load_2addr_b64 v[188:191], v198 offset0:50 offset1:51
	s_cmp_lt_i32 s5, 27
	s_cbranch_scc1 .LBB92_527
; %bb.525:
	v_add3_u32 v197, v203, 0, 0x1a0
	v_mov_b32_e32 v196, 25
	s_mov_b32 s6, 26
	s_set_inst_prefetch_distance 0x1
	.p2align	6
.LBB92_526:                             ; =>This Inner Loop Header: Depth=1
	ds_load_2addr_b64 v[205:208], v197 offset1:1
	s_waitcnt lgkmcnt(1)
	v_cmp_gt_f64_e32 vcc_lo, 0, v[188:189]
	v_xor_b32_e32 v209, 0x80000000, v189
	v_cmp_gt_f64_e64 s2, 0, v[190:191]
	v_xor_b32_e32 v211, 0x80000000, v191
	v_add_nc_u32_e32 v197, 16, v197
	s_waitcnt lgkmcnt(0)
	v_cmp_gt_f64_e64 s3, 0, v[205:206]
	v_mov_b32_e32 v213, v205
	v_dual_mov_b32 v215, v207 :: v_dual_cndmask_b32 v210, v189, v209
	v_xor_b32_e32 v209, 0x80000000, v206
	v_cndmask_b32_e64 v212, v191, v211, s2
	v_xor_b32_e32 v211, 0x80000000, v208
	s_delay_alu instid0(VALU_DEP_3) | instskip(SKIP_2) | instid1(VALU_DEP_2)
	v_cndmask_b32_e64 v214, v206, v209, s3
	v_cmp_gt_f64_e64 s3, 0, v[207:208]
	v_cndmask_b32_e32 v209, v188, v188, vcc_lo
	v_cndmask_b32_e64 v216, v208, v211, s3
	v_cndmask_b32_e64 v211, v190, v190, s2
	s_delay_alu instid0(VALU_DEP_2) | instskip(NEXT) | instid1(VALU_DEP_2)
	v_add_f64 v[213:214], v[213:214], v[215:216]
	v_add_f64 v[209:210], v[209:210], v[211:212]
	s_delay_alu instid0(VALU_DEP_1) | instskip(SKIP_4) | instid1(SALU_CYCLE_1)
	v_cmp_lt_f64_e32 vcc_lo, v[209:210], v[213:214]
	v_dual_cndmask_b32 v190, v190, v207 :: v_dual_cndmask_b32 v189, v189, v206
	v_dual_cndmask_b32 v188, v188, v205 :: v_dual_cndmask_b32 v191, v191, v208
	v_cndmask_b32_e64 v196, v196, s6, vcc_lo
	s_add_i32 s6, s6, 1
	s_cmp_lg_u32 s5, s6
	s_cbranch_scc1 .LBB92_526
.LBB92_527:
	s_set_inst_prefetch_distance 0x2
	s_waitcnt lgkmcnt(0)
	v_cmp_eq_f64_e32 vcc_lo, 0, v[188:189]
	v_cmp_eq_f64_e64 s2, 0, v[190:191]
	s_delay_alu instid0(VALU_DEP_1) | instskip(NEXT) | instid1(SALU_CYCLE_1)
	s_and_b32 s2, vcc_lo, s2
	s_and_saveexec_b32 s3, s2
	s_delay_alu instid0(SALU_CYCLE_1)
	s_xor_b32 s2, exec_lo, s3
; %bb.528:
	v_cmp_ne_u32_e32 vcc_lo, 0, v201
	v_cndmask_b32_e32 v201, 26, v201, vcc_lo
; %bb.529:
	s_and_not1_saveexec_b32 s3, s2
	s_cbranch_execz .LBB92_535
; %bb.530:
	v_cmp_gt_f64_e32 vcc_lo, 0, v[188:189]
	v_cmp_gt_f64_e64 s2, 0, v[190:191]
	v_xor_b32_e32 v197, 0x80000000, v189
	v_xor_b32_e32 v205, 0x80000000, v191
	s_delay_alu instid0(VALU_DEP_2) | instskip(NEXT) | instid1(VALU_DEP_2)
	v_cndmask_b32_e32 v206, v189, v197, vcc_lo
	v_cndmask_b32_e64 v208, v191, v205, s2
	v_cndmask_b32_e32 v205, v188, v188, vcc_lo
	v_cndmask_b32_e64 v207, v190, v190, s2
	s_mov_b32 s2, exec_lo
	s_delay_alu instid0(VALU_DEP_1)
	v_cmpx_ngt_f64_e32 v[205:206], v[207:208]
	s_xor_b32 s2, exec_lo, s2
	s_cbranch_execz .LBB92_532
; %bb.531:
	v_div_scale_f64 v[205:206], null, v[190:191], v[190:191], v[188:189]
	v_div_scale_f64 v[211:212], vcc_lo, v[188:189], v[190:191], v[188:189]
	s_delay_alu instid0(VALU_DEP_2) | instskip(SKIP_2) | instid1(VALU_DEP_1)
	v_rcp_f64_e32 v[207:208], v[205:206]
	s_waitcnt_depctr 0xfff
	v_fma_f64 v[209:210], -v[205:206], v[207:208], 1.0
	v_fma_f64 v[207:208], v[207:208], v[209:210], v[207:208]
	s_delay_alu instid0(VALU_DEP_1) | instskip(NEXT) | instid1(VALU_DEP_1)
	v_fma_f64 v[209:210], -v[205:206], v[207:208], 1.0
	v_fma_f64 v[207:208], v[207:208], v[209:210], v[207:208]
	s_delay_alu instid0(VALU_DEP_1) | instskip(NEXT) | instid1(VALU_DEP_1)
	v_mul_f64 v[209:210], v[211:212], v[207:208]
	v_fma_f64 v[205:206], -v[205:206], v[209:210], v[211:212]
	s_delay_alu instid0(VALU_DEP_1) | instskip(NEXT) | instid1(VALU_DEP_1)
	v_div_fmas_f64 v[205:206], v[205:206], v[207:208], v[209:210]
	v_div_fixup_f64 v[205:206], v[205:206], v[190:191], v[188:189]
	s_delay_alu instid0(VALU_DEP_1) | instskip(NEXT) | instid1(VALU_DEP_1)
	v_fma_f64 v[188:189], v[188:189], v[205:206], v[190:191]
	v_div_scale_f64 v[190:191], null, v[188:189], v[188:189], 1.0
	s_delay_alu instid0(VALU_DEP_1) | instskip(SKIP_2) | instid1(VALU_DEP_1)
	v_rcp_f64_e32 v[207:208], v[190:191]
	s_waitcnt_depctr 0xfff
	v_fma_f64 v[209:210], -v[190:191], v[207:208], 1.0
	v_fma_f64 v[207:208], v[207:208], v[209:210], v[207:208]
	s_delay_alu instid0(VALU_DEP_1) | instskip(NEXT) | instid1(VALU_DEP_1)
	v_fma_f64 v[209:210], -v[190:191], v[207:208], 1.0
	v_fma_f64 v[207:208], v[207:208], v[209:210], v[207:208]
	v_div_scale_f64 v[209:210], vcc_lo, 1.0, v[188:189], 1.0
	s_delay_alu instid0(VALU_DEP_1) | instskip(NEXT) | instid1(VALU_DEP_1)
	v_mul_f64 v[211:212], v[209:210], v[207:208]
	v_fma_f64 v[190:191], -v[190:191], v[211:212], v[209:210]
	s_delay_alu instid0(VALU_DEP_1) | instskip(NEXT) | instid1(VALU_DEP_1)
	v_div_fmas_f64 v[190:191], v[190:191], v[207:208], v[211:212]
	v_div_fixup_f64 v[190:191], v[190:191], v[188:189], 1.0
	s_delay_alu instid0(VALU_DEP_1)
	v_mul_f64 v[188:189], v[205:206], v[190:191]
	v_xor_b32_e32 v191, 0x80000000, v191
.LBB92_532:
	s_and_not1_saveexec_b32 s2, s2
	s_cbranch_execz .LBB92_534
; %bb.533:
	s_delay_alu instid0(VALU_DEP_1) | instskip(SKIP_1) | instid1(VALU_DEP_2)
	v_div_scale_f64 v[205:206], null, v[188:189], v[188:189], v[190:191]
	v_div_scale_f64 v[211:212], vcc_lo, v[190:191], v[188:189], v[190:191]
	v_rcp_f64_e32 v[207:208], v[205:206]
	s_waitcnt_depctr 0xfff
	v_fma_f64 v[209:210], -v[205:206], v[207:208], 1.0
	s_delay_alu instid0(VALU_DEP_1) | instskip(NEXT) | instid1(VALU_DEP_1)
	v_fma_f64 v[207:208], v[207:208], v[209:210], v[207:208]
	v_fma_f64 v[209:210], -v[205:206], v[207:208], 1.0
	s_delay_alu instid0(VALU_DEP_1) | instskip(NEXT) | instid1(VALU_DEP_1)
	v_fma_f64 v[207:208], v[207:208], v[209:210], v[207:208]
	v_mul_f64 v[209:210], v[211:212], v[207:208]
	s_delay_alu instid0(VALU_DEP_1) | instskip(NEXT) | instid1(VALU_DEP_1)
	v_fma_f64 v[205:206], -v[205:206], v[209:210], v[211:212]
	v_div_fmas_f64 v[205:206], v[205:206], v[207:208], v[209:210]
	s_delay_alu instid0(VALU_DEP_1) | instskip(NEXT) | instid1(VALU_DEP_1)
	v_div_fixup_f64 v[205:206], v[205:206], v[188:189], v[190:191]
	v_fma_f64 v[188:189], v[190:191], v[205:206], v[188:189]
	s_delay_alu instid0(VALU_DEP_1) | instskip(NEXT) | instid1(VALU_DEP_1)
	v_div_scale_f64 v[190:191], null, v[188:189], v[188:189], 1.0
	v_rcp_f64_e32 v[207:208], v[190:191]
	s_waitcnt_depctr 0xfff
	v_fma_f64 v[209:210], -v[190:191], v[207:208], 1.0
	s_delay_alu instid0(VALU_DEP_1) | instskip(NEXT) | instid1(VALU_DEP_1)
	v_fma_f64 v[207:208], v[207:208], v[209:210], v[207:208]
	v_fma_f64 v[209:210], -v[190:191], v[207:208], 1.0
	s_delay_alu instid0(VALU_DEP_1) | instskip(SKIP_1) | instid1(VALU_DEP_1)
	v_fma_f64 v[207:208], v[207:208], v[209:210], v[207:208]
	v_div_scale_f64 v[209:210], vcc_lo, 1.0, v[188:189], 1.0
	v_mul_f64 v[211:212], v[209:210], v[207:208]
	s_delay_alu instid0(VALU_DEP_1) | instskip(NEXT) | instid1(VALU_DEP_1)
	v_fma_f64 v[190:191], -v[190:191], v[211:212], v[209:210]
	v_div_fmas_f64 v[190:191], v[190:191], v[207:208], v[211:212]
	s_delay_alu instid0(VALU_DEP_1) | instskip(NEXT) | instid1(VALU_DEP_1)
	v_div_fixup_f64 v[188:189], v[190:191], v[188:189], 1.0
	v_mul_f64 v[190:191], v[205:206], -v[188:189]
.LBB92_534:
	s_or_b32 exec_lo, exec_lo, s2
.LBB92_535:
	s_delay_alu instid0(SALU_CYCLE_1) | instskip(NEXT) | instid1(SALU_CYCLE_1)
	s_or_b32 exec_lo, exec_lo, s3
	s_mov_b32 s2, exec_lo
	v_cmpx_ne_u32_e64 v204, v196
	s_xor_b32 s2, exec_lo, s2
	s_cbranch_execz .LBB92_541
; %bb.536:
	s_mov_b32 s3, exec_lo
	v_cmpx_eq_u32_e32 25, v204
	s_cbranch_execz .LBB92_540
; %bb.537:
	v_cmp_ne_u32_e32 vcc_lo, 25, v196
	s_xor_b32 s6, s4, -1
	s_delay_alu instid0(SALU_CYCLE_1) | instskip(NEXT) | instid1(SALU_CYCLE_1)
	s_and_b32 s7, s6, vcc_lo
	s_and_saveexec_b32 s6, s7
	s_cbranch_execz .LBB92_539
; %bb.538:
	v_ashrrev_i32_e32 v197, 31, v196
	s_delay_alu instid0(VALU_DEP_1) | instskip(NEXT) | instid1(VALU_DEP_1)
	v_lshlrev_b64 v[204:205], 2, v[196:197]
	v_add_co_u32 v204, vcc_lo, v194, v204
	s_delay_alu instid0(VALU_DEP_2)
	v_add_co_ci_u32_e32 v205, vcc_lo, v195, v205, vcc_lo
	s_clause 0x1
	flat_load_b32 v197, v[204:205]
	flat_load_b32 v202, v[194:195] offset:100
	s_waitcnt vmcnt(1) lgkmcnt(1)
	flat_store_b32 v[194:195], v197 offset:100
	s_waitcnt vmcnt(0) lgkmcnt(1)
	flat_store_b32 v[204:205], v202
.LBB92_539:
	s_or_b32 exec_lo, exec_lo, s6
	v_mov_b32_e32 v204, v196
	v_mov_b32_e32 v202, v196
.LBB92_540:
	s_or_b32 exec_lo, exec_lo, s3
.LBB92_541:
	s_and_not1_saveexec_b32 s2, s2
	s_cbranch_execz .LBB92_543
; %bb.542:
	v_mov_b32_e32 v204, 25
	ds_store_2addr_b64 v198, v[80:81], v[82:83] offset0:52 offset1:53
	ds_store_2addr_b64 v198, v[76:77], v[78:79] offset0:54 offset1:55
	;; [unrolled: 1-line block ×21, first 2 shown]
.LBB92_543:
	s_or_b32 exec_lo, exec_lo, s2
	s_delay_alu instid0(SALU_CYCLE_1)
	s_mov_b32 s2, exec_lo
	s_waitcnt lgkmcnt(0)
	s_waitcnt_vscnt null, 0x0
	s_barrier
	buffer_gl0_inv
	v_cmpx_lt_i32_e32 25, v204
	s_cbranch_execz .LBB92_545
; %bb.544:
	v_mul_f64 v[196:197], v[190:191], v[86:87]
	v_mul_f64 v[86:87], v[188:189], v[86:87]
	s_delay_alu instid0(VALU_DEP_2) | instskip(NEXT) | instid1(VALU_DEP_2)
	v_fma_f64 v[196:197], v[188:189], v[84:85], -v[196:197]
	v_fma_f64 v[86:87], v[190:191], v[84:85], v[86:87]
	ds_load_2addr_b64 v[188:191], v198 offset0:52 offset1:53
	s_waitcnt lgkmcnt(0)
	v_mul_f64 v[84:85], v[190:191], v[86:87]
	s_delay_alu instid0(VALU_DEP_1) | instskip(SKIP_1) | instid1(VALU_DEP_2)
	v_fma_f64 v[84:85], v[188:189], v[196:197], -v[84:85]
	v_mul_f64 v[188:189], v[188:189], v[86:87]
	v_add_f64 v[80:81], v[80:81], -v[84:85]
	s_delay_alu instid0(VALU_DEP_2) | instskip(NEXT) | instid1(VALU_DEP_1)
	v_fma_f64 v[188:189], v[190:191], v[196:197], v[188:189]
	v_add_f64 v[82:83], v[82:83], -v[188:189]
	ds_load_2addr_b64 v[188:191], v198 offset0:54 offset1:55
	s_waitcnt lgkmcnt(0)
	v_mul_f64 v[84:85], v[190:191], v[86:87]
	s_delay_alu instid0(VALU_DEP_1) | instskip(SKIP_1) | instid1(VALU_DEP_2)
	v_fma_f64 v[84:85], v[188:189], v[196:197], -v[84:85]
	v_mul_f64 v[188:189], v[188:189], v[86:87]
	v_add_f64 v[76:77], v[76:77], -v[84:85]
	s_delay_alu instid0(VALU_DEP_2) | instskip(NEXT) | instid1(VALU_DEP_1)
	v_fma_f64 v[188:189], v[190:191], v[196:197], v[188:189]
	v_add_f64 v[78:79], v[78:79], -v[188:189]
	;; [unrolled: 10-line block ×20, first 2 shown]
	ds_load_2addr_b64 v[188:191], v198 offset0:92 offset1:93
	s_waitcnt lgkmcnt(0)
	v_mul_f64 v[84:85], v[190:191], v[86:87]
	s_delay_alu instid0(VALU_DEP_1) | instskip(SKIP_1) | instid1(VALU_DEP_2)
	v_fma_f64 v[84:85], v[188:189], v[196:197], -v[84:85]
	v_mul_f64 v[188:189], v[188:189], v[86:87]
	v_add_f64 v[0:1], v[0:1], -v[84:85]
	s_delay_alu instid0(VALU_DEP_2) | instskip(SKIP_1) | instid1(VALU_DEP_2)
	v_fma_f64 v[188:189], v[190:191], v[196:197], v[188:189]
	v_dual_mov_b32 v84, v196 :: v_dual_mov_b32 v85, v197
	v_add_f64 v[2:3], v[2:3], -v[188:189]
.LBB92_545:
	s_or_b32 exec_lo, exec_lo, s2
	v_lshl_add_u32 v188, v204, 4, v198
	s_barrier
	buffer_gl0_inv
	v_mov_b32_e32 v196, 26
	ds_store_2addr_b64 v188, v[80:81], v[82:83] offset1:1
	s_waitcnt lgkmcnt(0)
	s_barrier
	buffer_gl0_inv
	ds_load_2addr_b64 v[188:191], v198 offset0:52 offset1:53
	s_cmp_lt_i32 s5, 28
	s_cbranch_scc1 .LBB92_548
; %bb.546:
	v_add3_u32 v197, v203, 0, 0x1b0
	v_mov_b32_e32 v196, 26
	s_mov_b32 s6, 27
	s_set_inst_prefetch_distance 0x1
	.p2align	6
.LBB92_547:                             ; =>This Inner Loop Header: Depth=1
	ds_load_2addr_b64 v[205:208], v197 offset1:1
	s_waitcnt lgkmcnt(1)
	v_cmp_gt_f64_e32 vcc_lo, 0, v[188:189]
	v_xor_b32_e32 v209, 0x80000000, v189
	v_cmp_gt_f64_e64 s2, 0, v[190:191]
	v_xor_b32_e32 v211, 0x80000000, v191
	v_add_nc_u32_e32 v197, 16, v197
	s_waitcnt lgkmcnt(0)
	v_cmp_gt_f64_e64 s3, 0, v[205:206]
	v_mov_b32_e32 v213, v205
	v_dual_mov_b32 v215, v207 :: v_dual_cndmask_b32 v210, v189, v209
	v_xor_b32_e32 v209, 0x80000000, v206
	v_cndmask_b32_e64 v212, v191, v211, s2
	v_xor_b32_e32 v211, 0x80000000, v208
	s_delay_alu instid0(VALU_DEP_3) | instskip(SKIP_2) | instid1(VALU_DEP_2)
	v_cndmask_b32_e64 v214, v206, v209, s3
	v_cmp_gt_f64_e64 s3, 0, v[207:208]
	v_cndmask_b32_e32 v209, v188, v188, vcc_lo
	v_cndmask_b32_e64 v216, v208, v211, s3
	v_cndmask_b32_e64 v211, v190, v190, s2
	s_delay_alu instid0(VALU_DEP_2) | instskip(NEXT) | instid1(VALU_DEP_2)
	v_add_f64 v[213:214], v[213:214], v[215:216]
	v_add_f64 v[209:210], v[209:210], v[211:212]
	s_delay_alu instid0(VALU_DEP_1) | instskip(SKIP_4) | instid1(SALU_CYCLE_1)
	v_cmp_lt_f64_e32 vcc_lo, v[209:210], v[213:214]
	v_dual_cndmask_b32 v190, v190, v207 :: v_dual_cndmask_b32 v189, v189, v206
	v_dual_cndmask_b32 v188, v188, v205 :: v_dual_cndmask_b32 v191, v191, v208
	v_cndmask_b32_e64 v196, v196, s6, vcc_lo
	s_add_i32 s6, s6, 1
	s_cmp_lg_u32 s5, s6
	s_cbranch_scc1 .LBB92_547
.LBB92_548:
	s_set_inst_prefetch_distance 0x2
	s_waitcnt lgkmcnt(0)
	v_cmp_eq_f64_e32 vcc_lo, 0, v[188:189]
	v_cmp_eq_f64_e64 s2, 0, v[190:191]
	s_delay_alu instid0(VALU_DEP_1) | instskip(NEXT) | instid1(SALU_CYCLE_1)
	s_and_b32 s2, vcc_lo, s2
	s_and_saveexec_b32 s3, s2
	s_delay_alu instid0(SALU_CYCLE_1)
	s_xor_b32 s2, exec_lo, s3
; %bb.549:
	v_cmp_ne_u32_e32 vcc_lo, 0, v201
	v_cndmask_b32_e32 v201, 27, v201, vcc_lo
; %bb.550:
	s_and_not1_saveexec_b32 s3, s2
	s_cbranch_execz .LBB92_556
; %bb.551:
	v_cmp_gt_f64_e32 vcc_lo, 0, v[188:189]
	v_cmp_gt_f64_e64 s2, 0, v[190:191]
	v_xor_b32_e32 v197, 0x80000000, v189
	v_xor_b32_e32 v205, 0x80000000, v191
	s_delay_alu instid0(VALU_DEP_2) | instskip(NEXT) | instid1(VALU_DEP_2)
	v_cndmask_b32_e32 v206, v189, v197, vcc_lo
	v_cndmask_b32_e64 v208, v191, v205, s2
	v_cndmask_b32_e32 v205, v188, v188, vcc_lo
	v_cndmask_b32_e64 v207, v190, v190, s2
	s_mov_b32 s2, exec_lo
	s_delay_alu instid0(VALU_DEP_1)
	v_cmpx_ngt_f64_e32 v[205:206], v[207:208]
	s_xor_b32 s2, exec_lo, s2
	s_cbranch_execz .LBB92_553
; %bb.552:
	v_div_scale_f64 v[205:206], null, v[190:191], v[190:191], v[188:189]
	v_div_scale_f64 v[211:212], vcc_lo, v[188:189], v[190:191], v[188:189]
	s_delay_alu instid0(VALU_DEP_2) | instskip(SKIP_2) | instid1(VALU_DEP_1)
	v_rcp_f64_e32 v[207:208], v[205:206]
	s_waitcnt_depctr 0xfff
	v_fma_f64 v[209:210], -v[205:206], v[207:208], 1.0
	v_fma_f64 v[207:208], v[207:208], v[209:210], v[207:208]
	s_delay_alu instid0(VALU_DEP_1) | instskip(NEXT) | instid1(VALU_DEP_1)
	v_fma_f64 v[209:210], -v[205:206], v[207:208], 1.0
	v_fma_f64 v[207:208], v[207:208], v[209:210], v[207:208]
	s_delay_alu instid0(VALU_DEP_1) | instskip(NEXT) | instid1(VALU_DEP_1)
	v_mul_f64 v[209:210], v[211:212], v[207:208]
	v_fma_f64 v[205:206], -v[205:206], v[209:210], v[211:212]
	s_delay_alu instid0(VALU_DEP_1) | instskip(NEXT) | instid1(VALU_DEP_1)
	v_div_fmas_f64 v[205:206], v[205:206], v[207:208], v[209:210]
	v_div_fixup_f64 v[205:206], v[205:206], v[190:191], v[188:189]
	s_delay_alu instid0(VALU_DEP_1) | instskip(NEXT) | instid1(VALU_DEP_1)
	v_fma_f64 v[188:189], v[188:189], v[205:206], v[190:191]
	v_div_scale_f64 v[190:191], null, v[188:189], v[188:189], 1.0
	s_delay_alu instid0(VALU_DEP_1) | instskip(SKIP_2) | instid1(VALU_DEP_1)
	v_rcp_f64_e32 v[207:208], v[190:191]
	s_waitcnt_depctr 0xfff
	v_fma_f64 v[209:210], -v[190:191], v[207:208], 1.0
	v_fma_f64 v[207:208], v[207:208], v[209:210], v[207:208]
	s_delay_alu instid0(VALU_DEP_1) | instskip(NEXT) | instid1(VALU_DEP_1)
	v_fma_f64 v[209:210], -v[190:191], v[207:208], 1.0
	v_fma_f64 v[207:208], v[207:208], v[209:210], v[207:208]
	v_div_scale_f64 v[209:210], vcc_lo, 1.0, v[188:189], 1.0
	s_delay_alu instid0(VALU_DEP_1) | instskip(NEXT) | instid1(VALU_DEP_1)
	v_mul_f64 v[211:212], v[209:210], v[207:208]
	v_fma_f64 v[190:191], -v[190:191], v[211:212], v[209:210]
	s_delay_alu instid0(VALU_DEP_1) | instskip(NEXT) | instid1(VALU_DEP_1)
	v_div_fmas_f64 v[190:191], v[190:191], v[207:208], v[211:212]
	v_div_fixup_f64 v[190:191], v[190:191], v[188:189], 1.0
	s_delay_alu instid0(VALU_DEP_1)
	v_mul_f64 v[188:189], v[205:206], v[190:191]
	v_xor_b32_e32 v191, 0x80000000, v191
.LBB92_553:
	s_and_not1_saveexec_b32 s2, s2
	s_cbranch_execz .LBB92_555
; %bb.554:
	s_delay_alu instid0(VALU_DEP_1) | instskip(SKIP_1) | instid1(VALU_DEP_2)
	v_div_scale_f64 v[205:206], null, v[188:189], v[188:189], v[190:191]
	v_div_scale_f64 v[211:212], vcc_lo, v[190:191], v[188:189], v[190:191]
	v_rcp_f64_e32 v[207:208], v[205:206]
	s_waitcnt_depctr 0xfff
	v_fma_f64 v[209:210], -v[205:206], v[207:208], 1.0
	s_delay_alu instid0(VALU_DEP_1) | instskip(NEXT) | instid1(VALU_DEP_1)
	v_fma_f64 v[207:208], v[207:208], v[209:210], v[207:208]
	v_fma_f64 v[209:210], -v[205:206], v[207:208], 1.0
	s_delay_alu instid0(VALU_DEP_1) | instskip(NEXT) | instid1(VALU_DEP_1)
	v_fma_f64 v[207:208], v[207:208], v[209:210], v[207:208]
	v_mul_f64 v[209:210], v[211:212], v[207:208]
	s_delay_alu instid0(VALU_DEP_1) | instskip(NEXT) | instid1(VALU_DEP_1)
	v_fma_f64 v[205:206], -v[205:206], v[209:210], v[211:212]
	v_div_fmas_f64 v[205:206], v[205:206], v[207:208], v[209:210]
	s_delay_alu instid0(VALU_DEP_1) | instskip(NEXT) | instid1(VALU_DEP_1)
	v_div_fixup_f64 v[205:206], v[205:206], v[188:189], v[190:191]
	v_fma_f64 v[188:189], v[190:191], v[205:206], v[188:189]
	s_delay_alu instid0(VALU_DEP_1) | instskip(NEXT) | instid1(VALU_DEP_1)
	v_div_scale_f64 v[190:191], null, v[188:189], v[188:189], 1.0
	v_rcp_f64_e32 v[207:208], v[190:191]
	s_waitcnt_depctr 0xfff
	v_fma_f64 v[209:210], -v[190:191], v[207:208], 1.0
	s_delay_alu instid0(VALU_DEP_1) | instskip(NEXT) | instid1(VALU_DEP_1)
	v_fma_f64 v[207:208], v[207:208], v[209:210], v[207:208]
	v_fma_f64 v[209:210], -v[190:191], v[207:208], 1.0
	s_delay_alu instid0(VALU_DEP_1) | instskip(SKIP_1) | instid1(VALU_DEP_1)
	v_fma_f64 v[207:208], v[207:208], v[209:210], v[207:208]
	v_div_scale_f64 v[209:210], vcc_lo, 1.0, v[188:189], 1.0
	v_mul_f64 v[211:212], v[209:210], v[207:208]
	s_delay_alu instid0(VALU_DEP_1) | instskip(NEXT) | instid1(VALU_DEP_1)
	v_fma_f64 v[190:191], -v[190:191], v[211:212], v[209:210]
	v_div_fmas_f64 v[190:191], v[190:191], v[207:208], v[211:212]
	s_delay_alu instid0(VALU_DEP_1) | instskip(NEXT) | instid1(VALU_DEP_1)
	v_div_fixup_f64 v[188:189], v[190:191], v[188:189], 1.0
	v_mul_f64 v[190:191], v[205:206], -v[188:189]
.LBB92_555:
	s_or_b32 exec_lo, exec_lo, s2
.LBB92_556:
	s_delay_alu instid0(SALU_CYCLE_1) | instskip(NEXT) | instid1(SALU_CYCLE_1)
	s_or_b32 exec_lo, exec_lo, s3
	s_mov_b32 s2, exec_lo
	v_cmpx_ne_u32_e64 v204, v196
	s_xor_b32 s2, exec_lo, s2
	s_cbranch_execz .LBB92_562
; %bb.557:
	s_mov_b32 s3, exec_lo
	v_cmpx_eq_u32_e32 26, v204
	s_cbranch_execz .LBB92_561
; %bb.558:
	v_cmp_ne_u32_e32 vcc_lo, 26, v196
	s_xor_b32 s6, s4, -1
	s_delay_alu instid0(SALU_CYCLE_1) | instskip(NEXT) | instid1(SALU_CYCLE_1)
	s_and_b32 s7, s6, vcc_lo
	s_and_saveexec_b32 s6, s7
	s_cbranch_execz .LBB92_560
; %bb.559:
	v_ashrrev_i32_e32 v197, 31, v196
	s_delay_alu instid0(VALU_DEP_1) | instskip(NEXT) | instid1(VALU_DEP_1)
	v_lshlrev_b64 v[204:205], 2, v[196:197]
	v_add_co_u32 v204, vcc_lo, v194, v204
	s_delay_alu instid0(VALU_DEP_2)
	v_add_co_ci_u32_e32 v205, vcc_lo, v195, v205, vcc_lo
	s_clause 0x1
	flat_load_b32 v197, v[204:205]
	flat_load_b32 v202, v[194:195] offset:104
	s_waitcnt vmcnt(1) lgkmcnt(1)
	flat_store_b32 v[194:195], v197 offset:104
	s_waitcnt vmcnt(0) lgkmcnt(1)
	flat_store_b32 v[204:205], v202
.LBB92_560:
	s_or_b32 exec_lo, exec_lo, s6
	v_mov_b32_e32 v204, v196
	v_mov_b32_e32 v202, v196
.LBB92_561:
	s_or_b32 exec_lo, exec_lo, s3
.LBB92_562:
	s_and_not1_saveexec_b32 s2, s2
	s_cbranch_execz .LBB92_564
; %bb.563:
	v_mov_b32_e32 v204, 26
	ds_store_2addr_b64 v198, v[76:77], v[78:79] offset0:54 offset1:55
	ds_store_2addr_b64 v198, v[72:73], v[74:75] offset0:56 offset1:57
	;; [unrolled: 1-line block ×20, first 2 shown]
.LBB92_564:
	s_or_b32 exec_lo, exec_lo, s2
	s_delay_alu instid0(SALU_CYCLE_1)
	s_mov_b32 s2, exec_lo
	s_waitcnt lgkmcnt(0)
	s_waitcnt_vscnt null, 0x0
	s_barrier
	buffer_gl0_inv
	v_cmpx_lt_i32_e32 26, v204
	s_cbranch_execz .LBB92_566
; %bb.565:
	v_mul_f64 v[196:197], v[190:191], v[82:83]
	v_mul_f64 v[82:83], v[188:189], v[82:83]
	s_delay_alu instid0(VALU_DEP_2) | instskip(NEXT) | instid1(VALU_DEP_2)
	v_fma_f64 v[196:197], v[188:189], v[80:81], -v[196:197]
	v_fma_f64 v[82:83], v[190:191], v[80:81], v[82:83]
	ds_load_2addr_b64 v[188:191], v198 offset0:54 offset1:55
	s_waitcnt lgkmcnt(0)
	v_mul_f64 v[80:81], v[190:191], v[82:83]
	s_delay_alu instid0(VALU_DEP_1) | instskip(SKIP_1) | instid1(VALU_DEP_2)
	v_fma_f64 v[80:81], v[188:189], v[196:197], -v[80:81]
	v_mul_f64 v[188:189], v[188:189], v[82:83]
	v_add_f64 v[76:77], v[76:77], -v[80:81]
	s_delay_alu instid0(VALU_DEP_2) | instskip(NEXT) | instid1(VALU_DEP_1)
	v_fma_f64 v[188:189], v[190:191], v[196:197], v[188:189]
	v_add_f64 v[78:79], v[78:79], -v[188:189]
	ds_load_2addr_b64 v[188:191], v198 offset0:56 offset1:57
	s_waitcnt lgkmcnt(0)
	v_mul_f64 v[80:81], v[190:191], v[82:83]
	s_delay_alu instid0(VALU_DEP_1) | instskip(SKIP_1) | instid1(VALU_DEP_2)
	v_fma_f64 v[80:81], v[188:189], v[196:197], -v[80:81]
	v_mul_f64 v[188:189], v[188:189], v[82:83]
	v_add_f64 v[72:73], v[72:73], -v[80:81]
	s_delay_alu instid0(VALU_DEP_2) | instskip(NEXT) | instid1(VALU_DEP_1)
	v_fma_f64 v[188:189], v[190:191], v[196:197], v[188:189]
	v_add_f64 v[74:75], v[74:75], -v[188:189]
	;; [unrolled: 10-line block ×19, first 2 shown]
	ds_load_2addr_b64 v[188:191], v198 offset0:92 offset1:93
	s_waitcnt lgkmcnt(0)
	v_mul_f64 v[80:81], v[190:191], v[82:83]
	s_delay_alu instid0(VALU_DEP_1) | instskip(SKIP_1) | instid1(VALU_DEP_2)
	v_fma_f64 v[80:81], v[188:189], v[196:197], -v[80:81]
	v_mul_f64 v[188:189], v[188:189], v[82:83]
	v_add_f64 v[0:1], v[0:1], -v[80:81]
	s_delay_alu instid0(VALU_DEP_2) | instskip(SKIP_1) | instid1(VALU_DEP_2)
	v_fma_f64 v[188:189], v[190:191], v[196:197], v[188:189]
	v_dual_mov_b32 v80, v196 :: v_dual_mov_b32 v81, v197
	v_add_f64 v[2:3], v[2:3], -v[188:189]
.LBB92_566:
	s_or_b32 exec_lo, exec_lo, s2
	v_lshl_add_u32 v188, v204, 4, v198
	s_barrier
	buffer_gl0_inv
	v_mov_b32_e32 v196, 27
	ds_store_2addr_b64 v188, v[76:77], v[78:79] offset1:1
	s_waitcnt lgkmcnt(0)
	s_barrier
	buffer_gl0_inv
	ds_load_2addr_b64 v[188:191], v198 offset0:54 offset1:55
	s_cmp_lt_i32 s5, 29
	s_cbranch_scc1 .LBB92_569
; %bb.567:
	v_add3_u32 v197, v203, 0, 0x1c0
	v_mov_b32_e32 v196, 27
	s_mov_b32 s6, 28
	s_set_inst_prefetch_distance 0x1
	.p2align	6
.LBB92_568:                             ; =>This Inner Loop Header: Depth=1
	ds_load_2addr_b64 v[205:208], v197 offset1:1
	s_waitcnt lgkmcnt(1)
	v_cmp_gt_f64_e32 vcc_lo, 0, v[188:189]
	v_xor_b32_e32 v209, 0x80000000, v189
	v_cmp_gt_f64_e64 s2, 0, v[190:191]
	v_xor_b32_e32 v211, 0x80000000, v191
	v_add_nc_u32_e32 v197, 16, v197
	s_waitcnt lgkmcnt(0)
	v_cmp_gt_f64_e64 s3, 0, v[205:206]
	v_mov_b32_e32 v213, v205
	v_dual_mov_b32 v215, v207 :: v_dual_cndmask_b32 v210, v189, v209
	v_xor_b32_e32 v209, 0x80000000, v206
	v_cndmask_b32_e64 v212, v191, v211, s2
	v_xor_b32_e32 v211, 0x80000000, v208
	s_delay_alu instid0(VALU_DEP_3) | instskip(SKIP_2) | instid1(VALU_DEP_2)
	v_cndmask_b32_e64 v214, v206, v209, s3
	v_cmp_gt_f64_e64 s3, 0, v[207:208]
	v_cndmask_b32_e32 v209, v188, v188, vcc_lo
	v_cndmask_b32_e64 v216, v208, v211, s3
	v_cndmask_b32_e64 v211, v190, v190, s2
	s_delay_alu instid0(VALU_DEP_2) | instskip(NEXT) | instid1(VALU_DEP_2)
	v_add_f64 v[213:214], v[213:214], v[215:216]
	v_add_f64 v[209:210], v[209:210], v[211:212]
	s_delay_alu instid0(VALU_DEP_1) | instskip(SKIP_4) | instid1(SALU_CYCLE_1)
	v_cmp_lt_f64_e32 vcc_lo, v[209:210], v[213:214]
	v_dual_cndmask_b32 v190, v190, v207 :: v_dual_cndmask_b32 v189, v189, v206
	v_dual_cndmask_b32 v188, v188, v205 :: v_dual_cndmask_b32 v191, v191, v208
	v_cndmask_b32_e64 v196, v196, s6, vcc_lo
	s_add_i32 s6, s6, 1
	s_cmp_lg_u32 s5, s6
	s_cbranch_scc1 .LBB92_568
.LBB92_569:
	s_set_inst_prefetch_distance 0x2
	s_waitcnt lgkmcnt(0)
	v_cmp_eq_f64_e32 vcc_lo, 0, v[188:189]
	v_cmp_eq_f64_e64 s2, 0, v[190:191]
	s_delay_alu instid0(VALU_DEP_1) | instskip(NEXT) | instid1(SALU_CYCLE_1)
	s_and_b32 s2, vcc_lo, s2
	s_and_saveexec_b32 s3, s2
	s_delay_alu instid0(SALU_CYCLE_1)
	s_xor_b32 s2, exec_lo, s3
; %bb.570:
	v_cmp_ne_u32_e32 vcc_lo, 0, v201
	v_cndmask_b32_e32 v201, 28, v201, vcc_lo
; %bb.571:
	s_and_not1_saveexec_b32 s3, s2
	s_cbranch_execz .LBB92_577
; %bb.572:
	v_cmp_gt_f64_e32 vcc_lo, 0, v[188:189]
	v_cmp_gt_f64_e64 s2, 0, v[190:191]
	v_xor_b32_e32 v197, 0x80000000, v189
	v_xor_b32_e32 v205, 0x80000000, v191
	s_delay_alu instid0(VALU_DEP_2) | instskip(NEXT) | instid1(VALU_DEP_2)
	v_cndmask_b32_e32 v206, v189, v197, vcc_lo
	v_cndmask_b32_e64 v208, v191, v205, s2
	v_cndmask_b32_e32 v205, v188, v188, vcc_lo
	v_cndmask_b32_e64 v207, v190, v190, s2
	s_mov_b32 s2, exec_lo
	s_delay_alu instid0(VALU_DEP_1)
	v_cmpx_ngt_f64_e32 v[205:206], v[207:208]
	s_xor_b32 s2, exec_lo, s2
	s_cbranch_execz .LBB92_574
; %bb.573:
	v_div_scale_f64 v[205:206], null, v[190:191], v[190:191], v[188:189]
	v_div_scale_f64 v[211:212], vcc_lo, v[188:189], v[190:191], v[188:189]
	s_delay_alu instid0(VALU_DEP_2) | instskip(SKIP_2) | instid1(VALU_DEP_1)
	v_rcp_f64_e32 v[207:208], v[205:206]
	s_waitcnt_depctr 0xfff
	v_fma_f64 v[209:210], -v[205:206], v[207:208], 1.0
	v_fma_f64 v[207:208], v[207:208], v[209:210], v[207:208]
	s_delay_alu instid0(VALU_DEP_1) | instskip(NEXT) | instid1(VALU_DEP_1)
	v_fma_f64 v[209:210], -v[205:206], v[207:208], 1.0
	v_fma_f64 v[207:208], v[207:208], v[209:210], v[207:208]
	s_delay_alu instid0(VALU_DEP_1) | instskip(NEXT) | instid1(VALU_DEP_1)
	v_mul_f64 v[209:210], v[211:212], v[207:208]
	v_fma_f64 v[205:206], -v[205:206], v[209:210], v[211:212]
	s_delay_alu instid0(VALU_DEP_1) | instskip(NEXT) | instid1(VALU_DEP_1)
	v_div_fmas_f64 v[205:206], v[205:206], v[207:208], v[209:210]
	v_div_fixup_f64 v[205:206], v[205:206], v[190:191], v[188:189]
	s_delay_alu instid0(VALU_DEP_1) | instskip(NEXT) | instid1(VALU_DEP_1)
	v_fma_f64 v[188:189], v[188:189], v[205:206], v[190:191]
	v_div_scale_f64 v[190:191], null, v[188:189], v[188:189], 1.0
	s_delay_alu instid0(VALU_DEP_1) | instskip(SKIP_2) | instid1(VALU_DEP_1)
	v_rcp_f64_e32 v[207:208], v[190:191]
	s_waitcnt_depctr 0xfff
	v_fma_f64 v[209:210], -v[190:191], v[207:208], 1.0
	v_fma_f64 v[207:208], v[207:208], v[209:210], v[207:208]
	s_delay_alu instid0(VALU_DEP_1) | instskip(NEXT) | instid1(VALU_DEP_1)
	v_fma_f64 v[209:210], -v[190:191], v[207:208], 1.0
	v_fma_f64 v[207:208], v[207:208], v[209:210], v[207:208]
	v_div_scale_f64 v[209:210], vcc_lo, 1.0, v[188:189], 1.0
	s_delay_alu instid0(VALU_DEP_1) | instskip(NEXT) | instid1(VALU_DEP_1)
	v_mul_f64 v[211:212], v[209:210], v[207:208]
	v_fma_f64 v[190:191], -v[190:191], v[211:212], v[209:210]
	s_delay_alu instid0(VALU_DEP_1) | instskip(NEXT) | instid1(VALU_DEP_1)
	v_div_fmas_f64 v[190:191], v[190:191], v[207:208], v[211:212]
	v_div_fixup_f64 v[190:191], v[190:191], v[188:189], 1.0
	s_delay_alu instid0(VALU_DEP_1)
	v_mul_f64 v[188:189], v[205:206], v[190:191]
	v_xor_b32_e32 v191, 0x80000000, v191
.LBB92_574:
	s_and_not1_saveexec_b32 s2, s2
	s_cbranch_execz .LBB92_576
; %bb.575:
	s_delay_alu instid0(VALU_DEP_1) | instskip(SKIP_1) | instid1(VALU_DEP_2)
	v_div_scale_f64 v[205:206], null, v[188:189], v[188:189], v[190:191]
	v_div_scale_f64 v[211:212], vcc_lo, v[190:191], v[188:189], v[190:191]
	v_rcp_f64_e32 v[207:208], v[205:206]
	s_waitcnt_depctr 0xfff
	v_fma_f64 v[209:210], -v[205:206], v[207:208], 1.0
	s_delay_alu instid0(VALU_DEP_1) | instskip(NEXT) | instid1(VALU_DEP_1)
	v_fma_f64 v[207:208], v[207:208], v[209:210], v[207:208]
	v_fma_f64 v[209:210], -v[205:206], v[207:208], 1.0
	s_delay_alu instid0(VALU_DEP_1) | instskip(NEXT) | instid1(VALU_DEP_1)
	v_fma_f64 v[207:208], v[207:208], v[209:210], v[207:208]
	v_mul_f64 v[209:210], v[211:212], v[207:208]
	s_delay_alu instid0(VALU_DEP_1) | instskip(NEXT) | instid1(VALU_DEP_1)
	v_fma_f64 v[205:206], -v[205:206], v[209:210], v[211:212]
	v_div_fmas_f64 v[205:206], v[205:206], v[207:208], v[209:210]
	s_delay_alu instid0(VALU_DEP_1) | instskip(NEXT) | instid1(VALU_DEP_1)
	v_div_fixup_f64 v[205:206], v[205:206], v[188:189], v[190:191]
	v_fma_f64 v[188:189], v[190:191], v[205:206], v[188:189]
	s_delay_alu instid0(VALU_DEP_1) | instskip(NEXT) | instid1(VALU_DEP_1)
	v_div_scale_f64 v[190:191], null, v[188:189], v[188:189], 1.0
	v_rcp_f64_e32 v[207:208], v[190:191]
	s_waitcnt_depctr 0xfff
	v_fma_f64 v[209:210], -v[190:191], v[207:208], 1.0
	s_delay_alu instid0(VALU_DEP_1) | instskip(NEXT) | instid1(VALU_DEP_1)
	v_fma_f64 v[207:208], v[207:208], v[209:210], v[207:208]
	v_fma_f64 v[209:210], -v[190:191], v[207:208], 1.0
	s_delay_alu instid0(VALU_DEP_1) | instskip(SKIP_1) | instid1(VALU_DEP_1)
	v_fma_f64 v[207:208], v[207:208], v[209:210], v[207:208]
	v_div_scale_f64 v[209:210], vcc_lo, 1.0, v[188:189], 1.0
	v_mul_f64 v[211:212], v[209:210], v[207:208]
	s_delay_alu instid0(VALU_DEP_1) | instskip(NEXT) | instid1(VALU_DEP_1)
	v_fma_f64 v[190:191], -v[190:191], v[211:212], v[209:210]
	v_div_fmas_f64 v[190:191], v[190:191], v[207:208], v[211:212]
	s_delay_alu instid0(VALU_DEP_1) | instskip(NEXT) | instid1(VALU_DEP_1)
	v_div_fixup_f64 v[188:189], v[190:191], v[188:189], 1.0
	v_mul_f64 v[190:191], v[205:206], -v[188:189]
.LBB92_576:
	s_or_b32 exec_lo, exec_lo, s2
.LBB92_577:
	s_delay_alu instid0(SALU_CYCLE_1) | instskip(NEXT) | instid1(SALU_CYCLE_1)
	s_or_b32 exec_lo, exec_lo, s3
	s_mov_b32 s2, exec_lo
	v_cmpx_ne_u32_e64 v204, v196
	s_xor_b32 s2, exec_lo, s2
	s_cbranch_execz .LBB92_583
; %bb.578:
	s_mov_b32 s3, exec_lo
	v_cmpx_eq_u32_e32 27, v204
	s_cbranch_execz .LBB92_582
; %bb.579:
	v_cmp_ne_u32_e32 vcc_lo, 27, v196
	s_xor_b32 s6, s4, -1
	s_delay_alu instid0(SALU_CYCLE_1) | instskip(NEXT) | instid1(SALU_CYCLE_1)
	s_and_b32 s7, s6, vcc_lo
	s_and_saveexec_b32 s6, s7
	s_cbranch_execz .LBB92_581
; %bb.580:
	v_ashrrev_i32_e32 v197, 31, v196
	s_delay_alu instid0(VALU_DEP_1) | instskip(NEXT) | instid1(VALU_DEP_1)
	v_lshlrev_b64 v[204:205], 2, v[196:197]
	v_add_co_u32 v204, vcc_lo, v194, v204
	s_delay_alu instid0(VALU_DEP_2)
	v_add_co_ci_u32_e32 v205, vcc_lo, v195, v205, vcc_lo
	s_clause 0x1
	flat_load_b32 v197, v[204:205]
	flat_load_b32 v202, v[194:195] offset:108
	s_waitcnt vmcnt(1) lgkmcnt(1)
	flat_store_b32 v[194:195], v197 offset:108
	s_waitcnt vmcnt(0) lgkmcnt(1)
	flat_store_b32 v[204:205], v202
.LBB92_581:
	s_or_b32 exec_lo, exec_lo, s6
	v_mov_b32_e32 v204, v196
	v_mov_b32_e32 v202, v196
.LBB92_582:
	s_or_b32 exec_lo, exec_lo, s3
.LBB92_583:
	s_and_not1_saveexec_b32 s2, s2
	s_cbranch_execz .LBB92_585
; %bb.584:
	v_mov_b32_e32 v204, 27
	ds_store_2addr_b64 v198, v[72:73], v[74:75] offset0:56 offset1:57
	ds_store_2addr_b64 v198, v[68:69], v[70:71] offset0:58 offset1:59
	;; [unrolled: 1-line block ×19, first 2 shown]
.LBB92_585:
	s_or_b32 exec_lo, exec_lo, s2
	s_delay_alu instid0(SALU_CYCLE_1)
	s_mov_b32 s2, exec_lo
	s_waitcnt lgkmcnt(0)
	s_waitcnt_vscnt null, 0x0
	s_barrier
	buffer_gl0_inv
	v_cmpx_lt_i32_e32 27, v204
	s_cbranch_execz .LBB92_587
; %bb.586:
	v_mul_f64 v[196:197], v[190:191], v[78:79]
	v_mul_f64 v[78:79], v[188:189], v[78:79]
	s_delay_alu instid0(VALU_DEP_2) | instskip(NEXT) | instid1(VALU_DEP_2)
	v_fma_f64 v[196:197], v[188:189], v[76:77], -v[196:197]
	v_fma_f64 v[78:79], v[190:191], v[76:77], v[78:79]
	ds_load_2addr_b64 v[188:191], v198 offset0:56 offset1:57
	s_waitcnt lgkmcnt(0)
	v_mul_f64 v[76:77], v[190:191], v[78:79]
	s_delay_alu instid0(VALU_DEP_1) | instskip(SKIP_1) | instid1(VALU_DEP_2)
	v_fma_f64 v[76:77], v[188:189], v[196:197], -v[76:77]
	v_mul_f64 v[188:189], v[188:189], v[78:79]
	v_add_f64 v[72:73], v[72:73], -v[76:77]
	s_delay_alu instid0(VALU_DEP_2) | instskip(NEXT) | instid1(VALU_DEP_1)
	v_fma_f64 v[188:189], v[190:191], v[196:197], v[188:189]
	v_add_f64 v[74:75], v[74:75], -v[188:189]
	ds_load_2addr_b64 v[188:191], v198 offset0:58 offset1:59
	s_waitcnt lgkmcnt(0)
	v_mul_f64 v[76:77], v[190:191], v[78:79]
	s_delay_alu instid0(VALU_DEP_1) | instskip(SKIP_1) | instid1(VALU_DEP_2)
	v_fma_f64 v[76:77], v[188:189], v[196:197], -v[76:77]
	v_mul_f64 v[188:189], v[188:189], v[78:79]
	v_add_f64 v[68:69], v[68:69], -v[76:77]
	s_delay_alu instid0(VALU_DEP_2) | instskip(NEXT) | instid1(VALU_DEP_1)
	v_fma_f64 v[188:189], v[190:191], v[196:197], v[188:189]
	v_add_f64 v[70:71], v[70:71], -v[188:189]
	;; [unrolled: 10-line block ×18, first 2 shown]
	ds_load_2addr_b64 v[188:191], v198 offset0:92 offset1:93
	s_waitcnt lgkmcnt(0)
	v_mul_f64 v[76:77], v[190:191], v[78:79]
	s_delay_alu instid0(VALU_DEP_1) | instskip(SKIP_1) | instid1(VALU_DEP_2)
	v_fma_f64 v[76:77], v[188:189], v[196:197], -v[76:77]
	v_mul_f64 v[188:189], v[188:189], v[78:79]
	v_add_f64 v[0:1], v[0:1], -v[76:77]
	s_delay_alu instid0(VALU_DEP_2) | instskip(SKIP_1) | instid1(VALU_DEP_2)
	v_fma_f64 v[188:189], v[190:191], v[196:197], v[188:189]
	v_dual_mov_b32 v76, v196 :: v_dual_mov_b32 v77, v197
	v_add_f64 v[2:3], v[2:3], -v[188:189]
.LBB92_587:
	s_or_b32 exec_lo, exec_lo, s2
	v_lshl_add_u32 v188, v204, 4, v198
	s_barrier
	buffer_gl0_inv
	v_mov_b32_e32 v196, 28
	ds_store_2addr_b64 v188, v[72:73], v[74:75] offset1:1
	s_waitcnt lgkmcnt(0)
	s_barrier
	buffer_gl0_inv
	ds_load_2addr_b64 v[188:191], v198 offset0:56 offset1:57
	s_cmp_lt_i32 s5, 30
	s_cbranch_scc1 .LBB92_590
; %bb.588:
	v_add3_u32 v197, v203, 0, 0x1d0
	v_mov_b32_e32 v196, 28
	s_mov_b32 s6, 29
	s_set_inst_prefetch_distance 0x1
	.p2align	6
.LBB92_589:                             ; =>This Inner Loop Header: Depth=1
	ds_load_2addr_b64 v[205:208], v197 offset1:1
	s_waitcnt lgkmcnt(1)
	v_cmp_gt_f64_e32 vcc_lo, 0, v[188:189]
	v_xor_b32_e32 v209, 0x80000000, v189
	v_cmp_gt_f64_e64 s2, 0, v[190:191]
	v_xor_b32_e32 v211, 0x80000000, v191
	v_add_nc_u32_e32 v197, 16, v197
	s_waitcnt lgkmcnt(0)
	v_cmp_gt_f64_e64 s3, 0, v[205:206]
	v_mov_b32_e32 v213, v205
	v_dual_mov_b32 v215, v207 :: v_dual_cndmask_b32 v210, v189, v209
	v_xor_b32_e32 v209, 0x80000000, v206
	v_cndmask_b32_e64 v212, v191, v211, s2
	v_xor_b32_e32 v211, 0x80000000, v208
	s_delay_alu instid0(VALU_DEP_3) | instskip(SKIP_2) | instid1(VALU_DEP_2)
	v_cndmask_b32_e64 v214, v206, v209, s3
	v_cmp_gt_f64_e64 s3, 0, v[207:208]
	v_cndmask_b32_e32 v209, v188, v188, vcc_lo
	v_cndmask_b32_e64 v216, v208, v211, s3
	v_cndmask_b32_e64 v211, v190, v190, s2
	s_delay_alu instid0(VALU_DEP_2) | instskip(NEXT) | instid1(VALU_DEP_2)
	v_add_f64 v[213:214], v[213:214], v[215:216]
	v_add_f64 v[209:210], v[209:210], v[211:212]
	s_delay_alu instid0(VALU_DEP_1) | instskip(SKIP_4) | instid1(SALU_CYCLE_1)
	v_cmp_lt_f64_e32 vcc_lo, v[209:210], v[213:214]
	v_dual_cndmask_b32 v190, v190, v207 :: v_dual_cndmask_b32 v189, v189, v206
	v_dual_cndmask_b32 v188, v188, v205 :: v_dual_cndmask_b32 v191, v191, v208
	v_cndmask_b32_e64 v196, v196, s6, vcc_lo
	s_add_i32 s6, s6, 1
	s_cmp_lg_u32 s5, s6
	s_cbranch_scc1 .LBB92_589
.LBB92_590:
	s_set_inst_prefetch_distance 0x2
	s_waitcnt lgkmcnt(0)
	v_cmp_eq_f64_e32 vcc_lo, 0, v[188:189]
	v_cmp_eq_f64_e64 s2, 0, v[190:191]
	s_delay_alu instid0(VALU_DEP_1) | instskip(NEXT) | instid1(SALU_CYCLE_1)
	s_and_b32 s2, vcc_lo, s2
	s_and_saveexec_b32 s3, s2
	s_delay_alu instid0(SALU_CYCLE_1)
	s_xor_b32 s2, exec_lo, s3
; %bb.591:
	v_cmp_ne_u32_e32 vcc_lo, 0, v201
	v_cndmask_b32_e32 v201, 29, v201, vcc_lo
; %bb.592:
	s_and_not1_saveexec_b32 s3, s2
	s_cbranch_execz .LBB92_598
; %bb.593:
	v_cmp_gt_f64_e32 vcc_lo, 0, v[188:189]
	v_cmp_gt_f64_e64 s2, 0, v[190:191]
	v_xor_b32_e32 v197, 0x80000000, v189
	v_xor_b32_e32 v205, 0x80000000, v191
	s_delay_alu instid0(VALU_DEP_2) | instskip(NEXT) | instid1(VALU_DEP_2)
	v_cndmask_b32_e32 v206, v189, v197, vcc_lo
	v_cndmask_b32_e64 v208, v191, v205, s2
	v_cndmask_b32_e32 v205, v188, v188, vcc_lo
	v_cndmask_b32_e64 v207, v190, v190, s2
	s_mov_b32 s2, exec_lo
	s_delay_alu instid0(VALU_DEP_1)
	v_cmpx_ngt_f64_e32 v[205:206], v[207:208]
	s_xor_b32 s2, exec_lo, s2
	s_cbranch_execz .LBB92_595
; %bb.594:
	v_div_scale_f64 v[205:206], null, v[190:191], v[190:191], v[188:189]
	v_div_scale_f64 v[211:212], vcc_lo, v[188:189], v[190:191], v[188:189]
	s_delay_alu instid0(VALU_DEP_2) | instskip(SKIP_2) | instid1(VALU_DEP_1)
	v_rcp_f64_e32 v[207:208], v[205:206]
	s_waitcnt_depctr 0xfff
	v_fma_f64 v[209:210], -v[205:206], v[207:208], 1.0
	v_fma_f64 v[207:208], v[207:208], v[209:210], v[207:208]
	s_delay_alu instid0(VALU_DEP_1) | instskip(NEXT) | instid1(VALU_DEP_1)
	v_fma_f64 v[209:210], -v[205:206], v[207:208], 1.0
	v_fma_f64 v[207:208], v[207:208], v[209:210], v[207:208]
	s_delay_alu instid0(VALU_DEP_1) | instskip(NEXT) | instid1(VALU_DEP_1)
	v_mul_f64 v[209:210], v[211:212], v[207:208]
	v_fma_f64 v[205:206], -v[205:206], v[209:210], v[211:212]
	s_delay_alu instid0(VALU_DEP_1) | instskip(NEXT) | instid1(VALU_DEP_1)
	v_div_fmas_f64 v[205:206], v[205:206], v[207:208], v[209:210]
	v_div_fixup_f64 v[205:206], v[205:206], v[190:191], v[188:189]
	s_delay_alu instid0(VALU_DEP_1) | instskip(NEXT) | instid1(VALU_DEP_1)
	v_fma_f64 v[188:189], v[188:189], v[205:206], v[190:191]
	v_div_scale_f64 v[190:191], null, v[188:189], v[188:189], 1.0
	s_delay_alu instid0(VALU_DEP_1) | instskip(SKIP_2) | instid1(VALU_DEP_1)
	v_rcp_f64_e32 v[207:208], v[190:191]
	s_waitcnt_depctr 0xfff
	v_fma_f64 v[209:210], -v[190:191], v[207:208], 1.0
	v_fma_f64 v[207:208], v[207:208], v[209:210], v[207:208]
	s_delay_alu instid0(VALU_DEP_1) | instskip(NEXT) | instid1(VALU_DEP_1)
	v_fma_f64 v[209:210], -v[190:191], v[207:208], 1.0
	v_fma_f64 v[207:208], v[207:208], v[209:210], v[207:208]
	v_div_scale_f64 v[209:210], vcc_lo, 1.0, v[188:189], 1.0
	s_delay_alu instid0(VALU_DEP_1) | instskip(NEXT) | instid1(VALU_DEP_1)
	v_mul_f64 v[211:212], v[209:210], v[207:208]
	v_fma_f64 v[190:191], -v[190:191], v[211:212], v[209:210]
	s_delay_alu instid0(VALU_DEP_1) | instskip(NEXT) | instid1(VALU_DEP_1)
	v_div_fmas_f64 v[190:191], v[190:191], v[207:208], v[211:212]
	v_div_fixup_f64 v[190:191], v[190:191], v[188:189], 1.0
	s_delay_alu instid0(VALU_DEP_1)
	v_mul_f64 v[188:189], v[205:206], v[190:191]
	v_xor_b32_e32 v191, 0x80000000, v191
.LBB92_595:
	s_and_not1_saveexec_b32 s2, s2
	s_cbranch_execz .LBB92_597
; %bb.596:
	s_delay_alu instid0(VALU_DEP_1) | instskip(SKIP_1) | instid1(VALU_DEP_2)
	v_div_scale_f64 v[205:206], null, v[188:189], v[188:189], v[190:191]
	v_div_scale_f64 v[211:212], vcc_lo, v[190:191], v[188:189], v[190:191]
	v_rcp_f64_e32 v[207:208], v[205:206]
	s_waitcnt_depctr 0xfff
	v_fma_f64 v[209:210], -v[205:206], v[207:208], 1.0
	s_delay_alu instid0(VALU_DEP_1) | instskip(NEXT) | instid1(VALU_DEP_1)
	v_fma_f64 v[207:208], v[207:208], v[209:210], v[207:208]
	v_fma_f64 v[209:210], -v[205:206], v[207:208], 1.0
	s_delay_alu instid0(VALU_DEP_1) | instskip(NEXT) | instid1(VALU_DEP_1)
	v_fma_f64 v[207:208], v[207:208], v[209:210], v[207:208]
	v_mul_f64 v[209:210], v[211:212], v[207:208]
	s_delay_alu instid0(VALU_DEP_1) | instskip(NEXT) | instid1(VALU_DEP_1)
	v_fma_f64 v[205:206], -v[205:206], v[209:210], v[211:212]
	v_div_fmas_f64 v[205:206], v[205:206], v[207:208], v[209:210]
	s_delay_alu instid0(VALU_DEP_1) | instskip(NEXT) | instid1(VALU_DEP_1)
	v_div_fixup_f64 v[205:206], v[205:206], v[188:189], v[190:191]
	v_fma_f64 v[188:189], v[190:191], v[205:206], v[188:189]
	s_delay_alu instid0(VALU_DEP_1) | instskip(NEXT) | instid1(VALU_DEP_1)
	v_div_scale_f64 v[190:191], null, v[188:189], v[188:189], 1.0
	v_rcp_f64_e32 v[207:208], v[190:191]
	s_waitcnt_depctr 0xfff
	v_fma_f64 v[209:210], -v[190:191], v[207:208], 1.0
	s_delay_alu instid0(VALU_DEP_1) | instskip(NEXT) | instid1(VALU_DEP_1)
	v_fma_f64 v[207:208], v[207:208], v[209:210], v[207:208]
	v_fma_f64 v[209:210], -v[190:191], v[207:208], 1.0
	s_delay_alu instid0(VALU_DEP_1) | instskip(SKIP_1) | instid1(VALU_DEP_1)
	v_fma_f64 v[207:208], v[207:208], v[209:210], v[207:208]
	v_div_scale_f64 v[209:210], vcc_lo, 1.0, v[188:189], 1.0
	v_mul_f64 v[211:212], v[209:210], v[207:208]
	s_delay_alu instid0(VALU_DEP_1) | instskip(NEXT) | instid1(VALU_DEP_1)
	v_fma_f64 v[190:191], -v[190:191], v[211:212], v[209:210]
	v_div_fmas_f64 v[190:191], v[190:191], v[207:208], v[211:212]
	s_delay_alu instid0(VALU_DEP_1) | instskip(NEXT) | instid1(VALU_DEP_1)
	v_div_fixup_f64 v[188:189], v[190:191], v[188:189], 1.0
	v_mul_f64 v[190:191], v[205:206], -v[188:189]
.LBB92_597:
	s_or_b32 exec_lo, exec_lo, s2
.LBB92_598:
	s_delay_alu instid0(SALU_CYCLE_1) | instskip(NEXT) | instid1(SALU_CYCLE_1)
	s_or_b32 exec_lo, exec_lo, s3
	s_mov_b32 s2, exec_lo
	v_cmpx_ne_u32_e64 v204, v196
	s_xor_b32 s2, exec_lo, s2
	s_cbranch_execz .LBB92_604
; %bb.599:
	s_mov_b32 s3, exec_lo
	v_cmpx_eq_u32_e32 28, v204
	s_cbranch_execz .LBB92_603
; %bb.600:
	v_cmp_ne_u32_e32 vcc_lo, 28, v196
	s_xor_b32 s6, s4, -1
	s_delay_alu instid0(SALU_CYCLE_1) | instskip(NEXT) | instid1(SALU_CYCLE_1)
	s_and_b32 s7, s6, vcc_lo
	s_and_saveexec_b32 s6, s7
	s_cbranch_execz .LBB92_602
; %bb.601:
	v_ashrrev_i32_e32 v197, 31, v196
	s_delay_alu instid0(VALU_DEP_1) | instskip(NEXT) | instid1(VALU_DEP_1)
	v_lshlrev_b64 v[204:205], 2, v[196:197]
	v_add_co_u32 v204, vcc_lo, v194, v204
	s_delay_alu instid0(VALU_DEP_2)
	v_add_co_ci_u32_e32 v205, vcc_lo, v195, v205, vcc_lo
	s_clause 0x1
	flat_load_b32 v197, v[204:205]
	flat_load_b32 v202, v[194:195] offset:112
	s_waitcnt vmcnt(1) lgkmcnt(1)
	flat_store_b32 v[194:195], v197 offset:112
	s_waitcnt vmcnt(0) lgkmcnt(1)
	flat_store_b32 v[204:205], v202
.LBB92_602:
	s_or_b32 exec_lo, exec_lo, s6
	v_mov_b32_e32 v204, v196
	v_mov_b32_e32 v202, v196
.LBB92_603:
	s_or_b32 exec_lo, exec_lo, s3
.LBB92_604:
	s_and_not1_saveexec_b32 s2, s2
	s_cbranch_execz .LBB92_606
; %bb.605:
	v_mov_b32_e32 v204, 28
	ds_store_2addr_b64 v198, v[68:69], v[70:71] offset0:58 offset1:59
	ds_store_2addr_b64 v198, v[64:65], v[66:67] offset0:60 offset1:61
	;; [unrolled: 1-line block ×18, first 2 shown]
.LBB92_606:
	s_or_b32 exec_lo, exec_lo, s2
	s_delay_alu instid0(SALU_CYCLE_1)
	s_mov_b32 s2, exec_lo
	s_waitcnt lgkmcnt(0)
	s_waitcnt_vscnt null, 0x0
	s_barrier
	buffer_gl0_inv
	v_cmpx_lt_i32_e32 28, v204
	s_cbranch_execz .LBB92_608
; %bb.607:
	v_mul_f64 v[196:197], v[190:191], v[74:75]
	v_mul_f64 v[74:75], v[188:189], v[74:75]
	s_delay_alu instid0(VALU_DEP_2) | instskip(NEXT) | instid1(VALU_DEP_2)
	v_fma_f64 v[196:197], v[188:189], v[72:73], -v[196:197]
	v_fma_f64 v[74:75], v[190:191], v[72:73], v[74:75]
	ds_load_2addr_b64 v[188:191], v198 offset0:58 offset1:59
	s_waitcnt lgkmcnt(0)
	v_mul_f64 v[72:73], v[190:191], v[74:75]
	s_delay_alu instid0(VALU_DEP_1) | instskip(SKIP_1) | instid1(VALU_DEP_2)
	v_fma_f64 v[72:73], v[188:189], v[196:197], -v[72:73]
	v_mul_f64 v[188:189], v[188:189], v[74:75]
	v_add_f64 v[68:69], v[68:69], -v[72:73]
	s_delay_alu instid0(VALU_DEP_2) | instskip(NEXT) | instid1(VALU_DEP_1)
	v_fma_f64 v[188:189], v[190:191], v[196:197], v[188:189]
	v_add_f64 v[70:71], v[70:71], -v[188:189]
	ds_load_2addr_b64 v[188:191], v198 offset0:60 offset1:61
	s_waitcnt lgkmcnt(0)
	v_mul_f64 v[72:73], v[190:191], v[74:75]
	s_delay_alu instid0(VALU_DEP_1) | instskip(SKIP_1) | instid1(VALU_DEP_2)
	v_fma_f64 v[72:73], v[188:189], v[196:197], -v[72:73]
	v_mul_f64 v[188:189], v[188:189], v[74:75]
	v_add_f64 v[64:65], v[64:65], -v[72:73]
	s_delay_alu instid0(VALU_DEP_2) | instskip(NEXT) | instid1(VALU_DEP_1)
	v_fma_f64 v[188:189], v[190:191], v[196:197], v[188:189]
	v_add_f64 v[66:67], v[66:67], -v[188:189]
	;; [unrolled: 10-line block ×17, first 2 shown]
	ds_load_2addr_b64 v[188:191], v198 offset0:92 offset1:93
	s_waitcnt lgkmcnt(0)
	v_mul_f64 v[72:73], v[190:191], v[74:75]
	s_delay_alu instid0(VALU_DEP_1) | instskip(SKIP_1) | instid1(VALU_DEP_2)
	v_fma_f64 v[72:73], v[188:189], v[196:197], -v[72:73]
	v_mul_f64 v[188:189], v[188:189], v[74:75]
	v_add_f64 v[0:1], v[0:1], -v[72:73]
	s_delay_alu instid0(VALU_DEP_2) | instskip(SKIP_1) | instid1(VALU_DEP_2)
	v_fma_f64 v[188:189], v[190:191], v[196:197], v[188:189]
	v_dual_mov_b32 v72, v196 :: v_dual_mov_b32 v73, v197
	v_add_f64 v[2:3], v[2:3], -v[188:189]
.LBB92_608:
	s_or_b32 exec_lo, exec_lo, s2
	v_lshl_add_u32 v188, v204, 4, v198
	s_barrier
	buffer_gl0_inv
	v_mov_b32_e32 v196, 29
	ds_store_2addr_b64 v188, v[68:69], v[70:71] offset1:1
	s_waitcnt lgkmcnt(0)
	s_barrier
	buffer_gl0_inv
	ds_load_2addr_b64 v[188:191], v198 offset0:58 offset1:59
	s_cmp_lt_i32 s5, 31
	s_cbranch_scc1 .LBB92_611
; %bb.609:
	v_add3_u32 v197, v203, 0, 0x1e0
	v_mov_b32_e32 v196, 29
	s_mov_b32 s6, 30
	s_set_inst_prefetch_distance 0x1
	.p2align	6
.LBB92_610:                             ; =>This Inner Loop Header: Depth=1
	ds_load_2addr_b64 v[205:208], v197 offset1:1
	s_waitcnt lgkmcnt(1)
	v_cmp_gt_f64_e32 vcc_lo, 0, v[188:189]
	v_xor_b32_e32 v209, 0x80000000, v189
	v_cmp_gt_f64_e64 s2, 0, v[190:191]
	v_xor_b32_e32 v211, 0x80000000, v191
	v_add_nc_u32_e32 v197, 16, v197
	s_waitcnt lgkmcnt(0)
	v_cmp_gt_f64_e64 s3, 0, v[205:206]
	v_mov_b32_e32 v213, v205
	v_dual_mov_b32 v215, v207 :: v_dual_cndmask_b32 v210, v189, v209
	v_xor_b32_e32 v209, 0x80000000, v206
	v_cndmask_b32_e64 v212, v191, v211, s2
	v_xor_b32_e32 v211, 0x80000000, v208
	s_delay_alu instid0(VALU_DEP_3) | instskip(SKIP_2) | instid1(VALU_DEP_2)
	v_cndmask_b32_e64 v214, v206, v209, s3
	v_cmp_gt_f64_e64 s3, 0, v[207:208]
	v_cndmask_b32_e32 v209, v188, v188, vcc_lo
	v_cndmask_b32_e64 v216, v208, v211, s3
	v_cndmask_b32_e64 v211, v190, v190, s2
	s_delay_alu instid0(VALU_DEP_2) | instskip(NEXT) | instid1(VALU_DEP_2)
	v_add_f64 v[213:214], v[213:214], v[215:216]
	v_add_f64 v[209:210], v[209:210], v[211:212]
	s_delay_alu instid0(VALU_DEP_1) | instskip(SKIP_4) | instid1(SALU_CYCLE_1)
	v_cmp_lt_f64_e32 vcc_lo, v[209:210], v[213:214]
	v_dual_cndmask_b32 v190, v190, v207 :: v_dual_cndmask_b32 v189, v189, v206
	v_dual_cndmask_b32 v188, v188, v205 :: v_dual_cndmask_b32 v191, v191, v208
	v_cndmask_b32_e64 v196, v196, s6, vcc_lo
	s_add_i32 s6, s6, 1
	s_cmp_lg_u32 s5, s6
	s_cbranch_scc1 .LBB92_610
.LBB92_611:
	s_set_inst_prefetch_distance 0x2
	s_waitcnt lgkmcnt(0)
	v_cmp_eq_f64_e32 vcc_lo, 0, v[188:189]
	v_cmp_eq_f64_e64 s2, 0, v[190:191]
	s_delay_alu instid0(VALU_DEP_1) | instskip(NEXT) | instid1(SALU_CYCLE_1)
	s_and_b32 s2, vcc_lo, s2
	s_and_saveexec_b32 s3, s2
	s_delay_alu instid0(SALU_CYCLE_1)
	s_xor_b32 s2, exec_lo, s3
; %bb.612:
	v_cmp_ne_u32_e32 vcc_lo, 0, v201
	v_cndmask_b32_e32 v201, 30, v201, vcc_lo
; %bb.613:
	s_and_not1_saveexec_b32 s3, s2
	s_cbranch_execz .LBB92_619
; %bb.614:
	v_cmp_gt_f64_e32 vcc_lo, 0, v[188:189]
	v_cmp_gt_f64_e64 s2, 0, v[190:191]
	v_xor_b32_e32 v197, 0x80000000, v189
	v_xor_b32_e32 v205, 0x80000000, v191
	s_delay_alu instid0(VALU_DEP_2) | instskip(NEXT) | instid1(VALU_DEP_2)
	v_cndmask_b32_e32 v206, v189, v197, vcc_lo
	v_cndmask_b32_e64 v208, v191, v205, s2
	v_cndmask_b32_e32 v205, v188, v188, vcc_lo
	v_cndmask_b32_e64 v207, v190, v190, s2
	s_mov_b32 s2, exec_lo
	s_delay_alu instid0(VALU_DEP_1)
	v_cmpx_ngt_f64_e32 v[205:206], v[207:208]
	s_xor_b32 s2, exec_lo, s2
	s_cbranch_execz .LBB92_616
; %bb.615:
	v_div_scale_f64 v[205:206], null, v[190:191], v[190:191], v[188:189]
	v_div_scale_f64 v[211:212], vcc_lo, v[188:189], v[190:191], v[188:189]
	s_delay_alu instid0(VALU_DEP_2) | instskip(SKIP_2) | instid1(VALU_DEP_1)
	v_rcp_f64_e32 v[207:208], v[205:206]
	s_waitcnt_depctr 0xfff
	v_fma_f64 v[209:210], -v[205:206], v[207:208], 1.0
	v_fma_f64 v[207:208], v[207:208], v[209:210], v[207:208]
	s_delay_alu instid0(VALU_DEP_1) | instskip(NEXT) | instid1(VALU_DEP_1)
	v_fma_f64 v[209:210], -v[205:206], v[207:208], 1.0
	v_fma_f64 v[207:208], v[207:208], v[209:210], v[207:208]
	s_delay_alu instid0(VALU_DEP_1) | instskip(NEXT) | instid1(VALU_DEP_1)
	v_mul_f64 v[209:210], v[211:212], v[207:208]
	v_fma_f64 v[205:206], -v[205:206], v[209:210], v[211:212]
	s_delay_alu instid0(VALU_DEP_1) | instskip(NEXT) | instid1(VALU_DEP_1)
	v_div_fmas_f64 v[205:206], v[205:206], v[207:208], v[209:210]
	v_div_fixup_f64 v[205:206], v[205:206], v[190:191], v[188:189]
	s_delay_alu instid0(VALU_DEP_1) | instskip(NEXT) | instid1(VALU_DEP_1)
	v_fma_f64 v[188:189], v[188:189], v[205:206], v[190:191]
	v_div_scale_f64 v[190:191], null, v[188:189], v[188:189], 1.0
	s_delay_alu instid0(VALU_DEP_1) | instskip(SKIP_2) | instid1(VALU_DEP_1)
	v_rcp_f64_e32 v[207:208], v[190:191]
	s_waitcnt_depctr 0xfff
	v_fma_f64 v[209:210], -v[190:191], v[207:208], 1.0
	v_fma_f64 v[207:208], v[207:208], v[209:210], v[207:208]
	s_delay_alu instid0(VALU_DEP_1) | instskip(NEXT) | instid1(VALU_DEP_1)
	v_fma_f64 v[209:210], -v[190:191], v[207:208], 1.0
	v_fma_f64 v[207:208], v[207:208], v[209:210], v[207:208]
	v_div_scale_f64 v[209:210], vcc_lo, 1.0, v[188:189], 1.0
	s_delay_alu instid0(VALU_DEP_1) | instskip(NEXT) | instid1(VALU_DEP_1)
	v_mul_f64 v[211:212], v[209:210], v[207:208]
	v_fma_f64 v[190:191], -v[190:191], v[211:212], v[209:210]
	s_delay_alu instid0(VALU_DEP_1) | instskip(NEXT) | instid1(VALU_DEP_1)
	v_div_fmas_f64 v[190:191], v[190:191], v[207:208], v[211:212]
	v_div_fixup_f64 v[190:191], v[190:191], v[188:189], 1.0
	s_delay_alu instid0(VALU_DEP_1)
	v_mul_f64 v[188:189], v[205:206], v[190:191]
	v_xor_b32_e32 v191, 0x80000000, v191
.LBB92_616:
	s_and_not1_saveexec_b32 s2, s2
	s_cbranch_execz .LBB92_618
; %bb.617:
	s_delay_alu instid0(VALU_DEP_1) | instskip(SKIP_1) | instid1(VALU_DEP_2)
	v_div_scale_f64 v[205:206], null, v[188:189], v[188:189], v[190:191]
	v_div_scale_f64 v[211:212], vcc_lo, v[190:191], v[188:189], v[190:191]
	v_rcp_f64_e32 v[207:208], v[205:206]
	s_waitcnt_depctr 0xfff
	v_fma_f64 v[209:210], -v[205:206], v[207:208], 1.0
	s_delay_alu instid0(VALU_DEP_1) | instskip(NEXT) | instid1(VALU_DEP_1)
	v_fma_f64 v[207:208], v[207:208], v[209:210], v[207:208]
	v_fma_f64 v[209:210], -v[205:206], v[207:208], 1.0
	s_delay_alu instid0(VALU_DEP_1) | instskip(NEXT) | instid1(VALU_DEP_1)
	v_fma_f64 v[207:208], v[207:208], v[209:210], v[207:208]
	v_mul_f64 v[209:210], v[211:212], v[207:208]
	s_delay_alu instid0(VALU_DEP_1) | instskip(NEXT) | instid1(VALU_DEP_1)
	v_fma_f64 v[205:206], -v[205:206], v[209:210], v[211:212]
	v_div_fmas_f64 v[205:206], v[205:206], v[207:208], v[209:210]
	s_delay_alu instid0(VALU_DEP_1) | instskip(NEXT) | instid1(VALU_DEP_1)
	v_div_fixup_f64 v[205:206], v[205:206], v[188:189], v[190:191]
	v_fma_f64 v[188:189], v[190:191], v[205:206], v[188:189]
	s_delay_alu instid0(VALU_DEP_1) | instskip(NEXT) | instid1(VALU_DEP_1)
	v_div_scale_f64 v[190:191], null, v[188:189], v[188:189], 1.0
	v_rcp_f64_e32 v[207:208], v[190:191]
	s_waitcnt_depctr 0xfff
	v_fma_f64 v[209:210], -v[190:191], v[207:208], 1.0
	s_delay_alu instid0(VALU_DEP_1) | instskip(NEXT) | instid1(VALU_DEP_1)
	v_fma_f64 v[207:208], v[207:208], v[209:210], v[207:208]
	v_fma_f64 v[209:210], -v[190:191], v[207:208], 1.0
	s_delay_alu instid0(VALU_DEP_1) | instskip(SKIP_1) | instid1(VALU_DEP_1)
	v_fma_f64 v[207:208], v[207:208], v[209:210], v[207:208]
	v_div_scale_f64 v[209:210], vcc_lo, 1.0, v[188:189], 1.0
	v_mul_f64 v[211:212], v[209:210], v[207:208]
	s_delay_alu instid0(VALU_DEP_1) | instskip(NEXT) | instid1(VALU_DEP_1)
	v_fma_f64 v[190:191], -v[190:191], v[211:212], v[209:210]
	v_div_fmas_f64 v[190:191], v[190:191], v[207:208], v[211:212]
	s_delay_alu instid0(VALU_DEP_1) | instskip(NEXT) | instid1(VALU_DEP_1)
	v_div_fixup_f64 v[188:189], v[190:191], v[188:189], 1.0
	v_mul_f64 v[190:191], v[205:206], -v[188:189]
.LBB92_618:
	s_or_b32 exec_lo, exec_lo, s2
.LBB92_619:
	s_delay_alu instid0(SALU_CYCLE_1) | instskip(NEXT) | instid1(SALU_CYCLE_1)
	s_or_b32 exec_lo, exec_lo, s3
	s_mov_b32 s2, exec_lo
	v_cmpx_ne_u32_e64 v204, v196
	s_xor_b32 s2, exec_lo, s2
	s_cbranch_execz .LBB92_625
; %bb.620:
	s_mov_b32 s3, exec_lo
	v_cmpx_eq_u32_e32 29, v204
	s_cbranch_execz .LBB92_624
; %bb.621:
	v_cmp_ne_u32_e32 vcc_lo, 29, v196
	s_xor_b32 s6, s4, -1
	s_delay_alu instid0(SALU_CYCLE_1) | instskip(NEXT) | instid1(SALU_CYCLE_1)
	s_and_b32 s7, s6, vcc_lo
	s_and_saveexec_b32 s6, s7
	s_cbranch_execz .LBB92_623
; %bb.622:
	v_ashrrev_i32_e32 v197, 31, v196
	s_delay_alu instid0(VALU_DEP_1) | instskip(NEXT) | instid1(VALU_DEP_1)
	v_lshlrev_b64 v[204:205], 2, v[196:197]
	v_add_co_u32 v204, vcc_lo, v194, v204
	s_delay_alu instid0(VALU_DEP_2)
	v_add_co_ci_u32_e32 v205, vcc_lo, v195, v205, vcc_lo
	s_clause 0x1
	flat_load_b32 v197, v[204:205]
	flat_load_b32 v202, v[194:195] offset:116
	s_waitcnt vmcnt(1) lgkmcnt(1)
	flat_store_b32 v[194:195], v197 offset:116
	s_waitcnt vmcnt(0) lgkmcnt(1)
	flat_store_b32 v[204:205], v202
.LBB92_623:
	s_or_b32 exec_lo, exec_lo, s6
	v_mov_b32_e32 v204, v196
	v_mov_b32_e32 v202, v196
.LBB92_624:
	s_or_b32 exec_lo, exec_lo, s3
.LBB92_625:
	s_and_not1_saveexec_b32 s2, s2
	s_cbranch_execz .LBB92_627
; %bb.626:
	v_mov_b32_e32 v204, 29
	ds_store_2addr_b64 v198, v[64:65], v[66:67] offset0:60 offset1:61
	ds_store_2addr_b64 v198, v[60:61], v[62:63] offset0:62 offset1:63
	;; [unrolled: 1-line block ×17, first 2 shown]
.LBB92_627:
	s_or_b32 exec_lo, exec_lo, s2
	s_delay_alu instid0(SALU_CYCLE_1)
	s_mov_b32 s2, exec_lo
	s_waitcnt lgkmcnt(0)
	s_waitcnt_vscnt null, 0x0
	s_barrier
	buffer_gl0_inv
	v_cmpx_lt_i32_e32 29, v204
	s_cbranch_execz .LBB92_629
; %bb.628:
	v_mul_f64 v[196:197], v[190:191], v[70:71]
	v_mul_f64 v[70:71], v[188:189], v[70:71]
	s_delay_alu instid0(VALU_DEP_2) | instskip(NEXT) | instid1(VALU_DEP_2)
	v_fma_f64 v[196:197], v[188:189], v[68:69], -v[196:197]
	v_fma_f64 v[70:71], v[190:191], v[68:69], v[70:71]
	ds_load_2addr_b64 v[188:191], v198 offset0:60 offset1:61
	s_waitcnt lgkmcnt(0)
	v_mul_f64 v[68:69], v[190:191], v[70:71]
	s_delay_alu instid0(VALU_DEP_1) | instskip(SKIP_1) | instid1(VALU_DEP_2)
	v_fma_f64 v[68:69], v[188:189], v[196:197], -v[68:69]
	v_mul_f64 v[188:189], v[188:189], v[70:71]
	v_add_f64 v[64:65], v[64:65], -v[68:69]
	s_delay_alu instid0(VALU_DEP_2) | instskip(NEXT) | instid1(VALU_DEP_1)
	v_fma_f64 v[188:189], v[190:191], v[196:197], v[188:189]
	v_add_f64 v[66:67], v[66:67], -v[188:189]
	ds_load_2addr_b64 v[188:191], v198 offset0:62 offset1:63
	s_waitcnt lgkmcnt(0)
	v_mul_f64 v[68:69], v[190:191], v[70:71]
	s_delay_alu instid0(VALU_DEP_1) | instskip(SKIP_1) | instid1(VALU_DEP_2)
	v_fma_f64 v[68:69], v[188:189], v[196:197], -v[68:69]
	v_mul_f64 v[188:189], v[188:189], v[70:71]
	v_add_f64 v[60:61], v[60:61], -v[68:69]
	s_delay_alu instid0(VALU_DEP_2) | instskip(NEXT) | instid1(VALU_DEP_1)
	v_fma_f64 v[188:189], v[190:191], v[196:197], v[188:189]
	v_add_f64 v[62:63], v[62:63], -v[188:189]
	;; [unrolled: 10-line block ×16, first 2 shown]
	ds_load_2addr_b64 v[188:191], v198 offset0:92 offset1:93
	s_waitcnt lgkmcnt(0)
	v_mul_f64 v[68:69], v[190:191], v[70:71]
	s_delay_alu instid0(VALU_DEP_1) | instskip(SKIP_1) | instid1(VALU_DEP_2)
	v_fma_f64 v[68:69], v[188:189], v[196:197], -v[68:69]
	v_mul_f64 v[188:189], v[188:189], v[70:71]
	v_add_f64 v[0:1], v[0:1], -v[68:69]
	s_delay_alu instid0(VALU_DEP_2) | instskip(SKIP_1) | instid1(VALU_DEP_2)
	v_fma_f64 v[188:189], v[190:191], v[196:197], v[188:189]
	v_dual_mov_b32 v68, v196 :: v_dual_mov_b32 v69, v197
	v_add_f64 v[2:3], v[2:3], -v[188:189]
.LBB92_629:
	s_or_b32 exec_lo, exec_lo, s2
	v_lshl_add_u32 v188, v204, 4, v198
	s_barrier
	buffer_gl0_inv
	v_mov_b32_e32 v196, 30
	ds_store_2addr_b64 v188, v[64:65], v[66:67] offset1:1
	s_waitcnt lgkmcnt(0)
	s_barrier
	buffer_gl0_inv
	ds_load_2addr_b64 v[188:191], v198 offset0:60 offset1:61
	s_cmp_lt_i32 s5, 32
	s_cbranch_scc1 .LBB92_632
; %bb.630:
	v_add3_u32 v197, v203, 0, 0x1f0
	v_mov_b32_e32 v196, 30
	s_mov_b32 s6, 31
	s_set_inst_prefetch_distance 0x1
	.p2align	6
.LBB92_631:                             ; =>This Inner Loop Header: Depth=1
	ds_load_2addr_b64 v[205:208], v197 offset1:1
	s_waitcnt lgkmcnt(1)
	v_cmp_gt_f64_e32 vcc_lo, 0, v[188:189]
	v_xor_b32_e32 v209, 0x80000000, v189
	v_cmp_gt_f64_e64 s2, 0, v[190:191]
	v_xor_b32_e32 v211, 0x80000000, v191
	v_add_nc_u32_e32 v197, 16, v197
	s_waitcnt lgkmcnt(0)
	v_cmp_gt_f64_e64 s3, 0, v[205:206]
	v_mov_b32_e32 v213, v205
	v_dual_mov_b32 v215, v207 :: v_dual_cndmask_b32 v210, v189, v209
	v_xor_b32_e32 v209, 0x80000000, v206
	v_cndmask_b32_e64 v212, v191, v211, s2
	v_xor_b32_e32 v211, 0x80000000, v208
	s_delay_alu instid0(VALU_DEP_3) | instskip(SKIP_2) | instid1(VALU_DEP_2)
	v_cndmask_b32_e64 v214, v206, v209, s3
	v_cmp_gt_f64_e64 s3, 0, v[207:208]
	v_cndmask_b32_e32 v209, v188, v188, vcc_lo
	v_cndmask_b32_e64 v216, v208, v211, s3
	v_cndmask_b32_e64 v211, v190, v190, s2
	s_delay_alu instid0(VALU_DEP_2) | instskip(NEXT) | instid1(VALU_DEP_2)
	v_add_f64 v[213:214], v[213:214], v[215:216]
	v_add_f64 v[209:210], v[209:210], v[211:212]
	s_delay_alu instid0(VALU_DEP_1) | instskip(SKIP_4) | instid1(SALU_CYCLE_1)
	v_cmp_lt_f64_e32 vcc_lo, v[209:210], v[213:214]
	v_dual_cndmask_b32 v190, v190, v207 :: v_dual_cndmask_b32 v189, v189, v206
	v_dual_cndmask_b32 v188, v188, v205 :: v_dual_cndmask_b32 v191, v191, v208
	v_cndmask_b32_e64 v196, v196, s6, vcc_lo
	s_add_i32 s6, s6, 1
	s_cmp_lg_u32 s5, s6
	s_cbranch_scc1 .LBB92_631
.LBB92_632:
	s_set_inst_prefetch_distance 0x2
	s_waitcnt lgkmcnt(0)
	v_cmp_eq_f64_e32 vcc_lo, 0, v[188:189]
	v_cmp_eq_f64_e64 s2, 0, v[190:191]
	s_delay_alu instid0(VALU_DEP_1) | instskip(NEXT) | instid1(SALU_CYCLE_1)
	s_and_b32 s2, vcc_lo, s2
	s_and_saveexec_b32 s3, s2
	s_delay_alu instid0(SALU_CYCLE_1)
	s_xor_b32 s2, exec_lo, s3
; %bb.633:
	v_cmp_ne_u32_e32 vcc_lo, 0, v201
	v_cndmask_b32_e32 v201, 31, v201, vcc_lo
; %bb.634:
	s_and_not1_saveexec_b32 s3, s2
	s_cbranch_execz .LBB92_640
; %bb.635:
	v_cmp_gt_f64_e32 vcc_lo, 0, v[188:189]
	v_cmp_gt_f64_e64 s2, 0, v[190:191]
	v_xor_b32_e32 v197, 0x80000000, v189
	v_xor_b32_e32 v205, 0x80000000, v191
	s_delay_alu instid0(VALU_DEP_2) | instskip(NEXT) | instid1(VALU_DEP_2)
	v_cndmask_b32_e32 v206, v189, v197, vcc_lo
	v_cndmask_b32_e64 v208, v191, v205, s2
	v_cndmask_b32_e32 v205, v188, v188, vcc_lo
	v_cndmask_b32_e64 v207, v190, v190, s2
	s_mov_b32 s2, exec_lo
	s_delay_alu instid0(VALU_DEP_1)
	v_cmpx_ngt_f64_e32 v[205:206], v[207:208]
	s_xor_b32 s2, exec_lo, s2
	s_cbranch_execz .LBB92_637
; %bb.636:
	v_div_scale_f64 v[205:206], null, v[190:191], v[190:191], v[188:189]
	v_div_scale_f64 v[211:212], vcc_lo, v[188:189], v[190:191], v[188:189]
	s_delay_alu instid0(VALU_DEP_2) | instskip(SKIP_2) | instid1(VALU_DEP_1)
	v_rcp_f64_e32 v[207:208], v[205:206]
	s_waitcnt_depctr 0xfff
	v_fma_f64 v[209:210], -v[205:206], v[207:208], 1.0
	v_fma_f64 v[207:208], v[207:208], v[209:210], v[207:208]
	s_delay_alu instid0(VALU_DEP_1) | instskip(NEXT) | instid1(VALU_DEP_1)
	v_fma_f64 v[209:210], -v[205:206], v[207:208], 1.0
	v_fma_f64 v[207:208], v[207:208], v[209:210], v[207:208]
	s_delay_alu instid0(VALU_DEP_1) | instskip(NEXT) | instid1(VALU_DEP_1)
	v_mul_f64 v[209:210], v[211:212], v[207:208]
	v_fma_f64 v[205:206], -v[205:206], v[209:210], v[211:212]
	s_delay_alu instid0(VALU_DEP_1) | instskip(NEXT) | instid1(VALU_DEP_1)
	v_div_fmas_f64 v[205:206], v[205:206], v[207:208], v[209:210]
	v_div_fixup_f64 v[205:206], v[205:206], v[190:191], v[188:189]
	s_delay_alu instid0(VALU_DEP_1) | instskip(NEXT) | instid1(VALU_DEP_1)
	v_fma_f64 v[188:189], v[188:189], v[205:206], v[190:191]
	v_div_scale_f64 v[190:191], null, v[188:189], v[188:189], 1.0
	s_delay_alu instid0(VALU_DEP_1) | instskip(SKIP_2) | instid1(VALU_DEP_1)
	v_rcp_f64_e32 v[207:208], v[190:191]
	s_waitcnt_depctr 0xfff
	v_fma_f64 v[209:210], -v[190:191], v[207:208], 1.0
	v_fma_f64 v[207:208], v[207:208], v[209:210], v[207:208]
	s_delay_alu instid0(VALU_DEP_1) | instskip(NEXT) | instid1(VALU_DEP_1)
	v_fma_f64 v[209:210], -v[190:191], v[207:208], 1.0
	v_fma_f64 v[207:208], v[207:208], v[209:210], v[207:208]
	v_div_scale_f64 v[209:210], vcc_lo, 1.0, v[188:189], 1.0
	s_delay_alu instid0(VALU_DEP_1) | instskip(NEXT) | instid1(VALU_DEP_1)
	v_mul_f64 v[211:212], v[209:210], v[207:208]
	v_fma_f64 v[190:191], -v[190:191], v[211:212], v[209:210]
	s_delay_alu instid0(VALU_DEP_1) | instskip(NEXT) | instid1(VALU_DEP_1)
	v_div_fmas_f64 v[190:191], v[190:191], v[207:208], v[211:212]
	v_div_fixup_f64 v[190:191], v[190:191], v[188:189], 1.0
	s_delay_alu instid0(VALU_DEP_1)
	v_mul_f64 v[188:189], v[205:206], v[190:191]
	v_xor_b32_e32 v191, 0x80000000, v191
.LBB92_637:
	s_and_not1_saveexec_b32 s2, s2
	s_cbranch_execz .LBB92_639
; %bb.638:
	s_delay_alu instid0(VALU_DEP_1) | instskip(SKIP_1) | instid1(VALU_DEP_2)
	v_div_scale_f64 v[205:206], null, v[188:189], v[188:189], v[190:191]
	v_div_scale_f64 v[211:212], vcc_lo, v[190:191], v[188:189], v[190:191]
	v_rcp_f64_e32 v[207:208], v[205:206]
	s_waitcnt_depctr 0xfff
	v_fma_f64 v[209:210], -v[205:206], v[207:208], 1.0
	s_delay_alu instid0(VALU_DEP_1) | instskip(NEXT) | instid1(VALU_DEP_1)
	v_fma_f64 v[207:208], v[207:208], v[209:210], v[207:208]
	v_fma_f64 v[209:210], -v[205:206], v[207:208], 1.0
	s_delay_alu instid0(VALU_DEP_1) | instskip(NEXT) | instid1(VALU_DEP_1)
	v_fma_f64 v[207:208], v[207:208], v[209:210], v[207:208]
	v_mul_f64 v[209:210], v[211:212], v[207:208]
	s_delay_alu instid0(VALU_DEP_1) | instskip(NEXT) | instid1(VALU_DEP_1)
	v_fma_f64 v[205:206], -v[205:206], v[209:210], v[211:212]
	v_div_fmas_f64 v[205:206], v[205:206], v[207:208], v[209:210]
	s_delay_alu instid0(VALU_DEP_1) | instskip(NEXT) | instid1(VALU_DEP_1)
	v_div_fixup_f64 v[205:206], v[205:206], v[188:189], v[190:191]
	v_fma_f64 v[188:189], v[190:191], v[205:206], v[188:189]
	s_delay_alu instid0(VALU_DEP_1) | instskip(NEXT) | instid1(VALU_DEP_1)
	v_div_scale_f64 v[190:191], null, v[188:189], v[188:189], 1.0
	v_rcp_f64_e32 v[207:208], v[190:191]
	s_waitcnt_depctr 0xfff
	v_fma_f64 v[209:210], -v[190:191], v[207:208], 1.0
	s_delay_alu instid0(VALU_DEP_1) | instskip(NEXT) | instid1(VALU_DEP_1)
	v_fma_f64 v[207:208], v[207:208], v[209:210], v[207:208]
	v_fma_f64 v[209:210], -v[190:191], v[207:208], 1.0
	s_delay_alu instid0(VALU_DEP_1) | instskip(SKIP_1) | instid1(VALU_DEP_1)
	v_fma_f64 v[207:208], v[207:208], v[209:210], v[207:208]
	v_div_scale_f64 v[209:210], vcc_lo, 1.0, v[188:189], 1.0
	v_mul_f64 v[211:212], v[209:210], v[207:208]
	s_delay_alu instid0(VALU_DEP_1) | instskip(NEXT) | instid1(VALU_DEP_1)
	v_fma_f64 v[190:191], -v[190:191], v[211:212], v[209:210]
	v_div_fmas_f64 v[190:191], v[190:191], v[207:208], v[211:212]
	s_delay_alu instid0(VALU_DEP_1) | instskip(NEXT) | instid1(VALU_DEP_1)
	v_div_fixup_f64 v[188:189], v[190:191], v[188:189], 1.0
	v_mul_f64 v[190:191], v[205:206], -v[188:189]
.LBB92_639:
	s_or_b32 exec_lo, exec_lo, s2
.LBB92_640:
	s_delay_alu instid0(SALU_CYCLE_1) | instskip(NEXT) | instid1(SALU_CYCLE_1)
	s_or_b32 exec_lo, exec_lo, s3
	s_mov_b32 s2, exec_lo
	v_cmpx_ne_u32_e64 v204, v196
	s_xor_b32 s2, exec_lo, s2
	s_cbranch_execz .LBB92_646
; %bb.641:
	s_mov_b32 s3, exec_lo
	v_cmpx_eq_u32_e32 30, v204
	s_cbranch_execz .LBB92_645
; %bb.642:
	v_cmp_ne_u32_e32 vcc_lo, 30, v196
	s_xor_b32 s6, s4, -1
	s_delay_alu instid0(SALU_CYCLE_1) | instskip(NEXT) | instid1(SALU_CYCLE_1)
	s_and_b32 s7, s6, vcc_lo
	s_and_saveexec_b32 s6, s7
	s_cbranch_execz .LBB92_644
; %bb.643:
	v_ashrrev_i32_e32 v197, 31, v196
	s_delay_alu instid0(VALU_DEP_1) | instskip(NEXT) | instid1(VALU_DEP_1)
	v_lshlrev_b64 v[204:205], 2, v[196:197]
	v_add_co_u32 v204, vcc_lo, v194, v204
	s_delay_alu instid0(VALU_DEP_2)
	v_add_co_ci_u32_e32 v205, vcc_lo, v195, v205, vcc_lo
	s_clause 0x1
	flat_load_b32 v197, v[204:205]
	flat_load_b32 v202, v[194:195] offset:120
	s_waitcnt vmcnt(1) lgkmcnt(1)
	flat_store_b32 v[194:195], v197 offset:120
	s_waitcnt vmcnt(0) lgkmcnt(1)
	flat_store_b32 v[204:205], v202
.LBB92_644:
	s_or_b32 exec_lo, exec_lo, s6
	v_mov_b32_e32 v204, v196
	v_mov_b32_e32 v202, v196
.LBB92_645:
	s_or_b32 exec_lo, exec_lo, s3
.LBB92_646:
	s_and_not1_saveexec_b32 s2, s2
	s_cbranch_execz .LBB92_648
; %bb.647:
	v_mov_b32_e32 v204, 30
	ds_store_2addr_b64 v198, v[60:61], v[62:63] offset0:62 offset1:63
	ds_store_2addr_b64 v198, v[56:57], v[58:59] offset0:64 offset1:65
	;; [unrolled: 1-line block ×16, first 2 shown]
.LBB92_648:
	s_or_b32 exec_lo, exec_lo, s2
	s_delay_alu instid0(SALU_CYCLE_1)
	s_mov_b32 s2, exec_lo
	s_waitcnt lgkmcnt(0)
	s_waitcnt_vscnt null, 0x0
	s_barrier
	buffer_gl0_inv
	v_cmpx_lt_i32_e32 30, v204
	s_cbranch_execz .LBB92_650
; %bb.649:
	v_mul_f64 v[196:197], v[188:189], v[66:67]
	v_mul_f64 v[66:67], v[190:191], v[66:67]
	s_delay_alu instid0(VALU_DEP_2) | instskip(NEXT) | instid1(VALU_DEP_2)
	v_fma_f64 v[196:197], v[190:191], v[64:65], v[196:197]
	v_fma_f64 v[64:65], v[188:189], v[64:65], -v[66:67]
	ds_load_2addr_b64 v[188:191], v198 offset0:62 offset1:63
	s_waitcnt lgkmcnt(0)
	v_mul_f64 v[66:67], v[190:191], v[196:197]
	s_delay_alu instid0(VALU_DEP_1) | instskip(SKIP_1) | instid1(VALU_DEP_2)
	v_fma_f64 v[66:67], v[188:189], v[64:65], -v[66:67]
	v_mul_f64 v[188:189], v[188:189], v[196:197]
	v_add_f64 v[60:61], v[60:61], -v[66:67]
	s_delay_alu instid0(VALU_DEP_2) | instskip(NEXT) | instid1(VALU_DEP_1)
	v_fma_f64 v[188:189], v[190:191], v[64:65], v[188:189]
	v_add_f64 v[62:63], v[62:63], -v[188:189]
	ds_load_2addr_b64 v[188:191], v198 offset0:64 offset1:65
	s_waitcnt lgkmcnt(0)
	v_mul_f64 v[66:67], v[190:191], v[196:197]
	s_delay_alu instid0(VALU_DEP_1) | instskip(SKIP_1) | instid1(VALU_DEP_2)
	v_fma_f64 v[66:67], v[188:189], v[64:65], -v[66:67]
	v_mul_f64 v[188:189], v[188:189], v[196:197]
	v_add_f64 v[56:57], v[56:57], -v[66:67]
	s_delay_alu instid0(VALU_DEP_2) | instskip(NEXT) | instid1(VALU_DEP_1)
	v_fma_f64 v[188:189], v[190:191], v[64:65], v[188:189]
	v_add_f64 v[58:59], v[58:59], -v[188:189]
	;; [unrolled: 10-line block ×15, first 2 shown]
	ds_load_2addr_b64 v[188:191], v198 offset0:92 offset1:93
	s_waitcnt lgkmcnt(0)
	v_mul_f64 v[66:67], v[190:191], v[196:197]
	s_delay_alu instid0(VALU_DEP_1) | instskip(SKIP_1) | instid1(VALU_DEP_2)
	v_fma_f64 v[66:67], v[188:189], v[64:65], -v[66:67]
	v_mul_f64 v[188:189], v[188:189], v[196:197]
	v_add_f64 v[0:1], v[0:1], -v[66:67]
	s_delay_alu instid0(VALU_DEP_2) | instskip(SKIP_1) | instid1(VALU_DEP_2)
	v_fma_f64 v[188:189], v[190:191], v[64:65], v[188:189]
	v_dual_mov_b32 v66, v196 :: v_dual_mov_b32 v67, v197
	v_add_f64 v[2:3], v[2:3], -v[188:189]
.LBB92_650:
	s_or_b32 exec_lo, exec_lo, s2
	v_lshl_add_u32 v188, v204, 4, v198
	s_barrier
	buffer_gl0_inv
	v_mov_b32_e32 v196, 31
	ds_store_2addr_b64 v188, v[60:61], v[62:63] offset1:1
	s_waitcnt lgkmcnt(0)
	s_barrier
	buffer_gl0_inv
	ds_load_2addr_b64 v[188:191], v198 offset0:62 offset1:63
	s_cmp_lt_i32 s5, 33
	s_cbranch_scc1 .LBB92_653
; %bb.651:
	v_add3_u32 v197, v203, 0, 0x200
	v_mov_b32_e32 v196, 31
	s_mov_b32 s6, 32
	s_set_inst_prefetch_distance 0x1
	.p2align	6
.LBB92_652:                             ; =>This Inner Loop Header: Depth=1
	ds_load_2addr_b64 v[205:208], v197 offset1:1
	s_waitcnt lgkmcnt(1)
	v_cmp_gt_f64_e32 vcc_lo, 0, v[188:189]
	v_xor_b32_e32 v209, 0x80000000, v189
	v_cmp_gt_f64_e64 s2, 0, v[190:191]
	v_xor_b32_e32 v211, 0x80000000, v191
	v_add_nc_u32_e32 v197, 16, v197
	s_waitcnt lgkmcnt(0)
	v_cmp_gt_f64_e64 s3, 0, v[205:206]
	v_mov_b32_e32 v213, v205
	v_dual_mov_b32 v215, v207 :: v_dual_cndmask_b32 v210, v189, v209
	v_xor_b32_e32 v209, 0x80000000, v206
	v_cndmask_b32_e64 v212, v191, v211, s2
	v_xor_b32_e32 v211, 0x80000000, v208
	s_delay_alu instid0(VALU_DEP_3) | instskip(SKIP_2) | instid1(VALU_DEP_2)
	v_cndmask_b32_e64 v214, v206, v209, s3
	v_cmp_gt_f64_e64 s3, 0, v[207:208]
	v_cndmask_b32_e32 v209, v188, v188, vcc_lo
	v_cndmask_b32_e64 v216, v208, v211, s3
	v_cndmask_b32_e64 v211, v190, v190, s2
	s_delay_alu instid0(VALU_DEP_2) | instskip(NEXT) | instid1(VALU_DEP_2)
	v_add_f64 v[213:214], v[213:214], v[215:216]
	v_add_f64 v[209:210], v[209:210], v[211:212]
	s_delay_alu instid0(VALU_DEP_1) | instskip(SKIP_4) | instid1(SALU_CYCLE_1)
	v_cmp_lt_f64_e32 vcc_lo, v[209:210], v[213:214]
	v_dual_cndmask_b32 v190, v190, v207 :: v_dual_cndmask_b32 v189, v189, v206
	v_dual_cndmask_b32 v188, v188, v205 :: v_dual_cndmask_b32 v191, v191, v208
	v_cndmask_b32_e64 v196, v196, s6, vcc_lo
	s_add_i32 s6, s6, 1
	s_cmp_lg_u32 s5, s6
	s_cbranch_scc1 .LBB92_652
.LBB92_653:
	s_set_inst_prefetch_distance 0x2
	s_waitcnt lgkmcnt(0)
	v_cmp_eq_f64_e32 vcc_lo, 0, v[188:189]
	v_cmp_eq_f64_e64 s2, 0, v[190:191]
	s_delay_alu instid0(VALU_DEP_1) | instskip(NEXT) | instid1(SALU_CYCLE_1)
	s_and_b32 s2, vcc_lo, s2
	s_and_saveexec_b32 s3, s2
	s_delay_alu instid0(SALU_CYCLE_1)
	s_xor_b32 s2, exec_lo, s3
; %bb.654:
	v_cmp_ne_u32_e32 vcc_lo, 0, v201
	v_cndmask_b32_e32 v201, 32, v201, vcc_lo
; %bb.655:
	s_and_not1_saveexec_b32 s3, s2
	s_cbranch_execz .LBB92_661
; %bb.656:
	v_cmp_gt_f64_e32 vcc_lo, 0, v[188:189]
	v_cmp_gt_f64_e64 s2, 0, v[190:191]
	v_xor_b32_e32 v197, 0x80000000, v189
	v_xor_b32_e32 v205, 0x80000000, v191
	s_delay_alu instid0(VALU_DEP_2) | instskip(NEXT) | instid1(VALU_DEP_2)
	v_cndmask_b32_e32 v206, v189, v197, vcc_lo
	v_cndmask_b32_e64 v208, v191, v205, s2
	v_cndmask_b32_e32 v205, v188, v188, vcc_lo
	v_cndmask_b32_e64 v207, v190, v190, s2
	s_mov_b32 s2, exec_lo
	s_delay_alu instid0(VALU_DEP_1)
	v_cmpx_ngt_f64_e32 v[205:206], v[207:208]
	s_xor_b32 s2, exec_lo, s2
	s_cbranch_execz .LBB92_658
; %bb.657:
	v_div_scale_f64 v[205:206], null, v[190:191], v[190:191], v[188:189]
	v_div_scale_f64 v[211:212], vcc_lo, v[188:189], v[190:191], v[188:189]
	s_delay_alu instid0(VALU_DEP_2) | instskip(SKIP_2) | instid1(VALU_DEP_1)
	v_rcp_f64_e32 v[207:208], v[205:206]
	s_waitcnt_depctr 0xfff
	v_fma_f64 v[209:210], -v[205:206], v[207:208], 1.0
	v_fma_f64 v[207:208], v[207:208], v[209:210], v[207:208]
	s_delay_alu instid0(VALU_DEP_1) | instskip(NEXT) | instid1(VALU_DEP_1)
	v_fma_f64 v[209:210], -v[205:206], v[207:208], 1.0
	v_fma_f64 v[207:208], v[207:208], v[209:210], v[207:208]
	s_delay_alu instid0(VALU_DEP_1) | instskip(NEXT) | instid1(VALU_DEP_1)
	v_mul_f64 v[209:210], v[211:212], v[207:208]
	v_fma_f64 v[205:206], -v[205:206], v[209:210], v[211:212]
	s_delay_alu instid0(VALU_DEP_1) | instskip(NEXT) | instid1(VALU_DEP_1)
	v_div_fmas_f64 v[205:206], v[205:206], v[207:208], v[209:210]
	v_div_fixup_f64 v[205:206], v[205:206], v[190:191], v[188:189]
	s_delay_alu instid0(VALU_DEP_1) | instskip(NEXT) | instid1(VALU_DEP_1)
	v_fma_f64 v[188:189], v[188:189], v[205:206], v[190:191]
	v_div_scale_f64 v[190:191], null, v[188:189], v[188:189], 1.0
	s_delay_alu instid0(VALU_DEP_1) | instskip(SKIP_2) | instid1(VALU_DEP_1)
	v_rcp_f64_e32 v[207:208], v[190:191]
	s_waitcnt_depctr 0xfff
	v_fma_f64 v[209:210], -v[190:191], v[207:208], 1.0
	v_fma_f64 v[207:208], v[207:208], v[209:210], v[207:208]
	s_delay_alu instid0(VALU_DEP_1) | instskip(NEXT) | instid1(VALU_DEP_1)
	v_fma_f64 v[209:210], -v[190:191], v[207:208], 1.0
	v_fma_f64 v[207:208], v[207:208], v[209:210], v[207:208]
	v_div_scale_f64 v[209:210], vcc_lo, 1.0, v[188:189], 1.0
	s_delay_alu instid0(VALU_DEP_1) | instskip(NEXT) | instid1(VALU_DEP_1)
	v_mul_f64 v[211:212], v[209:210], v[207:208]
	v_fma_f64 v[190:191], -v[190:191], v[211:212], v[209:210]
	s_delay_alu instid0(VALU_DEP_1) | instskip(NEXT) | instid1(VALU_DEP_1)
	v_div_fmas_f64 v[190:191], v[190:191], v[207:208], v[211:212]
	v_div_fixup_f64 v[190:191], v[190:191], v[188:189], 1.0
	s_delay_alu instid0(VALU_DEP_1)
	v_mul_f64 v[188:189], v[205:206], v[190:191]
	v_xor_b32_e32 v191, 0x80000000, v191
.LBB92_658:
	s_and_not1_saveexec_b32 s2, s2
	s_cbranch_execz .LBB92_660
; %bb.659:
	s_delay_alu instid0(VALU_DEP_1) | instskip(SKIP_1) | instid1(VALU_DEP_2)
	v_div_scale_f64 v[205:206], null, v[188:189], v[188:189], v[190:191]
	v_div_scale_f64 v[211:212], vcc_lo, v[190:191], v[188:189], v[190:191]
	v_rcp_f64_e32 v[207:208], v[205:206]
	s_waitcnt_depctr 0xfff
	v_fma_f64 v[209:210], -v[205:206], v[207:208], 1.0
	s_delay_alu instid0(VALU_DEP_1) | instskip(NEXT) | instid1(VALU_DEP_1)
	v_fma_f64 v[207:208], v[207:208], v[209:210], v[207:208]
	v_fma_f64 v[209:210], -v[205:206], v[207:208], 1.0
	s_delay_alu instid0(VALU_DEP_1) | instskip(NEXT) | instid1(VALU_DEP_1)
	v_fma_f64 v[207:208], v[207:208], v[209:210], v[207:208]
	v_mul_f64 v[209:210], v[211:212], v[207:208]
	s_delay_alu instid0(VALU_DEP_1) | instskip(NEXT) | instid1(VALU_DEP_1)
	v_fma_f64 v[205:206], -v[205:206], v[209:210], v[211:212]
	v_div_fmas_f64 v[205:206], v[205:206], v[207:208], v[209:210]
	s_delay_alu instid0(VALU_DEP_1) | instskip(NEXT) | instid1(VALU_DEP_1)
	v_div_fixup_f64 v[205:206], v[205:206], v[188:189], v[190:191]
	v_fma_f64 v[188:189], v[190:191], v[205:206], v[188:189]
	s_delay_alu instid0(VALU_DEP_1) | instskip(NEXT) | instid1(VALU_DEP_1)
	v_div_scale_f64 v[190:191], null, v[188:189], v[188:189], 1.0
	v_rcp_f64_e32 v[207:208], v[190:191]
	s_waitcnt_depctr 0xfff
	v_fma_f64 v[209:210], -v[190:191], v[207:208], 1.0
	s_delay_alu instid0(VALU_DEP_1) | instskip(NEXT) | instid1(VALU_DEP_1)
	v_fma_f64 v[207:208], v[207:208], v[209:210], v[207:208]
	v_fma_f64 v[209:210], -v[190:191], v[207:208], 1.0
	s_delay_alu instid0(VALU_DEP_1) | instskip(SKIP_1) | instid1(VALU_DEP_1)
	v_fma_f64 v[207:208], v[207:208], v[209:210], v[207:208]
	v_div_scale_f64 v[209:210], vcc_lo, 1.0, v[188:189], 1.0
	v_mul_f64 v[211:212], v[209:210], v[207:208]
	s_delay_alu instid0(VALU_DEP_1) | instskip(NEXT) | instid1(VALU_DEP_1)
	v_fma_f64 v[190:191], -v[190:191], v[211:212], v[209:210]
	v_div_fmas_f64 v[190:191], v[190:191], v[207:208], v[211:212]
	s_delay_alu instid0(VALU_DEP_1) | instskip(NEXT) | instid1(VALU_DEP_1)
	v_div_fixup_f64 v[188:189], v[190:191], v[188:189], 1.0
	v_mul_f64 v[190:191], v[205:206], -v[188:189]
.LBB92_660:
	s_or_b32 exec_lo, exec_lo, s2
.LBB92_661:
	s_delay_alu instid0(SALU_CYCLE_1) | instskip(NEXT) | instid1(SALU_CYCLE_1)
	s_or_b32 exec_lo, exec_lo, s3
	s_mov_b32 s2, exec_lo
	v_cmpx_ne_u32_e64 v204, v196
	s_xor_b32 s2, exec_lo, s2
	s_cbranch_execz .LBB92_667
; %bb.662:
	s_mov_b32 s3, exec_lo
	v_cmpx_eq_u32_e32 31, v204
	s_cbranch_execz .LBB92_666
; %bb.663:
	v_cmp_ne_u32_e32 vcc_lo, 31, v196
	s_xor_b32 s6, s4, -1
	s_delay_alu instid0(SALU_CYCLE_1) | instskip(NEXT) | instid1(SALU_CYCLE_1)
	s_and_b32 s7, s6, vcc_lo
	s_and_saveexec_b32 s6, s7
	s_cbranch_execz .LBB92_665
; %bb.664:
	v_ashrrev_i32_e32 v197, 31, v196
	s_delay_alu instid0(VALU_DEP_1) | instskip(NEXT) | instid1(VALU_DEP_1)
	v_lshlrev_b64 v[204:205], 2, v[196:197]
	v_add_co_u32 v204, vcc_lo, v194, v204
	s_delay_alu instid0(VALU_DEP_2)
	v_add_co_ci_u32_e32 v205, vcc_lo, v195, v205, vcc_lo
	s_clause 0x1
	flat_load_b32 v197, v[204:205]
	flat_load_b32 v202, v[194:195] offset:124
	s_waitcnt vmcnt(1) lgkmcnt(1)
	flat_store_b32 v[194:195], v197 offset:124
	s_waitcnt vmcnt(0) lgkmcnt(1)
	flat_store_b32 v[204:205], v202
.LBB92_665:
	s_or_b32 exec_lo, exec_lo, s6
	v_mov_b32_e32 v204, v196
	v_mov_b32_e32 v202, v196
.LBB92_666:
	s_or_b32 exec_lo, exec_lo, s3
.LBB92_667:
	s_and_not1_saveexec_b32 s2, s2
	s_cbranch_execz .LBB92_669
; %bb.668:
	v_mov_b32_e32 v204, 31
	ds_store_2addr_b64 v198, v[56:57], v[58:59] offset0:64 offset1:65
	ds_store_2addr_b64 v198, v[52:53], v[54:55] offset0:66 offset1:67
	;; [unrolled: 1-line block ×15, first 2 shown]
.LBB92_669:
	s_or_b32 exec_lo, exec_lo, s2
	s_delay_alu instid0(SALU_CYCLE_1)
	s_mov_b32 s2, exec_lo
	s_waitcnt lgkmcnt(0)
	s_waitcnt_vscnt null, 0x0
	s_barrier
	buffer_gl0_inv
	v_cmpx_lt_i32_e32 31, v204
	s_cbranch_execz .LBB92_671
; %bb.670:
	v_mul_f64 v[196:197], v[188:189], v[62:63]
	v_mul_f64 v[62:63], v[190:191], v[62:63]
	s_delay_alu instid0(VALU_DEP_2) | instskip(NEXT) | instid1(VALU_DEP_2)
	v_fma_f64 v[196:197], v[190:191], v[60:61], v[196:197]
	v_fma_f64 v[60:61], v[188:189], v[60:61], -v[62:63]
	ds_load_2addr_b64 v[188:191], v198 offset0:64 offset1:65
	s_waitcnt lgkmcnt(0)
	v_mul_f64 v[62:63], v[190:191], v[196:197]
	s_delay_alu instid0(VALU_DEP_1) | instskip(SKIP_1) | instid1(VALU_DEP_2)
	v_fma_f64 v[62:63], v[188:189], v[60:61], -v[62:63]
	v_mul_f64 v[188:189], v[188:189], v[196:197]
	v_add_f64 v[56:57], v[56:57], -v[62:63]
	s_delay_alu instid0(VALU_DEP_2) | instskip(NEXT) | instid1(VALU_DEP_1)
	v_fma_f64 v[188:189], v[190:191], v[60:61], v[188:189]
	v_add_f64 v[58:59], v[58:59], -v[188:189]
	ds_load_2addr_b64 v[188:191], v198 offset0:66 offset1:67
	s_waitcnt lgkmcnt(0)
	v_mul_f64 v[62:63], v[190:191], v[196:197]
	s_delay_alu instid0(VALU_DEP_1) | instskip(SKIP_1) | instid1(VALU_DEP_2)
	v_fma_f64 v[62:63], v[188:189], v[60:61], -v[62:63]
	v_mul_f64 v[188:189], v[188:189], v[196:197]
	v_add_f64 v[52:53], v[52:53], -v[62:63]
	s_delay_alu instid0(VALU_DEP_2) | instskip(NEXT) | instid1(VALU_DEP_1)
	v_fma_f64 v[188:189], v[190:191], v[60:61], v[188:189]
	v_add_f64 v[54:55], v[54:55], -v[188:189]
	;; [unrolled: 10-line block ×14, first 2 shown]
	ds_load_2addr_b64 v[188:191], v198 offset0:92 offset1:93
	s_waitcnt lgkmcnt(0)
	v_mul_f64 v[62:63], v[190:191], v[196:197]
	s_delay_alu instid0(VALU_DEP_1) | instskip(SKIP_1) | instid1(VALU_DEP_2)
	v_fma_f64 v[62:63], v[188:189], v[60:61], -v[62:63]
	v_mul_f64 v[188:189], v[188:189], v[196:197]
	v_add_f64 v[0:1], v[0:1], -v[62:63]
	s_delay_alu instid0(VALU_DEP_2) | instskip(SKIP_1) | instid1(VALU_DEP_2)
	v_fma_f64 v[188:189], v[190:191], v[60:61], v[188:189]
	v_dual_mov_b32 v62, v196 :: v_dual_mov_b32 v63, v197
	v_add_f64 v[2:3], v[2:3], -v[188:189]
.LBB92_671:
	s_or_b32 exec_lo, exec_lo, s2
	v_lshl_add_u32 v188, v204, 4, v198
	s_barrier
	buffer_gl0_inv
	v_mov_b32_e32 v196, 32
	ds_store_2addr_b64 v188, v[56:57], v[58:59] offset1:1
	s_waitcnt lgkmcnt(0)
	s_barrier
	buffer_gl0_inv
	ds_load_2addr_b64 v[188:191], v198 offset0:64 offset1:65
	s_cmp_lt_i32 s5, 34
	s_cbranch_scc1 .LBB92_674
; %bb.672:
	v_add3_u32 v197, v203, 0, 0x210
	v_mov_b32_e32 v196, 32
	s_mov_b32 s6, 33
	s_set_inst_prefetch_distance 0x1
	.p2align	6
.LBB92_673:                             ; =>This Inner Loop Header: Depth=1
	ds_load_2addr_b64 v[205:208], v197 offset1:1
	s_waitcnt lgkmcnt(1)
	v_cmp_gt_f64_e32 vcc_lo, 0, v[188:189]
	v_xor_b32_e32 v209, 0x80000000, v189
	v_cmp_gt_f64_e64 s2, 0, v[190:191]
	v_xor_b32_e32 v211, 0x80000000, v191
	v_add_nc_u32_e32 v197, 16, v197
	s_waitcnt lgkmcnt(0)
	v_cmp_gt_f64_e64 s3, 0, v[205:206]
	v_mov_b32_e32 v213, v205
	v_dual_mov_b32 v215, v207 :: v_dual_cndmask_b32 v210, v189, v209
	v_xor_b32_e32 v209, 0x80000000, v206
	v_cndmask_b32_e64 v212, v191, v211, s2
	v_xor_b32_e32 v211, 0x80000000, v208
	s_delay_alu instid0(VALU_DEP_3) | instskip(SKIP_2) | instid1(VALU_DEP_2)
	v_cndmask_b32_e64 v214, v206, v209, s3
	v_cmp_gt_f64_e64 s3, 0, v[207:208]
	v_cndmask_b32_e32 v209, v188, v188, vcc_lo
	v_cndmask_b32_e64 v216, v208, v211, s3
	v_cndmask_b32_e64 v211, v190, v190, s2
	s_delay_alu instid0(VALU_DEP_2) | instskip(NEXT) | instid1(VALU_DEP_2)
	v_add_f64 v[213:214], v[213:214], v[215:216]
	v_add_f64 v[209:210], v[209:210], v[211:212]
	s_delay_alu instid0(VALU_DEP_1) | instskip(SKIP_4) | instid1(SALU_CYCLE_1)
	v_cmp_lt_f64_e32 vcc_lo, v[209:210], v[213:214]
	v_dual_cndmask_b32 v190, v190, v207 :: v_dual_cndmask_b32 v189, v189, v206
	v_dual_cndmask_b32 v188, v188, v205 :: v_dual_cndmask_b32 v191, v191, v208
	v_cndmask_b32_e64 v196, v196, s6, vcc_lo
	s_add_i32 s6, s6, 1
	s_cmp_lg_u32 s5, s6
	s_cbranch_scc1 .LBB92_673
.LBB92_674:
	s_set_inst_prefetch_distance 0x2
	s_waitcnt lgkmcnt(0)
	v_cmp_eq_f64_e32 vcc_lo, 0, v[188:189]
	v_cmp_eq_f64_e64 s2, 0, v[190:191]
	s_delay_alu instid0(VALU_DEP_1) | instskip(NEXT) | instid1(SALU_CYCLE_1)
	s_and_b32 s2, vcc_lo, s2
	s_and_saveexec_b32 s3, s2
	s_delay_alu instid0(SALU_CYCLE_1)
	s_xor_b32 s2, exec_lo, s3
; %bb.675:
	v_cmp_ne_u32_e32 vcc_lo, 0, v201
	v_cndmask_b32_e32 v201, 33, v201, vcc_lo
; %bb.676:
	s_and_not1_saveexec_b32 s3, s2
	s_cbranch_execz .LBB92_682
; %bb.677:
	v_cmp_gt_f64_e32 vcc_lo, 0, v[188:189]
	v_cmp_gt_f64_e64 s2, 0, v[190:191]
	v_xor_b32_e32 v197, 0x80000000, v189
	v_xor_b32_e32 v205, 0x80000000, v191
	s_delay_alu instid0(VALU_DEP_2) | instskip(NEXT) | instid1(VALU_DEP_2)
	v_cndmask_b32_e32 v206, v189, v197, vcc_lo
	v_cndmask_b32_e64 v208, v191, v205, s2
	v_cndmask_b32_e32 v205, v188, v188, vcc_lo
	v_cndmask_b32_e64 v207, v190, v190, s2
	s_mov_b32 s2, exec_lo
	s_delay_alu instid0(VALU_DEP_1)
	v_cmpx_ngt_f64_e32 v[205:206], v[207:208]
	s_xor_b32 s2, exec_lo, s2
	s_cbranch_execz .LBB92_679
; %bb.678:
	v_div_scale_f64 v[205:206], null, v[190:191], v[190:191], v[188:189]
	v_div_scale_f64 v[211:212], vcc_lo, v[188:189], v[190:191], v[188:189]
	s_delay_alu instid0(VALU_DEP_2) | instskip(SKIP_2) | instid1(VALU_DEP_1)
	v_rcp_f64_e32 v[207:208], v[205:206]
	s_waitcnt_depctr 0xfff
	v_fma_f64 v[209:210], -v[205:206], v[207:208], 1.0
	v_fma_f64 v[207:208], v[207:208], v[209:210], v[207:208]
	s_delay_alu instid0(VALU_DEP_1) | instskip(NEXT) | instid1(VALU_DEP_1)
	v_fma_f64 v[209:210], -v[205:206], v[207:208], 1.0
	v_fma_f64 v[207:208], v[207:208], v[209:210], v[207:208]
	s_delay_alu instid0(VALU_DEP_1) | instskip(NEXT) | instid1(VALU_DEP_1)
	v_mul_f64 v[209:210], v[211:212], v[207:208]
	v_fma_f64 v[205:206], -v[205:206], v[209:210], v[211:212]
	s_delay_alu instid0(VALU_DEP_1) | instskip(NEXT) | instid1(VALU_DEP_1)
	v_div_fmas_f64 v[205:206], v[205:206], v[207:208], v[209:210]
	v_div_fixup_f64 v[205:206], v[205:206], v[190:191], v[188:189]
	s_delay_alu instid0(VALU_DEP_1) | instskip(NEXT) | instid1(VALU_DEP_1)
	v_fma_f64 v[188:189], v[188:189], v[205:206], v[190:191]
	v_div_scale_f64 v[190:191], null, v[188:189], v[188:189], 1.0
	s_delay_alu instid0(VALU_DEP_1) | instskip(SKIP_2) | instid1(VALU_DEP_1)
	v_rcp_f64_e32 v[207:208], v[190:191]
	s_waitcnt_depctr 0xfff
	v_fma_f64 v[209:210], -v[190:191], v[207:208], 1.0
	v_fma_f64 v[207:208], v[207:208], v[209:210], v[207:208]
	s_delay_alu instid0(VALU_DEP_1) | instskip(NEXT) | instid1(VALU_DEP_1)
	v_fma_f64 v[209:210], -v[190:191], v[207:208], 1.0
	v_fma_f64 v[207:208], v[207:208], v[209:210], v[207:208]
	v_div_scale_f64 v[209:210], vcc_lo, 1.0, v[188:189], 1.0
	s_delay_alu instid0(VALU_DEP_1) | instskip(NEXT) | instid1(VALU_DEP_1)
	v_mul_f64 v[211:212], v[209:210], v[207:208]
	v_fma_f64 v[190:191], -v[190:191], v[211:212], v[209:210]
	s_delay_alu instid0(VALU_DEP_1) | instskip(NEXT) | instid1(VALU_DEP_1)
	v_div_fmas_f64 v[190:191], v[190:191], v[207:208], v[211:212]
	v_div_fixup_f64 v[190:191], v[190:191], v[188:189], 1.0
	s_delay_alu instid0(VALU_DEP_1)
	v_mul_f64 v[188:189], v[205:206], v[190:191]
	v_xor_b32_e32 v191, 0x80000000, v191
.LBB92_679:
	s_and_not1_saveexec_b32 s2, s2
	s_cbranch_execz .LBB92_681
; %bb.680:
	s_delay_alu instid0(VALU_DEP_1) | instskip(SKIP_1) | instid1(VALU_DEP_2)
	v_div_scale_f64 v[205:206], null, v[188:189], v[188:189], v[190:191]
	v_div_scale_f64 v[211:212], vcc_lo, v[190:191], v[188:189], v[190:191]
	v_rcp_f64_e32 v[207:208], v[205:206]
	s_waitcnt_depctr 0xfff
	v_fma_f64 v[209:210], -v[205:206], v[207:208], 1.0
	s_delay_alu instid0(VALU_DEP_1) | instskip(NEXT) | instid1(VALU_DEP_1)
	v_fma_f64 v[207:208], v[207:208], v[209:210], v[207:208]
	v_fma_f64 v[209:210], -v[205:206], v[207:208], 1.0
	s_delay_alu instid0(VALU_DEP_1) | instskip(NEXT) | instid1(VALU_DEP_1)
	v_fma_f64 v[207:208], v[207:208], v[209:210], v[207:208]
	v_mul_f64 v[209:210], v[211:212], v[207:208]
	s_delay_alu instid0(VALU_DEP_1) | instskip(NEXT) | instid1(VALU_DEP_1)
	v_fma_f64 v[205:206], -v[205:206], v[209:210], v[211:212]
	v_div_fmas_f64 v[205:206], v[205:206], v[207:208], v[209:210]
	s_delay_alu instid0(VALU_DEP_1) | instskip(NEXT) | instid1(VALU_DEP_1)
	v_div_fixup_f64 v[205:206], v[205:206], v[188:189], v[190:191]
	v_fma_f64 v[188:189], v[190:191], v[205:206], v[188:189]
	s_delay_alu instid0(VALU_DEP_1) | instskip(NEXT) | instid1(VALU_DEP_1)
	v_div_scale_f64 v[190:191], null, v[188:189], v[188:189], 1.0
	v_rcp_f64_e32 v[207:208], v[190:191]
	s_waitcnt_depctr 0xfff
	v_fma_f64 v[209:210], -v[190:191], v[207:208], 1.0
	s_delay_alu instid0(VALU_DEP_1) | instskip(NEXT) | instid1(VALU_DEP_1)
	v_fma_f64 v[207:208], v[207:208], v[209:210], v[207:208]
	v_fma_f64 v[209:210], -v[190:191], v[207:208], 1.0
	s_delay_alu instid0(VALU_DEP_1) | instskip(SKIP_1) | instid1(VALU_DEP_1)
	v_fma_f64 v[207:208], v[207:208], v[209:210], v[207:208]
	v_div_scale_f64 v[209:210], vcc_lo, 1.0, v[188:189], 1.0
	v_mul_f64 v[211:212], v[209:210], v[207:208]
	s_delay_alu instid0(VALU_DEP_1) | instskip(NEXT) | instid1(VALU_DEP_1)
	v_fma_f64 v[190:191], -v[190:191], v[211:212], v[209:210]
	v_div_fmas_f64 v[190:191], v[190:191], v[207:208], v[211:212]
	s_delay_alu instid0(VALU_DEP_1) | instskip(NEXT) | instid1(VALU_DEP_1)
	v_div_fixup_f64 v[188:189], v[190:191], v[188:189], 1.0
	v_mul_f64 v[190:191], v[205:206], -v[188:189]
.LBB92_681:
	s_or_b32 exec_lo, exec_lo, s2
.LBB92_682:
	s_delay_alu instid0(SALU_CYCLE_1) | instskip(NEXT) | instid1(SALU_CYCLE_1)
	s_or_b32 exec_lo, exec_lo, s3
	s_mov_b32 s2, exec_lo
	v_cmpx_ne_u32_e64 v204, v196
	s_xor_b32 s2, exec_lo, s2
	s_cbranch_execz .LBB92_688
; %bb.683:
	s_mov_b32 s3, exec_lo
	v_cmpx_eq_u32_e32 32, v204
	s_cbranch_execz .LBB92_687
; %bb.684:
	v_cmp_ne_u32_e32 vcc_lo, 32, v196
	s_xor_b32 s6, s4, -1
	s_delay_alu instid0(SALU_CYCLE_1) | instskip(NEXT) | instid1(SALU_CYCLE_1)
	s_and_b32 s7, s6, vcc_lo
	s_and_saveexec_b32 s6, s7
	s_cbranch_execz .LBB92_686
; %bb.685:
	v_ashrrev_i32_e32 v197, 31, v196
	s_delay_alu instid0(VALU_DEP_1) | instskip(NEXT) | instid1(VALU_DEP_1)
	v_lshlrev_b64 v[204:205], 2, v[196:197]
	v_add_co_u32 v204, vcc_lo, v194, v204
	s_delay_alu instid0(VALU_DEP_2)
	v_add_co_ci_u32_e32 v205, vcc_lo, v195, v205, vcc_lo
	s_clause 0x1
	flat_load_b32 v197, v[204:205]
	flat_load_b32 v202, v[194:195] offset:128
	s_waitcnt vmcnt(1) lgkmcnt(1)
	flat_store_b32 v[194:195], v197 offset:128
	s_waitcnt vmcnt(0) lgkmcnt(1)
	flat_store_b32 v[204:205], v202
.LBB92_686:
	s_or_b32 exec_lo, exec_lo, s6
	v_mov_b32_e32 v204, v196
	v_mov_b32_e32 v202, v196
.LBB92_687:
	s_or_b32 exec_lo, exec_lo, s3
.LBB92_688:
	s_and_not1_saveexec_b32 s2, s2
	s_cbranch_execz .LBB92_690
; %bb.689:
	v_mov_b32_e32 v204, 32
	ds_store_2addr_b64 v198, v[52:53], v[54:55] offset0:66 offset1:67
	ds_store_2addr_b64 v198, v[48:49], v[50:51] offset0:68 offset1:69
	;; [unrolled: 1-line block ×14, first 2 shown]
.LBB92_690:
	s_or_b32 exec_lo, exec_lo, s2
	s_delay_alu instid0(SALU_CYCLE_1)
	s_mov_b32 s2, exec_lo
	s_waitcnt lgkmcnt(0)
	s_waitcnt_vscnt null, 0x0
	s_barrier
	buffer_gl0_inv
	v_cmpx_lt_i32_e32 32, v204
	s_cbranch_execz .LBB92_692
; %bb.691:
	v_mul_f64 v[196:197], v[188:189], v[58:59]
	v_mul_f64 v[58:59], v[190:191], v[58:59]
	s_delay_alu instid0(VALU_DEP_2) | instskip(NEXT) | instid1(VALU_DEP_2)
	v_fma_f64 v[196:197], v[190:191], v[56:57], v[196:197]
	v_fma_f64 v[56:57], v[188:189], v[56:57], -v[58:59]
	ds_load_2addr_b64 v[188:191], v198 offset0:66 offset1:67
	s_waitcnt lgkmcnt(0)
	v_mul_f64 v[58:59], v[190:191], v[196:197]
	s_delay_alu instid0(VALU_DEP_1) | instskip(SKIP_1) | instid1(VALU_DEP_2)
	v_fma_f64 v[58:59], v[188:189], v[56:57], -v[58:59]
	v_mul_f64 v[188:189], v[188:189], v[196:197]
	v_add_f64 v[52:53], v[52:53], -v[58:59]
	s_delay_alu instid0(VALU_DEP_2) | instskip(NEXT) | instid1(VALU_DEP_1)
	v_fma_f64 v[188:189], v[190:191], v[56:57], v[188:189]
	v_add_f64 v[54:55], v[54:55], -v[188:189]
	ds_load_2addr_b64 v[188:191], v198 offset0:68 offset1:69
	s_waitcnt lgkmcnt(0)
	v_mul_f64 v[58:59], v[190:191], v[196:197]
	s_delay_alu instid0(VALU_DEP_1) | instskip(SKIP_1) | instid1(VALU_DEP_2)
	v_fma_f64 v[58:59], v[188:189], v[56:57], -v[58:59]
	v_mul_f64 v[188:189], v[188:189], v[196:197]
	v_add_f64 v[48:49], v[48:49], -v[58:59]
	s_delay_alu instid0(VALU_DEP_2) | instskip(NEXT) | instid1(VALU_DEP_1)
	v_fma_f64 v[188:189], v[190:191], v[56:57], v[188:189]
	v_add_f64 v[50:51], v[50:51], -v[188:189]
	;; [unrolled: 10-line block ×13, first 2 shown]
	ds_load_2addr_b64 v[188:191], v198 offset0:92 offset1:93
	s_waitcnt lgkmcnt(0)
	v_mul_f64 v[58:59], v[190:191], v[196:197]
	s_delay_alu instid0(VALU_DEP_1) | instskip(SKIP_1) | instid1(VALU_DEP_2)
	v_fma_f64 v[58:59], v[188:189], v[56:57], -v[58:59]
	v_mul_f64 v[188:189], v[188:189], v[196:197]
	v_add_f64 v[0:1], v[0:1], -v[58:59]
	s_delay_alu instid0(VALU_DEP_2) | instskip(SKIP_1) | instid1(VALU_DEP_2)
	v_fma_f64 v[188:189], v[190:191], v[56:57], v[188:189]
	v_dual_mov_b32 v58, v196 :: v_dual_mov_b32 v59, v197
	v_add_f64 v[2:3], v[2:3], -v[188:189]
.LBB92_692:
	s_or_b32 exec_lo, exec_lo, s2
	v_lshl_add_u32 v188, v204, 4, v198
	s_barrier
	buffer_gl0_inv
	v_mov_b32_e32 v196, 33
	ds_store_2addr_b64 v188, v[52:53], v[54:55] offset1:1
	s_waitcnt lgkmcnt(0)
	s_barrier
	buffer_gl0_inv
	ds_load_2addr_b64 v[188:191], v198 offset0:66 offset1:67
	s_cmp_lt_i32 s5, 35
	s_cbranch_scc1 .LBB92_695
; %bb.693:
	v_add3_u32 v197, v203, 0, 0x220
	v_mov_b32_e32 v196, 33
	s_mov_b32 s6, 34
	s_set_inst_prefetch_distance 0x1
	.p2align	6
.LBB92_694:                             ; =>This Inner Loop Header: Depth=1
	ds_load_2addr_b64 v[205:208], v197 offset1:1
	s_waitcnt lgkmcnt(1)
	v_cmp_gt_f64_e32 vcc_lo, 0, v[188:189]
	v_xor_b32_e32 v209, 0x80000000, v189
	v_cmp_gt_f64_e64 s2, 0, v[190:191]
	v_xor_b32_e32 v211, 0x80000000, v191
	v_add_nc_u32_e32 v197, 16, v197
	s_waitcnt lgkmcnt(0)
	v_cmp_gt_f64_e64 s3, 0, v[205:206]
	v_mov_b32_e32 v213, v205
	v_dual_mov_b32 v215, v207 :: v_dual_cndmask_b32 v210, v189, v209
	v_xor_b32_e32 v209, 0x80000000, v206
	v_cndmask_b32_e64 v212, v191, v211, s2
	v_xor_b32_e32 v211, 0x80000000, v208
	s_delay_alu instid0(VALU_DEP_3) | instskip(SKIP_2) | instid1(VALU_DEP_2)
	v_cndmask_b32_e64 v214, v206, v209, s3
	v_cmp_gt_f64_e64 s3, 0, v[207:208]
	v_cndmask_b32_e32 v209, v188, v188, vcc_lo
	v_cndmask_b32_e64 v216, v208, v211, s3
	v_cndmask_b32_e64 v211, v190, v190, s2
	s_delay_alu instid0(VALU_DEP_2) | instskip(NEXT) | instid1(VALU_DEP_2)
	v_add_f64 v[213:214], v[213:214], v[215:216]
	v_add_f64 v[209:210], v[209:210], v[211:212]
	s_delay_alu instid0(VALU_DEP_1) | instskip(SKIP_4) | instid1(SALU_CYCLE_1)
	v_cmp_lt_f64_e32 vcc_lo, v[209:210], v[213:214]
	v_dual_cndmask_b32 v190, v190, v207 :: v_dual_cndmask_b32 v189, v189, v206
	v_dual_cndmask_b32 v188, v188, v205 :: v_dual_cndmask_b32 v191, v191, v208
	v_cndmask_b32_e64 v196, v196, s6, vcc_lo
	s_add_i32 s6, s6, 1
	s_cmp_lg_u32 s5, s6
	s_cbranch_scc1 .LBB92_694
.LBB92_695:
	s_set_inst_prefetch_distance 0x2
	s_waitcnt lgkmcnt(0)
	v_cmp_eq_f64_e32 vcc_lo, 0, v[188:189]
	v_cmp_eq_f64_e64 s2, 0, v[190:191]
	s_delay_alu instid0(VALU_DEP_1) | instskip(NEXT) | instid1(SALU_CYCLE_1)
	s_and_b32 s2, vcc_lo, s2
	s_and_saveexec_b32 s3, s2
	s_delay_alu instid0(SALU_CYCLE_1)
	s_xor_b32 s2, exec_lo, s3
; %bb.696:
	v_cmp_ne_u32_e32 vcc_lo, 0, v201
	v_cndmask_b32_e32 v201, 34, v201, vcc_lo
; %bb.697:
	s_and_not1_saveexec_b32 s3, s2
	s_cbranch_execz .LBB92_703
; %bb.698:
	v_cmp_gt_f64_e32 vcc_lo, 0, v[188:189]
	v_cmp_gt_f64_e64 s2, 0, v[190:191]
	v_xor_b32_e32 v197, 0x80000000, v189
	v_xor_b32_e32 v205, 0x80000000, v191
	s_delay_alu instid0(VALU_DEP_2) | instskip(NEXT) | instid1(VALU_DEP_2)
	v_cndmask_b32_e32 v206, v189, v197, vcc_lo
	v_cndmask_b32_e64 v208, v191, v205, s2
	v_cndmask_b32_e32 v205, v188, v188, vcc_lo
	v_cndmask_b32_e64 v207, v190, v190, s2
	s_mov_b32 s2, exec_lo
	s_delay_alu instid0(VALU_DEP_1)
	v_cmpx_ngt_f64_e32 v[205:206], v[207:208]
	s_xor_b32 s2, exec_lo, s2
	s_cbranch_execz .LBB92_700
; %bb.699:
	v_div_scale_f64 v[205:206], null, v[190:191], v[190:191], v[188:189]
	v_div_scale_f64 v[211:212], vcc_lo, v[188:189], v[190:191], v[188:189]
	s_delay_alu instid0(VALU_DEP_2) | instskip(SKIP_2) | instid1(VALU_DEP_1)
	v_rcp_f64_e32 v[207:208], v[205:206]
	s_waitcnt_depctr 0xfff
	v_fma_f64 v[209:210], -v[205:206], v[207:208], 1.0
	v_fma_f64 v[207:208], v[207:208], v[209:210], v[207:208]
	s_delay_alu instid0(VALU_DEP_1) | instskip(NEXT) | instid1(VALU_DEP_1)
	v_fma_f64 v[209:210], -v[205:206], v[207:208], 1.0
	v_fma_f64 v[207:208], v[207:208], v[209:210], v[207:208]
	s_delay_alu instid0(VALU_DEP_1) | instskip(NEXT) | instid1(VALU_DEP_1)
	v_mul_f64 v[209:210], v[211:212], v[207:208]
	v_fma_f64 v[205:206], -v[205:206], v[209:210], v[211:212]
	s_delay_alu instid0(VALU_DEP_1) | instskip(NEXT) | instid1(VALU_DEP_1)
	v_div_fmas_f64 v[205:206], v[205:206], v[207:208], v[209:210]
	v_div_fixup_f64 v[205:206], v[205:206], v[190:191], v[188:189]
	s_delay_alu instid0(VALU_DEP_1) | instskip(NEXT) | instid1(VALU_DEP_1)
	v_fma_f64 v[188:189], v[188:189], v[205:206], v[190:191]
	v_div_scale_f64 v[190:191], null, v[188:189], v[188:189], 1.0
	s_delay_alu instid0(VALU_DEP_1) | instskip(SKIP_2) | instid1(VALU_DEP_1)
	v_rcp_f64_e32 v[207:208], v[190:191]
	s_waitcnt_depctr 0xfff
	v_fma_f64 v[209:210], -v[190:191], v[207:208], 1.0
	v_fma_f64 v[207:208], v[207:208], v[209:210], v[207:208]
	s_delay_alu instid0(VALU_DEP_1) | instskip(NEXT) | instid1(VALU_DEP_1)
	v_fma_f64 v[209:210], -v[190:191], v[207:208], 1.0
	v_fma_f64 v[207:208], v[207:208], v[209:210], v[207:208]
	v_div_scale_f64 v[209:210], vcc_lo, 1.0, v[188:189], 1.0
	s_delay_alu instid0(VALU_DEP_1) | instskip(NEXT) | instid1(VALU_DEP_1)
	v_mul_f64 v[211:212], v[209:210], v[207:208]
	v_fma_f64 v[190:191], -v[190:191], v[211:212], v[209:210]
	s_delay_alu instid0(VALU_DEP_1) | instskip(NEXT) | instid1(VALU_DEP_1)
	v_div_fmas_f64 v[190:191], v[190:191], v[207:208], v[211:212]
	v_div_fixup_f64 v[190:191], v[190:191], v[188:189], 1.0
	s_delay_alu instid0(VALU_DEP_1)
	v_mul_f64 v[188:189], v[205:206], v[190:191]
	v_xor_b32_e32 v191, 0x80000000, v191
.LBB92_700:
	s_and_not1_saveexec_b32 s2, s2
	s_cbranch_execz .LBB92_702
; %bb.701:
	s_delay_alu instid0(VALU_DEP_1) | instskip(SKIP_1) | instid1(VALU_DEP_2)
	v_div_scale_f64 v[205:206], null, v[188:189], v[188:189], v[190:191]
	v_div_scale_f64 v[211:212], vcc_lo, v[190:191], v[188:189], v[190:191]
	v_rcp_f64_e32 v[207:208], v[205:206]
	s_waitcnt_depctr 0xfff
	v_fma_f64 v[209:210], -v[205:206], v[207:208], 1.0
	s_delay_alu instid0(VALU_DEP_1) | instskip(NEXT) | instid1(VALU_DEP_1)
	v_fma_f64 v[207:208], v[207:208], v[209:210], v[207:208]
	v_fma_f64 v[209:210], -v[205:206], v[207:208], 1.0
	s_delay_alu instid0(VALU_DEP_1) | instskip(NEXT) | instid1(VALU_DEP_1)
	v_fma_f64 v[207:208], v[207:208], v[209:210], v[207:208]
	v_mul_f64 v[209:210], v[211:212], v[207:208]
	s_delay_alu instid0(VALU_DEP_1) | instskip(NEXT) | instid1(VALU_DEP_1)
	v_fma_f64 v[205:206], -v[205:206], v[209:210], v[211:212]
	v_div_fmas_f64 v[205:206], v[205:206], v[207:208], v[209:210]
	s_delay_alu instid0(VALU_DEP_1) | instskip(NEXT) | instid1(VALU_DEP_1)
	v_div_fixup_f64 v[205:206], v[205:206], v[188:189], v[190:191]
	v_fma_f64 v[188:189], v[190:191], v[205:206], v[188:189]
	s_delay_alu instid0(VALU_DEP_1) | instskip(NEXT) | instid1(VALU_DEP_1)
	v_div_scale_f64 v[190:191], null, v[188:189], v[188:189], 1.0
	v_rcp_f64_e32 v[207:208], v[190:191]
	s_waitcnt_depctr 0xfff
	v_fma_f64 v[209:210], -v[190:191], v[207:208], 1.0
	s_delay_alu instid0(VALU_DEP_1) | instskip(NEXT) | instid1(VALU_DEP_1)
	v_fma_f64 v[207:208], v[207:208], v[209:210], v[207:208]
	v_fma_f64 v[209:210], -v[190:191], v[207:208], 1.0
	s_delay_alu instid0(VALU_DEP_1) | instskip(SKIP_1) | instid1(VALU_DEP_1)
	v_fma_f64 v[207:208], v[207:208], v[209:210], v[207:208]
	v_div_scale_f64 v[209:210], vcc_lo, 1.0, v[188:189], 1.0
	v_mul_f64 v[211:212], v[209:210], v[207:208]
	s_delay_alu instid0(VALU_DEP_1) | instskip(NEXT) | instid1(VALU_DEP_1)
	v_fma_f64 v[190:191], -v[190:191], v[211:212], v[209:210]
	v_div_fmas_f64 v[190:191], v[190:191], v[207:208], v[211:212]
	s_delay_alu instid0(VALU_DEP_1) | instskip(NEXT) | instid1(VALU_DEP_1)
	v_div_fixup_f64 v[188:189], v[190:191], v[188:189], 1.0
	v_mul_f64 v[190:191], v[205:206], -v[188:189]
.LBB92_702:
	s_or_b32 exec_lo, exec_lo, s2
.LBB92_703:
	s_delay_alu instid0(SALU_CYCLE_1) | instskip(NEXT) | instid1(SALU_CYCLE_1)
	s_or_b32 exec_lo, exec_lo, s3
	s_mov_b32 s2, exec_lo
	v_cmpx_ne_u32_e64 v204, v196
	s_xor_b32 s2, exec_lo, s2
	s_cbranch_execz .LBB92_709
; %bb.704:
	s_mov_b32 s3, exec_lo
	v_cmpx_eq_u32_e32 33, v204
	s_cbranch_execz .LBB92_708
; %bb.705:
	v_cmp_ne_u32_e32 vcc_lo, 33, v196
	s_xor_b32 s6, s4, -1
	s_delay_alu instid0(SALU_CYCLE_1) | instskip(NEXT) | instid1(SALU_CYCLE_1)
	s_and_b32 s7, s6, vcc_lo
	s_and_saveexec_b32 s6, s7
	s_cbranch_execz .LBB92_707
; %bb.706:
	v_ashrrev_i32_e32 v197, 31, v196
	s_delay_alu instid0(VALU_DEP_1) | instskip(NEXT) | instid1(VALU_DEP_1)
	v_lshlrev_b64 v[204:205], 2, v[196:197]
	v_add_co_u32 v204, vcc_lo, v194, v204
	s_delay_alu instid0(VALU_DEP_2)
	v_add_co_ci_u32_e32 v205, vcc_lo, v195, v205, vcc_lo
	s_clause 0x1
	flat_load_b32 v197, v[204:205]
	flat_load_b32 v202, v[194:195] offset:132
	s_waitcnt vmcnt(1) lgkmcnt(1)
	flat_store_b32 v[194:195], v197 offset:132
	s_waitcnt vmcnt(0) lgkmcnt(1)
	flat_store_b32 v[204:205], v202
.LBB92_707:
	s_or_b32 exec_lo, exec_lo, s6
	v_mov_b32_e32 v204, v196
	v_mov_b32_e32 v202, v196
.LBB92_708:
	s_or_b32 exec_lo, exec_lo, s3
.LBB92_709:
	s_and_not1_saveexec_b32 s2, s2
	s_cbranch_execz .LBB92_711
; %bb.710:
	v_mov_b32_e32 v204, 33
	ds_store_2addr_b64 v198, v[48:49], v[50:51] offset0:68 offset1:69
	ds_store_2addr_b64 v198, v[44:45], v[46:47] offset0:70 offset1:71
	;; [unrolled: 1-line block ×13, first 2 shown]
.LBB92_711:
	s_or_b32 exec_lo, exec_lo, s2
	s_delay_alu instid0(SALU_CYCLE_1)
	s_mov_b32 s2, exec_lo
	s_waitcnt lgkmcnt(0)
	s_waitcnt_vscnt null, 0x0
	s_barrier
	buffer_gl0_inv
	v_cmpx_lt_i32_e32 33, v204
	s_cbranch_execz .LBB92_713
; %bb.712:
	v_mul_f64 v[196:197], v[188:189], v[54:55]
	v_mul_f64 v[54:55], v[190:191], v[54:55]
	s_delay_alu instid0(VALU_DEP_2) | instskip(NEXT) | instid1(VALU_DEP_2)
	v_fma_f64 v[196:197], v[190:191], v[52:53], v[196:197]
	v_fma_f64 v[52:53], v[188:189], v[52:53], -v[54:55]
	ds_load_2addr_b64 v[188:191], v198 offset0:68 offset1:69
	s_waitcnt lgkmcnt(0)
	v_mul_f64 v[54:55], v[190:191], v[196:197]
	s_delay_alu instid0(VALU_DEP_1) | instskip(SKIP_1) | instid1(VALU_DEP_2)
	v_fma_f64 v[54:55], v[188:189], v[52:53], -v[54:55]
	v_mul_f64 v[188:189], v[188:189], v[196:197]
	v_add_f64 v[48:49], v[48:49], -v[54:55]
	s_delay_alu instid0(VALU_DEP_2) | instskip(NEXT) | instid1(VALU_DEP_1)
	v_fma_f64 v[188:189], v[190:191], v[52:53], v[188:189]
	v_add_f64 v[50:51], v[50:51], -v[188:189]
	ds_load_2addr_b64 v[188:191], v198 offset0:70 offset1:71
	s_waitcnt lgkmcnt(0)
	v_mul_f64 v[54:55], v[190:191], v[196:197]
	s_delay_alu instid0(VALU_DEP_1) | instskip(SKIP_1) | instid1(VALU_DEP_2)
	v_fma_f64 v[54:55], v[188:189], v[52:53], -v[54:55]
	v_mul_f64 v[188:189], v[188:189], v[196:197]
	v_add_f64 v[44:45], v[44:45], -v[54:55]
	s_delay_alu instid0(VALU_DEP_2) | instskip(NEXT) | instid1(VALU_DEP_1)
	v_fma_f64 v[188:189], v[190:191], v[52:53], v[188:189]
	v_add_f64 v[46:47], v[46:47], -v[188:189]
	;; [unrolled: 10-line block ×12, first 2 shown]
	ds_load_2addr_b64 v[188:191], v198 offset0:92 offset1:93
	s_waitcnt lgkmcnt(0)
	v_mul_f64 v[54:55], v[190:191], v[196:197]
	s_delay_alu instid0(VALU_DEP_1) | instskip(SKIP_1) | instid1(VALU_DEP_2)
	v_fma_f64 v[54:55], v[188:189], v[52:53], -v[54:55]
	v_mul_f64 v[188:189], v[188:189], v[196:197]
	v_add_f64 v[0:1], v[0:1], -v[54:55]
	s_delay_alu instid0(VALU_DEP_2) | instskip(SKIP_1) | instid1(VALU_DEP_2)
	v_fma_f64 v[188:189], v[190:191], v[52:53], v[188:189]
	v_dual_mov_b32 v54, v196 :: v_dual_mov_b32 v55, v197
	v_add_f64 v[2:3], v[2:3], -v[188:189]
.LBB92_713:
	s_or_b32 exec_lo, exec_lo, s2
	v_lshl_add_u32 v188, v204, 4, v198
	s_barrier
	buffer_gl0_inv
	v_mov_b32_e32 v196, 34
	ds_store_2addr_b64 v188, v[48:49], v[50:51] offset1:1
	s_waitcnt lgkmcnt(0)
	s_barrier
	buffer_gl0_inv
	ds_load_2addr_b64 v[188:191], v198 offset0:68 offset1:69
	s_cmp_lt_i32 s5, 36
	s_cbranch_scc1 .LBB92_716
; %bb.714:
	v_add3_u32 v197, v203, 0, 0x230
	v_mov_b32_e32 v196, 34
	s_mov_b32 s6, 35
	s_set_inst_prefetch_distance 0x1
	.p2align	6
.LBB92_715:                             ; =>This Inner Loop Header: Depth=1
	ds_load_2addr_b64 v[205:208], v197 offset1:1
	s_waitcnt lgkmcnt(1)
	v_cmp_gt_f64_e32 vcc_lo, 0, v[188:189]
	v_xor_b32_e32 v209, 0x80000000, v189
	v_cmp_gt_f64_e64 s2, 0, v[190:191]
	v_xor_b32_e32 v211, 0x80000000, v191
	v_add_nc_u32_e32 v197, 16, v197
	s_waitcnt lgkmcnt(0)
	v_cmp_gt_f64_e64 s3, 0, v[205:206]
	v_mov_b32_e32 v213, v205
	v_dual_mov_b32 v215, v207 :: v_dual_cndmask_b32 v210, v189, v209
	v_xor_b32_e32 v209, 0x80000000, v206
	v_cndmask_b32_e64 v212, v191, v211, s2
	v_xor_b32_e32 v211, 0x80000000, v208
	s_delay_alu instid0(VALU_DEP_3) | instskip(SKIP_2) | instid1(VALU_DEP_2)
	v_cndmask_b32_e64 v214, v206, v209, s3
	v_cmp_gt_f64_e64 s3, 0, v[207:208]
	v_cndmask_b32_e32 v209, v188, v188, vcc_lo
	v_cndmask_b32_e64 v216, v208, v211, s3
	v_cndmask_b32_e64 v211, v190, v190, s2
	s_delay_alu instid0(VALU_DEP_2) | instskip(NEXT) | instid1(VALU_DEP_2)
	v_add_f64 v[213:214], v[213:214], v[215:216]
	v_add_f64 v[209:210], v[209:210], v[211:212]
	s_delay_alu instid0(VALU_DEP_1) | instskip(SKIP_4) | instid1(SALU_CYCLE_1)
	v_cmp_lt_f64_e32 vcc_lo, v[209:210], v[213:214]
	v_dual_cndmask_b32 v190, v190, v207 :: v_dual_cndmask_b32 v189, v189, v206
	v_dual_cndmask_b32 v188, v188, v205 :: v_dual_cndmask_b32 v191, v191, v208
	v_cndmask_b32_e64 v196, v196, s6, vcc_lo
	s_add_i32 s6, s6, 1
	s_cmp_lg_u32 s5, s6
	s_cbranch_scc1 .LBB92_715
.LBB92_716:
	s_set_inst_prefetch_distance 0x2
	s_waitcnt lgkmcnt(0)
	v_cmp_eq_f64_e32 vcc_lo, 0, v[188:189]
	v_cmp_eq_f64_e64 s2, 0, v[190:191]
	s_delay_alu instid0(VALU_DEP_1) | instskip(NEXT) | instid1(SALU_CYCLE_1)
	s_and_b32 s2, vcc_lo, s2
	s_and_saveexec_b32 s3, s2
	s_delay_alu instid0(SALU_CYCLE_1)
	s_xor_b32 s2, exec_lo, s3
; %bb.717:
	v_cmp_ne_u32_e32 vcc_lo, 0, v201
	v_cndmask_b32_e32 v201, 35, v201, vcc_lo
; %bb.718:
	s_and_not1_saveexec_b32 s3, s2
	s_cbranch_execz .LBB92_724
; %bb.719:
	v_cmp_gt_f64_e32 vcc_lo, 0, v[188:189]
	v_cmp_gt_f64_e64 s2, 0, v[190:191]
	v_xor_b32_e32 v197, 0x80000000, v189
	v_xor_b32_e32 v205, 0x80000000, v191
	s_delay_alu instid0(VALU_DEP_2) | instskip(NEXT) | instid1(VALU_DEP_2)
	v_cndmask_b32_e32 v206, v189, v197, vcc_lo
	v_cndmask_b32_e64 v208, v191, v205, s2
	v_cndmask_b32_e32 v205, v188, v188, vcc_lo
	v_cndmask_b32_e64 v207, v190, v190, s2
	s_mov_b32 s2, exec_lo
	s_delay_alu instid0(VALU_DEP_1)
	v_cmpx_ngt_f64_e32 v[205:206], v[207:208]
	s_xor_b32 s2, exec_lo, s2
	s_cbranch_execz .LBB92_721
; %bb.720:
	v_div_scale_f64 v[205:206], null, v[190:191], v[190:191], v[188:189]
	v_div_scale_f64 v[211:212], vcc_lo, v[188:189], v[190:191], v[188:189]
	s_delay_alu instid0(VALU_DEP_2) | instskip(SKIP_2) | instid1(VALU_DEP_1)
	v_rcp_f64_e32 v[207:208], v[205:206]
	s_waitcnt_depctr 0xfff
	v_fma_f64 v[209:210], -v[205:206], v[207:208], 1.0
	v_fma_f64 v[207:208], v[207:208], v[209:210], v[207:208]
	s_delay_alu instid0(VALU_DEP_1) | instskip(NEXT) | instid1(VALU_DEP_1)
	v_fma_f64 v[209:210], -v[205:206], v[207:208], 1.0
	v_fma_f64 v[207:208], v[207:208], v[209:210], v[207:208]
	s_delay_alu instid0(VALU_DEP_1) | instskip(NEXT) | instid1(VALU_DEP_1)
	v_mul_f64 v[209:210], v[211:212], v[207:208]
	v_fma_f64 v[205:206], -v[205:206], v[209:210], v[211:212]
	s_delay_alu instid0(VALU_DEP_1) | instskip(NEXT) | instid1(VALU_DEP_1)
	v_div_fmas_f64 v[205:206], v[205:206], v[207:208], v[209:210]
	v_div_fixup_f64 v[205:206], v[205:206], v[190:191], v[188:189]
	s_delay_alu instid0(VALU_DEP_1) | instskip(NEXT) | instid1(VALU_DEP_1)
	v_fma_f64 v[188:189], v[188:189], v[205:206], v[190:191]
	v_div_scale_f64 v[190:191], null, v[188:189], v[188:189], 1.0
	s_delay_alu instid0(VALU_DEP_1) | instskip(SKIP_2) | instid1(VALU_DEP_1)
	v_rcp_f64_e32 v[207:208], v[190:191]
	s_waitcnt_depctr 0xfff
	v_fma_f64 v[209:210], -v[190:191], v[207:208], 1.0
	v_fma_f64 v[207:208], v[207:208], v[209:210], v[207:208]
	s_delay_alu instid0(VALU_DEP_1) | instskip(NEXT) | instid1(VALU_DEP_1)
	v_fma_f64 v[209:210], -v[190:191], v[207:208], 1.0
	v_fma_f64 v[207:208], v[207:208], v[209:210], v[207:208]
	v_div_scale_f64 v[209:210], vcc_lo, 1.0, v[188:189], 1.0
	s_delay_alu instid0(VALU_DEP_1) | instskip(NEXT) | instid1(VALU_DEP_1)
	v_mul_f64 v[211:212], v[209:210], v[207:208]
	v_fma_f64 v[190:191], -v[190:191], v[211:212], v[209:210]
	s_delay_alu instid0(VALU_DEP_1) | instskip(NEXT) | instid1(VALU_DEP_1)
	v_div_fmas_f64 v[190:191], v[190:191], v[207:208], v[211:212]
	v_div_fixup_f64 v[190:191], v[190:191], v[188:189], 1.0
	s_delay_alu instid0(VALU_DEP_1)
	v_mul_f64 v[188:189], v[205:206], v[190:191]
	v_xor_b32_e32 v191, 0x80000000, v191
.LBB92_721:
	s_and_not1_saveexec_b32 s2, s2
	s_cbranch_execz .LBB92_723
; %bb.722:
	s_delay_alu instid0(VALU_DEP_1) | instskip(SKIP_1) | instid1(VALU_DEP_2)
	v_div_scale_f64 v[205:206], null, v[188:189], v[188:189], v[190:191]
	v_div_scale_f64 v[211:212], vcc_lo, v[190:191], v[188:189], v[190:191]
	v_rcp_f64_e32 v[207:208], v[205:206]
	s_waitcnt_depctr 0xfff
	v_fma_f64 v[209:210], -v[205:206], v[207:208], 1.0
	s_delay_alu instid0(VALU_DEP_1) | instskip(NEXT) | instid1(VALU_DEP_1)
	v_fma_f64 v[207:208], v[207:208], v[209:210], v[207:208]
	v_fma_f64 v[209:210], -v[205:206], v[207:208], 1.0
	s_delay_alu instid0(VALU_DEP_1) | instskip(NEXT) | instid1(VALU_DEP_1)
	v_fma_f64 v[207:208], v[207:208], v[209:210], v[207:208]
	v_mul_f64 v[209:210], v[211:212], v[207:208]
	s_delay_alu instid0(VALU_DEP_1) | instskip(NEXT) | instid1(VALU_DEP_1)
	v_fma_f64 v[205:206], -v[205:206], v[209:210], v[211:212]
	v_div_fmas_f64 v[205:206], v[205:206], v[207:208], v[209:210]
	s_delay_alu instid0(VALU_DEP_1) | instskip(NEXT) | instid1(VALU_DEP_1)
	v_div_fixup_f64 v[205:206], v[205:206], v[188:189], v[190:191]
	v_fma_f64 v[188:189], v[190:191], v[205:206], v[188:189]
	s_delay_alu instid0(VALU_DEP_1) | instskip(NEXT) | instid1(VALU_DEP_1)
	v_div_scale_f64 v[190:191], null, v[188:189], v[188:189], 1.0
	v_rcp_f64_e32 v[207:208], v[190:191]
	s_waitcnt_depctr 0xfff
	v_fma_f64 v[209:210], -v[190:191], v[207:208], 1.0
	s_delay_alu instid0(VALU_DEP_1) | instskip(NEXT) | instid1(VALU_DEP_1)
	v_fma_f64 v[207:208], v[207:208], v[209:210], v[207:208]
	v_fma_f64 v[209:210], -v[190:191], v[207:208], 1.0
	s_delay_alu instid0(VALU_DEP_1) | instskip(SKIP_1) | instid1(VALU_DEP_1)
	v_fma_f64 v[207:208], v[207:208], v[209:210], v[207:208]
	v_div_scale_f64 v[209:210], vcc_lo, 1.0, v[188:189], 1.0
	v_mul_f64 v[211:212], v[209:210], v[207:208]
	s_delay_alu instid0(VALU_DEP_1) | instskip(NEXT) | instid1(VALU_DEP_1)
	v_fma_f64 v[190:191], -v[190:191], v[211:212], v[209:210]
	v_div_fmas_f64 v[190:191], v[190:191], v[207:208], v[211:212]
	s_delay_alu instid0(VALU_DEP_1) | instskip(NEXT) | instid1(VALU_DEP_1)
	v_div_fixup_f64 v[188:189], v[190:191], v[188:189], 1.0
	v_mul_f64 v[190:191], v[205:206], -v[188:189]
.LBB92_723:
	s_or_b32 exec_lo, exec_lo, s2
.LBB92_724:
	s_delay_alu instid0(SALU_CYCLE_1) | instskip(NEXT) | instid1(SALU_CYCLE_1)
	s_or_b32 exec_lo, exec_lo, s3
	s_mov_b32 s2, exec_lo
	v_cmpx_ne_u32_e64 v204, v196
	s_xor_b32 s2, exec_lo, s2
	s_cbranch_execz .LBB92_730
; %bb.725:
	s_mov_b32 s3, exec_lo
	v_cmpx_eq_u32_e32 34, v204
	s_cbranch_execz .LBB92_729
; %bb.726:
	v_cmp_ne_u32_e32 vcc_lo, 34, v196
	s_xor_b32 s6, s4, -1
	s_delay_alu instid0(SALU_CYCLE_1) | instskip(NEXT) | instid1(SALU_CYCLE_1)
	s_and_b32 s7, s6, vcc_lo
	s_and_saveexec_b32 s6, s7
	s_cbranch_execz .LBB92_728
; %bb.727:
	v_ashrrev_i32_e32 v197, 31, v196
	s_delay_alu instid0(VALU_DEP_1) | instskip(NEXT) | instid1(VALU_DEP_1)
	v_lshlrev_b64 v[204:205], 2, v[196:197]
	v_add_co_u32 v204, vcc_lo, v194, v204
	s_delay_alu instid0(VALU_DEP_2)
	v_add_co_ci_u32_e32 v205, vcc_lo, v195, v205, vcc_lo
	s_clause 0x1
	flat_load_b32 v197, v[204:205]
	flat_load_b32 v202, v[194:195] offset:136
	s_waitcnt vmcnt(1) lgkmcnt(1)
	flat_store_b32 v[194:195], v197 offset:136
	s_waitcnt vmcnt(0) lgkmcnt(1)
	flat_store_b32 v[204:205], v202
.LBB92_728:
	s_or_b32 exec_lo, exec_lo, s6
	v_mov_b32_e32 v204, v196
	v_mov_b32_e32 v202, v196
.LBB92_729:
	s_or_b32 exec_lo, exec_lo, s3
.LBB92_730:
	s_and_not1_saveexec_b32 s2, s2
	s_cbranch_execz .LBB92_732
; %bb.731:
	v_mov_b32_e32 v204, 34
	ds_store_2addr_b64 v198, v[44:45], v[46:47] offset0:70 offset1:71
	ds_store_2addr_b64 v198, v[40:41], v[42:43] offset0:72 offset1:73
	;; [unrolled: 1-line block ×12, first 2 shown]
.LBB92_732:
	s_or_b32 exec_lo, exec_lo, s2
	s_delay_alu instid0(SALU_CYCLE_1)
	s_mov_b32 s2, exec_lo
	s_waitcnt lgkmcnt(0)
	s_waitcnt_vscnt null, 0x0
	s_barrier
	buffer_gl0_inv
	v_cmpx_lt_i32_e32 34, v204
	s_cbranch_execz .LBB92_734
; %bb.733:
	v_mul_f64 v[196:197], v[188:189], v[50:51]
	v_mul_f64 v[50:51], v[190:191], v[50:51]
	s_delay_alu instid0(VALU_DEP_2) | instskip(NEXT) | instid1(VALU_DEP_2)
	v_fma_f64 v[196:197], v[190:191], v[48:49], v[196:197]
	v_fma_f64 v[48:49], v[188:189], v[48:49], -v[50:51]
	ds_load_2addr_b64 v[188:191], v198 offset0:70 offset1:71
	s_waitcnt lgkmcnt(0)
	v_mul_f64 v[50:51], v[190:191], v[196:197]
	s_delay_alu instid0(VALU_DEP_1) | instskip(SKIP_1) | instid1(VALU_DEP_2)
	v_fma_f64 v[50:51], v[188:189], v[48:49], -v[50:51]
	v_mul_f64 v[188:189], v[188:189], v[196:197]
	v_add_f64 v[44:45], v[44:45], -v[50:51]
	s_delay_alu instid0(VALU_DEP_2) | instskip(NEXT) | instid1(VALU_DEP_1)
	v_fma_f64 v[188:189], v[190:191], v[48:49], v[188:189]
	v_add_f64 v[46:47], v[46:47], -v[188:189]
	ds_load_2addr_b64 v[188:191], v198 offset0:72 offset1:73
	s_waitcnt lgkmcnt(0)
	v_mul_f64 v[50:51], v[190:191], v[196:197]
	s_delay_alu instid0(VALU_DEP_1) | instskip(SKIP_1) | instid1(VALU_DEP_2)
	v_fma_f64 v[50:51], v[188:189], v[48:49], -v[50:51]
	v_mul_f64 v[188:189], v[188:189], v[196:197]
	v_add_f64 v[40:41], v[40:41], -v[50:51]
	s_delay_alu instid0(VALU_DEP_2) | instskip(NEXT) | instid1(VALU_DEP_1)
	v_fma_f64 v[188:189], v[190:191], v[48:49], v[188:189]
	v_add_f64 v[42:43], v[42:43], -v[188:189]
	;; [unrolled: 10-line block ×11, first 2 shown]
	ds_load_2addr_b64 v[188:191], v198 offset0:92 offset1:93
	s_waitcnt lgkmcnt(0)
	v_mul_f64 v[50:51], v[190:191], v[196:197]
	s_delay_alu instid0(VALU_DEP_1) | instskip(SKIP_1) | instid1(VALU_DEP_2)
	v_fma_f64 v[50:51], v[188:189], v[48:49], -v[50:51]
	v_mul_f64 v[188:189], v[188:189], v[196:197]
	v_add_f64 v[0:1], v[0:1], -v[50:51]
	s_delay_alu instid0(VALU_DEP_2) | instskip(SKIP_1) | instid1(VALU_DEP_2)
	v_fma_f64 v[188:189], v[190:191], v[48:49], v[188:189]
	v_dual_mov_b32 v50, v196 :: v_dual_mov_b32 v51, v197
	v_add_f64 v[2:3], v[2:3], -v[188:189]
.LBB92_734:
	s_or_b32 exec_lo, exec_lo, s2
	v_lshl_add_u32 v188, v204, 4, v198
	s_barrier
	buffer_gl0_inv
	v_mov_b32_e32 v196, 35
	ds_store_2addr_b64 v188, v[44:45], v[46:47] offset1:1
	s_waitcnt lgkmcnt(0)
	s_barrier
	buffer_gl0_inv
	ds_load_2addr_b64 v[188:191], v198 offset0:70 offset1:71
	s_cmp_lt_i32 s5, 37
	s_cbranch_scc1 .LBB92_737
; %bb.735:
	v_add3_u32 v197, v203, 0, 0x240
	v_mov_b32_e32 v196, 35
	s_mov_b32 s6, 36
	s_set_inst_prefetch_distance 0x1
	.p2align	6
.LBB92_736:                             ; =>This Inner Loop Header: Depth=1
	ds_load_2addr_b64 v[205:208], v197 offset1:1
	s_waitcnt lgkmcnt(1)
	v_cmp_gt_f64_e32 vcc_lo, 0, v[188:189]
	v_xor_b32_e32 v209, 0x80000000, v189
	v_cmp_gt_f64_e64 s2, 0, v[190:191]
	v_xor_b32_e32 v211, 0x80000000, v191
	v_add_nc_u32_e32 v197, 16, v197
	s_waitcnt lgkmcnt(0)
	v_cmp_gt_f64_e64 s3, 0, v[205:206]
	v_mov_b32_e32 v213, v205
	v_dual_mov_b32 v215, v207 :: v_dual_cndmask_b32 v210, v189, v209
	v_xor_b32_e32 v209, 0x80000000, v206
	v_cndmask_b32_e64 v212, v191, v211, s2
	v_xor_b32_e32 v211, 0x80000000, v208
	s_delay_alu instid0(VALU_DEP_3) | instskip(SKIP_2) | instid1(VALU_DEP_2)
	v_cndmask_b32_e64 v214, v206, v209, s3
	v_cmp_gt_f64_e64 s3, 0, v[207:208]
	v_cndmask_b32_e32 v209, v188, v188, vcc_lo
	v_cndmask_b32_e64 v216, v208, v211, s3
	v_cndmask_b32_e64 v211, v190, v190, s2
	s_delay_alu instid0(VALU_DEP_2) | instskip(NEXT) | instid1(VALU_DEP_2)
	v_add_f64 v[213:214], v[213:214], v[215:216]
	v_add_f64 v[209:210], v[209:210], v[211:212]
	s_delay_alu instid0(VALU_DEP_1) | instskip(SKIP_4) | instid1(SALU_CYCLE_1)
	v_cmp_lt_f64_e32 vcc_lo, v[209:210], v[213:214]
	v_dual_cndmask_b32 v190, v190, v207 :: v_dual_cndmask_b32 v189, v189, v206
	v_dual_cndmask_b32 v188, v188, v205 :: v_dual_cndmask_b32 v191, v191, v208
	v_cndmask_b32_e64 v196, v196, s6, vcc_lo
	s_add_i32 s6, s6, 1
	s_cmp_lg_u32 s5, s6
	s_cbranch_scc1 .LBB92_736
.LBB92_737:
	s_set_inst_prefetch_distance 0x2
	s_waitcnt lgkmcnt(0)
	v_cmp_eq_f64_e32 vcc_lo, 0, v[188:189]
	v_cmp_eq_f64_e64 s2, 0, v[190:191]
	s_delay_alu instid0(VALU_DEP_1) | instskip(NEXT) | instid1(SALU_CYCLE_1)
	s_and_b32 s2, vcc_lo, s2
	s_and_saveexec_b32 s3, s2
	s_delay_alu instid0(SALU_CYCLE_1)
	s_xor_b32 s2, exec_lo, s3
; %bb.738:
	v_cmp_ne_u32_e32 vcc_lo, 0, v201
	v_cndmask_b32_e32 v201, 36, v201, vcc_lo
; %bb.739:
	s_and_not1_saveexec_b32 s3, s2
	s_cbranch_execz .LBB92_745
; %bb.740:
	v_cmp_gt_f64_e32 vcc_lo, 0, v[188:189]
	v_cmp_gt_f64_e64 s2, 0, v[190:191]
	v_xor_b32_e32 v197, 0x80000000, v189
	v_xor_b32_e32 v205, 0x80000000, v191
	s_delay_alu instid0(VALU_DEP_2) | instskip(NEXT) | instid1(VALU_DEP_2)
	v_cndmask_b32_e32 v206, v189, v197, vcc_lo
	v_cndmask_b32_e64 v208, v191, v205, s2
	v_cndmask_b32_e32 v205, v188, v188, vcc_lo
	v_cndmask_b32_e64 v207, v190, v190, s2
	s_mov_b32 s2, exec_lo
	s_delay_alu instid0(VALU_DEP_1)
	v_cmpx_ngt_f64_e32 v[205:206], v[207:208]
	s_xor_b32 s2, exec_lo, s2
	s_cbranch_execz .LBB92_742
; %bb.741:
	v_div_scale_f64 v[205:206], null, v[190:191], v[190:191], v[188:189]
	v_div_scale_f64 v[211:212], vcc_lo, v[188:189], v[190:191], v[188:189]
	s_delay_alu instid0(VALU_DEP_2) | instskip(SKIP_2) | instid1(VALU_DEP_1)
	v_rcp_f64_e32 v[207:208], v[205:206]
	s_waitcnt_depctr 0xfff
	v_fma_f64 v[209:210], -v[205:206], v[207:208], 1.0
	v_fma_f64 v[207:208], v[207:208], v[209:210], v[207:208]
	s_delay_alu instid0(VALU_DEP_1) | instskip(NEXT) | instid1(VALU_DEP_1)
	v_fma_f64 v[209:210], -v[205:206], v[207:208], 1.0
	v_fma_f64 v[207:208], v[207:208], v[209:210], v[207:208]
	s_delay_alu instid0(VALU_DEP_1) | instskip(NEXT) | instid1(VALU_DEP_1)
	v_mul_f64 v[209:210], v[211:212], v[207:208]
	v_fma_f64 v[205:206], -v[205:206], v[209:210], v[211:212]
	s_delay_alu instid0(VALU_DEP_1) | instskip(NEXT) | instid1(VALU_DEP_1)
	v_div_fmas_f64 v[205:206], v[205:206], v[207:208], v[209:210]
	v_div_fixup_f64 v[205:206], v[205:206], v[190:191], v[188:189]
	s_delay_alu instid0(VALU_DEP_1) | instskip(NEXT) | instid1(VALU_DEP_1)
	v_fma_f64 v[188:189], v[188:189], v[205:206], v[190:191]
	v_div_scale_f64 v[190:191], null, v[188:189], v[188:189], 1.0
	s_delay_alu instid0(VALU_DEP_1) | instskip(SKIP_2) | instid1(VALU_DEP_1)
	v_rcp_f64_e32 v[207:208], v[190:191]
	s_waitcnt_depctr 0xfff
	v_fma_f64 v[209:210], -v[190:191], v[207:208], 1.0
	v_fma_f64 v[207:208], v[207:208], v[209:210], v[207:208]
	s_delay_alu instid0(VALU_DEP_1) | instskip(NEXT) | instid1(VALU_DEP_1)
	v_fma_f64 v[209:210], -v[190:191], v[207:208], 1.0
	v_fma_f64 v[207:208], v[207:208], v[209:210], v[207:208]
	v_div_scale_f64 v[209:210], vcc_lo, 1.0, v[188:189], 1.0
	s_delay_alu instid0(VALU_DEP_1) | instskip(NEXT) | instid1(VALU_DEP_1)
	v_mul_f64 v[211:212], v[209:210], v[207:208]
	v_fma_f64 v[190:191], -v[190:191], v[211:212], v[209:210]
	s_delay_alu instid0(VALU_DEP_1) | instskip(NEXT) | instid1(VALU_DEP_1)
	v_div_fmas_f64 v[190:191], v[190:191], v[207:208], v[211:212]
	v_div_fixup_f64 v[190:191], v[190:191], v[188:189], 1.0
	s_delay_alu instid0(VALU_DEP_1)
	v_mul_f64 v[188:189], v[205:206], v[190:191]
	v_xor_b32_e32 v191, 0x80000000, v191
.LBB92_742:
	s_and_not1_saveexec_b32 s2, s2
	s_cbranch_execz .LBB92_744
; %bb.743:
	s_delay_alu instid0(VALU_DEP_1) | instskip(SKIP_1) | instid1(VALU_DEP_2)
	v_div_scale_f64 v[205:206], null, v[188:189], v[188:189], v[190:191]
	v_div_scale_f64 v[211:212], vcc_lo, v[190:191], v[188:189], v[190:191]
	v_rcp_f64_e32 v[207:208], v[205:206]
	s_waitcnt_depctr 0xfff
	v_fma_f64 v[209:210], -v[205:206], v[207:208], 1.0
	s_delay_alu instid0(VALU_DEP_1) | instskip(NEXT) | instid1(VALU_DEP_1)
	v_fma_f64 v[207:208], v[207:208], v[209:210], v[207:208]
	v_fma_f64 v[209:210], -v[205:206], v[207:208], 1.0
	s_delay_alu instid0(VALU_DEP_1) | instskip(NEXT) | instid1(VALU_DEP_1)
	v_fma_f64 v[207:208], v[207:208], v[209:210], v[207:208]
	v_mul_f64 v[209:210], v[211:212], v[207:208]
	s_delay_alu instid0(VALU_DEP_1) | instskip(NEXT) | instid1(VALU_DEP_1)
	v_fma_f64 v[205:206], -v[205:206], v[209:210], v[211:212]
	v_div_fmas_f64 v[205:206], v[205:206], v[207:208], v[209:210]
	s_delay_alu instid0(VALU_DEP_1) | instskip(NEXT) | instid1(VALU_DEP_1)
	v_div_fixup_f64 v[205:206], v[205:206], v[188:189], v[190:191]
	v_fma_f64 v[188:189], v[190:191], v[205:206], v[188:189]
	s_delay_alu instid0(VALU_DEP_1) | instskip(NEXT) | instid1(VALU_DEP_1)
	v_div_scale_f64 v[190:191], null, v[188:189], v[188:189], 1.0
	v_rcp_f64_e32 v[207:208], v[190:191]
	s_waitcnt_depctr 0xfff
	v_fma_f64 v[209:210], -v[190:191], v[207:208], 1.0
	s_delay_alu instid0(VALU_DEP_1) | instskip(NEXT) | instid1(VALU_DEP_1)
	v_fma_f64 v[207:208], v[207:208], v[209:210], v[207:208]
	v_fma_f64 v[209:210], -v[190:191], v[207:208], 1.0
	s_delay_alu instid0(VALU_DEP_1) | instskip(SKIP_1) | instid1(VALU_DEP_1)
	v_fma_f64 v[207:208], v[207:208], v[209:210], v[207:208]
	v_div_scale_f64 v[209:210], vcc_lo, 1.0, v[188:189], 1.0
	v_mul_f64 v[211:212], v[209:210], v[207:208]
	s_delay_alu instid0(VALU_DEP_1) | instskip(NEXT) | instid1(VALU_DEP_1)
	v_fma_f64 v[190:191], -v[190:191], v[211:212], v[209:210]
	v_div_fmas_f64 v[190:191], v[190:191], v[207:208], v[211:212]
	s_delay_alu instid0(VALU_DEP_1) | instskip(NEXT) | instid1(VALU_DEP_1)
	v_div_fixup_f64 v[188:189], v[190:191], v[188:189], 1.0
	v_mul_f64 v[190:191], v[205:206], -v[188:189]
.LBB92_744:
	s_or_b32 exec_lo, exec_lo, s2
.LBB92_745:
	s_delay_alu instid0(SALU_CYCLE_1) | instskip(NEXT) | instid1(SALU_CYCLE_1)
	s_or_b32 exec_lo, exec_lo, s3
	s_mov_b32 s2, exec_lo
	v_cmpx_ne_u32_e64 v204, v196
	s_xor_b32 s2, exec_lo, s2
	s_cbranch_execz .LBB92_751
; %bb.746:
	s_mov_b32 s3, exec_lo
	v_cmpx_eq_u32_e32 35, v204
	s_cbranch_execz .LBB92_750
; %bb.747:
	v_cmp_ne_u32_e32 vcc_lo, 35, v196
	s_xor_b32 s6, s4, -1
	s_delay_alu instid0(SALU_CYCLE_1) | instskip(NEXT) | instid1(SALU_CYCLE_1)
	s_and_b32 s7, s6, vcc_lo
	s_and_saveexec_b32 s6, s7
	s_cbranch_execz .LBB92_749
; %bb.748:
	v_ashrrev_i32_e32 v197, 31, v196
	s_delay_alu instid0(VALU_DEP_1) | instskip(NEXT) | instid1(VALU_DEP_1)
	v_lshlrev_b64 v[204:205], 2, v[196:197]
	v_add_co_u32 v204, vcc_lo, v194, v204
	s_delay_alu instid0(VALU_DEP_2)
	v_add_co_ci_u32_e32 v205, vcc_lo, v195, v205, vcc_lo
	s_clause 0x1
	flat_load_b32 v197, v[204:205]
	flat_load_b32 v202, v[194:195] offset:140
	s_waitcnt vmcnt(1) lgkmcnt(1)
	flat_store_b32 v[194:195], v197 offset:140
	s_waitcnt vmcnt(0) lgkmcnt(1)
	flat_store_b32 v[204:205], v202
.LBB92_749:
	s_or_b32 exec_lo, exec_lo, s6
	v_mov_b32_e32 v204, v196
	v_mov_b32_e32 v202, v196
.LBB92_750:
	s_or_b32 exec_lo, exec_lo, s3
.LBB92_751:
	s_and_not1_saveexec_b32 s2, s2
	s_cbranch_execz .LBB92_753
; %bb.752:
	v_mov_b32_e32 v204, 35
	ds_store_2addr_b64 v198, v[40:41], v[42:43] offset0:72 offset1:73
	ds_store_2addr_b64 v198, v[36:37], v[38:39] offset0:74 offset1:75
	;; [unrolled: 1-line block ×11, first 2 shown]
.LBB92_753:
	s_or_b32 exec_lo, exec_lo, s2
	s_delay_alu instid0(SALU_CYCLE_1)
	s_mov_b32 s2, exec_lo
	s_waitcnt lgkmcnt(0)
	s_waitcnt_vscnt null, 0x0
	s_barrier
	buffer_gl0_inv
	v_cmpx_lt_i32_e32 35, v204
	s_cbranch_execz .LBB92_755
; %bb.754:
	v_mul_f64 v[196:197], v[188:189], v[46:47]
	v_mul_f64 v[46:47], v[190:191], v[46:47]
	s_delay_alu instid0(VALU_DEP_2) | instskip(NEXT) | instid1(VALU_DEP_2)
	v_fma_f64 v[196:197], v[190:191], v[44:45], v[196:197]
	v_fma_f64 v[44:45], v[188:189], v[44:45], -v[46:47]
	ds_load_2addr_b64 v[188:191], v198 offset0:72 offset1:73
	s_waitcnt lgkmcnt(0)
	v_mul_f64 v[46:47], v[190:191], v[196:197]
	s_delay_alu instid0(VALU_DEP_1) | instskip(SKIP_1) | instid1(VALU_DEP_2)
	v_fma_f64 v[46:47], v[188:189], v[44:45], -v[46:47]
	v_mul_f64 v[188:189], v[188:189], v[196:197]
	v_add_f64 v[40:41], v[40:41], -v[46:47]
	s_delay_alu instid0(VALU_DEP_2) | instskip(NEXT) | instid1(VALU_DEP_1)
	v_fma_f64 v[188:189], v[190:191], v[44:45], v[188:189]
	v_add_f64 v[42:43], v[42:43], -v[188:189]
	ds_load_2addr_b64 v[188:191], v198 offset0:74 offset1:75
	s_waitcnt lgkmcnt(0)
	v_mul_f64 v[46:47], v[190:191], v[196:197]
	s_delay_alu instid0(VALU_DEP_1) | instskip(SKIP_1) | instid1(VALU_DEP_2)
	v_fma_f64 v[46:47], v[188:189], v[44:45], -v[46:47]
	v_mul_f64 v[188:189], v[188:189], v[196:197]
	v_add_f64 v[36:37], v[36:37], -v[46:47]
	s_delay_alu instid0(VALU_DEP_2) | instskip(NEXT) | instid1(VALU_DEP_1)
	v_fma_f64 v[188:189], v[190:191], v[44:45], v[188:189]
	v_add_f64 v[38:39], v[38:39], -v[188:189]
	ds_load_2addr_b64 v[188:191], v198 offset0:76 offset1:77
	s_waitcnt lgkmcnt(0)
	v_mul_f64 v[46:47], v[190:191], v[196:197]
	s_delay_alu instid0(VALU_DEP_1) | instskip(SKIP_1) | instid1(VALU_DEP_2)
	v_fma_f64 v[46:47], v[188:189], v[44:45], -v[46:47]
	v_mul_f64 v[188:189], v[188:189], v[196:197]
	v_add_f64 v[32:33], v[32:33], -v[46:47]
	s_delay_alu instid0(VALU_DEP_2) | instskip(NEXT) | instid1(VALU_DEP_1)
	v_fma_f64 v[188:189], v[190:191], v[44:45], v[188:189]
	v_add_f64 v[34:35], v[34:35], -v[188:189]
	ds_load_2addr_b64 v[188:191], v198 offset0:78 offset1:79
	s_waitcnt lgkmcnt(0)
	v_mul_f64 v[46:47], v[190:191], v[196:197]
	s_delay_alu instid0(VALU_DEP_1) | instskip(SKIP_1) | instid1(VALU_DEP_2)
	v_fma_f64 v[46:47], v[188:189], v[44:45], -v[46:47]
	v_mul_f64 v[188:189], v[188:189], v[196:197]
	v_add_f64 v[28:29], v[28:29], -v[46:47]
	s_delay_alu instid0(VALU_DEP_2) | instskip(NEXT) | instid1(VALU_DEP_1)
	v_fma_f64 v[188:189], v[190:191], v[44:45], v[188:189]
	v_add_f64 v[30:31], v[30:31], -v[188:189]
	ds_load_2addr_b64 v[188:191], v198 offset0:80 offset1:81
	s_waitcnt lgkmcnt(0)
	v_mul_f64 v[46:47], v[190:191], v[196:197]
	s_delay_alu instid0(VALU_DEP_1) | instskip(SKIP_1) | instid1(VALU_DEP_2)
	v_fma_f64 v[46:47], v[188:189], v[44:45], -v[46:47]
	v_mul_f64 v[188:189], v[188:189], v[196:197]
	v_add_f64 v[24:25], v[24:25], -v[46:47]
	s_delay_alu instid0(VALU_DEP_2) | instskip(NEXT) | instid1(VALU_DEP_1)
	v_fma_f64 v[188:189], v[190:191], v[44:45], v[188:189]
	v_add_f64 v[26:27], v[26:27], -v[188:189]
	ds_load_2addr_b64 v[188:191], v198 offset0:82 offset1:83
	s_waitcnt lgkmcnt(0)
	v_mul_f64 v[46:47], v[190:191], v[196:197]
	s_delay_alu instid0(VALU_DEP_1) | instskip(SKIP_1) | instid1(VALU_DEP_2)
	v_fma_f64 v[46:47], v[188:189], v[44:45], -v[46:47]
	v_mul_f64 v[188:189], v[188:189], v[196:197]
	v_add_f64 v[20:21], v[20:21], -v[46:47]
	s_delay_alu instid0(VALU_DEP_2) | instskip(NEXT) | instid1(VALU_DEP_1)
	v_fma_f64 v[188:189], v[190:191], v[44:45], v[188:189]
	v_add_f64 v[22:23], v[22:23], -v[188:189]
	ds_load_2addr_b64 v[188:191], v198 offset0:84 offset1:85
	s_waitcnt lgkmcnt(0)
	v_mul_f64 v[46:47], v[190:191], v[196:197]
	s_delay_alu instid0(VALU_DEP_1) | instskip(SKIP_1) | instid1(VALU_DEP_2)
	v_fma_f64 v[46:47], v[188:189], v[44:45], -v[46:47]
	v_mul_f64 v[188:189], v[188:189], v[196:197]
	v_add_f64 v[16:17], v[16:17], -v[46:47]
	s_delay_alu instid0(VALU_DEP_2) | instskip(NEXT) | instid1(VALU_DEP_1)
	v_fma_f64 v[188:189], v[190:191], v[44:45], v[188:189]
	v_add_f64 v[18:19], v[18:19], -v[188:189]
	ds_load_2addr_b64 v[188:191], v198 offset0:86 offset1:87
	s_waitcnt lgkmcnt(0)
	v_mul_f64 v[46:47], v[190:191], v[196:197]
	s_delay_alu instid0(VALU_DEP_1) | instskip(SKIP_1) | instid1(VALU_DEP_2)
	v_fma_f64 v[46:47], v[188:189], v[44:45], -v[46:47]
	v_mul_f64 v[188:189], v[188:189], v[196:197]
	v_add_f64 v[12:13], v[12:13], -v[46:47]
	s_delay_alu instid0(VALU_DEP_2) | instskip(NEXT) | instid1(VALU_DEP_1)
	v_fma_f64 v[188:189], v[190:191], v[44:45], v[188:189]
	v_add_f64 v[14:15], v[14:15], -v[188:189]
	ds_load_2addr_b64 v[188:191], v198 offset0:88 offset1:89
	s_waitcnt lgkmcnt(0)
	v_mul_f64 v[46:47], v[190:191], v[196:197]
	s_delay_alu instid0(VALU_DEP_1) | instskip(SKIP_1) | instid1(VALU_DEP_2)
	v_fma_f64 v[46:47], v[188:189], v[44:45], -v[46:47]
	v_mul_f64 v[188:189], v[188:189], v[196:197]
	v_add_f64 v[8:9], v[8:9], -v[46:47]
	s_delay_alu instid0(VALU_DEP_2) | instskip(NEXT) | instid1(VALU_DEP_1)
	v_fma_f64 v[188:189], v[190:191], v[44:45], v[188:189]
	v_add_f64 v[10:11], v[10:11], -v[188:189]
	ds_load_2addr_b64 v[188:191], v198 offset0:90 offset1:91
	s_waitcnt lgkmcnt(0)
	v_mul_f64 v[46:47], v[190:191], v[196:197]
	s_delay_alu instid0(VALU_DEP_1) | instskip(SKIP_1) | instid1(VALU_DEP_2)
	v_fma_f64 v[46:47], v[188:189], v[44:45], -v[46:47]
	v_mul_f64 v[188:189], v[188:189], v[196:197]
	v_add_f64 v[4:5], v[4:5], -v[46:47]
	s_delay_alu instid0(VALU_DEP_2) | instskip(NEXT) | instid1(VALU_DEP_1)
	v_fma_f64 v[188:189], v[190:191], v[44:45], v[188:189]
	v_add_f64 v[6:7], v[6:7], -v[188:189]
	ds_load_2addr_b64 v[188:191], v198 offset0:92 offset1:93
	s_waitcnt lgkmcnt(0)
	v_mul_f64 v[46:47], v[190:191], v[196:197]
	s_delay_alu instid0(VALU_DEP_1) | instskip(SKIP_1) | instid1(VALU_DEP_2)
	v_fma_f64 v[46:47], v[188:189], v[44:45], -v[46:47]
	v_mul_f64 v[188:189], v[188:189], v[196:197]
	v_add_f64 v[0:1], v[0:1], -v[46:47]
	s_delay_alu instid0(VALU_DEP_2) | instskip(SKIP_1) | instid1(VALU_DEP_2)
	v_fma_f64 v[188:189], v[190:191], v[44:45], v[188:189]
	v_dual_mov_b32 v46, v196 :: v_dual_mov_b32 v47, v197
	v_add_f64 v[2:3], v[2:3], -v[188:189]
.LBB92_755:
	s_or_b32 exec_lo, exec_lo, s2
	v_lshl_add_u32 v188, v204, 4, v198
	s_barrier
	buffer_gl0_inv
	v_mov_b32_e32 v196, 36
	ds_store_2addr_b64 v188, v[40:41], v[42:43] offset1:1
	s_waitcnt lgkmcnt(0)
	s_barrier
	buffer_gl0_inv
	ds_load_2addr_b64 v[188:191], v198 offset0:72 offset1:73
	s_cmp_lt_i32 s5, 38
	s_cbranch_scc1 .LBB92_758
; %bb.756:
	v_add3_u32 v197, v203, 0, 0x250
	v_mov_b32_e32 v196, 36
	s_mov_b32 s6, 37
	s_set_inst_prefetch_distance 0x1
	.p2align	6
.LBB92_757:                             ; =>This Inner Loop Header: Depth=1
	ds_load_2addr_b64 v[205:208], v197 offset1:1
	s_waitcnt lgkmcnt(1)
	v_cmp_gt_f64_e32 vcc_lo, 0, v[188:189]
	v_xor_b32_e32 v209, 0x80000000, v189
	v_cmp_gt_f64_e64 s2, 0, v[190:191]
	v_xor_b32_e32 v211, 0x80000000, v191
	v_add_nc_u32_e32 v197, 16, v197
	s_waitcnt lgkmcnt(0)
	v_cmp_gt_f64_e64 s3, 0, v[205:206]
	v_mov_b32_e32 v213, v205
	v_dual_mov_b32 v215, v207 :: v_dual_cndmask_b32 v210, v189, v209
	v_xor_b32_e32 v209, 0x80000000, v206
	v_cndmask_b32_e64 v212, v191, v211, s2
	v_xor_b32_e32 v211, 0x80000000, v208
	s_delay_alu instid0(VALU_DEP_3) | instskip(SKIP_2) | instid1(VALU_DEP_2)
	v_cndmask_b32_e64 v214, v206, v209, s3
	v_cmp_gt_f64_e64 s3, 0, v[207:208]
	v_cndmask_b32_e32 v209, v188, v188, vcc_lo
	v_cndmask_b32_e64 v216, v208, v211, s3
	v_cndmask_b32_e64 v211, v190, v190, s2
	s_delay_alu instid0(VALU_DEP_2) | instskip(NEXT) | instid1(VALU_DEP_2)
	v_add_f64 v[213:214], v[213:214], v[215:216]
	v_add_f64 v[209:210], v[209:210], v[211:212]
	s_delay_alu instid0(VALU_DEP_1) | instskip(SKIP_4) | instid1(SALU_CYCLE_1)
	v_cmp_lt_f64_e32 vcc_lo, v[209:210], v[213:214]
	v_dual_cndmask_b32 v190, v190, v207 :: v_dual_cndmask_b32 v189, v189, v206
	v_dual_cndmask_b32 v188, v188, v205 :: v_dual_cndmask_b32 v191, v191, v208
	v_cndmask_b32_e64 v196, v196, s6, vcc_lo
	s_add_i32 s6, s6, 1
	s_cmp_lg_u32 s5, s6
	s_cbranch_scc1 .LBB92_757
.LBB92_758:
	s_set_inst_prefetch_distance 0x2
	s_waitcnt lgkmcnt(0)
	v_cmp_eq_f64_e32 vcc_lo, 0, v[188:189]
	v_cmp_eq_f64_e64 s2, 0, v[190:191]
	s_delay_alu instid0(VALU_DEP_1) | instskip(NEXT) | instid1(SALU_CYCLE_1)
	s_and_b32 s2, vcc_lo, s2
	s_and_saveexec_b32 s3, s2
	s_delay_alu instid0(SALU_CYCLE_1)
	s_xor_b32 s2, exec_lo, s3
; %bb.759:
	v_cmp_ne_u32_e32 vcc_lo, 0, v201
	v_cndmask_b32_e32 v201, 37, v201, vcc_lo
; %bb.760:
	s_and_not1_saveexec_b32 s3, s2
	s_cbranch_execz .LBB92_766
; %bb.761:
	v_cmp_gt_f64_e32 vcc_lo, 0, v[188:189]
	v_cmp_gt_f64_e64 s2, 0, v[190:191]
	v_xor_b32_e32 v197, 0x80000000, v189
	v_xor_b32_e32 v205, 0x80000000, v191
	s_delay_alu instid0(VALU_DEP_2) | instskip(NEXT) | instid1(VALU_DEP_2)
	v_cndmask_b32_e32 v206, v189, v197, vcc_lo
	v_cndmask_b32_e64 v208, v191, v205, s2
	v_cndmask_b32_e32 v205, v188, v188, vcc_lo
	v_cndmask_b32_e64 v207, v190, v190, s2
	s_mov_b32 s2, exec_lo
	s_delay_alu instid0(VALU_DEP_1)
	v_cmpx_ngt_f64_e32 v[205:206], v[207:208]
	s_xor_b32 s2, exec_lo, s2
	s_cbranch_execz .LBB92_763
; %bb.762:
	v_div_scale_f64 v[205:206], null, v[190:191], v[190:191], v[188:189]
	v_div_scale_f64 v[211:212], vcc_lo, v[188:189], v[190:191], v[188:189]
	s_delay_alu instid0(VALU_DEP_2) | instskip(SKIP_2) | instid1(VALU_DEP_1)
	v_rcp_f64_e32 v[207:208], v[205:206]
	s_waitcnt_depctr 0xfff
	v_fma_f64 v[209:210], -v[205:206], v[207:208], 1.0
	v_fma_f64 v[207:208], v[207:208], v[209:210], v[207:208]
	s_delay_alu instid0(VALU_DEP_1) | instskip(NEXT) | instid1(VALU_DEP_1)
	v_fma_f64 v[209:210], -v[205:206], v[207:208], 1.0
	v_fma_f64 v[207:208], v[207:208], v[209:210], v[207:208]
	s_delay_alu instid0(VALU_DEP_1) | instskip(NEXT) | instid1(VALU_DEP_1)
	v_mul_f64 v[209:210], v[211:212], v[207:208]
	v_fma_f64 v[205:206], -v[205:206], v[209:210], v[211:212]
	s_delay_alu instid0(VALU_DEP_1) | instskip(NEXT) | instid1(VALU_DEP_1)
	v_div_fmas_f64 v[205:206], v[205:206], v[207:208], v[209:210]
	v_div_fixup_f64 v[205:206], v[205:206], v[190:191], v[188:189]
	s_delay_alu instid0(VALU_DEP_1) | instskip(NEXT) | instid1(VALU_DEP_1)
	v_fma_f64 v[188:189], v[188:189], v[205:206], v[190:191]
	v_div_scale_f64 v[190:191], null, v[188:189], v[188:189], 1.0
	s_delay_alu instid0(VALU_DEP_1) | instskip(SKIP_2) | instid1(VALU_DEP_1)
	v_rcp_f64_e32 v[207:208], v[190:191]
	s_waitcnt_depctr 0xfff
	v_fma_f64 v[209:210], -v[190:191], v[207:208], 1.0
	v_fma_f64 v[207:208], v[207:208], v[209:210], v[207:208]
	s_delay_alu instid0(VALU_DEP_1) | instskip(NEXT) | instid1(VALU_DEP_1)
	v_fma_f64 v[209:210], -v[190:191], v[207:208], 1.0
	v_fma_f64 v[207:208], v[207:208], v[209:210], v[207:208]
	v_div_scale_f64 v[209:210], vcc_lo, 1.0, v[188:189], 1.0
	s_delay_alu instid0(VALU_DEP_1) | instskip(NEXT) | instid1(VALU_DEP_1)
	v_mul_f64 v[211:212], v[209:210], v[207:208]
	v_fma_f64 v[190:191], -v[190:191], v[211:212], v[209:210]
	s_delay_alu instid0(VALU_DEP_1) | instskip(NEXT) | instid1(VALU_DEP_1)
	v_div_fmas_f64 v[190:191], v[190:191], v[207:208], v[211:212]
	v_div_fixup_f64 v[190:191], v[190:191], v[188:189], 1.0
	s_delay_alu instid0(VALU_DEP_1)
	v_mul_f64 v[188:189], v[205:206], v[190:191]
	v_xor_b32_e32 v191, 0x80000000, v191
.LBB92_763:
	s_and_not1_saveexec_b32 s2, s2
	s_cbranch_execz .LBB92_765
; %bb.764:
	s_delay_alu instid0(VALU_DEP_1) | instskip(SKIP_1) | instid1(VALU_DEP_2)
	v_div_scale_f64 v[205:206], null, v[188:189], v[188:189], v[190:191]
	v_div_scale_f64 v[211:212], vcc_lo, v[190:191], v[188:189], v[190:191]
	v_rcp_f64_e32 v[207:208], v[205:206]
	s_waitcnt_depctr 0xfff
	v_fma_f64 v[209:210], -v[205:206], v[207:208], 1.0
	s_delay_alu instid0(VALU_DEP_1) | instskip(NEXT) | instid1(VALU_DEP_1)
	v_fma_f64 v[207:208], v[207:208], v[209:210], v[207:208]
	v_fma_f64 v[209:210], -v[205:206], v[207:208], 1.0
	s_delay_alu instid0(VALU_DEP_1) | instskip(NEXT) | instid1(VALU_DEP_1)
	v_fma_f64 v[207:208], v[207:208], v[209:210], v[207:208]
	v_mul_f64 v[209:210], v[211:212], v[207:208]
	s_delay_alu instid0(VALU_DEP_1) | instskip(NEXT) | instid1(VALU_DEP_1)
	v_fma_f64 v[205:206], -v[205:206], v[209:210], v[211:212]
	v_div_fmas_f64 v[205:206], v[205:206], v[207:208], v[209:210]
	s_delay_alu instid0(VALU_DEP_1) | instskip(NEXT) | instid1(VALU_DEP_1)
	v_div_fixup_f64 v[205:206], v[205:206], v[188:189], v[190:191]
	v_fma_f64 v[188:189], v[190:191], v[205:206], v[188:189]
	s_delay_alu instid0(VALU_DEP_1) | instskip(NEXT) | instid1(VALU_DEP_1)
	v_div_scale_f64 v[190:191], null, v[188:189], v[188:189], 1.0
	v_rcp_f64_e32 v[207:208], v[190:191]
	s_waitcnt_depctr 0xfff
	v_fma_f64 v[209:210], -v[190:191], v[207:208], 1.0
	s_delay_alu instid0(VALU_DEP_1) | instskip(NEXT) | instid1(VALU_DEP_1)
	v_fma_f64 v[207:208], v[207:208], v[209:210], v[207:208]
	v_fma_f64 v[209:210], -v[190:191], v[207:208], 1.0
	s_delay_alu instid0(VALU_DEP_1) | instskip(SKIP_1) | instid1(VALU_DEP_1)
	v_fma_f64 v[207:208], v[207:208], v[209:210], v[207:208]
	v_div_scale_f64 v[209:210], vcc_lo, 1.0, v[188:189], 1.0
	v_mul_f64 v[211:212], v[209:210], v[207:208]
	s_delay_alu instid0(VALU_DEP_1) | instskip(NEXT) | instid1(VALU_DEP_1)
	v_fma_f64 v[190:191], -v[190:191], v[211:212], v[209:210]
	v_div_fmas_f64 v[190:191], v[190:191], v[207:208], v[211:212]
	s_delay_alu instid0(VALU_DEP_1) | instskip(NEXT) | instid1(VALU_DEP_1)
	v_div_fixup_f64 v[188:189], v[190:191], v[188:189], 1.0
	v_mul_f64 v[190:191], v[205:206], -v[188:189]
.LBB92_765:
	s_or_b32 exec_lo, exec_lo, s2
.LBB92_766:
	s_delay_alu instid0(SALU_CYCLE_1) | instskip(NEXT) | instid1(SALU_CYCLE_1)
	s_or_b32 exec_lo, exec_lo, s3
	s_mov_b32 s2, exec_lo
	v_cmpx_ne_u32_e64 v204, v196
	s_xor_b32 s2, exec_lo, s2
	s_cbranch_execz .LBB92_772
; %bb.767:
	s_mov_b32 s3, exec_lo
	v_cmpx_eq_u32_e32 36, v204
	s_cbranch_execz .LBB92_771
; %bb.768:
	v_cmp_ne_u32_e32 vcc_lo, 36, v196
	s_xor_b32 s6, s4, -1
	s_delay_alu instid0(SALU_CYCLE_1) | instskip(NEXT) | instid1(SALU_CYCLE_1)
	s_and_b32 s7, s6, vcc_lo
	s_and_saveexec_b32 s6, s7
	s_cbranch_execz .LBB92_770
; %bb.769:
	v_ashrrev_i32_e32 v197, 31, v196
	s_delay_alu instid0(VALU_DEP_1) | instskip(NEXT) | instid1(VALU_DEP_1)
	v_lshlrev_b64 v[204:205], 2, v[196:197]
	v_add_co_u32 v204, vcc_lo, v194, v204
	s_delay_alu instid0(VALU_DEP_2)
	v_add_co_ci_u32_e32 v205, vcc_lo, v195, v205, vcc_lo
	s_clause 0x1
	flat_load_b32 v197, v[204:205]
	flat_load_b32 v202, v[194:195] offset:144
	s_waitcnt vmcnt(1) lgkmcnt(1)
	flat_store_b32 v[194:195], v197 offset:144
	s_waitcnt vmcnt(0) lgkmcnt(1)
	flat_store_b32 v[204:205], v202
.LBB92_770:
	s_or_b32 exec_lo, exec_lo, s6
	v_mov_b32_e32 v204, v196
	v_mov_b32_e32 v202, v196
.LBB92_771:
	s_or_b32 exec_lo, exec_lo, s3
.LBB92_772:
	s_and_not1_saveexec_b32 s2, s2
	s_cbranch_execz .LBB92_774
; %bb.773:
	v_mov_b32_e32 v204, 36
	ds_store_2addr_b64 v198, v[36:37], v[38:39] offset0:74 offset1:75
	ds_store_2addr_b64 v198, v[32:33], v[34:35] offset0:76 offset1:77
	;; [unrolled: 1-line block ×10, first 2 shown]
.LBB92_774:
	s_or_b32 exec_lo, exec_lo, s2
	s_delay_alu instid0(SALU_CYCLE_1)
	s_mov_b32 s2, exec_lo
	s_waitcnt lgkmcnt(0)
	s_waitcnt_vscnt null, 0x0
	s_barrier
	buffer_gl0_inv
	v_cmpx_lt_i32_e32 36, v204
	s_cbranch_execz .LBB92_776
; %bb.775:
	v_mul_f64 v[196:197], v[188:189], v[42:43]
	v_mul_f64 v[42:43], v[190:191], v[42:43]
	s_delay_alu instid0(VALU_DEP_2) | instskip(NEXT) | instid1(VALU_DEP_2)
	v_fma_f64 v[196:197], v[190:191], v[40:41], v[196:197]
	v_fma_f64 v[40:41], v[188:189], v[40:41], -v[42:43]
	ds_load_2addr_b64 v[188:191], v198 offset0:74 offset1:75
	s_waitcnt lgkmcnt(0)
	v_mul_f64 v[42:43], v[190:191], v[196:197]
	s_delay_alu instid0(VALU_DEP_1) | instskip(SKIP_1) | instid1(VALU_DEP_2)
	v_fma_f64 v[42:43], v[188:189], v[40:41], -v[42:43]
	v_mul_f64 v[188:189], v[188:189], v[196:197]
	v_add_f64 v[36:37], v[36:37], -v[42:43]
	s_delay_alu instid0(VALU_DEP_2) | instskip(NEXT) | instid1(VALU_DEP_1)
	v_fma_f64 v[188:189], v[190:191], v[40:41], v[188:189]
	v_add_f64 v[38:39], v[38:39], -v[188:189]
	ds_load_2addr_b64 v[188:191], v198 offset0:76 offset1:77
	s_waitcnt lgkmcnt(0)
	v_mul_f64 v[42:43], v[190:191], v[196:197]
	s_delay_alu instid0(VALU_DEP_1) | instskip(SKIP_1) | instid1(VALU_DEP_2)
	v_fma_f64 v[42:43], v[188:189], v[40:41], -v[42:43]
	v_mul_f64 v[188:189], v[188:189], v[196:197]
	v_add_f64 v[32:33], v[32:33], -v[42:43]
	s_delay_alu instid0(VALU_DEP_2) | instskip(NEXT) | instid1(VALU_DEP_1)
	v_fma_f64 v[188:189], v[190:191], v[40:41], v[188:189]
	v_add_f64 v[34:35], v[34:35], -v[188:189]
	;; [unrolled: 10-line block ×9, first 2 shown]
	ds_load_2addr_b64 v[188:191], v198 offset0:92 offset1:93
	s_waitcnt lgkmcnt(0)
	v_mul_f64 v[42:43], v[190:191], v[196:197]
	s_delay_alu instid0(VALU_DEP_1) | instskip(SKIP_1) | instid1(VALU_DEP_2)
	v_fma_f64 v[42:43], v[188:189], v[40:41], -v[42:43]
	v_mul_f64 v[188:189], v[188:189], v[196:197]
	v_add_f64 v[0:1], v[0:1], -v[42:43]
	s_delay_alu instid0(VALU_DEP_2) | instskip(SKIP_1) | instid1(VALU_DEP_2)
	v_fma_f64 v[188:189], v[190:191], v[40:41], v[188:189]
	v_dual_mov_b32 v42, v196 :: v_dual_mov_b32 v43, v197
	v_add_f64 v[2:3], v[2:3], -v[188:189]
.LBB92_776:
	s_or_b32 exec_lo, exec_lo, s2
	v_lshl_add_u32 v188, v204, 4, v198
	s_barrier
	buffer_gl0_inv
	v_mov_b32_e32 v196, 37
	ds_store_2addr_b64 v188, v[36:37], v[38:39] offset1:1
	s_waitcnt lgkmcnt(0)
	s_barrier
	buffer_gl0_inv
	ds_load_2addr_b64 v[188:191], v198 offset0:74 offset1:75
	s_cmp_lt_i32 s5, 39
	s_cbranch_scc1 .LBB92_779
; %bb.777:
	v_add3_u32 v197, v203, 0, 0x260
	v_mov_b32_e32 v196, 37
	s_mov_b32 s6, 38
	s_set_inst_prefetch_distance 0x1
	.p2align	6
.LBB92_778:                             ; =>This Inner Loop Header: Depth=1
	ds_load_2addr_b64 v[205:208], v197 offset1:1
	s_waitcnt lgkmcnt(1)
	v_cmp_gt_f64_e32 vcc_lo, 0, v[188:189]
	v_xor_b32_e32 v209, 0x80000000, v189
	v_cmp_gt_f64_e64 s2, 0, v[190:191]
	v_xor_b32_e32 v211, 0x80000000, v191
	v_add_nc_u32_e32 v197, 16, v197
	s_waitcnt lgkmcnt(0)
	v_cmp_gt_f64_e64 s3, 0, v[205:206]
	v_mov_b32_e32 v213, v205
	v_dual_mov_b32 v215, v207 :: v_dual_cndmask_b32 v210, v189, v209
	v_xor_b32_e32 v209, 0x80000000, v206
	v_cndmask_b32_e64 v212, v191, v211, s2
	v_xor_b32_e32 v211, 0x80000000, v208
	s_delay_alu instid0(VALU_DEP_3) | instskip(SKIP_2) | instid1(VALU_DEP_2)
	v_cndmask_b32_e64 v214, v206, v209, s3
	v_cmp_gt_f64_e64 s3, 0, v[207:208]
	v_cndmask_b32_e32 v209, v188, v188, vcc_lo
	v_cndmask_b32_e64 v216, v208, v211, s3
	v_cndmask_b32_e64 v211, v190, v190, s2
	s_delay_alu instid0(VALU_DEP_2) | instskip(NEXT) | instid1(VALU_DEP_2)
	v_add_f64 v[213:214], v[213:214], v[215:216]
	v_add_f64 v[209:210], v[209:210], v[211:212]
	s_delay_alu instid0(VALU_DEP_1) | instskip(SKIP_4) | instid1(SALU_CYCLE_1)
	v_cmp_lt_f64_e32 vcc_lo, v[209:210], v[213:214]
	v_dual_cndmask_b32 v190, v190, v207 :: v_dual_cndmask_b32 v189, v189, v206
	v_dual_cndmask_b32 v188, v188, v205 :: v_dual_cndmask_b32 v191, v191, v208
	v_cndmask_b32_e64 v196, v196, s6, vcc_lo
	s_add_i32 s6, s6, 1
	s_cmp_lg_u32 s5, s6
	s_cbranch_scc1 .LBB92_778
.LBB92_779:
	s_set_inst_prefetch_distance 0x2
	s_waitcnt lgkmcnt(0)
	v_cmp_eq_f64_e32 vcc_lo, 0, v[188:189]
	v_cmp_eq_f64_e64 s2, 0, v[190:191]
	s_delay_alu instid0(VALU_DEP_1) | instskip(NEXT) | instid1(SALU_CYCLE_1)
	s_and_b32 s2, vcc_lo, s2
	s_and_saveexec_b32 s3, s2
	s_delay_alu instid0(SALU_CYCLE_1)
	s_xor_b32 s2, exec_lo, s3
; %bb.780:
	v_cmp_ne_u32_e32 vcc_lo, 0, v201
	v_cndmask_b32_e32 v201, 38, v201, vcc_lo
; %bb.781:
	s_and_not1_saveexec_b32 s3, s2
	s_cbranch_execz .LBB92_787
; %bb.782:
	v_cmp_gt_f64_e32 vcc_lo, 0, v[188:189]
	v_cmp_gt_f64_e64 s2, 0, v[190:191]
	v_xor_b32_e32 v197, 0x80000000, v189
	v_xor_b32_e32 v205, 0x80000000, v191
	s_delay_alu instid0(VALU_DEP_2) | instskip(NEXT) | instid1(VALU_DEP_2)
	v_cndmask_b32_e32 v206, v189, v197, vcc_lo
	v_cndmask_b32_e64 v208, v191, v205, s2
	v_cndmask_b32_e32 v205, v188, v188, vcc_lo
	v_cndmask_b32_e64 v207, v190, v190, s2
	s_mov_b32 s2, exec_lo
	s_delay_alu instid0(VALU_DEP_1)
	v_cmpx_ngt_f64_e32 v[205:206], v[207:208]
	s_xor_b32 s2, exec_lo, s2
	s_cbranch_execz .LBB92_784
; %bb.783:
	v_div_scale_f64 v[205:206], null, v[190:191], v[190:191], v[188:189]
	v_div_scale_f64 v[211:212], vcc_lo, v[188:189], v[190:191], v[188:189]
	s_delay_alu instid0(VALU_DEP_2) | instskip(SKIP_2) | instid1(VALU_DEP_1)
	v_rcp_f64_e32 v[207:208], v[205:206]
	s_waitcnt_depctr 0xfff
	v_fma_f64 v[209:210], -v[205:206], v[207:208], 1.0
	v_fma_f64 v[207:208], v[207:208], v[209:210], v[207:208]
	s_delay_alu instid0(VALU_DEP_1) | instskip(NEXT) | instid1(VALU_DEP_1)
	v_fma_f64 v[209:210], -v[205:206], v[207:208], 1.0
	v_fma_f64 v[207:208], v[207:208], v[209:210], v[207:208]
	s_delay_alu instid0(VALU_DEP_1) | instskip(NEXT) | instid1(VALU_DEP_1)
	v_mul_f64 v[209:210], v[211:212], v[207:208]
	v_fma_f64 v[205:206], -v[205:206], v[209:210], v[211:212]
	s_delay_alu instid0(VALU_DEP_1) | instskip(NEXT) | instid1(VALU_DEP_1)
	v_div_fmas_f64 v[205:206], v[205:206], v[207:208], v[209:210]
	v_div_fixup_f64 v[205:206], v[205:206], v[190:191], v[188:189]
	s_delay_alu instid0(VALU_DEP_1) | instskip(NEXT) | instid1(VALU_DEP_1)
	v_fma_f64 v[188:189], v[188:189], v[205:206], v[190:191]
	v_div_scale_f64 v[190:191], null, v[188:189], v[188:189], 1.0
	s_delay_alu instid0(VALU_DEP_1) | instskip(SKIP_2) | instid1(VALU_DEP_1)
	v_rcp_f64_e32 v[207:208], v[190:191]
	s_waitcnt_depctr 0xfff
	v_fma_f64 v[209:210], -v[190:191], v[207:208], 1.0
	v_fma_f64 v[207:208], v[207:208], v[209:210], v[207:208]
	s_delay_alu instid0(VALU_DEP_1) | instskip(NEXT) | instid1(VALU_DEP_1)
	v_fma_f64 v[209:210], -v[190:191], v[207:208], 1.0
	v_fma_f64 v[207:208], v[207:208], v[209:210], v[207:208]
	v_div_scale_f64 v[209:210], vcc_lo, 1.0, v[188:189], 1.0
	s_delay_alu instid0(VALU_DEP_1) | instskip(NEXT) | instid1(VALU_DEP_1)
	v_mul_f64 v[211:212], v[209:210], v[207:208]
	v_fma_f64 v[190:191], -v[190:191], v[211:212], v[209:210]
	s_delay_alu instid0(VALU_DEP_1) | instskip(NEXT) | instid1(VALU_DEP_1)
	v_div_fmas_f64 v[190:191], v[190:191], v[207:208], v[211:212]
	v_div_fixup_f64 v[190:191], v[190:191], v[188:189], 1.0
	s_delay_alu instid0(VALU_DEP_1)
	v_mul_f64 v[188:189], v[205:206], v[190:191]
	v_xor_b32_e32 v191, 0x80000000, v191
.LBB92_784:
	s_and_not1_saveexec_b32 s2, s2
	s_cbranch_execz .LBB92_786
; %bb.785:
	s_delay_alu instid0(VALU_DEP_1) | instskip(SKIP_1) | instid1(VALU_DEP_2)
	v_div_scale_f64 v[205:206], null, v[188:189], v[188:189], v[190:191]
	v_div_scale_f64 v[211:212], vcc_lo, v[190:191], v[188:189], v[190:191]
	v_rcp_f64_e32 v[207:208], v[205:206]
	s_waitcnt_depctr 0xfff
	v_fma_f64 v[209:210], -v[205:206], v[207:208], 1.0
	s_delay_alu instid0(VALU_DEP_1) | instskip(NEXT) | instid1(VALU_DEP_1)
	v_fma_f64 v[207:208], v[207:208], v[209:210], v[207:208]
	v_fma_f64 v[209:210], -v[205:206], v[207:208], 1.0
	s_delay_alu instid0(VALU_DEP_1) | instskip(NEXT) | instid1(VALU_DEP_1)
	v_fma_f64 v[207:208], v[207:208], v[209:210], v[207:208]
	v_mul_f64 v[209:210], v[211:212], v[207:208]
	s_delay_alu instid0(VALU_DEP_1) | instskip(NEXT) | instid1(VALU_DEP_1)
	v_fma_f64 v[205:206], -v[205:206], v[209:210], v[211:212]
	v_div_fmas_f64 v[205:206], v[205:206], v[207:208], v[209:210]
	s_delay_alu instid0(VALU_DEP_1) | instskip(NEXT) | instid1(VALU_DEP_1)
	v_div_fixup_f64 v[205:206], v[205:206], v[188:189], v[190:191]
	v_fma_f64 v[188:189], v[190:191], v[205:206], v[188:189]
	s_delay_alu instid0(VALU_DEP_1) | instskip(NEXT) | instid1(VALU_DEP_1)
	v_div_scale_f64 v[190:191], null, v[188:189], v[188:189], 1.0
	v_rcp_f64_e32 v[207:208], v[190:191]
	s_waitcnt_depctr 0xfff
	v_fma_f64 v[209:210], -v[190:191], v[207:208], 1.0
	s_delay_alu instid0(VALU_DEP_1) | instskip(NEXT) | instid1(VALU_DEP_1)
	v_fma_f64 v[207:208], v[207:208], v[209:210], v[207:208]
	v_fma_f64 v[209:210], -v[190:191], v[207:208], 1.0
	s_delay_alu instid0(VALU_DEP_1) | instskip(SKIP_1) | instid1(VALU_DEP_1)
	v_fma_f64 v[207:208], v[207:208], v[209:210], v[207:208]
	v_div_scale_f64 v[209:210], vcc_lo, 1.0, v[188:189], 1.0
	v_mul_f64 v[211:212], v[209:210], v[207:208]
	s_delay_alu instid0(VALU_DEP_1) | instskip(NEXT) | instid1(VALU_DEP_1)
	v_fma_f64 v[190:191], -v[190:191], v[211:212], v[209:210]
	v_div_fmas_f64 v[190:191], v[190:191], v[207:208], v[211:212]
	s_delay_alu instid0(VALU_DEP_1) | instskip(NEXT) | instid1(VALU_DEP_1)
	v_div_fixup_f64 v[188:189], v[190:191], v[188:189], 1.0
	v_mul_f64 v[190:191], v[205:206], -v[188:189]
.LBB92_786:
	s_or_b32 exec_lo, exec_lo, s2
.LBB92_787:
	s_delay_alu instid0(SALU_CYCLE_1) | instskip(NEXT) | instid1(SALU_CYCLE_1)
	s_or_b32 exec_lo, exec_lo, s3
	s_mov_b32 s2, exec_lo
	v_cmpx_ne_u32_e64 v204, v196
	s_xor_b32 s2, exec_lo, s2
	s_cbranch_execz .LBB92_793
; %bb.788:
	s_mov_b32 s3, exec_lo
	v_cmpx_eq_u32_e32 37, v204
	s_cbranch_execz .LBB92_792
; %bb.789:
	v_cmp_ne_u32_e32 vcc_lo, 37, v196
	s_xor_b32 s6, s4, -1
	s_delay_alu instid0(SALU_CYCLE_1) | instskip(NEXT) | instid1(SALU_CYCLE_1)
	s_and_b32 s7, s6, vcc_lo
	s_and_saveexec_b32 s6, s7
	s_cbranch_execz .LBB92_791
; %bb.790:
	v_ashrrev_i32_e32 v197, 31, v196
	s_delay_alu instid0(VALU_DEP_1) | instskip(NEXT) | instid1(VALU_DEP_1)
	v_lshlrev_b64 v[204:205], 2, v[196:197]
	v_add_co_u32 v204, vcc_lo, v194, v204
	s_delay_alu instid0(VALU_DEP_2)
	v_add_co_ci_u32_e32 v205, vcc_lo, v195, v205, vcc_lo
	s_clause 0x1
	flat_load_b32 v197, v[204:205]
	flat_load_b32 v202, v[194:195] offset:148
	s_waitcnt vmcnt(1) lgkmcnt(1)
	flat_store_b32 v[194:195], v197 offset:148
	s_waitcnt vmcnt(0) lgkmcnt(1)
	flat_store_b32 v[204:205], v202
.LBB92_791:
	s_or_b32 exec_lo, exec_lo, s6
	v_mov_b32_e32 v204, v196
	v_mov_b32_e32 v202, v196
.LBB92_792:
	s_or_b32 exec_lo, exec_lo, s3
.LBB92_793:
	s_and_not1_saveexec_b32 s2, s2
	s_cbranch_execz .LBB92_795
; %bb.794:
	v_mov_b32_e32 v204, 37
	ds_store_2addr_b64 v198, v[32:33], v[34:35] offset0:76 offset1:77
	ds_store_2addr_b64 v198, v[28:29], v[30:31] offset0:78 offset1:79
	;; [unrolled: 1-line block ×9, first 2 shown]
.LBB92_795:
	s_or_b32 exec_lo, exec_lo, s2
	s_delay_alu instid0(SALU_CYCLE_1)
	s_mov_b32 s2, exec_lo
	s_waitcnt lgkmcnt(0)
	s_waitcnt_vscnt null, 0x0
	s_barrier
	buffer_gl0_inv
	v_cmpx_lt_i32_e32 37, v204
	s_cbranch_execz .LBB92_797
; %bb.796:
	v_mul_f64 v[196:197], v[188:189], v[38:39]
	v_mul_f64 v[38:39], v[190:191], v[38:39]
	s_delay_alu instid0(VALU_DEP_2) | instskip(NEXT) | instid1(VALU_DEP_2)
	v_fma_f64 v[196:197], v[190:191], v[36:37], v[196:197]
	v_fma_f64 v[36:37], v[188:189], v[36:37], -v[38:39]
	ds_load_2addr_b64 v[188:191], v198 offset0:76 offset1:77
	s_waitcnt lgkmcnt(0)
	v_mul_f64 v[38:39], v[190:191], v[196:197]
	s_delay_alu instid0(VALU_DEP_1) | instskip(SKIP_1) | instid1(VALU_DEP_2)
	v_fma_f64 v[38:39], v[188:189], v[36:37], -v[38:39]
	v_mul_f64 v[188:189], v[188:189], v[196:197]
	v_add_f64 v[32:33], v[32:33], -v[38:39]
	s_delay_alu instid0(VALU_DEP_2) | instskip(NEXT) | instid1(VALU_DEP_1)
	v_fma_f64 v[188:189], v[190:191], v[36:37], v[188:189]
	v_add_f64 v[34:35], v[34:35], -v[188:189]
	ds_load_2addr_b64 v[188:191], v198 offset0:78 offset1:79
	s_waitcnt lgkmcnt(0)
	v_mul_f64 v[38:39], v[190:191], v[196:197]
	s_delay_alu instid0(VALU_DEP_1) | instskip(SKIP_1) | instid1(VALU_DEP_2)
	v_fma_f64 v[38:39], v[188:189], v[36:37], -v[38:39]
	v_mul_f64 v[188:189], v[188:189], v[196:197]
	v_add_f64 v[28:29], v[28:29], -v[38:39]
	s_delay_alu instid0(VALU_DEP_2) | instskip(NEXT) | instid1(VALU_DEP_1)
	v_fma_f64 v[188:189], v[190:191], v[36:37], v[188:189]
	v_add_f64 v[30:31], v[30:31], -v[188:189]
	;; [unrolled: 10-line block ×8, first 2 shown]
	ds_load_2addr_b64 v[188:191], v198 offset0:92 offset1:93
	s_waitcnt lgkmcnt(0)
	v_mul_f64 v[38:39], v[190:191], v[196:197]
	s_delay_alu instid0(VALU_DEP_1) | instskip(SKIP_1) | instid1(VALU_DEP_2)
	v_fma_f64 v[38:39], v[188:189], v[36:37], -v[38:39]
	v_mul_f64 v[188:189], v[188:189], v[196:197]
	v_add_f64 v[0:1], v[0:1], -v[38:39]
	s_delay_alu instid0(VALU_DEP_2) | instskip(SKIP_1) | instid1(VALU_DEP_2)
	v_fma_f64 v[188:189], v[190:191], v[36:37], v[188:189]
	v_dual_mov_b32 v38, v196 :: v_dual_mov_b32 v39, v197
	v_add_f64 v[2:3], v[2:3], -v[188:189]
.LBB92_797:
	s_or_b32 exec_lo, exec_lo, s2
	v_lshl_add_u32 v188, v204, 4, v198
	s_barrier
	buffer_gl0_inv
	v_mov_b32_e32 v196, 38
	ds_store_2addr_b64 v188, v[32:33], v[34:35] offset1:1
	s_waitcnt lgkmcnt(0)
	s_barrier
	buffer_gl0_inv
	ds_load_2addr_b64 v[188:191], v198 offset0:76 offset1:77
	s_cmp_lt_i32 s5, 40
	s_cbranch_scc1 .LBB92_800
; %bb.798:
	v_add3_u32 v197, v203, 0, 0x270
	v_mov_b32_e32 v196, 38
	s_mov_b32 s6, 39
	s_set_inst_prefetch_distance 0x1
	.p2align	6
.LBB92_799:                             ; =>This Inner Loop Header: Depth=1
	ds_load_2addr_b64 v[205:208], v197 offset1:1
	s_waitcnt lgkmcnt(1)
	v_cmp_gt_f64_e32 vcc_lo, 0, v[188:189]
	v_xor_b32_e32 v209, 0x80000000, v189
	v_cmp_gt_f64_e64 s2, 0, v[190:191]
	v_xor_b32_e32 v211, 0x80000000, v191
	v_add_nc_u32_e32 v197, 16, v197
	s_waitcnt lgkmcnt(0)
	v_cmp_gt_f64_e64 s3, 0, v[205:206]
	v_mov_b32_e32 v213, v205
	v_dual_mov_b32 v215, v207 :: v_dual_cndmask_b32 v210, v189, v209
	v_xor_b32_e32 v209, 0x80000000, v206
	v_cndmask_b32_e64 v212, v191, v211, s2
	v_xor_b32_e32 v211, 0x80000000, v208
	s_delay_alu instid0(VALU_DEP_3) | instskip(SKIP_2) | instid1(VALU_DEP_2)
	v_cndmask_b32_e64 v214, v206, v209, s3
	v_cmp_gt_f64_e64 s3, 0, v[207:208]
	v_cndmask_b32_e32 v209, v188, v188, vcc_lo
	v_cndmask_b32_e64 v216, v208, v211, s3
	v_cndmask_b32_e64 v211, v190, v190, s2
	s_delay_alu instid0(VALU_DEP_2) | instskip(NEXT) | instid1(VALU_DEP_2)
	v_add_f64 v[213:214], v[213:214], v[215:216]
	v_add_f64 v[209:210], v[209:210], v[211:212]
	s_delay_alu instid0(VALU_DEP_1) | instskip(SKIP_4) | instid1(SALU_CYCLE_1)
	v_cmp_lt_f64_e32 vcc_lo, v[209:210], v[213:214]
	v_dual_cndmask_b32 v190, v190, v207 :: v_dual_cndmask_b32 v189, v189, v206
	v_dual_cndmask_b32 v188, v188, v205 :: v_dual_cndmask_b32 v191, v191, v208
	v_cndmask_b32_e64 v196, v196, s6, vcc_lo
	s_add_i32 s6, s6, 1
	s_cmp_lg_u32 s5, s6
	s_cbranch_scc1 .LBB92_799
.LBB92_800:
	s_set_inst_prefetch_distance 0x2
	s_waitcnt lgkmcnt(0)
	v_cmp_eq_f64_e32 vcc_lo, 0, v[188:189]
	v_cmp_eq_f64_e64 s2, 0, v[190:191]
	s_delay_alu instid0(VALU_DEP_1) | instskip(NEXT) | instid1(SALU_CYCLE_1)
	s_and_b32 s2, vcc_lo, s2
	s_and_saveexec_b32 s3, s2
	s_delay_alu instid0(SALU_CYCLE_1)
	s_xor_b32 s2, exec_lo, s3
; %bb.801:
	v_cmp_ne_u32_e32 vcc_lo, 0, v201
	v_cndmask_b32_e32 v201, 39, v201, vcc_lo
; %bb.802:
	s_and_not1_saveexec_b32 s3, s2
	s_cbranch_execz .LBB92_808
; %bb.803:
	v_cmp_gt_f64_e32 vcc_lo, 0, v[188:189]
	v_cmp_gt_f64_e64 s2, 0, v[190:191]
	v_xor_b32_e32 v197, 0x80000000, v189
	v_xor_b32_e32 v205, 0x80000000, v191
	s_delay_alu instid0(VALU_DEP_2) | instskip(NEXT) | instid1(VALU_DEP_2)
	v_cndmask_b32_e32 v206, v189, v197, vcc_lo
	v_cndmask_b32_e64 v208, v191, v205, s2
	v_cndmask_b32_e32 v205, v188, v188, vcc_lo
	v_cndmask_b32_e64 v207, v190, v190, s2
	s_mov_b32 s2, exec_lo
	s_delay_alu instid0(VALU_DEP_1)
	v_cmpx_ngt_f64_e32 v[205:206], v[207:208]
	s_xor_b32 s2, exec_lo, s2
	s_cbranch_execz .LBB92_805
; %bb.804:
	v_div_scale_f64 v[205:206], null, v[190:191], v[190:191], v[188:189]
	v_div_scale_f64 v[211:212], vcc_lo, v[188:189], v[190:191], v[188:189]
	s_delay_alu instid0(VALU_DEP_2) | instskip(SKIP_2) | instid1(VALU_DEP_1)
	v_rcp_f64_e32 v[207:208], v[205:206]
	s_waitcnt_depctr 0xfff
	v_fma_f64 v[209:210], -v[205:206], v[207:208], 1.0
	v_fma_f64 v[207:208], v[207:208], v[209:210], v[207:208]
	s_delay_alu instid0(VALU_DEP_1) | instskip(NEXT) | instid1(VALU_DEP_1)
	v_fma_f64 v[209:210], -v[205:206], v[207:208], 1.0
	v_fma_f64 v[207:208], v[207:208], v[209:210], v[207:208]
	s_delay_alu instid0(VALU_DEP_1) | instskip(NEXT) | instid1(VALU_DEP_1)
	v_mul_f64 v[209:210], v[211:212], v[207:208]
	v_fma_f64 v[205:206], -v[205:206], v[209:210], v[211:212]
	s_delay_alu instid0(VALU_DEP_1) | instskip(NEXT) | instid1(VALU_DEP_1)
	v_div_fmas_f64 v[205:206], v[205:206], v[207:208], v[209:210]
	v_div_fixup_f64 v[205:206], v[205:206], v[190:191], v[188:189]
	s_delay_alu instid0(VALU_DEP_1) | instskip(NEXT) | instid1(VALU_DEP_1)
	v_fma_f64 v[188:189], v[188:189], v[205:206], v[190:191]
	v_div_scale_f64 v[190:191], null, v[188:189], v[188:189], 1.0
	s_delay_alu instid0(VALU_DEP_1) | instskip(SKIP_2) | instid1(VALU_DEP_1)
	v_rcp_f64_e32 v[207:208], v[190:191]
	s_waitcnt_depctr 0xfff
	v_fma_f64 v[209:210], -v[190:191], v[207:208], 1.0
	v_fma_f64 v[207:208], v[207:208], v[209:210], v[207:208]
	s_delay_alu instid0(VALU_DEP_1) | instskip(NEXT) | instid1(VALU_DEP_1)
	v_fma_f64 v[209:210], -v[190:191], v[207:208], 1.0
	v_fma_f64 v[207:208], v[207:208], v[209:210], v[207:208]
	v_div_scale_f64 v[209:210], vcc_lo, 1.0, v[188:189], 1.0
	s_delay_alu instid0(VALU_DEP_1) | instskip(NEXT) | instid1(VALU_DEP_1)
	v_mul_f64 v[211:212], v[209:210], v[207:208]
	v_fma_f64 v[190:191], -v[190:191], v[211:212], v[209:210]
	s_delay_alu instid0(VALU_DEP_1) | instskip(NEXT) | instid1(VALU_DEP_1)
	v_div_fmas_f64 v[190:191], v[190:191], v[207:208], v[211:212]
	v_div_fixup_f64 v[190:191], v[190:191], v[188:189], 1.0
	s_delay_alu instid0(VALU_DEP_1)
	v_mul_f64 v[188:189], v[205:206], v[190:191]
	v_xor_b32_e32 v191, 0x80000000, v191
.LBB92_805:
	s_and_not1_saveexec_b32 s2, s2
	s_cbranch_execz .LBB92_807
; %bb.806:
	s_delay_alu instid0(VALU_DEP_1) | instskip(SKIP_1) | instid1(VALU_DEP_2)
	v_div_scale_f64 v[205:206], null, v[188:189], v[188:189], v[190:191]
	v_div_scale_f64 v[211:212], vcc_lo, v[190:191], v[188:189], v[190:191]
	v_rcp_f64_e32 v[207:208], v[205:206]
	s_waitcnt_depctr 0xfff
	v_fma_f64 v[209:210], -v[205:206], v[207:208], 1.0
	s_delay_alu instid0(VALU_DEP_1) | instskip(NEXT) | instid1(VALU_DEP_1)
	v_fma_f64 v[207:208], v[207:208], v[209:210], v[207:208]
	v_fma_f64 v[209:210], -v[205:206], v[207:208], 1.0
	s_delay_alu instid0(VALU_DEP_1) | instskip(NEXT) | instid1(VALU_DEP_1)
	v_fma_f64 v[207:208], v[207:208], v[209:210], v[207:208]
	v_mul_f64 v[209:210], v[211:212], v[207:208]
	s_delay_alu instid0(VALU_DEP_1) | instskip(NEXT) | instid1(VALU_DEP_1)
	v_fma_f64 v[205:206], -v[205:206], v[209:210], v[211:212]
	v_div_fmas_f64 v[205:206], v[205:206], v[207:208], v[209:210]
	s_delay_alu instid0(VALU_DEP_1) | instskip(NEXT) | instid1(VALU_DEP_1)
	v_div_fixup_f64 v[205:206], v[205:206], v[188:189], v[190:191]
	v_fma_f64 v[188:189], v[190:191], v[205:206], v[188:189]
	s_delay_alu instid0(VALU_DEP_1) | instskip(NEXT) | instid1(VALU_DEP_1)
	v_div_scale_f64 v[190:191], null, v[188:189], v[188:189], 1.0
	v_rcp_f64_e32 v[207:208], v[190:191]
	s_waitcnt_depctr 0xfff
	v_fma_f64 v[209:210], -v[190:191], v[207:208], 1.0
	s_delay_alu instid0(VALU_DEP_1) | instskip(NEXT) | instid1(VALU_DEP_1)
	v_fma_f64 v[207:208], v[207:208], v[209:210], v[207:208]
	v_fma_f64 v[209:210], -v[190:191], v[207:208], 1.0
	s_delay_alu instid0(VALU_DEP_1) | instskip(SKIP_1) | instid1(VALU_DEP_1)
	v_fma_f64 v[207:208], v[207:208], v[209:210], v[207:208]
	v_div_scale_f64 v[209:210], vcc_lo, 1.0, v[188:189], 1.0
	v_mul_f64 v[211:212], v[209:210], v[207:208]
	s_delay_alu instid0(VALU_DEP_1) | instskip(NEXT) | instid1(VALU_DEP_1)
	v_fma_f64 v[190:191], -v[190:191], v[211:212], v[209:210]
	v_div_fmas_f64 v[190:191], v[190:191], v[207:208], v[211:212]
	s_delay_alu instid0(VALU_DEP_1) | instskip(NEXT) | instid1(VALU_DEP_1)
	v_div_fixup_f64 v[188:189], v[190:191], v[188:189], 1.0
	v_mul_f64 v[190:191], v[205:206], -v[188:189]
.LBB92_807:
	s_or_b32 exec_lo, exec_lo, s2
.LBB92_808:
	s_delay_alu instid0(SALU_CYCLE_1) | instskip(NEXT) | instid1(SALU_CYCLE_1)
	s_or_b32 exec_lo, exec_lo, s3
	s_mov_b32 s2, exec_lo
	v_cmpx_ne_u32_e64 v204, v196
	s_xor_b32 s2, exec_lo, s2
	s_cbranch_execz .LBB92_814
; %bb.809:
	s_mov_b32 s3, exec_lo
	v_cmpx_eq_u32_e32 38, v204
	s_cbranch_execz .LBB92_813
; %bb.810:
	v_cmp_ne_u32_e32 vcc_lo, 38, v196
	s_xor_b32 s6, s4, -1
	s_delay_alu instid0(SALU_CYCLE_1) | instskip(NEXT) | instid1(SALU_CYCLE_1)
	s_and_b32 s7, s6, vcc_lo
	s_and_saveexec_b32 s6, s7
	s_cbranch_execz .LBB92_812
; %bb.811:
	v_ashrrev_i32_e32 v197, 31, v196
	s_delay_alu instid0(VALU_DEP_1) | instskip(NEXT) | instid1(VALU_DEP_1)
	v_lshlrev_b64 v[204:205], 2, v[196:197]
	v_add_co_u32 v204, vcc_lo, v194, v204
	s_delay_alu instid0(VALU_DEP_2)
	v_add_co_ci_u32_e32 v205, vcc_lo, v195, v205, vcc_lo
	s_clause 0x1
	flat_load_b32 v197, v[204:205]
	flat_load_b32 v202, v[194:195] offset:152
	s_waitcnt vmcnt(1) lgkmcnt(1)
	flat_store_b32 v[194:195], v197 offset:152
	s_waitcnt vmcnt(0) lgkmcnt(1)
	flat_store_b32 v[204:205], v202
.LBB92_812:
	s_or_b32 exec_lo, exec_lo, s6
	v_mov_b32_e32 v204, v196
	v_mov_b32_e32 v202, v196
.LBB92_813:
	s_or_b32 exec_lo, exec_lo, s3
.LBB92_814:
	s_and_not1_saveexec_b32 s2, s2
	s_cbranch_execz .LBB92_816
; %bb.815:
	v_mov_b32_e32 v204, 38
	ds_store_2addr_b64 v198, v[28:29], v[30:31] offset0:78 offset1:79
	ds_store_2addr_b64 v198, v[24:25], v[26:27] offset0:80 offset1:81
	;; [unrolled: 1-line block ×8, first 2 shown]
.LBB92_816:
	s_or_b32 exec_lo, exec_lo, s2
	s_delay_alu instid0(SALU_CYCLE_1)
	s_mov_b32 s2, exec_lo
	s_waitcnt lgkmcnt(0)
	s_waitcnt_vscnt null, 0x0
	s_barrier
	buffer_gl0_inv
	v_cmpx_lt_i32_e32 38, v204
	s_cbranch_execz .LBB92_818
; %bb.817:
	v_mul_f64 v[196:197], v[188:189], v[34:35]
	v_mul_f64 v[34:35], v[190:191], v[34:35]
	s_delay_alu instid0(VALU_DEP_2) | instskip(NEXT) | instid1(VALU_DEP_2)
	v_fma_f64 v[196:197], v[190:191], v[32:33], v[196:197]
	v_fma_f64 v[32:33], v[188:189], v[32:33], -v[34:35]
	ds_load_2addr_b64 v[188:191], v198 offset0:78 offset1:79
	s_waitcnt lgkmcnt(0)
	v_mul_f64 v[34:35], v[190:191], v[196:197]
	s_delay_alu instid0(VALU_DEP_1) | instskip(SKIP_1) | instid1(VALU_DEP_2)
	v_fma_f64 v[34:35], v[188:189], v[32:33], -v[34:35]
	v_mul_f64 v[188:189], v[188:189], v[196:197]
	v_add_f64 v[28:29], v[28:29], -v[34:35]
	s_delay_alu instid0(VALU_DEP_2) | instskip(NEXT) | instid1(VALU_DEP_1)
	v_fma_f64 v[188:189], v[190:191], v[32:33], v[188:189]
	v_add_f64 v[30:31], v[30:31], -v[188:189]
	ds_load_2addr_b64 v[188:191], v198 offset0:80 offset1:81
	s_waitcnt lgkmcnt(0)
	v_mul_f64 v[34:35], v[190:191], v[196:197]
	s_delay_alu instid0(VALU_DEP_1) | instskip(SKIP_1) | instid1(VALU_DEP_2)
	v_fma_f64 v[34:35], v[188:189], v[32:33], -v[34:35]
	v_mul_f64 v[188:189], v[188:189], v[196:197]
	v_add_f64 v[24:25], v[24:25], -v[34:35]
	s_delay_alu instid0(VALU_DEP_2) | instskip(NEXT) | instid1(VALU_DEP_1)
	v_fma_f64 v[188:189], v[190:191], v[32:33], v[188:189]
	v_add_f64 v[26:27], v[26:27], -v[188:189]
	;; [unrolled: 10-line block ×7, first 2 shown]
	ds_load_2addr_b64 v[188:191], v198 offset0:92 offset1:93
	s_waitcnt lgkmcnt(0)
	v_mul_f64 v[34:35], v[190:191], v[196:197]
	s_delay_alu instid0(VALU_DEP_1) | instskip(SKIP_1) | instid1(VALU_DEP_2)
	v_fma_f64 v[34:35], v[188:189], v[32:33], -v[34:35]
	v_mul_f64 v[188:189], v[188:189], v[196:197]
	v_add_f64 v[0:1], v[0:1], -v[34:35]
	s_delay_alu instid0(VALU_DEP_2) | instskip(SKIP_1) | instid1(VALU_DEP_2)
	v_fma_f64 v[188:189], v[190:191], v[32:33], v[188:189]
	v_dual_mov_b32 v34, v196 :: v_dual_mov_b32 v35, v197
	v_add_f64 v[2:3], v[2:3], -v[188:189]
.LBB92_818:
	s_or_b32 exec_lo, exec_lo, s2
	v_lshl_add_u32 v188, v204, 4, v198
	s_barrier
	buffer_gl0_inv
	v_mov_b32_e32 v196, 39
	ds_store_2addr_b64 v188, v[28:29], v[30:31] offset1:1
	s_waitcnt lgkmcnt(0)
	s_barrier
	buffer_gl0_inv
	ds_load_2addr_b64 v[188:191], v198 offset0:78 offset1:79
	s_cmp_lt_i32 s5, 41
	s_cbranch_scc1 .LBB92_821
; %bb.819:
	v_add3_u32 v197, v203, 0, 0x280
	v_mov_b32_e32 v196, 39
	s_mov_b32 s6, 40
	s_set_inst_prefetch_distance 0x1
	.p2align	6
.LBB92_820:                             ; =>This Inner Loop Header: Depth=1
	ds_load_2addr_b64 v[205:208], v197 offset1:1
	s_waitcnt lgkmcnt(1)
	v_cmp_gt_f64_e32 vcc_lo, 0, v[188:189]
	v_xor_b32_e32 v209, 0x80000000, v189
	v_cmp_gt_f64_e64 s2, 0, v[190:191]
	v_xor_b32_e32 v211, 0x80000000, v191
	v_add_nc_u32_e32 v197, 16, v197
	s_waitcnt lgkmcnt(0)
	v_cmp_gt_f64_e64 s3, 0, v[205:206]
	v_mov_b32_e32 v213, v205
	v_dual_mov_b32 v215, v207 :: v_dual_cndmask_b32 v210, v189, v209
	v_xor_b32_e32 v209, 0x80000000, v206
	v_cndmask_b32_e64 v212, v191, v211, s2
	v_xor_b32_e32 v211, 0x80000000, v208
	s_delay_alu instid0(VALU_DEP_3) | instskip(SKIP_2) | instid1(VALU_DEP_2)
	v_cndmask_b32_e64 v214, v206, v209, s3
	v_cmp_gt_f64_e64 s3, 0, v[207:208]
	v_cndmask_b32_e32 v209, v188, v188, vcc_lo
	v_cndmask_b32_e64 v216, v208, v211, s3
	v_cndmask_b32_e64 v211, v190, v190, s2
	s_delay_alu instid0(VALU_DEP_2) | instskip(NEXT) | instid1(VALU_DEP_2)
	v_add_f64 v[213:214], v[213:214], v[215:216]
	v_add_f64 v[209:210], v[209:210], v[211:212]
	s_delay_alu instid0(VALU_DEP_1) | instskip(SKIP_4) | instid1(SALU_CYCLE_1)
	v_cmp_lt_f64_e32 vcc_lo, v[209:210], v[213:214]
	v_dual_cndmask_b32 v190, v190, v207 :: v_dual_cndmask_b32 v189, v189, v206
	v_dual_cndmask_b32 v188, v188, v205 :: v_dual_cndmask_b32 v191, v191, v208
	v_cndmask_b32_e64 v196, v196, s6, vcc_lo
	s_add_i32 s6, s6, 1
	s_cmp_lg_u32 s5, s6
	s_cbranch_scc1 .LBB92_820
.LBB92_821:
	s_set_inst_prefetch_distance 0x2
	s_waitcnt lgkmcnt(0)
	v_cmp_eq_f64_e32 vcc_lo, 0, v[188:189]
	v_cmp_eq_f64_e64 s2, 0, v[190:191]
	s_delay_alu instid0(VALU_DEP_1) | instskip(NEXT) | instid1(SALU_CYCLE_1)
	s_and_b32 s2, vcc_lo, s2
	s_and_saveexec_b32 s3, s2
	s_delay_alu instid0(SALU_CYCLE_1)
	s_xor_b32 s2, exec_lo, s3
; %bb.822:
	v_cmp_ne_u32_e32 vcc_lo, 0, v201
	v_cndmask_b32_e32 v201, 40, v201, vcc_lo
; %bb.823:
	s_and_not1_saveexec_b32 s3, s2
	s_cbranch_execz .LBB92_829
; %bb.824:
	v_cmp_gt_f64_e32 vcc_lo, 0, v[188:189]
	v_cmp_gt_f64_e64 s2, 0, v[190:191]
	v_xor_b32_e32 v197, 0x80000000, v189
	v_xor_b32_e32 v205, 0x80000000, v191
	s_delay_alu instid0(VALU_DEP_2) | instskip(NEXT) | instid1(VALU_DEP_2)
	v_cndmask_b32_e32 v206, v189, v197, vcc_lo
	v_cndmask_b32_e64 v208, v191, v205, s2
	v_cndmask_b32_e32 v205, v188, v188, vcc_lo
	v_cndmask_b32_e64 v207, v190, v190, s2
	s_mov_b32 s2, exec_lo
	s_delay_alu instid0(VALU_DEP_1)
	v_cmpx_ngt_f64_e32 v[205:206], v[207:208]
	s_xor_b32 s2, exec_lo, s2
	s_cbranch_execz .LBB92_826
; %bb.825:
	v_div_scale_f64 v[205:206], null, v[190:191], v[190:191], v[188:189]
	v_div_scale_f64 v[211:212], vcc_lo, v[188:189], v[190:191], v[188:189]
	s_delay_alu instid0(VALU_DEP_2) | instskip(SKIP_2) | instid1(VALU_DEP_1)
	v_rcp_f64_e32 v[207:208], v[205:206]
	s_waitcnt_depctr 0xfff
	v_fma_f64 v[209:210], -v[205:206], v[207:208], 1.0
	v_fma_f64 v[207:208], v[207:208], v[209:210], v[207:208]
	s_delay_alu instid0(VALU_DEP_1) | instskip(NEXT) | instid1(VALU_DEP_1)
	v_fma_f64 v[209:210], -v[205:206], v[207:208], 1.0
	v_fma_f64 v[207:208], v[207:208], v[209:210], v[207:208]
	s_delay_alu instid0(VALU_DEP_1) | instskip(NEXT) | instid1(VALU_DEP_1)
	v_mul_f64 v[209:210], v[211:212], v[207:208]
	v_fma_f64 v[205:206], -v[205:206], v[209:210], v[211:212]
	s_delay_alu instid0(VALU_DEP_1) | instskip(NEXT) | instid1(VALU_DEP_1)
	v_div_fmas_f64 v[205:206], v[205:206], v[207:208], v[209:210]
	v_div_fixup_f64 v[205:206], v[205:206], v[190:191], v[188:189]
	s_delay_alu instid0(VALU_DEP_1) | instskip(NEXT) | instid1(VALU_DEP_1)
	v_fma_f64 v[188:189], v[188:189], v[205:206], v[190:191]
	v_div_scale_f64 v[190:191], null, v[188:189], v[188:189], 1.0
	s_delay_alu instid0(VALU_DEP_1) | instskip(SKIP_2) | instid1(VALU_DEP_1)
	v_rcp_f64_e32 v[207:208], v[190:191]
	s_waitcnt_depctr 0xfff
	v_fma_f64 v[209:210], -v[190:191], v[207:208], 1.0
	v_fma_f64 v[207:208], v[207:208], v[209:210], v[207:208]
	s_delay_alu instid0(VALU_DEP_1) | instskip(NEXT) | instid1(VALU_DEP_1)
	v_fma_f64 v[209:210], -v[190:191], v[207:208], 1.0
	v_fma_f64 v[207:208], v[207:208], v[209:210], v[207:208]
	v_div_scale_f64 v[209:210], vcc_lo, 1.0, v[188:189], 1.0
	s_delay_alu instid0(VALU_DEP_1) | instskip(NEXT) | instid1(VALU_DEP_1)
	v_mul_f64 v[211:212], v[209:210], v[207:208]
	v_fma_f64 v[190:191], -v[190:191], v[211:212], v[209:210]
	s_delay_alu instid0(VALU_DEP_1) | instskip(NEXT) | instid1(VALU_DEP_1)
	v_div_fmas_f64 v[190:191], v[190:191], v[207:208], v[211:212]
	v_div_fixup_f64 v[190:191], v[190:191], v[188:189], 1.0
	s_delay_alu instid0(VALU_DEP_1)
	v_mul_f64 v[188:189], v[205:206], v[190:191]
	v_xor_b32_e32 v191, 0x80000000, v191
.LBB92_826:
	s_and_not1_saveexec_b32 s2, s2
	s_cbranch_execz .LBB92_828
; %bb.827:
	s_delay_alu instid0(VALU_DEP_1) | instskip(SKIP_1) | instid1(VALU_DEP_2)
	v_div_scale_f64 v[205:206], null, v[188:189], v[188:189], v[190:191]
	v_div_scale_f64 v[211:212], vcc_lo, v[190:191], v[188:189], v[190:191]
	v_rcp_f64_e32 v[207:208], v[205:206]
	s_waitcnt_depctr 0xfff
	v_fma_f64 v[209:210], -v[205:206], v[207:208], 1.0
	s_delay_alu instid0(VALU_DEP_1) | instskip(NEXT) | instid1(VALU_DEP_1)
	v_fma_f64 v[207:208], v[207:208], v[209:210], v[207:208]
	v_fma_f64 v[209:210], -v[205:206], v[207:208], 1.0
	s_delay_alu instid0(VALU_DEP_1) | instskip(NEXT) | instid1(VALU_DEP_1)
	v_fma_f64 v[207:208], v[207:208], v[209:210], v[207:208]
	v_mul_f64 v[209:210], v[211:212], v[207:208]
	s_delay_alu instid0(VALU_DEP_1) | instskip(NEXT) | instid1(VALU_DEP_1)
	v_fma_f64 v[205:206], -v[205:206], v[209:210], v[211:212]
	v_div_fmas_f64 v[205:206], v[205:206], v[207:208], v[209:210]
	s_delay_alu instid0(VALU_DEP_1) | instskip(NEXT) | instid1(VALU_DEP_1)
	v_div_fixup_f64 v[205:206], v[205:206], v[188:189], v[190:191]
	v_fma_f64 v[188:189], v[190:191], v[205:206], v[188:189]
	s_delay_alu instid0(VALU_DEP_1) | instskip(NEXT) | instid1(VALU_DEP_1)
	v_div_scale_f64 v[190:191], null, v[188:189], v[188:189], 1.0
	v_rcp_f64_e32 v[207:208], v[190:191]
	s_waitcnt_depctr 0xfff
	v_fma_f64 v[209:210], -v[190:191], v[207:208], 1.0
	s_delay_alu instid0(VALU_DEP_1) | instskip(NEXT) | instid1(VALU_DEP_1)
	v_fma_f64 v[207:208], v[207:208], v[209:210], v[207:208]
	v_fma_f64 v[209:210], -v[190:191], v[207:208], 1.0
	s_delay_alu instid0(VALU_DEP_1) | instskip(SKIP_1) | instid1(VALU_DEP_1)
	v_fma_f64 v[207:208], v[207:208], v[209:210], v[207:208]
	v_div_scale_f64 v[209:210], vcc_lo, 1.0, v[188:189], 1.0
	v_mul_f64 v[211:212], v[209:210], v[207:208]
	s_delay_alu instid0(VALU_DEP_1) | instskip(NEXT) | instid1(VALU_DEP_1)
	v_fma_f64 v[190:191], -v[190:191], v[211:212], v[209:210]
	v_div_fmas_f64 v[190:191], v[190:191], v[207:208], v[211:212]
	s_delay_alu instid0(VALU_DEP_1) | instskip(NEXT) | instid1(VALU_DEP_1)
	v_div_fixup_f64 v[188:189], v[190:191], v[188:189], 1.0
	v_mul_f64 v[190:191], v[205:206], -v[188:189]
.LBB92_828:
	s_or_b32 exec_lo, exec_lo, s2
.LBB92_829:
	s_delay_alu instid0(SALU_CYCLE_1) | instskip(NEXT) | instid1(SALU_CYCLE_1)
	s_or_b32 exec_lo, exec_lo, s3
	s_mov_b32 s2, exec_lo
	v_cmpx_ne_u32_e64 v204, v196
	s_xor_b32 s2, exec_lo, s2
	s_cbranch_execz .LBB92_835
; %bb.830:
	s_mov_b32 s3, exec_lo
	v_cmpx_eq_u32_e32 39, v204
	s_cbranch_execz .LBB92_834
; %bb.831:
	v_cmp_ne_u32_e32 vcc_lo, 39, v196
	s_xor_b32 s6, s4, -1
	s_delay_alu instid0(SALU_CYCLE_1) | instskip(NEXT) | instid1(SALU_CYCLE_1)
	s_and_b32 s7, s6, vcc_lo
	s_and_saveexec_b32 s6, s7
	s_cbranch_execz .LBB92_833
; %bb.832:
	v_ashrrev_i32_e32 v197, 31, v196
	s_delay_alu instid0(VALU_DEP_1) | instskip(NEXT) | instid1(VALU_DEP_1)
	v_lshlrev_b64 v[204:205], 2, v[196:197]
	v_add_co_u32 v204, vcc_lo, v194, v204
	s_delay_alu instid0(VALU_DEP_2)
	v_add_co_ci_u32_e32 v205, vcc_lo, v195, v205, vcc_lo
	s_clause 0x1
	flat_load_b32 v197, v[204:205]
	flat_load_b32 v202, v[194:195] offset:156
	s_waitcnt vmcnt(1) lgkmcnt(1)
	flat_store_b32 v[194:195], v197 offset:156
	s_waitcnt vmcnt(0) lgkmcnt(1)
	flat_store_b32 v[204:205], v202
.LBB92_833:
	s_or_b32 exec_lo, exec_lo, s6
	v_mov_b32_e32 v204, v196
	v_mov_b32_e32 v202, v196
.LBB92_834:
	s_or_b32 exec_lo, exec_lo, s3
.LBB92_835:
	s_and_not1_saveexec_b32 s2, s2
	s_cbranch_execz .LBB92_837
; %bb.836:
	v_mov_b32_e32 v204, 39
	ds_store_2addr_b64 v198, v[24:25], v[26:27] offset0:80 offset1:81
	ds_store_2addr_b64 v198, v[20:21], v[22:23] offset0:82 offset1:83
	;; [unrolled: 1-line block ×7, first 2 shown]
.LBB92_837:
	s_or_b32 exec_lo, exec_lo, s2
	s_delay_alu instid0(SALU_CYCLE_1)
	s_mov_b32 s2, exec_lo
	s_waitcnt lgkmcnt(0)
	s_waitcnt_vscnt null, 0x0
	s_barrier
	buffer_gl0_inv
	v_cmpx_lt_i32_e32 39, v204
	s_cbranch_execz .LBB92_839
; %bb.838:
	v_mul_f64 v[196:197], v[188:189], v[30:31]
	v_mul_f64 v[30:31], v[190:191], v[30:31]
	s_delay_alu instid0(VALU_DEP_2) | instskip(NEXT) | instid1(VALU_DEP_2)
	v_fma_f64 v[196:197], v[190:191], v[28:29], v[196:197]
	v_fma_f64 v[28:29], v[188:189], v[28:29], -v[30:31]
	ds_load_2addr_b64 v[188:191], v198 offset0:80 offset1:81
	s_waitcnt lgkmcnt(0)
	v_mul_f64 v[30:31], v[190:191], v[196:197]
	s_delay_alu instid0(VALU_DEP_1) | instskip(SKIP_1) | instid1(VALU_DEP_2)
	v_fma_f64 v[30:31], v[188:189], v[28:29], -v[30:31]
	v_mul_f64 v[188:189], v[188:189], v[196:197]
	v_add_f64 v[24:25], v[24:25], -v[30:31]
	s_delay_alu instid0(VALU_DEP_2) | instskip(NEXT) | instid1(VALU_DEP_1)
	v_fma_f64 v[188:189], v[190:191], v[28:29], v[188:189]
	v_add_f64 v[26:27], v[26:27], -v[188:189]
	ds_load_2addr_b64 v[188:191], v198 offset0:82 offset1:83
	s_waitcnt lgkmcnt(0)
	v_mul_f64 v[30:31], v[190:191], v[196:197]
	s_delay_alu instid0(VALU_DEP_1) | instskip(SKIP_1) | instid1(VALU_DEP_2)
	v_fma_f64 v[30:31], v[188:189], v[28:29], -v[30:31]
	v_mul_f64 v[188:189], v[188:189], v[196:197]
	v_add_f64 v[20:21], v[20:21], -v[30:31]
	s_delay_alu instid0(VALU_DEP_2) | instskip(NEXT) | instid1(VALU_DEP_1)
	v_fma_f64 v[188:189], v[190:191], v[28:29], v[188:189]
	v_add_f64 v[22:23], v[22:23], -v[188:189]
	;; [unrolled: 10-line block ×6, first 2 shown]
	ds_load_2addr_b64 v[188:191], v198 offset0:92 offset1:93
	s_waitcnt lgkmcnt(0)
	v_mul_f64 v[30:31], v[190:191], v[196:197]
	s_delay_alu instid0(VALU_DEP_1) | instskip(SKIP_1) | instid1(VALU_DEP_2)
	v_fma_f64 v[30:31], v[188:189], v[28:29], -v[30:31]
	v_mul_f64 v[188:189], v[188:189], v[196:197]
	v_add_f64 v[0:1], v[0:1], -v[30:31]
	s_delay_alu instid0(VALU_DEP_2) | instskip(SKIP_1) | instid1(VALU_DEP_2)
	v_fma_f64 v[188:189], v[190:191], v[28:29], v[188:189]
	v_dual_mov_b32 v30, v196 :: v_dual_mov_b32 v31, v197
	v_add_f64 v[2:3], v[2:3], -v[188:189]
.LBB92_839:
	s_or_b32 exec_lo, exec_lo, s2
	v_lshl_add_u32 v188, v204, 4, v198
	s_barrier
	buffer_gl0_inv
	v_mov_b32_e32 v196, 40
	ds_store_2addr_b64 v188, v[24:25], v[26:27] offset1:1
	s_waitcnt lgkmcnt(0)
	s_barrier
	buffer_gl0_inv
	ds_load_2addr_b64 v[188:191], v198 offset0:80 offset1:81
	s_cmp_lt_i32 s5, 42
	s_cbranch_scc1 .LBB92_842
; %bb.840:
	v_add3_u32 v197, v203, 0, 0x290
	v_mov_b32_e32 v196, 40
	s_mov_b32 s6, 41
	s_set_inst_prefetch_distance 0x1
	.p2align	6
.LBB92_841:                             ; =>This Inner Loop Header: Depth=1
	ds_load_2addr_b64 v[205:208], v197 offset1:1
	s_waitcnt lgkmcnt(1)
	v_cmp_gt_f64_e32 vcc_lo, 0, v[188:189]
	v_xor_b32_e32 v209, 0x80000000, v189
	v_cmp_gt_f64_e64 s2, 0, v[190:191]
	v_xor_b32_e32 v211, 0x80000000, v191
	v_add_nc_u32_e32 v197, 16, v197
	s_waitcnt lgkmcnt(0)
	v_cmp_gt_f64_e64 s3, 0, v[205:206]
	v_mov_b32_e32 v213, v205
	v_dual_mov_b32 v215, v207 :: v_dual_cndmask_b32 v210, v189, v209
	v_xor_b32_e32 v209, 0x80000000, v206
	v_cndmask_b32_e64 v212, v191, v211, s2
	v_xor_b32_e32 v211, 0x80000000, v208
	s_delay_alu instid0(VALU_DEP_3) | instskip(SKIP_2) | instid1(VALU_DEP_2)
	v_cndmask_b32_e64 v214, v206, v209, s3
	v_cmp_gt_f64_e64 s3, 0, v[207:208]
	v_cndmask_b32_e32 v209, v188, v188, vcc_lo
	v_cndmask_b32_e64 v216, v208, v211, s3
	v_cndmask_b32_e64 v211, v190, v190, s2
	s_delay_alu instid0(VALU_DEP_2) | instskip(NEXT) | instid1(VALU_DEP_2)
	v_add_f64 v[213:214], v[213:214], v[215:216]
	v_add_f64 v[209:210], v[209:210], v[211:212]
	s_delay_alu instid0(VALU_DEP_1) | instskip(SKIP_4) | instid1(SALU_CYCLE_1)
	v_cmp_lt_f64_e32 vcc_lo, v[209:210], v[213:214]
	v_dual_cndmask_b32 v190, v190, v207 :: v_dual_cndmask_b32 v189, v189, v206
	v_dual_cndmask_b32 v188, v188, v205 :: v_dual_cndmask_b32 v191, v191, v208
	v_cndmask_b32_e64 v196, v196, s6, vcc_lo
	s_add_i32 s6, s6, 1
	s_cmp_lg_u32 s5, s6
	s_cbranch_scc1 .LBB92_841
.LBB92_842:
	s_set_inst_prefetch_distance 0x2
	s_waitcnt lgkmcnt(0)
	v_cmp_eq_f64_e32 vcc_lo, 0, v[188:189]
	v_cmp_eq_f64_e64 s2, 0, v[190:191]
	s_delay_alu instid0(VALU_DEP_1) | instskip(NEXT) | instid1(SALU_CYCLE_1)
	s_and_b32 s2, vcc_lo, s2
	s_and_saveexec_b32 s3, s2
	s_delay_alu instid0(SALU_CYCLE_1)
	s_xor_b32 s2, exec_lo, s3
; %bb.843:
	v_cmp_ne_u32_e32 vcc_lo, 0, v201
	v_cndmask_b32_e32 v201, 41, v201, vcc_lo
; %bb.844:
	s_and_not1_saveexec_b32 s3, s2
	s_cbranch_execz .LBB92_850
; %bb.845:
	v_cmp_gt_f64_e32 vcc_lo, 0, v[188:189]
	v_cmp_gt_f64_e64 s2, 0, v[190:191]
	v_xor_b32_e32 v197, 0x80000000, v189
	v_xor_b32_e32 v205, 0x80000000, v191
	s_delay_alu instid0(VALU_DEP_2) | instskip(NEXT) | instid1(VALU_DEP_2)
	v_cndmask_b32_e32 v206, v189, v197, vcc_lo
	v_cndmask_b32_e64 v208, v191, v205, s2
	v_cndmask_b32_e32 v205, v188, v188, vcc_lo
	v_cndmask_b32_e64 v207, v190, v190, s2
	s_mov_b32 s2, exec_lo
	s_delay_alu instid0(VALU_DEP_1)
	v_cmpx_ngt_f64_e32 v[205:206], v[207:208]
	s_xor_b32 s2, exec_lo, s2
	s_cbranch_execz .LBB92_847
; %bb.846:
	v_div_scale_f64 v[205:206], null, v[190:191], v[190:191], v[188:189]
	v_div_scale_f64 v[211:212], vcc_lo, v[188:189], v[190:191], v[188:189]
	s_delay_alu instid0(VALU_DEP_2) | instskip(SKIP_2) | instid1(VALU_DEP_1)
	v_rcp_f64_e32 v[207:208], v[205:206]
	s_waitcnt_depctr 0xfff
	v_fma_f64 v[209:210], -v[205:206], v[207:208], 1.0
	v_fma_f64 v[207:208], v[207:208], v[209:210], v[207:208]
	s_delay_alu instid0(VALU_DEP_1) | instskip(NEXT) | instid1(VALU_DEP_1)
	v_fma_f64 v[209:210], -v[205:206], v[207:208], 1.0
	v_fma_f64 v[207:208], v[207:208], v[209:210], v[207:208]
	s_delay_alu instid0(VALU_DEP_1) | instskip(NEXT) | instid1(VALU_DEP_1)
	v_mul_f64 v[209:210], v[211:212], v[207:208]
	v_fma_f64 v[205:206], -v[205:206], v[209:210], v[211:212]
	s_delay_alu instid0(VALU_DEP_1) | instskip(NEXT) | instid1(VALU_DEP_1)
	v_div_fmas_f64 v[205:206], v[205:206], v[207:208], v[209:210]
	v_div_fixup_f64 v[205:206], v[205:206], v[190:191], v[188:189]
	s_delay_alu instid0(VALU_DEP_1) | instskip(NEXT) | instid1(VALU_DEP_1)
	v_fma_f64 v[188:189], v[188:189], v[205:206], v[190:191]
	v_div_scale_f64 v[190:191], null, v[188:189], v[188:189], 1.0
	s_delay_alu instid0(VALU_DEP_1) | instskip(SKIP_2) | instid1(VALU_DEP_1)
	v_rcp_f64_e32 v[207:208], v[190:191]
	s_waitcnt_depctr 0xfff
	v_fma_f64 v[209:210], -v[190:191], v[207:208], 1.0
	v_fma_f64 v[207:208], v[207:208], v[209:210], v[207:208]
	s_delay_alu instid0(VALU_DEP_1) | instskip(NEXT) | instid1(VALU_DEP_1)
	v_fma_f64 v[209:210], -v[190:191], v[207:208], 1.0
	v_fma_f64 v[207:208], v[207:208], v[209:210], v[207:208]
	v_div_scale_f64 v[209:210], vcc_lo, 1.0, v[188:189], 1.0
	s_delay_alu instid0(VALU_DEP_1) | instskip(NEXT) | instid1(VALU_DEP_1)
	v_mul_f64 v[211:212], v[209:210], v[207:208]
	v_fma_f64 v[190:191], -v[190:191], v[211:212], v[209:210]
	s_delay_alu instid0(VALU_DEP_1) | instskip(NEXT) | instid1(VALU_DEP_1)
	v_div_fmas_f64 v[190:191], v[190:191], v[207:208], v[211:212]
	v_div_fixup_f64 v[190:191], v[190:191], v[188:189], 1.0
	s_delay_alu instid0(VALU_DEP_1)
	v_mul_f64 v[188:189], v[205:206], v[190:191]
	v_xor_b32_e32 v191, 0x80000000, v191
.LBB92_847:
	s_and_not1_saveexec_b32 s2, s2
	s_cbranch_execz .LBB92_849
; %bb.848:
	s_delay_alu instid0(VALU_DEP_1) | instskip(SKIP_1) | instid1(VALU_DEP_2)
	v_div_scale_f64 v[205:206], null, v[188:189], v[188:189], v[190:191]
	v_div_scale_f64 v[211:212], vcc_lo, v[190:191], v[188:189], v[190:191]
	v_rcp_f64_e32 v[207:208], v[205:206]
	s_waitcnt_depctr 0xfff
	v_fma_f64 v[209:210], -v[205:206], v[207:208], 1.0
	s_delay_alu instid0(VALU_DEP_1) | instskip(NEXT) | instid1(VALU_DEP_1)
	v_fma_f64 v[207:208], v[207:208], v[209:210], v[207:208]
	v_fma_f64 v[209:210], -v[205:206], v[207:208], 1.0
	s_delay_alu instid0(VALU_DEP_1) | instskip(NEXT) | instid1(VALU_DEP_1)
	v_fma_f64 v[207:208], v[207:208], v[209:210], v[207:208]
	v_mul_f64 v[209:210], v[211:212], v[207:208]
	s_delay_alu instid0(VALU_DEP_1) | instskip(NEXT) | instid1(VALU_DEP_1)
	v_fma_f64 v[205:206], -v[205:206], v[209:210], v[211:212]
	v_div_fmas_f64 v[205:206], v[205:206], v[207:208], v[209:210]
	s_delay_alu instid0(VALU_DEP_1) | instskip(NEXT) | instid1(VALU_DEP_1)
	v_div_fixup_f64 v[205:206], v[205:206], v[188:189], v[190:191]
	v_fma_f64 v[188:189], v[190:191], v[205:206], v[188:189]
	s_delay_alu instid0(VALU_DEP_1) | instskip(NEXT) | instid1(VALU_DEP_1)
	v_div_scale_f64 v[190:191], null, v[188:189], v[188:189], 1.0
	v_rcp_f64_e32 v[207:208], v[190:191]
	s_waitcnt_depctr 0xfff
	v_fma_f64 v[209:210], -v[190:191], v[207:208], 1.0
	s_delay_alu instid0(VALU_DEP_1) | instskip(NEXT) | instid1(VALU_DEP_1)
	v_fma_f64 v[207:208], v[207:208], v[209:210], v[207:208]
	v_fma_f64 v[209:210], -v[190:191], v[207:208], 1.0
	s_delay_alu instid0(VALU_DEP_1) | instskip(SKIP_1) | instid1(VALU_DEP_1)
	v_fma_f64 v[207:208], v[207:208], v[209:210], v[207:208]
	v_div_scale_f64 v[209:210], vcc_lo, 1.0, v[188:189], 1.0
	v_mul_f64 v[211:212], v[209:210], v[207:208]
	s_delay_alu instid0(VALU_DEP_1) | instskip(NEXT) | instid1(VALU_DEP_1)
	v_fma_f64 v[190:191], -v[190:191], v[211:212], v[209:210]
	v_div_fmas_f64 v[190:191], v[190:191], v[207:208], v[211:212]
	s_delay_alu instid0(VALU_DEP_1) | instskip(NEXT) | instid1(VALU_DEP_1)
	v_div_fixup_f64 v[188:189], v[190:191], v[188:189], 1.0
	v_mul_f64 v[190:191], v[205:206], -v[188:189]
.LBB92_849:
	s_or_b32 exec_lo, exec_lo, s2
.LBB92_850:
	s_delay_alu instid0(SALU_CYCLE_1) | instskip(NEXT) | instid1(SALU_CYCLE_1)
	s_or_b32 exec_lo, exec_lo, s3
	s_mov_b32 s2, exec_lo
	v_cmpx_ne_u32_e64 v204, v196
	s_xor_b32 s2, exec_lo, s2
	s_cbranch_execz .LBB92_856
; %bb.851:
	s_mov_b32 s3, exec_lo
	v_cmpx_eq_u32_e32 40, v204
	s_cbranch_execz .LBB92_855
; %bb.852:
	v_cmp_ne_u32_e32 vcc_lo, 40, v196
	s_xor_b32 s6, s4, -1
	s_delay_alu instid0(SALU_CYCLE_1) | instskip(NEXT) | instid1(SALU_CYCLE_1)
	s_and_b32 s7, s6, vcc_lo
	s_and_saveexec_b32 s6, s7
	s_cbranch_execz .LBB92_854
; %bb.853:
	v_ashrrev_i32_e32 v197, 31, v196
	s_delay_alu instid0(VALU_DEP_1) | instskip(NEXT) | instid1(VALU_DEP_1)
	v_lshlrev_b64 v[204:205], 2, v[196:197]
	v_add_co_u32 v204, vcc_lo, v194, v204
	s_delay_alu instid0(VALU_DEP_2)
	v_add_co_ci_u32_e32 v205, vcc_lo, v195, v205, vcc_lo
	s_clause 0x1
	flat_load_b32 v197, v[204:205]
	flat_load_b32 v202, v[194:195] offset:160
	s_waitcnt vmcnt(1) lgkmcnt(1)
	flat_store_b32 v[194:195], v197 offset:160
	s_waitcnt vmcnt(0) lgkmcnt(1)
	flat_store_b32 v[204:205], v202
.LBB92_854:
	s_or_b32 exec_lo, exec_lo, s6
	v_mov_b32_e32 v204, v196
	v_mov_b32_e32 v202, v196
.LBB92_855:
	s_or_b32 exec_lo, exec_lo, s3
.LBB92_856:
	s_and_not1_saveexec_b32 s2, s2
	s_cbranch_execz .LBB92_858
; %bb.857:
	v_mov_b32_e32 v204, 40
	ds_store_2addr_b64 v198, v[20:21], v[22:23] offset0:82 offset1:83
	ds_store_2addr_b64 v198, v[16:17], v[18:19] offset0:84 offset1:85
	;; [unrolled: 1-line block ×6, first 2 shown]
.LBB92_858:
	s_or_b32 exec_lo, exec_lo, s2
	s_delay_alu instid0(SALU_CYCLE_1)
	s_mov_b32 s2, exec_lo
	s_waitcnt lgkmcnt(0)
	s_waitcnt_vscnt null, 0x0
	s_barrier
	buffer_gl0_inv
	v_cmpx_lt_i32_e32 40, v204
	s_cbranch_execz .LBB92_860
; %bb.859:
	v_mul_f64 v[196:197], v[188:189], v[26:27]
	v_mul_f64 v[26:27], v[190:191], v[26:27]
	ds_load_2addr_b64 v[205:208], v198 offset0:82 offset1:83
	ds_load_2addr_b64 v[209:212], v198 offset0:84 offset1:85
	;; [unrolled: 1-line block ×6, first 2 shown]
	v_fma_f64 v[190:191], v[190:191], v[24:25], v[196:197]
	v_fma_f64 v[24:25], v[188:189], v[24:25], -v[26:27]
	s_waitcnt lgkmcnt(5)
	s_delay_alu instid0(VALU_DEP_2)
	v_mul_f64 v[26:27], v[207:208], v[190:191]
	v_mul_f64 v[188:189], v[205:206], v[190:191]
	s_waitcnt lgkmcnt(4)
	v_mul_f64 v[196:197], v[211:212], v[190:191]
	v_mul_f64 v[229:230], v[209:210], v[190:191]
	s_waitcnt lgkmcnt(3)
	;; [unrolled: 3-line block ×5, first 2 shown]
	v_mul_f64 v[243:244], v[227:228], v[190:191]
	v_mul_f64 v[245:246], v[225:226], v[190:191]
	v_fma_f64 v[26:27], v[205:206], v[24:25], -v[26:27]
	v_fma_f64 v[188:189], v[207:208], v[24:25], v[188:189]
	v_fma_f64 v[196:197], v[209:210], v[24:25], -v[196:197]
	v_fma_f64 v[205:206], v[211:212], v[24:25], v[229:230]
	;; [unrolled: 2-line block ×6, first 2 shown]
	v_add_f64 v[20:21], v[20:21], -v[26:27]
	v_add_f64 v[22:23], v[22:23], -v[188:189]
	;; [unrolled: 1-line block ×12, first 2 shown]
	v_dual_mov_b32 v26, v190 :: v_dual_mov_b32 v27, v191
.LBB92_860:
	s_or_b32 exec_lo, exec_lo, s2
	v_lshl_add_u32 v188, v204, 4, v198
	s_barrier
	buffer_gl0_inv
	v_mov_b32_e32 v196, 41
	ds_store_2addr_b64 v188, v[20:21], v[22:23] offset1:1
	s_waitcnt lgkmcnt(0)
	s_barrier
	buffer_gl0_inv
	ds_load_2addr_b64 v[188:191], v198 offset0:82 offset1:83
	s_cmp_lt_i32 s5, 43
	s_cbranch_scc1 .LBB92_863
; %bb.861:
	v_add3_u32 v197, v203, 0, 0x2a0
	v_mov_b32_e32 v196, 41
	s_mov_b32 s6, 42
	s_set_inst_prefetch_distance 0x1
	.p2align	6
.LBB92_862:                             ; =>This Inner Loop Header: Depth=1
	ds_load_2addr_b64 v[205:208], v197 offset1:1
	s_waitcnt lgkmcnt(1)
	v_cmp_gt_f64_e32 vcc_lo, 0, v[188:189]
	v_xor_b32_e32 v209, 0x80000000, v189
	v_cmp_gt_f64_e64 s2, 0, v[190:191]
	v_xor_b32_e32 v211, 0x80000000, v191
	v_add_nc_u32_e32 v197, 16, v197
	s_waitcnt lgkmcnt(0)
	v_cmp_gt_f64_e64 s3, 0, v[205:206]
	v_mov_b32_e32 v213, v205
	v_dual_mov_b32 v215, v207 :: v_dual_cndmask_b32 v210, v189, v209
	v_xor_b32_e32 v209, 0x80000000, v206
	v_cndmask_b32_e64 v212, v191, v211, s2
	v_xor_b32_e32 v211, 0x80000000, v208
	s_delay_alu instid0(VALU_DEP_3) | instskip(SKIP_2) | instid1(VALU_DEP_2)
	v_cndmask_b32_e64 v214, v206, v209, s3
	v_cmp_gt_f64_e64 s3, 0, v[207:208]
	v_cndmask_b32_e32 v209, v188, v188, vcc_lo
	v_cndmask_b32_e64 v216, v208, v211, s3
	v_cndmask_b32_e64 v211, v190, v190, s2
	s_delay_alu instid0(VALU_DEP_2) | instskip(NEXT) | instid1(VALU_DEP_2)
	v_add_f64 v[213:214], v[213:214], v[215:216]
	v_add_f64 v[209:210], v[209:210], v[211:212]
	s_delay_alu instid0(VALU_DEP_1) | instskip(SKIP_4) | instid1(SALU_CYCLE_1)
	v_cmp_lt_f64_e32 vcc_lo, v[209:210], v[213:214]
	v_dual_cndmask_b32 v190, v190, v207 :: v_dual_cndmask_b32 v189, v189, v206
	v_dual_cndmask_b32 v188, v188, v205 :: v_dual_cndmask_b32 v191, v191, v208
	v_cndmask_b32_e64 v196, v196, s6, vcc_lo
	s_add_i32 s6, s6, 1
	s_cmp_lg_u32 s5, s6
	s_cbranch_scc1 .LBB92_862
.LBB92_863:
	s_set_inst_prefetch_distance 0x2
	s_waitcnt lgkmcnt(0)
	v_cmp_eq_f64_e32 vcc_lo, 0, v[188:189]
	v_cmp_eq_f64_e64 s2, 0, v[190:191]
	s_delay_alu instid0(VALU_DEP_1) | instskip(NEXT) | instid1(SALU_CYCLE_1)
	s_and_b32 s2, vcc_lo, s2
	s_and_saveexec_b32 s3, s2
	s_delay_alu instid0(SALU_CYCLE_1)
	s_xor_b32 s2, exec_lo, s3
; %bb.864:
	v_cmp_ne_u32_e32 vcc_lo, 0, v201
	v_cndmask_b32_e32 v201, 42, v201, vcc_lo
; %bb.865:
	s_and_not1_saveexec_b32 s3, s2
	s_cbranch_execz .LBB92_871
; %bb.866:
	v_cmp_gt_f64_e32 vcc_lo, 0, v[188:189]
	v_cmp_gt_f64_e64 s2, 0, v[190:191]
	v_xor_b32_e32 v197, 0x80000000, v189
	v_xor_b32_e32 v205, 0x80000000, v191
	s_delay_alu instid0(VALU_DEP_2) | instskip(NEXT) | instid1(VALU_DEP_2)
	v_cndmask_b32_e32 v206, v189, v197, vcc_lo
	v_cndmask_b32_e64 v208, v191, v205, s2
	v_cndmask_b32_e32 v205, v188, v188, vcc_lo
	v_cndmask_b32_e64 v207, v190, v190, s2
	s_mov_b32 s2, exec_lo
	s_delay_alu instid0(VALU_DEP_1)
	v_cmpx_ngt_f64_e32 v[205:206], v[207:208]
	s_xor_b32 s2, exec_lo, s2
	s_cbranch_execz .LBB92_868
; %bb.867:
	v_div_scale_f64 v[205:206], null, v[190:191], v[190:191], v[188:189]
	v_div_scale_f64 v[211:212], vcc_lo, v[188:189], v[190:191], v[188:189]
	s_delay_alu instid0(VALU_DEP_2) | instskip(SKIP_2) | instid1(VALU_DEP_1)
	v_rcp_f64_e32 v[207:208], v[205:206]
	s_waitcnt_depctr 0xfff
	v_fma_f64 v[209:210], -v[205:206], v[207:208], 1.0
	v_fma_f64 v[207:208], v[207:208], v[209:210], v[207:208]
	s_delay_alu instid0(VALU_DEP_1) | instskip(NEXT) | instid1(VALU_DEP_1)
	v_fma_f64 v[209:210], -v[205:206], v[207:208], 1.0
	v_fma_f64 v[207:208], v[207:208], v[209:210], v[207:208]
	s_delay_alu instid0(VALU_DEP_1) | instskip(NEXT) | instid1(VALU_DEP_1)
	v_mul_f64 v[209:210], v[211:212], v[207:208]
	v_fma_f64 v[205:206], -v[205:206], v[209:210], v[211:212]
	s_delay_alu instid0(VALU_DEP_1) | instskip(NEXT) | instid1(VALU_DEP_1)
	v_div_fmas_f64 v[205:206], v[205:206], v[207:208], v[209:210]
	v_div_fixup_f64 v[205:206], v[205:206], v[190:191], v[188:189]
	s_delay_alu instid0(VALU_DEP_1) | instskip(NEXT) | instid1(VALU_DEP_1)
	v_fma_f64 v[188:189], v[188:189], v[205:206], v[190:191]
	v_div_scale_f64 v[190:191], null, v[188:189], v[188:189], 1.0
	s_delay_alu instid0(VALU_DEP_1) | instskip(SKIP_2) | instid1(VALU_DEP_1)
	v_rcp_f64_e32 v[207:208], v[190:191]
	s_waitcnt_depctr 0xfff
	v_fma_f64 v[209:210], -v[190:191], v[207:208], 1.0
	v_fma_f64 v[207:208], v[207:208], v[209:210], v[207:208]
	s_delay_alu instid0(VALU_DEP_1) | instskip(NEXT) | instid1(VALU_DEP_1)
	v_fma_f64 v[209:210], -v[190:191], v[207:208], 1.0
	v_fma_f64 v[207:208], v[207:208], v[209:210], v[207:208]
	v_div_scale_f64 v[209:210], vcc_lo, 1.0, v[188:189], 1.0
	s_delay_alu instid0(VALU_DEP_1) | instskip(NEXT) | instid1(VALU_DEP_1)
	v_mul_f64 v[211:212], v[209:210], v[207:208]
	v_fma_f64 v[190:191], -v[190:191], v[211:212], v[209:210]
	s_delay_alu instid0(VALU_DEP_1) | instskip(NEXT) | instid1(VALU_DEP_1)
	v_div_fmas_f64 v[190:191], v[190:191], v[207:208], v[211:212]
	v_div_fixup_f64 v[190:191], v[190:191], v[188:189], 1.0
	s_delay_alu instid0(VALU_DEP_1)
	v_mul_f64 v[188:189], v[205:206], v[190:191]
	v_xor_b32_e32 v191, 0x80000000, v191
.LBB92_868:
	s_and_not1_saveexec_b32 s2, s2
	s_cbranch_execz .LBB92_870
; %bb.869:
	s_delay_alu instid0(VALU_DEP_1) | instskip(SKIP_1) | instid1(VALU_DEP_2)
	v_div_scale_f64 v[205:206], null, v[188:189], v[188:189], v[190:191]
	v_div_scale_f64 v[211:212], vcc_lo, v[190:191], v[188:189], v[190:191]
	v_rcp_f64_e32 v[207:208], v[205:206]
	s_waitcnt_depctr 0xfff
	v_fma_f64 v[209:210], -v[205:206], v[207:208], 1.0
	s_delay_alu instid0(VALU_DEP_1) | instskip(NEXT) | instid1(VALU_DEP_1)
	v_fma_f64 v[207:208], v[207:208], v[209:210], v[207:208]
	v_fma_f64 v[209:210], -v[205:206], v[207:208], 1.0
	s_delay_alu instid0(VALU_DEP_1) | instskip(NEXT) | instid1(VALU_DEP_1)
	v_fma_f64 v[207:208], v[207:208], v[209:210], v[207:208]
	v_mul_f64 v[209:210], v[211:212], v[207:208]
	s_delay_alu instid0(VALU_DEP_1) | instskip(NEXT) | instid1(VALU_DEP_1)
	v_fma_f64 v[205:206], -v[205:206], v[209:210], v[211:212]
	v_div_fmas_f64 v[205:206], v[205:206], v[207:208], v[209:210]
	s_delay_alu instid0(VALU_DEP_1) | instskip(NEXT) | instid1(VALU_DEP_1)
	v_div_fixup_f64 v[205:206], v[205:206], v[188:189], v[190:191]
	v_fma_f64 v[188:189], v[190:191], v[205:206], v[188:189]
	s_delay_alu instid0(VALU_DEP_1) | instskip(NEXT) | instid1(VALU_DEP_1)
	v_div_scale_f64 v[190:191], null, v[188:189], v[188:189], 1.0
	v_rcp_f64_e32 v[207:208], v[190:191]
	s_waitcnt_depctr 0xfff
	v_fma_f64 v[209:210], -v[190:191], v[207:208], 1.0
	s_delay_alu instid0(VALU_DEP_1) | instskip(NEXT) | instid1(VALU_DEP_1)
	v_fma_f64 v[207:208], v[207:208], v[209:210], v[207:208]
	v_fma_f64 v[209:210], -v[190:191], v[207:208], 1.0
	s_delay_alu instid0(VALU_DEP_1) | instskip(SKIP_1) | instid1(VALU_DEP_1)
	v_fma_f64 v[207:208], v[207:208], v[209:210], v[207:208]
	v_div_scale_f64 v[209:210], vcc_lo, 1.0, v[188:189], 1.0
	v_mul_f64 v[211:212], v[209:210], v[207:208]
	s_delay_alu instid0(VALU_DEP_1) | instskip(NEXT) | instid1(VALU_DEP_1)
	v_fma_f64 v[190:191], -v[190:191], v[211:212], v[209:210]
	v_div_fmas_f64 v[190:191], v[190:191], v[207:208], v[211:212]
	s_delay_alu instid0(VALU_DEP_1) | instskip(NEXT) | instid1(VALU_DEP_1)
	v_div_fixup_f64 v[188:189], v[190:191], v[188:189], 1.0
	v_mul_f64 v[190:191], v[205:206], -v[188:189]
.LBB92_870:
	s_or_b32 exec_lo, exec_lo, s2
.LBB92_871:
	s_delay_alu instid0(SALU_CYCLE_1) | instskip(NEXT) | instid1(SALU_CYCLE_1)
	s_or_b32 exec_lo, exec_lo, s3
	s_mov_b32 s2, exec_lo
	v_cmpx_ne_u32_e64 v204, v196
	s_xor_b32 s2, exec_lo, s2
	s_cbranch_execz .LBB92_877
; %bb.872:
	s_mov_b32 s3, exec_lo
	v_cmpx_eq_u32_e32 41, v204
	s_cbranch_execz .LBB92_876
; %bb.873:
	v_cmp_ne_u32_e32 vcc_lo, 41, v196
	s_xor_b32 s6, s4, -1
	s_delay_alu instid0(SALU_CYCLE_1) | instskip(NEXT) | instid1(SALU_CYCLE_1)
	s_and_b32 s7, s6, vcc_lo
	s_and_saveexec_b32 s6, s7
	s_cbranch_execz .LBB92_875
; %bb.874:
	v_ashrrev_i32_e32 v197, 31, v196
	s_delay_alu instid0(VALU_DEP_1) | instskip(NEXT) | instid1(VALU_DEP_1)
	v_lshlrev_b64 v[204:205], 2, v[196:197]
	v_add_co_u32 v204, vcc_lo, v194, v204
	s_delay_alu instid0(VALU_DEP_2)
	v_add_co_ci_u32_e32 v205, vcc_lo, v195, v205, vcc_lo
	s_clause 0x1
	flat_load_b32 v197, v[204:205]
	flat_load_b32 v202, v[194:195] offset:164
	s_waitcnt vmcnt(1) lgkmcnt(1)
	flat_store_b32 v[194:195], v197 offset:164
	s_waitcnt vmcnt(0) lgkmcnt(1)
	flat_store_b32 v[204:205], v202
.LBB92_875:
	s_or_b32 exec_lo, exec_lo, s6
	v_mov_b32_e32 v204, v196
	v_mov_b32_e32 v202, v196
.LBB92_876:
	s_or_b32 exec_lo, exec_lo, s3
.LBB92_877:
	s_and_not1_saveexec_b32 s2, s2
	s_cbranch_execz .LBB92_879
; %bb.878:
	v_mov_b32_e32 v204, 41
	ds_store_2addr_b64 v198, v[16:17], v[18:19] offset0:84 offset1:85
	ds_store_2addr_b64 v198, v[12:13], v[14:15] offset0:86 offset1:87
	;; [unrolled: 1-line block ×5, first 2 shown]
.LBB92_879:
	s_or_b32 exec_lo, exec_lo, s2
	s_delay_alu instid0(SALU_CYCLE_1)
	s_mov_b32 s2, exec_lo
	s_waitcnt lgkmcnt(0)
	s_waitcnt_vscnt null, 0x0
	s_barrier
	buffer_gl0_inv
	v_cmpx_lt_i32_e32 41, v204
	s_cbranch_execz .LBB92_881
; %bb.880:
	v_mul_f64 v[196:197], v[188:189], v[22:23]
	v_mul_f64 v[22:23], v[190:191], v[22:23]
	ds_load_2addr_b64 v[205:208], v198 offset0:84 offset1:85
	ds_load_2addr_b64 v[209:212], v198 offset0:86 offset1:87
	;; [unrolled: 1-line block ×5, first 2 shown]
	v_fma_f64 v[190:191], v[190:191], v[20:21], v[196:197]
	v_fma_f64 v[20:21], v[188:189], v[20:21], -v[22:23]
	s_waitcnt lgkmcnt(4)
	s_delay_alu instid0(VALU_DEP_2)
	v_mul_f64 v[22:23], v[207:208], v[190:191]
	v_mul_f64 v[188:189], v[205:206], v[190:191]
	s_waitcnt lgkmcnt(3)
	v_mul_f64 v[196:197], v[211:212], v[190:191]
	v_mul_f64 v[225:226], v[209:210], v[190:191]
	s_waitcnt lgkmcnt(2)
	;; [unrolled: 3-line block ×4, first 2 shown]
	v_mul_f64 v[235:236], v[223:224], v[190:191]
	v_mul_f64 v[237:238], v[221:222], v[190:191]
	v_fma_f64 v[22:23], v[205:206], v[20:21], -v[22:23]
	v_fma_f64 v[188:189], v[207:208], v[20:21], v[188:189]
	v_fma_f64 v[196:197], v[209:210], v[20:21], -v[196:197]
	v_fma_f64 v[205:206], v[211:212], v[20:21], v[225:226]
	;; [unrolled: 2-line block ×5, first 2 shown]
	v_add_f64 v[16:17], v[16:17], -v[22:23]
	v_add_f64 v[18:19], v[18:19], -v[188:189]
	;; [unrolled: 1-line block ×10, first 2 shown]
	v_dual_mov_b32 v22, v190 :: v_dual_mov_b32 v23, v191
.LBB92_881:
	s_or_b32 exec_lo, exec_lo, s2
	v_lshl_add_u32 v188, v204, 4, v198
	s_barrier
	buffer_gl0_inv
	v_mov_b32_e32 v196, 42
	ds_store_2addr_b64 v188, v[16:17], v[18:19] offset1:1
	s_waitcnt lgkmcnt(0)
	s_barrier
	buffer_gl0_inv
	ds_load_2addr_b64 v[188:191], v198 offset0:84 offset1:85
	s_cmp_lt_i32 s5, 44
	s_cbranch_scc1 .LBB92_884
; %bb.882:
	v_add3_u32 v197, v203, 0, 0x2b0
	v_mov_b32_e32 v196, 42
	s_mov_b32 s6, 43
	s_set_inst_prefetch_distance 0x1
	.p2align	6
.LBB92_883:                             ; =>This Inner Loop Header: Depth=1
	ds_load_2addr_b64 v[205:208], v197 offset1:1
	s_waitcnt lgkmcnt(1)
	v_cmp_gt_f64_e32 vcc_lo, 0, v[188:189]
	v_xor_b32_e32 v209, 0x80000000, v189
	v_cmp_gt_f64_e64 s2, 0, v[190:191]
	v_xor_b32_e32 v211, 0x80000000, v191
	v_add_nc_u32_e32 v197, 16, v197
	s_waitcnt lgkmcnt(0)
	v_cmp_gt_f64_e64 s3, 0, v[205:206]
	v_mov_b32_e32 v213, v205
	v_dual_mov_b32 v215, v207 :: v_dual_cndmask_b32 v210, v189, v209
	v_xor_b32_e32 v209, 0x80000000, v206
	v_cndmask_b32_e64 v212, v191, v211, s2
	v_xor_b32_e32 v211, 0x80000000, v208
	s_delay_alu instid0(VALU_DEP_3) | instskip(SKIP_2) | instid1(VALU_DEP_2)
	v_cndmask_b32_e64 v214, v206, v209, s3
	v_cmp_gt_f64_e64 s3, 0, v[207:208]
	v_cndmask_b32_e32 v209, v188, v188, vcc_lo
	v_cndmask_b32_e64 v216, v208, v211, s3
	v_cndmask_b32_e64 v211, v190, v190, s2
	s_delay_alu instid0(VALU_DEP_2) | instskip(NEXT) | instid1(VALU_DEP_2)
	v_add_f64 v[213:214], v[213:214], v[215:216]
	v_add_f64 v[209:210], v[209:210], v[211:212]
	s_delay_alu instid0(VALU_DEP_1) | instskip(SKIP_4) | instid1(SALU_CYCLE_1)
	v_cmp_lt_f64_e32 vcc_lo, v[209:210], v[213:214]
	v_dual_cndmask_b32 v190, v190, v207 :: v_dual_cndmask_b32 v189, v189, v206
	v_dual_cndmask_b32 v188, v188, v205 :: v_dual_cndmask_b32 v191, v191, v208
	v_cndmask_b32_e64 v196, v196, s6, vcc_lo
	s_add_i32 s6, s6, 1
	s_cmp_lg_u32 s5, s6
	s_cbranch_scc1 .LBB92_883
.LBB92_884:
	s_set_inst_prefetch_distance 0x2
	s_waitcnt lgkmcnt(0)
	v_cmp_eq_f64_e32 vcc_lo, 0, v[188:189]
	v_cmp_eq_f64_e64 s2, 0, v[190:191]
	s_delay_alu instid0(VALU_DEP_1) | instskip(NEXT) | instid1(SALU_CYCLE_1)
	s_and_b32 s2, vcc_lo, s2
	s_and_saveexec_b32 s3, s2
	s_delay_alu instid0(SALU_CYCLE_1)
	s_xor_b32 s2, exec_lo, s3
; %bb.885:
	v_cmp_ne_u32_e32 vcc_lo, 0, v201
	v_cndmask_b32_e32 v201, 43, v201, vcc_lo
; %bb.886:
	s_and_not1_saveexec_b32 s3, s2
	s_cbranch_execz .LBB92_892
; %bb.887:
	v_cmp_gt_f64_e32 vcc_lo, 0, v[188:189]
	v_cmp_gt_f64_e64 s2, 0, v[190:191]
	v_xor_b32_e32 v197, 0x80000000, v189
	v_xor_b32_e32 v205, 0x80000000, v191
	s_delay_alu instid0(VALU_DEP_2) | instskip(NEXT) | instid1(VALU_DEP_2)
	v_cndmask_b32_e32 v206, v189, v197, vcc_lo
	v_cndmask_b32_e64 v208, v191, v205, s2
	v_cndmask_b32_e32 v205, v188, v188, vcc_lo
	v_cndmask_b32_e64 v207, v190, v190, s2
	s_mov_b32 s2, exec_lo
	s_delay_alu instid0(VALU_DEP_1)
	v_cmpx_ngt_f64_e32 v[205:206], v[207:208]
	s_xor_b32 s2, exec_lo, s2
	s_cbranch_execz .LBB92_889
; %bb.888:
	v_div_scale_f64 v[205:206], null, v[190:191], v[190:191], v[188:189]
	v_div_scale_f64 v[211:212], vcc_lo, v[188:189], v[190:191], v[188:189]
	s_delay_alu instid0(VALU_DEP_2) | instskip(SKIP_2) | instid1(VALU_DEP_1)
	v_rcp_f64_e32 v[207:208], v[205:206]
	s_waitcnt_depctr 0xfff
	v_fma_f64 v[209:210], -v[205:206], v[207:208], 1.0
	v_fma_f64 v[207:208], v[207:208], v[209:210], v[207:208]
	s_delay_alu instid0(VALU_DEP_1) | instskip(NEXT) | instid1(VALU_DEP_1)
	v_fma_f64 v[209:210], -v[205:206], v[207:208], 1.0
	v_fma_f64 v[207:208], v[207:208], v[209:210], v[207:208]
	s_delay_alu instid0(VALU_DEP_1) | instskip(NEXT) | instid1(VALU_DEP_1)
	v_mul_f64 v[209:210], v[211:212], v[207:208]
	v_fma_f64 v[205:206], -v[205:206], v[209:210], v[211:212]
	s_delay_alu instid0(VALU_DEP_1) | instskip(NEXT) | instid1(VALU_DEP_1)
	v_div_fmas_f64 v[205:206], v[205:206], v[207:208], v[209:210]
	v_div_fixup_f64 v[205:206], v[205:206], v[190:191], v[188:189]
	s_delay_alu instid0(VALU_DEP_1) | instskip(NEXT) | instid1(VALU_DEP_1)
	v_fma_f64 v[188:189], v[188:189], v[205:206], v[190:191]
	v_div_scale_f64 v[190:191], null, v[188:189], v[188:189], 1.0
	s_delay_alu instid0(VALU_DEP_1) | instskip(SKIP_2) | instid1(VALU_DEP_1)
	v_rcp_f64_e32 v[207:208], v[190:191]
	s_waitcnt_depctr 0xfff
	v_fma_f64 v[209:210], -v[190:191], v[207:208], 1.0
	v_fma_f64 v[207:208], v[207:208], v[209:210], v[207:208]
	s_delay_alu instid0(VALU_DEP_1) | instskip(NEXT) | instid1(VALU_DEP_1)
	v_fma_f64 v[209:210], -v[190:191], v[207:208], 1.0
	v_fma_f64 v[207:208], v[207:208], v[209:210], v[207:208]
	v_div_scale_f64 v[209:210], vcc_lo, 1.0, v[188:189], 1.0
	s_delay_alu instid0(VALU_DEP_1) | instskip(NEXT) | instid1(VALU_DEP_1)
	v_mul_f64 v[211:212], v[209:210], v[207:208]
	v_fma_f64 v[190:191], -v[190:191], v[211:212], v[209:210]
	s_delay_alu instid0(VALU_DEP_1) | instskip(NEXT) | instid1(VALU_DEP_1)
	v_div_fmas_f64 v[190:191], v[190:191], v[207:208], v[211:212]
	v_div_fixup_f64 v[190:191], v[190:191], v[188:189], 1.0
	s_delay_alu instid0(VALU_DEP_1)
	v_mul_f64 v[188:189], v[205:206], v[190:191]
	v_xor_b32_e32 v191, 0x80000000, v191
.LBB92_889:
	s_and_not1_saveexec_b32 s2, s2
	s_cbranch_execz .LBB92_891
; %bb.890:
	s_delay_alu instid0(VALU_DEP_1) | instskip(SKIP_1) | instid1(VALU_DEP_2)
	v_div_scale_f64 v[205:206], null, v[188:189], v[188:189], v[190:191]
	v_div_scale_f64 v[211:212], vcc_lo, v[190:191], v[188:189], v[190:191]
	v_rcp_f64_e32 v[207:208], v[205:206]
	s_waitcnt_depctr 0xfff
	v_fma_f64 v[209:210], -v[205:206], v[207:208], 1.0
	s_delay_alu instid0(VALU_DEP_1) | instskip(NEXT) | instid1(VALU_DEP_1)
	v_fma_f64 v[207:208], v[207:208], v[209:210], v[207:208]
	v_fma_f64 v[209:210], -v[205:206], v[207:208], 1.0
	s_delay_alu instid0(VALU_DEP_1) | instskip(NEXT) | instid1(VALU_DEP_1)
	v_fma_f64 v[207:208], v[207:208], v[209:210], v[207:208]
	v_mul_f64 v[209:210], v[211:212], v[207:208]
	s_delay_alu instid0(VALU_DEP_1) | instskip(NEXT) | instid1(VALU_DEP_1)
	v_fma_f64 v[205:206], -v[205:206], v[209:210], v[211:212]
	v_div_fmas_f64 v[205:206], v[205:206], v[207:208], v[209:210]
	s_delay_alu instid0(VALU_DEP_1) | instskip(NEXT) | instid1(VALU_DEP_1)
	v_div_fixup_f64 v[205:206], v[205:206], v[188:189], v[190:191]
	v_fma_f64 v[188:189], v[190:191], v[205:206], v[188:189]
	s_delay_alu instid0(VALU_DEP_1) | instskip(NEXT) | instid1(VALU_DEP_1)
	v_div_scale_f64 v[190:191], null, v[188:189], v[188:189], 1.0
	v_rcp_f64_e32 v[207:208], v[190:191]
	s_waitcnt_depctr 0xfff
	v_fma_f64 v[209:210], -v[190:191], v[207:208], 1.0
	s_delay_alu instid0(VALU_DEP_1) | instskip(NEXT) | instid1(VALU_DEP_1)
	v_fma_f64 v[207:208], v[207:208], v[209:210], v[207:208]
	v_fma_f64 v[209:210], -v[190:191], v[207:208], 1.0
	s_delay_alu instid0(VALU_DEP_1) | instskip(SKIP_1) | instid1(VALU_DEP_1)
	v_fma_f64 v[207:208], v[207:208], v[209:210], v[207:208]
	v_div_scale_f64 v[209:210], vcc_lo, 1.0, v[188:189], 1.0
	v_mul_f64 v[211:212], v[209:210], v[207:208]
	s_delay_alu instid0(VALU_DEP_1) | instskip(NEXT) | instid1(VALU_DEP_1)
	v_fma_f64 v[190:191], -v[190:191], v[211:212], v[209:210]
	v_div_fmas_f64 v[190:191], v[190:191], v[207:208], v[211:212]
	s_delay_alu instid0(VALU_DEP_1) | instskip(NEXT) | instid1(VALU_DEP_1)
	v_div_fixup_f64 v[188:189], v[190:191], v[188:189], 1.0
	v_mul_f64 v[190:191], v[205:206], -v[188:189]
.LBB92_891:
	s_or_b32 exec_lo, exec_lo, s2
.LBB92_892:
	s_delay_alu instid0(SALU_CYCLE_1) | instskip(NEXT) | instid1(SALU_CYCLE_1)
	s_or_b32 exec_lo, exec_lo, s3
	s_mov_b32 s2, exec_lo
	v_cmpx_ne_u32_e64 v204, v196
	s_xor_b32 s2, exec_lo, s2
	s_cbranch_execz .LBB92_898
; %bb.893:
	s_mov_b32 s3, exec_lo
	v_cmpx_eq_u32_e32 42, v204
	s_cbranch_execz .LBB92_897
; %bb.894:
	v_cmp_ne_u32_e32 vcc_lo, 42, v196
	s_xor_b32 s6, s4, -1
	s_delay_alu instid0(SALU_CYCLE_1) | instskip(NEXT) | instid1(SALU_CYCLE_1)
	s_and_b32 s7, s6, vcc_lo
	s_and_saveexec_b32 s6, s7
	s_cbranch_execz .LBB92_896
; %bb.895:
	v_ashrrev_i32_e32 v197, 31, v196
	s_delay_alu instid0(VALU_DEP_1) | instskip(NEXT) | instid1(VALU_DEP_1)
	v_lshlrev_b64 v[204:205], 2, v[196:197]
	v_add_co_u32 v204, vcc_lo, v194, v204
	s_delay_alu instid0(VALU_DEP_2)
	v_add_co_ci_u32_e32 v205, vcc_lo, v195, v205, vcc_lo
	s_clause 0x1
	flat_load_b32 v197, v[204:205]
	flat_load_b32 v202, v[194:195] offset:168
	s_waitcnt vmcnt(1) lgkmcnt(1)
	flat_store_b32 v[194:195], v197 offset:168
	s_waitcnt vmcnt(0) lgkmcnt(1)
	flat_store_b32 v[204:205], v202
.LBB92_896:
	s_or_b32 exec_lo, exec_lo, s6
	v_mov_b32_e32 v204, v196
	v_mov_b32_e32 v202, v196
.LBB92_897:
	s_or_b32 exec_lo, exec_lo, s3
.LBB92_898:
	s_and_not1_saveexec_b32 s2, s2
	s_cbranch_execz .LBB92_900
; %bb.899:
	v_mov_b32_e32 v204, 42
	ds_store_2addr_b64 v198, v[12:13], v[14:15] offset0:86 offset1:87
	ds_store_2addr_b64 v198, v[8:9], v[10:11] offset0:88 offset1:89
	;; [unrolled: 1-line block ×4, first 2 shown]
.LBB92_900:
	s_or_b32 exec_lo, exec_lo, s2
	s_delay_alu instid0(SALU_CYCLE_1)
	s_mov_b32 s2, exec_lo
	s_waitcnt lgkmcnt(0)
	s_waitcnt_vscnt null, 0x0
	s_barrier
	buffer_gl0_inv
	v_cmpx_lt_i32_e32 42, v204
	s_cbranch_execz .LBB92_902
; %bb.901:
	v_mul_f64 v[196:197], v[188:189], v[18:19]
	v_mul_f64 v[18:19], v[190:191], v[18:19]
	ds_load_2addr_b64 v[205:208], v198 offset0:86 offset1:87
	ds_load_2addr_b64 v[209:212], v198 offset0:88 offset1:89
	;; [unrolled: 1-line block ×4, first 2 shown]
	v_fma_f64 v[190:191], v[190:191], v[16:17], v[196:197]
	v_fma_f64 v[16:17], v[188:189], v[16:17], -v[18:19]
	s_waitcnt lgkmcnt(3)
	s_delay_alu instid0(VALU_DEP_2)
	v_mul_f64 v[18:19], v[207:208], v[190:191]
	v_mul_f64 v[188:189], v[205:206], v[190:191]
	s_waitcnt lgkmcnt(2)
	v_mul_f64 v[196:197], v[211:212], v[190:191]
	v_mul_f64 v[221:222], v[209:210], v[190:191]
	s_waitcnt lgkmcnt(1)
	;; [unrolled: 3-line block ×3, first 2 shown]
	v_mul_f64 v[227:228], v[219:220], v[190:191]
	v_mul_f64 v[229:230], v[217:218], v[190:191]
	v_fma_f64 v[18:19], v[205:206], v[16:17], -v[18:19]
	v_fma_f64 v[188:189], v[207:208], v[16:17], v[188:189]
	v_fma_f64 v[196:197], v[209:210], v[16:17], -v[196:197]
	v_fma_f64 v[205:206], v[211:212], v[16:17], v[221:222]
	v_fma_f64 v[207:208], v[213:214], v[16:17], -v[223:224]
	v_fma_f64 v[209:210], v[215:216], v[16:17], v[225:226]
	v_fma_f64 v[211:212], v[217:218], v[16:17], -v[227:228]
	v_fma_f64 v[213:214], v[219:220], v[16:17], v[229:230]
	v_add_f64 v[12:13], v[12:13], -v[18:19]
	v_add_f64 v[14:15], v[14:15], -v[188:189]
	;; [unrolled: 1-line block ×8, first 2 shown]
	v_dual_mov_b32 v18, v190 :: v_dual_mov_b32 v19, v191
.LBB92_902:
	s_or_b32 exec_lo, exec_lo, s2
	v_lshl_add_u32 v188, v204, 4, v198
	s_barrier
	buffer_gl0_inv
	v_mov_b32_e32 v196, 43
	ds_store_2addr_b64 v188, v[12:13], v[14:15] offset1:1
	s_waitcnt lgkmcnt(0)
	s_barrier
	buffer_gl0_inv
	ds_load_2addr_b64 v[188:191], v198 offset0:86 offset1:87
	s_cmp_lt_i32 s5, 45
	s_cbranch_scc1 .LBB92_905
; %bb.903:
	v_add3_u32 v197, v203, 0, 0x2c0
	v_mov_b32_e32 v196, 43
	s_mov_b32 s6, 44
	s_set_inst_prefetch_distance 0x1
	.p2align	6
.LBB92_904:                             ; =>This Inner Loop Header: Depth=1
	ds_load_2addr_b64 v[205:208], v197 offset1:1
	s_waitcnt lgkmcnt(1)
	v_cmp_gt_f64_e32 vcc_lo, 0, v[188:189]
	v_xor_b32_e32 v209, 0x80000000, v189
	v_cmp_gt_f64_e64 s2, 0, v[190:191]
	v_xor_b32_e32 v211, 0x80000000, v191
	v_add_nc_u32_e32 v197, 16, v197
	s_waitcnt lgkmcnt(0)
	v_cmp_gt_f64_e64 s3, 0, v[205:206]
	v_mov_b32_e32 v213, v205
	v_dual_mov_b32 v215, v207 :: v_dual_cndmask_b32 v210, v189, v209
	v_xor_b32_e32 v209, 0x80000000, v206
	v_cndmask_b32_e64 v212, v191, v211, s2
	v_xor_b32_e32 v211, 0x80000000, v208
	s_delay_alu instid0(VALU_DEP_3) | instskip(SKIP_2) | instid1(VALU_DEP_2)
	v_cndmask_b32_e64 v214, v206, v209, s3
	v_cmp_gt_f64_e64 s3, 0, v[207:208]
	v_cndmask_b32_e32 v209, v188, v188, vcc_lo
	v_cndmask_b32_e64 v216, v208, v211, s3
	v_cndmask_b32_e64 v211, v190, v190, s2
	s_delay_alu instid0(VALU_DEP_2) | instskip(NEXT) | instid1(VALU_DEP_2)
	v_add_f64 v[213:214], v[213:214], v[215:216]
	v_add_f64 v[209:210], v[209:210], v[211:212]
	s_delay_alu instid0(VALU_DEP_1) | instskip(SKIP_4) | instid1(SALU_CYCLE_1)
	v_cmp_lt_f64_e32 vcc_lo, v[209:210], v[213:214]
	v_dual_cndmask_b32 v190, v190, v207 :: v_dual_cndmask_b32 v189, v189, v206
	v_dual_cndmask_b32 v188, v188, v205 :: v_dual_cndmask_b32 v191, v191, v208
	v_cndmask_b32_e64 v196, v196, s6, vcc_lo
	s_add_i32 s6, s6, 1
	s_cmp_lg_u32 s5, s6
	s_cbranch_scc1 .LBB92_904
.LBB92_905:
	s_set_inst_prefetch_distance 0x2
	s_waitcnt lgkmcnt(0)
	v_cmp_eq_f64_e32 vcc_lo, 0, v[188:189]
	v_cmp_eq_f64_e64 s2, 0, v[190:191]
	s_delay_alu instid0(VALU_DEP_1) | instskip(NEXT) | instid1(SALU_CYCLE_1)
	s_and_b32 s2, vcc_lo, s2
	s_and_saveexec_b32 s3, s2
	s_delay_alu instid0(SALU_CYCLE_1)
	s_xor_b32 s2, exec_lo, s3
; %bb.906:
	v_cmp_ne_u32_e32 vcc_lo, 0, v201
	v_cndmask_b32_e32 v201, 44, v201, vcc_lo
; %bb.907:
	s_and_not1_saveexec_b32 s3, s2
	s_cbranch_execz .LBB92_913
; %bb.908:
	v_cmp_gt_f64_e32 vcc_lo, 0, v[188:189]
	v_cmp_gt_f64_e64 s2, 0, v[190:191]
	v_xor_b32_e32 v197, 0x80000000, v189
	v_xor_b32_e32 v205, 0x80000000, v191
	s_delay_alu instid0(VALU_DEP_2) | instskip(NEXT) | instid1(VALU_DEP_2)
	v_cndmask_b32_e32 v206, v189, v197, vcc_lo
	v_cndmask_b32_e64 v208, v191, v205, s2
	v_cndmask_b32_e32 v205, v188, v188, vcc_lo
	v_cndmask_b32_e64 v207, v190, v190, s2
	s_mov_b32 s2, exec_lo
	s_delay_alu instid0(VALU_DEP_1)
	v_cmpx_ngt_f64_e32 v[205:206], v[207:208]
	s_xor_b32 s2, exec_lo, s2
	s_cbranch_execz .LBB92_910
; %bb.909:
	v_div_scale_f64 v[205:206], null, v[190:191], v[190:191], v[188:189]
	v_div_scale_f64 v[211:212], vcc_lo, v[188:189], v[190:191], v[188:189]
	s_delay_alu instid0(VALU_DEP_2) | instskip(SKIP_2) | instid1(VALU_DEP_1)
	v_rcp_f64_e32 v[207:208], v[205:206]
	s_waitcnt_depctr 0xfff
	v_fma_f64 v[209:210], -v[205:206], v[207:208], 1.0
	v_fma_f64 v[207:208], v[207:208], v[209:210], v[207:208]
	s_delay_alu instid0(VALU_DEP_1) | instskip(NEXT) | instid1(VALU_DEP_1)
	v_fma_f64 v[209:210], -v[205:206], v[207:208], 1.0
	v_fma_f64 v[207:208], v[207:208], v[209:210], v[207:208]
	s_delay_alu instid0(VALU_DEP_1) | instskip(NEXT) | instid1(VALU_DEP_1)
	v_mul_f64 v[209:210], v[211:212], v[207:208]
	v_fma_f64 v[205:206], -v[205:206], v[209:210], v[211:212]
	s_delay_alu instid0(VALU_DEP_1) | instskip(NEXT) | instid1(VALU_DEP_1)
	v_div_fmas_f64 v[205:206], v[205:206], v[207:208], v[209:210]
	v_div_fixup_f64 v[205:206], v[205:206], v[190:191], v[188:189]
	s_delay_alu instid0(VALU_DEP_1) | instskip(NEXT) | instid1(VALU_DEP_1)
	v_fma_f64 v[188:189], v[188:189], v[205:206], v[190:191]
	v_div_scale_f64 v[190:191], null, v[188:189], v[188:189], 1.0
	s_delay_alu instid0(VALU_DEP_1) | instskip(SKIP_2) | instid1(VALU_DEP_1)
	v_rcp_f64_e32 v[207:208], v[190:191]
	s_waitcnt_depctr 0xfff
	v_fma_f64 v[209:210], -v[190:191], v[207:208], 1.0
	v_fma_f64 v[207:208], v[207:208], v[209:210], v[207:208]
	s_delay_alu instid0(VALU_DEP_1) | instskip(NEXT) | instid1(VALU_DEP_1)
	v_fma_f64 v[209:210], -v[190:191], v[207:208], 1.0
	v_fma_f64 v[207:208], v[207:208], v[209:210], v[207:208]
	v_div_scale_f64 v[209:210], vcc_lo, 1.0, v[188:189], 1.0
	s_delay_alu instid0(VALU_DEP_1) | instskip(NEXT) | instid1(VALU_DEP_1)
	v_mul_f64 v[211:212], v[209:210], v[207:208]
	v_fma_f64 v[190:191], -v[190:191], v[211:212], v[209:210]
	s_delay_alu instid0(VALU_DEP_1) | instskip(NEXT) | instid1(VALU_DEP_1)
	v_div_fmas_f64 v[190:191], v[190:191], v[207:208], v[211:212]
	v_div_fixup_f64 v[190:191], v[190:191], v[188:189], 1.0
	s_delay_alu instid0(VALU_DEP_1)
	v_mul_f64 v[188:189], v[205:206], v[190:191]
	v_xor_b32_e32 v191, 0x80000000, v191
.LBB92_910:
	s_and_not1_saveexec_b32 s2, s2
	s_cbranch_execz .LBB92_912
; %bb.911:
	s_delay_alu instid0(VALU_DEP_1) | instskip(SKIP_1) | instid1(VALU_DEP_2)
	v_div_scale_f64 v[205:206], null, v[188:189], v[188:189], v[190:191]
	v_div_scale_f64 v[211:212], vcc_lo, v[190:191], v[188:189], v[190:191]
	v_rcp_f64_e32 v[207:208], v[205:206]
	s_waitcnt_depctr 0xfff
	v_fma_f64 v[209:210], -v[205:206], v[207:208], 1.0
	s_delay_alu instid0(VALU_DEP_1) | instskip(NEXT) | instid1(VALU_DEP_1)
	v_fma_f64 v[207:208], v[207:208], v[209:210], v[207:208]
	v_fma_f64 v[209:210], -v[205:206], v[207:208], 1.0
	s_delay_alu instid0(VALU_DEP_1) | instskip(NEXT) | instid1(VALU_DEP_1)
	v_fma_f64 v[207:208], v[207:208], v[209:210], v[207:208]
	v_mul_f64 v[209:210], v[211:212], v[207:208]
	s_delay_alu instid0(VALU_DEP_1) | instskip(NEXT) | instid1(VALU_DEP_1)
	v_fma_f64 v[205:206], -v[205:206], v[209:210], v[211:212]
	v_div_fmas_f64 v[205:206], v[205:206], v[207:208], v[209:210]
	s_delay_alu instid0(VALU_DEP_1) | instskip(NEXT) | instid1(VALU_DEP_1)
	v_div_fixup_f64 v[205:206], v[205:206], v[188:189], v[190:191]
	v_fma_f64 v[188:189], v[190:191], v[205:206], v[188:189]
	s_delay_alu instid0(VALU_DEP_1) | instskip(NEXT) | instid1(VALU_DEP_1)
	v_div_scale_f64 v[190:191], null, v[188:189], v[188:189], 1.0
	v_rcp_f64_e32 v[207:208], v[190:191]
	s_waitcnt_depctr 0xfff
	v_fma_f64 v[209:210], -v[190:191], v[207:208], 1.0
	s_delay_alu instid0(VALU_DEP_1) | instskip(NEXT) | instid1(VALU_DEP_1)
	v_fma_f64 v[207:208], v[207:208], v[209:210], v[207:208]
	v_fma_f64 v[209:210], -v[190:191], v[207:208], 1.0
	s_delay_alu instid0(VALU_DEP_1) | instskip(SKIP_1) | instid1(VALU_DEP_1)
	v_fma_f64 v[207:208], v[207:208], v[209:210], v[207:208]
	v_div_scale_f64 v[209:210], vcc_lo, 1.0, v[188:189], 1.0
	v_mul_f64 v[211:212], v[209:210], v[207:208]
	s_delay_alu instid0(VALU_DEP_1) | instskip(NEXT) | instid1(VALU_DEP_1)
	v_fma_f64 v[190:191], -v[190:191], v[211:212], v[209:210]
	v_div_fmas_f64 v[190:191], v[190:191], v[207:208], v[211:212]
	s_delay_alu instid0(VALU_DEP_1) | instskip(NEXT) | instid1(VALU_DEP_1)
	v_div_fixup_f64 v[188:189], v[190:191], v[188:189], 1.0
	v_mul_f64 v[190:191], v[205:206], -v[188:189]
.LBB92_912:
	s_or_b32 exec_lo, exec_lo, s2
.LBB92_913:
	s_delay_alu instid0(SALU_CYCLE_1) | instskip(NEXT) | instid1(SALU_CYCLE_1)
	s_or_b32 exec_lo, exec_lo, s3
	s_mov_b32 s2, exec_lo
	v_cmpx_ne_u32_e64 v204, v196
	s_xor_b32 s2, exec_lo, s2
	s_cbranch_execz .LBB92_919
; %bb.914:
	s_mov_b32 s3, exec_lo
	v_cmpx_eq_u32_e32 43, v204
	s_cbranch_execz .LBB92_918
; %bb.915:
	v_cmp_ne_u32_e32 vcc_lo, 43, v196
	s_xor_b32 s6, s4, -1
	s_delay_alu instid0(SALU_CYCLE_1) | instskip(NEXT) | instid1(SALU_CYCLE_1)
	s_and_b32 s7, s6, vcc_lo
	s_and_saveexec_b32 s6, s7
	s_cbranch_execz .LBB92_917
; %bb.916:
	v_ashrrev_i32_e32 v197, 31, v196
	s_delay_alu instid0(VALU_DEP_1) | instskip(NEXT) | instid1(VALU_DEP_1)
	v_lshlrev_b64 v[204:205], 2, v[196:197]
	v_add_co_u32 v204, vcc_lo, v194, v204
	s_delay_alu instid0(VALU_DEP_2)
	v_add_co_ci_u32_e32 v205, vcc_lo, v195, v205, vcc_lo
	s_clause 0x1
	flat_load_b32 v197, v[204:205]
	flat_load_b32 v202, v[194:195] offset:172
	s_waitcnt vmcnt(1) lgkmcnt(1)
	flat_store_b32 v[194:195], v197 offset:172
	s_waitcnt vmcnt(0) lgkmcnt(1)
	flat_store_b32 v[204:205], v202
.LBB92_917:
	s_or_b32 exec_lo, exec_lo, s6
	v_mov_b32_e32 v204, v196
	v_mov_b32_e32 v202, v196
.LBB92_918:
	s_or_b32 exec_lo, exec_lo, s3
.LBB92_919:
	s_and_not1_saveexec_b32 s2, s2
	s_cbranch_execz .LBB92_921
; %bb.920:
	v_mov_b32_e32 v204, 43
	ds_store_2addr_b64 v198, v[8:9], v[10:11] offset0:88 offset1:89
	ds_store_2addr_b64 v198, v[4:5], v[6:7] offset0:90 offset1:91
	;; [unrolled: 1-line block ×3, first 2 shown]
.LBB92_921:
	s_or_b32 exec_lo, exec_lo, s2
	s_delay_alu instid0(SALU_CYCLE_1)
	s_mov_b32 s2, exec_lo
	s_waitcnt lgkmcnt(0)
	s_waitcnt_vscnt null, 0x0
	s_barrier
	buffer_gl0_inv
	v_cmpx_lt_i32_e32 43, v204
	s_cbranch_execz .LBB92_923
; %bb.922:
	v_mul_f64 v[196:197], v[188:189], v[14:15]
	v_mul_f64 v[14:15], v[190:191], v[14:15]
	ds_load_2addr_b64 v[205:208], v198 offset0:88 offset1:89
	ds_load_2addr_b64 v[209:212], v198 offset0:90 offset1:91
	ds_load_2addr_b64 v[213:216], v198 offset0:92 offset1:93
	v_fma_f64 v[190:191], v[190:191], v[12:13], v[196:197]
	v_fma_f64 v[12:13], v[188:189], v[12:13], -v[14:15]
	s_waitcnt lgkmcnt(2)
	s_delay_alu instid0(VALU_DEP_2)
	v_mul_f64 v[14:15], v[207:208], v[190:191]
	v_mul_f64 v[188:189], v[205:206], v[190:191]
	s_waitcnt lgkmcnt(1)
	v_mul_f64 v[196:197], v[211:212], v[190:191]
	v_mul_f64 v[217:218], v[209:210], v[190:191]
	s_waitcnt lgkmcnt(0)
	v_mul_f64 v[219:220], v[215:216], v[190:191]
	v_mul_f64 v[221:222], v[213:214], v[190:191]
	v_fma_f64 v[14:15], v[205:206], v[12:13], -v[14:15]
	v_fma_f64 v[188:189], v[207:208], v[12:13], v[188:189]
	v_fma_f64 v[196:197], v[209:210], v[12:13], -v[196:197]
	v_fma_f64 v[205:206], v[211:212], v[12:13], v[217:218]
	;; [unrolled: 2-line block ×3, first 2 shown]
	v_add_f64 v[8:9], v[8:9], -v[14:15]
	v_add_f64 v[10:11], v[10:11], -v[188:189]
	;; [unrolled: 1-line block ×6, first 2 shown]
	v_dual_mov_b32 v14, v190 :: v_dual_mov_b32 v15, v191
.LBB92_923:
	s_or_b32 exec_lo, exec_lo, s2
	v_lshl_add_u32 v188, v204, 4, v198
	s_barrier
	buffer_gl0_inv
	v_mov_b32_e32 v196, 44
	ds_store_2addr_b64 v188, v[8:9], v[10:11] offset1:1
	s_waitcnt lgkmcnt(0)
	s_barrier
	buffer_gl0_inv
	ds_load_2addr_b64 v[188:191], v198 offset0:88 offset1:89
	s_cmp_lt_i32 s5, 46
	s_cbranch_scc1 .LBB92_926
; %bb.924:
	v_add3_u32 v197, v203, 0, 0x2d0
	v_mov_b32_e32 v196, 44
	s_mov_b32 s6, 45
	s_set_inst_prefetch_distance 0x1
	.p2align	6
.LBB92_925:                             ; =>This Inner Loop Header: Depth=1
	ds_load_2addr_b64 v[205:208], v197 offset1:1
	s_waitcnt lgkmcnt(1)
	v_cmp_gt_f64_e32 vcc_lo, 0, v[188:189]
	v_xor_b32_e32 v209, 0x80000000, v189
	v_cmp_gt_f64_e64 s2, 0, v[190:191]
	v_xor_b32_e32 v211, 0x80000000, v191
	v_add_nc_u32_e32 v197, 16, v197
	s_waitcnt lgkmcnt(0)
	v_cmp_gt_f64_e64 s3, 0, v[205:206]
	v_mov_b32_e32 v213, v205
	v_dual_mov_b32 v215, v207 :: v_dual_cndmask_b32 v210, v189, v209
	v_xor_b32_e32 v209, 0x80000000, v206
	v_cndmask_b32_e64 v212, v191, v211, s2
	v_xor_b32_e32 v211, 0x80000000, v208
	s_delay_alu instid0(VALU_DEP_3) | instskip(SKIP_2) | instid1(VALU_DEP_2)
	v_cndmask_b32_e64 v214, v206, v209, s3
	v_cmp_gt_f64_e64 s3, 0, v[207:208]
	v_cndmask_b32_e32 v209, v188, v188, vcc_lo
	v_cndmask_b32_e64 v216, v208, v211, s3
	v_cndmask_b32_e64 v211, v190, v190, s2
	s_delay_alu instid0(VALU_DEP_2) | instskip(NEXT) | instid1(VALU_DEP_2)
	v_add_f64 v[213:214], v[213:214], v[215:216]
	v_add_f64 v[209:210], v[209:210], v[211:212]
	s_delay_alu instid0(VALU_DEP_1) | instskip(SKIP_4) | instid1(SALU_CYCLE_1)
	v_cmp_lt_f64_e32 vcc_lo, v[209:210], v[213:214]
	v_dual_cndmask_b32 v190, v190, v207 :: v_dual_cndmask_b32 v189, v189, v206
	v_dual_cndmask_b32 v188, v188, v205 :: v_dual_cndmask_b32 v191, v191, v208
	v_cndmask_b32_e64 v196, v196, s6, vcc_lo
	s_add_i32 s6, s6, 1
	s_cmp_lg_u32 s5, s6
	s_cbranch_scc1 .LBB92_925
.LBB92_926:
	s_set_inst_prefetch_distance 0x2
	s_waitcnt lgkmcnt(0)
	v_cmp_eq_f64_e32 vcc_lo, 0, v[188:189]
	v_cmp_eq_f64_e64 s2, 0, v[190:191]
	s_delay_alu instid0(VALU_DEP_1) | instskip(NEXT) | instid1(SALU_CYCLE_1)
	s_and_b32 s2, vcc_lo, s2
	s_and_saveexec_b32 s3, s2
	s_delay_alu instid0(SALU_CYCLE_1)
	s_xor_b32 s2, exec_lo, s3
; %bb.927:
	v_cmp_ne_u32_e32 vcc_lo, 0, v201
	v_cndmask_b32_e32 v201, 45, v201, vcc_lo
; %bb.928:
	s_and_not1_saveexec_b32 s3, s2
	s_cbranch_execz .LBB92_934
; %bb.929:
	v_cmp_gt_f64_e32 vcc_lo, 0, v[188:189]
	v_cmp_gt_f64_e64 s2, 0, v[190:191]
	v_xor_b32_e32 v197, 0x80000000, v189
	v_xor_b32_e32 v205, 0x80000000, v191
	s_delay_alu instid0(VALU_DEP_2) | instskip(NEXT) | instid1(VALU_DEP_2)
	v_cndmask_b32_e32 v206, v189, v197, vcc_lo
	v_cndmask_b32_e64 v208, v191, v205, s2
	v_cndmask_b32_e32 v205, v188, v188, vcc_lo
	v_cndmask_b32_e64 v207, v190, v190, s2
	s_mov_b32 s2, exec_lo
	s_delay_alu instid0(VALU_DEP_1)
	v_cmpx_ngt_f64_e32 v[205:206], v[207:208]
	s_xor_b32 s2, exec_lo, s2
	s_cbranch_execz .LBB92_931
; %bb.930:
	v_div_scale_f64 v[205:206], null, v[190:191], v[190:191], v[188:189]
	v_div_scale_f64 v[211:212], vcc_lo, v[188:189], v[190:191], v[188:189]
	s_delay_alu instid0(VALU_DEP_2) | instskip(SKIP_2) | instid1(VALU_DEP_1)
	v_rcp_f64_e32 v[207:208], v[205:206]
	s_waitcnt_depctr 0xfff
	v_fma_f64 v[209:210], -v[205:206], v[207:208], 1.0
	v_fma_f64 v[207:208], v[207:208], v[209:210], v[207:208]
	s_delay_alu instid0(VALU_DEP_1) | instskip(NEXT) | instid1(VALU_DEP_1)
	v_fma_f64 v[209:210], -v[205:206], v[207:208], 1.0
	v_fma_f64 v[207:208], v[207:208], v[209:210], v[207:208]
	s_delay_alu instid0(VALU_DEP_1) | instskip(NEXT) | instid1(VALU_DEP_1)
	v_mul_f64 v[209:210], v[211:212], v[207:208]
	v_fma_f64 v[205:206], -v[205:206], v[209:210], v[211:212]
	s_delay_alu instid0(VALU_DEP_1) | instskip(NEXT) | instid1(VALU_DEP_1)
	v_div_fmas_f64 v[205:206], v[205:206], v[207:208], v[209:210]
	v_div_fixup_f64 v[205:206], v[205:206], v[190:191], v[188:189]
	s_delay_alu instid0(VALU_DEP_1) | instskip(NEXT) | instid1(VALU_DEP_1)
	v_fma_f64 v[188:189], v[188:189], v[205:206], v[190:191]
	v_div_scale_f64 v[190:191], null, v[188:189], v[188:189], 1.0
	s_delay_alu instid0(VALU_DEP_1) | instskip(SKIP_2) | instid1(VALU_DEP_1)
	v_rcp_f64_e32 v[207:208], v[190:191]
	s_waitcnt_depctr 0xfff
	v_fma_f64 v[209:210], -v[190:191], v[207:208], 1.0
	v_fma_f64 v[207:208], v[207:208], v[209:210], v[207:208]
	s_delay_alu instid0(VALU_DEP_1) | instskip(NEXT) | instid1(VALU_DEP_1)
	v_fma_f64 v[209:210], -v[190:191], v[207:208], 1.0
	v_fma_f64 v[207:208], v[207:208], v[209:210], v[207:208]
	v_div_scale_f64 v[209:210], vcc_lo, 1.0, v[188:189], 1.0
	s_delay_alu instid0(VALU_DEP_1) | instskip(NEXT) | instid1(VALU_DEP_1)
	v_mul_f64 v[211:212], v[209:210], v[207:208]
	v_fma_f64 v[190:191], -v[190:191], v[211:212], v[209:210]
	s_delay_alu instid0(VALU_DEP_1) | instskip(NEXT) | instid1(VALU_DEP_1)
	v_div_fmas_f64 v[190:191], v[190:191], v[207:208], v[211:212]
	v_div_fixup_f64 v[190:191], v[190:191], v[188:189], 1.0
	s_delay_alu instid0(VALU_DEP_1)
	v_mul_f64 v[188:189], v[205:206], v[190:191]
	v_xor_b32_e32 v191, 0x80000000, v191
.LBB92_931:
	s_and_not1_saveexec_b32 s2, s2
	s_cbranch_execz .LBB92_933
; %bb.932:
	s_delay_alu instid0(VALU_DEP_1) | instskip(SKIP_1) | instid1(VALU_DEP_2)
	v_div_scale_f64 v[205:206], null, v[188:189], v[188:189], v[190:191]
	v_div_scale_f64 v[211:212], vcc_lo, v[190:191], v[188:189], v[190:191]
	v_rcp_f64_e32 v[207:208], v[205:206]
	s_waitcnt_depctr 0xfff
	v_fma_f64 v[209:210], -v[205:206], v[207:208], 1.0
	s_delay_alu instid0(VALU_DEP_1) | instskip(NEXT) | instid1(VALU_DEP_1)
	v_fma_f64 v[207:208], v[207:208], v[209:210], v[207:208]
	v_fma_f64 v[209:210], -v[205:206], v[207:208], 1.0
	s_delay_alu instid0(VALU_DEP_1) | instskip(NEXT) | instid1(VALU_DEP_1)
	v_fma_f64 v[207:208], v[207:208], v[209:210], v[207:208]
	v_mul_f64 v[209:210], v[211:212], v[207:208]
	s_delay_alu instid0(VALU_DEP_1) | instskip(NEXT) | instid1(VALU_DEP_1)
	v_fma_f64 v[205:206], -v[205:206], v[209:210], v[211:212]
	v_div_fmas_f64 v[205:206], v[205:206], v[207:208], v[209:210]
	s_delay_alu instid0(VALU_DEP_1) | instskip(NEXT) | instid1(VALU_DEP_1)
	v_div_fixup_f64 v[205:206], v[205:206], v[188:189], v[190:191]
	v_fma_f64 v[188:189], v[190:191], v[205:206], v[188:189]
	s_delay_alu instid0(VALU_DEP_1) | instskip(NEXT) | instid1(VALU_DEP_1)
	v_div_scale_f64 v[190:191], null, v[188:189], v[188:189], 1.0
	v_rcp_f64_e32 v[207:208], v[190:191]
	s_waitcnt_depctr 0xfff
	v_fma_f64 v[209:210], -v[190:191], v[207:208], 1.0
	s_delay_alu instid0(VALU_DEP_1) | instskip(NEXT) | instid1(VALU_DEP_1)
	v_fma_f64 v[207:208], v[207:208], v[209:210], v[207:208]
	v_fma_f64 v[209:210], -v[190:191], v[207:208], 1.0
	s_delay_alu instid0(VALU_DEP_1) | instskip(SKIP_1) | instid1(VALU_DEP_1)
	v_fma_f64 v[207:208], v[207:208], v[209:210], v[207:208]
	v_div_scale_f64 v[209:210], vcc_lo, 1.0, v[188:189], 1.0
	v_mul_f64 v[211:212], v[209:210], v[207:208]
	s_delay_alu instid0(VALU_DEP_1) | instskip(NEXT) | instid1(VALU_DEP_1)
	v_fma_f64 v[190:191], -v[190:191], v[211:212], v[209:210]
	v_div_fmas_f64 v[190:191], v[190:191], v[207:208], v[211:212]
	s_delay_alu instid0(VALU_DEP_1) | instskip(NEXT) | instid1(VALU_DEP_1)
	v_div_fixup_f64 v[188:189], v[190:191], v[188:189], 1.0
	v_mul_f64 v[190:191], v[205:206], -v[188:189]
.LBB92_933:
	s_or_b32 exec_lo, exec_lo, s2
.LBB92_934:
	s_delay_alu instid0(SALU_CYCLE_1) | instskip(NEXT) | instid1(SALU_CYCLE_1)
	s_or_b32 exec_lo, exec_lo, s3
	s_mov_b32 s2, exec_lo
	v_cmpx_ne_u32_e64 v204, v196
	s_xor_b32 s2, exec_lo, s2
	s_cbranch_execz .LBB92_940
; %bb.935:
	s_mov_b32 s3, exec_lo
	v_cmpx_eq_u32_e32 44, v204
	s_cbranch_execz .LBB92_939
; %bb.936:
	v_cmp_ne_u32_e32 vcc_lo, 44, v196
	s_xor_b32 s6, s4, -1
	s_delay_alu instid0(SALU_CYCLE_1) | instskip(NEXT) | instid1(SALU_CYCLE_1)
	s_and_b32 s7, s6, vcc_lo
	s_and_saveexec_b32 s6, s7
	s_cbranch_execz .LBB92_938
; %bb.937:
	v_ashrrev_i32_e32 v197, 31, v196
	s_delay_alu instid0(VALU_DEP_1) | instskip(NEXT) | instid1(VALU_DEP_1)
	v_lshlrev_b64 v[204:205], 2, v[196:197]
	v_add_co_u32 v204, vcc_lo, v194, v204
	s_delay_alu instid0(VALU_DEP_2)
	v_add_co_ci_u32_e32 v205, vcc_lo, v195, v205, vcc_lo
	s_clause 0x1
	flat_load_b32 v197, v[204:205]
	flat_load_b32 v202, v[194:195] offset:176
	s_waitcnt vmcnt(1) lgkmcnt(1)
	flat_store_b32 v[194:195], v197 offset:176
	s_waitcnt vmcnt(0) lgkmcnt(1)
	flat_store_b32 v[204:205], v202
.LBB92_938:
	s_or_b32 exec_lo, exec_lo, s6
	v_mov_b32_e32 v204, v196
	v_mov_b32_e32 v202, v196
.LBB92_939:
	s_or_b32 exec_lo, exec_lo, s3
.LBB92_940:
	s_and_not1_saveexec_b32 s2, s2
	s_cbranch_execz .LBB92_942
; %bb.941:
	v_mov_b32_e32 v204, 44
	ds_store_2addr_b64 v198, v[4:5], v[6:7] offset0:90 offset1:91
	ds_store_2addr_b64 v198, v[0:1], v[2:3] offset0:92 offset1:93
.LBB92_942:
	s_or_b32 exec_lo, exec_lo, s2
	s_delay_alu instid0(SALU_CYCLE_1)
	s_mov_b32 s2, exec_lo
	s_waitcnt lgkmcnt(0)
	s_waitcnt_vscnt null, 0x0
	s_barrier
	buffer_gl0_inv
	v_cmpx_lt_i32_e32 44, v204
	s_cbranch_execz .LBB92_944
; %bb.943:
	v_mul_f64 v[196:197], v[188:189], v[10:11]
	v_mul_f64 v[10:11], v[190:191], v[10:11]
	ds_load_2addr_b64 v[205:208], v198 offset0:90 offset1:91
	ds_load_2addr_b64 v[209:212], v198 offset0:92 offset1:93
	v_fma_f64 v[190:191], v[190:191], v[8:9], v[196:197]
	v_fma_f64 v[8:9], v[188:189], v[8:9], -v[10:11]
	s_waitcnt lgkmcnt(1)
	s_delay_alu instid0(VALU_DEP_2) | instskip(SKIP_4) | instid1(VALU_DEP_4)
	v_mul_f64 v[10:11], v[207:208], v[190:191]
	v_mul_f64 v[188:189], v[205:206], v[190:191]
	s_waitcnt lgkmcnt(0)
	v_mul_f64 v[196:197], v[211:212], v[190:191]
	v_mul_f64 v[213:214], v[209:210], v[190:191]
	v_fma_f64 v[10:11], v[205:206], v[8:9], -v[10:11]
	s_delay_alu instid0(VALU_DEP_4) | instskip(NEXT) | instid1(VALU_DEP_4)
	v_fma_f64 v[188:189], v[207:208], v[8:9], v[188:189]
	v_fma_f64 v[196:197], v[209:210], v[8:9], -v[196:197]
	s_delay_alu instid0(VALU_DEP_4) | instskip(NEXT) | instid1(VALU_DEP_4)
	v_fma_f64 v[205:206], v[211:212], v[8:9], v[213:214]
	v_add_f64 v[4:5], v[4:5], -v[10:11]
	s_delay_alu instid0(VALU_DEP_4) | instskip(NEXT) | instid1(VALU_DEP_4)
	v_add_f64 v[6:7], v[6:7], -v[188:189]
	v_add_f64 v[0:1], v[0:1], -v[196:197]
	s_delay_alu instid0(VALU_DEP_4)
	v_add_f64 v[2:3], v[2:3], -v[205:206]
	v_dual_mov_b32 v10, v190 :: v_dual_mov_b32 v11, v191
.LBB92_944:
	s_or_b32 exec_lo, exec_lo, s2
	v_lshl_add_u32 v188, v204, 4, v198
	s_barrier
	buffer_gl0_inv
	v_mov_b32_e32 v196, 45
	ds_store_2addr_b64 v188, v[4:5], v[6:7] offset1:1
	s_waitcnt lgkmcnt(0)
	s_barrier
	buffer_gl0_inv
	ds_load_2addr_b64 v[188:191], v198 offset0:90 offset1:91
	s_cmp_lt_i32 s5, 47
	s_cbranch_scc1 .LBB92_947
; %bb.945:
	v_add3_u32 v197, v203, 0, 0x2e0
	v_mov_b32_e32 v196, 45
	s_mov_b32 s6, 46
	s_set_inst_prefetch_distance 0x1
	.p2align	6
.LBB92_946:                             ; =>This Inner Loop Header: Depth=1
	ds_load_2addr_b64 v[205:208], v197 offset1:1
	s_waitcnt lgkmcnt(1)
	v_cmp_gt_f64_e32 vcc_lo, 0, v[188:189]
	v_xor_b32_e32 v209, 0x80000000, v189
	v_cmp_gt_f64_e64 s2, 0, v[190:191]
	v_xor_b32_e32 v211, 0x80000000, v191
	v_add_nc_u32_e32 v197, 16, v197
	s_waitcnt lgkmcnt(0)
	v_cmp_gt_f64_e64 s3, 0, v[205:206]
	v_mov_b32_e32 v213, v205
	v_dual_mov_b32 v215, v207 :: v_dual_cndmask_b32 v210, v189, v209
	v_xor_b32_e32 v209, 0x80000000, v206
	v_cndmask_b32_e64 v212, v191, v211, s2
	v_xor_b32_e32 v211, 0x80000000, v208
	s_delay_alu instid0(VALU_DEP_3) | instskip(SKIP_2) | instid1(VALU_DEP_2)
	v_cndmask_b32_e64 v214, v206, v209, s3
	v_cmp_gt_f64_e64 s3, 0, v[207:208]
	v_cndmask_b32_e32 v209, v188, v188, vcc_lo
	v_cndmask_b32_e64 v216, v208, v211, s3
	v_cndmask_b32_e64 v211, v190, v190, s2
	s_delay_alu instid0(VALU_DEP_2) | instskip(NEXT) | instid1(VALU_DEP_2)
	v_add_f64 v[213:214], v[213:214], v[215:216]
	v_add_f64 v[209:210], v[209:210], v[211:212]
	s_delay_alu instid0(VALU_DEP_1) | instskip(SKIP_4) | instid1(SALU_CYCLE_1)
	v_cmp_lt_f64_e32 vcc_lo, v[209:210], v[213:214]
	v_dual_cndmask_b32 v190, v190, v207 :: v_dual_cndmask_b32 v189, v189, v206
	v_dual_cndmask_b32 v188, v188, v205 :: v_dual_cndmask_b32 v191, v191, v208
	v_cndmask_b32_e64 v196, v196, s6, vcc_lo
	s_add_i32 s6, s6, 1
	s_cmp_lg_u32 s5, s6
	s_cbranch_scc1 .LBB92_946
.LBB92_947:
	s_set_inst_prefetch_distance 0x2
	s_waitcnt lgkmcnt(0)
	v_cmp_eq_f64_e32 vcc_lo, 0, v[188:189]
	v_cmp_eq_f64_e64 s2, 0, v[190:191]
	s_delay_alu instid0(VALU_DEP_1) | instskip(NEXT) | instid1(SALU_CYCLE_1)
	s_and_b32 s2, vcc_lo, s2
	s_and_saveexec_b32 s3, s2
	s_delay_alu instid0(SALU_CYCLE_1)
	s_xor_b32 s2, exec_lo, s3
; %bb.948:
	v_cmp_ne_u32_e32 vcc_lo, 0, v201
	v_cndmask_b32_e32 v201, 46, v201, vcc_lo
; %bb.949:
	s_and_not1_saveexec_b32 s3, s2
	s_cbranch_execz .LBB92_955
; %bb.950:
	v_cmp_gt_f64_e32 vcc_lo, 0, v[188:189]
	v_cmp_gt_f64_e64 s2, 0, v[190:191]
	v_xor_b32_e32 v197, 0x80000000, v189
	v_xor_b32_e32 v205, 0x80000000, v191
	s_delay_alu instid0(VALU_DEP_2) | instskip(NEXT) | instid1(VALU_DEP_2)
	v_cndmask_b32_e32 v206, v189, v197, vcc_lo
	v_cndmask_b32_e64 v208, v191, v205, s2
	v_cndmask_b32_e32 v205, v188, v188, vcc_lo
	v_cndmask_b32_e64 v207, v190, v190, s2
	s_mov_b32 s2, exec_lo
	s_delay_alu instid0(VALU_DEP_1)
	v_cmpx_ngt_f64_e32 v[205:206], v[207:208]
	s_xor_b32 s2, exec_lo, s2
	s_cbranch_execz .LBB92_952
; %bb.951:
	v_div_scale_f64 v[205:206], null, v[190:191], v[190:191], v[188:189]
	v_div_scale_f64 v[211:212], vcc_lo, v[188:189], v[190:191], v[188:189]
	s_delay_alu instid0(VALU_DEP_2) | instskip(SKIP_2) | instid1(VALU_DEP_1)
	v_rcp_f64_e32 v[207:208], v[205:206]
	s_waitcnt_depctr 0xfff
	v_fma_f64 v[209:210], -v[205:206], v[207:208], 1.0
	v_fma_f64 v[207:208], v[207:208], v[209:210], v[207:208]
	s_delay_alu instid0(VALU_DEP_1) | instskip(NEXT) | instid1(VALU_DEP_1)
	v_fma_f64 v[209:210], -v[205:206], v[207:208], 1.0
	v_fma_f64 v[207:208], v[207:208], v[209:210], v[207:208]
	s_delay_alu instid0(VALU_DEP_1) | instskip(NEXT) | instid1(VALU_DEP_1)
	v_mul_f64 v[209:210], v[211:212], v[207:208]
	v_fma_f64 v[205:206], -v[205:206], v[209:210], v[211:212]
	s_delay_alu instid0(VALU_DEP_1) | instskip(NEXT) | instid1(VALU_DEP_1)
	v_div_fmas_f64 v[205:206], v[205:206], v[207:208], v[209:210]
	v_div_fixup_f64 v[205:206], v[205:206], v[190:191], v[188:189]
	s_delay_alu instid0(VALU_DEP_1) | instskip(NEXT) | instid1(VALU_DEP_1)
	v_fma_f64 v[188:189], v[188:189], v[205:206], v[190:191]
	v_div_scale_f64 v[190:191], null, v[188:189], v[188:189], 1.0
	s_delay_alu instid0(VALU_DEP_1) | instskip(SKIP_2) | instid1(VALU_DEP_1)
	v_rcp_f64_e32 v[207:208], v[190:191]
	s_waitcnt_depctr 0xfff
	v_fma_f64 v[209:210], -v[190:191], v[207:208], 1.0
	v_fma_f64 v[207:208], v[207:208], v[209:210], v[207:208]
	s_delay_alu instid0(VALU_DEP_1) | instskip(NEXT) | instid1(VALU_DEP_1)
	v_fma_f64 v[209:210], -v[190:191], v[207:208], 1.0
	v_fma_f64 v[207:208], v[207:208], v[209:210], v[207:208]
	v_div_scale_f64 v[209:210], vcc_lo, 1.0, v[188:189], 1.0
	s_delay_alu instid0(VALU_DEP_1) | instskip(NEXT) | instid1(VALU_DEP_1)
	v_mul_f64 v[211:212], v[209:210], v[207:208]
	v_fma_f64 v[190:191], -v[190:191], v[211:212], v[209:210]
	s_delay_alu instid0(VALU_DEP_1) | instskip(NEXT) | instid1(VALU_DEP_1)
	v_div_fmas_f64 v[190:191], v[190:191], v[207:208], v[211:212]
	v_div_fixup_f64 v[190:191], v[190:191], v[188:189], 1.0
	s_delay_alu instid0(VALU_DEP_1)
	v_mul_f64 v[188:189], v[205:206], v[190:191]
	v_xor_b32_e32 v191, 0x80000000, v191
.LBB92_952:
	s_and_not1_saveexec_b32 s2, s2
	s_cbranch_execz .LBB92_954
; %bb.953:
	s_delay_alu instid0(VALU_DEP_1) | instskip(SKIP_1) | instid1(VALU_DEP_2)
	v_div_scale_f64 v[205:206], null, v[188:189], v[188:189], v[190:191]
	v_div_scale_f64 v[211:212], vcc_lo, v[190:191], v[188:189], v[190:191]
	v_rcp_f64_e32 v[207:208], v[205:206]
	s_waitcnt_depctr 0xfff
	v_fma_f64 v[209:210], -v[205:206], v[207:208], 1.0
	s_delay_alu instid0(VALU_DEP_1) | instskip(NEXT) | instid1(VALU_DEP_1)
	v_fma_f64 v[207:208], v[207:208], v[209:210], v[207:208]
	v_fma_f64 v[209:210], -v[205:206], v[207:208], 1.0
	s_delay_alu instid0(VALU_DEP_1) | instskip(NEXT) | instid1(VALU_DEP_1)
	v_fma_f64 v[207:208], v[207:208], v[209:210], v[207:208]
	v_mul_f64 v[209:210], v[211:212], v[207:208]
	s_delay_alu instid0(VALU_DEP_1) | instskip(NEXT) | instid1(VALU_DEP_1)
	v_fma_f64 v[205:206], -v[205:206], v[209:210], v[211:212]
	v_div_fmas_f64 v[205:206], v[205:206], v[207:208], v[209:210]
	s_delay_alu instid0(VALU_DEP_1) | instskip(NEXT) | instid1(VALU_DEP_1)
	v_div_fixup_f64 v[205:206], v[205:206], v[188:189], v[190:191]
	v_fma_f64 v[188:189], v[190:191], v[205:206], v[188:189]
	s_delay_alu instid0(VALU_DEP_1) | instskip(NEXT) | instid1(VALU_DEP_1)
	v_div_scale_f64 v[190:191], null, v[188:189], v[188:189], 1.0
	v_rcp_f64_e32 v[207:208], v[190:191]
	s_waitcnt_depctr 0xfff
	v_fma_f64 v[209:210], -v[190:191], v[207:208], 1.0
	s_delay_alu instid0(VALU_DEP_1) | instskip(NEXT) | instid1(VALU_DEP_1)
	v_fma_f64 v[207:208], v[207:208], v[209:210], v[207:208]
	v_fma_f64 v[209:210], -v[190:191], v[207:208], 1.0
	s_delay_alu instid0(VALU_DEP_1) | instskip(SKIP_1) | instid1(VALU_DEP_1)
	v_fma_f64 v[207:208], v[207:208], v[209:210], v[207:208]
	v_div_scale_f64 v[209:210], vcc_lo, 1.0, v[188:189], 1.0
	v_mul_f64 v[211:212], v[209:210], v[207:208]
	s_delay_alu instid0(VALU_DEP_1) | instskip(NEXT) | instid1(VALU_DEP_1)
	v_fma_f64 v[190:191], -v[190:191], v[211:212], v[209:210]
	v_div_fmas_f64 v[190:191], v[190:191], v[207:208], v[211:212]
	s_delay_alu instid0(VALU_DEP_1) | instskip(NEXT) | instid1(VALU_DEP_1)
	v_div_fixup_f64 v[188:189], v[190:191], v[188:189], 1.0
	v_mul_f64 v[190:191], v[205:206], -v[188:189]
.LBB92_954:
	s_or_b32 exec_lo, exec_lo, s2
.LBB92_955:
	s_delay_alu instid0(SALU_CYCLE_1) | instskip(NEXT) | instid1(SALU_CYCLE_1)
	s_or_b32 exec_lo, exec_lo, s3
	s_mov_b32 s2, exec_lo
	v_cmpx_ne_u32_e64 v204, v196
	s_xor_b32 s2, exec_lo, s2
	s_cbranch_execz .LBB92_961
; %bb.956:
	s_mov_b32 s3, exec_lo
	v_cmpx_eq_u32_e32 45, v204
	s_cbranch_execz .LBB92_960
; %bb.957:
	v_cmp_ne_u32_e32 vcc_lo, 45, v196
	s_xor_b32 s6, s4, -1
	s_delay_alu instid0(SALU_CYCLE_1) | instskip(NEXT) | instid1(SALU_CYCLE_1)
	s_and_b32 s7, s6, vcc_lo
	s_and_saveexec_b32 s6, s7
	s_cbranch_execz .LBB92_959
; %bb.958:
	v_ashrrev_i32_e32 v197, 31, v196
	s_delay_alu instid0(VALU_DEP_1) | instskip(NEXT) | instid1(VALU_DEP_1)
	v_lshlrev_b64 v[204:205], 2, v[196:197]
	v_add_co_u32 v204, vcc_lo, v194, v204
	s_delay_alu instid0(VALU_DEP_2)
	v_add_co_ci_u32_e32 v205, vcc_lo, v195, v205, vcc_lo
	s_clause 0x1
	flat_load_b32 v197, v[204:205]
	flat_load_b32 v202, v[194:195] offset:180
	s_waitcnt vmcnt(1) lgkmcnt(1)
	flat_store_b32 v[194:195], v197 offset:180
	s_waitcnt vmcnt(0) lgkmcnt(1)
	flat_store_b32 v[204:205], v202
.LBB92_959:
	s_or_b32 exec_lo, exec_lo, s6
	v_mov_b32_e32 v204, v196
	v_mov_b32_e32 v202, v196
.LBB92_960:
	s_or_b32 exec_lo, exec_lo, s3
.LBB92_961:
	s_and_not1_saveexec_b32 s2, s2
	s_cbranch_execz .LBB92_963
; %bb.962:
	v_mov_b32_e32 v204, 45
	ds_store_2addr_b64 v198, v[0:1], v[2:3] offset0:92 offset1:93
.LBB92_963:
	s_or_b32 exec_lo, exec_lo, s2
	s_delay_alu instid0(SALU_CYCLE_1)
	s_mov_b32 s2, exec_lo
	s_waitcnt lgkmcnt(0)
	s_waitcnt_vscnt null, 0x0
	s_barrier
	buffer_gl0_inv
	v_cmpx_lt_i32_e32 45, v204
	s_cbranch_execz .LBB92_965
; %bb.964:
	v_mul_f64 v[196:197], v[188:189], v[6:7]
	v_mul_f64 v[6:7], v[190:191], v[6:7]
	ds_load_2addr_b64 v[205:208], v198 offset0:92 offset1:93
	v_fma_f64 v[190:191], v[190:191], v[4:5], v[196:197]
	v_fma_f64 v[4:5], v[188:189], v[4:5], -v[6:7]
	s_waitcnt lgkmcnt(0)
	s_delay_alu instid0(VALU_DEP_2) | instskip(SKIP_1) | instid1(VALU_DEP_2)
	v_mul_f64 v[6:7], v[207:208], v[190:191]
	v_mul_f64 v[188:189], v[205:206], v[190:191]
	v_fma_f64 v[6:7], v[205:206], v[4:5], -v[6:7]
	s_delay_alu instid0(VALU_DEP_2) | instskip(NEXT) | instid1(VALU_DEP_2)
	v_fma_f64 v[188:189], v[207:208], v[4:5], v[188:189]
	v_add_f64 v[0:1], v[0:1], -v[6:7]
	s_delay_alu instid0(VALU_DEP_2)
	v_add_f64 v[2:3], v[2:3], -v[188:189]
	v_dual_mov_b32 v6, v190 :: v_dual_mov_b32 v7, v191
.LBB92_965:
	s_or_b32 exec_lo, exec_lo, s2
	v_lshl_add_u32 v188, v204, 4, v198
	s_barrier
	buffer_gl0_inv
	v_mov_b32_e32 v196, 46
	ds_store_2addr_b64 v188, v[0:1], v[2:3] offset1:1
	s_waitcnt lgkmcnt(0)
	s_barrier
	buffer_gl0_inv
	ds_load_2addr_b64 v[188:191], v198 offset0:92 offset1:93
	s_cmp_lt_i32 s5, 48
	s_cbranch_scc1 .LBB92_968
; %bb.966:
	v_add3_u32 v197, v203, 0, 0x2f0
	v_mov_b32_e32 v196, 46
	s_mov_b32 s6, 47
	s_set_inst_prefetch_distance 0x1
	.p2align	6
.LBB92_967:                             ; =>This Inner Loop Header: Depth=1
	ds_load_2addr_b64 v[205:208], v197 offset1:1
	s_waitcnt lgkmcnt(1)
	v_cmp_gt_f64_e32 vcc_lo, 0, v[188:189]
	v_xor_b32_e32 v198, 0x80000000, v189
	v_cmp_gt_f64_e64 s2, 0, v[190:191]
	v_xor_b32_e32 v203, 0x80000000, v191
	v_add_nc_u32_e32 v197, 16, v197
	s_waitcnt lgkmcnt(0)
	v_cmp_gt_f64_e64 s3, 0, v[205:206]
	v_mov_b32_e32 v213, v205
	v_dual_mov_b32 v215, v207 :: v_dual_cndmask_b32 v210, v189, v198
	v_xor_b32_e32 v198, 0x80000000, v206
	v_cndmask_b32_e64 v212, v191, v203, s2
	v_xor_b32_e32 v203, 0x80000000, v208
	v_cndmask_b32_e32 v209, v188, v188, vcc_lo
	v_cndmask_b32_e64 v211, v190, v190, s2
	s_delay_alu instid0(VALU_DEP_1) | instskip(SKIP_2) | instid1(VALU_DEP_1)
	v_add_f64 v[209:210], v[209:210], v[211:212]
	v_cndmask_b32_e64 v214, v206, v198, s3
	v_cmp_gt_f64_e64 s3, 0, v[207:208]
	v_cndmask_b32_e64 v216, v208, v203, s3
	s_delay_alu instid0(VALU_DEP_1) | instskip(NEXT) | instid1(VALU_DEP_1)
	v_add_f64 v[213:214], v[213:214], v[215:216]
	v_cmp_lt_f64_e32 vcc_lo, v[209:210], v[213:214]
	v_dual_cndmask_b32 v190, v190, v207 :: v_dual_cndmask_b32 v189, v189, v206
	v_dual_cndmask_b32 v188, v188, v205 :: v_dual_cndmask_b32 v191, v191, v208
	v_cndmask_b32_e64 v196, v196, s6, vcc_lo
	s_add_i32 s6, s6, 1
	s_delay_alu instid0(SALU_CYCLE_1)
	s_cmp_lg_u32 s5, s6
	s_cbranch_scc1 .LBB92_967
.LBB92_968:
	s_set_inst_prefetch_distance 0x2
	s_waitcnt lgkmcnt(0)
	v_cmp_eq_f64_e32 vcc_lo, 0, v[188:189]
	v_cmp_eq_f64_e64 s2, 0, v[190:191]
	s_delay_alu instid0(VALU_DEP_1) | instskip(NEXT) | instid1(SALU_CYCLE_1)
	s_and_b32 s2, vcc_lo, s2
	s_and_saveexec_b32 s3, s2
	s_delay_alu instid0(SALU_CYCLE_1)
	s_xor_b32 s2, exec_lo, s3
; %bb.969:
	v_cmp_ne_u32_e32 vcc_lo, 0, v201
	v_cndmask_b32_e32 v201, 47, v201, vcc_lo
; %bb.970:
	s_and_not1_saveexec_b32 s3, s2
	s_cbranch_execz .LBB92_976
; %bb.971:
	v_cmp_gt_f64_e32 vcc_lo, 0, v[188:189]
	v_cmp_gt_f64_e64 s2, 0, v[190:191]
	v_xor_b32_e32 v197, 0x80000000, v189
	v_xor_b32_e32 v203, 0x80000000, v191
	s_delay_alu instid0(VALU_DEP_2) | instskip(NEXT) | instid1(VALU_DEP_2)
	v_dual_cndmask_b32 v198, v189, v197 :: v_dual_cndmask_b32 v197, v188, v188
	v_cndmask_b32_e64 v206, v191, v203, s2
	v_cndmask_b32_e64 v205, v190, v190, s2
	s_mov_b32 s2, exec_lo
	s_delay_alu instid0(VALU_DEP_1)
	v_cmpx_ngt_f64_e32 v[197:198], v[205:206]
	s_xor_b32 s2, exec_lo, s2
	s_cbranch_execz .LBB92_973
; %bb.972:
	v_div_scale_f64 v[197:198], null, v[190:191], v[190:191], v[188:189]
	v_div_scale_f64 v[209:210], vcc_lo, v[188:189], v[190:191], v[188:189]
	s_delay_alu instid0(VALU_DEP_2) | instskip(SKIP_2) | instid1(VALU_DEP_1)
	v_rcp_f64_e32 v[205:206], v[197:198]
	s_waitcnt_depctr 0xfff
	v_fma_f64 v[207:208], -v[197:198], v[205:206], 1.0
	v_fma_f64 v[205:206], v[205:206], v[207:208], v[205:206]
	s_delay_alu instid0(VALU_DEP_1) | instskip(NEXT) | instid1(VALU_DEP_1)
	v_fma_f64 v[207:208], -v[197:198], v[205:206], 1.0
	v_fma_f64 v[205:206], v[205:206], v[207:208], v[205:206]
	s_delay_alu instid0(VALU_DEP_1) | instskip(NEXT) | instid1(VALU_DEP_1)
	v_mul_f64 v[207:208], v[209:210], v[205:206]
	v_fma_f64 v[197:198], -v[197:198], v[207:208], v[209:210]
	s_delay_alu instid0(VALU_DEP_1) | instskip(NEXT) | instid1(VALU_DEP_1)
	v_div_fmas_f64 v[197:198], v[197:198], v[205:206], v[207:208]
	v_div_fixup_f64 v[197:198], v[197:198], v[190:191], v[188:189]
	s_delay_alu instid0(VALU_DEP_1) | instskip(NEXT) | instid1(VALU_DEP_1)
	v_fma_f64 v[188:189], v[188:189], v[197:198], v[190:191]
	v_div_scale_f64 v[190:191], null, v[188:189], v[188:189], 1.0
	s_delay_alu instid0(VALU_DEP_1) | instskip(SKIP_2) | instid1(VALU_DEP_1)
	v_rcp_f64_e32 v[205:206], v[190:191]
	s_waitcnt_depctr 0xfff
	v_fma_f64 v[207:208], -v[190:191], v[205:206], 1.0
	v_fma_f64 v[205:206], v[205:206], v[207:208], v[205:206]
	s_delay_alu instid0(VALU_DEP_1) | instskip(NEXT) | instid1(VALU_DEP_1)
	v_fma_f64 v[207:208], -v[190:191], v[205:206], 1.0
	v_fma_f64 v[205:206], v[205:206], v[207:208], v[205:206]
	v_div_scale_f64 v[207:208], vcc_lo, 1.0, v[188:189], 1.0
	s_delay_alu instid0(VALU_DEP_1) | instskip(NEXT) | instid1(VALU_DEP_1)
	v_mul_f64 v[209:210], v[207:208], v[205:206]
	v_fma_f64 v[190:191], -v[190:191], v[209:210], v[207:208]
	s_delay_alu instid0(VALU_DEP_1) | instskip(NEXT) | instid1(VALU_DEP_1)
	v_div_fmas_f64 v[190:191], v[190:191], v[205:206], v[209:210]
	v_div_fixup_f64 v[190:191], v[190:191], v[188:189], 1.0
	s_delay_alu instid0(VALU_DEP_1)
	v_mul_f64 v[188:189], v[197:198], v[190:191]
	v_xor_b32_e32 v191, 0x80000000, v191
.LBB92_973:
	s_and_not1_saveexec_b32 s2, s2
	s_cbranch_execz .LBB92_975
; %bb.974:
	s_delay_alu instid0(VALU_DEP_1) | instskip(SKIP_1) | instid1(VALU_DEP_2)
	v_div_scale_f64 v[197:198], null, v[188:189], v[188:189], v[190:191]
	v_div_scale_f64 v[209:210], vcc_lo, v[190:191], v[188:189], v[190:191]
	v_rcp_f64_e32 v[205:206], v[197:198]
	s_waitcnt_depctr 0xfff
	v_fma_f64 v[207:208], -v[197:198], v[205:206], 1.0
	s_delay_alu instid0(VALU_DEP_1) | instskip(NEXT) | instid1(VALU_DEP_1)
	v_fma_f64 v[205:206], v[205:206], v[207:208], v[205:206]
	v_fma_f64 v[207:208], -v[197:198], v[205:206], 1.0
	s_delay_alu instid0(VALU_DEP_1) | instskip(NEXT) | instid1(VALU_DEP_1)
	v_fma_f64 v[205:206], v[205:206], v[207:208], v[205:206]
	v_mul_f64 v[207:208], v[209:210], v[205:206]
	s_delay_alu instid0(VALU_DEP_1) | instskip(NEXT) | instid1(VALU_DEP_1)
	v_fma_f64 v[197:198], -v[197:198], v[207:208], v[209:210]
	v_div_fmas_f64 v[197:198], v[197:198], v[205:206], v[207:208]
	s_delay_alu instid0(VALU_DEP_1) | instskip(NEXT) | instid1(VALU_DEP_1)
	v_div_fixup_f64 v[197:198], v[197:198], v[188:189], v[190:191]
	v_fma_f64 v[188:189], v[190:191], v[197:198], v[188:189]
	s_delay_alu instid0(VALU_DEP_1) | instskip(NEXT) | instid1(VALU_DEP_1)
	v_div_scale_f64 v[190:191], null, v[188:189], v[188:189], 1.0
	v_rcp_f64_e32 v[205:206], v[190:191]
	s_waitcnt_depctr 0xfff
	v_fma_f64 v[207:208], -v[190:191], v[205:206], 1.0
	s_delay_alu instid0(VALU_DEP_1) | instskip(NEXT) | instid1(VALU_DEP_1)
	v_fma_f64 v[205:206], v[205:206], v[207:208], v[205:206]
	v_fma_f64 v[207:208], -v[190:191], v[205:206], 1.0
	s_delay_alu instid0(VALU_DEP_1) | instskip(SKIP_1) | instid1(VALU_DEP_1)
	v_fma_f64 v[205:206], v[205:206], v[207:208], v[205:206]
	v_div_scale_f64 v[207:208], vcc_lo, 1.0, v[188:189], 1.0
	v_mul_f64 v[209:210], v[207:208], v[205:206]
	s_delay_alu instid0(VALU_DEP_1) | instskip(NEXT) | instid1(VALU_DEP_1)
	v_fma_f64 v[190:191], -v[190:191], v[209:210], v[207:208]
	v_div_fmas_f64 v[190:191], v[190:191], v[205:206], v[209:210]
	s_delay_alu instid0(VALU_DEP_1) | instskip(NEXT) | instid1(VALU_DEP_1)
	v_div_fixup_f64 v[188:189], v[190:191], v[188:189], 1.0
	v_mul_f64 v[190:191], v[197:198], -v[188:189]
.LBB92_975:
	s_or_b32 exec_lo, exec_lo, s2
.LBB92_976:
	s_delay_alu instid0(SALU_CYCLE_1)
	s_or_b32 exec_lo, exec_lo, s3
	v_mov_b32_e32 v197, 46
	s_mov_b32 s2, exec_lo
	v_cmpx_ne_u32_e64 v204, v196
	s_cbranch_execz .LBB92_982
; %bb.977:
	s_mov_b32 s3, exec_lo
	v_cmpx_eq_u32_e32 46, v204
	s_cbranch_execz .LBB92_981
; %bb.978:
	v_cmp_ne_u32_e32 vcc_lo, 46, v196
	s_xor_b32 s4, s4, -1
	s_delay_alu instid0(SALU_CYCLE_1) | instskip(NEXT) | instid1(SALU_CYCLE_1)
	s_and_b32 s5, s4, vcc_lo
	s_and_saveexec_b32 s4, s5
	s_cbranch_execz .LBB92_980
; %bb.979:
	v_ashrrev_i32_e32 v197, 31, v196
	s_delay_alu instid0(VALU_DEP_1) | instskip(NEXT) | instid1(VALU_DEP_1)
	v_lshlrev_b64 v[197:198], 2, v[196:197]
	v_add_co_u32 v197, vcc_lo, v194, v197
	s_delay_alu instid0(VALU_DEP_2)
	v_add_co_ci_u32_e32 v198, vcc_lo, v195, v198, vcc_lo
	s_clause 0x1
	flat_load_b32 v202, v[197:198]
	flat_load_b32 v203, v[194:195] offset:184
	s_waitcnt vmcnt(1) lgkmcnt(1)
	flat_store_b32 v[194:195], v202 offset:184
	s_waitcnt vmcnt(0) lgkmcnt(1)
	flat_store_b32 v[197:198], v203
.LBB92_980:
	s_or_b32 exec_lo, exec_lo, s4
	v_mov_b32_e32 v204, v196
	v_mov_b32_e32 v202, v196
.LBB92_981:
	s_or_b32 exec_lo, exec_lo, s3
	s_delay_alu instid0(VALU_DEP_2)
	v_mov_b32_e32 v197, v204
.LBB92_982:
	s_or_b32 exec_lo, exec_lo, s2
	s_delay_alu instid0(SALU_CYCLE_1)
	s_mov_b32 s2, exec_lo
	s_waitcnt lgkmcnt(0)
	s_waitcnt_vscnt null, 0x0
	s_barrier
	buffer_gl0_inv
	v_cmpx_lt_i32_e32 46, v197
; %bb.983:
	v_mul_f64 v[194:195], v[190:191], v[2:3]
	v_mul_f64 v[2:3], v[188:189], v[2:3]
	s_delay_alu instid0(VALU_DEP_2) | instskip(NEXT) | instid1(VALU_DEP_2)
	v_fma_f64 v[188:189], v[188:189], v[0:1], -v[194:195]
	v_fma_f64 v[2:3], v[190:191], v[0:1], v[2:3]
	s_delay_alu instid0(VALU_DEP_2)
	v_dual_mov_b32 v0, v188 :: v_dual_mov_b32 v1, v189
; %bb.984:
	s_or_b32 exec_lo, exec_lo, s2
	s_load_b256 s[0:7], s[0:1], 0x28
	v_ashrrev_i32_e32 v198, 31, v197
	s_mov_b32 s9, exec_lo
	s_waitcnt lgkmcnt(0)
	s_barrier
	buffer_gl0_inv
	v_cmpx_gt_i32_e32 47, v197
	s_cbranch_execz .LBB92_986
; %bb.985:
	v_mul_lo_u32 v190, v193, s4
	v_mul_lo_u32 v191, v192, s5
	v_mad_u64_u32 v[188:189], null, v192, s4, 0
	s_lshl_b64 s[2:3], s[2:3], 2
	s_delay_alu instid0(SALU_CYCLE_1) | instskip(SKIP_1) | instid1(VALU_DEP_1)
	s_add_u32 s0, s2, s0
	s_addc_u32 s1, s3, s1
	v_add3_u32 v189, v189, v191, v190
	v_lshlrev_b64 v[190:191], 2, v[197:198]
	s_delay_alu instid0(VALU_DEP_2) | instskip(NEXT) | instid1(VALU_DEP_1)
	v_lshlrev_b64 v[188:189], 2, v[188:189]
	v_add_co_u32 v188, vcc_lo, s0, v188
	s_delay_alu instid0(VALU_DEP_2) | instskip(NEXT) | instid1(VALU_DEP_2)
	v_add_co_ci_u32_e32 v189, vcc_lo, s1, v189, vcc_lo
	v_add_co_u32 v188, vcc_lo, v188, v190
	s_delay_alu instid0(VALU_DEP_2)
	v_add_co_ci_u32_e32 v189, vcc_lo, v189, v191, vcc_lo
	v_add3_u32 v190, v202, s13, 1
	global_store_b32 v[188:189], v190, off
.LBB92_986:
	s_or_b32 exec_lo, exec_lo, s9
	s_delay_alu instid0(SALU_CYCLE_1)
	s_mov_b32 s1, exec_lo
	v_cmpx_eq_u32_e32 0, v197
	s_cbranch_execz .LBB92_989
; %bb.987:
	v_lshlrev_b64 v[188:189], 2, v[192:193]
	v_cmp_lt_i32_e64 s0, 0, v201
	s_delay_alu instid0(VALU_DEP_2) | instskip(NEXT) | instid1(VALU_DEP_3)
	v_add_co_u32 v188, vcc_lo, s6, v188
	v_add_co_ci_u32_e32 v189, vcc_lo, s7, v189, vcc_lo
	global_load_b32 v190, v[188:189], off
	s_waitcnt vmcnt(0)
	v_cmp_eq_u32_e32 vcc_lo, 0, v190
	s_and_b32 s0, vcc_lo, s0
	s_delay_alu instid0(SALU_CYCLE_1)
	s_and_b32 exec_lo, exec_lo, s0
	s_cbranch_execz .LBB92_989
; %bb.988:
	v_add_nc_u32_e32 v190, s13, v201
	global_store_b32 v[188:189], v190, off
.LBB92_989:
	s_or_b32 exec_lo, exec_lo, s1
	v_add3_u32 v188, s8, s8, v197
	v_lshlrev_b64 v[190:191], 4, v[197:198]
	s_delay_alu instid0(VALU_DEP_2) | instskip(SKIP_1) | instid1(VALU_DEP_3)
	v_add_nc_u32_e32 v192, s8, v188
	v_ashrrev_i32_e32 v189, 31, v188
	v_add_co_u32 v190, vcc_lo, v199, v190
	s_delay_alu instid0(VALU_DEP_4) | instskip(NEXT) | instid1(VALU_DEP_4)
	v_add_co_ci_u32_e32 v191, vcc_lo, v200, v191, vcc_lo
	v_add_nc_u32_e32 v196, s8, v192
	s_delay_alu instid0(VALU_DEP_3) | instskip(SKIP_1) | instid1(VALU_DEP_4)
	v_add_co_u32 v194, vcc_lo, v190, s10
	v_ashrrev_i32_e32 v193, 31, v192
	v_add_co_ci_u32_e32 v195, vcc_lo, s11, v191, vcc_lo
	v_lshlrev_b64 v[188:189], 4, v[188:189]
	v_ashrrev_i32_e32 v197, 31, v196
	s_clause 0x1
	global_store_b128 v[190:191], v[180:183], off
	global_store_b128 v[194:195], v[184:187], off
	v_lshlrev_b64 v[180:181], 4, v[192:193]
	v_add_nc_u32_e32 v186, s8, v196
	v_add_co_u32 v182, vcc_lo, v199, v188
	v_lshlrev_b64 v[184:185], 4, v[196:197]
	v_add_co_ci_u32_e32 v183, vcc_lo, v200, v189, vcc_lo
	v_add_co_u32 v180, vcc_lo, v199, v180
	v_add_co_ci_u32_e32 v181, vcc_lo, v200, v181, vcc_lo
	s_delay_alu instid0(VALU_DEP_4)
	v_add_co_u32 v184, vcc_lo, v199, v184
	v_add_nc_u32_e32 v188, s8, v186
	v_add_co_ci_u32_e32 v185, vcc_lo, v200, v185, vcc_lo
	v_ashrrev_i32_e32 v187, 31, v186
	global_store_b128 v[182:183], v[176:179], off
	v_ashrrev_i32_e32 v189, 31, v188
	s_clause 0x1
	global_store_b128 v[180:181], v[172:175], off
	global_store_b128 v[184:185], v[168:171], off
	v_add_nc_u32_e32 v170, s8, v188
	v_lshlrev_b64 v[176:177], 4, v[186:187]
	v_lshlrev_b64 v[168:169], 4, v[188:189]
	s_delay_alu instid0(VALU_DEP_3) | instskip(SKIP_1) | instid1(VALU_DEP_4)
	v_add_nc_u32_e32 v174, s8, v170
	v_ashrrev_i32_e32 v171, 31, v170
	v_add_co_u32 v172, vcc_lo, v199, v176
	v_add_co_ci_u32_e32 v173, vcc_lo, v200, v177, vcc_lo
	s_delay_alu instid0(VALU_DEP_4)
	v_add_nc_u32_e32 v176, s8, v174
	v_add_co_u32 v168, vcc_lo, v199, v168
	v_ashrrev_i32_e32 v175, 31, v174
	v_add_co_ci_u32_e32 v169, vcc_lo, v200, v169, vcc_lo
	v_lshlrev_b64 v[170:171], 4, v[170:171]
	v_ashrrev_i32_e32 v177, 31, v176
	s_clause 0x1
	global_store_b128 v[172:173], v[164:167], off
	global_store_b128 v[168:169], v[160:163], off
	v_lshlrev_b64 v[160:161], 4, v[174:175]
	v_add_nc_u32_e32 v166, s8, v176
	v_add_co_u32 v162, vcc_lo, v199, v170
	v_lshlrev_b64 v[164:165], 4, v[176:177]
	v_add_co_ci_u32_e32 v163, vcc_lo, v200, v171, vcc_lo
	v_add_co_u32 v160, vcc_lo, v199, v160
	v_add_co_ci_u32_e32 v161, vcc_lo, v200, v161, vcc_lo
	s_delay_alu instid0(VALU_DEP_4)
	v_add_co_u32 v164, vcc_lo, v199, v164
	v_add_nc_u32_e32 v168, s8, v166
	v_add_co_ci_u32_e32 v165, vcc_lo, v200, v165, vcc_lo
	v_ashrrev_i32_e32 v167, 31, v166
	global_store_b128 v[162:163], v[156:159], off
	v_ashrrev_i32_e32 v169, 31, v168
	s_clause 0x1
	global_store_b128 v[160:161], v[152:155], off
	global_store_b128 v[164:165], v[148:151], off
	v_add_nc_u32_e32 v150, s8, v168
	v_lshlrev_b64 v[156:157], 4, v[166:167]
	v_lshlrev_b64 v[148:149], 4, v[168:169]
	s_delay_alu instid0(VALU_DEP_3) | instskip(SKIP_1) | instid1(VALU_DEP_4)
	v_add_nc_u32_e32 v154, s8, v150
	v_ashrrev_i32_e32 v151, 31, v150
	v_add_co_u32 v152, vcc_lo, v199, v156
	v_add_co_ci_u32_e32 v153, vcc_lo, v200, v157, vcc_lo
	s_delay_alu instid0(VALU_DEP_4)
	v_add_nc_u32_e32 v156, s8, v154
	;; [unrolled: 35-line block ×7, first 2 shown]
	v_add_co_u32 v48, vcc_lo, v199, v48
	v_ashrrev_i32_e32 v55, 31, v54
	v_add_co_ci_u32_e32 v49, vcc_lo, v200, v49, vcc_lo
	v_lshlrev_b64 v[50:51], 4, v[50:51]
	v_ashrrev_i32_e32 v57, 31, v56
	s_clause 0x1
	global_store_b128 v[52:53], v[44:47], off
	global_store_b128 v[48:49], v[40:43], off
	v_lshlrev_b64 v[40:41], 4, v[54:55]
	v_add_nc_u32_e32 v46, s8, v56
	v_add_co_u32 v42, vcc_lo, v199, v50
	v_lshlrev_b64 v[44:45], 4, v[56:57]
	v_add_co_ci_u32_e32 v43, vcc_lo, v200, v51, vcc_lo
	v_add_co_u32 v40, vcc_lo, v199, v40
	v_add_nc_u32_e32 v48, s8, v46
	v_add_co_ci_u32_e32 v41, vcc_lo, v200, v41, vcc_lo
	v_ashrrev_i32_e32 v47, 31, v46
	v_add_co_u32 v44, vcc_lo, v199, v44
	v_add_co_ci_u32_e32 v45, vcc_lo, v200, v45, vcc_lo
	v_ashrrev_i32_e32 v49, 31, v48
	global_store_b128 v[42:43], v[36:39], off
	v_lshlrev_b64 v[36:37], 4, v[46:47]
	s_clause 0x1
	global_store_b128 v[40:41], v[32:35], off
	global_store_b128 v[44:45], v[28:31], off
	v_add_nc_u32_e32 v30, s8, v48
	v_lshlrev_b64 v[28:29], 4, v[48:49]
	v_add_co_u32 v32, vcc_lo, v199, v36
	s_delay_alu instid0(VALU_DEP_3) | instskip(SKIP_1) | instid1(VALU_DEP_4)
	v_add_nc_u32_e32 v34, s8, v30
	v_add_co_ci_u32_e32 v33, vcc_lo, v200, v37, vcc_lo
	v_add_co_u32 v28, vcc_lo, v199, v28
	v_add_co_ci_u32_e32 v29, vcc_lo, v200, v29, vcc_lo
	s_delay_alu instid0(VALU_DEP_4)
	v_add_nc_u32_e32 v36, s8, v34
	v_ashrrev_i32_e32 v31, 31, v30
	s_clause 0x1
	global_store_b128 v[32:33], v[24:27], off
	global_store_b128 v[28:29], v[20:23], off
	v_ashrrev_i32_e32 v35, 31, v34
	v_add_nc_u32_e32 v22, s8, v36
	v_lshlrev_b64 v[24:25], 4, v[30:31]
	v_ashrrev_i32_e32 v37, 31, v36
	s_delay_alu instid0(VALU_DEP_4) | instskip(NEXT) | instid1(VALU_DEP_4)
	v_lshlrev_b64 v[20:21], 4, v[34:35]
	v_add_nc_u32_e32 v28, s8, v22
	v_ashrrev_i32_e32 v23, 31, v22
	v_add_co_u32 v24, vcc_lo, v199, v24
	v_lshlrev_b64 v[26:27], 4, v[36:37]
	s_delay_alu instid0(VALU_DEP_4)
	v_ashrrev_i32_e32 v29, 31, v28
	v_add_co_ci_u32_e32 v25, vcc_lo, v200, v25, vcc_lo
	v_add_co_u32 v20, vcc_lo, v199, v20
	v_lshlrev_b64 v[22:23], 4, v[22:23]
	v_add_co_ci_u32_e32 v21, vcc_lo, v200, v21, vcc_lo
	v_add_co_u32 v26, vcc_lo, v199, v26
	v_lshlrev_b64 v[28:29], 4, v[28:29]
	v_add_co_ci_u32_e32 v27, vcc_lo, v200, v27, vcc_lo
	v_add_co_u32 v22, vcc_lo, v199, v22
	v_add_co_ci_u32_e32 v23, vcc_lo, v200, v23, vcc_lo
	s_delay_alu instid0(VALU_DEP_4)
	v_add_co_u32 v28, vcc_lo, v199, v28
	v_add_co_ci_u32_e32 v29, vcc_lo, v200, v29, vcc_lo
	s_clause 0x4
	global_store_b128 v[24:25], v[16:19], off
	global_store_b128 v[20:21], v[12:15], off
	;; [unrolled: 1-line block ×5, first 2 shown]
.LBB92_990:
	s_nop 0
	s_sendmsg sendmsg(MSG_DEALLOC_VGPRS)
	s_endpgm
	.section	.rodata,"a",@progbits
	.p2align	6, 0x0
	.amdhsa_kernel _ZN9rocsolver6v33100L18getf2_small_kernelILi47E19rocblas_complex_numIdEiiPKPS3_EEvT1_T3_lS7_lPS7_llPT2_S7_S7_S9_l
		.amdhsa_group_segment_fixed_size 0
		.amdhsa_private_segment_fixed_size 0
		.amdhsa_kernarg_size 352
		.amdhsa_user_sgpr_count 14
		.amdhsa_user_sgpr_dispatch_ptr 0
		.amdhsa_user_sgpr_queue_ptr 0
		.amdhsa_user_sgpr_kernarg_segment_ptr 1
		.amdhsa_user_sgpr_dispatch_id 0
		.amdhsa_user_sgpr_private_segment_size 0
		.amdhsa_wavefront_size32 1
		.amdhsa_uses_dynamic_stack 0
		.amdhsa_enable_private_segment 0
		.amdhsa_system_sgpr_workgroup_id_x 1
		.amdhsa_system_sgpr_workgroup_id_y 1
		.amdhsa_system_sgpr_workgroup_id_z 0
		.amdhsa_system_sgpr_workgroup_info 0
		.amdhsa_system_vgpr_workitem_id 1
		.amdhsa_next_free_vgpr 247
		.amdhsa_next_free_sgpr 18
		.amdhsa_reserve_vcc 1
		.amdhsa_float_round_mode_32 0
		.amdhsa_float_round_mode_16_64 0
		.amdhsa_float_denorm_mode_32 3
		.amdhsa_float_denorm_mode_16_64 3
		.amdhsa_dx10_clamp 1
		.amdhsa_ieee_mode 1
		.amdhsa_fp16_overflow 0
		.amdhsa_workgroup_processor_mode 1
		.amdhsa_memory_ordered 1
		.amdhsa_forward_progress 0
		.amdhsa_shared_vgpr_count 0
		.amdhsa_exception_fp_ieee_invalid_op 0
		.amdhsa_exception_fp_denorm_src 0
		.amdhsa_exception_fp_ieee_div_zero 0
		.amdhsa_exception_fp_ieee_overflow 0
		.amdhsa_exception_fp_ieee_underflow 0
		.amdhsa_exception_fp_ieee_inexact 0
		.amdhsa_exception_int_div_zero 0
	.end_amdhsa_kernel
	.section	.text._ZN9rocsolver6v33100L18getf2_small_kernelILi47E19rocblas_complex_numIdEiiPKPS3_EEvT1_T3_lS7_lPS7_llPT2_S7_S7_S9_l,"axG",@progbits,_ZN9rocsolver6v33100L18getf2_small_kernelILi47E19rocblas_complex_numIdEiiPKPS3_EEvT1_T3_lS7_lPS7_llPT2_S7_S7_S9_l,comdat
.Lfunc_end92:
	.size	_ZN9rocsolver6v33100L18getf2_small_kernelILi47E19rocblas_complex_numIdEiiPKPS3_EEvT1_T3_lS7_lPS7_llPT2_S7_S7_S9_l, .Lfunc_end92-_ZN9rocsolver6v33100L18getf2_small_kernelILi47E19rocblas_complex_numIdEiiPKPS3_EEvT1_T3_lS7_lPS7_llPT2_S7_S7_S9_l
                                        ; -- End function
	.section	.AMDGPU.csdata,"",@progbits
; Kernel info:
; codeLenInByte = 140568
; NumSgprs: 20
; NumVgprs: 247
; ScratchSize: 0
; MemoryBound: 0
; FloatMode: 240
; IeeeMode: 1
; LDSByteSize: 0 bytes/workgroup (compile time only)
; SGPRBlocks: 2
; VGPRBlocks: 30
; NumSGPRsForWavesPerEU: 20
; NumVGPRsForWavesPerEU: 247
; Occupancy: 5
; WaveLimiterHint : 1
; COMPUTE_PGM_RSRC2:SCRATCH_EN: 0
; COMPUTE_PGM_RSRC2:USER_SGPR: 14
; COMPUTE_PGM_RSRC2:TRAP_HANDLER: 0
; COMPUTE_PGM_RSRC2:TGID_X_EN: 1
; COMPUTE_PGM_RSRC2:TGID_Y_EN: 1
; COMPUTE_PGM_RSRC2:TGID_Z_EN: 0
; COMPUTE_PGM_RSRC2:TIDIG_COMP_CNT: 1
	.section	.text._ZN9rocsolver6v33100L23getf2_npvt_small_kernelILi47E19rocblas_complex_numIdEiiPKPS3_EEvT1_T3_lS7_lPT2_S7_S7_,"axG",@progbits,_ZN9rocsolver6v33100L23getf2_npvt_small_kernelILi47E19rocblas_complex_numIdEiiPKPS3_EEvT1_T3_lS7_lPT2_S7_S7_,comdat
	.globl	_ZN9rocsolver6v33100L23getf2_npvt_small_kernelILi47E19rocblas_complex_numIdEiiPKPS3_EEvT1_T3_lS7_lPT2_S7_S7_ ; -- Begin function _ZN9rocsolver6v33100L23getf2_npvt_small_kernelILi47E19rocblas_complex_numIdEiiPKPS3_EEvT1_T3_lS7_lPT2_S7_S7_
	.p2align	8
	.type	_ZN9rocsolver6v33100L23getf2_npvt_small_kernelILi47E19rocblas_complex_numIdEiiPKPS3_EEvT1_T3_lS7_lPT2_S7_S7_,@function
_ZN9rocsolver6v33100L23getf2_npvt_small_kernelILi47E19rocblas_complex_numIdEiiPKPS3_EEvT1_T3_lS7_lPT2_S7_S7_: ; @_ZN9rocsolver6v33100L23getf2_npvt_small_kernelILi47E19rocblas_complex_numIdEiiPKPS3_EEvT1_T3_lS7_lPT2_S7_S7_
; %bb.0:
	s_clause 0x1
	s_load_b32 s2, s[0:1], 0x44
	s_load_b64 s[10:11], s[0:1], 0x30
	v_bfe_u32 v1, v0, 10, 10
	s_waitcnt lgkmcnt(0)
	s_lshr_b32 s9, s2, 16
	s_mov_b32 s2, exec_lo
	s_delay_alu instid0(VALU_DEP_1) | instskip(NEXT) | instid1(VALU_DEP_1)
	v_mad_u64_u32 v[249:250], null, s15, s9, v[1:2]
	v_cmpx_gt_i32_e64 s10, v249
	s_cbranch_execz .LBB93_428
; %bb.1:
	s_clause 0x1
	s_load_b128 s[4:7], s[0:1], 0x8
	s_load_b32 s8, s[0:1], 0x18
	v_ashrrev_i32_e32 v250, 31, v249
	v_and_b32_e32 v242, 0x3ff, v0
	v_mad_u32_u24 v244, 0x2f0, v1, 0
	v_lshlrev_b32_e32 v1, 4, v1
	s_mulk_i32 s9, 0x2f0
	v_lshlrev_b64 v[2:3], 3, v[249:250]
	s_delay_alu instid0(VALU_DEP_2) | instskip(SKIP_1) | instid1(VALU_DEP_2)
	v_add3_u32 v243, 0, s9, v1
	s_waitcnt lgkmcnt(0)
	v_add_co_u32 v2, vcc_lo, s4, v2
	s_delay_alu instid0(VALU_DEP_3)
	v_add_co_ci_u32_e32 v3, vcc_lo, s5, v3, vcc_lo
	v_add3_u32 v4, s8, s8, v242
	s_lshl_b64 s[2:3], s[6:7], 4
	s_ashr_i32 s9, s8, 31
	global_load_b64 v[2:3], v[2:3], off
	s_lshl_b64 s[4:5], s[8:9], 4
	v_add_nc_u32_e32 v6, s8, v4
	v_ashrrev_i32_e32 v5, 31, v4
	s_delay_alu instid0(VALU_DEP_2) | instskip(SKIP_1) | instid1(VALU_DEP_3)
	v_add_nc_u32_e32 v10, s8, v6
	v_ashrrev_i32_e32 v7, 31, v6
	v_lshlrev_b64 v[8:9], 4, v[4:5]
	s_delay_alu instid0(VALU_DEP_3) | instskip(SKIP_1) | instid1(VALU_DEP_4)
	v_add_nc_u32_e32 v12, s8, v10
	v_ashrrev_i32_e32 v11, 31, v10
	v_lshlrev_b64 v[6:7], 4, v[6:7]
	s_delay_alu instid0(VALU_DEP_3) | instskip(SKIP_1) | instid1(VALU_DEP_4)
	v_add_nc_u32_e32 v14, s8, v12
	v_ashrrev_i32_e32 v13, 31, v12
	v_lshlrev_b64 v[4:5], 4, v[10:11]
	s_delay_alu instid0(VALU_DEP_3) | instskip(NEXT) | instid1(VALU_DEP_3)
	v_add_nc_u32_e32 v16, s8, v14
	v_lshlrev_b64 v[10:11], 4, v[12:13]
	v_ashrrev_i32_e32 v15, 31, v14
	s_delay_alu instid0(VALU_DEP_3) | instskip(SKIP_1) | instid1(VALU_DEP_3)
	v_add_nc_u32_e32 v18, s8, v16
	v_ashrrev_i32_e32 v17, 31, v16
	v_lshlrev_b64 v[14:15], 4, v[14:15]
	s_delay_alu instid0(VALU_DEP_3) | instskip(SKIP_1) | instid1(VALU_DEP_4)
	v_add_nc_u32_e32 v20, s8, v18
	v_ashrrev_i32_e32 v19, 31, v18
	v_lshlrev_b64 v[16:17], 4, v[16:17]
	s_delay_alu instid0(VALU_DEP_3) | instskip(SKIP_1) | instid1(VALU_DEP_4)
	;; [unrolled: 4-line block ×22, first 2 shown]
	v_ashrrev_i32_e32 v59, 31, v58
	v_add_nc_u32_e32 v60, s8, v58
	v_lshlrev_b64 v[56:57], 4, v[56:57]
	s_delay_alu instid0(VALU_DEP_2) | instskip(SKIP_4) | instid1(VALU_DEP_3)
	v_ashrrev_i32_e32 v61, 31, v60
	s_waitcnt vmcnt(0)
	v_add_co_u32 v0, vcc_lo, v2, s2
	v_add_co_ci_u32_e32 v62, vcc_lo, s3, v3, vcc_lo
	v_lshlrev_b64 v[2:3], 4, v[58:59]
	v_add_co_u32 v97, vcc_lo, v0, v8
	s_delay_alu instid0(VALU_DEP_3)
	v_add_co_ci_u32_e32 v98, vcc_lo, v62, v9, vcc_lo
	v_add_co_u32 v95, vcc_lo, v0, v6
	v_add_co_ci_u32_e32 v96, vcc_lo, v62, v7, vcc_lo
	v_add_co_u32 v93, vcc_lo, v0, v4
	;; [unrolled: 2-line block ×27, first 2 shown]
	v_add_co_ci_u32_e32 v24, vcc_lo, v62, v3, vcc_lo
	v_lshlrev_b64 v[2:3], 4, v[60:61]
	s_clause 0x7
	scratch_store_b64 off, v[95:96], off offset:312
	scratch_store_b64 off, v[93:94], off offset:304
	scratch_store_b64 off, v[91:92], off offset:296
	scratch_store_b64 off, v[89:90], off offset:288
	scratch_store_b64 off, v[87:88], off offset:280
	scratch_store_b64 off, v[85:86], off offset:272
	scratch_store_b64 off, v[83:84], off offset:264
	scratch_store_b64 off, v[81:82], off offset:256
	v_add_co_u32 v21, vcc_lo, v0, v2
	v_add_nc_u32_e32 v2, s8, v60
	v_add_co_ci_u32_e32 v22, vcc_lo, v62, v3, vcc_lo
	s_clause 0x3
	scratch_store_b64 off, v[79:80], off offset:248
	scratch_store_b64 off, v[77:78], off offset:240
	;; [unrolled: 1-line block ×4, first 2 shown]
	v_ashrrev_i32_e32 v3, 31, v2
	s_clause 0x3
	scratch_store_b64 off, v[71:72], off offset:216
	scratch_store_b64 off, v[69:70], off offset:208
	;; [unrolled: 1-line block ×4, first 2 shown]
	v_lshlrev_b64 v[3:4], 4, v[2:3]
	v_add_nc_u32_e32 v2, s8, v2
	s_clause 0x3
	scratch_store_b64 off, v[63:64], off offset:184
	scratch_store_b64 off, v[58:59], off offset:176
	;; [unrolled: 1-line block ×4, first 2 shown]
	v_add_co_u32 v19, vcc_lo, v0, v3
	v_ashrrev_i32_e32 v3, 31, v2
	v_add_co_ci_u32_e32 v20, vcc_lo, v62, v4, vcc_lo
	s_clause 0x3
	scratch_store_b64 off, v[35:36], off offset:144
	scratch_store_b64 off, v[33:34], off offset:136
	;; [unrolled: 1-line block ×4, first 2 shown]
	v_lshlrev_b64 v[3:4], 4, v[2:3]
	v_add_nc_u32_e32 v2, s8, v2
	s_clause 0x3
	scratch_store_b64 off, v[27:28], off offset:96
	scratch_store_b64 off, v[25:26], off offset:88
	;; [unrolled: 1-line block ×4, first 2 shown]
	v_add_co_u32 v17, vcc_lo, v0, v3
	v_ashrrev_i32_e32 v3, 31, v2
	v_add_co_ci_u32_e32 v18, vcc_lo, v62, v4, vcc_lo
	s_clause 0x1
	global_load_b128 v[176:179], v[97:98], off
	global_load_b128 v[172:175], v[95:96], off
	v_lshlrev_b64 v[3:4], 4, v[2:3]
	v_add_nc_u32_e32 v2, s8, v2
	s_clause 0x3
	global_load_b128 v[168:171], v[93:94], off
	global_load_b128 v[164:167], v[91:92], off
	global_load_b128 v[160:163], v[89:90], off
	global_load_b128 v[156:159], v[87:88], off
	v_add_co_u32 v15, vcc_lo, v0, v3
	v_ashrrev_i32_e32 v3, 31, v2
	v_add_co_ci_u32_e32 v16, vcc_lo, v62, v4, vcc_lo
	s_clause 0x1
	global_load_b128 v[152:155], v[85:86], off
	global_load_b128 v[148:151], v[83:84], off
	v_lshlrev_b64 v[3:4], 4, v[2:3]
	v_add_nc_u32_e32 v2, s8, v2
	s_clause 0x3
	global_load_b128 v[144:147], v[81:82], off
	global_load_b128 v[140:143], v[79:80], off
	;; [unrolled: 1-line block ×4, first 2 shown]
	v_add_co_u32 v13, vcc_lo, v0, v3
	v_ashrrev_i32_e32 v3, 31, v2
	v_add_co_ci_u32_e32 v14, vcc_lo, v62, v4, vcc_lo
	s_clause 0x3
	scratch_store_b64 off, v[19:20], off offset:56
	scratch_store_b64 off, v[17:18], off offset:48
	;; [unrolled: 1-line block ×4, first 2 shown]
	v_lshlrev_b64 v[3:4], 4, v[2:3]
	v_add_nc_u32_e32 v2, s8, v2
	s_clause 0x3
	global_load_b128 v[128:131], v[73:74], off
	global_load_b128 v[124:127], v[71:72], off
	;; [unrolled: 1-line block ×4, first 2 shown]
	v_add_co_u32 v11, vcc_lo, v0, v3
	v_ashrrev_i32_e32 v3, 31, v2
	v_add_co_ci_u32_e32 v12, vcc_lo, v62, v4, vcc_lo
	s_clause 0x1
	global_load_b128 v[112:115], v[65:66], off
	global_load_b128 v[108:111], v[63:64], off
	v_lshlrev_b64 v[3:4], 4, v[2:3]
	v_add_nc_u32_e32 v2, s8, v2
	s_clause 0x3
	global_load_b128 v[104:107], v[58:59], off
	global_load_b128 v[100:103], v[39:40], off
	;; [unrolled: 1-line block ×4, first 2 shown]
	v_add_co_u32 v9, vcc_lo, v0, v3
	v_ashrrev_i32_e32 v3, 31, v2
	v_add_co_ci_u32_e32 v10, vcc_lo, v62, v4, vcc_lo
	s_clause 0x1
	global_load_b128 v[80:83], v[29:30], off
	global_load_b128 v[76:79], v[27:28], off
	v_lshlrev_b64 v[3:4], 4, v[2:3]
	v_add_nc_u32_e32 v2, s8, v2
	s_clause 0x4
	global_load_b128 v[72:75], v[25:26], off
	global_load_b128 v[68:71], v[23:24], off
	;; [unrolled: 1-line block ×5, first 2 shown]
	v_add_co_u32 v7, vcc_lo, v0, v3
	v_ashrrev_i32_e32 v3, 31, v2
	v_add_co_ci_u32_e32 v8, vcc_lo, v62, v4, vcc_lo
	s_clause 0x1
	global_load_b128 v[48:51], v[13:14], off
	global_load_b128 v[44:47], v[11:12], off
	v_lshlrev_b64 v[3:4], 4, v[2:3]
	v_add_nc_u32_e32 v2, s8, v2
	global_load_b128 v[40:43], v[9:10], off
	v_cmp_ne_u32_e64 s3, 0, v242
	v_cmp_eq_u32_e64 s2, 0, v242
	global_load_b128 v[92:95], v[35:36], off
	v_add_co_u32 v5, vcc_lo, v0, v3
	v_ashrrev_i32_e32 v3, 31, v2
	v_add_co_ci_u32_e32 v6, vcc_lo, v62, v4, vcc_lo
	s_clause 0x3
	scratch_store_b64 off, v[11:12], off offset:24
	scratch_store_b64 off, v[9:10], off offset:16
	;; [unrolled: 1-line block ×3, first 2 shown]
	scratch_store_b64 off, v[5:6], off
	v_lshlrev_b64 v[3:4], 4, v[2:3]
	v_add_nc_u32_e32 v2, s8, v2
	s_delay_alu instid0(VALU_DEP_2) | instskip(NEXT) | instid1(VALU_DEP_2)
	v_add_co_u32 v245, vcc_lo, v0, v3
	v_ashrrev_i32_e32 v3, 31, v2
	s_delay_alu instid0(VALU_DEP_4) | instskip(NEXT) | instid1(VALU_DEP_2)
	v_add_co_ci_u32_e32 v246, vcc_lo, v62, v4, vcc_lo
	v_lshlrev_b64 v[3:4], 4, v[2:3]
	v_add_nc_u32_e32 v2, s8, v2
	s_delay_alu instid0(VALU_DEP_2) | instskip(NEXT) | instid1(VALU_DEP_2)
	v_add_co_u32 v251, vcc_lo, v0, v3
	v_ashrrev_i32_e32 v3, 31, v2
	s_delay_alu instid0(VALU_DEP_4) | instskip(NEXT) | instid1(VALU_DEP_2)
	v_add_co_ci_u32_e32 v252, vcc_lo, v62, v4, vcc_lo
	;; [unrolled: 7-line block ×7, first 2 shown]
	v_lshlrev_b64 v[2:3], 4, v[2:3]
	s_delay_alu instid0(VALU_DEP_1) | instskip(SKIP_1) | instid1(VALU_DEP_3)
	v_add_co_u32 v194, vcc_lo, v0, v2
	v_lshlrev_b32_e32 v2, 4, v242
	v_add_co_ci_u32_e32 v195, vcc_lo, v62, v3, vcc_lo
	s_delay_alu instid0(VALU_DEP_2)
	v_add_co_u32 v2, vcc_lo, v0, v2
	v_add_co_ci_u32_e32 v3, vcc_lo, 0, v62, vcc_lo
	global_load_b128 v[60:63], v[19:20], off
	v_add_co_u32 v0, vcc_lo, v2, s4
	v_add_co_ci_u32_e32 v1, vcc_lo, s5, v3, vcc_lo
	s_clause 0x1
	scratch_store_b64 off, v[97:98], off offset:320
	scratch_store_b64 off, v[2:3], off offset:336
	s_clause 0x1
	global_load_b128 v[184:187], v[2:3], off
	global_load_b128 v[180:183], v[0:1], off
	scratch_store_b64 off, v[0:1], off offset:328 ; 8-byte Folded Spill
	s_clause 0xa
	global_load_b128 v[96:99], v[37:38], off
	global_load_b128 v[36:39], v[7:8], off
	;; [unrolled: 1-line block ×11, first 2 shown]
	s_clause 0x3
	scratch_store_b64 off, v[188:189], off offset:72
	scratch_store_b64 off, v[190:191], off offset:104
	;; [unrolled: 1-line block ×4, first 2 shown]
	s_and_saveexec_b32 s5, s2
	s_cbranch_execz .LBB93_8
; %bb.2:
	s_waitcnt vmcnt(12)
	ds_store_2addr_b64 v243, v[184:185], v[186:187] offset1:1
	s_waitcnt vmcnt(11)
	ds_store_2addr_b64 v244, v[180:181], v[182:183] offset0:2 offset1:3
	ds_store_2addr_b64 v244, v[176:177], v[178:179] offset0:4 offset1:5
	;; [unrolled: 1-line block ×21, first 2 shown]
	s_waitcnt vmcnt(10)
	ds_store_2addr_b64 v244, v[96:97], v[98:99] offset0:44 offset1:45
	ds_store_2addr_b64 v244, v[92:93], v[94:95] offset0:46 offset1:47
	;; [unrolled: 1-line block ×15, first 2 shown]
	s_waitcnt vmcnt(9)
	ds_store_2addr_b64 v244, v[36:37], v[38:39] offset0:74 offset1:75
	s_waitcnt vmcnt(8)
	ds_store_2addr_b64 v244, v[32:33], v[34:35] offset0:76 offset1:77
	;; [unrolled: 2-line block ×10, first 2 shown]
	ds_load_2addr_b64 v[188:191], v243 offset1:1
	s_waitcnt lgkmcnt(0)
	v_cmp_neq_f64_e32 vcc_lo, 0, v[188:189]
	v_cmp_neq_f64_e64 s4, 0, v[190:191]
	s_delay_alu instid0(VALU_DEP_1) | instskip(NEXT) | instid1(SALU_CYCLE_1)
	s_or_b32 s4, vcc_lo, s4
	s_and_b32 exec_lo, exec_lo, s4
	s_cbranch_execz .LBB93_8
; %bb.3:
	v_cmp_gt_f64_e32 vcc_lo, 0, v[188:189]
	v_xor_b32_e32 v192, 0x80000000, v189
	v_xor_b32_e32 v194, 0x80000000, v191
	s_mov_b32 s4, exec_lo
                                        ; implicit-def: $vgpr196_vgpr197
	s_delay_alu instid0(VALU_DEP_2) | instskip(SKIP_4) | instid1(VALU_DEP_1)
	v_cndmask_b32_e32 v193, v189, v192, vcc_lo
	v_cndmask_b32_e32 v192, v188, v188, vcc_lo
	v_cmp_gt_f64_e32 vcc_lo, 0, v[190:191]
	v_cndmask_b32_e32 v195, v191, v194, vcc_lo
	v_cndmask_b32_e32 v194, v190, v190, vcc_lo
	v_cmpx_ngt_f64_e32 v[192:193], v[194:195]
	s_xor_b32 s4, exec_lo, s4
                                        ; implicit-def: $vgpr192_vgpr193_vgpr194_vgpr195
	s_cbranch_execz .LBB93_5
; %bb.4:
	v_div_scale_f64 v[192:193], null, v[190:191], v[190:191], v[188:189]
	v_div_scale_f64 v[198:199], vcc_lo, v[188:189], v[190:191], v[188:189]
	s_delay_alu instid0(VALU_DEP_2) | instskip(SKIP_2) | instid1(VALU_DEP_1)
	v_rcp_f64_e32 v[194:195], v[192:193]
	s_waitcnt_depctr 0xfff
	v_fma_f64 v[196:197], -v[192:193], v[194:195], 1.0
	v_fma_f64 v[194:195], v[194:195], v[196:197], v[194:195]
	s_delay_alu instid0(VALU_DEP_1) | instskip(NEXT) | instid1(VALU_DEP_1)
	v_fma_f64 v[196:197], -v[192:193], v[194:195], 1.0
	v_fma_f64 v[194:195], v[194:195], v[196:197], v[194:195]
	s_delay_alu instid0(VALU_DEP_1) | instskip(NEXT) | instid1(VALU_DEP_1)
	v_mul_f64 v[196:197], v[198:199], v[194:195]
	v_fma_f64 v[192:193], -v[192:193], v[196:197], v[198:199]
	s_delay_alu instid0(VALU_DEP_1) | instskip(NEXT) | instid1(VALU_DEP_1)
	v_div_fmas_f64 v[192:193], v[192:193], v[194:195], v[196:197]
	v_div_fixup_f64 v[192:193], v[192:193], v[190:191], v[188:189]
	s_delay_alu instid0(VALU_DEP_1) | instskip(NEXT) | instid1(VALU_DEP_1)
	v_fma_f64 v[188:189], v[188:189], v[192:193], v[190:191]
	v_div_scale_f64 v[190:191], null, v[188:189], v[188:189], 1.0
	s_delay_alu instid0(VALU_DEP_1) | instskip(SKIP_2) | instid1(VALU_DEP_1)
	v_rcp_f64_e32 v[194:195], v[190:191]
	s_waitcnt_depctr 0xfff
	v_fma_f64 v[196:197], -v[190:191], v[194:195], 1.0
	v_fma_f64 v[194:195], v[194:195], v[196:197], v[194:195]
	s_delay_alu instid0(VALU_DEP_1) | instskip(NEXT) | instid1(VALU_DEP_1)
	v_fma_f64 v[196:197], -v[190:191], v[194:195], 1.0
	v_fma_f64 v[194:195], v[194:195], v[196:197], v[194:195]
	v_div_scale_f64 v[196:197], vcc_lo, 1.0, v[188:189], 1.0
	s_delay_alu instid0(VALU_DEP_1) | instskip(NEXT) | instid1(VALU_DEP_1)
	v_mul_f64 v[198:199], v[196:197], v[194:195]
	v_fma_f64 v[190:191], -v[190:191], v[198:199], v[196:197]
	s_delay_alu instid0(VALU_DEP_1) | instskip(NEXT) | instid1(VALU_DEP_1)
	v_div_fmas_f64 v[190:191], v[190:191], v[194:195], v[198:199]
	v_div_fixup_f64 v[194:195], v[190:191], v[188:189], 1.0
                                        ; implicit-def: $vgpr188_vgpr189
	s_delay_alu instid0(VALU_DEP_1)
	v_mul_f64 v[196:197], v[192:193], v[194:195]
	v_xor_b32_e32 v195, 0x80000000, v195
.LBB93_5:
	s_and_not1_saveexec_b32 s4, s4
	s_cbranch_execz .LBB93_7
; %bb.6:
	v_div_scale_f64 v[192:193], null, v[188:189], v[188:189], v[190:191]
	v_div_scale_f64 v[198:199], vcc_lo, v[190:191], v[188:189], v[190:191]
	s_delay_alu instid0(VALU_DEP_2) | instskip(SKIP_2) | instid1(VALU_DEP_1)
	v_rcp_f64_e32 v[194:195], v[192:193]
	s_waitcnt_depctr 0xfff
	v_fma_f64 v[196:197], -v[192:193], v[194:195], 1.0
	v_fma_f64 v[194:195], v[194:195], v[196:197], v[194:195]
	s_delay_alu instid0(VALU_DEP_1) | instskip(NEXT) | instid1(VALU_DEP_1)
	v_fma_f64 v[196:197], -v[192:193], v[194:195], 1.0
	v_fma_f64 v[194:195], v[194:195], v[196:197], v[194:195]
	s_delay_alu instid0(VALU_DEP_1) | instskip(NEXT) | instid1(VALU_DEP_1)
	v_mul_f64 v[196:197], v[198:199], v[194:195]
	v_fma_f64 v[192:193], -v[192:193], v[196:197], v[198:199]
	s_delay_alu instid0(VALU_DEP_1) | instskip(NEXT) | instid1(VALU_DEP_1)
	v_div_fmas_f64 v[192:193], v[192:193], v[194:195], v[196:197]
	v_div_fixup_f64 v[192:193], v[192:193], v[188:189], v[190:191]
	s_delay_alu instid0(VALU_DEP_1) | instskip(NEXT) | instid1(VALU_DEP_1)
	v_fma_f64 v[188:189], v[190:191], v[192:193], v[188:189]
	v_div_scale_f64 v[190:191], null, v[188:189], v[188:189], 1.0
	s_delay_alu instid0(VALU_DEP_1) | instskip(SKIP_2) | instid1(VALU_DEP_1)
	v_rcp_f64_e32 v[194:195], v[190:191]
	s_waitcnt_depctr 0xfff
	v_fma_f64 v[196:197], -v[190:191], v[194:195], 1.0
	v_fma_f64 v[194:195], v[194:195], v[196:197], v[194:195]
	s_delay_alu instid0(VALU_DEP_1) | instskip(NEXT) | instid1(VALU_DEP_1)
	v_fma_f64 v[196:197], -v[190:191], v[194:195], 1.0
	v_fma_f64 v[194:195], v[194:195], v[196:197], v[194:195]
	v_div_scale_f64 v[196:197], vcc_lo, 1.0, v[188:189], 1.0
	s_delay_alu instid0(VALU_DEP_1) | instskip(NEXT) | instid1(VALU_DEP_1)
	v_mul_f64 v[198:199], v[196:197], v[194:195]
	v_fma_f64 v[190:191], -v[190:191], v[198:199], v[196:197]
	s_delay_alu instid0(VALU_DEP_1) | instskip(NEXT) | instid1(VALU_DEP_1)
	v_div_fmas_f64 v[190:191], v[190:191], v[194:195], v[198:199]
	v_div_fixup_f64 v[196:197], v[190:191], v[188:189], 1.0
	s_delay_alu instid0(VALU_DEP_1)
	v_mul_f64 v[194:195], v[192:193], -v[196:197]
.LBB93_7:
	s_or_b32 exec_lo, exec_lo, s4
	ds_store_2addr_b64 v243, v[196:197], v[194:195] offset1:1
.LBB93_8:
	s_or_b32 exec_lo, exec_lo, s5
	s_waitcnt vmcnt(0) lgkmcnt(0)
	s_waitcnt_vscnt null, 0x0
	s_barrier
	buffer_gl0_inv
	ds_load_2addr_b64 v[188:191], v243 offset1:1
	s_waitcnt lgkmcnt(0)
	scratch_store_b128 off, v[188:191], off offset:344 ; 16-byte Folded Spill
	s_and_saveexec_b32 s4, s3
	s_cbranch_execz .LBB93_10
; %bb.9:
	scratch_load_b128 v[190:193], off, off offset:344 ; 16-byte Folded Reload
	s_waitcnt vmcnt(0)
	v_mul_f64 v[188:189], v[192:193], v[186:187]
	v_mul_f64 v[186:187], v[190:191], v[186:187]
	s_delay_alu instid0(VALU_DEP_2) | instskip(NEXT) | instid1(VALU_DEP_2)
	v_fma_f64 v[188:189], v[190:191], v[184:185], -v[188:189]
	v_fma_f64 v[186:187], v[192:193], v[184:185], v[186:187]
	ds_load_2addr_b64 v[190:193], v244 offset0:2 offset1:3
	s_waitcnt lgkmcnt(0)
	v_mul_f64 v[184:185], v[192:193], v[186:187]
	s_delay_alu instid0(VALU_DEP_1) | instskip(SKIP_1) | instid1(VALU_DEP_2)
	v_fma_f64 v[184:185], v[190:191], v[188:189], -v[184:185]
	v_mul_f64 v[190:191], v[190:191], v[186:187]
	v_add_f64 v[180:181], v[180:181], -v[184:185]
	s_delay_alu instid0(VALU_DEP_2) | instskip(NEXT) | instid1(VALU_DEP_1)
	v_fma_f64 v[190:191], v[192:193], v[188:189], v[190:191]
	v_add_f64 v[182:183], v[182:183], -v[190:191]
	ds_load_2addr_b64 v[190:193], v244 offset0:4 offset1:5
	s_waitcnt lgkmcnt(0)
	v_mul_f64 v[184:185], v[192:193], v[186:187]
	s_delay_alu instid0(VALU_DEP_1) | instskip(SKIP_1) | instid1(VALU_DEP_2)
	v_fma_f64 v[184:185], v[190:191], v[188:189], -v[184:185]
	v_mul_f64 v[190:191], v[190:191], v[186:187]
	v_add_f64 v[176:177], v[176:177], -v[184:185]
	s_delay_alu instid0(VALU_DEP_2) | instskip(NEXT) | instid1(VALU_DEP_1)
	v_fma_f64 v[190:191], v[192:193], v[188:189], v[190:191]
	v_add_f64 v[178:179], v[178:179], -v[190:191]
	;; [unrolled: 10-line block ×45, first 2 shown]
	ds_load_2addr_b64 v[190:193], v244 offset0:92 offset1:93
	s_waitcnt lgkmcnt(0)
	v_mul_f64 v[184:185], v[192:193], v[186:187]
	s_delay_alu instid0(VALU_DEP_1) | instskip(SKIP_1) | instid1(VALU_DEP_2)
	v_fma_f64 v[184:185], v[190:191], v[188:189], -v[184:185]
	v_mul_f64 v[190:191], v[190:191], v[186:187]
	v_add_f64 v[0:1], v[0:1], -v[184:185]
	s_delay_alu instid0(VALU_DEP_2) | instskip(SKIP_1) | instid1(VALU_DEP_2)
	v_fma_f64 v[190:191], v[192:193], v[188:189], v[190:191]
	v_dual_mov_b32 v184, v188 :: v_dual_mov_b32 v185, v189
	v_add_f64 v[2:3], v[2:3], -v[190:191]
.LBB93_10:
	s_or_b32 exec_lo, exec_lo, s4
	s_delay_alu instid0(SALU_CYCLE_1)
	s_mov_b32 s4, exec_lo
	s_waitcnt_vscnt null, 0x0
	s_barrier
	buffer_gl0_inv
	v_cmpx_eq_u32_e32 1, v242
	s_cbranch_execz .LBB93_17
; %bb.11:
	ds_store_2addr_b64 v243, v[180:181], v[182:183] offset1:1
	ds_store_2addr_b64 v244, v[176:177], v[178:179] offset0:4 offset1:5
	ds_store_2addr_b64 v244, v[172:173], v[174:175] offset0:6 offset1:7
	;; [unrolled: 1-line block ×45, first 2 shown]
	ds_load_2addr_b64 v[188:191], v243 offset1:1
	s_waitcnt lgkmcnt(0)
	v_cmp_neq_f64_e32 vcc_lo, 0, v[188:189]
	v_cmp_neq_f64_e64 s3, 0, v[190:191]
	s_delay_alu instid0(VALU_DEP_1) | instskip(NEXT) | instid1(SALU_CYCLE_1)
	s_or_b32 s3, vcc_lo, s3
	s_and_b32 exec_lo, exec_lo, s3
	s_cbranch_execz .LBB93_17
; %bb.12:
	v_cmp_gt_f64_e32 vcc_lo, 0, v[188:189]
	v_xor_b32_e32 v192, 0x80000000, v189
	v_xor_b32_e32 v194, 0x80000000, v191
	s_mov_b32 s3, exec_lo
                                        ; implicit-def: $vgpr196_vgpr197
	s_delay_alu instid0(VALU_DEP_2) | instskip(SKIP_4) | instid1(VALU_DEP_1)
	v_cndmask_b32_e32 v193, v189, v192, vcc_lo
	v_cndmask_b32_e32 v192, v188, v188, vcc_lo
	v_cmp_gt_f64_e32 vcc_lo, 0, v[190:191]
	v_cndmask_b32_e32 v195, v191, v194, vcc_lo
	v_cndmask_b32_e32 v194, v190, v190, vcc_lo
	v_cmpx_ngt_f64_e32 v[192:193], v[194:195]
	s_xor_b32 s3, exec_lo, s3
                                        ; implicit-def: $vgpr192_vgpr193_vgpr194_vgpr195
	s_cbranch_execz .LBB93_14
; %bb.13:
	v_div_scale_f64 v[192:193], null, v[190:191], v[190:191], v[188:189]
	v_div_scale_f64 v[198:199], vcc_lo, v[188:189], v[190:191], v[188:189]
	s_delay_alu instid0(VALU_DEP_2) | instskip(SKIP_2) | instid1(VALU_DEP_1)
	v_rcp_f64_e32 v[194:195], v[192:193]
	s_waitcnt_depctr 0xfff
	v_fma_f64 v[196:197], -v[192:193], v[194:195], 1.0
	v_fma_f64 v[194:195], v[194:195], v[196:197], v[194:195]
	s_delay_alu instid0(VALU_DEP_1) | instskip(NEXT) | instid1(VALU_DEP_1)
	v_fma_f64 v[196:197], -v[192:193], v[194:195], 1.0
	v_fma_f64 v[194:195], v[194:195], v[196:197], v[194:195]
	s_delay_alu instid0(VALU_DEP_1) | instskip(NEXT) | instid1(VALU_DEP_1)
	v_mul_f64 v[196:197], v[198:199], v[194:195]
	v_fma_f64 v[192:193], -v[192:193], v[196:197], v[198:199]
	s_delay_alu instid0(VALU_DEP_1) | instskip(NEXT) | instid1(VALU_DEP_1)
	v_div_fmas_f64 v[192:193], v[192:193], v[194:195], v[196:197]
	v_div_fixup_f64 v[192:193], v[192:193], v[190:191], v[188:189]
	s_delay_alu instid0(VALU_DEP_1) | instskip(NEXT) | instid1(VALU_DEP_1)
	v_fma_f64 v[188:189], v[188:189], v[192:193], v[190:191]
	v_div_scale_f64 v[190:191], null, v[188:189], v[188:189], 1.0
	s_delay_alu instid0(VALU_DEP_1) | instskip(SKIP_2) | instid1(VALU_DEP_1)
	v_rcp_f64_e32 v[194:195], v[190:191]
	s_waitcnt_depctr 0xfff
	v_fma_f64 v[196:197], -v[190:191], v[194:195], 1.0
	v_fma_f64 v[194:195], v[194:195], v[196:197], v[194:195]
	s_delay_alu instid0(VALU_DEP_1) | instskip(NEXT) | instid1(VALU_DEP_1)
	v_fma_f64 v[196:197], -v[190:191], v[194:195], 1.0
	v_fma_f64 v[194:195], v[194:195], v[196:197], v[194:195]
	v_div_scale_f64 v[196:197], vcc_lo, 1.0, v[188:189], 1.0
	s_delay_alu instid0(VALU_DEP_1) | instskip(NEXT) | instid1(VALU_DEP_1)
	v_mul_f64 v[198:199], v[196:197], v[194:195]
	v_fma_f64 v[190:191], -v[190:191], v[198:199], v[196:197]
	s_delay_alu instid0(VALU_DEP_1) | instskip(NEXT) | instid1(VALU_DEP_1)
	v_div_fmas_f64 v[190:191], v[190:191], v[194:195], v[198:199]
	v_div_fixup_f64 v[194:195], v[190:191], v[188:189], 1.0
                                        ; implicit-def: $vgpr188_vgpr189
	s_delay_alu instid0(VALU_DEP_1)
	v_mul_f64 v[196:197], v[192:193], v[194:195]
	v_xor_b32_e32 v195, 0x80000000, v195
.LBB93_14:
	s_and_not1_saveexec_b32 s3, s3
	s_cbranch_execz .LBB93_16
; %bb.15:
	v_div_scale_f64 v[192:193], null, v[188:189], v[188:189], v[190:191]
	v_div_scale_f64 v[198:199], vcc_lo, v[190:191], v[188:189], v[190:191]
	s_delay_alu instid0(VALU_DEP_2) | instskip(SKIP_2) | instid1(VALU_DEP_1)
	v_rcp_f64_e32 v[194:195], v[192:193]
	s_waitcnt_depctr 0xfff
	v_fma_f64 v[196:197], -v[192:193], v[194:195], 1.0
	v_fma_f64 v[194:195], v[194:195], v[196:197], v[194:195]
	s_delay_alu instid0(VALU_DEP_1) | instskip(NEXT) | instid1(VALU_DEP_1)
	v_fma_f64 v[196:197], -v[192:193], v[194:195], 1.0
	v_fma_f64 v[194:195], v[194:195], v[196:197], v[194:195]
	s_delay_alu instid0(VALU_DEP_1) | instskip(NEXT) | instid1(VALU_DEP_1)
	v_mul_f64 v[196:197], v[198:199], v[194:195]
	v_fma_f64 v[192:193], -v[192:193], v[196:197], v[198:199]
	s_delay_alu instid0(VALU_DEP_1) | instskip(NEXT) | instid1(VALU_DEP_1)
	v_div_fmas_f64 v[192:193], v[192:193], v[194:195], v[196:197]
	v_div_fixup_f64 v[192:193], v[192:193], v[188:189], v[190:191]
	s_delay_alu instid0(VALU_DEP_1) | instskip(NEXT) | instid1(VALU_DEP_1)
	v_fma_f64 v[188:189], v[190:191], v[192:193], v[188:189]
	v_div_scale_f64 v[190:191], null, v[188:189], v[188:189], 1.0
	s_delay_alu instid0(VALU_DEP_1) | instskip(SKIP_2) | instid1(VALU_DEP_1)
	v_rcp_f64_e32 v[194:195], v[190:191]
	s_waitcnt_depctr 0xfff
	v_fma_f64 v[196:197], -v[190:191], v[194:195], 1.0
	v_fma_f64 v[194:195], v[194:195], v[196:197], v[194:195]
	s_delay_alu instid0(VALU_DEP_1) | instskip(NEXT) | instid1(VALU_DEP_1)
	v_fma_f64 v[196:197], -v[190:191], v[194:195], 1.0
	v_fma_f64 v[194:195], v[194:195], v[196:197], v[194:195]
	v_div_scale_f64 v[196:197], vcc_lo, 1.0, v[188:189], 1.0
	s_delay_alu instid0(VALU_DEP_1) | instskip(NEXT) | instid1(VALU_DEP_1)
	v_mul_f64 v[198:199], v[196:197], v[194:195]
	v_fma_f64 v[190:191], -v[190:191], v[198:199], v[196:197]
	s_delay_alu instid0(VALU_DEP_1) | instskip(NEXT) | instid1(VALU_DEP_1)
	v_div_fmas_f64 v[190:191], v[190:191], v[194:195], v[198:199]
	v_div_fixup_f64 v[196:197], v[190:191], v[188:189], 1.0
	s_delay_alu instid0(VALU_DEP_1)
	v_mul_f64 v[194:195], v[192:193], -v[196:197]
.LBB93_16:
	s_or_b32 exec_lo, exec_lo, s3
	ds_store_2addr_b64 v243, v[196:197], v[194:195] offset1:1
.LBB93_17:
	s_or_b32 exec_lo, exec_lo, s4
	s_waitcnt lgkmcnt(0)
	s_barrier
	buffer_gl0_inv
	ds_load_2addr_b64 v[188:191], v243 offset1:1
	s_mov_b32 s3, exec_lo
	s_waitcnt lgkmcnt(0)
	scratch_store_b128 off, v[188:191], off offset:360 ; 16-byte Folded Spill
	v_cmpx_lt_u32_e32 1, v242
	s_cbranch_execz .LBB93_19
; %bb.18:
	scratch_load_b128 v[190:193], off, off offset:360 ; 16-byte Folded Reload
	s_waitcnt vmcnt(0)
	v_mul_f64 v[188:189], v[192:193], v[182:183]
	v_mul_f64 v[182:183], v[190:191], v[182:183]
	s_delay_alu instid0(VALU_DEP_2) | instskip(NEXT) | instid1(VALU_DEP_2)
	v_fma_f64 v[188:189], v[190:191], v[180:181], -v[188:189]
	v_fma_f64 v[182:183], v[192:193], v[180:181], v[182:183]
	ds_load_2addr_b64 v[190:193], v244 offset0:4 offset1:5
	s_waitcnt lgkmcnt(0)
	v_mul_f64 v[180:181], v[192:193], v[182:183]
	s_delay_alu instid0(VALU_DEP_1) | instskip(SKIP_1) | instid1(VALU_DEP_2)
	v_fma_f64 v[180:181], v[190:191], v[188:189], -v[180:181]
	v_mul_f64 v[190:191], v[190:191], v[182:183]
	v_add_f64 v[176:177], v[176:177], -v[180:181]
	s_delay_alu instid0(VALU_DEP_2) | instskip(NEXT) | instid1(VALU_DEP_1)
	v_fma_f64 v[190:191], v[192:193], v[188:189], v[190:191]
	v_add_f64 v[178:179], v[178:179], -v[190:191]
	ds_load_2addr_b64 v[190:193], v244 offset0:6 offset1:7
	s_waitcnt lgkmcnt(0)
	v_mul_f64 v[180:181], v[192:193], v[182:183]
	s_delay_alu instid0(VALU_DEP_1) | instskip(SKIP_1) | instid1(VALU_DEP_2)
	v_fma_f64 v[180:181], v[190:191], v[188:189], -v[180:181]
	v_mul_f64 v[190:191], v[190:191], v[182:183]
	v_add_f64 v[172:173], v[172:173], -v[180:181]
	s_delay_alu instid0(VALU_DEP_2) | instskip(NEXT) | instid1(VALU_DEP_1)
	v_fma_f64 v[190:191], v[192:193], v[188:189], v[190:191]
	v_add_f64 v[174:175], v[174:175], -v[190:191]
	;; [unrolled: 10-line block ×44, first 2 shown]
	ds_load_2addr_b64 v[190:193], v244 offset0:92 offset1:93
	s_waitcnt lgkmcnt(0)
	v_mul_f64 v[180:181], v[192:193], v[182:183]
	s_delay_alu instid0(VALU_DEP_1) | instskip(SKIP_1) | instid1(VALU_DEP_2)
	v_fma_f64 v[180:181], v[190:191], v[188:189], -v[180:181]
	v_mul_f64 v[190:191], v[190:191], v[182:183]
	v_add_f64 v[0:1], v[0:1], -v[180:181]
	s_delay_alu instid0(VALU_DEP_2) | instskip(SKIP_1) | instid1(VALU_DEP_2)
	v_fma_f64 v[190:191], v[192:193], v[188:189], v[190:191]
	v_dual_mov_b32 v180, v188 :: v_dual_mov_b32 v181, v189
	v_add_f64 v[2:3], v[2:3], -v[190:191]
.LBB93_19:
	s_or_b32 exec_lo, exec_lo, s3
	s_delay_alu instid0(SALU_CYCLE_1)
	s_mov_b32 s4, exec_lo
	s_waitcnt_vscnt null, 0x0
	s_barrier
	buffer_gl0_inv
	v_cmpx_eq_u32_e32 2, v242
	s_cbranch_execz .LBB93_26
; %bb.20:
	ds_store_2addr_b64 v243, v[176:177], v[178:179] offset1:1
	ds_store_2addr_b64 v244, v[172:173], v[174:175] offset0:6 offset1:7
	ds_store_2addr_b64 v244, v[168:169], v[170:171] offset0:8 offset1:9
	;; [unrolled: 1-line block ×44, first 2 shown]
	ds_load_2addr_b64 v[188:191], v243 offset1:1
	s_waitcnt lgkmcnt(0)
	v_cmp_neq_f64_e32 vcc_lo, 0, v[188:189]
	v_cmp_neq_f64_e64 s3, 0, v[190:191]
	s_delay_alu instid0(VALU_DEP_1) | instskip(NEXT) | instid1(SALU_CYCLE_1)
	s_or_b32 s3, vcc_lo, s3
	s_and_b32 exec_lo, exec_lo, s3
	s_cbranch_execz .LBB93_26
; %bb.21:
	v_cmp_gt_f64_e32 vcc_lo, 0, v[188:189]
	v_xor_b32_e32 v192, 0x80000000, v189
	v_xor_b32_e32 v194, 0x80000000, v191
	s_mov_b32 s3, exec_lo
                                        ; implicit-def: $vgpr196_vgpr197
	s_delay_alu instid0(VALU_DEP_2) | instskip(SKIP_4) | instid1(VALU_DEP_1)
	v_cndmask_b32_e32 v193, v189, v192, vcc_lo
	v_cndmask_b32_e32 v192, v188, v188, vcc_lo
	v_cmp_gt_f64_e32 vcc_lo, 0, v[190:191]
	v_cndmask_b32_e32 v195, v191, v194, vcc_lo
	v_cndmask_b32_e32 v194, v190, v190, vcc_lo
	v_cmpx_ngt_f64_e32 v[192:193], v[194:195]
	s_xor_b32 s3, exec_lo, s3
                                        ; implicit-def: $vgpr192_vgpr193_vgpr194_vgpr195
	s_cbranch_execz .LBB93_23
; %bb.22:
	v_div_scale_f64 v[192:193], null, v[190:191], v[190:191], v[188:189]
	v_div_scale_f64 v[198:199], vcc_lo, v[188:189], v[190:191], v[188:189]
	s_delay_alu instid0(VALU_DEP_2) | instskip(SKIP_2) | instid1(VALU_DEP_1)
	v_rcp_f64_e32 v[194:195], v[192:193]
	s_waitcnt_depctr 0xfff
	v_fma_f64 v[196:197], -v[192:193], v[194:195], 1.0
	v_fma_f64 v[194:195], v[194:195], v[196:197], v[194:195]
	s_delay_alu instid0(VALU_DEP_1) | instskip(NEXT) | instid1(VALU_DEP_1)
	v_fma_f64 v[196:197], -v[192:193], v[194:195], 1.0
	v_fma_f64 v[194:195], v[194:195], v[196:197], v[194:195]
	s_delay_alu instid0(VALU_DEP_1) | instskip(NEXT) | instid1(VALU_DEP_1)
	v_mul_f64 v[196:197], v[198:199], v[194:195]
	v_fma_f64 v[192:193], -v[192:193], v[196:197], v[198:199]
	s_delay_alu instid0(VALU_DEP_1) | instskip(NEXT) | instid1(VALU_DEP_1)
	v_div_fmas_f64 v[192:193], v[192:193], v[194:195], v[196:197]
	v_div_fixup_f64 v[192:193], v[192:193], v[190:191], v[188:189]
	s_delay_alu instid0(VALU_DEP_1) | instskip(NEXT) | instid1(VALU_DEP_1)
	v_fma_f64 v[188:189], v[188:189], v[192:193], v[190:191]
	v_div_scale_f64 v[190:191], null, v[188:189], v[188:189], 1.0
	s_delay_alu instid0(VALU_DEP_1) | instskip(SKIP_2) | instid1(VALU_DEP_1)
	v_rcp_f64_e32 v[194:195], v[190:191]
	s_waitcnt_depctr 0xfff
	v_fma_f64 v[196:197], -v[190:191], v[194:195], 1.0
	v_fma_f64 v[194:195], v[194:195], v[196:197], v[194:195]
	s_delay_alu instid0(VALU_DEP_1) | instskip(NEXT) | instid1(VALU_DEP_1)
	v_fma_f64 v[196:197], -v[190:191], v[194:195], 1.0
	v_fma_f64 v[194:195], v[194:195], v[196:197], v[194:195]
	v_div_scale_f64 v[196:197], vcc_lo, 1.0, v[188:189], 1.0
	s_delay_alu instid0(VALU_DEP_1) | instskip(NEXT) | instid1(VALU_DEP_1)
	v_mul_f64 v[198:199], v[196:197], v[194:195]
	v_fma_f64 v[190:191], -v[190:191], v[198:199], v[196:197]
	s_delay_alu instid0(VALU_DEP_1) | instskip(NEXT) | instid1(VALU_DEP_1)
	v_div_fmas_f64 v[190:191], v[190:191], v[194:195], v[198:199]
	v_div_fixup_f64 v[194:195], v[190:191], v[188:189], 1.0
                                        ; implicit-def: $vgpr188_vgpr189
	s_delay_alu instid0(VALU_DEP_1)
	v_mul_f64 v[196:197], v[192:193], v[194:195]
	v_xor_b32_e32 v195, 0x80000000, v195
.LBB93_23:
	s_and_not1_saveexec_b32 s3, s3
	s_cbranch_execz .LBB93_25
; %bb.24:
	v_div_scale_f64 v[192:193], null, v[188:189], v[188:189], v[190:191]
	v_div_scale_f64 v[198:199], vcc_lo, v[190:191], v[188:189], v[190:191]
	s_delay_alu instid0(VALU_DEP_2) | instskip(SKIP_2) | instid1(VALU_DEP_1)
	v_rcp_f64_e32 v[194:195], v[192:193]
	s_waitcnt_depctr 0xfff
	v_fma_f64 v[196:197], -v[192:193], v[194:195], 1.0
	v_fma_f64 v[194:195], v[194:195], v[196:197], v[194:195]
	s_delay_alu instid0(VALU_DEP_1) | instskip(NEXT) | instid1(VALU_DEP_1)
	v_fma_f64 v[196:197], -v[192:193], v[194:195], 1.0
	v_fma_f64 v[194:195], v[194:195], v[196:197], v[194:195]
	s_delay_alu instid0(VALU_DEP_1) | instskip(NEXT) | instid1(VALU_DEP_1)
	v_mul_f64 v[196:197], v[198:199], v[194:195]
	v_fma_f64 v[192:193], -v[192:193], v[196:197], v[198:199]
	s_delay_alu instid0(VALU_DEP_1) | instskip(NEXT) | instid1(VALU_DEP_1)
	v_div_fmas_f64 v[192:193], v[192:193], v[194:195], v[196:197]
	v_div_fixup_f64 v[192:193], v[192:193], v[188:189], v[190:191]
	s_delay_alu instid0(VALU_DEP_1) | instskip(NEXT) | instid1(VALU_DEP_1)
	v_fma_f64 v[188:189], v[190:191], v[192:193], v[188:189]
	v_div_scale_f64 v[190:191], null, v[188:189], v[188:189], 1.0
	s_delay_alu instid0(VALU_DEP_1) | instskip(SKIP_2) | instid1(VALU_DEP_1)
	v_rcp_f64_e32 v[194:195], v[190:191]
	s_waitcnt_depctr 0xfff
	v_fma_f64 v[196:197], -v[190:191], v[194:195], 1.0
	v_fma_f64 v[194:195], v[194:195], v[196:197], v[194:195]
	s_delay_alu instid0(VALU_DEP_1) | instskip(NEXT) | instid1(VALU_DEP_1)
	v_fma_f64 v[196:197], -v[190:191], v[194:195], 1.0
	v_fma_f64 v[194:195], v[194:195], v[196:197], v[194:195]
	v_div_scale_f64 v[196:197], vcc_lo, 1.0, v[188:189], 1.0
	s_delay_alu instid0(VALU_DEP_1) | instskip(NEXT) | instid1(VALU_DEP_1)
	v_mul_f64 v[198:199], v[196:197], v[194:195]
	v_fma_f64 v[190:191], -v[190:191], v[198:199], v[196:197]
	s_delay_alu instid0(VALU_DEP_1) | instskip(NEXT) | instid1(VALU_DEP_1)
	v_div_fmas_f64 v[190:191], v[190:191], v[194:195], v[198:199]
	v_div_fixup_f64 v[196:197], v[190:191], v[188:189], 1.0
	s_delay_alu instid0(VALU_DEP_1)
	v_mul_f64 v[194:195], v[192:193], -v[196:197]
.LBB93_25:
	s_or_b32 exec_lo, exec_lo, s3
	ds_store_2addr_b64 v243, v[196:197], v[194:195] offset1:1
.LBB93_26:
	s_or_b32 exec_lo, exec_lo, s4
	s_waitcnt lgkmcnt(0)
	s_barrier
	buffer_gl0_inv
	ds_load_2addr_b64 v[188:191], v243 offset1:1
	s_mov_b32 s3, exec_lo
	s_waitcnt lgkmcnt(0)
	scratch_store_b128 off, v[188:191], off offset:376 ; 16-byte Folded Spill
	v_cmpx_lt_u32_e32 2, v242
	s_cbranch_execz .LBB93_28
; %bb.27:
	scratch_load_b128 v[190:193], off, off offset:376 ; 16-byte Folded Reload
	s_waitcnt vmcnt(0)
	v_mul_f64 v[188:189], v[192:193], v[178:179]
	v_mul_f64 v[178:179], v[190:191], v[178:179]
	s_delay_alu instid0(VALU_DEP_2) | instskip(NEXT) | instid1(VALU_DEP_2)
	v_fma_f64 v[188:189], v[190:191], v[176:177], -v[188:189]
	v_fma_f64 v[178:179], v[192:193], v[176:177], v[178:179]
	ds_load_2addr_b64 v[190:193], v244 offset0:6 offset1:7
	s_waitcnt lgkmcnt(0)
	v_mul_f64 v[176:177], v[192:193], v[178:179]
	s_delay_alu instid0(VALU_DEP_1) | instskip(SKIP_1) | instid1(VALU_DEP_2)
	v_fma_f64 v[176:177], v[190:191], v[188:189], -v[176:177]
	v_mul_f64 v[190:191], v[190:191], v[178:179]
	v_add_f64 v[172:173], v[172:173], -v[176:177]
	s_delay_alu instid0(VALU_DEP_2) | instskip(NEXT) | instid1(VALU_DEP_1)
	v_fma_f64 v[190:191], v[192:193], v[188:189], v[190:191]
	v_add_f64 v[174:175], v[174:175], -v[190:191]
	ds_load_2addr_b64 v[190:193], v244 offset0:8 offset1:9
	s_waitcnt lgkmcnt(0)
	v_mul_f64 v[176:177], v[192:193], v[178:179]
	s_delay_alu instid0(VALU_DEP_1) | instskip(SKIP_1) | instid1(VALU_DEP_2)
	v_fma_f64 v[176:177], v[190:191], v[188:189], -v[176:177]
	v_mul_f64 v[190:191], v[190:191], v[178:179]
	v_add_f64 v[168:169], v[168:169], -v[176:177]
	s_delay_alu instid0(VALU_DEP_2) | instskip(NEXT) | instid1(VALU_DEP_1)
	v_fma_f64 v[190:191], v[192:193], v[188:189], v[190:191]
	v_add_f64 v[170:171], v[170:171], -v[190:191]
	;; [unrolled: 10-line block ×43, first 2 shown]
	ds_load_2addr_b64 v[190:193], v244 offset0:92 offset1:93
	s_waitcnt lgkmcnt(0)
	v_mul_f64 v[176:177], v[192:193], v[178:179]
	s_delay_alu instid0(VALU_DEP_1) | instskip(SKIP_1) | instid1(VALU_DEP_2)
	v_fma_f64 v[176:177], v[190:191], v[188:189], -v[176:177]
	v_mul_f64 v[190:191], v[190:191], v[178:179]
	v_add_f64 v[0:1], v[0:1], -v[176:177]
	s_delay_alu instid0(VALU_DEP_2) | instskip(SKIP_1) | instid1(VALU_DEP_2)
	v_fma_f64 v[190:191], v[192:193], v[188:189], v[190:191]
	v_dual_mov_b32 v176, v188 :: v_dual_mov_b32 v177, v189
	v_add_f64 v[2:3], v[2:3], -v[190:191]
.LBB93_28:
	s_or_b32 exec_lo, exec_lo, s3
	s_delay_alu instid0(SALU_CYCLE_1)
	s_mov_b32 s4, exec_lo
	s_waitcnt_vscnt null, 0x0
	s_barrier
	buffer_gl0_inv
	v_cmpx_eq_u32_e32 3, v242
	s_cbranch_execz .LBB93_35
; %bb.29:
	ds_store_2addr_b64 v243, v[172:173], v[174:175] offset1:1
	ds_store_2addr_b64 v244, v[168:169], v[170:171] offset0:8 offset1:9
	ds_store_2addr_b64 v244, v[164:165], v[166:167] offset0:10 offset1:11
	;; [unrolled: 1-line block ×43, first 2 shown]
	ds_load_2addr_b64 v[188:191], v243 offset1:1
	s_waitcnt lgkmcnt(0)
	v_cmp_neq_f64_e32 vcc_lo, 0, v[188:189]
	v_cmp_neq_f64_e64 s3, 0, v[190:191]
	s_delay_alu instid0(VALU_DEP_1) | instskip(NEXT) | instid1(SALU_CYCLE_1)
	s_or_b32 s3, vcc_lo, s3
	s_and_b32 exec_lo, exec_lo, s3
	s_cbranch_execz .LBB93_35
; %bb.30:
	v_cmp_gt_f64_e32 vcc_lo, 0, v[188:189]
	v_xor_b32_e32 v192, 0x80000000, v189
	v_xor_b32_e32 v194, 0x80000000, v191
	s_mov_b32 s3, exec_lo
                                        ; implicit-def: $vgpr196_vgpr197
	s_delay_alu instid0(VALU_DEP_2) | instskip(SKIP_4) | instid1(VALU_DEP_1)
	v_cndmask_b32_e32 v193, v189, v192, vcc_lo
	v_cndmask_b32_e32 v192, v188, v188, vcc_lo
	v_cmp_gt_f64_e32 vcc_lo, 0, v[190:191]
	v_cndmask_b32_e32 v195, v191, v194, vcc_lo
	v_cndmask_b32_e32 v194, v190, v190, vcc_lo
	v_cmpx_ngt_f64_e32 v[192:193], v[194:195]
	s_xor_b32 s3, exec_lo, s3
                                        ; implicit-def: $vgpr192_vgpr193_vgpr194_vgpr195
	s_cbranch_execz .LBB93_32
; %bb.31:
	v_div_scale_f64 v[192:193], null, v[190:191], v[190:191], v[188:189]
	v_div_scale_f64 v[198:199], vcc_lo, v[188:189], v[190:191], v[188:189]
	s_delay_alu instid0(VALU_DEP_2) | instskip(SKIP_2) | instid1(VALU_DEP_1)
	v_rcp_f64_e32 v[194:195], v[192:193]
	s_waitcnt_depctr 0xfff
	v_fma_f64 v[196:197], -v[192:193], v[194:195], 1.0
	v_fma_f64 v[194:195], v[194:195], v[196:197], v[194:195]
	s_delay_alu instid0(VALU_DEP_1) | instskip(NEXT) | instid1(VALU_DEP_1)
	v_fma_f64 v[196:197], -v[192:193], v[194:195], 1.0
	v_fma_f64 v[194:195], v[194:195], v[196:197], v[194:195]
	s_delay_alu instid0(VALU_DEP_1) | instskip(NEXT) | instid1(VALU_DEP_1)
	v_mul_f64 v[196:197], v[198:199], v[194:195]
	v_fma_f64 v[192:193], -v[192:193], v[196:197], v[198:199]
	s_delay_alu instid0(VALU_DEP_1) | instskip(NEXT) | instid1(VALU_DEP_1)
	v_div_fmas_f64 v[192:193], v[192:193], v[194:195], v[196:197]
	v_div_fixup_f64 v[192:193], v[192:193], v[190:191], v[188:189]
	s_delay_alu instid0(VALU_DEP_1) | instskip(NEXT) | instid1(VALU_DEP_1)
	v_fma_f64 v[188:189], v[188:189], v[192:193], v[190:191]
	v_div_scale_f64 v[190:191], null, v[188:189], v[188:189], 1.0
	s_delay_alu instid0(VALU_DEP_1) | instskip(SKIP_2) | instid1(VALU_DEP_1)
	v_rcp_f64_e32 v[194:195], v[190:191]
	s_waitcnt_depctr 0xfff
	v_fma_f64 v[196:197], -v[190:191], v[194:195], 1.0
	v_fma_f64 v[194:195], v[194:195], v[196:197], v[194:195]
	s_delay_alu instid0(VALU_DEP_1) | instskip(NEXT) | instid1(VALU_DEP_1)
	v_fma_f64 v[196:197], -v[190:191], v[194:195], 1.0
	v_fma_f64 v[194:195], v[194:195], v[196:197], v[194:195]
	v_div_scale_f64 v[196:197], vcc_lo, 1.0, v[188:189], 1.0
	s_delay_alu instid0(VALU_DEP_1) | instskip(NEXT) | instid1(VALU_DEP_1)
	v_mul_f64 v[198:199], v[196:197], v[194:195]
	v_fma_f64 v[190:191], -v[190:191], v[198:199], v[196:197]
	s_delay_alu instid0(VALU_DEP_1) | instskip(NEXT) | instid1(VALU_DEP_1)
	v_div_fmas_f64 v[190:191], v[190:191], v[194:195], v[198:199]
	v_div_fixup_f64 v[194:195], v[190:191], v[188:189], 1.0
                                        ; implicit-def: $vgpr188_vgpr189
	s_delay_alu instid0(VALU_DEP_1)
	v_mul_f64 v[196:197], v[192:193], v[194:195]
	v_xor_b32_e32 v195, 0x80000000, v195
.LBB93_32:
	s_and_not1_saveexec_b32 s3, s3
	s_cbranch_execz .LBB93_34
; %bb.33:
	v_div_scale_f64 v[192:193], null, v[188:189], v[188:189], v[190:191]
	v_div_scale_f64 v[198:199], vcc_lo, v[190:191], v[188:189], v[190:191]
	s_delay_alu instid0(VALU_DEP_2) | instskip(SKIP_2) | instid1(VALU_DEP_1)
	v_rcp_f64_e32 v[194:195], v[192:193]
	s_waitcnt_depctr 0xfff
	v_fma_f64 v[196:197], -v[192:193], v[194:195], 1.0
	v_fma_f64 v[194:195], v[194:195], v[196:197], v[194:195]
	s_delay_alu instid0(VALU_DEP_1) | instskip(NEXT) | instid1(VALU_DEP_1)
	v_fma_f64 v[196:197], -v[192:193], v[194:195], 1.0
	v_fma_f64 v[194:195], v[194:195], v[196:197], v[194:195]
	s_delay_alu instid0(VALU_DEP_1) | instskip(NEXT) | instid1(VALU_DEP_1)
	v_mul_f64 v[196:197], v[198:199], v[194:195]
	v_fma_f64 v[192:193], -v[192:193], v[196:197], v[198:199]
	s_delay_alu instid0(VALU_DEP_1) | instskip(NEXT) | instid1(VALU_DEP_1)
	v_div_fmas_f64 v[192:193], v[192:193], v[194:195], v[196:197]
	v_div_fixup_f64 v[192:193], v[192:193], v[188:189], v[190:191]
	s_delay_alu instid0(VALU_DEP_1) | instskip(NEXT) | instid1(VALU_DEP_1)
	v_fma_f64 v[188:189], v[190:191], v[192:193], v[188:189]
	v_div_scale_f64 v[190:191], null, v[188:189], v[188:189], 1.0
	s_delay_alu instid0(VALU_DEP_1) | instskip(SKIP_2) | instid1(VALU_DEP_1)
	v_rcp_f64_e32 v[194:195], v[190:191]
	s_waitcnt_depctr 0xfff
	v_fma_f64 v[196:197], -v[190:191], v[194:195], 1.0
	v_fma_f64 v[194:195], v[194:195], v[196:197], v[194:195]
	s_delay_alu instid0(VALU_DEP_1) | instskip(NEXT) | instid1(VALU_DEP_1)
	v_fma_f64 v[196:197], -v[190:191], v[194:195], 1.0
	v_fma_f64 v[194:195], v[194:195], v[196:197], v[194:195]
	v_div_scale_f64 v[196:197], vcc_lo, 1.0, v[188:189], 1.0
	s_delay_alu instid0(VALU_DEP_1) | instskip(NEXT) | instid1(VALU_DEP_1)
	v_mul_f64 v[198:199], v[196:197], v[194:195]
	v_fma_f64 v[190:191], -v[190:191], v[198:199], v[196:197]
	s_delay_alu instid0(VALU_DEP_1) | instskip(NEXT) | instid1(VALU_DEP_1)
	v_div_fmas_f64 v[190:191], v[190:191], v[194:195], v[198:199]
	v_div_fixup_f64 v[196:197], v[190:191], v[188:189], 1.0
	s_delay_alu instid0(VALU_DEP_1)
	v_mul_f64 v[194:195], v[192:193], -v[196:197]
.LBB93_34:
	s_or_b32 exec_lo, exec_lo, s3
	ds_store_2addr_b64 v243, v[196:197], v[194:195] offset1:1
.LBB93_35:
	s_or_b32 exec_lo, exec_lo, s4
	s_waitcnt lgkmcnt(0)
	s_barrier
	buffer_gl0_inv
	ds_load_2addr_b64 v[188:191], v243 offset1:1
	s_mov_b32 s3, exec_lo
	s_waitcnt lgkmcnt(0)
	scratch_store_b128 off, v[188:191], off offset:392 ; 16-byte Folded Spill
	v_cmpx_lt_u32_e32 3, v242
	s_cbranch_execz .LBB93_37
; %bb.36:
	scratch_load_b128 v[190:193], off, off offset:392 ; 16-byte Folded Reload
	s_waitcnt vmcnt(0)
	v_mul_f64 v[188:189], v[192:193], v[174:175]
	v_mul_f64 v[174:175], v[190:191], v[174:175]
	s_delay_alu instid0(VALU_DEP_2) | instskip(NEXT) | instid1(VALU_DEP_2)
	v_fma_f64 v[188:189], v[190:191], v[172:173], -v[188:189]
	v_fma_f64 v[174:175], v[192:193], v[172:173], v[174:175]
	ds_load_2addr_b64 v[190:193], v244 offset0:8 offset1:9
	s_waitcnt lgkmcnt(0)
	v_mul_f64 v[172:173], v[192:193], v[174:175]
	s_delay_alu instid0(VALU_DEP_1) | instskip(SKIP_1) | instid1(VALU_DEP_2)
	v_fma_f64 v[172:173], v[190:191], v[188:189], -v[172:173]
	v_mul_f64 v[190:191], v[190:191], v[174:175]
	v_add_f64 v[168:169], v[168:169], -v[172:173]
	s_delay_alu instid0(VALU_DEP_2) | instskip(NEXT) | instid1(VALU_DEP_1)
	v_fma_f64 v[190:191], v[192:193], v[188:189], v[190:191]
	v_add_f64 v[170:171], v[170:171], -v[190:191]
	ds_load_2addr_b64 v[190:193], v244 offset0:10 offset1:11
	s_waitcnt lgkmcnt(0)
	v_mul_f64 v[172:173], v[192:193], v[174:175]
	s_delay_alu instid0(VALU_DEP_1) | instskip(SKIP_1) | instid1(VALU_DEP_2)
	v_fma_f64 v[172:173], v[190:191], v[188:189], -v[172:173]
	v_mul_f64 v[190:191], v[190:191], v[174:175]
	v_add_f64 v[164:165], v[164:165], -v[172:173]
	s_delay_alu instid0(VALU_DEP_2) | instskip(NEXT) | instid1(VALU_DEP_1)
	v_fma_f64 v[190:191], v[192:193], v[188:189], v[190:191]
	v_add_f64 v[166:167], v[166:167], -v[190:191]
	;; [unrolled: 10-line block ×42, first 2 shown]
	ds_load_2addr_b64 v[190:193], v244 offset0:92 offset1:93
	s_waitcnt lgkmcnt(0)
	v_mul_f64 v[172:173], v[192:193], v[174:175]
	s_delay_alu instid0(VALU_DEP_1) | instskip(SKIP_1) | instid1(VALU_DEP_2)
	v_fma_f64 v[172:173], v[190:191], v[188:189], -v[172:173]
	v_mul_f64 v[190:191], v[190:191], v[174:175]
	v_add_f64 v[0:1], v[0:1], -v[172:173]
	s_delay_alu instid0(VALU_DEP_2) | instskip(SKIP_1) | instid1(VALU_DEP_2)
	v_fma_f64 v[190:191], v[192:193], v[188:189], v[190:191]
	v_dual_mov_b32 v172, v188 :: v_dual_mov_b32 v173, v189
	v_add_f64 v[2:3], v[2:3], -v[190:191]
.LBB93_37:
	s_or_b32 exec_lo, exec_lo, s3
	s_delay_alu instid0(SALU_CYCLE_1)
	s_mov_b32 s4, exec_lo
	s_waitcnt_vscnt null, 0x0
	s_barrier
	buffer_gl0_inv
	v_cmpx_eq_u32_e32 4, v242
	s_cbranch_execz .LBB93_44
; %bb.38:
	ds_store_2addr_b64 v243, v[168:169], v[170:171] offset1:1
	ds_store_2addr_b64 v244, v[164:165], v[166:167] offset0:10 offset1:11
	ds_store_2addr_b64 v244, v[160:161], v[162:163] offset0:12 offset1:13
	;; [unrolled: 1-line block ×42, first 2 shown]
	ds_load_2addr_b64 v[188:191], v243 offset1:1
	s_waitcnt lgkmcnt(0)
	v_cmp_neq_f64_e32 vcc_lo, 0, v[188:189]
	v_cmp_neq_f64_e64 s3, 0, v[190:191]
	s_delay_alu instid0(VALU_DEP_1) | instskip(NEXT) | instid1(SALU_CYCLE_1)
	s_or_b32 s3, vcc_lo, s3
	s_and_b32 exec_lo, exec_lo, s3
	s_cbranch_execz .LBB93_44
; %bb.39:
	v_cmp_gt_f64_e32 vcc_lo, 0, v[188:189]
	v_xor_b32_e32 v192, 0x80000000, v189
	v_xor_b32_e32 v194, 0x80000000, v191
	s_mov_b32 s3, exec_lo
                                        ; implicit-def: $vgpr196_vgpr197
	s_delay_alu instid0(VALU_DEP_2) | instskip(SKIP_4) | instid1(VALU_DEP_1)
	v_cndmask_b32_e32 v193, v189, v192, vcc_lo
	v_cndmask_b32_e32 v192, v188, v188, vcc_lo
	v_cmp_gt_f64_e32 vcc_lo, 0, v[190:191]
	v_cndmask_b32_e32 v195, v191, v194, vcc_lo
	v_cndmask_b32_e32 v194, v190, v190, vcc_lo
	v_cmpx_ngt_f64_e32 v[192:193], v[194:195]
	s_xor_b32 s3, exec_lo, s3
                                        ; implicit-def: $vgpr192_vgpr193_vgpr194_vgpr195
	s_cbranch_execz .LBB93_41
; %bb.40:
	v_div_scale_f64 v[192:193], null, v[190:191], v[190:191], v[188:189]
	v_div_scale_f64 v[198:199], vcc_lo, v[188:189], v[190:191], v[188:189]
	s_delay_alu instid0(VALU_DEP_2) | instskip(SKIP_2) | instid1(VALU_DEP_1)
	v_rcp_f64_e32 v[194:195], v[192:193]
	s_waitcnt_depctr 0xfff
	v_fma_f64 v[196:197], -v[192:193], v[194:195], 1.0
	v_fma_f64 v[194:195], v[194:195], v[196:197], v[194:195]
	s_delay_alu instid0(VALU_DEP_1) | instskip(NEXT) | instid1(VALU_DEP_1)
	v_fma_f64 v[196:197], -v[192:193], v[194:195], 1.0
	v_fma_f64 v[194:195], v[194:195], v[196:197], v[194:195]
	s_delay_alu instid0(VALU_DEP_1) | instskip(NEXT) | instid1(VALU_DEP_1)
	v_mul_f64 v[196:197], v[198:199], v[194:195]
	v_fma_f64 v[192:193], -v[192:193], v[196:197], v[198:199]
	s_delay_alu instid0(VALU_DEP_1) | instskip(NEXT) | instid1(VALU_DEP_1)
	v_div_fmas_f64 v[192:193], v[192:193], v[194:195], v[196:197]
	v_div_fixup_f64 v[192:193], v[192:193], v[190:191], v[188:189]
	s_delay_alu instid0(VALU_DEP_1) | instskip(NEXT) | instid1(VALU_DEP_1)
	v_fma_f64 v[188:189], v[188:189], v[192:193], v[190:191]
	v_div_scale_f64 v[190:191], null, v[188:189], v[188:189], 1.0
	s_delay_alu instid0(VALU_DEP_1) | instskip(SKIP_2) | instid1(VALU_DEP_1)
	v_rcp_f64_e32 v[194:195], v[190:191]
	s_waitcnt_depctr 0xfff
	v_fma_f64 v[196:197], -v[190:191], v[194:195], 1.0
	v_fma_f64 v[194:195], v[194:195], v[196:197], v[194:195]
	s_delay_alu instid0(VALU_DEP_1) | instskip(NEXT) | instid1(VALU_DEP_1)
	v_fma_f64 v[196:197], -v[190:191], v[194:195], 1.0
	v_fma_f64 v[194:195], v[194:195], v[196:197], v[194:195]
	v_div_scale_f64 v[196:197], vcc_lo, 1.0, v[188:189], 1.0
	s_delay_alu instid0(VALU_DEP_1) | instskip(NEXT) | instid1(VALU_DEP_1)
	v_mul_f64 v[198:199], v[196:197], v[194:195]
	v_fma_f64 v[190:191], -v[190:191], v[198:199], v[196:197]
	s_delay_alu instid0(VALU_DEP_1) | instskip(NEXT) | instid1(VALU_DEP_1)
	v_div_fmas_f64 v[190:191], v[190:191], v[194:195], v[198:199]
	v_div_fixup_f64 v[194:195], v[190:191], v[188:189], 1.0
                                        ; implicit-def: $vgpr188_vgpr189
	s_delay_alu instid0(VALU_DEP_1)
	v_mul_f64 v[196:197], v[192:193], v[194:195]
	v_xor_b32_e32 v195, 0x80000000, v195
.LBB93_41:
	s_and_not1_saveexec_b32 s3, s3
	s_cbranch_execz .LBB93_43
; %bb.42:
	v_div_scale_f64 v[192:193], null, v[188:189], v[188:189], v[190:191]
	v_div_scale_f64 v[198:199], vcc_lo, v[190:191], v[188:189], v[190:191]
	s_delay_alu instid0(VALU_DEP_2) | instskip(SKIP_2) | instid1(VALU_DEP_1)
	v_rcp_f64_e32 v[194:195], v[192:193]
	s_waitcnt_depctr 0xfff
	v_fma_f64 v[196:197], -v[192:193], v[194:195], 1.0
	v_fma_f64 v[194:195], v[194:195], v[196:197], v[194:195]
	s_delay_alu instid0(VALU_DEP_1) | instskip(NEXT) | instid1(VALU_DEP_1)
	v_fma_f64 v[196:197], -v[192:193], v[194:195], 1.0
	v_fma_f64 v[194:195], v[194:195], v[196:197], v[194:195]
	s_delay_alu instid0(VALU_DEP_1) | instskip(NEXT) | instid1(VALU_DEP_1)
	v_mul_f64 v[196:197], v[198:199], v[194:195]
	v_fma_f64 v[192:193], -v[192:193], v[196:197], v[198:199]
	s_delay_alu instid0(VALU_DEP_1) | instskip(NEXT) | instid1(VALU_DEP_1)
	v_div_fmas_f64 v[192:193], v[192:193], v[194:195], v[196:197]
	v_div_fixup_f64 v[192:193], v[192:193], v[188:189], v[190:191]
	s_delay_alu instid0(VALU_DEP_1) | instskip(NEXT) | instid1(VALU_DEP_1)
	v_fma_f64 v[188:189], v[190:191], v[192:193], v[188:189]
	v_div_scale_f64 v[190:191], null, v[188:189], v[188:189], 1.0
	s_delay_alu instid0(VALU_DEP_1) | instskip(SKIP_2) | instid1(VALU_DEP_1)
	v_rcp_f64_e32 v[194:195], v[190:191]
	s_waitcnt_depctr 0xfff
	v_fma_f64 v[196:197], -v[190:191], v[194:195], 1.0
	v_fma_f64 v[194:195], v[194:195], v[196:197], v[194:195]
	s_delay_alu instid0(VALU_DEP_1) | instskip(NEXT) | instid1(VALU_DEP_1)
	v_fma_f64 v[196:197], -v[190:191], v[194:195], 1.0
	v_fma_f64 v[194:195], v[194:195], v[196:197], v[194:195]
	v_div_scale_f64 v[196:197], vcc_lo, 1.0, v[188:189], 1.0
	s_delay_alu instid0(VALU_DEP_1) | instskip(NEXT) | instid1(VALU_DEP_1)
	v_mul_f64 v[198:199], v[196:197], v[194:195]
	v_fma_f64 v[190:191], -v[190:191], v[198:199], v[196:197]
	s_delay_alu instid0(VALU_DEP_1) | instskip(NEXT) | instid1(VALU_DEP_1)
	v_div_fmas_f64 v[190:191], v[190:191], v[194:195], v[198:199]
	v_div_fixup_f64 v[196:197], v[190:191], v[188:189], 1.0
	s_delay_alu instid0(VALU_DEP_1)
	v_mul_f64 v[194:195], v[192:193], -v[196:197]
.LBB93_43:
	s_or_b32 exec_lo, exec_lo, s3
	ds_store_2addr_b64 v243, v[196:197], v[194:195] offset1:1
.LBB93_44:
	s_or_b32 exec_lo, exec_lo, s4
	s_waitcnt lgkmcnt(0)
	s_barrier
	buffer_gl0_inv
	ds_load_2addr_b64 v[188:191], v243 offset1:1
	s_mov_b32 s3, exec_lo
	s_waitcnt lgkmcnt(0)
	scratch_store_b128 off, v[188:191], off offset:408 ; 16-byte Folded Spill
	v_cmpx_lt_u32_e32 4, v242
	s_cbranch_execz .LBB93_46
; %bb.45:
	scratch_load_b128 v[190:193], off, off offset:408 ; 16-byte Folded Reload
	s_waitcnt vmcnt(0)
	v_mul_f64 v[188:189], v[192:193], v[170:171]
	v_mul_f64 v[170:171], v[190:191], v[170:171]
	s_delay_alu instid0(VALU_DEP_2) | instskip(NEXT) | instid1(VALU_DEP_2)
	v_fma_f64 v[188:189], v[190:191], v[168:169], -v[188:189]
	v_fma_f64 v[170:171], v[192:193], v[168:169], v[170:171]
	ds_load_2addr_b64 v[190:193], v244 offset0:10 offset1:11
	s_waitcnt lgkmcnt(0)
	v_mul_f64 v[168:169], v[192:193], v[170:171]
	s_delay_alu instid0(VALU_DEP_1) | instskip(SKIP_1) | instid1(VALU_DEP_2)
	v_fma_f64 v[168:169], v[190:191], v[188:189], -v[168:169]
	v_mul_f64 v[190:191], v[190:191], v[170:171]
	v_add_f64 v[164:165], v[164:165], -v[168:169]
	s_delay_alu instid0(VALU_DEP_2) | instskip(NEXT) | instid1(VALU_DEP_1)
	v_fma_f64 v[190:191], v[192:193], v[188:189], v[190:191]
	v_add_f64 v[166:167], v[166:167], -v[190:191]
	ds_load_2addr_b64 v[190:193], v244 offset0:12 offset1:13
	s_waitcnt lgkmcnt(0)
	v_mul_f64 v[168:169], v[192:193], v[170:171]
	s_delay_alu instid0(VALU_DEP_1) | instskip(SKIP_1) | instid1(VALU_DEP_2)
	v_fma_f64 v[168:169], v[190:191], v[188:189], -v[168:169]
	v_mul_f64 v[190:191], v[190:191], v[170:171]
	v_add_f64 v[160:161], v[160:161], -v[168:169]
	s_delay_alu instid0(VALU_DEP_2) | instskip(NEXT) | instid1(VALU_DEP_1)
	v_fma_f64 v[190:191], v[192:193], v[188:189], v[190:191]
	v_add_f64 v[162:163], v[162:163], -v[190:191]
	;; [unrolled: 10-line block ×41, first 2 shown]
	ds_load_2addr_b64 v[190:193], v244 offset0:92 offset1:93
	s_waitcnt lgkmcnt(0)
	v_mul_f64 v[168:169], v[192:193], v[170:171]
	s_delay_alu instid0(VALU_DEP_1) | instskip(SKIP_1) | instid1(VALU_DEP_2)
	v_fma_f64 v[168:169], v[190:191], v[188:189], -v[168:169]
	v_mul_f64 v[190:191], v[190:191], v[170:171]
	v_add_f64 v[0:1], v[0:1], -v[168:169]
	s_delay_alu instid0(VALU_DEP_2) | instskip(SKIP_1) | instid1(VALU_DEP_2)
	v_fma_f64 v[190:191], v[192:193], v[188:189], v[190:191]
	v_dual_mov_b32 v168, v188 :: v_dual_mov_b32 v169, v189
	v_add_f64 v[2:3], v[2:3], -v[190:191]
.LBB93_46:
	s_or_b32 exec_lo, exec_lo, s3
	s_delay_alu instid0(SALU_CYCLE_1)
	s_mov_b32 s4, exec_lo
	s_waitcnt_vscnt null, 0x0
	s_barrier
	buffer_gl0_inv
	v_cmpx_eq_u32_e32 5, v242
	s_cbranch_execz .LBB93_53
; %bb.47:
	ds_store_2addr_b64 v243, v[164:165], v[166:167] offset1:1
	ds_store_2addr_b64 v244, v[160:161], v[162:163] offset0:12 offset1:13
	ds_store_2addr_b64 v244, v[156:157], v[158:159] offset0:14 offset1:15
	;; [unrolled: 1-line block ×41, first 2 shown]
	ds_load_2addr_b64 v[188:191], v243 offset1:1
	s_waitcnt lgkmcnt(0)
	v_cmp_neq_f64_e32 vcc_lo, 0, v[188:189]
	v_cmp_neq_f64_e64 s3, 0, v[190:191]
	s_delay_alu instid0(VALU_DEP_1) | instskip(NEXT) | instid1(SALU_CYCLE_1)
	s_or_b32 s3, vcc_lo, s3
	s_and_b32 exec_lo, exec_lo, s3
	s_cbranch_execz .LBB93_53
; %bb.48:
	v_cmp_gt_f64_e32 vcc_lo, 0, v[188:189]
	v_xor_b32_e32 v192, 0x80000000, v189
	v_xor_b32_e32 v194, 0x80000000, v191
	s_mov_b32 s3, exec_lo
                                        ; implicit-def: $vgpr196_vgpr197
	s_delay_alu instid0(VALU_DEP_2) | instskip(SKIP_4) | instid1(VALU_DEP_1)
	v_cndmask_b32_e32 v193, v189, v192, vcc_lo
	v_cndmask_b32_e32 v192, v188, v188, vcc_lo
	v_cmp_gt_f64_e32 vcc_lo, 0, v[190:191]
	v_cndmask_b32_e32 v195, v191, v194, vcc_lo
	v_cndmask_b32_e32 v194, v190, v190, vcc_lo
	v_cmpx_ngt_f64_e32 v[192:193], v[194:195]
	s_xor_b32 s3, exec_lo, s3
                                        ; implicit-def: $vgpr192_vgpr193_vgpr194_vgpr195
	s_cbranch_execz .LBB93_50
; %bb.49:
	v_div_scale_f64 v[192:193], null, v[190:191], v[190:191], v[188:189]
	v_div_scale_f64 v[198:199], vcc_lo, v[188:189], v[190:191], v[188:189]
	s_delay_alu instid0(VALU_DEP_2) | instskip(SKIP_2) | instid1(VALU_DEP_1)
	v_rcp_f64_e32 v[194:195], v[192:193]
	s_waitcnt_depctr 0xfff
	v_fma_f64 v[196:197], -v[192:193], v[194:195], 1.0
	v_fma_f64 v[194:195], v[194:195], v[196:197], v[194:195]
	s_delay_alu instid0(VALU_DEP_1) | instskip(NEXT) | instid1(VALU_DEP_1)
	v_fma_f64 v[196:197], -v[192:193], v[194:195], 1.0
	v_fma_f64 v[194:195], v[194:195], v[196:197], v[194:195]
	s_delay_alu instid0(VALU_DEP_1) | instskip(NEXT) | instid1(VALU_DEP_1)
	v_mul_f64 v[196:197], v[198:199], v[194:195]
	v_fma_f64 v[192:193], -v[192:193], v[196:197], v[198:199]
	s_delay_alu instid0(VALU_DEP_1) | instskip(NEXT) | instid1(VALU_DEP_1)
	v_div_fmas_f64 v[192:193], v[192:193], v[194:195], v[196:197]
	v_div_fixup_f64 v[192:193], v[192:193], v[190:191], v[188:189]
	s_delay_alu instid0(VALU_DEP_1) | instskip(NEXT) | instid1(VALU_DEP_1)
	v_fma_f64 v[188:189], v[188:189], v[192:193], v[190:191]
	v_div_scale_f64 v[190:191], null, v[188:189], v[188:189], 1.0
	s_delay_alu instid0(VALU_DEP_1) | instskip(SKIP_2) | instid1(VALU_DEP_1)
	v_rcp_f64_e32 v[194:195], v[190:191]
	s_waitcnt_depctr 0xfff
	v_fma_f64 v[196:197], -v[190:191], v[194:195], 1.0
	v_fma_f64 v[194:195], v[194:195], v[196:197], v[194:195]
	s_delay_alu instid0(VALU_DEP_1) | instskip(NEXT) | instid1(VALU_DEP_1)
	v_fma_f64 v[196:197], -v[190:191], v[194:195], 1.0
	v_fma_f64 v[194:195], v[194:195], v[196:197], v[194:195]
	v_div_scale_f64 v[196:197], vcc_lo, 1.0, v[188:189], 1.0
	s_delay_alu instid0(VALU_DEP_1) | instskip(NEXT) | instid1(VALU_DEP_1)
	v_mul_f64 v[198:199], v[196:197], v[194:195]
	v_fma_f64 v[190:191], -v[190:191], v[198:199], v[196:197]
	s_delay_alu instid0(VALU_DEP_1) | instskip(NEXT) | instid1(VALU_DEP_1)
	v_div_fmas_f64 v[190:191], v[190:191], v[194:195], v[198:199]
	v_div_fixup_f64 v[194:195], v[190:191], v[188:189], 1.0
                                        ; implicit-def: $vgpr188_vgpr189
	s_delay_alu instid0(VALU_DEP_1)
	v_mul_f64 v[196:197], v[192:193], v[194:195]
	v_xor_b32_e32 v195, 0x80000000, v195
.LBB93_50:
	s_and_not1_saveexec_b32 s3, s3
	s_cbranch_execz .LBB93_52
; %bb.51:
	v_div_scale_f64 v[192:193], null, v[188:189], v[188:189], v[190:191]
	v_div_scale_f64 v[198:199], vcc_lo, v[190:191], v[188:189], v[190:191]
	s_delay_alu instid0(VALU_DEP_2) | instskip(SKIP_2) | instid1(VALU_DEP_1)
	v_rcp_f64_e32 v[194:195], v[192:193]
	s_waitcnt_depctr 0xfff
	v_fma_f64 v[196:197], -v[192:193], v[194:195], 1.0
	v_fma_f64 v[194:195], v[194:195], v[196:197], v[194:195]
	s_delay_alu instid0(VALU_DEP_1) | instskip(NEXT) | instid1(VALU_DEP_1)
	v_fma_f64 v[196:197], -v[192:193], v[194:195], 1.0
	v_fma_f64 v[194:195], v[194:195], v[196:197], v[194:195]
	s_delay_alu instid0(VALU_DEP_1) | instskip(NEXT) | instid1(VALU_DEP_1)
	v_mul_f64 v[196:197], v[198:199], v[194:195]
	v_fma_f64 v[192:193], -v[192:193], v[196:197], v[198:199]
	s_delay_alu instid0(VALU_DEP_1) | instskip(NEXT) | instid1(VALU_DEP_1)
	v_div_fmas_f64 v[192:193], v[192:193], v[194:195], v[196:197]
	v_div_fixup_f64 v[192:193], v[192:193], v[188:189], v[190:191]
	s_delay_alu instid0(VALU_DEP_1) | instskip(NEXT) | instid1(VALU_DEP_1)
	v_fma_f64 v[188:189], v[190:191], v[192:193], v[188:189]
	v_div_scale_f64 v[190:191], null, v[188:189], v[188:189], 1.0
	s_delay_alu instid0(VALU_DEP_1) | instskip(SKIP_2) | instid1(VALU_DEP_1)
	v_rcp_f64_e32 v[194:195], v[190:191]
	s_waitcnt_depctr 0xfff
	v_fma_f64 v[196:197], -v[190:191], v[194:195], 1.0
	v_fma_f64 v[194:195], v[194:195], v[196:197], v[194:195]
	s_delay_alu instid0(VALU_DEP_1) | instskip(NEXT) | instid1(VALU_DEP_1)
	v_fma_f64 v[196:197], -v[190:191], v[194:195], 1.0
	v_fma_f64 v[194:195], v[194:195], v[196:197], v[194:195]
	v_div_scale_f64 v[196:197], vcc_lo, 1.0, v[188:189], 1.0
	s_delay_alu instid0(VALU_DEP_1) | instskip(NEXT) | instid1(VALU_DEP_1)
	v_mul_f64 v[198:199], v[196:197], v[194:195]
	v_fma_f64 v[190:191], -v[190:191], v[198:199], v[196:197]
	s_delay_alu instid0(VALU_DEP_1) | instskip(NEXT) | instid1(VALU_DEP_1)
	v_div_fmas_f64 v[190:191], v[190:191], v[194:195], v[198:199]
	v_div_fixup_f64 v[196:197], v[190:191], v[188:189], 1.0
	s_delay_alu instid0(VALU_DEP_1)
	v_mul_f64 v[194:195], v[192:193], -v[196:197]
.LBB93_52:
	s_or_b32 exec_lo, exec_lo, s3
	ds_store_2addr_b64 v243, v[196:197], v[194:195] offset1:1
.LBB93_53:
	s_or_b32 exec_lo, exec_lo, s4
	s_waitcnt lgkmcnt(0)
	s_barrier
	buffer_gl0_inv
	ds_load_2addr_b64 v[188:191], v243 offset1:1
	s_mov_b32 s3, exec_lo
	s_waitcnt lgkmcnt(0)
	scratch_store_b128 off, v[188:191], off offset:424 ; 16-byte Folded Spill
	v_cmpx_lt_u32_e32 5, v242
	s_cbranch_execz .LBB93_55
; %bb.54:
	scratch_load_b128 v[190:193], off, off offset:424 ; 16-byte Folded Reload
	s_waitcnt vmcnt(0)
	v_mul_f64 v[188:189], v[192:193], v[166:167]
	v_mul_f64 v[166:167], v[190:191], v[166:167]
	s_delay_alu instid0(VALU_DEP_2) | instskip(NEXT) | instid1(VALU_DEP_2)
	v_fma_f64 v[188:189], v[190:191], v[164:165], -v[188:189]
	v_fma_f64 v[166:167], v[192:193], v[164:165], v[166:167]
	ds_load_2addr_b64 v[190:193], v244 offset0:12 offset1:13
	s_waitcnt lgkmcnt(0)
	v_mul_f64 v[164:165], v[192:193], v[166:167]
	s_delay_alu instid0(VALU_DEP_1) | instskip(SKIP_1) | instid1(VALU_DEP_2)
	v_fma_f64 v[164:165], v[190:191], v[188:189], -v[164:165]
	v_mul_f64 v[190:191], v[190:191], v[166:167]
	v_add_f64 v[160:161], v[160:161], -v[164:165]
	s_delay_alu instid0(VALU_DEP_2) | instskip(NEXT) | instid1(VALU_DEP_1)
	v_fma_f64 v[190:191], v[192:193], v[188:189], v[190:191]
	v_add_f64 v[162:163], v[162:163], -v[190:191]
	ds_load_2addr_b64 v[190:193], v244 offset0:14 offset1:15
	s_waitcnt lgkmcnt(0)
	v_mul_f64 v[164:165], v[192:193], v[166:167]
	s_delay_alu instid0(VALU_DEP_1) | instskip(SKIP_1) | instid1(VALU_DEP_2)
	v_fma_f64 v[164:165], v[190:191], v[188:189], -v[164:165]
	v_mul_f64 v[190:191], v[190:191], v[166:167]
	v_add_f64 v[156:157], v[156:157], -v[164:165]
	s_delay_alu instid0(VALU_DEP_2) | instskip(NEXT) | instid1(VALU_DEP_1)
	v_fma_f64 v[190:191], v[192:193], v[188:189], v[190:191]
	v_add_f64 v[158:159], v[158:159], -v[190:191]
	ds_load_2addr_b64 v[190:193], v244 offset0:16 offset1:17
	s_waitcnt lgkmcnt(0)
	v_mul_f64 v[164:165], v[192:193], v[166:167]
	s_delay_alu instid0(VALU_DEP_1) | instskip(SKIP_1) | instid1(VALU_DEP_2)
	v_fma_f64 v[164:165], v[190:191], v[188:189], -v[164:165]
	v_mul_f64 v[190:191], v[190:191], v[166:167]
	v_add_f64 v[152:153], v[152:153], -v[164:165]
	s_delay_alu instid0(VALU_DEP_2) | instskip(NEXT) | instid1(VALU_DEP_1)
	v_fma_f64 v[190:191], v[192:193], v[188:189], v[190:191]
	v_add_f64 v[154:155], v[154:155], -v[190:191]
	ds_load_2addr_b64 v[190:193], v244 offset0:18 offset1:19
	s_waitcnt lgkmcnt(0)
	v_mul_f64 v[164:165], v[192:193], v[166:167]
	s_delay_alu instid0(VALU_DEP_1) | instskip(SKIP_1) | instid1(VALU_DEP_2)
	v_fma_f64 v[164:165], v[190:191], v[188:189], -v[164:165]
	v_mul_f64 v[190:191], v[190:191], v[166:167]
	v_add_f64 v[148:149], v[148:149], -v[164:165]
	s_delay_alu instid0(VALU_DEP_2) | instskip(NEXT) | instid1(VALU_DEP_1)
	v_fma_f64 v[190:191], v[192:193], v[188:189], v[190:191]
	v_add_f64 v[150:151], v[150:151], -v[190:191]
	ds_load_2addr_b64 v[190:193], v244 offset0:20 offset1:21
	s_waitcnt lgkmcnt(0)
	v_mul_f64 v[164:165], v[192:193], v[166:167]
	s_delay_alu instid0(VALU_DEP_1) | instskip(SKIP_1) | instid1(VALU_DEP_2)
	v_fma_f64 v[164:165], v[190:191], v[188:189], -v[164:165]
	v_mul_f64 v[190:191], v[190:191], v[166:167]
	v_add_f64 v[144:145], v[144:145], -v[164:165]
	s_delay_alu instid0(VALU_DEP_2) | instskip(NEXT) | instid1(VALU_DEP_1)
	v_fma_f64 v[190:191], v[192:193], v[188:189], v[190:191]
	v_add_f64 v[146:147], v[146:147], -v[190:191]
	ds_load_2addr_b64 v[190:193], v244 offset0:22 offset1:23
	s_waitcnt lgkmcnt(0)
	v_mul_f64 v[164:165], v[192:193], v[166:167]
	s_delay_alu instid0(VALU_DEP_1) | instskip(SKIP_1) | instid1(VALU_DEP_2)
	v_fma_f64 v[164:165], v[190:191], v[188:189], -v[164:165]
	v_mul_f64 v[190:191], v[190:191], v[166:167]
	v_add_f64 v[140:141], v[140:141], -v[164:165]
	s_delay_alu instid0(VALU_DEP_2) | instskip(NEXT) | instid1(VALU_DEP_1)
	v_fma_f64 v[190:191], v[192:193], v[188:189], v[190:191]
	v_add_f64 v[142:143], v[142:143], -v[190:191]
	ds_load_2addr_b64 v[190:193], v244 offset0:24 offset1:25
	s_waitcnt lgkmcnt(0)
	v_mul_f64 v[164:165], v[192:193], v[166:167]
	s_delay_alu instid0(VALU_DEP_1) | instskip(SKIP_1) | instid1(VALU_DEP_2)
	v_fma_f64 v[164:165], v[190:191], v[188:189], -v[164:165]
	v_mul_f64 v[190:191], v[190:191], v[166:167]
	v_add_f64 v[136:137], v[136:137], -v[164:165]
	s_delay_alu instid0(VALU_DEP_2) | instskip(NEXT) | instid1(VALU_DEP_1)
	v_fma_f64 v[190:191], v[192:193], v[188:189], v[190:191]
	v_add_f64 v[138:139], v[138:139], -v[190:191]
	ds_load_2addr_b64 v[190:193], v244 offset0:26 offset1:27
	s_waitcnt lgkmcnt(0)
	v_mul_f64 v[164:165], v[192:193], v[166:167]
	s_delay_alu instid0(VALU_DEP_1) | instskip(SKIP_1) | instid1(VALU_DEP_2)
	v_fma_f64 v[164:165], v[190:191], v[188:189], -v[164:165]
	v_mul_f64 v[190:191], v[190:191], v[166:167]
	v_add_f64 v[132:133], v[132:133], -v[164:165]
	s_delay_alu instid0(VALU_DEP_2) | instskip(NEXT) | instid1(VALU_DEP_1)
	v_fma_f64 v[190:191], v[192:193], v[188:189], v[190:191]
	v_add_f64 v[134:135], v[134:135], -v[190:191]
	ds_load_2addr_b64 v[190:193], v244 offset0:28 offset1:29
	s_waitcnt lgkmcnt(0)
	v_mul_f64 v[164:165], v[192:193], v[166:167]
	s_delay_alu instid0(VALU_DEP_1) | instskip(SKIP_1) | instid1(VALU_DEP_2)
	v_fma_f64 v[164:165], v[190:191], v[188:189], -v[164:165]
	v_mul_f64 v[190:191], v[190:191], v[166:167]
	v_add_f64 v[128:129], v[128:129], -v[164:165]
	s_delay_alu instid0(VALU_DEP_2) | instskip(NEXT) | instid1(VALU_DEP_1)
	v_fma_f64 v[190:191], v[192:193], v[188:189], v[190:191]
	v_add_f64 v[130:131], v[130:131], -v[190:191]
	ds_load_2addr_b64 v[190:193], v244 offset0:30 offset1:31
	s_waitcnt lgkmcnt(0)
	v_mul_f64 v[164:165], v[192:193], v[166:167]
	s_delay_alu instid0(VALU_DEP_1) | instskip(SKIP_1) | instid1(VALU_DEP_2)
	v_fma_f64 v[164:165], v[190:191], v[188:189], -v[164:165]
	v_mul_f64 v[190:191], v[190:191], v[166:167]
	v_add_f64 v[124:125], v[124:125], -v[164:165]
	s_delay_alu instid0(VALU_DEP_2) | instskip(NEXT) | instid1(VALU_DEP_1)
	v_fma_f64 v[190:191], v[192:193], v[188:189], v[190:191]
	v_add_f64 v[126:127], v[126:127], -v[190:191]
	ds_load_2addr_b64 v[190:193], v244 offset0:32 offset1:33
	s_waitcnt lgkmcnt(0)
	v_mul_f64 v[164:165], v[192:193], v[166:167]
	s_delay_alu instid0(VALU_DEP_1) | instskip(SKIP_1) | instid1(VALU_DEP_2)
	v_fma_f64 v[164:165], v[190:191], v[188:189], -v[164:165]
	v_mul_f64 v[190:191], v[190:191], v[166:167]
	v_add_f64 v[120:121], v[120:121], -v[164:165]
	s_delay_alu instid0(VALU_DEP_2) | instskip(NEXT) | instid1(VALU_DEP_1)
	v_fma_f64 v[190:191], v[192:193], v[188:189], v[190:191]
	v_add_f64 v[122:123], v[122:123], -v[190:191]
	ds_load_2addr_b64 v[190:193], v244 offset0:34 offset1:35
	s_waitcnt lgkmcnt(0)
	v_mul_f64 v[164:165], v[192:193], v[166:167]
	s_delay_alu instid0(VALU_DEP_1) | instskip(SKIP_1) | instid1(VALU_DEP_2)
	v_fma_f64 v[164:165], v[190:191], v[188:189], -v[164:165]
	v_mul_f64 v[190:191], v[190:191], v[166:167]
	v_add_f64 v[116:117], v[116:117], -v[164:165]
	s_delay_alu instid0(VALU_DEP_2) | instskip(NEXT) | instid1(VALU_DEP_1)
	v_fma_f64 v[190:191], v[192:193], v[188:189], v[190:191]
	v_add_f64 v[118:119], v[118:119], -v[190:191]
	ds_load_2addr_b64 v[190:193], v244 offset0:36 offset1:37
	s_waitcnt lgkmcnt(0)
	v_mul_f64 v[164:165], v[192:193], v[166:167]
	s_delay_alu instid0(VALU_DEP_1) | instskip(SKIP_1) | instid1(VALU_DEP_2)
	v_fma_f64 v[164:165], v[190:191], v[188:189], -v[164:165]
	v_mul_f64 v[190:191], v[190:191], v[166:167]
	v_add_f64 v[112:113], v[112:113], -v[164:165]
	s_delay_alu instid0(VALU_DEP_2) | instskip(NEXT) | instid1(VALU_DEP_1)
	v_fma_f64 v[190:191], v[192:193], v[188:189], v[190:191]
	v_add_f64 v[114:115], v[114:115], -v[190:191]
	ds_load_2addr_b64 v[190:193], v244 offset0:38 offset1:39
	s_waitcnt lgkmcnt(0)
	v_mul_f64 v[164:165], v[192:193], v[166:167]
	s_delay_alu instid0(VALU_DEP_1) | instskip(SKIP_1) | instid1(VALU_DEP_2)
	v_fma_f64 v[164:165], v[190:191], v[188:189], -v[164:165]
	v_mul_f64 v[190:191], v[190:191], v[166:167]
	v_add_f64 v[108:109], v[108:109], -v[164:165]
	s_delay_alu instid0(VALU_DEP_2) | instskip(NEXT) | instid1(VALU_DEP_1)
	v_fma_f64 v[190:191], v[192:193], v[188:189], v[190:191]
	v_add_f64 v[110:111], v[110:111], -v[190:191]
	ds_load_2addr_b64 v[190:193], v244 offset0:40 offset1:41
	s_waitcnt lgkmcnt(0)
	v_mul_f64 v[164:165], v[192:193], v[166:167]
	s_delay_alu instid0(VALU_DEP_1) | instskip(SKIP_1) | instid1(VALU_DEP_2)
	v_fma_f64 v[164:165], v[190:191], v[188:189], -v[164:165]
	v_mul_f64 v[190:191], v[190:191], v[166:167]
	v_add_f64 v[104:105], v[104:105], -v[164:165]
	s_delay_alu instid0(VALU_DEP_2) | instskip(NEXT) | instid1(VALU_DEP_1)
	v_fma_f64 v[190:191], v[192:193], v[188:189], v[190:191]
	v_add_f64 v[106:107], v[106:107], -v[190:191]
	ds_load_2addr_b64 v[190:193], v244 offset0:42 offset1:43
	s_waitcnt lgkmcnt(0)
	v_mul_f64 v[164:165], v[192:193], v[166:167]
	s_delay_alu instid0(VALU_DEP_1) | instskip(SKIP_1) | instid1(VALU_DEP_2)
	v_fma_f64 v[164:165], v[190:191], v[188:189], -v[164:165]
	v_mul_f64 v[190:191], v[190:191], v[166:167]
	v_add_f64 v[100:101], v[100:101], -v[164:165]
	s_delay_alu instid0(VALU_DEP_2) | instskip(NEXT) | instid1(VALU_DEP_1)
	v_fma_f64 v[190:191], v[192:193], v[188:189], v[190:191]
	v_add_f64 v[102:103], v[102:103], -v[190:191]
	ds_load_2addr_b64 v[190:193], v244 offset0:44 offset1:45
	s_waitcnt lgkmcnt(0)
	v_mul_f64 v[164:165], v[192:193], v[166:167]
	s_delay_alu instid0(VALU_DEP_1) | instskip(SKIP_1) | instid1(VALU_DEP_2)
	v_fma_f64 v[164:165], v[190:191], v[188:189], -v[164:165]
	v_mul_f64 v[190:191], v[190:191], v[166:167]
	v_add_f64 v[96:97], v[96:97], -v[164:165]
	s_delay_alu instid0(VALU_DEP_2) | instskip(NEXT) | instid1(VALU_DEP_1)
	v_fma_f64 v[190:191], v[192:193], v[188:189], v[190:191]
	v_add_f64 v[98:99], v[98:99], -v[190:191]
	ds_load_2addr_b64 v[190:193], v244 offset0:46 offset1:47
	s_waitcnt lgkmcnt(0)
	v_mul_f64 v[164:165], v[192:193], v[166:167]
	s_delay_alu instid0(VALU_DEP_1) | instskip(SKIP_1) | instid1(VALU_DEP_2)
	v_fma_f64 v[164:165], v[190:191], v[188:189], -v[164:165]
	v_mul_f64 v[190:191], v[190:191], v[166:167]
	v_add_f64 v[92:93], v[92:93], -v[164:165]
	s_delay_alu instid0(VALU_DEP_2) | instskip(NEXT) | instid1(VALU_DEP_1)
	v_fma_f64 v[190:191], v[192:193], v[188:189], v[190:191]
	v_add_f64 v[94:95], v[94:95], -v[190:191]
	ds_load_2addr_b64 v[190:193], v244 offset0:48 offset1:49
	s_waitcnt lgkmcnt(0)
	v_mul_f64 v[164:165], v[192:193], v[166:167]
	s_delay_alu instid0(VALU_DEP_1) | instskip(SKIP_1) | instid1(VALU_DEP_2)
	v_fma_f64 v[164:165], v[190:191], v[188:189], -v[164:165]
	v_mul_f64 v[190:191], v[190:191], v[166:167]
	v_add_f64 v[88:89], v[88:89], -v[164:165]
	s_delay_alu instid0(VALU_DEP_2) | instskip(NEXT) | instid1(VALU_DEP_1)
	v_fma_f64 v[190:191], v[192:193], v[188:189], v[190:191]
	v_add_f64 v[90:91], v[90:91], -v[190:191]
	ds_load_2addr_b64 v[190:193], v244 offset0:50 offset1:51
	s_waitcnt lgkmcnt(0)
	v_mul_f64 v[164:165], v[192:193], v[166:167]
	s_delay_alu instid0(VALU_DEP_1) | instskip(SKIP_1) | instid1(VALU_DEP_2)
	v_fma_f64 v[164:165], v[190:191], v[188:189], -v[164:165]
	v_mul_f64 v[190:191], v[190:191], v[166:167]
	v_add_f64 v[84:85], v[84:85], -v[164:165]
	s_delay_alu instid0(VALU_DEP_2) | instskip(NEXT) | instid1(VALU_DEP_1)
	v_fma_f64 v[190:191], v[192:193], v[188:189], v[190:191]
	v_add_f64 v[86:87], v[86:87], -v[190:191]
	ds_load_2addr_b64 v[190:193], v244 offset0:52 offset1:53
	s_waitcnt lgkmcnt(0)
	v_mul_f64 v[164:165], v[192:193], v[166:167]
	s_delay_alu instid0(VALU_DEP_1) | instskip(SKIP_1) | instid1(VALU_DEP_2)
	v_fma_f64 v[164:165], v[190:191], v[188:189], -v[164:165]
	v_mul_f64 v[190:191], v[190:191], v[166:167]
	v_add_f64 v[80:81], v[80:81], -v[164:165]
	s_delay_alu instid0(VALU_DEP_2) | instskip(NEXT) | instid1(VALU_DEP_1)
	v_fma_f64 v[190:191], v[192:193], v[188:189], v[190:191]
	v_add_f64 v[82:83], v[82:83], -v[190:191]
	ds_load_2addr_b64 v[190:193], v244 offset0:54 offset1:55
	s_waitcnt lgkmcnt(0)
	v_mul_f64 v[164:165], v[192:193], v[166:167]
	s_delay_alu instid0(VALU_DEP_1) | instskip(SKIP_1) | instid1(VALU_DEP_2)
	v_fma_f64 v[164:165], v[190:191], v[188:189], -v[164:165]
	v_mul_f64 v[190:191], v[190:191], v[166:167]
	v_add_f64 v[76:77], v[76:77], -v[164:165]
	s_delay_alu instid0(VALU_DEP_2) | instskip(NEXT) | instid1(VALU_DEP_1)
	v_fma_f64 v[190:191], v[192:193], v[188:189], v[190:191]
	v_add_f64 v[78:79], v[78:79], -v[190:191]
	ds_load_2addr_b64 v[190:193], v244 offset0:56 offset1:57
	s_waitcnt lgkmcnt(0)
	v_mul_f64 v[164:165], v[192:193], v[166:167]
	s_delay_alu instid0(VALU_DEP_1) | instskip(SKIP_1) | instid1(VALU_DEP_2)
	v_fma_f64 v[164:165], v[190:191], v[188:189], -v[164:165]
	v_mul_f64 v[190:191], v[190:191], v[166:167]
	v_add_f64 v[72:73], v[72:73], -v[164:165]
	s_delay_alu instid0(VALU_DEP_2) | instskip(NEXT) | instid1(VALU_DEP_1)
	v_fma_f64 v[190:191], v[192:193], v[188:189], v[190:191]
	v_add_f64 v[74:75], v[74:75], -v[190:191]
	ds_load_2addr_b64 v[190:193], v244 offset0:58 offset1:59
	s_waitcnt lgkmcnt(0)
	v_mul_f64 v[164:165], v[192:193], v[166:167]
	s_delay_alu instid0(VALU_DEP_1) | instskip(SKIP_1) | instid1(VALU_DEP_2)
	v_fma_f64 v[164:165], v[190:191], v[188:189], -v[164:165]
	v_mul_f64 v[190:191], v[190:191], v[166:167]
	v_add_f64 v[68:69], v[68:69], -v[164:165]
	s_delay_alu instid0(VALU_DEP_2) | instskip(NEXT) | instid1(VALU_DEP_1)
	v_fma_f64 v[190:191], v[192:193], v[188:189], v[190:191]
	v_add_f64 v[70:71], v[70:71], -v[190:191]
	ds_load_2addr_b64 v[190:193], v244 offset0:60 offset1:61
	s_waitcnt lgkmcnt(0)
	v_mul_f64 v[164:165], v[192:193], v[166:167]
	s_delay_alu instid0(VALU_DEP_1) | instskip(SKIP_1) | instid1(VALU_DEP_2)
	v_fma_f64 v[164:165], v[190:191], v[188:189], -v[164:165]
	v_mul_f64 v[190:191], v[190:191], v[166:167]
	v_add_f64 v[64:65], v[64:65], -v[164:165]
	s_delay_alu instid0(VALU_DEP_2) | instskip(NEXT) | instid1(VALU_DEP_1)
	v_fma_f64 v[190:191], v[192:193], v[188:189], v[190:191]
	v_add_f64 v[66:67], v[66:67], -v[190:191]
	ds_load_2addr_b64 v[190:193], v244 offset0:62 offset1:63
	s_waitcnt lgkmcnt(0)
	v_mul_f64 v[164:165], v[192:193], v[166:167]
	s_delay_alu instid0(VALU_DEP_1) | instskip(SKIP_1) | instid1(VALU_DEP_2)
	v_fma_f64 v[164:165], v[190:191], v[188:189], -v[164:165]
	v_mul_f64 v[190:191], v[190:191], v[166:167]
	v_add_f64 v[60:61], v[60:61], -v[164:165]
	s_delay_alu instid0(VALU_DEP_2) | instskip(NEXT) | instid1(VALU_DEP_1)
	v_fma_f64 v[190:191], v[192:193], v[188:189], v[190:191]
	v_add_f64 v[62:63], v[62:63], -v[190:191]
	ds_load_2addr_b64 v[190:193], v244 offset0:64 offset1:65
	s_waitcnt lgkmcnt(0)
	v_mul_f64 v[164:165], v[192:193], v[166:167]
	s_delay_alu instid0(VALU_DEP_1) | instskip(SKIP_1) | instid1(VALU_DEP_2)
	v_fma_f64 v[164:165], v[190:191], v[188:189], -v[164:165]
	v_mul_f64 v[190:191], v[190:191], v[166:167]
	v_add_f64 v[56:57], v[56:57], -v[164:165]
	s_delay_alu instid0(VALU_DEP_2) | instskip(NEXT) | instid1(VALU_DEP_1)
	v_fma_f64 v[190:191], v[192:193], v[188:189], v[190:191]
	v_add_f64 v[58:59], v[58:59], -v[190:191]
	ds_load_2addr_b64 v[190:193], v244 offset0:66 offset1:67
	s_waitcnt lgkmcnt(0)
	v_mul_f64 v[164:165], v[192:193], v[166:167]
	s_delay_alu instid0(VALU_DEP_1) | instskip(SKIP_1) | instid1(VALU_DEP_2)
	v_fma_f64 v[164:165], v[190:191], v[188:189], -v[164:165]
	v_mul_f64 v[190:191], v[190:191], v[166:167]
	v_add_f64 v[52:53], v[52:53], -v[164:165]
	s_delay_alu instid0(VALU_DEP_2) | instskip(NEXT) | instid1(VALU_DEP_1)
	v_fma_f64 v[190:191], v[192:193], v[188:189], v[190:191]
	v_add_f64 v[54:55], v[54:55], -v[190:191]
	ds_load_2addr_b64 v[190:193], v244 offset0:68 offset1:69
	s_waitcnt lgkmcnt(0)
	v_mul_f64 v[164:165], v[192:193], v[166:167]
	s_delay_alu instid0(VALU_DEP_1) | instskip(SKIP_1) | instid1(VALU_DEP_2)
	v_fma_f64 v[164:165], v[190:191], v[188:189], -v[164:165]
	v_mul_f64 v[190:191], v[190:191], v[166:167]
	v_add_f64 v[48:49], v[48:49], -v[164:165]
	s_delay_alu instid0(VALU_DEP_2) | instskip(NEXT) | instid1(VALU_DEP_1)
	v_fma_f64 v[190:191], v[192:193], v[188:189], v[190:191]
	v_add_f64 v[50:51], v[50:51], -v[190:191]
	ds_load_2addr_b64 v[190:193], v244 offset0:70 offset1:71
	s_waitcnt lgkmcnt(0)
	v_mul_f64 v[164:165], v[192:193], v[166:167]
	s_delay_alu instid0(VALU_DEP_1) | instskip(SKIP_1) | instid1(VALU_DEP_2)
	v_fma_f64 v[164:165], v[190:191], v[188:189], -v[164:165]
	v_mul_f64 v[190:191], v[190:191], v[166:167]
	v_add_f64 v[44:45], v[44:45], -v[164:165]
	s_delay_alu instid0(VALU_DEP_2) | instskip(NEXT) | instid1(VALU_DEP_1)
	v_fma_f64 v[190:191], v[192:193], v[188:189], v[190:191]
	v_add_f64 v[46:47], v[46:47], -v[190:191]
	ds_load_2addr_b64 v[190:193], v244 offset0:72 offset1:73
	s_waitcnt lgkmcnt(0)
	v_mul_f64 v[164:165], v[192:193], v[166:167]
	s_delay_alu instid0(VALU_DEP_1) | instskip(SKIP_1) | instid1(VALU_DEP_2)
	v_fma_f64 v[164:165], v[190:191], v[188:189], -v[164:165]
	v_mul_f64 v[190:191], v[190:191], v[166:167]
	v_add_f64 v[40:41], v[40:41], -v[164:165]
	s_delay_alu instid0(VALU_DEP_2) | instskip(NEXT) | instid1(VALU_DEP_1)
	v_fma_f64 v[190:191], v[192:193], v[188:189], v[190:191]
	v_add_f64 v[42:43], v[42:43], -v[190:191]
	ds_load_2addr_b64 v[190:193], v244 offset0:74 offset1:75
	s_waitcnt lgkmcnt(0)
	v_mul_f64 v[164:165], v[192:193], v[166:167]
	s_delay_alu instid0(VALU_DEP_1) | instskip(SKIP_1) | instid1(VALU_DEP_2)
	v_fma_f64 v[164:165], v[190:191], v[188:189], -v[164:165]
	v_mul_f64 v[190:191], v[190:191], v[166:167]
	v_add_f64 v[36:37], v[36:37], -v[164:165]
	s_delay_alu instid0(VALU_DEP_2) | instskip(NEXT) | instid1(VALU_DEP_1)
	v_fma_f64 v[190:191], v[192:193], v[188:189], v[190:191]
	v_add_f64 v[38:39], v[38:39], -v[190:191]
	ds_load_2addr_b64 v[190:193], v244 offset0:76 offset1:77
	s_waitcnt lgkmcnt(0)
	v_mul_f64 v[164:165], v[192:193], v[166:167]
	s_delay_alu instid0(VALU_DEP_1) | instskip(SKIP_1) | instid1(VALU_DEP_2)
	v_fma_f64 v[164:165], v[190:191], v[188:189], -v[164:165]
	v_mul_f64 v[190:191], v[190:191], v[166:167]
	v_add_f64 v[32:33], v[32:33], -v[164:165]
	s_delay_alu instid0(VALU_DEP_2) | instskip(NEXT) | instid1(VALU_DEP_1)
	v_fma_f64 v[190:191], v[192:193], v[188:189], v[190:191]
	v_add_f64 v[34:35], v[34:35], -v[190:191]
	ds_load_2addr_b64 v[190:193], v244 offset0:78 offset1:79
	s_waitcnt lgkmcnt(0)
	v_mul_f64 v[164:165], v[192:193], v[166:167]
	s_delay_alu instid0(VALU_DEP_1) | instskip(SKIP_1) | instid1(VALU_DEP_2)
	v_fma_f64 v[164:165], v[190:191], v[188:189], -v[164:165]
	v_mul_f64 v[190:191], v[190:191], v[166:167]
	v_add_f64 v[28:29], v[28:29], -v[164:165]
	s_delay_alu instid0(VALU_DEP_2) | instskip(NEXT) | instid1(VALU_DEP_1)
	v_fma_f64 v[190:191], v[192:193], v[188:189], v[190:191]
	v_add_f64 v[30:31], v[30:31], -v[190:191]
	ds_load_2addr_b64 v[190:193], v244 offset0:80 offset1:81
	s_waitcnt lgkmcnt(0)
	v_mul_f64 v[164:165], v[192:193], v[166:167]
	s_delay_alu instid0(VALU_DEP_1) | instskip(SKIP_1) | instid1(VALU_DEP_2)
	v_fma_f64 v[164:165], v[190:191], v[188:189], -v[164:165]
	v_mul_f64 v[190:191], v[190:191], v[166:167]
	v_add_f64 v[24:25], v[24:25], -v[164:165]
	s_delay_alu instid0(VALU_DEP_2) | instskip(NEXT) | instid1(VALU_DEP_1)
	v_fma_f64 v[190:191], v[192:193], v[188:189], v[190:191]
	v_add_f64 v[26:27], v[26:27], -v[190:191]
	ds_load_2addr_b64 v[190:193], v244 offset0:82 offset1:83
	s_waitcnt lgkmcnt(0)
	v_mul_f64 v[164:165], v[192:193], v[166:167]
	s_delay_alu instid0(VALU_DEP_1) | instskip(SKIP_1) | instid1(VALU_DEP_2)
	v_fma_f64 v[164:165], v[190:191], v[188:189], -v[164:165]
	v_mul_f64 v[190:191], v[190:191], v[166:167]
	v_add_f64 v[20:21], v[20:21], -v[164:165]
	s_delay_alu instid0(VALU_DEP_2) | instskip(NEXT) | instid1(VALU_DEP_1)
	v_fma_f64 v[190:191], v[192:193], v[188:189], v[190:191]
	v_add_f64 v[22:23], v[22:23], -v[190:191]
	ds_load_2addr_b64 v[190:193], v244 offset0:84 offset1:85
	s_waitcnt lgkmcnt(0)
	v_mul_f64 v[164:165], v[192:193], v[166:167]
	s_delay_alu instid0(VALU_DEP_1) | instskip(SKIP_1) | instid1(VALU_DEP_2)
	v_fma_f64 v[164:165], v[190:191], v[188:189], -v[164:165]
	v_mul_f64 v[190:191], v[190:191], v[166:167]
	v_add_f64 v[16:17], v[16:17], -v[164:165]
	s_delay_alu instid0(VALU_DEP_2) | instskip(NEXT) | instid1(VALU_DEP_1)
	v_fma_f64 v[190:191], v[192:193], v[188:189], v[190:191]
	v_add_f64 v[18:19], v[18:19], -v[190:191]
	ds_load_2addr_b64 v[190:193], v244 offset0:86 offset1:87
	s_waitcnt lgkmcnt(0)
	v_mul_f64 v[164:165], v[192:193], v[166:167]
	s_delay_alu instid0(VALU_DEP_1) | instskip(SKIP_1) | instid1(VALU_DEP_2)
	v_fma_f64 v[164:165], v[190:191], v[188:189], -v[164:165]
	v_mul_f64 v[190:191], v[190:191], v[166:167]
	v_add_f64 v[12:13], v[12:13], -v[164:165]
	s_delay_alu instid0(VALU_DEP_2) | instskip(NEXT) | instid1(VALU_DEP_1)
	v_fma_f64 v[190:191], v[192:193], v[188:189], v[190:191]
	v_add_f64 v[14:15], v[14:15], -v[190:191]
	ds_load_2addr_b64 v[190:193], v244 offset0:88 offset1:89
	s_waitcnt lgkmcnt(0)
	v_mul_f64 v[164:165], v[192:193], v[166:167]
	s_delay_alu instid0(VALU_DEP_1) | instskip(SKIP_1) | instid1(VALU_DEP_2)
	v_fma_f64 v[164:165], v[190:191], v[188:189], -v[164:165]
	v_mul_f64 v[190:191], v[190:191], v[166:167]
	v_add_f64 v[8:9], v[8:9], -v[164:165]
	s_delay_alu instid0(VALU_DEP_2) | instskip(NEXT) | instid1(VALU_DEP_1)
	v_fma_f64 v[190:191], v[192:193], v[188:189], v[190:191]
	v_add_f64 v[10:11], v[10:11], -v[190:191]
	ds_load_2addr_b64 v[190:193], v244 offset0:90 offset1:91
	s_waitcnt lgkmcnt(0)
	v_mul_f64 v[164:165], v[192:193], v[166:167]
	s_delay_alu instid0(VALU_DEP_1) | instskip(SKIP_1) | instid1(VALU_DEP_2)
	v_fma_f64 v[164:165], v[190:191], v[188:189], -v[164:165]
	v_mul_f64 v[190:191], v[190:191], v[166:167]
	v_add_f64 v[4:5], v[4:5], -v[164:165]
	s_delay_alu instid0(VALU_DEP_2) | instskip(NEXT) | instid1(VALU_DEP_1)
	v_fma_f64 v[190:191], v[192:193], v[188:189], v[190:191]
	v_add_f64 v[6:7], v[6:7], -v[190:191]
	ds_load_2addr_b64 v[190:193], v244 offset0:92 offset1:93
	s_waitcnt lgkmcnt(0)
	v_mul_f64 v[164:165], v[192:193], v[166:167]
	s_delay_alu instid0(VALU_DEP_1) | instskip(SKIP_1) | instid1(VALU_DEP_2)
	v_fma_f64 v[164:165], v[190:191], v[188:189], -v[164:165]
	v_mul_f64 v[190:191], v[190:191], v[166:167]
	v_add_f64 v[0:1], v[0:1], -v[164:165]
	s_delay_alu instid0(VALU_DEP_2) | instskip(SKIP_1) | instid1(VALU_DEP_2)
	v_fma_f64 v[190:191], v[192:193], v[188:189], v[190:191]
	v_dual_mov_b32 v164, v188 :: v_dual_mov_b32 v165, v189
	v_add_f64 v[2:3], v[2:3], -v[190:191]
.LBB93_55:
	s_or_b32 exec_lo, exec_lo, s3
	s_delay_alu instid0(SALU_CYCLE_1)
	s_mov_b32 s4, exec_lo
	s_waitcnt_vscnt null, 0x0
	s_barrier
	buffer_gl0_inv
	v_cmpx_eq_u32_e32 6, v242
	s_cbranch_execz .LBB93_62
; %bb.56:
	ds_store_2addr_b64 v243, v[160:161], v[162:163] offset1:1
	ds_store_2addr_b64 v244, v[156:157], v[158:159] offset0:14 offset1:15
	ds_store_2addr_b64 v244, v[152:153], v[154:155] offset0:16 offset1:17
	;; [unrolled: 1-line block ×40, first 2 shown]
	ds_load_2addr_b64 v[188:191], v243 offset1:1
	s_waitcnt lgkmcnt(0)
	v_cmp_neq_f64_e32 vcc_lo, 0, v[188:189]
	v_cmp_neq_f64_e64 s3, 0, v[190:191]
	s_delay_alu instid0(VALU_DEP_1) | instskip(NEXT) | instid1(SALU_CYCLE_1)
	s_or_b32 s3, vcc_lo, s3
	s_and_b32 exec_lo, exec_lo, s3
	s_cbranch_execz .LBB93_62
; %bb.57:
	v_cmp_gt_f64_e32 vcc_lo, 0, v[188:189]
	v_xor_b32_e32 v192, 0x80000000, v189
	v_xor_b32_e32 v194, 0x80000000, v191
	s_mov_b32 s3, exec_lo
                                        ; implicit-def: $vgpr196_vgpr197
	s_delay_alu instid0(VALU_DEP_2) | instskip(SKIP_4) | instid1(VALU_DEP_1)
	v_cndmask_b32_e32 v193, v189, v192, vcc_lo
	v_cndmask_b32_e32 v192, v188, v188, vcc_lo
	v_cmp_gt_f64_e32 vcc_lo, 0, v[190:191]
	v_cndmask_b32_e32 v195, v191, v194, vcc_lo
	v_cndmask_b32_e32 v194, v190, v190, vcc_lo
	v_cmpx_ngt_f64_e32 v[192:193], v[194:195]
	s_xor_b32 s3, exec_lo, s3
                                        ; implicit-def: $vgpr192_vgpr193_vgpr194_vgpr195
	s_cbranch_execz .LBB93_59
; %bb.58:
	v_div_scale_f64 v[192:193], null, v[190:191], v[190:191], v[188:189]
	v_div_scale_f64 v[198:199], vcc_lo, v[188:189], v[190:191], v[188:189]
	s_delay_alu instid0(VALU_DEP_2) | instskip(SKIP_2) | instid1(VALU_DEP_1)
	v_rcp_f64_e32 v[194:195], v[192:193]
	s_waitcnt_depctr 0xfff
	v_fma_f64 v[196:197], -v[192:193], v[194:195], 1.0
	v_fma_f64 v[194:195], v[194:195], v[196:197], v[194:195]
	s_delay_alu instid0(VALU_DEP_1) | instskip(NEXT) | instid1(VALU_DEP_1)
	v_fma_f64 v[196:197], -v[192:193], v[194:195], 1.0
	v_fma_f64 v[194:195], v[194:195], v[196:197], v[194:195]
	s_delay_alu instid0(VALU_DEP_1) | instskip(NEXT) | instid1(VALU_DEP_1)
	v_mul_f64 v[196:197], v[198:199], v[194:195]
	v_fma_f64 v[192:193], -v[192:193], v[196:197], v[198:199]
	s_delay_alu instid0(VALU_DEP_1) | instskip(NEXT) | instid1(VALU_DEP_1)
	v_div_fmas_f64 v[192:193], v[192:193], v[194:195], v[196:197]
	v_div_fixup_f64 v[192:193], v[192:193], v[190:191], v[188:189]
	s_delay_alu instid0(VALU_DEP_1) | instskip(NEXT) | instid1(VALU_DEP_1)
	v_fma_f64 v[188:189], v[188:189], v[192:193], v[190:191]
	v_div_scale_f64 v[190:191], null, v[188:189], v[188:189], 1.0
	s_delay_alu instid0(VALU_DEP_1) | instskip(SKIP_2) | instid1(VALU_DEP_1)
	v_rcp_f64_e32 v[194:195], v[190:191]
	s_waitcnt_depctr 0xfff
	v_fma_f64 v[196:197], -v[190:191], v[194:195], 1.0
	v_fma_f64 v[194:195], v[194:195], v[196:197], v[194:195]
	s_delay_alu instid0(VALU_DEP_1) | instskip(NEXT) | instid1(VALU_DEP_1)
	v_fma_f64 v[196:197], -v[190:191], v[194:195], 1.0
	v_fma_f64 v[194:195], v[194:195], v[196:197], v[194:195]
	v_div_scale_f64 v[196:197], vcc_lo, 1.0, v[188:189], 1.0
	s_delay_alu instid0(VALU_DEP_1) | instskip(NEXT) | instid1(VALU_DEP_1)
	v_mul_f64 v[198:199], v[196:197], v[194:195]
	v_fma_f64 v[190:191], -v[190:191], v[198:199], v[196:197]
	s_delay_alu instid0(VALU_DEP_1) | instskip(NEXT) | instid1(VALU_DEP_1)
	v_div_fmas_f64 v[190:191], v[190:191], v[194:195], v[198:199]
	v_div_fixup_f64 v[194:195], v[190:191], v[188:189], 1.0
                                        ; implicit-def: $vgpr188_vgpr189
	s_delay_alu instid0(VALU_DEP_1)
	v_mul_f64 v[196:197], v[192:193], v[194:195]
	v_xor_b32_e32 v195, 0x80000000, v195
.LBB93_59:
	s_and_not1_saveexec_b32 s3, s3
	s_cbranch_execz .LBB93_61
; %bb.60:
	v_div_scale_f64 v[192:193], null, v[188:189], v[188:189], v[190:191]
	v_div_scale_f64 v[198:199], vcc_lo, v[190:191], v[188:189], v[190:191]
	s_delay_alu instid0(VALU_DEP_2) | instskip(SKIP_2) | instid1(VALU_DEP_1)
	v_rcp_f64_e32 v[194:195], v[192:193]
	s_waitcnt_depctr 0xfff
	v_fma_f64 v[196:197], -v[192:193], v[194:195], 1.0
	v_fma_f64 v[194:195], v[194:195], v[196:197], v[194:195]
	s_delay_alu instid0(VALU_DEP_1) | instskip(NEXT) | instid1(VALU_DEP_1)
	v_fma_f64 v[196:197], -v[192:193], v[194:195], 1.0
	v_fma_f64 v[194:195], v[194:195], v[196:197], v[194:195]
	s_delay_alu instid0(VALU_DEP_1) | instskip(NEXT) | instid1(VALU_DEP_1)
	v_mul_f64 v[196:197], v[198:199], v[194:195]
	v_fma_f64 v[192:193], -v[192:193], v[196:197], v[198:199]
	s_delay_alu instid0(VALU_DEP_1) | instskip(NEXT) | instid1(VALU_DEP_1)
	v_div_fmas_f64 v[192:193], v[192:193], v[194:195], v[196:197]
	v_div_fixup_f64 v[192:193], v[192:193], v[188:189], v[190:191]
	s_delay_alu instid0(VALU_DEP_1) | instskip(NEXT) | instid1(VALU_DEP_1)
	v_fma_f64 v[188:189], v[190:191], v[192:193], v[188:189]
	v_div_scale_f64 v[190:191], null, v[188:189], v[188:189], 1.0
	s_delay_alu instid0(VALU_DEP_1) | instskip(SKIP_2) | instid1(VALU_DEP_1)
	v_rcp_f64_e32 v[194:195], v[190:191]
	s_waitcnt_depctr 0xfff
	v_fma_f64 v[196:197], -v[190:191], v[194:195], 1.0
	v_fma_f64 v[194:195], v[194:195], v[196:197], v[194:195]
	s_delay_alu instid0(VALU_DEP_1) | instskip(NEXT) | instid1(VALU_DEP_1)
	v_fma_f64 v[196:197], -v[190:191], v[194:195], 1.0
	v_fma_f64 v[194:195], v[194:195], v[196:197], v[194:195]
	v_div_scale_f64 v[196:197], vcc_lo, 1.0, v[188:189], 1.0
	s_delay_alu instid0(VALU_DEP_1) | instskip(NEXT) | instid1(VALU_DEP_1)
	v_mul_f64 v[198:199], v[196:197], v[194:195]
	v_fma_f64 v[190:191], -v[190:191], v[198:199], v[196:197]
	s_delay_alu instid0(VALU_DEP_1) | instskip(NEXT) | instid1(VALU_DEP_1)
	v_div_fmas_f64 v[190:191], v[190:191], v[194:195], v[198:199]
	v_div_fixup_f64 v[196:197], v[190:191], v[188:189], 1.0
	s_delay_alu instid0(VALU_DEP_1)
	v_mul_f64 v[194:195], v[192:193], -v[196:197]
.LBB93_61:
	s_or_b32 exec_lo, exec_lo, s3
	ds_store_2addr_b64 v243, v[196:197], v[194:195] offset1:1
.LBB93_62:
	s_or_b32 exec_lo, exec_lo, s4
	s_waitcnt lgkmcnt(0)
	s_barrier
	buffer_gl0_inv
	ds_load_2addr_b64 v[188:191], v243 offset1:1
	s_mov_b32 s3, exec_lo
	s_waitcnt lgkmcnt(0)
	scratch_store_b128 off, v[188:191], off offset:440 ; 16-byte Folded Spill
	v_cmpx_lt_u32_e32 6, v242
	s_cbranch_execz .LBB93_64
; %bb.63:
	scratch_load_b128 v[190:193], off, off offset:440 ; 16-byte Folded Reload
	s_waitcnt vmcnt(0)
	v_mul_f64 v[188:189], v[192:193], v[162:163]
	v_mul_f64 v[162:163], v[190:191], v[162:163]
	s_delay_alu instid0(VALU_DEP_2) | instskip(NEXT) | instid1(VALU_DEP_2)
	v_fma_f64 v[188:189], v[190:191], v[160:161], -v[188:189]
	v_fma_f64 v[162:163], v[192:193], v[160:161], v[162:163]
	ds_load_2addr_b64 v[190:193], v244 offset0:14 offset1:15
	s_waitcnt lgkmcnt(0)
	v_mul_f64 v[160:161], v[192:193], v[162:163]
	s_delay_alu instid0(VALU_DEP_1) | instskip(SKIP_1) | instid1(VALU_DEP_2)
	v_fma_f64 v[160:161], v[190:191], v[188:189], -v[160:161]
	v_mul_f64 v[190:191], v[190:191], v[162:163]
	v_add_f64 v[156:157], v[156:157], -v[160:161]
	s_delay_alu instid0(VALU_DEP_2) | instskip(NEXT) | instid1(VALU_DEP_1)
	v_fma_f64 v[190:191], v[192:193], v[188:189], v[190:191]
	v_add_f64 v[158:159], v[158:159], -v[190:191]
	ds_load_2addr_b64 v[190:193], v244 offset0:16 offset1:17
	s_waitcnt lgkmcnt(0)
	v_mul_f64 v[160:161], v[192:193], v[162:163]
	s_delay_alu instid0(VALU_DEP_1) | instskip(SKIP_1) | instid1(VALU_DEP_2)
	v_fma_f64 v[160:161], v[190:191], v[188:189], -v[160:161]
	v_mul_f64 v[190:191], v[190:191], v[162:163]
	v_add_f64 v[152:153], v[152:153], -v[160:161]
	s_delay_alu instid0(VALU_DEP_2) | instskip(NEXT) | instid1(VALU_DEP_1)
	v_fma_f64 v[190:191], v[192:193], v[188:189], v[190:191]
	v_add_f64 v[154:155], v[154:155], -v[190:191]
	ds_load_2addr_b64 v[190:193], v244 offset0:18 offset1:19
	s_waitcnt lgkmcnt(0)
	v_mul_f64 v[160:161], v[192:193], v[162:163]
	s_delay_alu instid0(VALU_DEP_1) | instskip(SKIP_1) | instid1(VALU_DEP_2)
	v_fma_f64 v[160:161], v[190:191], v[188:189], -v[160:161]
	v_mul_f64 v[190:191], v[190:191], v[162:163]
	v_add_f64 v[148:149], v[148:149], -v[160:161]
	s_delay_alu instid0(VALU_DEP_2) | instskip(NEXT) | instid1(VALU_DEP_1)
	v_fma_f64 v[190:191], v[192:193], v[188:189], v[190:191]
	v_add_f64 v[150:151], v[150:151], -v[190:191]
	ds_load_2addr_b64 v[190:193], v244 offset0:20 offset1:21
	s_waitcnt lgkmcnt(0)
	v_mul_f64 v[160:161], v[192:193], v[162:163]
	s_delay_alu instid0(VALU_DEP_1) | instskip(SKIP_1) | instid1(VALU_DEP_2)
	v_fma_f64 v[160:161], v[190:191], v[188:189], -v[160:161]
	v_mul_f64 v[190:191], v[190:191], v[162:163]
	v_add_f64 v[144:145], v[144:145], -v[160:161]
	s_delay_alu instid0(VALU_DEP_2) | instskip(NEXT) | instid1(VALU_DEP_1)
	v_fma_f64 v[190:191], v[192:193], v[188:189], v[190:191]
	v_add_f64 v[146:147], v[146:147], -v[190:191]
	ds_load_2addr_b64 v[190:193], v244 offset0:22 offset1:23
	s_waitcnt lgkmcnt(0)
	v_mul_f64 v[160:161], v[192:193], v[162:163]
	s_delay_alu instid0(VALU_DEP_1) | instskip(SKIP_1) | instid1(VALU_DEP_2)
	v_fma_f64 v[160:161], v[190:191], v[188:189], -v[160:161]
	v_mul_f64 v[190:191], v[190:191], v[162:163]
	v_add_f64 v[140:141], v[140:141], -v[160:161]
	s_delay_alu instid0(VALU_DEP_2) | instskip(NEXT) | instid1(VALU_DEP_1)
	v_fma_f64 v[190:191], v[192:193], v[188:189], v[190:191]
	v_add_f64 v[142:143], v[142:143], -v[190:191]
	ds_load_2addr_b64 v[190:193], v244 offset0:24 offset1:25
	s_waitcnt lgkmcnt(0)
	v_mul_f64 v[160:161], v[192:193], v[162:163]
	s_delay_alu instid0(VALU_DEP_1) | instskip(SKIP_1) | instid1(VALU_DEP_2)
	v_fma_f64 v[160:161], v[190:191], v[188:189], -v[160:161]
	v_mul_f64 v[190:191], v[190:191], v[162:163]
	v_add_f64 v[136:137], v[136:137], -v[160:161]
	s_delay_alu instid0(VALU_DEP_2) | instskip(NEXT) | instid1(VALU_DEP_1)
	v_fma_f64 v[190:191], v[192:193], v[188:189], v[190:191]
	v_add_f64 v[138:139], v[138:139], -v[190:191]
	ds_load_2addr_b64 v[190:193], v244 offset0:26 offset1:27
	s_waitcnt lgkmcnt(0)
	v_mul_f64 v[160:161], v[192:193], v[162:163]
	s_delay_alu instid0(VALU_DEP_1) | instskip(SKIP_1) | instid1(VALU_DEP_2)
	v_fma_f64 v[160:161], v[190:191], v[188:189], -v[160:161]
	v_mul_f64 v[190:191], v[190:191], v[162:163]
	v_add_f64 v[132:133], v[132:133], -v[160:161]
	s_delay_alu instid0(VALU_DEP_2) | instskip(NEXT) | instid1(VALU_DEP_1)
	v_fma_f64 v[190:191], v[192:193], v[188:189], v[190:191]
	v_add_f64 v[134:135], v[134:135], -v[190:191]
	ds_load_2addr_b64 v[190:193], v244 offset0:28 offset1:29
	s_waitcnt lgkmcnt(0)
	v_mul_f64 v[160:161], v[192:193], v[162:163]
	s_delay_alu instid0(VALU_DEP_1) | instskip(SKIP_1) | instid1(VALU_DEP_2)
	v_fma_f64 v[160:161], v[190:191], v[188:189], -v[160:161]
	v_mul_f64 v[190:191], v[190:191], v[162:163]
	v_add_f64 v[128:129], v[128:129], -v[160:161]
	s_delay_alu instid0(VALU_DEP_2) | instskip(NEXT) | instid1(VALU_DEP_1)
	v_fma_f64 v[190:191], v[192:193], v[188:189], v[190:191]
	v_add_f64 v[130:131], v[130:131], -v[190:191]
	ds_load_2addr_b64 v[190:193], v244 offset0:30 offset1:31
	s_waitcnt lgkmcnt(0)
	v_mul_f64 v[160:161], v[192:193], v[162:163]
	s_delay_alu instid0(VALU_DEP_1) | instskip(SKIP_1) | instid1(VALU_DEP_2)
	v_fma_f64 v[160:161], v[190:191], v[188:189], -v[160:161]
	v_mul_f64 v[190:191], v[190:191], v[162:163]
	v_add_f64 v[124:125], v[124:125], -v[160:161]
	s_delay_alu instid0(VALU_DEP_2) | instskip(NEXT) | instid1(VALU_DEP_1)
	v_fma_f64 v[190:191], v[192:193], v[188:189], v[190:191]
	v_add_f64 v[126:127], v[126:127], -v[190:191]
	ds_load_2addr_b64 v[190:193], v244 offset0:32 offset1:33
	s_waitcnt lgkmcnt(0)
	v_mul_f64 v[160:161], v[192:193], v[162:163]
	s_delay_alu instid0(VALU_DEP_1) | instskip(SKIP_1) | instid1(VALU_DEP_2)
	v_fma_f64 v[160:161], v[190:191], v[188:189], -v[160:161]
	v_mul_f64 v[190:191], v[190:191], v[162:163]
	v_add_f64 v[120:121], v[120:121], -v[160:161]
	s_delay_alu instid0(VALU_DEP_2) | instskip(NEXT) | instid1(VALU_DEP_1)
	v_fma_f64 v[190:191], v[192:193], v[188:189], v[190:191]
	v_add_f64 v[122:123], v[122:123], -v[190:191]
	ds_load_2addr_b64 v[190:193], v244 offset0:34 offset1:35
	s_waitcnt lgkmcnt(0)
	v_mul_f64 v[160:161], v[192:193], v[162:163]
	s_delay_alu instid0(VALU_DEP_1) | instskip(SKIP_1) | instid1(VALU_DEP_2)
	v_fma_f64 v[160:161], v[190:191], v[188:189], -v[160:161]
	v_mul_f64 v[190:191], v[190:191], v[162:163]
	v_add_f64 v[116:117], v[116:117], -v[160:161]
	s_delay_alu instid0(VALU_DEP_2) | instskip(NEXT) | instid1(VALU_DEP_1)
	v_fma_f64 v[190:191], v[192:193], v[188:189], v[190:191]
	v_add_f64 v[118:119], v[118:119], -v[190:191]
	ds_load_2addr_b64 v[190:193], v244 offset0:36 offset1:37
	s_waitcnt lgkmcnt(0)
	v_mul_f64 v[160:161], v[192:193], v[162:163]
	s_delay_alu instid0(VALU_DEP_1) | instskip(SKIP_1) | instid1(VALU_DEP_2)
	v_fma_f64 v[160:161], v[190:191], v[188:189], -v[160:161]
	v_mul_f64 v[190:191], v[190:191], v[162:163]
	v_add_f64 v[112:113], v[112:113], -v[160:161]
	s_delay_alu instid0(VALU_DEP_2) | instskip(NEXT) | instid1(VALU_DEP_1)
	v_fma_f64 v[190:191], v[192:193], v[188:189], v[190:191]
	v_add_f64 v[114:115], v[114:115], -v[190:191]
	ds_load_2addr_b64 v[190:193], v244 offset0:38 offset1:39
	s_waitcnt lgkmcnt(0)
	v_mul_f64 v[160:161], v[192:193], v[162:163]
	s_delay_alu instid0(VALU_DEP_1) | instskip(SKIP_1) | instid1(VALU_DEP_2)
	v_fma_f64 v[160:161], v[190:191], v[188:189], -v[160:161]
	v_mul_f64 v[190:191], v[190:191], v[162:163]
	v_add_f64 v[108:109], v[108:109], -v[160:161]
	s_delay_alu instid0(VALU_DEP_2) | instskip(NEXT) | instid1(VALU_DEP_1)
	v_fma_f64 v[190:191], v[192:193], v[188:189], v[190:191]
	v_add_f64 v[110:111], v[110:111], -v[190:191]
	ds_load_2addr_b64 v[190:193], v244 offset0:40 offset1:41
	s_waitcnt lgkmcnt(0)
	v_mul_f64 v[160:161], v[192:193], v[162:163]
	s_delay_alu instid0(VALU_DEP_1) | instskip(SKIP_1) | instid1(VALU_DEP_2)
	v_fma_f64 v[160:161], v[190:191], v[188:189], -v[160:161]
	v_mul_f64 v[190:191], v[190:191], v[162:163]
	v_add_f64 v[104:105], v[104:105], -v[160:161]
	s_delay_alu instid0(VALU_DEP_2) | instskip(NEXT) | instid1(VALU_DEP_1)
	v_fma_f64 v[190:191], v[192:193], v[188:189], v[190:191]
	v_add_f64 v[106:107], v[106:107], -v[190:191]
	ds_load_2addr_b64 v[190:193], v244 offset0:42 offset1:43
	s_waitcnt lgkmcnt(0)
	v_mul_f64 v[160:161], v[192:193], v[162:163]
	s_delay_alu instid0(VALU_DEP_1) | instskip(SKIP_1) | instid1(VALU_DEP_2)
	v_fma_f64 v[160:161], v[190:191], v[188:189], -v[160:161]
	v_mul_f64 v[190:191], v[190:191], v[162:163]
	v_add_f64 v[100:101], v[100:101], -v[160:161]
	s_delay_alu instid0(VALU_DEP_2) | instskip(NEXT) | instid1(VALU_DEP_1)
	v_fma_f64 v[190:191], v[192:193], v[188:189], v[190:191]
	v_add_f64 v[102:103], v[102:103], -v[190:191]
	ds_load_2addr_b64 v[190:193], v244 offset0:44 offset1:45
	s_waitcnt lgkmcnt(0)
	v_mul_f64 v[160:161], v[192:193], v[162:163]
	s_delay_alu instid0(VALU_DEP_1) | instskip(SKIP_1) | instid1(VALU_DEP_2)
	v_fma_f64 v[160:161], v[190:191], v[188:189], -v[160:161]
	v_mul_f64 v[190:191], v[190:191], v[162:163]
	v_add_f64 v[96:97], v[96:97], -v[160:161]
	s_delay_alu instid0(VALU_DEP_2) | instskip(NEXT) | instid1(VALU_DEP_1)
	v_fma_f64 v[190:191], v[192:193], v[188:189], v[190:191]
	v_add_f64 v[98:99], v[98:99], -v[190:191]
	ds_load_2addr_b64 v[190:193], v244 offset0:46 offset1:47
	s_waitcnt lgkmcnt(0)
	v_mul_f64 v[160:161], v[192:193], v[162:163]
	s_delay_alu instid0(VALU_DEP_1) | instskip(SKIP_1) | instid1(VALU_DEP_2)
	v_fma_f64 v[160:161], v[190:191], v[188:189], -v[160:161]
	v_mul_f64 v[190:191], v[190:191], v[162:163]
	v_add_f64 v[92:93], v[92:93], -v[160:161]
	s_delay_alu instid0(VALU_DEP_2) | instskip(NEXT) | instid1(VALU_DEP_1)
	v_fma_f64 v[190:191], v[192:193], v[188:189], v[190:191]
	v_add_f64 v[94:95], v[94:95], -v[190:191]
	ds_load_2addr_b64 v[190:193], v244 offset0:48 offset1:49
	s_waitcnt lgkmcnt(0)
	v_mul_f64 v[160:161], v[192:193], v[162:163]
	s_delay_alu instid0(VALU_DEP_1) | instskip(SKIP_1) | instid1(VALU_DEP_2)
	v_fma_f64 v[160:161], v[190:191], v[188:189], -v[160:161]
	v_mul_f64 v[190:191], v[190:191], v[162:163]
	v_add_f64 v[88:89], v[88:89], -v[160:161]
	s_delay_alu instid0(VALU_DEP_2) | instskip(NEXT) | instid1(VALU_DEP_1)
	v_fma_f64 v[190:191], v[192:193], v[188:189], v[190:191]
	v_add_f64 v[90:91], v[90:91], -v[190:191]
	ds_load_2addr_b64 v[190:193], v244 offset0:50 offset1:51
	s_waitcnt lgkmcnt(0)
	v_mul_f64 v[160:161], v[192:193], v[162:163]
	s_delay_alu instid0(VALU_DEP_1) | instskip(SKIP_1) | instid1(VALU_DEP_2)
	v_fma_f64 v[160:161], v[190:191], v[188:189], -v[160:161]
	v_mul_f64 v[190:191], v[190:191], v[162:163]
	v_add_f64 v[84:85], v[84:85], -v[160:161]
	s_delay_alu instid0(VALU_DEP_2) | instskip(NEXT) | instid1(VALU_DEP_1)
	v_fma_f64 v[190:191], v[192:193], v[188:189], v[190:191]
	v_add_f64 v[86:87], v[86:87], -v[190:191]
	ds_load_2addr_b64 v[190:193], v244 offset0:52 offset1:53
	s_waitcnt lgkmcnt(0)
	v_mul_f64 v[160:161], v[192:193], v[162:163]
	s_delay_alu instid0(VALU_DEP_1) | instskip(SKIP_1) | instid1(VALU_DEP_2)
	v_fma_f64 v[160:161], v[190:191], v[188:189], -v[160:161]
	v_mul_f64 v[190:191], v[190:191], v[162:163]
	v_add_f64 v[80:81], v[80:81], -v[160:161]
	s_delay_alu instid0(VALU_DEP_2) | instskip(NEXT) | instid1(VALU_DEP_1)
	v_fma_f64 v[190:191], v[192:193], v[188:189], v[190:191]
	v_add_f64 v[82:83], v[82:83], -v[190:191]
	ds_load_2addr_b64 v[190:193], v244 offset0:54 offset1:55
	s_waitcnt lgkmcnt(0)
	v_mul_f64 v[160:161], v[192:193], v[162:163]
	s_delay_alu instid0(VALU_DEP_1) | instskip(SKIP_1) | instid1(VALU_DEP_2)
	v_fma_f64 v[160:161], v[190:191], v[188:189], -v[160:161]
	v_mul_f64 v[190:191], v[190:191], v[162:163]
	v_add_f64 v[76:77], v[76:77], -v[160:161]
	s_delay_alu instid0(VALU_DEP_2) | instskip(NEXT) | instid1(VALU_DEP_1)
	v_fma_f64 v[190:191], v[192:193], v[188:189], v[190:191]
	v_add_f64 v[78:79], v[78:79], -v[190:191]
	ds_load_2addr_b64 v[190:193], v244 offset0:56 offset1:57
	s_waitcnt lgkmcnt(0)
	v_mul_f64 v[160:161], v[192:193], v[162:163]
	s_delay_alu instid0(VALU_DEP_1) | instskip(SKIP_1) | instid1(VALU_DEP_2)
	v_fma_f64 v[160:161], v[190:191], v[188:189], -v[160:161]
	v_mul_f64 v[190:191], v[190:191], v[162:163]
	v_add_f64 v[72:73], v[72:73], -v[160:161]
	s_delay_alu instid0(VALU_DEP_2) | instskip(NEXT) | instid1(VALU_DEP_1)
	v_fma_f64 v[190:191], v[192:193], v[188:189], v[190:191]
	v_add_f64 v[74:75], v[74:75], -v[190:191]
	ds_load_2addr_b64 v[190:193], v244 offset0:58 offset1:59
	s_waitcnt lgkmcnt(0)
	v_mul_f64 v[160:161], v[192:193], v[162:163]
	s_delay_alu instid0(VALU_DEP_1) | instskip(SKIP_1) | instid1(VALU_DEP_2)
	v_fma_f64 v[160:161], v[190:191], v[188:189], -v[160:161]
	v_mul_f64 v[190:191], v[190:191], v[162:163]
	v_add_f64 v[68:69], v[68:69], -v[160:161]
	s_delay_alu instid0(VALU_DEP_2) | instskip(NEXT) | instid1(VALU_DEP_1)
	v_fma_f64 v[190:191], v[192:193], v[188:189], v[190:191]
	v_add_f64 v[70:71], v[70:71], -v[190:191]
	ds_load_2addr_b64 v[190:193], v244 offset0:60 offset1:61
	s_waitcnt lgkmcnt(0)
	v_mul_f64 v[160:161], v[192:193], v[162:163]
	s_delay_alu instid0(VALU_DEP_1) | instskip(SKIP_1) | instid1(VALU_DEP_2)
	v_fma_f64 v[160:161], v[190:191], v[188:189], -v[160:161]
	v_mul_f64 v[190:191], v[190:191], v[162:163]
	v_add_f64 v[64:65], v[64:65], -v[160:161]
	s_delay_alu instid0(VALU_DEP_2) | instskip(NEXT) | instid1(VALU_DEP_1)
	v_fma_f64 v[190:191], v[192:193], v[188:189], v[190:191]
	v_add_f64 v[66:67], v[66:67], -v[190:191]
	ds_load_2addr_b64 v[190:193], v244 offset0:62 offset1:63
	s_waitcnt lgkmcnt(0)
	v_mul_f64 v[160:161], v[192:193], v[162:163]
	s_delay_alu instid0(VALU_DEP_1) | instskip(SKIP_1) | instid1(VALU_DEP_2)
	v_fma_f64 v[160:161], v[190:191], v[188:189], -v[160:161]
	v_mul_f64 v[190:191], v[190:191], v[162:163]
	v_add_f64 v[60:61], v[60:61], -v[160:161]
	s_delay_alu instid0(VALU_DEP_2) | instskip(NEXT) | instid1(VALU_DEP_1)
	v_fma_f64 v[190:191], v[192:193], v[188:189], v[190:191]
	v_add_f64 v[62:63], v[62:63], -v[190:191]
	ds_load_2addr_b64 v[190:193], v244 offset0:64 offset1:65
	s_waitcnt lgkmcnt(0)
	v_mul_f64 v[160:161], v[192:193], v[162:163]
	s_delay_alu instid0(VALU_DEP_1) | instskip(SKIP_1) | instid1(VALU_DEP_2)
	v_fma_f64 v[160:161], v[190:191], v[188:189], -v[160:161]
	v_mul_f64 v[190:191], v[190:191], v[162:163]
	v_add_f64 v[56:57], v[56:57], -v[160:161]
	s_delay_alu instid0(VALU_DEP_2) | instskip(NEXT) | instid1(VALU_DEP_1)
	v_fma_f64 v[190:191], v[192:193], v[188:189], v[190:191]
	v_add_f64 v[58:59], v[58:59], -v[190:191]
	ds_load_2addr_b64 v[190:193], v244 offset0:66 offset1:67
	s_waitcnt lgkmcnt(0)
	v_mul_f64 v[160:161], v[192:193], v[162:163]
	s_delay_alu instid0(VALU_DEP_1) | instskip(SKIP_1) | instid1(VALU_DEP_2)
	v_fma_f64 v[160:161], v[190:191], v[188:189], -v[160:161]
	v_mul_f64 v[190:191], v[190:191], v[162:163]
	v_add_f64 v[52:53], v[52:53], -v[160:161]
	s_delay_alu instid0(VALU_DEP_2) | instskip(NEXT) | instid1(VALU_DEP_1)
	v_fma_f64 v[190:191], v[192:193], v[188:189], v[190:191]
	v_add_f64 v[54:55], v[54:55], -v[190:191]
	ds_load_2addr_b64 v[190:193], v244 offset0:68 offset1:69
	s_waitcnt lgkmcnt(0)
	v_mul_f64 v[160:161], v[192:193], v[162:163]
	s_delay_alu instid0(VALU_DEP_1) | instskip(SKIP_1) | instid1(VALU_DEP_2)
	v_fma_f64 v[160:161], v[190:191], v[188:189], -v[160:161]
	v_mul_f64 v[190:191], v[190:191], v[162:163]
	v_add_f64 v[48:49], v[48:49], -v[160:161]
	s_delay_alu instid0(VALU_DEP_2) | instskip(NEXT) | instid1(VALU_DEP_1)
	v_fma_f64 v[190:191], v[192:193], v[188:189], v[190:191]
	v_add_f64 v[50:51], v[50:51], -v[190:191]
	ds_load_2addr_b64 v[190:193], v244 offset0:70 offset1:71
	s_waitcnt lgkmcnt(0)
	v_mul_f64 v[160:161], v[192:193], v[162:163]
	s_delay_alu instid0(VALU_DEP_1) | instskip(SKIP_1) | instid1(VALU_DEP_2)
	v_fma_f64 v[160:161], v[190:191], v[188:189], -v[160:161]
	v_mul_f64 v[190:191], v[190:191], v[162:163]
	v_add_f64 v[44:45], v[44:45], -v[160:161]
	s_delay_alu instid0(VALU_DEP_2) | instskip(NEXT) | instid1(VALU_DEP_1)
	v_fma_f64 v[190:191], v[192:193], v[188:189], v[190:191]
	v_add_f64 v[46:47], v[46:47], -v[190:191]
	ds_load_2addr_b64 v[190:193], v244 offset0:72 offset1:73
	s_waitcnt lgkmcnt(0)
	v_mul_f64 v[160:161], v[192:193], v[162:163]
	s_delay_alu instid0(VALU_DEP_1) | instskip(SKIP_1) | instid1(VALU_DEP_2)
	v_fma_f64 v[160:161], v[190:191], v[188:189], -v[160:161]
	v_mul_f64 v[190:191], v[190:191], v[162:163]
	v_add_f64 v[40:41], v[40:41], -v[160:161]
	s_delay_alu instid0(VALU_DEP_2) | instskip(NEXT) | instid1(VALU_DEP_1)
	v_fma_f64 v[190:191], v[192:193], v[188:189], v[190:191]
	v_add_f64 v[42:43], v[42:43], -v[190:191]
	ds_load_2addr_b64 v[190:193], v244 offset0:74 offset1:75
	s_waitcnt lgkmcnt(0)
	v_mul_f64 v[160:161], v[192:193], v[162:163]
	s_delay_alu instid0(VALU_DEP_1) | instskip(SKIP_1) | instid1(VALU_DEP_2)
	v_fma_f64 v[160:161], v[190:191], v[188:189], -v[160:161]
	v_mul_f64 v[190:191], v[190:191], v[162:163]
	v_add_f64 v[36:37], v[36:37], -v[160:161]
	s_delay_alu instid0(VALU_DEP_2) | instskip(NEXT) | instid1(VALU_DEP_1)
	v_fma_f64 v[190:191], v[192:193], v[188:189], v[190:191]
	v_add_f64 v[38:39], v[38:39], -v[190:191]
	ds_load_2addr_b64 v[190:193], v244 offset0:76 offset1:77
	s_waitcnt lgkmcnt(0)
	v_mul_f64 v[160:161], v[192:193], v[162:163]
	s_delay_alu instid0(VALU_DEP_1) | instskip(SKIP_1) | instid1(VALU_DEP_2)
	v_fma_f64 v[160:161], v[190:191], v[188:189], -v[160:161]
	v_mul_f64 v[190:191], v[190:191], v[162:163]
	v_add_f64 v[32:33], v[32:33], -v[160:161]
	s_delay_alu instid0(VALU_DEP_2) | instskip(NEXT) | instid1(VALU_DEP_1)
	v_fma_f64 v[190:191], v[192:193], v[188:189], v[190:191]
	v_add_f64 v[34:35], v[34:35], -v[190:191]
	ds_load_2addr_b64 v[190:193], v244 offset0:78 offset1:79
	s_waitcnt lgkmcnt(0)
	v_mul_f64 v[160:161], v[192:193], v[162:163]
	s_delay_alu instid0(VALU_DEP_1) | instskip(SKIP_1) | instid1(VALU_DEP_2)
	v_fma_f64 v[160:161], v[190:191], v[188:189], -v[160:161]
	v_mul_f64 v[190:191], v[190:191], v[162:163]
	v_add_f64 v[28:29], v[28:29], -v[160:161]
	s_delay_alu instid0(VALU_DEP_2) | instskip(NEXT) | instid1(VALU_DEP_1)
	v_fma_f64 v[190:191], v[192:193], v[188:189], v[190:191]
	v_add_f64 v[30:31], v[30:31], -v[190:191]
	ds_load_2addr_b64 v[190:193], v244 offset0:80 offset1:81
	s_waitcnt lgkmcnt(0)
	v_mul_f64 v[160:161], v[192:193], v[162:163]
	s_delay_alu instid0(VALU_DEP_1) | instskip(SKIP_1) | instid1(VALU_DEP_2)
	v_fma_f64 v[160:161], v[190:191], v[188:189], -v[160:161]
	v_mul_f64 v[190:191], v[190:191], v[162:163]
	v_add_f64 v[24:25], v[24:25], -v[160:161]
	s_delay_alu instid0(VALU_DEP_2) | instskip(NEXT) | instid1(VALU_DEP_1)
	v_fma_f64 v[190:191], v[192:193], v[188:189], v[190:191]
	v_add_f64 v[26:27], v[26:27], -v[190:191]
	ds_load_2addr_b64 v[190:193], v244 offset0:82 offset1:83
	s_waitcnt lgkmcnt(0)
	v_mul_f64 v[160:161], v[192:193], v[162:163]
	s_delay_alu instid0(VALU_DEP_1) | instskip(SKIP_1) | instid1(VALU_DEP_2)
	v_fma_f64 v[160:161], v[190:191], v[188:189], -v[160:161]
	v_mul_f64 v[190:191], v[190:191], v[162:163]
	v_add_f64 v[20:21], v[20:21], -v[160:161]
	s_delay_alu instid0(VALU_DEP_2) | instskip(NEXT) | instid1(VALU_DEP_1)
	v_fma_f64 v[190:191], v[192:193], v[188:189], v[190:191]
	v_add_f64 v[22:23], v[22:23], -v[190:191]
	ds_load_2addr_b64 v[190:193], v244 offset0:84 offset1:85
	s_waitcnt lgkmcnt(0)
	v_mul_f64 v[160:161], v[192:193], v[162:163]
	s_delay_alu instid0(VALU_DEP_1) | instskip(SKIP_1) | instid1(VALU_DEP_2)
	v_fma_f64 v[160:161], v[190:191], v[188:189], -v[160:161]
	v_mul_f64 v[190:191], v[190:191], v[162:163]
	v_add_f64 v[16:17], v[16:17], -v[160:161]
	s_delay_alu instid0(VALU_DEP_2) | instskip(NEXT) | instid1(VALU_DEP_1)
	v_fma_f64 v[190:191], v[192:193], v[188:189], v[190:191]
	v_add_f64 v[18:19], v[18:19], -v[190:191]
	ds_load_2addr_b64 v[190:193], v244 offset0:86 offset1:87
	s_waitcnt lgkmcnt(0)
	v_mul_f64 v[160:161], v[192:193], v[162:163]
	s_delay_alu instid0(VALU_DEP_1) | instskip(SKIP_1) | instid1(VALU_DEP_2)
	v_fma_f64 v[160:161], v[190:191], v[188:189], -v[160:161]
	v_mul_f64 v[190:191], v[190:191], v[162:163]
	v_add_f64 v[12:13], v[12:13], -v[160:161]
	s_delay_alu instid0(VALU_DEP_2) | instskip(NEXT) | instid1(VALU_DEP_1)
	v_fma_f64 v[190:191], v[192:193], v[188:189], v[190:191]
	v_add_f64 v[14:15], v[14:15], -v[190:191]
	ds_load_2addr_b64 v[190:193], v244 offset0:88 offset1:89
	s_waitcnt lgkmcnt(0)
	v_mul_f64 v[160:161], v[192:193], v[162:163]
	s_delay_alu instid0(VALU_DEP_1) | instskip(SKIP_1) | instid1(VALU_DEP_2)
	v_fma_f64 v[160:161], v[190:191], v[188:189], -v[160:161]
	v_mul_f64 v[190:191], v[190:191], v[162:163]
	v_add_f64 v[8:9], v[8:9], -v[160:161]
	s_delay_alu instid0(VALU_DEP_2) | instskip(NEXT) | instid1(VALU_DEP_1)
	v_fma_f64 v[190:191], v[192:193], v[188:189], v[190:191]
	v_add_f64 v[10:11], v[10:11], -v[190:191]
	ds_load_2addr_b64 v[190:193], v244 offset0:90 offset1:91
	s_waitcnt lgkmcnt(0)
	v_mul_f64 v[160:161], v[192:193], v[162:163]
	s_delay_alu instid0(VALU_DEP_1) | instskip(SKIP_1) | instid1(VALU_DEP_2)
	v_fma_f64 v[160:161], v[190:191], v[188:189], -v[160:161]
	v_mul_f64 v[190:191], v[190:191], v[162:163]
	v_add_f64 v[4:5], v[4:5], -v[160:161]
	s_delay_alu instid0(VALU_DEP_2) | instskip(NEXT) | instid1(VALU_DEP_1)
	v_fma_f64 v[190:191], v[192:193], v[188:189], v[190:191]
	v_add_f64 v[6:7], v[6:7], -v[190:191]
	ds_load_2addr_b64 v[190:193], v244 offset0:92 offset1:93
	s_waitcnt lgkmcnt(0)
	v_mul_f64 v[160:161], v[192:193], v[162:163]
	s_delay_alu instid0(VALU_DEP_1) | instskip(SKIP_1) | instid1(VALU_DEP_2)
	v_fma_f64 v[160:161], v[190:191], v[188:189], -v[160:161]
	v_mul_f64 v[190:191], v[190:191], v[162:163]
	v_add_f64 v[0:1], v[0:1], -v[160:161]
	s_delay_alu instid0(VALU_DEP_2) | instskip(SKIP_1) | instid1(VALU_DEP_2)
	v_fma_f64 v[190:191], v[192:193], v[188:189], v[190:191]
	v_dual_mov_b32 v160, v188 :: v_dual_mov_b32 v161, v189
	v_add_f64 v[2:3], v[2:3], -v[190:191]
.LBB93_64:
	s_or_b32 exec_lo, exec_lo, s3
	s_delay_alu instid0(SALU_CYCLE_1)
	s_mov_b32 s4, exec_lo
	s_waitcnt_vscnt null, 0x0
	s_barrier
	buffer_gl0_inv
	v_cmpx_eq_u32_e32 7, v242
	s_cbranch_execz .LBB93_71
; %bb.65:
	ds_store_2addr_b64 v243, v[156:157], v[158:159] offset1:1
	ds_store_2addr_b64 v244, v[152:153], v[154:155] offset0:16 offset1:17
	ds_store_2addr_b64 v244, v[148:149], v[150:151] offset0:18 offset1:19
	;; [unrolled: 1-line block ×39, first 2 shown]
	ds_load_2addr_b64 v[188:191], v243 offset1:1
	s_waitcnt lgkmcnt(0)
	v_cmp_neq_f64_e32 vcc_lo, 0, v[188:189]
	v_cmp_neq_f64_e64 s3, 0, v[190:191]
	s_delay_alu instid0(VALU_DEP_1) | instskip(NEXT) | instid1(SALU_CYCLE_1)
	s_or_b32 s3, vcc_lo, s3
	s_and_b32 exec_lo, exec_lo, s3
	s_cbranch_execz .LBB93_71
; %bb.66:
	v_cmp_gt_f64_e32 vcc_lo, 0, v[188:189]
	v_xor_b32_e32 v192, 0x80000000, v189
	v_xor_b32_e32 v194, 0x80000000, v191
	s_mov_b32 s3, exec_lo
                                        ; implicit-def: $vgpr196_vgpr197
	s_delay_alu instid0(VALU_DEP_2) | instskip(SKIP_4) | instid1(VALU_DEP_1)
	v_cndmask_b32_e32 v193, v189, v192, vcc_lo
	v_cndmask_b32_e32 v192, v188, v188, vcc_lo
	v_cmp_gt_f64_e32 vcc_lo, 0, v[190:191]
	v_cndmask_b32_e32 v195, v191, v194, vcc_lo
	v_cndmask_b32_e32 v194, v190, v190, vcc_lo
	v_cmpx_ngt_f64_e32 v[192:193], v[194:195]
	s_xor_b32 s3, exec_lo, s3
                                        ; implicit-def: $vgpr192_vgpr193_vgpr194_vgpr195
	s_cbranch_execz .LBB93_68
; %bb.67:
	v_div_scale_f64 v[192:193], null, v[190:191], v[190:191], v[188:189]
	v_div_scale_f64 v[198:199], vcc_lo, v[188:189], v[190:191], v[188:189]
	s_delay_alu instid0(VALU_DEP_2) | instskip(SKIP_2) | instid1(VALU_DEP_1)
	v_rcp_f64_e32 v[194:195], v[192:193]
	s_waitcnt_depctr 0xfff
	v_fma_f64 v[196:197], -v[192:193], v[194:195], 1.0
	v_fma_f64 v[194:195], v[194:195], v[196:197], v[194:195]
	s_delay_alu instid0(VALU_DEP_1) | instskip(NEXT) | instid1(VALU_DEP_1)
	v_fma_f64 v[196:197], -v[192:193], v[194:195], 1.0
	v_fma_f64 v[194:195], v[194:195], v[196:197], v[194:195]
	s_delay_alu instid0(VALU_DEP_1) | instskip(NEXT) | instid1(VALU_DEP_1)
	v_mul_f64 v[196:197], v[198:199], v[194:195]
	v_fma_f64 v[192:193], -v[192:193], v[196:197], v[198:199]
	s_delay_alu instid0(VALU_DEP_1) | instskip(NEXT) | instid1(VALU_DEP_1)
	v_div_fmas_f64 v[192:193], v[192:193], v[194:195], v[196:197]
	v_div_fixup_f64 v[192:193], v[192:193], v[190:191], v[188:189]
	s_delay_alu instid0(VALU_DEP_1) | instskip(NEXT) | instid1(VALU_DEP_1)
	v_fma_f64 v[188:189], v[188:189], v[192:193], v[190:191]
	v_div_scale_f64 v[190:191], null, v[188:189], v[188:189], 1.0
	s_delay_alu instid0(VALU_DEP_1) | instskip(SKIP_2) | instid1(VALU_DEP_1)
	v_rcp_f64_e32 v[194:195], v[190:191]
	s_waitcnt_depctr 0xfff
	v_fma_f64 v[196:197], -v[190:191], v[194:195], 1.0
	v_fma_f64 v[194:195], v[194:195], v[196:197], v[194:195]
	s_delay_alu instid0(VALU_DEP_1) | instskip(NEXT) | instid1(VALU_DEP_1)
	v_fma_f64 v[196:197], -v[190:191], v[194:195], 1.0
	v_fma_f64 v[194:195], v[194:195], v[196:197], v[194:195]
	v_div_scale_f64 v[196:197], vcc_lo, 1.0, v[188:189], 1.0
	s_delay_alu instid0(VALU_DEP_1) | instskip(NEXT) | instid1(VALU_DEP_1)
	v_mul_f64 v[198:199], v[196:197], v[194:195]
	v_fma_f64 v[190:191], -v[190:191], v[198:199], v[196:197]
	s_delay_alu instid0(VALU_DEP_1) | instskip(NEXT) | instid1(VALU_DEP_1)
	v_div_fmas_f64 v[190:191], v[190:191], v[194:195], v[198:199]
	v_div_fixup_f64 v[194:195], v[190:191], v[188:189], 1.0
                                        ; implicit-def: $vgpr188_vgpr189
	s_delay_alu instid0(VALU_DEP_1)
	v_mul_f64 v[196:197], v[192:193], v[194:195]
	v_xor_b32_e32 v195, 0x80000000, v195
.LBB93_68:
	s_and_not1_saveexec_b32 s3, s3
	s_cbranch_execz .LBB93_70
; %bb.69:
	v_div_scale_f64 v[192:193], null, v[188:189], v[188:189], v[190:191]
	v_div_scale_f64 v[198:199], vcc_lo, v[190:191], v[188:189], v[190:191]
	s_delay_alu instid0(VALU_DEP_2) | instskip(SKIP_2) | instid1(VALU_DEP_1)
	v_rcp_f64_e32 v[194:195], v[192:193]
	s_waitcnt_depctr 0xfff
	v_fma_f64 v[196:197], -v[192:193], v[194:195], 1.0
	v_fma_f64 v[194:195], v[194:195], v[196:197], v[194:195]
	s_delay_alu instid0(VALU_DEP_1) | instskip(NEXT) | instid1(VALU_DEP_1)
	v_fma_f64 v[196:197], -v[192:193], v[194:195], 1.0
	v_fma_f64 v[194:195], v[194:195], v[196:197], v[194:195]
	s_delay_alu instid0(VALU_DEP_1) | instskip(NEXT) | instid1(VALU_DEP_1)
	v_mul_f64 v[196:197], v[198:199], v[194:195]
	v_fma_f64 v[192:193], -v[192:193], v[196:197], v[198:199]
	s_delay_alu instid0(VALU_DEP_1) | instskip(NEXT) | instid1(VALU_DEP_1)
	v_div_fmas_f64 v[192:193], v[192:193], v[194:195], v[196:197]
	v_div_fixup_f64 v[192:193], v[192:193], v[188:189], v[190:191]
	s_delay_alu instid0(VALU_DEP_1) | instskip(NEXT) | instid1(VALU_DEP_1)
	v_fma_f64 v[188:189], v[190:191], v[192:193], v[188:189]
	v_div_scale_f64 v[190:191], null, v[188:189], v[188:189], 1.0
	s_delay_alu instid0(VALU_DEP_1) | instskip(SKIP_2) | instid1(VALU_DEP_1)
	v_rcp_f64_e32 v[194:195], v[190:191]
	s_waitcnt_depctr 0xfff
	v_fma_f64 v[196:197], -v[190:191], v[194:195], 1.0
	v_fma_f64 v[194:195], v[194:195], v[196:197], v[194:195]
	s_delay_alu instid0(VALU_DEP_1) | instskip(NEXT) | instid1(VALU_DEP_1)
	v_fma_f64 v[196:197], -v[190:191], v[194:195], 1.0
	v_fma_f64 v[194:195], v[194:195], v[196:197], v[194:195]
	v_div_scale_f64 v[196:197], vcc_lo, 1.0, v[188:189], 1.0
	s_delay_alu instid0(VALU_DEP_1) | instskip(NEXT) | instid1(VALU_DEP_1)
	v_mul_f64 v[198:199], v[196:197], v[194:195]
	v_fma_f64 v[190:191], -v[190:191], v[198:199], v[196:197]
	s_delay_alu instid0(VALU_DEP_1) | instskip(NEXT) | instid1(VALU_DEP_1)
	v_div_fmas_f64 v[190:191], v[190:191], v[194:195], v[198:199]
	v_div_fixup_f64 v[196:197], v[190:191], v[188:189], 1.0
	s_delay_alu instid0(VALU_DEP_1)
	v_mul_f64 v[194:195], v[192:193], -v[196:197]
.LBB93_70:
	s_or_b32 exec_lo, exec_lo, s3
	ds_store_2addr_b64 v243, v[196:197], v[194:195] offset1:1
.LBB93_71:
	s_or_b32 exec_lo, exec_lo, s4
	s_waitcnt lgkmcnt(0)
	s_barrier
	buffer_gl0_inv
	ds_load_2addr_b64 v[188:191], v243 offset1:1
	s_mov_b32 s3, exec_lo
	s_waitcnt lgkmcnt(0)
	scratch_store_b128 off, v[188:191], off offset:456 ; 16-byte Folded Spill
	v_cmpx_lt_u32_e32 7, v242
	s_cbranch_execz .LBB93_73
; %bb.72:
	scratch_load_b128 v[190:193], off, off offset:456 ; 16-byte Folded Reload
	s_waitcnt vmcnt(0)
	v_mul_f64 v[188:189], v[192:193], v[158:159]
	v_mul_f64 v[158:159], v[190:191], v[158:159]
	s_delay_alu instid0(VALU_DEP_2) | instskip(NEXT) | instid1(VALU_DEP_2)
	v_fma_f64 v[188:189], v[190:191], v[156:157], -v[188:189]
	v_fma_f64 v[158:159], v[192:193], v[156:157], v[158:159]
	ds_load_2addr_b64 v[190:193], v244 offset0:16 offset1:17
	s_waitcnt lgkmcnt(0)
	v_mul_f64 v[156:157], v[192:193], v[158:159]
	s_delay_alu instid0(VALU_DEP_1) | instskip(SKIP_1) | instid1(VALU_DEP_2)
	v_fma_f64 v[156:157], v[190:191], v[188:189], -v[156:157]
	v_mul_f64 v[190:191], v[190:191], v[158:159]
	v_add_f64 v[152:153], v[152:153], -v[156:157]
	s_delay_alu instid0(VALU_DEP_2) | instskip(NEXT) | instid1(VALU_DEP_1)
	v_fma_f64 v[190:191], v[192:193], v[188:189], v[190:191]
	v_add_f64 v[154:155], v[154:155], -v[190:191]
	ds_load_2addr_b64 v[190:193], v244 offset0:18 offset1:19
	s_waitcnt lgkmcnt(0)
	v_mul_f64 v[156:157], v[192:193], v[158:159]
	s_delay_alu instid0(VALU_DEP_1) | instskip(SKIP_1) | instid1(VALU_DEP_2)
	v_fma_f64 v[156:157], v[190:191], v[188:189], -v[156:157]
	v_mul_f64 v[190:191], v[190:191], v[158:159]
	v_add_f64 v[148:149], v[148:149], -v[156:157]
	s_delay_alu instid0(VALU_DEP_2) | instskip(NEXT) | instid1(VALU_DEP_1)
	v_fma_f64 v[190:191], v[192:193], v[188:189], v[190:191]
	v_add_f64 v[150:151], v[150:151], -v[190:191]
	;; [unrolled: 10-line block ×38, first 2 shown]
	ds_load_2addr_b64 v[190:193], v244 offset0:92 offset1:93
	s_waitcnt lgkmcnt(0)
	v_mul_f64 v[156:157], v[192:193], v[158:159]
	s_delay_alu instid0(VALU_DEP_1) | instskip(SKIP_1) | instid1(VALU_DEP_2)
	v_fma_f64 v[156:157], v[190:191], v[188:189], -v[156:157]
	v_mul_f64 v[190:191], v[190:191], v[158:159]
	v_add_f64 v[0:1], v[0:1], -v[156:157]
	s_delay_alu instid0(VALU_DEP_2) | instskip(SKIP_1) | instid1(VALU_DEP_2)
	v_fma_f64 v[190:191], v[192:193], v[188:189], v[190:191]
	v_dual_mov_b32 v156, v188 :: v_dual_mov_b32 v157, v189
	v_add_f64 v[2:3], v[2:3], -v[190:191]
.LBB93_73:
	s_or_b32 exec_lo, exec_lo, s3
	s_delay_alu instid0(SALU_CYCLE_1)
	s_mov_b32 s4, exec_lo
	s_waitcnt_vscnt null, 0x0
	s_barrier
	buffer_gl0_inv
	v_cmpx_eq_u32_e32 8, v242
	s_cbranch_execz .LBB93_80
; %bb.74:
	ds_store_2addr_b64 v243, v[152:153], v[154:155] offset1:1
	ds_store_2addr_b64 v244, v[148:149], v[150:151] offset0:18 offset1:19
	ds_store_2addr_b64 v244, v[144:145], v[146:147] offset0:20 offset1:21
	;; [unrolled: 1-line block ×38, first 2 shown]
	ds_load_2addr_b64 v[188:191], v243 offset1:1
	s_waitcnt lgkmcnt(0)
	v_cmp_neq_f64_e32 vcc_lo, 0, v[188:189]
	v_cmp_neq_f64_e64 s3, 0, v[190:191]
	s_delay_alu instid0(VALU_DEP_1) | instskip(NEXT) | instid1(SALU_CYCLE_1)
	s_or_b32 s3, vcc_lo, s3
	s_and_b32 exec_lo, exec_lo, s3
	s_cbranch_execz .LBB93_80
; %bb.75:
	v_cmp_gt_f64_e32 vcc_lo, 0, v[188:189]
	v_xor_b32_e32 v192, 0x80000000, v189
	v_xor_b32_e32 v194, 0x80000000, v191
	s_mov_b32 s3, exec_lo
                                        ; implicit-def: $vgpr196_vgpr197
	s_delay_alu instid0(VALU_DEP_2) | instskip(SKIP_4) | instid1(VALU_DEP_1)
	v_cndmask_b32_e32 v193, v189, v192, vcc_lo
	v_cndmask_b32_e32 v192, v188, v188, vcc_lo
	v_cmp_gt_f64_e32 vcc_lo, 0, v[190:191]
	v_cndmask_b32_e32 v195, v191, v194, vcc_lo
	v_cndmask_b32_e32 v194, v190, v190, vcc_lo
	v_cmpx_ngt_f64_e32 v[192:193], v[194:195]
	s_xor_b32 s3, exec_lo, s3
                                        ; implicit-def: $vgpr192_vgpr193_vgpr194_vgpr195
	s_cbranch_execz .LBB93_77
; %bb.76:
	v_div_scale_f64 v[192:193], null, v[190:191], v[190:191], v[188:189]
	v_div_scale_f64 v[198:199], vcc_lo, v[188:189], v[190:191], v[188:189]
	s_delay_alu instid0(VALU_DEP_2) | instskip(SKIP_2) | instid1(VALU_DEP_1)
	v_rcp_f64_e32 v[194:195], v[192:193]
	s_waitcnt_depctr 0xfff
	v_fma_f64 v[196:197], -v[192:193], v[194:195], 1.0
	v_fma_f64 v[194:195], v[194:195], v[196:197], v[194:195]
	s_delay_alu instid0(VALU_DEP_1) | instskip(NEXT) | instid1(VALU_DEP_1)
	v_fma_f64 v[196:197], -v[192:193], v[194:195], 1.0
	v_fma_f64 v[194:195], v[194:195], v[196:197], v[194:195]
	s_delay_alu instid0(VALU_DEP_1) | instskip(NEXT) | instid1(VALU_DEP_1)
	v_mul_f64 v[196:197], v[198:199], v[194:195]
	v_fma_f64 v[192:193], -v[192:193], v[196:197], v[198:199]
	s_delay_alu instid0(VALU_DEP_1) | instskip(NEXT) | instid1(VALU_DEP_1)
	v_div_fmas_f64 v[192:193], v[192:193], v[194:195], v[196:197]
	v_div_fixup_f64 v[192:193], v[192:193], v[190:191], v[188:189]
	s_delay_alu instid0(VALU_DEP_1) | instskip(NEXT) | instid1(VALU_DEP_1)
	v_fma_f64 v[188:189], v[188:189], v[192:193], v[190:191]
	v_div_scale_f64 v[190:191], null, v[188:189], v[188:189], 1.0
	s_delay_alu instid0(VALU_DEP_1) | instskip(SKIP_2) | instid1(VALU_DEP_1)
	v_rcp_f64_e32 v[194:195], v[190:191]
	s_waitcnt_depctr 0xfff
	v_fma_f64 v[196:197], -v[190:191], v[194:195], 1.0
	v_fma_f64 v[194:195], v[194:195], v[196:197], v[194:195]
	s_delay_alu instid0(VALU_DEP_1) | instskip(NEXT) | instid1(VALU_DEP_1)
	v_fma_f64 v[196:197], -v[190:191], v[194:195], 1.0
	v_fma_f64 v[194:195], v[194:195], v[196:197], v[194:195]
	v_div_scale_f64 v[196:197], vcc_lo, 1.0, v[188:189], 1.0
	s_delay_alu instid0(VALU_DEP_1) | instskip(NEXT) | instid1(VALU_DEP_1)
	v_mul_f64 v[198:199], v[196:197], v[194:195]
	v_fma_f64 v[190:191], -v[190:191], v[198:199], v[196:197]
	s_delay_alu instid0(VALU_DEP_1) | instskip(NEXT) | instid1(VALU_DEP_1)
	v_div_fmas_f64 v[190:191], v[190:191], v[194:195], v[198:199]
	v_div_fixup_f64 v[194:195], v[190:191], v[188:189], 1.0
                                        ; implicit-def: $vgpr188_vgpr189
	s_delay_alu instid0(VALU_DEP_1)
	v_mul_f64 v[196:197], v[192:193], v[194:195]
	v_xor_b32_e32 v195, 0x80000000, v195
.LBB93_77:
	s_and_not1_saveexec_b32 s3, s3
	s_cbranch_execz .LBB93_79
; %bb.78:
	v_div_scale_f64 v[192:193], null, v[188:189], v[188:189], v[190:191]
	v_div_scale_f64 v[198:199], vcc_lo, v[190:191], v[188:189], v[190:191]
	s_delay_alu instid0(VALU_DEP_2) | instskip(SKIP_2) | instid1(VALU_DEP_1)
	v_rcp_f64_e32 v[194:195], v[192:193]
	s_waitcnt_depctr 0xfff
	v_fma_f64 v[196:197], -v[192:193], v[194:195], 1.0
	v_fma_f64 v[194:195], v[194:195], v[196:197], v[194:195]
	s_delay_alu instid0(VALU_DEP_1) | instskip(NEXT) | instid1(VALU_DEP_1)
	v_fma_f64 v[196:197], -v[192:193], v[194:195], 1.0
	v_fma_f64 v[194:195], v[194:195], v[196:197], v[194:195]
	s_delay_alu instid0(VALU_DEP_1) | instskip(NEXT) | instid1(VALU_DEP_1)
	v_mul_f64 v[196:197], v[198:199], v[194:195]
	v_fma_f64 v[192:193], -v[192:193], v[196:197], v[198:199]
	s_delay_alu instid0(VALU_DEP_1) | instskip(NEXT) | instid1(VALU_DEP_1)
	v_div_fmas_f64 v[192:193], v[192:193], v[194:195], v[196:197]
	v_div_fixup_f64 v[192:193], v[192:193], v[188:189], v[190:191]
	s_delay_alu instid0(VALU_DEP_1) | instskip(NEXT) | instid1(VALU_DEP_1)
	v_fma_f64 v[188:189], v[190:191], v[192:193], v[188:189]
	v_div_scale_f64 v[190:191], null, v[188:189], v[188:189], 1.0
	s_delay_alu instid0(VALU_DEP_1) | instskip(SKIP_2) | instid1(VALU_DEP_1)
	v_rcp_f64_e32 v[194:195], v[190:191]
	s_waitcnt_depctr 0xfff
	v_fma_f64 v[196:197], -v[190:191], v[194:195], 1.0
	v_fma_f64 v[194:195], v[194:195], v[196:197], v[194:195]
	s_delay_alu instid0(VALU_DEP_1) | instskip(NEXT) | instid1(VALU_DEP_1)
	v_fma_f64 v[196:197], -v[190:191], v[194:195], 1.0
	v_fma_f64 v[194:195], v[194:195], v[196:197], v[194:195]
	v_div_scale_f64 v[196:197], vcc_lo, 1.0, v[188:189], 1.0
	s_delay_alu instid0(VALU_DEP_1) | instskip(NEXT) | instid1(VALU_DEP_1)
	v_mul_f64 v[198:199], v[196:197], v[194:195]
	v_fma_f64 v[190:191], -v[190:191], v[198:199], v[196:197]
	s_delay_alu instid0(VALU_DEP_1) | instskip(NEXT) | instid1(VALU_DEP_1)
	v_div_fmas_f64 v[190:191], v[190:191], v[194:195], v[198:199]
	v_div_fixup_f64 v[196:197], v[190:191], v[188:189], 1.0
	s_delay_alu instid0(VALU_DEP_1)
	v_mul_f64 v[194:195], v[192:193], -v[196:197]
.LBB93_79:
	s_or_b32 exec_lo, exec_lo, s3
	ds_store_2addr_b64 v243, v[196:197], v[194:195] offset1:1
.LBB93_80:
	s_or_b32 exec_lo, exec_lo, s4
	s_waitcnt lgkmcnt(0)
	s_barrier
	buffer_gl0_inv
	ds_load_2addr_b64 v[188:191], v243 offset1:1
	s_mov_b32 s3, exec_lo
	s_waitcnt lgkmcnt(0)
	scratch_store_b128 off, v[188:191], off offset:472 ; 16-byte Folded Spill
	v_cmpx_lt_u32_e32 8, v242
	s_cbranch_execz .LBB93_82
; %bb.81:
	scratch_load_b128 v[190:193], off, off offset:472 ; 16-byte Folded Reload
	s_waitcnt vmcnt(0)
	v_mul_f64 v[188:189], v[192:193], v[154:155]
	v_mul_f64 v[154:155], v[190:191], v[154:155]
	s_delay_alu instid0(VALU_DEP_2) | instskip(NEXT) | instid1(VALU_DEP_2)
	v_fma_f64 v[188:189], v[190:191], v[152:153], -v[188:189]
	v_fma_f64 v[154:155], v[192:193], v[152:153], v[154:155]
	ds_load_2addr_b64 v[190:193], v244 offset0:18 offset1:19
	s_waitcnt lgkmcnt(0)
	v_mul_f64 v[152:153], v[192:193], v[154:155]
	s_delay_alu instid0(VALU_DEP_1) | instskip(SKIP_1) | instid1(VALU_DEP_2)
	v_fma_f64 v[152:153], v[190:191], v[188:189], -v[152:153]
	v_mul_f64 v[190:191], v[190:191], v[154:155]
	v_add_f64 v[148:149], v[148:149], -v[152:153]
	s_delay_alu instid0(VALU_DEP_2) | instskip(NEXT) | instid1(VALU_DEP_1)
	v_fma_f64 v[190:191], v[192:193], v[188:189], v[190:191]
	v_add_f64 v[150:151], v[150:151], -v[190:191]
	ds_load_2addr_b64 v[190:193], v244 offset0:20 offset1:21
	s_waitcnt lgkmcnt(0)
	v_mul_f64 v[152:153], v[192:193], v[154:155]
	s_delay_alu instid0(VALU_DEP_1) | instskip(SKIP_1) | instid1(VALU_DEP_2)
	v_fma_f64 v[152:153], v[190:191], v[188:189], -v[152:153]
	v_mul_f64 v[190:191], v[190:191], v[154:155]
	v_add_f64 v[144:145], v[144:145], -v[152:153]
	s_delay_alu instid0(VALU_DEP_2) | instskip(NEXT) | instid1(VALU_DEP_1)
	v_fma_f64 v[190:191], v[192:193], v[188:189], v[190:191]
	v_add_f64 v[146:147], v[146:147], -v[190:191]
	;; [unrolled: 10-line block ×37, first 2 shown]
	ds_load_2addr_b64 v[190:193], v244 offset0:92 offset1:93
	s_waitcnt lgkmcnt(0)
	v_mul_f64 v[152:153], v[192:193], v[154:155]
	s_delay_alu instid0(VALU_DEP_1) | instskip(SKIP_1) | instid1(VALU_DEP_2)
	v_fma_f64 v[152:153], v[190:191], v[188:189], -v[152:153]
	v_mul_f64 v[190:191], v[190:191], v[154:155]
	v_add_f64 v[0:1], v[0:1], -v[152:153]
	s_delay_alu instid0(VALU_DEP_2) | instskip(SKIP_1) | instid1(VALU_DEP_2)
	v_fma_f64 v[190:191], v[192:193], v[188:189], v[190:191]
	v_dual_mov_b32 v152, v188 :: v_dual_mov_b32 v153, v189
	v_add_f64 v[2:3], v[2:3], -v[190:191]
.LBB93_82:
	s_or_b32 exec_lo, exec_lo, s3
	s_delay_alu instid0(SALU_CYCLE_1)
	s_mov_b32 s4, exec_lo
	s_waitcnt_vscnt null, 0x0
	s_barrier
	buffer_gl0_inv
	v_cmpx_eq_u32_e32 9, v242
	s_cbranch_execz .LBB93_89
; %bb.83:
	ds_store_2addr_b64 v243, v[148:149], v[150:151] offset1:1
	ds_store_2addr_b64 v244, v[144:145], v[146:147] offset0:20 offset1:21
	ds_store_2addr_b64 v244, v[140:141], v[142:143] offset0:22 offset1:23
	;; [unrolled: 1-line block ×37, first 2 shown]
	ds_load_2addr_b64 v[188:191], v243 offset1:1
	s_waitcnt lgkmcnt(0)
	v_cmp_neq_f64_e32 vcc_lo, 0, v[188:189]
	v_cmp_neq_f64_e64 s3, 0, v[190:191]
	s_delay_alu instid0(VALU_DEP_1) | instskip(NEXT) | instid1(SALU_CYCLE_1)
	s_or_b32 s3, vcc_lo, s3
	s_and_b32 exec_lo, exec_lo, s3
	s_cbranch_execz .LBB93_89
; %bb.84:
	v_cmp_gt_f64_e32 vcc_lo, 0, v[188:189]
	v_xor_b32_e32 v192, 0x80000000, v189
	v_xor_b32_e32 v194, 0x80000000, v191
	s_mov_b32 s3, exec_lo
                                        ; implicit-def: $vgpr196_vgpr197
	s_delay_alu instid0(VALU_DEP_2) | instskip(SKIP_4) | instid1(VALU_DEP_1)
	v_cndmask_b32_e32 v193, v189, v192, vcc_lo
	v_cndmask_b32_e32 v192, v188, v188, vcc_lo
	v_cmp_gt_f64_e32 vcc_lo, 0, v[190:191]
	v_cndmask_b32_e32 v195, v191, v194, vcc_lo
	v_cndmask_b32_e32 v194, v190, v190, vcc_lo
	v_cmpx_ngt_f64_e32 v[192:193], v[194:195]
	s_xor_b32 s3, exec_lo, s3
                                        ; implicit-def: $vgpr192_vgpr193_vgpr194_vgpr195
	s_cbranch_execz .LBB93_86
; %bb.85:
	v_div_scale_f64 v[192:193], null, v[190:191], v[190:191], v[188:189]
	v_div_scale_f64 v[198:199], vcc_lo, v[188:189], v[190:191], v[188:189]
	s_delay_alu instid0(VALU_DEP_2) | instskip(SKIP_2) | instid1(VALU_DEP_1)
	v_rcp_f64_e32 v[194:195], v[192:193]
	s_waitcnt_depctr 0xfff
	v_fma_f64 v[196:197], -v[192:193], v[194:195], 1.0
	v_fma_f64 v[194:195], v[194:195], v[196:197], v[194:195]
	s_delay_alu instid0(VALU_DEP_1) | instskip(NEXT) | instid1(VALU_DEP_1)
	v_fma_f64 v[196:197], -v[192:193], v[194:195], 1.0
	v_fma_f64 v[194:195], v[194:195], v[196:197], v[194:195]
	s_delay_alu instid0(VALU_DEP_1) | instskip(NEXT) | instid1(VALU_DEP_1)
	v_mul_f64 v[196:197], v[198:199], v[194:195]
	v_fma_f64 v[192:193], -v[192:193], v[196:197], v[198:199]
	s_delay_alu instid0(VALU_DEP_1) | instskip(NEXT) | instid1(VALU_DEP_1)
	v_div_fmas_f64 v[192:193], v[192:193], v[194:195], v[196:197]
	v_div_fixup_f64 v[192:193], v[192:193], v[190:191], v[188:189]
	s_delay_alu instid0(VALU_DEP_1) | instskip(NEXT) | instid1(VALU_DEP_1)
	v_fma_f64 v[188:189], v[188:189], v[192:193], v[190:191]
	v_div_scale_f64 v[190:191], null, v[188:189], v[188:189], 1.0
	s_delay_alu instid0(VALU_DEP_1) | instskip(SKIP_2) | instid1(VALU_DEP_1)
	v_rcp_f64_e32 v[194:195], v[190:191]
	s_waitcnt_depctr 0xfff
	v_fma_f64 v[196:197], -v[190:191], v[194:195], 1.0
	v_fma_f64 v[194:195], v[194:195], v[196:197], v[194:195]
	s_delay_alu instid0(VALU_DEP_1) | instskip(NEXT) | instid1(VALU_DEP_1)
	v_fma_f64 v[196:197], -v[190:191], v[194:195], 1.0
	v_fma_f64 v[194:195], v[194:195], v[196:197], v[194:195]
	v_div_scale_f64 v[196:197], vcc_lo, 1.0, v[188:189], 1.0
	s_delay_alu instid0(VALU_DEP_1) | instskip(NEXT) | instid1(VALU_DEP_1)
	v_mul_f64 v[198:199], v[196:197], v[194:195]
	v_fma_f64 v[190:191], -v[190:191], v[198:199], v[196:197]
	s_delay_alu instid0(VALU_DEP_1) | instskip(NEXT) | instid1(VALU_DEP_1)
	v_div_fmas_f64 v[190:191], v[190:191], v[194:195], v[198:199]
	v_div_fixup_f64 v[194:195], v[190:191], v[188:189], 1.0
                                        ; implicit-def: $vgpr188_vgpr189
	s_delay_alu instid0(VALU_DEP_1)
	v_mul_f64 v[196:197], v[192:193], v[194:195]
	v_xor_b32_e32 v195, 0x80000000, v195
.LBB93_86:
	s_and_not1_saveexec_b32 s3, s3
	s_cbranch_execz .LBB93_88
; %bb.87:
	v_div_scale_f64 v[192:193], null, v[188:189], v[188:189], v[190:191]
	v_div_scale_f64 v[198:199], vcc_lo, v[190:191], v[188:189], v[190:191]
	s_delay_alu instid0(VALU_DEP_2) | instskip(SKIP_2) | instid1(VALU_DEP_1)
	v_rcp_f64_e32 v[194:195], v[192:193]
	s_waitcnt_depctr 0xfff
	v_fma_f64 v[196:197], -v[192:193], v[194:195], 1.0
	v_fma_f64 v[194:195], v[194:195], v[196:197], v[194:195]
	s_delay_alu instid0(VALU_DEP_1) | instskip(NEXT) | instid1(VALU_DEP_1)
	v_fma_f64 v[196:197], -v[192:193], v[194:195], 1.0
	v_fma_f64 v[194:195], v[194:195], v[196:197], v[194:195]
	s_delay_alu instid0(VALU_DEP_1) | instskip(NEXT) | instid1(VALU_DEP_1)
	v_mul_f64 v[196:197], v[198:199], v[194:195]
	v_fma_f64 v[192:193], -v[192:193], v[196:197], v[198:199]
	s_delay_alu instid0(VALU_DEP_1) | instskip(NEXT) | instid1(VALU_DEP_1)
	v_div_fmas_f64 v[192:193], v[192:193], v[194:195], v[196:197]
	v_div_fixup_f64 v[192:193], v[192:193], v[188:189], v[190:191]
	s_delay_alu instid0(VALU_DEP_1) | instskip(NEXT) | instid1(VALU_DEP_1)
	v_fma_f64 v[188:189], v[190:191], v[192:193], v[188:189]
	v_div_scale_f64 v[190:191], null, v[188:189], v[188:189], 1.0
	s_delay_alu instid0(VALU_DEP_1) | instskip(SKIP_2) | instid1(VALU_DEP_1)
	v_rcp_f64_e32 v[194:195], v[190:191]
	s_waitcnt_depctr 0xfff
	v_fma_f64 v[196:197], -v[190:191], v[194:195], 1.0
	v_fma_f64 v[194:195], v[194:195], v[196:197], v[194:195]
	s_delay_alu instid0(VALU_DEP_1) | instskip(NEXT) | instid1(VALU_DEP_1)
	v_fma_f64 v[196:197], -v[190:191], v[194:195], 1.0
	v_fma_f64 v[194:195], v[194:195], v[196:197], v[194:195]
	v_div_scale_f64 v[196:197], vcc_lo, 1.0, v[188:189], 1.0
	s_delay_alu instid0(VALU_DEP_1) | instskip(NEXT) | instid1(VALU_DEP_1)
	v_mul_f64 v[198:199], v[196:197], v[194:195]
	v_fma_f64 v[190:191], -v[190:191], v[198:199], v[196:197]
	s_delay_alu instid0(VALU_DEP_1) | instskip(NEXT) | instid1(VALU_DEP_1)
	v_div_fmas_f64 v[190:191], v[190:191], v[194:195], v[198:199]
	v_div_fixup_f64 v[196:197], v[190:191], v[188:189], 1.0
	s_delay_alu instid0(VALU_DEP_1)
	v_mul_f64 v[194:195], v[192:193], -v[196:197]
.LBB93_88:
	s_or_b32 exec_lo, exec_lo, s3
	ds_store_2addr_b64 v243, v[196:197], v[194:195] offset1:1
.LBB93_89:
	s_or_b32 exec_lo, exec_lo, s4
	s_waitcnt lgkmcnt(0)
	s_barrier
	buffer_gl0_inv
	ds_load_2addr_b64 v[188:191], v243 offset1:1
	s_mov_b32 s3, exec_lo
	s_waitcnt lgkmcnt(0)
	scratch_store_b128 off, v[188:191], off offset:488 ; 16-byte Folded Spill
	v_cmpx_lt_u32_e32 9, v242
	s_cbranch_execz .LBB93_91
; %bb.90:
	scratch_load_b128 v[190:193], off, off offset:488 ; 16-byte Folded Reload
	s_waitcnt vmcnt(0)
	v_mul_f64 v[188:189], v[192:193], v[150:151]
	v_mul_f64 v[150:151], v[190:191], v[150:151]
	s_delay_alu instid0(VALU_DEP_2) | instskip(NEXT) | instid1(VALU_DEP_2)
	v_fma_f64 v[188:189], v[190:191], v[148:149], -v[188:189]
	v_fma_f64 v[150:151], v[192:193], v[148:149], v[150:151]
	ds_load_2addr_b64 v[190:193], v244 offset0:20 offset1:21
	s_waitcnt lgkmcnt(0)
	v_mul_f64 v[148:149], v[192:193], v[150:151]
	s_delay_alu instid0(VALU_DEP_1) | instskip(SKIP_1) | instid1(VALU_DEP_2)
	v_fma_f64 v[148:149], v[190:191], v[188:189], -v[148:149]
	v_mul_f64 v[190:191], v[190:191], v[150:151]
	v_add_f64 v[144:145], v[144:145], -v[148:149]
	s_delay_alu instid0(VALU_DEP_2) | instskip(NEXT) | instid1(VALU_DEP_1)
	v_fma_f64 v[190:191], v[192:193], v[188:189], v[190:191]
	v_add_f64 v[146:147], v[146:147], -v[190:191]
	ds_load_2addr_b64 v[190:193], v244 offset0:22 offset1:23
	s_waitcnt lgkmcnt(0)
	v_mul_f64 v[148:149], v[192:193], v[150:151]
	s_delay_alu instid0(VALU_DEP_1) | instskip(SKIP_1) | instid1(VALU_DEP_2)
	v_fma_f64 v[148:149], v[190:191], v[188:189], -v[148:149]
	v_mul_f64 v[190:191], v[190:191], v[150:151]
	v_add_f64 v[140:141], v[140:141], -v[148:149]
	s_delay_alu instid0(VALU_DEP_2) | instskip(NEXT) | instid1(VALU_DEP_1)
	v_fma_f64 v[190:191], v[192:193], v[188:189], v[190:191]
	v_add_f64 v[142:143], v[142:143], -v[190:191]
	;; [unrolled: 10-line block ×36, first 2 shown]
	ds_load_2addr_b64 v[190:193], v244 offset0:92 offset1:93
	s_waitcnt lgkmcnt(0)
	v_mul_f64 v[148:149], v[192:193], v[150:151]
	s_delay_alu instid0(VALU_DEP_1) | instskip(SKIP_1) | instid1(VALU_DEP_2)
	v_fma_f64 v[148:149], v[190:191], v[188:189], -v[148:149]
	v_mul_f64 v[190:191], v[190:191], v[150:151]
	v_add_f64 v[0:1], v[0:1], -v[148:149]
	s_delay_alu instid0(VALU_DEP_2) | instskip(SKIP_1) | instid1(VALU_DEP_2)
	v_fma_f64 v[190:191], v[192:193], v[188:189], v[190:191]
	v_dual_mov_b32 v148, v188 :: v_dual_mov_b32 v149, v189
	v_add_f64 v[2:3], v[2:3], -v[190:191]
.LBB93_91:
	s_or_b32 exec_lo, exec_lo, s3
	s_delay_alu instid0(SALU_CYCLE_1)
	s_mov_b32 s4, exec_lo
	s_waitcnt_vscnt null, 0x0
	s_barrier
	buffer_gl0_inv
	v_cmpx_eq_u32_e32 10, v242
	s_cbranch_execz .LBB93_98
; %bb.92:
	ds_store_2addr_b64 v243, v[144:145], v[146:147] offset1:1
	ds_store_2addr_b64 v244, v[140:141], v[142:143] offset0:22 offset1:23
	ds_store_2addr_b64 v244, v[136:137], v[138:139] offset0:24 offset1:25
	;; [unrolled: 1-line block ×36, first 2 shown]
	ds_load_2addr_b64 v[188:191], v243 offset1:1
	s_waitcnt lgkmcnt(0)
	v_cmp_neq_f64_e32 vcc_lo, 0, v[188:189]
	v_cmp_neq_f64_e64 s3, 0, v[190:191]
	s_delay_alu instid0(VALU_DEP_1) | instskip(NEXT) | instid1(SALU_CYCLE_1)
	s_or_b32 s3, vcc_lo, s3
	s_and_b32 exec_lo, exec_lo, s3
	s_cbranch_execz .LBB93_98
; %bb.93:
	v_cmp_gt_f64_e32 vcc_lo, 0, v[188:189]
	v_xor_b32_e32 v192, 0x80000000, v189
	v_xor_b32_e32 v194, 0x80000000, v191
	s_mov_b32 s3, exec_lo
                                        ; implicit-def: $vgpr196_vgpr197
	s_delay_alu instid0(VALU_DEP_2) | instskip(SKIP_4) | instid1(VALU_DEP_1)
	v_cndmask_b32_e32 v193, v189, v192, vcc_lo
	v_cndmask_b32_e32 v192, v188, v188, vcc_lo
	v_cmp_gt_f64_e32 vcc_lo, 0, v[190:191]
	v_cndmask_b32_e32 v195, v191, v194, vcc_lo
	v_cndmask_b32_e32 v194, v190, v190, vcc_lo
	v_cmpx_ngt_f64_e32 v[192:193], v[194:195]
	s_xor_b32 s3, exec_lo, s3
                                        ; implicit-def: $vgpr192_vgpr193_vgpr194_vgpr195
	s_cbranch_execz .LBB93_95
; %bb.94:
	v_div_scale_f64 v[192:193], null, v[190:191], v[190:191], v[188:189]
	v_div_scale_f64 v[198:199], vcc_lo, v[188:189], v[190:191], v[188:189]
	s_delay_alu instid0(VALU_DEP_2) | instskip(SKIP_2) | instid1(VALU_DEP_1)
	v_rcp_f64_e32 v[194:195], v[192:193]
	s_waitcnt_depctr 0xfff
	v_fma_f64 v[196:197], -v[192:193], v[194:195], 1.0
	v_fma_f64 v[194:195], v[194:195], v[196:197], v[194:195]
	s_delay_alu instid0(VALU_DEP_1) | instskip(NEXT) | instid1(VALU_DEP_1)
	v_fma_f64 v[196:197], -v[192:193], v[194:195], 1.0
	v_fma_f64 v[194:195], v[194:195], v[196:197], v[194:195]
	s_delay_alu instid0(VALU_DEP_1) | instskip(NEXT) | instid1(VALU_DEP_1)
	v_mul_f64 v[196:197], v[198:199], v[194:195]
	v_fma_f64 v[192:193], -v[192:193], v[196:197], v[198:199]
	s_delay_alu instid0(VALU_DEP_1) | instskip(NEXT) | instid1(VALU_DEP_1)
	v_div_fmas_f64 v[192:193], v[192:193], v[194:195], v[196:197]
	v_div_fixup_f64 v[192:193], v[192:193], v[190:191], v[188:189]
	s_delay_alu instid0(VALU_DEP_1) | instskip(NEXT) | instid1(VALU_DEP_1)
	v_fma_f64 v[188:189], v[188:189], v[192:193], v[190:191]
	v_div_scale_f64 v[190:191], null, v[188:189], v[188:189], 1.0
	s_delay_alu instid0(VALU_DEP_1) | instskip(SKIP_2) | instid1(VALU_DEP_1)
	v_rcp_f64_e32 v[194:195], v[190:191]
	s_waitcnt_depctr 0xfff
	v_fma_f64 v[196:197], -v[190:191], v[194:195], 1.0
	v_fma_f64 v[194:195], v[194:195], v[196:197], v[194:195]
	s_delay_alu instid0(VALU_DEP_1) | instskip(NEXT) | instid1(VALU_DEP_1)
	v_fma_f64 v[196:197], -v[190:191], v[194:195], 1.0
	v_fma_f64 v[194:195], v[194:195], v[196:197], v[194:195]
	v_div_scale_f64 v[196:197], vcc_lo, 1.0, v[188:189], 1.0
	s_delay_alu instid0(VALU_DEP_1) | instskip(NEXT) | instid1(VALU_DEP_1)
	v_mul_f64 v[198:199], v[196:197], v[194:195]
	v_fma_f64 v[190:191], -v[190:191], v[198:199], v[196:197]
	s_delay_alu instid0(VALU_DEP_1) | instskip(NEXT) | instid1(VALU_DEP_1)
	v_div_fmas_f64 v[190:191], v[190:191], v[194:195], v[198:199]
	v_div_fixup_f64 v[194:195], v[190:191], v[188:189], 1.0
                                        ; implicit-def: $vgpr188_vgpr189
	s_delay_alu instid0(VALU_DEP_1)
	v_mul_f64 v[196:197], v[192:193], v[194:195]
	v_xor_b32_e32 v195, 0x80000000, v195
.LBB93_95:
	s_and_not1_saveexec_b32 s3, s3
	s_cbranch_execz .LBB93_97
; %bb.96:
	v_div_scale_f64 v[192:193], null, v[188:189], v[188:189], v[190:191]
	v_div_scale_f64 v[198:199], vcc_lo, v[190:191], v[188:189], v[190:191]
	s_delay_alu instid0(VALU_DEP_2) | instskip(SKIP_2) | instid1(VALU_DEP_1)
	v_rcp_f64_e32 v[194:195], v[192:193]
	s_waitcnt_depctr 0xfff
	v_fma_f64 v[196:197], -v[192:193], v[194:195], 1.0
	v_fma_f64 v[194:195], v[194:195], v[196:197], v[194:195]
	s_delay_alu instid0(VALU_DEP_1) | instskip(NEXT) | instid1(VALU_DEP_1)
	v_fma_f64 v[196:197], -v[192:193], v[194:195], 1.0
	v_fma_f64 v[194:195], v[194:195], v[196:197], v[194:195]
	s_delay_alu instid0(VALU_DEP_1) | instskip(NEXT) | instid1(VALU_DEP_1)
	v_mul_f64 v[196:197], v[198:199], v[194:195]
	v_fma_f64 v[192:193], -v[192:193], v[196:197], v[198:199]
	s_delay_alu instid0(VALU_DEP_1) | instskip(NEXT) | instid1(VALU_DEP_1)
	v_div_fmas_f64 v[192:193], v[192:193], v[194:195], v[196:197]
	v_div_fixup_f64 v[192:193], v[192:193], v[188:189], v[190:191]
	s_delay_alu instid0(VALU_DEP_1) | instskip(NEXT) | instid1(VALU_DEP_1)
	v_fma_f64 v[188:189], v[190:191], v[192:193], v[188:189]
	v_div_scale_f64 v[190:191], null, v[188:189], v[188:189], 1.0
	s_delay_alu instid0(VALU_DEP_1) | instskip(SKIP_2) | instid1(VALU_DEP_1)
	v_rcp_f64_e32 v[194:195], v[190:191]
	s_waitcnt_depctr 0xfff
	v_fma_f64 v[196:197], -v[190:191], v[194:195], 1.0
	v_fma_f64 v[194:195], v[194:195], v[196:197], v[194:195]
	s_delay_alu instid0(VALU_DEP_1) | instskip(NEXT) | instid1(VALU_DEP_1)
	v_fma_f64 v[196:197], -v[190:191], v[194:195], 1.0
	v_fma_f64 v[194:195], v[194:195], v[196:197], v[194:195]
	v_div_scale_f64 v[196:197], vcc_lo, 1.0, v[188:189], 1.0
	s_delay_alu instid0(VALU_DEP_1) | instskip(NEXT) | instid1(VALU_DEP_1)
	v_mul_f64 v[198:199], v[196:197], v[194:195]
	v_fma_f64 v[190:191], -v[190:191], v[198:199], v[196:197]
	s_delay_alu instid0(VALU_DEP_1) | instskip(NEXT) | instid1(VALU_DEP_1)
	v_div_fmas_f64 v[190:191], v[190:191], v[194:195], v[198:199]
	v_div_fixup_f64 v[196:197], v[190:191], v[188:189], 1.0
	s_delay_alu instid0(VALU_DEP_1)
	v_mul_f64 v[194:195], v[192:193], -v[196:197]
.LBB93_97:
	s_or_b32 exec_lo, exec_lo, s3
	ds_store_2addr_b64 v243, v[196:197], v[194:195] offset1:1
.LBB93_98:
	s_or_b32 exec_lo, exec_lo, s4
	s_waitcnt lgkmcnt(0)
	s_barrier
	buffer_gl0_inv
	ds_load_2addr_b64 v[188:191], v243 offset1:1
	s_mov_b32 s3, exec_lo
	s_waitcnt lgkmcnt(0)
	scratch_store_b128 off, v[188:191], off offset:504 ; 16-byte Folded Spill
	v_cmpx_lt_u32_e32 10, v242
	s_cbranch_execz .LBB93_100
; %bb.99:
	scratch_load_b128 v[190:193], off, off offset:504 ; 16-byte Folded Reload
	s_waitcnt vmcnt(0)
	v_mul_f64 v[188:189], v[192:193], v[146:147]
	v_mul_f64 v[146:147], v[190:191], v[146:147]
	s_delay_alu instid0(VALU_DEP_2) | instskip(NEXT) | instid1(VALU_DEP_2)
	v_fma_f64 v[188:189], v[190:191], v[144:145], -v[188:189]
	v_fma_f64 v[146:147], v[192:193], v[144:145], v[146:147]
	ds_load_2addr_b64 v[190:193], v244 offset0:22 offset1:23
	s_waitcnt lgkmcnt(0)
	v_mul_f64 v[144:145], v[192:193], v[146:147]
	s_delay_alu instid0(VALU_DEP_1) | instskip(SKIP_1) | instid1(VALU_DEP_2)
	v_fma_f64 v[144:145], v[190:191], v[188:189], -v[144:145]
	v_mul_f64 v[190:191], v[190:191], v[146:147]
	v_add_f64 v[140:141], v[140:141], -v[144:145]
	s_delay_alu instid0(VALU_DEP_2) | instskip(NEXT) | instid1(VALU_DEP_1)
	v_fma_f64 v[190:191], v[192:193], v[188:189], v[190:191]
	v_add_f64 v[142:143], v[142:143], -v[190:191]
	ds_load_2addr_b64 v[190:193], v244 offset0:24 offset1:25
	s_waitcnt lgkmcnt(0)
	v_mul_f64 v[144:145], v[192:193], v[146:147]
	s_delay_alu instid0(VALU_DEP_1) | instskip(SKIP_1) | instid1(VALU_DEP_2)
	v_fma_f64 v[144:145], v[190:191], v[188:189], -v[144:145]
	v_mul_f64 v[190:191], v[190:191], v[146:147]
	v_add_f64 v[136:137], v[136:137], -v[144:145]
	s_delay_alu instid0(VALU_DEP_2) | instskip(NEXT) | instid1(VALU_DEP_1)
	v_fma_f64 v[190:191], v[192:193], v[188:189], v[190:191]
	v_add_f64 v[138:139], v[138:139], -v[190:191]
	;; [unrolled: 10-line block ×35, first 2 shown]
	ds_load_2addr_b64 v[190:193], v244 offset0:92 offset1:93
	s_waitcnt lgkmcnt(0)
	v_mul_f64 v[144:145], v[192:193], v[146:147]
	s_delay_alu instid0(VALU_DEP_1) | instskip(SKIP_1) | instid1(VALU_DEP_2)
	v_fma_f64 v[144:145], v[190:191], v[188:189], -v[144:145]
	v_mul_f64 v[190:191], v[190:191], v[146:147]
	v_add_f64 v[0:1], v[0:1], -v[144:145]
	s_delay_alu instid0(VALU_DEP_2) | instskip(SKIP_1) | instid1(VALU_DEP_2)
	v_fma_f64 v[190:191], v[192:193], v[188:189], v[190:191]
	v_dual_mov_b32 v144, v188 :: v_dual_mov_b32 v145, v189
	v_add_f64 v[2:3], v[2:3], -v[190:191]
.LBB93_100:
	s_or_b32 exec_lo, exec_lo, s3
	s_delay_alu instid0(SALU_CYCLE_1)
	s_mov_b32 s4, exec_lo
	s_waitcnt_vscnt null, 0x0
	s_barrier
	buffer_gl0_inv
	v_cmpx_eq_u32_e32 11, v242
	s_cbranch_execz .LBB93_107
; %bb.101:
	ds_store_2addr_b64 v243, v[140:141], v[142:143] offset1:1
	ds_store_2addr_b64 v244, v[136:137], v[138:139] offset0:24 offset1:25
	ds_store_2addr_b64 v244, v[132:133], v[134:135] offset0:26 offset1:27
	;; [unrolled: 1-line block ×35, first 2 shown]
	ds_load_2addr_b64 v[188:191], v243 offset1:1
	s_waitcnt lgkmcnt(0)
	v_cmp_neq_f64_e32 vcc_lo, 0, v[188:189]
	v_cmp_neq_f64_e64 s3, 0, v[190:191]
	s_delay_alu instid0(VALU_DEP_1) | instskip(NEXT) | instid1(SALU_CYCLE_1)
	s_or_b32 s3, vcc_lo, s3
	s_and_b32 exec_lo, exec_lo, s3
	s_cbranch_execz .LBB93_107
; %bb.102:
	v_cmp_gt_f64_e32 vcc_lo, 0, v[188:189]
	v_xor_b32_e32 v192, 0x80000000, v189
	v_xor_b32_e32 v194, 0x80000000, v191
	s_mov_b32 s3, exec_lo
                                        ; implicit-def: $vgpr196_vgpr197
	s_delay_alu instid0(VALU_DEP_2) | instskip(SKIP_4) | instid1(VALU_DEP_1)
	v_cndmask_b32_e32 v193, v189, v192, vcc_lo
	v_cndmask_b32_e32 v192, v188, v188, vcc_lo
	v_cmp_gt_f64_e32 vcc_lo, 0, v[190:191]
	v_cndmask_b32_e32 v195, v191, v194, vcc_lo
	v_cndmask_b32_e32 v194, v190, v190, vcc_lo
	v_cmpx_ngt_f64_e32 v[192:193], v[194:195]
	s_xor_b32 s3, exec_lo, s3
                                        ; implicit-def: $vgpr192_vgpr193_vgpr194_vgpr195
	s_cbranch_execz .LBB93_104
; %bb.103:
	v_div_scale_f64 v[192:193], null, v[190:191], v[190:191], v[188:189]
	v_div_scale_f64 v[198:199], vcc_lo, v[188:189], v[190:191], v[188:189]
	s_delay_alu instid0(VALU_DEP_2) | instskip(SKIP_2) | instid1(VALU_DEP_1)
	v_rcp_f64_e32 v[194:195], v[192:193]
	s_waitcnt_depctr 0xfff
	v_fma_f64 v[196:197], -v[192:193], v[194:195], 1.0
	v_fma_f64 v[194:195], v[194:195], v[196:197], v[194:195]
	s_delay_alu instid0(VALU_DEP_1) | instskip(NEXT) | instid1(VALU_DEP_1)
	v_fma_f64 v[196:197], -v[192:193], v[194:195], 1.0
	v_fma_f64 v[194:195], v[194:195], v[196:197], v[194:195]
	s_delay_alu instid0(VALU_DEP_1) | instskip(NEXT) | instid1(VALU_DEP_1)
	v_mul_f64 v[196:197], v[198:199], v[194:195]
	v_fma_f64 v[192:193], -v[192:193], v[196:197], v[198:199]
	s_delay_alu instid0(VALU_DEP_1) | instskip(NEXT) | instid1(VALU_DEP_1)
	v_div_fmas_f64 v[192:193], v[192:193], v[194:195], v[196:197]
	v_div_fixup_f64 v[192:193], v[192:193], v[190:191], v[188:189]
	s_delay_alu instid0(VALU_DEP_1) | instskip(NEXT) | instid1(VALU_DEP_1)
	v_fma_f64 v[188:189], v[188:189], v[192:193], v[190:191]
	v_div_scale_f64 v[190:191], null, v[188:189], v[188:189], 1.0
	s_delay_alu instid0(VALU_DEP_1) | instskip(SKIP_2) | instid1(VALU_DEP_1)
	v_rcp_f64_e32 v[194:195], v[190:191]
	s_waitcnt_depctr 0xfff
	v_fma_f64 v[196:197], -v[190:191], v[194:195], 1.0
	v_fma_f64 v[194:195], v[194:195], v[196:197], v[194:195]
	s_delay_alu instid0(VALU_DEP_1) | instskip(NEXT) | instid1(VALU_DEP_1)
	v_fma_f64 v[196:197], -v[190:191], v[194:195], 1.0
	v_fma_f64 v[194:195], v[194:195], v[196:197], v[194:195]
	v_div_scale_f64 v[196:197], vcc_lo, 1.0, v[188:189], 1.0
	s_delay_alu instid0(VALU_DEP_1) | instskip(NEXT) | instid1(VALU_DEP_1)
	v_mul_f64 v[198:199], v[196:197], v[194:195]
	v_fma_f64 v[190:191], -v[190:191], v[198:199], v[196:197]
	s_delay_alu instid0(VALU_DEP_1) | instskip(NEXT) | instid1(VALU_DEP_1)
	v_div_fmas_f64 v[190:191], v[190:191], v[194:195], v[198:199]
	v_div_fixup_f64 v[194:195], v[190:191], v[188:189], 1.0
                                        ; implicit-def: $vgpr188_vgpr189
	s_delay_alu instid0(VALU_DEP_1)
	v_mul_f64 v[196:197], v[192:193], v[194:195]
	v_xor_b32_e32 v195, 0x80000000, v195
.LBB93_104:
	s_and_not1_saveexec_b32 s3, s3
	s_cbranch_execz .LBB93_106
; %bb.105:
	v_div_scale_f64 v[192:193], null, v[188:189], v[188:189], v[190:191]
	v_div_scale_f64 v[198:199], vcc_lo, v[190:191], v[188:189], v[190:191]
	s_delay_alu instid0(VALU_DEP_2) | instskip(SKIP_2) | instid1(VALU_DEP_1)
	v_rcp_f64_e32 v[194:195], v[192:193]
	s_waitcnt_depctr 0xfff
	v_fma_f64 v[196:197], -v[192:193], v[194:195], 1.0
	v_fma_f64 v[194:195], v[194:195], v[196:197], v[194:195]
	s_delay_alu instid0(VALU_DEP_1) | instskip(NEXT) | instid1(VALU_DEP_1)
	v_fma_f64 v[196:197], -v[192:193], v[194:195], 1.0
	v_fma_f64 v[194:195], v[194:195], v[196:197], v[194:195]
	s_delay_alu instid0(VALU_DEP_1) | instskip(NEXT) | instid1(VALU_DEP_1)
	v_mul_f64 v[196:197], v[198:199], v[194:195]
	v_fma_f64 v[192:193], -v[192:193], v[196:197], v[198:199]
	s_delay_alu instid0(VALU_DEP_1) | instskip(NEXT) | instid1(VALU_DEP_1)
	v_div_fmas_f64 v[192:193], v[192:193], v[194:195], v[196:197]
	v_div_fixup_f64 v[192:193], v[192:193], v[188:189], v[190:191]
	s_delay_alu instid0(VALU_DEP_1) | instskip(NEXT) | instid1(VALU_DEP_1)
	v_fma_f64 v[188:189], v[190:191], v[192:193], v[188:189]
	v_div_scale_f64 v[190:191], null, v[188:189], v[188:189], 1.0
	s_delay_alu instid0(VALU_DEP_1) | instskip(SKIP_2) | instid1(VALU_DEP_1)
	v_rcp_f64_e32 v[194:195], v[190:191]
	s_waitcnt_depctr 0xfff
	v_fma_f64 v[196:197], -v[190:191], v[194:195], 1.0
	v_fma_f64 v[194:195], v[194:195], v[196:197], v[194:195]
	s_delay_alu instid0(VALU_DEP_1) | instskip(NEXT) | instid1(VALU_DEP_1)
	v_fma_f64 v[196:197], -v[190:191], v[194:195], 1.0
	v_fma_f64 v[194:195], v[194:195], v[196:197], v[194:195]
	v_div_scale_f64 v[196:197], vcc_lo, 1.0, v[188:189], 1.0
	s_delay_alu instid0(VALU_DEP_1) | instskip(NEXT) | instid1(VALU_DEP_1)
	v_mul_f64 v[198:199], v[196:197], v[194:195]
	v_fma_f64 v[190:191], -v[190:191], v[198:199], v[196:197]
	s_delay_alu instid0(VALU_DEP_1) | instskip(NEXT) | instid1(VALU_DEP_1)
	v_div_fmas_f64 v[190:191], v[190:191], v[194:195], v[198:199]
	v_div_fixup_f64 v[196:197], v[190:191], v[188:189], 1.0
	s_delay_alu instid0(VALU_DEP_1)
	v_mul_f64 v[194:195], v[192:193], -v[196:197]
.LBB93_106:
	s_or_b32 exec_lo, exec_lo, s3
	ds_store_2addr_b64 v243, v[196:197], v[194:195] offset1:1
.LBB93_107:
	s_or_b32 exec_lo, exec_lo, s4
	s_waitcnt lgkmcnt(0)
	s_barrier
	buffer_gl0_inv
	ds_load_2addr_b64 v[188:191], v243 offset1:1
	s_mov_b32 s3, exec_lo
	s_waitcnt lgkmcnt(0)
	scratch_store_b128 off, v[188:191], off offset:520 ; 16-byte Folded Spill
	v_cmpx_lt_u32_e32 11, v242
	s_cbranch_execz .LBB93_109
; %bb.108:
	scratch_load_b128 v[190:193], off, off offset:520 ; 16-byte Folded Reload
	s_waitcnt vmcnt(0)
	v_mul_f64 v[188:189], v[192:193], v[142:143]
	v_mul_f64 v[142:143], v[190:191], v[142:143]
	s_delay_alu instid0(VALU_DEP_2) | instskip(NEXT) | instid1(VALU_DEP_2)
	v_fma_f64 v[188:189], v[190:191], v[140:141], -v[188:189]
	v_fma_f64 v[142:143], v[192:193], v[140:141], v[142:143]
	ds_load_2addr_b64 v[190:193], v244 offset0:24 offset1:25
	s_waitcnt lgkmcnt(0)
	v_mul_f64 v[140:141], v[192:193], v[142:143]
	s_delay_alu instid0(VALU_DEP_1) | instskip(SKIP_1) | instid1(VALU_DEP_2)
	v_fma_f64 v[140:141], v[190:191], v[188:189], -v[140:141]
	v_mul_f64 v[190:191], v[190:191], v[142:143]
	v_add_f64 v[136:137], v[136:137], -v[140:141]
	s_delay_alu instid0(VALU_DEP_2) | instskip(NEXT) | instid1(VALU_DEP_1)
	v_fma_f64 v[190:191], v[192:193], v[188:189], v[190:191]
	v_add_f64 v[138:139], v[138:139], -v[190:191]
	ds_load_2addr_b64 v[190:193], v244 offset0:26 offset1:27
	s_waitcnt lgkmcnt(0)
	v_mul_f64 v[140:141], v[192:193], v[142:143]
	s_delay_alu instid0(VALU_DEP_1) | instskip(SKIP_1) | instid1(VALU_DEP_2)
	v_fma_f64 v[140:141], v[190:191], v[188:189], -v[140:141]
	v_mul_f64 v[190:191], v[190:191], v[142:143]
	v_add_f64 v[132:133], v[132:133], -v[140:141]
	s_delay_alu instid0(VALU_DEP_2) | instskip(NEXT) | instid1(VALU_DEP_1)
	v_fma_f64 v[190:191], v[192:193], v[188:189], v[190:191]
	v_add_f64 v[134:135], v[134:135], -v[190:191]
	;; [unrolled: 10-line block ×34, first 2 shown]
	ds_load_2addr_b64 v[190:193], v244 offset0:92 offset1:93
	s_waitcnt lgkmcnt(0)
	v_mul_f64 v[140:141], v[192:193], v[142:143]
	s_delay_alu instid0(VALU_DEP_1) | instskip(SKIP_1) | instid1(VALU_DEP_2)
	v_fma_f64 v[140:141], v[190:191], v[188:189], -v[140:141]
	v_mul_f64 v[190:191], v[190:191], v[142:143]
	v_add_f64 v[0:1], v[0:1], -v[140:141]
	s_delay_alu instid0(VALU_DEP_2) | instskip(SKIP_1) | instid1(VALU_DEP_2)
	v_fma_f64 v[190:191], v[192:193], v[188:189], v[190:191]
	v_dual_mov_b32 v140, v188 :: v_dual_mov_b32 v141, v189
	v_add_f64 v[2:3], v[2:3], -v[190:191]
.LBB93_109:
	s_or_b32 exec_lo, exec_lo, s3
	s_delay_alu instid0(SALU_CYCLE_1)
	s_mov_b32 s4, exec_lo
	s_waitcnt_vscnt null, 0x0
	s_barrier
	buffer_gl0_inv
	v_cmpx_eq_u32_e32 12, v242
	s_cbranch_execz .LBB93_116
; %bb.110:
	ds_store_2addr_b64 v243, v[136:137], v[138:139] offset1:1
	ds_store_2addr_b64 v244, v[132:133], v[134:135] offset0:26 offset1:27
	ds_store_2addr_b64 v244, v[128:129], v[130:131] offset0:28 offset1:29
	;; [unrolled: 1-line block ×34, first 2 shown]
	ds_load_2addr_b64 v[188:191], v243 offset1:1
	s_waitcnt lgkmcnt(0)
	v_cmp_neq_f64_e32 vcc_lo, 0, v[188:189]
	v_cmp_neq_f64_e64 s3, 0, v[190:191]
	s_delay_alu instid0(VALU_DEP_1) | instskip(NEXT) | instid1(SALU_CYCLE_1)
	s_or_b32 s3, vcc_lo, s3
	s_and_b32 exec_lo, exec_lo, s3
	s_cbranch_execz .LBB93_116
; %bb.111:
	v_cmp_gt_f64_e32 vcc_lo, 0, v[188:189]
	v_xor_b32_e32 v192, 0x80000000, v189
	v_xor_b32_e32 v194, 0x80000000, v191
	s_mov_b32 s3, exec_lo
                                        ; implicit-def: $vgpr196_vgpr197
	s_delay_alu instid0(VALU_DEP_2) | instskip(SKIP_4) | instid1(VALU_DEP_1)
	v_cndmask_b32_e32 v193, v189, v192, vcc_lo
	v_cndmask_b32_e32 v192, v188, v188, vcc_lo
	v_cmp_gt_f64_e32 vcc_lo, 0, v[190:191]
	v_cndmask_b32_e32 v195, v191, v194, vcc_lo
	v_cndmask_b32_e32 v194, v190, v190, vcc_lo
	v_cmpx_ngt_f64_e32 v[192:193], v[194:195]
	s_xor_b32 s3, exec_lo, s3
                                        ; implicit-def: $vgpr192_vgpr193_vgpr194_vgpr195
	s_cbranch_execz .LBB93_113
; %bb.112:
	v_div_scale_f64 v[192:193], null, v[190:191], v[190:191], v[188:189]
	v_div_scale_f64 v[198:199], vcc_lo, v[188:189], v[190:191], v[188:189]
	s_delay_alu instid0(VALU_DEP_2) | instskip(SKIP_2) | instid1(VALU_DEP_1)
	v_rcp_f64_e32 v[194:195], v[192:193]
	s_waitcnt_depctr 0xfff
	v_fma_f64 v[196:197], -v[192:193], v[194:195], 1.0
	v_fma_f64 v[194:195], v[194:195], v[196:197], v[194:195]
	s_delay_alu instid0(VALU_DEP_1) | instskip(NEXT) | instid1(VALU_DEP_1)
	v_fma_f64 v[196:197], -v[192:193], v[194:195], 1.0
	v_fma_f64 v[194:195], v[194:195], v[196:197], v[194:195]
	s_delay_alu instid0(VALU_DEP_1) | instskip(NEXT) | instid1(VALU_DEP_1)
	v_mul_f64 v[196:197], v[198:199], v[194:195]
	v_fma_f64 v[192:193], -v[192:193], v[196:197], v[198:199]
	s_delay_alu instid0(VALU_DEP_1) | instskip(NEXT) | instid1(VALU_DEP_1)
	v_div_fmas_f64 v[192:193], v[192:193], v[194:195], v[196:197]
	v_div_fixup_f64 v[192:193], v[192:193], v[190:191], v[188:189]
	s_delay_alu instid0(VALU_DEP_1) | instskip(NEXT) | instid1(VALU_DEP_1)
	v_fma_f64 v[188:189], v[188:189], v[192:193], v[190:191]
	v_div_scale_f64 v[190:191], null, v[188:189], v[188:189], 1.0
	s_delay_alu instid0(VALU_DEP_1) | instskip(SKIP_2) | instid1(VALU_DEP_1)
	v_rcp_f64_e32 v[194:195], v[190:191]
	s_waitcnt_depctr 0xfff
	v_fma_f64 v[196:197], -v[190:191], v[194:195], 1.0
	v_fma_f64 v[194:195], v[194:195], v[196:197], v[194:195]
	s_delay_alu instid0(VALU_DEP_1) | instskip(NEXT) | instid1(VALU_DEP_1)
	v_fma_f64 v[196:197], -v[190:191], v[194:195], 1.0
	v_fma_f64 v[194:195], v[194:195], v[196:197], v[194:195]
	v_div_scale_f64 v[196:197], vcc_lo, 1.0, v[188:189], 1.0
	s_delay_alu instid0(VALU_DEP_1) | instskip(NEXT) | instid1(VALU_DEP_1)
	v_mul_f64 v[198:199], v[196:197], v[194:195]
	v_fma_f64 v[190:191], -v[190:191], v[198:199], v[196:197]
	s_delay_alu instid0(VALU_DEP_1) | instskip(NEXT) | instid1(VALU_DEP_1)
	v_div_fmas_f64 v[190:191], v[190:191], v[194:195], v[198:199]
	v_div_fixup_f64 v[194:195], v[190:191], v[188:189], 1.0
                                        ; implicit-def: $vgpr188_vgpr189
	s_delay_alu instid0(VALU_DEP_1)
	v_mul_f64 v[196:197], v[192:193], v[194:195]
	v_xor_b32_e32 v195, 0x80000000, v195
.LBB93_113:
	s_and_not1_saveexec_b32 s3, s3
	s_cbranch_execz .LBB93_115
; %bb.114:
	v_div_scale_f64 v[192:193], null, v[188:189], v[188:189], v[190:191]
	v_div_scale_f64 v[198:199], vcc_lo, v[190:191], v[188:189], v[190:191]
	s_delay_alu instid0(VALU_DEP_2) | instskip(SKIP_2) | instid1(VALU_DEP_1)
	v_rcp_f64_e32 v[194:195], v[192:193]
	s_waitcnt_depctr 0xfff
	v_fma_f64 v[196:197], -v[192:193], v[194:195], 1.0
	v_fma_f64 v[194:195], v[194:195], v[196:197], v[194:195]
	s_delay_alu instid0(VALU_DEP_1) | instskip(NEXT) | instid1(VALU_DEP_1)
	v_fma_f64 v[196:197], -v[192:193], v[194:195], 1.0
	v_fma_f64 v[194:195], v[194:195], v[196:197], v[194:195]
	s_delay_alu instid0(VALU_DEP_1) | instskip(NEXT) | instid1(VALU_DEP_1)
	v_mul_f64 v[196:197], v[198:199], v[194:195]
	v_fma_f64 v[192:193], -v[192:193], v[196:197], v[198:199]
	s_delay_alu instid0(VALU_DEP_1) | instskip(NEXT) | instid1(VALU_DEP_1)
	v_div_fmas_f64 v[192:193], v[192:193], v[194:195], v[196:197]
	v_div_fixup_f64 v[192:193], v[192:193], v[188:189], v[190:191]
	s_delay_alu instid0(VALU_DEP_1) | instskip(NEXT) | instid1(VALU_DEP_1)
	v_fma_f64 v[188:189], v[190:191], v[192:193], v[188:189]
	v_div_scale_f64 v[190:191], null, v[188:189], v[188:189], 1.0
	s_delay_alu instid0(VALU_DEP_1) | instskip(SKIP_2) | instid1(VALU_DEP_1)
	v_rcp_f64_e32 v[194:195], v[190:191]
	s_waitcnt_depctr 0xfff
	v_fma_f64 v[196:197], -v[190:191], v[194:195], 1.0
	v_fma_f64 v[194:195], v[194:195], v[196:197], v[194:195]
	s_delay_alu instid0(VALU_DEP_1) | instskip(NEXT) | instid1(VALU_DEP_1)
	v_fma_f64 v[196:197], -v[190:191], v[194:195], 1.0
	v_fma_f64 v[194:195], v[194:195], v[196:197], v[194:195]
	v_div_scale_f64 v[196:197], vcc_lo, 1.0, v[188:189], 1.0
	s_delay_alu instid0(VALU_DEP_1) | instskip(NEXT) | instid1(VALU_DEP_1)
	v_mul_f64 v[198:199], v[196:197], v[194:195]
	v_fma_f64 v[190:191], -v[190:191], v[198:199], v[196:197]
	s_delay_alu instid0(VALU_DEP_1) | instskip(NEXT) | instid1(VALU_DEP_1)
	v_div_fmas_f64 v[190:191], v[190:191], v[194:195], v[198:199]
	v_div_fixup_f64 v[196:197], v[190:191], v[188:189], 1.0
	s_delay_alu instid0(VALU_DEP_1)
	v_mul_f64 v[194:195], v[192:193], -v[196:197]
.LBB93_115:
	s_or_b32 exec_lo, exec_lo, s3
	ds_store_2addr_b64 v243, v[196:197], v[194:195] offset1:1
.LBB93_116:
	s_or_b32 exec_lo, exec_lo, s4
	s_waitcnt lgkmcnt(0)
	s_barrier
	buffer_gl0_inv
	ds_load_2addr_b64 v[188:191], v243 offset1:1
	s_mov_b32 s3, exec_lo
	s_waitcnt lgkmcnt(0)
	scratch_store_b128 off, v[188:191], off offset:536 ; 16-byte Folded Spill
	v_cmpx_lt_u32_e32 12, v242
	s_cbranch_execz .LBB93_118
; %bb.117:
	scratch_load_b128 v[190:193], off, off offset:536 ; 16-byte Folded Reload
	s_waitcnt vmcnt(0)
	v_mul_f64 v[188:189], v[192:193], v[138:139]
	v_mul_f64 v[138:139], v[190:191], v[138:139]
	s_delay_alu instid0(VALU_DEP_2) | instskip(NEXT) | instid1(VALU_DEP_2)
	v_fma_f64 v[188:189], v[190:191], v[136:137], -v[188:189]
	v_fma_f64 v[138:139], v[192:193], v[136:137], v[138:139]
	ds_load_2addr_b64 v[190:193], v244 offset0:26 offset1:27
	s_waitcnt lgkmcnt(0)
	v_mul_f64 v[136:137], v[192:193], v[138:139]
	s_delay_alu instid0(VALU_DEP_1) | instskip(SKIP_1) | instid1(VALU_DEP_2)
	v_fma_f64 v[136:137], v[190:191], v[188:189], -v[136:137]
	v_mul_f64 v[190:191], v[190:191], v[138:139]
	v_add_f64 v[132:133], v[132:133], -v[136:137]
	s_delay_alu instid0(VALU_DEP_2) | instskip(NEXT) | instid1(VALU_DEP_1)
	v_fma_f64 v[190:191], v[192:193], v[188:189], v[190:191]
	v_add_f64 v[134:135], v[134:135], -v[190:191]
	ds_load_2addr_b64 v[190:193], v244 offset0:28 offset1:29
	s_waitcnt lgkmcnt(0)
	v_mul_f64 v[136:137], v[192:193], v[138:139]
	s_delay_alu instid0(VALU_DEP_1) | instskip(SKIP_1) | instid1(VALU_DEP_2)
	v_fma_f64 v[136:137], v[190:191], v[188:189], -v[136:137]
	v_mul_f64 v[190:191], v[190:191], v[138:139]
	v_add_f64 v[128:129], v[128:129], -v[136:137]
	s_delay_alu instid0(VALU_DEP_2) | instskip(NEXT) | instid1(VALU_DEP_1)
	v_fma_f64 v[190:191], v[192:193], v[188:189], v[190:191]
	v_add_f64 v[130:131], v[130:131], -v[190:191]
	;; [unrolled: 10-line block ×33, first 2 shown]
	ds_load_2addr_b64 v[190:193], v244 offset0:92 offset1:93
	s_waitcnt lgkmcnt(0)
	v_mul_f64 v[136:137], v[192:193], v[138:139]
	s_delay_alu instid0(VALU_DEP_1) | instskip(SKIP_1) | instid1(VALU_DEP_2)
	v_fma_f64 v[136:137], v[190:191], v[188:189], -v[136:137]
	v_mul_f64 v[190:191], v[190:191], v[138:139]
	v_add_f64 v[0:1], v[0:1], -v[136:137]
	s_delay_alu instid0(VALU_DEP_2) | instskip(SKIP_1) | instid1(VALU_DEP_2)
	v_fma_f64 v[190:191], v[192:193], v[188:189], v[190:191]
	v_dual_mov_b32 v136, v188 :: v_dual_mov_b32 v137, v189
	v_add_f64 v[2:3], v[2:3], -v[190:191]
.LBB93_118:
	s_or_b32 exec_lo, exec_lo, s3
	s_delay_alu instid0(SALU_CYCLE_1)
	s_mov_b32 s4, exec_lo
	s_waitcnt_vscnt null, 0x0
	s_barrier
	buffer_gl0_inv
	v_cmpx_eq_u32_e32 13, v242
	s_cbranch_execz .LBB93_125
; %bb.119:
	ds_store_2addr_b64 v243, v[132:133], v[134:135] offset1:1
	ds_store_2addr_b64 v244, v[128:129], v[130:131] offset0:28 offset1:29
	ds_store_2addr_b64 v244, v[124:125], v[126:127] offset0:30 offset1:31
	;; [unrolled: 1-line block ×33, first 2 shown]
	ds_load_2addr_b64 v[188:191], v243 offset1:1
	s_waitcnt lgkmcnt(0)
	v_cmp_neq_f64_e32 vcc_lo, 0, v[188:189]
	v_cmp_neq_f64_e64 s3, 0, v[190:191]
	s_delay_alu instid0(VALU_DEP_1) | instskip(NEXT) | instid1(SALU_CYCLE_1)
	s_or_b32 s3, vcc_lo, s3
	s_and_b32 exec_lo, exec_lo, s3
	s_cbranch_execz .LBB93_125
; %bb.120:
	v_cmp_gt_f64_e32 vcc_lo, 0, v[188:189]
	v_xor_b32_e32 v192, 0x80000000, v189
	v_xor_b32_e32 v194, 0x80000000, v191
	s_mov_b32 s3, exec_lo
                                        ; implicit-def: $vgpr196_vgpr197
	s_delay_alu instid0(VALU_DEP_2) | instskip(SKIP_4) | instid1(VALU_DEP_1)
	v_cndmask_b32_e32 v193, v189, v192, vcc_lo
	v_cndmask_b32_e32 v192, v188, v188, vcc_lo
	v_cmp_gt_f64_e32 vcc_lo, 0, v[190:191]
	v_cndmask_b32_e32 v195, v191, v194, vcc_lo
	v_cndmask_b32_e32 v194, v190, v190, vcc_lo
	v_cmpx_ngt_f64_e32 v[192:193], v[194:195]
	s_xor_b32 s3, exec_lo, s3
                                        ; implicit-def: $vgpr192_vgpr193_vgpr194_vgpr195
	s_cbranch_execz .LBB93_122
; %bb.121:
	v_div_scale_f64 v[192:193], null, v[190:191], v[190:191], v[188:189]
	v_div_scale_f64 v[198:199], vcc_lo, v[188:189], v[190:191], v[188:189]
	s_delay_alu instid0(VALU_DEP_2) | instskip(SKIP_2) | instid1(VALU_DEP_1)
	v_rcp_f64_e32 v[194:195], v[192:193]
	s_waitcnt_depctr 0xfff
	v_fma_f64 v[196:197], -v[192:193], v[194:195], 1.0
	v_fma_f64 v[194:195], v[194:195], v[196:197], v[194:195]
	s_delay_alu instid0(VALU_DEP_1) | instskip(NEXT) | instid1(VALU_DEP_1)
	v_fma_f64 v[196:197], -v[192:193], v[194:195], 1.0
	v_fma_f64 v[194:195], v[194:195], v[196:197], v[194:195]
	s_delay_alu instid0(VALU_DEP_1) | instskip(NEXT) | instid1(VALU_DEP_1)
	v_mul_f64 v[196:197], v[198:199], v[194:195]
	v_fma_f64 v[192:193], -v[192:193], v[196:197], v[198:199]
	s_delay_alu instid0(VALU_DEP_1) | instskip(NEXT) | instid1(VALU_DEP_1)
	v_div_fmas_f64 v[192:193], v[192:193], v[194:195], v[196:197]
	v_div_fixup_f64 v[192:193], v[192:193], v[190:191], v[188:189]
	s_delay_alu instid0(VALU_DEP_1) | instskip(NEXT) | instid1(VALU_DEP_1)
	v_fma_f64 v[188:189], v[188:189], v[192:193], v[190:191]
	v_div_scale_f64 v[190:191], null, v[188:189], v[188:189], 1.0
	s_delay_alu instid0(VALU_DEP_1) | instskip(SKIP_2) | instid1(VALU_DEP_1)
	v_rcp_f64_e32 v[194:195], v[190:191]
	s_waitcnt_depctr 0xfff
	v_fma_f64 v[196:197], -v[190:191], v[194:195], 1.0
	v_fma_f64 v[194:195], v[194:195], v[196:197], v[194:195]
	s_delay_alu instid0(VALU_DEP_1) | instskip(NEXT) | instid1(VALU_DEP_1)
	v_fma_f64 v[196:197], -v[190:191], v[194:195], 1.0
	v_fma_f64 v[194:195], v[194:195], v[196:197], v[194:195]
	v_div_scale_f64 v[196:197], vcc_lo, 1.0, v[188:189], 1.0
	s_delay_alu instid0(VALU_DEP_1) | instskip(NEXT) | instid1(VALU_DEP_1)
	v_mul_f64 v[198:199], v[196:197], v[194:195]
	v_fma_f64 v[190:191], -v[190:191], v[198:199], v[196:197]
	s_delay_alu instid0(VALU_DEP_1) | instskip(NEXT) | instid1(VALU_DEP_1)
	v_div_fmas_f64 v[190:191], v[190:191], v[194:195], v[198:199]
	v_div_fixup_f64 v[194:195], v[190:191], v[188:189], 1.0
                                        ; implicit-def: $vgpr188_vgpr189
	s_delay_alu instid0(VALU_DEP_1)
	v_mul_f64 v[196:197], v[192:193], v[194:195]
	v_xor_b32_e32 v195, 0x80000000, v195
.LBB93_122:
	s_and_not1_saveexec_b32 s3, s3
	s_cbranch_execz .LBB93_124
; %bb.123:
	v_div_scale_f64 v[192:193], null, v[188:189], v[188:189], v[190:191]
	v_div_scale_f64 v[198:199], vcc_lo, v[190:191], v[188:189], v[190:191]
	s_delay_alu instid0(VALU_DEP_2) | instskip(SKIP_2) | instid1(VALU_DEP_1)
	v_rcp_f64_e32 v[194:195], v[192:193]
	s_waitcnt_depctr 0xfff
	v_fma_f64 v[196:197], -v[192:193], v[194:195], 1.0
	v_fma_f64 v[194:195], v[194:195], v[196:197], v[194:195]
	s_delay_alu instid0(VALU_DEP_1) | instskip(NEXT) | instid1(VALU_DEP_1)
	v_fma_f64 v[196:197], -v[192:193], v[194:195], 1.0
	v_fma_f64 v[194:195], v[194:195], v[196:197], v[194:195]
	s_delay_alu instid0(VALU_DEP_1) | instskip(NEXT) | instid1(VALU_DEP_1)
	v_mul_f64 v[196:197], v[198:199], v[194:195]
	v_fma_f64 v[192:193], -v[192:193], v[196:197], v[198:199]
	s_delay_alu instid0(VALU_DEP_1) | instskip(NEXT) | instid1(VALU_DEP_1)
	v_div_fmas_f64 v[192:193], v[192:193], v[194:195], v[196:197]
	v_div_fixup_f64 v[192:193], v[192:193], v[188:189], v[190:191]
	s_delay_alu instid0(VALU_DEP_1) | instskip(NEXT) | instid1(VALU_DEP_1)
	v_fma_f64 v[188:189], v[190:191], v[192:193], v[188:189]
	v_div_scale_f64 v[190:191], null, v[188:189], v[188:189], 1.0
	s_delay_alu instid0(VALU_DEP_1) | instskip(SKIP_2) | instid1(VALU_DEP_1)
	v_rcp_f64_e32 v[194:195], v[190:191]
	s_waitcnt_depctr 0xfff
	v_fma_f64 v[196:197], -v[190:191], v[194:195], 1.0
	v_fma_f64 v[194:195], v[194:195], v[196:197], v[194:195]
	s_delay_alu instid0(VALU_DEP_1) | instskip(NEXT) | instid1(VALU_DEP_1)
	v_fma_f64 v[196:197], -v[190:191], v[194:195], 1.0
	v_fma_f64 v[194:195], v[194:195], v[196:197], v[194:195]
	v_div_scale_f64 v[196:197], vcc_lo, 1.0, v[188:189], 1.0
	s_delay_alu instid0(VALU_DEP_1) | instskip(NEXT) | instid1(VALU_DEP_1)
	v_mul_f64 v[198:199], v[196:197], v[194:195]
	v_fma_f64 v[190:191], -v[190:191], v[198:199], v[196:197]
	s_delay_alu instid0(VALU_DEP_1) | instskip(NEXT) | instid1(VALU_DEP_1)
	v_div_fmas_f64 v[190:191], v[190:191], v[194:195], v[198:199]
	v_div_fixup_f64 v[196:197], v[190:191], v[188:189], 1.0
	s_delay_alu instid0(VALU_DEP_1)
	v_mul_f64 v[194:195], v[192:193], -v[196:197]
.LBB93_124:
	s_or_b32 exec_lo, exec_lo, s3
	ds_store_2addr_b64 v243, v[196:197], v[194:195] offset1:1
.LBB93_125:
	s_or_b32 exec_lo, exec_lo, s4
	s_waitcnt lgkmcnt(0)
	s_barrier
	buffer_gl0_inv
	ds_load_2addr_b64 v[188:191], v243 offset1:1
	s_mov_b32 s3, exec_lo
	s_waitcnt lgkmcnt(0)
	scratch_store_b128 off, v[188:191], off offset:552 ; 16-byte Folded Spill
	v_cmpx_lt_u32_e32 13, v242
	s_cbranch_execz .LBB93_127
; %bb.126:
	scratch_load_b128 v[190:193], off, off offset:552 ; 16-byte Folded Reload
	s_waitcnt vmcnt(0)
	v_mul_f64 v[188:189], v[192:193], v[134:135]
	v_mul_f64 v[134:135], v[190:191], v[134:135]
	s_delay_alu instid0(VALU_DEP_2) | instskip(NEXT) | instid1(VALU_DEP_2)
	v_fma_f64 v[188:189], v[190:191], v[132:133], -v[188:189]
	v_fma_f64 v[134:135], v[192:193], v[132:133], v[134:135]
	ds_load_2addr_b64 v[190:193], v244 offset0:28 offset1:29
	s_waitcnt lgkmcnt(0)
	v_mul_f64 v[132:133], v[192:193], v[134:135]
	s_delay_alu instid0(VALU_DEP_1) | instskip(SKIP_1) | instid1(VALU_DEP_2)
	v_fma_f64 v[132:133], v[190:191], v[188:189], -v[132:133]
	v_mul_f64 v[190:191], v[190:191], v[134:135]
	v_add_f64 v[128:129], v[128:129], -v[132:133]
	s_delay_alu instid0(VALU_DEP_2) | instskip(NEXT) | instid1(VALU_DEP_1)
	v_fma_f64 v[190:191], v[192:193], v[188:189], v[190:191]
	v_add_f64 v[130:131], v[130:131], -v[190:191]
	ds_load_2addr_b64 v[190:193], v244 offset0:30 offset1:31
	s_waitcnt lgkmcnt(0)
	v_mul_f64 v[132:133], v[192:193], v[134:135]
	s_delay_alu instid0(VALU_DEP_1) | instskip(SKIP_1) | instid1(VALU_DEP_2)
	v_fma_f64 v[132:133], v[190:191], v[188:189], -v[132:133]
	v_mul_f64 v[190:191], v[190:191], v[134:135]
	v_add_f64 v[124:125], v[124:125], -v[132:133]
	s_delay_alu instid0(VALU_DEP_2) | instskip(NEXT) | instid1(VALU_DEP_1)
	v_fma_f64 v[190:191], v[192:193], v[188:189], v[190:191]
	v_add_f64 v[126:127], v[126:127], -v[190:191]
	;; [unrolled: 10-line block ×32, first 2 shown]
	ds_load_2addr_b64 v[190:193], v244 offset0:92 offset1:93
	s_waitcnt lgkmcnt(0)
	v_mul_f64 v[132:133], v[192:193], v[134:135]
	s_delay_alu instid0(VALU_DEP_1) | instskip(SKIP_1) | instid1(VALU_DEP_2)
	v_fma_f64 v[132:133], v[190:191], v[188:189], -v[132:133]
	v_mul_f64 v[190:191], v[190:191], v[134:135]
	v_add_f64 v[0:1], v[0:1], -v[132:133]
	s_delay_alu instid0(VALU_DEP_2) | instskip(SKIP_1) | instid1(VALU_DEP_2)
	v_fma_f64 v[190:191], v[192:193], v[188:189], v[190:191]
	v_dual_mov_b32 v132, v188 :: v_dual_mov_b32 v133, v189
	v_add_f64 v[2:3], v[2:3], -v[190:191]
.LBB93_127:
	s_or_b32 exec_lo, exec_lo, s3
	s_delay_alu instid0(SALU_CYCLE_1)
	s_mov_b32 s4, exec_lo
	s_waitcnt_vscnt null, 0x0
	s_barrier
	buffer_gl0_inv
	v_cmpx_eq_u32_e32 14, v242
	s_cbranch_execz .LBB93_134
; %bb.128:
	ds_store_2addr_b64 v243, v[128:129], v[130:131] offset1:1
	ds_store_2addr_b64 v244, v[124:125], v[126:127] offset0:30 offset1:31
	ds_store_2addr_b64 v244, v[120:121], v[122:123] offset0:32 offset1:33
	;; [unrolled: 1-line block ×32, first 2 shown]
	ds_load_2addr_b64 v[188:191], v243 offset1:1
	s_waitcnt lgkmcnt(0)
	v_cmp_neq_f64_e32 vcc_lo, 0, v[188:189]
	v_cmp_neq_f64_e64 s3, 0, v[190:191]
	s_delay_alu instid0(VALU_DEP_1) | instskip(NEXT) | instid1(SALU_CYCLE_1)
	s_or_b32 s3, vcc_lo, s3
	s_and_b32 exec_lo, exec_lo, s3
	s_cbranch_execz .LBB93_134
; %bb.129:
	v_cmp_gt_f64_e32 vcc_lo, 0, v[188:189]
	v_xor_b32_e32 v192, 0x80000000, v189
	v_xor_b32_e32 v194, 0x80000000, v191
	s_mov_b32 s3, exec_lo
                                        ; implicit-def: $vgpr196_vgpr197
	s_delay_alu instid0(VALU_DEP_2) | instskip(SKIP_4) | instid1(VALU_DEP_1)
	v_cndmask_b32_e32 v193, v189, v192, vcc_lo
	v_cndmask_b32_e32 v192, v188, v188, vcc_lo
	v_cmp_gt_f64_e32 vcc_lo, 0, v[190:191]
	v_cndmask_b32_e32 v195, v191, v194, vcc_lo
	v_cndmask_b32_e32 v194, v190, v190, vcc_lo
	v_cmpx_ngt_f64_e32 v[192:193], v[194:195]
	s_xor_b32 s3, exec_lo, s3
                                        ; implicit-def: $vgpr192_vgpr193_vgpr194_vgpr195
	s_cbranch_execz .LBB93_131
; %bb.130:
	v_div_scale_f64 v[192:193], null, v[190:191], v[190:191], v[188:189]
	v_div_scale_f64 v[198:199], vcc_lo, v[188:189], v[190:191], v[188:189]
	s_delay_alu instid0(VALU_DEP_2) | instskip(SKIP_2) | instid1(VALU_DEP_1)
	v_rcp_f64_e32 v[194:195], v[192:193]
	s_waitcnt_depctr 0xfff
	v_fma_f64 v[196:197], -v[192:193], v[194:195], 1.0
	v_fma_f64 v[194:195], v[194:195], v[196:197], v[194:195]
	s_delay_alu instid0(VALU_DEP_1) | instskip(NEXT) | instid1(VALU_DEP_1)
	v_fma_f64 v[196:197], -v[192:193], v[194:195], 1.0
	v_fma_f64 v[194:195], v[194:195], v[196:197], v[194:195]
	s_delay_alu instid0(VALU_DEP_1) | instskip(NEXT) | instid1(VALU_DEP_1)
	v_mul_f64 v[196:197], v[198:199], v[194:195]
	v_fma_f64 v[192:193], -v[192:193], v[196:197], v[198:199]
	s_delay_alu instid0(VALU_DEP_1) | instskip(NEXT) | instid1(VALU_DEP_1)
	v_div_fmas_f64 v[192:193], v[192:193], v[194:195], v[196:197]
	v_div_fixup_f64 v[192:193], v[192:193], v[190:191], v[188:189]
	s_delay_alu instid0(VALU_DEP_1) | instskip(NEXT) | instid1(VALU_DEP_1)
	v_fma_f64 v[188:189], v[188:189], v[192:193], v[190:191]
	v_div_scale_f64 v[190:191], null, v[188:189], v[188:189], 1.0
	s_delay_alu instid0(VALU_DEP_1) | instskip(SKIP_2) | instid1(VALU_DEP_1)
	v_rcp_f64_e32 v[194:195], v[190:191]
	s_waitcnt_depctr 0xfff
	v_fma_f64 v[196:197], -v[190:191], v[194:195], 1.0
	v_fma_f64 v[194:195], v[194:195], v[196:197], v[194:195]
	s_delay_alu instid0(VALU_DEP_1) | instskip(NEXT) | instid1(VALU_DEP_1)
	v_fma_f64 v[196:197], -v[190:191], v[194:195], 1.0
	v_fma_f64 v[194:195], v[194:195], v[196:197], v[194:195]
	v_div_scale_f64 v[196:197], vcc_lo, 1.0, v[188:189], 1.0
	s_delay_alu instid0(VALU_DEP_1) | instskip(NEXT) | instid1(VALU_DEP_1)
	v_mul_f64 v[198:199], v[196:197], v[194:195]
	v_fma_f64 v[190:191], -v[190:191], v[198:199], v[196:197]
	s_delay_alu instid0(VALU_DEP_1) | instskip(NEXT) | instid1(VALU_DEP_1)
	v_div_fmas_f64 v[190:191], v[190:191], v[194:195], v[198:199]
	v_div_fixup_f64 v[194:195], v[190:191], v[188:189], 1.0
                                        ; implicit-def: $vgpr188_vgpr189
	s_delay_alu instid0(VALU_DEP_1)
	v_mul_f64 v[196:197], v[192:193], v[194:195]
	v_xor_b32_e32 v195, 0x80000000, v195
.LBB93_131:
	s_and_not1_saveexec_b32 s3, s3
	s_cbranch_execz .LBB93_133
; %bb.132:
	v_div_scale_f64 v[192:193], null, v[188:189], v[188:189], v[190:191]
	v_div_scale_f64 v[198:199], vcc_lo, v[190:191], v[188:189], v[190:191]
	s_delay_alu instid0(VALU_DEP_2) | instskip(SKIP_2) | instid1(VALU_DEP_1)
	v_rcp_f64_e32 v[194:195], v[192:193]
	s_waitcnt_depctr 0xfff
	v_fma_f64 v[196:197], -v[192:193], v[194:195], 1.0
	v_fma_f64 v[194:195], v[194:195], v[196:197], v[194:195]
	s_delay_alu instid0(VALU_DEP_1) | instskip(NEXT) | instid1(VALU_DEP_1)
	v_fma_f64 v[196:197], -v[192:193], v[194:195], 1.0
	v_fma_f64 v[194:195], v[194:195], v[196:197], v[194:195]
	s_delay_alu instid0(VALU_DEP_1) | instskip(NEXT) | instid1(VALU_DEP_1)
	v_mul_f64 v[196:197], v[198:199], v[194:195]
	v_fma_f64 v[192:193], -v[192:193], v[196:197], v[198:199]
	s_delay_alu instid0(VALU_DEP_1) | instskip(NEXT) | instid1(VALU_DEP_1)
	v_div_fmas_f64 v[192:193], v[192:193], v[194:195], v[196:197]
	v_div_fixup_f64 v[192:193], v[192:193], v[188:189], v[190:191]
	s_delay_alu instid0(VALU_DEP_1) | instskip(NEXT) | instid1(VALU_DEP_1)
	v_fma_f64 v[188:189], v[190:191], v[192:193], v[188:189]
	v_div_scale_f64 v[190:191], null, v[188:189], v[188:189], 1.0
	s_delay_alu instid0(VALU_DEP_1) | instskip(SKIP_2) | instid1(VALU_DEP_1)
	v_rcp_f64_e32 v[194:195], v[190:191]
	s_waitcnt_depctr 0xfff
	v_fma_f64 v[196:197], -v[190:191], v[194:195], 1.0
	v_fma_f64 v[194:195], v[194:195], v[196:197], v[194:195]
	s_delay_alu instid0(VALU_DEP_1) | instskip(NEXT) | instid1(VALU_DEP_1)
	v_fma_f64 v[196:197], -v[190:191], v[194:195], 1.0
	v_fma_f64 v[194:195], v[194:195], v[196:197], v[194:195]
	v_div_scale_f64 v[196:197], vcc_lo, 1.0, v[188:189], 1.0
	s_delay_alu instid0(VALU_DEP_1) | instskip(NEXT) | instid1(VALU_DEP_1)
	v_mul_f64 v[198:199], v[196:197], v[194:195]
	v_fma_f64 v[190:191], -v[190:191], v[198:199], v[196:197]
	s_delay_alu instid0(VALU_DEP_1) | instskip(NEXT) | instid1(VALU_DEP_1)
	v_div_fmas_f64 v[190:191], v[190:191], v[194:195], v[198:199]
	v_div_fixup_f64 v[196:197], v[190:191], v[188:189], 1.0
	s_delay_alu instid0(VALU_DEP_1)
	v_mul_f64 v[194:195], v[192:193], -v[196:197]
.LBB93_133:
	s_or_b32 exec_lo, exec_lo, s3
	ds_store_2addr_b64 v243, v[196:197], v[194:195] offset1:1
.LBB93_134:
	s_or_b32 exec_lo, exec_lo, s4
	s_waitcnt lgkmcnt(0)
	s_barrier
	buffer_gl0_inv
	ds_load_2addr_b64 v[188:191], v243 offset1:1
	s_mov_b32 s3, exec_lo
	s_waitcnt lgkmcnt(0)
	scratch_store_b128 off, v[188:191], off offset:568 ; 16-byte Folded Spill
	v_cmpx_lt_u32_e32 14, v242
	s_cbranch_execz .LBB93_136
; %bb.135:
	scratch_load_b128 v[190:193], off, off offset:568 ; 16-byte Folded Reload
	s_waitcnt vmcnt(0)
	v_mul_f64 v[188:189], v[192:193], v[130:131]
	v_mul_f64 v[130:131], v[190:191], v[130:131]
	s_delay_alu instid0(VALU_DEP_2) | instskip(NEXT) | instid1(VALU_DEP_2)
	v_fma_f64 v[188:189], v[190:191], v[128:129], -v[188:189]
	v_fma_f64 v[130:131], v[192:193], v[128:129], v[130:131]
	ds_load_2addr_b64 v[190:193], v244 offset0:30 offset1:31
	s_waitcnt lgkmcnt(0)
	v_mul_f64 v[128:129], v[192:193], v[130:131]
	s_delay_alu instid0(VALU_DEP_1) | instskip(SKIP_1) | instid1(VALU_DEP_2)
	v_fma_f64 v[128:129], v[190:191], v[188:189], -v[128:129]
	v_mul_f64 v[190:191], v[190:191], v[130:131]
	v_add_f64 v[124:125], v[124:125], -v[128:129]
	s_delay_alu instid0(VALU_DEP_2) | instskip(NEXT) | instid1(VALU_DEP_1)
	v_fma_f64 v[190:191], v[192:193], v[188:189], v[190:191]
	v_add_f64 v[126:127], v[126:127], -v[190:191]
	ds_load_2addr_b64 v[190:193], v244 offset0:32 offset1:33
	s_waitcnt lgkmcnt(0)
	v_mul_f64 v[128:129], v[192:193], v[130:131]
	s_delay_alu instid0(VALU_DEP_1) | instskip(SKIP_1) | instid1(VALU_DEP_2)
	v_fma_f64 v[128:129], v[190:191], v[188:189], -v[128:129]
	v_mul_f64 v[190:191], v[190:191], v[130:131]
	v_add_f64 v[120:121], v[120:121], -v[128:129]
	s_delay_alu instid0(VALU_DEP_2) | instskip(NEXT) | instid1(VALU_DEP_1)
	v_fma_f64 v[190:191], v[192:193], v[188:189], v[190:191]
	v_add_f64 v[122:123], v[122:123], -v[190:191]
	;; [unrolled: 10-line block ×31, first 2 shown]
	ds_load_2addr_b64 v[190:193], v244 offset0:92 offset1:93
	s_waitcnt lgkmcnt(0)
	v_mul_f64 v[128:129], v[192:193], v[130:131]
	s_delay_alu instid0(VALU_DEP_1) | instskip(SKIP_1) | instid1(VALU_DEP_2)
	v_fma_f64 v[128:129], v[190:191], v[188:189], -v[128:129]
	v_mul_f64 v[190:191], v[190:191], v[130:131]
	v_add_f64 v[0:1], v[0:1], -v[128:129]
	s_delay_alu instid0(VALU_DEP_2) | instskip(SKIP_1) | instid1(VALU_DEP_2)
	v_fma_f64 v[190:191], v[192:193], v[188:189], v[190:191]
	v_dual_mov_b32 v128, v188 :: v_dual_mov_b32 v129, v189
	v_add_f64 v[2:3], v[2:3], -v[190:191]
.LBB93_136:
	s_or_b32 exec_lo, exec_lo, s3
	s_delay_alu instid0(SALU_CYCLE_1)
	s_mov_b32 s4, exec_lo
	s_waitcnt_vscnt null, 0x0
	s_barrier
	buffer_gl0_inv
	v_cmpx_eq_u32_e32 15, v242
	s_cbranch_execz .LBB93_143
; %bb.137:
	ds_store_2addr_b64 v243, v[124:125], v[126:127] offset1:1
	ds_store_2addr_b64 v244, v[120:121], v[122:123] offset0:32 offset1:33
	ds_store_2addr_b64 v244, v[116:117], v[118:119] offset0:34 offset1:35
	;; [unrolled: 1-line block ×31, first 2 shown]
	ds_load_2addr_b64 v[188:191], v243 offset1:1
	s_waitcnt lgkmcnt(0)
	v_cmp_neq_f64_e32 vcc_lo, 0, v[188:189]
	v_cmp_neq_f64_e64 s3, 0, v[190:191]
	s_delay_alu instid0(VALU_DEP_1) | instskip(NEXT) | instid1(SALU_CYCLE_1)
	s_or_b32 s3, vcc_lo, s3
	s_and_b32 exec_lo, exec_lo, s3
	s_cbranch_execz .LBB93_143
; %bb.138:
	v_cmp_gt_f64_e32 vcc_lo, 0, v[188:189]
	v_xor_b32_e32 v192, 0x80000000, v189
	v_xor_b32_e32 v194, 0x80000000, v191
	s_mov_b32 s3, exec_lo
                                        ; implicit-def: $vgpr196_vgpr197
	s_delay_alu instid0(VALU_DEP_2) | instskip(SKIP_4) | instid1(VALU_DEP_1)
	v_cndmask_b32_e32 v193, v189, v192, vcc_lo
	v_cndmask_b32_e32 v192, v188, v188, vcc_lo
	v_cmp_gt_f64_e32 vcc_lo, 0, v[190:191]
	v_cndmask_b32_e32 v195, v191, v194, vcc_lo
	v_cndmask_b32_e32 v194, v190, v190, vcc_lo
	v_cmpx_ngt_f64_e32 v[192:193], v[194:195]
	s_xor_b32 s3, exec_lo, s3
                                        ; implicit-def: $vgpr192_vgpr193_vgpr194_vgpr195
	s_cbranch_execz .LBB93_140
; %bb.139:
	v_div_scale_f64 v[192:193], null, v[190:191], v[190:191], v[188:189]
	v_div_scale_f64 v[198:199], vcc_lo, v[188:189], v[190:191], v[188:189]
	s_delay_alu instid0(VALU_DEP_2) | instskip(SKIP_2) | instid1(VALU_DEP_1)
	v_rcp_f64_e32 v[194:195], v[192:193]
	s_waitcnt_depctr 0xfff
	v_fma_f64 v[196:197], -v[192:193], v[194:195], 1.0
	v_fma_f64 v[194:195], v[194:195], v[196:197], v[194:195]
	s_delay_alu instid0(VALU_DEP_1) | instskip(NEXT) | instid1(VALU_DEP_1)
	v_fma_f64 v[196:197], -v[192:193], v[194:195], 1.0
	v_fma_f64 v[194:195], v[194:195], v[196:197], v[194:195]
	s_delay_alu instid0(VALU_DEP_1) | instskip(NEXT) | instid1(VALU_DEP_1)
	v_mul_f64 v[196:197], v[198:199], v[194:195]
	v_fma_f64 v[192:193], -v[192:193], v[196:197], v[198:199]
	s_delay_alu instid0(VALU_DEP_1) | instskip(NEXT) | instid1(VALU_DEP_1)
	v_div_fmas_f64 v[192:193], v[192:193], v[194:195], v[196:197]
	v_div_fixup_f64 v[192:193], v[192:193], v[190:191], v[188:189]
	s_delay_alu instid0(VALU_DEP_1) | instskip(NEXT) | instid1(VALU_DEP_1)
	v_fma_f64 v[188:189], v[188:189], v[192:193], v[190:191]
	v_div_scale_f64 v[190:191], null, v[188:189], v[188:189], 1.0
	s_delay_alu instid0(VALU_DEP_1) | instskip(SKIP_2) | instid1(VALU_DEP_1)
	v_rcp_f64_e32 v[194:195], v[190:191]
	s_waitcnt_depctr 0xfff
	v_fma_f64 v[196:197], -v[190:191], v[194:195], 1.0
	v_fma_f64 v[194:195], v[194:195], v[196:197], v[194:195]
	s_delay_alu instid0(VALU_DEP_1) | instskip(NEXT) | instid1(VALU_DEP_1)
	v_fma_f64 v[196:197], -v[190:191], v[194:195], 1.0
	v_fma_f64 v[194:195], v[194:195], v[196:197], v[194:195]
	v_div_scale_f64 v[196:197], vcc_lo, 1.0, v[188:189], 1.0
	s_delay_alu instid0(VALU_DEP_1) | instskip(NEXT) | instid1(VALU_DEP_1)
	v_mul_f64 v[198:199], v[196:197], v[194:195]
	v_fma_f64 v[190:191], -v[190:191], v[198:199], v[196:197]
	s_delay_alu instid0(VALU_DEP_1) | instskip(NEXT) | instid1(VALU_DEP_1)
	v_div_fmas_f64 v[190:191], v[190:191], v[194:195], v[198:199]
	v_div_fixup_f64 v[194:195], v[190:191], v[188:189], 1.0
                                        ; implicit-def: $vgpr188_vgpr189
	s_delay_alu instid0(VALU_DEP_1)
	v_mul_f64 v[196:197], v[192:193], v[194:195]
	v_xor_b32_e32 v195, 0x80000000, v195
.LBB93_140:
	s_and_not1_saveexec_b32 s3, s3
	s_cbranch_execz .LBB93_142
; %bb.141:
	v_div_scale_f64 v[192:193], null, v[188:189], v[188:189], v[190:191]
	v_div_scale_f64 v[198:199], vcc_lo, v[190:191], v[188:189], v[190:191]
	s_delay_alu instid0(VALU_DEP_2) | instskip(SKIP_2) | instid1(VALU_DEP_1)
	v_rcp_f64_e32 v[194:195], v[192:193]
	s_waitcnt_depctr 0xfff
	v_fma_f64 v[196:197], -v[192:193], v[194:195], 1.0
	v_fma_f64 v[194:195], v[194:195], v[196:197], v[194:195]
	s_delay_alu instid0(VALU_DEP_1) | instskip(NEXT) | instid1(VALU_DEP_1)
	v_fma_f64 v[196:197], -v[192:193], v[194:195], 1.0
	v_fma_f64 v[194:195], v[194:195], v[196:197], v[194:195]
	s_delay_alu instid0(VALU_DEP_1) | instskip(NEXT) | instid1(VALU_DEP_1)
	v_mul_f64 v[196:197], v[198:199], v[194:195]
	v_fma_f64 v[192:193], -v[192:193], v[196:197], v[198:199]
	s_delay_alu instid0(VALU_DEP_1) | instskip(NEXT) | instid1(VALU_DEP_1)
	v_div_fmas_f64 v[192:193], v[192:193], v[194:195], v[196:197]
	v_div_fixup_f64 v[192:193], v[192:193], v[188:189], v[190:191]
	s_delay_alu instid0(VALU_DEP_1) | instskip(NEXT) | instid1(VALU_DEP_1)
	v_fma_f64 v[188:189], v[190:191], v[192:193], v[188:189]
	v_div_scale_f64 v[190:191], null, v[188:189], v[188:189], 1.0
	s_delay_alu instid0(VALU_DEP_1) | instskip(SKIP_2) | instid1(VALU_DEP_1)
	v_rcp_f64_e32 v[194:195], v[190:191]
	s_waitcnt_depctr 0xfff
	v_fma_f64 v[196:197], -v[190:191], v[194:195], 1.0
	v_fma_f64 v[194:195], v[194:195], v[196:197], v[194:195]
	s_delay_alu instid0(VALU_DEP_1) | instskip(NEXT) | instid1(VALU_DEP_1)
	v_fma_f64 v[196:197], -v[190:191], v[194:195], 1.0
	v_fma_f64 v[194:195], v[194:195], v[196:197], v[194:195]
	v_div_scale_f64 v[196:197], vcc_lo, 1.0, v[188:189], 1.0
	s_delay_alu instid0(VALU_DEP_1) | instskip(NEXT) | instid1(VALU_DEP_1)
	v_mul_f64 v[198:199], v[196:197], v[194:195]
	v_fma_f64 v[190:191], -v[190:191], v[198:199], v[196:197]
	s_delay_alu instid0(VALU_DEP_1) | instskip(NEXT) | instid1(VALU_DEP_1)
	v_div_fmas_f64 v[190:191], v[190:191], v[194:195], v[198:199]
	v_div_fixup_f64 v[196:197], v[190:191], v[188:189], 1.0
	s_delay_alu instid0(VALU_DEP_1)
	v_mul_f64 v[194:195], v[192:193], -v[196:197]
.LBB93_142:
	s_or_b32 exec_lo, exec_lo, s3
	ds_store_2addr_b64 v243, v[196:197], v[194:195] offset1:1
.LBB93_143:
	s_or_b32 exec_lo, exec_lo, s4
	s_waitcnt lgkmcnt(0)
	s_barrier
	buffer_gl0_inv
	ds_load_2addr_b64 v[188:191], v243 offset1:1
	s_mov_b32 s3, exec_lo
	s_waitcnt lgkmcnt(0)
	scratch_store_b128 off, v[188:191], off offset:584 ; 16-byte Folded Spill
	v_cmpx_lt_u32_e32 15, v242
	s_cbranch_execz .LBB93_145
; %bb.144:
	scratch_load_b128 v[190:193], off, off offset:584 ; 16-byte Folded Reload
	s_waitcnt vmcnt(0)
	v_mul_f64 v[188:189], v[192:193], v[126:127]
	v_mul_f64 v[126:127], v[190:191], v[126:127]
	s_delay_alu instid0(VALU_DEP_2) | instskip(NEXT) | instid1(VALU_DEP_2)
	v_fma_f64 v[188:189], v[190:191], v[124:125], -v[188:189]
	v_fma_f64 v[126:127], v[192:193], v[124:125], v[126:127]
	ds_load_2addr_b64 v[190:193], v244 offset0:32 offset1:33
	s_waitcnt lgkmcnt(0)
	v_mul_f64 v[124:125], v[192:193], v[126:127]
	s_delay_alu instid0(VALU_DEP_1) | instskip(SKIP_1) | instid1(VALU_DEP_2)
	v_fma_f64 v[124:125], v[190:191], v[188:189], -v[124:125]
	v_mul_f64 v[190:191], v[190:191], v[126:127]
	v_add_f64 v[120:121], v[120:121], -v[124:125]
	s_delay_alu instid0(VALU_DEP_2) | instskip(NEXT) | instid1(VALU_DEP_1)
	v_fma_f64 v[190:191], v[192:193], v[188:189], v[190:191]
	v_add_f64 v[122:123], v[122:123], -v[190:191]
	ds_load_2addr_b64 v[190:193], v244 offset0:34 offset1:35
	s_waitcnt lgkmcnt(0)
	v_mul_f64 v[124:125], v[192:193], v[126:127]
	s_delay_alu instid0(VALU_DEP_1) | instskip(SKIP_1) | instid1(VALU_DEP_2)
	v_fma_f64 v[124:125], v[190:191], v[188:189], -v[124:125]
	v_mul_f64 v[190:191], v[190:191], v[126:127]
	v_add_f64 v[116:117], v[116:117], -v[124:125]
	s_delay_alu instid0(VALU_DEP_2) | instskip(NEXT) | instid1(VALU_DEP_1)
	v_fma_f64 v[190:191], v[192:193], v[188:189], v[190:191]
	v_add_f64 v[118:119], v[118:119], -v[190:191]
	;; [unrolled: 10-line block ×30, first 2 shown]
	ds_load_2addr_b64 v[190:193], v244 offset0:92 offset1:93
	s_waitcnt lgkmcnt(0)
	v_mul_f64 v[124:125], v[192:193], v[126:127]
	s_delay_alu instid0(VALU_DEP_1) | instskip(SKIP_1) | instid1(VALU_DEP_2)
	v_fma_f64 v[124:125], v[190:191], v[188:189], -v[124:125]
	v_mul_f64 v[190:191], v[190:191], v[126:127]
	v_add_f64 v[0:1], v[0:1], -v[124:125]
	s_delay_alu instid0(VALU_DEP_2) | instskip(SKIP_1) | instid1(VALU_DEP_2)
	v_fma_f64 v[190:191], v[192:193], v[188:189], v[190:191]
	v_dual_mov_b32 v124, v188 :: v_dual_mov_b32 v125, v189
	v_add_f64 v[2:3], v[2:3], -v[190:191]
.LBB93_145:
	s_or_b32 exec_lo, exec_lo, s3
	s_delay_alu instid0(SALU_CYCLE_1)
	s_mov_b32 s4, exec_lo
	s_waitcnt_vscnt null, 0x0
	s_barrier
	buffer_gl0_inv
	v_cmpx_eq_u32_e32 16, v242
	s_cbranch_execz .LBB93_152
; %bb.146:
	ds_store_2addr_b64 v243, v[120:121], v[122:123] offset1:1
	ds_store_2addr_b64 v244, v[116:117], v[118:119] offset0:34 offset1:35
	ds_store_2addr_b64 v244, v[112:113], v[114:115] offset0:36 offset1:37
	;; [unrolled: 1-line block ×30, first 2 shown]
	ds_load_2addr_b64 v[188:191], v243 offset1:1
	s_waitcnt lgkmcnt(0)
	v_cmp_neq_f64_e32 vcc_lo, 0, v[188:189]
	v_cmp_neq_f64_e64 s3, 0, v[190:191]
	s_delay_alu instid0(VALU_DEP_1) | instskip(NEXT) | instid1(SALU_CYCLE_1)
	s_or_b32 s3, vcc_lo, s3
	s_and_b32 exec_lo, exec_lo, s3
	s_cbranch_execz .LBB93_152
; %bb.147:
	v_cmp_gt_f64_e32 vcc_lo, 0, v[188:189]
	v_xor_b32_e32 v192, 0x80000000, v189
	v_xor_b32_e32 v194, 0x80000000, v191
	s_mov_b32 s3, exec_lo
                                        ; implicit-def: $vgpr196_vgpr197
	s_delay_alu instid0(VALU_DEP_2) | instskip(SKIP_4) | instid1(VALU_DEP_1)
	v_cndmask_b32_e32 v193, v189, v192, vcc_lo
	v_cndmask_b32_e32 v192, v188, v188, vcc_lo
	v_cmp_gt_f64_e32 vcc_lo, 0, v[190:191]
	v_cndmask_b32_e32 v195, v191, v194, vcc_lo
	v_cndmask_b32_e32 v194, v190, v190, vcc_lo
	v_cmpx_ngt_f64_e32 v[192:193], v[194:195]
	s_xor_b32 s3, exec_lo, s3
                                        ; implicit-def: $vgpr192_vgpr193_vgpr194_vgpr195
	s_cbranch_execz .LBB93_149
; %bb.148:
	v_div_scale_f64 v[192:193], null, v[190:191], v[190:191], v[188:189]
	v_div_scale_f64 v[198:199], vcc_lo, v[188:189], v[190:191], v[188:189]
	s_delay_alu instid0(VALU_DEP_2) | instskip(SKIP_2) | instid1(VALU_DEP_1)
	v_rcp_f64_e32 v[194:195], v[192:193]
	s_waitcnt_depctr 0xfff
	v_fma_f64 v[196:197], -v[192:193], v[194:195], 1.0
	v_fma_f64 v[194:195], v[194:195], v[196:197], v[194:195]
	s_delay_alu instid0(VALU_DEP_1) | instskip(NEXT) | instid1(VALU_DEP_1)
	v_fma_f64 v[196:197], -v[192:193], v[194:195], 1.0
	v_fma_f64 v[194:195], v[194:195], v[196:197], v[194:195]
	s_delay_alu instid0(VALU_DEP_1) | instskip(NEXT) | instid1(VALU_DEP_1)
	v_mul_f64 v[196:197], v[198:199], v[194:195]
	v_fma_f64 v[192:193], -v[192:193], v[196:197], v[198:199]
	s_delay_alu instid0(VALU_DEP_1) | instskip(NEXT) | instid1(VALU_DEP_1)
	v_div_fmas_f64 v[192:193], v[192:193], v[194:195], v[196:197]
	v_div_fixup_f64 v[192:193], v[192:193], v[190:191], v[188:189]
	s_delay_alu instid0(VALU_DEP_1) | instskip(NEXT) | instid1(VALU_DEP_1)
	v_fma_f64 v[188:189], v[188:189], v[192:193], v[190:191]
	v_div_scale_f64 v[190:191], null, v[188:189], v[188:189], 1.0
	s_delay_alu instid0(VALU_DEP_1) | instskip(SKIP_2) | instid1(VALU_DEP_1)
	v_rcp_f64_e32 v[194:195], v[190:191]
	s_waitcnt_depctr 0xfff
	v_fma_f64 v[196:197], -v[190:191], v[194:195], 1.0
	v_fma_f64 v[194:195], v[194:195], v[196:197], v[194:195]
	s_delay_alu instid0(VALU_DEP_1) | instskip(NEXT) | instid1(VALU_DEP_1)
	v_fma_f64 v[196:197], -v[190:191], v[194:195], 1.0
	v_fma_f64 v[194:195], v[194:195], v[196:197], v[194:195]
	v_div_scale_f64 v[196:197], vcc_lo, 1.0, v[188:189], 1.0
	s_delay_alu instid0(VALU_DEP_1) | instskip(NEXT) | instid1(VALU_DEP_1)
	v_mul_f64 v[198:199], v[196:197], v[194:195]
	v_fma_f64 v[190:191], -v[190:191], v[198:199], v[196:197]
	s_delay_alu instid0(VALU_DEP_1) | instskip(NEXT) | instid1(VALU_DEP_1)
	v_div_fmas_f64 v[190:191], v[190:191], v[194:195], v[198:199]
	v_div_fixup_f64 v[194:195], v[190:191], v[188:189], 1.0
                                        ; implicit-def: $vgpr188_vgpr189
	s_delay_alu instid0(VALU_DEP_1)
	v_mul_f64 v[196:197], v[192:193], v[194:195]
	v_xor_b32_e32 v195, 0x80000000, v195
.LBB93_149:
	s_and_not1_saveexec_b32 s3, s3
	s_cbranch_execz .LBB93_151
; %bb.150:
	v_div_scale_f64 v[192:193], null, v[188:189], v[188:189], v[190:191]
	v_div_scale_f64 v[198:199], vcc_lo, v[190:191], v[188:189], v[190:191]
	s_delay_alu instid0(VALU_DEP_2) | instskip(SKIP_2) | instid1(VALU_DEP_1)
	v_rcp_f64_e32 v[194:195], v[192:193]
	s_waitcnt_depctr 0xfff
	v_fma_f64 v[196:197], -v[192:193], v[194:195], 1.0
	v_fma_f64 v[194:195], v[194:195], v[196:197], v[194:195]
	s_delay_alu instid0(VALU_DEP_1) | instskip(NEXT) | instid1(VALU_DEP_1)
	v_fma_f64 v[196:197], -v[192:193], v[194:195], 1.0
	v_fma_f64 v[194:195], v[194:195], v[196:197], v[194:195]
	s_delay_alu instid0(VALU_DEP_1) | instskip(NEXT) | instid1(VALU_DEP_1)
	v_mul_f64 v[196:197], v[198:199], v[194:195]
	v_fma_f64 v[192:193], -v[192:193], v[196:197], v[198:199]
	s_delay_alu instid0(VALU_DEP_1) | instskip(NEXT) | instid1(VALU_DEP_1)
	v_div_fmas_f64 v[192:193], v[192:193], v[194:195], v[196:197]
	v_div_fixup_f64 v[192:193], v[192:193], v[188:189], v[190:191]
	s_delay_alu instid0(VALU_DEP_1) | instskip(NEXT) | instid1(VALU_DEP_1)
	v_fma_f64 v[188:189], v[190:191], v[192:193], v[188:189]
	v_div_scale_f64 v[190:191], null, v[188:189], v[188:189], 1.0
	s_delay_alu instid0(VALU_DEP_1) | instskip(SKIP_2) | instid1(VALU_DEP_1)
	v_rcp_f64_e32 v[194:195], v[190:191]
	s_waitcnt_depctr 0xfff
	v_fma_f64 v[196:197], -v[190:191], v[194:195], 1.0
	v_fma_f64 v[194:195], v[194:195], v[196:197], v[194:195]
	s_delay_alu instid0(VALU_DEP_1) | instskip(NEXT) | instid1(VALU_DEP_1)
	v_fma_f64 v[196:197], -v[190:191], v[194:195], 1.0
	v_fma_f64 v[194:195], v[194:195], v[196:197], v[194:195]
	v_div_scale_f64 v[196:197], vcc_lo, 1.0, v[188:189], 1.0
	s_delay_alu instid0(VALU_DEP_1) | instskip(NEXT) | instid1(VALU_DEP_1)
	v_mul_f64 v[198:199], v[196:197], v[194:195]
	v_fma_f64 v[190:191], -v[190:191], v[198:199], v[196:197]
	s_delay_alu instid0(VALU_DEP_1) | instskip(NEXT) | instid1(VALU_DEP_1)
	v_div_fmas_f64 v[190:191], v[190:191], v[194:195], v[198:199]
	v_div_fixup_f64 v[196:197], v[190:191], v[188:189], 1.0
	s_delay_alu instid0(VALU_DEP_1)
	v_mul_f64 v[194:195], v[192:193], -v[196:197]
.LBB93_151:
	s_or_b32 exec_lo, exec_lo, s3
	ds_store_2addr_b64 v243, v[196:197], v[194:195] offset1:1
.LBB93_152:
	s_or_b32 exec_lo, exec_lo, s4
	s_waitcnt lgkmcnt(0)
	s_barrier
	buffer_gl0_inv
	ds_load_2addr_b64 v[188:191], v243 offset1:1
	s_mov_b32 s3, exec_lo
	s_waitcnt lgkmcnt(0)
	scratch_store_b128 off, v[188:191], off offset:600 ; 16-byte Folded Spill
	v_cmpx_lt_u32_e32 16, v242
	s_cbranch_execz .LBB93_154
; %bb.153:
	scratch_load_b128 v[190:193], off, off offset:600 ; 16-byte Folded Reload
	s_waitcnt vmcnt(0)
	v_mul_f64 v[188:189], v[192:193], v[122:123]
	v_mul_f64 v[122:123], v[190:191], v[122:123]
	s_delay_alu instid0(VALU_DEP_2) | instskip(NEXT) | instid1(VALU_DEP_2)
	v_fma_f64 v[188:189], v[190:191], v[120:121], -v[188:189]
	v_fma_f64 v[122:123], v[192:193], v[120:121], v[122:123]
	ds_load_2addr_b64 v[190:193], v244 offset0:34 offset1:35
	s_waitcnt lgkmcnt(0)
	v_mul_f64 v[120:121], v[192:193], v[122:123]
	s_delay_alu instid0(VALU_DEP_1) | instskip(SKIP_1) | instid1(VALU_DEP_2)
	v_fma_f64 v[120:121], v[190:191], v[188:189], -v[120:121]
	v_mul_f64 v[190:191], v[190:191], v[122:123]
	v_add_f64 v[116:117], v[116:117], -v[120:121]
	s_delay_alu instid0(VALU_DEP_2) | instskip(NEXT) | instid1(VALU_DEP_1)
	v_fma_f64 v[190:191], v[192:193], v[188:189], v[190:191]
	v_add_f64 v[118:119], v[118:119], -v[190:191]
	ds_load_2addr_b64 v[190:193], v244 offset0:36 offset1:37
	s_waitcnt lgkmcnt(0)
	v_mul_f64 v[120:121], v[192:193], v[122:123]
	s_delay_alu instid0(VALU_DEP_1) | instskip(SKIP_1) | instid1(VALU_DEP_2)
	v_fma_f64 v[120:121], v[190:191], v[188:189], -v[120:121]
	v_mul_f64 v[190:191], v[190:191], v[122:123]
	v_add_f64 v[112:113], v[112:113], -v[120:121]
	s_delay_alu instid0(VALU_DEP_2) | instskip(NEXT) | instid1(VALU_DEP_1)
	v_fma_f64 v[190:191], v[192:193], v[188:189], v[190:191]
	v_add_f64 v[114:115], v[114:115], -v[190:191]
	;; [unrolled: 10-line block ×29, first 2 shown]
	ds_load_2addr_b64 v[190:193], v244 offset0:92 offset1:93
	s_waitcnt lgkmcnt(0)
	v_mul_f64 v[120:121], v[192:193], v[122:123]
	s_delay_alu instid0(VALU_DEP_1) | instskip(SKIP_1) | instid1(VALU_DEP_2)
	v_fma_f64 v[120:121], v[190:191], v[188:189], -v[120:121]
	v_mul_f64 v[190:191], v[190:191], v[122:123]
	v_add_f64 v[0:1], v[0:1], -v[120:121]
	s_delay_alu instid0(VALU_DEP_2) | instskip(SKIP_1) | instid1(VALU_DEP_2)
	v_fma_f64 v[190:191], v[192:193], v[188:189], v[190:191]
	v_dual_mov_b32 v120, v188 :: v_dual_mov_b32 v121, v189
	v_add_f64 v[2:3], v[2:3], -v[190:191]
.LBB93_154:
	s_or_b32 exec_lo, exec_lo, s3
	s_delay_alu instid0(SALU_CYCLE_1)
	s_mov_b32 s4, exec_lo
	s_waitcnt_vscnt null, 0x0
	s_barrier
	buffer_gl0_inv
	v_cmpx_eq_u32_e32 17, v242
	s_cbranch_execz .LBB93_161
; %bb.155:
	ds_store_2addr_b64 v243, v[116:117], v[118:119] offset1:1
	ds_store_2addr_b64 v244, v[112:113], v[114:115] offset0:36 offset1:37
	ds_store_2addr_b64 v244, v[108:109], v[110:111] offset0:38 offset1:39
	;; [unrolled: 1-line block ×29, first 2 shown]
	ds_load_2addr_b64 v[188:191], v243 offset1:1
	s_waitcnt lgkmcnt(0)
	v_cmp_neq_f64_e32 vcc_lo, 0, v[188:189]
	v_cmp_neq_f64_e64 s3, 0, v[190:191]
	s_delay_alu instid0(VALU_DEP_1) | instskip(NEXT) | instid1(SALU_CYCLE_1)
	s_or_b32 s3, vcc_lo, s3
	s_and_b32 exec_lo, exec_lo, s3
	s_cbranch_execz .LBB93_161
; %bb.156:
	v_cmp_gt_f64_e32 vcc_lo, 0, v[188:189]
	v_xor_b32_e32 v192, 0x80000000, v189
	v_xor_b32_e32 v194, 0x80000000, v191
	s_mov_b32 s3, exec_lo
                                        ; implicit-def: $vgpr196_vgpr197
	s_delay_alu instid0(VALU_DEP_2) | instskip(SKIP_4) | instid1(VALU_DEP_1)
	v_cndmask_b32_e32 v193, v189, v192, vcc_lo
	v_cndmask_b32_e32 v192, v188, v188, vcc_lo
	v_cmp_gt_f64_e32 vcc_lo, 0, v[190:191]
	v_cndmask_b32_e32 v195, v191, v194, vcc_lo
	v_cndmask_b32_e32 v194, v190, v190, vcc_lo
	v_cmpx_ngt_f64_e32 v[192:193], v[194:195]
	s_xor_b32 s3, exec_lo, s3
                                        ; implicit-def: $vgpr192_vgpr193_vgpr194_vgpr195
	s_cbranch_execz .LBB93_158
; %bb.157:
	v_div_scale_f64 v[192:193], null, v[190:191], v[190:191], v[188:189]
	v_div_scale_f64 v[198:199], vcc_lo, v[188:189], v[190:191], v[188:189]
	s_delay_alu instid0(VALU_DEP_2) | instskip(SKIP_2) | instid1(VALU_DEP_1)
	v_rcp_f64_e32 v[194:195], v[192:193]
	s_waitcnt_depctr 0xfff
	v_fma_f64 v[196:197], -v[192:193], v[194:195], 1.0
	v_fma_f64 v[194:195], v[194:195], v[196:197], v[194:195]
	s_delay_alu instid0(VALU_DEP_1) | instskip(NEXT) | instid1(VALU_DEP_1)
	v_fma_f64 v[196:197], -v[192:193], v[194:195], 1.0
	v_fma_f64 v[194:195], v[194:195], v[196:197], v[194:195]
	s_delay_alu instid0(VALU_DEP_1) | instskip(NEXT) | instid1(VALU_DEP_1)
	v_mul_f64 v[196:197], v[198:199], v[194:195]
	v_fma_f64 v[192:193], -v[192:193], v[196:197], v[198:199]
	s_delay_alu instid0(VALU_DEP_1) | instskip(NEXT) | instid1(VALU_DEP_1)
	v_div_fmas_f64 v[192:193], v[192:193], v[194:195], v[196:197]
	v_div_fixup_f64 v[192:193], v[192:193], v[190:191], v[188:189]
	s_delay_alu instid0(VALU_DEP_1) | instskip(NEXT) | instid1(VALU_DEP_1)
	v_fma_f64 v[188:189], v[188:189], v[192:193], v[190:191]
	v_div_scale_f64 v[190:191], null, v[188:189], v[188:189], 1.0
	s_delay_alu instid0(VALU_DEP_1) | instskip(SKIP_2) | instid1(VALU_DEP_1)
	v_rcp_f64_e32 v[194:195], v[190:191]
	s_waitcnt_depctr 0xfff
	v_fma_f64 v[196:197], -v[190:191], v[194:195], 1.0
	v_fma_f64 v[194:195], v[194:195], v[196:197], v[194:195]
	s_delay_alu instid0(VALU_DEP_1) | instskip(NEXT) | instid1(VALU_DEP_1)
	v_fma_f64 v[196:197], -v[190:191], v[194:195], 1.0
	v_fma_f64 v[194:195], v[194:195], v[196:197], v[194:195]
	v_div_scale_f64 v[196:197], vcc_lo, 1.0, v[188:189], 1.0
	s_delay_alu instid0(VALU_DEP_1) | instskip(NEXT) | instid1(VALU_DEP_1)
	v_mul_f64 v[198:199], v[196:197], v[194:195]
	v_fma_f64 v[190:191], -v[190:191], v[198:199], v[196:197]
	s_delay_alu instid0(VALU_DEP_1) | instskip(NEXT) | instid1(VALU_DEP_1)
	v_div_fmas_f64 v[190:191], v[190:191], v[194:195], v[198:199]
	v_div_fixup_f64 v[194:195], v[190:191], v[188:189], 1.0
                                        ; implicit-def: $vgpr188_vgpr189
	s_delay_alu instid0(VALU_DEP_1)
	v_mul_f64 v[196:197], v[192:193], v[194:195]
	v_xor_b32_e32 v195, 0x80000000, v195
.LBB93_158:
	s_and_not1_saveexec_b32 s3, s3
	s_cbranch_execz .LBB93_160
; %bb.159:
	v_div_scale_f64 v[192:193], null, v[188:189], v[188:189], v[190:191]
	v_div_scale_f64 v[198:199], vcc_lo, v[190:191], v[188:189], v[190:191]
	s_delay_alu instid0(VALU_DEP_2) | instskip(SKIP_2) | instid1(VALU_DEP_1)
	v_rcp_f64_e32 v[194:195], v[192:193]
	s_waitcnt_depctr 0xfff
	v_fma_f64 v[196:197], -v[192:193], v[194:195], 1.0
	v_fma_f64 v[194:195], v[194:195], v[196:197], v[194:195]
	s_delay_alu instid0(VALU_DEP_1) | instskip(NEXT) | instid1(VALU_DEP_1)
	v_fma_f64 v[196:197], -v[192:193], v[194:195], 1.0
	v_fma_f64 v[194:195], v[194:195], v[196:197], v[194:195]
	s_delay_alu instid0(VALU_DEP_1) | instskip(NEXT) | instid1(VALU_DEP_1)
	v_mul_f64 v[196:197], v[198:199], v[194:195]
	v_fma_f64 v[192:193], -v[192:193], v[196:197], v[198:199]
	s_delay_alu instid0(VALU_DEP_1) | instskip(NEXT) | instid1(VALU_DEP_1)
	v_div_fmas_f64 v[192:193], v[192:193], v[194:195], v[196:197]
	v_div_fixup_f64 v[192:193], v[192:193], v[188:189], v[190:191]
	s_delay_alu instid0(VALU_DEP_1) | instskip(NEXT) | instid1(VALU_DEP_1)
	v_fma_f64 v[188:189], v[190:191], v[192:193], v[188:189]
	v_div_scale_f64 v[190:191], null, v[188:189], v[188:189], 1.0
	s_delay_alu instid0(VALU_DEP_1) | instskip(SKIP_2) | instid1(VALU_DEP_1)
	v_rcp_f64_e32 v[194:195], v[190:191]
	s_waitcnt_depctr 0xfff
	v_fma_f64 v[196:197], -v[190:191], v[194:195], 1.0
	v_fma_f64 v[194:195], v[194:195], v[196:197], v[194:195]
	s_delay_alu instid0(VALU_DEP_1) | instskip(NEXT) | instid1(VALU_DEP_1)
	v_fma_f64 v[196:197], -v[190:191], v[194:195], 1.0
	v_fma_f64 v[194:195], v[194:195], v[196:197], v[194:195]
	v_div_scale_f64 v[196:197], vcc_lo, 1.0, v[188:189], 1.0
	s_delay_alu instid0(VALU_DEP_1) | instskip(NEXT) | instid1(VALU_DEP_1)
	v_mul_f64 v[198:199], v[196:197], v[194:195]
	v_fma_f64 v[190:191], -v[190:191], v[198:199], v[196:197]
	s_delay_alu instid0(VALU_DEP_1) | instskip(NEXT) | instid1(VALU_DEP_1)
	v_div_fmas_f64 v[190:191], v[190:191], v[194:195], v[198:199]
	v_div_fixup_f64 v[196:197], v[190:191], v[188:189], 1.0
	s_delay_alu instid0(VALU_DEP_1)
	v_mul_f64 v[194:195], v[192:193], -v[196:197]
.LBB93_160:
	s_or_b32 exec_lo, exec_lo, s3
	ds_store_2addr_b64 v243, v[196:197], v[194:195] offset1:1
.LBB93_161:
	s_or_b32 exec_lo, exec_lo, s4
	s_waitcnt lgkmcnt(0)
	s_barrier
	buffer_gl0_inv
	ds_load_2addr_b64 v[188:191], v243 offset1:1
	s_mov_b32 s3, exec_lo
	s_waitcnt lgkmcnt(0)
	scratch_store_b128 off, v[188:191], off offset:616 ; 16-byte Folded Spill
	v_cmpx_lt_u32_e32 17, v242
	s_cbranch_execz .LBB93_163
; %bb.162:
	scratch_load_b128 v[190:193], off, off offset:616 ; 16-byte Folded Reload
	s_waitcnt vmcnt(0)
	v_mul_f64 v[188:189], v[192:193], v[118:119]
	v_mul_f64 v[118:119], v[190:191], v[118:119]
	s_delay_alu instid0(VALU_DEP_2) | instskip(NEXT) | instid1(VALU_DEP_2)
	v_fma_f64 v[188:189], v[190:191], v[116:117], -v[188:189]
	v_fma_f64 v[118:119], v[192:193], v[116:117], v[118:119]
	ds_load_2addr_b64 v[190:193], v244 offset0:36 offset1:37
	s_waitcnt lgkmcnt(0)
	v_mul_f64 v[116:117], v[192:193], v[118:119]
	s_delay_alu instid0(VALU_DEP_1) | instskip(SKIP_1) | instid1(VALU_DEP_2)
	v_fma_f64 v[116:117], v[190:191], v[188:189], -v[116:117]
	v_mul_f64 v[190:191], v[190:191], v[118:119]
	v_add_f64 v[112:113], v[112:113], -v[116:117]
	s_delay_alu instid0(VALU_DEP_2) | instskip(NEXT) | instid1(VALU_DEP_1)
	v_fma_f64 v[190:191], v[192:193], v[188:189], v[190:191]
	v_add_f64 v[114:115], v[114:115], -v[190:191]
	ds_load_2addr_b64 v[190:193], v244 offset0:38 offset1:39
	s_waitcnt lgkmcnt(0)
	v_mul_f64 v[116:117], v[192:193], v[118:119]
	s_delay_alu instid0(VALU_DEP_1) | instskip(SKIP_1) | instid1(VALU_DEP_2)
	v_fma_f64 v[116:117], v[190:191], v[188:189], -v[116:117]
	v_mul_f64 v[190:191], v[190:191], v[118:119]
	v_add_f64 v[108:109], v[108:109], -v[116:117]
	s_delay_alu instid0(VALU_DEP_2) | instskip(NEXT) | instid1(VALU_DEP_1)
	v_fma_f64 v[190:191], v[192:193], v[188:189], v[190:191]
	v_add_f64 v[110:111], v[110:111], -v[190:191]
	;; [unrolled: 10-line block ×28, first 2 shown]
	ds_load_2addr_b64 v[190:193], v244 offset0:92 offset1:93
	s_waitcnt lgkmcnt(0)
	v_mul_f64 v[116:117], v[192:193], v[118:119]
	s_delay_alu instid0(VALU_DEP_1) | instskip(SKIP_1) | instid1(VALU_DEP_2)
	v_fma_f64 v[116:117], v[190:191], v[188:189], -v[116:117]
	v_mul_f64 v[190:191], v[190:191], v[118:119]
	v_add_f64 v[0:1], v[0:1], -v[116:117]
	s_delay_alu instid0(VALU_DEP_2) | instskip(SKIP_1) | instid1(VALU_DEP_2)
	v_fma_f64 v[190:191], v[192:193], v[188:189], v[190:191]
	v_dual_mov_b32 v116, v188 :: v_dual_mov_b32 v117, v189
	v_add_f64 v[2:3], v[2:3], -v[190:191]
.LBB93_163:
	s_or_b32 exec_lo, exec_lo, s3
	s_delay_alu instid0(SALU_CYCLE_1)
	s_mov_b32 s4, exec_lo
	s_waitcnt_vscnt null, 0x0
	s_barrier
	buffer_gl0_inv
	v_cmpx_eq_u32_e32 18, v242
	s_cbranch_execz .LBB93_170
; %bb.164:
	ds_store_2addr_b64 v243, v[112:113], v[114:115] offset1:1
	ds_store_2addr_b64 v244, v[108:109], v[110:111] offset0:38 offset1:39
	ds_store_2addr_b64 v244, v[104:105], v[106:107] offset0:40 offset1:41
	;; [unrolled: 1-line block ×28, first 2 shown]
	ds_load_2addr_b64 v[188:191], v243 offset1:1
	s_waitcnt lgkmcnt(0)
	v_cmp_neq_f64_e32 vcc_lo, 0, v[188:189]
	v_cmp_neq_f64_e64 s3, 0, v[190:191]
	s_delay_alu instid0(VALU_DEP_1) | instskip(NEXT) | instid1(SALU_CYCLE_1)
	s_or_b32 s3, vcc_lo, s3
	s_and_b32 exec_lo, exec_lo, s3
	s_cbranch_execz .LBB93_170
; %bb.165:
	v_cmp_gt_f64_e32 vcc_lo, 0, v[188:189]
	v_xor_b32_e32 v192, 0x80000000, v189
	v_xor_b32_e32 v194, 0x80000000, v191
	s_mov_b32 s3, exec_lo
                                        ; implicit-def: $vgpr196_vgpr197
	s_delay_alu instid0(VALU_DEP_2) | instskip(SKIP_4) | instid1(VALU_DEP_1)
	v_cndmask_b32_e32 v193, v189, v192, vcc_lo
	v_cndmask_b32_e32 v192, v188, v188, vcc_lo
	v_cmp_gt_f64_e32 vcc_lo, 0, v[190:191]
	v_cndmask_b32_e32 v195, v191, v194, vcc_lo
	v_cndmask_b32_e32 v194, v190, v190, vcc_lo
	v_cmpx_ngt_f64_e32 v[192:193], v[194:195]
	s_xor_b32 s3, exec_lo, s3
                                        ; implicit-def: $vgpr192_vgpr193_vgpr194_vgpr195
	s_cbranch_execz .LBB93_167
; %bb.166:
	v_div_scale_f64 v[192:193], null, v[190:191], v[190:191], v[188:189]
	v_div_scale_f64 v[198:199], vcc_lo, v[188:189], v[190:191], v[188:189]
	s_delay_alu instid0(VALU_DEP_2) | instskip(SKIP_2) | instid1(VALU_DEP_1)
	v_rcp_f64_e32 v[194:195], v[192:193]
	s_waitcnt_depctr 0xfff
	v_fma_f64 v[196:197], -v[192:193], v[194:195], 1.0
	v_fma_f64 v[194:195], v[194:195], v[196:197], v[194:195]
	s_delay_alu instid0(VALU_DEP_1) | instskip(NEXT) | instid1(VALU_DEP_1)
	v_fma_f64 v[196:197], -v[192:193], v[194:195], 1.0
	v_fma_f64 v[194:195], v[194:195], v[196:197], v[194:195]
	s_delay_alu instid0(VALU_DEP_1) | instskip(NEXT) | instid1(VALU_DEP_1)
	v_mul_f64 v[196:197], v[198:199], v[194:195]
	v_fma_f64 v[192:193], -v[192:193], v[196:197], v[198:199]
	s_delay_alu instid0(VALU_DEP_1) | instskip(NEXT) | instid1(VALU_DEP_1)
	v_div_fmas_f64 v[192:193], v[192:193], v[194:195], v[196:197]
	v_div_fixup_f64 v[192:193], v[192:193], v[190:191], v[188:189]
	s_delay_alu instid0(VALU_DEP_1) | instskip(NEXT) | instid1(VALU_DEP_1)
	v_fma_f64 v[188:189], v[188:189], v[192:193], v[190:191]
	v_div_scale_f64 v[190:191], null, v[188:189], v[188:189], 1.0
	s_delay_alu instid0(VALU_DEP_1) | instskip(SKIP_2) | instid1(VALU_DEP_1)
	v_rcp_f64_e32 v[194:195], v[190:191]
	s_waitcnt_depctr 0xfff
	v_fma_f64 v[196:197], -v[190:191], v[194:195], 1.0
	v_fma_f64 v[194:195], v[194:195], v[196:197], v[194:195]
	s_delay_alu instid0(VALU_DEP_1) | instskip(NEXT) | instid1(VALU_DEP_1)
	v_fma_f64 v[196:197], -v[190:191], v[194:195], 1.0
	v_fma_f64 v[194:195], v[194:195], v[196:197], v[194:195]
	v_div_scale_f64 v[196:197], vcc_lo, 1.0, v[188:189], 1.0
	s_delay_alu instid0(VALU_DEP_1) | instskip(NEXT) | instid1(VALU_DEP_1)
	v_mul_f64 v[198:199], v[196:197], v[194:195]
	v_fma_f64 v[190:191], -v[190:191], v[198:199], v[196:197]
	s_delay_alu instid0(VALU_DEP_1) | instskip(NEXT) | instid1(VALU_DEP_1)
	v_div_fmas_f64 v[190:191], v[190:191], v[194:195], v[198:199]
	v_div_fixup_f64 v[194:195], v[190:191], v[188:189], 1.0
                                        ; implicit-def: $vgpr188_vgpr189
	s_delay_alu instid0(VALU_DEP_1)
	v_mul_f64 v[196:197], v[192:193], v[194:195]
	v_xor_b32_e32 v195, 0x80000000, v195
.LBB93_167:
	s_and_not1_saveexec_b32 s3, s3
	s_cbranch_execz .LBB93_169
; %bb.168:
	v_div_scale_f64 v[192:193], null, v[188:189], v[188:189], v[190:191]
	v_div_scale_f64 v[198:199], vcc_lo, v[190:191], v[188:189], v[190:191]
	s_delay_alu instid0(VALU_DEP_2) | instskip(SKIP_2) | instid1(VALU_DEP_1)
	v_rcp_f64_e32 v[194:195], v[192:193]
	s_waitcnt_depctr 0xfff
	v_fma_f64 v[196:197], -v[192:193], v[194:195], 1.0
	v_fma_f64 v[194:195], v[194:195], v[196:197], v[194:195]
	s_delay_alu instid0(VALU_DEP_1) | instskip(NEXT) | instid1(VALU_DEP_1)
	v_fma_f64 v[196:197], -v[192:193], v[194:195], 1.0
	v_fma_f64 v[194:195], v[194:195], v[196:197], v[194:195]
	s_delay_alu instid0(VALU_DEP_1) | instskip(NEXT) | instid1(VALU_DEP_1)
	v_mul_f64 v[196:197], v[198:199], v[194:195]
	v_fma_f64 v[192:193], -v[192:193], v[196:197], v[198:199]
	s_delay_alu instid0(VALU_DEP_1) | instskip(NEXT) | instid1(VALU_DEP_1)
	v_div_fmas_f64 v[192:193], v[192:193], v[194:195], v[196:197]
	v_div_fixup_f64 v[192:193], v[192:193], v[188:189], v[190:191]
	s_delay_alu instid0(VALU_DEP_1) | instskip(NEXT) | instid1(VALU_DEP_1)
	v_fma_f64 v[188:189], v[190:191], v[192:193], v[188:189]
	v_div_scale_f64 v[190:191], null, v[188:189], v[188:189], 1.0
	s_delay_alu instid0(VALU_DEP_1) | instskip(SKIP_2) | instid1(VALU_DEP_1)
	v_rcp_f64_e32 v[194:195], v[190:191]
	s_waitcnt_depctr 0xfff
	v_fma_f64 v[196:197], -v[190:191], v[194:195], 1.0
	v_fma_f64 v[194:195], v[194:195], v[196:197], v[194:195]
	s_delay_alu instid0(VALU_DEP_1) | instskip(NEXT) | instid1(VALU_DEP_1)
	v_fma_f64 v[196:197], -v[190:191], v[194:195], 1.0
	v_fma_f64 v[194:195], v[194:195], v[196:197], v[194:195]
	v_div_scale_f64 v[196:197], vcc_lo, 1.0, v[188:189], 1.0
	s_delay_alu instid0(VALU_DEP_1) | instskip(NEXT) | instid1(VALU_DEP_1)
	v_mul_f64 v[198:199], v[196:197], v[194:195]
	v_fma_f64 v[190:191], -v[190:191], v[198:199], v[196:197]
	s_delay_alu instid0(VALU_DEP_1) | instskip(NEXT) | instid1(VALU_DEP_1)
	v_div_fmas_f64 v[190:191], v[190:191], v[194:195], v[198:199]
	v_div_fixup_f64 v[196:197], v[190:191], v[188:189], 1.0
	s_delay_alu instid0(VALU_DEP_1)
	v_mul_f64 v[194:195], v[192:193], -v[196:197]
.LBB93_169:
	s_or_b32 exec_lo, exec_lo, s3
	ds_store_2addr_b64 v243, v[196:197], v[194:195] offset1:1
.LBB93_170:
	s_or_b32 exec_lo, exec_lo, s4
	s_waitcnt lgkmcnt(0)
	s_barrier
	buffer_gl0_inv
	ds_load_2addr_b64 v[188:191], v243 offset1:1
	s_mov_b32 s3, exec_lo
	s_waitcnt lgkmcnt(0)
	scratch_store_b128 off, v[188:191], off offset:632 ; 16-byte Folded Spill
	v_cmpx_lt_u32_e32 18, v242
	s_cbranch_execz .LBB93_172
; %bb.171:
	scratch_load_b128 v[190:193], off, off offset:632 ; 16-byte Folded Reload
	s_waitcnt vmcnt(0)
	v_mul_f64 v[188:189], v[192:193], v[114:115]
	v_mul_f64 v[114:115], v[190:191], v[114:115]
	s_delay_alu instid0(VALU_DEP_2) | instskip(NEXT) | instid1(VALU_DEP_2)
	v_fma_f64 v[188:189], v[190:191], v[112:113], -v[188:189]
	v_fma_f64 v[114:115], v[192:193], v[112:113], v[114:115]
	ds_load_2addr_b64 v[190:193], v244 offset0:38 offset1:39
	s_waitcnt lgkmcnt(0)
	v_mul_f64 v[112:113], v[192:193], v[114:115]
	s_delay_alu instid0(VALU_DEP_1) | instskip(SKIP_1) | instid1(VALU_DEP_2)
	v_fma_f64 v[112:113], v[190:191], v[188:189], -v[112:113]
	v_mul_f64 v[190:191], v[190:191], v[114:115]
	v_add_f64 v[108:109], v[108:109], -v[112:113]
	s_delay_alu instid0(VALU_DEP_2) | instskip(NEXT) | instid1(VALU_DEP_1)
	v_fma_f64 v[190:191], v[192:193], v[188:189], v[190:191]
	v_add_f64 v[110:111], v[110:111], -v[190:191]
	ds_load_2addr_b64 v[190:193], v244 offset0:40 offset1:41
	s_waitcnt lgkmcnt(0)
	v_mul_f64 v[112:113], v[192:193], v[114:115]
	s_delay_alu instid0(VALU_DEP_1) | instskip(SKIP_1) | instid1(VALU_DEP_2)
	v_fma_f64 v[112:113], v[190:191], v[188:189], -v[112:113]
	v_mul_f64 v[190:191], v[190:191], v[114:115]
	v_add_f64 v[104:105], v[104:105], -v[112:113]
	s_delay_alu instid0(VALU_DEP_2) | instskip(NEXT) | instid1(VALU_DEP_1)
	v_fma_f64 v[190:191], v[192:193], v[188:189], v[190:191]
	v_add_f64 v[106:107], v[106:107], -v[190:191]
	;; [unrolled: 10-line block ×27, first 2 shown]
	ds_load_2addr_b64 v[190:193], v244 offset0:92 offset1:93
	s_waitcnt lgkmcnt(0)
	v_mul_f64 v[112:113], v[192:193], v[114:115]
	s_delay_alu instid0(VALU_DEP_1) | instskip(SKIP_1) | instid1(VALU_DEP_2)
	v_fma_f64 v[112:113], v[190:191], v[188:189], -v[112:113]
	v_mul_f64 v[190:191], v[190:191], v[114:115]
	v_add_f64 v[0:1], v[0:1], -v[112:113]
	s_delay_alu instid0(VALU_DEP_2) | instskip(SKIP_1) | instid1(VALU_DEP_2)
	v_fma_f64 v[190:191], v[192:193], v[188:189], v[190:191]
	v_dual_mov_b32 v112, v188 :: v_dual_mov_b32 v113, v189
	v_add_f64 v[2:3], v[2:3], -v[190:191]
.LBB93_172:
	s_or_b32 exec_lo, exec_lo, s3
	s_delay_alu instid0(SALU_CYCLE_1)
	s_mov_b32 s4, exec_lo
	s_waitcnt_vscnt null, 0x0
	s_barrier
	buffer_gl0_inv
	v_cmpx_eq_u32_e32 19, v242
	s_cbranch_execz .LBB93_179
; %bb.173:
	ds_store_2addr_b64 v243, v[108:109], v[110:111] offset1:1
	ds_store_2addr_b64 v244, v[104:105], v[106:107] offset0:40 offset1:41
	ds_store_2addr_b64 v244, v[100:101], v[102:103] offset0:42 offset1:43
	;; [unrolled: 1-line block ×27, first 2 shown]
	ds_load_2addr_b64 v[188:191], v243 offset1:1
	s_waitcnt lgkmcnt(0)
	v_cmp_neq_f64_e32 vcc_lo, 0, v[188:189]
	v_cmp_neq_f64_e64 s3, 0, v[190:191]
	s_delay_alu instid0(VALU_DEP_1) | instskip(NEXT) | instid1(SALU_CYCLE_1)
	s_or_b32 s3, vcc_lo, s3
	s_and_b32 exec_lo, exec_lo, s3
	s_cbranch_execz .LBB93_179
; %bb.174:
	v_cmp_gt_f64_e32 vcc_lo, 0, v[188:189]
	v_xor_b32_e32 v192, 0x80000000, v189
	v_xor_b32_e32 v194, 0x80000000, v191
	s_mov_b32 s3, exec_lo
                                        ; implicit-def: $vgpr196_vgpr197
	s_delay_alu instid0(VALU_DEP_2) | instskip(SKIP_4) | instid1(VALU_DEP_1)
	v_cndmask_b32_e32 v193, v189, v192, vcc_lo
	v_cndmask_b32_e32 v192, v188, v188, vcc_lo
	v_cmp_gt_f64_e32 vcc_lo, 0, v[190:191]
	v_cndmask_b32_e32 v195, v191, v194, vcc_lo
	v_cndmask_b32_e32 v194, v190, v190, vcc_lo
	v_cmpx_ngt_f64_e32 v[192:193], v[194:195]
	s_xor_b32 s3, exec_lo, s3
                                        ; implicit-def: $vgpr192_vgpr193_vgpr194_vgpr195
	s_cbranch_execz .LBB93_176
; %bb.175:
	v_div_scale_f64 v[192:193], null, v[190:191], v[190:191], v[188:189]
	v_div_scale_f64 v[198:199], vcc_lo, v[188:189], v[190:191], v[188:189]
	s_delay_alu instid0(VALU_DEP_2) | instskip(SKIP_2) | instid1(VALU_DEP_1)
	v_rcp_f64_e32 v[194:195], v[192:193]
	s_waitcnt_depctr 0xfff
	v_fma_f64 v[196:197], -v[192:193], v[194:195], 1.0
	v_fma_f64 v[194:195], v[194:195], v[196:197], v[194:195]
	s_delay_alu instid0(VALU_DEP_1) | instskip(NEXT) | instid1(VALU_DEP_1)
	v_fma_f64 v[196:197], -v[192:193], v[194:195], 1.0
	v_fma_f64 v[194:195], v[194:195], v[196:197], v[194:195]
	s_delay_alu instid0(VALU_DEP_1) | instskip(NEXT) | instid1(VALU_DEP_1)
	v_mul_f64 v[196:197], v[198:199], v[194:195]
	v_fma_f64 v[192:193], -v[192:193], v[196:197], v[198:199]
	s_delay_alu instid0(VALU_DEP_1) | instskip(NEXT) | instid1(VALU_DEP_1)
	v_div_fmas_f64 v[192:193], v[192:193], v[194:195], v[196:197]
	v_div_fixup_f64 v[192:193], v[192:193], v[190:191], v[188:189]
	s_delay_alu instid0(VALU_DEP_1) | instskip(NEXT) | instid1(VALU_DEP_1)
	v_fma_f64 v[188:189], v[188:189], v[192:193], v[190:191]
	v_div_scale_f64 v[190:191], null, v[188:189], v[188:189], 1.0
	s_delay_alu instid0(VALU_DEP_1) | instskip(SKIP_2) | instid1(VALU_DEP_1)
	v_rcp_f64_e32 v[194:195], v[190:191]
	s_waitcnt_depctr 0xfff
	v_fma_f64 v[196:197], -v[190:191], v[194:195], 1.0
	v_fma_f64 v[194:195], v[194:195], v[196:197], v[194:195]
	s_delay_alu instid0(VALU_DEP_1) | instskip(NEXT) | instid1(VALU_DEP_1)
	v_fma_f64 v[196:197], -v[190:191], v[194:195], 1.0
	v_fma_f64 v[194:195], v[194:195], v[196:197], v[194:195]
	v_div_scale_f64 v[196:197], vcc_lo, 1.0, v[188:189], 1.0
	s_delay_alu instid0(VALU_DEP_1) | instskip(NEXT) | instid1(VALU_DEP_1)
	v_mul_f64 v[198:199], v[196:197], v[194:195]
	v_fma_f64 v[190:191], -v[190:191], v[198:199], v[196:197]
	s_delay_alu instid0(VALU_DEP_1) | instskip(NEXT) | instid1(VALU_DEP_1)
	v_div_fmas_f64 v[190:191], v[190:191], v[194:195], v[198:199]
	v_div_fixup_f64 v[194:195], v[190:191], v[188:189], 1.0
                                        ; implicit-def: $vgpr188_vgpr189
	s_delay_alu instid0(VALU_DEP_1)
	v_mul_f64 v[196:197], v[192:193], v[194:195]
	v_xor_b32_e32 v195, 0x80000000, v195
.LBB93_176:
	s_and_not1_saveexec_b32 s3, s3
	s_cbranch_execz .LBB93_178
; %bb.177:
	v_div_scale_f64 v[192:193], null, v[188:189], v[188:189], v[190:191]
	v_div_scale_f64 v[198:199], vcc_lo, v[190:191], v[188:189], v[190:191]
	s_delay_alu instid0(VALU_DEP_2) | instskip(SKIP_2) | instid1(VALU_DEP_1)
	v_rcp_f64_e32 v[194:195], v[192:193]
	s_waitcnt_depctr 0xfff
	v_fma_f64 v[196:197], -v[192:193], v[194:195], 1.0
	v_fma_f64 v[194:195], v[194:195], v[196:197], v[194:195]
	s_delay_alu instid0(VALU_DEP_1) | instskip(NEXT) | instid1(VALU_DEP_1)
	v_fma_f64 v[196:197], -v[192:193], v[194:195], 1.0
	v_fma_f64 v[194:195], v[194:195], v[196:197], v[194:195]
	s_delay_alu instid0(VALU_DEP_1) | instskip(NEXT) | instid1(VALU_DEP_1)
	v_mul_f64 v[196:197], v[198:199], v[194:195]
	v_fma_f64 v[192:193], -v[192:193], v[196:197], v[198:199]
	s_delay_alu instid0(VALU_DEP_1) | instskip(NEXT) | instid1(VALU_DEP_1)
	v_div_fmas_f64 v[192:193], v[192:193], v[194:195], v[196:197]
	v_div_fixup_f64 v[192:193], v[192:193], v[188:189], v[190:191]
	s_delay_alu instid0(VALU_DEP_1) | instskip(NEXT) | instid1(VALU_DEP_1)
	v_fma_f64 v[188:189], v[190:191], v[192:193], v[188:189]
	v_div_scale_f64 v[190:191], null, v[188:189], v[188:189], 1.0
	s_delay_alu instid0(VALU_DEP_1) | instskip(SKIP_2) | instid1(VALU_DEP_1)
	v_rcp_f64_e32 v[194:195], v[190:191]
	s_waitcnt_depctr 0xfff
	v_fma_f64 v[196:197], -v[190:191], v[194:195], 1.0
	v_fma_f64 v[194:195], v[194:195], v[196:197], v[194:195]
	s_delay_alu instid0(VALU_DEP_1) | instskip(NEXT) | instid1(VALU_DEP_1)
	v_fma_f64 v[196:197], -v[190:191], v[194:195], 1.0
	v_fma_f64 v[194:195], v[194:195], v[196:197], v[194:195]
	v_div_scale_f64 v[196:197], vcc_lo, 1.0, v[188:189], 1.0
	s_delay_alu instid0(VALU_DEP_1) | instskip(NEXT) | instid1(VALU_DEP_1)
	v_mul_f64 v[198:199], v[196:197], v[194:195]
	v_fma_f64 v[190:191], -v[190:191], v[198:199], v[196:197]
	s_delay_alu instid0(VALU_DEP_1) | instskip(NEXT) | instid1(VALU_DEP_1)
	v_div_fmas_f64 v[190:191], v[190:191], v[194:195], v[198:199]
	v_div_fixup_f64 v[196:197], v[190:191], v[188:189], 1.0
	s_delay_alu instid0(VALU_DEP_1)
	v_mul_f64 v[194:195], v[192:193], -v[196:197]
.LBB93_178:
	s_or_b32 exec_lo, exec_lo, s3
	ds_store_2addr_b64 v243, v[196:197], v[194:195] offset1:1
.LBB93_179:
	s_or_b32 exec_lo, exec_lo, s4
	s_waitcnt lgkmcnt(0)
	s_barrier
	buffer_gl0_inv
	ds_load_2addr_b64 v[188:191], v243 offset1:1
	s_mov_b32 s3, exec_lo
	s_waitcnt lgkmcnt(0)
	scratch_store_b128 off, v[188:191], off offset:648 ; 16-byte Folded Spill
	v_cmpx_lt_u32_e32 19, v242
	s_cbranch_execz .LBB93_181
; %bb.180:
	scratch_load_b128 v[190:193], off, off offset:648 ; 16-byte Folded Reload
	s_waitcnt vmcnt(0)
	v_mul_f64 v[188:189], v[192:193], v[110:111]
	v_mul_f64 v[110:111], v[190:191], v[110:111]
	s_delay_alu instid0(VALU_DEP_2) | instskip(NEXT) | instid1(VALU_DEP_2)
	v_fma_f64 v[188:189], v[190:191], v[108:109], -v[188:189]
	v_fma_f64 v[110:111], v[192:193], v[108:109], v[110:111]
	ds_load_2addr_b64 v[190:193], v244 offset0:40 offset1:41
	s_waitcnt lgkmcnt(0)
	v_mul_f64 v[108:109], v[192:193], v[110:111]
	s_delay_alu instid0(VALU_DEP_1) | instskip(SKIP_1) | instid1(VALU_DEP_2)
	v_fma_f64 v[108:109], v[190:191], v[188:189], -v[108:109]
	v_mul_f64 v[190:191], v[190:191], v[110:111]
	v_add_f64 v[104:105], v[104:105], -v[108:109]
	s_delay_alu instid0(VALU_DEP_2) | instskip(NEXT) | instid1(VALU_DEP_1)
	v_fma_f64 v[190:191], v[192:193], v[188:189], v[190:191]
	v_add_f64 v[106:107], v[106:107], -v[190:191]
	ds_load_2addr_b64 v[190:193], v244 offset0:42 offset1:43
	s_waitcnt lgkmcnt(0)
	v_mul_f64 v[108:109], v[192:193], v[110:111]
	s_delay_alu instid0(VALU_DEP_1) | instskip(SKIP_1) | instid1(VALU_DEP_2)
	v_fma_f64 v[108:109], v[190:191], v[188:189], -v[108:109]
	v_mul_f64 v[190:191], v[190:191], v[110:111]
	v_add_f64 v[100:101], v[100:101], -v[108:109]
	s_delay_alu instid0(VALU_DEP_2) | instskip(NEXT) | instid1(VALU_DEP_1)
	v_fma_f64 v[190:191], v[192:193], v[188:189], v[190:191]
	v_add_f64 v[102:103], v[102:103], -v[190:191]
	;; [unrolled: 10-line block ×26, first 2 shown]
	ds_load_2addr_b64 v[190:193], v244 offset0:92 offset1:93
	s_waitcnt lgkmcnt(0)
	v_mul_f64 v[108:109], v[192:193], v[110:111]
	s_delay_alu instid0(VALU_DEP_1) | instskip(SKIP_1) | instid1(VALU_DEP_2)
	v_fma_f64 v[108:109], v[190:191], v[188:189], -v[108:109]
	v_mul_f64 v[190:191], v[190:191], v[110:111]
	v_add_f64 v[0:1], v[0:1], -v[108:109]
	s_delay_alu instid0(VALU_DEP_2) | instskip(SKIP_1) | instid1(VALU_DEP_2)
	v_fma_f64 v[190:191], v[192:193], v[188:189], v[190:191]
	v_dual_mov_b32 v108, v188 :: v_dual_mov_b32 v109, v189
	v_add_f64 v[2:3], v[2:3], -v[190:191]
.LBB93_181:
	s_or_b32 exec_lo, exec_lo, s3
	s_delay_alu instid0(SALU_CYCLE_1)
	s_mov_b32 s4, exec_lo
	s_waitcnt_vscnt null, 0x0
	s_barrier
	buffer_gl0_inv
	v_cmpx_eq_u32_e32 20, v242
	s_cbranch_execz .LBB93_188
; %bb.182:
	ds_store_2addr_b64 v243, v[104:105], v[106:107] offset1:1
	ds_store_2addr_b64 v244, v[100:101], v[102:103] offset0:42 offset1:43
	ds_store_2addr_b64 v244, v[96:97], v[98:99] offset0:44 offset1:45
	;; [unrolled: 1-line block ×26, first 2 shown]
	ds_load_2addr_b64 v[188:191], v243 offset1:1
	s_waitcnt lgkmcnt(0)
	v_cmp_neq_f64_e32 vcc_lo, 0, v[188:189]
	v_cmp_neq_f64_e64 s3, 0, v[190:191]
	s_delay_alu instid0(VALU_DEP_1) | instskip(NEXT) | instid1(SALU_CYCLE_1)
	s_or_b32 s3, vcc_lo, s3
	s_and_b32 exec_lo, exec_lo, s3
	s_cbranch_execz .LBB93_188
; %bb.183:
	v_cmp_gt_f64_e32 vcc_lo, 0, v[188:189]
	v_xor_b32_e32 v192, 0x80000000, v189
	v_xor_b32_e32 v194, 0x80000000, v191
	s_mov_b32 s3, exec_lo
                                        ; implicit-def: $vgpr196_vgpr197
	s_delay_alu instid0(VALU_DEP_2) | instskip(SKIP_4) | instid1(VALU_DEP_1)
	v_cndmask_b32_e32 v193, v189, v192, vcc_lo
	v_cndmask_b32_e32 v192, v188, v188, vcc_lo
	v_cmp_gt_f64_e32 vcc_lo, 0, v[190:191]
	v_cndmask_b32_e32 v195, v191, v194, vcc_lo
	v_cndmask_b32_e32 v194, v190, v190, vcc_lo
	v_cmpx_ngt_f64_e32 v[192:193], v[194:195]
	s_xor_b32 s3, exec_lo, s3
                                        ; implicit-def: $vgpr192_vgpr193_vgpr194_vgpr195
	s_cbranch_execz .LBB93_185
; %bb.184:
	v_div_scale_f64 v[192:193], null, v[190:191], v[190:191], v[188:189]
	v_div_scale_f64 v[198:199], vcc_lo, v[188:189], v[190:191], v[188:189]
	s_delay_alu instid0(VALU_DEP_2) | instskip(SKIP_2) | instid1(VALU_DEP_1)
	v_rcp_f64_e32 v[194:195], v[192:193]
	s_waitcnt_depctr 0xfff
	v_fma_f64 v[196:197], -v[192:193], v[194:195], 1.0
	v_fma_f64 v[194:195], v[194:195], v[196:197], v[194:195]
	s_delay_alu instid0(VALU_DEP_1) | instskip(NEXT) | instid1(VALU_DEP_1)
	v_fma_f64 v[196:197], -v[192:193], v[194:195], 1.0
	v_fma_f64 v[194:195], v[194:195], v[196:197], v[194:195]
	s_delay_alu instid0(VALU_DEP_1) | instskip(NEXT) | instid1(VALU_DEP_1)
	v_mul_f64 v[196:197], v[198:199], v[194:195]
	v_fma_f64 v[192:193], -v[192:193], v[196:197], v[198:199]
	s_delay_alu instid0(VALU_DEP_1) | instskip(NEXT) | instid1(VALU_DEP_1)
	v_div_fmas_f64 v[192:193], v[192:193], v[194:195], v[196:197]
	v_div_fixup_f64 v[192:193], v[192:193], v[190:191], v[188:189]
	s_delay_alu instid0(VALU_DEP_1) | instskip(NEXT) | instid1(VALU_DEP_1)
	v_fma_f64 v[188:189], v[188:189], v[192:193], v[190:191]
	v_div_scale_f64 v[190:191], null, v[188:189], v[188:189], 1.0
	s_delay_alu instid0(VALU_DEP_1) | instskip(SKIP_2) | instid1(VALU_DEP_1)
	v_rcp_f64_e32 v[194:195], v[190:191]
	s_waitcnt_depctr 0xfff
	v_fma_f64 v[196:197], -v[190:191], v[194:195], 1.0
	v_fma_f64 v[194:195], v[194:195], v[196:197], v[194:195]
	s_delay_alu instid0(VALU_DEP_1) | instskip(NEXT) | instid1(VALU_DEP_1)
	v_fma_f64 v[196:197], -v[190:191], v[194:195], 1.0
	v_fma_f64 v[194:195], v[194:195], v[196:197], v[194:195]
	v_div_scale_f64 v[196:197], vcc_lo, 1.0, v[188:189], 1.0
	s_delay_alu instid0(VALU_DEP_1) | instskip(NEXT) | instid1(VALU_DEP_1)
	v_mul_f64 v[198:199], v[196:197], v[194:195]
	v_fma_f64 v[190:191], -v[190:191], v[198:199], v[196:197]
	s_delay_alu instid0(VALU_DEP_1) | instskip(NEXT) | instid1(VALU_DEP_1)
	v_div_fmas_f64 v[190:191], v[190:191], v[194:195], v[198:199]
	v_div_fixup_f64 v[194:195], v[190:191], v[188:189], 1.0
                                        ; implicit-def: $vgpr188_vgpr189
	s_delay_alu instid0(VALU_DEP_1)
	v_mul_f64 v[196:197], v[192:193], v[194:195]
	v_xor_b32_e32 v195, 0x80000000, v195
.LBB93_185:
	s_and_not1_saveexec_b32 s3, s3
	s_cbranch_execz .LBB93_187
; %bb.186:
	v_div_scale_f64 v[192:193], null, v[188:189], v[188:189], v[190:191]
	v_div_scale_f64 v[198:199], vcc_lo, v[190:191], v[188:189], v[190:191]
	s_delay_alu instid0(VALU_DEP_2) | instskip(SKIP_2) | instid1(VALU_DEP_1)
	v_rcp_f64_e32 v[194:195], v[192:193]
	s_waitcnt_depctr 0xfff
	v_fma_f64 v[196:197], -v[192:193], v[194:195], 1.0
	v_fma_f64 v[194:195], v[194:195], v[196:197], v[194:195]
	s_delay_alu instid0(VALU_DEP_1) | instskip(NEXT) | instid1(VALU_DEP_1)
	v_fma_f64 v[196:197], -v[192:193], v[194:195], 1.0
	v_fma_f64 v[194:195], v[194:195], v[196:197], v[194:195]
	s_delay_alu instid0(VALU_DEP_1) | instskip(NEXT) | instid1(VALU_DEP_1)
	v_mul_f64 v[196:197], v[198:199], v[194:195]
	v_fma_f64 v[192:193], -v[192:193], v[196:197], v[198:199]
	s_delay_alu instid0(VALU_DEP_1) | instskip(NEXT) | instid1(VALU_DEP_1)
	v_div_fmas_f64 v[192:193], v[192:193], v[194:195], v[196:197]
	v_div_fixup_f64 v[192:193], v[192:193], v[188:189], v[190:191]
	s_delay_alu instid0(VALU_DEP_1) | instskip(NEXT) | instid1(VALU_DEP_1)
	v_fma_f64 v[188:189], v[190:191], v[192:193], v[188:189]
	v_div_scale_f64 v[190:191], null, v[188:189], v[188:189], 1.0
	s_delay_alu instid0(VALU_DEP_1) | instskip(SKIP_2) | instid1(VALU_DEP_1)
	v_rcp_f64_e32 v[194:195], v[190:191]
	s_waitcnt_depctr 0xfff
	v_fma_f64 v[196:197], -v[190:191], v[194:195], 1.0
	v_fma_f64 v[194:195], v[194:195], v[196:197], v[194:195]
	s_delay_alu instid0(VALU_DEP_1) | instskip(NEXT) | instid1(VALU_DEP_1)
	v_fma_f64 v[196:197], -v[190:191], v[194:195], 1.0
	v_fma_f64 v[194:195], v[194:195], v[196:197], v[194:195]
	v_div_scale_f64 v[196:197], vcc_lo, 1.0, v[188:189], 1.0
	s_delay_alu instid0(VALU_DEP_1) | instskip(NEXT) | instid1(VALU_DEP_1)
	v_mul_f64 v[198:199], v[196:197], v[194:195]
	v_fma_f64 v[190:191], -v[190:191], v[198:199], v[196:197]
	s_delay_alu instid0(VALU_DEP_1) | instskip(NEXT) | instid1(VALU_DEP_1)
	v_div_fmas_f64 v[190:191], v[190:191], v[194:195], v[198:199]
	v_div_fixup_f64 v[196:197], v[190:191], v[188:189], 1.0
	s_delay_alu instid0(VALU_DEP_1)
	v_mul_f64 v[194:195], v[192:193], -v[196:197]
.LBB93_187:
	s_or_b32 exec_lo, exec_lo, s3
	ds_store_2addr_b64 v243, v[196:197], v[194:195] offset1:1
.LBB93_188:
	s_or_b32 exec_lo, exec_lo, s4
	s_waitcnt lgkmcnt(0)
	s_barrier
	buffer_gl0_inv
	ds_load_2addr_b64 v[188:191], v243 offset1:1
	s_mov_b32 s3, exec_lo
	s_waitcnt lgkmcnt(0)
	scratch_store_b128 off, v[188:191], off offset:664 ; 16-byte Folded Spill
	v_cmpx_lt_u32_e32 20, v242
	s_cbranch_execz .LBB93_190
; %bb.189:
	scratch_load_b128 v[190:193], off, off offset:664 ; 16-byte Folded Reload
	s_waitcnt vmcnt(0)
	v_mul_f64 v[188:189], v[192:193], v[106:107]
	v_mul_f64 v[106:107], v[190:191], v[106:107]
	s_delay_alu instid0(VALU_DEP_2) | instskip(NEXT) | instid1(VALU_DEP_2)
	v_fma_f64 v[188:189], v[190:191], v[104:105], -v[188:189]
	v_fma_f64 v[106:107], v[192:193], v[104:105], v[106:107]
	ds_load_2addr_b64 v[190:193], v244 offset0:42 offset1:43
	s_waitcnt lgkmcnt(0)
	v_mul_f64 v[104:105], v[192:193], v[106:107]
	s_delay_alu instid0(VALU_DEP_1) | instskip(SKIP_1) | instid1(VALU_DEP_2)
	v_fma_f64 v[104:105], v[190:191], v[188:189], -v[104:105]
	v_mul_f64 v[190:191], v[190:191], v[106:107]
	v_add_f64 v[100:101], v[100:101], -v[104:105]
	s_delay_alu instid0(VALU_DEP_2) | instskip(NEXT) | instid1(VALU_DEP_1)
	v_fma_f64 v[190:191], v[192:193], v[188:189], v[190:191]
	v_add_f64 v[102:103], v[102:103], -v[190:191]
	ds_load_2addr_b64 v[190:193], v244 offset0:44 offset1:45
	s_waitcnt lgkmcnt(0)
	v_mul_f64 v[104:105], v[192:193], v[106:107]
	s_delay_alu instid0(VALU_DEP_1) | instskip(SKIP_1) | instid1(VALU_DEP_2)
	v_fma_f64 v[104:105], v[190:191], v[188:189], -v[104:105]
	v_mul_f64 v[190:191], v[190:191], v[106:107]
	v_add_f64 v[96:97], v[96:97], -v[104:105]
	s_delay_alu instid0(VALU_DEP_2) | instskip(NEXT) | instid1(VALU_DEP_1)
	v_fma_f64 v[190:191], v[192:193], v[188:189], v[190:191]
	v_add_f64 v[98:99], v[98:99], -v[190:191]
	;; [unrolled: 10-line block ×25, first 2 shown]
	ds_load_2addr_b64 v[190:193], v244 offset0:92 offset1:93
	s_waitcnt lgkmcnt(0)
	v_mul_f64 v[104:105], v[192:193], v[106:107]
	s_delay_alu instid0(VALU_DEP_1) | instskip(SKIP_1) | instid1(VALU_DEP_2)
	v_fma_f64 v[104:105], v[190:191], v[188:189], -v[104:105]
	v_mul_f64 v[190:191], v[190:191], v[106:107]
	v_add_f64 v[0:1], v[0:1], -v[104:105]
	s_delay_alu instid0(VALU_DEP_2) | instskip(SKIP_1) | instid1(VALU_DEP_2)
	v_fma_f64 v[190:191], v[192:193], v[188:189], v[190:191]
	v_dual_mov_b32 v104, v188 :: v_dual_mov_b32 v105, v189
	v_add_f64 v[2:3], v[2:3], -v[190:191]
.LBB93_190:
	s_or_b32 exec_lo, exec_lo, s3
	s_delay_alu instid0(SALU_CYCLE_1)
	s_mov_b32 s4, exec_lo
	s_waitcnt_vscnt null, 0x0
	s_barrier
	buffer_gl0_inv
	v_cmpx_eq_u32_e32 21, v242
	s_cbranch_execz .LBB93_197
; %bb.191:
	ds_store_2addr_b64 v243, v[100:101], v[102:103] offset1:1
	ds_store_2addr_b64 v244, v[96:97], v[98:99] offset0:44 offset1:45
	ds_store_2addr_b64 v244, v[92:93], v[94:95] offset0:46 offset1:47
	ds_store_2addr_b64 v244, v[88:89], v[90:91] offset0:48 offset1:49
	ds_store_2addr_b64 v244, v[84:85], v[86:87] offset0:50 offset1:51
	ds_store_2addr_b64 v244, v[80:81], v[82:83] offset0:52 offset1:53
	ds_store_2addr_b64 v244, v[76:77], v[78:79] offset0:54 offset1:55
	ds_store_2addr_b64 v244, v[72:73], v[74:75] offset0:56 offset1:57
	ds_store_2addr_b64 v244, v[68:69], v[70:71] offset0:58 offset1:59
	ds_store_2addr_b64 v244, v[64:65], v[66:67] offset0:60 offset1:61
	ds_store_2addr_b64 v244, v[60:61], v[62:63] offset0:62 offset1:63
	ds_store_2addr_b64 v244, v[56:57], v[58:59] offset0:64 offset1:65
	ds_store_2addr_b64 v244, v[52:53], v[54:55] offset0:66 offset1:67
	ds_store_2addr_b64 v244, v[48:49], v[50:51] offset0:68 offset1:69
	ds_store_2addr_b64 v244, v[44:45], v[46:47] offset0:70 offset1:71
	ds_store_2addr_b64 v244, v[40:41], v[42:43] offset0:72 offset1:73
	ds_store_2addr_b64 v244, v[36:37], v[38:39] offset0:74 offset1:75
	ds_store_2addr_b64 v244, v[32:33], v[34:35] offset0:76 offset1:77
	ds_store_2addr_b64 v244, v[28:29], v[30:31] offset0:78 offset1:79
	ds_store_2addr_b64 v244, v[24:25], v[26:27] offset0:80 offset1:81
	ds_store_2addr_b64 v244, v[20:21], v[22:23] offset0:82 offset1:83
	ds_store_2addr_b64 v244, v[16:17], v[18:19] offset0:84 offset1:85
	ds_store_2addr_b64 v244, v[12:13], v[14:15] offset0:86 offset1:87
	ds_store_2addr_b64 v244, v[8:9], v[10:11] offset0:88 offset1:89
	ds_store_2addr_b64 v244, v[4:5], v[6:7] offset0:90 offset1:91
	ds_store_2addr_b64 v244, v[0:1], v[2:3] offset0:92 offset1:93
	ds_load_2addr_b64 v[188:191], v243 offset1:1
	s_waitcnt lgkmcnt(0)
	v_cmp_neq_f64_e32 vcc_lo, 0, v[188:189]
	v_cmp_neq_f64_e64 s3, 0, v[190:191]
	s_delay_alu instid0(VALU_DEP_1) | instskip(NEXT) | instid1(SALU_CYCLE_1)
	s_or_b32 s3, vcc_lo, s3
	s_and_b32 exec_lo, exec_lo, s3
	s_cbranch_execz .LBB93_197
; %bb.192:
	v_cmp_gt_f64_e32 vcc_lo, 0, v[188:189]
	v_xor_b32_e32 v192, 0x80000000, v189
	v_xor_b32_e32 v194, 0x80000000, v191
	s_mov_b32 s3, exec_lo
                                        ; implicit-def: $vgpr196_vgpr197
	s_delay_alu instid0(VALU_DEP_2) | instskip(SKIP_4) | instid1(VALU_DEP_1)
	v_cndmask_b32_e32 v193, v189, v192, vcc_lo
	v_cndmask_b32_e32 v192, v188, v188, vcc_lo
	v_cmp_gt_f64_e32 vcc_lo, 0, v[190:191]
	v_cndmask_b32_e32 v195, v191, v194, vcc_lo
	v_cndmask_b32_e32 v194, v190, v190, vcc_lo
	v_cmpx_ngt_f64_e32 v[192:193], v[194:195]
	s_xor_b32 s3, exec_lo, s3
                                        ; implicit-def: $vgpr192_vgpr193_vgpr194_vgpr195
	s_cbranch_execz .LBB93_194
; %bb.193:
	v_div_scale_f64 v[192:193], null, v[190:191], v[190:191], v[188:189]
	v_div_scale_f64 v[198:199], vcc_lo, v[188:189], v[190:191], v[188:189]
	s_delay_alu instid0(VALU_DEP_2) | instskip(SKIP_2) | instid1(VALU_DEP_1)
	v_rcp_f64_e32 v[194:195], v[192:193]
	s_waitcnt_depctr 0xfff
	v_fma_f64 v[196:197], -v[192:193], v[194:195], 1.0
	v_fma_f64 v[194:195], v[194:195], v[196:197], v[194:195]
	s_delay_alu instid0(VALU_DEP_1) | instskip(NEXT) | instid1(VALU_DEP_1)
	v_fma_f64 v[196:197], -v[192:193], v[194:195], 1.0
	v_fma_f64 v[194:195], v[194:195], v[196:197], v[194:195]
	s_delay_alu instid0(VALU_DEP_1) | instskip(NEXT) | instid1(VALU_DEP_1)
	v_mul_f64 v[196:197], v[198:199], v[194:195]
	v_fma_f64 v[192:193], -v[192:193], v[196:197], v[198:199]
	s_delay_alu instid0(VALU_DEP_1) | instskip(NEXT) | instid1(VALU_DEP_1)
	v_div_fmas_f64 v[192:193], v[192:193], v[194:195], v[196:197]
	v_div_fixup_f64 v[192:193], v[192:193], v[190:191], v[188:189]
	s_delay_alu instid0(VALU_DEP_1) | instskip(NEXT) | instid1(VALU_DEP_1)
	v_fma_f64 v[188:189], v[188:189], v[192:193], v[190:191]
	v_div_scale_f64 v[190:191], null, v[188:189], v[188:189], 1.0
	s_delay_alu instid0(VALU_DEP_1) | instskip(SKIP_2) | instid1(VALU_DEP_1)
	v_rcp_f64_e32 v[194:195], v[190:191]
	s_waitcnt_depctr 0xfff
	v_fma_f64 v[196:197], -v[190:191], v[194:195], 1.0
	v_fma_f64 v[194:195], v[194:195], v[196:197], v[194:195]
	s_delay_alu instid0(VALU_DEP_1) | instskip(NEXT) | instid1(VALU_DEP_1)
	v_fma_f64 v[196:197], -v[190:191], v[194:195], 1.0
	v_fma_f64 v[194:195], v[194:195], v[196:197], v[194:195]
	v_div_scale_f64 v[196:197], vcc_lo, 1.0, v[188:189], 1.0
	s_delay_alu instid0(VALU_DEP_1) | instskip(NEXT) | instid1(VALU_DEP_1)
	v_mul_f64 v[198:199], v[196:197], v[194:195]
	v_fma_f64 v[190:191], -v[190:191], v[198:199], v[196:197]
	s_delay_alu instid0(VALU_DEP_1) | instskip(NEXT) | instid1(VALU_DEP_1)
	v_div_fmas_f64 v[190:191], v[190:191], v[194:195], v[198:199]
	v_div_fixup_f64 v[194:195], v[190:191], v[188:189], 1.0
                                        ; implicit-def: $vgpr188_vgpr189
	s_delay_alu instid0(VALU_DEP_1)
	v_mul_f64 v[196:197], v[192:193], v[194:195]
	v_xor_b32_e32 v195, 0x80000000, v195
.LBB93_194:
	s_and_not1_saveexec_b32 s3, s3
	s_cbranch_execz .LBB93_196
; %bb.195:
	v_div_scale_f64 v[192:193], null, v[188:189], v[188:189], v[190:191]
	v_div_scale_f64 v[198:199], vcc_lo, v[190:191], v[188:189], v[190:191]
	s_delay_alu instid0(VALU_DEP_2) | instskip(SKIP_2) | instid1(VALU_DEP_1)
	v_rcp_f64_e32 v[194:195], v[192:193]
	s_waitcnt_depctr 0xfff
	v_fma_f64 v[196:197], -v[192:193], v[194:195], 1.0
	v_fma_f64 v[194:195], v[194:195], v[196:197], v[194:195]
	s_delay_alu instid0(VALU_DEP_1) | instskip(NEXT) | instid1(VALU_DEP_1)
	v_fma_f64 v[196:197], -v[192:193], v[194:195], 1.0
	v_fma_f64 v[194:195], v[194:195], v[196:197], v[194:195]
	s_delay_alu instid0(VALU_DEP_1) | instskip(NEXT) | instid1(VALU_DEP_1)
	v_mul_f64 v[196:197], v[198:199], v[194:195]
	v_fma_f64 v[192:193], -v[192:193], v[196:197], v[198:199]
	s_delay_alu instid0(VALU_DEP_1) | instskip(NEXT) | instid1(VALU_DEP_1)
	v_div_fmas_f64 v[192:193], v[192:193], v[194:195], v[196:197]
	v_div_fixup_f64 v[192:193], v[192:193], v[188:189], v[190:191]
	s_delay_alu instid0(VALU_DEP_1) | instskip(NEXT) | instid1(VALU_DEP_1)
	v_fma_f64 v[188:189], v[190:191], v[192:193], v[188:189]
	v_div_scale_f64 v[190:191], null, v[188:189], v[188:189], 1.0
	s_delay_alu instid0(VALU_DEP_1) | instskip(SKIP_2) | instid1(VALU_DEP_1)
	v_rcp_f64_e32 v[194:195], v[190:191]
	s_waitcnt_depctr 0xfff
	v_fma_f64 v[196:197], -v[190:191], v[194:195], 1.0
	v_fma_f64 v[194:195], v[194:195], v[196:197], v[194:195]
	s_delay_alu instid0(VALU_DEP_1) | instskip(NEXT) | instid1(VALU_DEP_1)
	v_fma_f64 v[196:197], -v[190:191], v[194:195], 1.0
	v_fma_f64 v[194:195], v[194:195], v[196:197], v[194:195]
	v_div_scale_f64 v[196:197], vcc_lo, 1.0, v[188:189], 1.0
	s_delay_alu instid0(VALU_DEP_1) | instskip(NEXT) | instid1(VALU_DEP_1)
	v_mul_f64 v[198:199], v[196:197], v[194:195]
	v_fma_f64 v[190:191], -v[190:191], v[198:199], v[196:197]
	s_delay_alu instid0(VALU_DEP_1) | instskip(NEXT) | instid1(VALU_DEP_1)
	v_div_fmas_f64 v[190:191], v[190:191], v[194:195], v[198:199]
	v_div_fixup_f64 v[196:197], v[190:191], v[188:189], 1.0
	s_delay_alu instid0(VALU_DEP_1)
	v_mul_f64 v[194:195], v[192:193], -v[196:197]
.LBB93_196:
	s_or_b32 exec_lo, exec_lo, s3
	ds_store_2addr_b64 v243, v[196:197], v[194:195] offset1:1
.LBB93_197:
	s_or_b32 exec_lo, exec_lo, s4
	s_waitcnt lgkmcnt(0)
	s_barrier
	buffer_gl0_inv
	ds_load_2addr_b64 v[188:191], v243 offset1:1
	s_mov_b32 s3, exec_lo
	s_waitcnt lgkmcnt(0)
	scratch_store_b128 off, v[188:191], off offset:680 ; 16-byte Folded Spill
	v_cmpx_lt_u32_e32 21, v242
	s_cbranch_execz .LBB93_199
; %bb.198:
	scratch_load_b128 v[190:193], off, off offset:680 ; 16-byte Folded Reload
	s_waitcnt vmcnt(0)
	v_mul_f64 v[188:189], v[192:193], v[102:103]
	v_mul_f64 v[102:103], v[190:191], v[102:103]
	s_delay_alu instid0(VALU_DEP_2) | instskip(NEXT) | instid1(VALU_DEP_2)
	v_fma_f64 v[188:189], v[190:191], v[100:101], -v[188:189]
	v_fma_f64 v[102:103], v[192:193], v[100:101], v[102:103]
	ds_load_2addr_b64 v[190:193], v244 offset0:44 offset1:45
	s_waitcnt lgkmcnt(0)
	v_mul_f64 v[100:101], v[192:193], v[102:103]
	s_delay_alu instid0(VALU_DEP_1) | instskip(SKIP_1) | instid1(VALU_DEP_2)
	v_fma_f64 v[100:101], v[190:191], v[188:189], -v[100:101]
	v_mul_f64 v[190:191], v[190:191], v[102:103]
	v_add_f64 v[96:97], v[96:97], -v[100:101]
	s_delay_alu instid0(VALU_DEP_2) | instskip(NEXT) | instid1(VALU_DEP_1)
	v_fma_f64 v[190:191], v[192:193], v[188:189], v[190:191]
	v_add_f64 v[98:99], v[98:99], -v[190:191]
	ds_load_2addr_b64 v[190:193], v244 offset0:46 offset1:47
	s_waitcnt lgkmcnt(0)
	v_mul_f64 v[100:101], v[192:193], v[102:103]
	s_delay_alu instid0(VALU_DEP_1) | instskip(SKIP_1) | instid1(VALU_DEP_2)
	v_fma_f64 v[100:101], v[190:191], v[188:189], -v[100:101]
	v_mul_f64 v[190:191], v[190:191], v[102:103]
	v_add_f64 v[92:93], v[92:93], -v[100:101]
	s_delay_alu instid0(VALU_DEP_2) | instskip(NEXT) | instid1(VALU_DEP_1)
	v_fma_f64 v[190:191], v[192:193], v[188:189], v[190:191]
	v_add_f64 v[94:95], v[94:95], -v[190:191]
	ds_load_2addr_b64 v[190:193], v244 offset0:48 offset1:49
	s_waitcnt lgkmcnt(0)
	v_mul_f64 v[100:101], v[192:193], v[102:103]
	s_delay_alu instid0(VALU_DEP_1) | instskip(SKIP_1) | instid1(VALU_DEP_2)
	v_fma_f64 v[100:101], v[190:191], v[188:189], -v[100:101]
	v_mul_f64 v[190:191], v[190:191], v[102:103]
	v_add_f64 v[88:89], v[88:89], -v[100:101]
	s_delay_alu instid0(VALU_DEP_2) | instskip(NEXT) | instid1(VALU_DEP_1)
	v_fma_f64 v[190:191], v[192:193], v[188:189], v[190:191]
	v_add_f64 v[90:91], v[90:91], -v[190:191]
	ds_load_2addr_b64 v[190:193], v244 offset0:50 offset1:51
	s_waitcnt lgkmcnt(0)
	v_mul_f64 v[100:101], v[192:193], v[102:103]
	s_delay_alu instid0(VALU_DEP_1) | instskip(SKIP_1) | instid1(VALU_DEP_2)
	v_fma_f64 v[100:101], v[190:191], v[188:189], -v[100:101]
	v_mul_f64 v[190:191], v[190:191], v[102:103]
	v_add_f64 v[84:85], v[84:85], -v[100:101]
	s_delay_alu instid0(VALU_DEP_2) | instskip(NEXT) | instid1(VALU_DEP_1)
	v_fma_f64 v[190:191], v[192:193], v[188:189], v[190:191]
	v_add_f64 v[86:87], v[86:87], -v[190:191]
	ds_load_2addr_b64 v[190:193], v244 offset0:52 offset1:53
	s_waitcnt lgkmcnt(0)
	v_mul_f64 v[100:101], v[192:193], v[102:103]
	s_delay_alu instid0(VALU_DEP_1) | instskip(SKIP_1) | instid1(VALU_DEP_2)
	v_fma_f64 v[100:101], v[190:191], v[188:189], -v[100:101]
	v_mul_f64 v[190:191], v[190:191], v[102:103]
	v_add_f64 v[80:81], v[80:81], -v[100:101]
	s_delay_alu instid0(VALU_DEP_2) | instskip(NEXT) | instid1(VALU_DEP_1)
	v_fma_f64 v[190:191], v[192:193], v[188:189], v[190:191]
	v_add_f64 v[82:83], v[82:83], -v[190:191]
	ds_load_2addr_b64 v[190:193], v244 offset0:54 offset1:55
	s_waitcnt lgkmcnt(0)
	v_mul_f64 v[100:101], v[192:193], v[102:103]
	s_delay_alu instid0(VALU_DEP_1) | instskip(SKIP_1) | instid1(VALU_DEP_2)
	v_fma_f64 v[100:101], v[190:191], v[188:189], -v[100:101]
	v_mul_f64 v[190:191], v[190:191], v[102:103]
	v_add_f64 v[76:77], v[76:77], -v[100:101]
	s_delay_alu instid0(VALU_DEP_2) | instskip(NEXT) | instid1(VALU_DEP_1)
	v_fma_f64 v[190:191], v[192:193], v[188:189], v[190:191]
	v_add_f64 v[78:79], v[78:79], -v[190:191]
	ds_load_2addr_b64 v[190:193], v244 offset0:56 offset1:57
	s_waitcnt lgkmcnt(0)
	v_mul_f64 v[100:101], v[192:193], v[102:103]
	s_delay_alu instid0(VALU_DEP_1) | instskip(SKIP_1) | instid1(VALU_DEP_2)
	v_fma_f64 v[100:101], v[190:191], v[188:189], -v[100:101]
	v_mul_f64 v[190:191], v[190:191], v[102:103]
	v_add_f64 v[72:73], v[72:73], -v[100:101]
	s_delay_alu instid0(VALU_DEP_2) | instskip(NEXT) | instid1(VALU_DEP_1)
	v_fma_f64 v[190:191], v[192:193], v[188:189], v[190:191]
	v_add_f64 v[74:75], v[74:75], -v[190:191]
	ds_load_2addr_b64 v[190:193], v244 offset0:58 offset1:59
	s_waitcnt lgkmcnt(0)
	v_mul_f64 v[100:101], v[192:193], v[102:103]
	s_delay_alu instid0(VALU_DEP_1) | instskip(SKIP_1) | instid1(VALU_DEP_2)
	v_fma_f64 v[100:101], v[190:191], v[188:189], -v[100:101]
	v_mul_f64 v[190:191], v[190:191], v[102:103]
	v_add_f64 v[68:69], v[68:69], -v[100:101]
	s_delay_alu instid0(VALU_DEP_2) | instskip(NEXT) | instid1(VALU_DEP_1)
	v_fma_f64 v[190:191], v[192:193], v[188:189], v[190:191]
	v_add_f64 v[70:71], v[70:71], -v[190:191]
	ds_load_2addr_b64 v[190:193], v244 offset0:60 offset1:61
	s_waitcnt lgkmcnt(0)
	v_mul_f64 v[100:101], v[192:193], v[102:103]
	s_delay_alu instid0(VALU_DEP_1) | instskip(SKIP_1) | instid1(VALU_DEP_2)
	v_fma_f64 v[100:101], v[190:191], v[188:189], -v[100:101]
	v_mul_f64 v[190:191], v[190:191], v[102:103]
	v_add_f64 v[64:65], v[64:65], -v[100:101]
	s_delay_alu instid0(VALU_DEP_2) | instskip(NEXT) | instid1(VALU_DEP_1)
	v_fma_f64 v[190:191], v[192:193], v[188:189], v[190:191]
	v_add_f64 v[66:67], v[66:67], -v[190:191]
	ds_load_2addr_b64 v[190:193], v244 offset0:62 offset1:63
	s_waitcnt lgkmcnt(0)
	v_mul_f64 v[100:101], v[192:193], v[102:103]
	s_delay_alu instid0(VALU_DEP_1) | instskip(SKIP_1) | instid1(VALU_DEP_2)
	v_fma_f64 v[100:101], v[190:191], v[188:189], -v[100:101]
	v_mul_f64 v[190:191], v[190:191], v[102:103]
	v_add_f64 v[60:61], v[60:61], -v[100:101]
	s_delay_alu instid0(VALU_DEP_2) | instskip(NEXT) | instid1(VALU_DEP_1)
	v_fma_f64 v[190:191], v[192:193], v[188:189], v[190:191]
	v_add_f64 v[62:63], v[62:63], -v[190:191]
	ds_load_2addr_b64 v[190:193], v244 offset0:64 offset1:65
	s_waitcnt lgkmcnt(0)
	v_mul_f64 v[100:101], v[192:193], v[102:103]
	s_delay_alu instid0(VALU_DEP_1) | instskip(SKIP_1) | instid1(VALU_DEP_2)
	v_fma_f64 v[100:101], v[190:191], v[188:189], -v[100:101]
	v_mul_f64 v[190:191], v[190:191], v[102:103]
	v_add_f64 v[56:57], v[56:57], -v[100:101]
	s_delay_alu instid0(VALU_DEP_2) | instskip(NEXT) | instid1(VALU_DEP_1)
	v_fma_f64 v[190:191], v[192:193], v[188:189], v[190:191]
	v_add_f64 v[58:59], v[58:59], -v[190:191]
	ds_load_2addr_b64 v[190:193], v244 offset0:66 offset1:67
	s_waitcnt lgkmcnt(0)
	v_mul_f64 v[100:101], v[192:193], v[102:103]
	s_delay_alu instid0(VALU_DEP_1) | instskip(SKIP_1) | instid1(VALU_DEP_2)
	v_fma_f64 v[100:101], v[190:191], v[188:189], -v[100:101]
	v_mul_f64 v[190:191], v[190:191], v[102:103]
	v_add_f64 v[52:53], v[52:53], -v[100:101]
	s_delay_alu instid0(VALU_DEP_2) | instskip(NEXT) | instid1(VALU_DEP_1)
	v_fma_f64 v[190:191], v[192:193], v[188:189], v[190:191]
	v_add_f64 v[54:55], v[54:55], -v[190:191]
	ds_load_2addr_b64 v[190:193], v244 offset0:68 offset1:69
	s_waitcnt lgkmcnt(0)
	v_mul_f64 v[100:101], v[192:193], v[102:103]
	s_delay_alu instid0(VALU_DEP_1) | instskip(SKIP_1) | instid1(VALU_DEP_2)
	v_fma_f64 v[100:101], v[190:191], v[188:189], -v[100:101]
	v_mul_f64 v[190:191], v[190:191], v[102:103]
	v_add_f64 v[48:49], v[48:49], -v[100:101]
	s_delay_alu instid0(VALU_DEP_2) | instskip(NEXT) | instid1(VALU_DEP_1)
	v_fma_f64 v[190:191], v[192:193], v[188:189], v[190:191]
	v_add_f64 v[50:51], v[50:51], -v[190:191]
	ds_load_2addr_b64 v[190:193], v244 offset0:70 offset1:71
	s_waitcnt lgkmcnt(0)
	v_mul_f64 v[100:101], v[192:193], v[102:103]
	s_delay_alu instid0(VALU_DEP_1) | instskip(SKIP_1) | instid1(VALU_DEP_2)
	v_fma_f64 v[100:101], v[190:191], v[188:189], -v[100:101]
	v_mul_f64 v[190:191], v[190:191], v[102:103]
	v_add_f64 v[44:45], v[44:45], -v[100:101]
	s_delay_alu instid0(VALU_DEP_2) | instskip(NEXT) | instid1(VALU_DEP_1)
	v_fma_f64 v[190:191], v[192:193], v[188:189], v[190:191]
	v_add_f64 v[46:47], v[46:47], -v[190:191]
	ds_load_2addr_b64 v[190:193], v244 offset0:72 offset1:73
	s_waitcnt lgkmcnt(0)
	v_mul_f64 v[100:101], v[192:193], v[102:103]
	s_delay_alu instid0(VALU_DEP_1) | instskip(SKIP_1) | instid1(VALU_DEP_2)
	v_fma_f64 v[100:101], v[190:191], v[188:189], -v[100:101]
	v_mul_f64 v[190:191], v[190:191], v[102:103]
	v_add_f64 v[40:41], v[40:41], -v[100:101]
	s_delay_alu instid0(VALU_DEP_2) | instskip(NEXT) | instid1(VALU_DEP_1)
	v_fma_f64 v[190:191], v[192:193], v[188:189], v[190:191]
	v_add_f64 v[42:43], v[42:43], -v[190:191]
	ds_load_2addr_b64 v[190:193], v244 offset0:74 offset1:75
	s_waitcnt lgkmcnt(0)
	v_mul_f64 v[100:101], v[192:193], v[102:103]
	s_delay_alu instid0(VALU_DEP_1) | instskip(SKIP_1) | instid1(VALU_DEP_2)
	v_fma_f64 v[100:101], v[190:191], v[188:189], -v[100:101]
	v_mul_f64 v[190:191], v[190:191], v[102:103]
	v_add_f64 v[36:37], v[36:37], -v[100:101]
	s_delay_alu instid0(VALU_DEP_2) | instskip(NEXT) | instid1(VALU_DEP_1)
	v_fma_f64 v[190:191], v[192:193], v[188:189], v[190:191]
	v_add_f64 v[38:39], v[38:39], -v[190:191]
	ds_load_2addr_b64 v[190:193], v244 offset0:76 offset1:77
	s_waitcnt lgkmcnt(0)
	v_mul_f64 v[100:101], v[192:193], v[102:103]
	s_delay_alu instid0(VALU_DEP_1) | instskip(SKIP_1) | instid1(VALU_DEP_2)
	v_fma_f64 v[100:101], v[190:191], v[188:189], -v[100:101]
	v_mul_f64 v[190:191], v[190:191], v[102:103]
	v_add_f64 v[32:33], v[32:33], -v[100:101]
	s_delay_alu instid0(VALU_DEP_2) | instskip(NEXT) | instid1(VALU_DEP_1)
	v_fma_f64 v[190:191], v[192:193], v[188:189], v[190:191]
	v_add_f64 v[34:35], v[34:35], -v[190:191]
	ds_load_2addr_b64 v[190:193], v244 offset0:78 offset1:79
	s_waitcnt lgkmcnt(0)
	v_mul_f64 v[100:101], v[192:193], v[102:103]
	s_delay_alu instid0(VALU_DEP_1) | instskip(SKIP_1) | instid1(VALU_DEP_2)
	v_fma_f64 v[100:101], v[190:191], v[188:189], -v[100:101]
	v_mul_f64 v[190:191], v[190:191], v[102:103]
	v_add_f64 v[28:29], v[28:29], -v[100:101]
	s_delay_alu instid0(VALU_DEP_2) | instskip(NEXT) | instid1(VALU_DEP_1)
	v_fma_f64 v[190:191], v[192:193], v[188:189], v[190:191]
	v_add_f64 v[30:31], v[30:31], -v[190:191]
	ds_load_2addr_b64 v[190:193], v244 offset0:80 offset1:81
	s_waitcnt lgkmcnt(0)
	v_mul_f64 v[100:101], v[192:193], v[102:103]
	s_delay_alu instid0(VALU_DEP_1) | instskip(SKIP_1) | instid1(VALU_DEP_2)
	v_fma_f64 v[100:101], v[190:191], v[188:189], -v[100:101]
	v_mul_f64 v[190:191], v[190:191], v[102:103]
	v_add_f64 v[24:25], v[24:25], -v[100:101]
	s_delay_alu instid0(VALU_DEP_2) | instskip(NEXT) | instid1(VALU_DEP_1)
	v_fma_f64 v[190:191], v[192:193], v[188:189], v[190:191]
	v_add_f64 v[26:27], v[26:27], -v[190:191]
	ds_load_2addr_b64 v[190:193], v244 offset0:82 offset1:83
	s_waitcnt lgkmcnt(0)
	v_mul_f64 v[100:101], v[192:193], v[102:103]
	s_delay_alu instid0(VALU_DEP_1) | instskip(SKIP_1) | instid1(VALU_DEP_2)
	v_fma_f64 v[100:101], v[190:191], v[188:189], -v[100:101]
	v_mul_f64 v[190:191], v[190:191], v[102:103]
	v_add_f64 v[20:21], v[20:21], -v[100:101]
	s_delay_alu instid0(VALU_DEP_2) | instskip(NEXT) | instid1(VALU_DEP_1)
	v_fma_f64 v[190:191], v[192:193], v[188:189], v[190:191]
	v_add_f64 v[22:23], v[22:23], -v[190:191]
	ds_load_2addr_b64 v[190:193], v244 offset0:84 offset1:85
	s_waitcnt lgkmcnt(0)
	v_mul_f64 v[100:101], v[192:193], v[102:103]
	s_delay_alu instid0(VALU_DEP_1) | instskip(SKIP_1) | instid1(VALU_DEP_2)
	v_fma_f64 v[100:101], v[190:191], v[188:189], -v[100:101]
	v_mul_f64 v[190:191], v[190:191], v[102:103]
	v_add_f64 v[16:17], v[16:17], -v[100:101]
	s_delay_alu instid0(VALU_DEP_2) | instskip(NEXT) | instid1(VALU_DEP_1)
	v_fma_f64 v[190:191], v[192:193], v[188:189], v[190:191]
	v_add_f64 v[18:19], v[18:19], -v[190:191]
	ds_load_2addr_b64 v[190:193], v244 offset0:86 offset1:87
	s_waitcnt lgkmcnt(0)
	v_mul_f64 v[100:101], v[192:193], v[102:103]
	s_delay_alu instid0(VALU_DEP_1) | instskip(SKIP_1) | instid1(VALU_DEP_2)
	v_fma_f64 v[100:101], v[190:191], v[188:189], -v[100:101]
	v_mul_f64 v[190:191], v[190:191], v[102:103]
	v_add_f64 v[12:13], v[12:13], -v[100:101]
	s_delay_alu instid0(VALU_DEP_2) | instskip(NEXT) | instid1(VALU_DEP_1)
	v_fma_f64 v[190:191], v[192:193], v[188:189], v[190:191]
	v_add_f64 v[14:15], v[14:15], -v[190:191]
	ds_load_2addr_b64 v[190:193], v244 offset0:88 offset1:89
	s_waitcnt lgkmcnt(0)
	v_mul_f64 v[100:101], v[192:193], v[102:103]
	s_delay_alu instid0(VALU_DEP_1) | instskip(SKIP_1) | instid1(VALU_DEP_2)
	v_fma_f64 v[100:101], v[190:191], v[188:189], -v[100:101]
	v_mul_f64 v[190:191], v[190:191], v[102:103]
	v_add_f64 v[8:9], v[8:9], -v[100:101]
	s_delay_alu instid0(VALU_DEP_2) | instskip(NEXT) | instid1(VALU_DEP_1)
	v_fma_f64 v[190:191], v[192:193], v[188:189], v[190:191]
	v_add_f64 v[10:11], v[10:11], -v[190:191]
	ds_load_2addr_b64 v[190:193], v244 offset0:90 offset1:91
	s_waitcnt lgkmcnt(0)
	v_mul_f64 v[100:101], v[192:193], v[102:103]
	s_delay_alu instid0(VALU_DEP_1) | instskip(SKIP_1) | instid1(VALU_DEP_2)
	v_fma_f64 v[100:101], v[190:191], v[188:189], -v[100:101]
	v_mul_f64 v[190:191], v[190:191], v[102:103]
	v_add_f64 v[4:5], v[4:5], -v[100:101]
	s_delay_alu instid0(VALU_DEP_2) | instskip(NEXT) | instid1(VALU_DEP_1)
	v_fma_f64 v[190:191], v[192:193], v[188:189], v[190:191]
	v_add_f64 v[6:7], v[6:7], -v[190:191]
	ds_load_2addr_b64 v[190:193], v244 offset0:92 offset1:93
	s_waitcnt lgkmcnt(0)
	v_mul_f64 v[100:101], v[192:193], v[102:103]
	s_delay_alu instid0(VALU_DEP_1) | instskip(SKIP_1) | instid1(VALU_DEP_2)
	v_fma_f64 v[100:101], v[190:191], v[188:189], -v[100:101]
	v_mul_f64 v[190:191], v[190:191], v[102:103]
	v_add_f64 v[0:1], v[0:1], -v[100:101]
	s_delay_alu instid0(VALU_DEP_2) | instskip(SKIP_1) | instid1(VALU_DEP_2)
	v_fma_f64 v[190:191], v[192:193], v[188:189], v[190:191]
	v_dual_mov_b32 v100, v188 :: v_dual_mov_b32 v101, v189
	v_add_f64 v[2:3], v[2:3], -v[190:191]
.LBB93_199:
	s_or_b32 exec_lo, exec_lo, s3
	s_delay_alu instid0(SALU_CYCLE_1)
	s_mov_b32 s4, exec_lo
	s_waitcnt_vscnt null, 0x0
	s_barrier
	buffer_gl0_inv
	v_cmpx_eq_u32_e32 22, v242
	s_cbranch_execz .LBB93_206
; %bb.200:
	ds_store_2addr_b64 v243, v[96:97], v[98:99] offset1:1
	ds_store_2addr_b64 v244, v[92:93], v[94:95] offset0:46 offset1:47
	ds_store_2addr_b64 v244, v[88:89], v[90:91] offset0:48 offset1:49
	;; [unrolled: 1-line block ×24, first 2 shown]
	ds_load_2addr_b64 v[188:191], v243 offset1:1
	s_waitcnt lgkmcnt(0)
	v_cmp_neq_f64_e32 vcc_lo, 0, v[188:189]
	v_cmp_neq_f64_e64 s3, 0, v[190:191]
	s_delay_alu instid0(VALU_DEP_1) | instskip(NEXT) | instid1(SALU_CYCLE_1)
	s_or_b32 s3, vcc_lo, s3
	s_and_b32 exec_lo, exec_lo, s3
	s_cbranch_execz .LBB93_206
; %bb.201:
	v_cmp_gt_f64_e32 vcc_lo, 0, v[188:189]
	v_xor_b32_e32 v192, 0x80000000, v189
	v_xor_b32_e32 v194, 0x80000000, v191
	s_mov_b32 s3, exec_lo
                                        ; implicit-def: $vgpr196_vgpr197
	s_delay_alu instid0(VALU_DEP_2) | instskip(SKIP_4) | instid1(VALU_DEP_1)
	v_cndmask_b32_e32 v193, v189, v192, vcc_lo
	v_cndmask_b32_e32 v192, v188, v188, vcc_lo
	v_cmp_gt_f64_e32 vcc_lo, 0, v[190:191]
	v_cndmask_b32_e32 v195, v191, v194, vcc_lo
	v_cndmask_b32_e32 v194, v190, v190, vcc_lo
	v_cmpx_ngt_f64_e32 v[192:193], v[194:195]
	s_xor_b32 s3, exec_lo, s3
                                        ; implicit-def: $vgpr192_vgpr193_vgpr194_vgpr195
	s_cbranch_execz .LBB93_203
; %bb.202:
	v_div_scale_f64 v[192:193], null, v[190:191], v[190:191], v[188:189]
	v_div_scale_f64 v[198:199], vcc_lo, v[188:189], v[190:191], v[188:189]
	s_delay_alu instid0(VALU_DEP_2) | instskip(SKIP_2) | instid1(VALU_DEP_1)
	v_rcp_f64_e32 v[194:195], v[192:193]
	s_waitcnt_depctr 0xfff
	v_fma_f64 v[196:197], -v[192:193], v[194:195], 1.0
	v_fma_f64 v[194:195], v[194:195], v[196:197], v[194:195]
	s_delay_alu instid0(VALU_DEP_1) | instskip(NEXT) | instid1(VALU_DEP_1)
	v_fma_f64 v[196:197], -v[192:193], v[194:195], 1.0
	v_fma_f64 v[194:195], v[194:195], v[196:197], v[194:195]
	s_delay_alu instid0(VALU_DEP_1) | instskip(NEXT) | instid1(VALU_DEP_1)
	v_mul_f64 v[196:197], v[198:199], v[194:195]
	v_fma_f64 v[192:193], -v[192:193], v[196:197], v[198:199]
	s_delay_alu instid0(VALU_DEP_1) | instskip(NEXT) | instid1(VALU_DEP_1)
	v_div_fmas_f64 v[192:193], v[192:193], v[194:195], v[196:197]
	v_div_fixup_f64 v[192:193], v[192:193], v[190:191], v[188:189]
	s_delay_alu instid0(VALU_DEP_1) | instskip(NEXT) | instid1(VALU_DEP_1)
	v_fma_f64 v[188:189], v[188:189], v[192:193], v[190:191]
	v_div_scale_f64 v[190:191], null, v[188:189], v[188:189], 1.0
	s_delay_alu instid0(VALU_DEP_1) | instskip(SKIP_2) | instid1(VALU_DEP_1)
	v_rcp_f64_e32 v[194:195], v[190:191]
	s_waitcnt_depctr 0xfff
	v_fma_f64 v[196:197], -v[190:191], v[194:195], 1.0
	v_fma_f64 v[194:195], v[194:195], v[196:197], v[194:195]
	s_delay_alu instid0(VALU_DEP_1) | instskip(NEXT) | instid1(VALU_DEP_1)
	v_fma_f64 v[196:197], -v[190:191], v[194:195], 1.0
	v_fma_f64 v[194:195], v[194:195], v[196:197], v[194:195]
	v_div_scale_f64 v[196:197], vcc_lo, 1.0, v[188:189], 1.0
	s_delay_alu instid0(VALU_DEP_1) | instskip(NEXT) | instid1(VALU_DEP_1)
	v_mul_f64 v[198:199], v[196:197], v[194:195]
	v_fma_f64 v[190:191], -v[190:191], v[198:199], v[196:197]
	s_delay_alu instid0(VALU_DEP_1) | instskip(NEXT) | instid1(VALU_DEP_1)
	v_div_fmas_f64 v[190:191], v[190:191], v[194:195], v[198:199]
	v_div_fixup_f64 v[194:195], v[190:191], v[188:189], 1.0
                                        ; implicit-def: $vgpr188_vgpr189
	s_delay_alu instid0(VALU_DEP_1)
	v_mul_f64 v[196:197], v[192:193], v[194:195]
	v_xor_b32_e32 v195, 0x80000000, v195
.LBB93_203:
	s_and_not1_saveexec_b32 s3, s3
	s_cbranch_execz .LBB93_205
; %bb.204:
	v_div_scale_f64 v[192:193], null, v[188:189], v[188:189], v[190:191]
	v_div_scale_f64 v[198:199], vcc_lo, v[190:191], v[188:189], v[190:191]
	s_delay_alu instid0(VALU_DEP_2) | instskip(SKIP_2) | instid1(VALU_DEP_1)
	v_rcp_f64_e32 v[194:195], v[192:193]
	s_waitcnt_depctr 0xfff
	v_fma_f64 v[196:197], -v[192:193], v[194:195], 1.0
	v_fma_f64 v[194:195], v[194:195], v[196:197], v[194:195]
	s_delay_alu instid0(VALU_DEP_1) | instskip(NEXT) | instid1(VALU_DEP_1)
	v_fma_f64 v[196:197], -v[192:193], v[194:195], 1.0
	v_fma_f64 v[194:195], v[194:195], v[196:197], v[194:195]
	s_delay_alu instid0(VALU_DEP_1) | instskip(NEXT) | instid1(VALU_DEP_1)
	v_mul_f64 v[196:197], v[198:199], v[194:195]
	v_fma_f64 v[192:193], -v[192:193], v[196:197], v[198:199]
	s_delay_alu instid0(VALU_DEP_1) | instskip(NEXT) | instid1(VALU_DEP_1)
	v_div_fmas_f64 v[192:193], v[192:193], v[194:195], v[196:197]
	v_div_fixup_f64 v[192:193], v[192:193], v[188:189], v[190:191]
	s_delay_alu instid0(VALU_DEP_1) | instskip(NEXT) | instid1(VALU_DEP_1)
	v_fma_f64 v[188:189], v[190:191], v[192:193], v[188:189]
	v_div_scale_f64 v[190:191], null, v[188:189], v[188:189], 1.0
	s_delay_alu instid0(VALU_DEP_1) | instskip(SKIP_2) | instid1(VALU_DEP_1)
	v_rcp_f64_e32 v[194:195], v[190:191]
	s_waitcnt_depctr 0xfff
	v_fma_f64 v[196:197], -v[190:191], v[194:195], 1.0
	v_fma_f64 v[194:195], v[194:195], v[196:197], v[194:195]
	s_delay_alu instid0(VALU_DEP_1) | instskip(NEXT) | instid1(VALU_DEP_1)
	v_fma_f64 v[196:197], -v[190:191], v[194:195], 1.0
	v_fma_f64 v[194:195], v[194:195], v[196:197], v[194:195]
	v_div_scale_f64 v[196:197], vcc_lo, 1.0, v[188:189], 1.0
	s_delay_alu instid0(VALU_DEP_1) | instskip(NEXT) | instid1(VALU_DEP_1)
	v_mul_f64 v[198:199], v[196:197], v[194:195]
	v_fma_f64 v[190:191], -v[190:191], v[198:199], v[196:197]
	s_delay_alu instid0(VALU_DEP_1) | instskip(NEXT) | instid1(VALU_DEP_1)
	v_div_fmas_f64 v[190:191], v[190:191], v[194:195], v[198:199]
	v_div_fixup_f64 v[196:197], v[190:191], v[188:189], 1.0
	s_delay_alu instid0(VALU_DEP_1)
	v_mul_f64 v[194:195], v[192:193], -v[196:197]
.LBB93_205:
	s_or_b32 exec_lo, exec_lo, s3
	ds_store_2addr_b64 v243, v[196:197], v[194:195] offset1:1
.LBB93_206:
	s_or_b32 exec_lo, exec_lo, s4
	s_waitcnt lgkmcnt(0)
	s_barrier
	buffer_gl0_inv
	ds_load_2addr_b64 v[188:191], v243 offset1:1
	s_mov_b32 s3, exec_lo
	s_waitcnt lgkmcnt(0)
	scratch_store_b128 off, v[188:191], off offset:696 ; 16-byte Folded Spill
	v_cmpx_lt_u32_e32 22, v242
	s_cbranch_execz .LBB93_208
; %bb.207:
	scratch_load_b128 v[190:193], off, off offset:696 ; 16-byte Folded Reload
	s_waitcnt vmcnt(0)
	v_mul_f64 v[188:189], v[192:193], v[98:99]
	v_mul_f64 v[98:99], v[190:191], v[98:99]
	s_delay_alu instid0(VALU_DEP_2) | instskip(NEXT) | instid1(VALU_DEP_2)
	v_fma_f64 v[188:189], v[190:191], v[96:97], -v[188:189]
	v_fma_f64 v[98:99], v[192:193], v[96:97], v[98:99]
	ds_load_2addr_b64 v[190:193], v244 offset0:46 offset1:47
	s_waitcnt lgkmcnt(0)
	v_mul_f64 v[96:97], v[192:193], v[98:99]
	s_delay_alu instid0(VALU_DEP_1) | instskip(SKIP_1) | instid1(VALU_DEP_2)
	v_fma_f64 v[96:97], v[190:191], v[188:189], -v[96:97]
	v_mul_f64 v[190:191], v[190:191], v[98:99]
	v_add_f64 v[92:93], v[92:93], -v[96:97]
	s_delay_alu instid0(VALU_DEP_2) | instskip(NEXT) | instid1(VALU_DEP_1)
	v_fma_f64 v[190:191], v[192:193], v[188:189], v[190:191]
	v_add_f64 v[94:95], v[94:95], -v[190:191]
	ds_load_2addr_b64 v[190:193], v244 offset0:48 offset1:49
	s_waitcnt lgkmcnt(0)
	v_mul_f64 v[96:97], v[192:193], v[98:99]
	s_delay_alu instid0(VALU_DEP_1) | instskip(SKIP_1) | instid1(VALU_DEP_2)
	v_fma_f64 v[96:97], v[190:191], v[188:189], -v[96:97]
	v_mul_f64 v[190:191], v[190:191], v[98:99]
	v_add_f64 v[88:89], v[88:89], -v[96:97]
	s_delay_alu instid0(VALU_DEP_2) | instskip(NEXT) | instid1(VALU_DEP_1)
	v_fma_f64 v[190:191], v[192:193], v[188:189], v[190:191]
	v_add_f64 v[90:91], v[90:91], -v[190:191]
	;; [unrolled: 10-line block ×23, first 2 shown]
	ds_load_2addr_b64 v[190:193], v244 offset0:92 offset1:93
	s_waitcnt lgkmcnt(0)
	v_mul_f64 v[96:97], v[192:193], v[98:99]
	s_delay_alu instid0(VALU_DEP_1) | instskip(SKIP_1) | instid1(VALU_DEP_2)
	v_fma_f64 v[96:97], v[190:191], v[188:189], -v[96:97]
	v_mul_f64 v[190:191], v[190:191], v[98:99]
	v_add_f64 v[0:1], v[0:1], -v[96:97]
	s_delay_alu instid0(VALU_DEP_2) | instskip(SKIP_1) | instid1(VALU_DEP_2)
	v_fma_f64 v[190:191], v[192:193], v[188:189], v[190:191]
	v_dual_mov_b32 v96, v188 :: v_dual_mov_b32 v97, v189
	v_add_f64 v[2:3], v[2:3], -v[190:191]
.LBB93_208:
	s_or_b32 exec_lo, exec_lo, s3
	s_delay_alu instid0(SALU_CYCLE_1)
	s_mov_b32 s4, exec_lo
	s_waitcnt_vscnt null, 0x0
	s_barrier
	buffer_gl0_inv
	v_cmpx_eq_u32_e32 23, v242
	s_cbranch_execz .LBB93_215
; %bb.209:
	ds_store_2addr_b64 v243, v[92:93], v[94:95] offset1:1
	ds_store_2addr_b64 v244, v[88:89], v[90:91] offset0:48 offset1:49
	ds_store_2addr_b64 v244, v[84:85], v[86:87] offset0:50 offset1:51
	;; [unrolled: 1-line block ×23, first 2 shown]
	ds_load_2addr_b64 v[188:191], v243 offset1:1
	s_waitcnt lgkmcnt(0)
	v_cmp_neq_f64_e32 vcc_lo, 0, v[188:189]
	v_cmp_neq_f64_e64 s3, 0, v[190:191]
	s_delay_alu instid0(VALU_DEP_1) | instskip(NEXT) | instid1(SALU_CYCLE_1)
	s_or_b32 s3, vcc_lo, s3
	s_and_b32 exec_lo, exec_lo, s3
	s_cbranch_execz .LBB93_215
; %bb.210:
	v_cmp_gt_f64_e32 vcc_lo, 0, v[188:189]
	v_xor_b32_e32 v192, 0x80000000, v189
	v_xor_b32_e32 v194, 0x80000000, v191
	s_mov_b32 s3, exec_lo
                                        ; implicit-def: $vgpr196_vgpr197
	s_delay_alu instid0(VALU_DEP_2) | instskip(SKIP_4) | instid1(VALU_DEP_1)
	v_cndmask_b32_e32 v193, v189, v192, vcc_lo
	v_cndmask_b32_e32 v192, v188, v188, vcc_lo
	v_cmp_gt_f64_e32 vcc_lo, 0, v[190:191]
	v_cndmask_b32_e32 v195, v191, v194, vcc_lo
	v_cndmask_b32_e32 v194, v190, v190, vcc_lo
	v_cmpx_ngt_f64_e32 v[192:193], v[194:195]
	s_xor_b32 s3, exec_lo, s3
                                        ; implicit-def: $vgpr192_vgpr193_vgpr194_vgpr195
	s_cbranch_execz .LBB93_212
; %bb.211:
	v_div_scale_f64 v[192:193], null, v[190:191], v[190:191], v[188:189]
	v_div_scale_f64 v[198:199], vcc_lo, v[188:189], v[190:191], v[188:189]
	s_delay_alu instid0(VALU_DEP_2) | instskip(SKIP_2) | instid1(VALU_DEP_1)
	v_rcp_f64_e32 v[194:195], v[192:193]
	s_waitcnt_depctr 0xfff
	v_fma_f64 v[196:197], -v[192:193], v[194:195], 1.0
	v_fma_f64 v[194:195], v[194:195], v[196:197], v[194:195]
	s_delay_alu instid0(VALU_DEP_1) | instskip(NEXT) | instid1(VALU_DEP_1)
	v_fma_f64 v[196:197], -v[192:193], v[194:195], 1.0
	v_fma_f64 v[194:195], v[194:195], v[196:197], v[194:195]
	s_delay_alu instid0(VALU_DEP_1) | instskip(NEXT) | instid1(VALU_DEP_1)
	v_mul_f64 v[196:197], v[198:199], v[194:195]
	v_fma_f64 v[192:193], -v[192:193], v[196:197], v[198:199]
	s_delay_alu instid0(VALU_DEP_1) | instskip(NEXT) | instid1(VALU_DEP_1)
	v_div_fmas_f64 v[192:193], v[192:193], v[194:195], v[196:197]
	v_div_fixup_f64 v[192:193], v[192:193], v[190:191], v[188:189]
	s_delay_alu instid0(VALU_DEP_1) | instskip(NEXT) | instid1(VALU_DEP_1)
	v_fma_f64 v[188:189], v[188:189], v[192:193], v[190:191]
	v_div_scale_f64 v[190:191], null, v[188:189], v[188:189], 1.0
	s_delay_alu instid0(VALU_DEP_1) | instskip(SKIP_2) | instid1(VALU_DEP_1)
	v_rcp_f64_e32 v[194:195], v[190:191]
	s_waitcnt_depctr 0xfff
	v_fma_f64 v[196:197], -v[190:191], v[194:195], 1.0
	v_fma_f64 v[194:195], v[194:195], v[196:197], v[194:195]
	s_delay_alu instid0(VALU_DEP_1) | instskip(NEXT) | instid1(VALU_DEP_1)
	v_fma_f64 v[196:197], -v[190:191], v[194:195], 1.0
	v_fma_f64 v[194:195], v[194:195], v[196:197], v[194:195]
	v_div_scale_f64 v[196:197], vcc_lo, 1.0, v[188:189], 1.0
	s_delay_alu instid0(VALU_DEP_1) | instskip(NEXT) | instid1(VALU_DEP_1)
	v_mul_f64 v[198:199], v[196:197], v[194:195]
	v_fma_f64 v[190:191], -v[190:191], v[198:199], v[196:197]
	s_delay_alu instid0(VALU_DEP_1) | instskip(NEXT) | instid1(VALU_DEP_1)
	v_div_fmas_f64 v[190:191], v[190:191], v[194:195], v[198:199]
	v_div_fixup_f64 v[194:195], v[190:191], v[188:189], 1.0
                                        ; implicit-def: $vgpr188_vgpr189
	s_delay_alu instid0(VALU_DEP_1)
	v_mul_f64 v[196:197], v[192:193], v[194:195]
	v_xor_b32_e32 v195, 0x80000000, v195
.LBB93_212:
	s_and_not1_saveexec_b32 s3, s3
	s_cbranch_execz .LBB93_214
; %bb.213:
	v_div_scale_f64 v[192:193], null, v[188:189], v[188:189], v[190:191]
	v_div_scale_f64 v[198:199], vcc_lo, v[190:191], v[188:189], v[190:191]
	s_delay_alu instid0(VALU_DEP_2) | instskip(SKIP_2) | instid1(VALU_DEP_1)
	v_rcp_f64_e32 v[194:195], v[192:193]
	s_waitcnt_depctr 0xfff
	v_fma_f64 v[196:197], -v[192:193], v[194:195], 1.0
	v_fma_f64 v[194:195], v[194:195], v[196:197], v[194:195]
	s_delay_alu instid0(VALU_DEP_1) | instskip(NEXT) | instid1(VALU_DEP_1)
	v_fma_f64 v[196:197], -v[192:193], v[194:195], 1.0
	v_fma_f64 v[194:195], v[194:195], v[196:197], v[194:195]
	s_delay_alu instid0(VALU_DEP_1) | instskip(NEXT) | instid1(VALU_DEP_1)
	v_mul_f64 v[196:197], v[198:199], v[194:195]
	v_fma_f64 v[192:193], -v[192:193], v[196:197], v[198:199]
	s_delay_alu instid0(VALU_DEP_1) | instskip(NEXT) | instid1(VALU_DEP_1)
	v_div_fmas_f64 v[192:193], v[192:193], v[194:195], v[196:197]
	v_div_fixup_f64 v[192:193], v[192:193], v[188:189], v[190:191]
	s_delay_alu instid0(VALU_DEP_1) | instskip(NEXT) | instid1(VALU_DEP_1)
	v_fma_f64 v[188:189], v[190:191], v[192:193], v[188:189]
	v_div_scale_f64 v[190:191], null, v[188:189], v[188:189], 1.0
	s_delay_alu instid0(VALU_DEP_1) | instskip(SKIP_2) | instid1(VALU_DEP_1)
	v_rcp_f64_e32 v[194:195], v[190:191]
	s_waitcnt_depctr 0xfff
	v_fma_f64 v[196:197], -v[190:191], v[194:195], 1.0
	v_fma_f64 v[194:195], v[194:195], v[196:197], v[194:195]
	s_delay_alu instid0(VALU_DEP_1) | instskip(NEXT) | instid1(VALU_DEP_1)
	v_fma_f64 v[196:197], -v[190:191], v[194:195], 1.0
	v_fma_f64 v[194:195], v[194:195], v[196:197], v[194:195]
	v_div_scale_f64 v[196:197], vcc_lo, 1.0, v[188:189], 1.0
	s_delay_alu instid0(VALU_DEP_1) | instskip(NEXT) | instid1(VALU_DEP_1)
	v_mul_f64 v[198:199], v[196:197], v[194:195]
	v_fma_f64 v[190:191], -v[190:191], v[198:199], v[196:197]
	s_delay_alu instid0(VALU_DEP_1) | instskip(NEXT) | instid1(VALU_DEP_1)
	v_div_fmas_f64 v[190:191], v[190:191], v[194:195], v[198:199]
	v_div_fixup_f64 v[196:197], v[190:191], v[188:189], 1.0
	s_delay_alu instid0(VALU_DEP_1)
	v_mul_f64 v[194:195], v[192:193], -v[196:197]
.LBB93_214:
	s_or_b32 exec_lo, exec_lo, s3
	ds_store_2addr_b64 v243, v[196:197], v[194:195] offset1:1
.LBB93_215:
	s_or_b32 exec_lo, exec_lo, s4
	s_waitcnt lgkmcnt(0)
	s_barrier
	buffer_gl0_inv
	ds_load_2addr_b64 v[188:191], v243 offset1:1
	s_mov_b32 s3, exec_lo
	s_waitcnt lgkmcnt(0)
	scratch_store_b128 off, v[188:191], off offset:712 ; 16-byte Folded Spill
	v_cmpx_lt_u32_e32 23, v242
	s_cbranch_execz .LBB93_217
; %bb.216:
	scratch_load_b128 v[190:193], off, off offset:712 ; 16-byte Folded Reload
	s_waitcnt vmcnt(0)
	v_mul_f64 v[188:189], v[192:193], v[94:95]
	v_mul_f64 v[94:95], v[190:191], v[94:95]
	s_delay_alu instid0(VALU_DEP_2) | instskip(NEXT) | instid1(VALU_DEP_2)
	v_fma_f64 v[188:189], v[190:191], v[92:93], -v[188:189]
	v_fma_f64 v[94:95], v[192:193], v[92:93], v[94:95]
	ds_load_2addr_b64 v[190:193], v244 offset0:48 offset1:49
	s_waitcnt lgkmcnt(0)
	v_mul_f64 v[92:93], v[192:193], v[94:95]
	s_delay_alu instid0(VALU_DEP_1) | instskip(SKIP_1) | instid1(VALU_DEP_2)
	v_fma_f64 v[92:93], v[190:191], v[188:189], -v[92:93]
	v_mul_f64 v[190:191], v[190:191], v[94:95]
	v_add_f64 v[88:89], v[88:89], -v[92:93]
	s_delay_alu instid0(VALU_DEP_2) | instskip(NEXT) | instid1(VALU_DEP_1)
	v_fma_f64 v[190:191], v[192:193], v[188:189], v[190:191]
	v_add_f64 v[90:91], v[90:91], -v[190:191]
	ds_load_2addr_b64 v[190:193], v244 offset0:50 offset1:51
	s_waitcnt lgkmcnt(0)
	v_mul_f64 v[92:93], v[192:193], v[94:95]
	s_delay_alu instid0(VALU_DEP_1) | instskip(SKIP_1) | instid1(VALU_DEP_2)
	v_fma_f64 v[92:93], v[190:191], v[188:189], -v[92:93]
	v_mul_f64 v[190:191], v[190:191], v[94:95]
	v_add_f64 v[84:85], v[84:85], -v[92:93]
	s_delay_alu instid0(VALU_DEP_2) | instskip(NEXT) | instid1(VALU_DEP_1)
	v_fma_f64 v[190:191], v[192:193], v[188:189], v[190:191]
	v_add_f64 v[86:87], v[86:87], -v[190:191]
	;; [unrolled: 10-line block ×22, first 2 shown]
	ds_load_2addr_b64 v[190:193], v244 offset0:92 offset1:93
	s_waitcnt lgkmcnt(0)
	v_mul_f64 v[92:93], v[192:193], v[94:95]
	s_delay_alu instid0(VALU_DEP_1) | instskip(SKIP_1) | instid1(VALU_DEP_2)
	v_fma_f64 v[92:93], v[190:191], v[188:189], -v[92:93]
	v_mul_f64 v[190:191], v[190:191], v[94:95]
	v_add_f64 v[0:1], v[0:1], -v[92:93]
	s_delay_alu instid0(VALU_DEP_2) | instskip(SKIP_1) | instid1(VALU_DEP_2)
	v_fma_f64 v[190:191], v[192:193], v[188:189], v[190:191]
	v_dual_mov_b32 v92, v188 :: v_dual_mov_b32 v93, v189
	v_add_f64 v[2:3], v[2:3], -v[190:191]
.LBB93_217:
	s_or_b32 exec_lo, exec_lo, s3
	s_delay_alu instid0(SALU_CYCLE_1)
	s_mov_b32 s4, exec_lo
	s_waitcnt_vscnt null, 0x0
	s_barrier
	buffer_gl0_inv
	v_cmpx_eq_u32_e32 24, v242
	s_cbranch_execz .LBB93_224
; %bb.218:
	ds_store_2addr_b64 v243, v[88:89], v[90:91] offset1:1
	ds_store_2addr_b64 v244, v[84:85], v[86:87] offset0:50 offset1:51
	ds_store_2addr_b64 v244, v[80:81], v[82:83] offset0:52 offset1:53
	;; [unrolled: 1-line block ×22, first 2 shown]
	ds_load_2addr_b64 v[188:191], v243 offset1:1
	s_waitcnt lgkmcnt(0)
	v_cmp_neq_f64_e32 vcc_lo, 0, v[188:189]
	v_cmp_neq_f64_e64 s3, 0, v[190:191]
	s_delay_alu instid0(VALU_DEP_1) | instskip(NEXT) | instid1(SALU_CYCLE_1)
	s_or_b32 s3, vcc_lo, s3
	s_and_b32 exec_lo, exec_lo, s3
	s_cbranch_execz .LBB93_224
; %bb.219:
	v_cmp_gt_f64_e32 vcc_lo, 0, v[188:189]
	v_xor_b32_e32 v192, 0x80000000, v189
	v_xor_b32_e32 v194, 0x80000000, v191
	s_mov_b32 s3, exec_lo
                                        ; implicit-def: $vgpr196_vgpr197
	s_delay_alu instid0(VALU_DEP_2) | instskip(SKIP_4) | instid1(VALU_DEP_1)
	v_cndmask_b32_e32 v193, v189, v192, vcc_lo
	v_cndmask_b32_e32 v192, v188, v188, vcc_lo
	v_cmp_gt_f64_e32 vcc_lo, 0, v[190:191]
	v_cndmask_b32_e32 v195, v191, v194, vcc_lo
	v_cndmask_b32_e32 v194, v190, v190, vcc_lo
	v_cmpx_ngt_f64_e32 v[192:193], v[194:195]
	s_xor_b32 s3, exec_lo, s3
                                        ; implicit-def: $vgpr192_vgpr193_vgpr194_vgpr195
	s_cbranch_execz .LBB93_221
; %bb.220:
	v_div_scale_f64 v[192:193], null, v[190:191], v[190:191], v[188:189]
	v_div_scale_f64 v[198:199], vcc_lo, v[188:189], v[190:191], v[188:189]
	s_delay_alu instid0(VALU_DEP_2) | instskip(SKIP_2) | instid1(VALU_DEP_1)
	v_rcp_f64_e32 v[194:195], v[192:193]
	s_waitcnt_depctr 0xfff
	v_fma_f64 v[196:197], -v[192:193], v[194:195], 1.0
	v_fma_f64 v[194:195], v[194:195], v[196:197], v[194:195]
	s_delay_alu instid0(VALU_DEP_1) | instskip(NEXT) | instid1(VALU_DEP_1)
	v_fma_f64 v[196:197], -v[192:193], v[194:195], 1.0
	v_fma_f64 v[194:195], v[194:195], v[196:197], v[194:195]
	s_delay_alu instid0(VALU_DEP_1) | instskip(NEXT) | instid1(VALU_DEP_1)
	v_mul_f64 v[196:197], v[198:199], v[194:195]
	v_fma_f64 v[192:193], -v[192:193], v[196:197], v[198:199]
	s_delay_alu instid0(VALU_DEP_1) | instskip(NEXT) | instid1(VALU_DEP_1)
	v_div_fmas_f64 v[192:193], v[192:193], v[194:195], v[196:197]
	v_div_fixup_f64 v[192:193], v[192:193], v[190:191], v[188:189]
	s_delay_alu instid0(VALU_DEP_1) | instskip(NEXT) | instid1(VALU_DEP_1)
	v_fma_f64 v[188:189], v[188:189], v[192:193], v[190:191]
	v_div_scale_f64 v[190:191], null, v[188:189], v[188:189], 1.0
	s_delay_alu instid0(VALU_DEP_1) | instskip(SKIP_2) | instid1(VALU_DEP_1)
	v_rcp_f64_e32 v[194:195], v[190:191]
	s_waitcnt_depctr 0xfff
	v_fma_f64 v[196:197], -v[190:191], v[194:195], 1.0
	v_fma_f64 v[194:195], v[194:195], v[196:197], v[194:195]
	s_delay_alu instid0(VALU_DEP_1) | instskip(NEXT) | instid1(VALU_DEP_1)
	v_fma_f64 v[196:197], -v[190:191], v[194:195], 1.0
	v_fma_f64 v[194:195], v[194:195], v[196:197], v[194:195]
	v_div_scale_f64 v[196:197], vcc_lo, 1.0, v[188:189], 1.0
	s_delay_alu instid0(VALU_DEP_1) | instskip(NEXT) | instid1(VALU_DEP_1)
	v_mul_f64 v[198:199], v[196:197], v[194:195]
	v_fma_f64 v[190:191], -v[190:191], v[198:199], v[196:197]
	s_delay_alu instid0(VALU_DEP_1) | instskip(NEXT) | instid1(VALU_DEP_1)
	v_div_fmas_f64 v[190:191], v[190:191], v[194:195], v[198:199]
	v_div_fixup_f64 v[194:195], v[190:191], v[188:189], 1.0
                                        ; implicit-def: $vgpr188_vgpr189
	s_delay_alu instid0(VALU_DEP_1)
	v_mul_f64 v[196:197], v[192:193], v[194:195]
	v_xor_b32_e32 v195, 0x80000000, v195
.LBB93_221:
	s_and_not1_saveexec_b32 s3, s3
	s_cbranch_execz .LBB93_223
; %bb.222:
	v_div_scale_f64 v[192:193], null, v[188:189], v[188:189], v[190:191]
	v_div_scale_f64 v[198:199], vcc_lo, v[190:191], v[188:189], v[190:191]
	s_delay_alu instid0(VALU_DEP_2) | instskip(SKIP_2) | instid1(VALU_DEP_1)
	v_rcp_f64_e32 v[194:195], v[192:193]
	s_waitcnt_depctr 0xfff
	v_fma_f64 v[196:197], -v[192:193], v[194:195], 1.0
	v_fma_f64 v[194:195], v[194:195], v[196:197], v[194:195]
	s_delay_alu instid0(VALU_DEP_1) | instskip(NEXT) | instid1(VALU_DEP_1)
	v_fma_f64 v[196:197], -v[192:193], v[194:195], 1.0
	v_fma_f64 v[194:195], v[194:195], v[196:197], v[194:195]
	s_delay_alu instid0(VALU_DEP_1) | instskip(NEXT) | instid1(VALU_DEP_1)
	v_mul_f64 v[196:197], v[198:199], v[194:195]
	v_fma_f64 v[192:193], -v[192:193], v[196:197], v[198:199]
	s_delay_alu instid0(VALU_DEP_1) | instskip(NEXT) | instid1(VALU_DEP_1)
	v_div_fmas_f64 v[192:193], v[192:193], v[194:195], v[196:197]
	v_div_fixup_f64 v[192:193], v[192:193], v[188:189], v[190:191]
	s_delay_alu instid0(VALU_DEP_1) | instskip(NEXT) | instid1(VALU_DEP_1)
	v_fma_f64 v[188:189], v[190:191], v[192:193], v[188:189]
	v_div_scale_f64 v[190:191], null, v[188:189], v[188:189], 1.0
	s_delay_alu instid0(VALU_DEP_1) | instskip(SKIP_2) | instid1(VALU_DEP_1)
	v_rcp_f64_e32 v[194:195], v[190:191]
	s_waitcnt_depctr 0xfff
	v_fma_f64 v[196:197], -v[190:191], v[194:195], 1.0
	v_fma_f64 v[194:195], v[194:195], v[196:197], v[194:195]
	s_delay_alu instid0(VALU_DEP_1) | instskip(NEXT) | instid1(VALU_DEP_1)
	v_fma_f64 v[196:197], -v[190:191], v[194:195], 1.0
	v_fma_f64 v[194:195], v[194:195], v[196:197], v[194:195]
	v_div_scale_f64 v[196:197], vcc_lo, 1.0, v[188:189], 1.0
	s_delay_alu instid0(VALU_DEP_1) | instskip(NEXT) | instid1(VALU_DEP_1)
	v_mul_f64 v[198:199], v[196:197], v[194:195]
	v_fma_f64 v[190:191], -v[190:191], v[198:199], v[196:197]
	s_delay_alu instid0(VALU_DEP_1) | instskip(NEXT) | instid1(VALU_DEP_1)
	v_div_fmas_f64 v[190:191], v[190:191], v[194:195], v[198:199]
	v_div_fixup_f64 v[196:197], v[190:191], v[188:189], 1.0
	s_delay_alu instid0(VALU_DEP_1)
	v_mul_f64 v[194:195], v[192:193], -v[196:197]
.LBB93_223:
	s_or_b32 exec_lo, exec_lo, s3
	ds_store_2addr_b64 v243, v[196:197], v[194:195] offset1:1
.LBB93_224:
	s_or_b32 exec_lo, exec_lo, s4
	s_waitcnt lgkmcnt(0)
	s_barrier
	buffer_gl0_inv
	ds_load_2addr_b64 v[188:191], v243 offset1:1
	s_mov_b32 s3, exec_lo
	s_waitcnt lgkmcnt(0)
	scratch_store_b128 off, v[188:191], off offset:728 ; 16-byte Folded Spill
	v_cmpx_lt_u32_e32 24, v242
	s_cbranch_execz .LBB93_226
; %bb.225:
	scratch_load_b128 v[190:193], off, off offset:728 ; 16-byte Folded Reload
	s_waitcnt vmcnt(0)
	v_mul_f64 v[188:189], v[192:193], v[90:91]
	v_mul_f64 v[90:91], v[190:191], v[90:91]
	s_delay_alu instid0(VALU_DEP_2) | instskip(NEXT) | instid1(VALU_DEP_2)
	v_fma_f64 v[188:189], v[190:191], v[88:89], -v[188:189]
	v_fma_f64 v[90:91], v[192:193], v[88:89], v[90:91]
	ds_load_2addr_b64 v[190:193], v244 offset0:50 offset1:51
	s_waitcnt lgkmcnt(0)
	v_mul_f64 v[88:89], v[192:193], v[90:91]
	s_delay_alu instid0(VALU_DEP_1) | instskip(SKIP_1) | instid1(VALU_DEP_2)
	v_fma_f64 v[88:89], v[190:191], v[188:189], -v[88:89]
	v_mul_f64 v[190:191], v[190:191], v[90:91]
	v_add_f64 v[84:85], v[84:85], -v[88:89]
	s_delay_alu instid0(VALU_DEP_2) | instskip(NEXT) | instid1(VALU_DEP_1)
	v_fma_f64 v[190:191], v[192:193], v[188:189], v[190:191]
	v_add_f64 v[86:87], v[86:87], -v[190:191]
	ds_load_2addr_b64 v[190:193], v244 offset0:52 offset1:53
	s_waitcnt lgkmcnt(0)
	v_mul_f64 v[88:89], v[192:193], v[90:91]
	s_delay_alu instid0(VALU_DEP_1) | instskip(SKIP_1) | instid1(VALU_DEP_2)
	v_fma_f64 v[88:89], v[190:191], v[188:189], -v[88:89]
	v_mul_f64 v[190:191], v[190:191], v[90:91]
	v_add_f64 v[80:81], v[80:81], -v[88:89]
	s_delay_alu instid0(VALU_DEP_2) | instskip(NEXT) | instid1(VALU_DEP_1)
	v_fma_f64 v[190:191], v[192:193], v[188:189], v[190:191]
	v_add_f64 v[82:83], v[82:83], -v[190:191]
	;; [unrolled: 10-line block ×21, first 2 shown]
	ds_load_2addr_b64 v[190:193], v244 offset0:92 offset1:93
	s_waitcnt lgkmcnt(0)
	v_mul_f64 v[88:89], v[192:193], v[90:91]
	s_delay_alu instid0(VALU_DEP_1) | instskip(SKIP_1) | instid1(VALU_DEP_2)
	v_fma_f64 v[88:89], v[190:191], v[188:189], -v[88:89]
	v_mul_f64 v[190:191], v[190:191], v[90:91]
	v_add_f64 v[0:1], v[0:1], -v[88:89]
	s_delay_alu instid0(VALU_DEP_2) | instskip(SKIP_1) | instid1(VALU_DEP_2)
	v_fma_f64 v[190:191], v[192:193], v[188:189], v[190:191]
	v_dual_mov_b32 v88, v188 :: v_dual_mov_b32 v89, v189
	v_add_f64 v[2:3], v[2:3], -v[190:191]
.LBB93_226:
	s_or_b32 exec_lo, exec_lo, s3
	s_delay_alu instid0(SALU_CYCLE_1)
	s_mov_b32 s4, exec_lo
	s_waitcnt_vscnt null, 0x0
	s_barrier
	buffer_gl0_inv
	v_cmpx_eq_u32_e32 25, v242
	s_cbranch_execz .LBB93_233
; %bb.227:
	ds_store_2addr_b64 v243, v[84:85], v[86:87] offset1:1
	ds_store_2addr_b64 v244, v[80:81], v[82:83] offset0:52 offset1:53
	ds_store_2addr_b64 v244, v[76:77], v[78:79] offset0:54 offset1:55
	;; [unrolled: 1-line block ×21, first 2 shown]
	ds_load_2addr_b64 v[188:191], v243 offset1:1
	s_waitcnt lgkmcnt(0)
	v_cmp_neq_f64_e32 vcc_lo, 0, v[188:189]
	v_cmp_neq_f64_e64 s3, 0, v[190:191]
	s_delay_alu instid0(VALU_DEP_1) | instskip(NEXT) | instid1(SALU_CYCLE_1)
	s_or_b32 s3, vcc_lo, s3
	s_and_b32 exec_lo, exec_lo, s3
	s_cbranch_execz .LBB93_233
; %bb.228:
	v_cmp_gt_f64_e32 vcc_lo, 0, v[188:189]
	v_xor_b32_e32 v192, 0x80000000, v189
	v_xor_b32_e32 v194, 0x80000000, v191
	s_mov_b32 s3, exec_lo
                                        ; implicit-def: $vgpr196_vgpr197
	s_delay_alu instid0(VALU_DEP_2) | instskip(SKIP_4) | instid1(VALU_DEP_1)
	v_cndmask_b32_e32 v193, v189, v192, vcc_lo
	v_cndmask_b32_e32 v192, v188, v188, vcc_lo
	v_cmp_gt_f64_e32 vcc_lo, 0, v[190:191]
	v_cndmask_b32_e32 v195, v191, v194, vcc_lo
	v_cndmask_b32_e32 v194, v190, v190, vcc_lo
	v_cmpx_ngt_f64_e32 v[192:193], v[194:195]
	s_xor_b32 s3, exec_lo, s3
                                        ; implicit-def: $vgpr192_vgpr193_vgpr194_vgpr195
	s_cbranch_execz .LBB93_230
; %bb.229:
	v_div_scale_f64 v[192:193], null, v[190:191], v[190:191], v[188:189]
	v_div_scale_f64 v[198:199], vcc_lo, v[188:189], v[190:191], v[188:189]
	s_delay_alu instid0(VALU_DEP_2) | instskip(SKIP_2) | instid1(VALU_DEP_1)
	v_rcp_f64_e32 v[194:195], v[192:193]
	s_waitcnt_depctr 0xfff
	v_fma_f64 v[196:197], -v[192:193], v[194:195], 1.0
	v_fma_f64 v[194:195], v[194:195], v[196:197], v[194:195]
	s_delay_alu instid0(VALU_DEP_1) | instskip(NEXT) | instid1(VALU_DEP_1)
	v_fma_f64 v[196:197], -v[192:193], v[194:195], 1.0
	v_fma_f64 v[194:195], v[194:195], v[196:197], v[194:195]
	s_delay_alu instid0(VALU_DEP_1) | instskip(NEXT) | instid1(VALU_DEP_1)
	v_mul_f64 v[196:197], v[198:199], v[194:195]
	v_fma_f64 v[192:193], -v[192:193], v[196:197], v[198:199]
	s_delay_alu instid0(VALU_DEP_1) | instskip(NEXT) | instid1(VALU_DEP_1)
	v_div_fmas_f64 v[192:193], v[192:193], v[194:195], v[196:197]
	v_div_fixup_f64 v[192:193], v[192:193], v[190:191], v[188:189]
	s_delay_alu instid0(VALU_DEP_1) | instskip(NEXT) | instid1(VALU_DEP_1)
	v_fma_f64 v[188:189], v[188:189], v[192:193], v[190:191]
	v_div_scale_f64 v[190:191], null, v[188:189], v[188:189], 1.0
	s_delay_alu instid0(VALU_DEP_1) | instskip(SKIP_2) | instid1(VALU_DEP_1)
	v_rcp_f64_e32 v[194:195], v[190:191]
	s_waitcnt_depctr 0xfff
	v_fma_f64 v[196:197], -v[190:191], v[194:195], 1.0
	v_fma_f64 v[194:195], v[194:195], v[196:197], v[194:195]
	s_delay_alu instid0(VALU_DEP_1) | instskip(NEXT) | instid1(VALU_DEP_1)
	v_fma_f64 v[196:197], -v[190:191], v[194:195], 1.0
	v_fma_f64 v[194:195], v[194:195], v[196:197], v[194:195]
	v_div_scale_f64 v[196:197], vcc_lo, 1.0, v[188:189], 1.0
	s_delay_alu instid0(VALU_DEP_1) | instskip(NEXT) | instid1(VALU_DEP_1)
	v_mul_f64 v[198:199], v[196:197], v[194:195]
	v_fma_f64 v[190:191], -v[190:191], v[198:199], v[196:197]
	s_delay_alu instid0(VALU_DEP_1) | instskip(NEXT) | instid1(VALU_DEP_1)
	v_div_fmas_f64 v[190:191], v[190:191], v[194:195], v[198:199]
	v_div_fixup_f64 v[194:195], v[190:191], v[188:189], 1.0
                                        ; implicit-def: $vgpr188_vgpr189
	s_delay_alu instid0(VALU_DEP_1)
	v_mul_f64 v[196:197], v[192:193], v[194:195]
	v_xor_b32_e32 v195, 0x80000000, v195
.LBB93_230:
	s_and_not1_saveexec_b32 s3, s3
	s_cbranch_execz .LBB93_232
; %bb.231:
	v_div_scale_f64 v[192:193], null, v[188:189], v[188:189], v[190:191]
	v_div_scale_f64 v[198:199], vcc_lo, v[190:191], v[188:189], v[190:191]
	s_delay_alu instid0(VALU_DEP_2) | instskip(SKIP_2) | instid1(VALU_DEP_1)
	v_rcp_f64_e32 v[194:195], v[192:193]
	s_waitcnt_depctr 0xfff
	v_fma_f64 v[196:197], -v[192:193], v[194:195], 1.0
	v_fma_f64 v[194:195], v[194:195], v[196:197], v[194:195]
	s_delay_alu instid0(VALU_DEP_1) | instskip(NEXT) | instid1(VALU_DEP_1)
	v_fma_f64 v[196:197], -v[192:193], v[194:195], 1.0
	v_fma_f64 v[194:195], v[194:195], v[196:197], v[194:195]
	s_delay_alu instid0(VALU_DEP_1) | instskip(NEXT) | instid1(VALU_DEP_1)
	v_mul_f64 v[196:197], v[198:199], v[194:195]
	v_fma_f64 v[192:193], -v[192:193], v[196:197], v[198:199]
	s_delay_alu instid0(VALU_DEP_1) | instskip(NEXT) | instid1(VALU_DEP_1)
	v_div_fmas_f64 v[192:193], v[192:193], v[194:195], v[196:197]
	v_div_fixup_f64 v[192:193], v[192:193], v[188:189], v[190:191]
	s_delay_alu instid0(VALU_DEP_1) | instskip(NEXT) | instid1(VALU_DEP_1)
	v_fma_f64 v[188:189], v[190:191], v[192:193], v[188:189]
	v_div_scale_f64 v[190:191], null, v[188:189], v[188:189], 1.0
	s_delay_alu instid0(VALU_DEP_1) | instskip(SKIP_2) | instid1(VALU_DEP_1)
	v_rcp_f64_e32 v[194:195], v[190:191]
	s_waitcnt_depctr 0xfff
	v_fma_f64 v[196:197], -v[190:191], v[194:195], 1.0
	v_fma_f64 v[194:195], v[194:195], v[196:197], v[194:195]
	s_delay_alu instid0(VALU_DEP_1) | instskip(NEXT) | instid1(VALU_DEP_1)
	v_fma_f64 v[196:197], -v[190:191], v[194:195], 1.0
	v_fma_f64 v[194:195], v[194:195], v[196:197], v[194:195]
	v_div_scale_f64 v[196:197], vcc_lo, 1.0, v[188:189], 1.0
	s_delay_alu instid0(VALU_DEP_1) | instskip(NEXT) | instid1(VALU_DEP_1)
	v_mul_f64 v[198:199], v[196:197], v[194:195]
	v_fma_f64 v[190:191], -v[190:191], v[198:199], v[196:197]
	s_delay_alu instid0(VALU_DEP_1) | instskip(NEXT) | instid1(VALU_DEP_1)
	v_div_fmas_f64 v[190:191], v[190:191], v[194:195], v[198:199]
	v_div_fixup_f64 v[196:197], v[190:191], v[188:189], 1.0
	s_delay_alu instid0(VALU_DEP_1)
	v_mul_f64 v[194:195], v[192:193], -v[196:197]
.LBB93_232:
	s_or_b32 exec_lo, exec_lo, s3
	ds_store_2addr_b64 v243, v[196:197], v[194:195] offset1:1
.LBB93_233:
	s_or_b32 exec_lo, exec_lo, s4
	s_waitcnt lgkmcnt(0)
	s_barrier
	buffer_gl0_inv
	ds_load_2addr_b64 v[188:191], v243 offset1:1
	s_mov_b32 s3, exec_lo
	s_waitcnt lgkmcnt(0)
	scratch_store_b128 off, v[188:191], off offset:744 ; 16-byte Folded Spill
	v_cmpx_lt_u32_e32 25, v242
	s_cbranch_execz .LBB93_235
; %bb.234:
	scratch_load_b128 v[190:193], off, off offset:744 ; 16-byte Folded Reload
	s_waitcnt vmcnt(0)
	v_mul_f64 v[188:189], v[192:193], v[86:87]
	v_mul_f64 v[86:87], v[190:191], v[86:87]
	s_delay_alu instid0(VALU_DEP_2) | instskip(NEXT) | instid1(VALU_DEP_2)
	v_fma_f64 v[188:189], v[190:191], v[84:85], -v[188:189]
	v_fma_f64 v[86:87], v[192:193], v[84:85], v[86:87]
	ds_load_2addr_b64 v[190:193], v244 offset0:52 offset1:53
	s_waitcnt lgkmcnt(0)
	v_mul_f64 v[84:85], v[192:193], v[86:87]
	s_delay_alu instid0(VALU_DEP_1) | instskip(SKIP_1) | instid1(VALU_DEP_2)
	v_fma_f64 v[84:85], v[190:191], v[188:189], -v[84:85]
	v_mul_f64 v[190:191], v[190:191], v[86:87]
	v_add_f64 v[80:81], v[80:81], -v[84:85]
	s_delay_alu instid0(VALU_DEP_2) | instskip(NEXT) | instid1(VALU_DEP_1)
	v_fma_f64 v[190:191], v[192:193], v[188:189], v[190:191]
	v_add_f64 v[82:83], v[82:83], -v[190:191]
	ds_load_2addr_b64 v[190:193], v244 offset0:54 offset1:55
	s_waitcnt lgkmcnt(0)
	v_mul_f64 v[84:85], v[192:193], v[86:87]
	s_delay_alu instid0(VALU_DEP_1) | instskip(SKIP_1) | instid1(VALU_DEP_2)
	v_fma_f64 v[84:85], v[190:191], v[188:189], -v[84:85]
	v_mul_f64 v[190:191], v[190:191], v[86:87]
	v_add_f64 v[76:77], v[76:77], -v[84:85]
	s_delay_alu instid0(VALU_DEP_2) | instskip(NEXT) | instid1(VALU_DEP_1)
	v_fma_f64 v[190:191], v[192:193], v[188:189], v[190:191]
	v_add_f64 v[78:79], v[78:79], -v[190:191]
	;; [unrolled: 10-line block ×20, first 2 shown]
	ds_load_2addr_b64 v[190:193], v244 offset0:92 offset1:93
	s_waitcnt lgkmcnt(0)
	v_mul_f64 v[84:85], v[192:193], v[86:87]
	s_delay_alu instid0(VALU_DEP_1) | instskip(SKIP_1) | instid1(VALU_DEP_2)
	v_fma_f64 v[84:85], v[190:191], v[188:189], -v[84:85]
	v_mul_f64 v[190:191], v[190:191], v[86:87]
	v_add_f64 v[0:1], v[0:1], -v[84:85]
	s_delay_alu instid0(VALU_DEP_2) | instskip(SKIP_1) | instid1(VALU_DEP_2)
	v_fma_f64 v[190:191], v[192:193], v[188:189], v[190:191]
	v_dual_mov_b32 v84, v188 :: v_dual_mov_b32 v85, v189
	v_add_f64 v[2:3], v[2:3], -v[190:191]
.LBB93_235:
	s_or_b32 exec_lo, exec_lo, s3
	s_delay_alu instid0(SALU_CYCLE_1)
	s_mov_b32 s4, exec_lo
	s_waitcnt_vscnt null, 0x0
	s_barrier
	buffer_gl0_inv
	v_cmpx_eq_u32_e32 26, v242
	s_cbranch_execz .LBB93_242
; %bb.236:
	ds_store_2addr_b64 v243, v[80:81], v[82:83] offset1:1
	ds_store_2addr_b64 v244, v[76:77], v[78:79] offset0:54 offset1:55
	ds_store_2addr_b64 v244, v[72:73], v[74:75] offset0:56 offset1:57
	;; [unrolled: 1-line block ×20, first 2 shown]
	ds_load_2addr_b64 v[188:191], v243 offset1:1
	s_waitcnt lgkmcnt(0)
	v_cmp_neq_f64_e32 vcc_lo, 0, v[188:189]
	v_cmp_neq_f64_e64 s3, 0, v[190:191]
	s_delay_alu instid0(VALU_DEP_1) | instskip(NEXT) | instid1(SALU_CYCLE_1)
	s_or_b32 s3, vcc_lo, s3
	s_and_b32 exec_lo, exec_lo, s3
	s_cbranch_execz .LBB93_242
; %bb.237:
	v_cmp_gt_f64_e32 vcc_lo, 0, v[188:189]
	v_xor_b32_e32 v192, 0x80000000, v189
	v_xor_b32_e32 v194, 0x80000000, v191
	s_mov_b32 s3, exec_lo
                                        ; implicit-def: $vgpr196_vgpr197
	s_delay_alu instid0(VALU_DEP_2) | instskip(SKIP_4) | instid1(VALU_DEP_1)
	v_cndmask_b32_e32 v193, v189, v192, vcc_lo
	v_cndmask_b32_e32 v192, v188, v188, vcc_lo
	v_cmp_gt_f64_e32 vcc_lo, 0, v[190:191]
	v_cndmask_b32_e32 v195, v191, v194, vcc_lo
	v_cndmask_b32_e32 v194, v190, v190, vcc_lo
	v_cmpx_ngt_f64_e32 v[192:193], v[194:195]
	s_xor_b32 s3, exec_lo, s3
                                        ; implicit-def: $vgpr192_vgpr193_vgpr194_vgpr195
	s_cbranch_execz .LBB93_239
; %bb.238:
	v_div_scale_f64 v[192:193], null, v[190:191], v[190:191], v[188:189]
	v_div_scale_f64 v[198:199], vcc_lo, v[188:189], v[190:191], v[188:189]
	s_delay_alu instid0(VALU_DEP_2) | instskip(SKIP_2) | instid1(VALU_DEP_1)
	v_rcp_f64_e32 v[194:195], v[192:193]
	s_waitcnt_depctr 0xfff
	v_fma_f64 v[196:197], -v[192:193], v[194:195], 1.0
	v_fma_f64 v[194:195], v[194:195], v[196:197], v[194:195]
	s_delay_alu instid0(VALU_DEP_1) | instskip(NEXT) | instid1(VALU_DEP_1)
	v_fma_f64 v[196:197], -v[192:193], v[194:195], 1.0
	v_fma_f64 v[194:195], v[194:195], v[196:197], v[194:195]
	s_delay_alu instid0(VALU_DEP_1) | instskip(NEXT) | instid1(VALU_DEP_1)
	v_mul_f64 v[196:197], v[198:199], v[194:195]
	v_fma_f64 v[192:193], -v[192:193], v[196:197], v[198:199]
	s_delay_alu instid0(VALU_DEP_1) | instskip(NEXT) | instid1(VALU_DEP_1)
	v_div_fmas_f64 v[192:193], v[192:193], v[194:195], v[196:197]
	v_div_fixup_f64 v[192:193], v[192:193], v[190:191], v[188:189]
	s_delay_alu instid0(VALU_DEP_1) | instskip(NEXT) | instid1(VALU_DEP_1)
	v_fma_f64 v[188:189], v[188:189], v[192:193], v[190:191]
	v_div_scale_f64 v[190:191], null, v[188:189], v[188:189], 1.0
	s_delay_alu instid0(VALU_DEP_1) | instskip(SKIP_2) | instid1(VALU_DEP_1)
	v_rcp_f64_e32 v[194:195], v[190:191]
	s_waitcnt_depctr 0xfff
	v_fma_f64 v[196:197], -v[190:191], v[194:195], 1.0
	v_fma_f64 v[194:195], v[194:195], v[196:197], v[194:195]
	s_delay_alu instid0(VALU_DEP_1) | instskip(NEXT) | instid1(VALU_DEP_1)
	v_fma_f64 v[196:197], -v[190:191], v[194:195], 1.0
	v_fma_f64 v[194:195], v[194:195], v[196:197], v[194:195]
	v_div_scale_f64 v[196:197], vcc_lo, 1.0, v[188:189], 1.0
	s_delay_alu instid0(VALU_DEP_1) | instskip(NEXT) | instid1(VALU_DEP_1)
	v_mul_f64 v[198:199], v[196:197], v[194:195]
	v_fma_f64 v[190:191], -v[190:191], v[198:199], v[196:197]
	s_delay_alu instid0(VALU_DEP_1) | instskip(NEXT) | instid1(VALU_DEP_1)
	v_div_fmas_f64 v[190:191], v[190:191], v[194:195], v[198:199]
	v_div_fixup_f64 v[194:195], v[190:191], v[188:189], 1.0
                                        ; implicit-def: $vgpr188_vgpr189
	s_delay_alu instid0(VALU_DEP_1)
	v_mul_f64 v[196:197], v[192:193], v[194:195]
	v_xor_b32_e32 v195, 0x80000000, v195
.LBB93_239:
	s_and_not1_saveexec_b32 s3, s3
	s_cbranch_execz .LBB93_241
; %bb.240:
	v_div_scale_f64 v[192:193], null, v[188:189], v[188:189], v[190:191]
	v_div_scale_f64 v[198:199], vcc_lo, v[190:191], v[188:189], v[190:191]
	s_delay_alu instid0(VALU_DEP_2) | instskip(SKIP_2) | instid1(VALU_DEP_1)
	v_rcp_f64_e32 v[194:195], v[192:193]
	s_waitcnt_depctr 0xfff
	v_fma_f64 v[196:197], -v[192:193], v[194:195], 1.0
	v_fma_f64 v[194:195], v[194:195], v[196:197], v[194:195]
	s_delay_alu instid0(VALU_DEP_1) | instskip(NEXT) | instid1(VALU_DEP_1)
	v_fma_f64 v[196:197], -v[192:193], v[194:195], 1.0
	v_fma_f64 v[194:195], v[194:195], v[196:197], v[194:195]
	s_delay_alu instid0(VALU_DEP_1) | instskip(NEXT) | instid1(VALU_DEP_1)
	v_mul_f64 v[196:197], v[198:199], v[194:195]
	v_fma_f64 v[192:193], -v[192:193], v[196:197], v[198:199]
	s_delay_alu instid0(VALU_DEP_1) | instskip(NEXT) | instid1(VALU_DEP_1)
	v_div_fmas_f64 v[192:193], v[192:193], v[194:195], v[196:197]
	v_div_fixup_f64 v[192:193], v[192:193], v[188:189], v[190:191]
	s_delay_alu instid0(VALU_DEP_1) | instskip(NEXT) | instid1(VALU_DEP_1)
	v_fma_f64 v[188:189], v[190:191], v[192:193], v[188:189]
	v_div_scale_f64 v[190:191], null, v[188:189], v[188:189], 1.0
	s_delay_alu instid0(VALU_DEP_1) | instskip(SKIP_2) | instid1(VALU_DEP_1)
	v_rcp_f64_e32 v[194:195], v[190:191]
	s_waitcnt_depctr 0xfff
	v_fma_f64 v[196:197], -v[190:191], v[194:195], 1.0
	v_fma_f64 v[194:195], v[194:195], v[196:197], v[194:195]
	s_delay_alu instid0(VALU_DEP_1) | instskip(NEXT) | instid1(VALU_DEP_1)
	v_fma_f64 v[196:197], -v[190:191], v[194:195], 1.0
	v_fma_f64 v[194:195], v[194:195], v[196:197], v[194:195]
	v_div_scale_f64 v[196:197], vcc_lo, 1.0, v[188:189], 1.0
	s_delay_alu instid0(VALU_DEP_1) | instskip(NEXT) | instid1(VALU_DEP_1)
	v_mul_f64 v[198:199], v[196:197], v[194:195]
	v_fma_f64 v[190:191], -v[190:191], v[198:199], v[196:197]
	s_delay_alu instid0(VALU_DEP_1) | instskip(NEXT) | instid1(VALU_DEP_1)
	v_div_fmas_f64 v[190:191], v[190:191], v[194:195], v[198:199]
	v_div_fixup_f64 v[196:197], v[190:191], v[188:189], 1.0
	s_delay_alu instid0(VALU_DEP_1)
	v_mul_f64 v[194:195], v[192:193], -v[196:197]
.LBB93_241:
	s_or_b32 exec_lo, exec_lo, s3
	ds_store_2addr_b64 v243, v[196:197], v[194:195] offset1:1
.LBB93_242:
	s_or_b32 exec_lo, exec_lo, s4
	s_waitcnt lgkmcnt(0)
	s_barrier
	buffer_gl0_inv
	ds_load_2addr_b64 v[188:191], v243 offset1:1
	s_mov_b32 s3, exec_lo
	s_waitcnt lgkmcnt(0)
	scratch_store_b128 off, v[188:191], off offset:760 ; 16-byte Folded Spill
	v_cmpx_lt_u32_e32 26, v242
	s_cbranch_execz .LBB93_244
; %bb.243:
	scratch_load_b128 v[190:193], off, off offset:760 ; 16-byte Folded Reload
	s_waitcnt vmcnt(0)
	v_mul_f64 v[188:189], v[192:193], v[82:83]
	v_mul_f64 v[82:83], v[190:191], v[82:83]
	s_delay_alu instid0(VALU_DEP_2) | instskip(NEXT) | instid1(VALU_DEP_2)
	v_fma_f64 v[188:189], v[190:191], v[80:81], -v[188:189]
	v_fma_f64 v[82:83], v[192:193], v[80:81], v[82:83]
	ds_load_2addr_b64 v[190:193], v244 offset0:54 offset1:55
	s_waitcnt lgkmcnt(0)
	v_mul_f64 v[80:81], v[192:193], v[82:83]
	s_delay_alu instid0(VALU_DEP_1) | instskip(SKIP_1) | instid1(VALU_DEP_2)
	v_fma_f64 v[80:81], v[190:191], v[188:189], -v[80:81]
	v_mul_f64 v[190:191], v[190:191], v[82:83]
	v_add_f64 v[76:77], v[76:77], -v[80:81]
	s_delay_alu instid0(VALU_DEP_2) | instskip(NEXT) | instid1(VALU_DEP_1)
	v_fma_f64 v[190:191], v[192:193], v[188:189], v[190:191]
	v_add_f64 v[78:79], v[78:79], -v[190:191]
	ds_load_2addr_b64 v[190:193], v244 offset0:56 offset1:57
	s_waitcnt lgkmcnt(0)
	v_mul_f64 v[80:81], v[192:193], v[82:83]
	s_delay_alu instid0(VALU_DEP_1) | instskip(SKIP_1) | instid1(VALU_DEP_2)
	v_fma_f64 v[80:81], v[190:191], v[188:189], -v[80:81]
	v_mul_f64 v[190:191], v[190:191], v[82:83]
	v_add_f64 v[72:73], v[72:73], -v[80:81]
	s_delay_alu instid0(VALU_DEP_2) | instskip(NEXT) | instid1(VALU_DEP_1)
	v_fma_f64 v[190:191], v[192:193], v[188:189], v[190:191]
	v_add_f64 v[74:75], v[74:75], -v[190:191]
	;; [unrolled: 10-line block ×19, first 2 shown]
	ds_load_2addr_b64 v[190:193], v244 offset0:92 offset1:93
	s_waitcnt lgkmcnt(0)
	v_mul_f64 v[80:81], v[192:193], v[82:83]
	s_delay_alu instid0(VALU_DEP_1) | instskip(SKIP_1) | instid1(VALU_DEP_2)
	v_fma_f64 v[80:81], v[190:191], v[188:189], -v[80:81]
	v_mul_f64 v[190:191], v[190:191], v[82:83]
	v_add_f64 v[0:1], v[0:1], -v[80:81]
	s_delay_alu instid0(VALU_DEP_2) | instskip(SKIP_1) | instid1(VALU_DEP_2)
	v_fma_f64 v[190:191], v[192:193], v[188:189], v[190:191]
	v_dual_mov_b32 v80, v188 :: v_dual_mov_b32 v81, v189
	v_add_f64 v[2:3], v[2:3], -v[190:191]
.LBB93_244:
	s_or_b32 exec_lo, exec_lo, s3
	s_delay_alu instid0(SALU_CYCLE_1)
	s_mov_b32 s4, exec_lo
	s_waitcnt_vscnt null, 0x0
	s_barrier
	buffer_gl0_inv
	v_cmpx_eq_u32_e32 27, v242
	s_cbranch_execz .LBB93_251
; %bb.245:
	ds_store_2addr_b64 v243, v[76:77], v[78:79] offset1:1
	ds_store_2addr_b64 v244, v[72:73], v[74:75] offset0:56 offset1:57
	ds_store_2addr_b64 v244, v[68:69], v[70:71] offset0:58 offset1:59
	;; [unrolled: 1-line block ×19, first 2 shown]
	ds_load_2addr_b64 v[188:191], v243 offset1:1
	s_waitcnt lgkmcnt(0)
	v_cmp_neq_f64_e32 vcc_lo, 0, v[188:189]
	v_cmp_neq_f64_e64 s3, 0, v[190:191]
	s_delay_alu instid0(VALU_DEP_1) | instskip(NEXT) | instid1(SALU_CYCLE_1)
	s_or_b32 s3, vcc_lo, s3
	s_and_b32 exec_lo, exec_lo, s3
	s_cbranch_execz .LBB93_251
; %bb.246:
	v_cmp_gt_f64_e32 vcc_lo, 0, v[188:189]
	v_xor_b32_e32 v192, 0x80000000, v189
	v_xor_b32_e32 v194, 0x80000000, v191
	s_mov_b32 s3, exec_lo
                                        ; implicit-def: $vgpr196_vgpr197
	s_delay_alu instid0(VALU_DEP_2) | instskip(SKIP_4) | instid1(VALU_DEP_1)
	v_cndmask_b32_e32 v193, v189, v192, vcc_lo
	v_cndmask_b32_e32 v192, v188, v188, vcc_lo
	v_cmp_gt_f64_e32 vcc_lo, 0, v[190:191]
	v_cndmask_b32_e32 v195, v191, v194, vcc_lo
	v_cndmask_b32_e32 v194, v190, v190, vcc_lo
	v_cmpx_ngt_f64_e32 v[192:193], v[194:195]
	s_xor_b32 s3, exec_lo, s3
                                        ; implicit-def: $vgpr192_vgpr193_vgpr194_vgpr195
	s_cbranch_execz .LBB93_248
; %bb.247:
	v_div_scale_f64 v[192:193], null, v[190:191], v[190:191], v[188:189]
	v_div_scale_f64 v[198:199], vcc_lo, v[188:189], v[190:191], v[188:189]
	s_delay_alu instid0(VALU_DEP_2) | instskip(SKIP_2) | instid1(VALU_DEP_1)
	v_rcp_f64_e32 v[194:195], v[192:193]
	s_waitcnt_depctr 0xfff
	v_fma_f64 v[196:197], -v[192:193], v[194:195], 1.0
	v_fma_f64 v[194:195], v[194:195], v[196:197], v[194:195]
	s_delay_alu instid0(VALU_DEP_1) | instskip(NEXT) | instid1(VALU_DEP_1)
	v_fma_f64 v[196:197], -v[192:193], v[194:195], 1.0
	v_fma_f64 v[194:195], v[194:195], v[196:197], v[194:195]
	s_delay_alu instid0(VALU_DEP_1) | instskip(NEXT) | instid1(VALU_DEP_1)
	v_mul_f64 v[196:197], v[198:199], v[194:195]
	v_fma_f64 v[192:193], -v[192:193], v[196:197], v[198:199]
	s_delay_alu instid0(VALU_DEP_1) | instskip(NEXT) | instid1(VALU_DEP_1)
	v_div_fmas_f64 v[192:193], v[192:193], v[194:195], v[196:197]
	v_div_fixup_f64 v[192:193], v[192:193], v[190:191], v[188:189]
	s_delay_alu instid0(VALU_DEP_1) | instskip(NEXT) | instid1(VALU_DEP_1)
	v_fma_f64 v[188:189], v[188:189], v[192:193], v[190:191]
	v_div_scale_f64 v[190:191], null, v[188:189], v[188:189], 1.0
	s_delay_alu instid0(VALU_DEP_1) | instskip(SKIP_2) | instid1(VALU_DEP_1)
	v_rcp_f64_e32 v[194:195], v[190:191]
	s_waitcnt_depctr 0xfff
	v_fma_f64 v[196:197], -v[190:191], v[194:195], 1.0
	v_fma_f64 v[194:195], v[194:195], v[196:197], v[194:195]
	s_delay_alu instid0(VALU_DEP_1) | instskip(NEXT) | instid1(VALU_DEP_1)
	v_fma_f64 v[196:197], -v[190:191], v[194:195], 1.0
	v_fma_f64 v[194:195], v[194:195], v[196:197], v[194:195]
	v_div_scale_f64 v[196:197], vcc_lo, 1.0, v[188:189], 1.0
	s_delay_alu instid0(VALU_DEP_1) | instskip(NEXT) | instid1(VALU_DEP_1)
	v_mul_f64 v[198:199], v[196:197], v[194:195]
	v_fma_f64 v[190:191], -v[190:191], v[198:199], v[196:197]
	s_delay_alu instid0(VALU_DEP_1) | instskip(NEXT) | instid1(VALU_DEP_1)
	v_div_fmas_f64 v[190:191], v[190:191], v[194:195], v[198:199]
	v_div_fixup_f64 v[194:195], v[190:191], v[188:189], 1.0
                                        ; implicit-def: $vgpr188_vgpr189
	s_delay_alu instid0(VALU_DEP_1)
	v_mul_f64 v[196:197], v[192:193], v[194:195]
	v_xor_b32_e32 v195, 0x80000000, v195
.LBB93_248:
	s_and_not1_saveexec_b32 s3, s3
	s_cbranch_execz .LBB93_250
; %bb.249:
	v_div_scale_f64 v[192:193], null, v[188:189], v[188:189], v[190:191]
	v_div_scale_f64 v[198:199], vcc_lo, v[190:191], v[188:189], v[190:191]
	s_delay_alu instid0(VALU_DEP_2) | instskip(SKIP_2) | instid1(VALU_DEP_1)
	v_rcp_f64_e32 v[194:195], v[192:193]
	s_waitcnt_depctr 0xfff
	v_fma_f64 v[196:197], -v[192:193], v[194:195], 1.0
	v_fma_f64 v[194:195], v[194:195], v[196:197], v[194:195]
	s_delay_alu instid0(VALU_DEP_1) | instskip(NEXT) | instid1(VALU_DEP_1)
	v_fma_f64 v[196:197], -v[192:193], v[194:195], 1.0
	v_fma_f64 v[194:195], v[194:195], v[196:197], v[194:195]
	s_delay_alu instid0(VALU_DEP_1) | instskip(NEXT) | instid1(VALU_DEP_1)
	v_mul_f64 v[196:197], v[198:199], v[194:195]
	v_fma_f64 v[192:193], -v[192:193], v[196:197], v[198:199]
	s_delay_alu instid0(VALU_DEP_1) | instskip(NEXT) | instid1(VALU_DEP_1)
	v_div_fmas_f64 v[192:193], v[192:193], v[194:195], v[196:197]
	v_div_fixup_f64 v[192:193], v[192:193], v[188:189], v[190:191]
	s_delay_alu instid0(VALU_DEP_1) | instskip(NEXT) | instid1(VALU_DEP_1)
	v_fma_f64 v[188:189], v[190:191], v[192:193], v[188:189]
	v_div_scale_f64 v[190:191], null, v[188:189], v[188:189], 1.0
	s_delay_alu instid0(VALU_DEP_1) | instskip(SKIP_2) | instid1(VALU_DEP_1)
	v_rcp_f64_e32 v[194:195], v[190:191]
	s_waitcnt_depctr 0xfff
	v_fma_f64 v[196:197], -v[190:191], v[194:195], 1.0
	v_fma_f64 v[194:195], v[194:195], v[196:197], v[194:195]
	s_delay_alu instid0(VALU_DEP_1) | instskip(NEXT) | instid1(VALU_DEP_1)
	v_fma_f64 v[196:197], -v[190:191], v[194:195], 1.0
	v_fma_f64 v[194:195], v[194:195], v[196:197], v[194:195]
	v_div_scale_f64 v[196:197], vcc_lo, 1.0, v[188:189], 1.0
	s_delay_alu instid0(VALU_DEP_1) | instskip(NEXT) | instid1(VALU_DEP_1)
	v_mul_f64 v[198:199], v[196:197], v[194:195]
	v_fma_f64 v[190:191], -v[190:191], v[198:199], v[196:197]
	s_delay_alu instid0(VALU_DEP_1) | instskip(NEXT) | instid1(VALU_DEP_1)
	v_div_fmas_f64 v[190:191], v[190:191], v[194:195], v[198:199]
	v_div_fixup_f64 v[196:197], v[190:191], v[188:189], 1.0
	s_delay_alu instid0(VALU_DEP_1)
	v_mul_f64 v[194:195], v[192:193], -v[196:197]
.LBB93_250:
	s_or_b32 exec_lo, exec_lo, s3
	ds_store_2addr_b64 v243, v[196:197], v[194:195] offset1:1
.LBB93_251:
	s_or_b32 exec_lo, exec_lo, s4
	s_waitcnt lgkmcnt(0)
	s_barrier
	buffer_gl0_inv
	ds_load_2addr_b64 v[188:191], v243 offset1:1
	s_mov_b32 s3, exec_lo
	s_waitcnt lgkmcnt(0)
	scratch_store_b128 off, v[188:191], off offset:776 ; 16-byte Folded Spill
	v_cmpx_lt_u32_e32 27, v242
	s_cbranch_execz .LBB93_253
; %bb.252:
	scratch_load_b128 v[190:193], off, off offset:776 ; 16-byte Folded Reload
	s_waitcnt vmcnt(0)
	v_mul_f64 v[188:189], v[192:193], v[78:79]
	v_mul_f64 v[78:79], v[190:191], v[78:79]
	s_delay_alu instid0(VALU_DEP_2) | instskip(NEXT) | instid1(VALU_DEP_2)
	v_fma_f64 v[188:189], v[190:191], v[76:77], -v[188:189]
	v_fma_f64 v[78:79], v[192:193], v[76:77], v[78:79]
	ds_load_2addr_b64 v[190:193], v244 offset0:56 offset1:57
	s_waitcnt lgkmcnt(0)
	v_mul_f64 v[76:77], v[192:193], v[78:79]
	s_delay_alu instid0(VALU_DEP_1) | instskip(SKIP_1) | instid1(VALU_DEP_2)
	v_fma_f64 v[76:77], v[190:191], v[188:189], -v[76:77]
	v_mul_f64 v[190:191], v[190:191], v[78:79]
	v_add_f64 v[72:73], v[72:73], -v[76:77]
	s_delay_alu instid0(VALU_DEP_2) | instskip(NEXT) | instid1(VALU_DEP_1)
	v_fma_f64 v[190:191], v[192:193], v[188:189], v[190:191]
	v_add_f64 v[74:75], v[74:75], -v[190:191]
	ds_load_2addr_b64 v[190:193], v244 offset0:58 offset1:59
	s_waitcnt lgkmcnt(0)
	v_mul_f64 v[76:77], v[192:193], v[78:79]
	s_delay_alu instid0(VALU_DEP_1) | instskip(SKIP_1) | instid1(VALU_DEP_2)
	v_fma_f64 v[76:77], v[190:191], v[188:189], -v[76:77]
	v_mul_f64 v[190:191], v[190:191], v[78:79]
	v_add_f64 v[68:69], v[68:69], -v[76:77]
	s_delay_alu instid0(VALU_DEP_2) | instskip(NEXT) | instid1(VALU_DEP_1)
	v_fma_f64 v[190:191], v[192:193], v[188:189], v[190:191]
	v_add_f64 v[70:71], v[70:71], -v[190:191]
	;; [unrolled: 10-line block ×18, first 2 shown]
	ds_load_2addr_b64 v[190:193], v244 offset0:92 offset1:93
	s_waitcnt lgkmcnt(0)
	v_mul_f64 v[76:77], v[192:193], v[78:79]
	s_delay_alu instid0(VALU_DEP_1) | instskip(SKIP_1) | instid1(VALU_DEP_2)
	v_fma_f64 v[76:77], v[190:191], v[188:189], -v[76:77]
	v_mul_f64 v[190:191], v[190:191], v[78:79]
	v_add_f64 v[0:1], v[0:1], -v[76:77]
	s_delay_alu instid0(VALU_DEP_2) | instskip(SKIP_1) | instid1(VALU_DEP_2)
	v_fma_f64 v[190:191], v[192:193], v[188:189], v[190:191]
	v_dual_mov_b32 v76, v188 :: v_dual_mov_b32 v77, v189
	v_add_f64 v[2:3], v[2:3], -v[190:191]
.LBB93_253:
	s_or_b32 exec_lo, exec_lo, s3
	s_delay_alu instid0(SALU_CYCLE_1)
	s_mov_b32 s4, exec_lo
	s_waitcnt_vscnt null, 0x0
	s_barrier
	buffer_gl0_inv
	v_cmpx_eq_u32_e32 28, v242
	s_cbranch_execz .LBB93_260
; %bb.254:
	ds_store_2addr_b64 v243, v[72:73], v[74:75] offset1:1
	ds_store_2addr_b64 v244, v[68:69], v[70:71] offset0:58 offset1:59
	ds_store_2addr_b64 v244, v[64:65], v[66:67] offset0:60 offset1:61
	;; [unrolled: 1-line block ×18, first 2 shown]
	ds_load_2addr_b64 v[188:191], v243 offset1:1
	s_waitcnt lgkmcnt(0)
	v_cmp_neq_f64_e32 vcc_lo, 0, v[188:189]
	v_cmp_neq_f64_e64 s3, 0, v[190:191]
	s_delay_alu instid0(VALU_DEP_1) | instskip(NEXT) | instid1(SALU_CYCLE_1)
	s_or_b32 s3, vcc_lo, s3
	s_and_b32 exec_lo, exec_lo, s3
	s_cbranch_execz .LBB93_260
; %bb.255:
	v_cmp_gt_f64_e32 vcc_lo, 0, v[188:189]
	v_xor_b32_e32 v192, 0x80000000, v189
	v_xor_b32_e32 v194, 0x80000000, v191
	s_mov_b32 s3, exec_lo
                                        ; implicit-def: $vgpr196_vgpr197
	s_delay_alu instid0(VALU_DEP_2) | instskip(SKIP_4) | instid1(VALU_DEP_1)
	v_cndmask_b32_e32 v193, v189, v192, vcc_lo
	v_cndmask_b32_e32 v192, v188, v188, vcc_lo
	v_cmp_gt_f64_e32 vcc_lo, 0, v[190:191]
	v_cndmask_b32_e32 v195, v191, v194, vcc_lo
	v_cndmask_b32_e32 v194, v190, v190, vcc_lo
	v_cmpx_ngt_f64_e32 v[192:193], v[194:195]
	s_xor_b32 s3, exec_lo, s3
                                        ; implicit-def: $vgpr192_vgpr193_vgpr194_vgpr195
	s_cbranch_execz .LBB93_257
; %bb.256:
	v_div_scale_f64 v[192:193], null, v[190:191], v[190:191], v[188:189]
	v_div_scale_f64 v[198:199], vcc_lo, v[188:189], v[190:191], v[188:189]
	s_delay_alu instid0(VALU_DEP_2) | instskip(SKIP_2) | instid1(VALU_DEP_1)
	v_rcp_f64_e32 v[194:195], v[192:193]
	s_waitcnt_depctr 0xfff
	v_fma_f64 v[196:197], -v[192:193], v[194:195], 1.0
	v_fma_f64 v[194:195], v[194:195], v[196:197], v[194:195]
	s_delay_alu instid0(VALU_DEP_1) | instskip(NEXT) | instid1(VALU_DEP_1)
	v_fma_f64 v[196:197], -v[192:193], v[194:195], 1.0
	v_fma_f64 v[194:195], v[194:195], v[196:197], v[194:195]
	s_delay_alu instid0(VALU_DEP_1) | instskip(NEXT) | instid1(VALU_DEP_1)
	v_mul_f64 v[196:197], v[198:199], v[194:195]
	v_fma_f64 v[192:193], -v[192:193], v[196:197], v[198:199]
	s_delay_alu instid0(VALU_DEP_1) | instskip(NEXT) | instid1(VALU_DEP_1)
	v_div_fmas_f64 v[192:193], v[192:193], v[194:195], v[196:197]
	v_div_fixup_f64 v[192:193], v[192:193], v[190:191], v[188:189]
	s_delay_alu instid0(VALU_DEP_1) | instskip(NEXT) | instid1(VALU_DEP_1)
	v_fma_f64 v[188:189], v[188:189], v[192:193], v[190:191]
	v_div_scale_f64 v[190:191], null, v[188:189], v[188:189], 1.0
	s_delay_alu instid0(VALU_DEP_1) | instskip(SKIP_2) | instid1(VALU_DEP_1)
	v_rcp_f64_e32 v[194:195], v[190:191]
	s_waitcnt_depctr 0xfff
	v_fma_f64 v[196:197], -v[190:191], v[194:195], 1.0
	v_fma_f64 v[194:195], v[194:195], v[196:197], v[194:195]
	s_delay_alu instid0(VALU_DEP_1) | instskip(NEXT) | instid1(VALU_DEP_1)
	v_fma_f64 v[196:197], -v[190:191], v[194:195], 1.0
	v_fma_f64 v[194:195], v[194:195], v[196:197], v[194:195]
	v_div_scale_f64 v[196:197], vcc_lo, 1.0, v[188:189], 1.0
	s_delay_alu instid0(VALU_DEP_1) | instskip(NEXT) | instid1(VALU_DEP_1)
	v_mul_f64 v[198:199], v[196:197], v[194:195]
	v_fma_f64 v[190:191], -v[190:191], v[198:199], v[196:197]
	s_delay_alu instid0(VALU_DEP_1) | instskip(NEXT) | instid1(VALU_DEP_1)
	v_div_fmas_f64 v[190:191], v[190:191], v[194:195], v[198:199]
	v_div_fixup_f64 v[194:195], v[190:191], v[188:189], 1.0
                                        ; implicit-def: $vgpr188_vgpr189
	s_delay_alu instid0(VALU_DEP_1)
	v_mul_f64 v[196:197], v[192:193], v[194:195]
	v_xor_b32_e32 v195, 0x80000000, v195
.LBB93_257:
	s_and_not1_saveexec_b32 s3, s3
	s_cbranch_execz .LBB93_259
; %bb.258:
	v_div_scale_f64 v[192:193], null, v[188:189], v[188:189], v[190:191]
	v_div_scale_f64 v[198:199], vcc_lo, v[190:191], v[188:189], v[190:191]
	s_delay_alu instid0(VALU_DEP_2) | instskip(SKIP_2) | instid1(VALU_DEP_1)
	v_rcp_f64_e32 v[194:195], v[192:193]
	s_waitcnt_depctr 0xfff
	v_fma_f64 v[196:197], -v[192:193], v[194:195], 1.0
	v_fma_f64 v[194:195], v[194:195], v[196:197], v[194:195]
	s_delay_alu instid0(VALU_DEP_1) | instskip(NEXT) | instid1(VALU_DEP_1)
	v_fma_f64 v[196:197], -v[192:193], v[194:195], 1.0
	v_fma_f64 v[194:195], v[194:195], v[196:197], v[194:195]
	s_delay_alu instid0(VALU_DEP_1) | instskip(NEXT) | instid1(VALU_DEP_1)
	v_mul_f64 v[196:197], v[198:199], v[194:195]
	v_fma_f64 v[192:193], -v[192:193], v[196:197], v[198:199]
	s_delay_alu instid0(VALU_DEP_1) | instskip(NEXT) | instid1(VALU_DEP_1)
	v_div_fmas_f64 v[192:193], v[192:193], v[194:195], v[196:197]
	v_div_fixup_f64 v[192:193], v[192:193], v[188:189], v[190:191]
	s_delay_alu instid0(VALU_DEP_1) | instskip(NEXT) | instid1(VALU_DEP_1)
	v_fma_f64 v[188:189], v[190:191], v[192:193], v[188:189]
	v_div_scale_f64 v[190:191], null, v[188:189], v[188:189], 1.0
	s_delay_alu instid0(VALU_DEP_1) | instskip(SKIP_2) | instid1(VALU_DEP_1)
	v_rcp_f64_e32 v[194:195], v[190:191]
	s_waitcnt_depctr 0xfff
	v_fma_f64 v[196:197], -v[190:191], v[194:195], 1.0
	v_fma_f64 v[194:195], v[194:195], v[196:197], v[194:195]
	s_delay_alu instid0(VALU_DEP_1) | instskip(NEXT) | instid1(VALU_DEP_1)
	v_fma_f64 v[196:197], -v[190:191], v[194:195], 1.0
	v_fma_f64 v[194:195], v[194:195], v[196:197], v[194:195]
	v_div_scale_f64 v[196:197], vcc_lo, 1.0, v[188:189], 1.0
	s_delay_alu instid0(VALU_DEP_1) | instskip(NEXT) | instid1(VALU_DEP_1)
	v_mul_f64 v[198:199], v[196:197], v[194:195]
	v_fma_f64 v[190:191], -v[190:191], v[198:199], v[196:197]
	s_delay_alu instid0(VALU_DEP_1) | instskip(NEXT) | instid1(VALU_DEP_1)
	v_div_fmas_f64 v[190:191], v[190:191], v[194:195], v[198:199]
	v_div_fixup_f64 v[196:197], v[190:191], v[188:189], 1.0
	s_delay_alu instid0(VALU_DEP_1)
	v_mul_f64 v[194:195], v[192:193], -v[196:197]
.LBB93_259:
	s_or_b32 exec_lo, exec_lo, s3
	ds_store_2addr_b64 v243, v[196:197], v[194:195] offset1:1
.LBB93_260:
	s_or_b32 exec_lo, exec_lo, s4
	s_waitcnt lgkmcnt(0)
	s_barrier
	buffer_gl0_inv
	ds_load_2addr_b64 v[188:191], v243 offset1:1
	s_mov_b32 s3, exec_lo
	s_waitcnt lgkmcnt(0)
	scratch_store_b128 off, v[188:191], off offset:792 ; 16-byte Folded Spill
	v_cmpx_lt_u32_e32 28, v242
	s_cbranch_execz .LBB93_262
; %bb.261:
	scratch_load_b128 v[190:193], off, off offset:792 ; 16-byte Folded Reload
	s_waitcnt vmcnt(0)
	v_mul_f64 v[188:189], v[192:193], v[74:75]
	v_mul_f64 v[74:75], v[190:191], v[74:75]
	s_delay_alu instid0(VALU_DEP_2) | instskip(NEXT) | instid1(VALU_DEP_2)
	v_fma_f64 v[188:189], v[190:191], v[72:73], -v[188:189]
	v_fma_f64 v[74:75], v[192:193], v[72:73], v[74:75]
	ds_load_2addr_b64 v[190:193], v244 offset0:58 offset1:59
	s_waitcnt lgkmcnt(0)
	v_mul_f64 v[72:73], v[192:193], v[74:75]
	s_delay_alu instid0(VALU_DEP_1) | instskip(SKIP_1) | instid1(VALU_DEP_2)
	v_fma_f64 v[72:73], v[190:191], v[188:189], -v[72:73]
	v_mul_f64 v[190:191], v[190:191], v[74:75]
	v_add_f64 v[68:69], v[68:69], -v[72:73]
	s_delay_alu instid0(VALU_DEP_2) | instskip(NEXT) | instid1(VALU_DEP_1)
	v_fma_f64 v[190:191], v[192:193], v[188:189], v[190:191]
	v_add_f64 v[70:71], v[70:71], -v[190:191]
	ds_load_2addr_b64 v[190:193], v244 offset0:60 offset1:61
	s_waitcnt lgkmcnt(0)
	v_mul_f64 v[72:73], v[192:193], v[74:75]
	s_delay_alu instid0(VALU_DEP_1) | instskip(SKIP_1) | instid1(VALU_DEP_2)
	v_fma_f64 v[72:73], v[190:191], v[188:189], -v[72:73]
	v_mul_f64 v[190:191], v[190:191], v[74:75]
	v_add_f64 v[64:65], v[64:65], -v[72:73]
	s_delay_alu instid0(VALU_DEP_2) | instskip(NEXT) | instid1(VALU_DEP_1)
	v_fma_f64 v[190:191], v[192:193], v[188:189], v[190:191]
	v_add_f64 v[66:67], v[66:67], -v[190:191]
	;; [unrolled: 10-line block ×17, first 2 shown]
	ds_load_2addr_b64 v[190:193], v244 offset0:92 offset1:93
	s_waitcnt lgkmcnt(0)
	v_mul_f64 v[72:73], v[192:193], v[74:75]
	s_delay_alu instid0(VALU_DEP_1) | instskip(SKIP_1) | instid1(VALU_DEP_2)
	v_fma_f64 v[72:73], v[190:191], v[188:189], -v[72:73]
	v_mul_f64 v[190:191], v[190:191], v[74:75]
	v_add_f64 v[0:1], v[0:1], -v[72:73]
	s_delay_alu instid0(VALU_DEP_2) | instskip(SKIP_1) | instid1(VALU_DEP_2)
	v_fma_f64 v[190:191], v[192:193], v[188:189], v[190:191]
	v_dual_mov_b32 v72, v188 :: v_dual_mov_b32 v73, v189
	v_add_f64 v[2:3], v[2:3], -v[190:191]
.LBB93_262:
	s_or_b32 exec_lo, exec_lo, s3
	s_delay_alu instid0(SALU_CYCLE_1)
	s_mov_b32 s4, exec_lo
	s_waitcnt_vscnt null, 0x0
	s_barrier
	buffer_gl0_inv
	v_cmpx_eq_u32_e32 29, v242
	s_cbranch_execz .LBB93_269
; %bb.263:
	ds_store_2addr_b64 v243, v[68:69], v[70:71] offset1:1
	ds_store_2addr_b64 v244, v[64:65], v[66:67] offset0:60 offset1:61
	ds_store_2addr_b64 v244, v[60:61], v[62:63] offset0:62 offset1:63
	;; [unrolled: 1-line block ×17, first 2 shown]
	ds_load_2addr_b64 v[188:191], v243 offset1:1
	s_waitcnt lgkmcnt(0)
	v_cmp_neq_f64_e32 vcc_lo, 0, v[188:189]
	v_cmp_neq_f64_e64 s3, 0, v[190:191]
	s_delay_alu instid0(VALU_DEP_1) | instskip(NEXT) | instid1(SALU_CYCLE_1)
	s_or_b32 s3, vcc_lo, s3
	s_and_b32 exec_lo, exec_lo, s3
	s_cbranch_execz .LBB93_269
; %bb.264:
	v_cmp_gt_f64_e32 vcc_lo, 0, v[188:189]
	v_xor_b32_e32 v192, 0x80000000, v189
	v_xor_b32_e32 v194, 0x80000000, v191
	s_mov_b32 s3, exec_lo
                                        ; implicit-def: $vgpr196_vgpr197
	s_delay_alu instid0(VALU_DEP_2) | instskip(SKIP_4) | instid1(VALU_DEP_1)
	v_cndmask_b32_e32 v193, v189, v192, vcc_lo
	v_cndmask_b32_e32 v192, v188, v188, vcc_lo
	v_cmp_gt_f64_e32 vcc_lo, 0, v[190:191]
	v_cndmask_b32_e32 v195, v191, v194, vcc_lo
	v_cndmask_b32_e32 v194, v190, v190, vcc_lo
	v_cmpx_ngt_f64_e32 v[192:193], v[194:195]
	s_xor_b32 s3, exec_lo, s3
                                        ; implicit-def: $vgpr192_vgpr193_vgpr194_vgpr195
	s_cbranch_execz .LBB93_266
; %bb.265:
	v_div_scale_f64 v[192:193], null, v[190:191], v[190:191], v[188:189]
	v_div_scale_f64 v[198:199], vcc_lo, v[188:189], v[190:191], v[188:189]
	s_delay_alu instid0(VALU_DEP_2) | instskip(SKIP_2) | instid1(VALU_DEP_1)
	v_rcp_f64_e32 v[194:195], v[192:193]
	s_waitcnt_depctr 0xfff
	v_fma_f64 v[196:197], -v[192:193], v[194:195], 1.0
	v_fma_f64 v[194:195], v[194:195], v[196:197], v[194:195]
	s_delay_alu instid0(VALU_DEP_1) | instskip(NEXT) | instid1(VALU_DEP_1)
	v_fma_f64 v[196:197], -v[192:193], v[194:195], 1.0
	v_fma_f64 v[194:195], v[194:195], v[196:197], v[194:195]
	s_delay_alu instid0(VALU_DEP_1) | instskip(NEXT) | instid1(VALU_DEP_1)
	v_mul_f64 v[196:197], v[198:199], v[194:195]
	v_fma_f64 v[192:193], -v[192:193], v[196:197], v[198:199]
	s_delay_alu instid0(VALU_DEP_1) | instskip(NEXT) | instid1(VALU_DEP_1)
	v_div_fmas_f64 v[192:193], v[192:193], v[194:195], v[196:197]
	v_div_fixup_f64 v[192:193], v[192:193], v[190:191], v[188:189]
	s_delay_alu instid0(VALU_DEP_1) | instskip(NEXT) | instid1(VALU_DEP_1)
	v_fma_f64 v[188:189], v[188:189], v[192:193], v[190:191]
	v_div_scale_f64 v[190:191], null, v[188:189], v[188:189], 1.0
	s_delay_alu instid0(VALU_DEP_1) | instskip(SKIP_2) | instid1(VALU_DEP_1)
	v_rcp_f64_e32 v[194:195], v[190:191]
	s_waitcnt_depctr 0xfff
	v_fma_f64 v[196:197], -v[190:191], v[194:195], 1.0
	v_fma_f64 v[194:195], v[194:195], v[196:197], v[194:195]
	s_delay_alu instid0(VALU_DEP_1) | instskip(NEXT) | instid1(VALU_DEP_1)
	v_fma_f64 v[196:197], -v[190:191], v[194:195], 1.0
	v_fma_f64 v[194:195], v[194:195], v[196:197], v[194:195]
	v_div_scale_f64 v[196:197], vcc_lo, 1.0, v[188:189], 1.0
	s_delay_alu instid0(VALU_DEP_1) | instskip(NEXT) | instid1(VALU_DEP_1)
	v_mul_f64 v[198:199], v[196:197], v[194:195]
	v_fma_f64 v[190:191], -v[190:191], v[198:199], v[196:197]
	s_delay_alu instid0(VALU_DEP_1) | instskip(NEXT) | instid1(VALU_DEP_1)
	v_div_fmas_f64 v[190:191], v[190:191], v[194:195], v[198:199]
	v_div_fixup_f64 v[194:195], v[190:191], v[188:189], 1.0
                                        ; implicit-def: $vgpr188_vgpr189
	s_delay_alu instid0(VALU_DEP_1)
	v_mul_f64 v[196:197], v[192:193], v[194:195]
	v_xor_b32_e32 v195, 0x80000000, v195
.LBB93_266:
	s_and_not1_saveexec_b32 s3, s3
	s_cbranch_execz .LBB93_268
; %bb.267:
	v_div_scale_f64 v[192:193], null, v[188:189], v[188:189], v[190:191]
	v_div_scale_f64 v[198:199], vcc_lo, v[190:191], v[188:189], v[190:191]
	s_delay_alu instid0(VALU_DEP_2) | instskip(SKIP_2) | instid1(VALU_DEP_1)
	v_rcp_f64_e32 v[194:195], v[192:193]
	s_waitcnt_depctr 0xfff
	v_fma_f64 v[196:197], -v[192:193], v[194:195], 1.0
	v_fma_f64 v[194:195], v[194:195], v[196:197], v[194:195]
	s_delay_alu instid0(VALU_DEP_1) | instskip(NEXT) | instid1(VALU_DEP_1)
	v_fma_f64 v[196:197], -v[192:193], v[194:195], 1.0
	v_fma_f64 v[194:195], v[194:195], v[196:197], v[194:195]
	s_delay_alu instid0(VALU_DEP_1) | instskip(NEXT) | instid1(VALU_DEP_1)
	v_mul_f64 v[196:197], v[198:199], v[194:195]
	v_fma_f64 v[192:193], -v[192:193], v[196:197], v[198:199]
	s_delay_alu instid0(VALU_DEP_1) | instskip(NEXT) | instid1(VALU_DEP_1)
	v_div_fmas_f64 v[192:193], v[192:193], v[194:195], v[196:197]
	v_div_fixup_f64 v[192:193], v[192:193], v[188:189], v[190:191]
	s_delay_alu instid0(VALU_DEP_1) | instskip(NEXT) | instid1(VALU_DEP_1)
	v_fma_f64 v[188:189], v[190:191], v[192:193], v[188:189]
	v_div_scale_f64 v[190:191], null, v[188:189], v[188:189], 1.0
	s_delay_alu instid0(VALU_DEP_1) | instskip(SKIP_2) | instid1(VALU_DEP_1)
	v_rcp_f64_e32 v[194:195], v[190:191]
	s_waitcnt_depctr 0xfff
	v_fma_f64 v[196:197], -v[190:191], v[194:195], 1.0
	v_fma_f64 v[194:195], v[194:195], v[196:197], v[194:195]
	s_delay_alu instid0(VALU_DEP_1) | instskip(NEXT) | instid1(VALU_DEP_1)
	v_fma_f64 v[196:197], -v[190:191], v[194:195], 1.0
	v_fma_f64 v[194:195], v[194:195], v[196:197], v[194:195]
	v_div_scale_f64 v[196:197], vcc_lo, 1.0, v[188:189], 1.0
	s_delay_alu instid0(VALU_DEP_1) | instskip(NEXT) | instid1(VALU_DEP_1)
	v_mul_f64 v[198:199], v[196:197], v[194:195]
	v_fma_f64 v[190:191], -v[190:191], v[198:199], v[196:197]
	s_delay_alu instid0(VALU_DEP_1) | instskip(NEXT) | instid1(VALU_DEP_1)
	v_div_fmas_f64 v[190:191], v[190:191], v[194:195], v[198:199]
	v_div_fixup_f64 v[196:197], v[190:191], v[188:189], 1.0
	s_delay_alu instid0(VALU_DEP_1)
	v_mul_f64 v[194:195], v[192:193], -v[196:197]
.LBB93_268:
	s_or_b32 exec_lo, exec_lo, s3
	ds_store_2addr_b64 v243, v[196:197], v[194:195] offset1:1
.LBB93_269:
	s_or_b32 exec_lo, exec_lo, s4
	s_waitcnt lgkmcnt(0)
	s_barrier
	buffer_gl0_inv
	ds_load_2addr_b64 v[188:191], v243 offset1:1
	s_mov_b32 s3, exec_lo
	s_waitcnt lgkmcnt(0)
	scratch_store_b128 off, v[188:191], off offset:808 ; 16-byte Folded Spill
	v_cmpx_lt_u32_e32 29, v242
	s_cbranch_execz .LBB93_271
; %bb.270:
	scratch_load_b128 v[190:193], off, off offset:808 ; 16-byte Folded Reload
	s_waitcnt vmcnt(0)
	v_mul_f64 v[188:189], v[192:193], v[70:71]
	v_mul_f64 v[70:71], v[190:191], v[70:71]
	s_delay_alu instid0(VALU_DEP_2) | instskip(NEXT) | instid1(VALU_DEP_2)
	v_fma_f64 v[188:189], v[190:191], v[68:69], -v[188:189]
	v_fma_f64 v[70:71], v[192:193], v[68:69], v[70:71]
	ds_load_2addr_b64 v[190:193], v244 offset0:60 offset1:61
	s_waitcnt lgkmcnt(0)
	v_mul_f64 v[68:69], v[192:193], v[70:71]
	s_delay_alu instid0(VALU_DEP_1) | instskip(SKIP_1) | instid1(VALU_DEP_2)
	v_fma_f64 v[68:69], v[190:191], v[188:189], -v[68:69]
	v_mul_f64 v[190:191], v[190:191], v[70:71]
	v_add_f64 v[64:65], v[64:65], -v[68:69]
	s_delay_alu instid0(VALU_DEP_2) | instskip(NEXT) | instid1(VALU_DEP_1)
	v_fma_f64 v[190:191], v[192:193], v[188:189], v[190:191]
	v_add_f64 v[66:67], v[66:67], -v[190:191]
	ds_load_2addr_b64 v[190:193], v244 offset0:62 offset1:63
	s_waitcnt lgkmcnt(0)
	v_mul_f64 v[68:69], v[192:193], v[70:71]
	s_delay_alu instid0(VALU_DEP_1) | instskip(SKIP_1) | instid1(VALU_DEP_2)
	v_fma_f64 v[68:69], v[190:191], v[188:189], -v[68:69]
	v_mul_f64 v[190:191], v[190:191], v[70:71]
	v_add_f64 v[60:61], v[60:61], -v[68:69]
	s_delay_alu instid0(VALU_DEP_2) | instskip(NEXT) | instid1(VALU_DEP_1)
	v_fma_f64 v[190:191], v[192:193], v[188:189], v[190:191]
	v_add_f64 v[62:63], v[62:63], -v[190:191]
	;; [unrolled: 10-line block ×16, first 2 shown]
	ds_load_2addr_b64 v[190:193], v244 offset0:92 offset1:93
	s_waitcnt lgkmcnt(0)
	v_mul_f64 v[68:69], v[192:193], v[70:71]
	s_delay_alu instid0(VALU_DEP_1) | instskip(SKIP_1) | instid1(VALU_DEP_2)
	v_fma_f64 v[68:69], v[190:191], v[188:189], -v[68:69]
	v_mul_f64 v[190:191], v[190:191], v[70:71]
	v_add_f64 v[0:1], v[0:1], -v[68:69]
	s_delay_alu instid0(VALU_DEP_2) | instskip(SKIP_1) | instid1(VALU_DEP_2)
	v_fma_f64 v[190:191], v[192:193], v[188:189], v[190:191]
	v_dual_mov_b32 v68, v188 :: v_dual_mov_b32 v69, v189
	v_add_f64 v[2:3], v[2:3], -v[190:191]
.LBB93_271:
	s_or_b32 exec_lo, exec_lo, s3
	s_delay_alu instid0(SALU_CYCLE_1)
	s_mov_b32 s4, exec_lo
	s_waitcnt_vscnt null, 0x0
	s_barrier
	buffer_gl0_inv
	v_cmpx_eq_u32_e32 30, v242
	s_cbranch_execz .LBB93_278
; %bb.272:
	ds_store_2addr_b64 v243, v[64:65], v[66:67] offset1:1
	ds_store_2addr_b64 v244, v[60:61], v[62:63] offset0:62 offset1:63
	ds_store_2addr_b64 v244, v[56:57], v[58:59] offset0:64 offset1:65
	;; [unrolled: 1-line block ×16, first 2 shown]
	ds_load_2addr_b64 v[188:191], v243 offset1:1
	s_waitcnt lgkmcnt(0)
	v_cmp_neq_f64_e32 vcc_lo, 0, v[188:189]
	v_cmp_neq_f64_e64 s3, 0, v[190:191]
	s_delay_alu instid0(VALU_DEP_1) | instskip(NEXT) | instid1(SALU_CYCLE_1)
	s_or_b32 s3, vcc_lo, s3
	s_and_b32 exec_lo, exec_lo, s3
	s_cbranch_execz .LBB93_278
; %bb.273:
	v_cmp_gt_f64_e32 vcc_lo, 0, v[188:189]
	v_xor_b32_e32 v192, 0x80000000, v189
	v_xor_b32_e32 v194, 0x80000000, v191
	s_mov_b32 s3, exec_lo
                                        ; implicit-def: $vgpr196_vgpr197
	s_delay_alu instid0(VALU_DEP_2) | instskip(SKIP_4) | instid1(VALU_DEP_1)
	v_cndmask_b32_e32 v193, v189, v192, vcc_lo
	v_cndmask_b32_e32 v192, v188, v188, vcc_lo
	v_cmp_gt_f64_e32 vcc_lo, 0, v[190:191]
	v_cndmask_b32_e32 v195, v191, v194, vcc_lo
	v_cndmask_b32_e32 v194, v190, v190, vcc_lo
	v_cmpx_ngt_f64_e32 v[192:193], v[194:195]
	s_xor_b32 s3, exec_lo, s3
                                        ; implicit-def: $vgpr192_vgpr193_vgpr194_vgpr195
	s_cbranch_execz .LBB93_275
; %bb.274:
	v_div_scale_f64 v[192:193], null, v[190:191], v[190:191], v[188:189]
	v_div_scale_f64 v[198:199], vcc_lo, v[188:189], v[190:191], v[188:189]
	s_delay_alu instid0(VALU_DEP_2) | instskip(SKIP_2) | instid1(VALU_DEP_1)
	v_rcp_f64_e32 v[194:195], v[192:193]
	s_waitcnt_depctr 0xfff
	v_fma_f64 v[196:197], -v[192:193], v[194:195], 1.0
	v_fma_f64 v[194:195], v[194:195], v[196:197], v[194:195]
	s_delay_alu instid0(VALU_DEP_1) | instskip(NEXT) | instid1(VALU_DEP_1)
	v_fma_f64 v[196:197], -v[192:193], v[194:195], 1.0
	v_fma_f64 v[194:195], v[194:195], v[196:197], v[194:195]
	s_delay_alu instid0(VALU_DEP_1) | instskip(NEXT) | instid1(VALU_DEP_1)
	v_mul_f64 v[196:197], v[198:199], v[194:195]
	v_fma_f64 v[192:193], -v[192:193], v[196:197], v[198:199]
	s_delay_alu instid0(VALU_DEP_1) | instskip(NEXT) | instid1(VALU_DEP_1)
	v_div_fmas_f64 v[192:193], v[192:193], v[194:195], v[196:197]
	v_div_fixup_f64 v[192:193], v[192:193], v[190:191], v[188:189]
	s_delay_alu instid0(VALU_DEP_1) | instskip(NEXT) | instid1(VALU_DEP_1)
	v_fma_f64 v[188:189], v[188:189], v[192:193], v[190:191]
	v_div_scale_f64 v[190:191], null, v[188:189], v[188:189], 1.0
	s_delay_alu instid0(VALU_DEP_1) | instskip(SKIP_2) | instid1(VALU_DEP_1)
	v_rcp_f64_e32 v[194:195], v[190:191]
	s_waitcnt_depctr 0xfff
	v_fma_f64 v[196:197], -v[190:191], v[194:195], 1.0
	v_fma_f64 v[194:195], v[194:195], v[196:197], v[194:195]
	s_delay_alu instid0(VALU_DEP_1) | instskip(NEXT) | instid1(VALU_DEP_1)
	v_fma_f64 v[196:197], -v[190:191], v[194:195], 1.0
	v_fma_f64 v[194:195], v[194:195], v[196:197], v[194:195]
	v_div_scale_f64 v[196:197], vcc_lo, 1.0, v[188:189], 1.0
	s_delay_alu instid0(VALU_DEP_1) | instskip(NEXT) | instid1(VALU_DEP_1)
	v_mul_f64 v[198:199], v[196:197], v[194:195]
	v_fma_f64 v[190:191], -v[190:191], v[198:199], v[196:197]
	s_delay_alu instid0(VALU_DEP_1) | instskip(NEXT) | instid1(VALU_DEP_1)
	v_div_fmas_f64 v[190:191], v[190:191], v[194:195], v[198:199]
	v_div_fixup_f64 v[194:195], v[190:191], v[188:189], 1.0
                                        ; implicit-def: $vgpr188_vgpr189
	s_delay_alu instid0(VALU_DEP_1)
	v_mul_f64 v[196:197], v[192:193], v[194:195]
	v_xor_b32_e32 v195, 0x80000000, v195
.LBB93_275:
	s_and_not1_saveexec_b32 s3, s3
	s_cbranch_execz .LBB93_277
; %bb.276:
	v_div_scale_f64 v[192:193], null, v[188:189], v[188:189], v[190:191]
	v_div_scale_f64 v[198:199], vcc_lo, v[190:191], v[188:189], v[190:191]
	s_delay_alu instid0(VALU_DEP_2) | instskip(SKIP_2) | instid1(VALU_DEP_1)
	v_rcp_f64_e32 v[194:195], v[192:193]
	s_waitcnt_depctr 0xfff
	v_fma_f64 v[196:197], -v[192:193], v[194:195], 1.0
	v_fma_f64 v[194:195], v[194:195], v[196:197], v[194:195]
	s_delay_alu instid0(VALU_DEP_1) | instskip(NEXT) | instid1(VALU_DEP_1)
	v_fma_f64 v[196:197], -v[192:193], v[194:195], 1.0
	v_fma_f64 v[194:195], v[194:195], v[196:197], v[194:195]
	s_delay_alu instid0(VALU_DEP_1) | instskip(NEXT) | instid1(VALU_DEP_1)
	v_mul_f64 v[196:197], v[198:199], v[194:195]
	v_fma_f64 v[192:193], -v[192:193], v[196:197], v[198:199]
	s_delay_alu instid0(VALU_DEP_1) | instskip(NEXT) | instid1(VALU_DEP_1)
	v_div_fmas_f64 v[192:193], v[192:193], v[194:195], v[196:197]
	v_div_fixup_f64 v[192:193], v[192:193], v[188:189], v[190:191]
	s_delay_alu instid0(VALU_DEP_1) | instskip(NEXT) | instid1(VALU_DEP_1)
	v_fma_f64 v[188:189], v[190:191], v[192:193], v[188:189]
	v_div_scale_f64 v[190:191], null, v[188:189], v[188:189], 1.0
	s_delay_alu instid0(VALU_DEP_1) | instskip(SKIP_2) | instid1(VALU_DEP_1)
	v_rcp_f64_e32 v[194:195], v[190:191]
	s_waitcnt_depctr 0xfff
	v_fma_f64 v[196:197], -v[190:191], v[194:195], 1.0
	v_fma_f64 v[194:195], v[194:195], v[196:197], v[194:195]
	s_delay_alu instid0(VALU_DEP_1) | instskip(NEXT) | instid1(VALU_DEP_1)
	v_fma_f64 v[196:197], -v[190:191], v[194:195], 1.0
	v_fma_f64 v[194:195], v[194:195], v[196:197], v[194:195]
	v_div_scale_f64 v[196:197], vcc_lo, 1.0, v[188:189], 1.0
	s_delay_alu instid0(VALU_DEP_1) | instskip(NEXT) | instid1(VALU_DEP_1)
	v_mul_f64 v[198:199], v[196:197], v[194:195]
	v_fma_f64 v[190:191], -v[190:191], v[198:199], v[196:197]
	s_delay_alu instid0(VALU_DEP_1) | instskip(NEXT) | instid1(VALU_DEP_1)
	v_div_fmas_f64 v[190:191], v[190:191], v[194:195], v[198:199]
	v_div_fixup_f64 v[196:197], v[190:191], v[188:189], 1.0
	s_delay_alu instid0(VALU_DEP_1)
	v_mul_f64 v[194:195], v[192:193], -v[196:197]
.LBB93_277:
	s_or_b32 exec_lo, exec_lo, s3
	ds_store_2addr_b64 v243, v[196:197], v[194:195] offset1:1
.LBB93_278:
	s_or_b32 exec_lo, exec_lo, s4
	s_waitcnt lgkmcnt(0)
	s_barrier
	buffer_gl0_inv
	ds_load_2addr_b64 v[188:191], v243 offset1:1
	s_mov_b32 s3, exec_lo
	s_waitcnt lgkmcnt(0)
	scratch_store_b128 off, v[188:191], off offset:824 ; 16-byte Folded Spill
	v_cmpx_lt_u32_e32 30, v242
	s_cbranch_execz .LBB93_280
; %bb.279:
	scratch_load_b128 v[190:193], off, off offset:824 ; 16-byte Folded Reload
	s_waitcnt vmcnt(0)
	v_mul_f64 v[188:189], v[190:191], v[66:67]
	v_mul_f64 v[66:67], v[192:193], v[66:67]
	s_delay_alu instid0(VALU_DEP_2) | instskip(NEXT) | instid1(VALU_DEP_2)
	v_fma_f64 v[188:189], v[192:193], v[64:65], v[188:189]
	v_fma_f64 v[64:65], v[190:191], v[64:65], -v[66:67]
	ds_load_2addr_b64 v[190:193], v244 offset0:62 offset1:63
	s_waitcnt lgkmcnt(0)
	v_mul_f64 v[66:67], v[192:193], v[188:189]
	s_delay_alu instid0(VALU_DEP_1) | instskip(SKIP_1) | instid1(VALU_DEP_2)
	v_fma_f64 v[66:67], v[190:191], v[64:65], -v[66:67]
	v_mul_f64 v[190:191], v[190:191], v[188:189]
	v_add_f64 v[60:61], v[60:61], -v[66:67]
	s_delay_alu instid0(VALU_DEP_2) | instskip(NEXT) | instid1(VALU_DEP_1)
	v_fma_f64 v[190:191], v[192:193], v[64:65], v[190:191]
	v_add_f64 v[62:63], v[62:63], -v[190:191]
	ds_load_2addr_b64 v[190:193], v244 offset0:64 offset1:65
	s_waitcnt lgkmcnt(0)
	v_mul_f64 v[66:67], v[192:193], v[188:189]
	s_delay_alu instid0(VALU_DEP_1) | instskip(SKIP_1) | instid1(VALU_DEP_2)
	v_fma_f64 v[66:67], v[190:191], v[64:65], -v[66:67]
	v_mul_f64 v[190:191], v[190:191], v[188:189]
	v_add_f64 v[56:57], v[56:57], -v[66:67]
	s_delay_alu instid0(VALU_DEP_2) | instskip(NEXT) | instid1(VALU_DEP_1)
	v_fma_f64 v[190:191], v[192:193], v[64:65], v[190:191]
	v_add_f64 v[58:59], v[58:59], -v[190:191]
	;; [unrolled: 10-line block ×15, first 2 shown]
	ds_load_2addr_b64 v[190:193], v244 offset0:92 offset1:93
	s_waitcnt lgkmcnt(0)
	v_mul_f64 v[66:67], v[192:193], v[188:189]
	s_delay_alu instid0(VALU_DEP_1) | instskip(SKIP_1) | instid1(VALU_DEP_2)
	v_fma_f64 v[66:67], v[190:191], v[64:65], -v[66:67]
	v_mul_f64 v[190:191], v[190:191], v[188:189]
	v_add_f64 v[0:1], v[0:1], -v[66:67]
	s_delay_alu instid0(VALU_DEP_2) | instskip(SKIP_1) | instid1(VALU_DEP_2)
	v_fma_f64 v[190:191], v[192:193], v[64:65], v[190:191]
	v_dual_mov_b32 v66, v188 :: v_dual_mov_b32 v67, v189
	v_add_f64 v[2:3], v[2:3], -v[190:191]
.LBB93_280:
	s_or_b32 exec_lo, exec_lo, s3
	s_delay_alu instid0(SALU_CYCLE_1)
	s_mov_b32 s4, exec_lo
	s_waitcnt_vscnt null, 0x0
	s_barrier
	buffer_gl0_inv
	v_cmpx_eq_u32_e32 31, v242
	s_cbranch_execz .LBB93_287
; %bb.281:
	ds_store_2addr_b64 v243, v[60:61], v[62:63] offset1:1
	ds_store_2addr_b64 v244, v[56:57], v[58:59] offset0:64 offset1:65
	ds_store_2addr_b64 v244, v[52:53], v[54:55] offset0:66 offset1:67
	;; [unrolled: 1-line block ×15, first 2 shown]
	ds_load_2addr_b64 v[188:191], v243 offset1:1
	s_waitcnt lgkmcnt(0)
	v_cmp_neq_f64_e32 vcc_lo, 0, v[188:189]
	v_cmp_neq_f64_e64 s3, 0, v[190:191]
	s_delay_alu instid0(VALU_DEP_1) | instskip(NEXT) | instid1(SALU_CYCLE_1)
	s_or_b32 s3, vcc_lo, s3
	s_and_b32 exec_lo, exec_lo, s3
	s_cbranch_execz .LBB93_287
; %bb.282:
	v_cmp_gt_f64_e32 vcc_lo, 0, v[188:189]
	v_xor_b32_e32 v192, 0x80000000, v189
	v_xor_b32_e32 v194, 0x80000000, v191
	s_mov_b32 s3, exec_lo
                                        ; implicit-def: $vgpr196_vgpr197
	s_delay_alu instid0(VALU_DEP_2) | instskip(SKIP_4) | instid1(VALU_DEP_1)
	v_cndmask_b32_e32 v193, v189, v192, vcc_lo
	v_cndmask_b32_e32 v192, v188, v188, vcc_lo
	v_cmp_gt_f64_e32 vcc_lo, 0, v[190:191]
	v_cndmask_b32_e32 v195, v191, v194, vcc_lo
	v_cndmask_b32_e32 v194, v190, v190, vcc_lo
	v_cmpx_ngt_f64_e32 v[192:193], v[194:195]
	s_xor_b32 s3, exec_lo, s3
                                        ; implicit-def: $vgpr192_vgpr193_vgpr194_vgpr195
	s_cbranch_execz .LBB93_284
; %bb.283:
	v_div_scale_f64 v[192:193], null, v[190:191], v[190:191], v[188:189]
	v_div_scale_f64 v[198:199], vcc_lo, v[188:189], v[190:191], v[188:189]
	s_delay_alu instid0(VALU_DEP_2) | instskip(SKIP_2) | instid1(VALU_DEP_1)
	v_rcp_f64_e32 v[194:195], v[192:193]
	s_waitcnt_depctr 0xfff
	v_fma_f64 v[196:197], -v[192:193], v[194:195], 1.0
	v_fma_f64 v[194:195], v[194:195], v[196:197], v[194:195]
	s_delay_alu instid0(VALU_DEP_1) | instskip(NEXT) | instid1(VALU_DEP_1)
	v_fma_f64 v[196:197], -v[192:193], v[194:195], 1.0
	v_fma_f64 v[194:195], v[194:195], v[196:197], v[194:195]
	s_delay_alu instid0(VALU_DEP_1) | instskip(NEXT) | instid1(VALU_DEP_1)
	v_mul_f64 v[196:197], v[198:199], v[194:195]
	v_fma_f64 v[192:193], -v[192:193], v[196:197], v[198:199]
	s_delay_alu instid0(VALU_DEP_1) | instskip(NEXT) | instid1(VALU_DEP_1)
	v_div_fmas_f64 v[192:193], v[192:193], v[194:195], v[196:197]
	v_div_fixup_f64 v[192:193], v[192:193], v[190:191], v[188:189]
	s_delay_alu instid0(VALU_DEP_1) | instskip(NEXT) | instid1(VALU_DEP_1)
	v_fma_f64 v[188:189], v[188:189], v[192:193], v[190:191]
	v_div_scale_f64 v[190:191], null, v[188:189], v[188:189], 1.0
	s_delay_alu instid0(VALU_DEP_1) | instskip(SKIP_2) | instid1(VALU_DEP_1)
	v_rcp_f64_e32 v[194:195], v[190:191]
	s_waitcnt_depctr 0xfff
	v_fma_f64 v[196:197], -v[190:191], v[194:195], 1.0
	v_fma_f64 v[194:195], v[194:195], v[196:197], v[194:195]
	s_delay_alu instid0(VALU_DEP_1) | instskip(NEXT) | instid1(VALU_DEP_1)
	v_fma_f64 v[196:197], -v[190:191], v[194:195], 1.0
	v_fma_f64 v[194:195], v[194:195], v[196:197], v[194:195]
	v_div_scale_f64 v[196:197], vcc_lo, 1.0, v[188:189], 1.0
	s_delay_alu instid0(VALU_DEP_1) | instskip(NEXT) | instid1(VALU_DEP_1)
	v_mul_f64 v[198:199], v[196:197], v[194:195]
	v_fma_f64 v[190:191], -v[190:191], v[198:199], v[196:197]
	s_delay_alu instid0(VALU_DEP_1) | instskip(NEXT) | instid1(VALU_DEP_1)
	v_div_fmas_f64 v[190:191], v[190:191], v[194:195], v[198:199]
	v_div_fixup_f64 v[194:195], v[190:191], v[188:189], 1.0
                                        ; implicit-def: $vgpr188_vgpr189
	s_delay_alu instid0(VALU_DEP_1)
	v_mul_f64 v[196:197], v[192:193], v[194:195]
	v_xor_b32_e32 v195, 0x80000000, v195
.LBB93_284:
	s_and_not1_saveexec_b32 s3, s3
	s_cbranch_execz .LBB93_286
; %bb.285:
	v_div_scale_f64 v[192:193], null, v[188:189], v[188:189], v[190:191]
	v_div_scale_f64 v[198:199], vcc_lo, v[190:191], v[188:189], v[190:191]
	s_delay_alu instid0(VALU_DEP_2) | instskip(SKIP_2) | instid1(VALU_DEP_1)
	v_rcp_f64_e32 v[194:195], v[192:193]
	s_waitcnt_depctr 0xfff
	v_fma_f64 v[196:197], -v[192:193], v[194:195], 1.0
	v_fma_f64 v[194:195], v[194:195], v[196:197], v[194:195]
	s_delay_alu instid0(VALU_DEP_1) | instskip(NEXT) | instid1(VALU_DEP_1)
	v_fma_f64 v[196:197], -v[192:193], v[194:195], 1.0
	v_fma_f64 v[194:195], v[194:195], v[196:197], v[194:195]
	s_delay_alu instid0(VALU_DEP_1) | instskip(NEXT) | instid1(VALU_DEP_1)
	v_mul_f64 v[196:197], v[198:199], v[194:195]
	v_fma_f64 v[192:193], -v[192:193], v[196:197], v[198:199]
	s_delay_alu instid0(VALU_DEP_1) | instskip(NEXT) | instid1(VALU_DEP_1)
	v_div_fmas_f64 v[192:193], v[192:193], v[194:195], v[196:197]
	v_div_fixup_f64 v[192:193], v[192:193], v[188:189], v[190:191]
	s_delay_alu instid0(VALU_DEP_1) | instskip(NEXT) | instid1(VALU_DEP_1)
	v_fma_f64 v[188:189], v[190:191], v[192:193], v[188:189]
	v_div_scale_f64 v[190:191], null, v[188:189], v[188:189], 1.0
	s_delay_alu instid0(VALU_DEP_1) | instskip(SKIP_2) | instid1(VALU_DEP_1)
	v_rcp_f64_e32 v[194:195], v[190:191]
	s_waitcnt_depctr 0xfff
	v_fma_f64 v[196:197], -v[190:191], v[194:195], 1.0
	v_fma_f64 v[194:195], v[194:195], v[196:197], v[194:195]
	s_delay_alu instid0(VALU_DEP_1) | instskip(NEXT) | instid1(VALU_DEP_1)
	v_fma_f64 v[196:197], -v[190:191], v[194:195], 1.0
	v_fma_f64 v[194:195], v[194:195], v[196:197], v[194:195]
	v_div_scale_f64 v[196:197], vcc_lo, 1.0, v[188:189], 1.0
	s_delay_alu instid0(VALU_DEP_1) | instskip(NEXT) | instid1(VALU_DEP_1)
	v_mul_f64 v[198:199], v[196:197], v[194:195]
	v_fma_f64 v[190:191], -v[190:191], v[198:199], v[196:197]
	s_delay_alu instid0(VALU_DEP_1) | instskip(NEXT) | instid1(VALU_DEP_1)
	v_div_fmas_f64 v[190:191], v[190:191], v[194:195], v[198:199]
	v_div_fixup_f64 v[196:197], v[190:191], v[188:189], 1.0
	s_delay_alu instid0(VALU_DEP_1)
	v_mul_f64 v[194:195], v[192:193], -v[196:197]
.LBB93_286:
	s_or_b32 exec_lo, exec_lo, s3
	ds_store_2addr_b64 v243, v[196:197], v[194:195] offset1:1
.LBB93_287:
	s_or_b32 exec_lo, exec_lo, s4
	s_waitcnt lgkmcnt(0)
	s_barrier
	buffer_gl0_inv
	ds_load_2addr_b64 v[188:191], v243 offset1:1
	s_mov_b32 s3, exec_lo
	s_waitcnt lgkmcnt(0)
	scratch_store_b128 off, v[188:191], off offset:840 ; 16-byte Folded Spill
	v_cmpx_lt_u32_e32 31, v242
	s_cbranch_execz .LBB93_289
; %bb.288:
	scratch_load_b128 v[190:193], off, off offset:840 ; 16-byte Folded Reload
	s_waitcnt vmcnt(0)
	v_mul_f64 v[188:189], v[190:191], v[62:63]
	v_mul_f64 v[62:63], v[192:193], v[62:63]
	s_delay_alu instid0(VALU_DEP_2) | instskip(NEXT) | instid1(VALU_DEP_2)
	v_fma_f64 v[188:189], v[192:193], v[60:61], v[188:189]
	v_fma_f64 v[60:61], v[190:191], v[60:61], -v[62:63]
	ds_load_2addr_b64 v[190:193], v244 offset0:64 offset1:65
	s_waitcnt lgkmcnt(0)
	v_mul_f64 v[62:63], v[192:193], v[188:189]
	s_delay_alu instid0(VALU_DEP_1) | instskip(SKIP_1) | instid1(VALU_DEP_2)
	v_fma_f64 v[62:63], v[190:191], v[60:61], -v[62:63]
	v_mul_f64 v[190:191], v[190:191], v[188:189]
	v_add_f64 v[56:57], v[56:57], -v[62:63]
	s_delay_alu instid0(VALU_DEP_2) | instskip(NEXT) | instid1(VALU_DEP_1)
	v_fma_f64 v[190:191], v[192:193], v[60:61], v[190:191]
	v_add_f64 v[58:59], v[58:59], -v[190:191]
	ds_load_2addr_b64 v[190:193], v244 offset0:66 offset1:67
	s_waitcnt lgkmcnt(0)
	v_mul_f64 v[62:63], v[192:193], v[188:189]
	s_delay_alu instid0(VALU_DEP_1) | instskip(SKIP_1) | instid1(VALU_DEP_2)
	v_fma_f64 v[62:63], v[190:191], v[60:61], -v[62:63]
	v_mul_f64 v[190:191], v[190:191], v[188:189]
	v_add_f64 v[52:53], v[52:53], -v[62:63]
	s_delay_alu instid0(VALU_DEP_2) | instskip(NEXT) | instid1(VALU_DEP_1)
	v_fma_f64 v[190:191], v[192:193], v[60:61], v[190:191]
	v_add_f64 v[54:55], v[54:55], -v[190:191]
	;; [unrolled: 10-line block ×14, first 2 shown]
	ds_load_2addr_b64 v[190:193], v244 offset0:92 offset1:93
	s_waitcnt lgkmcnt(0)
	v_mul_f64 v[62:63], v[192:193], v[188:189]
	s_delay_alu instid0(VALU_DEP_1) | instskip(SKIP_1) | instid1(VALU_DEP_2)
	v_fma_f64 v[62:63], v[190:191], v[60:61], -v[62:63]
	v_mul_f64 v[190:191], v[190:191], v[188:189]
	v_add_f64 v[0:1], v[0:1], -v[62:63]
	s_delay_alu instid0(VALU_DEP_2) | instskip(SKIP_1) | instid1(VALU_DEP_2)
	v_fma_f64 v[190:191], v[192:193], v[60:61], v[190:191]
	v_dual_mov_b32 v62, v188 :: v_dual_mov_b32 v63, v189
	v_add_f64 v[2:3], v[2:3], -v[190:191]
.LBB93_289:
	s_or_b32 exec_lo, exec_lo, s3
	s_delay_alu instid0(SALU_CYCLE_1)
	s_mov_b32 s4, exec_lo
	s_waitcnt_vscnt null, 0x0
	s_barrier
	buffer_gl0_inv
	v_cmpx_eq_u32_e32 32, v242
	s_cbranch_execz .LBB93_296
; %bb.290:
	ds_store_2addr_b64 v243, v[56:57], v[58:59] offset1:1
	ds_store_2addr_b64 v244, v[52:53], v[54:55] offset0:66 offset1:67
	ds_store_2addr_b64 v244, v[48:49], v[50:51] offset0:68 offset1:69
	;; [unrolled: 1-line block ×14, first 2 shown]
	ds_load_2addr_b64 v[188:191], v243 offset1:1
	s_waitcnt lgkmcnt(0)
	v_cmp_neq_f64_e32 vcc_lo, 0, v[188:189]
	v_cmp_neq_f64_e64 s3, 0, v[190:191]
	s_delay_alu instid0(VALU_DEP_1) | instskip(NEXT) | instid1(SALU_CYCLE_1)
	s_or_b32 s3, vcc_lo, s3
	s_and_b32 exec_lo, exec_lo, s3
	s_cbranch_execz .LBB93_296
; %bb.291:
	v_cmp_gt_f64_e32 vcc_lo, 0, v[188:189]
	v_xor_b32_e32 v192, 0x80000000, v189
	v_xor_b32_e32 v194, 0x80000000, v191
	s_mov_b32 s3, exec_lo
                                        ; implicit-def: $vgpr196_vgpr197
	s_delay_alu instid0(VALU_DEP_2) | instskip(SKIP_4) | instid1(VALU_DEP_1)
	v_cndmask_b32_e32 v193, v189, v192, vcc_lo
	v_cndmask_b32_e32 v192, v188, v188, vcc_lo
	v_cmp_gt_f64_e32 vcc_lo, 0, v[190:191]
	v_cndmask_b32_e32 v195, v191, v194, vcc_lo
	v_cndmask_b32_e32 v194, v190, v190, vcc_lo
	v_cmpx_ngt_f64_e32 v[192:193], v[194:195]
	s_xor_b32 s3, exec_lo, s3
                                        ; implicit-def: $vgpr192_vgpr193_vgpr194_vgpr195
	s_cbranch_execz .LBB93_293
; %bb.292:
	v_div_scale_f64 v[192:193], null, v[190:191], v[190:191], v[188:189]
	v_div_scale_f64 v[198:199], vcc_lo, v[188:189], v[190:191], v[188:189]
	s_delay_alu instid0(VALU_DEP_2) | instskip(SKIP_2) | instid1(VALU_DEP_1)
	v_rcp_f64_e32 v[194:195], v[192:193]
	s_waitcnt_depctr 0xfff
	v_fma_f64 v[196:197], -v[192:193], v[194:195], 1.0
	v_fma_f64 v[194:195], v[194:195], v[196:197], v[194:195]
	s_delay_alu instid0(VALU_DEP_1) | instskip(NEXT) | instid1(VALU_DEP_1)
	v_fma_f64 v[196:197], -v[192:193], v[194:195], 1.0
	v_fma_f64 v[194:195], v[194:195], v[196:197], v[194:195]
	s_delay_alu instid0(VALU_DEP_1) | instskip(NEXT) | instid1(VALU_DEP_1)
	v_mul_f64 v[196:197], v[198:199], v[194:195]
	v_fma_f64 v[192:193], -v[192:193], v[196:197], v[198:199]
	s_delay_alu instid0(VALU_DEP_1) | instskip(NEXT) | instid1(VALU_DEP_1)
	v_div_fmas_f64 v[192:193], v[192:193], v[194:195], v[196:197]
	v_div_fixup_f64 v[192:193], v[192:193], v[190:191], v[188:189]
	s_delay_alu instid0(VALU_DEP_1) | instskip(NEXT) | instid1(VALU_DEP_1)
	v_fma_f64 v[188:189], v[188:189], v[192:193], v[190:191]
	v_div_scale_f64 v[190:191], null, v[188:189], v[188:189], 1.0
	s_delay_alu instid0(VALU_DEP_1) | instskip(SKIP_2) | instid1(VALU_DEP_1)
	v_rcp_f64_e32 v[194:195], v[190:191]
	s_waitcnt_depctr 0xfff
	v_fma_f64 v[196:197], -v[190:191], v[194:195], 1.0
	v_fma_f64 v[194:195], v[194:195], v[196:197], v[194:195]
	s_delay_alu instid0(VALU_DEP_1) | instskip(NEXT) | instid1(VALU_DEP_1)
	v_fma_f64 v[196:197], -v[190:191], v[194:195], 1.0
	v_fma_f64 v[194:195], v[194:195], v[196:197], v[194:195]
	v_div_scale_f64 v[196:197], vcc_lo, 1.0, v[188:189], 1.0
	s_delay_alu instid0(VALU_DEP_1) | instskip(NEXT) | instid1(VALU_DEP_1)
	v_mul_f64 v[198:199], v[196:197], v[194:195]
	v_fma_f64 v[190:191], -v[190:191], v[198:199], v[196:197]
	s_delay_alu instid0(VALU_DEP_1) | instskip(NEXT) | instid1(VALU_DEP_1)
	v_div_fmas_f64 v[190:191], v[190:191], v[194:195], v[198:199]
	v_div_fixup_f64 v[194:195], v[190:191], v[188:189], 1.0
                                        ; implicit-def: $vgpr188_vgpr189
	s_delay_alu instid0(VALU_DEP_1)
	v_mul_f64 v[196:197], v[192:193], v[194:195]
	v_xor_b32_e32 v195, 0x80000000, v195
.LBB93_293:
	s_and_not1_saveexec_b32 s3, s3
	s_cbranch_execz .LBB93_295
; %bb.294:
	v_div_scale_f64 v[192:193], null, v[188:189], v[188:189], v[190:191]
	v_div_scale_f64 v[198:199], vcc_lo, v[190:191], v[188:189], v[190:191]
	s_delay_alu instid0(VALU_DEP_2) | instskip(SKIP_2) | instid1(VALU_DEP_1)
	v_rcp_f64_e32 v[194:195], v[192:193]
	s_waitcnt_depctr 0xfff
	v_fma_f64 v[196:197], -v[192:193], v[194:195], 1.0
	v_fma_f64 v[194:195], v[194:195], v[196:197], v[194:195]
	s_delay_alu instid0(VALU_DEP_1) | instskip(NEXT) | instid1(VALU_DEP_1)
	v_fma_f64 v[196:197], -v[192:193], v[194:195], 1.0
	v_fma_f64 v[194:195], v[194:195], v[196:197], v[194:195]
	s_delay_alu instid0(VALU_DEP_1) | instskip(NEXT) | instid1(VALU_DEP_1)
	v_mul_f64 v[196:197], v[198:199], v[194:195]
	v_fma_f64 v[192:193], -v[192:193], v[196:197], v[198:199]
	s_delay_alu instid0(VALU_DEP_1) | instskip(NEXT) | instid1(VALU_DEP_1)
	v_div_fmas_f64 v[192:193], v[192:193], v[194:195], v[196:197]
	v_div_fixup_f64 v[192:193], v[192:193], v[188:189], v[190:191]
	s_delay_alu instid0(VALU_DEP_1) | instskip(NEXT) | instid1(VALU_DEP_1)
	v_fma_f64 v[188:189], v[190:191], v[192:193], v[188:189]
	v_div_scale_f64 v[190:191], null, v[188:189], v[188:189], 1.0
	s_delay_alu instid0(VALU_DEP_1) | instskip(SKIP_2) | instid1(VALU_DEP_1)
	v_rcp_f64_e32 v[194:195], v[190:191]
	s_waitcnt_depctr 0xfff
	v_fma_f64 v[196:197], -v[190:191], v[194:195], 1.0
	v_fma_f64 v[194:195], v[194:195], v[196:197], v[194:195]
	s_delay_alu instid0(VALU_DEP_1) | instskip(NEXT) | instid1(VALU_DEP_1)
	v_fma_f64 v[196:197], -v[190:191], v[194:195], 1.0
	v_fma_f64 v[194:195], v[194:195], v[196:197], v[194:195]
	v_div_scale_f64 v[196:197], vcc_lo, 1.0, v[188:189], 1.0
	s_delay_alu instid0(VALU_DEP_1) | instskip(NEXT) | instid1(VALU_DEP_1)
	v_mul_f64 v[198:199], v[196:197], v[194:195]
	v_fma_f64 v[190:191], -v[190:191], v[198:199], v[196:197]
	s_delay_alu instid0(VALU_DEP_1) | instskip(NEXT) | instid1(VALU_DEP_1)
	v_div_fmas_f64 v[190:191], v[190:191], v[194:195], v[198:199]
	v_div_fixup_f64 v[196:197], v[190:191], v[188:189], 1.0
	s_delay_alu instid0(VALU_DEP_1)
	v_mul_f64 v[194:195], v[192:193], -v[196:197]
.LBB93_295:
	s_or_b32 exec_lo, exec_lo, s3
	ds_store_2addr_b64 v243, v[196:197], v[194:195] offset1:1
.LBB93_296:
	s_or_b32 exec_lo, exec_lo, s4
	s_waitcnt lgkmcnt(0)
	s_barrier
	buffer_gl0_inv
	ds_load_2addr_b64 v[188:191], v243 offset1:1
	s_mov_b32 s3, exec_lo
	s_waitcnt lgkmcnt(0)
	scratch_store_b128 off, v[188:191], off offset:856 ; 16-byte Folded Spill
	v_cmpx_lt_u32_e32 32, v242
	s_cbranch_execz .LBB93_298
; %bb.297:
	scratch_load_b128 v[190:193], off, off offset:856 ; 16-byte Folded Reload
	s_waitcnt vmcnt(0)
	v_mul_f64 v[188:189], v[190:191], v[58:59]
	v_mul_f64 v[58:59], v[192:193], v[58:59]
	s_delay_alu instid0(VALU_DEP_2) | instskip(NEXT) | instid1(VALU_DEP_2)
	v_fma_f64 v[188:189], v[192:193], v[56:57], v[188:189]
	v_fma_f64 v[56:57], v[190:191], v[56:57], -v[58:59]
	ds_load_2addr_b64 v[190:193], v244 offset0:66 offset1:67
	s_waitcnt lgkmcnt(0)
	v_mul_f64 v[58:59], v[192:193], v[188:189]
	s_delay_alu instid0(VALU_DEP_1) | instskip(SKIP_1) | instid1(VALU_DEP_2)
	v_fma_f64 v[58:59], v[190:191], v[56:57], -v[58:59]
	v_mul_f64 v[190:191], v[190:191], v[188:189]
	v_add_f64 v[52:53], v[52:53], -v[58:59]
	s_delay_alu instid0(VALU_DEP_2) | instskip(NEXT) | instid1(VALU_DEP_1)
	v_fma_f64 v[190:191], v[192:193], v[56:57], v[190:191]
	v_add_f64 v[54:55], v[54:55], -v[190:191]
	ds_load_2addr_b64 v[190:193], v244 offset0:68 offset1:69
	s_waitcnt lgkmcnt(0)
	v_mul_f64 v[58:59], v[192:193], v[188:189]
	s_delay_alu instid0(VALU_DEP_1) | instskip(SKIP_1) | instid1(VALU_DEP_2)
	v_fma_f64 v[58:59], v[190:191], v[56:57], -v[58:59]
	v_mul_f64 v[190:191], v[190:191], v[188:189]
	v_add_f64 v[48:49], v[48:49], -v[58:59]
	s_delay_alu instid0(VALU_DEP_2) | instskip(NEXT) | instid1(VALU_DEP_1)
	v_fma_f64 v[190:191], v[192:193], v[56:57], v[190:191]
	v_add_f64 v[50:51], v[50:51], -v[190:191]
	;; [unrolled: 10-line block ×13, first 2 shown]
	ds_load_2addr_b64 v[190:193], v244 offset0:92 offset1:93
	s_waitcnt lgkmcnt(0)
	v_mul_f64 v[58:59], v[192:193], v[188:189]
	s_delay_alu instid0(VALU_DEP_1) | instskip(SKIP_1) | instid1(VALU_DEP_2)
	v_fma_f64 v[58:59], v[190:191], v[56:57], -v[58:59]
	v_mul_f64 v[190:191], v[190:191], v[188:189]
	v_add_f64 v[0:1], v[0:1], -v[58:59]
	s_delay_alu instid0(VALU_DEP_2) | instskip(SKIP_1) | instid1(VALU_DEP_2)
	v_fma_f64 v[190:191], v[192:193], v[56:57], v[190:191]
	v_dual_mov_b32 v58, v188 :: v_dual_mov_b32 v59, v189
	v_add_f64 v[2:3], v[2:3], -v[190:191]
.LBB93_298:
	s_or_b32 exec_lo, exec_lo, s3
	s_delay_alu instid0(SALU_CYCLE_1)
	s_mov_b32 s4, exec_lo
	s_waitcnt_vscnt null, 0x0
	s_barrier
	buffer_gl0_inv
	v_cmpx_eq_u32_e32 33, v242
	s_cbranch_execz .LBB93_305
; %bb.299:
	ds_store_2addr_b64 v243, v[52:53], v[54:55] offset1:1
	ds_store_2addr_b64 v244, v[48:49], v[50:51] offset0:68 offset1:69
	ds_store_2addr_b64 v244, v[44:45], v[46:47] offset0:70 offset1:71
	;; [unrolled: 1-line block ×13, first 2 shown]
	ds_load_2addr_b64 v[188:191], v243 offset1:1
	s_waitcnt lgkmcnt(0)
	v_cmp_neq_f64_e32 vcc_lo, 0, v[188:189]
	v_cmp_neq_f64_e64 s3, 0, v[190:191]
	s_delay_alu instid0(VALU_DEP_1) | instskip(NEXT) | instid1(SALU_CYCLE_1)
	s_or_b32 s3, vcc_lo, s3
	s_and_b32 exec_lo, exec_lo, s3
	s_cbranch_execz .LBB93_305
; %bb.300:
	v_cmp_gt_f64_e32 vcc_lo, 0, v[188:189]
	v_xor_b32_e32 v192, 0x80000000, v189
	v_xor_b32_e32 v194, 0x80000000, v191
	s_mov_b32 s3, exec_lo
                                        ; implicit-def: $vgpr196_vgpr197
	s_delay_alu instid0(VALU_DEP_2) | instskip(SKIP_4) | instid1(VALU_DEP_1)
	v_cndmask_b32_e32 v193, v189, v192, vcc_lo
	v_cndmask_b32_e32 v192, v188, v188, vcc_lo
	v_cmp_gt_f64_e32 vcc_lo, 0, v[190:191]
	v_cndmask_b32_e32 v195, v191, v194, vcc_lo
	v_cndmask_b32_e32 v194, v190, v190, vcc_lo
	v_cmpx_ngt_f64_e32 v[192:193], v[194:195]
	s_xor_b32 s3, exec_lo, s3
                                        ; implicit-def: $vgpr192_vgpr193_vgpr194_vgpr195
	s_cbranch_execz .LBB93_302
; %bb.301:
	v_div_scale_f64 v[192:193], null, v[190:191], v[190:191], v[188:189]
	v_div_scale_f64 v[198:199], vcc_lo, v[188:189], v[190:191], v[188:189]
	s_delay_alu instid0(VALU_DEP_2) | instskip(SKIP_2) | instid1(VALU_DEP_1)
	v_rcp_f64_e32 v[194:195], v[192:193]
	s_waitcnt_depctr 0xfff
	v_fma_f64 v[196:197], -v[192:193], v[194:195], 1.0
	v_fma_f64 v[194:195], v[194:195], v[196:197], v[194:195]
	s_delay_alu instid0(VALU_DEP_1) | instskip(NEXT) | instid1(VALU_DEP_1)
	v_fma_f64 v[196:197], -v[192:193], v[194:195], 1.0
	v_fma_f64 v[194:195], v[194:195], v[196:197], v[194:195]
	s_delay_alu instid0(VALU_DEP_1) | instskip(NEXT) | instid1(VALU_DEP_1)
	v_mul_f64 v[196:197], v[198:199], v[194:195]
	v_fma_f64 v[192:193], -v[192:193], v[196:197], v[198:199]
	s_delay_alu instid0(VALU_DEP_1) | instskip(NEXT) | instid1(VALU_DEP_1)
	v_div_fmas_f64 v[192:193], v[192:193], v[194:195], v[196:197]
	v_div_fixup_f64 v[192:193], v[192:193], v[190:191], v[188:189]
	s_delay_alu instid0(VALU_DEP_1) | instskip(NEXT) | instid1(VALU_DEP_1)
	v_fma_f64 v[188:189], v[188:189], v[192:193], v[190:191]
	v_div_scale_f64 v[190:191], null, v[188:189], v[188:189], 1.0
	s_delay_alu instid0(VALU_DEP_1) | instskip(SKIP_2) | instid1(VALU_DEP_1)
	v_rcp_f64_e32 v[194:195], v[190:191]
	s_waitcnt_depctr 0xfff
	v_fma_f64 v[196:197], -v[190:191], v[194:195], 1.0
	v_fma_f64 v[194:195], v[194:195], v[196:197], v[194:195]
	s_delay_alu instid0(VALU_DEP_1) | instskip(NEXT) | instid1(VALU_DEP_1)
	v_fma_f64 v[196:197], -v[190:191], v[194:195], 1.0
	v_fma_f64 v[194:195], v[194:195], v[196:197], v[194:195]
	v_div_scale_f64 v[196:197], vcc_lo, 1.0, v[188:189], 1.0
	s_delay_alu instid0(VALU_DEP_1) | instskip(NEXT) | instid1(VALU_DEP_1)
	v_mul_f64 v[198:199], v[196:197], v[194:195]
	v_fma_f64 v[190:191], -v[190:191], v[198:199], v[196:197]
	s_delay_alu instid0(VALU_DEP_1) | instskip(NEXT) | instid1(VALU_DEP_1)
	v_div_fmas_f64 v[190:191], v[190:191], v[194:195], v[198:199]
	v_div_fixup_f64 v[194:195], v[190:191], v[188:189], 1.0
                                        ; implicit-def: $vgpr188_vgpr189
	s_delay_alu instid0(VALU_DEP_1)
	v_mul_f64 v[196:197], v[192:193], v[194:195]
	v_xor_b32_e32 v195, 0x80000000, v195
.LBB93_302:
	s_and_not1_saveexec_b32 s3, s3
	s_cbranch_execz .LBB93_304
; %bb.303:
	v_div_scale_f64 v[192:193], null, v[188:189], v[188:189], v[190:191]
	v_div_scale_f64 v[198:199], vcc_lo, v[190:191], v[188:189], v[190:191]
	s_delay_alu instid0(VALU_DEP_2) | instskip(SKIP_2) | instid1(VALU_DEP_1)
	v_rcp_f64_e32 v[194:195], v[192:193]
	s_waitcnt_depctr 0xfff
	v_fma_f64 v[196:197], -v[192:193], v[194:195], 1.0
	v_fma_f64 v[194:195], v[194:195], v[196:197], v[194:195]
	s_delay_alu instid0(VALU_DEP_1) | instskip(NEXT) | instid1(VALU_DEP_1)
	v_fma_f64 v[196:197], -v[192:193], v[194:195], 1.0
	v_fma_f64 v[194:195], v[194:195], v[196:197], v[194:195]
	s_delay_alu instid0(VALU_DEP_1) | instskip(NEXT) | instid1(VALU_DEP_1)
	v_mul_f64 v[196:197], v[198:199], v[194:195]
	v_fma_f64 v[192:193], -v[192:193], v[196:197], v[198:199]
	s_delay_alu instid0(VALU_DEP_1) | instskip(NEXT) | instid1(VALU_DEP_1)
	v_div_fmas_f64 v[192:193], v[192:193], v[194:195], v[196:197]
	v_div_fixup_f64 v[192:193], v[192:193], v[188:189], v[190:191]
	s_delay_alu instid0(VALU_DEP_1) | instskip(NEXT) | instid1(VALU_DEP_1)
	v_fma_f64 v[188:189], v[190:191], v[192:193], v[188:189]
	v_div_scale_f64 v[190:191], null, v[188:189], v[188:189], 1.0
	s_delay_alu instid0(VALU_DEP_1) | instskip(SKIP_2) | instid1(VALU_DEP_1)
	v_rcp_f64_e32 v[194:195], v[190:191]
	s_waitcnt_depctr 0xfff
	v_fma_f64 v[196:197], -v[190:191], v[194:195], 1.0
	v_fma_f64 v[194:195], v[194:195], v[196:197], v[194:195]
	s_delay_alu instid0(VALU_DEP_1) | instskip(NEXT) | instid1(VALU_DEP_1)
	v_fma_f64 v[196:197], -v[190:191], v[194:195], 1.0
	v_fma_f64 v[194:195], v[194:195], v[196:197], v[194:195]
	v_div_scale_f64 v[196:197], vcc_lo, 1.0, v[188:189], 1.0
	s_delay_alu instid0(VALU_DEP_1) | instskip(NEXT) | instid1(VALU_DEP_1)
	v_mul_f64 v[198:199], v[196:197], v[194:195]
	v_fma_f64 v[190:191], -v[190:191], v[198:199], v[196:197]
	s_delay_alu instid0(VALU_DEP_1) | instskip(NEXT) | instid1(VALU_DEP_1)
	v_div_fmas_f64 v[190:191], v[190:191], v[194:195], v[198:199]
	v_div_fixup_f64 v[196:197], v[190:191], v[188:189], 1.0
	s_delay_alu instid0(VALU_DEP_1)
	v_mul_f64 v[194:195], v[192:193], -v[196:197]
.LBB93_304:
	s_or_b32 exec_lo, exec_lo, s3
	ds_store_2addr_b64 v243, v[196:197], v[194:195] offset1:1
.LBB93_305:
	s_or_b32 exec_lo, exec_lo, s4
	s_waitcnt lgkmcnt(0)
	s_barrier
	buffer_gl0_inv
	ds_load_2addr_b64 v[188:191], v243 offset1:1
	s_mov_b32 s3, exec_lo
	s_waitcnt lgkmcnt(0)
	scratch_store_b128 off, v[188:191], off offset:872 ; 16-byte Folded Spill
	v_cmpx_lt_u32_e32 33, v242
	s_cbranch_execz .LBB93_307
; %bb.306:
	scratch_load_b128 v[190:193], off, off offset:872 ; 16-byte Folded Reload
	s_waitcnt vmcnt(0)
	v_mul_f64 v[188:189], v[190:191], v[54:55]
	v_mul_f64 v[54:55], v[192:193], v[54:55]
	s_delay_alu instid0(VALU_DEP_2) | instskip(NEXT) | instid1(VALU_DEP_2)
	v_fma_f64 v[188:189], v[192:193], v[52:53], v[188:189]
	v_fma_f64 v[52:53], v[190:191], v[52:53], -v[54:55]
	ds_load_2addr_b64 v[190:193], v244 offset0:68 offset1:69
	s_waitcnt lgkmcnt(0)
	v_mul_f64 v[54:55], v[192:193], v[188:189]
	s_delay_alu instid0(VALU_DEP_1) | instskip(SKIP_1) | instid1(VALU_DEP_2)
	v_fma_f64 v[54:55], v[190:191], v[52:53], -v[54:55]
	v_mul_f64 v[190:191], v[190:191], v[188:189]
	v_add_f64 v[48:49], v[48:49], -v[54:55]
	s_delay_alu instid0(VALU_DEP_2) | instskip(NEXT) | instid1(VALU_DEP_1)
	v_fma_f64 v[190:191], v[192:193], v[52:53], v[190:191]
	v_add_f64 v[50:51], v[50:51], -v[190:191]
	ds_load_2addr_b64 v[190:193], v244 offset0:70 offset1:71
	s_waitcnt lgkmcnt(0)
	v_mul_f64 v[54:55], v[192:193], v[188:189]
	s_delay_alu instid0(VALU_DEP_1) | instskip(SKIP_1) | instid1(VALU_DEP_2)
	v_fma_f64 v[54:55], v[190:191], v[52:53], -v[54:55]
	v_mul_f64 v[190:191], v[190:191], v[188:189]
	v_add_f64 v[44:45], v[44:45], -v[54:55]
	s_delay_alu instid0(VALU_DEP_2) | instskip(NEXT) | instid1(VALU_DEP_1)
	v_fma_f64 v[190:191], v[192:193], v[52:53], v[190:191]
	v_add_f64 v[46:47], v[46:47], -v[190:191]
	;; [unrolled: 10-line block ×12, first 2 shown]
	ds_load_2addr_b64 v[190:193], v244 offset0:92 offset1:93
	s_waitcnt lgkmcnt(0)
	v_mul_f64 v[54:55], v[192:193], v[188:189]
	s_delay_alu instid0(VALU_DEP_1) | instskip(SKIP_1) | instid1(VALU_DEP_2)
	v_fma_f64 v[54:55], v[190:191], v[52:53], -v[54:55]
	v_mul_f64 v[190:191], v[190:191], v[188:189]
	v_add_f64 v[0:1], v[0:1], -v[54:55]
	s_delay_alu instid0(VALU_DEP_2) | instskip(SKIP_1) | instid1(VALU_DEP_2)
	v_fma_f64 v[190:191], v[192:193], v[52:53], v[190:191]
	v_dual_mov_b32 v54, v188 :: v_dual_mov_b32 v55, v189
	v_add_f64 v[2:3], v[2:3], -v[190:191]
.LBB93_307:
	s_or_b32 exec_lo, exec_lo, s3
	s_delay_alu instid0(SALU_CYCLE_1)
	s_mov_b32 s4, exec_lo
	s_waitcnt_vscnt null, 0x0
	s_barrier
	buffer_gl0_inv
	v_cmpx_eq_u32_e32 34, v242
	s_cbranch_execz .LBB93_314
; %bb.308:
	ds_store_2addr_b64 v243, v[48:49], v[50:51] offset1:1
	ds_store_2addr_b64 v244, v[44:45], v[46:47] offset0:70 offset1:71
	ds_store_2addr_b64 v244, v[40:41], v[42:43] offset0:72 offset1:73
	;; [unrolled: 1-line block ×12, first 2 shown]
	ds_load_2addr_b64 v[188:191], v243 offset1:1
	s_waitcnt lgkmcnt(0)
	v_cmp_neq_f64_e32 vcc_lo, 0, v[188:189]
	v_cmp_neq_f64_e64 s3, 0, v[190:191]
	s_delay_alu instid0(VALU_DEP_1) | instskip(NEXT) | instid1(SALU_CYCLE_1)
	s_or_b32 s3, vcc_lo, s3
	s_and_b32 exec_lo, exec_lo, s3
	s_cbranch_execz .LBB93_314
; %bb.309:
	v_cmp_gt_f64_e32 vcc_lo, 0, v[188:189]
	v_xor_b32_e32 v192, 0x80000000, v189
	v_xor_b32_e32 v194, 0x80000000, v191
	s_mov_b32 s3, exec_lo
                                        ; implicit-def: $vgpr196_vgpr197
	s_delay_alu instid0(VALU_DEP_2) | instskip(SKIP_4) | instid1(VALU_DEP_1)
	v_cndmask_b32_e32 v193, v189, v192, vcc_lo
	v_cndmask_b32_e32 v192, v188, v188, vcc_lo
	v_cmp_gt_f64_e32 vcc_lo, 0, v[190:191]
	v_cndmask_b32_e32 v195, v191, v194, vcc_lo
	v_cndmask_b32_e32 v194, v190, v190, vcc_lo
	v_cmpx_ngt_f64_e32 v[192:193], v[194:195]
	s_xor_b32 s3, exec_lo, s3
                                        ; implicit-def: $vgpr192_vgpr193_vgpr194_vgpr195
	s_cbranch_execz .LBB93_311
; %bb.310:
	v_div_scale_f64 v[192:193], null, v[190:191], v[190:191], v[188:189]
	v_div_scale_f64 v[198:199], vcc_lo, v[188:189], v[190:191], v[188:189]
	s_delay_alu instid0(VALU_DEP_2) | instskip(SKIP_2) | instid1(VALU_DEP_1)
	v_rcp_f64_e32 v[194:195], v[192:193]
	s_waitcnt_depctr 0xfff
	v_fma_f64 v[196:197], -v[192:193], v[194:195], 1.0
	v_fma_f64 v[194:195], v[194:195], v[196:197], v[194:195]
	s_delay_alu instid0(VALU_DEP_1) | instskip(NEXT) | instid1(VALU_DEP_1)
	v_fma_f64 v[196:197], -v[192:193], v[194:195], 1.0
	v_fma_f64 v[194:195], v[194:195], v[196:197], v[194:195]
	s_delay_alu instid0(VALU_DEP_1) | instskip(NEXT) | instid1(VALU_DEP_1)
	v_mul_f64 v[196:197], v[198:199], v[194:195]
	v_fma_f64 v[192:193], -v[192:193], v[196:197], v[198:199]
	s_delay_alu instid0(VALU_DEP_1) | instskip(NEXT) | instid1(VALU_DEP_1)
	v_div_fmas_f64 v[192:193], v[192:193], v[194:195], v[196:197]
	v_div_fixup_f64 v[192:193], v[192:193], v[190:191], v[188:189]
	s_delay_alu instid0(VALU_DEP_1) | instskip(NEXT) | instid1(VALU_DEP_1)
	v_fma_f64 v[188:189], v[188:189], v[192:193], v[190:191]
	v_div_scale_f64 v[190:191], null, v[188:189], v[188:189], 1.0
	s_delay_alu instid0(VALU_DEP_1) | instskip(SKIP_2) | instid1(VALU_DEP_1)
	v_rcp_f64_e32 v[194:195], v[190:191]
	s_waitcnt_depctr 0xfff
	v_fma_f64 v[196:197], -v[190:191], v[194:195], 1.0
	v_fma_f64 v[194:195], v[194:195], v[196:197], v[194:195]
	s_delay_alu instid0(VALU_DEP_1) | instskip(NEXT) | instid1(VALU_DEP_1)
	v_fma_f64 v[196:197], -v[190:191], v[194:195], 1.0
	v_fma_f64 v[194:195], v[194:195], v[196:197], v[194:195]
	v_div_scale_f64 v[196:197], vcc_lo, 1.0, v[188:189], 1.0
	s_delay_alu instid0(VALU_DEP_1) | instskip(NEXT) | instid1(VALU_DEP_1)
	v_mul_f64 v[198:199], v[196:197], v[194:195]
	v_fma_f64 v[190:191], -v[190:191], v[198:199], v[196:197]
	s_delay_alu instid0(VALU_DEP_1) | instskip(NEXT) | instid1(VALU_DEP_1)
	v_div_fmas_f64 v[190:191], v[190:191], v[194:195], v[198:199]
	v_div_fixup_f64 v[194:195], v[190:191], v[188:189], 1.0
                                        ; implicit-def: $vgpr188_vgpr189
	s_delay_alu instid0(VALU_DEP_1)
	v_mul_f64 v[196:197], v[192:193], v[194:195]
	v_xor_b32_e32 v195, 0x80000000, v195
.LBB93_311:
	s_and_not1_saveexec_b32 s3, s3
	s_cbranch_execz .LBB93_313
; %bb.312:
	v_div_scale_f64 v[192:193], null, v[188:189], v[188:189], v[190:191]
	v_div_scale_f64 v[198:199], vcc_lo, v[190:191], v[188:189], v[190:191]
	s_delay_alu instid0(VALU_DEP_2) | instskip(SKIP_2) | instid1(VALU_DEP_1)
	v_rcp_f64_e32 v[194:195], v[192:193]
	s_waitcnt_depctr 0xfff
	v_fma_f64 v[196:197], -v[192:193], v[194:195], 1.0
	v_fma_f64 v[194:195], v[194:195], v[196:197], v[194:195]
	s_delay_alu instid0(VALU_DEP_1) | instskip(NEXT) | instid1(VALU_DEP_1)
	v_fma_f64 v[196:197], -v[192:193], v[194:195], 1.0
	v_fma_f64 v[194:195], v[194:195], v[196:197], v[194:195]
	s_delay_alu instid0(VALU_DEP_1) | instskip(NEXT) | instid1(VALU_DEP_1)
	v_mul_f64 v[196:197], v[198:199], v[194:195]
	v_fma_f64 v[192:193], -v[192:193], v[196:197], v[198:199]
	s_delay_alu instid0(VALU_DEP_1) | instskip(NEXT) | instid1(VALU_DEP_1)
	v_div_fmas_f64 v[192:193], v[192:193], v[194:195], v[196:197]
	v_div_fixup_f64 v[192:193], v[192:193], v[188:189], v[190:191]
	s_delay_alu instid0(VALU_DEP_1) | instskip(NEXT) | instid1(VALU_DEP_1)
	v_fma_f64 v[188:189], v[190:191], v[192:193], v[188:189]
	v_div_scale_f64 v[190:191], null, v[188:189], v[188:189], 1.0
	s_delay_alu instid0(VALU_DEP_1) | instskip(SKIP_2) | instid1(VALU_DEP_1)
	v_rcp_f64_e32 v[194:195], v[190:191]
	s_waitcnt_depctr 0xfff
	v_fma_f64 v[196:197], -v[190:191], v[194:195], 1.0
	v_fma_f64 v[194:195], v[194:195], v[196:197], v[194:195]
	s_delay_alu instid0(VALU_DEP_1) | instskip(NEXT) | instid1(VALU_DEP_1)
	v_fma_f64 v[196:197], -v[190:191], v[194:195], 1.0
	v_fma_f64 v[194:195], v[194:195], v[196:197], v[194:195]
	v_div_scale_f64 v[196:197], vcc_lo, 1.0, v[188:189], 1.0
	s_delay_alu instid0(VALU_DEP_1) | instskip(NEXT) | instid1(VALU_DEP_1)
	v_mul_f64 v[198:199], v[196:197], v[194:195]
	v_fma_f64 v[190:191], -v[190:191], v[198:199], v[196:197]
	s_delay_alu instid0(VALU_DEP_1) | instskip(NEXT) | instid1(VALU_DEP_1)
	v_div_fmas_f64 v[190:191], v[190:191], v[194:195], v[198:199]
	v_div_fixup_f64 v[196:197], v[190:191], v[188:189], 1.0
	s_delay_alu instid0(VALU_DEP_1)
	v_mul_f64 v[194:195], v[192:193], -v[196:197]
.LBB93_313:
	s_or_b32 exec_lo, exec_lo, s3
	ds_store_2addr_b64 v243, v[196:197], v[194:195] offset1:1
.LBB93_314:
	s_or_b32 exec_lo, exec_lo, s4
	s_waitcnt lgkmcnt(0)
	s_barrier
	buffer_gl0_inv
	ds_load_2addr_b64 v[188:191], v243 offset1:1
	s_mov_b32 s3, exec_lo
	s_waitcnt lgkmcnt(0)
	scratch_store_b128 off, v[188:191], off offset:888 ; 16-byte Folded Spill
	v_cmpx_lt_u32_e32 34, v242
	s_cbranch_execz .LBB93_316
; %bb.315:
	scratch_load_b128 v[188:191], off, off offset:888 ; 16-byte Folded Reload
	s_waitcnt vmcnt(0)
	v_mul_f64 v[192:193], v[188:189], v[50:51]
	v_mul_f64 v[50:51], v[190:191], v[50:51]
	s_delay_alu instid0(VALU_DEP_2) | instskip(SKIP_4) | instid1(VALU_DEP_1)
	v_fma_f64 v[196:197], v[190:191], v[48:49], v[192:193]
	ds_load_2addr_b64 v[192:195], v244 offset0:70 offset1:71
	v_fma_f64 v[48:49], v[188:189], v[48:49], -v[50:51]
	s_waitcnt lgkmcnt(0)
	v_mul_f64 v[50:51], v[194:195], v[196:197]
	v_fma_f64 v[50:51], v[192:193], v[48:49], -v[50:51]
	v_mul_f64 v[192:193], v[192:193], v[196:197]
	s_delay_alu instid0(VALU_DEP_2) | instskip(NEXT) | instid1(VALU_DEP_2)
	v_add_f64 v[44:45], v[44:45], -v[50:51]
	v_fma_f64 v[192:193], v[194:195], v[48:49], v[192:193]
	s_delay_alu instid0(VALU_DEP_1) | instskip(SKIP_3) | instid1(VALU_DEP_1)
	v_add_f64 v[46:47], v[46:47], -v[192:193]
	ds_load_2addr_b64 v[192:195], v244 offset0:72 offset1:73
	s_waitcnt lgkmcnt(0)
	v_mul_f64 v[50:51], v[194:195], v[196:197]
	v_fma_f64 v[50:51], v[192:193], v[48:49], -v[50:51]
	v_mul_f64 v[192:193], v[192:193], v[196:197]
	s_delay_alu instid0(VALU_DEP_2) | instskip(NEXT) | instid1(VALU_DEP_2)
	v_add_f64 v[40:41], v[40:41], -v[50:51]
	v_fma_f64 v[192:193], v[194:195], v[48:49], v[192:193]
	s_delay_alu instid0(VALU_DEP_1) | instskip(SKIP_3) | instid1(VALU_DEP_1)
	v_add_f64 v[42:43], v[42:43], -v[192:193]
	ds_load_2addr_b64 v[192:195], v244 offset0:74 offset1:75
	;; [unrolled: 10-line block ×11, first 2 shown]
	s_waitcnt lgkmcnt(0)
	v_mul_f64 v[50:51], v[194:195], v[196:197]
	v_fma_f64 v[50:51], v[192:193], v[48:49], -v[50:51]
	v_mul_f64 v[192:193], v[192:193], v[196:197]
	s_delay_alu instid0(VALU_DEP_2) | instskip(NEXT) | instid1(VALU_DEP_2)
	v_add_f64 v[0:1], v[0:1], -v[50:51]
	v_fma_f64 v[192:193], v[194:195], v[48:49], v[192:193]
	v_dual_mov_b32 v50, v196 :: v_dual_mov_b32 v51, v197
	s_delay_alu instid0(VALU_DEP_2)
	v_add_f64 v[2:3], v[2:3], -v[192:193]
.LBB93_316:
	s_or_b32 exec_lo, exec_lo, s3
	s_delay_alu instid0(SALU_CYCLE_1)
	s_mov_b32 s4, exec_lo
	s_waitcnt_vscnt null, 0x0
	s_barrier
	buffer_gl0_inv
	v_cmpx_eq_u32_e32 35, v242
	s_cbranch_execz .LBB93_323
; %bb.317:
	ds_store_2addr_b64 v243, v[44:45], v[46:47] offset1:1
	ds_store_2addr_b64 v244, v[40:41], v[42:43] offset0:72 offset1:73
	ds_store_2addr_b64 v244, v[36:37], v[38:39] offset0:74 offset1:75
	;; [unrolled: 1-line block ×11, first 2 shown]
	ds_load_2addr_b64 v[192:195], v243 offset1:1
	s_waitcnt lgkmcnt(0)
	v_cmp_neq_f64_e32 vcc_lo, 0, v[192:193]
	v_cmp_neq_f64_e64 s3, 0, v[194:195]
	s_delay_alu instid0(VALU_DEP_1) | instskip(NEXT) | instid1(SALU_CYCLE_1)
	s_or_b32 s3, vcc_lo, s3
	s_and_b32 exec_lo, exec_lo, s3
	s_cbranch_execz .LBB93_323
; %bb.318:
	v_cmp_gt_f64_e32 vcc_lo, 0, v[192:193]
	v_xor_b32_e32 v196, 0x80000000, v193
	v_xor_b32_e32 v198, 0x80000000, v195
	s_mov_b32 s3, exec_lo
                                        ; implicit-def: $vgpr200_vgpr201
	s_delay_alu instid0(VALU_DEP_2) | instskip(SKIP_4) | instid1(VALU_DEP_1)
	v_cndmask_b32_e32 v197, v193, v196, vcc_lo
	v_cndmask_b32_e32 v196, v192, v192, vcc_lo
	v_cmp_gt_f64_e32 vcc_lo, 0, v[194:195]
	v_cndmask_b32_e32 v199, v195, v198, vcc_lo
	v_cndmask_b32_e32 v198, v194, v194, vcc_lo
	v_cmpx_ngt_f64_e32 v[196:197], v[198:199]
	s_xor_b32 s3, exec_lo, s3
                                        ; implicit-def: $vgpr196_vgpr197_vgpr198_vgpr199
	s_cbranch_execz .LBB93_320
; %bb.319:
	v_div_scale_f64 v[196:197], null, v[194:195], v[194:195], v[192:193]
	v_div_scale_f64 v[202:203], vcc_lo, v[192:193], v[194:195], v[192:193]
	s_delay_alu instid0(VALU_DEP_2) | instskip(SKIP_2) | instid1(VALU_DEP_1)
	v_rcp_f64_e32 v[198:199], v[196:197]
	s_waitcnt_depctr 0xfff
	v_fma_f64 v[200:201], -v[196:197], v[198:199], 1.0
	v_fma_f64 v[198:199], v[198:199], v[200:201], v[198:199]
	s_delay_alu instid0(VALU_DEP_1) | instskip(NEXT) | instid1(VALU_DEP_1)
	v_fma_f64 v[200:201], -v[196:197], v[198:199], 1.0
	v_fma_f64 v[198:199], v[198:199], v[200:201], v[198:199]
	s_delay_alu instid0(VALU_DEP_1) | instskip(NEXT) | instid1(VALU_DEP_1)
	v_mul_f64 v[200:201], v[202:203], v[198:199]
	v_fma_f64 v[196:197], -v[196:197], v[200:201], v[202:203]
	s_delay_alu instid0(VALU_DEP_1) | instskip(NEXT) | instid1(VALU_DEP_1)
	v_div_fmas_f64 v[196:197], v[196:197], v[198:199], v[200:201]
	v_div_fixup_f64 v[196:197], v[196:197], v[194:195], v[192:193]
	s_delay_alu instid0(VALU_DEP_1) | instskip(NEXT) | instid1(VALU_DEP_1)
	v_fma_f64 v[192:193], v[192:193], v[196:197], v[194:195]
	v_div_scale_f64 v[194:195], null, v[192:193], v[192:193], 1.0
	s_delay_alu instid0(VALU_DEP_1) | instskip(SKIP_2) | instid1(VALU_DEP_1)
	v_rcp_f64_e32 v[198:199], v[194:195]
	s_waitcnt_depctr 0xfff
	v_fma_f64 v[200:201], -v[194:195], v[198:199], 1.0
	v_fma_f64 v[198:199], v[198:199], v[200:201], v[198:199]
	s_delay_alu instid0(VALU_DEP_1) | instskip(NEXT) | instid1(VALU_DEP_1)
	v_fma_f64 v[200:201], -v[194:195], v[198:199], 1.0
	v_fma_f64 v[198:199], v[198:199], v[200:201], v[198:199]
	v_div_scale_f64 v[200:201], vcc_lo, 1.0, v[192:193], 1.0
	s_delay_alu instid0(VALU_DEP_1) | instskip(NEXT) | instid1(VALU_DEP_1)
	v_mul_f64 v[202:203], v[200:201], v[198:199]
	v_fma_f64 v[194:195], -v[194:195], v[202:203], v[200:201]
	s_delay_alu instid0(VALU_DEP_1) | instskip(NEXT) | instid1(VALU_DEP_1)
	v_div_fmas_f64 v[194:195], v[194:195], v[198:199], v[202:203]
	v_div_fixup_f64 v[198:199], v[194:195], v[192:193], 1.0
                                        ; implicit-def: $vgpr192_vgpr193
	s_delay_alu instid0(VALU_DEP_1)
	v_mul_f64 v[200:201], v[196:197], v[198:199]
	v_xor_b32_e32 v199, 0x80000000, v199
.LBB93_320:
	s_and_not1_saveexec_b32 s3, s3
	s_cbranch_execz .LBB93_322
; %bb.321:
	v_div_scale_f64 v[196:197], null, v[192:193], v[192:193], v[194:195]
	v_div_scale_f64 v[202:203], vcc_lo, v[194:195], v[192:193], v[194:195]
	s_delay_alu instid0(VALU_DEP_2) | instskip(SKIP_2) | instid1(VALU_DEP_1)
	v_rcp_f64_e32 v[198:199], v[196:197]
	s_waitcnt_depctr 0xfff
	v_fma_f64 v[200:201], -v[196:197], v[198:199], 1.0
	v_fma_f64 v[198:199], v[198:199], v[200:201], v[198:199]
	s_delay_alu instid0(VALU_DEP_1) | instskip(NEXT) | instid1(VALU_DEP_1)
	v_fma_f64 v[200:201], -v[196:197], v[198:199], 1.0
	v_fma_f64 v[198:199], v[198:199], v[200:201], v[198:199]
	s_delay_alu instid0(VALU_DEP_1) | instskip(NEXT) | instid1(VALU_DEP_1)
	v_mul_f64 v[200:201], v[202:203], v[198:199]
	v_fma_f64 v[196:197], -v[196:197], v[200:201], v[202:203]
	s_delay_alu instid0(VALU_DEP_1) | instskip(NEXT) | instid1(VALU_DEP_1)
	v_div_fmas_f64 v[196:197], v[196:197], v[198:199], v[200:201]
	v_div_fixup_f64 v[196:197], v[196:197], v[192:193], v[194:195]
	s_delay_alu instid0(VALU_DEP_1) | instskip(NEXT) | instid1(VALU_DEP_1)
	v_fma_f64 v[192:193], v[194:195], v[196:197], v[192:193]
	v_div_scale_f64 v[194:195], null, v[192:193], v[192:193], 1.0
	s_delay_alu instid0(VALU_DEP_1) | instskip(SKIP_2) | instid1(VALU_DEP_1)
	v_rcp_f64_e32 v[198:199], v[194:195]
	s_waitcnt_depctr 0xfff
	v_fma_f64 v[200:201], -v[194:195], v[198:199], 1.0
	v_fma_f64 v[198:199], v[198:199], v[200:201], v[198:199]
	s_delay_alu instid0(VALU_DEP_1) | instskip(NEXT) | instid1(VALU_DEP_1)
	v_fma_f64 v[200:201], -v[194:195], v[198:199], 1.0
	v_fma_f64 v[198:199], v[198:199], v[200:201], v[198:199]
	v_div_scale_f64 v[200:201], vcc_lo, 1.0, v[192:193], 1.0
	s_delay_alu instid0(VALU_DEP_1) | instskip(NEXT) | instid1(VALU_DEP_1)
	v_mul_f64 v[202:203], v[200:201], v[198:199]
	v_fma_f64 v[194:195], -v[194:195], v[202:203], v[200:201]
	s_delay_alu instid0(VALU_DEP_1) | instskip(NEXT) | instid1(VALU_DEP_1)
	v_div_fmas_f64 v[194:195], v[194:195], v[198:199], v[202:203]
	v_div_fixup_f64 v[200:201], v[194:195], v[192:193], 1.0
	s_delay_alu instid0(VALU_DEP_1)
	v_mul_f64 v[198:199], v[196:197], -v[200:201]
.LBB93_322:
	s_or_b32 exec_lo, exec_lo, s3
	ds_store_2addr_b64 v243, v[200:201], v[198:199] offset1:1
.LBB93_323:
	s_or_b32 exec_lo, exec_lo, s4
	s_waitcnt lgkmcnt(0)
	s_barrier
	buffer_gl0_inv
	ds_load_2addr_b64 v[192:195], v243 offset1:1
	s_mov_b32 s3, exec_lo
	v_cmpx_lt_u32_e32 35, v242
	s_cbranch_execz .LBB93_325
; %bb.324:
	s_waitcnt lgkmcnt(0)
	v_mul_f64 v[196:197], v[192:193], v[46:47]
	v_mul_f64 v[46:47], v[194:195], v[46:47]
	s_delay_alu instid0(VALU_DEP_2) | instskip(SKIP_4) | instid1(VALU_DEP_1)
	v_fma_f64 v[200:201], v[194:195], v[44:45], v[196:197]
	ds_load_2addr_b64 v[196:199], v244 offset0:72 offset1:73
	v_fma_f64 v[44:45], v[192:193], v[44:45], -v[46:47]
	s_waitcnt lgkmcnt(0)
	v_mul_f64 v[46:47], v[198:199], v[200:201]
	v_fma_f64 v[46:47], v[196:197], v[44:45], -v[46:47]
	v_mul_f64 v[196:197], v[196:197], v[200:201]
	s_delay_alu instid0(VALU_DEP_2) | instskip(NEXT) | instid1(VALU_DEP_2)
	v_add_f64 v[40:41], v[40:41], -v[46:47]
	v_fma_f64 v[196:197], v[198:199], v[44:45], v[196:197]
	s_delay_alu instid0(VALU_DEP_1) | instskip(SKIP_3) | instid1(VALU_DEP_1)
	v_add_f64 v[42:43], v[42:43], -v[196:197]
	ds_load_2addr_b64 v[196:199], v244 offset0:74 offset1:75
	s_waitcnt lgkmcnt(0)
	v_mul_f64 v[46:47], v[198:199], v[200:201]
	v_fma_f64 v[46:47], v[196:197], v[44:45], -v[46:47]
	v_mul_f64 v[196:197], v[196:197], v[200:201]
	s_delay_alu instid0(VALU_DEP_2) | instskip(NEXT) | instid1(VALU_DEP_2)
	v_add_f64 v[36:37], v[36:37], -v[46:47]
	v_fma_f64 v[196:197], v[198:199], v[44:45], v[196:197]
	s_delay_alu instid0(VALU_DEP_1) | instskip(SKIP_3) | instid1(VALU_DEP_1)
	v_add_f64 v[38:39], v[38:39], -v[196:197]
	ds_load_2addr_b64 v[196:199], v244 offset0:76 offset1:77
	;; [unrolled: 10-line block ×10, first 2 shown]
	s_waitcnt lgkmcnt(0)
	v_mul_f64 v[46:47], v[198:199], v[200:201]
	v_fma_f64 v[46:47], v[196:197], v[44:45], -v[46:47]
	v_mul_f64 v[196:197], v[196:197], v[200:201]
	s_delay_alu instid0(VALU_DEP_2) | instskip(NEXT) | instid1(VALU_DEP_2)
	v_add_f64 v[0:1], v[0:1], -v[46:47]
	v_fma_f64 v[196:197], v[198:199], v[44:45], v[196:197]
	v_dual_mov_b32 v46, v200 :: v_dual_mov_b32 v47, v201
	s_delay_alu instid0(VALU_DEP_2)
	v_add_f64 v[2:3], v[2:3], -v[196:197]
.LBB93_325:
	s_or_b32 exec_lo, exec_lo, s3
	s_delay_alu instid0(SALU_CYCLE_1)
	s_mov_b32 s4, exec_lo
	s_waitcnt lgkmcnt(0)
	s_barrier
	buffer_gl0_inv
	v_cmpx_eq_u32_e32 36, v242
	s_cbranch_execz .LBB93_332
; %bb.326:
	ds_store_2addr_b64 v243, v[40:41], v[42:43] offset1:1
	ds_store_2addr_b64 v244, v[36:37], v[38:39] offset0:74 offset1:75
	ds_store_2addr_b64 v244, v[32:33], v[34:35] offset0:76 offset1:77
	;; [unrolled: 1-line block ×10, first 2 shown]
	ds_load_2addr_b64 v[196:199], v243 offset1:1
	s_waitcnt lgkmcnt(0)
	v_cmp_neq_f64_e32 vcc_lo, 0, v[196:197]
	v_cmp_neq_f64_e64 s3, 0, v[198:199]
	s_delay_alu instid0(VALU_DEP_1) | instskip(NEXT) | instid1(SALU_CYCLE_1)
	s_or_b32 s3, vcc_lo, s3
	s_and_b32 exec_lo, exec_lo, s3
	s_cbranch_execz .LBB93_332
; %bb.327:
	v_cmp_gt_f64_e32 vcc_lo, 0, v[196:197]
	v_xor_b32_e32 v200, 0x80000000, v197
	v_xor_b32_e32 v202, 0x80000000, v199
	s_mov_b32 s3, exec_lo
                                        ; implicit-def: $vgpr204_vgpr205
	s_delay_alu instid0(VALU_DEP_2) | instskip(SKIP_4) | instid1(VALU_DEP_1)
	v_cndmask_b32_e32 v201, v197, v200, vcc_lo
	v_cndmask_b32_e32 v200, v196, v196, vcc_lo
	v_cmp_gt_f64_e32 vcc_lo, 0, v[198:199]
	v_cndmask_b32_e32 v203, v199, v202, vcc_lo
	v_cndmask_b32_e32 v202, v198, v198, vcc_lo
	v_cmpx_ngt_f64_e32 v[200:201], v[202:203]
	s_xor_b32 s3, exec_lo, s3
                                        ; implicit-def: $vgpr200_vgpr201_vgpr202_vgpr203
	s_cbranch_execz .LBB93_329
; %bb.328:
	v_div_scale_f64 v[200:201], null, v[198:199], v[198:199], v[196:197]
	v_div_scale_f64 v[206:207], vcc_lo, v[196:197], v[198:199], v[196:197]
	s_delay_alu instid0(VALU_DEP_2) | instskip(SKIP_2) | instid1(VALU_DEP_1)
	v_rcp_f64_e32 v[202:203], v[200:201]
	s_waitcnt_depctr 0xfff
	v_fma_f64 v[204:205], -v[200:201], v[202:203], 1.0
	v_fma_f64 v[202:203], v[202:203], v[204:205], v[202:203]
	s_delay_alu instid0(VALU_DEP_1) | instskip(NEXT) | instid1(VALU_DEP_1)
	v_fma_f64 v[204:205], -v[200:201], v[202:203], 1.0
	v_fma_f64 v[202:203], v[202:203], v[204:205], v[202:203]
	s_delay_alu instid0(VALU_DEP_1) | instskip(NEXT) | instid1(VALU_DEP_1)
	v_mul_f64 v[204:205], v[206:207], v[202:203]
	v_fma_f64 v[200:201], -v[200:201], v[204:205], v[206:207]
	s_delay_alu instid0(VALU_DEP_1) | instskip(NEXT) | instid1(VALU_DEP_1)
	v_div_fmas_f64 v[200:201], v[200:201], v[202:203], v[204:205]
	v_div_fixup_f64 v[200:201], v[200:201], v[198:199], v[196:197]
	s_delay_alu instid0(VALU_DEP_1) | instskip(NEXT) | instid1(VALU_DEP_1)
	v_fma_f64 v[196:197], v[196:197], v[200:201], v[198:199]
	v_div_scale_f64 v[198:199], null, v[196:197], v[196:197], 1.0
	s_delay_alu instid0(VALU_DEP_1) | instskip(SKIP_2) | instid1(VALU_DEP_1)
	v_rcp_f64_e32 v[202:203], v[198:199]
	s_waitcnt_depctr 0xfff
	v_fma_f64 v[204:205], -v[198:199], v[202:203], 1.0
	v_fma_f64 v[202:203], v[202:203], v[204:205], v[202:203]
	s_delay_alu instid0(VALU_DEP_1) | instskip(NEXT) | instid1(VALU_DEP_1)
	v_fma_f64 v[204:205], -v[198:199], v[202:203], 1.0
	v_fma_f64 v[202:203], v[202:203], v[204:205], v[202:203]
	v_div_scale_f64 v[204:205], vcc_lo, 1.0, v[196:197], 1.0
	s_delay_alu instid0(VALU_DEP_1) | instskip(NEXT) | instid1(VALU_DEP_1)
	v_mul_f64 v[206:207], v[204:205], v[202:203]
	v_fma_f64 v[198:199], -v[198:199], v[206:207], v[204:205]
	s_delay_alu instid0(VALU_DEP_1) | instskip(NEXT) | instid1(VALU_DEP_1)
	v_div_fmas_f64 v[198:199], v[198:199], v[202:203], v[206:207]
	v_div_fixup_f64 v[202:203], v[198:199], v[196:197], 1.0
                                        ; implicit-def: $vgpr196_vgpr197
	s_delay_alu instid0(VALU_DEP_1)
	v_mul_f64 v[204:205], v[200:201], v[202:203]
	v_xor_b32_e32 v203, 0x80000000, v203
.LBB93_329:
	s_and_not1_saveexec_b32 s3, s3
	s_cbranch_execz .LBB93_331
; %bb.330:
	v_div_scale_f64 v[200:201], null, v[196:197], v[196:197], v[198:199]
	v_div_scale_f64 v[206:207], vcc_lo, v[198:199], v[196:197], v[198:199]
	s_delay_alu instid0(VALU_DEP_2) | instskip(SKIP_2) | instid1(VALU_DEP_1)
	v_rcp_f64_e32 v[202:203], v[200:201]
	s_waitcnt_depctr 0xfff
	v_fma_f64 v[204:205], -v[200:201], v[202:203], 1.0
	v_fma_f64 v[202:203], v[202:203], v[204:205], v[202:203]
	s_delay_alu instid0(VALU_DEP_1) | instskip(NEXT) | instid1(VALU_DEP_1)
	v_fma_f64 v[204:205], -v[200:201], v[202:203], 1.0
	v_fma_f64 v[202:203], v[202:203], v[204:205], v[202:203]
	s_delay_alu instid0(VALU_DEP_1) | instskip(NEXT) | instid1(VALU_DEP_1)
	v_mul_f64 v[204:205], v[206:207], v[202:203]
	v_fma_f64 v[200:201], -v[200:201], v[204:205], v[206:207]
	s_delay_alu instid0(VALU_DEP_1) | instskip(NEXT) | instid1(VALU_DEP_1)
	v_div_fmas_f64 v[200:201], v[200:201], v[202:203], v[204:205]
	v_div_fixup_f64 v[200:201], v[200:201], v[196:197], v[198:199]
	s_delay_alu instid0(VALU_DEP_1) | instskip(NEXT) | instid1(VALU_DEP_1)
	v_fma_f64 v[196:197], v[198:199], v[200:201], v[196:197]
	v_div_scale_f64 v[198:199], null, v[196:197], v[196:197], 1.0
	s_delay_alu instid0(VALU_DEP_1) | instskip(SKIP_2) | instid1(VALU_DEP_1)
	v_rcp_f64_e32 v[202:203], v[198:199]
	s_waitcnt_depctr 0xfff
	v_fma_f64 v[204:205], -v[198:199], v[202:203], 1.0
	v_fma_f64 v[202:203], v[202:203], v[204:205], v[202:203]
	s_delay_alu instid0(VALU_DEP_1) | instskip(NEXT) | instid1(VALU_DEP_1)
	v_fma_f64 v[204:205], -v[198:199], v[202:203], 1.0
	v_fma_f64 v[202:203], v[202:203], v[204:205], v[202:203]
	v_div_scale_f64 v[204:205], vcc_lo, 1.0, v[196:197], 1.0
	s_delay_alu instid0(VALU_DEP_1) | instskip(NEXT) | instid1(VALU_DEP_1)
	v_mul_f64 v[206:207], v[204:205], v[202:203]
	v_fma_f64 v[198:199], -v[198:199], v[206:207], v[204:205]
	s_delay_alu instid0(VALU_DEP_1) | instskip(NEXT) | instid1(VALU_DEP_1)
	v_div_fmas_f64 v[198:199], v[198:199], v[202:203], v[206:207]
	v_div_fixup_f64 v[204:205], v[198:199], v[196:197], 1.0
	s_delay_alu instid0(VALU_DEP_1)
	v_mul_f64 v[202:203], v[200:201], -v[204:205]
.LBB93_331:
	s_or_b32 exec_lo, exec_lo, s3
	ds_store_2addr_b64 v243, v[204:205], v[202:203] offset1:1
.LBB93_332:
	s_or_b32 exec_lo, exec_lo, s4
	s_waitcnt lgkmcnt(0)
	s_barrier
	buffer_gl0_inv
	ds_load_2addr_b64 v[196:199], v243 offset1:1
	s_mov_b32 s3, exec_lo
	v_cmpx_lt_u32_e32 36, v242
	s_cbranch_execz .LBB93_334
; %bb.333:
	s_waitcnt lgkmcnt(0)
	v_mul_f64 v[200:201], v[196:197], v[42:43]
	v_mul_f64 v[42:43], v[198:199], v[42:43]
	s_delay_alu instid0(VALU_DEP_2) | instskip(SKIP_4) | instid1(VALU_DEP_1)
	v_fma_f64 v[204:205], v[198:199], v[40:41], v[200:201]
	ds_load_2addr_b64 v[200:203], v244 offset0:74 offset1:75
	v_fma_f64 v[40:41], v[196:197], v[40:41], -v[42:43]
	s_waitcnt lgkmcnt(0)
	v_mul_f64 v[42:43], v[202:203], v[204:205]
	v_fma_f64 v[42:43], v[200:201], v[40:41], -v[42:43]
	v_mul_f64 v[200:201], v[200:201], v[204:205]
	s_delay_alu instid0(VALU_DEP_2) | instskip(NEXT) | instid1(VALU_DEP_2)
	v_add_f64 v[36:37], v[36:37], -v[42:43]
	v_fma_f64 v[200:201], v[202:203], v[40:41], v[200:201]
	s_delay_alu instid0(VALU_DEP_1) | instskip(SKIP_3) | instid1(VALU_DEP_1)
	v_add_f64 v[38:39], v[38:39], -v[200:201]
	ds_load_2addr_b64 v[200:203], v244 offset0:76 offset1:77
	s_waitcnt lgkmcnt(0)
	v_mul_f64 v[42:43], v[202:203], v[204:205]
	v_fma_f64 v[42:43], v[200:201], v[40:41], -v[42:43]
	v_mul_f64 v[200:201], v[200:201], v[204:205]
	s_delay_alu instid0(VALU_DEP_2) | instskip(NEXT) | instid1(VALU_DEP_2)
	v_add_f64 v[32:33], v[32:33], -v[42:43]
	v_fma_f64 v[200:201], v[202:203], v[40:41], v[200:201]
	s_delay_alu instid0(VALU_DEP_1) | instskip(SKIP_3) | instid1(VALU_DEP_1)
	v_add_f64 v[34:35], v[34:35], -v[200:201]
	ds_load_2addr_b64 v[200:203], v244 offset0:78 offset1:79
	;; [unrolled: 10-line block ×9, first 2 shown]
	s_waitcnt lgkmcnt(0)
	v_mul_f64 v[42:43], v[202:203], v[204:205]
	v_fma_f64 v[42:43], v[200:201], v[40:41], -v[42:43]
	v_mul_f64 v[200:201], v[200:201], v[204:205]
	s_delay_alu instid0(VALU_DEP_2) | instskip(NEXT) | instid1(VALU_DEP_2)
	v_add_f64 v[0:1], v[0:1], -v[42:43]
	v_fma_f64 v[200:201], v[202:203], v[40:41], v[200:201]
	v_dual_mov_b32 v42, v204 :: v_dual_mov_b32 v43, v205
	s_delay_alu instid0(VALU_DEP_2)
	v_add_f64 v[2:3], v[2:3], -v[200:201]
.LBB93_334:
	s_or_b32 exec_lo, exec_lo, s3
	s_delay_alu instid0(SALU_CYCLE_1)
	s_mov_b32 s4, exec_lo
	s_waitcnt lgkmcnt(0)
	s_barrier
	buffer_gl0_inv
	v_cmpx_eq_u32_e32 37, v242
	s_cbranch_execz .LBB93_341
; %bb.335:
	ds_store_2addr_b64 v243, v[36:37], v[38:39] offset1:1
	ds_store_2addr_b64 v244, v[32:33], v[34:35] offset0:76 offset1:77
	ds_store_2addr_b64 v244, v[28:29], v[30:31] offset0:78 offset1:79
	;; [unrolled: 1-line block ×9, first 2 shown]
	ds_load_2addr_b64 v[200:203], v243 offset1:1
	s_waitcnt lgkmcnt(0)
	v_cmp_neq_f64_e32 vcc_lo, 0, v[200:201]
	v_cmp_neq_f64_e64 s3, 0, v[202:203]
	s_delay_alu instid0(VALU_DEP_1) | instskip(NEXT) | instid1(SALU_CYCLE_1)
	s_or_b32 s3, vcc_lo, s3
	s_and_b32 exec_lo, exec_lo, s3
	s_cbranch_execz .LBB93_341
; %bb.336:
	v_cmp_gt_f64_e32 vcc_lo, 0, v[200:201]
	v_xor_b32_e32 v204, 0x80000000, v201
	v_xor_b32_e32 v206, 0x80000000, v203
	s_mov_b32 s3, exec_lo
                                        ; implicit-def: $vgpr208_vgpr209
	s_delay_alu instid0(VALU_DEP_2) | instskip(SKIP_4) | instid1(VALU_DEP_1)
	v_cndmask_b32_e32 v205, v201, v204, vcc_lo
	v_cndmask_b32_e32 v204, v200, v200, vcc_lo
	v_cmp_gt_f64_e32 vcc_lo, 0, v[202:203]
	v_cndmask_b32_e32 v207, v203, v206, vcc_lo
	v_cndmask_b32_e32 v206, v202, v202, vcc_lo
	v_cmpx_ngt_f64_e32 v[204:205], v[206:207]
	s_xor_b32 s3, exec_lo, s3
                                        ; implicit-def: $vgpr204_vgpr205_vgpr206_vgpr207
	s_cbranch_execz .LBB93_338
; %bb.337:
	v_div_scale_f64 v[204:205], null, v[202:203], v[202:203], v[200:201]
	v_div_scale_f64 v[210:211], vcc_lo, v[200:201], v[202:203], v[200:201]
	s_delay_alu instid0(VALU_DEP_2) | instskip(SKIP_2) | instid1(VALU_DEP_1)
	v_rcp_f64_e32 v[206:207], v[204:205]
	s_waitcnt_depctr 0xfff
	v_fma_f64 v[208:209], -v[204:205], v[206:207], 1.0
	v_fma_f64 v[206:207], v[206:207], v[208:209], v[206:207]
	s_delay_alu instid0(VALU_DEP_1) | instskip(NEXT) | instid1(VALU_DEP_1)
	v_fma_f64 v[208:209], -v[204:205], v[206:207], 1.0
	v_fma_f64 v[206:207], v[206:207], v[208:209], v[206:207]
	s_delay_alu instid0(VALU_DEP_1) | instskip(NEXT) | instid1(VALU_DEP_1)
	v_mul_f64 v[208:209], v[210:211], v[206:207]
	v_fma_f64 v[204:205], -v[204:205], v[208:209], v[210:211]
	s_delay_alu instid0(VALU_DEP_1) | instskip(NEXT) | instid1(VALU_DEP_1)
	v_div_fmas_f64 v[204:205], v[204:205], v[206:207], v[208:209]
	v_div_fixup_f64 v[204:205], v[204:205], v[202:203], v[200:201]
	s_delay_alu instid0(VALU_DEP_1) | instskip(NEXT) | instid1(VALU_DEP_1)
	v_fma_f64 v[200:201], v[200:201], v[204:205], v[202:203]
	v_div_scale_f64 v[202:203], null, v[200:201], v[200:201], 1.0
	s_delay_alu instid0(VALU_DEP_1) | instskip(SKIP_2) | instid1(VALU_DEP_1)
	v_rcp_f64_e32 v[206:207], v[202:203]
	s_waitcnt_depctr 0xfff
	v_fma_f64 v[208:209], -v[202:203], v[206:207], 1.0
	v_fma_f64 v[206:207], v[206:207], v[208:209], v[206:207]
	s_delay_alu instid0(VALU_DEP_1) | instskip(NEXT) | instid1(VALU_DEP_1)
	v_fma_f64 v[208:209], -v[202:203], v[206:207], 1.0
	v_fma_f64 v[206:207], v[206:207], v[208:209], v[206:207]
	v_div_scale_f64 v[208:209], vcc_lo, 1.0, v[200:201], 1.0
	s_delay_alu instid0(VALU_DEP_1) | instskip(NEXT) | instid1(VALU_DEP_1)
	v_mul_f64 v[210:211], v[208:209], v[206:207]
	v_fma_f64 v[202:203], -v[202:203], v[210:211], v[208:209]
	s_delay_alu instid0(VALU_DEP_1) | instskip(NEXT) | instid1(VALU_DEP_1)
	v_div_fmas_f64 v[202:203], v[202:203], v[206:207], v[210:211]
	v_div_fixup_f64 v[206:207], v[202:203], v[200:201], 1.0
                                        ; implicit-def: $vgpr200_vgpr201
	s_delay_alu instid0(VALU_DEP_1)
	v_mul_f64 v[208:209], v[204:205], v[206:207]
	v_xor_b32_e32 v207, 0x80000000, v207
.LBB93_338:
	s_and_not1_saveexec_b32 s3, s3
	s_cbranch_execz .LBB93_340
; %bb.339:
	v_div_scale_f64 v[204:205], null, v[200:201], v[200:201], v[202:203]
	v_div_scale_f64 v[210:211], vcc_lo, v[202:203], v[200:201], v[202:203]
	s_delay_alu instid0(VALU_DEP_2) | instskip(SKIP_2) | instid1(VALU_DEP_1)
	v_rcp_f64_e32 v[206:207], v[204:205]
	s_waitcnt_depctr 0xfff
	v_fma_f64 v[208:209], -v[204:205], v[206:207], 1.0
	v_fma_f64 v[206:207], v[206:207], v[208:209], v[206:207]
	s_delay_alu instid0(VALU_DEP_1) | instskip(NEXT) | instid1(VALU_DEP_1)
	v_fma_f64 v[208:209], -v[204:205], v[206:207], 1.0
	v_fma_f64 v[206:207], v[206:207], v[208:209], v[206:207]
	s_delay_alu instid0(VALU_DEP_1) | instskip(NEXT) | instid1(VALU_DEP_1)
	v_mul_f64 v[208:209], v[210:211], v[206:207]
	v_fma_f64 v[204:205], -v[204:205], v[208:209], v[210:211]
	s_delay_alu instid0(VALU_DEP_1) | instskip(NEXT) | instid1(VALU_DEP_1)
	v_div_fmas_f64 v[204:205], v[204:205], v[206:207], v[208:209]
	v_div_fixup_f64 v[204:205], v[204:205], v[200:201], v[202:203]
	s_delay_alu instid0(VALU_DEP_1) | instskip(NEXT) | instid1(VALU_DEP_1)
	v_fma_f64 v[200:201], v[202:203], v[204:205], v[200:201]
	v_div_scale_f64 v[202:203], null, v[200:201], v[200:201], 1.0
	s_delay_alu instid0(VALU_DEP_1) | instskip(SKIP_2) | instid1(VALU_DEP_1)
	v_rcp_f64_e32 v[206:207], v[202:203]
	s_waitcnt_depctr 0xfff
	v_fma_f64 v[208:209], -v[202:203], v[206:207], 1.0
	v_fma_f64 v[206:207], v[206:207], v[208:209], v[206:207]
	s_delay_alu instid0(VALU_DEP_1) | instskip(NEXT) | instid1(VALU_DEP_1)
	v_fma_f64 v[208:209], -v[202:203], v[206:207], 1.0
	v_fma_f64 v[206:207], v[206:207], v[208:209], v[206:207]
	v_div_scale_f64 v[208:209], vcc_lo, 1.0, v[200:201], 1.0
	s_delay_alu instid0(VALU_DEP_1) | instskip(NEXT) | instid1(VALU_DEP_1)
	v_mul_f64 v[210:211], v[208:209], v[206:207]
	v_fma_f64 v[202:203], -v[202:203], v[210:211], v[208:209]
	s_delay_alu instid0(VALU_DEP_1) | instskip(NEXT) | instid1(VALU_DEP_1)
	v_div_fmas_f64 v[202:203], v[202:203], v[206:207], v[210:211]
	v_div_fixup_f64 v[208:209], v[202:203], v[200:201], 1.0
	s_delay_alu instid0(VALU_DEP_1)
	v_mul_f64 v[206:207], v[204:205], -v[208:209]
.LBB93_340:
	s_or_b32 exec_lo, exec_lo, s3
	ds_store_2addr_b64 v243, v[208:209], v[206:207] offset1:1
.LBB93_341:
	s_or_b32 exec_lo, exec_lo, s4
	s_waitcnt lgkmcnt(0)
	s_barrier
	buffer_gl0_inv
	ds_load_2addr_b64 v[200:203], v243 offset1:1
	s_mov_b32 s3, exec_lo
	v_cmpx_lt_u32_e32 37, v242
	s_cbranch_execz .LBB93_343
; %bb.342:
	s_waitcnt lgkmcnt(0)
	v_mul_f64 v[204:205], v[200:201], v[38:39]
	v_mul_f64 v[38:39], v[202:203], v[38:39]
	s_delay_alu instid0(VALU_DEP_2) | instskip(SKIP_4) | instid1(VALU_DEP_1)
	v_fma_f64 v[208:209], v[202:203], v[36:37], v[204:205]
	ds_load_2addr_b64 v[204:207], v244 offset0:76 offset1:77
	v_fma_f64 v[36:37], v[200:201], v[36:37], -v[38:39]
	s_waitcnt lgkmcnt(0)
	v_mul_f64 v[38:39], v[206:207], v[208:209]
	v_fma_f64 v[38:39], v[204:205], v[36:37], -v[38:39]
	v_mul_f64 v[204:205], v[204:205], v[208:209]
	s_delay_alu instid0(VALU_DEP_2) | instskip(NEXT) | instid1(VALU_DEP_2)
	v_add_f64 v[32:33], v[32:33], -v[38:39]
	v_fma_f64 v[204:205], v[206:207], v[36:37], v[204:205]
	s_delay_alu instid0(VALU_DEP_1) | instskip(SKIP_3) | instid1(VALU_DEP_1)
	v_add_f64 v[34:35], v[34:35], -v[204:205]
	ds_load_2addr_b64 v[204:207], v244 offset0:78 offset1:79
	s_waitcnt lgkmcnt(0)
	v_mul_f64 v[38:39], v[206:207], v[208:209]
	v_fma_f64 v[38:39], v[204:205], v[36:37], -v[38:39]
	v_mul_f64 v[204:205], v[204:205], v[208:209]
	s_delay_alu instid0(VALU_DEP_2) | instskip(NEXT) | instid1(VALU_DEP_2)
	v_add_f64 v[28:29], v[28:29], -v[38:39]
	v_fma_f64 v[204:205], v[206:207], v[36:37], v[204:205]
	s_delay_alu instid0(VALU_DEP_1) | instskip(SKIP_3) | instid1(VALU_DEP_1)
	v_add_f64 v[30:31], v[30:31], -v[204:205]
	ds_load_2addr_b64 v[204:207], v244 offset0:80 offset1:81
	;; [unrolled: 10-line block ×8, first 2 shown]
	s_waitcnt lgkmcnt(0)
	v_mul_f64 v[38:39], v[206:207], v[208:209]
	v_fma_f64 v[38:39], v[204:205], v[36:37], -v[38:39]
	v_mul_f64 v[204:205], v[204:205], v[208:209]
	s_delay_alu instid0(VALU_DEP_2) | instskip(NEXT) | instid1(VALU_DEP_2)
	v_add_f64 v[0:1], v[0:1], -v[38:39]
	v_fma_f64 v[204:205], v[206:207], v[36:37], v[204:205]
	v_dual_mov_b32 v38, v208 :: v_dual_mov_b32 v39, v209
	s_delay_alu instid0(VALU_DEP_2)
	v_add_f64 v[2:3], v[2:3], -v[204:205]
.LBB93_343:
	s_or_b32 exec_lo, exec_lo, s3
	s_delay_alu instid0(SALU_CYCLE_1)
	s_mov_b32 s4, exec_lo
	s_waitcnt lgkmcnt(0)
	s_barrier
	buffer_gl0_inv
	v_cmpx_eq_u32_e32 38, v242
	s_cbranch_execz .LBB93_350
; %bb.344:
	ds_store_2addr_b64 v243, v[32:33], v[34:35] offset1:1
	ds_store_2addr_b64 v244, v[28:29], v[30:31] offset0:78 offset1:79
	ds_store_2addr_b64 v244, v[24:25], v[26:27] offset0:80 offset1:81
	ds_store_2addr_b64 v244, v[20:21], v[22:23] offset0:82 offset1:83
	ds_store_2addr_b64 v244, v[16:17], v[18:19] offset0:84 offset1:85
	ds_store_2addr_b64 v244, v[12:13], v[14:15] offset0:86 offset1:87
	ds_store_2addr_b64 v244, v[8:9], v[10:11] offset0:88 offset1:89
	ds_store_2addr_b64 v244, v[4:5], v[6:7] offset0:90 offset1:91
	ds_store_2addr_b64 v244, v[0:1], v[2:3] offset0:92 offset1:93
	ds_load_2addr_b64 v[204:207], v243 offset1:1
	s_waitcnt lgkmcnt(0)
	v_cmp_neq_f64_e32 vcc_lo, 0, v[204:205]
	v_cmp_neq_f64_e64 s3, 0, v[206:207]
	s_delay_alu instid0(VALU_DEP_1) | instskip(NEXT) | instid1(SALU_CYCLE_1)
	s_or_b32 s3, vcc_lo, s3
	s_and_b32 exec_lo, exec_lo, s3
	s_cbranch_execz .LBB93_350
; %bb.345:
	v_cmp_gt_f64_e32 vcc_lo, 0, v[204:205]
	v_xor_b32_e32 v208, 0x80000000, v205
	v_xor_b32_e32 v210, 0x80000000, v207
	s_mov_b32 s3, exec_lo
                                        ; implicit-def: $vgpr212_vgpr213
	s_delay_alu instid0(VALU_DEP_2) | instskip(SKIP_4) | instid1(VALU_DEP_1)
	v_cndmask_b32_e32 v209, v205, v208, vcc_lo
	v_cndmask_b32_e32 v208, v204, v204, vcc_lo
	v_cmp_gt_f64_e32 vcc_lo, 0, v[206:207]
	v_cndmask_b32_e32 v211, v207, v210, vcc_lo
	v_cndmask_b32_e32 v210, v206, v206, vcc_lo
	v_cmpx_ngt_f64_e32 v[208:209], v[210:211]
	s_xor_b32 s3, exec_lo, s3
                                        ; implicit-def: $vgpr208_vgpr209_vgpr210_vgpr211
	s_cbranch_execz .LBB93_347
; %bb.346:
	v_div_scale_f64 v[208:209], null, v[206:207], v[206:207], v[204:205]
	v_div_scale_f64 v[214:215], vcc_lo, v[204:205], v[206:207], v[204:205]
	s_delay_alu instid0(VALU_DEP_2) | instskip(SKIP_2) | instid1(VALU_DEP_1)
	v_rcp_f64_e32 v[210:211], v[208:209]
	s_waitcnt_depctr 0xfff
	v_fma_f64 v[212:213], -v[208:209], v[210:211], 1.0
	v_fma_f64 v[210:211], v[210:211], v[212:213], v[210:211]
	s_delay_alu instid0(VALU_DEP_1) | instskip(NEXT) | instid1(VALU_DEP_1)
	v_fma_f64 v[212:213], -v[208:209], v[210:211], 1.0
	v_fma_f64 v[210:211], v[210:211], v[212:213], v[210:211]
	s_delay_alu instid0(VALU_DEP_1) | instskip(NEXT) | instid1(VALU_DEP_1)
	v_mul_f64 v[212:213], v[214:215], v[210:211]
	v_fma_f64 v[208:209], -v[208:209], v[212:213], v[214:215]
	s_delay_alu instid0(VALU_DEP_1) | instskip(NEXT) | instid1(VALU_DEP_1)
	v_div_fmas_f64 v[208:209], v[208:209], v[210:211], v[212:213]
	v_div_fixup_f64 v[208:209], v[208:209], v[206:207], v[204:205]
	s_delay_alu instid0(VALU_DEP_1) | instskip(NEXT) | instid1(VALU_DEP_1)
	v_fma_f64 v[204:205], v[204:205], v[208:209], v[206:207]
	v_div_scale_f64 v[206:207], null, v[204:205], v[204:205], 1.0
	s_delay_alu instid0(VALU_DEP_1) | instskip(SKIP_2) | instid1(VALU_DEP_1)
	v_rcp_f64_e32 v[210:211], v[206:207]
	s_waitcnt_depctr 0xfff
	v_fma_f64 v[212:213], -v[206:207], v[210:211], 1.0
	v_fma_f64 v[210:211], v[210:211], v[212:213], v[210:211]
	s_delay_alu instid0(VALU_DEP_1) | instskip(NEXT) | instid1(VALU_DEP_1)
	v_fma_f64 v[212:213], -v[206:207], v[210:211], 1.0
	v_fma_f64 v[210:211], v[210:211], v[212:213], v[210:211]
	v_div_scale_f64 v[212:213], vcc_lo, 1.0, v[204:205], 1.0
	s_delay_alu instid0(VALU_DEP_1) | instskip(NEXT) | instid1(VALU_DEP_1)
	v_mul_f64 v[214:215], v[212:213], v[210:211]
	v_fma_f64 v[206:207], -v[206:207], v[214:215], v[212:213]
	s_delay_alu instid0(VALU_DEP_1) | instskip(NEXT) | instid1(VALU_DEP_1)
	v_div_fmas_f64 v[206:207], v[206:207], v[210:211], v[214:215]
	v_div_fixup_f64 v[210:211], v[206:207], v[204:205], 1.0
                                        ; implicit-def: $vgpr204_vgpr205
	s_delay_alu instid0(VALU_DEP_1)
	v_mul_f64 v[212:213], v[208:209], v[210:211]
	v_xor_b32_e32 v211, 0x80000000, v211
.LBB93_347:
	s_and_not1_saveexec_b32 s3, s3
	s_cbranch_execz .LBB93_349
; %bb.348:
	v_div_scale_f64 v[208:209], null, v[204:205], v[204:205], v[206:207]
	v_div_scale_f64 v[214:215], vcc_lo, v[206:207], v[204:205], v[206:207]
	s_delay_alu instid0(VALU_DEP_2) | instskip(SKIP_2) | instid1(VALU_DEP_1)
	v_rcp_f64_e32 v[210:211], v[208:209]
	s_waitcnt_depctr 0xfff
	v_fma_f64 v[212:213], -v[208:209], v[210:211], 1.0
	v_fma_f64 v[210:211], v[210:211], v[212:213], v[210:211]
	s_delay_alu instid0(VALU_DEP_1) | instskip(NEXT) | instid1(VALU_DEP_1)
	v_fma_f64 v[212:213], -v[208:209], v[210:211], 1.0
	v_fma_f64 v[210:211], v[210:211], v[212:213], v[210:211]
	s_delay_alu instid0(VALU_DEP_1) | instskip(NEXT) | instid1(VALU_DEP_1)
	v_mul_f64 v[212:213], v[214:215], v[210:211]
	v_fma_f64 v[208:209], -v[208:209], v[212:213], v[214:215]
	s_delay_alu instid0(VALU_DEP_1) | instskip(NEXT) | instid1(VALU_DEP_1)
	v_div_fmas_f64 v[208:209], v[208:209], v[210:211], v[212:213]
	v_div_fixup_f64 v[208:209], v[208:209], v[204:205], v[206:207]
	s_delay_alu instid0(VALU_DEP_1) | instskip(NEXT) | instid1(VALU_DEP_1)
	v_fma_f64 v[204:205], v[206:207], v[208:209], v[204:205]
	v_div_scale_f64 v[206:207], null, v[204:205], v[204:205], 1.0
	s_delay_alu instid0(VALU_DEP_1) | instskip(SKIP_2) | instid1(VALU_DEP_1)
	v_rcp_f64_e32 v[210:211], v[206:207]
	s_waitcnt_depctr 0xfff
	v_fma_f64 v[212:213], -v[206:207], v[210:211], 1.0
	v_fma_f64 v[210:211], v[210:211], v[212:213], v[210:211]
	s_delay_alu instid0(VALU_DEP_1) | instskip(NEXT) | instid1(VALU_DEP_1)
	v_fma_f64 v[212:213], -v[206:207], v[210:211], 1.0
	v_fma_f64 v[210:211], v[210:211], v[212:213], v[210:211]
	v_div_scale_f64 v[212:213], vcc_lo, 1.0, v[204:205], 1.0
	s_delay_alu instid0(VALU_DEP_1) | instskip(NEXT) | instid1(VALU_DEP_1)
	v_mul_f64 v[214:215], v[212:213], v[210:211]
	v_fma_f64 v[206:207], -v[206:207], v[214:215], v[212:213]
	s_delay_alu instid0(VALU_DEP_1) | instskip(NEXT) | instid1(VALU_DEP_1)
	v_div_fmas_f64 v[206:207], v[206:207], v[210:211], v[214:215]
	v_div_fixup_f64 v[212:213], v[206:207], v[204:205], 1.0
	s_delay_alu instid0(VALU_DEP_1)
	v_mul_f64 v[210:211], v[208:209], -v[212:213]
.LBB93_349:
	s_or_b32 exec_lo, exec_lo, s3
	ds_store_2addr_b64 v243, v[212:213], v[210:211] offset1:1
.LBB93_350:
	s_or_b32 exec_lo, exec_lo, s4
	s_waitcnt lgkmcnt(0)
	s_barrier
	buffer_gl0_inv
	ds_load_2addr_b64 v[204:207], v243 offset1:1
	s_mov_b32 s3, exec_lo
	v_cmpx_lt_u32_e32 38, v242
	s_cbranch_execz .LBB93_352
; %bb.351:
	s_waitcnt lgkmcnt(0)
	v_mul_f64 v[208:209], v[204:205], v[34:35]
	v_mul_f64 v[34:35], v[206:207], v[34:35]
	s_delay_alu instid0(VALU_DEP_2) | instskip(SKIP_4) | instid1(VALU_DEP_1)
	v_fma_f64 v[212:213], v[206:207], v[32:33], v[208:209]
	ds_load_2addr_b64 v[208:211], v244 offset0:78 offset1:79
	v_fma_f64 v[32:33], v[204:205], v[32:33], -v[34:35]
	s_waitcnt lgkmcnt(0)
	v_mul_f64 v[34:35], v[210:211], v[212:213]
	v_fma_f64 v[34:35], v[208:209], v[32:33], -v[34:35]
	v_mul_f64 v[208:209], v[208:209], v[212:213]
	s_delay_alu instid0(VALU_DEP_2) | instskip(NEXT) | instid1(VALU_DEP_2)
	v_add_f64 v[28:29], v[28:29], -v[34:35]
	v_fma_f64 v[208:209], v[210:211], v[32:33], v[208:209]
	s_delay_alu instid0(VALU_DEP_1) | instskip(SKIP_3) | instid1(VALU_DEP_1)
	v_add_f64 v[30:31], v[30:31], -v[208:209]
	ds_load_2addr_b64 v[208:211], v244 offset0:80 offset1:81
	s_waitcnt lgkmcnt(0)
	v_mul_f64 v[34:35], v[210:211], v[212:213]
	v_fma_f64 v[34:35], v[208:209], v[32:33], -v[34:35]
	v_mul_f64 v[208:209], v[208:209], v[212:213]
	s_delay_alu instid0(VALU_DEP_2) | instskip(NEXT) | instid1(VALU_DEP_2)
	v_add_f64 v[24:25], v[24:25], -v[34:35]
	v_fma_f64 v[208:209], v[210:211], v[32:33], v[208:209]
	s_delay_alu instid0(VALU_DEP_1) | instskip(SKIP_3) | instid1(VALU_DEP_1)
	v_add_f64 v[26:27], v[26:27], -v[208:209]
	ds_load_2addr_b64 v[208:211], v244 offset0:82 offset1:83
	s_waitcnt lgkmcnt(0)
	v_mul_f64 v[34:35], v[210:211], v[212:213]
	v_fma_f64 v[34:35], v[208:209], v[32:33], -v[34:35]
	v_mul_f64 v[208:209], v[208:209], v[212:213]
	s_delay_alu instid0(VALU_DEP_2) | instskip(NEXT) | instid1(VALU_DEP_2)
	v_add_f64 v[20:21], v[20:21], -v[34:35]
	v_fma_f64 v[208:209], v[210:211], v[32:33], v[208:209]
	s_delay_alu instid0(VALU_DEP_1) | instskip(SKIP_3) | instid1(VALU_DEP_1)
	v_add_f64 v[22:23], v[22:23], -v[208:209]
	ds_load_2addr_b64 v[208:211], v244 offset0:84 offset1:85
	s_waitcnt lgkmcnt(0)
	v_mul_f64 v[34:35], v[210:211], v[212:213]
	v_fma_f64 v[34:35], v[208:209], v[32:33], -v[34:35]
	v_mul_f64 v[208:209], v[208:209], v[212:213]
	s_delay_alu instid0(VALU_DEP_2) | instskip(NEXT) | instid1(VALU_DEP_2)
	v_add_f64 v[16:17], v[16:17], -v[34:35]
	v_fma_f64 v[208:209], v[210:211], v[32:33], v[208:209]
	s_delay_alu instid0(VALU_DEP_1) | instskip(SKIP_3) | instid1(VALU_DEP_1)
	v_add_f64 v[18:19], v[18:19], -v[208:209]
	ds_load_2addr_b64 v[208:211], v244 offset0:86 offset1:87
	s_waitcnt lgkmcnt(0)
	v_mul_f64 v[34:35], v[210:211], v[212:213]
	v_fma_f64 v[34:35], v[208:209], v[32:33], -v[34:35]
	v_mul_f64 v[208:209], v[208:209], v[212:213]
	s_delay_alu instid0(VALU_DEP_2) | instskip(NEXT) | instid1(VALU_DEP_2)
	v_add_f64 v[12:13], v[12:13], -v[34:35]
	v_fma_f64 v[208:209], v[210:211], v[32:33], v[208:209]
	s_delay_alu instid0(VALU_DEP_1) | instskip(SKIP_3) | instid1(VALU_DEP_1)
	v_add_f64 v[14:15], v[14:15], -v[208:209]
	ds_load_2addr_b64 v[208:211], v244 offset0:88 offset1:89
	s_waitcnt lgkmcnt(0)
	v_mul_f64 v[34:35], v[210:211], v[212:213]
	v_fma_f64 v[34:35], v[208:209], v[32:33], -v[34:35]
	v_mul_f64 v[208:209], v[208:209], v[212:213]
	s_delay_alu instid0(VALU_DEP_2) | instskip(NEXT) | instid1(VALU_DEP_2)
	v_add_f64 v[8:9], v[8:9], -v[34:35]
	v_fma_f64 v[208:209], v[210:211], v[32:33], v[208:209]
	s_delay_alu instid0(VALU_DEP_1) | instskip(SKIP_3) | instid1(VALU_DEP_1)
	v_add_f64 v[10:11], v[10:11], -v[208:209]
	ds_load_2addr_b64 v[208:211], v244 offset0:90 offset1:91
	s_waitcnt lgkmcnt(0)
	v_mul_f64 v[34:35], v[210:211], v[212:213]
	v_fma_f64 v[34:35], v[208:209], v[32:33], -v[34:35]
	v_mul_f64 v[208:209], v[208:209], v[212:213]
	s_delay_alu instid0(VALU_DEP_2) | instskip(NEXT) | instid1(VALU_DEP_2)
	v_add_f64 v[4:5], v[4:5], -v[34:35]
	v_fma_f64 v[208:209], v[210:211], v[32:33], v[208:209]
	s_delay_alu instid0(VALU_DEP_1) | instskip(SKIP_3) | instid1(VALU_DEP_1)
	v_add_f64 v[6:7], v[6:7], -v[208:209]
	ds_load_2addr_b64 v[208:211], v244 offset0:92 offset1:93
	s_waitcnt lgkmcnt(0)
	v_mul_f64 v[34:35], v[210:211], v[212:213]
	v_fma_f64 v[34:35], v[208:209], v[32:33], -v[34:35]
	v_mul_f64 v[208:209], v[208:209], v[212:213]
	s_delay_alu instid0(VALU_DEP_2) | instskip(NEXT) | instid1(VALU_DEP_2)
	v_add_f64 v[0:1], v[0:1], -v[34:35]
	v_fma_f64 v[208:209], v[210:211], v[32:33], v[208:209]
	v_dual_mov_b32 v34, v212 :: v_dual_mov_b32 v35, v213
	s_delay_alu instid0(VALU_DEP_2)
	v_add_f64 v[2:3], v[2:3], -v[208:209]
.LBB93_352:
	s_or_b32 exec_lo, exec_lo, s3
	s_delay_alu instid0(SALU_CYCLE_1)
	s_mov_b32 s4, exec_lo
	s_waitcnt lgkmcnt(0)
	s_barrier
	buffer_gl0_inv
	v_cmpx_eq_u32_e32 39, v242
	s_cbranch_execz .LBB93_359
; %bb.353:
	ds_store_2addr_b64 v243, v[28:29], v[30:31] offset1:1
	ds_store_2addr_b64 v244, v[24:25], v[26:27] offset0:80 offset1:81
	ds_store_2addr_b64 v244, v[20:21], v[22:23] offset0:82 offset1:83
	;; [unrolled: 1-line block ×7, first 2 shown]
	ds_load_2addr_b64 v[208:211], v243 offset1:1
	s_waitcnt lgkmcnt(0)
	v_cmp_neq_f64_e32 vcc_lo, 0, v[208:209]
	v_cmp_neq_f64_e64 s3, 0, v[210:211]
	s_delay_alu instid0(VALU_DEP_1) | instskip(NEXT) | instid1(SALU_CYCLE_1)
	s_or_b32 s3, vcc_lo, s3
	s_and_b32 exec_lo, exec_lo, s3
	s_cbranch_execz .LBB93_359
; %bb.354:
	v_cmp_gt_f64_e32 vcc_lo, 0, v[208:209]
	v_xor_b32_e32 v212, 0x80000000, v209
	v_xor_b32_e32 v214, 0x80000000, v211
	s_mov_b32 s3, exec_lo
                                        ; implicit-def: $vgpr216_vgpr217
	s_delay_alu instid0(VALU_DEP_2) | instskip(SKIP_4) | instid1(VALU_DEP_1)
	v_cndmask_b32_e32 v213, v209, v212, vcc_lo
	v_cndmask_b32_e32 v212, v208, v208, vcc_lo
	v_cmp_gt_f64_e32 vcc_lo, 0, v[210:211]
	v_cndmask_b32_e32 v215, v211, v214, vcc_lo
	v_cndmask_b32_e32 v214, v210, v210, vcc_lo
	v_cmpx_ngt_f64_e32 v[212:213], v[214:215]
	s_xor_b32 s3, exec_lo, s3
                                        ; implicit-def: $vgpr212_vgpr213_vgpr214_vgpr215
	s_cbranch_execz .LBB93_356
; %bb.355:
	v_div_scale_f64 v[212:213], null, v[210:211], v[210:211], v[208:209]
	v_div_scale_f64 v[218:219], vcc_lo, v[208:209], v[210:211], v[208:209]
	s_delay_alu instid0(VALU_DEP_2) | instskip(SKIP_2) | instid1(VALU_DEP_1)
	v_rcp_f64_e32 v[214:215], v[212:213]
	s_waitcnt_depctr 0xfff
	v_fma_f64 v[216:217], -v[212:213], v[214:215], 1.0
	v_fma_f64 v[214:215], v[214:215], v[216:217], v[214:215]
	s_delay_alu instid0(VALU_DEP_1) | instskip(NEXT) | instid1(VALU_DEP_1)
	v_fma_f64 v[216:217], -v[212:213], v[214:215], 1.0
	v_fma_f64 v[214:215], v[214:215], v[216:217], v[214:215]
	s_delay_alu instid0(VALU_DEP_1) | instskip(NEXT) | instid1(VALU_DEP_1)
	v_mul_f64 v[216:217], v[218:219], v[214:215]
	v_fma_f64 v[212:213], -v[212:213], v[216:217], v[218:219]
	s_delay_alu instid0(VALU_DEP_1) | instskip(NEXT) | instid1(VALU_DEP_1)
	v_div_fmas_f64 v[212:213], v[212:213], v[214:215], v[216:217]
	v_div_fixup_f64 v[212:213], v[212:213], v[210:211], v[208:209]
	s_delay_alu instid0(VALU_DEP_1) | instskip(NEXT) | instid1(VALU_DEP_1)
	v_fma_f64 v[208:209], v[208:209], v[212:213], v[210:211]
	v_div_scale_f64 v[210:211], null, v[208:209], v[208:209], 1.0
	s_delay_alu instid0(VALU_DEP_1) | instskip(SKIP_2) | instid1(VALU_DEP_1)
	v_rcp_f64_e32 v[214:215], v[210:211]
	s_waitcnt_depctr 0xfff
	v_fma_f64 v[216:217], -v[210:211], v[214:215], 1.0
	v_fma_f64 v[214:215], v[214:215], v[216:217], v[214:215]
	s_delay_alu instid0(VALU_DEP_1) | instskip(NEXT) | instid1(VALU_DEP_1)
	v_fma_f64 v[216:217], -v[210:211], v[214:215], 1.0
	v_fma_f64 v[214:215], v[214:215], v[216:217], v[214:215]
	v_div_scale_f64 v[216:217], vcc_lo, 1.0, v[208:209], 1.0
	s_delay_alu instid0(VALU_DEP_1) | instskip(NEXT) | instid1(VALU_DEP_1)
	v_mul_f64 v[218:219], v[216:217], v[214:215]
	v_fma_f64 v[210:211], -v[210:211], v[218:219], v[216:217]
	s_delay_alu instid0(VALU_DEP_1) | instskip(NEXT) | instid1(VALU_DEP_1)
	v_div_fmas_f64 v[210:211], v[210:211], v[214:215], v[218:219]
	v_div_fixup_f64 v[214:215], v[210:211], v[208:209], 1.0
                                        ; implicit-def: $vgpr208_vgpr209
	s_delay_alu instid0(VALU_DEP_1)
	v_mul_f64 v[216:217], v[212:213], v[214:215]
	v_xor_b32_e32 v215, 0x80000000, v215
.LBB93_356:
	s_and_not1_saveexec_b32 s3, s3
	s_cbranch_execz .LBB93_358
; %bb.357:
	v_div_scale_f64 v[212:213], null, v[208:209], v[208:209], v[210:211]
	v_div_scale_f64 v[218:219], vcc_lo, v[210:211], v[208:209], v[210:211]
	s_delay_alu instid0(VALU_DEP_2) | instskip(SKIP_2) | instid1(VALU_DEP_1)
	v_rcp_f64_e32 v[214:215], v[212:213]
	s_waitcnt_depctr 0xfff
	v_fma_f64 v[216:217], -v[212:213], v[214:215], 1.0
	v_fma_f64 v[214:215], v[214:215], v[216:217], v[214:215]
	s_delay_alu instid0(VALU_DEP_1) | instskip(NEXT) | instid1(VALU_DEP_1)
	v_fma_f64 v[216:217], -v[212:213], v[214:215], 1.0
	v_fma_f64 v[214:215], v[214:215], v[216:217], v[214:215]
	s_delay_alu instid0(VALU_DEP_1) | instskip(NEXT) | instid1(VALU_DEP_1)
	v_mul_f64 v[216:217], v[218:219], v[214:215]
	v_fma_f64 v[212:213], -v[212:213], v[216:217], v[218:219]
	s_delay_alu instid0(VALU_DEP_1) | instskip(NEXT) | instid1(VALU_DEP_1)
	v_div_fmas_f64 v[212:213], v[212:213], v[214:215], v[216:217]
	v_div_fixup_f64 v[212:213], v[212:213], v[208:209], v[210:211]
	s_delay_alu instid0(VALU_DEP_1) | instskip(NEXT) | instid1(VALU_DEP_1)
	v_fma_f64 v[208:209], v[210:211], v[212:213], v[208:209]
	v_div_scale_f64 v[210:211], null, v[208:209], v[208:209], 1.0
	s_delay_alu instid0(VALU_DEP_1) | instskip(SKIP_2) | instid1(VALU_DEP_1)
	v_rcp_f64_e32 v[214:215], v[210:211]
	s_waitcnt_depctr 0xfff
	v_fma_f64 v[216:217], -v[210:211], v[214:215], 1.0
	v_fma_f64 v[214:215], v[214:215], v[216:217], v[214:215]
	s_delay_alu instid0(VALU_DEP_1) | instskip(NEXT) | instid1(VALU_DEP_1)
	v_fma_f64 v[216:217], -v[210:211], v[214:215], 1.0
	v_fma_f64 v[214:215], v[214:215], v[216:217], v[214:215]
	v_div_scale_f64 v[216:217], vcc_lo, 1.0, v[208:209], 1.0
	s_delay_alu instid0(VALU_DEP_1) | instskip(NEXT) | instid1(VALU_DEP_1)
	v_mul_f64 v[218:219], v[216:217], v[214:215]
	v_fma_f64 v[210:211], -v[210:211], v[218:219], v[216:217]
	s_delay_alu instid0(VALU_DEP_1) | instskip(NEXT) | instid1(VALU_DEP_1)
	v_div_fmas_f64 v[210:211], v[210:211], v[214:215], v[218:219]
	v_div_fixup_f64 v[216:217], v[210:211], v[208:209], 1.0
	s_delay_alu instid0(VALU_DEP_1)
	v_mul_f64 v[214:215], v[212:213], -v[216:217]
.LBB93_358:
	s_or_b32 exec_lo, exec_lo, s3
	ds_store_2addr_b64 v243, v[216:217], v[214:215] offset1:1
.LBB93_359:
	s_or_b32 exec_lo, exec_lo, s4
	s_waitcnt lgkmcnt(0)
	s_barrier
	buffer_gl0_inv
	ds_load_2addr_b64 v[208:211], v243 offset1:1
	s_mov_b32 s3, exec_lo
	v_cmpx_lt_u32_e32 39, v242
	s_cbranch_execz .LBB93_361
; %bb.360:
	s_waitcnt lgkmcnt(0)
	v_mul_f64 v[212:213], v[208:209], v[30:31]
	v_mul_f64 v[30:31], v[210:211], v[30:31]
	s_delay_alu instid0(VALU_DEP_2) | instskip(SKIP_4) | instid1(VALU_DEP_1)
	v_fma_f64 v[216:217], v[210:211], v[28:29], v[212:213]
	ds_load_2addr_b64 v[212:215], v244 offset0:80 offset1:81
	v_fma_f64 v[28:29], v[208:209], v[28:29], -v[30:31]
	s_waitcnt lgkmcnt(0)
	v_mul_f64 v[30:31], v[214:215], v[216:217]
	v_fma_f64 v[30:31], v[212:213], v[28:29], -v[30:31]
	v_mul_f64 v[212:213], v[212:213], v[216:217]
	s_delay_alu instid0(VALU_DEP_2) | instskip(NEXT) | instid1(VALU_DEP_2)
	v_add_f64 v[24:25], v[24:25], -v[30:31]
	v_fma_f64 v[212:213], v[214:215], v[28:29], v[212:213]
	s_delay_alu instid0(VALU_DEP_1) | instskip(SKIP_3) | instid1(VALU_DEP_1)
	v_add_f64 v[26:27], v[26:27], -v[212:213]
	ds_load_2addr_b64 v[212:215], v244 offset0:82 offset1:83
	s_waitcnt lgkmcnt(0)
	v_mul_f64 v[30:31], v[214:215], v[216:217]
	v_fma_f64 v[30:31], v[212:213], v[28:29], -v[30:31]
	v_mul_f64 v[212:213], v[212:213], v[216:217]
	s_delay_alu instid0(VALU_DEP_2) | instskip(NEXT) | instid1(VALU_DEP_2)
	v_add_f64 v[20:21], v[20:21], -v[30:31]
	v_fma_f64 v[212:213], v[214:215], v[28:29], v[212:213]
	s_delay_alu instid0(VALU_DEP_1) | instskip(SKIP_3) | instid1(VALU_DEP_1)
	v_add_f64 v[22:23], v[22:23], -v[212:213]
	ds_load_2addr_b64 v[212:215], v244 offset0:84 offset1:85
	;; [unrolled: 10-line block ×6, first 2 shown]
	s_waitcnt lgkmcnt(0)
	v_mul_f64 v[30:31], v[214:215], v[216:217]
	v_fma_f64 v[30:31], v[212:213], v[28:29], -v[30:31]
	v_mul_f64 v[212:213], v[212:213], v[216:217]
	s_delay_alu instid0(VALU_DEP_2) | instskip(NEXT) | instid1(VALU_DEP_2)
	v_add_f64 v[0:1], v[0:1], -v[30:31]
	v_fma_f64 v[212:213], v[214:215], v[28:29], v[212:213]
	v_dual_mov_b32 v30, v216 :: v_dual_mov_b32 v31, v217
	s_delay_alu instid0(VALU_DEP_2)
	v_add_f64 v[2:3], v[2:3], -v[212:213]
.LBB93_361:
	s_or_b32 exec_lo, exec_lo, s3
	s_delay_alu instid0(SALU_CYCLE_1)
	s_mov_b32 s4, exec_lo
	s_waitcnt lgkmcnt(0)
	s_barrier
	buffer_gl0_inv
	v_cmpx_eq_u32_e32 40, v242
	s_cbranch_execz .LBB93_368
; %bb.362:
	ds_store_2addr_b64 v243, v[24:25], v[26:27] offset1:1
	ds_store_2addr_b64 v244, v[20:21], v[22:23] offset0:82 offset1:83
	ds_store_2addr_b64 v244, v[16:17], v[18:19] offset0:84 offset1:85
	;; [unrolled: 1-line block ×6, first 2 shown]
	ds_load_2addr_b64 v[212:215], v243 offset1:1
	s_waitcnt lgkmcnt(0)
	v_cmp_neq_f64_e32 vcc_lo, 0, v[212:213]
	v_cmp_neq_f64_e64 s3, 0, v[214:215]
	s_delay_alu instid0(VALU_DEP_1) | instskip(NEXT) | instid1(SALU_CYCLE_1)
	s_or_b32 s3, vcc_lo, s3
	s_and_b32 exec_lo, exec_lo, s3
	s_cbranch_execz .LBB93_368
; %bb.363:
	v_cmp_gt_f64_e32 vcc_lo, 0, v[212:213]
	v_xor_b32_e32 v216, 0x80000000, v213
	v_xor_b32_e32 v218, 0x80000000, v215
	s_mov_b32 s3, exec_lo
                                        ; implicit-def: $vgpr220_vgpr221
	s_delay_alu instid0(VALU_DEP_2) | instskip(SKIP_4) | instid1(VALU_DEP_1)
	v_cndmask_b32_e32 v217, v213, v216, vcc_lo
	v_cndmask_b32_e32 v216, v212, v212, vcc_lo
	v_cmp_gt_f64_e32 vcc_lo, 0, v[214:215]
	v_cndmask_b32_e32 v219, v215, v218, vcc_lo
	v_cndmask_b32_e32 v218, v214, v214, vcc_lo
	v_cmpx_ngt_f64_e32 v[216:217], v[218:219]
	s_xor_b32 s3, exec_lo, s3
                                        ; implicit-def: $vgpr216_vgpr217_vgpr218_vgpr219
	s_cbranch_execz .LBB93_365
; %bb.364:
	v_div_scale_f64 v[216:217], null, v[214:215], v[214:215], v[212:213]
	v_div_scale_f64 v[222:223], vcc_lo, v[212:213], v[214:215], v[212:213]
	s_delay_alu instid0(VALU_DEP_2) | instskip(SKIP_2) | instid1(VALU_DEP_1)
	v_rcp_f64_e32 v[218:219], v[216:217]
	s_waitcnt_depctr 0xfff
	v_fma_f64 v[220:221], -v[216:217], v[218:219], 1.0
	v_fma_f64 v[218:219], v[218:219], v[220:221], v[218:219]
	s_delay_alu instid0(VALU_DEP_1) | instskip(NEXT) | instid1(VALU_DEP_1)
	v_fma_f64 v[220:221], -v[216:217], v[218:219], 1.0
	v_fma_f64 v[218:219], v[218:219], v[220:221], v[218:219]
	s_delay_alu instid0(VALU_DEP_1) | instskip(NEXT) | instid1(VALU_DEP_1)
	v_mul_f64 v[220:221], v[222:223], v[218:219]
	v_fma_f64 v[216:217], -v[216:217], v[220:221], v[222:223]
	s_delay_alu instid0(VALU_DEP_1) | instskip(NEXT) | instid1(VALU_DEP_1)
	v_div_fmas_f64 v[216:217], v[216:217], v[218:219], v[220:221]
	v_div_fixup_f64 v[216:217], v[216:217], v[214:215], v[212:213]
	s_delay_alu instid0(VALU_DEP_1) | instskip(NEXT) | instid1(VALU_DEP_1)
	v_fma_f64 v[212:213], v[212:213], v[216:217], v[214:215]
	v_div_scale_f64 v[214:215], null, v[212:213], v[212:213], 1.0
	s_delay_alu instid0(VALU_DEP_1) | instskip(SKIP_2) | instid1(VALU_DEP_1)
	v_rcp_f64_e32 v[218:219], v[214:215]
	s_waitcnt_depctr 0xfff
	v_fma_f64 v[220:221], -v[214:215], v[218:219], 1.0
	v_fma_f64 v[218:219], v[218:219], v[220:221], v[218:219]
	s_delay_alu instid0(VALU_DEP_1) | instskip(NEXT) | instid1(VALU_DEP_1)
	v_fma_f64 v[220:221], -v[214:215], v[218:219], 1.0
	v_fma_f64 v[218:219], v[218:219], v[220:221], v[218:219]
	v_div_scale_f64 v[220:221], vcc_lo, 1.0, v[212:213], 1.0
	s_delay_alu instid0(VALU_DEP_1) | instskip(NEXT) | instid1(VALU_DEP_1)
	v_mul_f64 v[222:223], v[220:221], v[218:219]
	v_fma_f64 v[214:215], -v[214:215], v[222:223], v[220:221]
	s_delay_alu instid0(VALU_DEP_1) | instskip(NEXT) | instid1(VALU_DEP_1)
	v_div_fmas_f64 v[214:215], v[214:215], v[218:219], v[222:223]
	v_div_fixup_f64 v[218:219], v[214:215], v[212:213], 1.0
                                        ; implicit-def: $vgpr212_vgpr213
	s_delay_alu instid0(VALU_DEP_1)
	v_mul_f64 v[220:221], v[216:217], v[218:219]
	v_xor_b32_e32 v219, 0x80000000, v219
.LBB93_365:
	s_and_not1_saveexec_b32 s3, s3
	s_cbranch_execz .LBB93_367
; %bb.366:
	v_div_scale_f64 v[216:217], null, v[212:213], v[212:213], v[214:215]
	v_div_scale_f64 v[222:223], vcc_lo, v[214:215], v[212:213], v[214:215]
	s_delay_alu instid0(VALU_DEP_2) | instskip(SKIP_2) | instid1(VALU_DEP_1)
	v_rcp_f64_e32 v[218:219], v[216:217]
	s_waitcnt_depctr 0xfff
	v_fma_f64 v[220:221], -v[216:217], v[218:219], 1.0
	v_fma_f64 v[218:219], v[218:219], v[220:221], v[218:219]
	s_delay_alu instid0(VALU_DEP_1) | instskip(NEXT) | instid1(VALU_DEP_1)
	v_fma_f64 v[220:221], -v[216:217], v[218:219], 1.0
	v_fma_f64 v[218:219], v[218:219], v[220:221], v[218:219]
	s_delay_alu instid0(VALU_DEP_1) | instskip(NEXT) | instid1(VALU_DEP_1)
	v_mul_f64 v[220:221], v[222:223], v[218:219]
	v_fma_f64 v[216:217], -v[216:217], v[220:221], v[222:223]
	s_delay_alu instid0(VALU_DEP_1) | instskip(NEXT) | instid1(VALU_DEP_1)
	v_div_fmas_f64 v[216:217], v[216:217], v[218:219], v[220:221]
	v_div_fixup_f64 v[216:217], v[216:217], v[212:213], v[214:215]
	s_delay_alu instid0(VALU_DEP_1) | instskip(NEXT) | instid1(VALU_DEP_1)
	v_fma_f64 v[212:213], v[214:215], v[216:217], v[212:213]
	v_div_scale_f64 v[214:215], null, v[212:213], v[212:213], 1.0
	s_delay_alu instid0(VALU_DEP_1) | instskip(SKIP_2) | instid1(VALU_DEP_1)
	v_rcp_f64_e32 v[218:219], v[214:215]
	s_waitcnt_depctr 0xfff
	v_fma_f64 v[220:221], -v[214:215], v[218:219], 1.0
	v_fma_f64 v[218:219], v[218:219], v[220:221], v[218:219]
	s_delay_alu instid0(VALU_DEP_1) | instskip(NEXT) | instid1(VALU_DEP_1)
	v_fma_f64 v[220:221], -v[214:215], v[218:219], 1.0
	v_fma_f64 v[218:219], v[218:219], v[220:221], v[218:219]
	v_div_scale_f64 v[220:221], vcc_lo, 1.0, v[212:213], 1.0
	s_delay_alu instid0(VALU_DEP_1) | instskip(NEXT) | instid1(VALU_DEP_1)
	v_mul_f64 v[222:223], v[220:221], v[218:219]
	v_fma_f64 v[214:215], -v[214:215], v[222:223], v[220:221]
	s_delay_alu instid0(VALU_DEP_1) | instskip(NEXT) | instid1(VALU_DEP_1)
	v_div_fmas_f64 v[214:215], v[214:215], v[218:219], v[222:223]
	v_div_fixup_f64 v[220:221], v[214:215], v[212:213], 1.0
	s_delay_alu instid0(VALU_DEP_1)
	v_mul_f64 v[218:219], v[216:217], -v[220:221]
.LBB93_367:
	s_or_b32 exec_lo, exec_lo, s3
	ds_store_2addr_b64 v243, v[220:221], v[218:219] offset1:1
.LBB93_368:
	s_or_b32 exec_lo, exec_lo, s4
	s_waitcnt lgkmcnt(0)
	s_barrier
	buffer_gl0_inv
	ds_load_2addr_b64 v[212:215], v243 offset1:1
	s_mov_b32 s3, exec_lo
	v_cmpx_lt_u32_e32 40, v242
	s_cbranch_execz .LBB93_370
; %bb.369:
	s_waitcnt lgkmcnt(0)
	v_mul_f64 v[216:217], v[212:213], v[26:27]
	v_mul_f64 v[26:27], v[214:215], v[26:27]
	s_delay_alu instid0(VALU_DEP_2) | instskip(SKIP_4) | instid1(VALU_DEP_1)
	v_fma_f64 v[220:221], v[214:215], v[24:25], v[216:217]
	ds_load_2addr_b64 v[216:219], v244 offset0:82 offset1:83
	v_fma_f64 v[24:25], v[212:213], v[24:25], -v[26:27]
	s_waitcnt lgkmcnt(0)
	v_mul_f64 v[26:27], v[218:219], v[220:221]
	v_fma_f64 v[26:27], v[216:217], v[24:25], -v[26:27]
	v_mul_f64 v[216:217], v[216:217], v[220:221]
	s_delay_alu instid0(VALU_DEP_2) | instskip(NEXT) | instid1(VALU_DEP_2)
	v_add_f64 v[20:21], v[20:21], -v[26:27]
	v_fma_f64 v[216:217], v[218:219], v[24:25], v[216:217]
	s_delay_alu instid0(VALU_DEP_1) | instskip(SKIP_3) | instid1(VALU_DEP_1)
	v_add_f64 v[22:23], v[22:23], -v[216:217]
	ds_load_2addr_b64 v[216:219], v244 offset0:84 offset1:85
	s_waitcnt lgkmcnt(0)
	v_mul_f64 v[26:27], v[218:219], v[220:221]
	v_fma_f64 v[26:27], v[216:217], v[24:25], -v[26:27]
	v_mul_f64 v[216:217], v[216:217], v[220:221]
	s_delay_alu instid0(VALU_DEP_2) | instskip(NEXT) | instid1(VALU_DEP_2)
	v_add_f64 v[16:17], v[16:17], -v[26:27]
	v_fma_f64 v[216:217], v[218:219], v[24:25], v[216:217]
	s_delay_alu instid0(VALU_DEP_1) | instskip(SKIP_3) | instid1(VALU_DEP_1)
	v_add_f64 v[18:19], v[18:19], -v[216:217]
	ds_load_2addr_b64 v[216:219], v244 offset0:86 offset1:87
	;; [unrolled: 10-line block ×5, first 2 shown]
	s_waitcnt lgkmcnt(0)
	v_mul_f64 v[26:27], v[218:219], v[220:221]
	v_fma_f64 v[26:27], v[216:217], v[24:25], -v[26:27]
	v_mul_f64 v[216:217], v[216:217], v[220:221]
	s_delay_alu instid0(VALU_DEP_2) | instskip(NEXT) | instid1(VALU_DEP_2)
	v_add_f64 v[0:1], v[0:1], -v[26:27]
	v_fma_f64 v[216:217], v[218:219], v[24:25], v[216:217]
	v_dual_mov_b32 v26, v220 :: v_dual_mov_b32 v27, v221
	s_delay_alu instid0(VALU_DEP_2)
	v_add_f64 v[2:3], v[2:3], -v[216:217]
.LBB93_370:
	s_or_b32 exec_lo, exec_lo, s3
	s_delay_alu instid0(SALU_CYCLE_1)
	s_mov_b32 s4, exec_lo
	s_waitcnt lgkmcnt(0)
	s_barrier
	buffer_gl0_inv
	v_cmpx_eq_u32_e32 41, v242
	s_cbranch_execz .LBB93_377
; %bb.371:
	ds_store_2addr_b64 v243, v[20:21], v[22:23] offset1:1
	ds_store_2addr_b64 v244, v[16:17], v[18:19] offset0:84 offset1:85
	ds_store_2addr_b64 v244, v[12:13], v[14:15] offset0:86 offset1:87
	;; [unrolled: 1-line block ×5, first 2 shown]
	ds_load_2addr_b64 v[216:219], v243 offset1:1
	s_waitcnt lgkmcnt(0)
	v_cmp_neq_f64_e32 vcc_lo, 0, v[216:217]
	v_cmp_neq_f64_e64 s3, 0, v[218:219]
	s_delay_alu instid0(VALU_DEP_1) | instskip(NEXT) | instid1(SALU_CYCLE_1)
	s_or_b32 s3, vcc_lo, s3
	s_and_b32 exec_lo, exec_lo, s3
	s_cbranch_execz .LBB93_377
; %bb.372:
	v_cmp_gt_f64_e32 vcc_lo, 0, v[216:217]
	v_xor_b32_e32 v220, 0x80000000, v217
	v_xor_b32_e32 v222, 0x80000000, v219
	s_mov_b32 s3, exec_lo
                                        ; implicit-def: $vgpr224_vgpr225
	s_delay_alu instid0(VALU_DEP_2) | instskip(SKIP_4) | instid1(VALU_DEP_1)
	v_cndmask_b32_e32 v221, v217, v220, vcc_lo
	v_cndmask_b32_e32 v220, v216, v216, vcc_lo
	v_cmp_gt_f64_e32 vcc_lo, 0, v[218:219]
	v_cndmask_b32_e32 v223, v219, v222, vcc_lo
	v_cndmask_b32_e32 v222, v218, v218, vcc_lo
	v_cmpx_ngt_f64_e32 v[220:221], v[222:223]
	s_xor_b32 s3, exec_lo, s3
                                        ; implicit-def: $vgpr220_vgpr221_vgpr222_vgpr223
	s_cbranch_execz .LBB93_374
; %bb.373:
	v_div_scale_f64 v[220:221], null, v[218:219], v[218:219], v[216:217]
	v_div_scale_f64 v[226:227], vcc_lo, v[216:217], v[218:219], v[216:217]
	s_delay_alu instid0(VALU_DEP_2) | instskip(SKIP_2) | instid1(VALU_DEP_1)
	v_rcp_f64_e32 v[222:223], v[220:221]
	s_waitcnt_depctr 0xfff
	v_fma_f64 v[224:225], -v[220:221], v[222:223], 1.0
	v_fma_f64 v[222:223], v[222:223], v[224:225], v[222:223]
	s_delay_alu instid0(VALU_DEP_1) | instskip(NEXT) | instid1(VALU_DEP_1)
	v_fma_f64 v[224:225], -v[220:221], v[222:223], 1.0
	v_fma_f64 v[222:223], v[222:223], v[224:225], v[222:223]
	s_delay_alu instid0(VALU_DEP_1) | instskip(NEXT) | instid1(VALU_DEP_1)
	v_mul_f64 v[224:225], v[226:227], v[222:223]
	v_fma_f64 v[220:221], -v[220:221], v[224:225], v[226:227]
	s_delay_alu instid0(VALU_DEP_1) | instskip(NEXT) | instid1(VALU_DEP_1)
	v_div_fmas_f64 v[220:221], v[220:221], v[222:223], v[224:225]
	v_div_fixup_f64 v[220:221], v[220:221], v[218:219], v[216:217]
	s_delay_alu instid0(VALU_DEP_1) | instskip(NEXT) | instid1(VALU_DEP_1)
	v_fma_f64 v[216:217], v[216:217], v[220:221], v[218:219]
	v_div_scale_f64 v[218:219], null, v[216:217], v[216:217], 1.0
	s_delay_alu instid0(VALU_DEP_1) | instskip(SKIP_2) | instid1(VALU_DEP_1)
	v_rcp_f64_e32 v[222:223], v[218:219]
	s_waitcnt_depctr 0xfff
	v_fma_f64 v[224:225], -v[218:219], v[222:223], 1.0
	v_fma_f64 v[222:223], v[222:223], v[224:225], v[222:223]
	s_delay_alu instid0(VALU_DEP_1) | instskip(NEXT) | instid1(VALU_DEP_1)
	v_fma_f64 v[224:225], -v[218:219], v[222:223], 1.0
	v_fma_f64 v[222:223], v[222:223], v[224:225], v[222:223]
	v_div_scale_f64 v[224:225], vcc_lo, 1.0, v[216:217], 1.0
	s_delay_alu instid0(VALU_DEP_1) | instskip(NEXT) | instid1(VALU_DEP_1)
	v_mul_f64 v[226:227], v[224:225], v[222:223]
	v_fma_f64 v[218:219], -v[218:219], v[226:227], v[224:225]
	s_delay_alu instid0(VALU_DEP_1) | instskip(NEXT) | instid1(VALU_DEP_1)
	v_div_fmas_f64 v[218:219], v[218:219], v[222:223], v[226:227]
	v_div_fixup_f64 v[222:223], v[218:219], v[216:217], 1.0
                                        ; implicit-def: $vgpr216_vgpr217
	s_delay_alu instid0(VALU_DEP_1)
	v_mul_f64 v[224:225], v[220:221], v[222:223]
	v_xor_b32_e32 v223, 0x80000000, v223
.LBB93_374:
	s_and_not1_saveexec_b32 s3, s3
	s_cbranch_execz .LBB93_376
; %bb.375:
	v_div_scale_f64 v[220:221], null, v[216:217], v[216:217], v[218:219]
	v_div_scale_f64 v[226:227], vcc_lo, v[218:219], v[216:217], v[218:219]
	s_delay_alu instid0(VALU_DEP_2) | instskip(SKIP_2) | instid1(VALU_DEP_1)
	v_rcp_f64_e32 v[222:223], v[220:221]
	s_waitcnt_depctr 0xfff
	v_fma_f64 v[224:225], -v[220:221], v[222:223], 1.0
	v_fma_f64 v[222:223], v[222:223], v[224:225], v[222:223]
	s_delay_alu instid0(VALU_DEP_1) | instskip(NEXT) | instid1(VALU_DEP_1)
	v_fma_f64 v[224:225], -v[220:221], v[222:223], 1.0
	v_fma_f64 v[222:223], v[222:223], v[224:225], v[222:223]
	s_delay_alu instid0(VALU_DEP_1) | instskip(NEXT) | instid1(VALU_DEP_1)
	v_mul_f64 v[224:225], v[226:227], v[222:223]
	v_fma_f64 v[220:221], -v[220:221], v[224:225], v[226:227]
	s_delay_alu instid0(VALU_DEP_1) | instskip(NEXT) | instid1(VALU_DEP_1)
	v_div_fmas_f64 v[220:221], v[220:221], v[222:223], v[224:225]
	v_div_fixup_f64 v[220:221], v[220:221], v[216:217], v[218:219]
	s_delay_alu instid0(VALU_DEP_1) | instskip(NEXT) | instid1(VALU_DEP_1)
	v_fma_f64 v[216:217], v[218:219], v[220:221], v[216:217]
	v_div_scale_f64 v[218:219], null, v[216:217], v[216:217], 1.0
	s_delay_alu instid0(VALU_DEP_1) | instskip(SKIP_2) | instid1(VALU_DEP_1)
	v_rcp_f64_e32 v[222:223], v[218:219]
	s_waitcnt_depctr 0xfff
	v_fma_f64 v[224:225], -v[218:219], v[222:223], 1.0
	v_fma_f64 v[222:223], v[222:223], v[224:225], v[222:223]
	s_delay_alu instid0(VALU_DEP_1) | instskip(NEXT) | instid1(VALU_DEP_1)
	v_fma_f64 v[224:225], -v[218:219], v[222:223], 1.0
	v_fma_f64 v[222:223], v[222:223], v[224:225], v[222:223]
	v_div_scale_f64 v[224:225], vcc_lo, 1.0, v[216:217], 1.0
	s_delay_alu instid0(VALU_DEP_1) | instskip(NEXT) | instid1(VALU_DEP_1)
	v_mul_f64 v[226:227], v[224:225], v[222:223]
	v_fma_f64 v[218:219], -v[218:219], v[226:227], v[224:225]
	s_delay_alu instid0(VALU_DEP_1) | instskip(NEXT) | instid1(VALU_DEP_1)
	v_div_fmas_f64 v[218:219], v[218:219], v[222:223], v[226:227]
	v_div_fixup_f64 v[224:225], v[218:219], v[216:217], 1.0
	s_delay_alu instid0(VALU_DEP_1)
	v_mul_f64 v[222:223], v[220:221], -v[224:225]
.LBB93_376:
	s_or_b32 exec_lo, exec_lo, s3
	ds_store_2addr_b64 v243, v[224:225], v[222:223] offset1:1
.LBB93_377:
	s_or_b32 exec_lo, exec_lo, s4
	s_waitcnt lgkmcnt(0)
	s_barrier
	buffer_gl0_inv
	ds_load_2addr_b64 v[216:219], v243 offset1:1
	s_mov_b32 s3, exec_lo
	v_cmpx_lt_u32_e32 41, v242
	s_cbranch_execz .LBB93_379
; %bb.378:
	s_waitcnt lgkmcnt(0)
	v_mul_f64 v[220:221], v[216:217], v[22:23]
	v_mul_f64 v[22:23], v[218:219], v[22:23]
	s_delay_alu instid0(VALU_DEP_2) | instskip(SKIP_4) | instid1(VALU_DEP_1)
	v_fma_f64 v[224:225], v[218:219], v[20:21], v[220:221]
	ds_load_2addr_b64 v[220:223], v244 offset0:84 offset1:85
	v_fma_f64 v[20:21], v[216:217], v[20:21], -v[22:23]
	s_waitcnt lgkmcnt(0)
	v_mul_f64 v[22:23], v[222:223], v[224:225]
	v_fma_f64 v[22:23], v[220:221], v[20:21], -v[22:23]
	v_mul_f64 v[220:221], v[220:221], v[224:225]
	s_delay_alu instid0(VALU_DEP_2) | instskip(NEXT) | instid1(VALU_DEP_2)
	v_add_f64 v[16:17], v[16:17], -v[22:23]
	v_fma_f64 v[220:221], v[222:223], v[20:21], v[220:221]
	s_delay_alu instid0(VALU_DEP_1) | instskip(SKIP_3) | instid1(VALU_DEP_1)
	v_add_f64 v[18:19], v[18:19], -v[220:221]
	ds_load_2addr_b64 v[220:223], v244 offset0:86 offset1:87
	s_waitcnt lgkmcnt(0)
	v_mul_f64 v[22:23], v[222:223], v[224:225]
	v_fma_f64 v[22:23], v[220:221], v[20:21], -v[22:23]
	v_mul_f64 v[220:221], v[220:221], v[224:225]
	s_delay_alu instid0(VALU_DEP_2) | instskip(NEXT) | instid1(VALU_DEP_2)
	v_add_f64 v[12:13], v[12:13], -v[22:23]
	v_fma_f64 v[220:221], v[222:223], v[20:21], v[220:221]
	s_delay_alu instid0(VALU_DEP_1) | instskip(SKIP_3) | instid1(VALU_DEP_1)
	v_add_f64 v[14:15], v[14:15], -v[220:221]
	ds_load_2addr_b64 v[220:223], v244 offset0:88 offset1:89
	;; [unrolled: 10-line block ×4, first 2 shown]
	s_waitcnt lgkmcnt(0)
	v_mul_f64 v[22:23], v[222:223], v[224:225]
	v_fma_f64 v[22:23], v[220:221], v[20:21], -v[22:23]
	v_mul_f64 v[220:221], v[220:221], v[224:225]
	s_delay_alu instid0(VALU_DEP_2) | instskip(NEXT) | instid1(VALU_DEP_2)
	v_add_f64 v[0:1], v[0:1], -v[22:23]
	v_fma_f64 v[220:221], v[222:223], v[20:21], v[220:221]
	v_dual_mov_b32 v22, v224 :: v_dual_mov_b32 v23, v225
	s_delay_alu instid0(VALU_DEP_2)
	v_add_f64 v[2:3], v[2:3], -v[220:221]
.LBB93_379:
	s_or_b32 exec_lo, exec_lo, s3
	s_delay_alu instid0(SALU_CYCLE_1)
	s_mov_b32 s4, exec_lo
	s_waitcnt lgkmcnt(0)
	s_barrier
	buffer_gl0_inv
	v_cmpx_eq_u32_e32 42, v242
	s_cbranch_execz .LBB93_386
; %bb.380:
	ds_store_2addr_b64 v243, v[16:17], v[18:19] offset1:1
	ds_store_2addr_b64 v244, v[12:13], v[14:15] offset0:86 offset1:87
	ds_store_2addr_b64 v244, v[8:9], v[10:11] offset0:88 offset1:89
	;; [unrolled: 1-line block ×4, first 2 shown]
	ds_load_2addr_b64 v[220:223], v243 offset1:1
	s_waitcnt lgkmcnt(0)
	v_cmp_neq_f64_e32 vcc_lo, 0, v[220:221]
	v_cmp_neq_f64_e64 s3, 0, v[222:223]
	s_delay_alu instid0(VALU_DEP_1) | instskip(NEXT) | instid1(SALU_CYCLE_1)
	s_or_b32 s3, vcc_lo, s3
	s_and_b32 exec_lo, exec_lo, s3
	s_cbranch_execz .LBB93_386
; %bb.381:
	v_cmp_gt_f64_e32 vcc_lo, 0, v[220:221]
	v_xor_b32_e32 v224, 0x80000000, v221
	v_xor_b32_e32 v226, 0x80000000, v223
	s_mov_b32 s3, exec_lo
                                        ; implicit-def: $vgpr228_vgpr229
	s_delay_alu instid0(VALU_DEP_2) | instskip(SKIP_4) | instid1(VALU_DEP_1)
	v_cndmask_b32_e32 v225, v221, v224, vcc_lo
	v_cndmask_b32_e32 v224, v220, v220, vcc_lo
	v_cmp_gt_f64_e32 vcc_lo, 0, v[222:223]
	v_cndmask_b32_e32 v227, v223, v226, vcc_lo
	v_cndmask_b32_e32 v226, v222, v222, vcc_lo
	v_cmpx_ngt_f64_e32 v[224:225], v[226:227]
	s_xor_b32 s3, exec_lo, s3
                                        ; implicit-def: $vgpr224_vgpr225_vgpr226_vgpr227
	s_cbranch_execz .LBB93_383
; %bb.382:
	v_div_scale_f64 v[224:225], null, v[222:223], v[222:223], v[220:221]
	v_div_scale_f64 v[230:231], vcc_lo, v[220:221], v[222:223], v[220:221]
	s_delay_alu instid0(VALU_DEP_2) | instskip(SKIP_2) | instid1(VALU_DEP_1)
	v_rcp_f64_e32 v[226:227], v[224:225]
	s_waitcnt_depctr 0xfff
	v_fma_f64 v[228:229], -v[224:225], v[226:227], 1.0
	v_fma_f64 v[226:227], v[226:227], v[228:229], v[226:227]
	s_delay_alu instid0(VALU_DEP_1) | instskip(NEXT) | instid1(VALU_DEP_1)
	v_fma_f64 v[228:229], -v[224:225], v[226:227], 1.0
	v_fma_f64 v[226:227], v[226:227], v[228:229], v[226:227]
	s_delay_alu instid0(VALU_DEP_1) | instskip(NEXT) | instid1(VALU_DEP_1)
	v_mul_f64 v[228:229], v[230:231], v[226:227]
	v_fma_f64 v[224:225], -v[224:225], v[228:229], v[230:231]
	s_delay_alu instid0(VALU_DEP_1) | instskip(NEXT) | instid1(VALU_DEP_1)
	v_div_fmas_f64 v[224:225], v[224:225], v[226:227], v[228:229]
	v_div_fixup_f64 v[224:225], v[224:225], v[222:223], v[220:221]
	s_delay_alu instid0(VALU_DEP_1) | instskip(NEXT) | instid1(VALU_DEP_1)
	v_fma_f64 v[220:221], v[220:221], v[224:225], v[222:223]
	v_div_scale_f64 v[222:223], null, v[220:221], v[220:221], 1.0
	s_delay_alu instid0(VALU_DEP_1) | instskip(SKIP_2) | instid1(VALU_DEP_1)
	v_rcp_f64_e32 v[226:227], v[222:223]
	s_waitcnt_depctr 0xfff
	v_fma_f64 v[228:229], -v[222:223], v[226:227], 1.0
	v_fma_f64 v[226:227], v[226:227], v[228:229], v[226:227]
	s_delay_alu instid0(VALU_DEP_1) | instskip(NEXT) | instid1(VALU_DEP_1)
	v_fma_f64 v[228:229], -v[222:223], v[226:227], 1.0
	v_fma_f64 v[226:227], v[226:227], v[228:229], v[226:227]
	v_div_scale_f64 v[228:229], vcc_lo, 1.0, v[220:221], 1.0
	s_delay_alu instid0(VALU_DEP_1) | instskip(NEXT) | instid1(VALU_DEP_1)
	v_mul_f64 v[230:231], v[228:229], v[226:227]
	v_fma_f64 v[222:223], -v[222:223], v[230:231], v[228:229]
	s_delay_alu instid0(VALU_DEP_1) | instskip(NEXT) | instid1(VALU_DEP_1)
	v_div_fmas_f64 v[222:223], v[222:223], v[226:227], v[230:231]
	v_div_fixup_f64 v[226:227], v[222:223], v[220:221], 1.0
                                        ; implicit-def: $vgpr220_vgpr221
	s_delay_alu instid0(VALU_DEP_1)
	v_mul_f64 v[228:229], v[224:225], v[226:227]
	v_xor_b32_e32 v227, 0x80000000, v227
.LBB93_383:
	s_and_not1_saveexec_b32 s3, s3
	s_cbranch_execz .LBB93_385
; %bb.384:
	v_div_scale_f64 v[224:225], null, v[220:221], v[220:221], v[222:223]
	v_div_scale_f64 v[230:231], vcc_lo, v[222:223], v[220:221], v[222:223]
	s_delay_alu instid0(VALU_DEP_2) | instskip(SKIP_2) | instid1(VALU_DEP_1)
	v_rcp_f64_e32 v[226:227], v[224:225]
	s_waitcnt_depctr 0xfff
	v_fma_f64 v[228:229], -v[224:225], v[226:227], 1.0
	v_fma_f64 v[226:227], v[226:227], v[228:229], v[226:227]
	s_delay_alu instid0(VALU_DEP_1) | instskip(NEXT) | instid1(VALU_DEP_1)
	v_fma_f64 v[228:229], -v[224:225], v[226:227], 1.0
	v_fma_f64 v[226:227], v[226:227], v[228:229], v[226:227]
	s_delay_alu instid0(VALU_DEP_1) | instskip(NEXT) | instid1(VALU_DEP_1)
	v_mul_f64 v[228:229], v[230:231], v[226:227]
	v_fma_f64 v[224:225], -v[224:225], v[228:229], v[230:231]
	s_delay_alu instid0(VALU_DEP_1) | instskip(NEXT) | instid1(VALU_DEP_1)
	v_div_fmas_f64 v[224:225], v[224:225], v[226:227], v[228:229]
	v_div_fixup_f64 v[224:225], v[224:225], v[220:221], v[222:223]
	s_delay_alu instid0(VALU_DEP_1) | instskip(NEXT) | instid1(VALU_DEP_1)
	v_fma_f64 v[220:221], v[222:223], v[224:225], v[220:221]
	v_div_scale_f64 v[222:223], null, v[220:221], v[220:221], 1.0
	s_delay_alu instid0(VALU_DEP_1) | instskip(SKIP_2) | instid1(VALU_DEP_1)
	v_rcp_f64_e32 v[226:227], v[222:223]
	s_waitcnt_depctr 0xfff
	v_fma_f64 v[228:229], -v[222:223], v[226:227], 1.0
	v_fma_f64 v[226:227], v[226:227], v[228:229], v[226:227]
	s_delay_alu instid0(VALU_DEP_1) | instskip(NEXT) | instid1(VALU_DEP_1)
	v_fma_f64 v[228:229], -v[222:223], v[226:227], 1.0
	v_fma_f64 v[226:227], v[226:227], v[228:229], v[226:227]
	v_div_scale_f64 v[228:229], vcc_lo, 1.0, v[220:221], 1.0
	s_delay_alu instid0(VALU_DEP_1) | instskip(NEXT) | instid1(VALU_DEP_1)
	v_mul_f64 v[230:231], v[228:229], v[226:227]
	v_fma_f64 v[222:223], -v[222:223], v[230:231], v[228:229]
	s_delay_alu instid0(VALU_DEP_1) | instskip(NEXT) | instid1(VALU_DEP_1)
	v_div_fmas_f64 v[222:223], v[222:223], v[226:227], v[230:231]
	v_div_fixup_f64 v[228:229], v[222:223], v[220:221], 1.0
	s_delay_alu instid0(VALU_DEP_1)
	v_mul_f64 v[226:227], v[224:225], -v[228:229]
.LBB93_385:
	s_or_b32 exec_lo, exec_lo, s3
	ds_store_2addr_b64 v243, v[228:229], v[226:227] offset1:1
.LBB93_386:
	s_or_b32 exec_lo, exec_lo, s4
	s_waitcnt lgkmcnt(0)
	s_barrier
	buffer_gl0_inv
	ds_load_2addr_b64 v[220:223], v243 offset1:1
	s_mov_b32 s3, exec_lo
	v_cmpx_lt_u32_e32 42, v242
	s_cbranch_execz .LBB93_388
; %bb.387:
	s_waitcnt lgkmcnt(0)
	v_mul_f64 v[224:225], v[220:221], v[18:19]
	v_mul_f64 v[18:19], v[222:223], v[18:19]
	s_delay_alu instid0(VALU_DEP_2) | instskip(SKIP_4) | instid1(VALU_DEP_1)
	v_fma_f64 v[228:229], v[222:223], v[16:17], v[224:225]
	ds_load_2addr_b64 v[224:227], v244 offset0:86 offset1:87
	v_fma_f64 v[16:17], v[220:221], v[16:17], -v[18:19]
	s_waitcnt lgkmcnt(0)
	v_mul_f64 v[18:19], v[226:227], v[228:229]
	v_fma_f64 v[18:19], v[224:225], v[16:17], -v[18:19]
	v_mul_f64 v[224:225], v[224:225], v[228:229]
	s_delay_alu instid0(VALU_DEP_2) | instskip(NEXT) | instid1(VALU_DEP_2)
	v_add_f64 v[12:13], v[12:13], -v[18:19]
	v_fma_f64 v[224:225], v[226:227], v[16:17], v[224:225]
	s_delay_alu instid0(VALU_DEP_1) | instskip(SKIP_3) | instid1(VALU_DEP_1)
	v_add_f64 v[14:15], v[14:15], -v[224:225]
	ds_load_2addr_b64 v[224:227], v244 offset0:88 offset1:89
	s_waitcnt lgkmcnt(0)
	v_mul_f64 v[18:19], v[226:227], v[228:229]
	v_fma_f64 v[18:19], v[224:225], v[16:17], -v[18:19]
	v_mul_f64 v[224:225], v[224:225], v[228:229]
	s_delay_alu instid0(VALU_DEP_2) | instskip(NEXT) | instid1(VALU_DEP_2)
	v_add_f64 v[8:9], v[8:9], -v[18:19]
	v_fma_f64 v[224:225], v[226:227], v[16:17], v[224:225]
	s_delay_alu instid0(VALU_DEP_1) | instskip(SKIP_3) | instid1(VALU_DEP_1)
	v_add_f64 v[10:11], v[10:11], -v[224:225]
	ds_load_2addr_b64 v[224:227], v244 offset0:90 offset1:91
	;; [unrolled: 10-line block ×3, first 2 shown]
	s_waitcnt lgkmcnt(0)
	v_mul_f64 v[18:19], v[226:227], v[228:229]
	v_fma_f64 v[18:19], v[224:225], v[16:17], -v[18:19]
	v_mul_f64 v[224:225], v[224:225], v[228:229]
	s_delay_alu instid0(VALU_DEP_2) | instskip(NEXT) | instid1(VALU_DEP_2)
	v_add_f64 v[0:1], v[0:1], -v[18:19]
	v_fma_f64 v[224:225], v[226:227], v[16:17], v[224:225]
	v_dual_mov_b32 v18, v228 :: v_dual_mov_b32 v19, v229
	s_delay_alu instid0(VALU_DEP_2)
	v_add_f64 v[2:3], v[2:3], -v[224:225]
.LBB93_388:
	s_or_b32 exec_lo, exec_lo, s3
	s_delay_alu instid0(SALU_CYCLE_1)
	s_mov_b32 s4, exec_lo
	s_waitcnt lgkmcnt(0)
	s_barrier
	buffer_gl0_inv
	v_cmpx_eq_u32_e32 43, v242
	s_cbranch_execz .LBB93_395
; %bb.389:
	ds_store_2addr_b64 v243, v[12:13], v[14:15] offset1:1
	ds_store_2addr_b64 v244, v[8:9], v[10:11] offset0:88 offset1:89
	ds_store_2addr_b64 v244, v[4:5], v[6:7] offset0:90 offset1:91
	ds_store_2addr_b64 v244, v[0:1], v[2:3] offset0:92 offset1:93
	ds_load_2addr_b64 v[224:227], v243 offset1:1
	s_waitcnt lgkmcnt(0)
	v_cmp_neq_f64_e32 vcc_lo, 0, v[224:225]
	v_cmp_neq_f64_e64 s3, 0, v[226:227]
	s_delay_alu instid0(VALU_DEP_1) | instskip(NEXT) | instid1(SALU_CYCLE_1)
	s_or_b32 s3, vcc_lo, s3
	s_and_b32 exec_lo, exec_lo, s3
	s_cbranch_execz .LBB93_395
; %bb.390:
	v_cmp_gt_f64_e32 vcc_lo, 0, v[224:225]
	v_xor_b32_e32 v228, 0x80000000, v225
	v_xor_b32_e32 v230, 0x80000000, v227
	s_mov_b32 s3, exec_lo
                                        ; implicit-def: $vgpr232_vgpr233
	s_delay_alu instid0(VALU_DEP_2) | instskip(SKIP_4) | instid1(VALU_DEP_1)
	v_cndmask_b32_e32 v229, v225, v228, vcc_lo
	v_cndmask_b32_e32 v228, v224, v224, vcc_lo
	v_cmp_gt_f64_e32 vcc_lo, 0, v[226:227]
	v_cndmask_b32_e32 v231, v227, v230, vcc_lo
	v_cndmask_b32_e32 v230, v226, v226, vcc_lo
	v_cmpx_ngt_f64_e32 v[228:229], v[230:231]
	s_xor_b32 s3, exec_lo, s3
                                        ; implicit-def: $vgpr228_vgpr229_vgpr230_vgpr231
	s_cbranch_execz .LBB93_392
; %bb.391:
	v_div_scale_f64 v[228:229], null, v[226:227], v[226:227], v[224:225]
	v_div_scale_f64 v[234:235], vcc_lo, v[224:225], v[226:227], v[224:225]
	s_delay_alu instid0(VALU_DEP_2) | instskip(SKIP_2) | instid1(VALU_DEP_1)
	v_rcp_f64_e32 v[230:231], v[228:229]
	s_waitcnt_depctr 0xfff
	v_fma_f64 v[232:233], -v[228:229], v[230:231], 1.0
	v_fma_f64 v[230:231], v[230:231], v[232:233], v[230:231]
	s_delay_alu instid0(VALU_DEP_1) | instskip(NEXT) | instid1(VALU_DEP_1)
	v_fma_f64 v[232:233], -v[228:229], v[230:231], 1.0
	v_fma_f64 v[230:231], v[230:231], v[232:233], v[230:231]
	s_delay_alu instid0(VALU_DEP_1) | instskip(NEXT) | instid1(VALU_DEP_1)
	v_mul_f64 v[232:233], v[234:235], v[230:231]
	v_fma_f64 v[228:229], -v[228:229], v[232:233], v[234:235]
	s_delay_alu instid0(VALU_DEP_1) | instskip(NEXT) | instid1(VALU_DEP_1)
	v_div_fmas_f64 v[228:229], v[228:229], v[230:231], v[232:233]
	v_div_fixup_f64 v[228:229], v[228:229], v[226:227], v[224:225]
	s_delay_alu instid0(VALU_DEP_1) | instskip(NEXT) | instid1(VALU_DEP_1)
	v_fma_f64 v[224:225], v[224:225], v[228:229], v[226:227]
	v_div_scale_f64 v[226:227], null, v[224:225], v[224:225], 1.0
	s_delay_alu instid0(VALU_DEP_1) | instskip(SKIP_2) | instid1(VALU_DEP_1)
	v_rcp_f64_e32 v[230:231], v[226:227]
	s_waitcnt_depctr 0xfff
	v_fma_f64 v[232:233], -v[226:227], v[230:231], 1.0
	v_fma_f64 v[230:231], v[230:231], v[232:233], v[230:231]
	s_delay_alu instid0(VALU_DEP_1) | instskip(NEXT) | instid1(VALU_DEP_1)
	v_fma_f64 v[232:233], -v[226:227], v[230:231], 1.0
	v_fma_f64 v[230:231], v[230:231], v[232:233], v[230:231]
	v_div_scale_f64 v[232:233], vcc_lo, 1.0, v[224:225], 1.0
	s_delay_alu instid0(VALU_DEP_1) | instskip(NEXT) | instid1(VALU_DEP_1)
	v_mul_f64 v[234:235], v[232:233], v[230:231]
	v_fma_f64 v[226:227], -v[226:227], v[234:235], v[232:233]
	s_delay_alu instid0(VALU_DEP_1) | instskip(NEXT) | instid1(VALU_DEP_1)
	v_div_fmas_f64 v[226:227], v[226:227], v[230:231], v[234:235]
	v_div_fixup_f64 v[230:231], v[226:227], v[224:225], 1.0
                                        ; implicit-def: $vgpr224_vgpr225
	s_delay_alu instid0(VALU_DEP_1)
	v_mul_f64 v[232:233], v[228:229], v[230:231]
	v_xor_b32_e32 v231, 0x80000000, v231
.LBB93_392:
	s_and_not1_saveexec_b32 s3, s3
	s_cbranch_execz .LBB93_394
; %bb.393:
	v_div_scale_f64 v[228:229], null, v[224:225], v[224:225], v[226:227]
	v_div_scale_f64 v[234:235], vcc_lo, v[226:227], v[224:225], v[226:227]
	s_delay_alu instid0(VALU_DEP_2) | instskip(SKIP_2) | instid1(VALU_DEP_1)
	v_rcp_f64_e32 v[230:231], v[228:229]
	s_waitcnt_depctr 0xfff
	v_fma_f64 v[232:233], -v[228:229], v[230:231], 1.0
	v_fma_f64 v[230:231], v[230:231], v[232:233], v[230:231]
	s_delay_alu instid0(VALU_DEP_1) | instskip(NEXT) | instid1(VALU_DEP_1)
	v_fma_f64 v[232:233], -v[228:229], v[230:231], 1.0
	v_fma_f64 v[230:231], v[230:231], v[232:233], v[230:231]
	s_delay_alu instid0(VALU_DEP_1) | instskip(NEXT) | instid1(VALU_DEP_1)
	v_mul_f64 v[232:233], v[234:235], v[230:231]
	v_fma_f64 v[228:229], -v[228:229], v[232:233], v[234:235]
	s_delay_alu instid0(VALU_DEP_1) | instskip(NEXT) | instid1(VALU_DEP_1)
	v_div_fmas_f64 v[228:229], v[228:229], v[230:231], v[232:233]
	v_div_fixup_f64 v[228:229], v[228:229], v[224:225], v[226:227]
	s_delay_alu instid0(VALU_DEP_1) | instskip(NEXT) | instid1(VALU_DEP_1)
	v_fma_f64 v[224:225], v[226:227], v[228:229], v[224:225]
	v_div_scale_f64 v[226:227], null, v[224:225], v[224:225], 1.0
	s_delay_alu instid0(VALU_DEP_1) | instskip(SKIP_2) | instid1(VALU_DEP_1)
	v_rcp_f64_e32 v[230:231], v[226:227]
	s_waitcnt_depctr 0xfff
	v_fma_f64 v[232:233], -v[226:227], v[230:231], 1.0
	v_fma_f64 v[230:231], v[230:231], v[232:233], v[230:231]
	s_delay_alu instid0(VALU_DEP_1) | instskip(NEXT) | instid1(VALU_DEP_1)
	v_fma_f64 v[232:233], -v[226:227], v[230:231], 1.0
	v_fma_f64 v[230:231], v[230:231], v[232:233], v[230:231]
	v_div_scale_f64 v[232:233], vcc_lo, 1.0, v[224:225], 1.0
	s_delay_alu instid0(VALU_DEP_1) | instskip(NEXT) | instid1(VALU_DEP_1)
	v_mul_f64 v[234:235], v[232:233], v[230:231]
	v_fma_f64 v[226:227], -v[226:227], v[234:235], v[232:233]
	s_delay_alu instid0(VALU_DEP_1) | instskip(NEXT) | instid1(VALU_DEP_1)
	v_div_fmas_f64 v[226:227], v[226:227], v[230:231], v[234:235]
	v_div_fixup_f64 v[232:233], v[226:227], v[224:225], 1.0
	s_delay_alu instid0(VALU_DEP_1)
	v_mul_f64 v[230:231], v[228:229], -v[232:233]
.LBB93_394:
	s_or_b32 exec_lo, exec_lo, s3
	ds_store_2addr_b64 v243, v[232:233], v[230:231] offset1:1
.LBB93_395:
	s_or_b32 exec_lo, exec_lo, s4
	s_waitcnt lgkmcnt(0)
	s_barrier
	buffer_gl0_inv
	ds_load_2addr_b64 v[224:227], v243 offset1:1
	s_mov_b32 s3, exec_lo
	v_cmpx_lt_u32_e32 43, v242
	s_cbranch_execz .LBB93_397
; %bb.396:
	s_waitcnt lgkmcnt(0)
	v_mul_f64 v[228:229], v[224:225], v[14:15]
	v_mul_f64 v[14:15], v[226:227], v[14:15]
	s_delay_alu instid0(VALU_DEP_2) | instskip(SKIP_4) | instid1(VALU_DEP_1)
	v_fma_f64 v[232:233], v[226:227], v[12:13], v[228:229]
	ds_load_2addr_b64 v[228:231], v244 offset0:88 offset1:89
	v_fma_f64 v[12:13], v[224:225], v[12:13], -v[14:15]
	s_waitcnt lgkmcnt(0)
	v_mul_f64 v[14:15], v[230:231], v[232:233]
	v_fma_f64 v[14:15], v[228:229], v[12:13], -v[14:15]
	v_mul_f64 v[228:229], v[228:229], v[232:233]
	s_delay_alu instid0(VALU_DEP_2) | instskip(NEXT) | instid1(VALU_DEP_2)
	v_add_f64 v[8:9], v[8:9], -v[14:15]
	v_fma_f64 v[228:229], v[230:231], v[12:13], v[228:229]
	s_delay_alu instid0(VALU_DEP_1) | instskip(SKIP_3) | instid1(VALU_DEP_1)
	v_add_f64 v[10:11], v[10:11], -v[228:229]
	ds_load_2addr_b64 v[228:231], v244 offset0:90 offset1:91
	s_waitcnt lgkmcnt(0)
	v_mul_f64 v[14:15], v[230:231], v[232:233]
	v_fma_f64 v[14:15], v[228:229], v[12:13], -v[14:15]
	v_mul_f64 v[228:229], v[228:229], v[232:233]
	s_delay_alu instid0(VALU_DEP_2) | instskip(NEXT) | instid1(VALU_DEP_2)
	v_add_f64 v[4:5], v[4:5], -v[14:15]
	v_fma_f64 v[228:229], v[230:231], v[12:13], v[228:229]
	s_delay_alu instid0(VALU_DEP_1) | instskip(SKIP_3) | instid1(VALU_DEP_1)
	v_add_f64 v[6:7], v[6:7], -v[228:229]
	ds_load_2addr_b64 v[228:231], v244 offset0:92 offset1:93
	s_waitcnt lgkmcnt(0)
	v_mul_f64 v[14:15], v[230:231], v[232:233]
	v_fma_f64 v[14:15], v[228:229], v[12:13], -v[14:15]
	v_mul_f64 v[228:229], v[228:229], v[232:233]
	s_delay_alu instid0(VALU_DEP_2) | instskip(NEXT) | instid1(VALU_DEP_2)
	v_add_f64 v[0:1], v[0:1], -v[14:15]
	v_fma_f64 v[228:229], v[230:231], v[12:13], v[228:229]
	v_dual_mov_b32 v14, v232 :: v_dual_mov_b32 v15, v233
	s_delay_alu instid0(VALU_DEP_2)
	v_add_f64 v[2:3], v[2:3], -v[228:229]
.LBB93_397:
	s_or_b32 exec_lo, exec_lo, s3
	s_delay_alu instid0(SALU_CYCLE_1)
	s_mov_b32 s4, exec_lo
	s_waitcnt lgkmcnt(0)
	s_barrier
	buffer_gl0_inv
	v_cmpx_eq_u32_e32 44, v242
	s_cbranch_execz .LBB93_404
; %bb.398:
	ds_store_2addr_b64 v243, v[8:9], v[10:11] offset1:1
	ds_store_2addr_b64 v244, v[4:5], v[6:7] offset0:90 offset1:91
	ds_store_2addr_b64 v244, v[0:1], v[2:3] offset0:92 offset1:93
	ds_load_2addr_b64 v[228:231], v243 offset1:1
	s_waitcnt lgkmcnt(0)
	v_cmp_neq_f64_e32 vcc_lo, 0, v[228:229]
	v_cmp_neq_f64_e64 s3, 0, v[230:231]
	s_delay_alu instid0(VALU_DEP_1) | instskip(NEXT) | instid1(SALU_CYCLE_1)
	s_or_b32 s3, vcc_lo, s3
	s_and_b32 exec_lo, exec_lo, s3
	s_cbranch_execz .LBB93_404
; %bb.399:
	v_cmp_gt_f64_e32 vcc_lo, 0, v[228:229]
	v_xor_b32_e32 v232, 0x80000000, v229
	v_xor_b32_e32 v234, 0x80000000, v231
	s_mov_b32 s3, exec_lo
                                        ; implicit-def: $vgpr236_vgpr237
	s_delay_alu instid0(VALU_DEP_2) | instskip(SKIP_4) | instid1(VALU_DEP_1)
	v_cndmask_b32_e32 v233, v229, v232, vcc_lo
	v_cndmask_b32_e32 v232, v228, v228, vcc_lo
	v_cmp_gt_f64_e32 vcc_lo, 0, v[230:231]
	v_cndmask_b32_e32 v235, v231, v234, vcc_lo
	v_cndmask_b32_e32 v234, v230, v230, vcc_lo
	v_cmpx_ngt_f64_e32 v[232:233], v[234:235]
	s_xor_b32 s3, exec_lo, s3
                                        ; implicit-def: $vgpr232_vgpr233_vgpr234_vgpr235
	s_cbranch_execz .LBB93_401
; %bb.400:
	v_div_scale_f64 v[232:233], null, v[230:231], v[230:231], v[228:229]
	v_div_scale_f64 v[238:239], vcc_lo, v[228:229], v[230:231], v[228:229]
	s_delay_alu instid0(VALU_DEP_2) | instskip(SKIP_2) | instid1(VALU_DEP_1)
	v_rcp_f64_e32 v[234:235], v[232:233]
	s_waitcnt_depctr 0xfff
	v_fma_f64 v[236:237], -v[232:233], v[234:235], 1.0
	v_fma_f64 v[234:235], v[234:235], v[236:237], v[234:235]
	s_delay_alu instid0(VALU_DEP_1) | instskip(NEXT) | instid1(VALU_DEP_1)
	v_fma_f64 v[236:237], -v[232:233], v[234:235], 1.0
	v_fma_f64 v[234:235], v[234:235], v[236:237], v[234:235]
	s_delay_alu instid0(VALU_DEP_1) | instskip(NEXT) | instid1(VALU_DEP_1)
	v_mul_f64 v[236:237], v[238:239], v[234:235]
	v_fma_f64 v[232:233], -v[232:233], v[236:237], v[238:239]
	s_delay_alu instid0(VALU_DEP_1) | instskip(NEXT) | instid1(VALU_DEP_1)
	v_div_fmas_f64 v[232:233], v[232:233], v[234:235], v[236:237]
	v_div_fixup_f64 v[232:233], v[232:233], v[230:231], v[228:229]
	s_delay_alu instid0(VALU_DEP_1) | instskip(NEXT) | instid1(VALU_DEP_1)
	v_fma_f64 v[228:229], v[228:229], v[232:233], v[230:231]
	v_div_scale_f64 v[230:231], null, v[228:229], v[228:229], 1.0
	s_delay_alu instid0(VALU_DEP_1) | instskip(SKIP_2) | instid1(VALU_DEP_1)
	v_rcp_f64_e32 v[234:235], v[230:231]
	s_waitcnt_depctr 0xfff
	v_fma_f64 v[236:237], -v[230:231], v[234:235], 1.0
	v_fma_f64 v[234:235], v[234:235], v[236:237], v[234:235]
	s_delay_alu instid0(VALU_DEP_1) | instskip(NEXT) | instid1(VALU_DEP_1)
	v_fma_f64 v[236:237], -v[230:231], v[234:235], 1.0
	v_fma_f64 v[234:235], v[234:235], v[236:237], v[234:235]
	v_div_scale_f64 v[236:237], vcc_lo, 1.0, v[228:229], 1.0
	s_delay_alu instid0(VALU_DEP_1) | instskip(NEXT) | instid1(VALU_DEP_1)
	v_mul_f64 v[238:239], v[236:237], v[234:235]
	v_fma_f64 v[230:231], -v[230:231], v[238:239], v[236:237]
	s_delay_alu instid0(VALU_DEP_1) | instskip(NEXT) | instid1(VALU_DEP_1)
	v_div_fmas_f64 v[230:231], v[230:231], v[234:235], v[238:239]
	v_div_fixup_f64 v[234:235], v[230:231], v[228:229], 1.0
                                        ; implicit-def: $vgpr228_vgpr229
	s_delay_alu instid0(VALU_DEP_1)
	v_mul_f64 v[236:237], v[232:233], v[234:235]
	v_xor_b32_e32 v235, 0x80000000, v235
.LBB93_401:
	s_and_not1_saveexec_b32 s3, s3
	s_cbranch_execz .LBB93_403
; %bb.402:
	v_div_scale_f64 v[232:233], null, v[228:229], v[228:229], v[230:231]
	v_div_scale_f64 v[238:239], vcc_lo, v[230:231], v[228:229], v[230:231]
	s_delay_alu instid0(VALU_DEP_2) | instskip(SKIP_2) | instid1(VALU_DEP_1)
	v_rcp_f64_e32 v[234:235], v[232:233]
	s_waitcnt_depctr 0xfff
	v_fma_f64 v[236:237], -v[232:233], v[234:235], 1.0
	v_fma_f64 v[234:235], v[234:235], v[236:237], v[234:235]
	s_delay_alu instid0(VALU_DEP_1) | instskip(NEXT) | instid1(VALU_DEP_1)
	v_fma_f64 v[236:237], -v[232:233], v[234:235], 1.0
	v_fma_f64 v[234:235], v[234:235], v[236:237], v[234:235]
	s_delay_alu instid0(VALU_DEP_1) | instskip(NEXT) | instid1(VALU_DEP_1)
	v_mul_f64 v[236:237], v[238:239], v[234:235]
	v_fma_f64 v[232:233], -v[232:233], v[236:237], v[238:239]
	s_delay_alu instid0(VALU_DEP_1) | instskip(NEXT) | instid1(VALU_DEP_1)
	v_div_fmas_f64 v[232:233], v[232:233], v[234:235], v[236:237]
	v_div_fixup_f64 v[232:233], v[232:233], v[228:229], v[230:231]
	s_delay_alu instid0(VALU_DEP_1) | instskip(NEXT) | instid1(VALU_DEP_1)
	v_fma_f64 v[228:229], v[230:231], v[232:233], v[228:229]
	v_div_scale_f64 v[230:231], null, v[228:229], v[228:229], 1.0
	s_delay_alu instid0(VALU_DEP_1) | instskip(SKIP_2) | instid1(VALU_DEP_1)
	v_rcp_f64_e32 v[234:235], v[230:231]
	s_waitcnt_depctr 0xfff
	v_fma_f64 v[236:237], -v[230:231], v[234:235], 1.0
	v_fma_f64 v[234:235], v[234:235], v[236:237], v[234:235]
	s_delay_alu instid0(VALU_DEP_1) | instskip(NEXT) | instid1(VALU_DEP_1)
	v_fma_f64 v[236:237], -v[230:231], v[234:235], 1.0
	v_fma_f64 v[234:235], v[234:235], v[236:237], v[234:235]
	v_div_scale_f64 v[236:237], vcc_lo, 1.0, v[228:229], 1.0
	s_delay_alu instid0(VALU_DEP_1) | instskip(NEXT) | instid1(VALU_DEP_1)
	v_mul_f64 v[238:239], v[236:237], v[234:235]
	v_fma_f64 v[230:231], -v[230:231], v[238:239], v[236:237]
	s_delay_alu instid0(VALU_DEP_1) | instskip(NEXT) | instid1(VALU_DEP_1)
	v_div_fmas_f64 v[230:231], v[230:231], v[234:235], v[238:239]
	v_div_fixup_f64 v[236:237], v[230:231], v[228:229], 1.0
	s_delay_alu instid0(VALU_DEP_1)
	v_mul_f64 v[234:235], v[232:233], -v[236:237]
.LBB93_403:
	s_or_b32 exec_lo, exec_lo, s3
	ds_store_2addr_b64 v243, v[236:237], v[234:235] offset1:1
.LBB93_404:
	s_or_b32 exec_lo, exec_lo, s4
	s_waitcnt lgkmcnt(0)
	s_barrier
	buffer_gl0_inv
	ds_load_2addr_b64 v[228:231], v243 offset1:1
	s_mov_b32 s3, exec_lo
	v_cmpx_lt_u32_e32 44, v242
	s_cbranch_execz .LBB93_406
; %bb.405:
	s_waitcnt lgkmcnt(0)
	v_mul_f64 v[232:233], v[228:229], v[10:11]
	v_mul_f64 v[10:11], v[230:231], v[10:11]
	s_delay_alu instid0(VALU_DEP_2) | instskip(SKIP_4) | instid1(VALU_DEP_1)
	v_fma_f64 v[236:237], v[230:231], v[8:9], v[232:233]
	ds_load_2addr_b64 v[232:235], v244 offset0:90 offset1:91
	v_fma_f64 v[8:9], v[228:229], v[8:9], -v[10:11]
	s_waitcnt lgkmcnt(0)
	v_mul_f64 v[10:11], v[234:235], v[236:237]
	v_fma_f64 v[10:11], v[232:233], v[8:9], -v[10:11]
	v_mul_f64 v[232:233], v[232:233], v[236:237]
	s_delay_alu instid0(VALU_DEP_2) | instskip(NEXT) | instid1(VALU_DEP_2)
	v_add_f64 v[4:5], v[4:5], -v[10:11]
	v_fma_f64 v[232:233], v[234:235], v[8:9], v[232:233]
	s_delay_alu instid0(VALU_DEP_1) | instskip(SKIP_3) | instid1(VALU_DEP_1)
	v_add_f64 v[6:7], v[6:7], -v[232:233]
	ds_load_2addr_b64 v[232:235], v244 offset0:92 offset1:93
	s_waitcnt lgkmcnt(0)
	v_mul_f64 v[10:11], v[234:235], v[236:237]
	v_fma_f64 v[10:11], v[232:233], v[8:9], -v[10:11]
	v_mul_f64 v[232:233], v[232:233], v[236:237]
	s_delay_alu instid0(VALU_DEP_2) | instskip(NEXT) | instid1(VALU_DEP_2)
	v_add_f64 v[0:1], v[0:1], -v[10:11]
	v_fma_f64 v[232:233], v[234:235], v[8:9], v[232:233]
	v_dual_mov_b32 v10, v236 :: v_dual_mov_b32 v11, v237
	s_delay_alu instid0(VALU_DEP_2)
	v_add_f64 v[2:3], v[2:3], -v[232:233]
.LBB93_406:
	s_or_b32 exec_lo, exec_lo, s3
	s_delay_alu instid0(SALU_CYCLE_1)
	s_mov_b32 s4, exec_lo
	s_waitcnt lgkmcnt(0)
	s_barrier
	buffer_gl0_inv
	v_cmpx_eq_u32_e32 45, v242
	s_cbranch_execz .LBB93_413
; %bb.407:
	ds_store_2addr_b64 v243, v[4:5], v[6:7] offset1:1
	ds_store_2addr_b64 v244, v[0:1], v[2:3] offset0:92 offset1:93
	ds_load_2addr_b64 v[232:235], v243 offset1:1
	s_waitcnt lgkmcnt(0)
	v_cmp_neq_f64_e32 vcc_lo, 0, v[232:233]
	v_cmp_neq_f64_e64 s3, 0, v[234:235]
	s_delay_alu instid0(VALU_DEP_1) | instskip(NEXT) | instid1(SALU_CYCLE_1)
	s_or_b32 s3, vcc_lo, s3
	s_and_b32 exec_lo, exec_lo, s3
	s_cbranch_execz .LBB93_413
; %bb.408:
	v_cmp_gt_f64_e32 vcc_lo, 0, v[232:233]
	v_xor_b32_e32 v236, 0x80000000, v233
	v_xor_b32_e32 v238, 0x80000000, v235
	s_mov_b32 s3, exec_lo
                                        ; implicit-def: $vgpr240_vgpr241
	s_delay_alu instid0(VALU_DEP_2) | instskip(SKIP_4) | instid1(VALU_DEP_1)
	v_cndmask_b32_e32 v237, v233, v236, vcc_lo
	v_cndmask_b32_e32 v236, v232, v232, vcc_lo
	v_cmp_gt_f64_e32 vcc_lo, 0, v[234:235]
	v_cndmask_b32_e32 v239, v235, v238, vcc_lo
	v_cndmask_b32_e32 v238, v234, v234, vcc_lo
	v_cmpx_ngt_f64_e32 v[236:237], v[238:239]
	s_xor_b32 s3, exec_lo, s3
                                        ; implicit-def: $vgpr236_vgpr237_vgpr238_vgpr239
	s_cbranch_execz .LBB93_410
; %bb.409:
	v_div_scale_f64 v[236:237], null, v[234:235], v[234:235], v[232:233]
	v_dual_mov_b32 v188, v245 :: v_dual_mov_b32 v189, v246
	v_div_scale_f64 v[245:246], vcc_lo, v[232:233], v[234:235], v[232:233]
	s_delay_alu instid0(VALU_DEP_3) | instskip(SKIP_2) | instid1(VALU_DEP_1)
	v_rcp_f64_e32 v[238:239], v[236:237]
	s_waitcnt_depctr 0xfff
	v_fma_f64 v[240:241], -v[236:237], v[238:239], 1.0
	v_fma_f64 v[238:239], v[238:239], v[240:241], v[238:239]
	s_delay_alu instid0(VALU_DEP_1) | instskip(NEXT) | instid1(VALU_DEP_1)
	v_fma_f64 v[240:241], -v[236:237], v[238:239], 1.0
	v_fma_f64 v[238:239], v[238:239], v[240:241], v[238:239]
	s_delay_alu instid0(VALU_DEP_1) | instskip(NEXT) | instid1(VALU_DEP_1)
	v_mul_f64 v[240:241], v[245:246], v[238:239]
	v_fma_f64 v[236:237], -v[236:237], v[240:241], v[245:246]
	s_delay_alu instid0(VALU_DEP_1) | instskip(NEXT) | instid1(VALU_DEP_1)
	v_div_fmas_f64 v[236:237], v[236:237], v[238:239], v[240:241]
	v_div_fixup_f64 v[236:237], v[236:237], v[234:235], v[232:233]
	s_delay_alu instid0(VALU_DEP_1) | instskip(NEXT) | instid1(VALU_DEP_1)
	v_fma_f64 v[232:233], v[232:233], v[236:237], v[234:235]
	v_div_scale_f64 v[234:235], null, v[232:233], v[232:233], 1.0
	s_delay_alu instid0(VALU_DEP_1) | instskip(SKIP_2) | instid1(VALU_DEP_1)
	v_rcp_f64_e32 v[238:239], v[234:235]
	s_waitcnt_depctr 0xfff
	v_fma_f64 v[240:241], -v[234:235], v[238:239], 1.0
	v_fma_f64 v[238:239], v[238:239], v[240:241], v[238:239]
	s_delay_alu instid0(VALU_DEP_1) | instskip(NEXT) | instid1(VALU_DEP_1)
	v_fma_f64 v[240:241], -v[234:235], v[238:239], 1.0
	v_fma_f64 v[238:239], v[238:239], v[240:241], v[238:239]
	v_div_scale_f64 v[240:241], vcc_lo, 1.0, v[232:233], 1.0
	s_delay_alu instid0(VALU_DEP_1) | instskip(NEXT) | instid1(VALU_DEP_1)
	v_mul_f64 v[245:246], v[240:241], v[238:239]
	v_fma_f64 v[234:235], -v[234:235], v[245:246], v[240:241]
	s_delay_alu instid0(VALU_DEP_1) | instskip(SKIP_1) | instid1(VALU_DEP_2)
	v_div_fmas_f64 v[234:235], v[234:235], v[238:239], v[245:246]
	v_dual_mov_b32 v246, v189 :: v_dual_mov_b32 v245, v188
	v_div_fixup_f64 v[238:239], v[234:235], v[232:233], 1.0
                                        ; implicit-def: $vgpr232_vgpr233
	s_delay_alu instid0(VALU_DEP_1)
	v_mul_f64 v[240:241], v[236:237], v[238:239]
	v_xor_b32_e32 v239, 0x80000000, v239
.LBB93_410:
	s_and_not1_saveexec_b32 s3, s3
	s_cbranch_execz .LBB93_412
; %bb.411:
	v_div_scale_f64 v[236:237], null, v[232:233], v[232:233], v[234:235]
	v_dual_mov_b32 v188, v245 :: v_dual_mov_b32 v189, v246
	v_div_scale_f64 v[245:246], vcc_lo, v[234:235], v[232:233], v[234:235]
	s_delay_alu instid0(VALU_DEP_3) | instskip(SKIP_2) | instid1(VALU_DEP_1)
	v_rcp_f64_e32 v[238:239], v[236:237]
	s_waitcnt_depctr 0xfff
	v_fma_f64 v[240:241], -v[236:237], v[238:239], 1.0
	v_fma_f64 v[238:239], v[238:239], v[240:241], v[238:239]
	s_delay_alu instid0(VALU_DEP_1) | instskip(NEXT) | instid1(VALU_DEP_1)
	v_fma_f64 v[240:241], -v[236:237], v[238:239], 1.0
	v_fma_f64 v[238:239], v[238:239], v[240:241], v[238:239]
	s_delay_alu instid0(VALU_DEP_1) | instskip(NEXT) | instid1(VALU_DEP_1)
	v_mul_f64 v[240:241], v[245:246], v[238:239]
	v_fma_f64 v[236:237], -v[236:237], v[240:241], v[245:246]
	s_delay_alu instid0(VALU_DEP_1) | instskip(NEXT) | instid1(VALU_DEP_1)
	v_div_fmas_f64 v[236:237], v[236:237], v[238:239], v[240:241]
	v_div_fixup_f64 v[236:237], v[236:237], v[232:233], v[234:235]
	s_delay_alu instid0(VALU_DEP_1) | instskip(NEXT) | instid1(VALU_DEP_1)
	v_fma_f64 v[232:233], v[234:235], v[236:237], v[232:233]
	v_div_scale_f64 v[234:235], null, v[232:233], v[232:233], 1.0
	s_delay_alu instid0(VALU_DEP_1) | instskip(SKIP_2) | instid1(VALU_DEP_1)
	v_rcp_f64_e32 v[238:239], v[234:235]
	s_waitcnt_depctr 0xfff
	v_fma_f64 v[240:241], -v[234:235], v[238:239], 1.0
	v_fma_f64 v[238:239], v[238:239], v[240:241], v[238:239]
	s_delay_alu instid0(VALU_DEP_1) | instskip(NEXT) | instid1(VALU_DEP_1)
	v_fma_f64 v[240:241], -v[234:235], v[238:239], 1.0
	v_fma_f64 v[238:239], v[238:239], v[240:241], v[238:239]
	v_div_scale_f64 v[240:241], vcc_lo, 1.0, v[232:233], 1.0
	s_delay_alu instid0(VALU_DEP_1) | instskip(NEXT) | instid1(VALU_DEP_1)
	v_mul_f64 v[245:246], v[240:241], v[238:239]
	v_fma_f64 v[234:235], -v[234:235], v[245:246], v[240:241]
	s_delay_alu instid0(VALU_DEP_1) | instskip(SKIP_1) | instid1(VALU_DEP_2)
	v_div_fmas_f64 v[234:235], v[234:235], v[238:239], v[245:246]
	v_dual_mov_b32 v246, v189 :: v_dual_mov_b32 v245, v188
	v_div_fixup_f64 v[240:241], v[234:235], v[232:233], 1.0
	s_delay_alu instid0(VALU_DEP_1)
	v_mul_f64 v[238:239], v[236:237], -v[240:241]
.LBB93_412:
	s_or_b32 exec_lo, exec_lo, s3
	ds_store_2addr_b64 v243, v[240:241], v[238:239] offset1:1
.LBB93_413:
	s_or_b32 exec_lo, exec_lo, s4
	s_waitcnt lgkmcnt(0)
	s_barrier
	buffer_gl0_inv
	ds_load_2addr_b64 v[232:235], v243 offset1:1
	s_mov_b32 s3, exec_lo
	v_cmpx_lt_u32_e32 45, v242
	s_cbranch_execz .LBB93_415
; %bb.414:
	s_waitcnt lgkmcnt(0)
	v_mul_f64 v[236:237], v[232:233], v[6:7]
	v_mul_f64 v[6:7], v[234:235], v[6:7]
	s_delay_alu instid0(VALU_DEP_2) | instskip(SKIP_4) | instid1(VALU_DEP_1)
	v_fma_f64 v[240:241], v[234:235], v[4:5], v[236:237]
	ds_load_2addr_b64 v[236:239], v244 offset0:92 offset1:93
	v_fma_f64 v[4:5], v[232:233], v[4:5], -v[6:7]
	s_waitcnt lgkmcnt(0)
	v_mul_f64 v[6:7], v[238:239], v[240:241]
	v_fma_f64 v[6:7], v[236:237], v[4:5], -v[6:7]
	v_mul_f64 v[236:237], v[236:237], v[240:241]
	s_delay_alu instid0(VALU_DEP_2) | instskip(NEXT) | instid1(VALU_DEP_2)
	v_add_f64 v[0:1], v[0:1], -v[6:7]
	v_fma_f64 v[236:237], v[238:239], v[4:5], v[236:237]
	v_dual_mov_b32 v6, v240 :: v_dual_mov_b32 v7, v241
	s_delay_alu instid0(VALU_DEP_2)
	v_add_f64 v[2:3], v[2:3], -v[236:237]
.LBB93_415:
	s_or_b32 exec_lo, exec_lo, s3
	s_delay_alu instid0(SALU_CYCLE_1)
	s_mov_b32 s4, exec_lo
	s_waitcnt lgkmcnt(0)
	s_barrier
	buffer_gl0_inv
	v_cmpx_eq_u32_e32 46, v242
	s_cbranch_execz .LBB93_422
; %bb.416:
	v_cmp_neq_f64_e32 vcc_lo, 0, v[0:1]
	v_cmp_neq_f64_e64 s3, 0, v[2:3]
	ds_store_2addr_b64 v243, v[0:1], v[2:3] offset1:1
	s_or_b32 s3, vcc_lo, s3
	s_delay_alu instid0(SALU_CYCLE_1)
	s_and_b32 exec_lo, exec_lo, s3
	s_cbranch_execz .LBB93_422
; %bb.417:
	v_cmp_gt_f64_e32 vcc_lo, 0, v[0:1]
	v_xor_b32_e32 v236, 0x80000000, v1
	v_xor_b32_e32 v238, 0x80000000, v3
	s_mov_b32 s3, exec_lo
                                        ; implicit-def: $vgpr240_vgpr241
	s_delay_alu instid0(VALU_DEP_2) | instskip(SKIP_4) | instid1(VALU_DEP_1)
	v_cndmask_b32_e32 v237, v1, v236, vcc_lo
	v_cndmask_b32_e32 v236, v0, v0, vcc_lo
	v_cmp_gt_f64_e32 vcc_lo, 0, v[2:3]
	v_cndmask_b32_e32 v239, v3, v238, vcc_lo
	v_cndmask_b32_e32 v238, v2, v2, vcc_lo
	v_cmpx_ngt_f64_e32 v[236:237], v[238:239]
	s_xor_b32 s3, exec_lo, s3
                                        ; implicit-def: $vgpr236_vgpr237_vgpr238_vgpr239
	s_cbranch_execz .LBB93_419
; %bb.418:
	v_div_scale_f64 v[236:237], null, v[2:3], v[2:3], v[0:1]
	v_dual_mov_b32 v190, v245 :: v_dual_mov_b32 v191, v246
	v_div_scale_f64 v[244:245], vcc_lo, v[0:1], v[2:3], v[0:1]
	v_dual_mov_b32 v188, v253 :: v_dual_mov_b32 v189, v254
	v_dual_mov_b32 v255, v252 :: v_dual_mov_b32 v254, v251
	;; [unrolled: 1-line block ×4, first 2 shown]
	v_rcp_f64_e32 v[238:239], v[236:237]
	s_waitcnt_depctr 0xfff
	v_fma_f64 v[240:241], -v[236:237], v[238:239], 1.0
	s_delay_alu instid0(VALU_DEP_1) | instskip(NEXT) | instid1(VALU_DEP_1)
	v_fma_f64 v[238:239], v[238:239], v[240:241], v[238:239]
	v_fma_f64 v[240:241], -v[236:237], v[238:239], 1.0
	s_delay_alu instid0(VALU_DEP_1) | instskip(NEXT) | instid1(VALU_DEP_1)
	v_fma_f64 v[238:239], v[238:239], v[240:241], v[238:239]
	v_mul_f64 v[240:241], v[244:245], v[238:239]
	s_delay_alu instid0(VALU_DEP_1) | instskip(NEXT) | instid1(VALU_DEP_1)
	v_fma_f64 v[236:237], -v[236:237], v[240:241], v[244:245]
	v_div_fmas_f64 v[236:237], v[236:237], v[238:239], v[240:241]
	s_delay_alu instid0(VALU_DEP_1) | instskip(NEXT) | instid1(VALU_DEP_1)
	v_div_fixup_f64 v[236:237], v[236:237], v[2:3], v[0:1]
	v_fma_f64 v[238:239], v[0:1], v[236:237], v[2:3]
	s_delay_alu instid0(VALU_DEP_1) | instskip(NEXT) | instid1(VALU_DEP_1)
	v_div_scale_f64 v[240:241], null, v[238:239], v[238:239], 1.0
	v_rcp_f64_e32 v[244:245], v[240:241]
	s_waitcnt_depctr 0xfff
	v_fma_f64 v[246:247], -v[240:241], v[244:245], 1.0
	s_delay_alu instid0(VALU_DEP_1) | instskip(NEXT) | instid1(VALU_DEP_1)
	v_fma_f64 v[244:245], v[244:245], v[246:247], v[244:245]
	v_fma_f64 v[246:247], -v[240:241], v[244:245], 1.0
	s_delay_alu instid0(VALU_DEP_1) | instskip(SKIP_1) | instid1(VALU_DEP_1)
	v_fma_f64 v[244:245], v[244:245], v[246:247], v[244:245]
	v_div_scale_f64 v[246:247], vcc_lo, 1.0, v[238:239], 1.0
	v_mul_f64 v[248:249], v[246:247], v[244:245]
	s_delay_alu instid0(VALU_DEP_1) | instskip(NEXT) | instid1(VALU_DEP_1)
	v_fma_f64 v[240:241], -v[240:241], v[248:249], v[246:247]
	v_div_fmas_f64 v[240:241], v[240:241], v[244:245], v[248:249]
	v_dual_mov_b32 v246, v191 :: v_dual_mov_b32 v245, v190
	v_dual_mov_b32 v247, v250 :: v_dual_mov_b32 v248, v251
	;; [unrolled: 1-line block ×5, first 2 shown]
	v_div_fixup_f64 v[238:239], v[240:241], v[238:239], 1.0
	s_delay_alu instid0(VALU_DEP_1)
	v_mul_f64 v[240:241], v[236:237], v[238:239]
	v_xor_b32_e32 v239, 0x80000000, v239
.LBB93_419:
	s_and_not1_saveexec_b32 s3, s3
	s_cbranch_execz .LBB93_421
; %bb.420:
	v_div_scale_f64 v[236:237], null, v[0:1], v[0:1], v[2:3]
	v_dual_mov_b32 v190, v245 :: v_dual_mov_b32 v191, v246
	v_div_scale_f64 v[244:245], vcc_lo, v[2:3], v[0:1], v[2:3]
	v_dual_mov_b32 v188, v253 :: v_dual_mov_b32 v189, v254
	v_dual_mov_b32 v255, v252 :: v_dual_mov_b32 v254, v251
	;; [unrolled: 1-line block ×4, first 2 shown]
	v_rcp_f64_e32 v[238:239], v[236:237]
	s_waitcnt_depctr 0xfff
	v_fma_f64 v[240:241], -v[236:237], v[238:239], 1.0
	s_delay_alu instid0(VALU_DEP_1) | instskip(NEXT) | instid1(VALU_DEP_1)
	v_fma_f64 v[238:239], v[238:239], v[240:241], v[238:239]
	v_fma_f64 v[240:241], -v[236:237], v[238:239], 1.0
	s_delay_alu instid0(VALU_DEP_1) | instskip(NEXT) | instid1(VALU_DEP_1)
	v_fma_f64 v[238:239], v[238:239], v[240:241], v[238:239]
	v_mul_f64 v[240:241], v[244:245], v[238:239]
	s_delay_alu instid0(VALU_DEP_1) | instskip(NEXT) | instid1(VALU_DEP_1)
	v_fma_f64 v[236:237], -v[236:237], v[240:241], v[244:245]
	v_div_fmas_f64 v[236:237], v[236:237], v[238:239], v[240:241]
	s_delay_alu instid0(VALU_DEP_1) | instskip(NEXT) | instid1(VALU_DEP_1)
	v_div_fixup_f64 v[236:237], v[236:237], v[0:1], v[2:3]
	v_fma_f64 v[238:239], v[2:3], v[236:237], v[0:1]
	s_delay_alu instid0(VALU_DEP_1) | instskip(NEXT) | instid1(VALU_DEP_1)
	v_div_scale_f64 v[240:241], null, v[238:239], v[238:239], 1.0
	v_rcp_f64_e32 v[244:245], v[240:241]
	s_waitcnt_depctr 0xfff
	v_fma_f64 v[246:247], -v[240:241], v[244:245], 1.0
	s_delay_alu instid0(VALU_DEP_1) | instskip(NEXT) | instid1(VALU_DEP_1)
	v_fma_f64 v[244:245], v[244:245], v[246:247], v[244:245]
	v_fma_f64 v[246:247], -v[240:241], v[244:245], 1.0
	s_delay_alu instid0(VALU_DEP_1) | instskip(SKIP_1) | instid1(VALU_DEP_1)
	v_fma_f64 v[244:245], v[244:245], v[246:247], v[244:245]
	v_div_scale_f64 v[246:247], vcc_lo, 1.0, v[238:239], 1.0
	v_mul_f64 v[248:249], v[246:247], v[244:245]
	s_delay_alu instid0(VALU_DEP_1) | instskip(NEXT) | instid1(VALU_DEP_1)
	v_fma_f64 v[240:241], -v[240:241], v[248:249], v[246:247]
	v_div_fmas_f64 v[240:241], v[240:241], v[244:245], v[248:249]
	v_dual_mov_b32 v246, v191 :: v_dual_mov_b32 v245, v190
	v_dual_mov_b32 v247, v250 :: v_dual_mov_b32 v248, v251
	;; [unrolled: 1-line block ×5, first 2 shown]
	v_div_fixup_f64 v[240:241], v[240:241], v[238:239], 1.0
	s_delay_alu instid0(VALU_DEP_1)
	v_mul_f64 v[238:239], v[236:237], -v[240:241]
.LBB93_421:
	s_or_b32 exec_lo, exec_lo, s3
	ds_store_2addr_b64 v243, v[240:241], v[238:239] offset1:1
.LBB93_422:
	s_or_b32 exec_lo, exec_lo, s4
	s_waitcnt lgkmcnt(0)
	s_barrier
	buffer_gl0_inv
	ds_load_2addr_b64 v[236:239], v243 offset1:1
	s_mov_b32 s3, exec_lo
	v_cmpx_lt_u32_e32 46, v242
	s_cbranch_execz .LBB93_424
; %bb.423:
	s_waitcnt lgkmcnt(0)
	v_mul_f64 v[240:241], v[238:239], v[2:3]
	v_mul_f64 v[2:3], v[236:237], v[2:3]
	s_delay_alu instid0(VALU_DEP_2) | instskip(NEXT) | instid1(VALU_DEP_2)
	v_fma_f64 v[240:241], v[236:237], v[0:1], -v[240:241]
	v_fma_f64 v[2:3], v[238:239], v[0:1], v[2:3]
	s_delay_alu instid0(VALU_DEP_2)
	v_dual_mov_b32 v0, v240 :: v_dual_mov_b32 v1, v241
.LBB93_424:
	s_or_b32 exec_lo, exec_lo, s3
	s_waitcnt lgkmcnt(0)
	s_barrier
	buffer_gl0_inv
	s_and_saveexec_b32 s12, s2
	s_cbranch_execz .LBB93_427
; %bb.425:
	scratch_load_b128 v[188:191], off, off offset:344 ; 16-byte Folded Reload
	s_load_b64 s[14:15], s[0:1], 0x28
	s_waitcnt vmcnt(0)
	v_cmp_eq_f64_e32 vcc_lo, 0, v[188:189]
	v_cmp_eq_f64_e64 s2, 0, v[190:191]
	scratch_load_b128 v[188:191], off, off offset:360 ; 16-byte Folded Reload
	s_and_b32 s2, vcc_lo, s2
	s_delay_alu instid0(SALU_CYCLE_1)
	v_cndmask_b32_e64 v240, 0, 1, s2
	s_waitcnt vmcnt(0)
	v_cmp_neq_f64_e64 s3, 0, v[188:189]
	v_cmp_neq_f64_e64 s4, 0, v[190:191]
	scratch_load_b128 v[188:191], off, off offset:376 ; 16-byte Folded Reload
	s_or_b32 s3, s3, s4
	s_delay_alu instid0(SALU_CYCLE_1) | instskip(SKIP_1) | instid1(VALU_DEP_1)
	s_or_b32 vcc_lo, s3, s2
	v_cndmask_b32_e32 v240, 2, v240, vcc_lo
	v_cmp_eq_u32_e64 s3, 0, v240
	s_waitcnt vmcnt(0)
	v_cmp_eq_f64_e64 s5, 0, v[188:189]
	v_cmp_eq_f64_e64 s6, 0, v[190:191]
	scratch_load_b128 v[188:191], off, off offset:392 ; 16-byte Folded Reload
	s_and_b32 s4, s5, s6
	s_delay_alu instid0(SALU_CYCLE_1) | instskip(NEXT) | instid1(SALU_CYCLE_1)
	s_and_b32 s3, s4, s3
	v_cndmask_b32_e64 v240, v240, 3, s3
	s_delay_alu instid0(VALU_DEP_1)
	v_cmp_eq_u32_e64 s5, 0, v240
	s_waitcnt vmcnt(0)
	v_cmp_eq_f64_e64 s7, 0, v[188:189]
	v_cmp_eq_f64_e64 s8, 0, v[190:191]
	scratch_load_b128 v[188:191], off, off offset:408 ; 16-byte Folded Reload
	s_and_b32 s6, s7, s8
	s_delay_alu instid0(SALU_CYCLE_1) | instskip(NEXT) | instid1(SALU_CYCLE_1)
	s_and_b32 s5, s6, s5
	v_cndmask_b32_e64 v240, v240, 4, s5
	s_delay_alu instid0(VALU_DEP_1)
	v_cmp_eq_u32_e64 s7, 0, v240
	s_waitcnt vmcnt(0)
	v_cmp_eq_f64_e64 s9, 0, v[188:189]
	v_cmp_eq_f64_e64 s10, 0, v[190:191]
	scratch_load_b128 v[188:191], off, off offset:424 ; 16-byte Folded Reload
	s_and_b32 s8, s9, s10
	s_delay_alu instid0(SALU_CYCLE_1) | instskip(NEXT) | instid1(SALU_CYCLE_1)
	s_and_b32 s7, s8, s7
	v_cndmask_b32_e64 v240, v240, 5, s7
	s_delay_alu instid0(VALU_DEP_1)
	v_cmp_eq_u32_e64 s9, 0, v240
	s_waitcnt vmcnt(0)
	v_cmp_eq_f64_e32 vcc_lo, 0, v[188:189]
	v_cmp_eq_f64_e64 s2, 0, v[190:191]
	scratch_load_b128 v[188:191], off, off offset:440 ; 16-byte Folded Reload
	s_and_b32 s2, vcc_lo, s2
	s_delay_alu instid0(SALU_CYCLE_1) | instskip(NEXT) | instid1(SALU_CYCLE_1)
	s_and_b32 s2, s2, s9
	v_cndmask_b32_e64 v240, v240, 6, s2
	s_delay_alu instid0(VALU_DEP_1)
	v_cmp_eq_u32_e64 s9, 0, v240
	s_waitcnt vmcnt(0)
	v_cmp_eq_f64_e64 s3, 0, v[188:189]
	v_cmp_eq_f64_e64 s4, 0, v[190:191]
	scratch_load_b128 v[188:191], off, off offset:456 ; 16-byte Folded Reload
	s_and_b32 s3, s3, s4
	s_delay_alu instid0(SALU_CYCLE_1) | instskip(NEXT) | instid1(SALU_CYCLE_1)
	s_and_b32 s3, s3, s9
	v_cndmask_b32_e64 v240, v240, 7, s3
	s_delay_alu instid0(VALU_DEP_1)
	v_cmp_eq_u32_e64 s9, 0, v240
	s_waitcnt vmcnt(0)
	v_cmp_eq_f64_e64 s5, 0, v[188:189]
	v_cmp_eq_f64_e64 s6, 0, v[190:191]
	scratch_load_b128 v[188:191], off, off offset:472 ; 16-byte Folded Reload
	s_and_b32 s5, s5, s6
	s_delay_alu instid0(SALU_CYCLE_1) | instskip(NEXT) | instid1(SALU_CYCLE_1)
	s_and_b32 s5, s5, s9
	v_cndmask_b32_e64 v240, v240, 8, s5
	s_delay_alu instid0(VALU_DEP_1)
	v_cmp_eq_u32_e64 s9, 0, v240
	s_waitcnt vmcnt(0)
	v_cmp_eq_f64_e64 s7, 0, v[188:189]
	v_cmp_eq_f64_e64 s8, 0, v[190:191]
	scratch_load_b128 v[188:191], off, off offset:488 ; 16-byte Folded Reload
	s_and_b32 s7, s7, s8
	s_delay_alu instid0(SALU_CYCLE_1) | instskip(NEXT) | instid1(SALU_CYCLE_1)
	s_and_b32 s7, s7, s9
	v_cndmask_b32_e64 v240, v240, 9, s7
	s_delay_alu instid0(VALU_DEP_1)
	v_cmp_eq_u32_e64 s9, 0, v240
	s_waitcnt vmcnt(0)
	v_cmp_eq_f64_e32 vcc_lo, 0, v[188:189]
	v_cmp_eq_f64_e64 s2, 0, v[190:191]
	scratch_load_b128 v[188:191], off, off offset:504 ; 16-byte Folded Reload
	s_and_b32 s2, vcc_lo, s2
	s_delay_alu instid0(SALU_CYCLE_1) | instskip(NEXT) | instid1(SALU_CYCLE_1)
	s_and_b32 s2, s2, s9
	v_cndmask_b32_e64 v240, v240, 10, s2
	s_delay_alu instid0(VALU_DEP_1)
	;; [unrolled: 40-line block ×3, first 2 shown]
	v_cmp_eq_u32_e32 vcc_lo, 0, v240
	s_waitcnt vmcnt(0)
	v_cmp_eq_f64_e64 s3, 0, v[188:189]
	v_cmp_eq_f64_e64 s4, 0, v[190:191]
	scratch_load_b128 v[188:191], off, off offset:584 ; 16-byte Folded Reload
	s_and_b32 s3, s3, s4
	s_delay_alu instid0(SALU_CYCLE_1) | instskip(NEXT) | instid1(SALU_CYCLE_1)
	s_and_b32 s3, s3, vcc_lo
	v_cndmask_b32_e64 v240, v240, 15, s3
	s_delay_alu instid0(VALU_DEP_1)
	v_cmp_eq_u32_e32 vcc_lo, 0, v240
	s_waitcnt vmcnt(0)
	v_cmp_eq_f64_e64 s5, 0, v[188:189]
	v_cmp_eq_f64_e64 s6, 0, v[190:191]
	scratch_load_b128 v[188:191], off, off offset:600 ; 16-byte Folded Reload
	s_and_b32 s5, s5, s6
	s_delay_alu instid0(SALU_CYCLE_1) | instskip(NEXT) | instid1(SALU_CYCLE_1)
	s_and_b32 s0, s5, vcc_lo
	v_cndmask_b32_e64 v240, v240, 16, s0
	s_delay_alu instid0(VALU_DEP_1)
	v_cmp_eq_u32_e64 s1, 0, v240
	s_waitcnt vmcnt(0)
	v_cmp_eq_f64_e64 s7, 0, v[188:189]
	v_cmp_eq_f64_e64 s8, 0, v[190:191]
	scratch_load_b128 v[188:191], off, off offset:616 ; 16-byte Folded Reload
	s_and_b32 s5, s7, s8
	s_delay_alu instid0(SALU_CYCLE_1) | instskip(NEXT) | instid1(SALU_CYCLE_1)
	s_and_b32 s1, s5, s1
	v_cndmask_b32_e64 v242, v240, 17, s1
	v_lshlrev_b64 v[240:241], 2, v[249:250]
	s_waitcnt lgkmcnt(0)
	s_delay_alu instid0(VALU_DEP_1) | instskip(NEXT) | instid1(VALU_DEP_1)
	v_add_co_u32 v240, s6, s14, v240
	v_add_co_ci_u32_e64 v241, s6, s15, v241, s6
	s_waitcnt vmcnt(0)
	v_cmp_eq_f64_e64 s10, 0, v[188:189]
	v_cmp_eq_f64_e64 s2, 0, v[190:191]
	scratch_load_b128 v[188:191], off, off offset:632 ; 16-byte Folded Reload
	s_and_b32 s7, s10, s2
	v_cmp_eq_u32_e64 s2, 0, v242
	s_delay_alu instid0(VALU_DEP_1) | instskip(NEXT) | instid1(SALU_CYCLE_1)
	s_and_b32 s2, s7, s2
	v_cndmask_b32_e64 v243, v242, 18, s2
	global_load_b32 v242, v[240:241], off
	v_cmp_eq_u32_e64 s7, 0, v243
	s_waitcnt vmcnt(1)
	v_cmp_eq_f64_e64 s3, 0, v[188:189]
	v_cmp_eq_f64_e64 s4, 0, v[190:191]
	scratch_load_b128 v[188:191], off, off offset:648 ; 16-byte Folded Reload
	s_and_b32 s3, s3, s4
	s_delay_alu instid0(SALU_CYCLE_1) | instskip(NEXT) | instid1(SALU_CYCLE_1)
	s_and_b32 s3, s3, s7
	v_cndmask_b32_e64 v243, v243, 19, s3
	s_delay_alu instid0(VALU_DEP_1)
	v_cmp_eq_u32_e64 s7, 0, v243
	s_waitcnt vmcnt(0)
	v_cmp_eq_f64_e32 vcc_lo, 0, v[188:189]
	v_cmp_eq_f64_e64 s0, 0, v[190:191]
	scratch_load_b128 v[188:191], off, off offset:664 ; 16-byte Folded Reload
	s_and_b32 s0, vcc_lo, s0
	s_delay_alu instid0(SALU_CYCLE_1) | instskip(NEXT) | instid1(SALU_CYCLE_1)
	s_and_b32 s0, s0, s7
	v_cndmask_b32_e64 v243, v243, 20, s0
	s_delay_alu instid0(VALU_DEP_1)
	v_cmp_eq_u32_e64 s7, 0, v243
	s_waitcnt vmcnt(0)
	v_cmp_eq_f64_e64 s1, 0, v[188:189]
	v_cmp_eq_f64_e64 s5, 0, v[190:191]
	scratch_load_b128 v[188:191], off, off offset:680 ; 16-byte Folded Reload
	s_and_b32 s1, s1, s5
	s_delay_alu instid0(SALU_CYCLE_1) | instskip(NEXT) | instid1(SALU_CYCLE_1)
	s_and_b32 s1, s1, s7
	v_cndmask_b32_e64 v243, v243, 21, s1
	s_delay_alu instid0(VALU_DEP_1)
	v_cmp_eq_u32_e64 s7, 0, v243
	s_waitcnt vmcnt(0)
	v_cmp_eq_f64_e64 s2, 0, v[188:189]
	v_cmp_eq_f64_e64 s6, 0, v[190:191]
	scratch_load_b128 v[188:191], off, off offset:696 ; 16-byte Folded Reload
	s_and_b32 s2, s2, s6
	;; [unrolled: 10-line block ×3, first 2 shown]
	s_delay_alu instid0(SALU_CYCLE_1) | instskip(NEXT) | instid1(SALU_CYCLE_1)
	s_and_b32 s3, s3, s7
	v_cndmask_b32_e64 v243, v243, 23, s3
	s_delay_alu instid0(VALU_DEP_1)
	v_cmp_eq_u32_e64 s7, 0, v243
	s_waitcnt vmcnt(0)
	v_cmp_eq_f64_e32 vcc_lo, 0, v[188:189]
	v_cmp_eq_f64_e64 s0, 0, v[190:191]
	scratch_load_b128 v[188:191], off, off offset:728 ; 16-byte Folded Reload
	s_and_b32 s0, vcc_lo, s0
	s_delay_alu instid0(SALU_CYCLE_1) | instskip(NEXT) | instid1(SALU_CYCLE_1)
	s_and_b32 s0, s0, s7
	v_cndmask_b32_e64 v243, v243, 24, s0
	s_delay_alu instid0(VALU_DEP_1)
	v_cmp_eq_u32_e32 vcc_lo, 0, v243
	s_waitcnt vmcnt(0)
	v_cmp_eq_f64_e64 s1, 0, v[188:189]
	v_cmp_eq_f64_e64 s5, 0, v[190:191]
	scratch_load_b128 v[188:191], off, off offset:744 ; 16-byte Folded Reload
	s_and_b32 s0, s1, s5
	s_delay_alu instid0(SALU_CYCLE_1) | instskip(NEXT) | instid1(SALU_CYCLE_1)
	s_and_b32 s0, s0, vcc_lo
	v_cndmask_b32_e64 v243, v243, 25, s0
	s_delay_alu instid0(VALU_DEP_1)
	v_cmp_eq_u32_e32 vcc_lo, 0, v243
	s_waitcnt vmcnt(0)
	v_cmp_eq_f64_e64 s2, 0, v[188:189]
	v_cmp_eq_f64_e64 s6, 0, v[190:191]
	scratch_load_b128 v[188:191], off, off offset:760 ; 16-byte Folded Reload
	s_and_b32 s0, s2, s6
	s_delay_alu instid0(SALU_CYCLE_1) | instskip(NEXT) | instid1(SALU_CYCLE_1)
	s_and_b32 s0, s0, vcc_lo
	v_cndmask_b32_e64 v243, v243, 26, s0
	s_delay_alu instid0(VALU_DEP_1)
	v_cmp_eq_u32_e64 s1, 0, v243
	s_waitcnt vmcnt(0)
	v_cmp_eq_f64_e64 s3, 0, v[188:189]
	v_cmp_eq_f64_e64 s4, 0, v[190:191]
	scratch_load_b128 v[188:191], off, off offset:776 ; 16-byte Folded Reload
	s_and_b32 s2, s3, s4
	s_delay_alu instid0(SALU_CYCLE_1) | instskip(NEXT) | instid1(SALU_CYCLE_1)
	s_and_b32 s1, s2, s1
	v_cndmask_b32_e64 v243, v243, 27, s1
	s_delay_alu instid0(VALU_DEP_1)
	v_cmp_eq_u32_e64 s3, 0, v243
	s_waitcnt vmcnt(0)
	v_cmp_eq_f64_e64 s7, 0, v[188:189]
	v_cmp_eq_f64_e64 s8, 0, v[190:191]
	scratch_load_b128 v[188:191], off, off offset:792 ; 16-byte Folded Reload
	s_and_b32 s4, s7, s8
	s_delay_alu instid0(SALU_CYCLE_1) | instskip(NEXT) | instid1(SALU_CYCLE_1)
	s_and_b32 s3, s4, s3
	;; [unrolled: 10-line block ×3, first 2 shown]
	v_cndmask_b32_e64 v243, v243, 29, s5
	s_delay_alu instid0(VALU_DEP_1)
	v_cmp_eq_u32_e64 s7, 0, v243
	s_waitcnt vmcnt(0)
	v_cmp_eq_f64_e32 vcc_lo, 0, v[188:189]
	v_cmp_eq_f64_e64 s0, 0, v[190:191]
	scratch_load_b128 v[188:191], off, off offset:824 ; 16-byte Folded Reload
	s_and_b32 s0, vcc_lo, s0
	s_delay_alu instid0(SALU_CYCLE_1) | instskip(NEXT) | instid1(SALU_CYCLE_1)
	s_and_b32 s0, s0, s7
	v_cndmask_b32_e64 v243, v243, 30, s0
	s_delay_alu instid0(VALU_DEP_1)
	v_cmp_eq_u32_e64 s7, 0, v243
	s_waitcnt vmcnt(0)
	v_cmp_eq_f64_e64 s1, 0, v[188:189]
	v_cmp_eq_f64_e64 s2, 0, v[190:191]
	scratch_load_b128 v[188:191], off, off offset:840 ; 16-byte Folded Reload
	s_and_b32 s1, s1, s2
	s_delay_alu instid0(SALU_CYCLE_1) | instskip(NEXT) | instid1(SALU_CYCLE_1)
	s_and_b32 s1, s1, s7
	v_cndmask_b32_e64 v243, v243, 31, s1
	s_delay_alu instid0(VALU_DEP_1)
	v_cmp_eq_u32_e64 s7, 0, v243
	s_waitcnt vmcnt(0)
	v_cmp_eq_f64_e64 s3, 0, v[188:189]
	v_cmp_eq_f64_e64 s4, 0, v[190:191]
	scratch_load_b128 v[188:191], off, off offset:856 ; 16-byte Folded Reload
	s_and_b32 s3, s3, s4
	v_cmp_eq_f64_e64 s4, 0, v[194:195]
	s_and_b32 s3, s3, s7
	s_waitcnt vmcnt(0)
	v_cmp_eq_f64_e64 s5, 0, v[188:189]
	v_cmp_eq_f64_e64 s6, 0, v[190:191]
	scratch_load_b128 v[188:191], off, off offset:872 ; 16-byte Folded Reload
	s_and_b32 s5, s5, s6
	v_cmp_eq_f64_e64 s6, 0, v[198:199]
	s_waitcnt vmcnt(0)
	v_cmp_eq_f64_e32 vcc_lo, 0, v[188:189]
	v_cmp_eq_f64_e64 s0, 0, v[190:191]
	scratch_load_b128 v[188:191], off, off offset:888 ; 16-byte Folded Reload
	s_and_b32 s0, vcc_lo, s0
	v_cmp_eq_f64_e32 vcc_lo, 0, v[200:201]
	s_waitcnt vmcnt(0)
	v_cmp_eq_f64_e64 s1, 0, v[188:189]
	v_cmp_eq_f64_e64 s2, 0, v[190:191]
	v_cndmask_b32_e64 v188, v243, 32, s3
	v_cmp_eq_f64_e64 s3, 0, v[192:193]
	s_delay_alu instid0(VALU_DEP_2) | instskip(NEXT) | instid1(VALU_DEP_1)
	v_cmp_eq_u32_e64 s7, 0, v188
	s_and_b32 s5, s5, s7
	s_delay_alu instid0(SALU_CYCLE_1) | instskip(SKIP_1) | instid1(VALU_DEP_2)
	v_cndmask_b32_e64 v188, v188, 33, s5
	v_cmp_eq_f64_e64 s5, 0, v[196:197]
	v_cmp_eq_u32_e64 s7, 0, v188
	s_delay_alu instid0(VALU_DEP_1) | instskip(NEXT) | instid1(SALU_CYCLE_1)
	s_and_b32 s0, s0, s7
	v_cndmask_b32_e64 v188, v188, 34, s0
	v_cmp_eq_f64_e64 s0, 0, v[202:203]
	s_delay_alu instid0(VALU_DEP_2) | instskip(SKIP_2) | instid1(VALU_DEP_2)
	v_cmp_eq_u32_e64 s7, 0, v188
	s_and_b32 s1, s1, s2
	v_cmp_eq_f64_e64 s2, 0, v[206:207]
	s_and_b32 s1, s1, s7
	s_and_b32 s3, s3, s4
	v_cndmask_b32_e64 v188, v188, 35, s1
	v_cmp_eq_f64_e64 s1, 0, v[204:205]
	v_cmp_eq_f64_e64 s4, 0, v[210:211]
	s_delay_alu instid0(VALU_DEP_3) | instskip(NEXT) | instid1(VALU_DEP_1)
	v_cmp_eq_u32_e64 s7, 0, v188
	s_and_b32 s3, s3, s7
	s_and_b32 s5, s5, s6
	v_cndmask_b32_e64 v188, v188, 36, s3
	v_cmp_eq_f64_e64 s3, 0, v[208:209]
	v_cmp_eq_f64_e64 s6, 0, v[214:215]
	s_delay_alu instid0(VALU_DEP_3) | instskip(NEXT) | instid1(VALU_DEP_1)
	v_cmp_eq_u32_e64 s7, 0, v188
	s_and_b32 s5, s5, s7
	s_and_b32 s0, vcc_lo, s0
	v_cndmask_b32_e64 v188, v188, 37, s5
	v_cmp_eq_f64_e64 s5, 0, v[212:213]
	v_cmp_eq_f64_e32 vcc_lo, 0, v[216:217]
	s_delay_alu instid0(VALU_DEP_3) | instskip(NEXT) | instid1(VALU_DEP_1)
	v_cmp_eq_u32_e64 s7, 0, v188
	s_and_b32 s0, s0, s7
	s_delay_alu instid0(SALU_CYCLE_1) | instskip(SKIP_3) | instid1(VALU_DEP_3)
	v_cndmask_b32_e64 v188, v188, 38, s0
	v_cmp_eq_f64_e64 s0, 0, v[218:219]
	s_and_b32 s1, s1, s2
	v_cmp_eq_f64_e64 s2, 0, v[222:223]
	v_cmp_eq_u32_e64 s7, 0, v188
	s_delay_alu instid0(VALU_DEP_1) | instskip(NEXT) | instid1(SALU_CYCLE_1)
	s_and_b32 s1, s1, s7
	v_cndmask_b32_e64 v188, v188, 39, s1
	v_cmp_eq_f64_e64 s1, 0, v[220:221]
	s_and_b32 s3, s3, s4
	v_cmp_eq_f64_e64 s4, 0, v[226:227]
	s_delay_alu instid0(VALU_DEP_3) | instskip(NEXT) | instid1(VALU_DEP_1)
	v_cmp_eq_u32_e64 s7, 0, v188
	s_and_b32 s3, s3, s7
	s_delay_alu instid0(SALU_CYCLE_1) | instskip(SKIP_3) | instid1(VALU_DEP_3)
	v_cndmask_b32_e64 v188, v188, 40, s3
	v_cmp_eq_f64_e64 s3, 0, v[224:225]
	s_and_b32 s5, s5, s6
	v_cmp_eq_f64_e64 s6, 0, v[230:231]
	v_cmp_eq_u32_e64 s7, 0, v188
	s_delay_alu instid0(VALU_DEP_1) | instskip(NEXT) | instid1(SALU_CYCLE_1)
	s_and_b32 s5, s5, s7
	v_cndmask_b32_e64 v188, v188, 41, s5
	v_cmp_eq_f64_e64 s5, 0, v[228:229]
	s_and_b32 s0, vcc_lo, s0
	v_cmp_eq_f64_e32 vcc_lo, 0, v[232:233]
	s_delay_alu instid0(VALU_DEP_3) | instskip(NEXT) | instid1(VALU_DEP_1)
	v_cmp_eq_u32_e64 s7, 0, v188
	s_and_b32 s0, s0, s7
	s_delay_alu instid0(SALU_CYCLE_1) | instskip(SKIP_3) | instid1(VALU_DEP_3)
	v_cndmask_b32_e64 v188, v188, 42, s0
	v_cmp_eq_f64_e64 s0, 0, v[234:235]
	s_and_b32 s1, s1, s2
	v_cmp_eq_f64_e64 s2, 0, v[238:239]
	v_cmp_eq_u32_e64 s7, 0, v188
	s_delay_alu instid0(VALU_DEP_1) | instskip(NEXT) | instid1(SALU_CYCLE_1)
	s_and_b32 s1, s1, s7
	v_cndmask_b32_e64 v188, v188, 43, s1
	v_cmp_eq_f64_e64 s1, 0, v[236:237]
	s_and_b32 s3, s3, s4
	s_delay_alu instid0(VALU_DEP_2) | instskip(NEXT) | instid1(VALU_DEP_1)
	v_cmp_eq_u32_e64 s7, 0, v188
	s_and_b32 s3, s3, s7
	s_delay_alu instid0(SALU_CYCLE_1) | instskip(SKIP_1) | instid1(VALU_DEP_1)
	v_cndmask_b32_e64 v188, v188, 44, s3
	s_and_b32 s4, s5, s6
	v_cmp_eq_u32_e64 s3, 0, v188
	s_delay_alu instid0(VALU_DEP_1) | instskip(NEXT) | instid1(SALU_CYCLE_1)
	s_and_b32 s3, s4, s3
	v_cndmask_b32_e64 v188, v188, 45, s3
	s_and_b32 s0, vcc_lo, s0
	s_delay_alu instid0(VALU_DEP_1) | instskip(NEXT) | instid1(VALU_DEP_1)
	v_cmp_eq_u32_e64 s3, 0, v188
	s_and_b32 s0, s0, s3
	s_delay_alu instid0(SALU_CYCLE_1) | instskip(SKIP_1) | instid1(VALU_DEP_1)
	v_cndmask_b32_e64 v188, v188, 46, s0
	s_and_b32 s0, s1, s2
	v_cmp_eq_u32_e32 vcc_lo, 0, v188
	s_and_b32 s0, s0, vcc_lo
	v_cmp_eq_u32_e32 vcc_lo, 0, v242
	v_cndmask_b32_e64 v188, v188, 47, s0
	s_delay_alu instid0(VALU_DEP_1) | instskip(NEXT) | instid1(VALU_DEP_1)
	v_cmp_ne_u32_e64 s0, 0, v188
	s_and_b32 s0, vcc_lo, s0
	s_delay_alu instid0(SALU_CYCLE_1)
	s_and_b32 exec_lo, exec_lo, s0
	s_cbranch_execz .LBB93_427
; %bb.426:
	v_add_nc_u32_e32 v188, s11, v188
	global_store_b32 v[240:241], v188, off
.LBB93_427:
	s_or_b32 exec_lo, exec_lo, s12
	scratch_load_b64 v[188:189], off, off offset:336 ; 8-byte Folded Reload
	s_waitcnt vmcnt(0)
	global_store_b128 v[188:189], v[184:187], off
	scratch_load_b64 v[184:185], off, off offset:328 ; 8-byte Folded Reload
	s_waitcnt vmcnt(0)
	global_store_b128 v[184:185], v[180:183], off
	;; [unrolled: 3-line block ×38, first 2 shown]
	scratch_load_b64 v[36:37], off, off     ; 8-byte Folded Reload
	s_waitcnt vmcnt(0)
	s_clause 0x4
	global_store_b128 v[36:37], v[32:35], off
	global_store_b128 v[245:246], v[28:31], off
	;; [unrolled: 1-line block ×5, first 2 shown]
	scratch_load_b64 v[16:17], off, off offset:72 ; 8-byte Folded Reload
	s_waitcnt vmcnt(0)
	global_store_b128 v[16:17], v[12:15], off
	scratch_load_b64 v[12:13], off, off offset:104 ; 8-byte Folded Reload
	s_waitcnt vmcnt(0)
	global_store_b128 v[12:13], v[8:11], off
	;; [unrolled: 3-line block ×4, first 2 shown]
.LBB93_428:
	s_nop 0
	s_sendmsg sendmsg(MSG_DEALLOC_VGPRS)
	s_endpgm
	.section	.rodata,"a",@progbits
	.p2align	6, 0x0
	.amdhsa_kernel _ZN9rocsolver6v33100L23getf2_npvt_small_kernelILi47E19rocblas_complex_numIdEiiPKPS3_EEvT1_T3_lS7_lPT2_S7_S7_
		.amdhsa_group_segment_fixed_size 0
		.amdhsa_private_segment_fixed_size 908
		.amdhsa_kernarg_size 312
		.amdhsa_user_sgpr_count 14
		.amdhsa_user_sgpr_dispatch_ptr 0
		.amdhsa_user_sgpr_queue_ptr 0
		.amdhsa_user_sgpr_kernarg_segment_ptr 1
		.amdhsa_user_sgpr_dispatch_id 0
		.amdhsa_user_sgpr_private_segment_size 0
		.amdhsa_wavefront_size32 1
		.amdhsa_uses_dynamic_stack 0
		.amdhsa_enable_private_segment 1
		.amdhsa_system_sgpr_workgroup_id_x 1
		.amdhsa_system_sgpr_workgroup_id_y 1
		.amdhsa_system_sgpr_workgroup_id_z 0
		.amdhsa_system_sgpr_workgroup_info 0
		.amdhsa_system_vgpr_workitem_id 1
		.amdhsa_next_free_vgpr 256
		.amdhsa_next_free_sgpr 16
		.amdhsa_reserve_vcc 1
		.amdhsa_float_round_mode_32 0
		.amdhsa_float_round_mode_16_64 0
		.amdhsa_float_denorm_mode_32 3
		.amdhsa_float_denorm_mode_16_64 3
		.amdhsa_dx10_clamp 1
		.amdhsa_ieee_mode 1
		.amdhsa_fp16_overflow 0
		.amdhsa_workgroup_processor_mode 1
		.amdhsa_memory_ordered 1
		.amdhsa_forward_progress 0
		.amdhsa_shared_vgpr_count 0
		.amdhsa_exception_fp_ieee_invalid_op 0
		.amdhsa_exception_fp_denorm_src 0
		.amdhsa_exception_fp_ieee_div_zero 0
		.amdhsa_exception_fp_ieee_overflow 0
		.amdhsa_exception_fp_ieee_underflow 0
		.amdhsa_exception_fp_ieee_inexact 0
		.amdhsa_exception_int_div_zero 0
	.end_amdhsa_kernel
	.section	.text._ZN9rocsolver6v33100L23getf2_npvt_small_kernelILi47E19rocblas_complex_numIdEiiPKPS3_EEvT1_T3_lS7_lPT2_S7_S7_,"axG",@progbits,_ZN9rocsolver6v33100L23getf2_npvt_small_kernelILi47E19rocblas_complex_numIdEiiPKPS3_EEvT1_T3_lS7_lPT2_S7_S7_,comdat
.Lfunc_end93:
	.size	_ZN9rocsolver6v33100L23getf2_npvt_small_kernelILi47E19rocblas_complex_numIdEiiPKPS3_EEvT1_T3_lS7_lPT2_S7_S7_, .Lfunc_end93-_ZN9rocsolver6v33100L23getf2_npvt_small_kernelILi47E19rocblas_complex_numIdEiiPKPS3_EEvT1_T3_lS7_lPT2_S7_S7_
                                        ; -- End function
	.section	.AMDGPU.csdata,"",@progbits
; Kernel info:
; codeLenInByte = 123128
; NumSgprs: 18
; NumVgprs: 256
; ScratchSize: 908
; MemoryBound: 1
; FloatMode: 240
; IeeeMode: 1
; LDSByteSize: 0 bytes/workgroup (compile time only)
; SGPRBlocks: 2
; VGPRBlocks: 31
; NumSGPRsForWavesPerEU: 18
; NumVGPRsForWavesPerEU: 256
; Occupancy: 5
; WaveLimiterHint : 1
; COMPUTE_PGM_RSRC2:SCRATCH_EN: 1
; COMPUTE_PGM_RSRC2:USER_SGPR: 14
; COMPUTE_PGM_RSRC2:TRAP_HANDLER: 0
; COMPUTE_PGM_RSRC2:TGID_X_EN: 1
; COMPUTE_PGM_RSRC2:TGID_Y_EN: 1
; COMPUTE_PGM_RSRC2:TGID_Z_EN: 0
; COMPUTE_PGM_RSRC2:TIDIG_COMP_CNT: 1
	.section	.text._ZN9rocsolver6v33100L18getf2_small_kernelILi48E19rocblas_complex_numIdEiiPKPS3_EEvT1_T3_lS7_lPS7_llPT2_S7_S7_S9_l,"axG",@progbits,_ZN9rocsolver6v33100L18getf2_small_kernelILi48E19rocblas_complex_numIdEiiPKPS3_EEvT1_T3_lS7_lPS7_llPT2_S7_S7_S9_l,comdat
	.globl	_ZN9rocsolver6v33100L18getf2_small_kernelILi48E19rocblas_complex_numIdEiiPKPS3_EEvT1_T3_lS7_lPS7_llPT2_S7_S7_S9_l ; -- Begin function _ZN9rocsolver6v33100L18getf2_small_kernelILi48E19rocblas_complex_numIdEiiPKPS3_EEvT1_T3_lS7_lPS7_llPT2_S7_S7_S9_l
	.p2align	8
	.type	_ZN9rocsolver6v33100L18getf2_small_kernelILi48E19rocblas_complex_numIdEiiPKPS3_EEvT1_T3_lS7_lPS7_llPT2_S7_S7_S9_l,@function
_ZN9rocsolver6v33100L18getf2_small_kernelILi48E19rocblas_complex_numIdEiiPKPS3_EEvT1_T3_lS7_lPS7_llPT2_S7_S7_S9_l: ; @_ZN9rocsolver6v33100L18getf2_small_kernelILi48E19rocblas_complex_numIdEiiPKPS3_EEvT1_T3_lS7_lPS7_llPT2_S7_S7_S9_l
; %bb.0:
	s_clause 0x1
	s_load_b32 s2, s[0:1], 0x6c
	s_load_b64 s[12:13], s[0:1], 0x48
	v_bfe_u32 v192, v0, 10, 10
	s_waitcnt lgkmcnt(0)
	s_lshr_b32 s2, s2, 16
	s_delay_alu instid0(VALU_DEP_1) | instid1(SALU_CYCLE_1)
	v_mad_u64_u32 v[196:197], null, s15, s2, v[192:193]
	s_mov_b32 s2, exec_lo
	s_delay_alu instid0(VALU_DEP_1)
	v_cmpx_gt_i32_e64 s12, v196
	s_cbranch_execnz .LBB94_1
; %bb.1012:
	s_getpc_b64 s[16:17]
.Lpost_getpc3:
	s_add_u32 s16, s16, (.LBB94_1011-.Lpost_getpc3)&4294967295
	s_addc_u32 s17, s17, (.LBB94_1011-.Lpost_getpc3)>>32
	s_setpc_b64 s[16:17]
.LBB94_1:
	s_clause 0x1
	s_load_b128 s[4:7], s[0:1], 0x8
	s_load_b128 s[8:11], s[0:1], 0x50
	v_ashrrev_i32_e32 v197, 31, v196
	v_mov_b32_e32 v198, 0
	v_mov_b32_e32 v199, 0
	s_delay_alu instid0(VALU_DEP_3) | instskip(SKIP_1) | instid1(VALU_DEP_1)
	v_lshlrev_b64 v[1:2], 3, v[196:197]
	s_waitcnt lgkmcnt(0)
	v_add_co_u32 v1, vcc_lo, s4, v1
	s_delay_alu instid0(VALU_DEP_2)
	v_add_co_ci_u32_e32 v2, vcc_lo, s5, v2, vcc_lo
	s_cmp_eq_u64 s[8:9], 0
	s_cselect_b32 s4, -1, 0
	global_load_b64 v[1:2], v[1:2], off
	s_and_b32 vcc_lo, exec_lo, s4
	s_cbranch_vccnz .LBB94_3
; %bb.2:
	v_mul_lo_u32 v5, v197, s10
	v_mul_lo_u32 v6, v196, s11
	v_mad_u64_u32 v[3:4], null, v196, s10, 0
	s_delay_alu instid0(VALU_DEP_1) | instskip(NEXT) | instid1(VALU_DEP_1)
	v_add3_u32 v4, v4, v6, v5
	v_lshlrev_b64 v[3:4], 2, v[3:4]
	s_delay_alu instid0(VALU_DEP_1) | instskip(NEXT) | instid1(VALU_DEP_2)
	v_add_co_u32 v198, vcc_lo, s8, v3
	v_add_co_ci_u32_e32 v199, vcc_lo, s9, v4, vcc_lo
.LBB94_3:
	s_clause 0x1
	s_load_b32 s8, s[0:1], 0x18
	s_load_b32 s5, s[0:1], 0x0
	v_and_b32_e32 v206, 0x3ff, v0
	s_lshl_b64 s[2:3], s[6:7], 4
	s_waitcnt vmcnt(0)
	v_add_co_u32 v203, vcc_lo, v1, s2
	v_add_co_ci_u32_e32 v204, vcc_lo, s3, v2, vcc_lo
	v_lshlrev_b32_e32 v195, 4, v206
	s_waitcnt lgkmcnt(0)
	v_add3_u32 v3, s8, s8, v206
	s_ashr_i32 s9, s8, 31
	s_max_i32 s2, s5, 48
	s_lshl_b64 s[10:11], s[8:9], 4
	s_cmp_lt_i32 s5, 2
	v_add_nc_u32_e32 v5, s8, v3
	v_ashrrev_i32_e32 v4, 31, v3
	s_delay_alu instid0(VALU_DEP_2) | instskip(NEXT) | instid1(VALU_DEP_2)
	v_add_nc_u32_e32 v0, s8, v5
	v_lshlrev_b64 v[3:4], 4, v[3:4]
	v_ashrrev_i32_e32 v6, 31, v5
	s_delay_alu instid0(VALU_DEP_3) | instskip(SKIP_1) | instid1(VALU_DEP_4)
	v_add_nc_u32_e32 v2, s8, v0
	v_ashrrev_i32_e32 v1, 31, v0
	v_add_co_u32 v7, vcc_lo, v203, v3
	v_add_co_ci_u32_e32 v8, vcc_lo, v204, v4, vcc_lo
	s_delay_alu instid0(VALU_DEP_4) | instskip(SKIP_3) | instid1(VALU_DEP_4)
	v_add_nc_u32_e32 v4, s8, v2
	v_lshlrev_b64 v[5:6], 4, v[5:6]
	v_ashrrev_i32_e32 v3, 31, v2
	v_lshlrev_b64 v[0:1], 4, v[0:1]
	v_add_nc_u32_e32 v11, s8, v4
	s_delay_alu instid0(VALU_DEP_4) | instskip(SKIP_1) | instid1(VALU_DEP_3)
	v_add_co_u32 v9, vcc_lo, v203, v5
	v_ashrrev_i32_e32 v5, 31, v4
	v_add_nc_u32_e32 v13, s8, v11
	v_lshlrev_b64 v[2:3], 4, v[2:3]
	v_ashrrev_i32_e32 v12, 31, v11
	v_add_co_ci_u32_e32 v10, vcc_lo, v204, v6, vcc_lo
	s_delay_alu instid0(VALU_DEP_4) | instskip(SKIP_3) | instid1(VALU_DEP_4)
	v_add_nc_u32_e32 v15, s8, v13
	v_add_co_u32 v0, vcc_lo, v203, v0
	v_lshlrev_b64 v[4:5], 4, v[4:5]
	v_ashrrev_i32_e32 v14, 31, v13
	v_add_nc_u32_e32 v17, s8, v15
	v_add_co_ci_u32_e32 v1, vcc_lo, v204, v1, vcc_lo
	v_add_co_u32 v2, vcc_lo, v203, v2
	s_delay_alu instid0(VALU_DEP_3) | instskip(SKIP_3) | instid1(VALU_DEP_4)
	v_add_nc_u32_e32 v19, s8, v17
	v_lshlrev_b64 v[11:12], 4, v[11:12]
	v_ashrrev_i32_e32 v16, 31, v15
	v_add_co_ci_u32_e32 v3, vcc_lo, v204, v3, vcc_lo
	v_add_nc_u32_e32 v21, s8, v19
	v_add_co_u32 v4, vcc_lo, v203, v4
	v_lshlrev_b64 v[13:14], 4, v[13:14]
	v_ashrrev_i32_e32 v18, 31, v17
	s_delay_alu instid0(VALU_DEP_4) | instskip(SKIP_2) | instid1(VALU_DEP_3)
	v_add_nc_u32_e32 v23, s8, v21
	v_add_co_ci_u32_e32 v5, vcc_lo, v204, v5, vcc_lo
	v_add_co_u32 v11, vcc_lo, v203, v11
	v_add_nc_u32_e32 v25, s8, v23
	v_lshlrev_b64 v[15:16], 4, v[15:16]
	v_ashrrev_i32_e32 v20, 31, v19
	v_add_co_ci_u32_e32 v12, vcc_lo, v204, v12, vcc_lo
	s_delay_alu instid0(VALU_DEP_4) | instskip(SKIP_3) | instid1(VALU_DEP_4)
	v_add_nc_u32_e32 v27, s8, v25
	v_add_co_u32 v13, vcc_lo, v203, v13
	v_lshlrev_b64 v[17:18], 4, v[17:18]
	v_ashrrev_i32_e32 v22, 31, v21
	v_add_nc_u32_e32 v29, s8, v27
	v_add_co_ci_u32_e32 v14, vcc_lo, v204, v14, vcc_lo
	v_add_co_u32 v15, vcc_lo, v203, v15
	s_delay_alu instid0(VALU_DEP_3) | instskip(SKIP_3) | instid1(VALU_DEP_4)
	v_add_nc_u32_e32 v31, s8, v29
	v_lshlrev_b64 v[19:20], 4, v[19:20]
	v_ashrrev_i32_e32 v24, 31, v23
	v_add_co_ci_u32_e32 v16, vcc_lo, v204, v16, vcc_lo
	v_add_nc_u32_e32 v33, s8, v31
	v_add_co_u32 v17, vcc_lo, v203, v17
	v_lshlrev_b64 v[21:22], 4, v[21:22]
	v_ashrrev_i32_e32 v26, 31, v25
	s_delay_alu instid0(VALU_DEP_4) | instskip(SKIP_2) | instid1(VALU_DEP_3)
	v_add_nc_u32_e32 v35, s8, v33
	v_add_co_ci_u32_e32 v18, vcc_lo, v204, v18, vcc_lo
	v_add_co_u32 v19, vcc_lo, v203, v19
	v_add_nc_u32_e32 v37, s8, v35
	v_lshlrev_b64 v[23:24], 4, v[23:24]
	v_ashrrev_i32_e32 v28, 31, v27
	v_add_co_ci_u32_e32 v20, vcc_lo, v204, v20, vcc_lo
	s_delay_alu instid0(VALU_DEP_4) | instskip(SKIP_3) | instid1(VALU_DEP_4)
	v_add_nc_u32_e32 v39, s8, v37
	v_add_co_u32 v21, vcc_lo, v203, v21
	v_lshlrev_b64 v[25:26], 4, v[25:26]
	v_ashrrev_i32_e32 v30, 31, v29
	v_add_nc_u32_e32 v41, s8, v39
	v_add_co_ci_u32_e32 v22, vcc_lo, v204, v22, vcc_lo
	v_add_co_u32 v23, vcc_lo, v203, v23
	s_delay_alu instid0(VALU_DEP_3) | instskip(SKIP_3) | instid1(VALU_DEP_4)
	v_add_nc_u32_e32 v43, s8, v41
	v_lshlrev_b64 v[27:28], 4, v[27:28]
	v_ashrrev_i32_e32 v32, 31, v31
	v_add_co_ci_u32_e32 v24, vcc_lo, v204, v24, vcc_lo
	v_add_nc_u32_e32 v45, s8, v43
	v_add_co_u32 v25, vcc_lo, v203, v25
	v_lshlrev_b64 v[29:30], 4, v[29:30]
	v_ashrrev_i32_e32 v34, 31, v33
	s_delay_alu instid0(VALU_DEP_4)
	v_add_nc_u32_e32 v47, s8, v45
	v_add_co_ci_u32_e32 v26, vcc_lo, v204, v26, vcc_lo
	v_add_co_u32 v27, vcc_lo, v203, v27
	v_lshlrev_b64 v[31:32], 4, v[31:32]
	v_ashrrev_i32_e32 v36, 31, v35
	v_add_nc_u32_e32 v49, s8, v47
	v_add_co_ci_u32_e32 v28, vcc_lo, v204, v28, vcc_lo
	v_add_co_u32 v29, vcc_lo, v203, v29
	v_lshlrev_b64 v[33:34], 4, v[33:34]
	v_ashrrev_i32_e32 v38, 31, v37
	v_add_co_ci_u32_e32 v30, vcc_lo, v204, v30, vcc_lo
	v_add_co_u32 v31, vcc_lo, v203, v31
	v_lshlrev_b64 v[35:36], 4, v[35:36]
	v_add_nc_u32_e32 v51, s8, v49
	v_ashrrev_i32_e32 v40, 31, v39
	v_add_co_ci_u32_e32 v32, vcc_lo, v204, v32, vcc_lo
	v_add_co_u32 v33, vcc_lo, v203, v33
	v_lshlrev_b64 v[37:38], 4, v[37:38]
	v_ashrrev_i32_e32 v42, 31, v41
	v_add_co_ci_u32_e32 v34, vcc_lo, v204, v34, vcc_lo
	v_add_nc_u32_e32 v53, s8, v51
	v_add_co_u32 v35, vcc_lo, v203, v35
	v_lshlrev_b64 v[39:40], 4, v[39:40]
	v_ashrrev_i32_e32 v44, 31, v43
	v_add_co_ci_u32_e32 v36, vcc_lo, v204, v36, vcc_lo
	v_add_co_u32 v37, vcc_lo, v203, v37
	v_lshlrev_b64 v[41:42], 4, v[41:42]
	v_ashrrev_i32_e32 v46, 31, v45
	v_add_nc_u32_e32 v55, s8, v53
	v_add_co_ci_u32_e32 v38, vcc_lo, v204, v38, vcc_lo
	v_add_co_u32 v39, vcc_lo, v203, v39
	v_lshlrev_b64 v[43:44], 4, v[43:44]
	v_ashrrev_i32_e32 v48, 31, v47
	v_add_co_ci_u32_e32 v40, vcc_lo, v204, v40, vcc_lo
	v_add_co_u32 v41, vcc_lo, v203, v41
	v_lshlrev_b64 v[45:46], 4, v[45:46]
	v_add_nc_u32_e32 v57, s8, v55
	v_ashrrev_i32_e32 v50, 31, v49
	v_add_co_ci_u32_e32 v42, vcc_lo, v204, v42, vcc_lo
	v_add_co_u32 v43, vcc_lo, v203, v43
	v_lshlrev_b64 v[47:48], 4, v[47:48]
	v_ashrrev_i32_e32 v52, 31, v51
	v_add_co_ci_u32_e32 v44, vcc_lo, v204, v44, vcc_lo
	v_add_nc_u32_e32 v59, s8, v57
	v_add_co_u32 v45, vcc_lo, v203, v45
	v_lshlrev_b64 v[49:50], 4, v[49:50]
	v_ashrrev_i32_e32 v54, 31, v53
	;; [unrolled: 23-line block ×3, first 2 shown]
	v_add_co_ci_u32_e32 v56, vcc_lo, v204, v56, vcc_lo
	v_add_co_u32 v57, vcc_lo, v203, v57
	v_lshlrev_b64 v[61:62], 4, v[61:62]
	v_add_nc_u32_e32 v67, s8, v65
	v_add_co_ci_u32_e32 v58, vcc_lo, v204, v58, vcc_lo
	v_add_co_u32 v59, vcc_lo, v203, v59
	v_lshlrev_b64 v[63:64], 4, v[63:64]
	v_ashrrev_i32_e32 v66, 31, v65
	v_add_co_ci_u32_e32 v60, vcc_lo, v204, v60, vcc_lo
	v_add_co_u32 v61, vcc_lo, v203, v61
	v_ashrrev_i32_e32 v68, 31, v67
	v_add_nc_u32_e32 v69, s8, v67
	v_add_co_ci_u32_e32 v62, vcc_lo, v204, v62, vcc_lo
	v_lshlrev_b64 v[65:66], 4, v[65:66]
	v_add_co_u32 v193, vcc_lo, v203, v63
	v_add_co_ci_u32_e32 v194, vcc_lo, v204, v64, vcc_lo
	v_lshlrev_b64 v[63:64], 4, v[67:68]
	v_ashrrev_i32_e32 v70, 31, v69
	v_add_nc_u32_e32 v67, s8, v69
	v_add_co_u32 v200, vcc_lo, v203, v65
	v_add_co_ci_u32_e32 v201, vcc_lo, v204, v66, vcc_lo
	s_delay_alu instid0(VALU_DEP_4) | instskip(NEXT) | instid1(VALU_DEP_4)
	v_lshlrev_b64 v[65:66], 4, v[69:70]
	v_ashrrev_i32_e32 v68, 31, v67
	v_add_nc_u32_e32 v69, s8, v67
	v_add_co_u32 v207, vcc_lo, v203, v63
	v_add_co_ci_u32_e32 v208, vcc_lo, v204, v64, vcc_lo
	s_delay_alu instid0(VALU_DEP_4) | instskip(NEXT) | instid1(VALU_DEP_4)
	;; [unrolled: 6-line block ×9, first 2 shown]
	v_lshlrev_b64 v[65:66], 4, v[69:70]
	v_add_nc_u32_e32 v69, s8, v67
	v_ashrrev_i32_e32 v68, 31, v67
	v_add_co_u32 v223, vcc_lo, v203, v63
	v_add_co_ci_u32_e32 v224, vcc_lo, v204, v64, vcc_lo
	s_delay_alu instid0(VALU_DEP_4) | instskip(NEXT) | instid1(VALU_DEP_4)
	v_ashrrev_i32_e32 v70, 31, v69
	v_lshlrev_b64 v[63:64], 4, v[67:68]
	v_add_co_u32 v225, vcc_lo, v203, v65
	v_add_co_ci_u32_e32 v226, vcc_lo, v204, v66, vcc_lo
	s_delay_alu instid0(VALU_DEP_4) | instskip(SKIP_3) | instid1(VALU_DEP_4)
	v_lshlrev_b64 v[65:66], 4, v[69:70]
	v_add_nc_u32_e32 v67, s8, v69
	v_add_co_u32 v227, vcc_lo, v203, v63
	v_add_co_ci_u32_e32 v228, vcc_lo, v204, v64, vcc_lo
	v_add_co_u32 v229, vcc_lo, v203, v65
	s_delay_alu instid0(VALU_DEP_4) | instskip(SKIP_3) | instid1(VALU_DEP_4)
	v_ashrrev_i32_e32 v68, 31, v67
	v_add_co_ci_u32_e32 v230, vcc_lo, v204, v66, vcc_lo
	v_add_co_u32 v65, vcc_lo, v203, v195
	v_add_co_ci_u32_e32 v66, vcc_lo, 0, v204, vcc_lo
	v_lshlrev_b64 v[63:64], 4, v[67:68]
	s_delay_alu instid0(VALU_DEP_3) | instskip(NEXT) | instid1(VALU_DEP_3)
	v_add_co_u32 v67, vcc_lo, v65, s10
	v_add_co_ci_u32_e32 v68, vcc_lo, s11, v66, vcc_lo
	s_delay_alu instid0(VALU_DEP_3) | instskip(NEXT) | instid1(VALU_DEP_4)
	v_add_co_u32 v231, vcc_lo, v203, v63
	v_add_co_ci_u32_e32 v232, vcc_lo, v204, v64, vcc_lo
	s_clause 0x1f
	global_load_b128 v[188:191], v[65:66], off
	global_load_b128 v[180:183], v[67:68], off
	;; [unrolled: 1-line block ×32, first 2 shown]
	s_clause 0xf
	global_load_b128 v[60:63], v[61:62], off
	global_load_b128 v[56:59], v[193:194], off
	global_load_b128 v[52:55], v[200:201], off
	global_load_b128 v[48:51], v[207:208], off
	global_load_b128 v[44:47], v[209:210], off
	global_load_b128 v[40:43], v[211:212], off
	global_load_b128 v[36:39], v[213:214], off
	global_load_b128 v[32:35], v[215:216], off
	global_load_b128 v[28:31], v[217:218], off
	global_load_b128 v[24:27], v[219:220], off
	global_load_b128 v[20:23], v[221:222], off
	global_load_b128 v[16:19], v[223:224], off
	global_load_b128 v[12:15], v[225:226], off
	global_load_b128 v[8:11], v[227:228], off
	global_load_b128 v[4:7], v[229:230], off
	global_load_b128 v[0:3], v[231:232], off
	v_mul_lo_u32 v200, s2, v192
	s_delay_alu instid0(VALU_DEP_1) | instskip(SKIP_1) | instid1(VALU_DEP_2)
	v_lshl_add_u32 v202, v200, 4, 0
	v_dual_mov_b32 v200, 0 :: v_dual_lshlrev_b32 v207, 4, v200
	v_add_nc_u32_e32 v192, v202, v195
	s_waitcnt vmcnt(47)
	ds_store_2addr_b64 v192, v[188:189], v[190:191] offset1:1
	s_waitcnt vmcnt(0) lgkmcnt(0)
	s_barrier
	buffer_gl0_inv
	ds_load_2addr_b64 v[192:195], v202 offset1:1
	s_cbranch_scc1 .LBB94_6
; %bb.4:
	v_add3_u32 v201, v207, 0, 16
	v_mov_b32_e32 v200, 0
	s_mov_b32 s6, 1
	s_set_inst_prefetch_distance 0x1
	.p2align	6
.LBB94_5:                               ; =>This Inner Loop Header: Depth=1
	ds_load_2addr_b64 v[208:211], v201 offset1:1
	s_waitcnt lgkmcnt(1)
	v_cmp_gt_f64_e32 vcc_lo, 0, v[192:193]
	v_xor_b32_e32 v205, 0x80000000, v193
	v_cmp_gt_f64_e64 s2, 0, v[194:195]
	v_xor_b32_e32 v212, 0x80000000, v195
	v_add_nc_u32_e32 v201, 16, v201
	s_waitcnt lgkmcnt(0)
	v_cmp_gt_f64_e64 s3, 0, v[208:209]
	v_mov_b32_e32 v216, v208
	v_dual_mov_b32 v218, v210 :: v_dual_cndmask_b32 v213, v193, v205
	v_xor_b32_e32 v205, 0x80000000, v209
	v_cndmask_b32_e64 v215, v195, v212, s2
	v_xor_b32_e32 v212, 0x80000000, v211
	v_cndmask_b32_e64 v214, v194, v194, s2
	s_delay_alu instid0(VALU_DEP_4) | instskip(SKIP_1) | instid1(VALU_DEP_1)
	v_cndmask_b32_e64 v217, v209, v205, s3
	v_cmp_gt_f64_e64 s3, 0, v[210:211]
	v_cndmask_b32_e64 v219, v211, v212, s3
	v_cndmask_b32_e32 v212, v192, v192, vcc_lo
	s_delay_alu instid0(VALU_DEP_2) | instskip(NEXT) | instid1(VALU_DEP_2)
	v_add_f64 v[216:217], v[216:217], v[218:219]
	v_add_f64 v[212:213], v[212:213], v[214:215]
	s_delay_alu instid0(VALU_DEP_1)
	v_cmp_lt_f64_e32 vcc_lo, v[212:213], v[216:217]
	v_cndmask_b32_e32 v195, v195, v211, vcc_lo
	v_dual_cndmask_b32 v193, v193, v209 :: v_dual_cndmask_b32 v192, v192, v208
	v_cndmask_b32_e32 v194, v194, v210, vcc_lo
	v_cndmask_b32_e64 v200, v200, s6, vcc_lo
	s_add_i32 s6, s6, 1
	s_delay_alu instid0(SALU_CYCLE_1)
	s_cmp_eq_u32 s5, s6
	s_cbranch_scc0 .LBB94_5
.LBB94_6:
	s_set_inst_prefetch_distance 0x2
	s_waitcnt lgkmcnt(0)
	v_cmp_neq_f64_e32 vcc_lo, 0, v[192:193]
	v_cmp_neq_f64_e64 s2, 0, v[194:195]
	v_mov_b32_e32 v205, 1
	v_mov_b32_e32 v209, 1
	s_delay_alu instid0(VALU_DEP_3) | instskip(NEXT) | instid1(SALU_CYCLE_1)
	s_or_b32 s2, vcc_lo, s2
	s_and_saveexec_b32 s3, s2
	s_cbranch_execz .LBB94_12
; %bb.7:
	v_cmp_gt_f64_e32 vcc_lo, 0, v[192:193]
	v_cmp_gt_f64_e64 s2, 0, v[194:195]
	v_xor_b32_e32 v201, 0x80000000, v193
	v_xor_b32_e32 v205, 0x80000000, v195
                                        ; implicit-def: $sgpr6
                                        ; implicit-def: $sgpr7
	s_delay_alu instid0(VALU_DEP_2) | instskip(NEXT) | instid1(VALU_DEP_2)
	v_dual_cndmask_b32 v209, v193, v201 :: v_dual_cndmask_b32 v208, v192, v192
	v_cndmask_b32_e64 v211, v195, v205, s2
	v_cndmask_b32_e64 v210, v194, v194, s2
	s_mov_b32 s2, exec_lo
	s_delay_alu instid0(VALU_DEP_1)
	v_cmpx_ngt_f64_e32 v[208:209], v[210:211]
	s_xor_b32 s2, exec_lo, s2
	s_cbranch_execz .LBB94_9
; %bb.8:
	v_div_scale_f64 v[208:209], null, v[194:195], v[194:195], v[192:193]
	v_div_scale_f64 v[214:215], vcc_lo, v[192:193], v[194:195], v[192:193]
	s_mov_b32 s7, 2
	s_mov_b32 s6, 0
	s_delay_alu instid0(VALU_DEP_2) | instskip(SKIP_2) | instid1(VALU_DEP_1)
	v_rcp_f64_e32 v[210:211], v[208:209]
	s_waitcnt_depctr 0xfff
	v_fma_f64 v[212:213], -v[208:209], v[210:211], 1.0
	v_fma_f64 v[210:211], v[210:211], v[212:213], v[210:211]
	s_delay_alu instid0(VALU_DEP_1) | instskip(NEXT) | instid1(VALU_DEP_1)
	v_fma_f64 v[212:213], -v[208:209], v[210:211], 1.0
	v_fma_f64 v[210:211], v[210:211], v[212:213], v[210:211]
	s_delay_alu instid0(VALU_DEP_1) | instskip(NEXT) | instid1(VALU_DEP_1)
	v_mul_f64 v[212:213], v[214:215], v[210:211]
	v_fma_f64 v[208:209], -v[208:209], v[212:213], v[214:215]
	s_delay_alu instid0(VALU_DEP_1) | instskip(NEXT) | instid1(VALU_DEP_1)
	v_div_fmas_f64 v[208:209], v[208:209], v[210:211], v[212:213]
	v_div_fixup_f64 v[208:209], v[208:209], v[194:195], v[192:193]
	s_delay_alu instid0(VALU_DEP_1) | instskip(NEXT) | instid1(VALU_DEP_1)
	v_fma_f64 v[192:193], v[192:193], v[208:209], v[194:195]
	v_div_scale_f64 v[194:195], null, v[192:193], v[192:193], 1.0
	s_delay_alu instid0(VALU_DEP_1) | instskip(SKIP_2) | instid1(VALU_DEP_1)
	v_rcp_f64_e32 v[210:211], v[194:195]
	s_waitcnt_depctr 0xfff
	v_fma_f64 v[212:213], -v[194:195], v[210:211], 1.0
	v_fma_f64 v[210:211], v[210:211], v[212:213], v[210:211]
	s_delay_alu instid0(VALU_DEP_1) | instskip(NEXT) | instid1(VALU_DEP_1)
	v_fma_f64 v[212:213], -v[194:195], v[210:211], 1.0
	v_fma_f64 v[210:211], v[210:211], v[212:213], v[210:211]
	v_div_scale_f64 v[212:213], vcc_lo, 1.0, v[192:193], 1.0
	s_delay_alu instid0(VALU_DEP_1) | instskip(NEXT) | instid1(VALU_DEP_1)
	v_mul_f64 v[214:215], v[212:213], v[210:211]
	v_fma_f64 v[194:195], -v[194:195], v[214:215], v[212:213]
	s_delay_alu instid0(VALU_DEP_1) | instskip(NEXT) | instid1(VALU_DEP_1)
	v_div_fmas_f64 v[194:195], v[194:195], v[210:211], v[214:215]
	v_div_fixup_f64 v[194:195], v[194:195], v[192:193], 1.0
	s_delay_alu instid0(VALU_DEP_1)
	v_mul_f64 v[192:193], v[208:209], v[194:195]
	v_xor_b32_e32 v195, 0x80000000, v195
.LBB94_9:
	s_or_saveexec_b32 s2, s2
	v_mov_b32_e32 v209, s6
	v_mov_b32_e32 v205, s7
	s_xor_b32 exec_lo, exec_lo, s2
	s_cbranch_execz .LBB94_11
; %bb.10:
	s_delay_alu instid0(VALU_DEP_4) | instskip(SKIP_2) | instid1(VALU_DEP_3)
	v_div_scale_f64 v[208:209], null, v[192:193], v[192:193], v[194:195]
	v_div_scale_f64 v[214:215], vcc_lo, v[194:195], v[192:193], v[194:195]
	v_mov_b32_e32 v205, 2
	v_rcp_f64_e32 v[210:211], v[208:209]
	s_waitcnt_depctr 0xfff
	v_fma_f64 v[212:213], -v[208:209], v[210:211], 1.0
	s_delay_alu instid0(VALU_DEP_1) | instskip(NEXT) | instid1(VALU_DEP_1)
	v_fma_f64 v[210:211], v[210:211], v[212:213], v[210:211]
	v_fma_f64 v[212:213], -v[208:209], v[210:211], 1.0
	s_delay_alu instid0(VALU_DEP_1) | instskip(NEXT) | instid1(VALU_DEP_1)
	v_fma_f64 v[210:211], v[210:211], v[212:213], v[210:211]
	v_mul_f64 v[212:213], v[214:215], v[210:211]
	s_delay_alu instid0(VALU_DEP_1) | instskip(NEXT) | instid1(VALU_DEP_1)
	v_fma_f64 v[208:209], -v[208:209], v[212:213], v[214:215]
	v_div_fmas_f64 v[208:209], v[208:209], v[210:211], v[212:213]
	s_delay_alu instid0(VALU_DEP_1) | instskip(NEXT) | instid1(VALU_DEP_1)
	v_div_fixup_f64 v[208:209], v[208:209], v[192:193], v[194:195]
	v_fma_f64 v[192:193], v[194:195], v[208:209], v[192:193]
	s_delay_alu instid0(VALU_DEP_1) | instskip(NEXT) | instid1(VALU_DEP_1)
	v_div_scale_f64 v[194:195], null, v[192:193], v[192:193], 1.0
	v_rcp_f64_e32 v[210:211], v[194:195]
	s_waitcnt_depctr 0xfff
	v_fma_f64 v[212:213], -v[194:195], v[210:211], 1.0
	s_delay_alu instid0(VALU_DEP_1) | instskip(NEXT) | instid1(VALU_DEP_1)
	v_fma_f64 v[210:211], v[210:211], v[212:213], v[210:211]
	v_fma_f64 v[212:213], -v[194:195], v[210:211], 1.0
	s_delay_alu instid0(VALU_DEP_1) | instskip(SKIP_1) | instid1(VALU_DEP_1)
	v_fma_f64 v[210:211], v[210:211], v[212:213], v[210:211]
	v_div_scale_f64 v[212:213], vcc_lo, 1.0, v[192:193], 1.0
	v_mul_f64 v[214:215], v[212:213], v[210:211]
	s_delay_alu instid0(VALU_DEP_1) | instskip(NEXT) | instid1(VALU_DEP_1)
	v_fma_f64 v[194:195], -v[194:195], v[214:215], v[212:213]
	v_div_fmas_f64 v[194:195], v[194:195], v[210:211], v[214:215]
	s_delay_alu instid0(VALU_DEP_1) | instskip(NEXT) | instid1(VALU_DEP_1)
	v_div_fixup_f64 v[192:193], v[194:195], v[192:193], 1.0
	v_mul_f64 v[194:195], v[208:209], -v[192:193]
	v_mov_b32_e32 v209, 0
.LBB94_11:
	s_or_b32 exec_lo, exec_lo, s2
.LBB94_12:
	s_delay_alu instid0(SALU_CYCLE_1) | instskip(NEXT) | instid1(SALU_CYCLE_1)
	s_or_b32 exec_lo, exec_lo, s3
	s_mov_b32 s2, exec_lo
	v_cmpx_ne_u32_e64 v206, v200
	s_xor_b32 s2, exec_lo, s2
	s_cbranch_execz .LBB94_18
; %bb.13:
	s_mov_b32 s3, exec_lo
	v_cmpx_eq_u32_e32 0, v206
	s_cbranch_execz .LBB94_17
; %bb.14:
	v_cmp_ne_u32_e32 vcc_lo, 0, v200
	s_xor_b32 s6, s4, -1
	s_delay_alu instid0(SALU_CYCLE_1) | instskip(NEXT) | instid1(SALU_CYCLE_1)
	s_and_b32 s7, s6, vcc_lo
	s_and_saveexec_b32 s6, s7
	s_cbranch_execz .LBB94_16
; %bb.15:
	v_ashrrev_i32_e32 v201, 31, v200
	s_delay_alu instid0(VALU_DEP_1) | instskip(NEXT) | instid1(VALU_DEP_1)
	v_lshlrev_b64 v[210:211], 2, v[200:201]
	v_add_co_u32 v210, vcc_lo, v198, v210
	s_delay_alu instid0(VALU_DEP_2)
	v_add_co_ci_u32_e32 v211, vcc_lo, v199, v211, vcc_lo
	s_clause 0x1
	flat_load_b32 v201, v[210:211]
	flat_load_b32 v206, v[198:199]
	s_waitcnt vmcnt(1) lgkmcnt(1)
	flat_store_b32 v[198:199], v201
	s_waitcnt vmcnt(0) lgkmcnt(1)
	flat_store_b32 v[210:211], v206
.LBB94_16:
	s_or_b32 exec_lo, exec_lo, s6
	v_mov_b32_e32 v206, v200
.LBB94_17:
	s_or_b32 exec_lo, exec_lo, s3
.LBB94_18:
	s_or_saveexec_b32 s2, s2
	s_delay_alu instid0(VALU_DEP_1)
	v_mov_b32_e32 v208, v206
	s_xor_b32 exec_lo, exec_lo, s2
	s_cbranch_execz .LBB94_20
; %bb.19:
	v_mov_b32_e32 v208, 0
	ds_store_2addr_b64 v202, v[180:181], v[182:183] offset0:2 offset1:3
	ds_store_2addr_b64 v202, v[184:185], v[186:187] offset0:4 offset1:5
	;; [unrolled: 1-line block ×47, first 2 shown]
.LBB94_20:
	s_or_b32 exec_lo, exec_lo, s2
	s_delay_alu instid0(SALU_CYCLE_1)
	s_mov_b32 s2, exec_lo
	s_waitcnt lgkmcnt(0)
	s_waitcnt_vscnt null, 0x0
	s_barrier
	buffer_gl0_inv
	v_cmpx_lt_i32_e32 0, v208
	s_cbranch_execz .LBB94_22
; %bb.21:
	v_mul_f64 v[200:201], v[194:195], v[190:191]
	v_mul_f64 v[190:191], v[192:193], v[190:191]
	s_delay_alu instid0(VALU_DEP_2) | instskip(NEXT) | instid1(VALU_DEP_2)
	v_fma_f64 v[200:201], v[192:193], v[188:189], -v[200:201]
	v_fma_f64 v[190:191], v[194:195], v[188:189], v[190:191]
	ds_load_2addr_b64 v[192:195], v202 offset0:2 offset1:3
	s_waitcnt lgkmcnt(0)
	v_mul_f64 v[188:189], v[194:195], v[190:191]
	s_delay_alu instid0(VALU_DEP_1) | instskip(SKIP_1) | instid1(VALU_DEP_2)
	v_fma_f64 v[188:189], v[192:193], v[200:201], -v[188:189]
	v_mul_f64 v[192:193], v[192:193], v[190:191]
	v_add_f64 v[180:181], v[180:181], -v[188:189]
	s_delay_alu instid0(VALU_DEP_2) | instskip(NEXT) | instid1(VALU_DEP_1)
	v_fma_f64 v[192:193], v[194:195], v[200:201], v[192:193]
	v_add_f64 v[182:183], v[182:183], -v[192:193]
	ds_load_2addr_b64 v[192:195], v202 offset0:4 offset1:5
	s_waitcnt lgkmcnt(0)
	v_mul_f64 v[188:189], v[194:195], v[190:191]
	s_delay_alu instid0(VALU_DEP_1) | instskip(SKIP_1) | instid1(VALU_DEP_2)
	v_fma_f64 v[188:189], v[192:193], v[200:201], -v[188:189]
	v_mul_f64 v[192:193], v[192:193], v[190:191]
	v_add_f64 v[184:185], v[184:185], -v[188:189]
	s_delay_alu instid0(VALU_DEP_2) | instskip(NEXT) | instid1(VALU_DEP_1)
	v_fma_f64 v[192:193], v[194:195], v[200:201], v[192:193]
	v_add_f64 v[186:187], v[186:187], -v[192:193]
	;; [unrolled: 10-line block ×46, first 2 shown]
	ds_load_2addr_b64 v[192:195], v202 offset0:94 offset1:95
	s_waitcnt lgkmcnt(0)
	v_mul_f64 v[188:189], v[194:195], v[190:191]
	s_delay_alu instid0(VALU_DEP_1) | instskip(SKIP_1) | instid1(VALU_DEP_2)
	v_fma_f64 v[188:189], v[192:193], v[200:201], -v[188:189]
	v_mul_f64 v[192:193], v[192:193], v[190:191]
	v_add_f64 v[0:1], v[0:1], -v[188:189]
	s_delay_alu instid0(VALU_DEP_2) | instskip(SKIP_1) | instid1(VALU_DEP_2)
	v_fma_f64 v[192:193], v[194:195], v[200:201], v[192:193]
	v_dual_mov_b32 v188, v200 :: v_dual_mov_b32 v189, v201
	v_add_f64 v[2:3], v[2:3], -v[192:193]
.LBB94_22:
	s_or_b32 exec_lo, exec_lo, s2
	v_lshl_add_u32 v192, v208, 4, v202
	s_barrier
	buffer_gl0_inv
	v_mov_b32_e32 v200, 1
	ds_store_2addr_b64 v192, v[180:181], v[182:183] offset1:1
	s_waitcnt lgkmcnt(0)
	s_barrier
	buffer_gl0_inv
	ds_load_2addr_b64 v[192:195], v202 offset0:2 offset1:3
	s_cmp_lt_i32 s5, 3
	s_cbranch_scc1 .LBB94_25
; %bb.23:
	v_add3_u32 v201, v207, 0, 32
	v_mov_b32_e32 v200, 1
	s_mov_b32 s6, 2
	s_set_inst_prefetch_distance 0x1
	.p2align	6
.LBB94_24:                              ; =>This Inner Loop Header: Depth=1
	ds_load_2addr_b64 v[210:213], v201 offset1:1
	s_waitcnt lgkmcnt(1)
	v_cmp_gt_f64_e32 vcc_lo, 0, v[192:193]
	v_xor_b32_e32 v214, 0x80000000, v193
	v_cmp_gt_f64_e64 s2, 0, v[194:195]
	v_xor_b32_e32 v216, 0x80000000, v195
	v_add_nc_u32_e32 v201, 16, v201
	s_waitcnt lgkmcnt(0)
	v_cmp_gt_f64_e64 s3, 0, v[210:211]
	v_mov_b32_e32 v218, v210
	v_dual_mov_b32 v220, v212 :: v_dual_cndmask_b32 v215, v193, v214
	v_xor_b32_e32 v214, 0x80000000, v211
	v_cndmask_b32_e64 v217, v195, v216, s2
	v_xor_b32_e32 v216, 0x80000000, v213
	s_delay_alu instid0(VALU_DEP_3) | instskip(SKIP_2) | instid1(VALU_DEP_2)
	v_cndmask_b32_e64 v219, v211, v214, s3
	v_cmp_gt_f64_e64 s3, 0, v[212:213]
	v_cndmask_b32_e32 v214, v192, v192, vcc_lo
	v_cndmask_b32_e64 v221, v213, v216, s3
	v_cndmask_b32_e64 v216, v194, v194, s2
	s_delay_alu instid0(VALU_DEP_2) | instskip(NEXT) | instid1(VALU_DEP_2)
	v_add_f64 v[218:219], v[218:219], v[220:221]
	v_add_f64 v[214:215], v[214:215], v[216:217]
	s_delay_alu instid0(VALU_DEP_1)
	v_cmp_lt_f64_e32 vcc_lo, v[214:215], v[218:219]
	v_cndmask_b32_e32 v195, v195, v213, vcc_lo
	v_dual_cndmask_b32 v193, v193, v211 :: v_dual_cndmask_b32 v192, v192, v210
	v_cndmask_b32_e32 v194, v194, v212, vcc_lo
	v_cndmask_b32_e64 v200, v200, s6, vcc_lo
	s_add_i32 s6, s6, 1
	s_delay_alu instid0(SALU_CYCLE_1)
	s_cmp_lg_u32 s5, s6
	s_cbranch_scc1 .LBB94_24
.LBB94_25:
	s_set_inst_prefetch_distance 0x2
	s_waitcnt lgkmcnt(0)
	v_cmp_neq_f64_e32 vcc_lo, 0, v[192:193]
	v_cmp_neq_f64_e64 s2, 0, v[194:195]
	s_delay_alu instid0(VALU_DEP_1) | instskip(NEXT) | instid1(SALU_CYCLE_1)
	s_or_b32 s2, vcc_lo, s2
	s_and_saveexec_b32 s3, s2
	s_cbranch_execz .LBB94_31
; %bb.26:
	v_cmp_gt_f64_e32 vcc_lo, 0, v[192:193]
	v_cmp_gt_f64_e64 s2, 0, v[194:195]
	v_xor_b32_e32 v201, 0x80000000, v193
	v_xor_b32_e32 v205, 0x80000000, v195
	s_delay_alu instid0(VALU_DEP_2) | instskip(NEXT) | instid1(VALU_DEP_2)
	v_dual_cndmask_b32 v211, v193, v201 :: v_dual_cndmask_b32 v210, v192, v192
	v_cndmask_b32_e64 v213, v195, v205, s2
	v_cndmask_b32_e64 v212, v194, v194, s2
	s_mov_b32 s2, exec_lo
	s_delay_alu instid0(VALU_DEP_1)
	v_cmpx_ngt_f64_e32 v[210:211], v[212:213]
	s_xor_b32 s2, exec_lo, s2
	s_cbranch_execz .LBB94_28
; %bb.27:
	v_div_scale_f64 v[210:211], null, v[194:195], v[194:195], v[192:193]
	v_div_scale_f64 v[216:217], vcc_lo, v[192:193], v[194:195], v[192:193]
	s_delay_alu instid0(VALU_DEP_2) | instskip(SKIP_2) | instid1(VALU_DEP_1)
	v_rcp_f64_e32 v[212:213], v[210:211]
	s_waitcnt_depctr 0xfff
	v_fma_f64 v[214:215], -v[210:211], v[212:213], 1.0
	v_fma_f64 v[212:213], v[212:213], v[214:215], v[212:213]
	s_delay_alu instid0(VALU_DEP_1) | instskip(NEXT) | instid1(VALU_DEP_1)
	v_fma_f64 v[214:215], -v[210:211], v[212:213], 1.0
	v_fma_f64 v[212:213], v[212:213], v[214:215], v[212:213]
	s_delay_alu instid0(VALU_DEP_1) | instskip(NEXT) | instid1(VALU_DEP_1)
	v_mul_f64 v[214:215], v[216:217], v[212:213]
	v_fma_f64 v[210:211], -v[210:211], v[214:215], v[216:217]
	s_delay_alu instid0(VALU_DEP_1) | instskip(NEXT) | instid1(VALU_DEP_1)
	v_div_fmas_f64 v[210:211], v[210:211], v[212:213], v[214:215]
	v_div_fixup_f64 v[210:211], v[210:211], v[194:195], v[192:193]
	s_delay_alu instid0(VALU_DEP_1) | instskip(NEXT) | instid1(VALU_DEP_1)
	v_fma_f64 v[192:193], v[192:193], v[210:211], v[194:195]
	v_div_scale_f64 v[194:195], null, v[192:193], v[192:193], 1.0
	s_delay_alu instid0(VALU_DEP_1) | instskip(SKIP_2) | instid1(VALU_DEP_1)
	v_rcp_f64_e32 v[212:213], v[194:195]
	s_waitcnt_depctr 0xfff
	v_fma_f64 v[214:215], -v[194:195], v[212:213], 1.0
	v_fma_f64 v[212:213], v[212:213], v[214:215], v[212:213]
	s_delay_alu instid0(VALU_DEP_1) | instskip(NEXT) | instid1(VALU_DEP_1)
	v_fma_f64 v[214:215], -v[194:195], v[212:213], 1.0
	v_fma_f64 v[212:213], v[212:213], v[214:215], v[212:213]
	v_div_scale_f64 v[214:215], vcc_lo, 1.0, v[192:193], 1.0
	s_delay_alu instid0(VALU_DEP_1) | instskip(NEXT) | instid1(VALU_DEP_1)
	v_mul_f64 v[216:217], v[214:215], v[212:213]
	v_fma_f64 v[194:195], -v[194:195], v[216:217], v[214:215]
	s_delay_alu instid0(VALU_DEP_1) | instskip(NEXT) | instid1(VALU_DEP_1)
	v_div_fmas_f64 v[194:195], v[194:195], v[212:213], v[216:217]
	v_div_fixup_f64 v[194:195], v[194:195], v[192:193], 1.0
	s_delay_alu instid0(VALU_DEP_1)
	v_mul_f64 v[192:193], v[210:211], v[194:195]
	v_xor_b32_e32 v195, 0x80000000, v195
.LBB94_28:
	s_and_not1_saveexec_b32 s2, s2
	s_cbranch_execz .LBB94_30
; %bb.29:
	s_delay_alu instid0(VALU_DEP_1) | instskip(SKIP_1) | instid1(VALU_DEP_2)
	v_div_scale_f64 v[210:211], null, v[192:193], v[192:193], v[194:195]
	v_div_scale_f64 v[216:217], vcc_lo, v[194:195], v[192:193], v[194:195]
	v_rcp_f64_e32 v[212:213], v[210:211]
	s_waitcnt_depctr 0xfff
	v_fma_f64 v[214:215], -v[210:211], v[212:213], 1.0
	s_delay_alu instid0(VALU_DEP_1) | instskip(NEXT) | instid1(VALU_DEP_1)
	v_fma_f64 v[212:213], v[212:213], v[214:215], v[212:213]
	v_fma_f64 v[214:215], -v[210:211], v[212:213], 1.0
	s_delay_alu instid0(VALU_DEP_1) | instskip(NEXT) | instid1(VALU_DEP_1)
	v_fma_f64 v[212:213], v[212:213], v[214:215], v[212:213]
	v_mul_f64 v[214:215], v[216:217], v[212:213]
	s_delay_alu instid0(VALU_DEP_1) | instskip(NEXT) | instid1(VALU_DEP_1)
	v_fma_f64 v[210:211], -v[210:211], v[214:215], v[216:217]
	v_div_fmas_f64 v[210:211], v[210:211], v[212:213], v[214:215]
	s_delay_alu instid0(VALU_DEP_1) | instskip(NEXT) | instid1(VALU_DEP_1)
	v_div_fixup_f64 v[210:211], v[210:211], v[192:193], v[194:195]
	v_fma_f64 v[192:193], v[194:195], v[210:211], v[192:193]
	s_delay_alu instid0(VALU_DEP_1) | instskip(NEXT) | instid1(VALU_DEP_1)
	v_div_scale_f64 v[194:195], null, v[192:193], v[192:193], 1.0
	v_rcp_f64_e32 v[212:213], v[194:195]
	s_waitcnt_depctr 0xfff
	v_fma_f64 v[214:215], -v[194:195], v[212:213], 1.0
	s_delay_alu instid0(VALU_DEP_1) | instskip(NEXT) | instid1(VALU_DEP_1)
	v_fma_f64 v[212:213], v[212:213], v[214:215], v[212:213]
	v_fma_f64 v[214:215], -v[194:195], v[212:213], 1.0
	s_delay_alu instid0(VALU_DEP_1) | instskip(SKIP_1) | instid1(VALU_DEP_1)
	v_fma_f64 v[212:213], v[212:213], v[214:215], v[212:213]
	v_div_scale_f64 v[214:215], vcc_lo, 1.0, v[192:193], 1.0
	v_mul_f64 v[216:217], v[214:215], v[212:213]
	s_delay_alu instid0(VALU_DEP_1) | instskip(NEXT) | instid1(VALU_DEP_1)
	v_fma_f64 v[194:195], -v[194:195], v[216:217], v[214:215]
	v_div_fmas_f64 v[194:195], v[194:195], v[212:213], v[216:217]
	s_delay_alu instid0(VALU_DEP_1) | instskip(NEXT) | instid1(VALU_DEP_1)
	v_div_fixup_f64 v[192:193], v[194:195], v[192:193], 1.0
	v_mul_f64 v[194:195], v[210:211], -v[192:193]
.LBB94_30:
	s_or_b32 exec_lo, exec_lo, s2
	v_mov_b32_e32 v205, v209
.LBB94_31:
	s_or_b32 exec_lo, exec_lo, s3
	s_delay_alu instid0(SALU_CYCLE_1)
	s_mov_b32 s2, exec_lo
	v_cmpx_ne_u32_e64 v208, v200
	s_xor_b32 s2, exec_lo, s2
	s_cbranch_execz .LBB94_37
; %bb.32:
	s_mov_b32 s3, exec_lo
	v_cmpx_eq_u32_e32 1, v208
	s_cbranch_execz .LBB94_36
; %bb.33:
	v_cmp_ne_u32_e32 vcc_lo, 1, v200
	s_xor_b32 s6, s4, -1
	s_delay_alu instid0(SALU_CYCLE_1) | instskip(NEXT) | instid1(SALU_CYCLE_1)
	s_and_b32 s7, s6, vcc_lo
	s_and_saveexec_b32 s6, s7
	s_cbranch_execz .LBB94_35
; %bb.34:
	v_ashrrev_i32_e32 v201, 31, v200
	s_delay_alu instid0(VALU_DEP_1) | instskip(NEXT) | instid1(VALU_DEP_1)
	v_lshlrev_b64 v[208:209], 2, v[200:201]
	v_add_co_u32 v208, vcc_lo, v198, v208
	s_delay_alu instid0(VALU_DEP_2)
	v_add_co_ci_u32_e32 v209, vcc_lo, v199, v209, vcc_lo
	s_clause 0x1
	flat_load_b32 v201, v[208:209]
	flat_load_b32 v206, v[198:199] offset:4
	s_waitcnt vmcnt(1) lgkmcnt(1)
	flat_store_b32 v[198:199], v201 offset:4
	s_waitcnt vmcnt(0) lgkmcnt(1)
	flat_store_b32 v[208:209], v206
.LBB94_35:
	s_or_b32 exec_lo, exec_lo, s6
	v_mov_b32_e32 v208, v200
	v_mov_b32_e32 v206, v200
.LBB94_36:
	s_or_b32 exec_lo, exec_lo, s3
.LBB94_37:
	s_and_not1_saveexec_b32 s2, s2
	s_cbranch_execz .LBB94_39
; %bb.38:
	v_mov_b32_e32 v208, 1
	ds_store_2addr_b64 v202, v[184:185], v[186:187] offset0:4 offset1:5
	ds_store_2addr_b64 v202, v[176:177], v[178:179] offset0:6 offset1:7
	;; [unrolled: 1-line block ×46, first 2 shown]
.LBB94_39:
	s_or_b32 exec_lo, exec_lo, s2
	s_delay_alu instid0(SALU_CYCLE_1)
	s_mov_b32 s2, exec_lo
	s_waitcnt lgkmcnt(0)
	s_waitcnt_vscnt null, 0x0
	s_barrier
	buffer_gl0_inv
	v_cmpx_lt_i32_e32 1, v208
	s_cbranch_execz .LBB94_41
; %bb.40:
	v_mul_f64 v[200:201], v[194:195], v[182:183]
	v_mul_f64 v[182:183], v[192:193], v[182:183]
	s_delay_alu instid0(VALU_DEP_2) | instskip(NEXT) | instid1(VALU_DEP_2)
	v_fma_f64 v[200:201], v[192:193], v[180:181], -v[200:201]
	v_fma_f64 v[182:183], v[194:195], v[180:181], v[182:183]
	ds_load_2addr_b64 v[192:195], v202 offset0:4 offset1:5
	s_waitcnt lgkmcnt(0)
	v_mul_f64 v[180:181], v[194:195], v[182:183]
	s_delay_alu instid0(VALU_DEP_1) | instskip(SKIP_1) | instid1(VALU_DEP_2)
	v_fma_f64 v[180:181], v[192:193], v[200:201], -v[180:181]
	v_mul_f64 v[192:193], v[192:193], v[182:183]
	v_add_f64 v[184:185], v[184:185], -v[180:181]
	s_delay_alu instid0(VALU_DEP_2) | instskip(NEXT) | instid1(VALU_DEP_1)
	v_fma_f64 v[192:193], v[194:195], v[200:201], v[192:193]
	v_add_f64 v[186:187], v[186:187], -v[192:193]
	ds_load_2addr_b64 v[192:195], v202 offset0:6 offset1:7
	s_waitcnt lgkmcnt(0)
	v_mul_f64 v[180:181], v[194:195], v[182:183]
	s_delay_alu instid0(VALU_DEP_1) | instskip(SKIP_1) | instid1(VALU_DEP_2)
	v_fma_f64 v[180:181], v[192:193], v[200:201], -v[180:181]
	v_mul_f64 v[192:193], v[192:193], v[182:183]
	v_add_f64 v[176:177], v[176:177], -v[180:181]
	s_delay_alu instid0(VALU_DEP_2) | instskip(NEXT) | instid1(VALU_DEP_1)
	v_fma_f64 v[192:193], v[194:195], v[200:201], v[192:193]
	v_add_f64 v[178:179], v[178:179], -v[192:193]
	;; [unrolled: 10-line block ×45, first 2 shown]
	ds_load_2addr_b64 v[192:195], v202 offset0:94 offset1:95
	s_waitcnt lgkmcnt(0)
	v_mul_f64 v[180:181], v[194:195], v[182:183]
	s_delay_alu instid0(VALU_DEP_1) | instskip(SKIP_1) | instid1(VALU_DEP_2)
	v_fma_f64 v[180:181], v[192:193], v[200:201], -v[180:181]
	v_mul_f64 v[192:193], v[192:193], v[182:183]
	v_add_f64 v[0:1], v[0:1], -v[180:181]
	s_delay_alu instid0(VALU_DEP_2) | instskip(SKIP_1) | instid1(VALU_DEP_2)
	v_fma_f64 v[192:193], v[194:195], v[200:201], v[192:193]
	v_dual_mov_b32 v180, v200 :: v_dual_mov_b32 v181, v201
	v_add_f64 v[2:3], v[2:3], -v[192:193]
.LBB94_41:
	s_or_b32 exec_lo, exec_lo, s2
	v_lshl_add_u32 v192, v208, 4, v202
	s_barrier
	buffer_gl0_inv
	v_mov_b32_e32 v200, 2
	ds_store_2addr_b64 v192, v[184:185], v[186:187] offset1:1
	s_waitcnt lgkmcnt(0)
	s_barrier
	buffer_gl0_inv
	ds_load_2addr_b64 v[192:195], v202 offset0:4 offset1:5
	s_cmp_lt_i32 s5, 4
	s_cbranch_scc1 .LBB94_44
; %bb.42:
	v_add3_u32 v201, v207, 0, 48
	v_mov_b32_e32 v200, 2
	s_mov_b32 s6, 3
	s_set_inst_prefetch_distance 0x1
	.p2align	6
.LBB94_43:                              ; =>This Inner Loop Header: Depth=1
	ds_load_2addr_b64 v[209:212], v201 offset1:1
	s_waitcnt lgkmcnt(1)
	v_cmp_gt_f64_e32 vcc_lo, 0, v[192:193]
	v_xor_b32_e32 v213, 0x80000000, v193
	v_cmp_gt_f64_e64 s2, 0, v[194:195]
	v_xor_b32_e32 v215, 0x80000000, v195
	v_add_nc_u32_e32 v201, 16, v201
	s_waitcnt lgkmcnt(0)
	v_cmp_gt_f64_e64 s3, 0, v[209:210]
	v_mov_b32_e32 v217, v209
	v_dual_mov_b32 v219, v211 :: v_dual_cndmask_b32 v214, v193, v213
	v_xor_b32_e32 v213, 0x80000000, v210
	v_cndmask_b32_e64 v216, v195, v215, s2
	v_xor_b32_e32 v215, 0x80000000, v212
	s_delay_alu instid0(VALU_DEP_3) | instskip(SKIP_2) | instid1(VALU_DEP_2)
	v_cndmask_b32_e64 v218, v210, v213, s3
	v_cmp_gt_f64_e64 s3, 0, v[211:212]
	v_cndmask_b32_e32 v213, v192, v192, vcc_lo
	v_cndmask_b32_e64 v220, v212, v215, s3
	v_cndmask_b32_e64 v215, v194, v194, s2
	s_delay_alu instid0(VALU_DEP_2) | instskip(NEXT) | instid1(VALU_DEP_2)
	v_add_f64 v[217:218], v[217:218], v[219:220]
	v_add_f64 v[213:214], v[213:214], v[215:216]
	s_delay_alu instid0(VALU_DEP_1) | instskip(SKIP_4) | instid1(SALU_CYCLE_1)
	v_cmp_lt_f64_e32 vcc_lo, v[213:214], v[217:218]
	v_dual_cndmask_b32 v194, v194, v211 :: v_dual_cndmask_b32 v193, v193, v210
	v_dual_cndmask_b32 v192, v192, v209 :: v_dual_cndmask_b32 v195, v195, v212
	v_cndmask_b32_e64 v200, v200, s6, vcc_lo
	s_add_i32 s6, s6, 1
	s_cmp_lg_u32 s5, s6
	s_cbranch_scc1 .LBB94_43
.LBB94_44:
	s_set_inst_prefetch_distance 0x2
	s_waitcnt lgkmcnt(0)
	v_cmp_eq_f64_e32 vcc_lo, 0, v[192:193]
	v_cmp_eq_f64_e64 s2, 0, v[194:195]
	s_delay_alu instid0(VALU_DEP_1) | instskip(NEXT) | instid1(SALU_CYCLE_1)
	s_and_b32 s2, vcc_lo, s2
	s_and_saveexec_b32 s3, s2
	s_delay_alu instid0(SALU_CYCLE_1)
	s_xor_b32 s2, exec_lo, s3
; %bb.45:
	v_cmp_ne_u32_e32 vcc_lo, 0, v205
	v_cndmask_b32_e32 v205, 3, v205, vcc_lo
; %bb.46:
	s_and_not1_saveexec_b32 s3, s2
	s_cbranch_execz .LBB94_52
; %bb.47:
	v_cmp_gt_f64_e32 vcc_lo, 0, v[192:193]
	v_cmp_gt_f64_e64 s2, 0, v[194:195]
	v_xor_b32_e32 v201, 0x80000000, v193
	v_xor_b32_e32 v209, 0x80000000, v195
	s_delay_alu instid0(VALU_DEP_2) | instskip(NEXT) | instid1(VALU_DEP_2)
	v_cndmask_b32_e32 v210, v193, v201, vcc_lo
	v_cndmask_b32_e64 v212, v195, v209, s2
	v_cndmask_b32_e32 v209, v192, v192, vcc_lo
	v_cndmask_b32_e64 v211, v194, v194, s2
	s_mov_b32 s2, exec_lo
	s_delay_alu instid0(VALU_DEP_1)
	v_cmpx_ngt_f64_e32 v[209:210], v[211:212]
	s_xor_b32 s2, exec_lo, s2
	s_cbranch_execz .LBB94_49
; %bb.48:
	v_div_scale_f64 v[209:210], null, v[194:195], v[194:195], v[192:193]
	v_div_scale_f64 v[215:216], vcc_lo, v[192:193], v[194:195], v[192:193]
	s_delay_alu instid0(VALU_DEP_2) | instskip(SKIP_2) | instid1(VALU_DEP_1)
	v_rcp_f64_e32 v[211:212], v[209:210]
	s_waitcnt_depctr 0xfff
	v_fma_f64 v[213:214], -v[209:210], v[211:212], 1.0
	v_fma_f64 v[211:212], v[211:212], v[213:214], v[211:212]
	s_delay_alu instid0(VALU_DEP_1) | instskip(NEXT) | instid1(VALU_DEP_1)
	v_fma_f64 v[213:214], -v[209:210], v[211:212], 1.0
	v_fma_f64 v[211:212], v[211:212], v[213:214], v[211:212]
	s_delay_alu instid0(VALU_DEP_1) | instskip(NEXT) | instid1(VALU_DEP_1)
	v_mul_f64 v[213:214], v[215:216], v[211:212]
	v_fma_f64 v[209:210], -v[209:210], v[213:214], v[215:216]
	s_delay_alu instid0(VALU_DEP_1) | instskip(NEXT) | instid1(VALU_DEP_1)
	v_div_fmas_f64 v[209:210], v[209:210], v[211:212], v[213:214]
	v_div_fixup_f64 v[209:210], v[209:210], v[194:195], v[192:193]
	s_delay_alu instid0(VALU_DEP_1) | instskip(NEXT) | instid1(VALU_DEP_1)
	v_fma_f64 v[192:193], v[192:193], v[209:210], v[194:195]
	v_div_scale_f64 v[194:195], null, v[192:193], v[192:193], 1.0
	s_delay_alu instid0(VALU_DEP_1) | instskip(SKIP_2) | instid1(VALU_DEP_1)
	v_rcp_f64_e32 v[211:212], v[194:195]
	s_waitcnt_depctr 0xfff
	v_fma_f64 v[213:214], -v[194:195], v[211:212], 1.0
	v_fma_f64 v[211:212], v[211:212], v[213:214], v[211:212]
	s_delay_alu instid0(VALU_DEP_1) | instskip(NEXT) | instid1(VALU_DEP_1)
	v_fma_f64 v[213:214], -v[194:195], v[211:212], 1.0
	v_fma_f64 v[211:212], v[211:212], v[213:214], v[211:212]
	v_div_scale_f64 v[213:214], vcc_lo, 1.0, v[192:193], 1.0
	s_delay_alu instid0(VALU_DEP_1) | instskip(NEXT) | instid1(VALU_DEP_1)
	v_mul_f64 v[215:216], v[213:214], v[211:212]
	v_fma_f64 v[194:195], -v[194:195], v[215:216], v[213:214]
	s_delay_alu instid0(VALU_DEP_1) | instskip(NEXT) | instid1(VALU_DEP_1)
	v_div_fmas_f64 v[194:195], v[194:195], v[211:212], v[215:216]
	v_div_fixup_f64 v[194:195], v[194:195], v[192:193], 1.0
	s_delay_alu instid0(VALU_DEP_1)
	v_mul_f64 v[192:193], v[209:210], v[194:195]
	v_xor_b32_e32 v195, 0x80000000, v195
.LBB94_49:
	s_and_not1_saveexec_b32 s2, s2
	s_cbranch_execz .LBB94_51
; %bb.50:
	s_delay_alu instid0(VALU_DEP_1) | instskip(SKIP_1) | instid1(VALU_DEP_2)
	v_div_scale_f64 v[209:210], null, v[192:193], v[192:193], v[194:195]
	v_div_scale_f64 v[215:216], vcc_lo, v[194:195], v[192:193], v[194:195]
	v_rcp_f64_e32 v[211:212], v[209:210]
	s_waitcnt_depctr 0xfff
	v_fma_f64 v[213:214], -v[209:210], v[211:212], 1.0
	s_delay_alu instid0(VALU_DEP_1) | instskip(NEXT) | instid1(VALU_DEP_1)
	v_fma_f64 v[211:212], v[211:212], v[213:214], v[211:212]
	v_fma_f64 v[213:214], -v[209:210], v[211:212], 1.0
	s_delay_alu instid0(VALU_DEP_1) | instskip(NEXT) | instid1(VALU_DEP_1)
	v_fma_f64 v[211:212], v[211:212], v[213:214], v[211:212]
	v_mul_f64 v[213:214], v[215:216], v[211:212]
	s_delay_alu instid0(VALU_DEP_1) | instskip(NEXT) | instid1(VALU_DEP_1)
	v_fma_f64 v[209:210], -v[209:210], v[213:214], v[215:216]
	v_div_fmas_f64 v[209:210], v[209:210], v[211:212], v[213:214]
	s_delay_alu instid0(VALU_DEP_1) | instskip(NEXT) | instid1(VALU_DEP_1)
	v_div_fixup_f64 v[209:210], v[209:210], v[192:193], v[194:195]
	v_fma_f64 v[192:193], v[194:195], v[209:210], v[192:193]
	s_delay_alu instid0(VALU_DEP_1) | instskip(NEXT) | instid1(VALU_DEP_1)
	v_div_scale_f64 v[194:195], null, v[192:193], v[192:193], 1.0
	v_rcp_f64_e32 v[211:212], v[194:195]
	s_waitcnt_depctr 0xfff
	v_fma_f64 v[213:214], -v[194:195], v[211:212], 1.0
	s_delay_alu instid0(VALU_DEP_1) | instskip(NEXT) | instid1(VALU_DEP_1)
	v_fma_f64 v[211:212], v[211:212], v[213:214], v[211:212]
	v_fma_f64 v[213:214], -v[194:195], v[211:212], 1.0
	s_delay_alu instid0(VALU_DEP_1) | instskip(SKIP_1) | instid1(VALU_DEP_1)
	v_fma_f64 v[211:212], v[211:212], v[213:214], v[211:212]
	v_div_scale_f64 v[213:214], vcc_lo, 1.0, v[192:193], 1.0
	v_mul_f64 v[215:216], v[213:214], v[211:212]
	s_delay_alu instid0(VALU_DEP_1) | instskip(NEXT) | instid1(VALU_DEP_1)
	v_fma_f64 v[194:195], -v[194:195], v[215:216], v[213:214]
	v_div_fmas_f64 v[194:195], v[194:195], v[211:212], v[215:216]
	s_delay_alu instid0(VALU_DEP_1) | instskip(NEXT) | instid1(VALU_DEP_1)
	v_div_fixup_f64 v[192:193], v[194:195], v[192:193], 1.0
	v_mul_f64 v[194:195], v[209:210], -v[192:193]
.LBB94_51:
	s_or_b32 exec_lo, exec_lo, s2
.LBB94_52:
	s_delay_alu instid0(SALU_CYCLE_1) | instskip(NEXT) | instid1(SALU_CYCLE_1)
	s_or_b32 exec_lo, exec_lo, s3
	s_mov_b32 s2, exec_lo
	v_cmpx_ne_u32_e64 v208, v200
	s_xor_b32 s2, exec_lo, s2
	s_cbranch_execz .LBB94_58
; %bb.53:
	s_mov_b32 s3, exec_lo
	v_cmpx_eq_u32_e32 2, v208
	s_cbranch_execz .LBB94_57
; %bb.54:
	v_cmp_ne_u32_e32 vcc_lo, 2, v200
	s_xor_b32 s6, s4, -1
	s_delay_alu instid0(SALU_CYCLE_1) | instskip(NEXT) | instid1(SALU_CYCLE_1)
	s_and_b32 s7, s6, vcc_lo
	s_and_saveexec_b32 s6, s7
	s_cbranch_execz .LBB94_56
; %bb.55:
	v_ashrrev_i32_e32 v201, 31, v200
	s_delay_alu instid0(VALU_DEP_1) | instskip(NEXT) | instid1(VALU_DEP_1)
	v_lshlrev_b64 v[208:209], 2, v[200:201]
	v_add_co_u32 v208, vcc_lo, v198, v208
	s_delay_alu instid0(VALU_DEP_2)
	v_add_co_ci_u32_e32 v209, vcc_lo, v199, v209, vcc_lo
	s_clause 0x1
	flat_load_b32 v201, v[208:209]
	flat_load_b32 v206, v[198:199] offset:8
	s_waitcnt vmcnt(1) lgkmcnt(1)
	flat_store_b32 v[198:199], v201 offset:8
	s_waitcnt vmcnt(0) lgkmcnt(1)
	flat_store_b32 v[208:209], v206
.LBB94_56:
	s_or_b32 exec_lo, exec_lo, s6
	v_mov_b32_e32 v208, v200
	v_mov_b32_e32 v206, v200
.LBB94_57:
	s_or_b32 exec_lo, exec_lo, s3
.LBB94_58:
	s_and_not1_saveexec_b32 s2, s2
	s_cbranch_execz .LBB94_60
; %bb.59:
	v_mov_b32_e32 v208, 2
	ds_store_2addr_b64 v202, v[176:177], v[178:179] offset0:6 offset1:7
	ds_store_2addr_b64 v202, v[172:173], v[174:175] offset0:8 offset1:9
	;; [unrolled: 1-line block ×45, first 2 shown]
.LBB94_60:
	s_or_b32 exec_lo, exec_lo, s2
	s_delay_alu instid0(SALU_CYCLE_1)
	s_mov_b32 s2, exec_lo
	s_waitcnt lgkmcnt(0)
	s_waitcnt_vscnt null, 0x0
	s_barrier
	buffer_gl0_inv
	v_cmpx_lt_i32_e32 2, v208
	s_cbranch_execz .LBB94_62
; %bb.61:
	v_mul_f64 v[200:201], v[194:195], v[186:187]
	v_mul_f64 v[186:187], v[192:193], v[186:187]
	s_delay_alu instid0(VALU_DEP_2) | instskip(NEXT) | instid1(VALU_DEP_2)
	v_fma_f64 v[200:201], v[192:193], v[184:185], -v[200:201]
	v_fma_f64 v[186:187], v[194:195], v[184:185], v[186:187]
	ds_load_2addr_b64 v[192:195], v202 offset0:6 offset1:7
	s_waitcnt lgkmcnt(0)
	v_mul_f64 v[184:185], v[194:195], v[186:187]
	s_delay_alu instid0(VALU_DEP_1) | instskip(SKIP_1) | instid1(VALU_DEP_2)
	v_fma_f64 v[184:185], v[192:193], v[200:201], -v[184:185]
	v_mul_f64 v[192:193], v[192:193], v[186:187]
	v_add_f64 v[176:177], v[176:177], -v[184:185]
	s_delay_alu instid0(VALU_DEP_2) | instskip(NEXT) | instid1(VALU_DEP_1)
	v_fma_f64 v[192:193], v[194:195], v[200:201], v[192:193]
	v_add_f64 v[178:179], v[178:179], -v[192:193]
	ds_load_2addr_b64 v[192:195], v202 offset0:8 offset1:9
	s_waitcnt lgkmcnt(0)
	v_mul_f64 v[184:185], v[194:195], v[186:187]
	s_delay_alu instid0(VALU_DEP_1) | instskip(SKIP_1) | instid1(VALU_DEP_2)
	v_fma_f64 v[184:185], v[192:193], v[200:201], -v[184:185]
	v_mul_f64 v[192:193], v[192:193], v[186:187]
	v_add_f64 v[172:173], v[172:173], -v[184:185]
	s_delay_alu instid0(VALU_DEP_2) | instskip(NEXT) | instid1(VALU_DEP_1)
	v_fma_f64 v[192:193], v[194:195], v[200:201], v[192:193]
	v_add_f64 v[174:175], v[174:175], -v[192:193]
	ds_load_2addr_b64 v[192:195], v202 offset0:10 offset1:11
	s_waitcnt lgkmcnt(0)
	v_mul_f64 v[184:185], v[194:195], v[186:187]
	s_delay_alu instid0(VALU_DEP_1) | instskip(SKIP_1) | instid1(VALU_DEP_2)
	v_fma_f64 v[184:185], v[192:193], v[200:201], -v[184:185]
	v_mul_f64 v[192:193], v[192:193], v[186:187]
	v_add_f64 v[168:169], v[168:169], -v[184:185]
	s_delay_alu instid0(VALU_DEP_2) | instskip(NEXT) | instid1(VALU_DEP_1)
	v_fma_f64 v[192:193], v[194:195], v[200:201], v[192:193]
	v_add_f64 v[170:171], v[170:171], -v[192:193]
	ds_load_2addr_b64 v[192:195], v202 offset0:12 offset1:13
	s_waitcnt lgkmcnt(0)
	v_mul_f64 v[184:185], v[194:195], v[186:187]
	s_delay_alu instid0(VALU_DEP_1) | instskip(SKIP_1) | instid1(VALU_DEP_2)
	v_fma_f64 v[184:185], v[192:193], v[200:201], -v[184:185]
	v_mul_f64 v[192:193], v[192:193], v[186:187]
	v_add_f64 v[164:165], v[164:165], -v[184:185]
	s_delay_alu instid0(VALU_DEP_2) | instskip(NEXT) | instid1(VALU_DEP_1)
	v_fma_f64 v[192:193], v[194:195], v[200:201], v[192:193]
	v_add_f64 v[166:167], v[166:167], -v[192:193]
	ds_load_2addr_b64 v[192:195], v202 offset0:14 offset1:15
	s_waitcnt lgkmcnt(0)
	v_mul_f64 v[184:185], v[194:195], v[186:187]
	s_delay_alu instid0(VALU_DEP_1) | instskip(SKIP_1) | instid1(VALU_DEP_2)
	v_fma_f64 v[184:185], v[192:193], v[200:201], -v[184:185]
	v_mul_f64 v[192:193], v[192:193], v[186:187]
	v_add_f64 v[160:161], v[160:161], -v[184:185]
	s_delay_alu instid0(VALU_DEP_2) | instskip(NEXT) | instid1(VALU_DEP_1)
	v_fma_f64 v[192:193], v[194:195], v[200:201], v[192:193]
	v_add_f64 v[162:163], v[162:163], -v[192:193]
	ds_load_2addr_b64 v[192:195], v202 offset0:16 offset1:17
	s_waitcnt lgkmcnt(0)
	v_mul_f64 v[184:185], v[194:195], v[186:187]
	s_delay_alu instid0(VALU_DEP_1) | instskip(SKIP_1) | instid1(VALU_DEP_2)
	v_fma_f64 v[184:185], v[192:193], v[200:201], -v[184:185]
	v_mul_f64 v[192:193], v[192:193], v[186:187]
	v_add_f64 v[156:157], v[156:157], -v[184:185]
	s_delay_alu instid0(VALU_DEP_2) | instskip(NEXT) | instid1(VALU_DEP_1)
	v_fma_f64 v[192:193], v[194:195], v[200:201], v[192:193]
	v_add_f64 v[158:159], v[158:159], -v[192:193]
	ds_load_2addr_b64 v[192:195], v202 offset0:18 offset1:19
	s_waitcnt lgkmcnt(0)
	v_mul_f64 v[184:185], v[194:195], v[186:187]
	s_delay_alu instid0(VALU_DEP_1) | instskip(SKIP_1) | instid1(VALU_DEP_2)
	v_fma_f64 v[184:185], v[192:193], v[200:201], -v[184:185]
	v_mul_f64 v[192:193], v[192:193], v[186:187]
	v_add_f64 v[152:153], v[152:153], -v[184:185]
	s_delay_alu instid0(VALU_DEP_2) | instskip(NEXT) | instid1(VALU_DEP_1)
	v_fma_f64 v[192:193], v[194:195], v[200:201], v[192:193]
	v_add_f64 v[154:155], v[154:155], -v[192:193]
	ds_load_2addr_b64 v[192:195], v202 offset0:20 offset1:21
	s_waitcnt lgkmcnt(0)
	v_mul_f64 v[184:185], v[194:195], v[186:187]
	s_delay_alu instid0(VALU_DEP_1) | instskip(SKIP_1) | instid1(VALU_DEP_2)
	v_fma_f64 v[184:185], v[192:193], v[200:201], -v[184:185]
	v_mul_f64 v[192:193], v[192:193], v[186:187]
	v_add_f64 v[148:149], v[148:149], -v[184:185]
	s_delay_alu instid0(VALU_DEP_2) | instskip(NEXT) | instid1(VALU_DEP_1)
	v_fma_f64 v[192:193], v[194:195], v[200:201], v[192:193]
	v_add_f64 v[150:151], v[150:151], -v[192:193]
	ds_load_2addr_b64 v[192:195], v202 offset0:22 offset1:23
	s_waitcnt lgkmcnt(0)
	v_mul_f64 v[184:185], v[194:195], v[186:187]
	s_delay_alu instid0(VALU_DEP_1) | instskip(SKIP_1) | instid1(VALU_DEP_2)
	v_fma_f64 v[184:185], v[192:193], v[200:201], -v[184:185]
	v_mul_f64 v[192:193], v[192:193], v[186:187]
	v_add_f64 v[144:145], v[144:145], -v[184:185]
	s_delay_alu instid0(VALU_DEP_2) | instskip(NEXT) | instid1(VALU_DEP_1)
	v_fma_f64 v[192:193], v[194:195], v[200:201], v[192:193]
	v_add_f64 v[146:147], v[146:147], -v[192:193]
	ds_load_2addr_b64 v[192:195], v202 offset0:24 offset1:25
	s_waitcnt lgkmcnt(0)
	v_mul_f64 v[184:185], v[194:195], v[186:187]
	s_delay_alu instid0(VALU_DEP_1) | instskip(SKIP_1) | instid1(VALU_DEP_2)
	v_fma_f64 v[184:185], v[192:193], v[200:201], -v[184:185]
	v_mul_f64 v[192:193], v[192:193], v[186:187]
	v_add_f64 v[140:141], v[140:141], -v[184:185]
	s_delay_alu instid0(VALU_DEP_2) | instskip(NEXT) | instid1(VALU_DEP_1)
	v_fma_f64 v[192:193], v[194:195], v[200:201], v[192:193]
	v_add_f64 v[142:143], v[142:143], -v[192:193]
	ds_load_2addr_b64 v[192:195], v202 offset0:26 offset1:27
	s_waitcnt lgkmcnt(0)
	v_mul_f64 v[184:185], v[194:195], v[186:187]
	s_delay_alu instid0(VALU_DEP_1) | instskip(SKIP_1) | instid1(VALU_DEP_2)
	v_fma_f64 v[184:185], v[192:193], v[200:201], -v[184:185]
	v_mul_f64 v[192:193], v[192:193], v[186:187]
	v_add_f64 v[136:137], v[136:137], -v[184:185]
	s_delay_alu instid0(VALU_DEP_2) | instskip(NEXT) | instid1(VALU_DEP_1)
	v_fma_f64 v[192:193], v[194:195], v[200:201], v[192:193]
	v_add_f64 v[138:139], v[138:139], -v[192:193]
	ds_load_2addr_b64 v[192:195], v202 offset0:28 offset1:29
	s_waitcnt lgkmcnt(0)
	v_mul_f64 v[184:185], v[194:195], v[186:187]
	s_delay_alu instid0(VALU_DEP_1) | instskip(SKIP_1) | instid1(VALU_DEP_2)
	v_fma_f64 v[184:185], v[192:193], v[200:201], -v[184:185]
	v_mul_f64 v[192:193], v[192:193], v[186:187]
	v_add_f64 v[132:133], v[132:133], -v[184:185]
	s_delay_alu instid0(VALU_DEP_2) | instskip(NEXT) | instid1(VALU_DEP_1)
	v_fma_f64 v[192:193], v[194:195], v[200:201], v[192:193]
	v_add_f64 v[134:135], v[134:135], -v[192:193]
	ds_load_2addr_b64 v[192:195], v202 offset0:30 offset1:31
	s_waitcnt lgkmcnt(0)
	v_mul_f64 v[184:185], v[194:195], v[186:187]
	s_delay_alu instid0(VALU_DEP_1) | instskip(SKIP_1) | instid1(VALU_DEP_2)
	v_fma_f64 v[184:185], v[192:193], v[200:201], -v[184:185]
	v_mul_f64 v[192:193], v[192:193], v[186:187]
	v_add_f64 v[128:129], v[128:129], -v[184:185]
	s_delay_alu instid0(VALU_DEP_2) | instskip(NEXT) | instid1(VALU_DEP_1)
	v_fma_f64 v[192:193], v[194:195], v[200:201], v[192:193]
	v_add_f64 v[130:131], v[130:131], -v[192:193]
	ds_load_2addr_b64 v[192:195], v202 offset0:32 offset1:33
	s_waitcnt lgkmcnt(0)
	v_mul_f64 v[184:185], v[194:195], v[186:187]
	s_delay_alu instid0(VALU_DEP_1) | instskip(SKIP_1) | instid1(VALU_DEP_2)
	v_fma_f64 v[184:185], v[192:193], v[200:201], -v[184:185]
	v_mul_f64 v[192:193], v[192:193], v[186:187]
	v_add_f64 v[124:125], v[124:125], -v[184:185]
	s_delay_alu instid0(VALU_DEP_2) | instskip(NEXT) | instid1(VALU_DEP_1)
	v_fma_f64 v[192:193], v[194:195], v[200:201], v[192:193]
	v_add_f64 v[126:127], v[126:127], -v[192:193]
	ds_load_2addr_b64 v[192:195], v202 offset0:34 offset1:35
	s_waitcnt lgkmcnt(0)
	v_mul_f64 v[184:185], v[194:195], v[186:187]
	s_delay_alu instid0(VALU_DEP_1) | instskip(SKIP_1) | instid1(VALU_DEP_2)
	v_fma_f64 v[184:185], v[192:193], v[200:201], -v[184:185]
	v_mul_f64 v[192:193], v[192:193], v[186:187]
	v_add_f64 v[120:121], v[120:121], -v[184:185]
	s_delay_alu instid0(VALU_DEP_2) | instskip(NEXT) | instid1(VALU_DEP_1)
	v_fma_f64 v[192:193], v[194:195], v[200:201], v[192:193]
	v_add_f64 v[122:123], v[122:123], -v[192:193]
	ds_load_2addr_b64 v[192:195], v202 offset0:36 offset1:37
	s_waitcnt lgkmcnt(0)
	v_mul_f64 v[184:185], v[194:195], v[186:187]
	s_delay_alu instid0(VALU_DEP_1) | instskip(SKIP_1) | instid1(VALU_DEP_2)
	v_fma_f64 v[184:185], v[192:193], v[200:201], -v[184:185]
	v_mul_f64 v[192:193], v[192:193], v[186:187]
	v_add_f64 v[116:117], v[116:117], -v[184:185]
	s_delay_alu instid0(VALU_DEP_2) | instskip(NEXT) | instid1(VALU_DEP_1)
	v_fma_f64 v[192:193], v[194:195], v[200:201], v[192:193]
	v_add_f64 v[118:119], v[118:119], -v[192:193]
	ds_load_2addr_b64 v[192:195], v202 offset0:38 offset1:39
	s_waitcnt lgkmcnt(0)
	v_mul_f64 v[184:185], v[194:195], v[186:187]
	s_delay_alu instid0(VALU_DEP_1) | instskip(SKIP_1) | instid1(VALU_DEP_2)
	v_fma_f64 v[184:185], v[192:193], v[200:201], -v[184:185]
	v_mul_f64 v[192:193], v[192:193], v[186:187]
	v_add_f64 v[112:113], v[112:113], -v[184:185]
	s_delay_alu instid0(VALU_DEP_2) | instskip(NEXT) | instid1(VALU_DEP_1)
	v_fma_f64 v[192:193], v[194:195], v[200:201], v[192:193]
	v_add_f64 v[114:115], v[114:115], -v[192:193]
	ds_load_2addr_b64 v[192:195], v202 offset0:40 offset1:41
	s_waitcnt lgkmcnt(0)
	v_mul_f64 v[184:185], v[194:195], v[186:187]
	s_delay_alu instid0(VALU_DEP_1) | instskip(SKIP_1) | instid1(VALU_DEP_2)
	v_fma_f64 v[184:185], v[192:193], v[200:201], -v[184:185]
	v_mul_f64 v[192:193], v[192:193], v[186:187]
	v_add_f64 v[108:109], v[108:109], -v[184:185]
	s_delay_alu instid0(VALU_DEP_2) | instskip(NEXT) | instid1(VALU_DEP_1)
	v_fma_f64 v[192:193], v[194:195], v[200:201], v[192:193]
	v_add_f64 v[110:111], v[110:111], -v[192:193]
	ds_load_2addr_b64 v[192:195], v202 offset0:42 offset1:43
	s_waitcnt lgkmcnt(0)
	v_mul_f64 v[184:185], v[194:195], v[186:187]
	s_delay_alu instid0(VALU_DEP_1) | instskip(SKIP_1) | instid1(VALU_DEP_2)
	v_fma_f64 v[184:185], v[192:193], v[200:201], -v[184:185]
	v_mul_f64 v[192:193], v[192:193], v[186:187]
	v_add_f64 v[104:105], v[104:105], -v[184:185]
	s_delay_alu instid0(VALU_DEP_2) | instskip(NEXT) | instid1(VALU_DEP_1)
	v_fma_f64 v[192:193], v[194:195], v[200:201], v[192:193]
	v_add_f64 v[106:107], v[106:107], -v[192:193]
	ds_load_2addr_b64 v[192:195], v202 offset0:44 offset1:45
	s_waitcnt lgkmcnt(0)
	v_mul_f64 v[184:185], v[194:195], v[186:187]
	s_delay_alu instid0(VALU_DEP_1) | instskip(SKIP_1) | instid1(VALU_DEP_2)
	v_fma_f64 v[184:185], v[192:193], v[200:201], -v[184:185]
	v_mul_f64 v[192:193], v[192:193], v[186:187]
	v_add_f64 v[100:101], v[100:101], -v[184:185]
	s_delay_alu instid0(VALU_DEP_2) | instskip(NEXT) | instid1(VALU_DEP_1)
	v_fma_f64 v[192:193], v[194:195], v[200:201], v[192:193]
	v_add_f64 v[102:103], v[102:103], -v[192:193]
	ds_load_2addr_b64 v[192:195], v202 offset0:46 offset1:47
	s_waitcnt lgkmcnt(0)
	v_mul_f64 v[184:185], v[194:195], v[186:187]
	s_delay_alu instid0(VALU_DEP_1) | instskip(SKIP_1) | instid1(VALU_DEP_2)
	v_fma_f64 v[184:185], v[192:193], v[200:201], -v[184:185]
	v_mul_f64 v[192:193], v[192:193], v[186:187]
	v_add_f64 v[96:97], v[96:97], -v[184:185]
	s_delay_alu instid0(VALU_DEP_2) | instskip(NEXT) | instid1(VALU_DEP_1)
	v_fma_f64 v[192:193], v[194:195], v[200:201], v[192:193]
	v_add_f64 v[98:99], v[98:99], -v[192:193]
	ds_load_2addr_b64 v[192:195], v202 offset0:48 offset1:49
	s_waitcnt lgkmcnt(0)
	v_mul_f64 v[184:185], v[194:195], v[186:187]
	s_delay_alu instid0(VALU_DEP_1) | instskip(SKIP_1) | instid1(VALU_DEP_2)
	v_fma_f64 v[184:185], v[192:193], v[200:201], -v[184:185]
	v_mul_f64 v[192:193], v[192:193], v[186:187]
	v_add_f64 v[92:93], v[92:93], -v[184:185]
	s_delay_alu instid0(VALU_DEP_2) | instskip(NEXT) | instid1(VALU_DEP_1)
	v_fma_f64 v[192:193], v[194:195], v[200:201], v[192:193]
	v_add_f64 v[94:95], v[94:95], -v[192:193]
	ds_load_2addr_b64 v[192:195], v202 offset0:50 offset1:51
	s_waitcnt lgkmcnt(0)
	v_mul_f64 v[184:185], v[194:195], v[186:187]
	s_delay_alu instid0(VALU_DEP_1) | instskip(SKIP_1) | instid1(VALU_DEP_2)
	v_fma_f64 v[184:185], v[192:193], v[200:201], -v[184:185]
	v_mul_f64 v[192:193], v[192:193], v[186:187]
	v_add_f64 v[88:89], v[88:89], -v[184:185]
	s_delay_alu instid0(VALU_DEP_2) | instskip(NEXT) | instid1(VALU_DEP_1)
	v_fma_f64 v[192:193], v[194:195], v[200:201], v[192:193]
	v_add_f64 v[90:91], v[90:91], -v[192:193]
	ds_load_2addr_b64 v[192:195], v202 offset0:52 offset1:53
	s_waitcnt lgkmcnt(0)
	v_mul_f64 v[184:185], v[194:195], v[186:187]
	s_delay_alu instid0(VALU_DEP_1) | instskip(SKIP_1) | instid1(VALU_DEP_2)
	v_fma_f64 v[184:185], v[192:193], v[200:201], -v[184:185]
	v_mul_f64 v[192:193], v[192:193], v[186:187]
	v_add_f64 v[84:85], v[84:85], -v[184:185]
	s_delay_alu instid0(VALU_DEP_2) | instskip(NEXT) | instid1(VALU_DEP_1)
	v_fma_f64 v[192:193], v[194:195], v[200:201], v[192:193]
	v_add_f64 v[86:87], v[86:87], -v[192:193]
	ds_load_2addr_b64 v[192:195], v202 offset0:54 offset1:55
	s_waitcnt lgkmcnt(0)
	v_mul_f64 v[184:185], v[194:195], v[186:187]
	s_delay_alu instid0(VALU_DEP_1) | instskip(SKIP_1) | instid1(VALU_DEP_2)
	v_fma_f64 v[184:185], v[192:193], v[200:201], -v[184:185]
	v_mul_f64 v[192:193], v[192:193], v[186:187]
	v_add_f64 v[80:81], v[80:81], -v[184:185]
	s_delay_alu instid0(VALU_DEP_2) | instskip(NEXT) | instid1(VALU_DEP_1)
	v_fma_f64 v[192:193], v[194:195], v[200:201], v[192:193]
	v_add_f64 v[82:83], v[82:83], -v[192:193]
	ds_load_2addr_b64 v[192:195], v202 offset0:56 offset1:57
	s_waitcnt lgkmcnt(0)
	v_mul_f64 v[184:185], v[194:195], v[186:187]
	s_delay_alu instid0(VALU_DEP_1) | instskip(SKIP_1) | instid1(VALU_DEP_2)
	v_fma_f64 v[184:185], v[192:193], v[200:201], -v[184:185]
	v_mul_f64 v[192:193], v[192:193], v[186:187]
	v_add_f64 v[76:77], v[76:77], -v[184:185]
	s_delay_alu instid0(VALU_DEP_2) | instskip(NEXT) | instid1(VALU_DEP_1)
	v_fma_f64 v[192:193], v[194:195], v[200:201], v[192:193]
	v_add_f64 v[78:79], v[78:79], -v[192:193]
	ds_load_2addr_b64 v[192:195], v202 offset0:58 offset1:59
	s_waitcnt lgkmcnt(0)
	v_mul_f64 v[184:185], v[194:195], v[186:187]
	s_delay_alu instid0(VALU_DEP_1) | instskip(SKIP_1) | instid1(VALU_DEP_2)
	v_fma_f64 v[184:185], v[192:193], v[200:201], -v[184:185]
	v_mul_f64 v[192:193], v[192:193], v[186:187]
	v_add_f64 v[72:73], v[72:73], -v[184:185]
	s_delay_alu instid0(VALU_DEP_2) | instskip(NEXT) | instid1(VALU_DEP_1)
	v_fma_f64 v[192:193], v[194:195], v[200:201], v[192:193]
	v_add_f64 v[74:75], v[74:75], -v[192:193]
	ds_load_2addr_b64 v[192:195], v202 offset0:60 offset1:61
	s_waitcnt lgkmcnt(0)
	v_mul_f64 v[184:185], v[194:195], v[186:187]
	s_delay_alu instid0(VALU_DEP_1) | instskip(SKIP_1) | instid1(VALU_DEP_2)
	v_fma_f64 v[184:185], v[192:193], v[200:201], -v[184:185]
	v_mul_f64 v[192:193], v[192:193], v[186:187]
	v_add_f64 v[68:69], v[68:69], -v[184:185]
	s_delay_alu instid0(VALU_DEP_2) | instskip(NEXT) | instid1(VALU_DEP_1)
	v_fma_f64 v[192:193], v[194:195], v[200:201], v[192:193]
	v_add_f64 v[70:71], v[70:71], -v[192:193]
	ds_load_2addr_b64 v[192:195], v202 offset0:62 offset1:63
	s_waitcnt lgkmcnt(0)
	v_mul_f64 v[184:185], v[194:195], v[186:187]
	s_delay_alu instid0(VALU_DEP_1) | instskip(SKIP_1) | instid1(VALU_DEP_2)
	v_fma_f64 v[184:185], v[192:193], v[200:201], -v[184:185]
	v_mul_f64 v[192:193], v[192:193], v[186:187]
	v_add_f64 v[64:65], v[64:65], -v[184:185]
	s_delay_alu instid0(VALU_DEP_2) | instskip(NEXT) | instid1(VALU_DEP_1)
	v_fma_f64 v[192:193], v[194:195], v[200:201], v[192:193]
	v_add_f64 v[66:67], v[66:67], -v[192:193]
	ds_load_2addr_b64 v[192:195], v202 offset0:64 offset1:65
	s_waitcnt lgkmcnt(0)
	v_mul_f64 v[184:185], v[194:195], v[186:187]
	s_delay_alu instid0(VALU_DEP_1) | instskip(SKIP_1) | instid1(VALU_DEP_2)
	v_fma_f64 v[184:185], v[192:193], v[200:201], -v[184:185]
	v_mul_f64 v[192:193], v[192:193], v[186:187]
	v_add_f64 v[60:61], v[60:61], -v[184:185]
	s_delay_alu instid0(VALU_DEP_2) | instskip(NEXT) | instid1(VALU_DEP_1)
	v_fma_f64 v[192:193], v[194:195], v[200:201], v[192:193]
	v_add_f64 v[62:63], v[62:63], -v[192:193]
	ds_load_2addr_b64 v[192:195], v202 offset0:66 offset1:67
	s_waitcnt lgkmcnt(0)
	v_mul_f64 v[184:185], v[194:195], v[186:187]
	s_delay_alu instid0(VALU_DEP_1) | instskip(SKIP_1) | instid1(VALU_DEP_2)
	v_fma_f64 v[184:185], v[192:193], v[200:201], -v[184:185]
	v_mul_f64 v[192:193], v[192:193], v[186:187]
	v_add_f64 v[56:57], v[56:57], -v[184:185]
	s_delay_alu instid0(VALU_DEP_2) | instskip(NEXT) | instid1(VALU_DEP_1)
	v_fma_f64 v[192:193], v[194:195], v[200:201], v[192:193]
	v_add_f64 v[58:59], v[58:59], -v[192:193]
	ds_load_2addr_b64 v[192:195], v202 offset0:68 offset1:69
	s_waitcnt lgkmcnt(0)
	v_mul_f64 v[184:185], v[194:195], v[186:187]
	s_delay_alu instid0(VALU_DEP_1) | instskip(SKIP_1) | instid1(VALU_DEP_2)
	v_fma_f64 v[184:185], v[192:193], v[200:201], -v[184:185]
	v_mul_f64 v[192:193], v[192:193], v[186:187]
	v_add_f64 v[52:53], v[52:53], -v[184:185]
	s_delay_alu instid0(VALU_DEP_2) | instskip(NEXT) | instid1(VALU_DEP_1)
	v_fma_f64 v[192:193], v[194:195], v[200:201], v[192:193]
	v_add_f64 v[54:55], v[54:55], -v[192:193]
	ds_load_2addr_b64 v[192:195], v202 offset0:70 offset1:71
	s_waitcnt lgkmcnt(0)
	v_mul_f64 v[184:185], v[194:195], v[186:187]
	s_delay_alu instid0(VALU_DEP_1) | instskip(SKIP_1) | instid1(VALU_DEP_2)
	v_fma_f64 v[184:185], v[192:193], v[200:201], -v[184:185]
	v_mul_f64 v[192:193], v[192:193], v[186:187]
	v_add_f64 v[48:49], v[48:49], -v[184:185]
	s_delay_alu instid0(VALU_DEP_2) | instskip(NEXT) | instid1(VALU_DEP_1)
	v_fma_f64 v[192:193], v[194:195], v[200:201], v[192:193]
	v_add_f64 v[50:51], v[50:51], -v[192:193]
	ds_load_2addr_b64 v[192:195], v202 offset0:72 offset1:73
	s_waitcnt lgkmcnt(0)
	v_mul_f64 v[184:185], v[194:195], v[186:187]
	s_delay_alu instid0(VALU_DEP_1) | instskip(SKIP_1) | instid1(VALU_DEP_2)
	v_fma_f64 v[184:185], v[192:193], v[200:201], -v[184:185]
	v_mul_f64 v[192:193], v[192:193], v[186:187]
	v_add_f64 v[44:45], v[44:45], -v[184:185]
	s_delay_alu instid0(VALU_DEP_2) | instskip(NEXT) | instid1(VALU_DEP_1)
	v_fma_f64 v[192:193], v[194:195], v[200:201], v[192:193]
	v_add_f64 v[46:47], v[46:47], -v[192:193]
	ds_load_2addr_b64 v[192:195], v202 offset0:74 offset1:75
	s_waitcnt lgkmcnt(0)
	v_mul_f64 v[184:185], v[194:195], v[186:187]
	s_delay_alu instid0(VALU_DEP_1) | instskip(SKIP_1) | instid1(VALU_DEP_2)
	v_fma_f64 v[184:185], v[192:193], v[200:201], -v[184:185]
	v_mul_f64 v[192:193], v[192:193], v[186:187]
	v_add_f64 v[40:41], v[40:41], -v[184:185]
	s_delay_alu instid0(VALU_DEP_2) | instskip(NEXT) | instid1(VALU_DEP_1)
	v_fma_f64 v[192:193], v[194:195], v[200:201], v[192:193]
	v_add_f64 v[42:43], v[42:43], -v[192:193]
	ds_load_2addr_b64 v[192:195], v202 offset0:76 offset1:77
	s_waitcnt lgkmcnt(0)
	v_mul_f64 v[184:185], v[194:195], v[186:187]
	s_delay_alu instid0(VALU_DEP_1) | instskip(SKIP_1) | instid1(VALU_DEP_2)
	v_fma_f64 v[184:185], v[192:193], v[200:201], -v[184:185]
	v_mul_f64 v[192:193], v[192:193], v[186:187]
	v_add_f64 v[36:37], v[36:37], -v[184:185]
	s_delay_alu instid0(VALU_DEP_2) | instskip(NEXT) | instid1(VALU_DEP_1)
	v_fma_f64 v[192:193], v[194:195], v[200:201], v[192:193]
	v_add_f64 v[38:39], v[38:39], -v[192:193]
	ds_load_2addr_b64 v[192:195], v202 offset0:78 offset1:79
	s_waitcnt lgkmcnt(0)
	v_mul_f64 v[184:185], v[194:195], v[186:187]
	s_delay_alu instid0(VALU_DEP_1) | instskip(SKIP_1) | instid1(VALU_DEP_2)
	v_fma_f64 v[184:185], v[192:193], v[200:201], -v[184:185]
	v_mul_f64 v[192:193], v[192:193], v[186:187]
	v_add_f64 v[32:33], v[32:33], -v[184:185]
	s_delay_alu instid0(VALU_DEP_2) | instskip(NEXT) | instid1(VALU_DEP_1)
	v_fma_f64 v[192:193], v[194:195], v[200:201], v[192:193]
	v_add_f64 v[34:35], v[34:35], -v[192:193]
	ds_load_2addr_b64 v[192:195], v202 offset0:80 offset1:81
	s_waitcnt lgkmcnt(0)
	v_mul_f64 v[184:185], v[194:195], v[186:187]
	s_delay_alu instid0(VALU_DEP_1) | instskip(SKIP_1) | instid1(VALU_DEP_2)
	v_fma_f64 v[184:185], v[192:193], v[200:201], -v[184:185]
	v_mul_f64 v[192:193], v[192:193], v[186:187]
	v_add_f64 v[28:29], v[28:29], -v[184:185]
	s_delay_alu instid0(VALU_DEP_2) | instskip(NEXT) | instid1(VALU_DEP_1)
	v_fma_f64 v[192:193], v[194:195], v[200:201], v[192:193]
	v_add_f64 v[30:31], v[30:31], -v[192:193]
	ds_load_2addr_b64 v[192:195], v202 offset0:82 offset1:83
	s_waitcnt lgkmcnt(0)
	v_mul_f64 v[184:185], v[194:195], v[186:187]
	s_delay_alu instid0(VALU_DEP_1) | instskip(SKIP_1) | instid1(VALU_DEP_2)
	v_fma_f64 v[184:185], v[192:193], v[200:201], -v[184:185]
	v_mul_f64 v[192:193], v[192:193], v[186:187]
	v_add_f64 v[24:25], v[24:25], -v[184:185]
	s_delay_alu instid0(VALU_DEP_2) | instskip(NEXT) | instid1(VALU_DEP_1)
	v_fma_f64 v[192:193], v[194:195], v[200:201], v[192:193]
	v_add_f64 v[26:27], v[26:27], -v[192:193]
	ds_load_2addr_b64 v[192:195], v202 offset0:84 offset1:85
	s_waitcnt lgkmcnt(0)
	v_mul_f64 v[184:185], v[194:195], v[186:187]
	s_delay_alu instid0(VALU_DEP_1) | instskip(SKIP_1) | instid1(VALU_DEP_2)
	v_fma_f64 v[184:185], v[192:193], v[200:201], -v[184:185]
	v_mul_f64 v[192:193], v[192:193], v[186:187]
	v_add_f64 v[20:21], v[20:21], -v[184:185]
	s_delay_alu instid0(VALU_DEP_2) | instskip(NEXT) | instid1(VALU_DEP_1)
	v_fma_f64 v[192:193], v[194:195], v[200:201], v[192:193]
	v_add_f64 v[22:23], v[22:23], -v[192:193]
	ds_load_2addr_b64 v[192:195], v202 offset0:86 offset1:87
	s_waitcnt lgkmcnt(0)
	v_mul_f64 v[184:185], v[194:195], v[186:187]
	s_delay_alu instid0(VALU_DEP_1) | instskip(SKIP_1) | instid1(VALU_DEP_2)
	v_fma_f64 v[184:185], v[192:193], v[200:201], -v[184:185]
	v_mul_f64 v[192:193], v[192:193], v[186:187]
	v_add_f64 v[16:17], v[16:17], -v[184:185]
	s_delay_alu instid0(VALU_DEP_2) | instskip(NEXT) | instid1(VALU_DEP_1)
	v_fma_f64 v[192:193], v[194:195], v[200:201], v[192:193]
	v_add_f64 v[18:19], v[18:19], -v[192:193]
	ds_load_2addr_b64 v[192:195], v202 offset0:88 offset1:89
	s_waitcnt lgkmcnt(0)
	v_mul_f64 v[184:185], v[194:195], v[186:187]
	s_delay_alu instid0(VALU_DEP_1) | instskip(SKIP_1) | instid1(VALU_DEP_2)
	v_fma_f64 v[184:185], v[192:193], v[200:201], -v[184:185]
	v_mul_f64 v[192:193], v[192:193], v[186:187]
	v_add_f64 v[12:13], v[12:13], -v[184:185]
	s_delay_alu instid0(VALU_DEP_2) | instskip(NEXT) | instid1(VALU_DEP_1)
	v_fma_f64 v[192:193], v[194:195], v[200:201], v[192:193]
	v_add_f64 v[14:15], v[14:15], -v[192:193]
	ds_load_2addr_b64 v[192:195], v202 offset0:90 offset1:91
	s_waitcnt lgkmcnt(0)
	v_mul_f64 v[184:185], v[194:195], v[186:187]
	s_delay_alu instid0(VALU_DEP_1) | instskip(SKIP_1) | instid1(VALU_DEP_2)
	v_fma_f64 v[184:185], v[192:193], v[200:201], -v[184:185]
	v_mul_f64 v[192:193], v[192:193], v[186:187]
	v_add_f64 v[8:9], v[8:9], -v[184:185]
	s_delay_alu instid0(VALU_DEP_2) | instskip(NEXT) | instid1(VALU_DEP_1)
	v_fma_f64 v[192:193], v[194:195], v[200:201], v[192:193]
	v_add_f64 v[10:11], v[10:11], -v[192:193]
	ds_load_2addr_b64 v[192:195], v202 offset0:92 offset1:93
	s_waitcnt lgkmcnt(0)
	v_mul_f64 v[184:185], v[194:195], v[186:187]
	s_delay_alu instid0(VALU_DEP_1) | instskip(SKIP_1) | instid1(VALU_DEP_2)
	v_fma_f64 v[184:185], v[192:193], v[200:201], -v[184:185]
	v_mul_f64 v[192:193], v[192:193], v[186:187]
	v_add_f64 v[4:5], v[4:5], -v[184:185]
	s_delay_alu instid0(VALU_DEP_2) | instskip(NEXT) | instid1(VALU_DEP_1)
	v_fma_f64 v[192:193], v[194:195], v[200:201], v[192:193]
	v_add_f64 v[6:7], v[6:7], -v[192:193]
	ds_load_2addr_b64 v[192:195], v202 offset0:94 offset1:95
	s_waitcnt lgkmcnt(0)
	v_mul_f64 v[184:185], v[194:195], v[186:187]
	s_delay_alu instid0(VALU_DEP_1) | instskip(SKIP_1) | instid1(VALU_DEP_2)
	v_fma_f64 v[184:185], v[192:193], v[200:201], -v[184:185]
	v_mul_f64 v[192:193], v[192:193], v[186:187]
	v_add_f64 v[0:1], v[0:1], -v[184:185]
	s_delay_alu instid0(VALU_DEP_2) | instskip(SKIP_1) | instid1(VALU_DEP_2)
	v_fma_f64 v[192:193], v[194:195], v[200:201], v[192:193]
	v_dual_mov_b32 v184, v200 :: v_dual_mov_b32 v185, v201
	v_add_f64 v[2:3], v[2:3], -v[192:193]
.LBB94_62:
	s_or_b32 exec_lo, exec_lo, s2
	v_lshl_add_u32 v192, v208, 4, v202
	s_barrier
	buffer_gl0_inv
	v_mov_b32_e32 v200, 3
	ds_store_2addr_b64 v192, v[176:177], v[178:179] offset1:1
	s_waitcnt lgkmcnt(0)
	s_barrier
	buffer_gl0_inv
	ds_load_2addr_b64 v[192:195], v202 offset0:6 offset1:7
	s_cmp_lt_i32 s5, 5
	s_mov_b32 s6, 4
	s_cbranch_scc1 .LBB94_65
; %bb.63:
	v_add3_u32 v201, v207, 0, 64
	v_mov_b32_e32 v200, 3
	s_set_inst_prefetch_distance 0x1
	.p2align	6
.LBB94_64:                              ; =>This Inner Loop Header: Depth=1
	ds_load_2addr_b64 v[209:212], v201 offset1:1
	s_waitcnt lgkmcnt(1)
	v_cmp_gt_f64_e32 vcc_lo, 0, v[192:193]
	v_xor_b32_e32 v213, 0x80000000, v193
	v_cmp_gt_f64_e64 s2, 0, v[194:195]
	v_xor_b32_e32 v215, 0x80000000, v195
	v_add_nc_u32_e32 v201, 16, v201
	s_waitcnt lgkmcnt(0)
	v_cmp_gt_f64_e64 s3, 0, v[209:210]
	v_mov_b32_e32 v217, v209
	v_dual_mov_b32 v219, v211 :: v_dual_cndmask_b32 v214, v193, v213
	v_xor_b32_e32 v213, 0x80000000, v210
	v_cndmask_b32_e64 v216, v195, v215, s2
	v_xor_b32_e32 v215, 0x80000000, v212
	s_delay_alu instid0(VALU_DEP_3) | instskip(SKIP_2) | instid1(VALU_DEP_2)
	v_cndmask_b32_e64 v218, v210, v213, s3
	v_cmp_gt_f64_e64 s3, 0, v[211:212]
	v_cndmask_b32_e32 v213, v192, v192, vcc_lo
	v_cndmask_b32_e64 v220, v212, v215, s3
	v_cndmask_b32_e64 v215, v194, v194, s2
	s_delay_alu instid0(VALU_DEP_2) | instskip(NEXT) | instid1(VALU_DEP_2)
	v_add_f64 v[217:218], v[217:218], v[219:220]
	v_add_f64 v[213:214], v[213:214], v[215:216]
	s_delay_alu instid0(VALU_DEP_1) | instskip(SKIP_4) | instid1(SALU_CYCLE_1)
	v_cmp_lt_f64_e32 vcc_lo, v[213:214], v[217:218]
	v_dual_cndmask_b32 v194, v194, v211 :: v_dual_cndmask_b32 v193, v193, v210
	v_dual_cndmask_b32 v192, v192, v209 :: v_dual_cndmask_b32 v195, v195, v212
	v_cndmask_b32_e64 v200, v200, s6, vcc_lo
	s_add_i32 s6, s6, 1
	s_cmp_lg_u32 s5, s6
	s_cbranch_scc1 .LBB94_64
.LBB94_65:
	s_set_inst_prefetch_distance 0x2
	s_waitcnt lgkmcnt(0)
	v_cmp_eq_f64_e32 vcc_lo, 0, v[192:193]
	v_cmp_eq_f64_e64 s2, 0, v[194:195]
	s_delay_alu instid0(VALU_DEP_1) | instskip(NEXT) | instid1(SALU_CYCLE_1)
	s_and_b32 s2, vcc_lo, s2
	s_and_saveexec_b32 s3, s2
	s_delay_alu instid0(SALU_CYCLE_1)
	s_xor_b32 s2, exec_lo, s3
; %bb.66:
	v_cmp_ne_u32_e32 vcc_lo, 0, v205
	v_cndmask_b32_e32 v205, 4, v205, vcc_lo
; %bb.67:
	s_and_not1_saveexec_b32 s3, s2
	s_cbranch_execz .LBB94_73
; %bb.68:
	v_cmp_gt_f64_e32 vcc_lo, 0, v[192:193]
	v_cmp_gt_f64_e64 s2, 0, v[194:195]
	v_xor_b32_e32 v201, 0x80000000, v193
	v_xor_b32_e32 v209, 0x80000000, v195
	s_delay_alu instid0(VALU_DEP_2) | instskip(NEXT) | instid1(VALU_DEP_2)
	v_cndmask_b32_e32 v210, v193, v201, vcc_lo
	v_cndmask_b32_e64 v212, v195, v209, s2
	v_cndmask_b32_e32 v209, v192, v192, vcc_lo
	v_cndmask_b32_e64 v211, v194, v194, s2
	s_mov_b32 s2, exec_lo
	s_delay_alu instid0(VALU_DEP_1)
	v_cmpx_ngt_f64_e32 v[209:210], v[211:212]
	s_xor_b32 s2, exec_lo, s2
	s_cbranch_execz .LBB94_70
; %bb.69:
	v_div_scale_f64 v[209:210], null, v[194:195], v[194:195], v[192:193]
	v_div_scale_f64 v[215:216], vcc_lo, v[192:193], v[194:195], v[192:193]
	s_delay_alu instid0(VALU_DEP_2) | instskip(SKIP_2) | instid1(VALU_DEP_1)
	v_rcp_f64_e32 v[211:212], v[209:210]
	s_waitcnt_depctr 0xfff
	v_fma_f64 v[213:214], -v[209:210], v[211:212], 1.0
	v_fma_f64 v[211:212], v[211:212], v[213:214], v[211:212]
	s_delay_alu instid0(VALU_DEP_1) | instskip(NEXT) | instid1(VALU_DEP_1)
	v_fma_f64 v[213:214], -v[209:210], v[211:212], 1.0
	v_fma_f64 v[211:212], v[211:212], v[213:214], v[211:212]
	s_delay_alu instid0(VALU_DEP_1) | instskip(NEXT) | instid1(VALU_DEP_1)
	v_mul_f64 v[213:214], v[215:216], v[211:212]
	v_fma_f64 v[209:210], -v[209:210], v[213:214], v[215:216]
	s_delay_alu instid0(VALU_DEP_1) | instskip(NEXT) | instid1(VALU_DEP_1)
	v_div_fmas_f64 v[209:210], v[209:210], v[211:212], v[213:214]
	v_div_fixup_f64 v[209:210], v[209:210], v[194:195], v[192:193]
	s_delay_alu instid0(VALU_DEP_1) | instskip(NEXT) | instid1(VALU_DEP_1)
	v_fma_f64 v[192:193], v[192:193], v[209:210], v[194:195]
	v_div_scale_f64 v[194:195], null, v[192:193], v[192:193], 1.0
	s_delay_alu instid0(VALU_DEP_1) | instskip(SKIP_2) | instid1(VALU_DEP_1)
	v_rcp_f64_e32 v[211:212], v[194:195]
	s_waitcnt_depctr 0xfff
	v_fma_f64 v[213:214], -v[194:195], v[211:212], 1.0
	v_fma_f64 v[211:212], v[211:212], v[213:214], v[211:212]
	s_delay_alu instid0(VALU_DEP_1) | instskip(NEXT) | instid1(VALU_DEP_1)
	v_fma_f64 v[213:214], -v[194:195], v[211:212], 1.0
	v_fma_f64 v[211:212], v[211:212], v[213:214], v[211:212]
	v_div_scale_f64 v[213:214], vcc_lo, 1.0, v[192:193], 1.0
	s_delay_alu instid0(VALU_DEP_1) | instskip(NEXT) | instid1(VALU_DEP_1)
	v_mul_f64 v[215:216], v[213:214], v[211:212]
	v_fma_f64 v[194:195], -v[194:195], v[215:216], v[213:214]
	s_delay_alu instid0(VALU_DEP_1) | instskip(NEXT) | instid1(VALU_DEP_1)
	v_div_fmas_f64 v[194:195], v[194:195], v[211:212], v[215:216]
	v_div_fixup_f64 v[194:195], v[194:195], v[192:193], 1.0
	s_delay_alu instid0(VALU_DEP_1)
	v_mul_f64 v[192:193], v[209:210], v[194:195]
	v_xor_b32_e32 v195, 0x80000000, v195
.LBB94_70:
	s_and_not1_saveexec_b32 s2, s2
	s_cbranch_execz .LBB94_72
; %bb.71:
	s_delay_alu instid0(VALU_DEP_1) | instskip(SKIP_1) | instid1(VALU_DEP_2)
	v_div_scale_f64 v[209:210], null, v[192:193], v[192:193], v[194:195]
	v_div_scale_f64 v[215:216], vcc_lo, v[194:195], v[192:193], v[194:195]
	v_rcp_f64_e32 v[211:212], v[209:210]
	s_waitcnt_depctr 0xfff
	v_fma_f64 v[213:214], -v[209:210], v[211:212], 1.0
	s_delay_alu instid0(VALU_DEP_1) | instskip(NEXT) | instid1(VALU_DEP_1)
	v_fma_f64 v[211:212], v[211:212], v[213:214], v[211:212]
	v_fma_f64 v[213:214], -v[209:210], v[211:212], 1.0
	s_delay_alu instid0(VALU_DEP_1) | instskip(NEXT) | instid1(VALU_DEP_1)
	v_fma_f64 v[211:212], v[211:212], v[213:214], v[211:212]
	v_mul_f64 v[213:214], v[215:216], v[211:212]
	s_delay_alu instid0(VALU_DEP_1) | instskip(NEXT) | instid1(VALU_DEP_1)
	v_fma_f64 v[209:210], -v[209:210], v[213:214], v[215:216]
	v_div_fmas_f64 v[209:210], v[209:210], v[211:212], v[213:214]
	s_delay_alu instid0(VALU_DEP_1) | instskip(NEXT) | instid1(VALU_DEP_1)
	v_div_fixup_f64 v[209:210], v[209:210], v[192:193], v[194:195]
	v_fma_f64 v[192:193], v[194:195], v[209:210], v[192:193]
	s_delay_alu instid0(VALU_DEP_1) | instskip(NEXT) | instid1(VALU_DEP_1)
	v_div_scale_f64 v[194:195], null, v[192:193], v[192:193], 1.0
	v_rcp_f64_e32 v[211:212], v[194:195]
	s_waitcnt_depctr 0xfff
	v_fma_f64 v[213:214], -v[194:195], v[211:212], 1.0
	s_delay_alu instid0(VALU_DEP_1) | instskip(NEXT) | instid1(VALU_DEP_1)
	v_fma_f64 v[211:212], v[211:212], v[213:214], v[211:212]
	v_fma_f64 v[213:214], -v[194:195], v[211:212], 1.0
	s_delay_alu instid0(VALU_DEP_1) | instskip(SKIP_1) | instid1(VALU_DEP_1)
	v_fma_f64 v[211:212], v[211:212], v[213:214], v[211:212]
	v_div_scale_f64 v[213:214], vcc_lo, 1.0, v[192:193], 1.0
	v_mul_f64 v[215:216], v[213:214], v[211:212]
	s_delay_alu instid0(VALU_DEP_1) | instskip(NEXT) | instid1(VALU_DEP_1)
	v_fma_f64 v[194:195], -v[194:195], v[215:216], v[213:214]
	v_div_fmas_f64 v[194:195], v[194:195], v[211:212], v[215:216]
	s_delay_alu instid0(VALU_DEP_1) | instskip(NEXT) | instid1(VALU_DEP_1)
	v_div_fixup_f64 v[192:193], v[194:195], v[192:193], 1.0
	v_mul_f64 v[194:195], v[209:210], -v[192:193]
.LBB94_72:
	s_or_b32 exec_lo, exec_lo, s2
.LBB94_73:
	s_delay_alu instid0(SALU_CYCLE_1) | instskip(NEXT) | instid1(SALU_CYCLE_1)
	s_or_b32 exec_lo, exec_lo, s3
	s_mov_b32 s2, exec_lo
	v_cmpx_ne_u32_e64 v208, v200
	s_xor_b32 s2, exec_lo, s2
	s_cbranch_execz .LBB94_79
; %bb.74:
	s_mov_b32 s3, exec_lo
	v_cmpx_eq_u32_e32 3, v208
	s_cbranch_execz .LBB94_78
; %bb.75:
	v_cmp_ne_u32_e32 vcc_lo, 3, v200
	s_xor_b32 s6, s4, -1
	s_delay_alu instid0(SALU_CYCLE_1) | instskip(NEXT) | instid1(SALU_CYCLE_1)
	s_and_b32 s7, s6, vcc_lo
	s_and_saveexec_b32 s6, s7
	s_cbranch_execz .LBB94_77
; %bb.76:
	v_ashrrev_i32_e32 v201, 31, v200
	s_delay_alu instid0(VALU_DEP_1) | instskip(NEXT) | instid1(VALU_DEP_1)
	v_lshlrev_b64 v[208:209], 2, v[200:201]
	v_add_co_u32 v208, vcc_lo, v198, v208
	s_delay_alu instid0(VALU_DEP_2)
	v_add_co_ci_u32_e32 v209, vcc_lo, v199, v209, vcc_lo
	s_clause 0x1
	flat_load_b32 v201, v[208:209]
	flat_load_b32 v206, v[198:199] offset:12
	s_waitcnt vmcnt(1) lgkmcnt(1)
	flat_store_b32 v[198:199], v201 offset:12
	s_waitcnt vmcnt(0) lgkmcnt(1)
	flat_store_b32 v[208:209], v206
.LBB94_77:
	s_or_b32 exec_lo, exec_lo, s6
	v_mov_b32_e32 v208, v200
	v_mov_b32_e32 v206, v200
.LBB94_78:
	s_or_b32 exec_lo, exec_lo, s3
.LBB94_79:
	s_and_not1_saveexec_b32 s2, s2
	s_cbranch_execz .LBB94_81
; %bb.80:
	v_mov_b32_e32 v208, 3
	ds_store_2addr_b64 v202, v[172:173], v[174:175] offset0:8 offset1:9
	ds_store_2addr_b64 v202, v[168:169], v[170:171] offset0:10 offset1:11
	;; [unrolled: 1-line block ×44, first 2 shown]
.LBB94_81:
	s_or_b32 exec_lo, exec_lo, s2
	s_delay_alu instid0(SALU_CYCLE_1)
	s_mov_b32 s2, exec_lo
	s_waitcnt lgkmcnt(0)
	s_waitcnt_vscnt null, 0x0
	s_barrier
	buffer_gl0_inv
	v_cmpx_lt_i32_e32 3, v208
	s_cbranch_execz .LBB94_83
; %bb.82:
	v_mul_f64 v[200:201], v[194:195], v[178:179]
	v_mul_f64 v[178:179], v[192:193], v[178:179]
	s_delay_alu instid0(VALU_DEP_2) | instskip(NEXT) | instid1(VALU_DEP_2)
	v_fma_f64 v[200:201], v[192:193], v[176:177], -v[200:201]
	v_fma_f64 v[178:179], v[194:195], v[176:177], v[178:179]
	ds_load_2addr_b64 v[192:195], v202 offset0:8 offset1:9
	s_waitcnt lgkmcnt(0)
	v_mul_f64 v[176:177], v[194:195], v[178:179]
	s_delay_alu instid0(VALU_DEP_1) | instskip(SKIP_1) | instid1(VALU_DEP_2)
	v_fma_f64 v[176:177], v[192:193], v[200:201], -v[176:177]
	v_mul_f64 v[192:193], v[192:193], v[178:179]
	v_add_f64 v[172:173], v[172:173], -v[176:177]
	s_delay_alu instid0(VALU_DEP_2) | instskip(NEXT) | instid1(VALU_DEP_1)
	v_fma_f64 v[192:193], v[194:195], v[200:201], v[192:193]
	v_add_f64 v[174:175], v[174:175], -v[192:193]
	ds_load_2addr_b64 v[192:195], v202 offset0:10 offset1:11
	s_waitcnt lgkmcnt(0)
	v_mul_f64 v[176:177], v[194:195], v[178:179]
	s_delay_alu instid0(VALU_DEP_1) | instskip(SKIP_1) | instid1(VALU_DEP_2)
	v_fma_f64 v[176:177], v[192:193], v[200:201], -v[176:177]
	v_mul_f64 v[192:193], v[192:193], v[178:179]
	v_add_f64 v[168:169], v[168:169], -v[176:177]
	s_delay_alu instid0(VALU_DEP_2) | instskip(NEXT) | instid1(VALU_DEP_1)
	v_fma_f64 v[192:193], v[194:195], v[200:201], v[192:193]
	v_add_f64 v[170:171], v[170:171], -v[192:193]
	;; [unrolled: 10-line block ×43, first 2 shown]
	ds_load_2addr_b64 v[192:195], v202 offset0:94 offset1:95
	s_waitcnt lgkmcnt(0)
	v_mul_f64 v[176:177], v[194:195], v[178:179]
	s_delay_alu instid0(VALU_DEP_1) | instskip(SKIP_1) | instid1(VALU_DEP_2)
	v_fma_f64 v[176:177], v[192:193], v[200:201], -v[176:177]
	v_mul_f64 v[192:193], v[192:193], v[178:179]
	v_add_f64 v[0:1], v[0:1], -v[176:177]
	s_delay_alu instid0(VALU_DEP_2) | instskip(SKIP_1) | instid1(VALU_DEP_2)
	v_fma_f64 v[192:193], v[194:195], v[200:201], v[192:193]
	v_dual_mov_b32 v176, v200 :: v_dual_mov_b32 v177, v201
	v_add_f64 v[2:3], v[2:3], -v[192:193]
.LBB94_83:
	s_or_b32 exec_lo, exec_lo, s2
	v_lshl_add_u32 v192, v208, 4, v202
	s_barrier
	buffer_gl0_inv
	v_mov_b32_e32 v200, 4
	ds_store_2addr_b64 v192, v[172:173], v[174:175] offset1:1
	s_waitcnt lgkmcnt(0)
	s_barrier
	buffer_gl0_inv
	ds_load_2addr_b64 v[192:195], v202 offset0:8 offset1:9
	s_cmp_lt_i32 s5, 6
	s_cbranch_scc1 .LBB94_86
; %bb.84:
	v_add3_u32 v201, v207, 0, 0x50
	v_mov_b32_e32 v200, 4
	s_mov_b32 s6, 5
	s_set_inst_prefetch_distance 0x1
	.p2align	6
.LBB94_85:                              ; =>This Inner Loop Header: Depth=1
	ds_load_2addr_b64 v[209:212], v201 offset1:1
	s_waitcnt lgkmcnt(1)
	v_cmp_gt_f64_e32 vcc_lo, 0, v[192:193]
	v_xor_b32_e32 v213, 0x80000000, v193
	v_cmp_gt_f64_e64 s2, 0, v[194:195]
	v_xor_b32_e32 v215, 0x80000000, v195
	v_add_nc_u32_e32 v201, 16, v201
	s_waitcnt lgkmcnt(0)
	v_cmp_gt_f64_e64 s3, 0, v[209:210]
	v_mov_b32_e32 v217, v209
	v_dual_mov_b32 v219, v211 :: v_dual_cndmask_b32 v214, v193, v213
	v_xor_b32_e32 v213, 0x80000000, v210
	v_cndmask_b32_e64 v216, v195, v215, s2
	v_xor_b32_e32 v215, 0x80000000, v212
	s_delay_alu instid0(VALU_DEP_3) | instskip(SKIP_2) | instid1(VALU_DEP_2)
	v_cndmask_b32_e64 v218, v210, v213, s3
	v_cmp_gt_f64_e64 s3, 0, v[211:212]
	v_cndmask_b32_e32 v213, v192, v192, vcc_lo
	v_cndmask_b32_e64 v220, v212, v215, s3
	v_cndmask_b32_e64 v215, v194, v194, s2
	s_delay_alu instid0(VALU_DEP_2) | instskip(NEXT) | instid1(VALU_DEP_2)
	v_add_f64 v[217:218], v[217:218], v[219:220]
	v_add_f64 v[213:214], v[213:214], v[215:216]
	s_delay_alu instid0(VALU_DEP_1) | instskip(SKIP_4) | instid1(SALU_CYCLE_1)
	v_cmp_lt_f64_e32 vcc_lo, v[213:214], v[217:218]
	v_dual_cndmask_b32 v194, v194, v211 :: v_dual_cndmask_b32 v193, v193, v210
	v_dual_cndmask_b32 v192, v192, v209 :: v_dual_cndmask_b32 v195, v195, v212
	v_cndmask_b32_e64 v200, v200, s6, vcc_lo
	s_add_i32 s6, s6, 1
	s_cmp_lg_u32 s5, s6
	s_cbranch_scc1 .LBB94_85
.LBB94_86:
	s_set_inst_prefetch_distance 0x2
	s_waitcnt lgkmcnt(0)
	v_cmp_eq_f64_e32 vcc_lo, 0, v[192:193]
	v_cmp_eq_f64_e64 s2, 0, v[194:195]
	s_delay_alu instid0(VALU_DEP_1) | instskip(NEXT) | instid1(SALU_CYCLE_1)
	s_and_b32 s2, vcc_lo, s2
	s_and_saveexec_b32 s3, s2
	s_delay_alu instid0(SALU_CYCLE_1)
	s_xor_b32 s2, exec_lo, s3
; %bb.87:
	v_cmp_ne_u32_e32 vcc_lo, 0, v205
	v_cndmask_b32_e32 v205, 5, v205, vcc_lo
; %bb.88:
	s_and_not1_saveexec_b32 s3, s2
	s_cbranch_execz .LBB94_94
; %bb.89:
	v_cmp_gt_f64_e32 vcc_lo, 0, v[192:193]
	v_cmp_gt_f64_e64 s2, 0, v[194:195]
	v_xor_b32_e32 v201, 0x80000000, v193
	v_xor_b32_e32 v209, 0x80000000, v195
	s_delay_alu instid0(VALU_DEP_2) | instskip(NEXT) | instid1(VALU_DEP_2)
	v_cndmask_b32_e32 v210, v193, v201, vcc_lo
	v_cndmask_b32_e64 v212, v195, v209, s2
	v_cndmask_b32_e32 v209, v192, v192, vcc_lo
	v_cndmask_b32_e64 v211, v194, v194, s2
	s_mov_b32 s2, exec_lo
	s_delay_alu instid0(VALU_DEP_1)
	v_cmpx_ngt_f64_e32 v[209:210], v[211:212]
	s_xor_b32 s2, exec_lo, s2
	s_cbranch_execz .LBB94_91
; %bb.90:
	v_div_scale_f64 v[209:210], null, v[194:195], v[194:195], v[192:193]
	v_div_scale_f64 v[215:216], vcc_lo, v[192:193], v[194:195], v[192:193]
	s_delay_alu instid0(VALU_DEP_2) | instskip(SKIP_2) | instid1(VALU_DEP_1)
	v_rcp_f64_e32 v[211:212], v[209:210]
	s_waitcnt_depctr 0xfff
	v_fma_f64 v[213:214], -v[209:210], v[211:212], 1.0
	v_fma_f64 v[211:212], v[211:212], v[213:214], v[211:212]
	s_delay_alu instid0(VALU_DEP_1) | instskip(NEXT) | instid1(VALU_DEP_1)
	v_fma_f64 v[213:214], -v[209:210], v[211:212], 1.0
	v_fma_f64 v[211:212], v[211:212], v[213:214], v[211:212]
	s_delay_alu instid0(VALU_DEP_1) | instskip(NEXT) | instid1(VALU_DEP_1)
	v_mul_f64 v[213:214], v[215:216], v[211:212]
	v_fma_f64 v[209:210], -v[209:210], v[213:214], v[215:216]
	s_delay_alu instid0(VALU_DEP_1) | instskip(NEXT) | instid1(VALU_DEP_1)
	v_div_fmas_f64 v[209:210], v[209:210], v[211:212], v[213:214]
	v_div_fixup_f64 v[209:210], v[209:210], v[194:195], v[192:193]
	s_delay_alu instid0(VALU_DEP_1) | instskip(NEXT) | instid1(VALU_DEP_1)
	v_fma_f64 v[192:193], v[192:193], v[209:210], v[194:195]
	v_div_scale_f64 v[194:195], null, v[192:193], v[192:193], 1.0
	s_delay_alu instid0(VALU_DEP_1) | instskip(SKIP_2) | instid1(VALU_DEP_1)
	v_rcp_f64_e32 v[211:212], v[194:195]
	s_waitcnt_depctr 0xfff
	v_fma_f64 v[213:214], -v[194:195], v[211:212], 1.0
	v_fma_f64 v[211:212], v[211:212], v[213:214], v[211:212]
	s_delay_alu instid0(VALU_DEP_1) | instskip(NEXT) | instid1(VALU_DEP_1)
	v_fma_f64 v[213:214], -v[194:195], v[211:212], 1.0
	v_fma_f64 v[211:212], v[211:212], v[213:214], v[211:212]
	v_div_scale_f64 v[213:214], vcc_lo, 1.0, v[192:193], 1.0
	s_delay_alu instid0(VALU_DEP_1) | instskip(NEXT) | instid1(VALU_DEP_1)
	v_mul_f64 v[215:216], v[213:214], v[211:212]
	v_fma_f64 v[194:195], -v[194:195], v[215:216], v[213:214]
	s_delay_alu instid0(VALU_DEP_1) | instskip(NEXT) | instid1(VALU_DEP_1)
	v_div_fmas_f64 v[194:195], v[194:195], v[211:212], v[215:216]
	v_div_fixup_f64 v[194:195], v[194:195], v[192:193], 1.0
	s_delay_alu instid0(VALU_DEP_1)
	v_mul_f64 v[192:193], v[209:210], v[194:195]
	v_xor_b32_e32 v195, 0x80000000, v195
.LBB94_91:
	s_and_not1_saveexec_b32 s2, s2
	s_cbranch_execz .LBB94_93
; %bb.92:
	s_delay_alu instid0(VALU_DEP_1) | instskip(SKIP_1) | instid1(VALU_DEP_2)
	v_div_scale_f64 v[209:210], null, v[192:193], v[192:193], v[194:195]
	v_div_scale_f64 v[215:216], vcc_lo, v[194:195], v[192:193], v[194:195]
	v_rcp_f64_e32 v[211:212], v[209:210]
	s_waitcnt_depctr 0xfff
	v_fma_f64 v[213:214], -v[209:210], v[211:212], 1.0
	s_delay_alu instid0(VALU_DEP_1) | instskip(NEXT) | instid1(VALU_DEP_1)
	v_fma_f64 v[211:212], v[211:212], v[213:214], v[211:212]
	v_fma_f64 v[213:214], -v[209:210], v[211:212], 1.0
	s_delay_alu instid0(VALU_DEP_1) | instskip(NEXT) | instid1(VALU_DEP_1)
	v_fma_f64 v[211:212], v[211:212], v[213:214], v[211:212]
	v_mul_f64 v[213:214], v[215:216], v[211:212]
	s_delay_alu instid0(VALU_DEP_1) | instskip(NEXT) | instid1(VALU_DEP_1)
	v_fma_f64 v[209:210], -v[209:210], v[213:214], v[215:216]
	v_div_fmas_f64 v[209:210], v[209:210], v[211:212], v[213:214]
	s_delay_alu instid0(VALU_DEP_1) | instskip(NEXT) | instid1(VALU_DEP_1)
	v_div_fixup_f64 v[209:210], v[209:210], v[192:193], v[194:195]
	v_fma_f64 v[192:193], v[194:195], v[209:210], v[192:193]
	s_delay_alu instid0(VALU_DEP_1) | instskip(NEXT) | instid1(VALU_DEP_1)
	v_div_scale_f64 v[194:195], null, v[192:193], v[192:193], 1.0
	v_rcp_f64_e32 v[211:212], v[194:195]
	s_waitcnt_depctr 0xfff
	v_fma_f64 v[213:214], -v[194:195], v[211:212], 1.0
	s_delay_alu instid0(VALU_DEP_1) | instskip(NEXT) | instid1(VALU_DEP_1)
	v_fma_f64 v[211:212], v[211:212], v[213:214], v[211:212]
	v_fma_f64 v[213:214], -v[194:195], v[211:212], 1.0
	s_delay_alu instid0(VALU_DEP_1) | instskip(SKIP_1) | instid1(VALU_DEP_1)
	v_fma_f64 v[211:212], v[211:212], v[213:214], v[211:212]
	v_div_scale_f64 v[213:214], vcc_lo, 1.0, v[192:193], 1.0
	v_mul_f64 v[215:216], v[213:214], v[211:212]
	s_delay_alu instid0(VALU_DEP_1) | instskip(NEXT) | instid1(VALU_DEP_1)
	v_fma_f64 v[194:195], -v[194:195], v[215:216], v[213:214]
	v_div_fmas_f64 v[194:195], v[194:195], v[211:212], v[215:216]
	s_delay_alu instid0(VALU_DEP_1) | instskip(NEXT) | instid1(VALU_DEP_1)
	v_div_fixup_f64 v[192:193], v[194:195], v[192:193], 1.0
	v_mul_f64 v[194:195], v[209:210], -v[192:193]
.LBB94_93:
	s_or_b32 exec_lo, exec_lo, s2
.LBB94_94:
	s_delay_alu instid0(SALU_CYCLE_1) | instskip(NEXT) | instid1(SALU_CYCLE_1)
	s_or_b32 exec_lo, exec_lo, s3
	s_mov_b32 s2, exec_lo
	v_cmpx_ne_u32_e64 v208, v200
	s_xor_b32 s2, exec_lo, s2
	s_cbranch_execz .LBB94_100
; %bb.95:
	s_mov_b32 s3, exec_lo
	v_cmpx_eq_u32_e32 4, v208
	s_cbranch_execz .LBB94_99
; %bb.96:
	v_cmp_ne_u32_e32 vcc_lo, 4, v200
	s_xor_b32 s6, s4, -1
	s_delay_alu instid0(SALU_CYCLE_1) | instskip(NEXT) | instid1(SALU_CYCLE_1)
	s_and_b32 s7, s6, vcc_lo
	s_and_saveexec_b32 s6, s7
	s_cbranch_execz .LBB94_98
; %bb.97:
	v_ashrrev_i32_e32 v201, 31, v200
	s_delay_alu instid0(VALU_DEP_1) | instskip(NEXT) | instid1(VALU_DEP_1)
	v_lshlrev_b64 v[208:209], 2, v[200:201]
	v_add_co_u32 v208, vcc_lo, v198, v208
	s_delay_alu instid0(VALU_DEP_2)
	v_add_co_ci_u32_e32 v209, vcc_lo, v199, v209, vcc_lo
	s_clause 0x1
	flat_load_b32 v201, v[208:209]
	flat_load_b32 v206, v[198:199] offset:16
	s_waitcnt vmcnt(1) lgkmcnt(1)
	flat_store_b32 v[198:199], v201 offset:16
	s_waitcnt vmcnt(0) lgkmcnt(1)
	flat_store_b32 v[208:209], v206
.LBB94_98:
	s_or_b32 exec_lo, exec_lo, s6
	v_mov_b32_e32 v208, v200
	v_mov_b32_e32 v206, v200
.LBB94_99:
	s_or_b32 exec_lo, exec_lo, s3
.LBB94_100:
	s_and_not1_saveexec_b32 s2, s2
	s_cbranch_execz .LBB94_102
; %bb.101:
	v_mov_b32_e32 v208, 4
	ds_store_2addr_b64 v202, v[168:169], v[170:171] offset0:10 offset1:11
	ds_store_2addr_b64 v202, v[164:165], v[166:167] offset0:12 offset1:13
	ds_store_2addr_b64 v202, v[160:161], v[162:163] offset0:14 offset1:15
	ds_store_2addr_b64 v202, v[156:157], v[158:159] offset0:16 offset1:17
	ds_store_2addr_b64 v202, v[152:153], v[154:155] offset0:18 offset1:19
	ds_store_2addr_b64 v202, v[148:149], v[150:151] offset0:20 offset1:21
	ds_store_2addr_b64 v202, v[144:145], v[146:147] offset0:22 offset1:23
	ds_store_2addr_b64 v202, v[140:141], v[142:143] offset0:24 offset1:25
	ds_store_2addr_b64 v202, v[136:137], v[138:139] offset0:26 offset1:27
	ds_store_2addr_b64 v202, v[132:133], v[134:135] offset0:28 offset1:29
	ds_store_2addr_b64 v202, v[128:129], v[130:131] offset0:30 offset1:31
	ds_store_2addr_b64 v202, v[124:125], v[126:127] offset0:32 offset1:33
	ds_store_2addr_b64 v202, v[120:121], v[122:123] offset0:34 offset1:35
	ds_store_2addr_b64 v202, v[116:117], v[118:119] offset0:36 offset1:37
	ds_store_2addr_b64 v202, v[112:113], v[114:115] offset0:38 offset1:39
	ds_store_2addr_b64 v202, v[108:109], v[110:111] offset0:40 offset1:41
	ds_store_2addr_b64 v202, v[104:105], v[106:107] offset0:42 offset1:43
	ds_store_2addr_b64 v202, v[100:101], v[102:103] offset0:44 offset1:45
	ds_store_2addr_b64 v202, v[96:97], v[98:99] offset0:46 offset1:47
	ds_store_2addr_b64 v202, v[92:93], v[94:95] offset0:48 offset1:49
	ds_store_2addr_b64 v202, v[88:89], v[90:91] offset0:50 offset1:51
	ds_store_2addr_b64 v202, v[84:85], v[86:87] offset0:52 offset1:53
	ds_store_2addr_b64 v202, v[80:81], v[82:83] offset0:54 offset1:55
	ds_store_2addr_b64 v202, v[76:77], v[78:79] offset0:56 offset1:57
	ds_store_2addr_b64 v202, v[72:73], v[74:75] offset0:58 offset1:59
	ds_store_2addr_b64 v202, v[68:69], v[70:71] offset0:60 offset1:61
	ds_store_2addr_b64 v202, v[64:65], v[66:67] offset0:62 offset1:63
	ds_store_2addr_b64 v202, v[60:61], v[62:63] offset0:64 offset1:65
	ds_store_2addr_b64 v202, v[56:57], v[58:59] offset0:66 offset1:67
	ds_store_2addr_b64 v202, v[52:53], v[54:55] offset0:68 offset1:69
	ds_store_2addr_b64 v202, v[48:49], v[50:51] offset0:70 offset1:71
	ds_store_2addr_b64 v202, v[44:45], v[46:47] offset0:72 offset1:73
	ds_store_2addr_b64 v202, v[40:41], v[42:43] offset0:74 offset1:75
	ds_store_2addr_b64 v202, v[36:37], v[38:39] offset0:76 offset1:77
	ds_store_2addr_b64 v202, v[32:33], v[34:35] offset0:78 offset1:79
	ds_store_2addr_b64 v202, v[28:29], v[30:31] offset0:80 offset1:81
	ds_store_2addr_b64 v202, v[24:25], v[26:27] offset0:82 offset1:83
	ds_store_2addr_b64 v202, v[20:21], v[22:23] offset0:84 offset1:85
	ds_store_2addr_b64 v202, v[16:17], v[18:19] offset0:86 offset1:87
	ds_store_2addr_b64 v202, v[12:13], v[14:15] offset0:88 offset1:89
	ds_store_2addr_b64 v202, v[8:9], v[10:11] offset0:90 offset1:91
	ds_store_2addr_b64 v202, v[4:5], v[6:7] offset0:92 offset1:93
	ds_store_2addr_b64 v202, v[0:1], v[2:3] offset0:94 offset1:95
.LBB94_102:
	s_or_b32 exec_lo, exec_lo, s2
	s_delay_alu instid0(SALU_CYCLE_1)
	s_mov_b32 s2, exec_lo
	s_waitcnt lgkmcnt(0)
	s_waitcnt_vscnt null, 0x0
	s_barrier
	buffer_gl0_inv
	v_cmpx_lt_i32_e32 4, v208
	s_cbranch_execz .LBB94_104
; %bb.103:
	v_mul_f64 v[200:201], v[194:195], v[174:175]
	v_mul_f64 v[174:175], v[192:193], v[174:175]
	s_delay_alu instid0(VALU_DEP_2) | instskip(NEXT) | instid1(VALU_DEP_2)
	v_fma_f64 v[200:201], v[192:193], v[172:173], -v[200:201]
	v_fma_f64 v[174:175], v[194:195], v[172:173], v[174:175]
	ds_load_2addr_b64 v[192:195], v202 offset0:10 offset1:11
	s_waitcnt lgkmcnt(0)
	v_mul_f64 v[172:173], v[194:195], v[174:175]
	s_delay_alu instid0(VALU_DEP_1) | instskip(SKIP_1) | instid1(VALU_DEP_2)
	v_fma_f64 v[172:173], v[192:193], v[200:201], -v[172:173]
	v_mul_f64 v[192:193], v[192:193], v[174:175]
	v_add_f64 v[168:169], v[168:169], -v[172:173]
	s_delay_alu instid0(VALU_DEP_2) | instskip(NEXT) | instid1(VALU_DEP_1)
	v_fma_f64 v[192:193], v[194:195], v[200:201], v[192:193]
	v_add_f64 v[170:171], v[170:171], -v[192:193]
	ds_load_2addr_b64 v[192:195], v202 offset0:12 offset1:13
	s_waitcnt lgkmcnt(0)
	v_mul_f64 v[172:173], v[194:195], v[174:175]
	s_delay_alu instid0(VALU_DEP_1) | instskip(SKIP_1) | instid1(VALU_DEP_2)
	v_fma_f64 v[172:173], v[192:193], v[200:201], -v[172:173]
	v_mul_f64 v[192:193], v[192:193], v[174:175]
	v_add_f64 v[164:165], v[164:165], -v[172:173]
	s_delay_alu instid0(VALU_DEP_2) | instskip(NEXT) | instid1(VALU_DEP_1)
	v_fma_f64 v[192:193], v[194:195], v[200:201], v[192:193]
	v_add_f64 v[166:167], v[166:167], -v[192:193]
	;; [unrolled: 10-line block ×42, first 2 shown]
	ds_load_2addr_b64 v[192:195], v202 offset0:94 offset1:95
	s_waitcnt lgkmcnt(0)
	v_mul_f64 v[172:173], v[194:195], v[174:175]
	s_delay_alu instid0(VALU_DEP_1) | instskip(SKIP_1) | instid1(VALU_DEP_2)
	v_fma_f64 v[172:173], v[192:193], v[200:201], -v[172:173]
	v_mul_f64 v[192:193], v[192:193], v[174:175]
	v_add_f64 v[0:1], v[0:1], -v[172:173]
	s_delay_alu instid0(VALU_DEP_2) | instskip(SKIP_1) | instid1(VALU_DEP_2)
	v_fma_f64 v[192:193], v[194:195], v[200:201], v[192:193]
	v_dual_mov_b32 v172, v200 :: v_dual_mov_b32 v173, v201
	v_add_f64 v[2:3], v[2:3], -v[192:193]
.LBB94_104:
	s_or_b32 exec_lo, exec_lo, s2
	v_lshl_add_u32 v192, v208, 4, v202
	s_barrier
	buffer_gl0_inv
	v_mov_b32_e32 v200, 5
	ds_store_2addr_b64 v192, v[168:169], v[170:171] offset1:1
	s_waitcnt lgkmcnt(0)
	s_barrier
	buffer_gl0_inv
	ds_load_2addr_b64 v[192:195], v202 offset0:10 offset1:11
	s_cmp_lt_i32 s5, 7
	s_cbranch_scc1 .LBB94_107
; %bb.105:
	v_add3_u32 v201, v207, 0, 0x60
	v_mov_b32_e32 v200, 5
	s_mov_b32 s6, 6
	s_set_inst_prefetch_distance 0x1
	.p2align	6
.LBB94_106:                             ; =>This Inner Loop Header: Depth=1
	ds_load_2addr_b64 v[209:212], v201 offset1:1
	s_waitcnt lgkmcnt(1)
	v_cmp_gt_f64_e32 vcc_lo, 0, v[192:193]
	v_xor_b32_e32 v213, 0x80000000, v193
	v_cmp_gt_f64_e64 s2, 0, v[194:195]
	v_xor_b32_e32 v215, 0x80000000, v195
	v_add_nc_u32_e32 v201, 16, v201
	s_waitcnt lgkmcnt(0)
	v_cmp_gt_f64_e64 s3, 0, v[209:210]
	v_mov_b32_e32 v217, v209
	v_dual_mov_b32 v219, v211 :: v_dual_cndmask_b32 v214, v193, v213
	v_xor_b32_e32 v213, 0x80000000, v210
	v_cndmask_b32_e64 v216, v195, v215, s2
	v_xor_b32_e32 v215, 0x80000000, v212
	s_delay_alu instid0(VALU_DEP_3) | instskip(SKIP_2) | instid1(VALU_DEP_2)
	v_cndmask_b32_e64 v218, v210, v213, s3
	v_cmp_gt_f64_e64 s3, 0, v[211:212]
	v_cndmask_b32_e32 v213, v192, v192, vcc_lo
	v_cndmask_b32_e64 v220, v212, v215, s3
	v_cndmask_b32_e64 v215, v194, v194, s2
	s_delay_alu instid0(VALU_DEP_2) | instskip(NEXT) | instid1(VALU_DEP_2)
	v_add_f64 v[217:218], v[217:218], v[219:220]
	v_add_f64 v[213:214], v[213:214], v[215:216]
	s_delay_alu instid0(VALU_DEP_1) | instskip(SKIP_4) | instid1(SALU_CYCLE_1)
	v_cmp_lt_f64_e32 vcc_lo, v[213:214], v[217:218]
	v_dual_cndmask_b32 v194, v194, v211 :: v_dual_cndmask_b32 v193, v193, v210
	v_dual_cndmask_b32 v192, v192, v209 :: v_dual_cndmask_b32 v195, v195, v212
	v_cndmask_b32_e64 v200, v200, s6, vcc_lo
	s_add_i32 s6, s6, 1
	s_cmp_lg_u32 s5, s6
	s_cbranch_scc1 .LBB94_106
.LBB94_107:
	s_set_inst_prefetch_distance 0x2
	s_waitcnt lgkmcnt(0)
	v_cmp_eq_f64_e32 vcc_lo, 0, v[192:193]
	v_cmp_eq_f64_e64 s2, 0, v[194:195]
	s_delay_alu instid0(VALU_DEP_1) | instskip(NEXT) | instid1(SALU_CYCLE_1)
	s_and_b32 s2, vcc_lo, s2
	s_and_saveexec_b32 s3, s2
	s_delay_alu instid0(SALU_CYCLE_1)
	s_xor_b32 s2, exec_lo, s3
; %bb.108:
	v_cmp_ne_u32_e32 vcc_lo, 0, v205
	v_cndmask_b32_e32 v205, 6, v205, vcc_lo
; %bb.109:
	s_and_not1_saveexec_b32 s3, s2
	s_cbranch_execz .LBB94_115
; %bb.110:
	v_cmp_gt_f64_e32 vcc_lo, 0, v[192:193]
	v_cmp_gt_f64_e64 s2, 0, v[194:195]
	v_xor_b32_e32 v201, 0x80000000, v193
	v_xor_b32_e32 v209, 0x80000000, v195
	s_delay_alu instid0(VALU_DEP_2) | instskip(NEXT) | instid1(VALU_DEP_2)
	v_cndmask_b32_e32 v210, v193, v201, vcc_lo
	v_cndmask_b32_e64 v212, v195, v209, s2
	v_cndmask_b32_e32 v209, v192, v192, vcc_lo
	v_cndmask_b32_e64 v211, v194, v194, s2
	s_mov_b32 s2, exec_lo
	s_delay_alu instid0(VALU_DEP_1)
	v_cmpx_ngt_f64_e32 v[209:210], v[211:212]
	s_xor_b32 s2, exec_lo, s2
	s_cbranch_execz .LBB94_112
; %bb.111:
	v_div_scale_f64 v[209:210], null, v[194:195], v[194:195], v[192:193]
	v_div_scale_f64 v[215:216], vcc_lo, v[192:193], v[194:195], v[192:193]
	s_delay_alu instid0(VALU_DEP_2) | instskip(SKIP_2) | instid1(VALU_DEP_1)
	v_rcp_f64_e32 v[211:212], v[209:210]
	s_waitcnt_depctr 0xfff
	v_fma_f64 v[213:214], -v[209:210], v[211:212], 1.0
	v_fma_f64 v[211:212], v[211:212], v[213:214], v[211:212]
	s_delay_alu instid0(VALU_DEP_1) | instskip(NEXT) | instid1(VALU_DEP_1)
	v_fma_f64 v[213:214], -v[209:210], v[211:212], 1.0
	v_fma_f64 v[211:212], v[211:212], v[213:214], v[211:212]
	s_delay_alu instid0(VALU_DEP_1) | instskip(NEXT) | instid1(VALU_DEP_1)
	v_mul_f64 v[213:214], v[215:216], v[211:212]
	v_fma_f64 v[209:210], -v[209:210], v[213:214], v[215:216]
	s_delay_alu instid0(VALU_DEP_1) | instskip(NEXT) | instid1(VALU_DEP_1)
	v_div_fmas_f64 v[209:210], v[209:210], v[211:212], v[213:214]
	v_div_fixup_f64 v[209:210], v[209:210], v[194:195], v[192:193]
	s_delay_alu instid0(VALU_DEP_1) | instskip(NEXT) | instid1(VALU_DEP_1)
	v_fma_f64 v[192:193], v[192:193], v[209:210], v[194:195]
	v_div_scale_f64 v[194:195], null, v[192:193], v[192:193], 1.0
	s_delay_alu instid0(VALU_DEP_1) | instskip(SKIP_2) | instid1(VALU_DEP_1)
	v_rcp_f64_e32 v[211:212], v[194:195]
	s_waitcnt_depctr 0xfff
	v_fma_f64 v[213:214], -v[194:195], v[211:212], 1.0
	v_fma_f64 v[211:212], v[211:212], v[213:214], v[211:212]
	s_delay_alu instid0(VALU_DEP_1) | instskip(NEXT) | instid1(VALU_DEP_1)
	v_fma_f64 v[213:214], -v[194:195], v[211:212], 1.0
	v_fma_f64 v[211:212], v[211:212], v[213:214], v[211:212]
	v_div_scale_f64 v[213:214], vcc_lo, 1.0, v[192:193], 1.0
	s_delay_alu instid0(VALU_DEP_1) | instskip(NEXT) | instid1(VALU_DEP_1)
	v_mul_f64 v[215:216], v[213:214], v[211:212]
	v_fma_f64 v[194:195], -v[194:195], v[215:216], v[213:214]
	s_delay_alu instid0(VALU_DEP_1) | instskip(NEXT) | instid1(VALU_DEP_1)
	v_div_fmas_f64 v[194:195], v[194:195], v[211:212], v[215:216]
	v_div_fixup_f64 v[194:195], v[194:195], v[192:193], 1.0
	s_delay_alu instid0(VALU_DEP_1)
	v_mul_f64 v[192:193], v[209:210], v[194:195]
	v_xor_b32_e32 v195, 0x80000000, v195
.LBB94_112:
	s_and_not1_saveexec_b32 s2, s2
	s_cbranch_execz .LBB94_114
; %bb.113:
	s_delay_alu instid0(VALU_DEP_1) | instskip(SKIP_1) | instid1(VALU_DEP_2)
	v_div_scale_f64 v[209:210], null, v[192:193], v[192:193], v[194:195]
	v_div_scale_f64 v[215:216], vcc_lo, v[194:195], v[192:193], v[194:195]
	v_rcp_f64_e32 v[211:212], v[209:210]
	s_waitcnt_depctr 0xfff
	v_fma_f64 v[213:214], -v[209:210], v[211:212], 1.0
	s_delay_alu instid0(VALU_DEP_1) | instskip(NEXT) | instid1(VALU_DEP_1)
	v_fma_f64 v[211:212], v[211:212], v[213:214], v[211:212]
	v_fma_f64 v[213:214], -v[209:210], v[211:212], 1.0
	s_delay_alu instid0(VALU_DEP_1) | instskip(NEXT) | instid1(VALU_DEP_1)
	v_fma_f64 v[211:212], v[211:212], v[213:214], v[211:212]
	v_mul_f64 v[213:214], v[215:216], v[211:212]
	s_delay_alu instid0(VALU_DEP_1) | instskip(NEXT) | instid1(VALU_DEP_1)
	v_fma_f64 v[209:210], -v[209:210], v[213:214], v[215:216]
	v_div_fmas_f64 v[209:210], v[209:210], v[211:212], v[213:214]
	s_delay_alu instid0(VALU_DEP_1) | instskip(NEXT) | instid1(VALU_DEP_1)
	v_div_fixup_f64 v[209:210], v[209:210], v[192:193], v[194:195]
	v_fma_f64 v[192:193], v[194:195], v[209:210], v[192:193]
	s_delay_alu instid0(VALU_DEP_1) | instskip(NEXT) | instid1(VALU_DEP_1)
	v_div_scale_f64 v[194:195], null, v[192:193], v[192:193], 1.0
	v_rcp_f64_e32 v[211:212], v[194:195]
	s_waitcnt_depctr 0xfff
	v_fma_f64 v[213:214], -v[194:195], v[211:212], 1.0
	s_delay_alu instid0(VALU_DEP_1) | instskip(NEXT) | instid1(VALU_DEP_1)
	v_fma_f64 v[211:212], v[211:212], v[213:214], v[211:212]
	v_fma_f64 v[213:214], -v[194:195], v[211:212], 1.0
	s_delay_alu instid0(VALU_DEP_1) | instskip(SKIP_1) | instid1(VALU_DEP_1)
	v_fma_f64 v[211:212], v[211:212], v[213:214], v[211:212]
	v_div_scale_f64 v[213:214], vcc_lo, 1.0, v[192:193], 1.0
	v_mul_f64 v[215:216], v[213:214], v[211:212]
	s_delay_alu instid0(VALU_DEP_1) | instskip(NEXT) | instid1(VALU_DEP_1)
	v_fma_f64 v[194:195], -v[194:195], v[215:216], v[213:214]
	v_div_fmas_f64 v[194:195], v[194:195], v[211:212], v[215:216]
	s_delay_alu instid0(VALU_DEP_1) | instskip(NEXT) | instid1(VALU_DEP_1)
	v_div_fixup_f64 v[192:193], v[194:195], v[192:193], 1.0
	v_mul_f64 v[194:195], v[209:210], -v[192:193]
.LBB94_114:
	s_or_b32 exec_lo, exec_lo, s2
.LBB94_115:
	s_delay_alu instid0(SALU_CYCLE_1) | instskip(NEXT) | instid1(SALU_CYCLE_1)
	s_or_b32 exec_lo, exec_lo, s3
	s_mov_b32 s2, exec_lo
	v_cmpx_ne_u32_e64 v208, v200
	s_xor_b32 s2, exec_lo, s2
	s_cbranch_execz .LBB94_121
; %bb.116:
	s_mov_b32 s3, exec_lo
	v_cmpx_eq_u32_e32 5, v208
	s_cbranch_execz .LBB94_120
; %bb.117:
	v_cmp_ne_u32_e32 vcc_lo, 5, v200
	s_xor_b32 s6, s4, -1
	s_delay_alu instid0(SALU_CYCLE_1) | instskip(NEXT) | instid1(SALU_CYCLE_1)
	s_and_b32 s7, s6, vcc_lo
	s_and_saveexec_b32 s6, s7
	s_cbranch_execz .LBB94_119
; %bb.118:
	v_ashrrev_i32_e32 v201, 31, v200
	s_delay_alu instid0(VALU_DEP_1) | instskip(NEXT) | instid1(VALU_DEP_1)
	v_lshlrev_b64 v[208:209], 2, v[200:201]
	v_add_co_u32 v208, vcc_lo, v198, v208
	s_delay_alu instid0(VALU_DEP_2)
	v_add_co_ci_u32_e32 v209, vcc_lo, v199, v209, vcc_lo
	s_clause 0x1
	flat_load_b32 v201, v[208:209]
	flat_load_b32 v206, v[198:199] offset:20
	s_waitcnt vmcnt(1) lgkmcnt(1)
	flat_store_b32 v[198:199], v201 offset:20
	s_waitcnt vmcnt(0) lgkmcnt(1)
	flat_store_b32 v[208:209], v206
.LBB94_119:
	s_or_b32 exec_lo, exec_lo, s6
	v_mov_b32_e32 v208, v200
	v_mov_b32_e32 v206, v200
.LBB94_120:
	s_or_b32 exec_lo, exec_lo, s3
.LBB94_121:
	s_and_not1_saveexec_b32 s2, s2
	s_cbranch_execz .LBB94_123
; %bb.122:
	v_mov_b32_e32 v208, 5
	ds_store_2addr_b64 v202, v[164:165], v[166:167] offset0:12 offset1:13
	ds_store_2addr_b64 v202, v[160:161], v[162:163] offset0:14 offset1:15
	;; [unrolled: 1-line block ×42, first 2 shown]
.LBB94_123:
	s_or_b32 exec_lo, exec_lo, s2
	s_delay_alu instid0(SALU_CYCLE_1)
	s_mov_b32 s2, exec_lo
	s_waitcnt lgkmcnt(0)
	s_waitcnt_vscnt null, 0x0
	s_barrier
	buffer_gl0_inv
	v_cmpx_lt_i32_e32 5, v208
	s_cbranch_execz .LBB94_125
; %bb.124:
	v_mul_f64 v[200:201], v[194:195], v[170:171]
	v_mul_f64 v[170:171], v[192:193], v[170:171]
	s_delay_alu instid0(VALU_DEP_2) | instskip(NEXT) | instid1(VALU_DEP_2)
	v_fma_f64 v[200:201], v[192:193], v[168:169], -v[200:201]
	v_fma_f64 v[170:171], v[194:195], v[168:169], v[170:171]
	ds_load_2addr_b64 v[192:195], v202 offset0:12 offset1:13
	s_waitcnt lgkmcnt(0)
	v_mul_f64 v[168:169], v[194:195], v[170:171]
	s_delay_alu instid0(VALU_DEP_1) | instskip(SKIP_1) | instid1(VALU_DEP_2)
	v_fma_f64 v[168:169], v[192:193], v[200:201], -v[168:169]
	v_mul_f64 v[192:193], v[192:193], v[170:171]
	v_add_f64 v[164:165], v[164:165], -v[168:169]
	s_delay_alu instid0(VALU_DEP_2) | instskip(NEXT) | instid1(VALU_DEP_1)
	v_fma_f64 v[192:193], v[194:195], v[200:201], v[192:193]
	v_add_f64 v[166:167], v[166:167], -v[192:193]
	ds_load_2addr_b64 v[192:195], v202 offset0:14 offset1:15
	s_waitcnt lgkmcnt(0)
	v_mul_f64 v[168:169], v[194:195], v[170:171]
	s_delay_alu instid0(VALU_DEP_1) | instskip(SKIP_1) | instid1(VALU_DEP_2)
	v_fma_f64 v[168:169], v[192:193], v[200:201], -v[168:169]
	v_mul_f64 v[192:193], v[192:193], v[170:171]
	v_add_f64 v[160:161], v[160:161], -v[168:169]
	s_delay_alu instid0(VALU_DEP_2) | instskip(NEXT) | instid1(VALU_DEP_1)
	v_fma_f64 v[192:193], v[194:195], v[200:201], v[192:193]
	v_add_f64 v[162:163], v[162:163], -v[192:193]
	;; [unrolled: 10-line block ×41, first 2 shown]
	ds_load_2addr_b64 v[192:195], v202 offset0:94 offset1:95
	s_waitcnt lgkmcnt(0)
	v_mul_f64 v[168:169], v[194:195], v[170:171]
	s_delay_alu instid0(VALU_DEP_1) | instskip(SKIP_1) | instid1(VALU_DEP_2)
	v_fma_f64 v[168:169], v[192:193], v[200:201], -v[168:169]
	v_mul_f64 v[192:193], v[192:193], v[170:171]
	v_add_f64 v[0:1], v[0:1], -v[168:169]
	s_delay_alu instid0(VALU_DEP_2) | instskip(SKIP_1) | instid1(VALU_DEP_2)
	v_fma_f64 v[192:193], v[194:195], v[200:201], v[192:193]
	v_dual_mov_b32 v168, v200 :: v_dual_mov_b32 v169, v201
	v_add_f64 v[2:3], v[2:3], -v[192:193]
.LBB94_125:
	s_or_b32 exec_lo, exec_lo, s2
	v_lshl_add_u32 v192, v208, 4, v202
	s_barrier
	buffer_gl0_inv
	v_mov_b32_e32 v200, 6
	ds_store_2addr_b64 v192, v[164:165], v[166:167] offset1:1
	s_waitcnt lgkmcnt(0)
	s_barrier
	buffer_gl0_inv
	ds_load_2addr_b64 v[192:195], v202 offset0:12 offset1:13
	s_cmp_lt_i32 s5, 8
	s_cbranch_scc1 .LBB94_128
; %bb.126:
	v_add3_u32 v201, v207, 0, 0x70
	v_mov_b32_e32 v200, 6
	s_mov_b32 s6, 7
	s_set_inst_prefetch_distance 0x1
	.p2align	6
.LBB94_127:                             ; =>This Inner Loop Header: Depth=1
	ds_load_2addr_b64 v[209:212], v201 offset1:1
	s_waitcnt lgkmcnt(1)
	v_cmp_gt_f64_e32 vcc_lo, 0, v[192:193]
	v_xor_b32_e32 v213, 0x80000000, v193
	v_cmp_gt_f64_e64 s2, 0, v[194:195]
	v_xor_b32_e32 v215, 0x80000000, v195
	v_add_nc_u32_e32 v201, 16, v201
	s_waitcnt lgkmcnt(0)
	v_cmp_gt_f64_e64 s3, 0, v[209:210]
	v_mov_b32_e32 v217, v209
	v_dual_mov_b32 v219, v211 :: v_dual_cndmask_b32 v214, v193, v213
	v_xor_b32_e32 v213, 0x80000000, v210
	v_cndmask_b32_e64 v216, v195, v215, s2
	v_xor_b32_e32 v215, 0x80000000, v212
	s_delay_alu instid0(VALU_DEP_3) | instskip(SKIP_2) | instid1(VALU_DEP_2)
	v_cndmask_b32_e64 v218, v210, v213, s3
	v_cmp_gt_f64_e64 s3, 0, v[211:212]
	v_cndmask_b32_e32 v213, v192, v192, vcc_lo
	v_cndmask_b32_e64 v220, v212, v215, s3
	v_cndmask_b32_e64 v215, v194, v194, s2
	s_delay_alu instid0(VALU_DEP_2) | instskip(NEXT) | instid1(VALU_DEP_2)
	v_add_f64 v[217:218], v[217:218], v[219:220]
	v_add_f64 v[213:214], v[213:214], v[215:216]
	s_delay_alu instid0(VALU_DEP_1) | instskip(SKIP_4) | instid1(SALU_CYCLE_1)
	v_cmp_lt_f64_e32 vcc_lo, v[213:214], v[217:218]
	v_dual_cndmask_b32 v194, v194, v211 :: v_dual_cndmask_b32 v193, v193, v210
	v_dual_cndmask_b32 v192, v192, v209 :: v_dual_cndmask_b32 v195, v195, v212
	v_cndmask_b32_e64 v200, v200, s6, vcc_lo
	s_add_i32 s6, s6, 1
	s_cmp_lg_u32 s5, s6
	s_cbranch_scc1 .LBB94_127
.LBB94_128:
	s_set_inst_prefetch_distance 0x2
	s_waitcnt lgkmcnt(0)
	v_cmp_eq_f64_e32 vcc_lo, 0, v[192:193]
	v_cmp_eq_f64_e64 s2, 0, v[194:195]
	s_delay_alu instid0(VALU_DEP_1) | instskip(NEXT) | instid1(SALU_CYCLE_1)
	s_and_b32 s2, vcc_lo, s2
	s_and_saveexec_b32 s3, s2
	s_delay_alu instid0(SALU_CYCLE_1)
	s_xor_b32 s2, exec_lo, s3
; %bb.129:
	v_cmp_ne_u32_e32 vcc_lo, 0, v205
	v_cndmask_b32_e32 v205, 7, v205, vcc_lo
; %bb.130:
	s_and_not1_saveexec_b32 s3, s2
	s_cbranch_execz .LBB94_136
; %bb.131:
	v_cmp_gt_f64_e32 vcc_lo, 0, v[192:193]
	v_cmp_gt_f64_e64 s2, 0, v[194:195]
	v_xor_b32_e32 v201, 0x80000000, v193
	v_xor_b32_e32 v209, 0x80000000, v195
	s_delay_alu instid0(VALU_DEP_2) | instskip(NEXT) | instid1(VALU_DEP_2)
	v_cndmask_b32_e32 v210, v193, v201, vcc_lo
	v_cndmask_b32_e64 v212, v195, v209, s2
	v_cndmask_b32_e32 v209, v192, v192, vcc_lo
	v_cndmask_b32_e64 v211, v194, v194, s2
	s_mov_b32 s2, exec_lo
	s_delay_alu instid0(VALU_DEP_1)
	v_cmpx_ngt_f64_e32 v[209:210], v[211:212]
	s_xor_b32 s2, exec_lo, s2
	s_cbranch_execz .LBB94_133
; %bb.132:
	v_div_scale_f64 v[209:210], null, v[194:195], v[194:195], v[192:193]
	v_div_scale_f64 v[215:216], vcc_lo, v[192:193], v[194:195], v[192:193]
	s_delay_alu instid0(VALU_DEP_2) | instskip(SKIP_2) | instid1(VALU_DEP_1)
	v_rcp_f64_e32 v[211:212], v[209:210]
	s_waitcnt_depctr 0xfff
	v_fma_f64 v[213:214], -v[209:210], v[211:212], 1.0
	v_fma_f64 v[211:212], v[211:212], v[213:214], v[211:212]
	s_delay_alu instid0(VALU_DEP_1) | instskip(NEXT) | instid1(VALU_DEP_1)
	v_fma_f64 v[213:214], -v[209:210], v[211:212], 1.0
	v_fma_f64 v[211:212], v[211:212], v[213:214], v[211:212]
	s_delay_alu instid0(VALU_DEP_1) | instskip(NEXT) | instid1(VALU_DEP_1)
	v_mul_f64 v[213:214], v[215:216], v[211:212]
	v_fma_f64 v[209:210], -v[209:210], v[213:214], v[215:216]
	s_delay_alu instid0(VALU_DEP_1) | instskip(NEXT) | instid1(VALU_DEP_1)
	v_div_fmas_f64 v[209:210], v[209:210], v[211:212], v[213:214]
	v_div_fixup_f64 v[209:210], v[209:210], v[194:195], v[192:193]
	s_delay_alu instid0(VALU_DEP_1) | instskip(NEXT) | instid1(VALU_DEP_1)
	v_fma_f64 v[192:193], v[192:193], v[209:210], v[194:195]
	v_div_scale_f64 v[194:195], null, v[192:193], v[192:193], 1.0
	s_delay_alu instid0(VALU_DEP_1) | instskip(SKIP_2) | instid1(VALU_DEP_1)
	v_rcp_f64_e32 v[211:212], v[194:195]
	s_waitcnt_depctr 0xfff
	v_fma_f64 v[213:214], -v[194:195], v[211:212], 1.0
	v_fma_f64 v[211:212], v[211:212], v[213:214], v[211:212]
	s_delay_alu instid0(VALU_DEP_1) | instskip(NEXT) | instid1(VALU_DEP_1)
	v_fma_f64 v[213:214], -v[194:195], v[211:212], 1.0
	v_fma_f64 v[211:212], v[211:212], v[213:214], v[211:212]
	v_div_scale_f64 v[213:214], vcc_lo, 1.0, v[192:193], 1.0
	s_delay_alu instid0(VALU_DEP_1) | instskip(NEXT) | instid1(VALU_DEP_1)
	v_mul_f64 v[215:216], v[213:214], v[211:212]
	v_fma_f64 v[194:195], -v[194:195], v[215:216], v[213:214]
	s_delay_alu instid0(VALU_DEP_1) | instskip(NEXT) | instid1(VALU_DEP_1)
	v_div_fmas_f64 v[194:195], v[194:195], v[211:212], v[215:216]
	v_div_fixup_f64 v[194:195], v[194:195], v[192:193], 1.0
	s_delay_alu instid0(VALU_DEP_1)
	v_mul_f64 v[192:193], v[209:210], v[194:195]
	v_xor_b32_e32 v195, 0x80000000, v195
.LBB94_133:
	s_and_not1_saveexec_b32 s2, s2
	s_cbranch_execz .LBB94_135
; %bb.134:
	s_delay_alu instid0(VALU_DEP_1) | instskip(SKIP_1) | instid1(VALU_DEP_2)
	v_div_scale_f64 v[209:210], null, v[192:193], v[192:193], v[194:195]
	v_div_scale_f64 v[215:216], vcc_lo, v[194:195], v[192:193], v[194:195]
	v_rcp_f64_e32 v[211:212], v[209:210]
	s_waitcnt_depctr 0xfff
	v_fma_f64 v[213:214], -v[209:210], v[211:212], 1.0
	s_delay_alu instid0(VALU_DEP_1) | instskip(NEXT) | instid1(VALU_DEP_1)
	v_fma_f64 v[211:212], v[211:212], v[213:214], v[211:212]
	v_fma_f64 v[213:214], -v[209:210], v[211:212], 1.0
	s_delay_alu instid0(VALU_DEP_1) | instskip(NEXT) | instid1(VALU_DEP_1)
	v_fma_f64 v[211:212], v[211:212], v[213:214], v[211:212]
	v_mul_f64 v[213:214], v[215:216], v[211:212]
	s_delay_alu instid0(VALU_DEP_1) | instskip(NEXT) | instid1(VALU_DEP_1)
	v_fma_f64 v[209:210], -v[209:210], v[213:214], v[215:216]
	v_div_fmas_f64 v[209:210], v[209:210], v[211:212], v[213:214]
	s_delay_alu instid0(VALU_DEP_1) | instskip(NEXT) | instid1(VALU_DEP_1)
	v_div_fixup_f64 v[209:210], v[209:210], v[192:193], v[194:195]
	v_fma_f64 v[192:193], v[194:195], v[209:210], v[192:193]
	s_delay_alu instid0(VALU_DEP_1) | instskip(NEXT) | instid1(VALU_DEP_1)
	v_div_scale_f64 v[194:195], null, v[192:193], v[192:193], 1.0
	v_rcp_f64_e32 v[211:212], v[194:195]
	s_waitcnt_depctr 0xfff
	v_fma_f64 v[213:214], -v[194:195], v[211:212], 1.0
	s_delay_alu instid0(VALU_DEP_1) | instskip(NEXT) | instid1(VALU_DEP_1)
	v_fma_f64 v[211:212], v[211:212], v[213:214], v[211:212]
	v_fma_f64 v[213:214], -v[194:195], v[211:212], 1.0
	s_delay_alu instid0(VALU_DEP_1) | instskip(SKIP_1) | instid1(VALU_DEP_1)
	v_fma_f64 v[211:212], v[211:212], v[213:214], v[211:212]
	v_div_scale_f64 v[213:214], vcc_lo, 1.0, v[192:193], 1.0
	v_mul_f64 v[215:216], v[213:214], v[211:212]
	s_delay_alu instid0(VALU_DEP_1) | instskip(NEXT) | instid1(VALU_DEP_1)
	v_fma_f64 v[194:195], -v[194:195], v[215:216], v[213:214]
	v_div_fmas_f64 v[194:195], v[194:195], v[211:212], v[215:216]
	s_delay_alu instid0(VALU_DEP_1) | instskip(NEXT) | instid1(VALU_DEP_1)
	v_div_fixup_f64 v[192:193], v[194:195], v[192:193], 1.0
	v_mul_f64 v[194:195], v[209:210], -v[192:193]
.LBB94_135:
	s_or_b32 exec_lo, exec_lo, s2
.LBB94_136:
	s_delay_alu instid0(SALU_CYCLE_1) | instskip(NEXT) | instid1(SALU_CYCLE_1)
	s_or_b32 exec_lo, exec_lo, s3
	s_mov_b32 s2, exec_lo
	v_cmpx_ne_u32_e64 v208, v200
	s_xor_b32 s2, exec_lo, s2
	s_cbranch_execz .LBB94_142
; %bb.137:
	s_mov_b32 s3, exec_lo
	v_cmpx_eq_u32_e32 6, v208
	s_cbranch_execz .LBB94_141
; %bb.138:
	v_cmp_ne_u32_e32 vcc_lo, 6, v200
	s_xor_b32 s6, s4, -1
	s_delay_alu instid0(SALU_CYCLE_1) | instskip(NEXT) | instid1(SALU_CYCLE_1)
	s_and_b32 s7, s6, vcc_lo
	s_and_saveexec_b32 s6, s7
	s_cbranch_execz .LBB94_140
; %bb.139:
	v_ashrrev_i32_e32 v201, 31, v200
	s_delay_alu instid0(VALU_DEP_1) | instskip(NEXT) | instid1(VALU_DEP_1)
	v_lshlrev_b64 v[208:209], 2, v[200:201]
	v_add_co_u32 v208, vcc_lo, v198, v208
	s_delay_alu instid0(VALU_DEP_2)
	v_add_co_ci_u32_e32 v209, vcc_lo, v199, v209, vcc_lo
	s_clause 0x1
	flat_load_b32 v201, v[208:209]
	flat_load_b32 v206, v[198:199] offset:24
	s_waitcnt vmcnt(1) lgkmcnt(1)
	flat_store_b32 v[198:199], v201 offset:24
	s_waitcnt vmcnt(0) lgkmcnt(1)
	flat_store_b32 v[208:209], v206
.LBB94_140:
	s_or_b32 exec_lo, exec_lo, s6
	v_mov_b32_e32 v208, v200
	v_mov_b32_e32 v206, v200
.LBB94_141:
	s_or_b32 exec_lo, exec_lo, s3
.LBB94_142:
	s_and_not1_saveexec_b32 s2, s2
	s_cbranch_execz .LBB94_144
; %bb.143:
	v_mov_b32_e32 v208, 6
	ds_store_2addr_b64 v202, v[160:161], v[162:163] offset0:14 offset1:15
	ds_store_2addr_b64 v202, v[156:157], v[158:159] offset0:16 offset1:17
	;; [unrolled: 1-line block ×41, first 2 shown]
.LBB94_144:
	s_or_b32 exec_lo, exec_lo, s2
	s_delay_alu instid0(SALU_CYCLE_1)
	s_mov_b32 s2, exec_lo
	s_waitcnt lgkmcnt(0)
	s_waitcnt_vscnt null, 0x0
	s_barrier
	buffer_gl0_inv
	v_cmpx_lt_i32_e32 6, v208
	s_cbranch_execz .LBB94_146
; %bb.145:
	v_mul_f64 v[200:201], v[194:195], v[166:167]
	v_mul_f64 v[166:167], v[192:193], v[166:167]
	s_delay_alu instid0(VALU_DEP_2) | instskip(NEXT) | instid1(VALU_DEP_2)
	v_fma_f64 v[200:201], v[192:193], v[164:165], -v[200:201]
	v_fma_f64 v[166:167], v[194:195], v[164:165], v[166:167]
	ds_load_2addr_b64 v[192:195], v202 offset0:14 offset1:15
	s_waitcnt lgkmcnt(0)
	v_mul_f64 v[164:165], v[194:195], v[166:167]
	s_delay_alu instid0(VALU_DEP_1) | instskip(SKIP_1) | instid1(VALU_DEP_2)
	v_fma_f64 v[164:165], v[192:193], v[200:201], -v[164:165]
	v_mul_f64 v[192:193], v[192:193], v[166:167]
	v_add_f64 v[160:161], v[160:161], -v[164:165]
	s_delay_alu instid0(VALU_DEP_2) | instskip(NEXT) | instid1(VALU_DEP_1)
	v_fma_f64 v[192:193], v[194:195], v[200:201], v[192:193]
	v_add_f64 v[162:163], v[162:163], -v[192:193]
	ds_load_2addr_b64 v[192:195], v202 offset0:16 offset1:17
	s_waitcnt lgkmcnt(0)
	v_mul_f64 v[164:165], v[194:195], v[166:167]
	s_delay_alu instid0(VALU_DEP_1) | instskip(SKIP_1) | instid1(VALU_DEP_2)
	v_fma_f64 v[164:165], v[192:193], v[200:201], -v[164:165]
	v_mul_f64 v[192:193], v[192:193], v[166:167]
	v_add_f64 v[156:157], v[156:157], -v[164:165]
	s_delay_alu instid0(VALU_DEP_2) | instskip(NEXT) | instid1(VALU_DEP_1)
	v_fma_f64 v[192:193], v[194:195], v[200:201], v[192:193]
	v_add_f64 v[158:159], v[158:159], -v[192:193]
	;; [unrolled: 10-line block ×40, first 2 shown]
	ds_load_2addr_b64 v[192:195], v202 offset0:94 offset1:95
	s_waitcnt lgkmcnt(0)
	v_mul_f64 v[164:165], v[194:195], v[166:167]
	s_delay_alu instid0(VALU_DEP_1) | instskip(SKIP_1) | instid1(VALU_DEP_2)
	v_fma_f64 v[164:165], v[192:193], v[200:201], -v[164:165]
	v_mul_f64 v[192:193], v[192:193], v[166:167]
	v_add_f64 v[0:1], v[0:1], -v[164:165]
	s_delay_alu instid0(VALU_DEP_2) | instskip(SKIP_1) | instid1(VALU_DEP_2)
	v_fma_f64 v[192:193], v[194:195], v[200:201], v[192:193]
	v_dual_mov_b32 v164, v200 :: v_dual_mov_b32 v165, v201
	v_add_f64 v[2:3], v[2:3], -v[192:193]
.LBB94_146:
	s_or_b32 exec_lo, exec_lo, s2
	v_lshl_add_u32 v192, v208, 4, v202
	s_barrier
	buffer_gl0_inv
	v_mov_b32_e32 v200, 7
	ds_store_2addr_b64 v192, v[160:161], v[162:163] offset1:1
	s_waitcnt lgkmcnt(0)
	s_barrier
	buffer_gl0_inv
	ds_load_2addr_b64 v[192:195], v202 offset0:14 offset1:15
	s_cmp_lt_i32 s5, 9
	s_cbranch_scc1 .LBB94_149
; %bb.147:
	v_add3_u32 v201, v207, 0, 0x80
	v_mov_b32_e32 v200, 7
	s_mov_b32 s6, 8
	s_set_inst_prefetch_distance 0x1
	.p2align	6
.LBB94_148:                             ; =>This Inner Loop Header: Depth=1
	ds_load_2addr_b64 v[209:212], v201 offset1:1
	s_waitcnt lgkmcnt(1)
	v_cmp_gt_f64_e32 vcc_lo, 0, v[192:193]
	v_xor_b32_e32 v213, 0x80000000, v193
	v_cmp_gt_f64_e64 s2, 0, v[194:195]
	v_xor_b32_e32 v215, 0x80000000, v195
	v_add_nc_u32_e32 v201, 16, v201
	s_waitcnt lgkmcnt(0)
	v_cmp_gt_f64_e64 s3, 0, v[209:210]
	v_mov_b32_e32 v217, v209
	v_dual_mov_b32 v219, v211 :: v_dual_cndmask_b32 v214, v193, v213
	v_xor_b32_e32 v213, 0x80000000, v210
	v_cndmask_b32_e64 v216, v195, v215, s2
	v_xor_b32_e32 v215, 0x80000000, v212
	s_delay_alu instid0(VALU_DEP_3) | instskip(SKIP_2) | instid1(VALU_DEP_2)
	v_cndmask_b32_e64 v218, v210, v213, s3
	v_cmp_gt_f64_e64 s3, 0, v[211:212]
	v_cndmask_b32_e32 v213, v192, v192, vcc_lo
	v_cndmask_b32_e64 v220, v212, v215, s3
	v_cndmask_b32_e64 v215, v194, v194, s2
	s_delay_alu instid0(VALU_DEP_2) | instskip(NEXT) | instid1(VALU_DEP_2)
	v_add_f64 v[217:218], v[217:218], v[219:220]
	v_add_f64 v[213:214], v[213:214], v[215:216]
	s_delay_alu instid0(VALU_DEP_1) | instskip(SKIP_4) | instid1(SALU_CYCLE_1)
	v_cmp_lt_f64_e32 vcc_lo, v[213:214], v[217:218]
	v_dual_cndmask_b32 v194, v194, v211 :: v_dual_cndmask_b32 v193, v193, v210
	v_dual_cndmask_b32 v192, v192, v209 :: v_dual_cndmask_b32 v195, v195, v212
	v_cndmask_b32_e64 v200, v200, s6, vcc_lo
	s_add_i32 s6, s6, 1
	s_cmp_lg_u32 s5, s6
	s_cbranch_scc1 .LBB94_148
.LBB94_149:
	s_set_inst_prefetch_distance 0x2
	s_waitcnt lgkmcnt(0)
	v_cmp_eq_f64_e32 vcc_lo, 0, v[192:193]
	v_cmp_eq_f64_e64 s2, 0, v[194:195]
	s_delay_alu instid0(VALU_DEP_1) | instskip(NEXT) | instid1(SALU_CYCLE_1)
	s_and_b32 s2, vcc_lo, s2
	s_and_saveexec_b32 s3, s2
	s_delay_alu instid0(SALU_CYCLE_1)
	s_xor_b32 s2, exec_lo, s3
; %bb.150:
	v_cmp_ne_u32_e32 vcc_lo, 0, v205
	v_cndmask_b32_e32 v205, 8, v205, vcc_lo
; %bb.151:
	s_and_not1_saveexec_b32 s3, s2
	s_cbranch_execz .LBB94_157
; %bb.152:
	v_cmp_gt_f64_e32 vcc_lo, 0, v[192:193]
	v_cmp_gt_f64_e64 s2, 0, v[194:195]
	v_xor_b32_e32 v201, 0x80000000, v193
	v_xor_b32_e32 v209, 0x80000000, v195
	s_delay_alu instid0(VALU_DEP_2) | instskip(NEXT) | instid1(VALU_DEP_2)
	v_cndmask_b32_e32 v210, v193, v201, vcc_lo
	v_cndmask_b32_e64 v212, v195, v209, s2
	v_cndmask_b32_e32 v209, v192, v192, vcc_lo
	v_cndmask_b32_e64 v211, v194, v194, s2
	s_mov_b32 s2, exec_lo
	s_delay_alu instid0(VALU_DEP_1)
	v_cmpx_ngt_f64_e32 v[209:210], v[211:212]
	s_xor_b32 s2, exec_lo, s2
	s_cbranch_execz .LBB94_154
; %bb.153:
	v_div_scale_f64 v[209:210], null, v[194:195], v[194:195], v[192:193]
	v_div_scale_f64 v[215:216], vcc_lo, v[192:193], v[194:195], v[192:193]
	s_delay_alu instid0(VALU_DEP_2) | instskip(SKIP_2) | instid1(VALU_DEP_1)
	v_rcp_f64_e32 v[211:212], v[209:210]
	s_waitcnt_depctr 0xfff
	v_fma_f64 v[213:214], -v[209:210], v[211:212], 1.0
	v_fma_f64 v[211:212], v[211:212], v[213:214], v[211:212]
	s_delay_alu instid0(VALU_DEP_1) | instskip(NEXT) | instid1(VALU_DEP_1)
	v_fma_f64 v[213:214], -v[209:210], v[211:212], 1.0
	v_fma_f64 v[211:212], v[211:212], v[213:214], v[211:212]
	s_delay_alu instid0(VALU_DEP_1) | instskip(NEXT) | instid1(VALU_DEP_1)
	v_mul_f64 v[213:214], v[215:216], v[211:212]
	v_fma_f64 v[209:210], -v[209:210], v[213:214], v[215:216]
	s_delay_alu instid0(VALU_DEP_1) | instskip(NEXT) | instid1(VALU_DEP_1)
	v_div_fmas_f64 v[209:210], v[209:210], v[211:212], v[213:214]
	v_div_fixup_f64 v[209:210], v[209:210], v[194:195], v[192:193]
	s_delay_alu instid0(VALU_DEP_1) | instskip(NEXT) | instid1(VALU_DEP_1)
	v_fma_f64 v[192:193], v[192:193], v[209:210], v[194:195]
	v_div_scale_f64 v[194:195], null, v[192:193], v[192:193], 1.0
	s_delay_alu instid0(VALU_DEP_1) | instskip(SKIP_2) | instid1(VALU_DEP_1)
	v_rcp_f64_e32 v[211:212], v[194:195]
	s_waitcnt_depctr 0xfff
	v_fma_f64 v[213:214], -v[194:195], v[211:212], 1.0
	v_fma_f64 v[211:212], v[211:212], v[213:214], v[211:212]
	s_delay_alu instid0(VALU_DEP_1) | instskip(NEXT) | instid1(VALU_DEP_1)
	v_fma_f64 v[213:214], -v[194:195], v[211:212], 1.0
	v_fma_f64 v[211:212], v[211:212], v[213:214], v[211:212]
	v_div_scale_f64 v[213:214], vcc_lo, 1.0, v[192:193], 1.0
	s_delay_alu instid0(VALU_DEP_1) | instskip(NEXT) | instid1(VALU_DEP_1)
	v_mul_f64 v[215:216], v[213:214], v[211:212]
	v_fma_f64 v[194:195], -v[194:195], v[215:216], v[213:214]
	s_delay_alu instid0(VALU_DEP_1) | instskip(NEXT) | instid1(VALU_DEP_1)
	v_div_fmas_f64 v[194:195], v[194:195], v[211:212], v[215:216]
	v_div_fixup_f64 v[194:195], v[194:195], v[192:193], 1.0
	s_delay_alu instid0(VALU_DEP_1)
	v_mul_f64 v[192:193], v[209:210], v[194:195]
	v_xor_b32_e32 v195, 0x80000000, v195
.LBB94_154:
	s_and_not1_saveexec_b32 s2, s2
	s_cbranch_execz .LBB94_156
; %bb.155:
	s_delay_alu instid0(VALU_DEP_1) | instskip(SKIP_1) | instid1(VALU_DEP_2)
	v_div_scale_f64 v[209:210], null, v[192:193], v[192:193], v[194:195]
	v_div_scale_f64 v[215:216], vcc_lo, v[194:195], v[192:193], v[194:195]
	v_rcp_f64_e32 v[211:212], v[209:210]
	s_waitcnt_depctr 0xfff
	v_fma_f64 v[213:214], -v[209:210], v[211:212], 1.0
	s_delay_alu instid0(VALU_DEP_1) | instskip(NEXT) | instid1(VALU_DEP_1)
	v_fma_f64 v[211:212], v[211:212], v[213:214], v[211:212]
	v_fma_f64 v[213:214], -v[209:210], v[211:212], 1.0
	s_delay_alu instid0(VALU_DEP_1) | instskip(NEXT) | instid1(VALU_DEP_1)
	v_fma_f64 v[211:212], v[211:212], v[213:214], v[211:212]
	v_mul_f64 v[213:214], v[215:216], v[211:212]
	s_delay_alu instid0(VALU_DEP_1) | instskip(NEXT) | instid1(VALU_DEP_1)
	v_fma_f64 v[209:210], -v[209:210], v[213:214], v[215:216]
	v_div_fmas_f64 v[209:210], v[209:210], v[211:212], v[213:214]
	s_delay_alu instid0(VALU_DEP_1) | instskip(NEXT) | instid1(VALU_DEP_1)
	v_div_fixup_f64 v[209:210], v[209:210], v[192:193], v[194:195]
	v_fma_f64 v[192:193], v[194:195], v[209:210], v[192:193]
	s_delay_alu instid0(VALU_DEP_1) | instskip(NEXT) | instid1(VALU_DEP_1)
	v_div_scale_f64 v[194:195], null, v[192:193], v[192:193], 1.0
	v_rcp_f64_e32 v[211:212], v[194:195]
	s_waitcnt_depctr 0xfff
	v_fma_f64 v[213:214], -v[194:195], v[211:212], 1.0
	s_delay_alu instid0(VALU_DEP_1) | instskip(NEXT) | instid1(VALU_DEP_1)
	v_fma_f64 v[211:212], v[211:212], v[213:214], v[211:212]
	v_fma_f64 v[213:214], -v[194:195], v[211:212], 1.0
	s_delay_alu instid0(VALU_DEP_1) | instskip(SKIP_1) | instid1(VALU_DEP_1)
	v_fma_f64 v[211:212], v[211:212], v[213:214], v[211:212]
	v_div_scale_f64 v[213:214], vcc_lo, 1.0, v[192:193], 1.0
	v_mul_f64 v[215:216], v[213:214], v[211:212]
	s_delay_alu instid0(VALU_DEP_1) | instskip(NEXT) | instid1(VALU_DEP_1)
	v_fma_f64 v[194:195], -v[194:195], v[215:216], v[213:214]
	v_div_fmas_f64 v[194:195], v[194:195], v[211:212], v[215:216]
	s_delay_alu instid0(VALU_DEP_1) | instskip(NEXT) | instid1(VALU_DEP_1)
	v_div_fixup_f64 v[192:193], v[194:195], v[192:193], 1.0
	v_mul_f64 v[194:195], v[209:210], -v[192:193]
.LBB94_156:
	s_or_b32 exec_lo, exec_lo, s2
.LBB94_157:
	s_delay_alu instid0(SALU_CYCLE_1) | instskip(NEXT) | instid1(SALU_CYCLE_1)
	s_or_b32 exec_lo, exec_lo, s3
	s_mov_b32 s2, exec_lo
	v_cmpx_ne_u32_e64 v208, v200
	s_xor_b32 s2, exec_lo, s2
	s_cbranch_execz .LBB94_163
; %bb.158:
	s_mov_b32 s3, exec_lo
	v_cmpx_eq_u32_e32 7, v208
	s_cbranch_execz .LBB94_162
; %bb.159:
	v_cmp_ne_u32_e32 vcc_lo, 7, v200
	s_xor_b32 s6, s4, -1
	s_delay_alu instid0(SALU_CYCLE_1) | instskip(NEXT) | instid1(SALU_CYCLE_1)
	s_and_b32 s7, s6, vcc_lo
	s_and_saveexec_b32 s6, s7
	s_cbranch_execz .LBB94_161
; %bb.160:
	v_ashrrev_i32_e32 v201, 31, v200
	s_delay_alu instid0(VALU_DEP_1) | instskip(NEXT) | instid1(VALU_DEP_1)
	v_lshlrev_b64 v[208:209], 2, v[200:201]
	v_add_co_u32 v208, vcc_lo, v198, v208
	s_delay_alu instid0(VALU_DEP_2)
	v_add_co_ci_u32_e32 v209, vcc_lo, v199, v209, vcc_lo
	s_clause 0x1
	flat_load_b32 v201, v[208:209]
	flat_load_b32 v206, v[198:199] offset:28
	s_waitcnt vmcnt(1) lgkmcnt(1)
	flat_store_b32 v[198:199], v201 offset:28
	s_waitcnt vmcnt(0) lgkmcnt(1)
	flat_store_b32 v[208:209], v206
.LBB94_161:
	s_or_b32 exec_lo, exec_lo, s6
	v_mov_b32_e32 v208, v200
	v_mov_b32_e32 v206, v200
.LBB94_162:
	s_or_b32 exec_lo, exec_lo, s3
.LBB94_163:
	s_and_not1_saveexec_b32 s2, s2
	s_cbranch_execz .LBB94_165
; %bb.164:
	v_mov_b32_e32 v208, 7
	ds_store_2addr_b64 v202, v[156:157], v[158:159] offset0:16 offset1:17
	ds_store_2addr_b64 v202, v[152:153], v[154:155] offset0:18 offset1:19
	;; [unrolled: 1-line block ×40, first 2 shown]
.LBB94_165:
	s_or_b32 exec_lo, exec_lo, s2
	s_delay_alu instid0(SALU_CYCLE_1)
	s_mov_b32 s2, exec_lo
	s_waitcnt lgkmcnt(0)
	s_waitcnt_vscnt null, 0x0
	s_barrier
	buffer_gl0_inv
	v_cmpx_lt_i32_e32 7, v208
	s_cbranch_execz .LBB94_167
; %bb.166:
	v_mul_f64 v[200:201], v[194:195], v[162:163]
	v_mul_f64 v[162:163], v[192:193], v[162:163]
	s_delay_alu instid0(VALU_DEP_2) | instskip(NEXT) | instid1(VALU_DEP_2)
	v_fma_f64 v[200:201], v[192:193], v[160:161], -v[200:201]
	v_fma_f64 v[162:163], v[194:195], v[160:161], v[162:163]
	ds_load_2addr_b64 v[192:195], v202 offset0:16 offset1:17
	s_waitcnt lgkmcnt(0)
	v_mul_f64 v[160:161], v[194:195], v[162:163]
	s_delay_alu instid0(VALU_DEP_1) | instskip(SKIP_1) | instid1(VALU_DEP_2)
	v_fma_f64 v[160:161], v[192:193], v[200:201], -v[160:161]
	v_mul_f64 v[192:193], v[192:193], v[162:163]
	v_add_f64 v[156:157], v[156:157], -v[160:161]
	s_delay_alu instid0(VALU_DEP_2) | instskip(NEXT) | instid1(VALU_DEP_1)
	v_fma_f64 v[192:193], v[194:195], v[200:201], v[192:193]
	v_add_f64 v[158:159], v[158:159], -v[192:193]
	ds_load_2addr_b64 v[192:195], v202 offset0:18 offset1:19
	s_waitcnt lgkmcnt(0)
	v_mul_f64 v[160:161], v[194:195], v[162:163]
	s_delay_alu instid0(VALU_DEP_1) | instskip(SKIP_1) | instid1(VALU_DEP_2)
	v_fma_f64 v[160:161], v[192:193], v[200:201], -v[160:161]
	v_mul_f64 v[192:193], v[192:193], v[162:163]
	v_add_f64 v[152:153], v[152:153], -v[160:161]
	s_delay_alu instid0(VALU_DEP_2) | instskip(NEXT) | instid1(VALU_DEP_1)
	v_fma_f64 v[192:193], v[194:195], v[200:201], v[192:193]
	v_add_f64 v[154:155], v[154:155], -v[192:193]
	;; [unrolled: 10-line block ×39, first 2 shown]
	ds_load_2addr_b64 v[192:195], v202 offset0:94 offset1:95
	s_waitcnt lgkmcnt(0)
	v_mul_f64 v[160:161], v[194:195], v[162:163]
	s_delay_alu instid0(VALU_DEP_1) | instskip(SKIP_1) | instid1(VALU_DEP_2)
	v_fma_f64 v[160:161], v[192:193], v[200:201], -v[160:161]
	v_mul_f64 v[192:193], v[192:193], v[162:163]
	v_add_f64 v[0:1], v[0:1], -v[160:161]
	s_delay_alu instid0(VALU_DEP_2) | instskip(SKIP_1) | instid1(VALU_DEP_2)
	v_fma_f64 v[192:193], v[194:195], v[200:201], v[192:193]
	v_dual_mov_b32 v160, v200 :: v_dual_mov_b32 v161, v201
	v_add_f64 v[2:3], v[2:3], -v[192:193]
.LBB94_167:
	s_or_b32 exec_lo, exec_lo, s2
	v_lshl_add_u32 v192, v208, 4, v202
	s_barrier
	buffer_gl0_inv
	v_mov_b32_e32 v200, 8
	ds_store_2addr_b64 v192, v[156:157], v[158:159] offset1:1
	s_waitcnt lgkmcnt(0)
	s_barrier
	buffer_gl0_inv
	ds_load_2addr_b64 v[192:195], v202 offset0:16 offset1:17
	s_cmp_lt_i32 s5, 10
	s_cbranch_scc1 .LBB94_170
; %bb.168:
	v_add3_u32 v201, v207, 0, 0x90
	v_mov_b32_e32 v200, 8
	s_mov_b32 s6, 9
	s_set_inst_prefetch_distance 0x1
	.p2align	6
.LBB94_169:                             ; =>This Inner Loop Header: Depth=1
	ds_load_2addr_b64 v[209:212], v201 offset1:1
	s_waitcnt lgkmcnt(1)
	v_cmp_gt_f64_e32 vcc_lo, 0, v[192:193]
	v_xor_b32_e32 v213, 0x80000000, v193
	v_cmp_gt_f64_e64 s2, 0, v[194:195]
	v_xor_b32_e32 v215, 0x80000000, v195
	v_add_nc_u32_e32 v201, 16, v201
	s_waitcnt lgkmcnt(0)
	v_cmp_gt_f64_e64 s3, 0, v[209:210]
	v_mov_b32_e32 v217, v209
	v_dual_mov_b32 v219, v211 :: v_dual_cndmask_b32 v214, v193, v213
	v_xor_b32_e32 v213, 0x80000000, v210
	v_cndmask_b32_e64 v216, v195, v215, s2
	v_xor_b32_e32 v215, 0x80000000, v212
	s_delay_alu instid0(VALU_DEP_3) | instskip(SKIP_2) | instid1(VALU_DEP_2)
	v_cndmask_b32_e64 v218, v210, v213, s3
	v_cmp_gt_f64_e64 s3, 0, v[211:212]
	v_cndmask_b32_e32 v213, v192, v192, vcc_lo
	v_cndmask_b32_e64 v220, v212, v215, s3
	v_cndmask_b32_e64 v215, v194, v194, s2
	s_delay_alu instid0(VALU_DEP_2) | instskip(NEXT) | instid1(VALU_DEP_2)
	v_add_f64 v[217:218], v[217:218], v[219:220]
	v_add_f64 v[213:214], v[213:214], v[215:216]
	s_delay_alu instid0(VALU_DEP_1) | instskip(SKIP_4) | instid1(SALU_CYCLE_1)
	v_cmp_lt_f64_e32 vcc_lo, v[213:214], v[217:218]
	v_dual_cndmask_b32 v194, v194, v211 :: v_dual_cndmask_b32 v193, v193, v210
	v_dual_cndmask_b32 v192, v192, v209 :: v_dual_cndmask_b32 v195, v195, v212
	v_cndmask_b32_e64 v200, v200, s6, vcc_lo
	s_add_i32 s6, s6, 1
	s_cmp_lg_u32 s5, s6
	s_cbranch_scc1 .LBB94_169
.LBB94_170:
	s_set_inst_prefetch_distance 0x2
	s_waitcnt lgkmcnt(0)
	v_cmp_eq_f64_e32 vcc_lo, 0, v[192:193]
	v_cmp_eq_f64_e64 s2, 0, v[194:195]
	s_delay_alu instid0(VALU_DEP_1) | instskip(NEXT) | instid1(SALU_CYCLE_1)
	s_and_b32 s2, vcc_lo, s2
	s_and_saveexec_b32 s3, s2
	s_delay_alu instid0(SALU_CYCLE_1)
	s_xor_b32 s2, exec_lo, s3
; %bb.171:
	v_cmp_ne_u32_e32 vcc_lo, 0, v205
	v_cndmask_b32_e32 v205, 9, v205, vcc_lo
; %bb.172:
	s_and_not1_saveexec_b32 s3, s2
	s_cbranch_execz .LBB94_178
; %bb.173:
	v_cmp_gt_f64_e32 vcc_lo, 0, v[192:193]
	v_cmp_gt_f64_e64 s2, 0, v[194:195]
	v_xor_b32_e32 v201, 0x80000000, v193
	v_xor_b32_e32 v209, 0x80000000, v195
	s_delay_alu instid0(VALU_DEP_2) | instskip(NEXT) | instid1(VALU_DEP_2)
	v_cndmask_b32_e32 v210, v193, v201, vcc_lo
	v_cndmask_b32_e64 v212, v195, v209, s2
	v_cndmask_b32_e32 v209, v192, v192, vcc_lo
	v_cndmask_b32_e64 v211, v194, v194, s2
	s_mov_b32 s2, exec_lo
	s_delay_alu instid0(VALU_DEP_1)
	v_cmpx_ngt_f64_e32 v[209:210], v[211:212]
	s_xor_b32 s2, exec_lo, s2
	s_cbranch_execz .LBB94_175
; %bb.174:
	v_div_scale_f64 v[209:210], null, v[194:195], v[194:195], v[192:193]
	v_div_scale_f64 v[215:216], vcc_lo, v[192:193], v[194:195], v[192:193]
	s_delay_alu instid0(VALU_DEP_2) | instskip(SKIP_2) | instid1(VALU_DEP_1)
	v_rcp_f64_e32 v[211:212], v[209:210]
	s_waitcnt_depctr 0xfff
	v_fma_f64 v[213:214], -v[209:210], v[211:212], 1.0
	v_fma_f64 v[211:212], v[211:212], v[213:214], v[211:212]
	s_delay_alu instid0(VALU_DEP_1) | instskip(NEXT) | instid1(VALU_DEP_1)
	v_fma_f64 v[213:214], -v[209:210], v[211:212], 1.0
	v_fma_f64 v[211:212], v[211:212], v[213:214], v[211:212]
	s_delay_alu instid0(VALU_DEP_1) | instskip(NEXT) | instid1(VALU_DEP_1)
	v_mul_f64 v[213:214], v[215:216], v[211:212]
	v_fma_f64 v[209:210], -v[209:210], v[213:214], v[215:216]
	s_delay_alu instid0(VALU_DEP_1) | instskip(NEXT) | instid1(VALU_DEP_1)
	v_div_fmas_f64 v[209:210], v[209:210], v[211:212], v[213:214]
	v_div_fixup_f64 v[209:210], v[209:210], v[194:195], v[192:193]
	s_delay_alu instid0(VALU_DEP_1) | instskip(NEXT) | instid1(VALU_DEP_1)
	v_fma_f64 v[192:193], v[192:193], v[209:210], v[194:195]
	v_div_scale_f64 v[194:195], null, v[192:193], v[192:193], 1.0
	s_delay_alu instid0(VALU_DEP_1) | instskip(SKIP_2) | instid1(VALU_DEP_1)
	v_rcp_f64_e32 v[211:212], v[194:195]
	s_waitcnt_depctr 0xfff
	v_fma_f64 v[213:214], -v[194:195], v[211:212], 1.0
	v_fma_f64 v[211:212], v[211:212], v[213:214], v[211:212]
	s_delay_alu instid0(VALU_DEP_1) | instskip(NEXT) | instid1(VALU_DEP_1)
	v_fma_f64 v[213:214], -v[194:195], v[211:212], 1.0
	v_fma_f64 v[211:212], v[211:212], v[213:214], v[211:212]
	v_div_scale_f64 v[213:214], vcc_lo, 1.0, v[192:193], 1.0
	s_delay_alu instid0(VALU_DEP_1) | instskip(NEXT) | instid1(VALU_DEP_1)
	v_mul_f64 v[215:216], v[213:214], v[211:212]
	v_fma_f64 v[194:195], -v[194:195], v[215:216], v[213:214]
	s_delay_alu instid0(VALU_DEP_1) | instskip(NEXT) | instid1(VALU_DEP_1)
	v_div_fmas_f64 v[194:195], v[194:195], v[211:212], v[215:216]
	v_div_fixup_f64 v[194:195], v[194:195], v[192:193], 1.0
	s_delay_alu instid0(VALU_DEP_1)
	v_mul_f64 v[192:193], v[209:210], v[194:195]
	v_xor_b32_e32 v195, 0x80000000, v195
.LBB94_175:
	s_and_not1_saveexec_b32 s2, s2
	s_cbranch_execz .LBB94_177
; %bb.176:
	s_delay_alu instid0(VALU_DEP_1) | instskip(SKIP_1) | instid1(VALU_DEP_2)
	v_div_scale_f64 v[209:210], null, v[192:193], v[192:193], v[194:195]
	v_div_scale_f64 v[215:216], vcc_lo, v[194:195], v[192:193], v[194:195]
	v_rcp_f64_e32 v[211:212], v[209:210]
	s_waitcnt_depctr 0xfff
	v_fma_f64 v[213:214], -v[209:210], v[211:212], 1.0
	s_delay_alu instid0(VALU_DEP_1) | instskip(NEXT) | instid1(VALU_DEP_1)
	v_fma_f64 v[211:212], v[211:212], v[213:214], v[211:212]
	v_fma_f64 v[213:214], -v[209:210], v[211:212], 1.0
	s_delay_alu instid0(VALU_DEP_1) | instskip(NEXT) | instid1(VALU_DEP_1)
	v_fma_f64 v[211:212], v[211:212], v[213:214], v[211:212]
	v_mul_f64 v[213:214], v[215:216], v[211:212]
	s_delay_alu instid0(VALU_DEP_1) | instskip(NEXT) | instid1(VALU_DEP_1)
	v_fma_f64 v[209:210], -v[209:210], v[213:214], v[215:216]
	v_div_fmas_f64 v[209:210], v[209:210], v[211:212], v[213:214]
	s_delay_alu instid0(VALU_DEP_1) | instskip(NEXT) | instid1(VALU_DEP_1)
	v_div_fixup_f64 v[209:210], v[209:210], v[192:193], v[194:195]
	v_fma_f64 v[192:193], v[194:195], v[209:210], v[192:193]
	s_delay_alu instid0(VALU_DEP_1) | instskip(NEXT) | instid1(VALU_DEP_1)
	v_div_scale_f64 v[194:195], null, v[192:193], v[192:193], 1.0
	v_rcp_f64_e32 v[211:212], v[194:195]
	s_waitcnt_depctr 0xfff
	v_fma_f64 v[213:214], -v[194:195], v[211:212], 1.0
	s_delay_alu instid0(VALU_DEP_1) | instskip(NEXT) | instid1(VALU_DEP_1)
	v_fma_f64 v[211:212], v[211:212], v[213:214], v[211:212]
	v_fma_f64 v[213:214], -v[194:195], v[211:212], 1.0
	s_delay_alu instid0(VALU_DEP_1) | instskip(SKIP_1) | instid1(VALU_DEP_1)
	v_fma_f64 v[211:212], v[211:212], v[213:214], v[211:212]
	v_div_scale_f64 v[213:214], vcc_lo, 1.0, v[192:193], 1.0
	v_mul_f64 v[215:216], v[213:214], v[211:212]
	s_delay_alu instid0(VALU_DEP_1) | instskip(NEXT) | instid1(VALU_DEP_1)
	v_fma_f64 v[194:195], -v[194:195], v[215:216], v[213:214]
	v_div_fmas_f64 v[194:195], v[194:195], v[211:212], v[215:216]
	s_delay_alu instid0(VALU_DEP_1) | instskip(NEXT) | instid1(VALU_DEP_1)
	v_div_fixup_f64 v[192:193], v[194:195], v[192:193], 1.0
	v_mul_f64 v[194:195], v[209:210], -v[192:193]
.LBB94_177:
	s_or_b32 exec_lo, exec_lo, s2
.LBB94_178:
	s_delay_alu instid0(SALU_CYCLE_1) | instskip(NEXT) | instid1(SALU_CYCLE_1)
	s_or_b32 exec_lo, exec_lo, s3
	s_mov_b32 s2, exec_lo
	v_cmpx_ne_u32_e64 v208, v200
	s_xor_b32 s2, exec_lo, s2
	s_cbranch_execz .LBB94_184
; %bb.179:
	s_mov_b32 s3, exec_lo
	v_cmpx_eq_u32_e32 8, v208
	s_cbranch_execz .LBB94_183
; %bb.180:
	v_cmp_ne_u32_e32 vcc_lo, 8, v200
	s_xor_b32 s6, s4, -1
	s_delay_alu instid0(SALU_CYCLE_1) | instskip(NEXT) | instid1(SALU_CYCLE_1)
	s_and_b32 s7, s6, vcc_lo
	s_and_saveexec_b32 s6, s7
	s_cbranch_execz .LBB94_182
; %bb.181:
	v_ashrrev_i32_e32 v201, 31, v200
	s_delay_alu instid0(VALU_DEP_1) | instskip(NEXT) | instid1(VALU_DEP_1)
	v_lshlrev_b64 v[208:209], 2, v[200:201]
	v_add_co_u32 v208, vcc_lo, v198, v208
	s_delay_alu instid0(VALU_DEP_2)
	v_add_co_ci_u32_e32 v209, vcc_lo, v199, v209, vcc_lo
	s_clause 0x1
	flat_load_b32 v201, v[208:209]
	flat_load_b32 v206, v[198:199] offset:32
	s_waitcnt vmcnt(1) lgkmcnt(1)
	flat_store_b32 v[198:199], v201 offset:32
	s_waitcnt vmcnt(0) lgkmcnt(1)
	flat_store_b32 v[208:209], v206
.LBB94_182:
	s_or_b32 exec_lo, exec_lo, s6
	v_mov_b32_e32 v208, v200
	v_mov_b32_e32 v206, v200
.LBB94_183:
	s_or_b32 exec_lo, exec_lo, s3
.LBB94_184:
	s_and_not1_saveexec_b32 s2, s2
	s_cbranch_execz .LBB94_186
; %bb.185:
	v_mov_b32_e32 v208, 8
	ds_store_2addr_b64 v202, v[152:153], v[154:155] offset0:18 offset1:19
	ds_store_2addr_b64 v202, v[148:149], v[150:151] offset0:20 offset1:21
	;; [unrolled: 1-line block ×39, first 2 shown]
.LBB94_186:
	s_or_b32 exec_lo, exec_lo, s2
	s_delay_alu instid0(SALU_CYCLE_1)
	s_mov_b32 s2, exec_lo
	s_waitcnt lgkmcnt(0)
	s_waitcnt_vscnt null, 0x0
	s_barrier
	buffer_gl0_inv
	v_cmpx_lt_i32_e32 8, v208
	s_cbranch_execz .LBB94_188
; %bb.187:
	v_mul_f64 v[200:201], v[194:195], v[158:159]
	v_mul_f64 v[158:159], v[192:193], v[158:159]
	s_delay_alu instid0(VALU_DEP_2) | instskip(NEXT) | instid1(VALU_DEP_2)
	v_fma_f64 v[200:201], v[192:193], v[156:157], -v[200:201]
	v_fma_f64 v[158:159], v[194:195], v[156:157], v[158:159]
	ds_load_2addr_b64 v[192:195], v202 offset0:18 offset1:19
	s_waitcnt lgkmcnt(0)
	v_mul_f64 v[156:157], v[194:195], v[158:159]
	s_delay_alu instid0(VALU_DEP_1) | instskip(SKIP_1) | instid1(VALU_DEP_2)
	v_fma_f64 v[156:157], v[192:193], v[200:201], -v[156:157]
	v_mul_f64 v[192:193], v[192:193], v[158:159]
	v_add_f64 v[152:153], v[152:153], -v[156:157]
	s_delay_alu instid0(VALU_DEP_2) | instskip(NEXT) | instid1(VALU_DEP_1)
	v_fma_f64 v[192:193], v[194:195], v[200:201], v[192:193]
	v_add_f64 v[154:155], v[154:155], -v[192:193]
	ds_load_2addr_b64 v[192:195], v202 offset0:20 offset1:21
	s_waitcnt lgkmcnt(0)
	v_mul_f64 v[156:157], v[194:195], v[158:159]
	s_delay_alu instid0(VALU_DEP_1) | instskip(SKIP_1) | instid1(VALU_DEP_2)
	v_fma_f64 v[156:157], v[192:193], v[200:201], -v[156:157]
	v_mul_f64 v[192:193], v[192:193], v[158:159]
	v_add_f64 v[148:149], v[148:149], -v[156:157]
	s_delay_alu instid0(VALU_DEP_2) | instskip(NEXT) | instid1(VALU_DEP_1)
	v_fma_f64 v[192:193], v[194:195], v[200:201], v[192:193]
	v_add_f64 v[150:151], v[150:151], -v[192:193]
	;; [unrolled: 10-line block ×38, first 2 shown]
	ds_load_2addr_b64 v[192:195], v202 offset0:94 offset1:95
	s_waitcnt lgkmcnt(0)
	v_mul_f64 v[156:157], v[194:195], v[158:159]
	s_delay_alu instid0(VALU_DEP_1) | instskip(SKIP_1) | instid1(VALU_DEP_2)
	v_fma_f64 v[156:157], v[192:193], v[200:201], -v[156:157]
	v_mul_f64 v[192:193], v[192:193], v[158:159]
	v_add_f64 v[0:1], v[0:1], -v[156:157]
	s_delay_alu instid0(VALU_DEP_2) | instskip(SKIP_1) | instid1(VALU_DEP_2)
	v_fma_f64 v[192:193], v[194:195], v[200:201], v[192:193]
	v_dual_mov_b32 v156, v200 :: v_dual_mov_b32 v157, v201
	v_add_f64 v[2:3], v[2:3], -v[192:193]
.LBB94_188:
	s_or_b32 exec_lo, exec_lo, s2
	v_lshl_add_u32 v192, v208, 4, v202
	s_barrier
	buffer_gl0_inv
	v_mov_b32_e32 v200, 9
	ds_store_2addr_b64 v192, v[152:153], v[154:155] offset1:1
	s_waitcnt lgkmcnt(0)
	s_barrier
	buffer_gl0_inv
	ds_load_2addr_b64 v[192:195], v202 offset0:18 offset1:19
	s_cmp_lt_i32 s5, 11
	s_cbranch_scc1 .LBB94_191
; %bb.189:
	v_add3_u32 v201, v207, 0, 0xa0
	v_mov_b32_e32 v200, 9
	s_mov_b32 s6, 10
	s_set_inst_prefetch_distance 0x1
	.p2align	6
.LBB94_190:                             ; =>This Inner Loop Header: Depth=1
	ds_load_2addr_b64 v[209:212], v201 offset1:1
	s_waitcnt lgkmcnt(1)
	v_cmp_gt_f64_e32 vcc_lo, 0, v[192:193]
	v_xor_b32_e32 v213, 0x80000000, v193
	v_cmp_gt_f64_e64 s2, 0, v[194:195]
	v_xor_b32_e32 v215, 0x80000000, v195
	v_add_nc_u32_e32 v201, 16, v201
	s_waitcnt lgkmcnt(0)
	v_cmp_gt_f64_e64 s3, 0, v[209:210]
	v_mov_b32_e32 v217, v209
	v_dual_mov_b32 v219, v211 :: v_dual_cndmask_b32 v214, v193, v213
	v_xor_b32_e32 v213, 0x80000000, v210
	v_cndmask_b32_e64 v216, v195, v215, s2
	v_xor_b32_e32 v215, 0x80000000, v212
	s_delay_alu instid0(VALU_DEP_3) | instskip(SKIP_2) | instid1(VALU_DEP_2)
	v_cndmask_b32_e64 v218, v210, v213, s3
	v_cmp_gt_f64_e64 s3, 0, v[211:212]
	v_cndmask_b32_e32 v213, v192, v192, vcc_lo
	v_cndmask_b32_e64 v220, v212, v215, s3
	v_cndmask_b32_e64 v215, v194, v194, s2
	s_delay_alu instid0(VALU_DEP_2) | instskip(NEXT) | instid1(VALU_DEP_2)
	v_add_f64 v[217:218], v[217:218], v[219:220]
	v_add_f64 v[213:214], v[213:214], v[215:216]
	s_delay_alu instid0(VALU_DEP_1) | instskip(SKIP_4) | instid1(SALU_CYCLE_1)
	v_cmp_lt_f64_e32 vcc_lo, v[213:214], v[217:218]
	v_dual_cndmask_b32 v194, v194, v211 :: v_dual_cndmask_b32 v193, v193, v210
	v_dual_cndmask_b32 v192, v192, v209 :: v_dual_cndmask_b32 v195, v195, v212
	v_cndmask_b32_e64 v200, v200, s6, vcc_lo
	s_add_i32 s6, s6, 1
	s_cmp_lg_u32 s5, s6
	s_cbranch_scc1 .LBB94_190
.LBB94_191:
	s_set_inst_prefetch_distance 0x2
	s_waitcnt lgkmcnt(0)
	v_cmp_eq_f64_e32 vcc_lo, 0, v[192:193]
	v_cmp_eq_f64_e64 s2, 0, v[194:195]
	s_delay_alu instid0(VALU_DEP_1) | instskip(NEXT) | instid1(SALU_CYCLE_1)
	s_and_b32 s2, vcc_lo, s2
	s_and_saveexec_b32 s3, s2
	s_delay_alu instid0(SALU_CYCLE_1)
	s_xor_b32 s2, exec_lo, s3
; %bb.192:
	v_cmp_ne_u32_e32 vcc_lo, 0, v205
	v_cndmask_b32_e32 v205, 10, v205, vcc_lo
; %bb.193:
	s_and_not1_saveexec_b32 s3, s2
	s_cbranch_execz .LBB94_199
; %bb.194:
	v_cmp_gt_f64_e32 vcc_lo, 0, v[192:193]
	v_cmp_gt_f64_e64 s2, 0, v[194:195]
	v_xor_b32_e32 v201, 0x80000000, v193
	v_xor_b32_e32 v209, 0x80000000, v195
	s_delay_alu instid0(VALU_DEP_2) | instskip(NEXT) | instid1(VALU_DEP_2)
	v_cndmask_b32_e32 v210, v193, v201, vcc_lo
	v_cndmask_b32_e64 v212, v195, v209, s2
	v_cndmask_b32_e32 v209, v192, v192, vcc_lo
	v_cndmask_b32_e64 v211, v194, v194, s2
	s_mov_b32 s2, exec_lo
	s_delay_alu instid0(VALU_DEP_1)
	v_cmpx_ngt_f64_e32 v[209:210], v[211:212]
	s_xor_b32 s2, exec_lo, s2
	s_cbranch_execz .LBB94_196
; %bb.195:
	v_div_scale_f64 v[209:210], null, v[194:195], v[194:195], v[192:193]
	v_div_scale_f64 v[215:216], vcc_lo, v[192:193], v[194:195], v[192:193]
	s_delay_alu instid0(VALU_DEP_2) | instskip(SKIP_2) | instid1(VALU_DEP_1)
	v_rcp_f64_e32 v[211:212], v[209:210]
	s_waitcnt_depctr 0xfff
	v_fma_f64 v[213:214], -v[209:210], v[211:212], 1.0
	v_fma_f64 v[211:212], v[211:212], v[213:214], v[211:212]
	s_delay_alu instid0(VALU_DEP_1) | instskip(NEXT) | instid1(VALU_DEP_1)
	v_fma_f64 v[213:214], -v[209:210], v[211:212], 1.0
	v_fma_f64 v[211:212], v[211:212], v[213:214], v[211:212]
	s_delay_alu instid0(VALU_DEP_1) | instskip(NEXT) | instid1(VALU_DEP_1)
	v_mul_f64 v[213:214], v[215:216], v[211:212]
	v_fma_f64 v[209:210], -v[209:210], v[213:214], v[215:216]
	s_delay_alu instid0(VALU_DEP_1) | instskip(NEXT) | instid1(VALU_DEP_1)
	v_div_fmas_f64 v[209:210], v[209:210], v[211:212], v[213:214]
	v_div_fixup_f64 v[209:210], v[209:210], v[194:195], v[192:193]
	s_delay_alu instid0(VALU_DEP_1) | instskip(NEXT) | instid1(VALU_DEP_1)
	v_fma_f64 v[192:193], v[192:193], v[209:210], v[194:195]
	v_div_scale_f64 v[194:195], null, v[192:193], v[192:193], 1.0
	s_delay_alu instid0(VALU_DEP_1) | instskip(SKIP_2) | instid1(VALU_DEP_1)
	v_rcp_f64_e32 v[211:212], v[194:195]
	s_waitcnt_depctr 0xfff
	v_fma_f64 v[213:214], -v[194:195], v[211:212], 1.0
	v_fma_f64 v[211:212], v[211:212], v[213:214], v[211:212]
	s_delay_alu instid0(VALU_DEP_1) | instskip(NEXT) | instid1(VALU_DEP_1)
	v_fma_f64 v[213:214], -v[194:195], v[211:212], 1.0
	v_fma_f64 v[211:212], v[211:212], v[213:214], v[211:212]
	v_div_scale_f64 v[213:214], vcc_lo, 1.0, v[192:193], 1.0
	s_delay_alu instid0(VALU_DEP_1) | instskip(NEXT) | instid1(VALU_DEP_1)
	v_mul_f64 v[215:216], v[213:214], v[211:212]
	v_fma_f64 v[194:195], -v[194:195], v[215:216], v[213:214]
	s_delay_alu instid0(VALU_DEP_1) | instskip(NEXT) | instid1(VALU_DEP_1)
	v_div_fmas_f64 v[194:195], v[194:195], v[211:212], v[215:216]
	v_div_fixup_f64 v[194:195], v[194:195], v[192:193], 1.0
	s_delay_alu instid0(VALU_DEP_1)
	v_mul_f64 v[192:193], v[209:210], v[194:195]
	v_xor_b32_e32 v195, 0x80000000, v195
.LBB94_196:
	s_and_not1_saveexec_b32 s2, s2
	s_cbranch_execz .LBB94_198
; %bb.197:
	s_delay_alu instid0(VALU_DEP_1) | instskip(SKIP_1) | instid1(VALU_DEP_2)
	v_div_scale_f64 v[209:210], null, v[192:193], v[192:193], v[194:195]
	v_div_scale_f64 v[215:216], vcc_lo, v[194:195], v[192:193], v[194:195]
	v_rcp_f64_e32 v[211:212], v[209:210]
	s_waitcnt_depctr 0xfff
	v_fma_f64 v[213:214], -v[209:210], v[211:212], 1.0
	s_delay_alu instid0(VALU_DEP_1) | instskip(NEXT) | instid1(VALU_DEP_1)
	v_fma_f64 v[211:212], v[211:212], v[213:214], v[211:212]
	v_fma_f64 v[213:214], -v[209:210], v[211:212], 1.0
	s_delay_alu instid0(VALU_DEP_1) | instskip(NEXT) | instid1(VALU_DEP_1)
	v_fma_f64 v[211:212], v[211:212], v[213:214], v[211:212]
	v_mul_f64 v[213:214], v[215:216], v[211:212]
	s_delay_alu instid0(VALU_DEP_1) | instskip(NEXT) | instid1(VALU_DEP_1)
	v_fma_f64 v[209:210], -v[209:210], v[213:214], v[215:216]
	v_div_fmas_f64 v[209:210], v[209:210], v[211:212], v[213:214]
	s_delay_alu instid0(VALU_DEP_1) | instskip(NEXT) | instid1(VALU_DEP_1)
	v_div_fixup_f64 v[209:210], v[209:210], v[192:193], v[194:195]
	v_fma_f64 v[192:193], v[194:195], v[209:210], v[192:193]
	s_delay_alu instid0(VALU_DEP_1) | instskip(NEXT) | instid1(VALU_DEP_1)
	v_div_scale_f64 v[194:195], null, v[192:193], v[192:193], 1.0
	v_rcp_f64_e32 v[211:212], v[194:195]
	s_waitcnt_depctr 0xfff
	v_fma_f64 v[213:214], -v[194:195], v[211:212], 1.0
	s_delay_alu instid0(VALU_DEP_1) | instskip(NEXT) | instid1(VALU_DEP_1)
	v_fma_f64 v[211:212], v[211:212], v[213:214], v[211:212]
	v_fma_f64 v[213:214], -v[194:195], v[211:212], 1.0
	s_delay_alu instid0(VALU_DEP_1) | instskip(SKIP_1) | instid1(VALU_DEP_1)
	v_fma_f64 v[211:212], v[211:212], v[213:214], v[211:212]
	v_div_scale_f64 v[213:214], vcc_lo, 1.0, v[192:193], 1.0
	v_mul_f64 v[215:216], v[213:214], v[211:212]
	s_delay_alu instid0(VALU_DEP_1) | instskip(NEXT) | instid1(VALU_DEP_1)
	v_fma_f64 v[194:195], -v[194:195], v[215:216], v[213:214]
	v_div_fmas_f64 v[194:195], v[194:195], v[211:212], v[215:216]
	s_delay_alu instid0(VALU_DEP_1) | instskip(NEXT) | instid1(VALU_DEP_1)
	v_div_fixup_f64 v[192:193], v[194:195], v[192:193], 1.0
	v_mul_f64 v[194:195], v[209:210], -v[192:193]
.LBB94_198:
	s_or_b32 exec_lo, exec_lo, s2
.LBB94_199:
	s_delay_alu instid0(SALU_CYCLE_1) | instskip(NEXT) | instid1(SALU_CYCLE_1)
	s_or_b32 exec_lo, exec_lo, s3
	s_mov_b32 s2, exec_lo
	v_cmpx_ne_u32_e64 v208, v200
	s_xor_b32 s2, exec_lo, s2
	s_cbranch_execz .LBB94_205
; %bb.200:
	s_mov_b32 s3, exec_lo
	v_cmpx_eq_u32_e32 9, v208
	s_cbranch_execz .LBB94_204
; %bb.201:
	v_cmp_ne_u32_e32 vcc_lo, 9, v200
	s_xor_b32 s6, s4, -1
	s_delay_alu instid0(SALU_CYCLE_1) | instskip(NEXT) | instid1(SALU_CYCLE_1)
	s_and_b32 s7, s6, vcc_lo
	s_and_saveexec_b32 s6, s7
	s_cbranch_execz .LBB94_203
; %bb.202:
	v_ashrrev_i32_e32 v201, 31, v200
	s_delay_alu instid0(VALU_DEP_1) | instskip(NEXT) | instid1(VALU_DEP_1)
	v_lshlrev_b64 v[208:209], 2, v[200:201]
	v_add_co_u32 v208, vcc_lo, v198, v208
	s_delay_alu instid0(VALU_DEP_2)
	v_add_co_ci_u32_e32 v209, vcc_lo, v199, v209, vcc_lo
	s_clause 0x1
	flat_load_b32 v201, v[208:209]
	flat_load_b32 v206, v[198:199] offset:36
	s_waitcnt vmcnt(1) lgkmcnt(1)
	flat_store_b32 v[198:199], v201 offset:36
	s_waitcnt vmcnt(0) lgkmcnt(1)
	flat_store_b32 v[208:209], v206
.LBB94_203:
	s_or_b32 exec_lo, exec_lo, s6
	v_mov_b32_e32 v208, v200
	v_mov_b32_e32 v206, v200
.LBB94_204:
	s_or_b32 exec_lo, exec_lo, s3
.LBB94_205:
	s_and_not1_saveexec_b32 s2, s2
	s_cbranch_execz .LBB94_207
; %bb.206:
	v_mov_b32_e32 v208, 9
	ds_store_2addr_b64 v202, v[148:149], v[150:151] offset0:20 offset1:21
	ds_store_2addr_b64 v202, v[144:145], v[146:147] offset0:22 offset1:23
	;; [unrolled: 1-line block ×38, first 2 shown]
.LBB94_207:
	s_or_b32 exec_lo, exec_lo, s2
	s_delay_alu instid0(SALU_CYCLE_1)
	s_mov_b32 s2, exec_lo
	s_waitcnt lgkmcnt(0)
	s_waitcnt_vscnt null, 0x0
	s_barrier
	buffer_gl0_inv
	v_cmpx_lt_i32_e32 9, v208
	s_cbranch_execz .LBB94_209
; %bb.208:
	v_mul_f64 v[200:201], v[194:195], v[154:155]
	v_mul_f64 v[154:155], v[192:193], v[154:155]
	s_delay_alu instid0(VALU_DEP_2) | instskip(NEXT) | instid1(VALU_DEP_2)
	v_fma_f64 v[200:201], v[192:193], v[152:153], -v[200:201]
	v_fma_f64 v[154:155], v[194:195], v[152:153], v[154:155]
	ds_load_2addr_b64 v[192:195], v202 offset0:20 offset1:21
	s_waitcnt lgkmcnt(0)
	v_mul_f64 v[152:153], v[194:195], v[154:155]
	s_delay_alu instid0(VALU_DEP_1) | instskip(SKIP_1) | instid1(VALU_DEP_2)
	v_fma_f64 v[152:153], v[192:193], v[200:201], -v[152:153]
	v_mul_f64 v[192:193], v[192:193], v[154:155]
	v_add_f64 v[148:149], v[148:149], -v[152:153]
	s_delay_alu instid0(VALU_DEP_2) | instskip(NEXT) | instid1(VALU_DEP_1)
	v_fma_f64 v[192:193], v[194:195], v[200:201], v[192:193]
	v_add_f64 v[150:151], v[150:151], -v[192:193]
	ds_load_2addr_b64 v[192:195], v202 offset0:22 offset1:23
	s_waitcnt lgkmcnt(0)
	v_mul_f64 v[152:153], v[194:195], v[154:155]
	s_delay_alu instid0(VALU_DEP_1) | instskip(SKIP_1) | instid1(VALU_DEP_2)
	v_fma_f64 v[152:153], v[192:193], v[200:201], -v[152:153]
	v_mul_f64 v[192:193], v[192:193], v[154:155]
	v_add_f64 v[144:145], v[144:145], -v[152:153]
	s_delay_alu instid0(VALU_DEP_2) | instskip(NEXT) | instid1(VALU_DEP_1)
	v_fma_f64 v[192:193], v[194:195], v[200:201], v[192:193]
	v_add_f64 v[146:147], v[146:147], -v[192:193]
	ds_load_2addr_b64 v[192:195], v202 offset0:24 offset1:25
	s_waitcnt lgkmcnt(0)
	v_mul_f64 v[152:153], v[194:195], v[154:155]
	s_delay_alu instid0(VALU_DEP_1) | instskip(SKIP_1) | instid1(VALU_DEP_2)
	v_fma_f64 v[152:153], v[192:193], v[200:201], -v[152:153]
	v_mul_f64 v[192:193], v[192:193], v[154:155]
	v_add_f64 v[140:141], v[140:141], -v[152:153]
	s_delay_alu instid0(VALU_DEP_2) | instskip(NEXT) | instid1(VALU_DEP_1)
	v_fma_f64 v[192:193], v[194:195], v[200:201], v[192:193]
	v_add_f64 v[142:143], v[142:143], -v[192:193]
	ds_load_2addr_b64 v[192:195], v202 offset0:26 offset1:27
	s_waitcnt lgkmcnt(0)
	v_mul_f64 v[152:153], v[194:195], v[154:155]
	s_delay_alu instid0(VALU_DEP_1) | instskip(SKIP_1) | instid1(VALU_DEP_2)
	v_fma_f64 v[152:153], v[192:193], v[200:201], -v[152:153]
	v_mul_f64 v[192:193], v[192:193], v[154:155]
	v_add_f64 v[136:137], v[136:137], -v[152:153]
	s_delay_alu instid0(VALU_DEP_2) | instskip(NEXT) | instid1(VALU_DEP_1)
	v_fma_f64 v[192:193], v[194:195], v[200:201], v[192:193]
	v_add_f64 v[138:139], v[138:139], -v[192:193]
	ds_load_2addr_b64 v[192:195], v202 offset0:28 offset1:29
	s_waitcnt lgkmcnt(0)
	v_mul_f64 v[152:153], v[194:195], v[154:155]
	s_delay_alu instid0(VALU_DEP_1) | instskip(SKIP_1) | instid1(VALU_DEP_2)
	v_fma_f64 v[152:153], v[192:193], v[200:201], -v[152:153]
	v_mul_f64 v[192:193], v[192:193], v[154:155]
	v_add_f64 v[132:133], v[132:133], -v[152:153]
	s_delay_alu instid0(VALU_DEP_2) | instskip(NEXT) | instid1(VALU_DEP_1)
	v_fma_f64 v[192:193], v[194:195], v[200:201], v[192:193]
	v_add_f64 v[134:135], v[134:135], -v[192:193]
	ds_load_2addr_b64 v[192:195], v202 offset0:30 offset1:31
	s_waitcnt lgkmcnt(0)
	v_mul_f64 v[152:153], v[194:195], v[154:155]
	s_delay_alu instid0(VALU_DEP_1) | instskip(SKIP_1) | instid1(VALU_DEP_2)
	v_fma_f64 v[152:153], v[192:193], v[200:201], -v[152:153]
	v_mul_f64 v[192:193], v[192:193], v[154:155]
	v_add_f64 v[128:129], v[128:129], -v[152:153]
	s_delay_alu instid0(VALU_DEP_2) | instskip(NEXT) | instid1(VALU_DEP_1)
	v_fma_f64 v[192:193], v[194:195], v[200:201], v[192:193]
	v_add_f64 v[130:131], v[130:131], -v[192:193]
	ds_load_2addr_b64 v[192:195], v202 offset0:32 offset1:33
	s_waitcnt lgkmcnt(0)
	v_mul_f64 v[152:153], v[194:195], v[154:155]
	s_delay_alu instid0(VALU_DEP_1) | instskip(SKIP_1) | instid1(VALU_DEP_2)
	v_fma_f64 v[152:153], v[192:193], v[200:201], -v[152:153]
	v_mul_f64 v[192:193], v[192:193], v[154:155]
	v_add_f64 v[124:125], v[124:125], -v[152:153]
	s_delay_alu instid0(VALU_DEP_2) | instskip(NEXT) | instid1(VALU_DEP_1)
	v_fma_f64 v[192:193], v[194:195], v[200:201], v[192:193]
	v_add_f64 v[126:127], v[126:127], -v[192:193]
	ds_load_2addr_b64 v[192:195], v202 offset0:34 offset1:35
	s_waitcnt lgkmcnt(0)
	v_mul_f64 v[152:153], v[194:195], v[154:155]
	s_delay_alu instid0(VALU_DEP_1) | instskip(SKIP_1) | instid1(VALU_DEP_2)
	v_fma_f64 v[152:153], v[192:193], v[200:201], -v[152:153]
	v_mul_f64 v[192:193], v[192:193], v[154:155]
	v_add_f64 v[120:121], v[120:121], -v[152:153]
	s_delay_alu instid0(VALU_DEP_2) | instskip(NEXT) | instid1(VALU_DEP_1)
	v_fma_f64 v[192:193], v[194:195], v[200:201], v[192:193]
	v_add_f64 v[122:123], v[122:123], -v[192:193]
	ds_load_2addr_b64 v[192:195], v202 offset0:36 offset1:37
	s_waitcnt lgkmcnt(0)
	v_mul_f64 v[152:153], v[194:195], v[154:155]
	s_delay_alu instid0(VALU_DEP_1) | instskip(SKIP_1) | instid1(VALU_DEP_2)
	v_fma_f64 v[152:153], v[192:193], v[200:201], -v[152:153]
	v_mul_f64 v[192:193], v[192:193], v[154:155]
	v_add_f64 v[116:117], v[116:117], -v[152:153]
	s_delay_alu instid0(VALU_DEP_2) | instskip(NEXT) | instid1(VALU_DEP_1)
	v_fma_f64 v[192:193], v[194:195], v[200:201], v[192:193]
	v_add_f64 v[118:119], v[118:119], -v[192:193]
	ds_load_2addr_b64 v[192:195], v202 offset0:38 offset1:39
	s_waitcnt lgkmcnt(0)
	v_mul_f64 v[152:153], v[194:195], v[154:155]
	s_delay_alu instid0(VALU_DEP_1) | instskip(SKIP_1) | instid1(VALU_DEP_2)
	v_fma_f64 v[152:153], v[192:193], v[200:201], -v[152:153]
	v_mul_f64 v[192:193], v[192:193], v[154:155]
	v_add_f64 v[112:113], v[112:113], -v[152:153]
	s_delay_alu instid0(VALU_DEP_2) | instskip(NEXT) | instid1(VALU_DEP_1)
	v_fma_f64 v[192:193], v[194:195], v[200:201], v[192:193]
	v_add_f64 v[114:115], v[114:115], -v[192:193]
	ds_load_2addr_b64 v[192:195], v202 offset0:40 offset1:41
	s_waitcnt lgkmcnt(0)
	v_mul_f64 v[152:153], v[194:195], v[154:155]
	s_delay_alu instid0(VALU_DEP_1) | instskip(SKIP_1) | instid1(VALU_DEP_2)
	v_fma_f64 v[152:153], v[192:193], v[200:201], -v[152:153]
	v_mul_f64 v[192:193], v[192:193], v[154:155]
	v_add_f64 v[108:109], v[108:109], -v[152:153]
	s_delay_alu instid0(VALU_DEP_2) | instskip(NEXT) | instid1(VALU_DEP_1)
	v_fma_f64 v[192:193], v[194:195], v[200:201], v[192:193]
	v_add_f64 v[110:111], v[110:111], -v[192:193]
	ds_load_2addr_b64 v[192:195], v202 offset0:42 offset1:43
	s_waitcnt lgkmcnt(0)
	v_mul_f64 v[152:153], v[194:195], v[154:155]
	s_delay_alu instid0(VALU_DEP_1) | instskip(SKIP_1) | instid1(VALU_DEP_2)
	v_fma_f64 v[152:153], v[192:193], v[200:201], -v[152:153]
	v_mul_f64 v[192:193], v[192:193], v[154:155]
	v_add_f64 v[104:105], v[104:105], -v[152:153]
	s_delay_alu instid0(VALU_DEP_2) | instskip(NEXT) | instid1(VALU_DEP_1)
	v_fma_f64 v[192:193], v[194:195], v[200:201], v[192:193]
	v_add_f64 v[106:107], v[106:107], -v[192:193]
	ds_load_2addr_b64 v[192:195], v202 offset0:44 offset1:45
	s_waitcnt lgkmcnt(0)
	v_mul_f64 v[152:153], v[194:195], v[154:155]
	s_delay_alu instid0(VALU_DEP_1) | instskip(SKIP_1) | instid1(VALU_DEP_2)
	v_fma_f64 v[152:153], v[192:193], v[200:201], -v[152:153]
	v_mul_f64 v[192:193], v[192:193], v[154:155]
	v_add_f64 v[100:101], v[100:101], -v[152:153]
	s_delay_alu instid0(VALU_DEP_2) | instskip(NEXT) | instid1(VALU_DEP_1)
	v_fma_f64 v[192:193], v[194:195], v[200:201], v[192:193]
	v_add_f64 v[102:103], v[102:103], -v[192:193]
	ds_load_2addr_b64 v[192:195], v202 offset0:46 offset1:47
	s_waitcnt lgkmcnt(0)
	v_mul_f64 v[152:153], v[194:195], v[154:155]
	s_delay_alu instid0(VALU_DEP_1) | instskip(SKIP_1) | instid1(VALU_DEP_2)
	v_fma_f64 v[152:153], v[192:193], v[200:201], -v[152:153]
	v_mul_f64 v[192:193], v[192:193], v[154:155]
	v_add_f64 v[96:97], v[96:97], -v[152:153]
	s_delay_alu instid0(VALU_DEP_2) | instskip(NEXT) | instid1(VALU_DEP_1)
	v_fma_f64 v[192:193], v[194:195], v[200:201], v[192:193]
	v_add_f64 v[98:99], v[98:99], -v[192:193]
	ds_load_2addr_b64 v[192:195], v202 offset0:48 offset1:49
	s_waitcnt lgkmcnt(0)
	v_mul_f64 v[152:153], v[194:195], v[154:155]
	s_delay_alu instid0(VALU_DEP_1) | instskip(SKIP_1) | instid1(VALU_DEP_2)
	v_fma_f64 v[152:153], v[192:193], v[200:201], -v[152:153]
	v_mul_f64 v[192:193], v[192:193], v[154:155]
	v_add_f64 v[92:93], v[92:93], -v[152:153]
	s_delay_alu instid0(VALU_DEP_2) | instskip(NEXT) | instid1(VALU_DEP_1)
	v_fma_f64 v[192:193], v[194:195], v[200:201], v[192:193]
	v_add_f64 v[94:95], v[94:95], -v[192:193]
	ds_load_2addr_b64 v[192:195], v202 offset0:50 offset1:51
	s_waitcnt lgkmcnt(0)
	v_mul_f64 v[152:153], v[194:195], v[154:155]
	s_delay_alu instid0(VALU_DEP_1) | instskip(SKIP_1) | instid1(VALU_DEP_2)
	v_fma_f64 v[152:153], v[192:193], v[200:201], -v[152:153]
	v_mul_f64 v[192:193], v[192:193], v[154:155]
	v_add_f64 v[88:89], v[88:89], -v[152:153]
	s_delay_alu instid0(VALU_DEP_2) | instskip(NEXT) | instid1(VALU_DEP_1)
	v_fma_f64 v[192:193], v[194:195], v[200:201], v[192:193]
	v_add_f64 v[90:91], v[90:91], -v[192:193]
	ds_load_2addr_b64 v[192:195], v202 offset0:52 offset1:53
	s_waitcnt lgkmcnt(0)
	v_mul_f64 v[152:153], v[194:195], v[154:155]
	s_delay_alu instid0(VALU_DEP_1) | instskip(SKIP_1) | instid1(VALU_DEP_2)
	v_fma_f64 v[152:153], v[192:193], v[200:201], -v[152:153]
	v_mul_f64 v[192:193], v[192:193], v[154:155]
	v_add_f64 v[84:85], v[84:85], -v[152:153]
	s_delay_alu instid0(VALU_DEP_2) | instskip(NEXT) | instid1(VALU_DEP_1)
	v_fma_f64 v[192:193], v[194:195], v[200:201], v[192:193]
	v_add_f64 v[86:87], v[86:87], -v[192:193]
	ds_load_2addr_b64 v[192:195], v202 offset0:54 offset1:55
	s_waitcnt lgkmcnt(0)
	v_mul_f64 v[152:153], v[194:195], v[154:155]
	s_delay_alu instid0(VALU_DEP_1) | instskip(SKIP_1) | instid1(VALU_DEP_2)
	v_fma_f64 v[152:153], v[192:193], v[200:201], -v[152:153]
	v_mul_f64 v[192:193], v[192:193], v[154:155]
	v_add_f64 v[80:81], v[80:81], -v[152:153]
	s_delay_alu instid0(VALU_DEP_2) | instskip(NEXT) | instid1(VALU_DEP_1)
	v_fma_f64 v[192:193], v[194:195], v[200:201], v[192:193]
	v_add_f64 v[82:83], v[82:83], -v[192:193]
	ds_load_2addr_b64 v[192:195], v202 offset0:56 offset1:57
	s_waitcnt lgkmcnt(0)
	v_mul_f64 v[152:153], v[194:195], v[154:155]
	s_delay_alu instid0(VALU_DEP_1) | instskip(SKIP_1) | instid1(VALU_DEP_2)
	v_fma_f64 v[152:153], v[192:193], v[200:201], -v[152:153]
	v_mul_f64 v[192:193], v[192:193], v[154:155]
	v_add_f64 v[76:77], v[76:77], -v[152:153]
	s_delay_alu instid0(VALU_DEP_2) | instskip(NEXT) | instid1(VALU_DEP_1)
	v_fma_f64 v[192:193], v[194:195], v[200:201], v[192:193]
	v_add_f64 v[78:79], v[78:79], -v[192:193]
	ds_load_2addr_b64 v[192:195], v202 offset0:58 offset1:59
	s_waitcnt lgkmcnt(0)
	v_mul_f64 v[152:153], v[194:195], v[154:155]
	s_delay_alu instid0(VALU_DEP_1) | instskip(SKIP_1) | instid1(VALU_DEP_2)
	v_fma_f64 v[152:153], v[192:193], v[200:201], -v[152:153]
	v_mul_f64 v[192:193], v[192:193], v[154:155]
	v_add_f64 v[72:73], v[72:73], -v[152:153]
	s_delay_alu instid0(VALU_DEP_2) | instskip(NEXT) | instid1(VALU_DEP_1)
	v_fma_f64 v[192:193], v[194:195], v[200:201], v[192:193]
	v_add_f64 v[74:75], v[74:75], -v[192:193]
	ds_load_2addr_b64 v[192:195], v202 offset0:60 offset1:61
	s_waitcnt lgkmcnt(0)
	v_mul_f64 v[152:153], v[194:195], v[154:155]
	s_delay_alu instid0(VALU_DEP_1) | instskip(SKIP_1) | instid1(VALU_DEP_2)
	v_fma_f64 v[152:153], v[192:193], v[200:201], -v[152:153]
	v_mul_f64 v[192:193], v[192:193], v[154:155]
	v_add_f64 v[68:69], v[68:69], -v[152:153]
	s_delay_alu instid0(VALU_DEP_2) | instskip(NEXT) | instid1(VALU_DEP_1)
	v_fma_f64 v[192:193], v[194:195], v[200:201], v[192:193]
	v_add_f64 v[70:71], v[70:71], -v[192:193]
	ds_load_2addr_b64 v[192:195], v202 offset0:62 offset1:63
	s_waitcnt lgkmcnt(0)
	v_mul_f64 v[152:153], v[194:195], v[154:155]
	s_delay_alu instid0(VALU_DEP_1) | instskip(SKIP_1) | instid1(VALU_DEP_2)
	v_fma_f64 v[152:153], v[192:193], v[200:201], -v[152:153]
	v_mul_f64 v[192:193], v[192:193], v[154:155]
	v_add_f64 v[64:65], v[64:65], -v[152:153]
	s_delay_alu instid0(VALU_DEP_2) | instskip(NEXT) | instid1(VALU_DEP_1)
	v_fma_f64 v[192:193], v[194:195], v[200:201], v[192:193]
	v_add_f64 v[66:67], v[66:67], -v[192:193]
	ds_load_2addr_b64 v[192:195], v202 offset0:64 offset1:65
	s_waitcnt lgkmcnt(0)
	v_mul_f64 v[152:153], v[194:195], v[154:155]
	s_delay_alu instid0(VALU_DEP_1) | instskip(SKIP_1) | instid1(VALU_DEP_2)
	v_fma_f64 v[152:153], v[192:193], v[200:201], -v[152:153]
	v_mul_f64 v[192:193], v[192:193], v[154:155]
	v_add_f64 v[60:61], v[60:61], -v[152:153]
	s_delay_alu instid0(VALU_DEP_2) | instskip(NEXT) | instid1(VALU_DEP_1)
	v_fma_f64 v[192:193], v[194:195], v[200:201], v[192:193]
	v_add_f64 v[62:63], v[62:63], -v[192:193]
	ds_load_2addr_b64 v[192:195], v202 offset0:66 offset1:67
	s_waitcnt lgkmcnt(0)
	v_mul_f64 v[152:153], v[194:195], v[154:155]
	s_delay_alu instid0(VALU_DEP_1) | instskip(SKIP_1) | instid1(VALU_DEP_2)
	v_fma_f64 v[152:153], v[192:193], v[200:201], -v[152:153]
	v_mul_f64 v[192:193], v[192:193], v[154:155]
	v_add_f64 v[56:57], v[56:57], -v[152:153]
	s_delay_alu instid0(VALU_DEP_2) | instskip(NEXT) | instid1(VALU_DEP_1)
	v_fma_f64 v[192:193], v[194:195], v[200:201], v[192:193]
	v_add_f64 v[58:59], v[58:59], -v[192:193]
	ds_load_2addr_b64 v[192:195], v202 offset0:68 offset1:69
	s_waitcnt lgkmcnt(0)
	v_mul_f64 v[152:153], v[194:195], v[154:155]
	s_delay_alu instid0(VALU_DEP_1) | instskip(SKIP_1) | instid1(VALU_DEP_2)
	v_fma_f64 v[152:153], v[192:193], v[200:201], -v[152:153]
	v_mul_f64 v[192:193], v[192:193], v[154:155]
	v_add_f64 v[52:53], v[52:53], -v[152:153]
	s_delay_alu instid0(VALU_DEP_2) | instskip(NEXT) | instid1(VALU_DEP_1)
	v_fma_f64 v[192:193], v[194:195], v[200:201], v[192:193]
	v_add_f64 v[54:55], v[54:55], -v[192:193]
	ds_load_2addr_b64 v[192:195], v202 offset0:70 offset1:71
	s_waitcnt lgkmcnt(0)
	v_mul_f64 v[152:153], v[194:195], v[154:155]
	s_delay_alu instid0(VALU_DEP_1) | instskip(SKIP_1) | instid1(VALU_DEP_2)
	v_fma_f64 v[152:153], v[192:193], v[200:201], -v[152:153]
	v_mul_f64 v[192:193], v[192:193], v[154:155]
	v_add_f64 v[48:49], v[48:49], -v[152:153]
	s_delay_alu instid0(VALU_DEP_2) | instskip(NEXT) | instid1(VALU_DEP_1)
	v_fma_f64 v[192:193], v[194:195], v[200:201], v[192:193]
	v_add_f64 v[50:51], v[50:51], -v[192:193]
	ds_load_2addr_b64 v[192:195], v202 offset0:72 offset1:73
	s_waitcnt lgkmcnt(0)
	v_mul_f64 v[152:153], v[194:195], v[154:155]
	s_delay_alu instid0(VALU_DEP_1) | instskip(SKIP_1) | instid1(VALU_DEP_2)
	v_fma_f64 v[152:153], v[192:193], v[200:201], -v[152:153]
	v_mul_f64 v[192:193], v[192:193], v[154:155]
	v_add_f64 v[44:45], v[44:45], -v[152:153]
	s_delay_alu instid0(VALU_DEP_2) | instskip(NEXT) | instid1(VALU_DEP_1)
	v_fma_f64 v[192:193], v[194:195], v[200:201], v[192:193]
	v_add_f64 v[46:47], v[46:47], -v[192:193]
	ds_load_2addr_b64 v[192:195], v202 offset0:74 offset1:75
	s_waitcnt lgkmcnt(0)
	v_mul_f64 v[152:153], v[194:195], v[154:155]
	s_delay_alu instid0(VALU_DEP_1) | instskip(SKIP_1) | instid1(VALU_DEP_2)
	v_fma_f64 v[152:153], v[192:193], v[200:201], -v[152:153]
	v_mul_f64 v[192:193], v[192:193], v[154:155]
	v_add_f64 v[40:41], v[40:41], -v[152:153]
	s_delay_alu instid0(VALU_DEP_2) | instskip(NEXT) | instid1(VALU_DEP_1)
	v_fma_f64 v[192:193], v[194:195], v[200:201], v[192:193]
	v_add_f64 v[42:43], v[42:43], -v[192:193]
	ds_load_2addr_b64 v[192:195], v202 offset0:76 offset1:77
	s_waitcnt lgkmcnt(0)
	v_mul_f64 v[152:153], v[194:195], v[154:155]
	s_delay_alu instid0(VALU_DEP_1) | instskip(SKIP_1) | instid1(VALU_DEP_2)
	v_fma_f64 v[152:153], v[192:193], v[200:201], -v[152:153]
	v_mul_f64 v[192:193], v[192:193], v[154:155]
	v_add_f64 v[36:37], v[36:37], -v[152:153]
	s_delay_alu instid0(VALU_DEP_2) | instskip(NEXT) | instid1(VALU_DEP_1)
	v_fma_f64 v[192:193], v[194:195], v[200:201], v[192:193]
	v_add_f64 v[38:39], v[38:39], -v[192:193]
	ds_load_2addr_b64 v[192:195], v202 offset0:78 offset1:79
	s_waitcnt lgkmcnt(0)
	v_mul_f64 v[152:153], v[194:195], v[154:155]
	s_delay_alu instid0(VALU_DEP_1) | instskip(SKIP_1) | instid1(VALU_DEP_2)
	v_fma_f64 v[152:153], v[192:193], v[200:201], -v[152:153]
	v_mul_f64 v[192:193], v[192:193], v[154:155]
	v_add_f64 v[32:33], v[32:33], -v[152:153]
	s_delay_alu instid0(VALU_DEP_2) | instskip(NEXT) | instid1(VALU_DEP_1)
	v_fma_f64 v[192:193], v[194:195], v[200:201], v[192:193]
	v_add_f64 v[34:35], v[34:35], -v[192:193]
	ds_load_2addr_b64 v[192:195], v202 offset0:80 offset1:81
	s_waitcnt lgkmcnt(0)
	v_mul_f64 v[152:153], v[194:195], v[154:155]
	s_delay_alu instid0(VALU_DEP_1) | instskip(SKIP_1) | instid1(VALU_DEP_2)
	v_fma_f64 v[152:153], v[192:193], v[200:201], -v[152:153]
	v_mul_f64 v[192:193], v[192:193], v[154:155]
	v_add_f64 v[28:29], v[28:29], -v[152:153]
	s_delay_alu instid0(VALU_DEP_2) | instskip(NEXT) | instid1(VALU_DEP_1)
	v_fma_f64 v[192:193], v[194:195], v[200:201], v[192:193]
	v_add_f64 v[30:31], v[30:31], -v[192:193]
	ds_load_2addr_b64 v[192:195], v202 offset0:82 offset1:83
	s_waitcnt lgkmcnt(0)
	v_mul_f64 v[152:153], v[194:195], v[154:155]
	s_delay_alu instid0(VALU_DEP_1) | instskip(SKIP_1) | instid1(VALU_DEP_2)
	v_fma_f64 v[152:153], v[192:193], v[200:201], -v[152:153]
	v_mul_f64 v[192:193], v[192:193], v[154:155]
	v_add_f64 v[24:25], v[24:25], -v[152:153]
	s_delay_alu instid0(VALU_DEP_2) | instskip(NEXT) | instid1(VALU_DEP_1)
	v_fma_f64 v[192:193], v[194:195], v[200:201], v[192:193]
	v_add_f64 v[26:27], v[26:27], -v[192:193]
	ds_load_2addr_b64 v[192:195], v202 offset0:84 offset1:85
	s_waitcnt lgkmcnt(0)
	v_mul_f64 v[152:153], v[194:195], v[154:155]
	s_delay_alu instid0(VALU_DEP_1) | instskip(SKIP_1) | instid1(VALU_DEP_2)
	v_fma_f64 v[152:153], v[192:193], v[200:201], -v[152:153]
	v_mul_f64 v[192:193], v[192:193], v[154:155]
	v_add_f64 v[20:21], v[20:21], -v[152:153]
	s_delay_alu instid0(VALU_DEP_2) | instskip(NEXT) | instid1(VALU_DEP_1)
	v_fma_f64 v[192:193], v[194:195], v[200:201], v[192:193]
	v_add_f64 v[22:23], v[22:23], -v[192:193]
	ds_load_2addr_b64 v[192:195], v202 offset0:86 offset1:87
	s_waitcnt lgkmcnt(0)
	v_mul_f64 v[152:153], v[194:195], v[154:155]
	s_delay_alu instid0(VALU_DEP_1) | instskip(SKIP_1) | instid1(VALU_DEP_2)
	v_fma_f64 v[152:153], v[192:193], v[200:201], -v[152:153]
	v_mul_f64 v[192:193], v[192:193], v[154:155]
	v_add_f64 v[16:17], v[16:17], -v[152:153]
	s_delay_alu instid0(VALU_DEP_2) | instskip(NEXT) | instid1(VALU_DEP_1)
	v_fma_f64 v[192:193], v[194:195], v[200:201], v[192:193]
	v_add_f64 v[18:19], v[18:19], -v[192:193]
	ds_load_2addr_b64 v[192:195], v202 offset0:88 offset1:89
	s_waitcnt lgkmcnt(0)
	v_mul_f64 v[152:153], v[194:195], v[154:155]
	s_delay_alu instid0(VALU_DEP_1) | instskip(SKIP_1) | instid1(VALU_DEP_2)
	v_fma_f64 v[152:153], v[192:193], v[200:201], -v[152:153]
	v_mul_f64 v[192:193], v[192:193], v[154:155]
	v_add_f64 v[12:13], v[12:13], -v[152:153]
	s_delay_alu instid0(VALU_DEP_2) | instskip(NEXT) | instid1(VALU_DEP_1)
	v_fma_f64 v[192:193], v[194:195], v[200:201], v[192:193]
	v_add_f64 v[14:15], v[14:15], -v[192:193]
	ds_load_2addr_b64 v[192:195], v202 offset0:90 offset1:91
	s_waitcnt lgkmcnt(0)
	v_mul_f64 v[152:153], v[194:195], v[154:155]
	s_delay_alu instid0(VALU_DEP_1) | instskip(SKIP_1) | instid1(VALU_DEP_2)
	v_fma_f64 v[152:153], v[192:193], v[200:201], -v[152:153]
	v_mul_f64 v[192:193], v[192:193], v[154:155]
	v_add_f64 v[8:9], v[8:9], -v[152:153]
	s_delay_alu instid0(VALU_DEP_2) | instskip(NEXT) | instid1(VALU_DEP_1)
	v_fma_f64 v[192:193], v[194:195], v[200:201], v[192:193]
	v_add_f64 v[10:11], v[10:11], -v[192:193]
	ds_load_2addr_b64 v[192:195], v202 offset0:92 offset1:93
	s_waitcnt lgkmcnt(0)
	v_mul_f64 v[152:153], v[194:195], v[154:155]
	s_delay_alu instid0(VALU_DEP_1) | instskip(SKIP_1) | instid1(VALU_DEP_2)
	v_fma_f64 v[152:153], v[192:193], v[200:201], -v[152:153]
	v_mul_f64 v[192:193], v[192:193], v[154:155]
	v_add_f64 v[4:5], v[4:5], -v[152:153]
	s_delay_alu instid0(VALU_DEP_2) | instskip(NEXT) | instid1(VALU_DEP_1)
	v_fma_f64 v[192:193], v[194:195], v[200:201], v[192:193]
	v_add_f64 v[6:7], v[6:7], -v[192:193]
	ds_load_2addr_b64 v[192:195], v202 offset0:94 offset1:95
	s_waitcnt lgkmcnt(0)
	v_mul_f64 v[152:153], v[194:195], v[154:155]
	s_delay_alu instid0(VALU_DEP_1) | instskip(SKIP_1) | instid1(VALU_DEP_2)
	v_fma_f64 v[152:153], v[192:193], v[200:201], -v[152:153]
	v_mul_f64 v[192:193], v[192:193], v[154:155]
	v_add_f64 v[0:1], v[0:1], -v[152:153]
	s_delay_alu instid0(VALU_DEP_2) | instskip(SKIP_1) | instid1(VALU_DEP_2)
	v_fma_f64 v[192:193], v[194:195], v[200:201], v[192:193]
	v_dual_mov_b32 v152, v200 :: v_dual_mov_b32 v153, v201
	v_add_f64 v[2:3], v[2:3], -v[192:193]
.LBB94_209:
	s_or_b32 exec_lo, exec_lo, s2
	v_lshl_add_u32 v192, v208, 4, v202
	s_barrier
	buffer_gl0_inv
	v_mov_b32_e32 v200, 10
	ds_store_2addr_b64 v192, v[148:149], v[150:151] offset1:1
	s_waitcnt lgkmcnt(0)
	s_barrier
	buffer_gl0_inv
	ds_load_2addr_b64 v[192:195], v202 offset0:20 offset1:21
	s_cmp_lt_i32 s5, 12
	s_cbranch_scc1 .LBB94_212
; %bb.210:
	v_add3_u32 v201, v207, 0, 0xb0
	v_mov_b32_e32 v200, 10
	s_mov_b32 s6, 11
	s_set_inst_prefetch_distance 0x1
	.p2align	6
.LBB94_211:                             ; =>This Inner Loop Header: Depth=1
	ds_load_2addr_b64 v[209:212], v201 offset1:1
	s_waitcnt lgkmcnt(1)
	v_cmp_gt_f64_e32 vcc_lo, 0, v[192:193]
	v_xor_b32_e32 v213, 0x80000000, v193
	v_cmp_gt_f64_e64 s2, 0, v[194:195]
	v_xor_b32_e32 v215, 0x80000000, v195
	v_add_nc_u32_e32 v201, 16, v201
	s_waitcnt lgkmcnt(0)
	v_cmp_gt_f64_e64 s3, 0, v[209:210]
	v_mov_b32_e32 v217, v209
	v_dual_mov_b32 v219, v211 :: v_dual_cndmask_b32 v214, v193, v213
	v_xor_b32_e32 v213, 0x80000000, v210
	v_cndmask_b32_e64 v216, v195, v215, s2
	v_xor_b32_e32 v215, 0x80000000, v212
	s_delay_alu instid0(VALU_DEP_3) | instskip(SKIP_2) | instid1(VALU_DEP_2)
	v_cndmask_b32_e64 v218, v210, v213, s3
	v_cmp_gt_f64_e64 s3, 0, v[211:212]
	v_cndmask_b32_e32 v213, v192, v192, vcc_lo
	v_cndmask_b32_e64 v220, v212, v215, s3
	v_cndmask_b32_e64 v215, v194, v194, s2
	s_delay_alu instid0(VALU_DEP_2) | instskip(NEXT) | instid1(VALU_DEP_2)
	v_add_f64 v[217:218], v[217:218], v[219:220]
	v_add_f64 v[213:214], v[213:214], v[215:216]
	s_delay_alu instid0(VALU_DEP_1) | instskip(SKIP_4) | instid1(SALU_CYCLE_1)
	v_cmp_lt_f64_e32 vcc_lo, v[213:214], v[217:218]
	v_dual_cndmask_b32 v194, v194, v211 :: v_dual_cndmask_b32 v193, v193, v210
	v_dual_cndmask_b32 v192, v192, v209 :: v_dual_cndmask_b32 v195, v195, v212
	v_cndmask_b32_e64 v200, v200, s6, vcc_lo
	s_add_i32 s6, s6, 1
	s_cmp_lg_u32 s5, s6
	s_cbranch_scc1 .LBB94_211
.LBB94_212:
	s_set_inst_prefetch_distance 0x2
	s_waitcnt lgkmcnt(0)
	v_cmp_eq_f64_e32 vcc_lo, 0, v[192:193]
	v_cmp_eq_f64_e64 s2, 0, v[194:195]
	s_delay_alu instid0(VALU_DEP_1) | instskip(NEXT) | instid1(SALU_CYCLE_1)
	s_and_b32 s2, vcc_lo, s2
	s_and_saveexec_b32 s3, s2
	s_delay_alu instid0(SALU_CYCLE_1)
	s_xor_b32 s2, exec_lo, s3
; %bb.213:
	v_cmp_ne_u32_e32 vcc_lo, 0, v205
	v_cndmask_b32_e32 v205, 11, v205, vcc_lo
; %bb.214:
	s_and_not1_saveexec_b32 s3, s2
	s_cbranch_execz .LBB94_220
; %bb.215:
	v_cmp_gt_f64_e32 vcc_lo, 0, v[192:193]
	v_cmp_gt_f64_e64 s2, 0, v[194:195]
	v_xor_b32_e32 v201, 0x80000000, v193
	v_xor_b32_e32 v209, 0x80000000, v195
	s_delay_alu instid0(VALU_DEP_2) | instskip(NEXT) | instid1(VALU_DEP_2)
	v_cndmask_b32_e32 v210, v193, v201, vcc_lo
	v_cndmask_b32_e64 v212, v195, v209, s2
	v_cndmask_b32_e32 v209, v192, v192, vcc_lo
	v_cndmask_b32_e64 v211, v194, v194, s2
	s_mov_b32 s2, exec_lo
	s_delay_alu instid0(VALU_DEP_1)
	v_cmpx_ngt_f64_e32 v[209:210], v[211:212]
	s_xor_b32 s2, exec_lo, s2
	s_cbranch_execz .LBB94_217
; %bb.216:
	v_div_scale_f64 v[209:210], null, v[194:195], v[194:195], v[192:193]
	v_div_scale_f64 v[215:216], vcc_lo, v[192:193], v[194:195], v[192:193]
	s_delay_alu instid0(VALU_DEP_2) | instskip(SKIP_2) | instid1(VALU_DEP_1)
	v_rcp_f64_e32 v[211:212], v[209:210]
	s_waitcnt_depctr 0xfff
	v_fma_f64 v[213:214], -v[209:210], v[211:212], 1.0
	v_fma_f64 v[211:212], v[211:212], v[213:214], v[211:212]
	s_delay_alu instid0(VALU_DEP_1) | instskip(NEXT) | instid1(VALU_DEP_1)
	v_fma_f64 v[213:214], -v[209:210], v[211:212], 1.0
	v_fma_f64 v[211:212], v[211:212], v[213:214], v[211:212]
	s_delay_alu instid0(VALU_DEP_1) | instskip(NEXT) | instid1(VALU_DEP_1)
	v_mul_f64 v[213:214], v[215:216], v[211:212]
	v_fma_f64 v[209:210], -v[209:210], v[213:214], v[215:216]
	s_delay_alu instid0(VALU_DEP_1) | instskip(NEXT) | instid1(VALU_DEP_1)
	v_div_fmas_f64 v[209:210], v[209:210], v[211:212], v[213:214]
	v_div_fixup_f64 v[209:210], v[209:210], v[194:195], v[192:193]
	s_delay_alu instid0(VALU_DEP_1) | instskip(NEXT) | instid1(VALU_DEP_1)
	v_fma_f64 v[192:193], v[192:193], v[209:210], v[194:195]
	v_div_scale_f64 v[194:195], null, v[192:193], v[192:193], 1.0
	s_delay_alu instid0(VALU_DEP_1) | instskip(SKIP_2) | instid1(VALU_DEP_1)
	v_rcp_f64_e32 v[211:212], v[194:195]
	s_waitcnt_depctr 0xfff
	v_fma_f64 v[213:214], -v[194:195], v[211:212], 1.0
	v_fma_f64 v[211:212], v[211:212], v[213:214], v[211:212]
	s_delay_alu instid0(VALU_DEP_1) | instskip(NEXT) | instid1(VALU_DEP_1)
	v_fma_f64 v[213:214], -v[194:195], v[211:212], 1.0
	v_fma_f64 v[211:212], v[211:212], v[213:214], v[211:212]
	v_div_scale_f64 v[213:214], vcc_lo, 1.0, v[192:193], 1.0
	s_delay_alu instid0(VALU_DEP_1) | instskip(NEXT) | instid1(VALU_DEP_1)
	v_mul_f64 v[215:216], v[213:214], v[211:212]
	v_fma_f64 v[194:195], -v[194:195], v[215:216], v[213:214]
	s_delay_alu instid0(VALU_DEP_1) | instskip(NEXT) | instid1(VALU_DEP_1)
	v_div_fmas_f64 v[194:195], v[194:195], v[211:212], v[215:216]
	v_div_fixup_f64 v[194:195], v[194:195], v[192:193], 1.0
	s_delay_alu instid0(VALU_DEP_1)
	v_mul_f64 v[192:193], v[209:210], v[194:195]
	v_xor_b32_e32 v195, 0x80000000, v195
.LBB94_217:
	s_and_not1_saveexec_b32 s2, s2
	s_cbranch_execz .LBB94_219
; %bb.218:
	s_delay_alu instid0(VALU_DEP_1) | instskip(SKIP_1) | instid1(VALU_DEP_2)
	v_div_scale_f64 v[209:210], null, v[192:193], v[192:193], v[194:195]
	v_div_scale_f64 v[215:216], vcc_lo, v[194:195], v[192:193], v[194:195]
	v_rcp_f64_e32 v[211:212], v[209:210]
	s_waitcnt_depctr 0xfff
	v_fma_f64 v[213:214], -v[209:210], v[211:212], 1.0
	s_delay_alu instid0(VALU_DEP_1) | instskip(NEXT) | instid1(VALU_DEP_1)
	v_fma_f64 v[211:212], v[211:212], v[213:214], v[211:212]
	v_fma_f64 v[213:214], -v[209:210], v[211:212], 1.0
	s_delay_alu instid0(VALU_DEP_1) | instskip(NEXT) | instid1(VALU_DEP_1)
	v_fma_f64 v[211:212], v[211:212], v[213:214], v[211:212]
	v_mul_f64 v[213:214], v[215:216], v[211:212]
	s_delay_alu instid0(VALU_DEP_1) | instskip(NEXT) | instid1(VALU_DEP_1)
	v_fma_f64 v[209:210], -v[209:210], v[213:214], v[215:216]
	v_div_fmas_f64 v[209:210], v[209:210], v[211:212], v[213:214]
	s_delay_alu instid0(VALU_DEP_1) | instskip(NEXT) | instid1(VALU_DEP_1)
	v_div_fixup_f64 v[209:210], v[209:210], v[192:193], v[194:195]
	v_fma_f64 v[192:193], v[194:195], v[209:210], v[192:193]
	s_delay_alu instid0(VALU_DEP_1) | instskip(NEXT) | instid1(VALU_DEP_1)
	v_div_scale_f64 v[194:195], null, v[192:193], v[192:193], 1.0
	v_rcp_f64_e32 v[211:212], v[194:195]
	s_waitcnt_depctr 0xfff
	v_fma_f64 v[213:214], -v[194:195], v[211:212], 1.0
	s_delay_alu instid0(VALU_DEP_1) | instskip(NEXT) | instid1(VALU_DEP_1)
	v_fma_f64 v[211:212], v[211:212], v[213:214], v[211:212]
	v_fma_f64 v[213:214], -v[194:195], v[211:212], 1.0
	s_delay_alu instid0(VALU_DEP_1) | instskip(SKIP_1) | instid1(VALU_DEP_1)
	v_fma_f64 v[211:212], v[211:212], v[213:214], v[211:212]
	v_div_scale_f64 v[213:214], vcc_lo, 1.0, v[192:193], 1.0
	v_mul_f64 v[215:216], v[213:214], v[211:212]
	s_delay_alu instid0(VALU_DEP_1) | instskip(NEXT) | instid1(VALU_DEP_1)
	v_fma_f64 v[194:195], -v[194:195], v[215:216], v[213:214]
	v_div_fmas_f64 v[194:195], v[194:195], v[211:212], v[215:216]
	s_delay_alu instid0(VALU_DEP_1) | instskip(NEXT) | instid1(VALU_DEP_1)
	v_div_fixup_f64 v[192:193], v[194:195], v[192:193], 1.0
	v_mul_f64 v[194:195], v[209:210], -v[192:193]
.LBB94_219:
	s_or_b32 exec_lo, exec_lo, s2
.LBB94_220:
	s_delay_alu instid0(SALU_CYCLE_1) | instskip(NEXT) | instid1(SALU_CYCLE_1)
	s_or_b32 exec_lo, exec_lo, s3
	s_mov_b32 s2, exec_lo
	v_cmpx_ne_u32_e64 v208, v200
	s_xor_b32 s2, exec_lo, s2
	s_cbranch_execz .LBB94_226
; %bb.221:
	s_mov_b32 s3, exec_lo
	v_cmpx_eq_u32_e32 10, v208
	s_cbranch_execz .LBB94_225
; %bb.222:
	v_cmp_ne_u32_e32 vcc_lo, 10, v200
	s_xor_b32 s6, s4, -1
	s_delay_alu instid0(SALU_CYCLE_1) | instskip(NEXT) | instid1(SALU_CYCLE_1)
	s_and_b32 s7, s6, vcc_lo
	s_and_saveexec_b32 s6, s7
	s_cbranch_execz .LBB94_224
; %bb.223:
	v_ashrrev_i32_e32 v201, 31, v200
	s_delay_alu instid0(VALU_DEP_1) | instskip(NEXT) | instid1(VALU_DEP_1)
	v_lshlrev_b64 v[208:209], 2, v[200:201]
	v_add_co_u32 v208, vcc_lo, v198, v208
	s_delay_alu instid0(VALU_DEP_2)
	v_add_co_ci_u32_e32 v209, vcc_lo, v199, v209, vcc_lo
	s_clause 0x1
	flat_load_b32 v201, v[208:209]
	flat_load_b32 v206, v[198:199] offset:40
	s_waitcnt vmcnt(1) lgkmcnt(1)
	flat_store_b32 v[198:199], v201 offset:40
	s_waitcnt vmcnt(0) lgkmcnt(1)
	flat_store_b32 v[208:209], v206
.LBB94_224:
	s_or_b32 exec_lo, exec_lo, s6
	v_mov_b32_e32 v208, v200
	v_mov_b32_e32 v206, v200
.LBB94_225:
	s_or_b32 exec_lo, exec_lo, s3
.LBB94_226:
	s_and_not1_saveexec_b32 s2, s2
	s_cbranch_execz .LBB94_228
; %bb.227:
	v_mov_b32_e32 v208, 10
	ds_store_2addr_b64 v202, v[144:145], v[146:147] offset0:22 offset1:23
	ds_store_2addr_b64 v202, v[140:141], v[142:143] offset0:24 offset1:25
	;; [unrolled: 1-line block ×37, first 2 shown]
.LBB94_228:
	s_or_b32 exec_lo, exec_lo, s2
	s_delay_alu instid0(SALU_CYCLE_1)
	s_mov_b32 s2, exec_lo
	s_waitcnt lgkmcnt(0)
	s_waitcnt_vscnt null, 0x0
	s_barrier
	buffer_gl0_inv
	v_cmpx_lt_i32_e32 10, v208
	s_cbranch_execz .LBB94_230
; %bb.229:
	v_mul_f64 v[200:201], v[194:195], v[150:151]
	v_mul_f64 v[150:151], v[192:193], v[150:151]
	s_delay_alu instid0(VALU_DEP_2) | instskip(NEXT) | instid1(VALU_DEP_2)
	v_fma_f64 v[200:201], v[192:193], v[148:149], -v[200:201]
	v_fma_f64 v[150:151], v[194:195], v[148:149], v[150:151]
	ds_load_2addr_b64 v[192:195], v202 offset0:22 offset1:23
	s_waitcnt lgkmcnt(0)
	v_mul_f64 v[148:149], v[194:195], v[150:151]
	s_delay_alu instid0(VALU_DEP_1) | instskip(SKIP_1) | instid1(VALU_DEP_2)
	v_fma_f64 v[148:149], v[192:193], v[200:201], -v[148:149]
	v_mul_f64 v[192:193], v[192:193], v[150:151]
	v_add_f64 v[144:145], v[144:145], -v[148:149]
	s_delay_alu instid0(VALU_DEP_2) | instskip(NEXT) | instid1(VALU_DEP_1)
	v_fma_f64 v[192:193], v[194:195], v[200:201], v[192:193]
	v_add_f64 v[146:147], v[146:147], -v[192:193]
	ds_load_2addr_b64 v[192:195], v202 offset0:24 offset1:25
	s_waitcnt lgkmcnt(0)
	v_mul_f64 v[148:149], v[194:195], v[150:151]
	s_delay_alu instid0(VALU_DEP_1) | instskip(SKIP_1) | instid1(VALU_DEP_2)
	v_fma_f64 v[148:149], v[192:193], v[200:201], -v[148:149]
	v_mul_f64 v[192:193], v[192:193], v[150:151]
	v_add_f64 v[140:141], v[140:141], -v[148:149]
	s_delay_alu instid0(VALU_DEP_2) | instskip(NEXT) | instid1(VALU_DEP_1)
	v_fma_f64 v[192:193], v[194:195], v[200:201], v[192:193]
	v_add_f64 v[142:143], v[142:143], -v[192:193]
	;; [unrolled: 10-line block ×36, first 2 shown]
	ds_load_2addr_b64 v[192:195], v202 offset0:94 offset1:95
	s_waitcnt lgkmcnt(0)
	v_mul_f64 v[148:149], v[194:195], v[150:151]
	s_delay_alu instid0(VALU_DEP_1) | instskip(SKIP_1) | instid1(VALU_DEP_2)
	v_fma_f64 v[148:149], v[192:193], v[200:201], -v[148:149]
	v_mul_f64 v[192:193], v[192:193], v[150:151]
	v_add_f64 v[0:1], v[0:1], -v[148:149]
	s_delay_alu instid0(VALU_DEP_2) | instskip(SKIP_1) | instid1(VALU_DEP_2)
	v_fma_f64 v[192:193], v[194:195], v[200:201], v[192:193]
	v_dual_mov_b32 v148, v200 :: v_dual_mov_b32 v149, v201
	v_add_f64 v[2:3], v[2:3], -v[192:193]
.LBB94_230:
	s_or_b32 exec_lo, exec_lo, s2
	v_lshl_add_u32 v192, v208, 4, v202
	s_barrier
	buffer_gl0_inv
	v_mov_b32_e32 v200, 11
	ds_store_2addr_b64 v192, v[144:145], v[146:147] offset1:1
	s_waitcnt lgkmcnt(0)
	s_barrier
	buffer_gl0_inv
	ds_load_2addr_b64 v[192:195], v202 offset0:22 offset1:23
	s_cmp_lt_i32 s5, 13
	s_cbranch_scc1 .LBB94_233
; %bb.231:
	v_add3_u32 v201, v207, 0, 0xc0
	v_mov_b32_e32 v200, 11
	s_mov_b32 s6, 12
	s_set_inst_prefetch_distance 0x1
	.p2align	6
.LBB94_232:                             ; =>This Inner Loop Header: Depth=1
	ds_load_2addr_b64 v[209:212], v201 offset1:1
	s_waitcnt lgkmcnt(1)
	v_cmp_gt_f64_e32 vcc_lo, 0, v[192:193]
	v_xor_b32_e32 v213, 0x80000000, v193
	v_cmp_gt_f64_e64 s2, 0, v[194:195]
	v_xor_b32_e32 v215, 0x80000000, v195
	v_add_nc_u32_e32 v201, 16, v201
	s_waitcnt lgkmcnt(0)
	v_cmp_gt_f64_e64 s3, 0, v[209:210]
	v_mov_b32_e32 v217, v209
	v_dual_mov_b32 v219, v211 :: v_dual_cndmask_b32 v214, v193, v213
	v_xor_b32_e32 v213, 0x80000000, v210
	v_cndmask_b32_e64 v216, v195, v215, s2
	v_xor_b32_e32 v215, 0x80000000, v212
	s_delay_alu instid0(VALU_DEP_3) | instskip(SKIP_2) | instid1(VALU_DEP_2)
	v_cndmask_b32_e64 v218, v210, v213, s3
	v_cmp_gt_f64_e64 s3, 0, v[211:212]
	v_cndmask_b32_e32 v213, v192, v192, vcc_lo
	v_cndmask_b32_e64 v220, v212, v215, s3
	v_cndmask_b32_e64 v215, v194, v194, s2
	s_delay_alu instid0(VALU_DEP_2) | instskip(NEXT) | instid1(VALU_DEP_2)
	v_add_f64 v[217:218], v[217:218], v[219:220]
	v_add_f64 v[213:214], v[213:214], v[215:216]
	s_delay_alu instid0(VALU_DEP_1) | instskip(SKIP_4) | instid1(SALU_CYCLE_1)
	v_cmp_lt_f64_e32 vcc_lo, v[213:214], v[217:218]
	v_dual_cndmask_b32 v194, v194, v211 :: v_dual_cndmask_b32 v193, v193, v210
	v_dual_cndmask_b32 v192, v192, v209 :: v_dual_cndmask_b32 v195, v195, v212
	v_cndmask_b32_e64 v200, v200, s6, vcc_lo
	s_add_i32 s6, s6, 1
	s_cmp_lg_u32 s5, s6
	s_cbranch_scc1 .LBB94_232
.LBB94_233:
	s_set_inst_prefetch_distance 0x2
	s_waitcnt lgkmcnt(0)
	v_cmp_eq_f64_e32 vcc_lo, 0, v[192:193]
	v_cmp_eq_f64_e64 s2, 0, v[194:195]
	s_delay_alu instid0(VALU_DEP_1) | instskip(NEXT) | instid1(SALU_CYCLE_1)
	s_and_b32 s2, vcc_lo, s2
	s_and_saveexec_b32 s3, s2
	s_delay_alu instid0(SALU_CYCLE_1)
	s_xor_b32 s2, exec_lo, s3
; %bb.234:
	v_cmp_ne_u32_e32 vcc_lo, 0, v205
	v_cndmask_b32_e32 v205, 12, v205, vcc_lo
; %bb.235:
	s_and_not1_saveexec_b32 s3, s2
	s_cbranch_execz .LBB94_241
; %bb.236:
	v_cmp_gt_f64_e32 vcc_lo, 0, v[192:193]
	v_cmp_gt_f64_e64 s2, 0, v[194:195]
	v_xor_b32_e32 v201, 0x80000000, v193
	v_xor_b32_e32 v209, 0x80000000, v195
	s_delay_alu instid0(VALU_DEP_2) | instskip(NEXT) | instid1(VALU_DEP_2)
	v_cndmask_b32_e32 v210, v193, v201, vcc_lo
	v_cndmask_b32_e64 v212, v195, v209, s2
	v_cndmask_b32_e32 v209, v192, v192, vcc_lo
	v_cndmask_b32_e64 v211, v194, v194, s2
	s_mov_b32 s2, exec_lo
	s_delay_alu instid0(VALU_DEP_1)
	v_cmpx_ngt_f64_e32 v[209:210], v[211:212]
	s_xor_b32 s2, exec_lo, s2
	s_cbranch_execz .LBB94_238
; %bb.237:
	v_div_scale_f64 v[209:210], null, v[194:195], v[194:195], v[192:193]
	v_div_scale_f64 v[215:216], vcc_lo, v[192:193], v[194:195], v[192:193]
	s_delay_alu instid0(VALU_DEP_2) | instskip(SKIP_2) | instid1(VALU_DEP_1)
	v_rcp_f64_e32 v[211:212], v[209:210]
	s_waitcnt_depctr 0xfff
	v_fma_f64 v[213:214], -v[209:210], v[211:212], 1.0
	v_fma_f64 v[211:212], v[211:212], v[213:214], v[211:212]
	s_delay_alu instid0(VALU_DEP_1) | instskip(NEXT) | instid1(VALU_DEP_1)
	v_fma_f64 v[213:214], -v[209:210], v[211:212], 1.0
	v_fma_f64 v[211:212], v[211:212], v[213:214], v[211:212]
	s_delay_alu instid0(VALU_DEP_1) | instskip(NEXT) | instid1(VALU_DEP_1)
	v_mul_f64 v[213:214], v[215:216], v[211:212]
	v_fma_f64 v[209:210], -v[209:210], v[213:214], v[215:216]
	s_delay_alu instid0(VALU_DEP_1) | instskip(NEXT) | instid1(VALU_DEP_1)
	v_div_fmas_f64 v[209:210], v[209:210], v[211:212], v[213:214]
	v_div_fixup_f64 v[209:210], v[209:210], v[194:195], v[192:193]
	s_delay_alu instid0(VALU_DEP_1) | instskip(NEXT) | instid1(VALU_DEP_1)
	v_fma_f64 v[192:193], v[192:193], v[209:210], v[194:195]
	v_div_scale_f64 v[194:195], null, v[192:193], v[192:193], 1.0
	s_delay_alu instid0(VALU_DEP_1) | instskip(SKIP_2) | instid1(VALU_DEP_1)
	v_rcp_f64_e32 v[211:212], v[194:195]
	s_waitcnt_depctr 0xfff
	v_fma_f64 v[213:214], -v[194:195], v[211:212], 1.0
	v_fma_f64 v[211:212], v[211:212], v[213:214], v[211:212]
	s_delay_alu instid0(VALU_DEP_1) | instskip(NEXT) | instid1(VALU_DEP_1)
	v_fma_f64 v[213:214], -v[194:195], v[211:212], 1.0
	v_fma_f64 v[211:212], v[211:212], v[213:214], v[211:212]
	v_div_scale_f64 v[213:214], vcc_lo, 1.0, v[192:193], 1.0
	s_delay_alu instid0(VALU_DEP_1) | instskip(NEXT) | instid1(VALU_DEP_1)
	v_mul_f64 v[215:216], v[213:214], v[211:212]
	v_fma_f64 v[194:195], -v[194:195], v[215:216], v[213:214]
	s_delay_alu instid0(VALU_DEP_1) | instskip(NEXT) | instid1(VALU_DEP_1)
	v_div_fmas_f64 v[194:195], v[194:195], v[211:212], v[215:216]
	v_div_fixup_f64 v[194:195], v[194:195], v[192:193], 1.0
	s_delay_alu instid0(VALU_DEP_1)
	v_mul_f64 v[192:193], v[209:210], v[194:195]
	v_xor_b32_e32 v195, 0x80000000, v195
.LBB94_238:
	s_and_not1_saveexec_b32 s2, s2
	s_cbranch_execz .LBB94_240
; %bb.239:
	s_delay_alu instid0(VALU_DEP_1) | instskip(SKIP_1) | instid1(VALU_DEP_2)
	v_div_scale_f64 v[209:210], null, v[192:193], v[192:193], v[194:195]
	v_div_scale_f64 v[215:216], vcc_lo, v[194:195], v[192:193], v[194:195]
	v_rcp_f64_e32 v[211:212], v[209:210]
	s_waitcnt_depctr 0xfff
	v_fma_f64 v[213:214], -v[209:210], v[211:212], 1.0
	s_delay_alu instid0(VALU_DEP_1) | instskip(NEXT) | instid1(VALU_DEP_1)
	v_fma_f64 v[211:212], v[211:212], v[213:214], v[211:212]
	v_fma_f64 v[213:214], -v[209:210], v[211:212], 1.0
	s_delay_alu instid0(VALU_DEP_1) | instskip(NEXT) | instid1(VALU_DEP_1)
	v_fma_f64 v[211:212], v[211:212], v[213:214], v[211:212]
	v_mul_f64 v[213:214], v[215:216], v[211:212]
	s_delay_alu instid0(VALU_DEP_1) | instskip(NEXT) | instid1(VALU_DEP_1)
	v_fma_f64 v[209:210], -v[209:210], v[213:214], v[215:216]
	v_div_fmas_f64 v[209:210], v[209:210], v[211:212], v[213:214]
	s_delay_alu instid0(VALU_DEP_1) | instskip(NEXT) | instid1(VALU_DEP_1)
	v_div_fixup_f64 v[209:210], v[209:210], v[192:193], v[194:195]
	v_fma_f64 v[192:193], v[194:195], v[209:210], v[192:193]
	s_delay_alu instid0(VALU_DEP_1) | instskip(NEXT) | instid1(VALU_DEP_1)
	v_div_scale_f64 v[194:195], null, v[192:193], v[192:193], 1.0
	v_rcp_f64_e32 v[211:212], v[194:195]
	s_waitcnt_depctr 0xfff
	v_fma_f64 v[213:214], -v[194:195], v[211:212], 1.0
	s_delay_alu instid0(VALU_DEP_1) | instskip(NEXT) | instid1(VALU_DEP_1)
	v_fma_f64 v[211:212], v[211:212], v[213:214], v[211:212]
	v_fma_f64 v[213:214], -v[194:195], v[211:212], 1.0
	s_delay_alu instid0(VALU_DEP_1) | instskip(SKIP_1) | instid1(VALU_DEP_1)
	v_fma_f64 v[211:212], v[211:212], v[213:214], v[211:212]
	v_div_scale_f64 v[213:214], vcc_lo, 1.0, v[192:193], 1.0
	v_mul_f64 v[215:216], v[213:214], v[211:212]
	s_delay_alu instid0(VALU_DEP_1) | instskip(NEXT) | instid1(VALU_DEP_1)
	v_fma_f64 v[194:195], -v[194:195], v[215:216], v[213:214]
	v_div_fmas_f64 v[194:195], v[194:195], v[211:212], v[215:216]
	s_delay_alu instid0(VALU_DEP_1) | instskip(NEXT) | instid1(VALU_DEP_1)
	v_div_fixup_f64 v[192:193], v[194:195], v[192:193], 1.0
	v_mul_f64 v[194:195], v[209:210], -v[192:193]
.LBB94_240:
	s_or_b32 exec_lo, exec_lo, s2
.LBB94_241:
	s_delay_alu instid0(SALU_CYCLE_1) | instskip(NEXT) | instid1(SALU_CYCLE_1)
	s_or_b32 exec_lo, exec_lo, s3
	s_mov_b32 s2, exec_lo
	v_cmpx_ne_u32_e64 v208, v200
	s_xor_b32 s2, exec_lo, s2
	s_cbranch_execz .LBB94_247
; %bb.242:
	s_mov_b32 s3, exec_lo
	v_cmpx_eq_u32_e32 11, v208
	s_cbranch_execz .LBB94_246
; %bb.243:
	v_cmp_ne_u32_e32 vcc_lo, 11, v200
	s_xor_b32 s6, s4, -1
	s_delay_alu instid0(SALU_CYCLE_1) | instskip(NEXT) | instid1(SALU_CYCLE_1)
	s_and_b32 s7, s6, vcc_lo
	s_and_saveexec_b32 s6, s7
	s_cbranch_execz .LBB94_245
; %bb.244:
	v_ashrrev_i32_e32 v201, 31, v200
	s_delay_alu instid0(VALU_DEP_1) | instskip(NEXT) | instid1(VALU_DEP_1)
	v_lshlrev_b64 v[208:209], 2, v[200:201]
	v_add_co_u32 v208, vcc_lo, v198, v208
	s_delay_alu instid0(VALU_DEP_2)
	v_add_co_ci_u32_e32 v209, vcc_lo, v199, v209, vcc_lo
	s_clause 0x1
	flat_load_b32 v201, v[208:209]
	flat_load_b32 v206, v[198:199] offset:44
	s_waitcnt vmcnt(1) lgkmcnt(1)
	flat_store_b32 v[198:199], v201 offset:44
	s_waitcnt vmcnt(0) lgkmcnt(1)
	flat_store_b32 v[208:209], v206
.LBB94_245:
	s_or_b32 exec_lo, exec_lo, s6
	v_mov_b32_e32 v208, v200
	v_mov_b32_e32 v206, v200
.LBB94_246:
	s_or_b32 exec_lo, exec_lo, s3
.LBB94_247:
	s_and_not1_saveexec_b32 s2, s2
	s_cbranch_execz .LBB94_249
; %bb.248:
	v_mov_b32_e32 v208, 11
	ds_store_2addr_b64 v202, v[140:141], v[142:143] offset0:24 offset1:25
	ds_store_2addr_b64 v202, v[136:137], v[138:139] offset0:26 offset1:27
	;; [unrolled: 1-line block ×36, first 2 shown]
.LBB94_249:
	s_or_b32 exec_lo, exec_lo, s2
	s_delay_alu instid0(SALU_CYCLE_1)
	s_mov_b32 s2, exec_lo
	s_waitcnt lgkmcnt(0)
	s_waitcnt_vscnt null, 0x0
	s_barrier
	buffer_gl0_inv
	v_cmpx_lt_i32_e32 11, v208
	s_cbranch_execz .LBB94_251
; %bb.250:
	v_mul_f64 v[200:201], v[194:195], v[146:147]
	v_mul_f64 v[146:147], v[192:193], v[146:147]
	s_delay_alu instid0(VALU_DEP_2) | instskip(NEXT) | instid1(VALU_DEP_2)
	v_fma_f64 v[200:201], v[192:193], v[144:145], -v[200:201]
	v_fma_f64 v[146:147], v[194:195], v[144:145], v[146:147]
	ds_load_2addr_b64 v[192:195], v202 offset0:24 offset1:25
	s_waitcnt lgkmcnt(0)
	v_mul_f64 v[144:145], v[194:195], v[146:147]
	s_delay_alu instid0(VALU_DEP_1) | instskip(SKIP_1) | instid1(VALU_DEP_2)
	v_fma_f64 v[144:145], v[192:193], v[200:201], -v[144:145]
	v_mul_f64 v[192:193], v[192:193], v[146:147]
	v_add_f64 v[140:141], v[140:141], -v[144:145]
	s_delay_alu instid0(VALU_DEP_2) | instskip(NEXT) | instid1(VALU_DEP_1)
	v_fma_f64 v[192:193], v[194:195], v[200:201], v[192:193]
	v_add_f64 v[142:143], v[142:143], -v[192:193]
	ds_load_2addr_b64 v[192:195], v202 offset0:26 offset1:27
	s_waitcnt lgkmcnt(0)
	v_mul_f64 v[144:145], v[194:195], v[146:147]
	s_delay_alu instid0(VALU_DEP_1) | instskip(SKIP_1) | instid1(VALU_DEP_2)
	v_fma_f64 v[144:145], v[192:193], v[200:201], -v[144:145]
	v_mul_f64 v[192:193], v[192:193], v[146:147]
	v_add_f64 v[136:137], v[136:137], -v[144:145]
	s_delay_alu instid0(VALU_DEP_2) | instskip(NEXT) | instid1(VALU_DEP_1)
	v_fma_f64 v[192:193], v[194:195], v[200:201], v[192:193]
	v_add_f64 v[138:139], v[138:139], -v[192:193]
	;; [unrolled: 10-line block ×35, first 2 shown]
	ds_load_2addr_b64 v[192:195], v202 offset0:94 offset1:95
	s_waitcnt lgkmcnt(0)
	v_mul_f64 v[144:145], v[194:195], v[146:147]
	s_delay_alu instid0(VALU_DEP_1) | instskip(SKIP_1) | instid1(VALU_DEP_2)
	v_fma_f64 v[144:145], v[192:193], v[200:201], -v[144:145]
	v_mul_f64 v[192:193], v[192:193], v[146:147]
	v_add_f64 v[0:1], v[0:1], -v[144:145]
	s_delay_alu instid0(VALU_DEP_2) | instskip(SKIP_1) | instid1(VALU_DEP_2)
	v_fma_f64 v[192:193], v[194:195], v[200:201], v[192:193]
	v_dual_mov_b32 v144, v200 :: v_dual_mov_b32 v145, v201
	v_add_f64 v[2:3], v[2:3], -v[192:193]
.LBB94_251:
	s_or_b32 exec_lo, exec_lo, s2
	v_lshl_add_u32 v192, v208, 4, v202
	s_barrier
	buffer_gl0_inv
	v_mov_b32_e32 v200, 12
	ds_store_2addr_b64 v192, v[140:141], v[142:143] offset1:1
	s_waitcnt lgkmcnt(0)
	s_barrier
	buffer_gl0_inv
	ds_load_2addr_b64 v[192:195], v202 offset0:24 offset1:25
	s_cmp_lt_i32 s5, 14
	s_cbranch_scc1 .LBB94_254
; %bb.252:
	v_add3_u32 v201, v207, 0, 0xd0
	v_mov_b32_e32 v200, 12
	s_mov_b32 s6, 13
	s_set_inst_prefetch_distance 0x1
	.p2align	6
.LBB94_253:                             ; =>This Inner Loop Header: Depth=1
	ds_load_2addr_b64 v[209:212], v201 offset1:1
	s_waitcnt lgkmcnt(1)
	v_cmp_gt_f64_e32 vcc_lo, 0, v[192:193]
	v_xor_b32_e32 v213, 0x80000000, v193
	v_cmp_gt_f64_e64 s2, 0, v[194:195]
	v_xor_b32_e32 v215, 0x80000000, v195
	v_add_nc_u32_e32 v201, 16, v201
	s_waitcnt lgkmcnt(0)
	v_cmp_gt_f64_e64 s3, 0, v[209:210]
	v_mov_b32_e32 v217, v209
	v_dual_mov_b32 v219, v211 :: v_dual_cndmask_b32 v214, v193, v213
	v_xor_b32_e32 v213, 0x80000000, v210
	v_cndmask_b32_e64 v216, v195, v215, s2
	v_xor_b32_e32 v215, 0x80000000, v212
	s_delay_alu instid0(VALU_DEP_3) | instskip(SKIP_2) | instid1(VALU_DEP_2)
	v_cndmask_b32_e64 v218, v210, v213, s3
	v_cmp_gt_f64_e64 s3, 0, v[211:212]
	v_cndmask_b32_e32 v213, v192, v192, vcc_lo
	v_cndmask_b32_e64 v220, v212, v215, s3
	v_cndmask_b32_e64 v215, v194, v194, s2
	s_delay_alu instid0(VALU_DEP_2) | instskip(NEXT) | instid1(VALU_DEP_2)
	v_add_f64 v[217:218], v[217:218], v[219:220]
	v_add_f64 v[213:214], v[213:214], v[215:216]
	s_delay_alu instid0(VALU_DEP_1) | instskip(SKIP_4) | instid1(SALU_CYCLE_1)
	v_cmp_lt_f64_e32 vcc_lo, v[213:214], v[217:218]
	v_dual_cndmask_b32 v194, v194, v211 :: v_dual_cndmask_b32 v193, v193, v210
	v_dual_cndmask_b32 v192, v192, v209 :: v_dual_cndmask_b32 v195, v195, v212
	v_cndmask_b32_e64 v200, v200, s6, vcc_lo
	s_add_i32 s6, s6, 1
	s_cmp_lg_u32 s5, s6
	s_cbranch_scc1 .LBB94_253
.LBB94_254:
	s_set_inst_prefetch_distance 0x2
	s_waitcnt lgkmcnt(0)
	v_cmp_eq_f64_e32 vcc_lo, 0, v[192:193]
	v_cmp_eq_f64_e64 s2, 0, v[194:195]
	s_delay_alu instid0(VALU_DEP_1) | instskip(NEXT) | instid1(SALU_CYCLE_1)
	s_and_b32 s2, vcc_lo, s2
	s_and_saveexec_b32 s3, s2
	s_delay_alu instid0(SALU_CYCLE_1)
	s_xor_b32 s2, exec_lo, s3
; %bb.255:
	v_cmp_ne_u32_e32 vcc_lo, 0, v205
	v_cndmask_b32_e32 v205, 13, v205, vcc_lo
; %bb.256:
	s_and_not1_saveexec_b32 s3, s2
	s_cbranch_execz .LBB94_262
; %bb.257:
	v_cmp_gt_f64_e32 vcc_lo, 0, v[192:193]
	v_cmp_gt_f64_e64 s2, 0, v[194:195]
	v_xor_b32_e32 v201, 0x80000000, v193
	v_xor_b32_e32 v209, 0x80000000, v195
	s_delay_alu instid0(VALU_DEP_2) | instskip(NEXT) | instid1(VALU_DEP_2)
	v_cndmask_b32_e32 v210, v193, v201, vcc_lo
	v_cndmask_b32_e64 v212, v195, v209, s2
	v_cndmask_b32_e32 v209, v192, v192, vcc_lo
	v_cndmask_b32_e64 v211, v194, v194, s2
	s_mov_b32 s2, exec_lo
	s_delay_alu instid0(VALU_DEP_1)
	v_cmpx_ngt_f64_e32 v[209:210], v[211:212]
	s_xor_b32 s2, exec_lo, s2
	s_cbranch_execz .LBB94_259
; %bb.258:
	v_div_scale_f64 v[209:210], null, v[194:195], v[194:195], v[192:193]
	v_div_scale_f64 v[215:216], vcc_lo, v[192:193], v[194:195], v[192:193]
	s_delay_alu instid0(VALU_DEP_2) | instskip(SKIP_2) | instid1(VALU_DEP_1)
	v_rcp_f64_e32 v[211:212], v[209:210]
	s_waitcnt_depctr 0xfff
	v_fma_f64 v[213:214], -v[209:210], v[211:212], 1.0
	v_fma_f64 v[211:212], v[211:212], v[213:214], v[211:212]
	s_delay_alu instid0(VALU_DEP_1) | instskip(NEXT) | instid1(VALU_DEP_1)
	v_fma_f64 v[213:214], -v[209:210], v[211:212], 1.0
	v_fma_f64 v[211:212], v[211:212], v[213:214], v[211:212]
	s_delay_alu instid0(VALU_DEP_1) | instskip(NEXT) | instid1(VALU_DEP_1)
	v_mul_f64 v[213:214], v[215:216], v[211:212]
	v_fma_f64 v[209:210], -v[209:210], v[213:214], v[215:216]
	s_delay_alu instid0(VALU_DEP_1) | instskip(NEXT) | instid1(VALU_DEP_1)
	v_div_fmas_f64 v[209:210], v[209:210], v[211:212], v[213:214]
	v_div_fixup_f64 v[209:210], v[209:210], v[194:195], v[192:193]
	s_delay_alu instid0(VALU_DEP_1) | instskip(NEXT) | instid1(VALU_DEP_1)
	v_fma_f64 v[192:193], v[192:193], v[209:210], v[194:195]
	v_div_scale_f64 v[194:195], null, v[192:193], v[192:193], 1.0
	s_delay_alu instid0(VALU_DEP_1) | instskip(SKIP_2) | instid1(VALU_DEP_1)
	v_rcp_f64_e32 v[211:212], v[194:195]
	s_waitcnt_depctr 0xfff
	v_fma_f64 v[213:214], -v[194:195], v[211:212], 1.0
	v_fma_f64 v[211:212], v[211:212], v[213:214], v[211:212]
	s_delay_alu instid0(VALU_DEP_1) | instskip(NEXT) | instid1(VALU_DEP_1)
	v_fma_f64 v[213:214], -v[194:195], v[211:212], 1.0
	v_fma_f64 v[211:212], v[211:212], v[213:214], v[211:212]
	v_div_scale_f64 v[213:214], vcc_lo, 1.0, v[192:193], 1.0
	s_delay_alu instid0(VALU_DEP_1) | instskip(NEXT) | instid1(VALU_DEP_1)
	v_mul_f64 v[215:216], v[213:214], v[211:212]
	v_fma_f64 v[194:195], -v[194:195], v[215:216], v[213:214]
	s_delay_alu instid0(VALU_DEP_1) | instskip(NEXT) | instid1(VALU_DEP_1)
	v_div_fmas_f64 v[194:195], v[194:195], v[211:212], v[215:216]
	v_div_fixup_f64 v[194:195], v[194:195], v[192:193], 1.0
	s_delay_alu instid0(VALU_DEP_1)
	v_mul_f64 v[192:193], v[209:210], v[194:195]
	v_xor_b32_e32 v195, 0x80000000, v195
.LBB94_259:
	s_and_not1_saveexec_b32 s2, s2
	s_cbranch_execz .LBB94_261
; %bb.260:
	s_delay_alu instid0(VALU_DEP_1) | instskip(SKIP_1) | instid1(VALU_DEP_2)
	v_div_scale_f64 v[209:210], null, v[192:193], v[192:193], v[194:195]
	v_div_scale_f64 v[215:216], vcc_lo, v[194:195], v[192:193], v[194:195]
	v_rcp_f64_e32 v[211:212], v[209:210]
	s_waitcnt_depctr 0xfff
	v_fma_f64 v[213:214], -v[209:210], v[211:212], 1.0
	s_delay_alu instid0(VALU_DEP_1) | instskip(NEXT) | instid1(VALU_DEP_1)
	v_fma_f64 v[211:212], v[211:212], v[213:214], v[211:212]
	v_fma_f64 v[213:214], -v[209:210], v[211:212], 1.0
	s_delay_alu instid0(VALU_DEP_1) | instskip(NEXT) | instid1(VALU_DEP_1)
	v_fma_f64 v[211:212], v[211:212], v[213:214], v[211:212]
	v_mul_f64 v[213:214], v[215:216], v[211:212]
	s_delay_alu instid0(VALU_DEP_1) | instskip(NEXT) | instid1(VALU_DEP_1)
	v_fma_f64 v[209:210], -v[209:210], v[213:214], v[215:216]
	v_div_fmas_f64 v[209:210], v[209:210], v[211:212], v[213:214]
	s_delay_alu instid0(VALU_DEP_1) | instskip(NEXT) | instid1(VALU_DEP_1)
	v_div_fixup_f64 v[209:210], v[209:210], v[192:193], v[194:195]
	v_fma_f64 v[192:193], v[194:195], v[209:210], v[192:193]
	s_delay_alu instid0(VALU_DEP_1) | instskip(NEXT) | instid1(VALU_DEP_1)
	v_div_scale_f64 v[194:195], null, v[192:193], v[192:193], 1.0
	v_rcp_f64_e32 v[211:212], v[194:195]
	s_waitcnt_depctr 0xfff
	v_fma_f64 v[213:214], -v[194:195], v[211:212], 1.0
	s_delay_alu instid0(VALU_DEP_1) | instskip(NEXT) | instid1(VALU_DEP_1)
	v_fma_f64 v[211:212], v[211:212], v[213:214], v[211:212]
	v_fma_f64 v[213:214], -v[194:195], v[211:212], 1.0
	s_delay_alu instid0(VALU_DEP_1) | instskip(SKIP_1) | instid1(VALU_DEP_1)
	v_fma_f64 v[211:212], v[211:212], v[213:214], v[211:212]
	v_div_scale_f64 v[213:214], vcc_lo, 1.0, v[192:193], 1.0
	v_mul_f64 v[215:216], v[213:214], v[211:212]
	s_delay_alu instid0(VALU_DEP_1) | instskip(NEXT) | instid1(VALU_DEP_1)
	v_fma_f64 v[194:195], -v[194:195], v[215:216], v[213:214]
	v_div_fmas_f64 v[194:195], v[194:195], v[211:212], v[215:216]
	s_delay_alu instid0(VALU_DEP_1) | instskip(NEXT) | instid1(VALU_DEP_1)
	v_div_fixup_f64 v[192:193], v[194:195], v[192:193], 1.0
	v_mul_f64 v[194:195], v[209:210], -v[192:193]
.LBB94_261:
	s_or_b32 exec_lo, exec_lo, s2
.LBB94_262:
	s_delay_alu instid0(SALU_CYCLE_1) | instskip(NEXT) | instid1(SALU_CYCLE_1)
	s_or_b32 exec_lo, exec_lo, s3
	s_mov_b32 s2, exec_lo
	v_cmpx_ne_u32_e64 v208, v200
	s_xor_b32 s2, exec_lo, s2
	s_cbranch_execz .LBB94_268
; %bb.263:
	s_mov_b32 s3, exec_lo
	v_cmpx_eq_u32_e32 12, v208
	s_cbranch_execz .LBB94_267
; %bb.264:
	v_cmp_ne_u32_e32 vcc_lo, 12, v200
	s_xor_b32 s6, s4, -1
	s_delay_alu instid0(SALU_CYCLE_1) | instskip(NEXT) | instid1(SALU_CYCLE_1)
	s_and_b32 s7, s6, vcc_lo
	s_and_saveexec_b32 s6, s7
	s_cbranch_execz .LBB94_266
; %bb.265:
	v_ashrrev_i32_e32 v201, 31, v200
	s_delay_alu instid0(VALU_DEP_1) | instskip(NEXT) | instid1(VALU_DEP_1)
	v_lshlrev_b64 v[208:209], 2, v[200:201]
	v_add_co_u32 v208, vcc_lo, v198, v208
	s_delay_alu instid0(VALU_DEP_2)
	v_add_co_ci_u32_e32 v209, vcc_lo, v199, v209, vcc_lo
	s_clause 0x1
	flat_load_b32 v201, v[208:209]
	flat_load_b32 v206, v[198:199] offset:48
	s_waitcnt vmcnt(1) lgkmcnt(1)
	flat_store_b32 v[198:199], v201 offset:48
	s_waitcnt vmcnt(0) lgkmcnt(1)
	flat_store_b32 v[208:209], v206
.LBB94_266:
	s_or_b32 exec_lo, exec_lo, s6
	v_mov_b32_e32 v208, v200
	v_mov_b32_e32 v206, v200
.LBB94_267:
	s_or_b32 exec_lo, exec_lo, s3
.LBB94_268:
	s_and_not1_saveexec_b32 s2, s2
	s_cbranch_execz .LBB94_270
; %bb.269:
	v_mov_b32_e32 v208, 12
	ds_store_2addr_b64 v202, v[136:137], v[138:139] offset0:26 offset1:27
	ds_store_2addr_b64 v202, v[132:133], v[134:135] offset0:28 offset1:29
	;; [unrolled: 1-line block ×35, first 2 shown]
.LBB94_270:
	s_or_b32 exec_lo, exec_lo, s2
	s_delay_alu instid0(SALU_CYCLE_1)
	s_mov_b32 s2, exec_lo
	s_waitcnt lgkmcnt(0)
	s_waitcnt_vscnt null, 0x0
	s_barrier
	buffer_gl0_inv
	v_cmpx_lt_i32_e32 12, v208
	s_cbranch_execz .LBB94_272
; %bb.271:
	v_mul_f64 v[200:201], v[194:195], v[142:143]
	v_mul_f64 v[142:143], v[192:193], v[142:143]
	s_delay_alu instid0(VALU_DEP_2) | instskip(NEXT) | instid1(VALU_DEP_2)
	v_fma_f64 v[200:201], v[192:193], v[140:141], -v[200:201]
	v_fma_f64 v[142:143], v[194:195], v[140:141], v[142:143]
	ds_load_2addr_b64 v[192:195], v202 offset0:26 offset1:27
	s_waitcnt lgkmcnt(0)
	v_mul_f64 v[140:141], v[194:195], v[142:143]
	s_delay_alu instid0(VALU_DEP_1) | instskip(SKIP_1) | instid1(VALU_DEP_2)
	v_fma_f64 v[140:141], v[192:193], v[200:201], -v[140:141]
	v_mul_f64 v[192:193], v[192:193], v[142:143]
	v_add_f64 v[136:137], v[136:137], -v[140:141]
	s_delay_alu instid0(VALU_DEP_2) | instskip(NEXT) | instid1(VALU_DEP_1)
	v_fma_f64 v[192:193], v[194:195], v[200:201], v[192:193]
	v_add_f64 v[138:139], v[138:139], -v[192:193]
	ds_load_2addr_b64 v[192:195], v202 offset0:28 offset1:29
	s_waitcnt lgkmcnt(0)
	v_mul_f64 v[140:141], v[194:195], v[142:143]
	s_delay_alu instid0(VALU_DEP_1) | instskip(SKIP_1) | instid1(VALU_DEP_2)
	v_fma_f64 v[140:141], v[192:193], v[200:201], -v[140:141]
	v_mul_f64 v[192:193], v[192:193], v[142:143]
	v_add_f64 v[132:133], v[132:133], -v[140:141]
	s_delay_alu instid0(VALU_DEP_2) | instskip(NEXT) | instid1(VALU_DEP_1)
	v_fma_f64 v[192:193], v[194:195], v[200:201], v[192:193]
	v_add_f64 v[134:135], v[134:135], -v[192:193]
	;; [unrolled: 10-line block ×34, first 2 shown]
	ds_load_2addr_b64 v[192:195], v202 offset0:94 offset1:95
	s_waitcnt lgkmcnt(0)
	v_mul_f64 v[140:141], v[194:195], v[142:143]
	s_delay_alu instid0(VALU_DEP_1) | instskip(SKIP_1) | instid1(VALU_DEP_2)
	v_fma_f64 v[140:141], v[192:193], v[200:201], -v[140:141]
	v_mul_f64 v[192:193], v[192:193], v[142:143]
	v_add_f64 v[0:1], v[0:1], -v[140:141]
	s_delay_alu instid0(VALU_DEP_2) | instskip(SKIP_1) | instid1(VALU_DEP_2)
	v_fma_f64 v[192:193], v[194:195], v[200:201], v[192:193]
	v_dual_mov_b32 v140, v200 :: v_dual_mov_b32 v141, v201
	v_add_f64 v[2:3], v[2:3], -v[192:193]
.LBB94_272:
	s_or_b32 exec_lo, exec_lo, s2
	v_lshl_add_u32 v192, v208, 4, v202
	s_barrier
	buffer_gl0_inv
	v_mov_b32_e32 v200, 13
	ds_store_2addr_b64 v192, v[136:137], v[138:139] offset1:1
	s_waitcnt lgkmcnt(0)
	s_barrier
	buffer_gl0_inv
	ds_load_2addr_b64 v[192:195], v202 offset0:26 offset1:27
	s_cmp_lt_i32 s5, 15
	s_cbranch_scc1 .LBB94_275
; %bb.273:
	v_add3_u32 v201, v207, 0, 0xe0
	v_mov_b32_e32 v200, 13
	s_mov_b32 s6, 14
	s_set_inst_prefetch_distance 0x1
	.p2align	6
.LBB94_274:                             ; =>This Inner Loop Header: Depth=1
	ds_load_2addr_b64 v[209:212], v201 offset1:1
	s_waitcnt lgkmcnt(1)
	v_cmp_gt_f64_e32 vcc_lo, 0, v[192:193]
	v_xor_b32_e32 v213, 0x80000000, v193
	v_cmp_gt_f64_e64 s2, 0, v[194:195]
	v_xor_b32_e32 v215, 0x80000000, v195
	v_add_nc_u32_e32 v201, 16, v201
	s_waitcnt lgkmcnt(0)
	v_cmp_gt_f64_e64 s3, 0, v[209:210]
	v_mov_b32_e32 v217, v209
	v_dual_mov_b32 v219, v211 :: v_dual_cndmask_b32 v214, v193, v213
	v_xor_b32_e32 v213, 0x80000000, v210
	v_cndmask_b32_e64 v216, v195, v215, s2
	v_xor_b32_e32 v215, 0x80000000, v212
	s_delay_alu instid0(VALU_DEP_3) | instskip(SKIP_2) | instid1(VALU_DEP_2)
	v_cndmask_b32_e64 v218, v210, v213, s3
	v_cmp_gt_f64_e64 s3, 0, v[211:212]
	v_cndmask_b32_e32 v213, v192, v192, vcc_lo
	v_cndmask_b32_e64 v220, v212, v215, s3
	v_cndmask_b32_e64 v215, v194, v194, s2
	s_delay_alu instid0(VALU_DEP_2) | instskip(NEXT) | instid1(VALU_DEP_2)
	v_add_f64 v[217:218], v[217:218], v[219:220]
	v_add_f64 v[213:214], v[213:214], v[215:216]
	s_delay_alu instid0(VALU_DEP_1) | instskip(SKIP_4) | instid1(SALU_CYCLE_1)
	v_cmp_lt_f64_e32 vcc_lo, v[213:214], v[217:218]
	v_dual_cndmask_b32 v194, v194, v211 :: v_dual_cndmask_b32 v193, v193, v210
	v_dual_cndmask_b32 v192, v192, v209 :: v_dual_cndmask_b32 v195, v195, v212
	v_cndmask_b32_e64 v200, v200, s6, vcc_lo
	s_add_i32 s6, s6, 1
	s_cmp_lg_u32 s5, s6
	s_cbranch_scc1 .LBB94_274
.LBB94_275:
	s_set_inst_prefetch_distance 0x2
	s_waitcnt lgkmcnt(0)
	v_cmp_eq_f64_e32 vcc_lo, 0, v[192:193]
	v_cmp_eq_f64_e64 s2, 0, v[194:195]
	s_delay_alu instid0(VALU_DEP_1) | instskip(NEXT) | instid1(SALU_CYCLE_1)
	s_and_b32 s2, vcc_lo, s2
	s_and_saveexec_b32 s3, s2
	s_delay_alu instid0(SALU_CYCLE_1)
	s_xor_b32 s2, exec_lo, s3
; %bb.276:
	v_cmp_ne_u32_e32 vcc_lo, 0, v205
	v_cndmask_b32_e32 v205, 14, v205, vcc_lo
; %bb.277:
	s_and_not1_saveexec_b32 s3, s2
	s_cbranch_execz .LBB94_283
; %bb.278:
	v_cmp_gt_f64_e32 vcc_lo, 0, v[192:193]
	v_cmp_gt_f64_e64 s2, 0, v[194:195]
	v_xor_b32_e32 v201, 0x80000000, v193
	v_xor_b32_e32 v209, 0x80000000, v195
	s_delay_alu instid0(VALU_DEP_2) | instskip(NEXT) | instid1(VALU_DEP_2)
	v_cndmask_b32_e32 v210, v193, v201, vcc_lo
	v_cndmask_b32_e64 v212, v195, v209, s2
	v_cndmask_b32_e32 v209, v192, v192, vcc_lo
	v_cndmask_b32_e64 v211, v194, v194, s2
	s_mov_b32 s2, exec_lo
	s_delay_alu instid0(VALU_DEP_1)
	v_cmpx_ngt_f64_e32 v[209:210], v[211:212]
	s_xor_b32 s2, exec_lo, s2
	s_cbranch_execz .LBB94_280
; %bb.279:
	v_div_scale_f64 v[209:210], null, v[194:195], v[194:195], v[192:193]
	v_div_scale_f64 v[215:216], vcc_lo, v[192:193], v[194:195], v[192:193]
	s_delay_alu instid0(VALU_DEP_2) | instskip(SKIP_2) | instid1(VALU_DEP_1)
	v_rcp_f64_e32 v[211:212], v[209:210]
	s_waitcnt_depctr 0xfff
	v_fma_f64 v[213:214], -v[209:210], v[211:212], 1.0
	v_fma_f64 v[211:212], v[211:212], v[213:214], v[211:212]
	s_delay_alu instid0(VALU_DEP_1) | instskip(NEXT) | instid1(VALU_DEP_1)
	v_fma_f64 v[213:214], -v[209:210], v[211:212], 1.0
	v_fma_f64 v[211:212], v[211:212], v[213:214], v[211:212]
	s_delay_alu instid0(VALU_DEP_1) | instskip(NEXT) | instid1(VALU_DEP_1)
	v_mul_f64 v[213:214], v[215:216], v[211:212]
	v_fma_f64 v[209:210], -v[209:210], v[213:214], v[215:216]
	s_delay_alu instid0(VALU_DEP_1) | instskip(NEXT) | instid1(VALU_DEP_1)
	v_div_fmas_f64 v[209:210], v[209:210], v[211:212], v[213:214]
	v_div_fixup_f64 v[209:210], v[209:210], v[194:195], v[192:193]
	s_delay_alu instid0(VALU_DEP_1) | instskip(NEXT) | instid1(VALU_DEP_1)
	v_fma_f64 v[192:193], v[192:193], v[209:210], v[194:195]
	v_div_scale_f64 v[194:195], null, v[192:193], v[192:193], 1.0
	s_delay_alu instid0(VALU_DEP_1) | instskip(SKIP_2) | instid1(VALU_DEP_1)
	v_rcp_f64_e32 v[211:212], v[194:195]
	s_waitcnt_depctr 0xfff
	v_fma_f64 v[213:214], -v[194:195], v[211:212], 1.0
	v_fma_f64 v[211:212], v[211:212], v[213:214], v[211:212]
	s_delay_alu instid0(VALU_DEP_1) | instskip(NEXT) | instid1(VALU_DEP_1)
	v_fma_f64 v[213:214], -v[194:195], v[211:212], 1.0
	v_fma_f64 v[211:212], v[211:212], v[213:214], v[211:212]
	v_div_scale_f64 v[213:214], vcc_lo, 1.0, v[192:193], 1.0
	s_delay_alu instid0(VALU_DEP_1) | instskip(NEXT) | instid1(VALU_DEP_1)
	v_mul_f64 v[215:216], v[213:214], v[211:212]
	v_fma_f64 v[194:195], -v[194:195], v[215:216], v[213:214]
	s_delay_alu instid0(VALU_DEP_1) | instskip(NEXT) | instid1(VALU_DEP_1)
	v_div_fmas_f64 v[194:195], v[194:195], v[211:212], v[215:216]
	v_div_fixup_f64 v[194:195], v[194:195], v[192:193], 1.0
	s_delay_alu instid0(VALU_DEP_1)
	v_mul_f64 v[192:193], v[209:210], v[194:195]
	v_xor_b32_e32 v195, 0x80000000, v195
.LBB94_280:
	s_and_not1_saveexec_b32 s2, s2
	s_cbranch_execz .LBB94_282
; %bb.281:
	s_delay_alu instid0(VALU_DEP_1) | instskip(SKIP_1) | instid1(VALU_DEP_2)
	v_div_scale_f64 v[209:210], null, v[192:193], v[192:193], v[194:195]
	v_div_scale_f64 v[215:216], vcc_lo, v[194:195], v[192:193], v[194:195]
	v_rcp_f64_e32 v[211:212], v[209:210]
	s_waitcnt_depctr 0xfff
	v_fma_f64 v[213:214], -v[209:210], v[211:212], 1.0
	s_delay_alu instid0(VALU_DEP_1) | instskip(NEXT) | instid1(VALU_DEP_1)
	v_fma_f64 v[211:212], v[211:212], v[213:214], v[211:212]
	v_fma_f64 v[213:214], -v[209:210], v[211:212], 1.0
	s_delay_alu instid0(VALU_DEP_1) | instskip(NEXT) | instid1(VALU_DEP_1)
	v_fma_f64 v[211:212], v[211:212], v[213:214], v[211:212]
	v_mul_f64 v[213:214], v[215:216], v[211:212]
	s_delay_alu instid0(VALU_DEP_1) | instskip(NEXT) | instid1(VALU_DEP_1)
	v_fma_f64 v[209:210], -v[209:210], v[213:214], v[215:216]
	v_div_fmas_f64 v[209:210], v[209:210], v[211:212], v[213:214]
	s_delay_alu instid0(VALU_DEP_1) | instskip(NEXT) | instid1(VALU_DEP_1)
	v_div_fixup_f64 v[209:210], v[209:210], v[192:193], v[194:195]
	v_fma_f64 v[192:193], v[194:195], v[209:210], v[192:193]
	s_delay_alu instid0(VALU_DEP_1) | instskip(NEXT) | instid1(VALU_DEP_1)
	v_div_scale_f64 v[194:195], null, v[192:193], v[192:193], 1.0
	v_rcp_f64_e32 v[211:212], v[194:195]
	s_waitcnt_depctr 0xfff
	v_fma_f64 v[213:214], -v[194:195], v[211:212], 1.0
	s_delay_alu instid0(VALU_DEP_1) | instskip(NEXT) | instid1(VALU_DEP_1)
	v_fma_f64 v[211:212], v[211:212], v[213:214], v[211:212]
	v_fma_f64 v[213:214], -v[194:195], v[211:212], 1.0
	s_delay_alu instid0(VALU_DEP_1) | instskip(SKIP_1) | instid1(VALU_DEP_1)
	v_fma_f64 v[211:212], v[211:212], v[213:214], v[211:212]
	v_div_scale_f64 v[213:214], vcc_lo, 1.0, v[192:193], 1.0
	v_mul_f64 v[215:216], v[213:214], v[211:212]
	s_delay_alu instid0(VALU_DEP_1) | instskip(NEXT) | instid1(VALU_DEP_1)
	v_fma_f64 v[194:195], -v[194:195], v[215:216], v[213:214]
	v_div_fmas_f64 v[194:195], v[194:195], v[211:212], v[215:216]
	s_delay_alu instid0(VALU_DEP_1) | instskip(NEXT) | instid1(VALU_DEP_1)
	v_div_fixup_f64 v[192:193], v[194:195], v[192:193], 1.0
	v_mul_f64 v[194:195], v[209:210], -v[192:193]
.LBB94_282:
	s_or_b32 exec_lo, exec_lo, s2
.LBB94_283:
	s_delay_alu instid0(SALU_CYCLE_1) | instskip(NEXT) | instid1(SALU_CYCLE_1)
	s_or_b32 exec_lo, exec_lo, s3
	s_mov_b32 s2, exec_lo
	v_cmpx_ne_u32_e64 v208, v200
	s_xor_b32 s2, exec_lo, s2
	s_cbranch_execz .LBB94_289
; %bb.284:
	s_mov_b32 s3, exec_lo
	v_cmpx_eq_u32_e32 13, v208
	s_cbranch_execz .LBB94_288
; %bb.285:
	v_cmp_ne_u32_e32 vcc_lo, 13, v200
	s_xor_b32 s6, s4, -1
	s_delay_alu instid0(SALU_CYCLE_1) | instskip(NEXT) | instid1(SALU_CYCLE_1)
	s_and_b32 s7, s6, vcc_lo
	s_and_saveexec_b32 s6, s7
	s_cbranch_execz .LBB94_287
; %bb.286:
	v_ashrrev_i32_e32 v201, 31, v200
	s_delay_alu instid0(VALU_DEP_1) | instskip(NEXT) | instid1(VALU_DEP_1)
	v_lshlrev_b64 v[208:209], 2, v[200:201]
	v_add_co_u32 v208, vcc_lo, v198, v208
	s_delay_alu instid0(VALU_DEP_2)
	v_add_co_ci_u32_e32 v209, vcc_lo, v199, v209, vcc_lo
	s_clause 0x1
	flat_load_b32 v201, v[208:209]
	flat_load_b32 v206, v[198:199] offset:52
	s_waitcnt vmcnt(1) lgkmcnt(1)
	flat_store_b32 v[198:199], v201 offset:52
	s_waitcnt vmcnt(0) lgkmcnt(1)
	flat_store_b32 v[208:209], v206
.LBB94_287:
	s_or_b32 exec_lo, exec_lo, s6
	v_mov_b32_e32 v208, v200
	v_mov_b32_e32 v206, v200
.LBB94_288:
	s_or_b32 exec_lo, exec_lo, s3
.LBB94_289:
	s_and_not1_saveexec_b32 s2, s2
	s_cbranch_execz .LBB94_291
; %bb.290:
	v_mov_b32_e32 v208, 13
	ds_store_2addr_b64 v202, v[132:133], v[134:135] offset0:28 offset1:29
	ds_store_2addr_b64 v202, v[128:129], v[130:131] offset0:30 offset1:31
	;; [unrolled: 1-line block ×34, first 2 shown]
.LBB94_291:
	s_or_b32 exec_lo, exec_lo, s2
	s_delay_alu instid0(SALU_CYCLE_1)
	s_mov_b32 s2, exec_lo
	s_waitcnt lgkmcnt(0)
	s_waitcnt_vscnt null, 0x0
	s_barrier
	buffer_gl0_inv
	v_cmpx_lt_i32_e32 13, v208
	s_cbranch_execz .LBB94_293
; %bb.292:
	v_mul_f64 v[200:201], v[194:195], v[138:139]
	v_mul_f64 v[138:139], v[192:193], v[138:139]
	s_delay_alu instid0(VALU_DEP_2) | instskip(NEXT) | instid1(VALU_DEP_2)
	v_fma_f64 v[200:201], v[192:193], v[136:137], -v[200:201]
	v_fma_f64 v[138:139], v[194:195], v[136:137], v[138:139]
	ds_load_2addr_b64 v[192:195], v202 offset0:28 offset1:29
	s_waitcnt lgkmcnt(0)
	v_mul_f64 v[136:137], v[194:195], v[138:139]
	s_delay_alu instid0(VALU_DEP_1) | instskip(SKIP_1) | instid1(VALU_DEP_2)
	v_fma_f64 v[136:137], v[192:193], v[200:201], -v[136:137]
	v_mul_f64 v[192:193], v[192:193], v[138:139]
	v_add_f64 v[132:133], v[132:133], -v[136:137]
	s_delay_alu instid0(VALU_DEP_2) | instskip(NEXT) | instid1(VALU_DEP_1)
	v_fma_f64 v[192:193], v[194:195], v[200:201], v[192:193]
	v_add_f64 v[134:135], v[134:135], -v[192:193]
	ds_load_2addr_b64 v[192:195], v202 offset0:30 offset1:31
	s_waitcnt lgkmcnt(0)
	v_mul_f64 v[136:137], v[194:195], v[138:139]
	s_delay_alu instid0(VALU_DEP_1) | instskip(SKIP_1) | instid1(VALU_DEP_2)
	v_fma_f64 v[136:137], v[192:193], v[200:201], -v[136:137]
	v_mul_f64 v[192:193], v[192:193], v[138:139]
	v_add_f64 v[128:129], v[128:129], -v[136:137]
	s_delay_alu instid0(VALU_DEP_2) | instskip(NEXT) | instid1(VALU_DEP_1)
	v_fma_f64 v[192:193], v[194:195], v[200:201], v[192:193]
	v_add_f64 v[130:131], v[130:131], -v[192:193]
	;; [unrolled: 10-line block ×33, first 2 shown]
	ds_load_2addr_b64 v[192:195], v202 offset0:94 offset1:95
	s_waitcnt lgkmcnt(0)
	v_mul_f64 v[136:137], v[194:195], v[138:139]
	s_delay_alu instid0(VALU_DEP_1) | instskip(SKIP_1) | instid1(VALU_DEP_2)
	v_fma_f64 v[136:137], v[192:193], v[200:201], -v[136:137]
	v_mul_f64 v[192:193], v[192:193], v[138:139]
	v_add_f64 v[0:1], v[0:1], -v[136:137]
	s_delay_alu instid0(VALU_DEP_2) | instskip(SKIP_1) | instid1(VALU_DEP_2)
	v_fma_f64 v[192:193], v[194:195], v[200:201], v[192:193]
	v_dual_mov_b32 v136, v200 :: v_dual_mov_b32 v137, v201
	v_add_f64 v[2:3], v[2:3], -v[192:193]
.LBB94_293:
	s_or_b32 exec_lo, exec_lo, s2
	v_lshl_add_u32 v192, v208, 4, v202
	s_barrier
	buffer_gl0_inv
	v_mov_b32_e32 v200, 14
	ds_store_2addr_b64 v192, v[132:133], v[134:135] offset1:1
	s_waitcnt lgkmcnt(0)
	s_barrier
	buffer_gl0_inv
	ds_load_2addr_b64 v[192:195], v202 offset0:28 offset1:29
	s_cmp_lt_i32 s5, 16
	s_cbranch_scc1 .LBB94_296
; %bb.294:
	v_add3_u32 v201, v207, 0, 0xf0
	v_mov_b32_e32 v200, 14
	s_mov_b32 s6, 15
	s_set_inst_prefetch_distance 0x1
	.p2align	6
.LBB94_295:                             ; =>This Inner Loop Header: Depth=1
	ds_load_2addr_b64 v[209:212], v201 offset1:1
	s_waitcnt lgkmcnt(1)
	v_cmp_gt_f64_e32 vcc_lo, 0, v[192:193]
	v_xor_b32_e32 v213, 0x80000000, v193
	v_cmp_gt_f64_e64 s2, 0, v[194:195]
	v_xor_b32_e32 v215, 0x80000000, v195
	v_add_nc_u32_e32 v201, 16, v201
	s_waitcnt lgkmcnt(0)
	v_cmp_gt_f64_e64 s3, 0, v[209:210]
	v_mov_b32_e32 v217, v209
	v_dual_mov_b32 v219, v211 :: v_dual_cndmask_b32 v214, v193, v213
	v_xor_b32_e32 v213, 0x80000000, v210
	v_cndmask_b32_e64 v216, v195, v215, s2
	v_xor_b32_e32 v215, 0x80000000, v212
	s_delay_alu instid0(VALU_DEP_3) | instskip(SKIP_2) | instid1(VALU_DEP_2)
	v_cndmask_b32_e64 v218, v210, v213, s3
	v_cmp_gt_f64_e64 s3, 0, v[211:212]
	v_cndmask_b32_e32 v213, v192, v192, vcc_lo
	v_cndmask_b32_e64 v220, v212, v215, s3
	v_cndmask_b32_e64 v215, v194, v194, s2
	s_delay_alu instid0(VALU_DEP_2) | instskip(NEXT) | instid1(VALU_DEP_2)
	v_add_f64 v[217:218], v[217:218], v[219:220]
	v_add_f64 v[213:214], v[213:214], v[215:216]
	s_delay_alu instid0(VALU_DEP_1) | instskip(SKIP_4) | instid1(SALU_CYCLE_1)
	v_cmp_lt_f64_e32 vcc_lo, v[213:214], v[217:218]
	v_dual_cndmask_b32 v194, v194, v211 :: v_dual_cndmask_b32 v193, v193, v210
	v_dual_cndmask_b32 v192, v192, v209 :: v_dual_cndmask_b32 v195, v195, v212
	v_cndmask_b32_e64 v200, v200, s6, vcc_lo
	s_add_i32 s6, s6, 1
	s_cmp_lg_u32 s5, s6
	s_cbranch_scc1 .LBB94_295
.LBB94_296:
	s_set_inst_prefetch_distance 0x2
	s_waitcnt lgkmcnt(0)
	v_cmp_eq_f64_e32 vcc_lo, 0, v[192:193]
	v_cmp_eq_f64_e64 s2, 0, v[194:195]
	s_delay_alu instid0(VALU_DEP_1) | instskip(NEXT) | instid1(SALU_CYCLE_1)
	s_and_b32 s2, vcc_lo, s2
	s_and_saveexec_b32 s3, s2
	s_delay_alu instid0(SALU_CYCLE_1)
	s_xor_b32 s2, exec_lo, s3
; %bb.297:
	v_cmp_ne_u32_e32 vcc_lo, 0, v205
	v_cndmask_b32_e32 v205, 15, v205, vcc_lo
; %bb.298:
	s_and_not1_saveexec_b32 s3, s2
	s_cbranch_execz .LBB94_304
; %bb.299:
	v_cmp_gt_f64_e32 vcc_lo, 0, v[192:193]
	v_cmp_gt_f64_e64 s2, 0, v[194:195]
	v_xor_b32_e32 v201, 0x80000000, v193
	v_xor_b32_e32 v209, 0x80000000, v195
	s_delay_alu instid0(VALU_DEP_2) | instskip(NEXT) | instid1(VALU_DEP_2)
	v_cndmask_b32_e32 v210, v193, v201, vcc_lo
	v_cndmask_b32_e64 v212, v195, v209, s2
	v_cndmask_b32_e32 v209, v192, v192, vcc_lo
	v_cndmask_b32_e64 v211, v194, v194, s2
	s_mov_b32 s2, exec_lo
	s_delay_alu instid0(VALU_DEP_1)
	v_cmpx_ngt_f64_e32 v[209:210], v[211:212]
	s_xor_b32 s2, exec_lo, s2
	s_cbranch_execz .LBB94_301
; %bb.300:
	v_div_scale_f64 v[209:210], null, v[194:195], v[194:195], v[192:193]
	v_div_scale_f64 v[215:216], vcc_lo, v[192:193], v[194:195], v[192:193]
	s_delay_alu instid0(VALU_DEP_2) | instskip(SKIP_2) | instid1(VALU_DEP_1)
	v_rcp_f64_e32 v[211:212], v[209:210]
	s_waitcnt_depctr 0xfff
	v_fma_f64 v[213:214], -v[209:210], v[211:212], 1.0
	v_fma_f64 v[211:212], v[211:212], v[213:214], v[211:212]
	s_delay_alu instid0(VALU_DEP_1) | instskip(NEXT) | instid1(VALU_DEP_1)
	v_fma_f64 v[213:214], -v[209:210], v[211:212], 1.0
	v_fma_f64 v[211:212], v[211:212], v[213:214], v[211:212]
	s_delay_alu instid0(VALU_DEP_1) | instskip(NEXT) | instid1(VALU_DEP_1)
	v_mul_f64 v[213:214], v[215:216], v[211:212]
	v_fma_f64 v[209:210], -v[209:210], v[213:214], v[215:216]
	s_delay_alu instid0(VALU_DEP_1) | instskip(NEXT) | instid1(VALU_DEP_1)
	v_div_fmas_f64 v[209:210], v[209:210], v[211:212], v[213:214]
	v_div_fixup_f64 v[209:210], v[209:210], v[194:195], v[192:193]
	s_delay_alu instid0(VALU_DEP_1) | instskip(NEXT) | instid1(VALU_DEP_1)
	v_fma_f64 v[192:193], v[192:193], v[209:210], v[194:195]
	v_div_scale_f64 v[194:195], null, v[192:193], v[192:193], 1.0
	s_delay_alu instid0(VALU_DEP_1) | instskip(SKIP_2) | instid1(VALU_DEP_1)
	v_rcp_f64_e32 v[211:212], v[194:195]
	s_waitcnt_depctr 0xfff
	v_fma_f64 v[213:214], -v[194:195], v[211:212], 1.0
	v_fma_f64 v[211:212], v[211:212], v[213:214], v[211:212]
	s_delay_alu instid0(VALU_DEP_1) | instskip(NEXT) | instid1(VALU_DEP_1)
	v_fma_f64 v[213:214], -v[194:195], v[211:212], 1.0
	v_fma_f64 v[211:212], v[211:212], v[213:214], v[211:212]
	v_div_scale_f64 v[213:214], vcc_lo, 1.0, v[192:193], 1.0
	s_delay_alu instid0(VALU_DEP_1) | instskip(NEXT) | instid1(VALU_DEP_1)
	v_mul_f64 v[215:216], v[213:214], v[211:212]
	v_fma_f64 v[194:195], -v[194:195], v[215:216], v[213:214]
	s_delay_alu instid0(VALU_DEP_1) | instskip(NEXT) | instid1(VALU_DEP_1)
	v_div_fmas_f64 v[194:195], v[194:195], v[211:212], v[215:216]
	v_div_fixup_f64 v[194:195], v[194:195], v[192:193], 1.0
	s_delay_alu instid0(VALU_DEP_1)
	v_mul_f64 v[192:193], v[209:210], v[194:195]
	v_xor_b32_e32 v195, 0x80000000, v195
.LBB94_301:
	s_and_not1_saveexec_b32 s2, s2
	s_cbranch_execz .LBB94_303
; %bb.302:
	s_delay_alu instid0(VALU_DEP_1) | instskip(SKIP_1) | instid1(VALU_DEP_2)
	v_div_scale_f64 v[209:210], null, v[192:193], v[192:193], v[194:195]
	v_div_scale_f64 v[215:216], vcc_lo, v[194:195], v[192:193], v[194:195]
	v_rcp_f64_e32 v[211:212], v[209:210]
	s_waitcnt_depctr 0xfff
	v_fma_f64 v[213:214], -v[209:210], v[211:212], 1.0
	s_delay_alu instid0(VALU_DEP_1) | instskip(NEXT) | instid1(VALU_DEP_1)
	v_fma_f64 v[211:212], v[211:212], v[213:214], v[211:212]
	v_fma_f64 v[213:214], -v[209:210], v[211:212], 1.0
	s_delay_alu instid0(VALU_DEP_1) | instskip(NEXT) | instid1(VALU_DEP_1)
	v_fma_f64 v[211:212], v[211:212], v[213:214], v[211:212]
	v_mul_f64 v[213:214], v[215:216], v[211:212]
	s_delay_alu instid0(VALU_DEP_1) | instskip(NEXT) | instid1(VALU_DEP_1)
	v_fma_f64 v[209:210], -v[209:210], v[213:214], v[215:216]
	v_div_fmas_f64 v[209:210], v[209:210], v[211:212], v[213:214]
	s_delay_alu instid0(VALU_DEP_1) | instskip(NEXT) | instid1(VALU_DEP_1)
	v_div_fixup_f64 v[209:210], v[209:210], v[192:193], v[194:195]
	v_fma_f64 v[192:193], v[194:195], v[209:210], v[192:193]
	s_delay_alu instid0(VALU_DEP_1) | instskip(NEXT) | instid1(VALU_DEP_1)
	v_div_scale_f64 v[194:195], null, v[192:193], v[192:193], 1.0
	v_rcp_f64_e32 v[211:212], v[194:195]
	s_waitcnt_depctr 0xfff
	v_fma_f64 v[213:214], -v[194:195], v[211:212], 1.0
	s_delay_alu instid0(VALU_DEP_1) | instskip(NEXT) | instid1(VALU_DEP_1)
	v_fma_f64 v[211:212], v[211:212], v[213:214], v[211:212]
	v_fma_f64 v[213:214], -v[194:195], v[211:212], 1.0
	s_delay_alu instid0(VALU_DEP_1) | instskip(SKIP_1) | instid1(VALU_DEP_1)
	v_fma_f64 v[211:212], v[211:212], v[213:214], v[211:212]
	v_div_scale_f64 v[213:214], vcc_lo, 1.0, v[192:193], 1.0
	v_mul_f64 v[215:216], v[213:214], v[211:212]
	s_delay_alu instid0(VALU_DEP_1) | instskip(NEXT) | instid1(VALU_DEP_1)
	v_fma_f64 v[194:195], -v[194:195], v[215:216], v[213:214]
	v_div_fmas_f64 v[194:195], v[194:195], v[211:212], v[215:216]
	s_delay_alu instid0(VALU_DEP_1) | instskip(NEXT) | instid1(VALU_DEP_1)
	v_div_fixup_f64 v[192:193], v[194:195], v[192:193], 1.0
	v_mul_f64 v[194:195], v[209:210], -v[192:193]
.LBB94_303:
	s_or_b32 exec_lo, exec_lo, s2
.LBB94_304:
	s_delay_alu instid0(SALU_CYCLE_1) | instskip(NEXT) | instid1(SALU_CYCLE_1)
	s_or_b32 exec_lo, exec_lo, s3
	s_mov_b32 s2, exec_lo
	v_cmpx_ne_u32_e64 v208, v200
	s_xor_b32 s2, exec_lo, s2
	s_cbranch_execz .LBB94_310
; %bb.305:
	s_mov_b32 s3, exec_lo
	v_cmpx_eq_u32_e32 14, v208
	s_cbranch_execz .LBB94_309
; %bb.306:
	v_cmp_ne_u32_e32 vcc_lo, 14, v200
	s_xor_b32 s6, s4, -1
	s_delay_alu instid0(SALU_CYCLE_1) | instskip(NEXT) | instid1(SALU_CYCLE_1)
	s_and_b32 s7, s6, vcc_lo
	s_and_saveexec_b32 s6, s7
	s_cbranch_execz .LBB94_308
; %bb.307:
	v_ashrrev_i32_e32 v201, 31, v200
	s_delay_alu instid0(VALU_DEP_1) | instskip(NEXT) | instid1(VALU_DEP_1)
	v_lshlrev_b64 v[208:209], 2, v[200:201]
	v_add_co_u32 v208, vcc_lo, v198, v208
	s_delay_alu instid0(VALU_DEP_2)
	v_add_co_ci_u32_e32 v209, vcc_lo, v199, v209, vcc_lo
	s_clause 0x1
	flat_load_b32 v201, v[208:209]
	flat_load_b32 v206, v[198:199] offset:56
	s_waitcnt vmcnt(1) lgkmcnt(1)
	flat_store_b32 v[198:199], v201 offset:56
	s_waitcnt vmcnt(0) lgkmcnt(1)
	flat_store_b32 v[208:209], v206
.LBB94_308:
	s_or_b32 exec_lo, exec_lo, s6
	v_mov_b32_e32 v208, v200
	v_mov_b32_e32 v206, v200
.LBB94_309:
	s_or_b32 exec_lo, exec_lo, s3
.LBB94_310:
	s_and_not1_saveexec_b32 s2, s2
	s_cbranch_execz .LBB94_312
; %bb.311:
	v_mov_b32_e32 v208, 14
	ds_store_2addr_b64 v202, v[128:129], v[130:131] offset0:30 offset1:31
	ds_store_2addr_b64 v202, v[124:125], v[126:127] offset0:32 offset1:33
	;; [unrolled: 1-line block ×33, first 2 shown]
.LBB94_312:
	s_or_b32 exec_lo, exec_lo, s2
	s_delay_alu instid0(SALU_CYCLE_1)
	s_mov_b32 s2, exec_lo
	s_waitcnt lgkmcnt(0)
	s_waitcnt_vscnt null, 0x0
	s_barrier
	buffer_gl0_inv
	v_cmpx_lt_i32_e32 14, v208
	s_cbranch_execz .LBB94_314
; %bb.313:
	v_mul_f64 v[200:201], v[194:195], v[134:135]
	v_mul_f64 v[134:135], v[192:193], v[134:135]
	s_delay_alu instid0(VALU_DEP_2) | instskip(NEXT) | instid1(VALU_DEP_2)
	v_fma_f64 v[200:201], v[192:193], v[132:133], -v[200:201]
	v_fma_f64 v[134:135], v[194:195], v[132:133], v[134:135]
	ds_load_2addr_b64 v[192:195], v202 offset0:30 offset1:31
	s_waitcnt lgkmcnt(0)
	v_mul_f64 v[132:133], v[194:195], v[134:135]
	s_delay_alu instid0(VALU_DEP_1) | instskip(SKIP_1) | instid1(VALU_DEP_2)
	v_fma_f64 v[132:133], v[192:193], v[200:201], -v[132:133]
	v_mul_f64 v[192:193], v[192:193], v[134:135]
	v_add_f64 v[128:129], v[128:129], -v[132:133]
	s_delay_alu instid0(VALU_DEP_2) | instskip(NEXT) | instid1(VALU_DEP_1)
	v_fma_f64 v[192:193], v[194:195], v[200:201], v[192:193]
	v_add_f64 v[130:131], v[130:131], -v[192:193]
	ds_load_2addr_b64 v[192:195], v202 offset0:32 offset1:33
	s_waitcnt lgkmcnt(0)
	v_mul_f64 v[132:133], v[194:195], v[134:135]
	s_delay_alu instid0(VALU_DEP_1) | instskip(SKIP_1) | instid1(VALU_DEP_2)
	v_fma_f64 v[132:133], v[192:193], v[200:201], -v[132:133]
	v_mul_f64 v[192:193], v[192:193], v[134:135]
	v_add_f64 v[124:125], v[124:125], -v[132:133]
	s_delay_alu instid0(VALU_DEP_2) | instskip(NEXT) | instid1(VALU_DEP_1)
	v_fma_f64 v[192:193], v[194:195], v[200:201], v[192:193]
	v_add_f64 v[126:127], v[126:127], -v[192:193]
	ds_load_2addr_b64 v[192:195], v202 offset0:34 offset1:35
	s_waitcnt lgkmcnt(0)
	v_mul_f64 v[132:133], v[194:195], v[134:135]
	s_delay_alu instid0(VALU_DEP_1) | instskip(SKIP_1) | instid1(VALU_DEP_2)
	v_fma_f64 v[132:133], v[192:193], v[200:201], -v[132:133]
	v_mul_f64 v[192:193], v[192:193], v[134:135]
	v_add_f64 v[120:121], v[120:121], -v[132:133]
	s_delay_alu instid0(VALU_DEP_2) | instskip(NEXT) | instid1(VALU_DEP_1)
	v_fma_f64 v[192:193], v[194:195], v[200:201], v[192:193]
	v_add_f64 v[122:123], v[122:123], -v[192:193]
	ds_load_2addr_b64 v[192:195], v202 offset0:36 offset1:37
	s_waitcnt lgkmcnt(0)
	v_mul_f64 v[132:133], v[194:195], v[134:135]
	s_delay_alu instid0(VALU_DEP_1) | instskip(SKIP_1) | instid1(VALU_DEP_2)
	v_fma_f64 v[132:133], v[192:193], v[200:201], -v[132:133]
	v_mul_f64 v[192:193], v[192:193], v[134:135]
	v_add_f64 v[116:117], v[116:117], -v[132:133]
	s_delay_alu instid0(VALU_DEP_2) | instskip(NEXT) | instid1(VALU_DEP_1)
	v_fma_f64 v[192:193], v[194:195], v[200:201], v[192:193]
	v_add_f64 v[118:119], v[118:119], -v[192:193]
	ds_load_2addr_b64 v[192:195], v202 offset0:38 offset1:39
	s_waitcnt lgkmcnt(0)
	v_mul_f64 v[132:133], v[194:195], v[134:135]
	s_delay_alu instid0(VALU_DEP_1) | instskip(SKIP_1) | instid1(VALU_DEP_2)
	v_fma_f64 v[132:133], v[192:193], v[200:201], -v[132:133]
	v_mul_f64 v[192:193], v[192:193], v[134:135]
	v_add_f64 v[112:113], v[112:113], -v[132:133]
	s_delay_alu instid0(VALU_DEP_2) | instskip(NEXT) | instid1(VALU_DEP_1)
	v_fma_f64 v[192:193], v[194:195], v[200:201], v[192:193]
	v_add_f64 v[114:115], v[114:115], -v[192:193]
	ds_load_2addr_b64 v[192:195], v202 offset0:40 offset1:41
	s_waitcnt lgkmcnt(0)
	v_mul_f64 v[132:133], v[194:195], v[134:135]
	s_delay_alu instid0(VALU_DEP_1) | instskip(SKIP_1) | instid1(VALU_DEP_2)
	v_fma_f64 v[132:133], v[192:193], v[200:201], -v[132:133]
	v_mul_f64 v[192:193], v[192:193], v[134:135]
	v_add_f64 v[108:109], v[108:109], -v[132:133]
	s_delay_alu instid0(VALU_DEP_2) | instskip(NEXT) | instid1(VALU_DEP_1)
	v_fma_f64 v[192:193], v[194:195], v[200:201], v[192:193]
	v_add_f64 v[110:111], v[110:111], -v[192:193]
	ds_load_2addr_b64 v[192:195], v202 offset0:42 offset1:43
	s_waitcnt lgkmcnt(0)
	v_mul_f64 v[132:133], v[194:195], v[134:135]
	s_delay_alu instid0(VALU_DEP_1) | instskip(SKIP_1) | instid1(VALU_DEP_2)
	v_fma_f64 v[132:133], v[192:193], v[200:201], -v[132:133]
	v_mul_f64 v[192:193], v[192:193], v[134:135]
	v_add_f64 v[104:105], v[104:105], -v[132:133]
	s_delay_alu instid0(VALU_DEP_2) | instskip(NEXT) | instid1(VALU_DEP_1)
	v_fma_f64 v[192:193], v[194:195], v[200:201], v[192:193]
	v_add_f64 v[106:107], v[106:107], -v[192:193]
	ds_load_2addr_b64 v[192:195], v202 offset0:44 offset1:45
	s_waitcnt lgkmcnt(0)
	v_mul_f64 v[132:133], v[194:195], v[134:135]
	s_delay_alu instid0(VALU_DEP_1) | instskip(SKIP_1) | instid1(VALU_DEP_2)
	v_fma_f64 v[132:133], v[192:193], v[200:201], -v[132:133]
	v_mul_f64 v[192:193], v[192:193], v[134:135]
	v_add_f64 v[100:101], v[100:101], -v[132:133]
	s_delay_alu instid0(VALU_DEP_2) | instskip(NEXT) | instid1(VALU_DEP_1)
	v_fma_f64 v[192:193], v[194:195], v[200:201], v[192:193]
	v_add_f64 v[102:103], v[102:103], -v[192:193]
	ds_load_2addr_b64 v[192:195], v202 offset0:46 offset1:47
	s_waitcnt lgkmcnt(0)
	v_mul_f64 v[132:133], v[194:195], v[134:135]
	s_delay_alu instid0(VALU_DEP_1) | instskip(SKIP_1) | instid1(VALU_DEP_2)
	v_fma_f64 v[132:133], v[192:193], v[200:201], -v[132:133]
	v_mul_f64 v[192:193], v[192:193], v[134:135]
	v_add_f64 v[96:97], v[96:97], -v[132:133]
	s_delay_alu instid0(VALU_DEP_2) | instskip(NEXT) | instid1(VALU_DEP_1)
	v_fma_f64 v[192:193], v[194:195], v[200:201], v[192:193]
	v_add_f64 v[98:99], v[98:99], -v[192:193]
	ds_load_2addr_b64 v[192:195], v202 offset0:48 offset1:49
	s_waitcnt lgkmcnt(0)
	v_mul_f64 v[132:133], v[194:195], v[134:135]
	s_delay_alu instid0(VALU_DEP_1) | instskip(SKIP_1) | instid1(VALU_DEP_2)
	v_fma_f64 v[132:133], v[192:193], v[200:201], -v[132:133]
	v_mul_f64 v[192:193], v[192:193], v[134:135]
	v_add_f64 v[92:93], v[92:93], -v[132:133]
	s_delay_alu instid0(VALU_DEP_2) | instskip(NEXT) | instid1(VALU_DEP_1)
	v_fma_f64 v[192:193], v[194:195], v[200:201], v[192:193]
	v_add_f64 v[94:95], v[94:95], -v[192:193]
	ds_load_2addr_b64 v[192:195], v202 offset0:50 offset1:51
	s_waitcnt lgkmcnt(0)
	v_mul_f64 v[132:133], v[194:195], v[134:135]
	s_delay_alu instid0(VALU_DEP_1) | instskip(SKIP_1) | instid1(VALU_DEP_2)
	v_fma_f64 v[132:133], v[192:193], v[200:201], -v[132:133]
	v_mul_f64 v[192:193], v[192:193], v[134:135]
	v_add_f64 v[88:89], v[88:89], -v[132:133]
	s_delay_alu instid0(VALU_DEP_2) | instskip(NEXT) | instid1(VALU_DEP_1)
	v_fma_f64 v[192:193], v[194:195], v[200:201], v[192:193]
	v_add_f64 v[90:91], v[90:91], -v[192:193]
	ds_load_2addr_b64 v[192:195], v202 offset0:52 offset1:53
	s_waitcnt lgkmcnt(0)
	v_mul_f64 v[132:133], v[194:195], v[134:135]
	s_delay_alu instid0(VALU_DEP_1) | instskip(SKIP_1) | instid1(VALU_DEP_2)
	v_fma_f64 v[132:133], v[192:193], v[200:201], -v[132:133]
	v_mul_f64 v[192:193], v[192:193], v[134:135]
	v_add_f64 v[84:85], v[84:85], -v[132:133]
	s_delay_alu instid0(VALU_DEP_2) | instskip(NEXT) | instid1(VALU_DEP_1)
	v_fma_f64 v[192:193], v[194:195], v[200:201], v[192:193]
	v_add_f64 v[86:87], v[86:87], -v[192:193]
	ds_load_2addr_b64 v[192:195], v202 offset0:54 offset1:55
	s_waitcnt lgkmcnt(0)
	v_mul_f64 v[132:133], v[194:195], v[134:135]
	s_delay_alu instid0(VALU_DEP_1) | instskip(SKIP_1) | instid1(VALU_DEP_2)
	v_fma_f64 v[132:133], v[192:193], v[200:201], -v[132:133]
	v_mul_f64 v[192:193], v[192:193], v[134:135]
	v_add_f64 v[80:81], v[80:81], -v[132:133]
	s_delay_alu instid0(VALU_DEP_2) | instskip(NEXT) | instid1(VALU_DEP_1)
	v_fma_f64 v[192:193], v[194:195], v[200:201], v[192:193]
	v_add_f64 v[82:83], v[82:83], -v[192:193]
	ds_load_2addr_b64 v[192:195], v202 offset0:56 offset1:57
	s_waitcnt lgkmcnt(0)
	v_mul_f64 v[132:133], v[194:195], v[134:135]
	s_delay_alu instid0(VALU_DEP_1) | instskip(SKIP_1) | instid1(VALU_DEP_2)
	v_fma_f64 v[132:133], v[192:193], v[200:201], -v[132:133]
	v_mul_f64 v[192:193], v[192:193], v[134:135]
	v_add_f64 v[76:77], v[76:77], -v[132:133]
	s_delay_alu instid0(VALU_DEP_2) | instskip(NEXT) | instid1(VALU_DEP_1)
	v_fma_f64 v[192:193], v[194:195], v[200:201], v[192:193]
	v_add_f64 v[78:79], v[78:79], -v[192:193]
	ds_load_2addr_b64 v[192:195], v202 offset0:58 offset1:59
	s_waitcnt lgkmcnt(0)
	v_mul_f64 v[132:133], v[194:195], v[134:135]
	s_delay_alu instid0(VALU_DEP_1) | instskip(SKIP_1) | instid1(VALU_DEP_2)
	v_fma_f64 v[132:133], v[192:193], v[200:201], -v[132:133]
	v_mul_f64 v[192:193], v[192:193], v[134:135]
	v_add_f64 v[72:73], v[72:73], -v[132:133]
	s_delay_alu instid0(VALU_DEP_2) | instskip(NEXT) | instid1(VALU_DEP_1)
	v_fma_f64 v[192:193], v[194:195], v[200:201], v[192:193]
	v_add_f64 v[74:75], v[74:75], -v[192:193]
	ds_load_2addr_b64 v[192:195], v202 offset0:60 offset1:61
	s_waitcnt lgkmcnt(0)
	v_mul_f64 v[132:133], v[194:195], v[134:135]
	s_delay_alu instid0(VALU_DEP_1) | instskip(SKIP_1) | instid1(VALU_DEP_2)
	v_fma_f64 v[132:133], v[192:193], v[200:201], -v[132:133]
	v_mul_f64 v[192:193], v[192:193], v[134:135]
	v_add_f64 v[68:69], v[68:69], -v[132:133]
	s_delay_alu instid0(VALU_DEP_2) | instskip(NEXT) | instid1(VALU_DEP_1)
	v_fma_f64 v[192:193], v[194:195], v[200:201], v[192:193]
	v_add_f64 v[70:71], v[70:71], -v[192:193]
	ds_load_2addr_b64 v[192:195], v202 offset0:62 offset1:63
	s_waitcnt lgkmcnt(0)
	v_mul_f64 v[132:133], v[194:195], v[134:135]
	s_delay_alu instid0(VALU_DEP_1) | instskip(SKIP_1) | instid1(VALU_DEP_2)
	v_fma_f64 v[132:133], v[192:193], v[200:201], -v[132:133]
	v_mul_f64 v[192:193], v[192:193], v[134:135]
	v_add_f64 v[64:65], v[64:65], -v[132:133]
	s_delay_alu instid0(VALU_DEP_2) | instskip(NEXT) | instid1(VALU_DEP_1)
	v_fma_f64 v[192:193], v[194:195], v[200:201], v[192:193]
	v_add_f64 v[66:67], v[66:67], -v[192:193]
	ds_load_2addr_b64 v[192:195], v202 offset0:64 offset1:65
	s_waitcnt lgkmcnt(0)
	v_mul_f64 v[132:133], v[194:195], v[134:135]
	s_delay_alu instid0(VALU_DEP_1) | instskip(SKIP_1) | instid1(VALU_DEP_2)
	v_fma_f64 v[132:133], v[192:193], v[200:201], -v[132:133]
	v_mul_f64 v[192:193], v[192:193], v[134:135]
	v_add_f64 v[60:61], v[60:61], -v[132:133]
	s_delay_alu instid0(VALU_DEP_2) | instskip(NEXT) | instid1(VALU_DEP_1)
	v_fma_f64 v[192:193], v[194:195], v[200:201], v[192:193]
	v_add_f64 v[62:63], v[62:63], -v[192:193]
	ds_load_2addr_b64 v[192:195], v202 offset0:66 offset1:67
	s_waitcnt lgkmcnt(0)
	v_mul_f64 v[132:133], v[194:195], v[134:135]
	s_delay_alu instid0(VALU_DEP_1) | instskip(SKIP_1) | instid1(VALU_DEP_2)
	v_fma_f64 v[132:133], v[192:193], v[200:201], -v[132:133]
	v_mul_f64 v[192:193], v[192:193], v[134:135]
	v_add_f64 v[56:57], v[56:57], -v[132:133]
	s_delay_alu instid0(VALU_DEP_2) | instskip(NEXT) | instid1(VALU_DEP_1)
	v_fma_f64 v[192:193], v[194:195], v[200:201], v[192:193]
	v_add_f64 v[58:59], v[58:59], -v[192:193]
	ds_load_2addr_b64 v[192:195], v202 offset0:68 offset1:69
	s_waitcnt lgkmcnt(0)
	v_mul_f64 v[132:133], v[194:195], v[134:135]
	s_delay_alu instid0(VALU_DEP_1) | instskip(SKIP_1) | instid1(VALU_DEP_2)
	v_fma_f64 v[132:133], v[192:193], v[200:201], -v[132:133]
	v_mul_f64 v[192:193], v[192:193], v[134:135]
	v_add_f64 v[52:53], v[52:53], -v[132:133]
	s_delay_alu instid0(VALU_DEP_2) | instskip(NEXT) | instid1(VALU_DEP_1)
	v_fma_f64 v[192:193], v[194:195], v[200:201], v[192:193]
	v_add_f64 v[54:55], v[54:55], -v[192:193]
	ds_load_2addr_b64 v[192:195], v202 offset0:70 offset1:71
	s_waitcnt lgkmcnt(0)
	v_mul_f64 v[132:133], v[194:195], v[134:135]
	s_delay_alu instid0(VALU_DEP_1) | instskip(SKIP_1) | instid1(VALU_DEP_2)
	v_fma_f64 v[132:133], v[192:193], v[200:201], -v[132:133]
	v_mul_f64 v[192:193], v[192:193], v[134:135]
	v_add_f64 v[48:49], v[48:49], -v[132:133]
	s_delay_alu instid0(VALU_DEP_2) | instskip(NEXT) | instid1(VALU_DEP_1)
	v_fma_f64 v[192:193], v[194:195], v[200:201], v[192:193]
	v_add_f64 v[50:51], v[50:51], -v[192:193]
	ds_load_2addr_b64 v[192:195], v202 offset0:72 offset1:73
	s_waitcnt lgkmcnt(0)
	v_mul_f64 v[132:133], v[194:195], v[134:135]
	s_delay_alu instid0(VALU_DEP_1) | instskip(SKIP_1) | instid1(VALU_DEP_2)
	v_fma_f64 v[132:133], v[192:193], v[200:201], -v[132:133]
	v_mul_f64 v[192:193], v[192:193], v[134:135]
	v_add_f64 v[44:45], v[44:45], -v[132:133]
	s_delay_alu instid0(VALU_DEP_2) | instskip(NEXT) | instid1(VALU_DEP_1)
	v_fma_f64 v[192:193], v[194:195], v[200:201], v[192:193]
	v_add_f64 v[46:47], v[46:47], -v[192:193]
	ds_load_2addr_b64 v[192:195], v202 offset0:74 offset1:75
	s_waitcnt lgkmcnt(0)
	v_mul_f64 v[132:133], v[194:195], v[134:135]
	s_delay_alu instid0(VALU_DEP_1) | instskip(SKIP_1) | instid1(VALU_DEP_2)
	v_fma_f64 v[132:133], v[192:193], v[200:201], -v[132:133]
	v_mul_f64 v[192:193], v[192:193], v[134:135]
	v_add_f64 v[40:41], v[40:41], -v[132:133]
	s_delay_alu instid0(VALU_DEP_2) | instskip(NEXT) | instid1(VALU_DEP_1)
	v_fma_f64 v[192:193], v[194:195], v[200:201], v[192:193]
	v_add_f64 v[42:43], v[42:43], -v[192:193]
	ds_load_2addr_b64 v[192:195], v202 offset0:76 offset1:77
	s_waitcnt lgkmcnt(0)
	v_mul_f64 v[132:133], v[194:195], v[134:135]
	s_delay_alu instid0(VALU_DEP_1) | instskip(SKIP_1) | instid1(VALU_DEP_2)
	v_fma_f64 v[132:133], v[192:193], v[200:201], -v[132:133]
	v_mul_f64 v[192:193], v[192:193], v[134:135]
	v_add_f64 v[36:37], v[36:37], -v[132:133]
	s_delay_alu instid0(VALU_DEP_2) | instskip(NEXT) | instid1(VALU_DEP_1)
	v_fma_f64 v[192:193], v[194:195], v[200:201], v[192:193]
	v_add_f64 v[38:39], v[38:39], -v[192:193]
	ds_load_2addr_b64 v[192:195], v202 offset0:78 offset1:79
	s_waitcnt lgkmcnt(0)
	v_mul_f64 v[132:133], v[194:195], v[134:135]
	s_delay_alu instid0(VALU_DEP_1) | instskip(SKIP_1) | instid1(VALU_DEP_2)
	v_fma_f64 v[132:133], v[192:193], v[200:201], -v[132:133]
	v_mul_f64 v[192:193], v[192:193], v[134:135]
	v_add_f64 v[32:33], v[32:33], -v[132:133]
	s_delay_alu instid0(VALU_DEP_2) | instskip(NEXT) | instid1(VALU_DEP_1)
	v_fma_f64 v[192:193], v[194:195], v[200:201], v[192:193]
	v_add_f64 v[34:35], v[34:35], -v[192:193]
	ds_load_2addr_b64 v[192:195], v202 offset0:80 offset1:81
	s_waitcnt lgkmcnt(0)
	v_mul_f64 v[132:133], v[194:195], v[134:135]
	s_delay_alu instid0(VALU_DEP_1) | instskip(SKIP_1) | instid1(VALU_DEP_2)
	v_fma_f64 v[132:133], v[192:193], v[200:201], -v[132:133]
	v_mul_f64 v[192:193], v[192:193], v[134:135]
	v_add_f64 v[28:29], v[28:29], -v[132:133]
	s_delay_alu instid0(VALU_DEP_2) | instskip(NEXT) | instid1(VALU_DEP_1)
	v_fma_f64 v[192:193], v[194:195], v[200:201], v[192:193]
	v_add_f64 v[30:31], v[30:31], -v[192:193]
	ds_load_2addr_b64 v[192:195], v202 offset0:82 offset1:83
	s_waitcnt lgkmcnt(0)
	v_mul_f64 v[132:133], v[194:195], v[134:135]
	s_delay_alu instid0(VALU_DEP_1) | instskip(SKIP_1) | instid1(VALU_DEP_2)
	v_fma_f64 v[132:133], v[192:193], v[200:201], -v[132:133]
	v_mul_f64 v[192:193], v[192:193], v[134:135]
	v_add_f64 v[24:25], v[24:25], -v[132:133]
	s_delay_alu instid0(VALU_DEP_2) | instskip(NEXT) | instid1(VALU_DEP_1)
	v_fma_f64 v[192:193], v[194:195], v[200:201], v[192:193]
	v_add_f64 v[26:27], v[26:27], -v[192:193]
	ds_load_2addr_b64 v[192:195], v202 offset0:84 offset1:85
	s_waitcnt lgkmcnt(0)
	v_mul_f64 v[132:133], v[194:195], v[134:135]
	s_delay_alu instid0(VALU_DEP_1) | instskip(SKIP_1) | instid1(VALU_DEP_2)
	v_fma_f64 v[132:133], v[192:193], v[200:201], -v[132:133]
	v_mul_f64 v[192:193], v[192:193], v[134:135]
	v_add_f64 v[20:21], v[20:21], -v[132:133]
	s_delay_alu instid0(VALU_DEP_2) | instskip(NEXT) | instid1(VALU_DEP_1)
	v_fma_f64 v[192:193], v[194:195], v[200:201], v[192:193]
	v_add_f64 v[22:23], v[22:23], -v[192:193]
	ds_load_2addr_b64 v[192:195], v202 offset0:86 offset1:87
	s_waitcnt lgkmcnt(0)
	v_mul_f64 v[132:133], v[194:195], v[134:135]
	s_delay_alu instid0(VALU_DEP_1) | instskip(SKIP_1) | instid1(VALU_DEP_2)
	v_fma_f64 v[132:133], v[192:193], v[200:201], -v[132:133]
	v_mul_f64 v[192:193], v[192:193], v[134:135]
	v_add_f64 v[16:17], v[16:17], -v[132:133]
	s_delay_alu instid0(VALU_DEP_2) | instskip(NEXT) | instid1(VALU_DEP_1)
	v_fma_f64 v[192:193], v[194:195], v[200:201], v[192:193]
	v_add_f64 v[18:19], v[18:19], -v[192:193]
	ds_load_2addr_b64 v[192:195], v202 offset0:88 offset1:89
	s_waitcnt lgkmcnt(0)
	v_mul_f64 v[132:133], v[194:195], v[134:135]
	s_delay_alu instid0(VALU_DEP_1) | instskip(SKIP_1) | instid1(VALU_DEP_2)
	v_fma_f64 v[132:133], v[192:193], v[200:201], -v[132:133]
	v_mul_f64 v[192:193], v[192:193], v[134:135]
	v_add_f64 v[12:13], v[12:13], -v[132:133]
	s_delay_alu instid0(VALU_DEP_2) | instskip(NEXT) | instid1(VALU_DEP_1)
	v_fma_f64 v[192:193], v[194:195], v[200:201], v[192:193]
	v_add_f64 v[14:15], v[14:15], -v[192:193]
	ds_load_2addr_b64 v[192:195], v202 offset0:90 offset1:91
	s_waitcnt lgkmcnt(0)
	v_mul_f64 v[132:133], v[194:195], v[134:135]
	s_delay_alu instid0(VALU_DEP_1) | instskip(SKIP_1) | instid1(VALU_DEP_2)
	v_fma_f64 v[132:133], v[192:193], v[200:201], -v[132:133]
	v_mul_f64 v[192:193], v[192:193], v[134:135]
	v_add_f64 v[8:9], v[8:9], -v[132:133]
	s_delay_alu instid0(VALU_DEP_2) | instskip(NEXT) | instid1(VALU_DEP_1)
	v_fma_f64 v[192:193], v[194:195], v[200:201], v[192:193]
	v_add_f64 v[10:11], v[10:11], -v[192:193]
	ds_load_2addr_b64 v[192:195], v202 offset0:92 offset1:93
	s_waitcnt lgkmcnt(0)
	v_mul_f64 v[132:133], v[194:195], v[134:135]
	s_delay_alu instid0(VALU_DEP_1) | instskip(SKIP_1) | instid1(VALU_DEP_2)
	v_fma_f64 v[132:133], v[192:193], v[200:201], -v[132:133]
	v_mul_f64 v[192:193], v[192:193], v[134:135]
	v_add_f64 v[4:5], v[4:5], -v[132:133]
	s_delay_alu instid0(VALU_DEP_2) | instskip(NEXT) | instid1(VALU_DEP_1)
	v_fma_f64 v[192:193], v[194:195], v[200:201], v[192:193]
	v_add_f64 v[6:7], v[6:7], -v[192:193]
	ds_load_2addr_b64 v[192:195], v202 offset0:94 offset1:95
	s_waitcnt lgkmcnt(0)
	v_mul_f64 v[132:133], v[194:195], v[134:135]
	s_delay_alu instid0(VALU_DEP_1) | instskip(SKIP_1) | instid1(VALU_DEP_2)
	v_fma_f64 v[132:133], v[192:193], v[200:201], -v[132:133]
	v_mul_f64 v[192:193], v[192:193], v[134:135]
	v_add_f64 v[0:1], v[0:1], -v[132:133]
	s_delay_alu instid0(VALU_DEP_2) | instskip(SKIP_1) | instid1(VALU_DEP_2)
	v_fma_f64 v[192:193], v[194:195], v[200:201], v[192:193]
	v_dual_mov_b32 v132, v200 :: v_dual_mov_b32 v133, v201
	v_add_f64 v[2:3], v[2:3], -v[192:193]
.LBB94_314:
	s_or_b32 exec_lo, exec_lo, s2
	v_lshl_add_u32 v192, v208, 4, v202
	s_barrier
	buffer_gl0_inv
	v_mov_b32_e32 v200, 15
	ds_store_2addr_b64 v192, v[128:129], v[130:131] offset1:1
	s_waitcnt lgkmcnt(0)
	s_barrier
	buffer_gl0_inv
	ds_load_2addr_b64 v[192:195], v202 offset0:30 offset1:31
	s_cmp_lt_i32 s5, 17
	s_cbranch_scc1 .LBB94_317
; %bb.315:
	v_add3_u32 v201, v207, 0, 0x100
	v_mov_b32_e32 v200, 15
	s_mov_b32 s6, 16
	s_set_inst_prefetch_distance 0x1
	.p2align	6
.LBB94_316:                             ; =>This Inner Loop Header: Depth=1
	ds_load_2addr_b64 v[209:212], v201 offset1:1
	s_waitcnt lgkmcnt(1)
	v_cmp_gt_f64_e32 vcc_lo, 0, v[192:193]
	v_xor_b32_e32 v213, 0x80000000, v193
	v_cmp_gt_f64_e64 s2, 0, v[194:195]
	v_xor_b32_e32 v215, 0x80000000, v195
	v_add_nc_u32_e32 v201, 16, v201
	s_waitcnt lgkmcnt(0)
	v_cmp_gt_f64_e64 s3, 0, v[209:210]
	v_mov_b32_e32 v217, v209
	v_dual_mov_b32 v219, v211 :: v_dual_cndmask_b32 v214, v193, v213
	v_xor_b32_e32 v213, 0x80000000, v210
	v_cndmask_b32_e64 v216, v195, v215, s2
	v_xor_b32_e32 v215, 0x80000000, v212
	s_delay_alu instid0(VALU_DEP_3) | instskip(SKIP_2) | instid1(VALU_DEP_2)
	v_cndmask_b32_e64 v218, v210, v213, s3
	v_cmp_gt_f64_e64 s3, 0, v[211:212]
	v_cndmask_b32_e32 v213, v192, v192, vcc_lo
	v_cndmask_b32_e64 v220, v212, v215, s3
	v_cndmask_b32_e64 v215, v194, v194, s2
	s_delay_alu instid0(VALU_DEP_2) | instskip(NEXT) | instid1(VALU_DEP_2)
	v_add_f64 v[217:218], v[217:218], v[219:220]
	v_add_f64 v[213:214], v[213:214], v[215:216]
	s_delay_alu instid0(VALU_DEP_1) | instskip(SKIP_4) | instid1(SALU_CYCLE_1)
	v_cmp_lt_f64_e32 vcc_lo, v[213:214], v[217:218]
	v_dual_cndmask_b32 v194, v194, v211 :: v_dual_cndmask_b32 v193, v193, v210
	v_dual_cndmask_b32 v192, v192, v209 :: v_dual_cndmask_b32 v195, v195, v212
	v_cndmask_b32_e64 v200, v200, s6, vcc_lo
	s_add_i32 s6, s6, 1
	s_cmp_lg_u32 s5, s6
	s_cbranch_scc1 .LBB94_316
.LBB94_317:
	s_set_inst_prefetch_distance 0x2
	s_waitcnt lgkmcnt(0)
	v_cmp_eq_f64_e32 vcc_lo, 0, v[192:193]
	v_cmp_eq_f64_e64 s2, 0, v[194:195]
	s_delay_alu instid0(VALU_DEP_1) | instskip(NEXT) | instid1(SALU_CYCLE_1)
	s_and_b32 s2, vcc_lo, s2
	s_and_saveexec_b32 s3, s2
	s_delay_alu instid0(SALU_CYCLE_1)
	s_xor_b32 s2, exec_lo, s3
; %bb.318:
	v_cmp_ne_u32_e32 vcc_lo, 0, v205
	v_cndmask_b32_e32 v205, 16, v205, vcc_lo
; %bb.319:
	s_and_not1_saveexec_b32 s3, s2
	s_cbranch_execz .LBB94_325
; %bb.320:
	v_cmp_gt_f64_e32 vcc_lo, 0, v[192:193]
	v_cmp_gt_f64_e64 s2, 0, v[194:195]
	v_xor_b32_e32 v201, 0x80000000, v193
	v_xor_b32_e32 v209, 0x80000000, v195
	s_delay_alu instid0(VALU_DEP_2) | instskip(NEXT) | instid1(VALU_DEP_2)
	v_cndmask_b32_e32 v210, v193, v201, vcc_lo
	v_cndmask_b32_e64 v212, v195, v209, s2
	v_cndmask_b32_e32 v209, v192, v192, vcc_lo
	v_cndmask_b32_e64 v211, v194, v194, s2
	s_mov_b32 s2, exec_lo
	s_delay_alu instid0(VALU_DEP_1)
	v_cmpx_ngt_f64_e32 v[209:210], v[211:212]
	s_xor_b32 s2, exec_lo, s2
	s_cbranch_execz .LBB94_322
; %bb.321:
	v_div_scale_f64 v[209:210], null, v[194:195], v[194:195], v[192:193]
	v_div_scale_f64 v[215:216], vcc_lo, v[192:193], v[194:195], v[192:193]
	s_delay_alu instid0(VALU_DEP_2) | instskip(SKIP_2) | instid1(VALU_DEP_1)
	v_rcp_f64_e32 v[211:212], v[209:210]
	s_waitcnt_depctr 0xfff
	v_fma_f64 v[213:214], -v[209:210], v[211:212], 1.0
	v_fma_f64 v[211:212], v[211:212], v[213:214], v[211:212]
	s_delay_alu instid0(VALU_DEP_1) | instskip(NEXT) | instid1(VALU_DEP_1)
	v_fma_f64 v[213:214], -v[209:210], v[211:212], 1.0
	v_fma_f64 v[211:212], v[211:212], v[213:214], v[211:212]
	s_delay_alu instid0(VALU_DEP_1) | instskip(NEXT) | instid1(VALU_DEP_1)
	v_mul_f64 v[213:214], v[215:216], v[211:212]
	v_fma_f64 v[209:210], -v[209:210], v[213:214], v[215:216]
	s_delay_alu instid0(VALU_DEP_1) | instskip(NEXT) | instid1(VALU_DEP_1)
	v_div_fmas_f64 v[209:210], v[209:210], v[211:212], v[213:214]
	v_div_fixup_f64 v[209:210], v[209:210], v[194:195], v[192:193]
	s_delay_alu instid0(VALU_DEP_1) | instskip(NEXT) | instid1(VALU_DEP_1)
	v_fma_f64 v[192:193], v[192:193], v[209:210], v[194:195]
	v_div_scale_f64 v[194:195], null, v[192:193], v[192:193], 1.0
	s_delay_alu instid0(VALU_DEP_1) | instskip(SKIP_2) | instid1(VALU_DEP_1)
	v_rcp_f64_e32 v[211:212], v[194:195]
	s_waitcnt_depctr 0xfff
	v_fma_f64 v[213:214], -v[194:195], v[211:212], 1.0
	v_fma_f64 v[211:212], v[211:212], v[213:214], v[211:212]
	s_delay_alu instid0(VALU_DEP_1) | instskip(NEXT) | instid1(VALU_DEP_1)
	v_fma_f64 v[213:214], -v[194:195], v[211:212], 1.0
	v_fma_f64 v[211:212], v[211:212], v[213:214], v[211:212]
	v_div_scale_f64 v[213:214], vcc_lo, 1.0, v[192:193], 1.0
	s_delay_alu instid0(VALU_DEP_1) | instskip(NEXT) | instid1(VALU_DEP_1)
	v_mul_f64 v[215:216], v[213:214], v[211:212]
	v_fma_f64 v[194:195], -v[194:195], v[215:216], v[213:214]
	s_delay_alu instid0(VALU_DEP_1) | instskip(NEXT) | instid1(VALU_DEP_1)
	v_div_fmas_f64 v[194:195], v[194:195], v[211:212], v[215:216]
	v_div_fixup_f64 v[194:195], v[194:195], v[192:193], 1.0
	s_delay_alu instid0(VALU_DEP_1)
	v_mul_f64 v[192:193], v[209:210], v[194:195]
	v_xor_b32_e32 v195, 0x80000000, v195
.LBB94_322:
	s_and_not1_saveexec_b32 s2, s2
	s_cbranch_execz .LBB94_324
; %bb.323:
	s_delay_alu instid0(VALU_DEP_1) | instskip(SKIP_1) | instid1(VALU_DEP_2)
	v_div_scale_f64 v[209:210], null, v[192:193], v[192:193], v[194:195]
	v_div_scale_f64 v[215:216], vcc_lo, v[194:195], v[192:193], v[194:195]
	v_rcp_f64_e32 v[211:212], v[209:210]
	s_waitcnt_depctr 0xfff
	v_fma_f64 v[213:214], -v[209:210], v[211:212], 1.0
	s_delay_alu instid0(VALU_DEP_1) | instskip(NEXT) | instid1(VALU_DEP_1)
	v_fma_f64 v[211:212], v[211:212], v[213:214], v[211:212]
	v_fma_f64 v[213:214], -v[209:210], v[211:212], 1.0
	s_delay_alu instid0(VALU_DEP_1) | instskip(NEXT) | instid1(VALU_DEP_1)
	v_fma_f64 v[211:212], v[211:212], v[213:214], v[211:212]
	v_mul_f64 v[213:214], v[215:216], v[211:212]
	s_delay_alu instid0(VALU_DEP_1) | instskip(NEXT) | instid1(VALU_DEP_1)
	v_fma_f64 v[209:210], -v[209:210], v[213:214], v[215:216]
	v_div_fmas_f64 v[209:210], v[209:210], v[211:212], v[213:214]
	s_delay_alu instid0(VALU_DEP_1) | instskip(NEXT) | instid1(VALU_DEP_1)
	v_div_fixup_f64 v[209:210], v[209:210], v[192:193], v[194:195]
	v_fma_f64 v[192:193], v[194:195], v[209:210], v[192:193]
	s_delay_alu instid0(VALU_DEP_1) | instskip(NEXT) | instid1(VALU_DEP_1)
	v_div_scale_f64 v[194:195], null, v[192:193], v[192:193], 1.0
	v_rcp_f64_e32 v[211:212], v[194:195]
	s_waitcnt_depctr 0xfff
	v_fma_f64 v[213:214], -v[194:195], v[211:212], 1.0
	s_delay_alu instid0(VALU_DEP_1) | instskip(NEXT) | instid1(VALU_DEP_1)
	v_fma_f64 v[211:212], v[211:212], v[213:214], v[211:212]
	v_fma_f64 v[213:214], -v[194:195], v[211:212], 1.0
	s_delay_alu instid0(VALU_DEP_1) | instskip(SKIP_1) | instid1(VALU_DEP_1)
	v_fma_f64 v[211:212], v[211:212], v[213:214], v[211:212]
	v_div_scale_f64 v[213:214], vcc_lo, 1.0, v[192:193], 1.0
	v_mul_f64 v[215:216], v[213:214], v[211:212]
	s_delay_alu instid0(VALU_DEP_1) | instskip(NEXT) | instid1(VALU_DEP_1)
	v_fma_f64 v[194:195], -v[194:195], v[215:216], v[213:214]
	v_div_fmas_f64 v[194:195], v[194:195], v[211:212], v[215:216]
	s_delay_alu instid0(VALU_DEP_1) | instskip(NEXT) | instid1(VALU_DEP_1)
	v_div_fixup_f64 v[192:193], v[194:195], v[192:193], 1.0
	v_mul_f64 v[194:195], v[209:210], -v[192:193]
.LBB94_324:
	s_or_b32 exec_lo, exec_lo, s2
.LBB94_325:
	s_delay_alu instid0(SALU_CYCLE_1) | instskip(NEXT) | instid1(SALU_CYCLE_1)
	s_or_b32 exec_lo, exec_lo, s3
	s_mov_b32 s2, exec_lo
	v_cmpx_ne_u32_e64 v208, v200
	s_xor_b32 s2, exec_lo, s2
	s_cbranch_execz .LBB94_331
; %bb.326:
	s_mov_b32 s3, exec_lo
	v_cmpx_eq_u32_e32 15, v208
	s_cbranch_execz .LBB94_330
; %bb.327:
	v_cmp_ne_u32_e32 vcc_lo, 15, v200
	s_xor_b32 s6, s4, -1
	s_delay_alu instid0(SALU_CYCLE_1) | instskip(NEXT) | instid1(SALU_CYCLE_1)
	s_and_b32 s7, s6, vcc_lo
	s_and_saveexec_b32 s6, s7
	s_cbranch_execz .LBB94_329
; %bb.328:
	v_ashrrev_i32_e32 v201, 31, v200
	s_delay_alu instid0(VALU_DEP_1) | instskip(NEXT) | instid1(VALU_DEP_1)
	v_lshlrev_b64 v[208:209], 2, v[200:201]
	v_add_co_u32 v208, vcc_lo, v198, v208
	s_delay_alu instid0(VALU_DEP_2)
	v_add_co_ci_u32_e32 v209, vcc_lo, v199, v209, vcc_lo
	s_clause 0x1
	flat_load_b32 v201, v[208:209]
	flat_load_b32 v206, v[198:199] offset:60
	s_waitcnt vmcnt(1) lgkmcnt(1)
	flat_store_b32 v[198:199], v201 offset:60
	s_waitcnt vmcnt(0) lgkmcnt(1)
	flat_store_b32 v[208:209], v206
.LBB94_329:
	s_or_b32 exec_lo, exec_lo, s6
	v_mov_b32_e32 v208, v200
	v_mov_b32_e32 v206, v200
.LBB94_330:
	s_or_b32 exec_lo, exec_lo, s3
.LBB94_331:
	s_and_not1_saveexec_b32 s2, s2
	s_cbranch_execz .LBB94_333
; %bb.332:
	v_mov_b32_e32 v208, 15
	ds_store_2addr_b64 v202, v[124:125], v[126:127] offset0:32 offset1:33
	ds_store_2addr_b64 v202, v[120:121], v[122:123] offset0:34 offset1:35
	;; [unrolled: 1-line block ×32, first 2 shown]
.LBB94_333:
	s_or_b32 exec_lo, exec_lo, s2
	s_delay_alu instid0(SALU_CYCLE_1)
	s_mov_b32 s2, exec_lo
	s_waitcnt lgkmcnt(0)
	s_waitcnt_vscnt null, 0x0
	s_barrier
	buffer_gl0_inv
	v_cmpx_lt_i32_e32 15, v208
	s_cbranch_execz .LBB94_335
; %bb.334:
	v_mul_f64 v[200:201], v[194:195], v[130:131]
	v_mul_f64 v[130:131], v[192:193], v[130:131]
	s_delay_alu instid0(VALU_DEP_2) | instskip(NEXT) | instid1(VALU_DEP_2)
	v_fma_f64 v[200:201], v[192:193], v[128:129], -v[200:201]
	v_fma_f64 v[130:131], v[194:195], v[128:129], v[130:131]
	ds_load_2addr_b64 v[192:195], v202 offset0:32 offset1:33
	s_waitcnt lgkmcnt(0)
	v_mul_f64 v[128:129], v[194:195], v[130:131]
	s_delay_alu instid0(VALU_DEP_1) | instskip(SKIP_1) | instid1(VALU_DEP_2)
	v_fma_f64 v[128:129], v[192:193], v[200:201], -v[128:129]
	v_mul_f64 v[192:193], v[192:193], v[130:131]
	v_add_f64 v[124:125], v[124:125], -v[128:129]
	s_delay_alu instid0(VALU_DEP_2) | instskip(NEXT) | instid1(VALU_DEP_1)
	v_fma_f64 v[192:193], v[194:195], v[200:201], v[192:193]
	v_add_f64 v[126:127], v[126:127], -v[192:193]
	ds_load_2addr_b64 v[192:195], v202 offset0:34 offset1:35
	s_waitcnt lgkmcnt(0)
	v_mul_f64 v[128:129], v[194:195], v[130:131]
	s_delay_alu instid0(VALU_DEP_1) | instskip(SKIP_1) | instid1(VALU_DEP_2)
	v_fma_f64 v[128:129], v[192:193], v[200:201], -v[128:129]
	v_mul_f64 v[192:193], v[192:193], v[130:131]
	v_add_f64 v[120:121], v[120:121], -v[128:129]
	s_delay_alu instid0(VALU_DEP_2) | instskip(NEXT) | instid1(VALU_DEP_1)
	v_fma_f64 v[192:193], v[194:195], v[200:201], v[192:193]
	v_add_f64 v[122:123], v[122:123], -v[192:193]
	;; [unrolled: 10-line block ×31, first 2 shown]
	ds_load_2addr_b64 v[192:195], v202 offset0:94 offset1:95
	s_waitcnt lgkmcnt(0)
	v_mul_f64 v[128:129], v[194:195], v[130:131]
	s_delay_alu instid0(VALU_DEP_1) | instskip(SKIP_1) | instid1(VALU_DEP_2)
	v_fma_f64 v[128:129], v[192:193], v[200:201], -v[128:129]
	v_mul_f64 v[192:193], v[192:193], v[130:131]
	v_add_f64 v[0:1], v[0:1], -v[128:129]
	s_delay_alu instid0(VALU_DEP_2) | instskip(SKIP_1) | instid1(VALU_DEP_2)
	v_fma_f64 v[192:193], v[194:195], v[200:201], v[192:193]
	v_dual_mov_b32 v128, v200 :: v_dual_mov_b32 v129, v201
	v_add_f64 v[2:3], v[2:3], -v[192:193]
.LBB94_335:
	s_or_b32 exec_lo, exec_lo, s2
	v_lshl_add_u32 v192, v208, 4, v202
	s_barrier
	buffer_gl0_inv
	v_mov_b32_e32 v200, 16
	ds_store_2addr_b64 v192, v[124:125], v[126:127] offset1:1
	s_waitcnt lgkmcnt(0)
	s_barrier
	buffer_gl0_inv
	ds_load_2addr_b64 v[192:195], v202 offset0:32 offset1:33
	s_cmp_lt_i32 s5, 18
	s_cbranch_scc1 .LBB94_338
; %bb.336:
	v_add3_u32 v201, v207, 0, 0x110
	v_mov_b32_e32 v200, 16
	s_mov_b32 s6, 17
	s_set_inst_prefetch_distance 0x1
	.p2align	6
.LBB94_337:                             ; =>This Inner Loop Header: Depth=1
	ds_load_2addr_b64 v[209:212], v201 offset1:1
	s_waitcnt lgkmcnt(1)
	v_cmp_gt_f64_e32 vcc_lo, 0, v[192:193]
	v_xor_b32_e32 v213, 0x80000000, v193
	v_cmp_gt_f64_e64 s2, 0, v[194:195]
	v_xor_b32_e32 v215, 0x80000000, v195
	v_add_nc_u32_e32 v201, 16, v201
	s_waitcnt lgkmcnt(0)
	v_cmp_gt_f64_e64 s3, 0, v[209:210]
	v_mov_b32_e32 v217, v209
	v_dual_mov_b32 v219, v211 :: v_dual_cndmask_b32 v214, v193, v213
	v_xor_b32_e32 v213, 0x80000000, v210
	v_cndmask_b32_e64 v216, v195, v215, s2
	v_xor_b32_e32 v215, 0x80000000, v212
	s_delay_alu instid0(VALU_DEP_3) | instskip(SKIP_2) | instid1(VALU_DEP_2)
	v_cndmask_b32_e64 v218, v210, v213, s3
	v_cmp_gt_f64_e64 s3, 0, v[211:212]
	v_cndmask_b32_e32 v213, v192, v192, vcc_lo
	v_cndmask_b32_e64 v220, v212, v215, s3
	v_cndmask_b32_e64 v215, v194, v194, s2
	s_delay_alu instid0(VALU_DEP_2) | instskip(NEXT) | instid1(VALU_DEP_2)
	v_add_f64 v[217:218], v[217:218], v[219:220]
	v_add_f64 v[213:214], v[213:214], v[215:216]
	s_delay_alu instid0(VALU_DEP_1) | instskip(SKIP_4) | instid1(SALU_CYCLE_1)
	v_cmp_lt_f64_e32 vcc_lo, v[213:214], v[217:218]
	v_dual_cndmask_b32 v194, v194, v211 :: v_dual_cndmask_b32 v193, v193, v210
	v_dual_cndmask_b32 v192, v192, v209 :: v_dual_cndmask_b32 v195, v195, v212
	v_cndmask_b32_e64 v200, v200, s6, vcc_lo
	s_add_i32 s6, s6, 1
	s_cmp_lg_u32 s5, s6
	s_cbranch_scc1 .LBB94_337
.LBB94_338:
	s_set_inst_prefetch_distance 0x2
	s_waitcnt lgkmcnt(0)
	v_cmp_eq_f64_e32 vcc_lo, 0, v[192:193]
	v_cmp_eq_f64_e64 s2, 0, v[194:195]
	s_delay_alu instid0(VALU_DEP_1) | instskip(NEXT) | instid1(SALU_CYCLE_1)
	s_and_b32 s2, vcc_lo, s2
	s_and_saveexec_b32 s3, s2
	s_delay_alu instid0(SALU_CYCLE_1)
	s_xor_b32 s2, exec_lo, s3
; %bb.339:
	v_cmp_ne_u32_e32 vcc_lo, 0, v205
	v_cndmask_b32_e32 v205, 17, v205, vcc_lo
; %bb.340:
	s_and_not1_saveexec_b32 s3, s2
	s_cbranch_execz .LBB94_346
; %bb.341:
	v_cmp_gt_f64_e32 vcc_lo, 0, v[192:193]
	v_cmp_gt_f64_e64 s2, 0, v[194:195]
	v_xor_b32_e32 v201, 0x80000000, v193
	v_xor_b32_e32 v209, 0x80000000, v195
	s_delay_alu instid0(VALU_DEP_2) | instskip(NEXT) | instid1(VALU_DEP_2)
	v_cndmask_b32_e32 v210, v193, v201, vcc_lo
	v_cndmask_b32_e64 v212, v195, v209, s2
	v_cndmask_b32_e32 v209, v192, v192, vcc_lo
	v_cndmask_b32_e64 v211, v194, v194, s2
	s_mov_b32 s2, exec_lo
	s_delay_alu instid0(VALU_DEP_1)
	v_cmpx_ngt_f64_e32 v[209:210], v[211:212]
	s_xor_b32 s2, exec_lo, s2
	s_cbranch_execz .LBB94_343
; %bb.342:
	v_div_scale_f64 v[209:210], null, v[194:195], v[194:195], v[192:193]
	v_div_scale_f64 v[215:216], vcc_lo, v[192:193], v[194:195], v[192:193]
	s_delay_alu instid0(VALU_DEP_2) | instskip(SKIP_2) | instid1(VALU_DEP_1)
	v_rcp_f64_e32 v[211:212], v[209:210]
	s_waitcnt_depctr 0xfff
	v_fma_f64 v[213:214], -v[209:210], v[211:212], 1.0
	v_fma_f64 v[211:212], v[211:212], v[213:214], v[211:212]
	s_delay_alu instid0(VALU_DEP_1) | instskip(NEXT) | instid1(VALU_DEP_1)
	v_fma_f64 v[213:214], -v[209:210], v[211:212], 1.0
	v_fma_f64 v[211:212], v[211:212], v[213:214], v[211:212]
	s_delay_alu instid0(VALU_DEP_1) | instskip(NEXT) | instid1(VALU_DEP_1)
	v_mul_f64 v[213:214], v[215:216], v[211:212]
	v_fma_f64 v[209:210], -v[209:210], v[213:214], v[215:216]
	s_delay_alu instid0(VALU_DEP_1) | instskip(NEXT) | instid1(VALU_DEP_1)
	v_div_fmas_f64 v[209:210], v[209:210], v[211:212], v[213:214]
	v_div_fixup_f64 v[209:210], v[209:210], v[194:195], v[192:193]
	s_delay_alu instid0(VALU_DEP_1) | instskip(NEXT) | instid1(VALU_DEP_1)
	v_fma_f64 v[192:193], v[192:193], v[209:210], v[194:195]
	v_div_scale_f64 v[194:195], null, v[192:193], v[192:193], 1.0
	s_delay_alu instid0(VALU_DEP_1) | instskip(SKIP_2) | instid1(VALU_DEP_1)
	v_rcp_f64_e32 v[211:212], v[194:195]
	s_waitcnt_depctr 0xfff
	v_fma_f64 v[213:214], -v[194:195], v[211:212], 1.0
	v_fma_f64 v[211:212], v[211:212], v[213:214], v[211:212]
	s_delay_alu instid0(VALU_DEP_1) | instskip(NEXT) | instid1(VALU_DEP_1)
	v_fma_f64 v[213:214], -v[194:195], v[211:212], 1.0
	v_fma_f64 v[211:212], v[211:212], v[213:214], v[211:212]
	v_div_scale_f64 v[213:214], vcc_lo, 1.0, v[192:193], 1.0
	s_delay_alu instid0(VALU_DEP_1) | instskip(NEXT) | instid1(VALU_DEP_1)
	v_mul_f64 v[215:216], v[213:214], v[211:212]
	v_fma_f64 v[194:195], -v[194:195], v[215:216], v[213:214]
	s_delay_alu instid0(VALU_DEP_1) | instskip(NEXT) | instid1(VALU_DEP_1)
	v_div_fmas_f64 v[194:195], v[194:195], v[211:212], v[215:216]
	v_div_fixup_f64 v[194:195], v[194:195], v[192:193], 1.0
	s_delay_alu instid0(VALU_DEP_1)
	v_mul_f64 v[192:193], v[209:210], v[194:195]
	v_xor_b32_e32 v195, 0x80000000, v195
.LBB94_343:
	s_and_not1_saveexec_b32 s2, s2
	s_cbranch_execz .LBB94_345
; %bb.344:
	s_delay_alu instid0(VALU_DEP_1) | instskip(SKIP_1) | instid1(VALU_DEP_2)
	v_div_scale_f64 v[209:210], null, v[192:193], v[192:193], v[194:195]
	v_div_scale_f64 v[215:216], vcc_lo, v[194:195], v[192:193], v[194:195]
	v_rcp_f64_e32 v[211:212], v[209:210]
	s_waitcnt_depctr 0xfff
	v_fma_f64 v[213:214], -v[209:210], v[211:212], 1.0
	s_delay_alu instid0(VALU_DEP_1) | instskip(NEXT) | instid1(VALU_DEP_1)
	v_fma_f64 v[211:212], v[211:212], v[213:214], v[211:212]
	v_fma_f64 v[213:214], -v[209:210], v[211:212], 1.0
	s_delay_alu instid0(VALU_DEP_1) | instskip(NEXT) | instid1(VALU_DEP_1)
	v_fma_f64 v[211:212], v[211:212], v[213:214], v[211:212]
	v_mul_f64 v[213:214], v[215:216], v[211:212]
	s_delay_alu instid0(VALU_DEP_1) | instskip(NEXT) | instid1(VALU_DEP_1)
	v_fma_f64 v[209:210], -v[209:210], v[213:214], v[215:216]
	v_div_fmas_f64 v[209:210], v[209:210], v[211:212], v[213:214]
	s_delay_alu instid0(VALU_DEP_1) | instskip(NEXT) | instid1(VALU_DEP_1)
	v_div_fixup_f64 v[209:210], v[209:210], v[192:193], v[194:195]
	v_fma_f64 v[192:193], v[194:195], v[209:210], v[192:193]
	s_delay_alu instid0(VALU_DEP_1) | instskip(NEXT) | instid1(VALU_DEP_1)
	v_div_scale_f64 v[194:195], null, v[192:193], v[192:193], 1.0
	v_rcp_f64_e32 v[211:212], v[194:195]
	s_waitcnt_depctr 0xfff
	v_fma_f64 v[213:214], -v[194:195], v[211:212], 1.0
	s_delay_alu instid0(VALU_DEP_1) | instskip(NEXT) | instid1(VALU_DEP_1)
	v_fma_f64 v[211:212], v[211:212], v[213:214], v[211:212]
	v_fma_f64 v[213:214], -v[194:195], v[211:212], 1.0
	s_delay_alu instid0(VALU_DEP_1) | instskip(SKIP_1) | instid1(VALU_DEP_1)
	v_fma_f64 v[211:212], v[211:212], v[213:214], v[211:212]
	v_div_scale_f64 v[213:214], vcc_lo, 1.0, v[192:193], 1.0
	v_mul_f64 v[215:216], v[213:214], v[211:212]
	s_delay_alu instid0(VALU_DEP_1) | instskip(NEXT) | instid1(VALU_DEP_1)
	v_fma_f64 v[194:195], -v[194:195], v[215:216], v[213:214]
	v_div_fmas_f64 v[194:195], v[194:195], v[211:212], v[215:216]
	s_delay_alu instid0(VALU_DEP_1) | instskip(NEXT) | instid1(VALU_DEP_1)
	v_div_fixup_f64 v[192:193], v[194:195], v[192:193], 1.0
	v_mul_f64 v[194:195], v[209:210], -v[192:193]
.LBB94_345:
	s_or_b32 exec_lo, exec_lo, s2
.LBB94_346:
	s_delay_alu instid0(SALU_CYCLE_1) | instskip(NEXT) | instid1(SALU_CYCLE_1)
	s_or_b32 exec_lo, exec_lo, s3
	s_mov_b32 s2, exec_lo
	v_cmpx_ne_u32_e64 v208, v200
	s_xor_b32 s2, exec_lo, s2
	s_cbranch_execz .LBB94_352
; %bb.347:
	s_mov_b32 s3, exec_lo
	v_cmpx_eq_u32_e32 16, v208
	s_cbranch_execz .LBB94_351
; %bb.348:
	v_cmp_ne_u32_e32 vcc_lo, 16, v200
	s_xor_b32 s6, s4, -1
	s_delay_alu instid0(SALU_CYCLE_1) | instskip(NEXT) | instid1(SALU_CYCLE_1)
	s_and_b32 s7, s6, vcc_lo
	s_and_saveexec_b32 s6, s7
	s_cbranch_execz .LBB94_350
; %bb.349:
	v_ashrrev_i32_e32 v201, 31, v200
	s_delay_alu instid0(VALU_DEP_1) | instskip(NEXT) | instid1(VALU_DEP_1)
	v_lshlrev_b64 v[208:209], 2, v[200:201]
	v_add_co_u32 v208, vcc_lo, v198, v208
	s_delay_alu instid0(VALU_DEP_2)
	v_add_co_ci_u32_e32 v209, vcc_lo, v199, v209, vcc_lo
	s_clause 0x1
	flat_load_b32 v201, v[208:209]
	flat_load_b32 v206, v[198:199] offset:64
	s_waitcnt vmcnt(1) lgkmcnt(1)
	flat_store_b32 v[198:199], v201 offset:64
	s_waitcnt vmcnt(0) lgkmcnt(1)
	flat_store_b32 v[208:209], v206
.LBB94_350:
	s_or_b32 exec_lo, exec_lo, s6
	v_mov_b32_e32 v208, v200
	v_mov_b32_e32 v206, v200
.LBB94_351:
	s_or_b32 exec_lo, exec_lo, s3
.LBB94_352:
	s_and_not1_saveexec_b32 s2, s2
	s_cbranch_execz .LBB94_354
; %bb.353:
	v_mov_b32_e32 v208, 16
	ds_store_2addr_b64 v202, v[120:121], v[122:123] offset0:34 offset1:35
	ds_store_2addr_b64 v202, v[116:117], v[118:119] offset0:36 offset1:37
	;; [unrolled: 1-line block ×31, first 2 shown]
.LBB94_354:
	s_or_b32 exec_lo, exec_lo, s2
	s_delay_alu instid0(SALU_CYCLE_1)
	s_mov_b32 s2, exec_lo
	s_waitcnt lgkmcnt(0)
	s_waitcnt_vscnt null, 0x0
	s_barrier
	buffer_gl0_inv
	v_cmpx_lt_i32_e32 16, v208
	s_cbranch_execz .LBB94_356
; %bb.355:
	v_mul_f64 v[200:201], v[194:195], v[126:127]
	v_mul_f64 v[126:127], v[192:193], v[126:127]
	s_delay_alu instid0(VALU_DEP_2) | instskip(NEXT) | instid1(VALU_DEP_2)
	v_fma_f64 v[200:201], v[192:193], v[124:125], -v[200:201]
	v_fma_f64 v[126:127], v[194:195], v[124:125], v[126:127]
	ds_load_2addr_b64 v[192:195], v202 offset0:34 offset1:35
	s_waitcnt lgkmcnt(0)
	v_mul_f64 v[124:125], v[194:195], v[126:127]
	s_delay_alu instid0(VALU_DEP_1) | instskip(SKIP_1) | instid1(VALU_DEP_2)
	v_fma_f64 v[124:125], v[192:193], v[200:201], -v[124:125]
	v_mul_f64 v[192:193], v[192:193], v[126:127]
	v_add_f64 v[120:121], v[120:121], -v[124:125]
	s_delay_alu instid0(VALU_DEP_2) | instskip(NEXT) | instid1(VALU_DEP_1)
	v_fma_f64 v[192:193], v[194:195], v[200:201], v[192:193]
	v_add_f64 v[122:123], v[122:123], -v[192:193]
	ds_load_2addr_b64 v[192:195], v202 offset0:36 offset1:37
	s_waitcnt lgkmcnt(0)
	v_mul_f64 v[124:125], v[194:195], v[126:127]
	s_delay_alu instid0(VALU_DEP_1) | instskip(SKIP_1) | instid1(VALU_DEP_2)
	v_fma_f64 v[124:125], v[192:193], v[200:201], -v[124:125]
	v_mul_f64 v[192:193], v[192:193], v[126:127]
	v_add_f64 v[116:117], v[116:117], -v[124:125]
	s_delay_alu instid0(VALU_DEP_2) | instskip(NEXT) | instid1(VALU_DEP_1)
	v_fma_f64 v[192:193], v[194:195], v[200:201], v[192:193]
	v_add_f64 v[118:119], v[118:119], -v[192:193]
	;; [unrolled: 10-line block ×30, first 2 shown]
	ds_load_2addr_b64 v[192:195], v202 offset0:94 offset1:95
	s_waitcnt lgkmcnt(0)
	v_mul_f64 v[124:125], v[194:195], v[126:127]
	s_delay_alu instid0(VALU_DEP_1) | instskip(SKIP_1) | instid1(VALU_DEP_2)
	v_fma_f64 v[124:125], v[192:193], v[200:201], -v[124:125]
	v_mul_f64 v[192:193], v[192:193], v[126:127]
	v_add_f64 v[0:1], v[0:1], -v[124:125]
	s_delay_alu instid0(VALU_DEP_2) | instskip(SKIP_1) | instid1(VALU_DEP_2)
	v_fma_f64 v[192:193], v[194:195], v[200:201], v[192:193]
	v_dual_mov_b32 v124, v200 :: v_dual_mov_b32 v125, v201
	v_add_f64 v[2:3], v[2:3], -v[192:193]
.LBB94_356:
	s_or_b32 exec_lo, exec_lo, s2
	v_lshl_add_u32 v192, v208, 4, v202
	s_barrier
	buffer_gl0_inv
	v_mov_b32_e32 v200, 17
	ds_store_2addr_b64 v192, v[120:121], v[122:123] offset1:1
	s_waitcnt lgkmcnt(0)
	s_barrier
	buffer_gl0_inv
	ds_load_2addr_b64 v[192:195], v202 offset0:34 offset1:35
	s_cmp_lt_i32 s5, 19
	s_cbranch_scc1 .LBB94_359
; %bb.357:
	v_add3_u32 v201, v207, 0, 0x120
	v_mov_b32_e32 v200, 17
	s_mov_b32 s6, 18
	s_set_inst_prefetch_distance 0x1
	.p2align	6
.LBB94_358:                             ; =>This Inner Loop Header: Depth=1
	ds_load_2addr_b64 v[209:212], v201 offset1:1
	s_waitcnt lgkmcnt(1)
	v_cmp_gt_f64_e32 vcc_lo, 0, v[192:193]
	v_xor_b32_e32 v213, 0x80000000, v193
	v_cmp_gt_f64_e64 s2, 0, v[194:195]
	v_xor_b32_e32 v215, 0x80000000, v195
	v_add_nc_u32_e32 v201, 16, v201
	s_waitcnt lgkmcnt(0)
	v_cmp_gt_f64_e64 s3, 0, v[209:210]
	v_mov_b32_e32 v217, v209
	v_dual_mov_b32 v219, v211 :: v_dual_cndmask_b32 v214, v193, v213
	v_xor_b32_e32 v213, 0x80000000, v210
	v_cndmask_b32_e64 v216, v195, v215, s2
	v_xor_b32_e32 v215, 0x80000000, v212
	s_delay_alu instid0(VALU_DEP_3) | instskip(SKIP_2) | instid1(VALU_DEP_2)
	v_cndmask_b32_e64 v218, v210, v213, s3
	v_cmp_gt_f64_e64 s3, 0, v[211:212]
	v_cndmask_b32_e32 v213, v192, v192, vcc_lo
	v_cndmask_b32_e64 v220, v212, v215, s3
	v_cndmask_b32_e64 v215, v194, v194, s2
	s_delay_alu instid0(VALU_DEP_2) | instskip(NEXT) | instid1(VALU_DEP_2)
	v_add_f64 v[217:218], v[217:218], v[219:220]
	v_add_f64 v[213:214], v[213:214], v[215:216]
	s_delay_alu instid0(VALU_DEP_1) | instskip(SKIP_4) | instid1(SALU_CYCLE_1)
	v_cmp_lt_f64_e32 vcc_lo, v[213:214], v[217:218]
	v_dual_cndmask_b32 v194, v194, v211 :: v_dual_cndmask_b32 v193, v193, v210
	v_dual_cndmask_b32 v192, v192, v209 :: v_dual_cndmask_b32 v195, v195, v212
	v_cndmask_b32_e64 v200, v200, s6, vcc_lo
	s_add_i32 s6, s6, 1
	s_cmp_lg_u32 s5, s6
	s_cbranch_scc1 .LBB94_358
.LBB94_359:
	s_set_inst_prefetch_distance 0x2
	s_waitcnt lgkmcnt(0)
	v_cmp_eq_f64_e32 vcc_lo, 0, v[192:193]
	v_cmp_eq_f64_e64 s2, 0, v[194:195]
	s_delay_alu instid0(VALU_DEP_1) | instskip(NEXT) | instid1(SALU_CYCLE_1)
	s_and_b32 s2, vcc_lo, s2
	s_and_saveexec_b32 s3, s2
	s_delay_alu instid0(SALU_CYCLE_1)
	s_xor_b32 s2, exec_lo, s3
; %bb.360:
	v_cmp_ne_u32_e32 vcc_lo, 0, v205
	v_cndmask_b32_e32 v205, 18, v205, vcc_lo
; %bb.361:
	s_and_not1_saveexec_b32 s3, s2
	s_cbranch_execz .LBB94_367
; %bb.362:
	v_cmp_gt_f64_e32 vcc_lo, 0, v[192:193]
	v_cmp_gt_f64_e64 s2, 0, v[194:195]
	v_xor_b32_e32 v201, 0x80000000, v193
	v_xor_b32_e32 v209, 0x80000000, v195
	s_delay_alu instid0(VALU_DEP_2) | instskip(NEXT) | instid1(VALU_DEP_2)
	v_cndmask_b32_e32 v210, v193, v201, vcc_lo
	v_cndmask_b32_e64 v212, v195, v209, s2
	v_cndmask_b32_e32 v209, v192, v192, vcc_lo
	v_cndmask_b32_e64 v211, v194, v194, s2
	s_mov_b32 s2, exec_lo
	s_delay_alu instid0(VALU_DEP_1)
	v_cmpx_ngt_f64_e32 v[209:210], v[211:212]
	s_xor_b32 s2, exec_lo, s2
	s_cbranch_execz .LBB94_364
; %bb.363:
	v_div_scale_f64 v[209:210], null, v[194:195], v[194:195], v[192:193]
	v_div_scale_f64 v[215:216], vcc_lo, v[192:193], v[194:195], v[192:193]
	s_delay_alu instid0(VALU_DEP_2) | instskip(SKIP_2) | instid1(VALU_DEP_1)
	v_rcp_f64_e32 v[211:212], v[209:210]
	s_waitcnt_depctr 0xfff
	v_fma_f64 v[213:214], -v[209:210], v[211:212], 1.0
	v_fma_f64 v[211:212], v[211:212], v[213:214], v[211:212]
	s_delay_alu instid0(VALU_DEP_1) | instskip(NEXT) | instid1(VALU_DEP_1)
	v_fma_f64 v[213:214], -v[209:210], v[211:212], 1.0
	v_fma_f64 v[211:212], v[211:212], v[213:214], v[211:212]
	s_delay_alu instid0(VALU_DEP_1) | instskip(NEXT) | instid1(VALU_DEP_1)
	v_mul_f64 v[213:214], v[215:216], v[211:212]
	v_fma_f64 v[209:210], -v[209:210], v[213:214], v[215:216]
	s_delay_alu instid0(VALU_DEP_1) | instskip(NEXT) | instid1(VALU_DEP_1)
	v_div_fmas_f64 v[209:210], v[209:210], v[211:212], v[213:214]
	v_div_fixup_f64 v[209:210], v[209:210], v[194:195], v[192:193]
	s_delay_alu instid0(VALU_DEP_1) | instskip(NEXT) | instid1(VALU_DEP_1)
	v_fma_f64 v[192:193], v[192:193], v[209:210], v[194:195]
	v_div_scale_f64 v[194:195], null, v[192:193], v[192:193], 1.0
	s_delay_alu instid0(VALU_DEP_1) | instskip(SKIP_2) | instid1(VALU_DEP_1)
	v_rcp_f64_e32 v[211:212], v[194:195]
	s_waitcnt_depctr 0xfff
	v_fma_f64 v[213:214], -v[194:195], v[211:212], 1.0
	v_fma_f64 v[211:212], v[211:212], v[213:214], v[211:212]
	s_delay_alu instid0(VALU_DEP_1) | instskip(NEXT) | instid1(VALU_DEP_1)
	v_fma_f64 v[213:214], -v[194:195], v[211:212], 1.0
	v_fma_f64 v[211:212], v[211:212], v[213:214], v[211:212]
	v_div_scale_f64 v[213:214], vcc_lo, 1.0, v[192:193], 1.0
	s_delay_alu instid0(VALU_DEP_1) | instskip(NEXT) | instid1(VALU_DEP_1)
	v_mul_f64 v[215:216], v[213:214], v[211:212]
	v_fma_f64 v[194:195], -v[194:195], v[215:216], v[213:214]
	s_delay_alu instid0(VALU_DEP_1) | instskip(NEXT) | instid1(VALU_DEP_1)
	v_div_fmas_f64 v[194:195], v[194:195], v[211:212], v[215:216]
	v_div_fixup_f64 v[194:195], v[194:195], v[192:193], 1.0
	s_delay_alu instid0(VALU_DEP_1)
	v_mul_f64 v[192:193], v[209:210], v[194:195]
	v_xor_b32_e32 v195, 0x80000000, v195
.LBB94_364:
	s_and_not1_saveexec_b32 s2, s2
	s_cbranch_execz .LBB94_366
; %bb.365:
	s_delay_alu instid0(VALU_DEP_1) | instskip(SKIP_1) | instid1(VALU_DEP_2)
	v_div_scale_f64 v[209:210], null, v[192:193], v[192:193], v[194:195]
	v_div_scale_f64 v[215:216], vcc_lo, v[194:195], v[192:193], v[194:195]
	v_rcp_f64_e32 v[211:212], v[209:210]
	s_waitcnt_depctr 0xfff
	v_fma_f64 v[213:214], -v[209:210], v[211:212], 1.0
	s_delay_alu instid0(VALU_DEP_1) | instskip(NEXT) | instid1(VALU_DEP_1)
	v_fma_f64 v[211:212], v[211:212], v[213:214], v[211:212]
	v_fma_f64 v[213:214], -v[209:210], v[211:212], 1.0
	s_delay_alu instid0(VALU_DEP_1) | instskip(NEXT) | instid1(VALU_DEP_1)
	v_fma_f64 v[211:212], v[211:212], v[213:214], v[211:212]
	v_mul_f64 v[213:214], v[215:216], v[211:212]
	s_delay_alu instid0(VALU_DEP_1) | instskip(NEXT) | instid1(VALU_DEP_1)
	v_fma_f64 v[209:210], -v[209:210], v[213:214], v[215:216]
	v_div_fmas_f64 v[209:210], v[209:210], v[211:212], v[213:214]
	s_delay_alu instid0(VALU_DEP_1) | instskip(NEXT) | instid1(VALU_DEP_1)
	v_div_fixup_f64 v[209:210], v[209:210], v[192:193], v[194:195]
	v_fma_f64 v[192:193], v[194:195], v[209:210], v[192:193]
	s_delay_alu instid0(VALU_DEP_1) | instskip(NEXT) | instid1(VALU_DEP_1)
	v_div_scale_f64 v[194:195], null, v[192:193], v[192:193], 1.0
	v_rcp_f64_e32 v[211:212], v[194:195]
	s_waitcnt_depctr 0xfff
	v_fma_f64 v[213:214], -v[194:195], v[211:212], 1.0
	s_delay_alu instid0(VALU_DEP_1) | instskip(NEXT) | instid1(VALU_DEP_1)
	v_fma_f64 v[211:212], v[211:212], v[213:214], v[211:212]
	v_fma_f64 v[213:214], -v[194:195], v[211:212], 1.0
	s_delay_alu instid0(VALU_DEP_1) | instskip(SKIP_1) | instid1(VALU_DEP_1)
	v_fma_f64 v[211:212], v[211:212], v[213:214], v[211:212]
	v_div_scale_f64 v[213:214], vcc_lo, 1.0, v[192:193], 1.0
	v_mul_f64 v[215:216], v[213:214], v[211:212]
	s_delay_alu instid0(VALU_DEP_1) | instskip(NEXT) | instid1(VALU_DEP_1)
	v_fma_f64 v[194:195], -v[194:195], v[215:216], v[213:214]
	v_div_fmas_f64 v[194:195], v[194:195], v[211:212], v[215:216]
	s_delay_alu instid0(VALU_DEP_1) | instskip(NEXT) | instid1(VALU_DEP_1)
	v_div_fixup_f64 v[192:193], v[194:195], v[192:193], 1.0
	v_mul_f64 v[194:195], v[209:210], -v[192:193]
.LBB94_366:
	s_or_b32 exec_lo, exec_lo, s2
.LBB94_367:
	s_delay_alu instid0(SALU_CYCLE_1) | instskip(NEXT) | instid1(SALU_CYCLE_1)
	s_or_b32 exec_lo, exec_lo, s3
	s_mov_b32 s2, exec_lo
	v_cmpx_ne_u32_e64 v208, v200
	s_xor_b32 s2, exec_lo, s2
	s_cbranch_execz .LBB94_373
; %bb.368:
	s_mov_b32 s3, exec_lo
	v_cmpx_eq_u32_e32 17, v208
	s_cbranch_execz .LBB94_372
; %bb.369:
	v_cmp_ne_u32_e32 vcc_lo, 17, v200
	s_xor_b32 s6, s4, -1
	s_delay_alu instid0(SALU_CYCLE_1) | instskip(NEXT) | instid1(SALU_CYCLE_1)
	s_and_b32 s7, s6, vcc_lo
	s_and_saveexec_b32 s6, s7
	s_cbranch_execz .LBB94_371
; %bb.370:
	v_ashrrev_i32_e32 v201, 31, v200
	s_delay_alu instid0(VALU_DEP_1) | instskip(NEXT) | instid1(VALU_DEP_1)
	v_lshlrev_b64 v[208:209], 2, v[200:201]
	v_add_co_u32 v208, vcc_lo, v198, v208
	s_delay_alu instid0(VALU_DEP_2)
	v_add_co_ci_u32_e32 v209, vcc_lo, v199, v209, vcc_lo
	s_clause 0x1
	flat_load_b32 v201, v[208:209]
	flat_load_b32 v206, v[198:199] offset:68
	s_waitcnt vmcnt(1) lgkmcnt(1)
	flat_store_b32 v[198:199], v201 offset:68
	s_waitcnt vmcnt(0) lgkmcnt(1)
	flat_store_b32 v[208:209], v206
.LBB94_371:
	s_or_b32 exec_lo, exec_lo, s6
	v_mov_b32_e32 v208, v200
	v_mov_b32_e32 v206, v200
.LBB94_372:
	s_or_b32 exec_lo, exec_lo, s3
.LBB94_373:
	s_and_not1_saveexec_b32 s2, s2
	s_cbranch_execz .LBB94_375
; %bb.374:
	v_mov_b32_e32 v208, 17
	ds_store_2addr_b64 v202, v[116:117], v[118:119] offset0:36 offset1:37
	ds_store_2addr_b64 v202, v[112:113], v[114:115] offset0:38 offset1:39
	ds_store_2addr_b64 v202, v[108:109], v[110:111] offset0:40 offset1:41
	ds_store_2addr_b64 v202, v[104:105], v[106:107] offset0:42 offset1:43
	ds_store_2addr_b64 v202, v[100:101], v[102:103] offset0:44 offset1:45
	ds_store_2addr_b64 v202, v[96:97], v[98:99] offset0:46 offset1:47
	ds_store_2addr_b64 v202, v[92:93], v[94:95] offset0:48 offset1:49
	ds_store_2addr_b64 v202, v[88:89], v[90:91] offset0:50 offset1:51
	ds_store_2addr_b64 v202, v[84:85], v[86:87] offset0:52 offset1:53
	ds_store_2addr_b64 v202, v[80:81], v[82:83] offset0:54 offset1:55
	ds_store_2addr_b64 v202, v[76:77], v[78:79] offset0:56 offset1:57
	ds_store_2addr_b64 v202, v[72:73], v[74:75] offset0:58 offset1:59
	ds_store_2addr_b64 v202, v[68:69], v[70:71] offset0:60 offset1:61
	ds_store_2addr_b64 v202, v[64:65], v[66:67] offset0:62 offset1:63
	ds_store_2addr_b64 v202, v[60:61], v[62:63] offset0:64 offset1:65
	ds_store_2addr_b64 v202, v[56:57], v[58:59] offset0:66 offset1:67
	ds_store_2addr_b64 v202, v[52:53], v[54:55] offset0:68 offset1:69
	ds_store_2addr_b64 v202, v[48:49], v[50:51] offset0:70 offset1:71
	ds_store_2addr_b64 v202, v[44:45], v[46:47] offset0:72 offset1:73
	ds_store_2addr_b64 v202, v[40:41], v[42:43] offset0:74 offset1:75
	ds_store_2addr_b64 v202, v[36:37], v[38:39] offset0:76 offset1:77
	ds_store_2addr_b64 v202, v[32:33], v[34:35] offset0:78 offset1:79
	ds_store_2addr_b64 v202, v[28:29], v[30:31] offset0:80 offset1:81
	ds_store_2addr_b64 v202, v[24:25], v[26:27] offset0:82 offset1:83
	ds_store_2addr_b64 v202, v[20:21], v[22:23] offset0:84 offset1:85
	ds_store_2addr_b64 v202, v[16:17], v[18:19] offset0:86 offset1:87
	ds_store_2addr_b64 v202, v[12:13], v[14:15] offset0:88 offset1:89
	ds_store_2addr_b64 v202, v[8:9], v[10:11] offset0:90 offset1:91
	ds_store_2addr_b64 v202, v[4:5], v[6:7] offset0:92 offset1:93
	ds_store_2addr_b64 v202, v[0:1], v[2:3] offset0:94 offset1:95
.LBB94_375:
	s_or_b32 exec_lo, exec_lo, s2
	s_delay_alu instid0(SALU_CYCLE_1)
	s_mov_b32 s2, exec_lo
	s_waitcnt lgkmcnt(0)
	s_waitcnt_vscnt null, 0x0
	s_barrier
	buffer_gl0_inv
	v_cmpx_lt_i32_e32 17, v208
	s_cbranch_execz .LBB94_377
; %bb.376:
	v_mul_f64 v[200:201], v[194:195], v[122:123]
	v_mul_f64 v[122:123], v[192:193], v[122:123]
	s_delay_alu instid0(VALU_DEP_2) | instskip(NEXT) | instid1(VALU_DEP_2)
	v_fma_f64 v[200:201], v[192:193], v[120:121], -v[200:201]
	v_fma_f64 v[122:123], v[194:195], v[120:121], v[122:123]
	ds_load_2addr_b64 v[192:195], v202 offset0:36 offset1:37
	s_waitcnt lgkmcnt(0)
	v_mul_f64 v[120:121], v[194:195], v[122:123]
	s_delay_alu instid0(VALU_DEP_1) | instskip(SKIP_1) | instid1(VALU_DEP_2)
	v_fma_f64 v[120:121], v[192:193], v[200:201], -v[120:121]
	v_mul_f64 v[192:193], v[192:193], v[122:123]
	v_add_f64 v[116:117], v[116:117], -v[120:121]
	s_delay_alu instid0(VALU_DEP_2) | instskip(NEXT) | instid1(VALU_DEP_1)
	v_fma_f64 v[192:193], v[194:195], v[200:201], v[192:193]
	v_add_f64 v[118:119], v[118:119], -v[192:193]
	ds_load_2addr_b64 v[192:195], v202 offset0:38 offset1:39
	s_waitcnt lgkmcnt(0)
	v_mul_f64 v[120:121], v[194:195], v[122:123]
	s_delay_alu instid0(VALU_DEP_1) | instskip(SKIP_1) | instid1(VALU_DEP_2)
	v_fma_f64 v[120:121], v[192:193], v[200:201], -v[120:121]
	v_mul_f64 v[192:193], v[192:193], v[122:123]
	v_add_f64 v[112:113], v[112:113], -v[120:121]
	s_delay_alu instid0(VALU_DEP_2) | instskip(NEXT) | instid1(VALU_DEP_1)
	v_fma_f64 v[192:193], v[194:195], v[200:201], v[192:193]
	v_add_f64 v[114:115], v[114:115], -v[192:193]
	;; [unrolled: 10-line block ×29, first 2 shown]
	ds_load_2addr_b64 v[192:195], v202 offset0:94 offset1:95
	s_waitcnt lgkmcnt(0)
	v_mul_f64 v[120:121], v[194:195], v[122:123]
	s_delay_alu instid0(VALU_DEP_1) | instskip(SKIP_1) | instid1(VALU_DEP_2)
	v_fma_f64 v[120:121], v[192:193], v[200:201], -v[120:121]
	v_mul_f64 v[192:193], v[192:193], v[122:123]
	v_add_f64 v[0:1], v[0:1], -v[120:121]
	s_delay_alu instid0(VALU_DEP_2) | instskip(SKIP_1) | instid1(VALU_DEP_2)
	v_fma_f64 v[192:193], v[194:195], v[200:201], v[192:193]
	v_dual_mov_b32 v120, v200 :: v_dual_mov_b32 v121, v201
	v_add_f64 v[2:3], v[2:3], -v[192:193]
.LBB94_377:
	s_or_b32 exec_lo, exec_lo, s2
	v_lshl_add_u32 v192, v208, 4, v202
	s_barrier
	buffer_gl0_inv
	v_mov_b32_e32 v200, 18
	ds_store_2addr_b64 v192, v[116:117], v[118:119] offset1:1
	s_waitcnt lgkmcnt(0)
	s_barrier
	buffer_gl0_inv
	ds_load_2addr_b64 v[192:195], v202 offset0:36 offset1:37
	s_cmp_lt_i32 s5, 20
	s_cbranch_scc1 .LBB94_380
; %bb.378:
	v_add3_u32 v201, v207, 0, 0x130
	v_mov_b32_e32 v200, 18
	s_mov_b32 s6, 19
	s_set_inst_prefetch_distance 0x1
	.p2align	6
.LBB94_379:                             ; =>This Inner Loop Header: Depth=1
	ds_load_2addr_b64 v[209:212], v201 offset1:1
	s_waitcnt lgkmcnt(1)
	v_cmp_gt_f64_e32 vcc_lo, 0, v[192:193]
	v_xor_b32_e32 v213, 0x80000000, v193
	v_cmp_gt_f64_e64 s2, 0, v[194:195]
	v_xor_b32_e32 v215, 0x80000000, v195
	v_add_nc_u32_e32 v201, 16, v201
	s_waitcnt lgkmcnt(0)
	v_cmp_gt_f64_e64 s3, 0, v[209:210]
	v_mov_b32_e32 v217, v209
	v_dual_mov_b32 v219, v211 :: v_dual_cndmask_b32 v214, v193, v213
	v_xor_b32_e32 v213, 0x80000000, v210
	v_cndmask_b32_e64 v216, v195, v215, s2
	v_xor_b32_e32 v215, 0x80000000, v212
	s_delay_alu instid0(VALU_DEP_3) | instskip(SKIP_2) | instid1(VALU_DEP_2)
	v_cndmask_b32_e64 v218, v210, v213, s3
	v_cmp_gt_f64_e64 s3, 0, v[211:212]
	v_cndmask_b32_e32 v213, v192, v192, vcc_lo
	v_cndmask_b32_e64 v220, v212, v215, s3
	v_cndmask_b32_e64 v215, v194, v194, s2
	s_delay_alu instid0(VALU_DEP_2) | instskip(NEXT) | instid1(VALU_DEP_2)
	v_add_f64 v[217:218], v[217:218], v[219:220]
	v_add_f64 v[213:214], v[213:214], v[215:216]
	s_delay_alu instid0(VALU_DEP_1) | instskip(SKIP_4) | instid1(SALU_CYCLE_1)
	v_cmp_lt_f64_e32 vcc_lo, v[213:214], v[217:218]
	v_dual_cndmask_b32 v194, v194, v211 :: v_dual_cndmask_b32 v193, v193, v210
	v_dual_cndmask_b32 v192, v192, v209 :: v_dual_cndmask_b32 v195, v195, v212
	v_cndmask_b32_e64 v200, v200, s6, vcc_lo
	s_add_i32 s6, s6, 1
	s_cmp_lg_u32 s5, s6
	s_cbranch_scc1 .LBB94_379
.LBB94_380:
	s_set_inst_prefetch_distance 0x2
	s_waitcnt lgkmcnt(0)
	v_cmp_eq_f64_e32 vcc_lo, 0, v[192:193]
	v_cmp_eq_f64_e64 s2, 0, v[194:195]
	s_delay_alu instid0(VALU_DEP_1) | instskip(NEXT) | instid1(SALU_CYCLE_1)
	s_and_b32 s2, vcc_lo, s2
	s_and_saveexec_b32 s3, s2
	s_delay_alu instid0(SALU_CYCLE_1)
	s_xor_b32 s2, exec_lo, s3
; %bb.381:
	v_cmp_ne_u32_e32 vcc_lo, 0, v205
	v_cndmask_b32_e32 v205, 19, v205, vcc_lo
; %bb.382:
	s_and_not1_saveexec_b32 s3, s2
	s_cbranch_execz .LBB94_388
; %bb.383:
	v_cmp_gt_f64_e32 vcc_lo, 0, v[192:193]
	v_cmp_gt_f64_e64 s2, 0, v[194:195]
	v_xor_b32_e32 v201, 0x80000000, v193
	v_xor_b32_e32 v209, 0x80000000, v195
	s_delay_alu instid0(VALU_DEP_2) | instskip(NEXT) | instid1(VALU_DEP_2)
	v_cndmask_b32_e32 v210, v193, v201, vcc_lo
	v_cndmask_b32_e64 v212, v195, v209, s2
	v_cndmask_b32_e32 v209, v192, v192, vcc_lo
	v_cndmask_b32_e64 v211, v194, v194, s2
	s_mov_b32 s2, exec_lo
	s_delay_alu instid0(VALU_DEP_1)
	v_cmpx_ngt_f64_e32 v[209:210], v[211:212]
	s_xor_b32 s2, exec_lo, s2
	s_cbranch_execz .LBB94_385
; %bb.384:
	v_div_scale_f64 v[209:210], null, v[194:195], v[194:195], v[192:193]
	v_div_scale_f64 v[215:216], vcc_lo, v[192:193], v[194:195], v[192:193]
	s_delay_alu instid0(VALU_DEP_2) | instskip(SKIP_2) | instid1(VALU_DEP_1)
	v_rcp_f64_e32 v[211:212], v[209:210]
	s_waitcnt_depctr 0xfff
	v_fma_f64 v[213:214], -v[209:210], v[211:212], 1.0
	v_fma_f64 v[211:212], v[211:212], v[213:214], v[211:212]
	s_delay_alu instid0(VALU_DEP_1) | instskip(NEXT) | instid1(VALU_DEP_1)
	v_fma_f64 v[213:214], -v[209:210], v[211:212], 1.0
	v_fma_f64 v[211:212], v[211:212], v[213:214], v[211:212]
	s_delay_alu instid0(VALU_DEP_1) | instskip(NEXT) | instid1(VALU_DEP_1)
	v_mul_f64 v[213:214], v[215:216], v[211:212]
	v_fma_f64 v[209:210], -v[209:210], v[213:214], v[215:216]
	s_delay_alu instid0(VALU_DEP_1) | instskip(NEXT) | instid1(VALU_DEP_1)
	v_div_fmas_f64 v[209:210], v[209:210], v[211:212], v[213:214]
	v_div_fixup_f64 v[209:210], v[209:210], v[194:195], v[192:193]
	s_delay_alu instid0(VALU_DEP_1) | instskip(NEXT) | instid1(VALU_DEP_1)
	v_fma_f64 v[192:193], v[192:193], v[209:210], v[194:195]
	v_div_scale_f64 v[194:195], null, v[192:193], v[192:193], 1.0
	s_delay_alu instid0(VALU_DEP_1) | instskip(SKIP_2) | instid1(VALU_DEP_1)
	v_rcp_f64_e32 v[211:212], v[194:195]
	s_waitcnt_depctr 0xfff
	v_fma_f64 v[213:214], -v[194:195], v[211:212], 1.0
	v_fma_f64 v[211:212], v[211:212], v[213:214], v[211:212]
	s_delay_alu instid0(VALU_DEP_1) | instskip(NEXT) | instid1(VALU_DEP_1)
	v_fma_f64 v[213:214], -v[194:195], v[211:212], 1.0
	v_fma_f64 v[211:212], v[211:212], v[213:214], v[211:212]
	v_div_scale_f64 v[213:214], vcc_lo, 1.0, v[192:193], 1.0
	s_delay_alu instid0(VALU_DEP_1) | instskip(NEXT) | instid1(VALU_DEP_1)
	v_mul_f64 v[215:216], v[213:214], v[211:212]
	v_fma_f64 v[194:195], -v[194:195], v[215:216], v[213:214]
	s_delay_alu instid0(VALU_DEP_1) | instskip(NEXT) | instid1(VALU_DEP_1)
	v_div_fmas_f64 v[194:195], v[194:195], v[211:212], v[215:216]
	v_div_fixup_f64 v[194:195], v[194:195], v[192:193], 1.0
	s_delay_alu instid0(VALU_DEP_1)
	v_mul_f64 v[192:193], v[209:210], v[194:195]
	v_xor_b32_e32 v195, 0x80000000, v195
.LBB94_385:
	s_and_not1_saveexec_b32 s2, s2
	s_cbranch_execz .LBB94_387
; %bb.386:
	s_delay_alu instid0(VALU_DEP_1) | instskip(SKIP_1) | instid1(VALU_DEP_2)
	v_div_scale_f64 v[209:210], null, v[192:193], v[192:193], v[194:195]
	v_div_scale_f64 v[215:216], vcc_lo, v[194:195], v[192:193], v[194:195]
	v_rcp_f64_e32 v[211:212], v[209:210]
	s_waitcnt_depctr 0xfff
	v_fma_f64 v[213:214], -v[209:210], v[211:212], 1.0
	s_delay_alu instid0(VALU_DEP_1) | instskip(NEXT) | instid1(VALU_DEP_1)
	v_fma_f64 v[211:212], v[211:212], v[213:214], v[211:212]
	v_fma_f64 v[213:214], -v[209:210], v[211:212], 1.0
	s_delay_alu instid0(VALU_DEP_1) | instskip(NEXT) | instid1(VALU_DEP_1)
	v_fma_f64 v[211:212], v[211:212], v[213:214], v[211:212]
	v_mul_f64 v[213:214], v[215:216], v[211:212]
	s_delay_alu instid0(VALU_DEP_1) | instskip(NEXT) | instid1(VALU_DEP_1)
	v_fma_f64 v[209:210], -v[209:210], v[213:214], v[215:216]
	v_div_fmas_f64 v[209:210], v[209:210], v[211:212], v[213:214]
	s_delay_alu instid0(VALU_DEP_1) | instskip(NEXT) | instid1(VALU_DEP_1)
	v_div_fixup_f64 v[209:210], v[209:210], v[192:193], v[194:195]
	v_fma_f64 v[192:193], v[194:195], v[209:210], v[192:193]
	s_delay_alu instid0(VALU_DEP_1) | instskip(NEXT) | instid1(VALU_DEP_1)
	v_div_scale_f64 v[194:195], null, v[192:193], v[192:193], 1.0
	v_rcp_f64_e32 v[211:212], v[194:195]
	s_waitcnt_depctr 0xfff
	v_fma_f64 v[213:214], -v[194:195], v[211:212], 1.0
	s_delay_alu instid0(VALU_DEP_1) | instskip(NEXT) | instid1(VALU_DEP_1)
	v_fma_f64 v[211:212], v[211:212], v[213:214], v[211:212]
	v_fma_f64 v[213:214], -v[194:195], v[211:212], 1.0
	s_delay_alu instid0(VALU_DEP_1) | instskip(SKIP_1) | instid1(VALU_DEP_1)
	v_fma_f64 v[211:212], v[211:212], v[213:214], v[211:212]
	v_div_scale_f64 v[213:214], vcc_lo, 1.0, v[192:193], 1.0
	v_mul_f64 v[215:216], v[213:214], v[211:212]
	s_delay_alu instid0(VALU_DEP_1) | instskip(NEXT) | instid1(VALU_DEP_1)
	v_fma_f64 v[194:195], -v[194:195], v[215:216], v[213:214]
	v_div_fmas_f64 v[194:195], v[194:195], v[211:212], v[215:216]
	s_delay_alu instid0(VALU_DEP_1) | instskip(NEXT) | instid1(VALU_DEP_1)
	v_div_fixup_f64 v[192:193], v[194:195], v[192:193], 1.0
	v_mul_f64 v[194:195], v[209:210], -v[192:193]
.LBB94_387:
	s_or_b32 exec_lo, exec_lo, s2
.LBB94_388:
	s_delay_alu instid0(SALU_CYCLE_1) | instskip(NEXT) | instid1(SALU_CYCLE_1)
	s_or_b32 exec_lo, exec_lo, s3
	s_mov_b32 s2, exec_lo
	v_cmpx_ne_u32_e64 v208, v200
	s_xor_b32 s2, exec_lo, s2
	s_cbranch_execz .LBB94_394
; %bb.389:
	s_mov_b32 s3, exec_lo
	v_cmpx_eq_u32_e32 18, v208
	s_cbranch_execz .LBB94_393
; %bb.390:
	v_cmp_ne_u32_e32 vcc_lo, 18, v200
	s_xor_b32 s6, s4, -1
	s_delay_alu instid0(SALU_CYCLE_1) | instskip(NEXT) | instid1(SALU_CYCLE_1)
	s_and_b32 s7, s6, vcc_lo
	s_and_saveexec_b32 s6, s7
	s_cbranch_execz .LBB94_392
; %bb.391:
	v_ashrrev_i32_e32 v201, 31, v200
	s_delay_alu instid0(VALU_DEP_1) | instskip(NEXT) | instid1(VALU_DEP_1)
	v_lshlrev_b64 v[208:209], 2, v[200:201]
	v_add_co_u32 v208, vcc_lo, v198, v208
	s_delay_alu instid0(VALU_DEP_2)
	v_add_co_ci_u32_e32 v209, vcc_lo, v199, v209, vcc_lo
	s_clause 0x1
	flat_load_b32 v201, v[208:209]
	flat_load_b32 v206, v[198:199] offset:72
	s_waitcnt vmcnt(1) lgkmcnt(1)
	flat_store_b32 v[198:199], v201 offset:72
	s_waitcnt vmcnt(0) lgkmcnt(1)
	flat_store_b32 v[208:209], v206
.LBB94_392:
	s_or_b32 exec_lo, exec_lo, s6
	v_mov_b32_e32 v208, v200
	v_mov_b32_e32 v206, v200
.LBB94_393:
	s_or_b32 exec_lo, exec_lo, s3
.LBB94_394:
	s_and_not1_saveexec_b32 s2, s2
	s_cbranch_execz .LBB94_396
; %bb.395:
	v_mov_b32_e32 v208, 18
	ds_store_2addr_b64 v202, v[112:113], v[114:115] offset0:38 offset1:39
	ds_store_2addr_b64 v202, v[108:109], v[110:111] offset0:40 offset1:41
	;; [unrolled: 1-line block ×29, first 2 shown]
.LBB94_396:
	s_or_b32 exec_lo, exec_lo, s2
	s_delay_alu instid0(SALU_CYCLE_1)
	s_mov_b32 s2, exec_lo
	s_waitcnt lgkmcnt(0)
	s_waitcnt_vscnt null, 0x0
	s_barrier
	buffer_gl0_inv
	v_cmpx_lt_i32_e32 18, v208
	s_cbranch_execz .LBB94_398
; %bb.397:
	v_mul_f64 v[200:201], v[194:195], v[118:119]
	v_mul_f64 v[118:119], v[192:193], v[118:119]
	s_delay_alu instid0(VALU_DEP_2) | instskip(NEXT) | instid1(VALU_DEP_2)
	v_fma_f64 v[200:201], v[192:193], v[116:117], -v[200:201]
	v_fma_f64 v[118:119], v[194:195], v[116:117], v[118:119]
	ds_load_2addr_b64 v[192:195], v202 offset0:38 offset1:39
	s_waitcnt lgkmcnt(0)
	v_mul_f64 v[116:117], v[194:195], v[118:119]
	s_delay_alu instid0(VALU_DEP_1) | instskip(SKIP_1) | instid1(VALU_DEP_2)
	v_fma_f64 v[116:117], v[192:193], v[200:201], -v[116:117]
	v_mul_f64 v[192:193], v[192:193], v[118:119]
	v_add_f64 v[112:113], v[112:113], -v[116:117]
	s_delay_alu instid0(VALU_DEP_2) | instskip(NEXT) | instid1(VALU_DEP_1)
	v_fma_f64 v[192:193], v[194:195], v[200:201], v[192:193]
	v_add_f64 v[114:115], v[114:115], -v[192:193]
	ds_load_2addr_b64 v[192:195], v202 offset0:40 offset1:41
	s_waitcnt lgkmcnt(0)
	v_mul_f64 v[116:117], v[194:195], v[118:119]
	s_delay_alu instid0(VALU_DEP_1) | instskip(SKIP_1) | instid1(VALU_DEP_2)
	v_fma_f64 v[116:117], v[192:193], v[200:201], -v[116:117]
	v_mul_f64 v[192:193], v[192:193], v[118:119]
	v_add_f64 v[108:109], v[108:109], -v[116:117]
	s_delay_alu instid0(VALU_DEP_2) | instskip(NEXT) | instid1(VALU_DEP_1)
	v_fma_f64 v[192:193], v[194:195], v[200:201], v[192:193]
	v_add_f64 v[110:111], v[110:111], -v[192:193]
	;; [unrolled: 10-line block ×28, first 2 shown]
	ds_load_2addr_b64 v[192:195], v202 offset0:94 offset1:95
	s_waitcnt lgkmcnt(0)
	v_mul_f64 v[116:117], v[194:195], v[118:119]
	s_delay_alu instid0(VALU_DEP_1) | instskip(SKIP_1) | instid1(VALU_DEP_2)
	v_fma_f64 v[116:117], v[192:193], v[200:201], -v[116:117]
	v_mul_f64 v[192:193], v[192:193], v[118:119]
	v_add_f64 v[0:1], v[0:1], -v[116:117]
	s_delay_alu instid0(VALU_DEP_2) | instskip(SKIP_1) | instid1(VALU_DEP_2)
	v_fma_f64 v[192:193], v[194:195], v[200:201], v[192:193]
	v_dual_mov_b32 v116, v200 :: v_dual_mov_b32 v117, v201
	v_add_f64 v[2:3], v[2:3], -v[192:193]
.LBB94_398:
	s_or_b32 exec_lo, exec_lo, s2
	v_lshl_add_u32 v192, v208, 4, v202
	s_barrier
	buffer_gl0_inv
	v_mov_b32_e32 v200, 19
	ds_store_2addr_b64 v192, v[112:113], v[114:115] offset1:1
	s_waitcnt lgkmcnt(0)
	s_barrier
	buffer_gl0_inv
	ds_load_2addr_b64 v[192:195], v202 offset0:38 offset1:39
	s_cmp_lt_i32 s5, 21
	s_cbranch_scc1 .LBB94_401
; %bb.399:
	v_add3_u32 v201, v207, 0, 0x140
	v_mov_b32_e32 v200, 19
	s_mov_b32 s6, 20
	s_set_inst_prefetch_distance 0x1
	.p2align	6
.LBB94_400:                             ; =>This Inner Loop Header: Depth=1
	ds_load_2addr_b64 v[209:212], v201 offset1:1
	s_waitcnt lgkmcnt(1)
	v_cmp_gt_f64_e32 vcc_lo, 0, v[192:193]
	v_xor_b32_e32 v213, 0x80000000, v193
	v_cmp_gt_f64_e64 s2, 0, v[194:195]
	v_xor_b32_e32 v215, 0x80000000, v195
	v_add_nc_u32_e32 v201, 16, v201
	s_waitcnt lgkmcnt(0)
	v_cmp_gt_f64_e64 s3, 0, v[209:210]
	v_mov_b32_e32 v217, v209
	v_dual_mov_b32 v219, v211 :: v_dual_cndmask_b32 v214, v193, v213
	v_xor_b32_e32 v213, 0x80000000, v210
	v_cndmask_b32_e64 v216, v195, v215, s2
	v_xor_b32_e32 v215, 0x80000000, v212
	s_delay_alu instid0(VALU_DEP_3) | instskip(SKIP_2) | instid1(VALU_DEP_2)
	v_cndmask_b32_e64 v218, v210, v213, s3
	v_cmp_gt_f64_e64 s3, 0, v[211:212]
	v_cndmask_b32_e32 v213, v192, v192, vcc_lo
	v_cndmask_b32_e64 v220, v212, v215, s3
	v_cndmask_b32_e64 v215, v194, v194, s2
	s_delay_alu instid0(VALU_DEP_2) | instskip(NEXT) | instid1(VALU_DEP_2)
	v_add_f64 v[217:218], v[217:218], v[219:220]
	v_add_f64 v[213:214], v[213:214], v[215:216]
	s_delay_alu instid0(VALU_DEP_1) | instskip(SKIP_4) | instid1(SALU_CYCLE_1)
	v_cmp_lt_f64_e32 vcc_lo, v[213:214], v[217:218]
	v_dual_cndmask_b32 v194, v194, v211 :: v_dual_cndmask_b32 v193, v193, v210
	v_dual_cndmask_b32 v192, v192, v209 :: v_dual_cndmask_b32 v195, v195, v212
	v_cndmask_b32_e64 v200, v200, s6, vcc_lo
	s_add_i32 s6, s6, 1
	s_cmp_lg_u32 s5, s6
	s_cbranch_scc1 .LBB94_400
.LBB94_401:
	s_set_inst_prefetch_distance 0x2
	s_waitcnt lgkmcnt(0)
	v_cmp_eq_f64_e32 vcc_lo, 0, v[192:193]
	v_cmp_eq_f64_e64 s2, 0, v[194:195]
	s_delay_alu instid0(VALU_DEP_1) | instskip(NEXT) | instid1(SALU_CYCLE_1)
	s_and_b32 s2, vcc_lo, s2
	s_and_saveexec_b32 s3, s2
	s_delay_alu instid0(SALU_CYCLE_1)
	s_xor_b32 s2, exec_lo, s3
; %bb.402:
	v_cmp_ne_u32_e32 vcc_lo, 0, v205
	v_cndmask_b32_e32 v205, 20, v205, vcc_lo
; %bb.403:
	s_and_not1_saveexec_b32 s3, s2
	s_cbranch_execz .LBB94_409
; %bb.404:
	v_cmp_gt_f64_e32 vcc_lo, 0, v[192:193]
	v_cmp_gt_f64_e64 s2, 0, v[194:195]
	v_xor_b32_e32 v201, 0x80000000, v193
	v_xor_b32_e32 v209, 0x80000000, v195
	s_delay_alu instid0(VALU_DEP_2) | instskip(NEXT) | instid1(VALU_DEP_2)
	v_cndmask_b32_e32 v210, v193, v201, vcc_lo
	v_cndmask_b32_e64 v212, v195, v209, s2
	v_cndmask_b32_e32 v209, v192, v192, vcc_lo
	v_cndmask_b32_e64 v211, v194, v194, s2
	s_mov_b32 s2, exec_lo
	s_delay_alu instid0(VALU_DEP_1)
	v_cmpx_ngt_f64_e32 v[209:210], v[211:212]
	s_xor_b32 s2, exec_lo, s2
	s_cbranch_execz .LBB94_406
; %bb.405:
	v_div_scale_f64 v[209:210], null, v[194:195], v[194:195], v[192:193]
	v_div_scale_f64 v[215:216], vcc_lo, v[192:193], v[194:195], v[192:193]
	s_delay_alu instid0(VALU_DEP_2) | instskip(SKIP_2) | instid1(VALU_DEP_1)
	v_rcp_f64_e32 v[211:212], v[209:210]
	s_waitcnt_depctr 0xfff
	v_fma_f64 v[213:214], -v[209:210], v[211:212], 1.0
	v_fma_f64 v[211:212], v[211:212], v[213:214], v[211:212]
	s_delay_alu instid0(VALU_DEP_1) | instskip(NEXT) | instid1(VALU_DEP_1)
	v_fma_f64 v[213:214], -v[209:210], v[211:212], 1.0
	v_fma_f64 v[211:212], v[211:212], v[213:214], v[211:212]
	s_delay_alu instid0(VALU_DEP_1) | instskip(NEXT) | instid1(VALU_DEP_1)
	v_mul_f64 v[213:214], v[215:216], v[211:212]
	v_fma_f64 v[209:210], -v[209:210], v[213:214], v[215:216]
	s_delay_alu instid0(VALU_DEP_1) | instskip(NEXT) | instid1(VALU_DEP_1)
	v_div_fmas_f64 v[209:210], v[209:210], v[211:212], v[213:214]
	v_div_fixup_f64 v[209:210], v[209:210], v[194:195], v[192:193]
	s_delay_alu instid0(VALU_DEP_1) | instskip(NEXT) | instid1(VALU_DEP_1)
	v_fma_f64 v[192:193], v[192:193], v[209:210], v[194:195]
	v_div_scale_f64 v[194:195], null, v[192:193], v[192:193], 1.0
	s_delay_alu instid0(VALU_DEP_1) | instskip(SKIP_2) | instid1(VALU_DEP_1)
	v_rcp_f64_e32 v[211:212], v[194:195]
	s_waitcnt_depctr 0xfff
	v_fma_f64 v[213:214], -v[194:195], v[211:212], 1.0
	v_fma_f64 v[211:212], v[211:212], v[213:214], v[211:212]
	s_delay_alu instid0(VALU_DEP_1) | instskip(NEXT) | instid1(VALU_DEP_1)
	v_fma_f64 v[213:214], -v[194:195], v[211:212], 1.0
	v_fma_f64 v[211:212], v[211:212], v[213:214], v[211:212]
	v_div_scale_f64 v[213:214], vcc_lo, 1.0, v[192:193], 1.0
	s_delay_alu instid0(VALU_DEP_1) | instskip(NEXT) | instid1(VALU_DEP_1)
	v_mul_f64 v[215:216], v[213:214], v[211:212]
	v_fma_f64 v[194:195], -v[194:195], v[215:216], v[213:214]
	s_delay_alu instid0(VALU_DEP_1) | instskip(NEXT) | instid1(VALU_DEP_1)
	v_div_fmas_f64 v[194:195], v[194:195], v[211:212], v[215:216]
	v_div_fixup_f64 v[194:195], v[194:195], v[192:193], 1.0
	s_delay_alu instid0(VALU_DEP_1)
	v_mul_f64 v[192:193], v[209:210], v[194:195]
	v_xor_b32_e32 v195, 0x80000000, v195
.LBB94_406:
	s_and_not1_saveexec_b32 s2, s2
	s_cbranch_execz .LBB94_408
; %bb.407:
	s_delay_alu instid0(VALU_DEP_1) | instskip(SKIP_1) | instid1(VALU_DEP_2)
	v_div_scale_f64 v[209:210], null, v[192:193], v[192:193], v[194:195]
	v_div_scale_f64 v[215:216], vcc_lo, v[194:195], v[192:193], v[194:195]
	v_rcp_f64_e32 v[211:212], v[209:210]
	s_waitcnt_depctr 0xfff
	v_fma_f64 v[213:214], -v[209:210], v[211:212], 1.0
	s_delay_alu instid0(VALU_DEP_1) | instskip(NEXT) | instid1(VALU_DEP_1)
	v_fma_f64 v[211:212], v[211:212], v[213:214], v[211:212]
	v_fma_f64 v[213:214], -v[209:210], v[211:212], 1.0
	s_delay_alu instid0(VALU_DEP_1) | instskip(NEXT) | instid1(VALU_DEP_1)
	v_fma_f64 v[211:212], v[211:212], v[213:214], v[211:212]
	v_mul_f64 v[213:214], v[215:216], v[211:212]
	s_delay_alu instid0(VALU_DEP_1) | instskip(NEXT) | instid1(VALU_DEP_1)
	v_fma_f64 v[209:210], -v[209:210], v[213:214], v[215:216]
	v_div_fmas_f64 v[209:210], v[209:210], v[211:212], v[213:214]
	s_delay_alu instid0(VALU_DEP_1) | instskip(NEXT) | instid1(VALU_DEP_1)
	v_div_fixup_f64 v[209:210], v[209:210], v[192:193], v[194:195]
	v_fma_f64 v[192:193], v[194:195], v[209:210], v[192:193]
	s_delay_alu instid0(VALU_DEP_1) | instskip(NEXT) | instid1(VALU_DEP_1)
	v_div_scale_f64 v[194:195], null, v[192:193], v[192:193], 1.0
	v_rcp_f64_e32 v[211:212], v[194:195]
	s_waitcnt_depctr 0xfff
	v_fma_f64 v[213:214], -v[194:195], v[211:212], 1.0
	s_delay_alu instid0(VALU_DEP_1) | instskip(NEXT) | instid1(VALU_DEP_1)
	v_fma_f64 v[211:212], v[211:212], v[213:214], v[211:212]
	v_fma_f64 v[213:214], -v[194:195], v[211:212], 1.0
	s_delay_alu instid0(VALU_DEP_1) | instskip(SKIP_1) | instid1(VALU_DEP_1)
	v_fma_f64 v[211:212], v[211:212], v[213:214], v[211:212]
	v_div_scale_f64 v[213:214], vcc_lo, 1.0, v[192:193], 1.0
	v_mul_f64 v[215:216], v[213:214], v[211:212]
	s_delay_alu instid0(VALU_DEP_1) | instskip(NEXT) | instid1(VALU_DEP_1)
	v_fma_f64 v[194:195], -v[194:195], v[215:216], v[213:214]
	v_div_fmas_f64 v[194:195], v[194:195], v[211:212], v[215:216]
	s_delay_alu instid0(VALU_DEP_1) | instskip(NEXT) | instid1(VALU_DEP_1)
	v_div_fixup_f64 v[192:193], v[194:195], v[192:193], 1.0
	v_mul_f64 v[194:195], v[209:210], -v[192:193]
.LBB94_408:
	s_or_b32 exec_lo, exec_lo, s2
.LBB94_409:
	s_delay_alu instid0(SALU_CYCLE_1) | instskip(NEXT) | instid1(SALU_CYCLE_1)
	s_or_b32 exec_lo, exec_lo, s3
	s_mov_b32 s2, exec_lo
	v_cmpx_ne_u32_e64 v208, v200
	s_xor_b32 s2, exec_lo, s2
	s_cbranch_execz .LBB94_415
; %bb.410:
	s_mov_b32 s3, exec_lo
	v_cmpx_eq_u32_e32 19, v208
	s_cbranch_execz .LBB94_414
; %bb.411:
	v_cmp_ne_u32_e32 vcc_lo, 19, v200
	s_xor_b32 s6, s4, -1
	s_delay_alu instid0(SALU_CYCLE_1) | instskip(NEXT) | instid1(SALU_CYCLE_1)
	s_and_b32 s7, s6, vcc_lo
	s_and_saveexec_b32 s6, s7
	s_cbranch_execz .LBB94_413
; %bb.412:
	v_ashrrev_i32_e32 v201, 31, v200
	s_delay_alu instid0(VALU_DEP_1) | instskip(NEXT) | instid1(VALU_DEP_1)
	v_lshlrev_b64 v[208:209], 2, v[200:201]
	v_add_co_u32 v208, vcc_lo, v198, v208
	s_delay_alu instid0(VALU_DEP_2)
	v_add_co_ci_u32_e32 v209, vcc_lo, v199, v209, vcc_lo
	s_clause 0x1
	flat_load_b32 v201, v[208:209]
	flat_load_b32 v206, v[198:199] offset:76
	s_waitcnt vmcnt(1) lgkmcnt(1)
	flat_store_b32 v[198:199], v201 offset:76
	s_waitcnt vmcnt(0) lgkmcnt(1)
	flat_store_b32 v[208:209], v206
.LBB94_413:
	s_or_b32 exec_lo, exec_lo, s6
	v_mov_b32_e32 v208, v200
	v_mov_b32_e32 v206, v200
.LBB94_414:
	s_or_b32 exec_lo, exec_lo, s3
.LBB94_415:
	s_and_not1_saveexec_b32 s2, s2
	s_cbranch_execz .LBB94_417
; %bb.416:
	v_mov_b32_e32 v208, 19
	ds_store_2addr_b64 v202, v[108:109], v[110:111] offset0:40 offset1:41
	ds_store_2addr_b64 v202, v[104:105], v[106:107] offset0:42 offset1:43
	;; [unrolled: 1-line block ×28, first 2 shown]
.LBB94_417:
	s_or_b32 exec_lo, exec_lo, s2
	s_delay_alu instid0(SALU_CYCLE_1)
	s_mov_b32 s2, exec_lo
	s_waitcnt lgkmcnt(0)
	s_waitcnt_vscnt null, 0x0
	s_barrier
	buffer_gl0_inv
	v_cmpx_lt_i32_e32 19, v208
	s_cbranch_execz .LBB94_419
; %bb.418:
	v_mul_f64 v[200:201], v[194:195], v[114:115]
	v_mul_f64 v[114:115], v[192:193], v[114:115]
	s_delay_alu instid0(VALU_DEP_2) | instskip(NEXT) | instid1(VALU_DEP_2)
	v_fma_f64 v[200:201], v[192:193], v[112:113], -v[200:201]
	v_fma_f64 v[114:115], v[194:195], v[112:113], v[114:115]
	ds_load_2addr_b64 v[192:195], v202 offset0:40 offset1:41
	s_waitcnt lgkmcnt(0)
	v_mul_f64 v[112:113], v[194:195], v[114:115]
	s_delay_alu instid0(VALU_DEP_1) | instskip(SKIP_1) | instid1(VALU_DEP_2)
	v_fma_f64 v[112:113], v[192:193], v[200:201], -v[112:113]
	v_mul_f64 v[192:193], v[192:193], v[114:115]
	v_add_f64 v[108:109], v[108:109], -v[112:113]
	s_delay_alu instid0(VALU_DEP_2) | instskip(NEXT) | instid1(VALU_DEP_1)
	v_fma_f64 v[192:193], v[194:195], v[200:201], v[192:193]
	v_add_f64 v[110:111], v[110:111], -v[192:193]
	ds_load_2addr_b64 v[192:195], v202 offset0:42 offset1:43
	s_waitcnt lgkmcnt(0)
	v_mul_f64 v[112:113], v[194:195], v[114:115]
	s_delay_alu instid0(VALU_DEP_1) | instskip(SKIP_1) | instid1(VALU_DEP_2)
	v_fma_f64 v[112:113], v[192:193], v[200:201], -v[112:113]
	v_mul_f64 v[192:193], v[192:193], v[114:115]
	v_add_f64 v[104:105], v[104:105], -v[112:113]
	s_delay_alu instid0(VALU_DEP_2) | instskip(NEXT) | instid1(VALU_DEP_1)
	v_fma_f64 v[192:193], v[194:195], v[200:201], v[192:193]
	v_add_f64 v[106:107], v[106:107], -v[192:193]
	;; [unrolled: 10-line block ×27, first 2 shown]
	ds_load_2addr_b64 v[192:195], v202 offset0:94 offset1:95
	s_waitcnt lgkmcnt(0)
	v_mul_f64 v[112:113], v[194:195], v[114:115]
	s_delay_alu instid0(VALU_DEP_1) | instskip(SKIP_1) | instid1(VALU_DEP_2)
	v_fma_f64 v[112:113], v[192:193], v[200:201], -v[112:113]
	v_mul_f64 v[192:193], v[192:193], v[114:115]
	v_add_f64 v[0:1], v[0:1], -v[112:113]
	s_delay_alu instid0(VALU_DEP_2) | instskip(SKIP_1) | instid1(VALU_DEP_2)
	v_fma_f64 v[192:193], v[194:195], v[200:201], v[192:193]
	v_dual_mov_b32 v112, v200 :: v_dual_mov_b32 v113, v201
	v_add_f64 v[2:3], v[2:3], -v[192:193]
.LBB94_419:
	s_or_b32 exec_lo, exec_lo, s2
	v_lshl_add_u32 v192, v208, 4, v202
	s_barrier
	buffer_gl0_inv
	v_mov_b32_e32 v200, 20
	ds_store_2addr_b64 v192, v[108:109], v[110:111] offset1:1
	s_waitcnt lgkmcnt(0)
	s_barrier
	buffer_gl0_inv
	ds_load_2addr_b64 v[192:195], v202 offset0:40 offset1:41
	s_cmp_lt_i32 s5, 22
	s_cbranch_scc1 .LBB94_422
; %bb.420:
	v_add3_u32 v201, v207, 0, 0x150
	v_mov_b32_e32 v200, 20
	s_mov_b32 s6, 21
	s_set_inst_prefetch_distance 0x1
	.p2align	6
.LBB94_421:                             ; =>This Inner Loop Header: Depth=1
	ds_load_2addr_b64 v[209:212], v201 offset1:1
	s_waitcnt lgkmcnt(1)
	v_cmp_gt_f64_e32 vcc_lo, 0, v[192:193]
	v_xor_b32_e32 v213, 0x80000000, v193
	v_cmp_gt_f64_e64 s2, 0, v[194:195]
	v_xor_b32_e32 v215, 0x80000000, v195
	v_add_nc_u32_e32 v201, 16, v201
	s_waitcnt lgkmcnt(0)
	v_cmp_gt_f64_e64 s3, 0, v[209:210]
	v_mov_b32_e32 v217, v209
	v_dual_mov_b32 v219, v211 :: v_dual_cndmask_b32 v214, v193, v213
	v_xor_b32_e32 v213, 0x80000000, v210
	v_cndmask_b32_e64 v216, v195, v215, s2
	v_xor_b32_e32 v215, 0x80000000, v212
	s_delay_alu instid0(VALU_DEP_3) | instskip(SKIP_2) | instid1(VALU_DEP_2)
	v_cndmask_b32_e64 v218, v210, v213, s3
	v_cmp_gt_f64_e64 s3, 0, v[211:212]
	v_cndmask_b32_e32 v213, v192, v192, vcc_lo
	v_cndmask_b32_e64 v220, v212, v215, s3
	v_cndmask_b32_e64 v215, v194, v194, s2
	s_delay_alu instid0(VALU_DEP_2) | instskip(NEXT) | instid1(VALU_DEP_2)
	v_add_f64 v[217:218], v[217:218], v[219:220]
	v_add_f64 v[213:214], v[213:214], v[215:216]
	s_delay_alu instid0(VALU_DEP_1) | instskip(SKIP_4) | instid1(SALU_CYCLE_1)
	v_cmp_lt_f64_e32 vcc_lo, v[213:214], v[217:218]
	v_dual_cndmask_b32 v194, v194, v211 :: v_dual_cndmask_b32 v193, v193, v210
	v_dual_cndmask_b32 v192, v192, v209 :: v_dual_cndmask_b32 v195, v195, v212
	v_cndmask_b32_e64 v200, v200, s6, vcc_lo
	s_add_i32 s6, s6, 1
	s_cmp_lg_u32 s5, s6
	s_cbranch_scc1 .LBB94_421
.LBB94_422:
	s_set_inst_prefetch_distance 0x2
	s_waitcnt lgkmcnt(0)
	v_cmp_eq_f64_e32 vcc_lo, 0, v[192:193]
	v_cmp_eq_f64_e64 s2, 0, v[194:195]
	s_delay_alu instid0(VALU_DEP_1) | instskip(NEXT) | instid1(SALU_CYCLE_1)
	s_and_b32 s2, vcc_lo, s2
	s_and_saveexec_b32 s3, s2
	s_delay_alu instid0(SALU_CYCLE_1)
	s_xor_b32 s2, exec_lo, s3
; %bb.423:
	v_cmp_ne_u32_e32 vcc_lo, 0, v205
	v_cndmask_b32_e32 v205, 21, v205, vcc_lo
; %bb.424:
	s_and_not1_saveexec_b32 s3, s2
	s_cbranch_execz .LBB94_430
; %bb.425:
	v_cmp_gt_f64_e32 vcc_lo, 0, v[192:193]
	v_cmp_gt_f64_e64 s2, 0, v[194:195]
	v_xor_b32_e32 v201, 0x80000000, v193
	v_xor_b32_e32 v209, 0x80000000, v195
	s_delay_alu instid0(VALU_DEP_2) | instskip(NEXT) | instid1(VALU_DEP_2)
	v_cndmask_b32_e32 v210, v193, v201, vcc_lo
	v_cndmask_b32_e64 v212, v195, v209, s2
	v_cndmask_b32_e32 v209, v192, v192, vcc_lo
	v_cndmask_b32_e64 v211, v194, v194, s2
	s_mov_b32 s2, exec_lo
	s_delay_alu instid0(VALU_DEP_1)
	v_cmpx_ngt_f64_e32 v[209:210], v[211:212]
	s_xor_b32 s2, exec_lo, s2
	s_cbranch_execz .LBB94_427
; %bb.426:
	v_div_scale_f64 v[209:210], null, v[194:195], v[194:195], v[192:193]
	v_div_scale_f64 v[215:216], vcc_lo, v[192:193], v[194:195], v[192:193]
	s_delay_alu instid0(VALU_DEP_2) | instskip(SKIP_2) | instid1(VALU_DEP_1)
	v_rcp_f64_e32 v[211:212], v[209:210]
	s_waitcnt_depctr 0xfff
	v_fma_f64 v[213:214], -v[209:210], v[211:212], 1.0
	v_fma_f64 v[211:212], v[211:212], v[213:214], v[211:212]
	s_delay_alu instid0(VALU_DEP_1) | instskip(NEXT) | instid1(VALU_DEP_1)
	v_fma_f64 v[213:214], -v[209:210], v[211:212], 1.0
	v_fma_f64 v[211:212], v[211:212], v[213:214], v[211:212]
	s_delay_alu instid0(VALU_DEP_1) | instskip(NEXT) | instid1(VALU_DEP_1)
	v_mul_f64 v[213:214], v[215:216], v[211:212]
	v_fma_f64 v[209:210], -v[209:210], v[213:214], v[215:216]
	s_delay_alu instid0(VALU_DEP_1) | instskip(NEXT) | instid1(VALU_DEP_1)
	v_div_fmas_f64 v[209:210], v[209:210], v[211:212], v[213:214]
	v_div_fixup_f64 v[209:210], v[209:210], v[194:195], v[192:193]
	s_delay_alu instid0(VALU_DEP_1) | instskip(NEXT) | instid1(VALU_DEP_1)
	v_fma_f64 v[192:193], v[192:193], v[209:210], v[194:195]
	v_div_scale_f64 v[194:195], null, v[192:193], v[192:193], 1.0
	s_delay_alu instid0(VALU_DEP_1) | instskip(SKIP_2) | instid1(VALU_DEP_1)
	v_rcp_f64_e32 v[211:212], v[194:195]
	s_waitcnt_depctr 0xfff
	v_fma_f64 v[213:214], -v[194:195], v[211:212], 1.0
	v_fma_f64 v[211:212], v[211:212], v[213:214], v[211:212]
	s_delay_alu instid0(VALU_DEP_1) | instskip(NEXT) | instid1(VALU_DEP_1)
	v_fma_f64 v[213:214], -v[194:195], v[211:212], 1.0
	v_fma_f64 v[211:212], v[211:212], v[213:214], v[211:212]
	v_div_scale_f64 v[213:214], vcc_lo, 1.0, v[192:193], 1.0
	s_delay_alu instid0(VALU_DEP_1) | instskip(NEXT) | instid1(VALU_DEP_1)
	v_mul_f64 v[215:216], v[213:214], v[211:212]
	v_fma_f64 v[194:195], -v[194:195], v[215:216], v[213:214]
	s_delay_alu instid0(VALU_DEP_1) | instskip(NEXT) | instid1(VALU_DEP_1)
	v_div_fmas_f64 v[194:195], v[194:195], v[211:212], v[215:216]
	v_div_fixup_f64 v[194:195], v[194:195], v[192:193], 1.0
	s_delay_alu instid0(VALU_DEP_1)
	v_mul_f64 v[192:193], v[209:210], v[194:195]
	v_xor_b32_e32 v195, 0x80000000, v195
.LBB94_427:
	s_and_not1_saveexec_b32 s2, s2
	s_cbranch_execz .LBB94_429
; %bb.428:
	s_delay_alu instid0(VALU_DEP_1) | instskip(SKIP_1) | instid1(VALU_DEP_2)
	v_div_scale_f64 v[209:210], null, v[192:193], v[192:193], v[194:195]
	v_div_scale_f64 v[215:216], vcc_lo, v[194:195], v[192:193], v[194:195]
	v_rcp_f64_e32 v[211:212], v[209:210]
	s_waitcnt_depctr 0xfff
	v_fma_f64 v[213:214], -v[209:210], v[211:212], 1.0
	s_delay_alu instid0(VALU_DEP_1) | instskip(NEXT) | instid1(VALU_DEP_1)
	v_fma_f64 v[211:212], v[211:212], v[213:214], v[211:212]
	v_fma_f64 v[213:214], -v[209:210], v[211:212], 1.0
	s_delay_alu instid0(VALU_DEP_1) | instskip(NEXT) | instid1(VALU_DEP_1)
	v_fma_f64 v[211:212], v[211:212], v[213:214], v[211:212]
	v_mul_f64 v[213:214], v[215:216], v[211:212]
	s_delay_alu instid0(VALU_DEP_1) | instskip(NEXT) | instid1(VALU_DEP_1)
	v_fma_f64 v[209:210], -v[209:210], v[213:214], v[215:216]
	v_div_fmas_f64 v[209:210], v[209:210], v[211:212], v[213:214]
	s_delay_alu instid0(VALU_DEP_1) | instskip(NEXT) | instid1(VALU_DEP_1)
	v_div_fixup_f64 v[209:210], v[209:210], v[192:193], v[194:195]
	v_fma_f64 v[192:193], v[194:195], v[209:210], v[192:193]
	s_delay_alu instid0(VALU_DEP_1) | instskip(NEXT) | instid1(VALU_DEP_1)
	v_div_scale_f64 v[194:195], null, v[192:193], v[192:193], 1.0
	v_rcp_f64_e32 v[211:212], v[194:195]
	s_waitcnt_depctr 0xfff
	v_fma_f64 v[213:214], -v[194:195], v[211:212], 1.0
	s_delay_alu instid0(VALU_DEP_1) | instskip(NEXT) | instid1(VALU_DEP_1)
	v_fma_f64 v[211:212], v[211:212], v[213:214], v[211:212]
	v_fma_f64 v[213:214], -v[194:195], v[211:212], 1.0
	s_delay_alu instid0(VALU_DEP_1) | instskip(SKIP_1) | instid1(VALU_DEP_1)
	v_fma_f64 v[211:212], v[211:212], v[213:214], v[211:212]
	v_div_scale_f64 v[213:214], vcc_lo, 1.0, v[192:193], 1.0
	v_mul_f64 v[215:216], v[213:214], v[211:212]
	s_delay_alu instid0(VALU_DEP_1) | instskip(NEXT) | instid1(VALU_DEP_1)
	v_fma_f64 v[194:195], -v[194:195], v[215:216], v[213:214]
	v_div_fmas_f64 v[194:195], v[194:195], v[211:212], v[215:216]
	s_delay_alu instid0(VALU_DEP_1) | instskip(NEXT) | instid1(VALU_DEP_1)
	v_div_fixup_f64 v[192:193], v[194:195], v[192:193], 1.0
	v_mul_f64 v[194:195], v[209:210], -v[192:193]
.LBB94_429:
	s_or_b32 exec_lo, exec_lo, s2
.LBB94_430:
	s_delay_alu instid0(SALU_CYCLE_1) | instskip(NEXT) | instid1(SALU_CYCLE_1)
	s_or_b32 exec_lo, exec_lo, s3
	s_mov_b32 s2, exec_lo
	v_cmpx_ne_u32_e64 v208, v200
	s_xor_b32 s2, exec_lo, s2
	s_cbranch_execz .LBB94_436
; %bb.431:
	s_mov_b32 s3, exec_lo
	v_cmpx_eq_u32_e32 20, v208
	s_cbranch_execz .LBB94_435
; %bb.432:
	v_cmp_ne_u32_e32 vcc_lo, 20, v200
	s_xor_b32 s6, s4, -1
	s_delay_alu instid0(SALU_CYCLE_1) | instskip(NEXT) | instid1(SALU_CYCLE_1)
	s_and_b32 s7, s6, vcc_lo
	s_and_saveexec_b32 s6, s7
	s_cbranch_execz .LBB94_434
; %bb.433:
	v_ashrrev_i32_e32 v201, 31, v200
	s_delay_alu instid0(VALU_DEP_1) | instskip(NEXT) | instid1(VALU_DEP_1)
	v_lshlrev_b64 v[208:209], 2, v[200:201]
	v_add_co_u32 v208, vcc_lo, v198, v208
	s_delay_alu instid0(VALU_DEP_2)
	v_add_co_ci_u32_e32 v209, vcc_lo, v199, v209, vcc_lo
	s_clause 0x1
	flat_load_b32 v201, v[208:209]
	flat_load_b32 v206, v[198:199] offset:80
	s_waitcnt vmcnt(1) lgkmcnt(1)
	flat_store_b32 v[198:199], v201 offset:80
	s_waitcnt vmcnt(0) lgkmcnt(1)
	flat_store_b32 v[208:209], v206
.LBB94_434:
	s_or_b32 exec_lo, exec_lo, s6
	v_mov_b32_e32 v208, v200
	v_mov_b32_e32 v206, v200
.LBB94_435:
	s_or_b32 exec_lo, exec_lo, s3
.LBB94_436:
	s_and_not1_saveexec_b32 s2, s2
	s_cbranch_execz .LBB94_438
; %bb.437:
	v_mov_b32_e32 v208, 20
	ds_store_2addr_b64 v202, v[104:105], v[106:107] offset0:42 offset1:43
	ds_store_2addr_b64 v202, v[100:101], v[102:103] offset0:44 offset1:45
	ds_store_2addr_b64 v202, v[96:97], v[98:99] offset0:46 offset1:47
	ds_store_2addr_b64 v202, v[92:93], v[94:95] offset0:48 offset1:49
	ds_store_2addr_b64 v202, v[88:89], v[90:91] offset0:50 offset1:51
	ds_store_2addr_b64 v202, v[84:85], v[86:87] offset0:52 offset1:53
	ds_store_2addr_b64 v202, v[80:81], v[82:83] offset0:54 offset1:55
	ds_store_2addr_b64 v202, v[76:77], v[78:79] offset0:56 offset1:57
	ds_store_2addr_b64 v202, v[72:73], v[74:75] offset0:58 offset1:59
	ds_store_2addr_b64 v202, v[68:69], v[70:71] offset0:60 offset1:61
	ds_store_2addr_b64 v202, v[64:65], v[66:67] offset0:62 offset1:63
	ds_store_2addr_b64 v202, v[60:61], v[62:63] offset0:64 offset1:65
	ds_store_2addr_b64 v202, v[56:57], v[58:59] offset0:66 offset1:67
	ds_store_2addr_b64 v202, v[52:53], v[54:55] offset0:68 offset1:69
	ds_store_2addr_b64 v202, v[48:49], v[50:51] offset0:70 offset1:71
	ds_store_2addr_b64 v202, v[44:45], v[46:47] offset0:72 offset1:73
	ds_store_2addr_b64 v202, v[40:41], v[42:43] offset0:74 offset1:75
	ds_store_2addr_b64 v202, v[36:37], v[38:39] offset0:76 offset1:77
	ds_store_2addr_b64 v202, v[32:33], v[34:35] offset0:78 offset1:79
	ds_store_2addr_b64 v202, v[28:29], v[30:31] offset0:80 offset1:81
	ds_store_2addr_b64 v202, v[24:25], v[26:27] offset0:82 offset1:83
	ds_store_2addr_b64 v202, v[20:21], v[22:23] offset0:84 offset1:85
	ds_store_2addr_b64 v202, v[16:17], v[18:19] offset0:86 offset1:87
	ds_store_2addr_b64 v202, v[12:13], v[14:15] offset0:88 offset1:89
	ds_store_2addr_b64 v202, v[8:9], v[10:11] offset0:90 offset1:91
	ds_store_2addr_b64 v202, v[4:5], v[6:7] offset0:92 offset1:93
	ds_store_2addr_b64 v202, v[0:1], v[2:3] offset0:94 offset1:95
.LBB94_438:
	s_or_b32 exec_lo, exec_lo, s2
	s_delay_alu instid0(SALU_CYCLE_1)
	s_mov_b32 s2, exec_lo
	s_waitcnt lgkmcnt(0)
	s_waitcnt_vscnt null, 0x0
	s_barrier
	buffer_gl0_inv
	v_cmpx_lt_i32_e32 20, v208
	s_cbranch_execz .LBB94_440
; %bb.439:
	v_mul_f64 v[200:201], v[194:195], v[110:111]
	v_mul_f64 v[110:111], v[192:193], v[110:111]
	s_delay_alu instid0(VALU_DEP_2) | instskip(NEXT) | instid1(VALU_DEP_2)
	v_fma_f64 v[200:201], v[192:193], v[108:109], -v[200:201]
	v_fma_f64 v[110:111], v[194:195], v[108:109], v[110:111]
	ds_load_2addr_b64 v[192:195], v202 offset0:42 offset1:43
	s_waitcnt lgkmcnt(0)
	v_mul_f64 v[108:109], v[194:195], v[110:111]
	s_delay_alu instid0(VALU_DEP_1) | instskip(SKIP_1) | instid1(VALU_DEP_2)
	v_fma_f64 v[108:109], v[192:193], v[200:201], -v[108:109]
	v_mul_f64 v[192:193], v[192:193], v[110:111]
	v_add_f64 v[104:105], v[104:105], -v[108:109]
	s_delay_alu instid0(VALU_DEP_2) | instskip(NEXT) | instid1(VALU_DEP_1)
	v_fma_f64 v[192:193], v[194:195], v[200:201], v[192:193]
	v_add_f64 v[106:107], v[106:107], -v[192:193]
	ds_load_2addr_b64 v[192:195], v202 offset0:44 offset1:45
	s_waitcnt lgkmcnt(0)
	v_mul_f64 v[108:109], v[194:195], v[110:111]
	s_delay_alu instid0(VALU_DEP_1) | instskip(SKIP_1) | instid1(VALU_DEP_2)
	v_fma_f64 v[108:109], v[192:193], v[200:201], -v[108:109]
	v_mul_f64 v[192:193], v[192:193], v[110:111]
	v_add_f64 v[100:101], v[100:101], -v[108:109]
	s_delay_alu instid0(VALU_DEP_2) | instskip(NEXT) | instid1(VALU_DEP_1)
	v_fma_f64 v[192:193], v[194:195], v[200:201], v[192:193]
	v_add_f64 v[102:103], v[102:103], -v[192:193]
	;; [unrolled: 10-line block ×26, first 2 shown]
	ds_load_2addr_b64 v[192:195], v202 offset0:94 offset1:95
	s_waitcnt lgkmcnt(0)
	v_mul_f64 v[108:109], v[194:195], v[110:111]
	s_delay_alu instid0(VALU_DEP_1) | instskip(SKIP_1) | instid1(VALU_DEP_2)
	v_fma_f64 v[108:109], v[192:193], v[200:201], -v[108:109]
	v_mul_f64 v[192:193], v[192:193], v[110:111]
	v_add_f64 v[0:1], v[0:1], -v[108:109]
	s_delay_alu instid0(VALU_DEP_2) | instskip(SKIP_1) | instid1(VALU_DEP_2)
	v_fma_f64 v[192:193], v[194:195], v[200:201], v[192:193]
	v_dual_mov_b32 v108, v200 :: v_dual_mov_b32 v109, v201
	v_add_f64 v[2:3], v[2:3], -v[192:193]
.LBB94_440:
	s_or_b32 exec_lo, exec_lo, s2
	v_lshl_add_u32 v192, v208, 4, v202
	s_barrier
	buffer_gl0_inv
	v_mov_b32_e32 v200, 21
	ds_store_2addr_b64 v192, v[104:105], v[106:107] offset1:1
	s_waitcnt lgkmcnt(0)
	s_barrier
	buffer_gl0_inv
	ds_load_2addr_b64 v[192:195], v202 offset0:42 offset1:43
	s_cmp_lt_i32 s5, 23
	s_cbranch_scc1 .LBB94_443
; %bb.441:
	v_add3_u32 v201, v207, 0, 0x160
	v_mov_b32_e32 v200, 21
	s_mov_b32 s6, 22
	s_set_inst_prefetch_distance 0x1
	.p2align	6
.LBB94_442:                             ; =>This Inner Loop Header: Depth=1
	ds_load_2addr_b64 v[209:212], v201 offset1:1
	s_waitcnt lgkmcnt(1)
	v_cmp_gt_f64_e32 vcc_lo, 0, v[192:193]
	v_xor_b32_e32 v213, 0x80000000, v193
	v_cmp_gt_f64_e64 s2, 0, v[194:195]
	v_xor_b32_e32 v215, 0x80000000, v195
	v_add_nc_u32_e32 v201, 16, v201
	s_waitcnt lgkmcnt(0)
	v_cmp_gt_f64_e64 s3, 0, v[209:210]
	v_mov_b32_e32 v217, v209
	v_dual_mov_b32 v219, v211 :: v_dual_cndmask_b32 v214, v193, v213
	v_xor_b32_e32 v213, 0x80000000, v210
	v_cndmask_b32_e64 v216, v195, v215, s2
	v_xor_b32_e32 v215, 0x80000000, v212
	s_delay_alu instid0(VALU_DEP_3) | instskip(SKIP_2) | instid1(VALU_DEP_2)
	v_cndmask_b32_e64 v218, v210, v213, s3
	v_cmp_gt_f64_e64 s3, 0, v[211:212]
	v_cndmask_b32_e32 v213, v192, v192, vcc_lo
	v_cndmask_b32_e64 v220, v212, v215, s3
	v_cndmask_b32_e64 v215, v194, v194, s2
	s_delay_alu instid0(VALU_DEP_2) | instskip(NEXT) | instid1(VALU_DEP_2)
	v_add_f64 v[217:218], v[217:218], v[219:220]
	v_add_f64 v[213:214], v[213:214], v[215:216]
	s_delay_alu instid0(VALU_DEP_1) | instskip(SKIP_4) | instid1(SALU_CYCLE_1)
	v_cmp_lt_f64_e32 vcc_lo, v[213:214], v[217:218]
	v_dual_cndmask_b32 v194, v194, v211 :: v_dual_cndmask_b32 v193, v193, v210
	v_dual_cndmask_b32 v192, v192, v209 :: v_dual_cndmask_b32 v195, v195, v212
	v_cndmask_b32_e64 v200, v200, s6, vcc_lo
	s_add_i32 s6, s6, 1
	s_cmp_lg_u32 s5, s6
	s_cbranch_scc1 .LBB94_442
.LBB94_443:
	s_set_inst_prefetch_distance 0x2
	s_waitcnt lgkmcnt(0)
	v_cmp_eq_f64_e32 vcc_lo, 0, v[192:193]
	v_cmp_eq_f64_e64 s2, 0, v[194:195]
	s_delay_alu instid0(VALU_DEP_1) | instskip(NEXT) | instid1(SALU_CYCLE_1)
	s_and_b32 s2, vcc_lo, s2
	s_and_saveexec_b32 s3, s2
	s_delay_alu instid0(SALU_CYCLE_1)
	s_xor_b32 s2, exec_lo, s3
; %bb.444:
	v_cmp_ne_u32_e32 vcc_lo, 0, v205
	v_cndmask_b32_e32 v205, 22, v205, vcc_lo
; %bb.445:
	s_and_not1_saveexec_b32 s3, s2
	s_cbranch_execz .LBB94_451
; %bb.446:
	v_cmp_gt_f64_e32 vcc_lo, 0, v[192:193]
	v_cmp_gt_f64_e64 s2, 0, v[194:195]
	v_xor_b32_e32 v201, 0x80000000, v193
	v_xor_b32_e32 v209, 0x80000000, v195
	s_delay_alu instid0(VALU_DEP_2) | instskip(NEXT) | instid1(VALU_DEP_2)
	v_cndmask_b32_e32 v210, v193, v201, vcc_lo
	v_cndmask_b32_e64 v212, v195, v209, s2
	v_cndmask_b32_e32 v209, v192, v192, vcc_lo
	v_cndmask_b32_e64 v211, v194, v194, s2
	s_mov_b32 s2, exec_lo
	s_delay_alu instid0(VALU_DEP_1)
	v_cmpx_ngt_f64_e32 v[209:210], v[211:212]
	s_xor_b32 s2, exec_lo, s2
	s_cbranch_execz .LBB94_448
; %bb.447:
	v_div_scale_f64 v[209:210], null, v[194:195], v[194:195], v[192:193]
	v_div_scale_f64 v[215:216], vcc_lo, v[192:193], v[194:195], v[192:193]
	s_delay_alu instid0(VALU_DEP_2) | instskip(SKIP_2) | instid1(VALU_DEP_1)
	v_rcp_f64_e32 v[211:212], v[209:210]
	s_waitcnt_depctr 0xfff
	v_fma_f64 v[213:214], -v[209:210], v[211:212], 1.0
	v_fma_f64 v[211:212], v[211:212], v[213:214], v[211:212]
	s_delay_alu instid0(VALU_DEP_1) | instskip(NEXT) | instid1(VALU_DEP_1)
	v_fma_f64 v[213:214], -v[209:210], v[211:212], 1.0
	v_fma_f64 v[211:212], v[211:212], v[213:214], v[211:212]
	s_delay_alu instid0(VALU_DEP_1) | instskip(NEXT) | instid1(VALU_DEP_1)
	v_mul_f64 v[213:214], v[215:216], v[211:212]
	v_fma_f64 v[209:210], -v[209:210], v[213:214], v[215:216]
	s_delay_alu instid0(VALU_DEP_1) | instskip(NEXT) | instid1(VALU_DEP_1)
	v_div_fmas_f64 v[209:210], v[209:210], v[211:212], v[213:214]
	v_div_fixup_f64 v[209:210], v[209:210], v[194:195], v[192:193]
	s_delay_alu instid0(VALU_DEP_1) | instskip(NEXT) | instid1(VALU_DEP_1)
	v_fma_f64 v[192:193], v[192:193], v[209:210], v[194:195]
	v_div_scale_f64 v[194:195], null, v[192:193], v[192:193], 1.0
	s_delay_alu instid0(VALU_DEP_1) | instskip(SKIP_2) | instid1(VALU_DEP_1)
	v_rcp_f64_e32 v[211:212], v[194:195]
	s_waitcnt_depctr 0xfff
	v_fma_f64 v[213:214], -v[194:195], v[211:212], 1.0
	v_fma_f64 v[211:212], v[211:212], v[213:214], v[211:212]
	s_delay_alu instid0(VALU_DEP_1) | instskip(NEXT) | instid1(VALU_DEP_1)
	v_fma_f64 v[213:214], -v[194:195], v[211:212], 1.0
	v_fma_f64 v[211:212], v[211:212], v[213:214], v[211:212]
	v_div_scale_f64 v[213:214], vcc_lo, 1.0, v[192:193], 1.0
	s_delay_alu instid0(VALU_DEP_1) | instskip(NEXT) | instid1(VALU_DEP_1)
	v_mul_f64 v[215:216], v[213:214], v[211:212]
	v_fma_f64 v[194:195], -v[194:195], v[215:216], v[213:214]
	s_delay_alu instid0(VALU_DEP_1) | instskip(NEXT) | instid1(VALU_DEP_1)
	v_div_fmas_f64 v[194:195], v[194:195], v[211:212], v[215:216]
	v_div_fixup_f64 v[194:195], v[194:195], v[192:193], 1.0
	s_delay_alu instid0(VALU_DEP_1)
	v_mul_f64 v[192:193], v[209:210], v[194:195]
	v_xor_b32_e32 v195, 0x80000000, v195
.LBB94_448:
	s_and_not1_saveexec_b32 s2, s2
	s_cbranch_execz .LBB94_450
; %bb.449:
	s_delay_alu instid0(VALU_DEP_1) | instskip(SKIP_1) | instid1(VALU_DEP_2)
	v_div_scale_f64 v[209:210], null, v[192:193], v[192:193], v[194:195]
	v_div_scale_f64 v[215:216], vcc_lo, v[194:195], v[192:193], v[194:195]
	v_rcp_f64_e32 v[211:212], v[209:210]
	s_waitcnt_depctr 0xfff
	v_fma_f64 v[213:214], -v[209:210], v[211:212], 1.0
	s_delay_alu instid0(VALU_DEP_1) | instskip(NEXT) | instid1(VALU_DEP_1)
	v_fma_f64 v[211:212], v[211:212], v[213:214], v[211:212]
	v_fma_f64 v[213:214], -v[209:210], v[211:212], 1.0
	s_delay_alu instid0(VALU_DEP_1) | instskip(NEXT) | instid1(VALU_DEP_1)
	v_fma_f64 v[211:212], v[211:212], v[213:214], v[211:212]
	v_mul_f64 v[213:214], v[215:216], v[211:212]
	s_delay_alu instid0(VALU_DEP_1) | instskip(NEXT) | instid1(VALU_DEP_1)
	v_fma_f64 v[209:210], -v[209:210], v[213:214], v[215:216]
	v_div_fmas_f64 v[209:210], v[209:210], v[211:212], v[213:214]
	s_delay_alu instid0(VALU_DEP_1) | instskip(NEXT) | instid1(VALU_DEP_1)
	v_div_fixup_f64 v[209:210], v[209:210], v[192:193], v[194:195]
	v_fma_f64 v[192:193], v[194:195], v[209:210], v[192:193]
	s_delay_alu instid0(VALU_DEP_1) | instskip(NEXT) | instid1(VALU_DEP_1)
	v_div_scale_f64 v[194:195], null, v[192:193], v[192:193], 1.0
	v_rcp_f64_e32 v[211:212], v[194:195]
	s_waitcnt_depctr 0xfff
	v_fma_f64 v[213:214], -v[194:195], v[211:212], 1.0
	s_delay_alu instid0(VALU_DEP_1) | instskip(NEXT) | instid1(VALU_DEP_1)
	v_fma_f64 v[211:212], v[211:212], v[213:214], v[211:212]
	v_fma_f64 v[213:214], -v[194:195], v[211:212], 1.0
	s_delay_alu instid0(VALU_DEP_1) | instskip(SKIP_1) | instid1(VALU_DEP_1)
	v_fma_f64 v[211:212], v[211:212], v[213:214], v[211:212]
	v_div_scale_f64 v[213:214], vcc_lo, 1.0, v[192:193], 1.0
	v_mul_f64 v[215:216], v[213:214], v[211:212]
	s_delay_alu instid0(VALU_DEP_1) | instskip(NEXT) | instid1(VALU_DEP_1)
	v_fma_f64 v[194:195], -v[194:195], v[215:216], v[213:214]
	v_div_fmas_f64 v[194:195], v[194:195], v[211:212], v[215:216]
	s_delay_alu instid0(VALU_DEP_1) | instskip(NEXT) | instid1(VALU_DEP_1)
	v_div_fixup_f64 v[192:193], v[194:195], v[192:193], 1.0
	v_mul_f64 v[194:195], v[209:210], -v[192:193]
.LBB94_450:
	s_or_b32 exec_lo, exec_lo, s2
.LBB94_451:
	s_delay_alu instid0(SALU_CYCLE_1) | instskip(NEXT) | instid1(SALU_CYCLE_1)
	s_or_b32 exec_lo, exec_lo, s3
	s_mov_b32 s2, exec_lo
	v_cmpx_ne_u32_e64 v208, v200
	s_xor_b32 s2, exec_lo, s2
	s_cbranch_execz .LBB94_457
; %bb.452:
	s_mov_b32 s3, exec_lo
	v_cmpx_eq_u32_e32 21, v208
	s_cbranch_execz .LBB94_456
; %bb.453:
	v_cmp_ne_u32_e32 vcc_lo, 21, v200
	s_xor_b32 s6, s4, -1
	s_delay_alu instid0(SALU_CYCLE_1) | instskip(NEXT) | instid1(SALU_CYCLE_1)
	s_and_b32 s7, s6, vcc_lo
	s_and_saveexec_b32 s6, s7
	s_cbranch_execz .LBB94_455
; %bb.454:
	v_ashrrev_i32_e32 v201, 31, v200
	s_delay_alu instid0(VALU_DEP_1) | instskip(NEXT) | instid1(VALU_DEP_1)
	v_lshlrev_b64 v[208:209], 2, v[200:201]
	v_add_co_u32 v208, vcc_lo, v198, v208
	s_delay_alu instid0(VALU_DEP_2)
	v_add_co_ci_u32_e32 v209, vcc_lo, v199, v209, vcc_lo
	s_clause 0x1
	flat_load_b32 v201, v[208:209]
	flat_load_b32 v206, v[198:199] offset:84
	s_waitcnt vmcnt(1) lgkmcnt(1)
	flat_store_b32 v[198:199], v201 offset:84
	s_waitcnt vmcnt(0) lgkmcnt(1)
	flat_store_b32 v[208:209], v206
.LBB94_455:
	s_or_b32 exec_lo, exec_lo, s6
	v_mov_b32_e32 v208, v200
	v_mov_b32_e32 v206, v200
.LBB94_456:
	s_or_b32 exec_lo, exec_lo, s3
.LBB94_457:
	s_and_not1_saveexec_b32 s2, s2
	s_cbranch_execz .LBB94_459
; %bb.458:
	v_mov_b32_e32 v208, 21
	ds_store_2addr_b64 v202, v[100:101], v[102:103] offset0:44 offset1:45
	ds_store_2addr_b64 v202, v[96:97], v[98:99] offset0:46 offset1:47
	;; [unrolled: 1-line block ×26, first 2 shown]
.LBB94_459:
	s_or_b32 exec_lo, exec_lo, s2
	s_delay_alu instid0(SALU_CYCLE_1)
	s_mov_b32 s2, exec_lo
	s_waitcnt lgkmcnt(0)
	s_waitcnt_vscnt null, 0x0
	s_barrier
	buffer_gl0_inv
	v_cmpx_lt_i32_e32 21, v208
	s_cbranch_execz .LBB94_461
; %bb.460:
	v_mul_f64 v[200:201], v[194:195], v[106:107]
	v_mul_f64 v[106:107], v[192:193], v[106:107]
	s_delay_alu instid0(VALU_DEP_2) | instskip(NEXT) | instid1(VALU_DEP_2)
	v_fma_f64 v[200:201], v[192:193], v[104:105], -v[200:201]
	v_fma_f64 v[106:107], v[194:195], v[104:105], v[106:107]
	ds_load_2addr_b64 v[192:195], v202 offset0:44 offset1:45
	s_waitcnt lgkmcnt(0)
	v_mul_f64 v[104:105], v[194:195], v[106:107]
	s_delay_alu instid0(VALU_DEP_1) | instskip(SKIP_1) | instid1(VALU_DEP_2)
	v_fma_f64 v[104:105], v[192:193], v[200:201], -v[104:105]
	v_mul_f64 v[192:193], v[192:193], v[106:107]
	v_add_f64 v[100:101], v[100:101], -v[104:105]
	s_delay_alu instid0(VALU_DEP_2) | instskip(NEXT) | instid1(VALU_DEP_1)
	v_fma_f64 v[192:193], v[194:195], v[200:201], v[192:193]
	v_add_f64 v[102:103], v[102:103], -v[192:193]
	ds_load_2addr_b64 v[192:195], v202 offset0:46 offset1:47
	s_waitcnt lgkmcnt(0)
	v_mul_f64 v[104:105], v[194:195], v[106:107]
	s_delay_alu instid0(VALU_DEP_1) | instskip(SKIP_1) | instid1(VALU_DEP_2)
	v_fma_f64 v[104:105], v[192:193], v[200:201], -v[104:105]
	v_mul_f64 v[192:193], v[192:193], v[106:107]
	v_add_f64 v[96:97], v[96:97], -v[104:105]
	s_delay_alu instid0(VALU_DEP_2) | instskip(NEXT) | instid1(VALU_DEP_1)
	v_fma_f64 v[192:193], v[194:195], v[200:201], v[192:193]
	v_add_f64 v[98:99], v[98:99], -v[192:193]
	;; [unrolled: 10-line block ×25, first 2 shown]
	ds_load_2addr_b64 v[192:195], v202 offset0:94 offset1:95
	s_waitcnt lgkmcnt(0)
	v_mul_f64 v[104:105], v[194:195], v[106:107]
	s_delay_alu instid0(VALU_DEP_1) | instskip(SKIP_1) | instid1(VALU_DEP_2)
	v_fma_f64 v[104:105], v[192:193], v[200:201], -v[104:105]
	v_mul_f64 v[192:193], v[192:193], v[106:107]
	v_add_f64 v[0:1], v[0:1], -v[104:105]
	s_delay_alu instid0(VALU_DEP_2) | instskip(SKIP_1) | instid1(VALU_DEP_2)
	v_fma_f64 v[192:193], v[194:195], v[200:201], v[192:193]
	v_dual_mov_b32 v104, v200 :: v_dual_mov_b32 v105, v201
	v_add_f64 v[2:3], v[2:3], -v[192:193]
.LBB94_461:
	s_or_b32 exec_lo, exec_lo, s2
	v_lshl_add_u32 v192, v208, 4, v202
	s_barrier
	buffer_gl0_inv
	v_mov_b32_e32 v200, 22
	ds_store_2addr_b64 v192, v[100:101], v[102:103] offset1:1
	s_waitcnt lgkmcnt(0)
	s_barrier
	buffer_gl0_inv
	ds_load_2addr_b64 v[192:195], v202 offset0:44 offset1:45
	s_cmp_lt_i32 s5, 24
	s_cbranch_scc1 .LBB94_464
; %bb.462:
	v_add3_u32 v201, v207, 0, 0x170
	v_mov_b32_e32 v200, 22
	s_mov_b32 s6, 23
	s_set_inst_prefetch_distance 0x1
	.p2align	6
.LBB94_463:                             ; =>This Inner Loop Header: Depth=1
	ds_load_2addr_b64 v[209:212], v201 offset1:1
	s_waitcnt lgkmcnt(1)
	v_cmp_gt_f64_e32 vcc_lo, 0, v[192:193]
	v_xor_b32_e32 v213, 0x80000000, v193
	v_cmp_gt_f64_e64 s2, 0, v[194:195]
	v_xor_b32_e32 v215, 0x80000000, v195
	v_add_nc_u32_e32 v201, 16, v201
	s_waitcnt lgkmcnt(0)
	v_cmp_gt_f64_e64 s3, 0, v[209:210]
	v_mov_b32_e32 v217, v209
	v_dual_mov_b32 v219, v211 :: v_dual_cndmask_b32 v214, v193, v213
	v_xor_b32_e32 v213, 0x80000000, v210
	v_cndmask_b32_e64 v216, v195, v215, s2
	v_xor_b32_e32 v215, 0x80000000, v212
	s_delay_alu instid0(VALU_DEP_3) | instskip(SKIP_2) | instid1(VALU_DEP_2)
	v_cndmask_b32_e64 v218, v210, v213, s3
	v_cmp_gt_f64_e64 s3, 0, v[211:212]
	v_cndmask_b32_e32 v213, v192, v192, vcc_lo
	v_cndmask_b32_e64 v220, v212, v215, s3
	v_cndmask_b32_e64 v215, v194, v194, s2
	s_delay_alu instid0(VALU_DEP_2) | instskip(NEXT) | instid1(VALU_DEP_2)
	v_add_f64 v[217:218], v[217:218], v[219:220]
	v_add_f64 v[213:214], v[213:214], v[215:216]
	s_delay_alu instid0(VALU_DEP_1) | instskip(SKIP_4) | instid1(SALU_CYCLE_1)
	v_cmp_lt_f64_e32 vcc_lo, v[213:214], v[217:218]
	v_dual_cndmask_b32 v194, v194, v211 :: v_dual_cndmask_b32 v193, v193, v210
	v_dual_cndmask_b32 v192, v192, v209 :: v_dual_cndmask_b32 v195, v195, v212
	v_cndmask_b32_e64 v200, v200, s6, vcc_lo
	s_add_i32 s6, s6, 1
	s_cmp_lg_u32 s5, s6
	s_cbranch_scc1 .LBB94_463
.LBB94_464:
	s_set_inst_prefetch_distance 0x2
	s_waitcnt lgkmcnt(0)
	v_cmp_eq_f64_e32 vcc_lo, 0, v[192:193]
	v_cmp_eq_f64_e64 s2, 0, v[194:195]
	s_delay_alu instid0(VALU_DEP_1) | instskip(NEXT) | instid1(SALU_CYCLE_1)
	s_and_b32 s2, vcc_lo, s2
	s_and_saveexec_b32 s3, s2
	s_delay_alu instid0(SALU_CYCLE_1)
	s_xor_b32 s2, exec_lo, s3
; %bb.465:
	v_cmp_ne_u32_e32 vcc_lo, 0, v205
	v_cndmask_b32_e32 v205, 23, v205, vcc_lo
; %bb.466:
	s_and_not1_saveexec_b32 s3, s2
	s_cbranch_execz .LBB94_472
; %bb.467:
	v_cmp_gt_f64_e32 vcc_lo, 0, v[192:193]
	v_cmp_gt_f64_e64 s2, 0, v[194:195]
	v_xor_b32_e32 v201, 0x80000000, v193
	v_xor_b32_e32 v209, 0x80000000, v195
	s_delay_alu instid0(VALU_DEP_2) | instskip(NEXT) | instid1(VALU_DEP_2)
	v_cndmask_b32_e32 v210, v193, v201, vcc_lo
	v_cndmask_b32_e64 v212, v195, v209, s2
	v_cndmask_b32_e32 v209, v192, v192, vcc_lo
	v_cndmask_b32_e64 v211, v194, v194, s2
	s_mov_b32 s2, exec_lo
	s_delay_alu instid0(VALU_DEP_1)
	v_cmpx_ngt_f64_e32 v[209:210], v[211:212]
	s_xor_b32 s2, exec_lo, s2
	s_cbranch_execz .LBB94_469
; %bb.468:
	v_div_scale_f64 v[209:210], null, v[194:195], v[194:195], v[192:193]
	v_div_scale_f64 v[215:216], vcc_lo, v[192:193], v[194:195], v[192:193]
	s_delay_alu instid0(VALU_DEP_2) | instskip(SKIP_2) | instid1(VALU_DEP_1)
	v_rcp_f64_e32 v[211:212], v[209:210]
	s_waitcnt_depctr 0xfff
	v_fma_f64 v[213:214], -v[209:210], v[211:212], 1.0
	v_fma_f64 v[211:212], v[211:212], v[213:214], v[211:212]
	s_delay_alu instid0(VALU_DEP_1) | instskip(NEXT) | instid1(VALU_DEP_1)
	v_fma_f64 v[213:214], -v[209:210], v[211:212], 1.0
	v_fma_f64 v[211:212], v[211:212], v[213:214], v[211:212]
	s_delay_alu instid0(VALU_DEP_1) | instskip(NEXT) | instid1(VALU_DEP_1)
	v_mul_f64 v[213:214], v[215:216], v[211:212]
	v_fma_f64 v[209:210], -v[209:210], v[213:214], v[215:216]
	s_delay_alu instid0(VALU_DEP_1) | instskip(NEXT) | instid1(VALU_DEP_1)
	v_div_fmas_f64 v[209:210], v[209:210], v[211:212], v[213:214]
	v_div_fixup_f64 v[209:210], v[209:210], v[194:195], v[192:193]
	s_delay_alu instid0(VALU_DEP_1) | instskip(NEXT) | instid1(VALU_DEP_1)
	v_fma_f64 v[192:193], v[192:193], v[209:210], v[194:195]
	v_div_scale_f64 v[194:195], null, v[192:193], v[192:193], 1.0
	s_delay_alu instid0(VALU_DEP_1) | instskip(SKIP_2) | instid1(VALU_DEP_1)
	v_rcp_f64_e32 v[211:212], v[194:195]
	s_waitcnt_depctr 0xfff
	v_fma_f64 v[213:214], -v[194:195], v[211:212], 1.0
	v_fma_f64 v[211:212], v[211:212], v[213:214], v[211:212]
	s_delay_alu instid0(VALU_DEP_1) | instskip(NEXT) | instid1(VALU_DEP_1)
	v_fma_f64 v[213:214], -v[194:195], v[211:212], 1.0
	v_fma_f64 v[211:212], v[211:212], v[213:214], v[211:212]
	v_div_scale_f64 v[213:214], vcc_lo, 1.0, v[192:193], 1.0
	s_delay_alu instid0(VALU_DEP_1) | instskip(NEXT) | instid1(VALU_DEP_1)
	v_mul_f64 v[215:216], v[213:214], v[211:212]
	v_fma_f64 v[194:195], -v[194:195], v[215:216], v[213:214]
	s_delay_alu instid0(VALU_DEP_1) | instskip(NEXT) | instid1(VALU_DEP_1)
	v_div_fmas_f64 v[194:195], v[194:195], v[211:212], v[215:216]
	v_div_fixup_f64 v[194:195], v[194:195], v[192:193], 1.0
	s_delay_alu instid0(VALU_DEP_1)
	v_mul_f64 v[192:193], v[209:210], v[194:195]
	v_xor_b32_e32 v195, 0x80000000, v195
.LBB94_469:
	s_and_not1_saveexec_b32 s2, s2
	s_cbranch_execz .LBB94_471
; %bb.470:
	s_delay_alu instid0(VALU_DEP_1) | instskip(SKIP_1) | instid1(VALU_DEP_2)
	v_div_scale_f64 v[209:210], null, v[192:193], v[192:193], v[194:195]
	v_div_scale_f64 v[215:216], vcc_lo, v[194:195], v[192:193], v[194:195]
	v_rcp_f64_e32 v[211:212], v[209:210]
	s_waitcnt_depctr 0xfff
	v_fma_f64 v[213:214], -v[209:210], v[211:212], 1.0
	s_delay_alu instid0(VALU_DEP_1) | instskip(NEXT) | instid1(VALU_DEP_1)
	v_fma_f64 v[211:212], v[211:212], v[213:214], v[211:212]
	v_fma_f64 v[213:214], -v[209:210], v[211:212], 1.0
	s_delay_alu instid0(VALU_DEP_1) | instskip(NEXT) | instid1(VALU_DEP_1)
	v_fma_f64 v[211:212], v[211:212], v[213:214], v[211:212]
	v_mul_f64 v[213:214], v[215:216], v[211:212]
	s_delay_alu instid0(VALU_DEP_1) | instskip(NEXT) | instid1(VALU_DEP_1)
	v_fma_f64 v[209:210], -v[209:210], v[213:214], v[215:216]
	v_div_fmas_f64 v[209:210], v[209:210], v[211:212], v[213:214]
	s_delay_alu instid0(VALU_DEP_1) | instskip(NEXT) | instid1(VALU_DEP_1)
	v_div_fixup_f64 v[209:210], v[209:210], v[192:193], v[194:195]
	v_fma_f64 v[192:193], v[194:195], v[209:210], v[192:193]
	s_delay_alu instid0(VALU_DEP_1) | instskip(NEXT) | instid1(VALU_DEP_1)
	v_div_scale_f64 v[194:195], null, v[192:193], v[192:193], 1.0
	v_rcp_f64_e32 v[211:212], v[194:195]
	s_waitcnt_depctr 0xfff
	v_fma_f64 v[213:214], -v[194:195], v[211:212], 1.0
	s_delay_alu instid0(VALU_DEP_1) | instskip(NEXT) | instid1(VALU_DEP_1)
	v_fma_f64 v[211:212], v[211:212], v[213:214], v[211:212]
	v_fma_f64 v[213:214], -v[194:195], v[211:212], 1.0
	s_delay_alu instid0(VALU_DEP_1) | instskip(SKIP_1) | instid1(VALU_DEP_1)
	v_fma_f64 v[211:212], v[211:212], v[213:214], v[211:212]
	v_div_scale_f64 v[213:214], vcc_lo, 1.0, v[192:193], 1.0
	v_mul_f64 v[215:216], v[213:214], v[211:212]
	s_delay_alu instid0(VALU_DEP_1) | instskip(NEXT) | instid1(VALU_DEP_1)
	v_fma_f64 v[194:195], -v[194:195], v[215:216], v[213:214]
	v_div_fmas_f64 v[194:195], v[194:195], v[211:212], v[215:216]
	s_delay_alu instid0(VALU_DEP_1) | instskip(NEXT) | instid1(VALU_DEP_1)
	v_div_fixup_f64 v[192:193], v[194:195], v[192:193], 1.0
	v_mul_f64 v[194:195], v[209:210], -v[192:193]
.LBB94_471:
	s_or_b32 exec_lo, exec_lo, s2
.LBB94_472:
	s_delay_alu instid0(SALU_CYCLE_1) | instskip(NEXT) | instid1(SALU_CYCLE_1)
	s_or_b32 exec_lo, exec_lo, s3
	s_mov_b32 s2, exec_lo
	v_cmpx_ne_u32_e64 v208, v200
	s_xor_b32 s2, exec_lo, s2
	s_cbranch_execz .LBB94_478
; %bb.473:
	s_mov_b32 s3, exec_lo
	v_cmpx_eq_u32_e32 22, v208
	s_cbranch_execz .LBB94_477
; %bb.474:
	v_cmp_ne_u32_e32 vcc_lo, 22, v200
	s_xor_b32 s6, s4, -1
	s_delay_alu instid0(SALU_CYCLE_1) | instskip(NEXT) | instid1(SALU_CYCLE_1)
	s_and_b32 s7, s6, vcc_lo
	s_and_saveexec_b32 s6, s7
	s_cbranch_execz .LBB94_476
; %bb.475:
	v_ashrrev_i32_e32 v201, 31, v200
	s_delay_alu instid0(VALU_DEP_1) | instskip(NEXT) | instid1(VALU_DEP_1)
	v_lshlrev_b64 v[208:209], 2, v[200:201]
	v_add_co_u32 v208, vcc_lo, v198, v208
	s_delay_alu instid0(VALU_DEP_2)
	v_add_co_ci_u32_e32 v209, vcc_lo, v199, v209, vcc_lo
	s_clause 0x1
	flat_load_b32 v201, v[208:209]
	flat_load_b32 v206, v[198:199] offset:88
	s_waitcnt vmcnt(1) lgkmcnt(1)
	flat_store_b32 v[198:199], v201 offset:88
	s_waitcnt vmcnt(0) lgkmcnt(1)
	flat_store_b32 v[208:209], v206
.LBB94_476:
	s_or_b32 exec_lo, exec_lo, s6
	v_mov_b32_e32 v208, v200
	v_mov_b32_e32 v206, v200
.LBB94_477:
	s_or_b32 exec_lo, exec_lo, s3
.LBB94_478:
	s_and_not1_saveexec_b32 s2, s2
	s_cbranch_execz .LBB94_480
; %bb.479:
	v_mov_b32_e32 v208, 22
	ds_store_2addr_b64 v202, v[96:97], v[98:99] offset0:46 offset1:47
	ds_store_2addr_b64 v202, v[92:93], v[94:95] offset0:48 offset1:49
	;; [unrolled: 1-line block ×25, first 2 shown]
.LBB94_480:
	s_or_b32 exec_lo, exec_lo, s2
	s_delay_alu instid0(SALU_CYCLE_1)
	s_mov_b32 s2, exec_lo
	s_waitcnt lgkmcnt(0)
	s_waitcnt_vscnt null, 0x0
	s_barrier
	buffer_gl0_inv
	v_cmpx_lt_i32_e32 22, v208
	s_cbranch_execz .LBB94_482
; %bb.481:
	v_mul_f64 v[200:201], v[194:195], v[102:103]
	v_mul_f64 v[102:103], v[192:193], v[102:103]
	s_delay_alu instid0(VALU_DEP_2) | instskip(NEXT) | instid1(VALU_DEP_2)
	v_fma_f64 v[200:201], v[192:193], v[100:101], -v[200:201]
	v_fma_f64 v[102:103], v[194:195], v[100:101], v[102:103]
	ds_load_2addr_b64 v[192:195], v202 offset0:46 offset1:47
	s_waitcnt lgkmcnt(0)
	v_mul_f64 v[100:101], v[194:195], v[102:103]
	s_delay_alu instid0(VALU_DEP_1) | instskip(SKIP_1) | instid1(VALU_DEP_2)
	v_fma_f64 v[100:101], v[192:193], v[200:201], -v[100:101]
	v_mul_f64 v[192:193], v[192:193], v[102:103]
	v_add_f64 v[96:97], v[96:97], -v[100:101]
	s_delay_alu instid0(VALU_DEP_2) | instskip(NEXT) | instid1(VALU_DEP_1)
	v_fma_f64 v[192:193], v[194:195], v[200:201], v[192:193]
	v_add_f64 v[98:99], v[98:99], -v[192:193]
	ds_load_2addr_b64 v[192:195], v202 offset0:48 offset1:49
	s_waitcnt lgkmcnt(0)
	v_mul_f64 v[100:101], v[194:195], v[102:103]
	s_delay_alu instid0(VALU_DEP_1) | instskip(SKIP_1) | instid1(VALU_DEP_2)
	v_fma_f64 v[100:101], v[192:193], v[200:201], -v[100:101]
	v_mul_f64 v[192:193], v[192:193], v[102:103]
	v_add_f64 v[92:93], v[92:93], -v[100:101]
	s_delay_alu instid0(VALU_DEP_2) | instskip(NEXT) | instid1(VALU_DEP_1)
	v_fma_f64 v[192:193], v[194:195], v[200:201], v[192:193]
	v_add_f64 v[94:95], v[94:95], -v[192:193]
	;; [unrolled: 10-line block ×24, first 2 shown]
	ds_load_2addr_b64 v[192:195], v202 offset0:94 offset1:95
	s_waitcnt lgkmcnt(0)
	v_mul_f64 v[100:101], v[194:195], v[102:103]
	s_delay_alu instid0(VALU_DEP_1) | instskip(SKIP_1) | instid1(VALU_DEP_2)
	v_fma_f64 v[100:101], v[192:193], v[200:201], -v[100:101]
	v_mul_f64 v[192:193], v[192:193], v[102:103]
	v_add_f64 v[0:1], v[0:1], -v[100:101]
	s_delay_alu instid0(VALU_DEP_2) | instskip(SKIP_1) | instid1(VALU_DEP_2)
	v_fma_f64 v[192:193], v[194:195], v[200:201], v[192:193]
	v_dual_mov_b32 v100, v200 :: v_dual_mov_b32 v101, v201
	v_add_f64 v[2:3], v[2:3], -v[192:193]
.LBB94_482:
	s_or_b32 exec_lo, exec_lo, s2
	v_lshl_add_u32 v192, v208, 4, v202
	s_barrier
	buffer_gl0_inv
	v_mov_b32_e32 v200, 23
	ds_store_2addr_b64 v192, v[96:97], v[98:99] offset1:1
	s_waitcnt lgkmcnt(0)
	s_barrier
	buffer_gl0_inv
	ds_load_2addr_b64 v[192:195], v202 offset0:46 offset1:47
	s_cmp_lt_i32 s5, 25
	s_cbranch_scc1 .LBB94_485
; %bb.483:
	v_add3_u32 v201, v207, 0, 0x180
	v_mov_b32_e32 v200, 23
	s_mov_b32 s6, 24
	s_set_inst_prefetch_distance 0x1
	.p2align	6
.LBB94_484:                             ; =>This Inner Loop Header: Depth=1
	ds_load_2addr_b64 v[209:212], v201 offset1:1
	s_waitcnt lgkmcnt(1)
	v_cmp_gt_f64_e32 vcc_lo, 0, v[192:193]
	v_xor_b32_e32 v213, 0x80000000, v193
	v_cmp_gt_f64_e64 s2, 0, v[194:195]
	v_xor_b32_e32 v215, 0x80000000, v195
	v_add_nc_u32_e32 v201, 16, v201
	s_waitcnt lgkmcnt(0)
	v_cmp_gt_f64_e64 s3, 0, v[209:210]
	v_mov_b32_e32 v217, v209
	v_dual_mov_b32 v219, v211 :: v_dual_cndmask_b32 v214, v193, v213
	v_xor_b32_e32 v213, 0x80000000, v210
	v_cndmask_b32_e64 v216, v195, v215, s2
	v_xor_b32_e32 v215, 0x80000000, v212
	s_delay_alu instid0(VALU_DEP_3) | instskip(SKIP_2) | instid1(VALU_DEP_2)
	v_cndmask_b32_e64 v218, v210, v213, s3
	v_cmp_gt_f64_e64 s3, 0, v[211:212]
	v_cndmask_b32_e32 v213, v192, v192, vcc_lo
	v_cndmask_b32_e64 v220, v212, v215, s3
	v_cndmask_b32_e64 v215, v194, v194, s2
	s_delay_alu instid0(VALU_DEP_2) | instskip(NEXT) | instid1(VALU_DEP_2)
	v_add_f64 v[217:218], v[217:218], v[219:220]
	v_add_f64 v[213:214], v[213:214], v[215:216]
	s_delay_alu instid0(VALU_DEP_1) | instskip(SKIP_4) | instid1(SALU_CYCLE_1)
	v_cmp_lt_f64_e32 vcc_lo, v[213:214], v[217:218]
	v_dual_cndmask_b32 v194, v194, v211 :: v_dual_cndmask_b32 v193, v193, v210
	v_dual_cndmask_b32 v192, v192, v209 :: v_dual_cndmask_b32 v195, v195, v212
	v_cndmask_b32_e64 v200, v200, s6, vcc_lo
	s_add_i32 s6, s6, 1
	s_cmp_lg_u32 s5, s6
	s_cbranch_scc1 .LBB94_484
.LBB94_485:
	s_set_inst_prefetch_distance 0x2
	s_waitcnt lgkmcnt(0)
	v_cmp_eq_f64_e32 vcc_lo, 0, v[192:193]
	v_cmp_eq_f64_e64 s2, 0, v[194:195]
	s_delay_alu instid0(VALU_DEP_1) | instskip(NEXT) | instid1(SALU_CYCLE_1)
	s_and_b32 s2, vcc_lo, s2
	s_and_saveexec_b32 s3, s2
	s_delay_alu instid0(SALU_CYCLE_1)
	s_xor_b32 s2, exec_lo, s3
; %bb.486:
	v_cmp_ne_u32_e32 vcc_lo, 0, v205
	v_cndmask_b32_e32 v205, 24, v205, vcc_lo
; %bb.487:
	s_and_not1_saveexec_b32 s3, s2
	s_cbranch_execz .LBB94_493
; %bb.488:
	v_cmp_gt_f64_e32 vcc_lo, 0, v[192:193]
	v_cmp_gt_f64_e64 s2, 0, v[194:195]
	v_xor_b32_e32 v201, 0x80000000, v193
	v_xor_b32_e32 v209, 0x80000000, v195
	s_delay_alu instid0(VALU_DEP_2) | instskip(NEXT) | instid1(VALU_DEP_2)
	v_cndmask_b32_e32 v210, v193, v201, vcc_lo
	v_cndmask_b32_e64 v212, v195, v209, s2
	v_cndmask_b32_e32 v209, v192, v192, vcc_lo
	v_cndmask_b32_e64 v211, v194, v194, s2
	s_mov_b32 s2, exec_lo
	s_delay_alu instid0(VALU_DEP_1)
	v_cmpx_ngt_f64_e32 v[209:210], v[211:212]
	s_xor_b32 s2, exec_lo, s2
	s_cbranch_execz .LBB94_490
; %bb.489:
	v_div_scale_f64 v[209:210], null, v[194:195], v[194:195], v[192:193]
	v_div_scale_f64 v[215:216], vcc_lo, v[192:193], v[194:195], v[192:193]
	s_delay_alu instid0(VALU_DEP_2) | instskip(SKIP_2) | instid1(VALU_DEP_1)
	v_rcp_f64_e32 v[211:212], v[209:210]
	s_waitcnt_depctr 0xfff
	v_fma_f64 v[213:214], -v[209:210], v[211:212], 1.0
	v_fma_f64 v[211:212], v[211:212], v[213:214], v[211:212]
	s_delay_alu instid0(VALU_DEP_1) | instskip(NEXT) | instid1(VALU_DEP_1)
	v_fma_f64 v[213:214], -v[209:210], v[211:212], 1.0
	v_fma_f64 v[211:212], v[211:212], v[213:214], v[211:212]
	s_delay_alu instid0(VALU_DEP_1) | instskip(NEXT) | instid1(VALU_DEP_1)
	v_mul_f64 v[213:214], v[215:216], v[211:212]
	v_fma_f64 v[209:210], -v[209:210], v[213:214], v[215:216]
	s_delay_alu instid0(VALU_DEP_1) | instskip(NEXT) | instid1(VALU_DEP_1)
	v_div_fmas_f64 v[209:210], v[209:210], v[211:212], v[213:214]
	v_div_fixup_f64 v[209:210], v[209:210], v[194:195], v[192:193]
	s_delay_alu instid0(VALU_DEP_1) | instskip(NEXT) | instid1(VALU_DEP_1)
	v_fma_f64 v[192:193], v[192:193], v[209:210], v[194:195]
	v_div_scale_f64 v[194:195], null, v[192:193], v[192:193], 1.0
	s_delay_alu instid0(VALU_DEP_1) | instskip(SKIP_2) | instid1(VALU_DEP_1)
	v_rcp_f64_e32 v[211:212], v[194:195]
	s_waitcnt_depctr 0xfff
	v_fma_f64 v[213:214], -v[194:195], v[211:212], 1.0
	v_fma_f64 v[211:212], v[211:212], v[213:214], v[211:212]
	s_delay_alu instid0(VALU_DEP_1) | instskip(NEXT) | instid1(VALU_DEP_1)
	v_fma_f64 v[213:214], -v[194:195], v[211:212], 1.0
	v_fma_f64 v[211:212], v[211:212], v[213:214], v[211:212]
	v_div_scale_f64 v[213:214], vcc_lo, 1.0, v[192:193], 1.0
	s_delay_alu instid0(VALU_DEP_1) | instskip(NEXT) | instid1(VALU_DEP_1)
	v_mul_f64 v[215:216], v[213:214], v[211:212]
	v_fma_f64 v[194:195], -v[194:195], v[215:216], v[213:214]
	s_delay_alu instid0(VALU_DEP_1) | instskip(NEXT) | instid1(VALU_DEP_1)
	v_div_fmas_f64 v[194:195], v[194:195], v[211:212], v[215:216]
	v_div_fixup_f64 v[194:195], v[194:195], v[192:193], 1.0
	s_delay_alu instid0(VALU_DEP_1)
	v_mul_f64 v[192:193], v[209:210], v[194:195]
	v_xor_b32_e32 v195, 0x80000000, v195
.LBB94_490:
	s_and_not1_saveexec_b32 s2, s2
	s_cbranch_execz .LBB94_492
; %bb.491:
	s_delay_alu instid0(VALU_DEP_1) | instskip(SKIP_1) | instid1(VALU_DEP_2)
	v_div_scale_f64 v[209:210], null, v[192:193], v[192:193], v[194:195]
	v_div_scale_f64 v[215:216], vcc_lo, v[194:195], v[192:193], v[194:195]
	v_rcp_f64_e32 v[211:212], v[209:210]
	s_waitcnt_depctr 0xfff
	v_fma_f64 v[213:214], -v[209:210], v[211:212], 1.0
	s_delay_alu instid0(VALU_DEP_1) | instskip(NEXT) | instid1(VALU_DEP_1)
	v_fma_f64 v[211:212], v[211:212], v[213:214], v[211:212]
	v_fma_f64 v[213:214], -v[209:210], v[211:212], 1.0
	s_delay_alu instid0(VALU_DEP_1) | instskip(NEXT) | instid1(VALU_DEP_1)
	v_fma_f64 v[211:212], v[211:212], v[213:214], v[211:212]
	v_mul_f64 v[213:214], v[215:216], v[211:212]
	s_delay_alu instid0(VALU_DEP_1) | instskip(NEXT) | instid1(VALU_DEP_1)
	v_fma_f64 v[209:210], -v[209:210], v[213:214], v[215:216]
	v_div_fmas_f64 v[209:210], v[209:210], v[211:212], v[213:214]
	s_delay_alu instid0(VALU_DEP_1) | instskip(NEXT) | instid1(VALU_DEP_1)
	v_div_fixup_f64 v[209:210], v[209:210], v[192:193], v[194:195]
	v_fma_f64 v[192:193], v[194:195], v[209:210], v[192:193]
	s_delay_alu instid0(VALU_DEP_1) | instskip(NEXT) | instid1(VALU_DEP_1)
	v_div_scale_f64 v[194:195], null, v[192:193], v[192:193], 1.0
	v_rcp_f64_e32 v[211:212], v[194:195]
	s_waitcnt_depctr 0xfff
	v_fma_f64 v[213:214], -v[194:195], v[211:212], 1.0
	s_delay_alu instid0(VALU_DEP_1) | instskip(NEXT) | instid1(VALU_DEP_1)
	v_fma_f64 v[211:212], v[211:212], v[213:214], v[211:212]
	v_fma_f64 v[213:214], -v[194:195], v[211:212], 1.0
	s_delay_alu instid0(VALU_DEP_1) | instskip(SKIP_1) | instid1(VALU_DEP_1)
	v_fma_f64 v[211:212], v[211:212], v[213:214], v[211:212]
	v_div_scale_f64 v[213:214], vcc_lo, 1.0, v[192:193], 1.0
	v_mul_f64 v[215:216], v[213:214], v[211:212]
	s_delay_alu instid0(VALU_DEP_1) | instskip(NEXT) | instid1(VALU_DEP_1)
	v_fma_f64 v[194:195], -v[194:195], v[215:216], v[213:214]
	v_div_fmas_f64 v[194:195], v[194:195], v[211:212], v[215:216]
	s_delay_alu instid0(VALU_DEP_1) | instskip(NEXT) | instid1(VALU_DEP_1)
	v_div_fixup_f64 v[192:193], v[194:195], v[192:193], 1.0
	v_mul_f64 v[194:195], v[209:210], -v[192:193]
.LBB94_492:
	s_or_b32 exec_lo, exec_lo, s2
.LBB94_493:
	s_delay_alu instid0(SALU_CYCLE_1) | instskip(NEXT) | instid1(SALU_CYCLE_1)
	s_or_b32 exec_lo, exec_lo, s3
	s_mov_b32 s2, exec_lo
	v_cmpx_ne_u32_e64 v208, v200
	s_xor_b32 s2, exec_lo, s2
	s_cbranch_execz .LBB94_499
; %bb.494:
	s_mov_b32 s3, exec_lo
	v_cmpx_eq_u32_e32 23, v208
	s_cbranch_execz .LBB94_498
; %bb.495:
	v_cmp_ne_u32_e32 vcc_lo, 23, v200
	s_xor_b32 s6, s4, -1
	s_delay_alu instid0(SALU_CYCLE_1) | instskip(NEXT) | instid1(SALU_CYCLE_1)
	s_and_b32 s7, s6, vcc_lo
	s_and_saveexec_b32 s6, s7
	s_cbranch_execz .LBB94_497
; %bb.496:
	v_ashrrev_i32_e32 v201, 31, v200
	s_delay_alu instid0(VALU_DEP_1) | instskip(NEXT) | instid1(VALU_DEP_1)
	v_lshlrev_b64 v[208:209], 2, v[200:201]
	v_add_co_u32 v208, vcc_lo, v198, v208
	s_delay_alu instid0(VALU_DEP_2)
	v_add_co_ci_u32_e32 v209, vcc_lo, v199, v209, vcc_lo
	s_clause 0x1
	flat_load_b32 v201, v[208:209]
	flat_load_b32 v206, v[198:199] offset:92
	s_waitcnt vmcnt(1) lgkmcnt(1)
	flat_store_b32 v[198:199], v201 offset:92
	s_waitcnt vmcnt(0) lgkmcnt(1)
	flat_store_b32 v[208:209], v206
.LBB94_497:
	s_or_b32 exec_lo, exec_lo, s6
	v_mov_b32_e32 v208, v200
	v_mov_b32_e32 v206, v200
.LBB94_498:
	s_or_b32 exec_lo, exec_lo, s3
.LBB94_499:
	s_and_not1_saveexec_b32 s2, s2
	s_cbranch_execz .LBB94_501
; %bb.500:
	v_mov_b32_e32 v208, 23
	ds_store_2addr_b64 v202, v[92:93], v[94:95] offset0:48 offset1:49
	ds_store_2addr_b64 v202, v[88:89], v[90:91] offset0:50 offset1:51
	;; [unrolled: 1-line block ×24, first 2 shown]
.LBB94_501:
	s_or_b32 exec_lo, exec_lo, s2
	s_delay_alu instid0(SALU_CYCLE_1)
	s_mov_b32 s2, exec_lo
	s_waitcnt lgkmcnt(0)
	s_waitcnt_vscnt null, 0x0
	s_barrier
	buffer_gl0_inv
	v_cmpx_lt_i32_e32 23, v208
	s_cbranch_execz .LBB94_503
; %bb.502:
	v_mul_f64 v[200:201], v[194:195], v[98:99]
	v_mul_f64 v[98:99], v[192:193], v[98:99]
	s_delay_alu instid0(VALU_DEP_2) | instskip(NEXT) | instid1(VALU_DEP_2)
	v_fma_f64 v[200:201], v[192:193], v[96:97], -v[200:201]
	v_fma_f64 v[98:99], v[194:195], v[96:97], v[98:99]
	ds_load_2addr_b64 v[192:195], v202 offset0:48 offset1:49
	s_waitcnt lgkmcnt(0)
	v_mul_f64 v[96:97], v[194:195], v[98:99]
	s_delay_alu instid0(VALU_DEP_1) | instskip(SKIP_1) | instid1(VALU_DEP_2)
	v_fma_f64 v[96:97], v[192:193], v[200:201], -v[96:97]
	v_mul_f64 v[192:193], v[192:193], v[98:99]
	v_add_f64 v[92:93], v[92:93], -v[96:97]
	s_delay_alu instid0(VALU_DEP_2) | instskip(NEXT) | instid1(VALU_DEP_1)
	v_fma_f64 v[192:193], v[194:195], v[200:201], v[192:193]
	v_add_f64 v[94:95], v[94:95], -v[192:193]
	ds_load_2addr_b64 v[192:195], v202 offset0:50 offset1:51
	s_waitcnt lgkmcnt(0)
	v_mul_f64 v[96:97], v[194:195], v[98:99]
	s_delay_alu instid0(VALU_DEP_1) | instskip(SKIP_1) | instid1(VALU_DEP_2)
	v_fma_f64 v[96:97], v[192:193], v[200:201], -v[96:97]
	v_mul_f64 v[192:193], v[192:193], v[98:99]
	v_add_f64 v[88:89], v[88:89], -v[96:97]
	s_delay_alu instid0(VALU_DEP_2) | instskip(NEXT) | instid1(VALU_DEP_1)
	v_fma_f64 v[192:193], v[194:195], v[200:201], v[192:193]
	v_add_f64 v[90:91], v[90:91], -v[192:193]
	ds_load_2addr_b64 v[192:195], v202 offset0:52 offset1:53
	s_waitcnt lgkmcnt(0)
	v_mul_f64 v[96:97], v[194:195], v[98:99]
	s_delay_alu instid0(VALU_DEP_1) | instskip(SKIP_1) | instid1(VALU_DEP_2)
	v_fma_f64 v[96:97], v[192:193], v[200:201], -v[96:97]
	v_mul_f64 v[192:193], v[192:193], v[98:99]
	v_add_f64 v[84:85], v[84:85], -v[96:97]
	s_delay_alu instid0(VALU_DEP_2) | instskip(NEXT) | instid1(VALU_DEP_1)
	v_fma_f64 v[192:193], v[194:195], v[200:201], v[192:193]
	v_add_f64 v[86:87], v[86:87], -v[192:193]
	ds_load_2addr_b64 v[192:195], v202 offset0:54 offset1:55
	s_waitcnt lgkmcnt(0)
	v_mul_f64 v[96:97], v[194:195], v[98:99]
	s_delay_alu instid0(VALU_DEP_1) | instskip(SKIP_1) | instid1(VALU_DEP_2)
	v_fma_f64 v[96:97], v[192:193], v[200:201], -v[96:97]
	v_mul_f64 v[192:193], v[192:193], v[98:99]
	v_add_f64 v[80:81], v[80:81], -v[96:97]
	s_delay_alu instid0(VALU_DEP_2) | instskip(NEXT) | instid1(VALU_DEP_1)
	v_fma_f64 v[192:193], v[194:195], v[200:201], v[192:193]
	v_add_f64 v[82:83], v[82:83], -v[192:193]
	ds_load_2addr_b64 v[192:195], v202 offset0:56 offset1:57
	s_waitcnt lgkmcnt(0)
	v_mul_f64 v[96:97], v[194:195], v[98:99]
	s_delay_alu instid0(VALU_DEP_1) | instskip(SKIP_1) | instid1(VALU_DEP_2)
	v_fma_f64 v[96:97], v[192:193], v[200:201], -v[96:97]
	v_mul_f64 v[192:193], v[192:193], v[98:99]
	v_add_f64 v[76:77], v[76:77], -v[96:97]
	s_delay_alu instid0(VALU_DEP_2) | instskip(NEXT) | instid1(VALU_DEP_1)
	v_fma_f64 v[192:193], v[194:195], v[200:201], v[192:193]
	v_add_f64 v[78:79], v[78:79], -v[192:193]
	ds_load_2addr_b64 v[192:195], v202 offset0:58 offset1:59
	s_waitcnt lgkmcnt(0)
	v_mul_f64 v[96:97], v[194:195], v[98:99]
	s_delay_alu instid0(VALU_DEP_1) | instskip(SKIP_1) | instid1(VALU_DEP_2)
	v_fma_f64 v[96:97], v[192:193], v[200:201], -v[96:97]
	v_mul_f64 v[192:193], v[192:193], v[98:99]
	v_add_f64 v[72:73], v[72:73], -v[96:97]
	s_delay_alu instid0(VALU_DEP_2) | instskip(NEXT) | instid1(VALU_DEP_1)
	v_fma_f64 v[192:193], v[194:195], v[200:201], v[192:193]
	v_add_f64 v[74:75], v[74:75], -v[192:193]
	ds_load_2addr_b64 v[192:195], v202 offset0:60 offset1:61
	s_waitcnt lgkmcnt(0)
	v_mul_f64 v[96:97], v[194:195], v[98:99]
	s_delay_alu instid0(VALU_DEP_1) | instskip(SKIP_1) | instid1(VALU_DEP_2)
	v_fma_f64 v[96:97], v[192:193], v[200:201], -v[96:97]
	v_mul_f64 v[192:193], v[192:193], v[98:99]
	v_add_f64 v[68:69], v[68:69], -v[96:97]
	s_delay_alu instid0(VALU_DEP_2) | instskip(NEXT) | instid1(VALU_DEP_1)
	v_fma_f64 v[192:193], v[194:195], v[200:201], v[192:193]
	v_add_f64 v[70:71], v[70:71], -v[192:193]
	ds_load_2addr_b64 v[192:195], v202 offset0:62 offset1:63
	s_waitcnt lgkmcnt(0)
	v_mul_f64 v[96:97], v[194:195], v[98:99]
	s_delay_alu instid0(VALU_DEP_1) | instskip(SKIP_1) | instid1(VALU_DEP_2)
	v_fma_f64 v[96:97], v[192:193], v[200:201], -v[96:97]
	v_mul_f64 v[192:193], v[192:193], v[98:99]
	v_add_f64 v[64:65], v[64:65], -v[96:97]
	s_delay_alu instid0(VALU_DEP_2) | instskip(NEXT) | instid1(VALU_DEP_1)
	v_fma_f64 v[192:193], v[194:195], v[200:201], v[192:193]
	v_add_f64 v[66:67], v[66:67], -v[192:193]
	ds_load_2addr_b64 v[192:195], v202 offset0:64 offset1:65
	s_waitcnt lgkmcnt(0)
	v_mul_f64 v[96:97], v[194:195], v[98:99]
	s_delay_alu instid0(VALU_DEP_1) | instskip(SKIP_1) | instid1(VALU_DEP_2)
	v_fma_f64 v[96:97], v[192:193], v[200:201], -v[96:97]
	v_mul_f64 v[192:193], v[192:193], v[98:99]
	v_add_f64 v[60:61], v[60:61], -v[96:97]
	s_delay_alu instid0(VALU_DEP_2) | instskip(NEXT) | instid1(VALU_DEP_1)
	v_fma_f64 v[192:193], v[194:195], v[200:201], v[192:193]
	v_add_f64 v[62:63], v[62:63], -v[192:193]
	ds_load_2addr_b64 v[192:195], v202 offset0:66 offset1:67
	s_waitcnt lgkmcnt(0)
	v_mul_f64 v[96:97], v[194:195], v[98:99]
	s_delay_alu instid0(VALU_DEP_1) | instskip(SKIP_1) | instid1(VALU_DEP_2)
	v_fma_f64 v[96:97], v[192:193], v[200:201], -v[96:97]
	v_mul_f64 v[192:193], v[192:193], v[98:99]
	v_add_f64 v[56:57], v[56:57], -v[96:97]
	s_delay_alu instid0(VALU_DEP_2) | instskip(NEXT) | instid1(VALU_DEP_1)
	v_fma_f64 v[192:193], v[194:195], v[200:201], v[192:193]
	v_add_f64 v[58:59], v[58:59], -v[192:193]
	ds_load_2addr_b64 v[192:195], v202 offset0:68 offset1:69
	s_waitcnt lgkmcnt(0)
	v_mul_f64 v[96:97], v[194:195], v[98:99]
	s_delay_alu instid0(VALU_DEP_1) | instskip(SKIP_1) | instid1(VALU_DEP_2)
	v_fma_f64 v[96:97], v[192:193], v[200:201], -v[96:97]
	v_mul_f64 v[192:193], v[192:193], v[98:99]
	v_add_f64 v[52:53], v[52:53], -v[96:97]
	s_delay_alu instid0(VALU_DEP_2) | instskip(NEXT) | instid1(VALU_DEP_1)
	v_fma_f64 v[192:193], v[194:195], v[200:201], v[192:193]
	v_add_f64 v[54:55], v[54:55], -v[192:193]
	ds_load_2addr_b64 v[192:195], v202 offset0:70 offset1:71
	s_waitcnt lgkmcnt(0)
	v_mul_f64 v[96:97], v[194:195], v[98:99]
	s_delay_alu instid0(VALU_DEP_1) | instskip(SKIP_1) | instid1(VALU_DEP_2)
	v_fma_f64 v[96:97], v[192:193], v[200:201], -v[96:97]
	v_mul_f64 v[192:193], v[192:193], v[98:99]
	v_add_f64 v[48:49], v[48:49], -v[96:97]
	s_delay_alu instid0(VALU_DEP_2) | instskip(NEXT) | instid1(VALU_DEP_1)
	v_fma_f64 v[192:193], v[194:195], v[200:201], v[192:193]
	v_add_f64 v[50:51], v[50:51], -v[192:193]
	ds_load_2addr_b64 v[192:195], v202 offset0:72 offset1:73
	s_waitcnt lgkmcnt(0)
	v_mul_f64 v[96:97], v[194:195], v[98:99]
	s_delay_alu instid0(VALU_DEP_1) | instskip(SKIP_1) | instid1(VALU_DEP_2)
	v_fma_f64 v[96:97], v[192:193], v[200:201], -v[96:97]
	v_mul_f64 v[192:193], v[192:193], v[98:99]
	v_add_f64 v[44:45], v[44:45], -v[96:97]
	s_delay_alu instid0(VALU_DEP_2) | instskip(NEXT) | instid1(VALU_DEP_1)
	v_fma_f64 v[192:193], v[194:195], v[200:201], v[192:193]
	v_add_f64 v[46:47], v[46:47], -v[192:193]
	ds_load_2addr_b64 v[192:195], v202 offset0:74 offset1:75
	s_waitcnt lgkmcnt(0)
	v_mul_f64 v[96:97], v[194:195], v[98:99]
	s_delay_alu instid0(VALU_DEP_1) | instskip(SKIP_1) | instid1(VALU_DEP_2)
	v_fma_f64 v[96:97], v[192:193], v[200:201], -v[96:97]
	v_mul_f64 v[192:193], v[192:193], v[98:99]
	v_add_f64 v[40:41], v[40:41], -v[96:97]
	s_delay_alu instid0(VALU_DEP_2) | instskip(NEXT) | instid1(VALU_DEP_1)
	v_fma_f64 v[192:193], v[194:195], v[200:201], v[192:193]
	v_add_f64 v[42:43], v[42:43], -v[192:193]
	ds_load_2addr_b64 v[192:195], v202 offset0:76 offset1:77
	s_waitcnt lgkmcnt(0)
	v_mul_f64 v[96:97], v[194:195], v[98:99]
	s_delay_alu instid0(VALU_DEP_1) | instskip(SKIP_1) | instid1(VALU_DEP_2)
	v_fma_f64 v[96:97], v[192:193], v[200:201], -v[96:97]
	v_mul_f64 v[192:193], v[192:193], v[98:99]
	v_add_f64 v[36:37], v[36:37], -v[96:97]
	s_delay_alu instid0(VALU_DEP_2) | instskip(NEXT) | instid1(VALU_DEP_1)
	v_fma_f64 v[192:193], v[194:195], v[200:201], v[192:193]
	v_add_f64 v[38:39], v[38:39], -v[192:193]
	ds_load_2addr_b64 v[192:195], v202 offset0:78 offset1:79
	s_waitcnt lgkmcnt(0)
	v_mul_f64 v[96:97], v[194:195], v[98:99]
	s_delay_alu instid0(VALU_DEP_1) | instskip(SKIP_1) | instid1(VALU_DEP_2)
	v_fma_f64 v[96:97], v[192:193], v[200:201], -v[96:97]
	v_mul_f64 v[192:193], v[192:193], v[98:99]
	v_add_f64 v[32:33], v[32:33], -v[96:97]
	s_delay_alu instid0(VALU_DEP_2) | instskip(NEXT) | instid1(VALU_DEP_1)
	v_fma_f64 v[192:193], v[194:195], v[200:201], v[192:193]
	v_add_f64 v[34:35], v[34:35], -v[192:193]
	ds_load_2addr_b64 v[192:195], v202 offset0:80 offset1:81
	s_waitcnt lgkmcnt(0)
	v_mul_f64 v[96:97], v[194:195], v[98:99]
	s_delay_alu instid0(VALU_DEP_1) | instskip(SKIP_1) | instid1(VALU_DEP_2)
	v_fma_f64 v[96:97], v[192:193], v[200:201], -v[96:97]
	v_mul_f64 v[192:193], v[192:193], v[98:99]
	v_add_f64 v[28:29], v[28:29], -v[96:97]
	s_delay_alu instid0(VALU_DEP_2) | instskip(NEXT) | instid1(VALU_DEP_1)
	v_fma_f64 v[192:193], v[194:195], v[200:201], v[192:193]
	v_add_f64 v[30:31], v[30:31], -v[192:193]
	ds_load_2addr_b64 v[192:195], v202 offset0:82 offset1:83
	s_waitcnt lgkmcnt(0)
	v_mul_f64 v[96:97], v[194:195], v[98:99]
	s_delay_alu instid0(VALU_DEP_1) | instskip(SKIP_1) | instid1(VALU_DEP_2)
	v_fma_f64 v[96:97], v[192:193], v[200:201], -v[96:97]
	v_mul_f64 v[192:193], v[192:193], v[98:99]
	v_add_f64 v[24:25], v[24:25], -v[96:97]
	s_delay_alu instid0(VALU_DEP_2) | instskip(NEXT) | instid1(VALU_DEP_1)
	v_fma_f64 v[192:193], v[194:195], v[200:201], v[192:193]
	v_add_f64 v[26:27], v[26:27], -v[192:193]
	ds_load_2addr_b64 v[192:195], v202 offset0:84 offset1:85
	s_waitcnt lgkmcnt(0)
	v_mul_f64 v[96:97], v[194:195], v[98:99]
	s_delay_alu instid0(VALU_DEP_1) | instskip(SKIP_1) | instid1(VALU_DEP_2)
	v_fma_f64 v[96:97], v[192:193], v[200:201], -v[96:97]
	v_mul_f64 v[192:193], v[192:193], v[98:99]
	v_add_f64 v[20:21], v[20:21], -v[96:97]
	s_delay_alu instid0(VALU_DEP_2) | instskip(NEXT) | instid1(VALU_DEP_1)
	v_fma_f64 v[192:193], v[194:195], v[200:201], v[192:193]
	v_add_f64 v[22:23], v[22:23], -v[192:193]
	ds_load_2addr_b64 v[192:195], v202 offset0:86 offset1:87
	s_waitcnt lgkmcnt(0)
	v_mul_f64 v[96:97], v[194:195], v[98:99]
	s_delay_alu instid0(VALU_DEP_1) | instskip(SKIP_1) | instid1(VALU_DEP_2)
	v_fma_f64 v[96:97], v[192:193], v[200:201], -v[96:97]
	v_mul_f64 v[192:193], v[192:193], v[98:99]
	v_add_f64 v[16:17], v[16:17], -v[96:97]
	s_delay_alu instid0(VALU_DEP_2) | instskip(NEXT) | instid1(VALU_DEP_1)
	v_fma_f64 v[192:193], v[194:195], v[200:201], v[192:193]
	v_add_f64 v[18:19], v[18:19], -v[192:193]
	ds_load_2addr_b64 v[192:195], v202 offset0:88 offset1:89
	s_waitcnt lgkmcnt(0)
	v_mul_f64 v[96:97], v[194:195], v[98:99]
	s_delay_alu instid0(VALU_DEP_1) | instskip(SKIP_1) | instid1(VALU_DEP_2)
	v_fma_f64 v[96:97], v[192:193], v[200:201], -v[96:97]
	v_mul_f64 v[192:193], v[192:193], v[98:99]
	v_add_f64 v[12:13], v[12:13], -v[96:97]
	s_delay_alu instid0(VALU_DEP_2) | instskip(NEXT) | instid1(VALU_DEP_1)
	v_fma_f64 v[192:193], v[194:195], v[200:201], v[192:193]
	v_add_f64 v[14:15], v[14:15], -v[192:193]
	ds_load_2addr_b64 v[192:195], v202 offset0:90 offset1:91
	s_waitcnt lgkmcnt(0)
	v_mul_f64 v[96:97], v[194:195], v[98:99]
	s_delay_alu instid0(VALU_DEP_1) | instskip(SKIP_1) | instid1(VALU_DEP_2)
	v_fma_f64 v[96:97], v[192:193], v[200:201], -v[96:97]
	v_mul_f64 v[192:193], v[192:193], v[98:99]
	v_add_f64 v[8:9], v[8:9], -v[96:97]
	s_delay_alu instid0(VALU_DEP_2) | instskip(NEXT) | instid1(VALU_DEP_1)
	v_fma_f64 v[192:193], v[194:195], v[200:201], v[192:193]
	v_add_f64 v[10:11], v[10:11], -v[192:193]
	ds_load_2addr_b64 v[192:195], v202 offset0:92 offset1:93
	s_waitcnt lgkmcnt(0)
	v_mul_f64 v[96:97], v[194:195], v[98:99]
	s_delay_alu instid0(VALU_DEP_1) | instskip(SKIP_1) | instid1(VALU_DEP_2)
	v_fma_f64 v[96:97], v[192:193], v[200:201], -v[96:97]
	v_mul_f64 v[192:193], v[192:193], v[98:99]
	v_add_f64 v[4:5], v[4:5], -v[96:97]
	s_delay_alu instid0(VALU_DEP_2) | instskip(NEXT) | instid1(VALU_DEP_1)
	v_fma_f64 v[192:193], v[194:195], v[200:201], v[192:193]
	v_add_f64 v[6:7], v[6:7], -v[192:193]
	ds_load_2addr_b64 v[192:195], v202 offset0:94 offset1:95
	s_waitcnt lgkmcnt(0)
	v_mul_f64 v[96:97], v[194:195], v[98:99]
	s_delay_alu instid0(VALU_DEP_1) | instskip(SKIP_1) | instid1(VALU_DEP_2)
	v_fma_f64 v[96:97], v[192:193], v[200:201], -v[96:97]
	v_mul_f64 v[192:193], v[192:193], v[98:99]
	v_add_f64 v[0:1], v[0:1], -v[96:97]
	s_delay_alu instid0(VALU_DEP_2) | instskip(SKIP_1) | instid1(VALU_DEP_2)
	v_fma_f64 v[192:193], v[194:195], v[200:201], v[192:193]
	v_dual_mov_b32 v96, v200 :: v_dual_mov_b32 v97, v201
	v_add_f64 v[2:3], v[2:3], -v[192:193]
.LBB94_503:
	s_or_b32 exec_lo, exec_lo, s2
	v_lshl_add_u32 v192, v208, 4, v202
	s_barrier
	buffer_gl0_inv
	v_mov_b32_e32 v200, 24
	ds_store_2addr_b64 v192, v[92:93], v[94:95] offset1:1
	s_waitcnt lgkmcnt(0)
	s_barrier
	buffer_gl0_inv
	ds_load_2addr_b64 v[192:195], v202 offset0:48 offset1:49
	s_cmp_lt_i32 s5, 26
	s_cbranch_scc1 .LBB94_506
; %bb.504:
	v_add3_u32 v201, v207, 0, 0x190
	v_mov_b32_e32 v200, 24
	s_mov_b32 s6, 25
	s_set_inst_prefetch_distance 0x1
	.p2align	6
.LBB94_505:                             ; =>This Inner Loop Header: Depth=1
	ds_load_2addr_b64 v[209:212], v201 offset1:1
	s_waitcnt lgkmcnt(1)
	v_cmp_gt_f64_e32 vcc_lo, 0, v[192:193]
	v_xor_b32_e32 v213, 0x80000000, v193
	v_cmp_gt_f64_e64 s2, 0, v[194:195]
	v_xor_b32_e32 v215, 0x80000000, v195
	v_add_nc_u32_e32 v201, 16, v201
	s_waitcnt lgkmcnt(0)
	v_cmp_gt_f64_e64 s3, 0, v[209:210]
	v_mov_b32_e32 v217, v209
	v_dual_mov_b32 v219, v211 :: v_dual_cndmask_b32 v214, v193, v213
	v_xor_b32_e32 v213, 0x80000000, v210
	v_cndmask_b32_e64 v216, v195, v215, s2
	v_xor_b32_e32 v215, 0x80000000, v212
	s_delay_alu instid0(VALU_DEP_3) | instskip(SKIP_2) | instid1(VALU_DEP_2)
	v_cndmask_b32_e64 v218, v210, v213, s3
	v_cmp_gt_f64_e64 s3, 0, v[211:212]
	v_cndmask_b32_e32 v213, v192, v192, vcc_lo
	v_cndmask_b32_e64 v220, v212, v215, s3
	v_cndmask_b32_e64 v215, v194, v194, s2
	s_delay_alu instid0(VALU_DEP_2) | instskip(NEXT) | instid1(VALU_DEP_2)
	v_add_f64 v[217:218], v[217:218], v[219:220]
	v_add_f64 v[213:214], v[213:214], v[215:216]
	s_delay_alu instid0(VALU_DEP_1) | instskip(SKIP_4) | instid1(SALU_CYCLE_1)
	v_cmp_lt_f64_e32 vcc_lo, v[213:214], v[217:218]
	v_dual_cndmask_b32 v194, v194, v211 :: v_dual_cndmask_b32 v193, v193, v210
	v_dual_cndmask_b32 v192, v192, v209 :: v_dual_cndmask_b32 v195, v195, v212
	v_cndmask_b32_e64 v200, v200, s6, vcc_lo
	s_add_i32 s6, s6, 1
	s_cmp_lg_u32 s5, s6
	s_cbranch_scc1 .LBB94_505
.LBB94_506:
	s_set_inst_prefetch_distance 0x2
	s_waitcnt lgkmcnt(0)
	v_cmp_eq_f64_e32 vcc_lo, 0, v[192:193]
	v_cmp_eq_f64_e64 s2, 0, v[194:195]
	s_delay_alu instid0(VALU_DEP_1) | instskip(NEXT) | instid1(SALU_CYCLE_1)
	s_and_b32 s2, vcc_lo, s2
	s_and_saveexec_b32 s3, s2
	s_delay_alu instid0(SALU_CYCLE_1)
	s_xor_b32 s2, exec_lo, s3
; %bb.507:
	v_cmp_ne_u32_e32 vcc_lo, 0, v205
	v_cndmask_b32_e32 v205, 25, v205, vcc_lo
; %bb.508:
	s_and_not1_saveexec_b32 s3, s2
	s_cbranch_execz .LBB94_514
; %bb.509:
	v_cmp_gt_f64_e32 vcc_lo, 0, v[192:193]
	v_cmp_gt_f64_e64 s2, 0, v[194:195]
	v_xor_b32_e32 v201, 0x80000000, v193
	v_xor_b32_e32 v209, 0x80000000, v195
	s_delay_alu instid0(VALU_DEP_2) | instskip(NEXT) | instid1(VALU_DEP_2)
	v_cndmask_b32_e32 v210, v193, v201, vcc_lo
	v_cndmask_b32_e64 v212, v195, v209, s2
	v_cndmask_b32_e32 v209, v192, v192, vcc_lo
	v_cndmask_b32_e64 v211, v194, v194, s2
	s_mov_b32 s2, exec_lo
	s_delay_alu instid0(VALU_DEP_1)
	v_cmpx_ngt_f64_e32 v[209:210], v[211:212]
	s_xor_b32 s2, exec_lo, s2
	s_cbranch_execz .LBB94_511
; %bb.510:
	v_div_scale_f64 v[209:210], null, v[194:195], v[194:195], v[192:193]
	v_div_scale_f64 v[215:216], vcc_lo, v[192:193], v[194:195], v[192:193]
	s_delay_alu instid0(VALU_DEP_2) | instskip(SKIP_2) | instid1(VALU_DEP_1)
	v_rcp_f64_e32 v[211:212], v[209:210]
	s_waitcnt_depctr 0xfff
	v_fma_f64 v[213:214], -v[209:210], v[211:212], 1.0
	v_fma_f64 v[211:212], v[211:212], v[213:214], v[211:212]
	s_delay_alu instid0(VALU_DEP_1) | instskip(NEXT) | instid1(VALU_DEP_1)
	v_fma_f64 v[213:214], -v[209:210], v[211:212], 1.0
	v_fma_f64 v[211:212], v[211:212], v[213:214], v[211:212]
	s_delay_alu instid0(VALU_DEP_1) | instskip(NEXT) | instid1(VALU_DEP_1)
	v_mul_f64 v[213:214], v[215:216], v[211:212]
	v_fma_f64 v[209:210], -v[209:210], v[213:214], v[215:216]
	s_delay_alu instid0(VALU_DEP_1) | instskip(NEXT) | instid1(VALU_DEP_1)
	v_div_fmas_f64 v[209:210], v[209:210], v[211:212], v[213:214]
	v_div_fixup_f64 v[209:210], v[209:210], v[194:195], v[192:193]
	s_delay_alu instid0(VALU_DEP_1) | instskip(NEXT) | instid1(VALU_DEP_1)
	v_fma_f64 v[192:193], v[192:193], v[209:210], v[194:195]
	v_div_scale_f64 v[194:195], null, v[192:193], v[192:193], 1.0
	s_delay_alu instid0(VALU_DEP_1) | instskip(SKIP_2) | instid1(VALU_DEP_1)
	v_rcp_f64_e32 v[211:212], v[194:195]
	s_waitcnt_depctr 0xfff
	v_fma_f64 v[213:214], -v[194:195], v[211:212], 1.0
	v_fma_f64 v[211:212], v[211:212], v[213:214], v[211:212]
	s_delay_alu instid0(VALU_DEP_1) | instskip(NEXT) | instid1(VALU_DEP_1)
	v_fma_f64 v[213:214], -v[194:195], v[211:212], 1.0
	v_fma_f64 v[211:212], v[211:212], v[213:214], v[211:212]
	v_div_scale_f64 v[213:214], vcc_lo, 1.0, v[192:193], 1.0
	s_delay_alu instid0(VALU_DEP_1) | instskip(NEXT) | instid1(VALU_DEP_1)
	v_mul_f64 v[215:216], v[213:214], v[211:212]
	v_fma_f64 v[194:195], -v[194:195], v[215:216], v[213:214]
	s_delay_alu instid0(VALU_DEP_1) | instskip(NEXT) | instid1(VALU_DEP_1)
	v_div_fmas_f64 v[194:195], v[194:195], v[211:212], v[215:216]
	v_div_fixup_f64 v[194:195], v[194:195], v[192:193], 1.0
	s_delay_alu instid0(VALU_DEP_1)
	v_mul_f64 v[192:193], v[209:210], v[194:195]
	v_xor_b32_e32 v195, 0x80000000, v195
.LBB94_511:
	s_and_not1_saveexec_b32 s2, s2
	s_cbranch_execz .LBB94_513
; %bb.512:
	s_delay_alu instid0(VALU_DEP_1) | instskip(SKIP_1) | instid1(VALU_DEP_2)
	v_div_scale_f64 v[209:210], null, v[192:193], v[192:193], v[194:195]
	v_div_scale_f64 v[215:216], vcc_lo, v[194:195], v[192:193], v[194:195]
	v_rcp_f64_e32 v[211:212], v[209:210]
	s_waitcnt_depctr 0xfff
	v_fma_f64 v[213:214], -v[209:210], v[211:212], 1.0
	s_delay_alu instid0(VALU_DEP_1) | instskip(NEXT) | instid1(VALU_DEP_1)
	v_fma_f64 v[211:212], v[211:212], v[213:214], v[211:212]
	v_fma_f64 v[213:214], -v[209:210], v[211:212], 1.0
	s_delay_alu instid0(VALU_DEP_1) | instskip(NEXT) | instid1(VALU_DEP_1)
	v_fma_f64 v[211:212], v[211:212], v[213:214], v[211:212]
	v_mul_f64 v[213:214], v[215:216], v[211:212]
	s_delay_alu instid0(VALU_DEP_1) | instskip(NEXT) | instid1(VALU_DEP_1)
	v_fma_f64 v[209:210], -v[209:210], v[213:214], v[215:216]
	v_div_fmas_f64 v[209:210], v[209:210], v[211:212], v[213:214]
	s_delay_alu instid0(VALU_DEP_1) | instskip(NEXT) | instid1(VALU_DEP_1)
	v_div_fixup_f64 v[209:210], v[209:210], v[192:193], v[194:195]
	v_fma_f64 v[192:193], v[194:195], v[209:210], v[192:193]
	s_delay_alu instid0(VALU_DEP_1) | instskip(NEXT) | instid1(VALU_DEP_1)
	v_div_scale_f64 v[194:195], null, v[192:193], v[192:193], 1.0
	v_rcp_f64_e32 v[211:212], v[194:195]
	s_waitcnt_depctr 0xfff
	v_fma_f64 v[213:214], -v[194:195], v[211:212], 1.0
	s_delay_alu instid0(VALU_DEP_1) | instskip(NEXT) | instid1(VALU_DEP_1)
	v_fma_f64 v[211:212], v[211:212], v[213:214], v[211:212]
	v_fma_f64 v[213:214], -v[194:195], v[211:212], 1.0
	s_delay_alu instid0(VALU_DEP_1) | instskip(SKIP_1) | instid1(VALU_DEP_1)
	v_fma_f64 v[211:212], v[211:212], v[213:214], v[211:212]
	v_div_scale_f64 v[213:214], vcc_lo, 1.0, v[192:193], 1.0
	v_mul_f64 v[215:216], v[213:214], v[211:212]
	s_delay_alu instid0(VALU_DEP_1) | instskip(NEXT) | instid1(VALU_DEP_1)
	v_fma_f64 v[194:195], -v[194:195], v[215:216], v[213:214]
	v_div_fmas_f64 v[194:195], v[194:195], v[211:212], v[215:216]
	s_delay_alu instid0(VALU_DEP_1) | instskip(NEXT) | instid1(VALU_DEP_1)
	v_div_fixup_f64 v[192:193], v[194:195], v[192:193], 1.0
	v_mul_f64 v[194:195], v[209:210], -v[192:193]
.LBB94_513:
	s_or_b32 exec_lo, exec_lo, s2
.LBB94_514:
	s_delay_alu instid0(SALU_CYCLE_1) | instskip(NEXT) | instid1(SALU_CYCLE_1)
	s_or_b32 exec_lo, exec_lo, s3
	s_mov_b32 s2, exec_lo
	v_cmpx_ne_u32_e64 v208, v200
	s_xor_b32 s2, exec_lo, s2
	s_cbranch_execz .LBB94_520
; %bb.515:
	s_mov_b32 s3, exec_lo
	v_cmpx_eq_u32_e32 24, v208
	s_cbranch_execz .LBB94_519
; %bb.516:
	v_cmp_ne_u32_e32 vcc_lo, 24, v200
	s_xor_b32 s6, s4, -1
	s_delay_alu instid0(SALU_CYCLE_1) | instskip(NEXT) | instid1(SALU_CYCLE_1)
	s_and_b32 s7, s6, vcc_lo
	s_and_saveexec_b32 s6, s7
	s_cbranch_execz .LBB94_518
; %bb.517:
	v_ashrrev_i32_e32 v201, 31, v200
	s_delay_alu instid0(VALU_DEP_1) | instskip(NEXT) | instid1(VALU_DEP_1)
	v_lshlrev_b64 v[208:209], 2, v[200:201]
	v_add_co_u32 v208, vcc_lo, v198, v208
	s_delay_alu instid0(VALU_DEP_2)
	v_add_co_ci_u32_e32 v209, vcc_lo, v199, v209, vcc_lo
	s_clause 0x1
	flat_load_b32 v201, v[208:209]
	flat_load_b32 v206, v[198:199] offset:96
	s_waitcnt vmcnt(1) lgkmcnt(1)
	flat_store_b32 v[198:199], v201 offset:96
	s_waitcnt vmcnt(0) lgkmcnt(1)
	flat_store_b32 v[208:209], v206
.LBB94_518:
	s_or_b32 exec_lo, exec_lo, s6
	v_mov_b32_e32 v208, v200
	v_mov_b32_e32 v206, v200
.LBB94_519:
	s_or_b32 exec_lo, exec_lo, s3
.LBB94_520:
	s_and_not1_saveexec_b32 s2, s2
	s_cbranch_execz .LBB94_522
; %bb.521:
	v_mov_b32_e32 v208, 24
	ds_store_2addr_b64 v202, v[88:89], v[90:91] offset0:50 offset1:51
	ds_store_2addr_b64 v202, v[84:85], v[86:87] offset0:52 offset1:53
	;; [unrolled: 1-line block ×23, first 2 shown]
.LBB94_522:
	s_or_b32 exec_lo, exec_lo, s2
	s_delay_alu instid0(SALU_CYCLE_1)
	s_mov_b32 s2, exec_lo
	s_waitcnt lgkmcnt(0)
	s_waitcnt_vscnt null, 0x0
	s_barrier
	buffer_gl0_inv
	v_cmpx_lt_i32_e32 24, v208
	s_cbranch_execz .LBB94_524
; %bb.523:
	v_mul_f64 v[200:201], v[194:195], v[94:95]
	v_mul_f64 v[94:95], v[192:193], v[94:95]
	s_delay_alu instid0(VALU_DEP_2) | instskip(NEXT) | instid1(VALU_DEP_2)
	v_fma_f64 v[200:201], v[192:193], v[92:93], -v[200:201]
	v_fma_f64 v[94:95], v[194:195], v[92:93], v[94:95]
	ds_load_2addr_b64 v[192:195], v202 offset0:50 offset1:51
	s_waitcnt lgkmcnt(0)
	v_mul_f64 v[92:93], v[194:195], v[94:95]
	s_delay_alu instid0(VALU_DEP_1) | instskip(SKIP_1) | instid1(VALU_DEP_2)
	v_fma_f64 v[92:93], v[192:193], v[200:201], -v[92:93]
	v_mul_f64 v[192:193], v[192:193], v[94:95]
	v_add_f64 v[88:89], v[88:89], -v[92:93]
	s_delay_alu instid0(VALU_DEP_2) | instskip(NEXT) | instid1(VALU_DEP_1)
	v_fma_f64 v[192:193], v[194:195], v[200:201], v[192:193]
	v_add_f64 v[90:91], v[90:91], -v[192:193]
	ds_load_2addr_b64 v[192:195], v202 offset0:52 offset1:53
	s_waitcnt lgkmcnt(0)
	v_mul_f64 v[92:93], v[194:195], v[94:95]
	s_delay_alu instid0(VALU_DEP_1) | instskip(SKIP_1) | instid1(VALU_DEP_2)
	v_fma_f64 v[92:93], v[192:193], v[200:201], -v[92:93]
	v_mul_f64 v[192:193], v[192:193], v[94:95]
	v_add_f64 v[84:85], v[84:85], -v[92:93]
	s_delay_alu instid0(VALU_DEP_2) | instskip(NEXT) | instid1(VALU_DEP_1)
	v_fma_f64 v[192:193], v[194:195], v[200:201], v[192:193]
	v_add_f64 v[86:87], v[86:87], -v[192:193]
	;; [unrolled: 10-line block ×22, first 2 shown]
	ds_load_2addr_b64 v[192:195], v202 offset0:94 offset1:95
	s_waitcnt lgkmcnt(0)
	v_mul_f64 v[92:93], v[194:195], v[94:95]
	s_delay_alu instid0(VALU_DEP_1) | instskip(SKIP_1) | instid1(VALU_DEP_2)
	v_fma_f64 v[92:93], v[192:193], v[200:201], -v[92:93]
	v_mul_f64 v[192:193], v[192:193], v[94:95]
	v_add_f64 v[0:1], v[0:1], -v[92:93]
	s_delay_alu instid0(VALU_DEP_2) | instskip(SKIP_1) | instid1(VALU_DEP_2)
	v_fma_f64 v[192:193], v[194:195], v[200:201], v[192:193]
	v_dual_mov_b32 v92, v200 :: v_dual_mov_b32 v93, v201
	v_add_f64 v[2:3], v[2:3], -v[192:193]
.LBB94_524:
	s_or_b32 exec_lo, exec_lo, s2
	v_lshl_add_u32 v192, v208, 4, v202
	s_barrier
	buffer_gl0_inv
	v_mov_b32_e32 v200, 25
	ds_store_2addr_b64 v192, v[88:89], v[90:91] offset1:1
	s_waitcnt lgkmcnt(0)
	s_barrier
	buffer_gl0_inv
	ds_load_2addr_b64 v[192:195], v202 offset0:50 offset1:51
	s_cmp_lt_i32 s5, 27
	s_cbranch_scc1 .LBB94_527
; %bb.525:
	v_add3_u32 v201, v207, 0, 0x1a0
	v_mov_b32_e32 v200, 25
	s_mov_b32 s6, 26
	s_set_inst_prefetch_distance 0x1
	.p2align	6
.LBB94_526:                             ; =>This Inner Loop Header: Depth=1
	ds_load_2addr_b64 v[209:212], v201 offset1:1
	s_waitcnt lgkmcnt(1)
	v_cmp_gt_f64_e32 vcc_lo, 0, v[192:193]
	v_xor_b32_e32 v213, 0x80000000, v193
	v_cmp_gt_f64_e64 s2, 0, v[194:195]
	v_xor_b32_e32 v215, 0x80000000, v195
	v_add_nc_u32_e32 v201, 16, v201
	s_waitcnt lgkmcnt(0)
	v_cmp_gt_f64_e64 s3, 0, v[209:210]
	v_mov_b32_e32 v217, v209
	v_dual_mov_b32 v219, v211 :: v_dual_cndmask_b32 v214, v193, v213
	v_xor_b32_e32 v213, 0x80000000, v210
	v_cndmask_b32_e64 v216, v195, v215, s2
	v_xor_b32_e32 v215, 0x80000000, v212
	s_delay_alu instid0(VALU_DEP_3) | instskip(SKIP_2) | instid1(VALU_DEP_2)
	v_cndmask_b32_e64 v218, v210, v213, s3
	v_cmp_gt_f64_e64 s3, 0, v[211:212]
	v_cndmask_b32_e32 v213, v192, v192, vcc_lo
	v_cndmask_b32_e64 v220, v212, v215, s3
	v_cndmask_b32_e64 v215, v194, v194, s2
	s_delay_alu instid0(VALU_DEP_2) | instskip(NEXT) | instid1(VALU_DEP_2)
	v_add_f64 v[217:218], v[217:218], v[219:220]
	v_add_f64 v[213:214], v[213:214], v[215:216]
	s_delay_alu instid0(VALU_DEP_1) | instskip(SKIP_4) | instid1(SALU_CYCLE_1)
	v_cmp_lt_f64_e32 vcc_lo, v[213:214], v[217:218]
	v_dual_cndmask_b32 v194, v194, v211 :: v_dual_cndmask_b32 v193, v193, v210
	v_dual_cndmask_b32 v192, v192, v209 :: v_dual_cndmask_b32 v195, v195, v212
	v_cndmask_b32_e64 v200, v200, s6, vcc_lo
	s_add_i32 s6, s6, 1
	s_cmp_lg_u32 s5, s6
	s_cbranch_scc1 .LBB94_526
.LBB94_527:
	s_set_inst_prefetch_distance 0x2
	s_waitcnt lgkmcnt(0)
	v_cmp_eq_f64_e32 vcc_lo, 0, v[192:193]
	v_cmp_eq_f64_e64 s2, 0, v[194:195]
	s_delay_alu instid0(VALU_DEP_1) | instskip(NEXT) | instid1(SALU_CYCLE_1)
	s_and_b32 s2, vcc_lo, s2
	s_and_saveexec_b32 s3, s2
	s_delay_alu instid0(SALU_CYCLE_1)
	s_xor_b32 s2, exec_lo, s3
; %bb.528:
	v_cmp_ne_u32_e32 vcc_lo, 0, v205
	v_cndmask_b32_e32 v205, 26, v205, vcc_lo
; %bb.529:
	s_and_not1_saveexec_b32 s3, s2
	s_cbranch_execz .LBB94_535
; %bb.530:
	v_cmp_gt_f64_e32 vcc_lo, 0, v[192:193]
	v_cmp_gt_f64_e64 s2, 0, v[194:195]
	v_xor_b32_e32 v201, 0x80000000, v193
	v_xor_b32_e32 v209, 0x80000000, v195
	s_delay_alu instid0(VALU_DEP_2) | instskip(NEXT) | instid1(VALU_DEP_2)
	v_cndmask_b32_e32 v210, v193, v201, vcc_lo
	v_cndmask_b32_e64 v212, v195, v209, s2
	v_cndmask_b32_e32 v209, v192, v192, vcc_lo
	v_cndmask_b32_e64 v211, v194, v194, s2
	s_mov_b32 s2, exec_lo
	s_delay_alu instid0(VALU_DEP_1)
	v_cmpx_ngt_f64_e32 v[209:210], v[211:212]
	s_xor_b32 s2, exec_lo, s2
	s_cbranch_execz .LBB94_532
; %bb.531:
	v_div_scale_f64 v[209:210], null, v[194:195], v[194:195], v[192:193]
	v_div_scale_f64 v[215:216], vcc_lo, v[192:193], v[194:195], v[192:193]
	s_delay_alu instid0(VALU_DEP_2) | instskip(SKIP_2) | instid1(VALU_DEP_1)
	v_rcp_f64_e32 v[211:212], v[209:210]
	s_waitcnt_depctr 0xfff
	v_fma_f64 v[213:214], -v[209:210], v[211:212], 1.0
	v_fma_f64 v[211:212], v[211:212], v[213:214], v[211:212]
	s_delay_alu instid0(VALU_DEP_1) | instskip(NEXT) | instid1(VALU_DEP_1)
	v_fma_f64 v[213:214], -v[209:210], v[211:212], 1.0
	v_fma_f64 v[211:212], v[211:212], v[213:214], v[211:212]
	s_delay_alu instid0(VALU_DEP_1) | instskip(NEXT) | instid1(VALU_DEP_1)
	v_mul_f64 v[213:214], v[215:216], v[211:212]
	v_fma_f64 v[209:210], -v[209:210], v[213:214], v[215:216]
	s_delay_alu instid0(VALU_DEP_1) | instskip(NEXT) | instid1(VALU_DEP_1)
	v_div_fmas_f64 v[209:210], v[209:210], v[211:212], v[213:214]
	v_div_fixup_f64 v[209:210], v[209:210], v[194:195], v[192:193]
	s_delay_alu instid0(VALU_DEP_1) | instskip(NEXT) | instid1(VALU_DEP_1)
	v_fma_f64 v[192:193], v[192:193], v[209:210], v[194:195]
	v_div_scale_f64 v[194:195], null, v[192:193], v[192:193], 1.0
	s_delay_alu instid0(VALU_DEP_1) | instskip(SKIP_2) | instid1(VALU_DEP_1)
	v_rcp_f64_e32 v[211:212], v[194:195]
	s_waitcnt_depctr 0xfff
	v_fma_f64 v[213:214], -v[194:195], v[211:212], 1.0
	v_fma_f64 v[211:212], v[211:212], v[213:214], v[211:212]
	s_delay_alu instid0(VALU_DEP_1) | instskip(NEXT) | instid1(VALU_DEP_1)
	v_fma_f64 v[213:214], -v[194:195], v[211:212], 1.0
	v_fma_f64 v[211:212], v[211:212], v[213:214], v[211:212]
	v_div_scale_f64 v[213:214], vcc_lo, 1.0, v[192:193], 1.0
	s_delay_alu instid0(VALU_DEP_1) | instskip(NEXT) | instid1(VALU_DEP_1)
	v_mul_f64 v[215:216], v[213:214], v[211:212]
	v_fma_f64 v[194:195], -v[194:195], v[215:216], v[213:214]
	s_delay_alu instid0(VALU_DEP_1) | instskip(NEXT) | instid1(VALU_DEP_1)
	v_div_fmas_f64 v[194:195], v[194:195], v[211:212], v[215:216]
	v_div_fixup_f64 v[194:195], v[194:195], v[192:193], 1.0
	s_delay_alu instid0(VALU_DEP_1)
	v_mul_f64 v[192:193], v[209:210], v[194:195]
	v_xor_b32_e32 v195, 0x80000000, v195
.LBB94_532:
	s_and_not1_saveexec_b32 s2, s2
	s_cbranch_execz .LBB94_534
; %bb.533:
	s_delay_alu instid0(VALU_DEP_1) | instskip(SKIP_1) | instid1(VALU_DEP_2)
	v_div_scale_f64 v[209:210], null, v[192:193], v[192:193], v[194:195]
	v_div_scale_f64 v[215:216], vcc_lo, v[194:195], v[192:193], v[194:195]
	v_rcp_f64_e32 v[211:212], v[209:210]
	s_waitcnt_depctr 0xfff
	v_fma_f64 v[213:214], -v[209:210], v[211:212], 1.0
	s_delay_alu instid0(VALU_DEP_1) | instskip(NEXT) | instid1(VALU_DEP_1)
	v_fma_f64 v[211:212], v[211:212], v[213:214], v[211:212]
	v_fma_f64 v[213:214], -v[209:210], v[211:212], 1.0
	s_delay_alu instid0(VALU_DEP_1) | instskip(NEXT) | instid1(VALU_DEP_1)
	v_fma_f64 v[211:212], v[211:212], v[213:214], v[211:212]
	v_mul_f64 v[213:214], v[215:216], v[211:212]
	s_delay_alu instid0(VALU_DEP_1) | instskip(NEXT) | instid1(VALU_DEP_1)
	v_fma_f64 v[209:210], -v[209:210], v[213:214], v[215:216]
	v_div_fmas_f64 v[209:210], v[209:210], v[211:212], v[213:214]
	s_delay_alu instid0(VALU_DEP_1) | instskip(NEXT) | instid1(VALU_DEP_1)
	v_div_fixup_f64 v[209:210], v[209:210], v[192:193], v[194:195]
	v_fma_f64 v[192:193], v[194:195], v[209:210], v[192:193]
	s_delay_alu instid0(VALU_DEP_1) | instskip(NEXT) | instid1(VALU_DEP_1)
	v_div_scale_f64 v[194:195], null, v[192:193], v[192:193], 1.0
	v_rcp_f64_e32 v[211:212], v[194:195]
	s_waitcnt_depctr 0xfff
	v_fma_f64 v[213:214], -v[194:195], v[211:212], 1.0
	s_delay_alu instid0(VALU_DEP_1) | instskip(NEXT) | instid1(VALU_DEP_1)
	v_fma_f64 v[211:212], v[211:212], v[213:214], v[211:212]
	v_fma_f64 v[213:214], -v[194:195], v[211:212], 1.0
	s_delay_alu instid0(VALU_DEP_1) | instskip(SKIP_1) | instid1(VALU_DEP_1)
	v_fma_f64 v[211:212], v[211:212], v[213:214], v[211:212]
	v_div_scale_f64 v[213:214], vcc_lo, 1.0, v[192:193], 1.0
	v_mul_f64 v[215:216], v[213:214], v[211:212]
	s_delay_alu instid0(VALU_DEP_1) | instskip(NEXT) | instid1(VALU_DEP_1)
	v_fma_f64 v[194:195], -v[194:195], v[215:216], v[213:214]
	v_div_fmas_f64 v[194:195], v[194:195], v[211:212], v[215:216]
	s_delay_alu instid0(VALU_DEP_1) | instskip(NEXT) | instid1(VALU_DEP_1)
	v_div_fixup_f64 v[192:193], v[194:195], v[192:193], 1.0
	v_mul_f64 v[194:195], v[209:210], -v[192:193]
.LBB94_534:
	s_or_b32 exec_lo, exec_lo, s2
.LBB94_535:
	s_delay_alu instid0(SALU_CYCLE_1) | instskip(NEXT) | instid1(SALU_CYCLE_1)
	s_or_b32 exec_lo, exec_lo, s3
	s_mov_b32 s2, exec_lo
	v_cmpx_ne_u32_e64 v208, v200
	s_xor_b32 s2, exec_lo, s2
	s_cbranch_execz .LBB94_541
; %bb.536:
	s_mov_b32 s3, exec_lo
	v_cmpx_eq_u32_e32 25, v208
	s_cbranch_execz .LBB94_540
; %bb.537:
	v_cmp_ne_u32_e32 vcc_lo, 25, v200
	s_xor_b32 s6, s4, -1
	s_delay_alu instid0(SALU_CYCLE_1) | instskip(NEXT) | instid1(SALU_CYCLE_1)
	s_and_b32 s7, s6, vcc_lo
	s_and_saveexec_b32 s6, s7
	s_cbranch_execz .LBB94_539
; %bb.538:
	v_ashrrev_i32_e32 v201, 31, v200
	s_delay_alu instid0(VALU_DEP_1) | instskip(NEXT) | instid1(VALU_DEP_1)
	v_lshlrev_b64 v[208:209], 2, v[200:201]
	v_add_co_u32 v208, vcc_lo, v198, v208
	s_delay_alu instid0(VALU_DEP_2)
	v_add_co_ci_u32_e32 v209, vcc_lo, v199, v209, vcc_lo
	s_clause 0x1
	flat_load_b32 v201, v[208:209]
	flat_load_b32 v206, v[198:199] offset:100
	s_waitcnt vmcnt(1) lgkmcnt(1)
	flat_store_b32 v[198:199], v201 offset:100
	s_waitcnt vmcnt(0) lgkmcnt(1)
	flat_store_b32 v[208:209], v206
.LBB94_539:
	s_or_b32 exec_lo, exec_lo, s6
	v_mov_b32_e32 v208, v200
	v_mov_b32_e32 v206, v200
.LBB94_540:
	s_or_b32 exec_lo, exec_lo, s3
.LBB94_541:
	s_and_not1_saveexec_b32 s2, s2
	s_cbranch_execz .LBB94_543
; %bb.542:
	v_mov_b32_e32 v208, 25
	ds_store_2addr_b64 v202, v[84:85], v[86:87] offset0:52 offset1:53
	ds_store_2addr_b64 v202, v[80:81], v[82:83] offset0:54 offset1:55
	;; [unrolled: 1-line block ×22, first 2 shown]
.LBB94_543:
	s_or_b32 exec_lo, exec_lo, s2
	s_delay_alu instid0(SALU_CYCLE_1)
	s_mov_b32 s2, exec_lo
	s_waitcnt lgkmcnt(0)
	s_waitcnt_vscnt null, 0x0
	s_barrier
	buffer_gl0_inv
	v_cmpx_lt_i32_e32 25, v208
	s_cbranch_execz .LBB94_545
; %bb.544:
	v_mul_f64 v[200:201], v[194:195], v[90:91]
	v_mul_f64 v[90:91], v[192:193], v[90:91]
	s_delay_alu instid0(VALU_DEP_2) | instskip(NEXT) | instid1(VALU_DEP_2)
	v_fma_f64 v[200:201], v[192:193], v[88:89], -v[200:201]
	v_fma_f64 v[90:91], v[194:195], v[88:89], v[90:91]
	ds_load_2addr_b64 v[192:195], v202 offset0:52 offset1:53
	s_waitcnt lgkmcnt(0)
	v_mul_f64 v[88:89], v[194:195], v[90:91]
	s_delay_alu instid0(VALU_DEP_1) | instskip(SKIP_1) | instid1(VALU_DEP_2)
	v_fma_f64 v[88:89], v[192:193], v[200:201], -v[88:89]
	v_mul_f64 v[192:193], v[192:193], v[90:91]
	v_add_f64 v[84:85], v[84:85], -v[88:89]
	s_delay_alu instid0(VALU_DEP_2) | instskip(NEXT) | instid1(VALU_DEP_1)
	v_fma_f64 v[192:193], v[194:195], v[200:201], v[192:193]
	v_add_f64 v[86:87], v[86:87], -v[192:193]
	ds_load_2addr_b64 v[192:195], v202 offset0:54 offset1:55
	s_waitcnt lgkmcnt(0)
	v_mul_f64 v[88:89], v[194:195], v[90:91]
	s_delay_alu instid0(VALU_DEP_1) | instskip(SKIP_1) | instid1(VALU_DEP_2)
	v_fma_f64 v[88:89], v[192:193], v[200:201], -v[88:89]
	v_mul_f64 v[192:193], v[192:193], v[90:91]
	v_add_f64 v[80:81], v[80:81], -v[88:89]
	s_delay_alu instid0(VALU_DEP_2) | instskip(NEXT) | instid1(VALU_DEP_1)
	v_fma_f64 v[192:193], v[194:195], v[200:201], v[192:193]
	v_add_f64 v[82:83], v[82:83], -v[192:193]
	;; [unrolled: 10-line block ×21, first 2 shown]
	ds_load_2addr_b64 v[192:195], v202 offset0:94 offset1:95
	s_waitcnt lgkmcnt(0)
	v_mul_f64 v[88:89], v[194:195], v[90:91]
	s_delay_alu instid0(VALU_DEP_1) | instskip(SKIP_1) | instid1(VALU_DEP_2)
	v_fma_f64 v[88:89], v[192:193], v[200:201], -v[88:89]
	v_mul_f64 v[192:193], v[192:193], v[90:91]
	v_add_f64 v[0:1], v[0:1], -v[88:89]
	s_delay_alu instid0(VALU_DEP_2) | instskip(SKIP_1) | instid1(VALU_DEP_2)
	v_fma_f64 v[192:193], v[194:195], v[200:201], v[192:193]
	v_dual_mov_b32 v88, v200 :: v_dual_mov_b32 v89, v201
	v_add_f64 v[2:3], v[2:3], -v[192:193]
.LBB94_545:
	s_or_b32 exec_lo, exec_lo, s2
	v_lshl_add_u32 v192, v208, 4, v202
	s_barrier
	buffer_gl0_inv
	v_mov_b32_e32 v200, 26
	ds_store_2addr_b64 v192, v[84:85], v[86:87] offset1:1
	s_waitcnt lgkmcnt(0)
	s_barrier
	buffer_gl0_inv
	ds_load_2addr_b64 v[192:195], v202 offset0:52 offset1:53
	s_cmp_lt_i32 s5, 28
	s_cbranch_scc1 .LBB94_548
; %bb.546:
	v_add3_u32 v201, v207, 0, 0x1b0
	v_mov_b32_e32 v200, 26
	s_mov_b32 s6, 27
	s_set_inst_prefetch_distance 0x1
	.p2align	6
.LBB94_547:                             ; =>This Inner Loop Header: Depth=1
	ds_load_2addr_b64 v[209:212], v201 offset1:1
	s_waitcnt lgkmcnt(1)
	v_cmp_gt_f64_e32 vcc_lo, 0, v[192:193]
	v_xor_b32_e32 v213, 0x80000000, v193
	v_cmp_gt_f64_e64 s2, 0, v[194:195]
	v_xor_b32_e32 v215, 0x80000000, v195
	v_add_nc_u32_e32 v201, 16, v201
	s_waitcnt lgkmcnt(0)
	v_cmp_gt_f64_e64 s3, 0, v[209:210]
	v_mov_b32_e32 v217, v209
	v_dual_mov_b32 v219, v211 :: v_dual_cndmask_b32 v214, v193, v213
	v_xor_b32_e32 v213, 0x80000000, v210
	v_cndmask_b32_e64 v216, v195, v215, s2
	v_xor_b32_e32 v215, 0x80000000, v212
	s_delay_alu instid0(VALU_DEP_3) | instskip(SKIP_2) | instid1(VALU_DEP_2)
	v_cndmask_b32_e64 v218, v210, v213, s3
	v_cmp_gt_f64_e64 s3, 0, v[211:212]
	v_cndmask_b32_e32 v213, v192, v192, vcc_lo
	v_cndmask_b32_e64 v220, v212, v215, s3
	v_cndmask_b32_e64 v215, v194, v194, s2
	s_delay_alu instid0(VALU_DEP_2) | instskip(NEXT) | instid1(VALU_DEP_2)
	v_add_f64 v[217:218], v[217:218], v[219:220]
	v_add_f64 v[213:214], v[213:214], v[215:216]
	s_delay_alu instid0(VALU_DEP_1) | instskip(SKIP_4) | instid1(SALU_CYCLE_1)
	v_cmp_lt_f64_e32 vcc_lo, v[213:214], v[217:218]
	v_dual_cndmask_b32 v194, v194, v211 :: v_dual_cndmask_b32 v193, v193, v210
	v_dual_cndmask_b32 v192, v192, v209 :: v_dual_cndmask_b32 v195, v195, v212
	v_cndmask_b32_e64 v200, v200, s6, vcc_lo
	s_add_i32 s6, s6, 1
	s_cmp_lg_u32 s5, s6
	s_cbranch_scc1 .LBB94_547
.LBB94_548:
	s_set_inst_prefetch_distance 0x2
	s_waitcnt lgkmcnt(0)
	v_cmp_eq_f64_e32 vcc_lo, 0, v[192:193]
	v_cmp_eq_f64_e64 s2, 0, v[194:195]
	s_delay_alu instid0(VALU_DEP_1) | instskip(NEXT) | instid1(SALU_CYCLE_1)
	s_and_b32 s2, vcc_lo, s2
	s_and_saveexec_b32 s3, s2
	s_delay_alu instid0(SALU_CYCLE_1)
	s_xor_b32 s2, exec_lo, s3
; %bb.549:
	v_cmp_ne_u32_e32 vcc_lo, 0, v205
	v_cndmask_b32_e32 v205, 27, v205, vcc_lo
; %bb.550:
	s_and_not1_saveexec_b32 s3, s2
	s_cbranch_execz .LBB94_556
; %bb.551:
	v_cmp_gt_f64_e32 vcc_lo, 0, v[192:193]
	v_cmp_gt_f64_e64 s2, 0, v[194:195]
	v_xor_b32_e32 v201, 0x80000000, v193
	v_xor_b32_e32 v209, 0x80000000, v195
	s_delay_alu instid0(VALU_DEP_2) | instskip(NEXT) | instid1(VALU_DEP_2)
	v_cndmask_b32_e32 v210, v193, v201, vcc_lo
	v_cndmask_b32_e64 v212, v195, v209, s2
	v_cndmask_b32_e32 v209, v192, v192, vcc_lo
	v_cndmask_b32_e64 v211, v194, v194, s2
	s_mov_b32 s2, exec_lo
	s_delay_alu instid0(VALU_DEP_1)
	v_cmpx_ngt_f64_e32 v[209:210], v[211:212]
	s_xor_b32 s2, exec_lo, s2
	s_cbranch_execz .LBB94_553
; %bb.552:
	v_div_scale_f64 v[209:210], null, v[194:195], v[194:195], v[192:193]
	v_div_scale_f64 v[215:216], vcc_lo, v[192:193], v[194:195], v[192:193]
	s_delay_alu instid0(VALU_DEP_2) | instskip(SKIP_2) | instid1(VALU_DEP_1)
	v_rcp_f64_e32 v[211:212], v[209:210]
	s_waitcnt_depctr 0xfff
	v_fma_f64 v[213:214], -v[209:210], v[211:212], 1.0
	v_fma_f64 v[211:212], v[211:212], v[213:214], v[211:212]
	s_delay_alu instid0(VALU_DEP_1) | instskip(NEXT) | instid1(VALU_DEP_1)
	v_fma_f64 v[213:214], -v[209:210], v[211:212], 1.0
	v_fma_f64 v[211:212], v[211:212], v[213:214], v[211:212]
	s_delay_alu instid0(VALU_DEP_1) | instskip(NEXT) | instid1(VALU_DEP_1)
	v_mul_f64 v[213:214], v[215:216], v[211:212]
	v_fma_f64 v[209:210], -v[209:210], v[213:214], v[215:216]
	s_delay_alu instid0(VALU_DEP_1) | instskip(NEXT) | instid1(VALU_DEP_1)
	v_div_fmas_f64 v[209:210], v[209:210], v[211:212], v[213:214]
	v_div_fixup_f64 v[209:210], v[209:210], v[194:195], v[192:193]
	s_delay_alu instid0(VALU_DEP_1) | instskip(NEXT) | instid1(VALU_DEP_1)
	v_fma_f64 v[192:193], v[192:193], v[209:210], v[194:195]
	v_div_scale_f64 v[194:195], null, v[192:193], v[192:193], 1.0
	s_delay_alu instid0(VALU_DEP_1) | instskip(SKIP_2) | instid1(VALU_DEP_1)
	v_rcp_f64_e32 v[211:212], v[194:195]
	s_waitcnt_depctr 0xfff
	v_fma_f64 v[213:214], -v[194:195], v[211:212], 1.0
	v_fma_f64 v[211:212], v[211:212], v[213:214], v[211:212]
	s_delay_alu instid0(VALU_DEP_1) | instskip(NEXT) | instid1(VALU_DEP_1)
	v_fma_f64 v[213:214], -v[194:195], v[211:212], 1.0
	v_fma_f64 v[211:212], v[211:212], v[213:214], v[211:212]
	v_div_scale_f64 v[213:214], vcc_lo, 1.0, v[192:193], 1.0
	s_delay_alu instid0(VALU_DEP_1) | instskip(NEXT) | instid1(VALU_DEP_1)
	v_mul_f64 v[215:216], v[213:214], v[211:212]
	v_fma_f64 v[194:195], -v[194:195], v[215:216], v[213:214]
	s_delay_alu instid0(VALU_DEP_1) | instskip(NEXT) | instid1(VALU_DEP_1)
	v_div_fmas_f64 v[194:195], v[194:195], v[211:212], v[215:216]
	v_div_fixup_f64 v[194:195], v[194:195], v[192:193], 1.0
	s_delay_alu instid0(VALU_DEP_1)
	v_mul_f64 v[192:193], v[209:210], v[194:195]
	v_xor_b32_e32 v195, 0x80000000, v195
.LBB94_553:
	s_and_not1_saveexec_b32 s2, s2
	s_cbranch_execz .LBB94_555
; %bb.554:
	s_delay_alu instid0(VALU_DEP_1) | instskip(SKIP_1) | instid1(VALU_DEP_2)
	v_div_scale_f64 v[209:210], null, v[192:193], v[192:193], v[194:195]
	v_div_scale_f64 v[215:216], vcc_lo, v[194:195], v[192:193], v[194:195]
	v_rcp_f64_e32 v[211:212], v[209:210]
	s_waitcnt_depctr 0xfff
	v_fma_f64 v[213:214], -v[209:210], v[211:212], 1.0
	s_delay_alu instid0(VALU_DEP_1) | instskip(NEXT) | instid1(VALU_DEP_1)
	v_fma_f64 v[211:212], v[211:212], v[213:214], v[211:212]
	v_fma_f64 v[213:214], -v[209:210], v[211:212], 1.0
	s_delay_alu instid0(VALU_DEP_1) | instskip(NEXT) | instid1(VALU_DEP_1)
	v_fma_f64 v[211:212], v[211:212], v[213:214], v[211:212]
	v_mul_f64 v[213:214], v[215:216], v[211:212]
	s_delay_alu instid0(VALU_DEP_1) | instskip(NEXT) | instid1(VALU_DEP_1)
	v_fma_f64 v[209:210], -v[209:210], v[213:214], v[215:216]
	v_div_fmas_f64 v[209:210], v[209:210], v[211:212], v[213:214]
	s_delay_alu instid0(VALU_DEP_1) | instskip(NEXT) | instid1(VALU_DEP_1)
	v_div_fixup_f64 v[209:210], v[209:210], v[192:193], v[194:195]
	v_fma_f64 v[192:193], v[194:195], v[209:210], v[192:193]
	s_delay_alu instid0(VALU_DEP_1) | instskip(NEXT) | instid1(VALU_DEP_1)
	v_div_scale_f64 v[194:195], null, v[192:193], v[192:193], 1.0
	v_rcp_f64_e32 v[211:212], v[194:195]
	s_waitcnt_depctr 0xfff
	v_fma_f64 v[213:214], -v[194:195], v[211:212], 1.0
	s_delay_alu instid0(VALU_DEP_1) | instskip(NEXT) | instid1(VALU_DEP_1)
	v_fma_f64 v[211:212], v[211:212], v[213:214], v[211:212]
	v_fma_f64 v[213:214], -v[194:195], v[211:212], 1.0
	s_delay_alu instid0(VALU_DEP_1) | instskip(SKIP_1) | instid1(VALU_DEP_1)
	v_fma_f64 v[211:212], v[211:212], v[213:214], v[211:212]
	v_div_scale_f64 v[213:214], vcc_lo, 1.0, v[192:193], 1.0
	v_mul_f64 v[215:216], v[213:214], v[211:212]
	s_delay_alu instid0(VALU_DEP_1) | instskip(NEXT) | instid1(VALU_DEP_1)
	v_fma_f64 v[194:195], -v[194:195], v[215:216], v[213:214]
	v_div_fmas_f64 v[194:195], v[194:195], v[211:212], v[215:216]
	s_delay_alu instid0(VALU_DEP_1) | instskip(NEXT) | instid1(VALU_DEP_1)
	v_div_fixup_f64 v[192:193], v[194:195], v[192:193], 1.0
	v_mul_f64 v[194:195], v[209:210], -v[192:193]
.LBB94_555:
	s_or_b32 exec_lo, exec_lo, s2
.LBB94_556:
	s_delay_alu instid0(SALU_CYCLE_1) | instskip(NEXT) | instid1(SALU_CYCLE_1)
	s_or_b32 exec_lo, exec_lo, s3
	s_mov_b32 s2, exec_lo
	v_cmpx_ne_u32_e64 v208, v200
	s_xor_b32 s2, exec_lo, s2
	s_cbranch_execz .LBB94_562
; %bb.557:
	s_mov_b32 s3, exec_lo
	v_cmpx_eq_u32_e32 26, v208
	s_cbranch_execz .LBB94_561
; %bb.558:
	v_cmp_ne_u32_e32 vcc_lo, 26, v200
	s_xor_b32 s6, s4, -1
	s_delay_alu instid0(SALU_CYCLE_1) | instskip(NEXT) | instid1(SALU_CYCLE_1)
	s_and_b32 s7, s6, vcc_lo
	s_and_saveexec_b32 s6, s7
	s_cbranch_execz .LBB94_560
; %bb.559:
	v_ashrrev_i32_e32 v201, 31, v200
	s_delay_alu instid0(VALU_DEP_1) | instskip(NEXT) | instid1(VALU_DEP_1)
	v_lshlrev_b64 v[208:209], 2, v[200:201]
	v_add_co_u32 v208, vcc_lo, v198, v208
	s_delay_alu instid0(VALU_DEP_2)
	v_add_co_ci_u32_e32 v209, vcc_lo, v199, v209, vcc_lo
	s_clause 0x1
	flat_load_b32 v201, v[208:209]
	flat_load_b32 v206, v[198:199] offset:104
	s_waitcnt vmcnt(1) lgkmcnt(1)
	flat_store_b32 v[198:199], v201 offset:104
	s_waitcnt vmcnt(0) lgkmcnt(1)
	flat_store_b32 v[208:209], v206
.LBB94_560:
	s_or_b32 exec_lo, exec_lo, s6
	v_mov_b32_e32 v208, v200
	v_mov_b32_e32 v206, v200
.LBB94_561:
	s_or_b32 exec_lo, exec_lo, s3
.LBB94_562:
	s_and_not1_saveexec_b32 s2, s2
	s_cbranch_execz .LBB94_564
; %bb.563:
	v_mov_b32_e32 v208, 26
	ds_store_2addr_b64 v202, v[80:81], v[82:83] offset0:54 offset1:55
	ds_store_2addr_b64 v202, v[76:77], v[78:79] offset0:56 offset1:57
	;; [unrolled: 1-line block ×21, first 2 shown]
.LBB94_564:
	s_or_b32 exec_lo, exec_lo, s2
	s_delay_alu instid0(SALU_CYCLE_1)
	s_mov_b32 s2, exec_lo
	s_waitcnt lgkmcnt(0)
	s_waitcnt_vscnt null, 0x0
	s_barrier
	buffer_gl0_inv
	v_cmpx_lt_i32_e32 26, v208
	s_cbranch_execz .LBB94_566
; %bb.565:
	v_mul_f64 v[200:201], v[194:195], v[86:87]
	v_mul_f64 v[86:87], v[192:193], v[86:87]
	s_delay_alu instid0(VALU_DEP_2) | instskip(NEXT) | instid1(VALU_DEP_2)
	v_fma_f64 v[200:201], v[192:193], v[84:85], -v[200:201]
	v_fma_f64 v[86:87], v[194:195], v[84:85], v[86:87]
	ds_load_2addr_b64 v[192:195], v202 offset0:54 offset1:55
	s_waitcnt lgkmcnt(0)
	v_mul_f64 v[84:85], v[194:195], v[86:87]
	s_delay_alu instid0(VALU_DEP_1) | instskip(SKIP_1) | instid1(VALU_DEP_2)
	v_fma_f64 v[84:85], v[192:193], v[200:201], -v[84:85]
	v_mul_f64 v[192:193], v[192:193], v[86:87]
	v_add_f64 v[80:81], v[80:81], -v[84:85]
	s_delay_alu instid0(VALU_DEP_2) | instskip(NEXT) | instid1(VALU_DEP_1)
	v_fma_f64 v[192:193], v[194:195], v[200:201], v[192:193]
	v_add_f64 v[82:83], v[82:83], -v[192:193]
	ds_load_2addr_b64 v[192:195], v202 offset0:56 offset1:57
	s_waitcnt lgkmcnt(0)
	v_mul_f64 v[84:85], v[194:195], v[86:87]
	s_delay_alu instid0(VALU_DEP_1) | instskip(SKIP_1) | instid1(VALU_DEP_2)
	v_fma_f64 v[84:85], v[192:193], v[200:201], -v[84:85]
	v_mul_f64 v[192:193], v[192:193], v[86:87]
	v_add_f64 v[76:77], v[76:77], -v[84:85]
	s_delay_alu instid0(VALU_DEP_2) | instskip(NEXT) | instid1(VALU_DEP_1)
	v_fma_f64 v[192:193], v[194:195], v[200:201], v[192:193]
	v_add_f64 v[78:79], v[78:79], -v[192:193]
	;; [unrolled: 10-line block ×20, first 2 shown]
	ds_load_2addr_b64 v[192:195], v202 offset0:94 offset1:95
	s_waitcnt lgkmcnt(0)
	v_mul_f64 v[84:85], v[194:195], v[86:87]
	s_delay_alu instid0(VALU_DEP_1) | instskip(SKIP_1) | instid1(VALU_DEP_2)
	v_fma_f64 v[84:85], v[192:193], v[200:201], -v[84:85]
	v_mul_f64 v[192:193], v[192:193], v[86:87]
	v_add_f64 v[0:1], v[0:1], -v[84:85]
	s_delay_alu instid0(VALU_DEP_2) | instskip(SKIP_1) | instid1(VALU_DEP_2)
	v_fma_f64 v[192:193], v[194:195], v[200:201], v[192:193]
	v_dual_mov_b32 v84, v200 :: v_dual_mov_b32 v85, v201
	v_add_f64 v[2:3], v[2:3], -v[192:193]
.LBB94_566:
	s_or_b32 exec_lo, exec_lo, s2
	v_lshl_add_u32 v192, v208, 4, v202
	s_barrier
	buffer_gl0_inv
	v_mov_b32_e32 v200, 27
	ds_store_2addr_b64 v192, v[80:81], v[82:83] offset1:1
	s_waitcnt lgkmcnt(0)
	s_barrier
	buffer_gl0_inv
	ds_load_2addr_b64 v[192:195], v202 offset0:54 offset1:55
	s_cmp_lt_i32 s5, 29
	s_cbranch_scc1 .LBB94_569
; %bb.567:
	v_add3_u32 v201, v207, 0, 0x1c0
	v_mov_b32_e32 v200, 27
	s_mov_b32 s6, 28
	s_set_inst_prefetch_distance 0x1
	.p2align	6
.LBB94_568:                             ; =>This Inner Loop Header: Depth=1
	ds_load_2addr_b64 v[209:212], v201 offset1:1
	s_waitcnt lgkmcnt(1)
	v_cmp_gt_f64_e32 vcc_lo, 0, v[192:193]
	v_xor_b32_e32 v213, 0x80000000, v193
	v_cmp_gt_f64_e64 s2, 0, v[194:195]
	v_xor_b32_e32 v215, 0x80000000, v195
	v_add_nc_u32_e32 v201, 16, v201
	s_waitcnt lgkmcnt(0)
	v_cmp_gt_f64_e64 s3, 0, v[209:210]
	v_mov_b32_e32 v217, v209
	v_dual_mov_b32 v219, v211 :: v_dual_cndmask_b32 v214, v193, v213
	v_xor_b32_e32 v213, 0x80000000, v210
	v_cndmask_b32_e64 v216, v195, v215, s2
	v_xor_b32_e32 v215, 0x80000000, v212
	s_delay_alu instid0(VALU_DEP_3) | instskip(SKIP_2) | instid1(VALU_DEP_2)
	v_cndmask_b32_e64 v218, v210, v213, s3
	v_cmp_gt_f64_e64 s3, 0, v[211:212]
	v_cndmask_b32_e32 v213, v192, v192, vcc_lo
	v_cndmask_b32_e64 v220, v212, v215, s3
	v_cndmask_b32_e64 v215, v194, v194, s2
	s_delay_alu instid0(VALU_DEP_2) | instskip(NEXT) | instid1(VALU_DEP_2)
	v_add_f64 v[217:218], v[217:218], v[219:220]
	v_add_f64 v[213:214], v[213:214], v[215:216]
	s_delay_alu instid0(VALU_DEP_1) | instskip(SKIP_4) | instid1(SALU_CYCLE_1)
	v_cmp_lt_f64_e32 vcc_lo, v[213:214], v[217:218]
	v_dual_cndmask_b32 v194, v194, v211 :: v_dual_cndmask_b32 v193, v193, v210
	v_dual_cndmask_b32 v192, v192, v209 :: v_dual_cndmask_b32 v195, v195, v212
	v_cndmask_b32_e64 v200, v200, s6, vcc_lo
	s_add_i32 s6, s6, 1
	s_cmp_lg_u32 s5, s6
	s_cbranch_scc1 .LBB94_568
.LBB94_569:
	s_set_inst_prefetch_distance 0x2
	s_waitcnt lgkmcnt(0)
	v_cmp_eq_f64_e32 vcc_lo, 0, v[192:193]
	v_cmp_eq_f64_e64 s2, 0, v[194:195]
	s_delay_alu instid0(VALU_DEP_1) | instskip(NEXT) | instid1(SALU_CYCLE_1)
	s_and_b32 s2, vcc_lo, s2
	s_and_saveexec_b32 s3, s2
	s_delay_alu instid0(SALU_CYCLE_1)
	s_xor_b32 s2, exec_lo, s3
; %bb.570:
	v_cmp_ne_u32_e32 vcc_lo, 0, v205
	v_cndmask_b32_e32 v205, 28, v205, vcc_lo
; %bb.571:
	s_and_not1_saveexec_b32 s3, s2
	s_cbranch_execz .LBB94_577
; %bb.572:
	v_cmp_gt_f64_e32 vcc_lo, 0, v[192:193]
	v_cmp_gt_f64_e64 s2, 0, v[194:195]
	v_xor_b32_e32 v201, 0x80000000, v193
	v_xor_b32_e32 v209, 0x80000000, v195
	s_delay_alu instid0(VALU_DEP_2) | instskip(NEXT) | instid1(VALU_DEP_2)
	v_cndmask_b32_e32 v210, v193, v201, vcc_lo
	v_cndmask_b32_e64 v212, v195, v209, s2
	v_cndmask_b32_e32 v209, v192, v192, vcc_lo
	v_cndmask_b32_e64 v211, v194, v194, s2
	s_mov_b32 s2, exec_lo
	s_delay_alu instid0(VALU_DEP_1)
	v_cmpx_ngt_f64_e32 v[209:210], v[211:212]
	s_xor_b32 s2, exec_lo, s2
	s_cbranch_execz .LBB94_574
; %bb.573:
	v_div_scale_f64 v[209:210], null, v[194:195], v[194:195], v[192:193]
	v_div_scale_f64 v[215:216], vcc_lo, v[192:193], v[194:195], v[192:193]
	s_delay_alu instid0(VALU_DEP_2) | instskip(SKIP_2) | instid1(VALU_DEP_1)
	v_rcp_f64_e32 v[211:212], v[209:210]
	s_waitcnt_depctr 0xfff
	v_fma_f64 v[213:214], -v[209:210], v[211:212], 1.0
	v_fma_f64 v[211:212], v[211:212], v[213:214], v[211:212]
	s_delay_alu instid0(VALU_DEP_1) | instskip(NEXT) | instid1(VALU_DEP_1)
	v_fma_f64 v[213:214], -v[209:210], v[211:212], 1.0
	v_fma_f64 v[211:212], v[211:212], v[213:214], v[211:212]
	s_delay_alu instid0(VALU_DEP_1) | instskip(NEXT) | instid1(VALU_DEP_1)
	v_mul_f64 v[213:214], v[215:216], v[211:212]
	v_fma_f64 v[209:210], -v[209:210], v[213:214], v[215:216]
	s_delay_alu instid0(VALU_DEP_1) | instskip(NEXT) | instid1(VALU_DEP_1)
	v_div_fmas_f64 v[209:210], v[209:210], v[211:212], v[213:214]
	v_div_fixup_f64 v[209:210], v[209:210], v[194:195], v[192:193]
	s_delay_alu instid0(VALU_DEP_1) | instskip(NEXT) | instid1(VALU_DEP_1)
	v_fma_f64 v[192:193], v[192:193], v[209:210], v[194:195]
	v_div_scale_f64 v[194:195], null, v[192:193], v[192:193], 1.0
	s_delay_alu instid0(VALU_DEP_1) | instskip(SKIP_2) | instid1(VALU_DEP_1)
	v_rcp_f64_e32 v[211:212], v[194:195]
	s_waitcnt_depctr 0xfff
	v_fma_f64 v[213:214], -v[194:195], v[211:212], 1.0
	v_fma_f64 v[211:212], v[211:212], v[213:214], v[211:212]
	s_delay_alu instid0(VALU_DEP_1) | instskip(NEXT) | instid1(VALU_DEP_1)
	v_fma_f64 v[213:214], -v[194:195], v[211:212], 1.0
	v_fma_f64 v[211:212], v[211:212], v[213:214], v[211:212]
	v_div_scale_f64 v[213:214], vcc_lo, 1.0, v[192:193], 1.0
	s_delay_alu instid0(VALU_DEP_1) | instskip(NEXT) | instid1(VALU_DEP_1)
	v_mul_f64 v[215:216], v[213:214], v[211:212]
	v_fma_f64 v[194:195], -v[194:195], v[215:216], v[213:214]
	s_delay_alu instid0(VALU_DEP_1) | instskip(NEXT) | instid1(VALU_DEP_1)
	v_div_fmas_f64 v[194:195], v[194:195], v[211:212], v[215:216]
	v_div_fixup_f64 v[194:195], v[194:195], v[192:193], 1.0
	s_delay_alu instid0(VALU_DEP_1)
	v_mul_f64 v[192:193], v[209:210], v[194:195]
	v_xor_b32_e32 v195, 0x80000000, v195
.LBB94_574:
	s_and_not1_saveexec_b32 s2, s2
	s_cbranch_execz .LBB94_576
; %bb.575:
	s_delay_alu instid0(VALU_DEP_1) | instskip(SKIP_1) | instid1(VALU_DEP_2)
	v_div_scale_f64 v[209:210], null, v[192:193], v[192:193], v[194:195]
	v_div_scale_f64 v[215:216], vcc_lo, v[194:195], v[192:193], v[194:195]
	v_rcp_f64_e32 v[211:212], v[209:210]
	s_waitcnt_depctr 0xfff
	v_fma_f64 v[213:214], -v[209:210], v[211:212], 1.0
	s_delay_alu instid0(VALU_DEP_1) | instskip(NEXT) | instid1(VALU_DEP_1)
	v_fma_f64 v[211:212], v[211:212], v[213:214], v[211:212]
	v_fma_f64 v[213:214], -v[209:210], v[211:212], 1.0
	s_delay_alu instid0(VALU_DEP_1) | instskip(NEXT) | instid1(VALU_DEP_1)
	v_fma_f64 v[211:212], v[211:212], v[213:214], v[211:212]
	v_mul_f64 v[213:214], v[215:216], v[211:212]
	s_delay_alu instid0(VALU_DEP_1) | instskip(NEXT) | instid1(VALU_DEP_1)
	v_fma_f64 v[209:210], -v[209:210], v[213:214], v[215:216]
	v_div_fmas_f64 v[209:210], v[209:210], v[211:212], v[213:214]
	s_delay_alu instid0(VALU_DEP_1) | instskip(NEXT) | instid1(VALU_DEP_1)
	v_div_fixup_f64 v[209:210], v[209:210], v[192:193], v[194:195]
	v_fma_f64 v[192:193], v[194:195], v[209:210], v[192:193]
	s_delay_alu instid0(VALU_DEP_1) | instskip(NEXT) | instid1(VALU_DEP_1)
	v_div_scale_f64 v[194:195], null, v[192:193], v[192:193], 1.0
	v_rcp_f64_e32 v[211:212], v[194:195]
	s_waitcnt_depctr 0xfff
	v_fma_f64 v[213:214], -v[194:195], v[211:212], 1.0
	s_delay_alu instid0(VALU_DEP_1) | instskip(NEXT) | instid1(VALU_DEP_1)
	v_fma_f64 v[211:212], v[211:212], v[213:214], v[211:212]
	v_fma_f64 v[213:214], -v[194:195], v[211:212], 1.0
	s_delay_alu instid0(VALU_DEP_1) | instskip(SKIP_1) | instid1(VALU_DEP_1)
	v_fma_f64 v[211:212], v[211:212], v[213:214], v[211:212]
	v_div_scale_f64 v[213:214], vcc_lo, 1.0, v[192:193], 1.0
	v_mul_f64 v[215:216], v[213:214], v[211:212]
	s_delay_alu instid0(VALU_DEP_1) | instskip(NEXT) | instid1(VALU_DEP_1)
	v_fma_f64 v[194:195], -v[194:195], v[215:216], v[213:214]
	v_div_fmas_f64 v[194:195], v[194:195], v[211:212], v[215:216]
	s_delay_alu instid0(VALU_DEP_1) | instskip(NEXT) | instid1(VALU_DEP_1)
	v_div_fixup_f64 v[192:193], v[194:195], v[192:193], 1.0
	v_mul_f64 v[194:195], v[209:210], -v[192:193]
.LBB94_576:
	s_or_b32 exec_lo, exec_lo, s2
.LBB94_577:
	s_delay_alu instid0(SALU_CYCLE_1) | instskip(NEXT) | instid1(SALU_CYCLE_1)
	s_or_b32 exec_lo, exec_lo, s3
	s_mov_b32 s2, exec_lo
	v_cmpx_ne_u32_e64 v208, v200
	s_xor_b32 s2, exec_lo, s2
	s_cbranch_execz .LBB94_583
; %bb.578:
	s_mov_b32 s3, exec_lo
	v_cmpx_eq_u32_e32 27, v208
	s_cbranch_execz .LBB94_582
; %bb.579:
	v_cmp_ne_u32_e32 vcc_lo, 27, v200
	s_xor_b32 s6, s4, -1
	s_delay_alu instid0(SALU_CYCLE_1) | instskip(NEXT) | instid1(SALU_CYCLE_1)
	s_and_b32 s7, s6, vcc_lo
	s_and_saveexec_b32 s6, s7
	s_cbranch_execz .LBB94_581
; %bb.580:
	v_ashrrev_i32_e32 v201, 31, v200
	s_delay_alu instid0(VALU_DEP_1) | instskip(NEXT) | instid1(VALU_DEP_1)
	v_lshlrev_b64 v[208:209], 2, v[200:201]
	v_add_co_u32 v208, vcc_lo, v198, v208
	s_delay_alu instid0(VALU_DEP_2)
	v_add_co_ci_u32_e32 v209, vcc_lo, v199, v209, vcc_lo
	s_clause 0x1
	flat_load_b32 v201, v[208:209]
	flat_load_b32 v206, v[198:199] offset:108
	s_waitcnt vmcnt(1) lgkmcnt(1)
	flat_store_b32 v[198:199], v201 offset:108
	s_waitcnt vmcnt(0) lgkmcnt(1)
	flat_store_b32 v[208:209], v206
.LBB94_581:
	s_or_b32 exec_lo, exec_lo, s6
	v_mov_b32_e32 v208, v200
	v_mov_b32_e32 v206, v200
.LBB94_582:
	s_or_b32 exec_lo, exec_lo, s3
.LBB94_583:
	s_and_not1_saveexec_b32 s2, s2
	s_cbranch_execz .LBB94_585
; %bb.584:
	v_mov_b32_e32 v208, 27
	ds_store_2addr_b64 v202, v[76:77], v[78:79] offset0:56 offset1:57
	ds_store_2addr_b64 v202, v[72:73], v[74:75] offset0:58 offset1:59
	;; [unrolled: 1-line block ×20, first 2 shown]
.LBB94_585:
	s_or_b32 exec_lo, exec_lo, s2
	s_delay_alu instid0(SALU_CYCLE_1)
	s_mov_b32 s2, exec_lo
	s_waitcnt lgkmcnt(0)
	s_waitcnt_vscnt null, 0x0
	s_barrier
	buffer_gl0_inv
	v_cmpx_lt_i32_e32 27, v208
	s_cbranch_execz .LBB94_587
; %bb.586:
	v_mul_f64 v[200:201], v[194:195], v[82:83]
	v_mul_f64 v[82:83], v[192:193], v[82:83]
	s_delay_alu instid0(VALU_DEP_2) | instskip(NEXT) | instid1(VALU_DEP_2)
	v_fma_f64 v[200:201], v[192:193], v[80:81], -v[200:201]
	v_fma_f64 v[82:83], v[194:195], v[80:81], v[82:83]
	ds_load_2addr_b64 v[192:195], v202 offset0:56 offset1:57
	s_waitcnt lgkmcnt(0)
	v_mul_f64 v[80:81], v[194:195], v[82:83]
	s_delay_alu instid0(VALU_DEP_1) | instskip(SKIP_1) | instid1(VALU_DEP_2)
	v_fma_f64 v[80:81], v[192:193], v[200:201], -v[80:81]
	v_mul_f64 v[192:193], v[192:193], v[82:83]
	v_add_f64 v[76:77], v[76:77], -v[80:81]
	s_delay_alu instid0(VALU_DEP_2) | instskip(NEXT) | instid1(VALU_DEP_1)
	v_fma_f64 v[192:193], v[194:195], v[200:201], v[192:193]
	v_add_f64 v[78:79], v[78:79], -v[192:193]
	ds_load_2addr_b64 v[192:195], v202 offset0:58 offset1:59
	s_waitcnt lgkmcnt(0)
	v_mul_f64 v[80:81], v[194:195], v[82:83]
	s_delay_alu instid0(VALU_DEP_1) | instskip(SKIP_1) | instid1(VALU_DEP_2)
	v_fma_f64 v[80:81], v[192:193], v[200:201], -v[80:81]
	v_mul_f64 v[192:193], v[192:193], v[82:83]
	v_add_f64 v[72:73], v[72:73], -v[80:81]
	s_delay_alu instid0(VALU_DEP_2) | instskip(NEXT) | instid1(VALU_DEP_1)
	v_fma_f64 v[192:193], v[194:195], v[200:201], v[192:193]
	v_add_f64 v[74:75], v[74:75], -v[192:193]
	;; [unrolled: 10-line block ×19, first 2 shown]
	ds_load_2addr_b64 v[192:195], v202 offset0:94 offset1:95
	s_waitcnt lgkmcnt(0)
	v_mul_f64 v[80:81], v[194:195], v[82:83]
	s_delay_alu instid0(VALU_DEP_1) | instskip(SKIP_1) | instid1(VALU_DEP_2)
	v_fma_f64 v[80:81], v[192:193], v[200:201], -v[80:81]
	v_mul_f64 v[192:193], v[192:193], v[82:83]
	v_add_f64 v[0:1], v[0:1], -v[80:81]
	s_delay_alu instid0(VALU_DEP_2) | instskip(SKIP_1) | instid1(VALU_DEP_2)
	v_fma_f64 v[192:193], v[194:195], v[200:201], v[192:193]
	v_dual_mov_b32 v80, v200 :: v_dual_mov_b32 v81, v201
	v_add_f64 v[2:3], v[2:3], -v[192:193]
.LBB94_587:
	s_or_b32 exec_lo, exec_lo, s2
	v_lshl_add_u32 v192, v208, 4, v202
	s_barrier
	buffer_gl0_inv
	v_mov_b32_e32 v200, 28
	ds_store_2addr_b64 v192, v[76:77], v[78:79] offset1:1
	s_waitcnt lgkmcnt(0)
	s_barrier
	buffer_gl0_inv
	ds_load_2addr_b64 v[192:195], v202 offset0:56 offset1:57
	s_cmp_lt_i32 s5, 30
	s_cbranch_scc1 .LBB94_590
; %bb.588:
	v_add3_u32 v201, v207, 0, 0x1d0
	v_mov_b32_e32 v200, 28
	s_mov_b32 s6, 29
	s_set_inst_prefetch_distance 0x1
	.p2align	6
.LBB94_589:                             ; =>This Inner Loop Header: Depth=1
	ds_load_2addr_b64 v[209:212], v201 offset1:1
	s_waitcnt lgkmcnt(1)
	v_cmp_gt_f64_e32 vcc_lo, 0, v[192:193]
	v_xor_b32_e32 v213, 0x80000000, v193
	v_cmp_gt_f64_e64 s2, 0, v[194:195]
	v_xor_b32_e32 v215, 0x80000000, v195
	v_add_nc_u32_e32 v201, 16, v201
	s_waitcnt lgkmcnt(0)
	v_cmp_gt_f64_e64 s3, 0, v[209:210]
	v_mov_b32_e32 v217, v209
	v_dual_mov_b32 v219, v211 :: v_dual_cndmask_b32 v214, v193, v213
	v_xor_b32_e32 v213, 0x80000000, v210
	v_cndmask_b32_e64 v216, v195, v215, s2
	v_xor_b32_e32 v215, 0x80000000, v212
	s_delay_alu instid0(VALU_DEP_3) | instskip(SKIP_2) | instid1(VALU_DEP_2)
	v_cndmask_b32_e64 v218, v210, v213, s3
	v_cmp_gt_f64_e64 s3, 0, v[211:212]
	v_cndmask_b32_e32 v213, v192, v192, vcc_lo
	v_cndmask_b32_e64 v220, v212, v215, s3
	v_cndmask_b32_e64 v215, v194, v194, s2
	s_delay_alu instid0(VALU_DEP_2) | instskip(NEXT) | instid1(VALU_DEP_2)
	v_add_f64 v[217:218], v[217:218], v[219:220]
	v_add_f64 v[213:214], v[213:214], v[215:216]
	s_delay_alu instid0(VALU_DEP_1) | instskip(SKIP_4) | instid1(SALU_CYCLE_1)
	v_cmp_lt_f64_e32 vcc_lo, v[213:214], v[217:218]
	v_dual_cndmask_b32 v194, v194, v211 :: v_dual_cndmask_b32 v193, v193, v210
	v_dual_cndmask_b32 v192, v192, v209 :: v_dual_cndmask_b32 v195, v195, v212
	v_cndmask_b32_e64 v200, v200, s6, vcc_lo
	s_add_i32 s6, s6, 1
	s_cmp_lg_u32 s5, s6
	s_cbranch_scc1 .LBB94_589
.LBB94_590:
	s_set_inst_prefetch_distance 0x2
	s_waitcnt lgkmcnt(0)
	v_cmp_eq_f64_e32 vcc_lo, 0, v[192:193]
	v_cmp_eq_f64_e64 s2, 0, v[194:195]
	s_delay_alu instid0(VALU_DEP_1) | instskip(NEXT) | instid1(SALU_CYCLE_1)
	s_and_b32 s2, vcc_lo, s2
	s_and_saveexec_b32 s3, s2
	s_delay_alu instid0(SALU_CYCLE_1)
	s_xor_b32 s2, exec_lo, s3
; %bb.591:
	v_cmp_ne_u32_e32 vcc_lo, 0, v205
	v_cndmask_b32_e32 v205, 29, v205, vcc_lo
; %bb.592:
	s_and_not1_saveexec_b32 s3, s2
	s_cbranch_execz .LBB94_598
; %bb.593:
	v_cmp_gt_f64_e32 vcc_lo, 0, v[192:193]
	v_cmp_gt_f64_e64 s2, 0, v[194:195]
	v_xor_b32_e32 v201, 0x80000000, v193
	v_xor_b32_e32 v209, 0x80000000, v195
	s_delay_alu instid0(VALU_DEP_2) | instskip(NEXT) | instid1(VALU_DEP_2)
	v_cndmask_b32_e32 v210, v193, v201, vcc_lo
	v_cndmask_b32_e64 v212, v195, v209, s2
	v_cndmask_b32_e32 v209, v192, v192, vcc_lo
	v_cndmask_b32_e64 v211, v194, v194, s2
	s_mov_b32 s2, exec_lo
	s_delay_alu instid0(VALU_DEP_1)
	v_cmpx_ngt_f64_e32 v[209:210], v[211:212]
	s_xor_b32 s2, exec_lo, s2
	s_cbranch_execz .LBB94_595
; %bb.594:
	v_div_scale_f64 v[209:210], null, v[194:195], v[194:195], v[192:193]
	v_div_scale_f64 v[215:216], vcc_lo, v[192:193], v[194:195], v[192:193]
	s_delay_alu instid0(VALU_DEP_2) | instskip(SKIP_2) | instid1(VALU_DEP_1)
	v_rcp_f64_e32 v[211:212], v[209:210]
	s_waitcnt_depctr 0xfff
	v_fma_f64 v[213:214], -v[209:210], v[211:212], 1.0
	v_fma_f64 v[211:212], v[211:212], v[213:214], v[211:212]
	s_delay_alu instid0(VALU_DEP_1) | instskip(NEXT) | instid1(VALU_DEP_1)
	v_fma_f64 v[213:214], -v[209:210], v[211:212], 1.0
	v_fma_f64 v[211:212], v[211:212], v[213:214], v[211:212]
	s_delay_alu instid0(VALU_DEP_1) | instskip(NEXT) | instid1(VALU_DEP_1)
	v_mul_f64 v[213:214], v[215:216], v[211:212]
	v_fma_f64 v[209:210], -v[209:210], v[213:214], v[215:216]
	s_delay_alu instid0(VALU_DEP_1) | instskip(NEXT) | instid1(VALU_DEP_1)
	v_div_fmas_f64 v[209:210], v[209:210], v[211:212], v[213:214]
	v_div_fixup_f64 v[209:210], v[209:210], v[194:195], v[192:193]
	s_delay_alu instid0(VALU_DEP_1) | instskip(NEXT) | instid1(VALU_DEP_1)
	v_fma_f64 v[192:193], v[192:193], v[209:210], v[194:195]
	v_div_scale_f64 v[194:195], null, v[192:193], v[192:193], 1.0
	s_delay_alu instid0(VALU_DEP_1) | instskip(SKIP_2) | instid1(VALU_DEP_1)
	v_rcp_f64_e32 v[211:212], v[194:195]
	s_waitcnt_depctr 0xfff
	v_fma_f64 v[213:214], -v[194:195], v[211:212], 1.0
	v_fma_f64 v[211:212], v[211:212], v[213:214], v[211:212]
	s_delay_alu instid0(VALU_DEP_1) | instskip(NEXT) | instid1(VALU_DEP_1)
	v_fma_f64 v[213:214], -v[194:195], v[211:212], 1.0
	v_fma_f64 v[211:212], v[211:212], v[213:214], v[211:212]
	v_div_scale_f64 v[213:214], vcc_lo, 1.0, v[192:193], 1.0
	s_delay_alu instid0(VALU_DEP_1) | instskip(NEXT) | instid1(VALU_DEP_1)
	v_mul_f64 v[215:216], v[213:214], v[211:212]
	v_fma_f64 v[194:195], -v[194:195], v[215:216], v[213:214]
	s_delay_alu instid0(VALU_DEP_1) | instskip(NEXT) | instid1(VALU_DEP_1)
	v_div_fmas_f64 v[194:195], v[194:195], v[211:212], v[215:216]
	v_div_fixup_f64 v[194:195], v[194:195], v[192:193], 1.0
	s_delay_alu instid0(VALU_DEP_1)
	v_mul_f64 v[192:193], v[209:210], v[194:195]
	v_xor_b32_e32 v195, 0x80000000, v195
.LBB94_595:
	s_and_not1_saveexec_b32 s2, s2
	s_cbranch_execz .LBB94_597
; %bb.596:
	s_delay_alu instid0(VALU_DEP_1) | instskip(SKIP_1) | instid1(VALU_DEP_2)
	v_div_scale_f64 v[209:210], null, v[192:193], v[192:193], v[194:195]
	v_div_scale_f64 v[215:216], vcc_lo, v[194:195], v[192:193], v[194:195]
	v_rcp_f64_e32 v[211:212], v[209:210]
	s_waitcnt_depctr 0xfff
	v_fma_f64 v[213:214], -v[209:210], v[211:212], 1.0
	s_delay_alu instid0(VALU_DEP_1) | instskip(NEXT) | instid1(VALU_DEP_1)
	v_fma_f64 v[211:212], v[211:212], v[213:214], v[211:212]
	v_fma_f64 v[213:214], -v[209:210], v[211:212], 1.0
	s_delay_alu instid0(VALU_DEP_1) | instskip(NEXT) | instid1(VALU_DEP_1)
	v_fma_f64 v[211:212], v[211:212], v[213:214], v[211:212]
	v_mul_f64 v[213:214], v[215:216], v[211:212]
	s_delay_alu instid0(VALU_DEP_1) | instskip(NEXT) | instid1(VALU_DEP_1)
	v_fma_f64 v[209:210], -v[209:210], v[213:214], v[215:216]
	v_div_fmas_f64 v[209:210], v[209:210], v[211:212], v[213:214]
	s_delay_alu instid0(VALU_DEP_1) | instskip(NEXT) | instid1(VALU_DEP_1)
	v_div_fixup_f64 v[209:210], v[209:210], v[192:193], v[194:195]
	v_fma_f64 v[192:193], v[194:195], v[209:210], v[192:193]
	s_delay_alu instid0(VALU_DEP_1) | instskip(NEXT) | instid1(VALU_DEP_1)
	v_div_scale_f64 v[194:195], null, v[192:193], v[192:193], 1.0
	v_rcp_f64_e32 v[211:212], v[194:195]
	s_waitcnt_depctr 0xfff
	v_fma_f64 v[213:214], -v[194:195], v[211:212], 1.0
	s_delay_alu instid0(VALU_DEP_1) | instskip(NEXT) | instid1(VALU_DEP_1)
	v_fma_f64 v[211:212], v[211:212], v[213:214], v[211:212]
	v_fma_f64 v[213:214], -v[194:195], v[211:212], 1.0
	s_delay_alu instid0(VALU_DEP_1) | instskip(SKIP_1) | instid1(VALU_DEP_1)
	v_fma_f64 v[211:212], v[211:212], v[213:214], v[211:212]
	v_div_scale_f64 v[213:214], vcc_lo, 1.0, v[192:193], 1.0
	v_mul_f64 v[215:216], v[213:214], v[211:212]
	s_delay_alu instid0(VALU_DEP_1) | instskip(NEXT) | instid1(VALU_DEP_1)
	v_fma_f64 v[194:195], -v[194:195], v[215:216], v[213:214]
	v_div_fmas_f64 v[194:195], v[194:195], v[211:212], v[215:216]
	s_delay_alu instid0(VALU_DEP_1) | instskip(NEXT) | instid1(VALU_DEP_1)
	v_div_fixup_f64 v[192:193], v[194:195], v[192:193], 1.0
	v_mul_f64 v[194:195], v[209:210], -v[192:193]
.LBB94_597:
	s_or_b32 exec_lo, exec_lo, s2
.LBB94_598:
	s_delay_alu instid0(SALU_CYCLE_1) | instskip(NEXT) | instid1(SALU_CYCLE_1)
	s_or_b32 exec_lo, exec_lo, s3
	s_mov_b32 s2, exec_lo
	v_cmpx_ne_u32_e64 v208, v200
	s_xor_b32 s2, exec_lo, s2
	s_cbranch_execz .LBB94_604
; %bb.599:
	s_mov_b32 s3, exec_lo
	v_cmpx_eq_u32_e32 28, v208
	s_cbranch_execz .LBB94_603
; %bb.600:
	v_cmp_ne_u32_e32 vcc_lo, 28, v200
	s_xor_b32 s6, s4, -1
	s_delay_alu instid0(SALU_CYCLE_1) | instskip(NEXT) | instid1(SALU_CYCLE_1)
	s_and_b32 s7, s6, vcc_lo
	s_and_saveexec_b32 s6, s7
	s_cbranch_execz .LBB94_602
; %bb.601:
	v_ashrrev_i32_e32 v201, 31, v200
	s_delay_alu instid0(VALU_DEP_1) | instskip(NEXT) | instid1(VALU_DEP_1)
	v_lshlrev_b64 v[208:209], 2, v[200:201]
	v_add_co_u32 v208, vcc_lo, v198, v208
	s_delay_alu instid0(VALU_DEP_2)
	v_add_co_ci_u32_e32 v209, vcc_lo, v199, v209, vcc_lo
	s_clause 0x1
	flat_load_b32 v201, v[208:209]
	flat_load_b32 v206, v[198:199] offset:112
	s_waitcnt vmcnt(1) lgkmcnt(1)
	flat_store_b32 v[198:199], v201 offset:112
	s_waitcnt vmcnt(0) lgkmcnt(1)
	flat_store_b32 v[208:209], v206
.LBB94_602:
	s_or_b32 exec_lo, exec_lo, s6
	v_mov_b32_e32 v208, v200
	v_mov_b32_e32 v206, v200
.LBB94_603:
	s_or_b32 exec_lo, exec_lo, s3
.LBB94_604:
	s_and_not1_saveexec_b32 s2, s2
	s_cbranch_execz .LBB94_606
; %bb.605:
	v_mov_b32_e32 v208, 28
	ds_store_2addr_b64 v202, v[72:73], v[74:75] offset0:58 offset1:59
	ds_store_2addr_b64 v202, v[68:69], v[70:71] offset0:60 offset1:61
	;; [unrolled: 1-line block ×19, first 2 shown]
.LBB94_606:
	s_or_b32 exec_lo, exec_lo, s2
	s_delay_alu instid0(SALU_CYCLE_1)
	s_mov_b32 s2, exec_lo
	s_waitcnt lgkmcnt(0)
	s_waitcnt_vscnt null, 0x0
	s_barrier
	buffer_gl0_inv
	v_cmpx_lt_i32_e32 28, v208
	s_cbranch_execz .LBB94_608
; %bb.607:
	v_mul_f64 v[200:201], v[194:195], v[78:79]
	v_mul_f64 v[78:79], v[192:193], v[78:79]
	s_delay_alu instid0(VALU_DEP_2) | instskip(NEXT) | instid1(VALU_DEP_2)
	v_fma_f64 v[200:201], v[192:193], v[76:77], -v[200:201]
	v_fma_f64 v[78:79], v[194:195], v[76:77], v[78:79]
	ds_load_2addr_b64 v[192:195], v202 offset0:58 offset1:59
	s_waitcnt lgkmcnt(0)
	v_mul_f64 v[76:77], v[194:195], v[78:79]
	s_delay_alu instid0(VALU_DEP_1) | instskip(SKIP_1) | instid1(VALU_DEP_2)
	v_fma_f64 v[76:77], v[192:193], v[200:201], -v[76:77]
	v_mul_f64 v[192:193], v[192:193], v[78:79]
	v_add_f64 v[72:73], v[72:73], -v[76:77]
	s_delay_alu instid0(VALU_DEP_2) | instskip(NEXT) | instid1(VALU_DEP_1)
	v_fma_f64 v[192:193], v[194:195], v[200:201], v[192:193]
	v_add_f64 v[74:75], v[74:75], -v[192:193]
	ds_load_2addr_b64 v[192:195], v202 offset0:60 offset1:61
	s_waitcnt lgkmcnt(0)
	v_mul_f64 v[76:77], v[194:195], v[78:79]
	s_delay_alu instid0(VALU_DEP_1) | instskip(SKIP_1) | instid1(VALU_DEP_2)
	v_fma_f64 v[76:77], v[192:193], v[200:201], -v[76:77]
	v_mul_f64 v[192:193], v[192:193], v[78:79]
	v_add_f64 v[68:69], v[68:69], -v[76:77]
	s_delay_alu instid0(VALU_DEP_2) | instskip(NEXT) | instid1(VALU_DEP_1)
	v_fma_f64 v[192:193], v[194:195], v[200:201], v[192:193]
	v_add_f64 v[70:71], v[70:71], -v[192:193]
	;; [unrolled: 10-line block ×18, first 2 shown]
	ds_load_2addr_b64 v[192:195], v202 offset0:94 offset1:95
	s_waitcnt lgkmcnt(0)
	v_mul_f64 v[76:77], v[194:195], v[78:79]
	s_delay_alu instid0(VALU_DEP_1) | instskip(SKIP_1) | instid1(VALU_DEP_2)
	v_fma_f64 v[76:77], v[192:193], v[200:201], -v[76:77]
	v_mul_f64 v[192:193], v[192:193], v[78:79]
	v_add_f64 v[0:1], v[0:1], -v[76:77]
	s_delay_alu instid0(VALU_DEP_2) | instskip(SKIP_1) | instid1(VALU_DEP_2)
	v_fma_f64 v[192:193], v[194:195], v[200:201], v[192:193]
	v_dual_mov_b32 v76, v200 :: v_dual_mov_b32 v77, v201
	v_add_f64 v[2:3], v[2:3], -v[192:193]
.LBB94_608:
	s_or_b32 exec_lo, exec_lo, s2
	v_lshl_add_u32 v192, v208, 4, v202
	s_barrier
	buffer_gl0_inv
	v_mov_b32_e32 v200, 29
	ds_store_2addr_b64 v192, v[72:73], v[74:75] offset1:1
	s_waitcnt lgkmcnt(0)
	s_barrier
	buffer_gl0_inv
	ds_load_2addr_b64 v[192:195], v202 offset0:58 offset1:59
	s_cmp_lt_i32 s5, 31
	s_cbranch_scc1 .LBB94_611
; %bb.609:
	v_add3_u32 v201, v207, 0, 0x1e0
	v_mov_b32_e32 v200, 29
	s_mov_b32 s6, 30
	s_set_inst_prefetch_distance 0x1
	.p2align	6
.LBB94_610:                             ; =>This Inner Loop Header: Depth=1
	ds_load_2addr_b64 v[209:212], v201 offset1:1
	s_waitcnt lgkmcnt(1)
	v_cmp_gt_f64_e32 vcc_lo, 0, v[192:193]
	v_xor_b32_e32 v213, 0x80000000, v193
	v_cmp_gt_f64_e64 s2, 0, v[194:195]
	v_xor_b32_e32 v215, 0x80000000, v195
	v_add_nc_u32_e32 v201, 16, v201
	s_waitcnt lgkmcnt(0)
	v_cmp_gt_f64_e64 s3, 0, v[209:210]
	v_mov_b32_e32 v217, v209
	v_dual_mov_b32 v219, v211 :: v_dual_cndmask_b32 v214, v193, v213
	v_xor_b32_e32 v213, 0x80000000, v210
	v_cndmask_b32_e64 v216, v195, v215, s2
	v_xor_b32_e32 v215, 0x80000000, v212
	s_delay_alu instid0(VALU_DEP_3) | instskip(SKIP_2) | instid1(VALU_DEP_2)
	v_cndmask_b32_e64 v218, v210, v213, s3
	v_cmp_gt_f64_e64 s3, 0, v[211:212]
	v_cndmask_b32_e32 v213, v192, v192, vcc_lo
	v_cndmask_b32_e64 v220, v212, v215, s3
	v_cndmask_b32_e64 v215, v194, v194, s2
	s_delay_alu instid0(VALU_DEP_2) | instskip(NEXT) | instid1(VALU_DEP_2)
	v_add_f64 v[217:218], v[217:218], v[219:220]
	v_add_f64 v[213:214], v[213:214], v[215:216]
	s_delay_alu instid0(VALU_DEP_1) | instskip(SKIP_4) | instid1(SALU_CYCLE_1)
	v_cmp_lt_f64_e32 vcc_lo, v[213:214], v[217:218]
	v_dual_cndmask_b32 v194, v194, v211 :: v_dual_cndmask_b32 v193, v193, v210
	v_dual_cndmask_b32 v192, v192, v209 :: v_dual_cndmask_b32 v195, v195, v212
	v_cndmask_b32_e64 v200, v200, s6, vcc_lo
	s_add_i32 s6, s6, 1
	s_cmp_lg_u32 s5, s6
	s_cbranch_scc1 .LBB94_610
.LBB94_611:
	s_set_inst_prefetch_distance 0x2
	s_waitcnt lgkmcnt(0)
	v_cmp_eq_f64_e32 vcc_lo, 0, v[192:193]
	v_cmp_eq_f64_e64 s2, 0, v[194:195]
	s_delay_alu instid0(VALU_DEP_1) | instskip(NEXT) | instid1(SALU_CYCLE_1)
	s_and_b32 s2, vcc_lo, s2
	s_and_saveexec_b32 s3, s2
	s_delay_alu instid0(SALU_CYCLE_1)
	s_xor_b32 s2, exec_lo, s3
; %bb.612:
	v_cmp_ne_u32_e32 vcc_lo, 0, v205
	v_cndmask_b32_e32 v205, 30, v205, vcc_lo
; %bb.613:
	s_and_not1_saveexec_b32 s3, s2
	s_cbranch_execz .LBB94_619
; %bb.614:
	v_cmp_gt_f64_e32 vcc_lo, 0, v[192:193]
	v_cmp_gt_f64_e64 s2, 0, v[194:195]
	v_xor_b32_e32 v201, 0x80000000, v193
	v_xor_b32_e32 v209, 0x80000000, v195
	s_delay_alu instid0(VALU_DEP_2) | instskip(NEXT) | instid1(VALU_DEP_2)
	v_cndmask_b32_e32 v210, v193, v201, vcc_lo
	v_cndmask_b32_e64 v212, v195, v209, s2
	v_cndmask_b32_e32 v209, v192, v192, vcc_lo
	v_cndmask_b32_e64 v211, v194, v194, s2
	s_mov_b32 s2, exec_lo
	s_delay_alu instid0(VALU_DEP_1)
	v_cmpx_ngt_f64_e32 v[209:210], v[211:212]
	s_xor_b32 s2, exec_lo, s2
	s_cbranch_execz .LBB94_616
; %bb.615:
	v_div_scale_f64 v[209:210], null, v[194:195], v[194:195], v[192:193]
	v_div_scale_f64 v[215:216], vcc_lo, v[192:193], v[194:195], v[192:193]
	s_delay_alu instid0(VALU_DEP_2) | instskip(SKIP_2) | instid1(VALU_DEP_1)
	v_rcp_f64_e32 v[211:212], v[209:210]
	s_waitcnt_depctr 0xfff
	v_fma_f64 v[213:214], -v[209:210], v[211:212], 1.0
	v_fma_f64 v[211:212], v[211:212], v[213:214], v[211:212]
	s_delay_alu instid0(VALU_DEP_1) | instskip(NEXT) | instid1(VALU_DEP_1)
	v_fma_f64 v[213:214], -v[209:210], v[211:212], 1.0
	v_fma_f64 v[211:212], v[211:212], v[213:214], v[211:212]
	s_delay_alu instid0(VALU_DEP_1) | instskip(NEXT) | instid1(VALU_DEP_1)
	v_mul_f64 v[213:214], v[215:216], v[211:212]
	v_fma_f64 v[209:210], -v[209:210], v[213:214], v[215:216]
	s_delay_alu instid0(VALU_DEP_1) | instskip(NEXT) | instid1(VALU_DEP_1)
	v_div_fmas_f64 v[209:210], v[209:210], v[211:212], v[213:214]
	v_div_fixup_f64 v[209:210], v[209:210], v[194:195], v[192:193]
	s_delay_alu instid0(VALU_DEP_1) | instskip(NEXT) | instid1(VALU_DEP_1)
	v_fma_f64 v[192:193], v[192:193], v[209:210], v[194:195]
	v_div_scale_f64 v[194:195], null, v[192:193], v[192:193], 1.0
	s_delay_alu instid0(VALU_DEP_1) | instskip(SKIP_2) | instid1(VALU_DEP_1)
	v_rcp_f64_e32 v[211:212], v[194:195]
	s_waitcnt_depctr 0xfff
	v_fma_f64 v[213:214], -v[194:195], v[211:212], 1.0
	v_fma_f64 v[211:212], v[211:212], v[213:214], v[211:212]
	s_delay_alu instid0(VALU_DEP_1) | instskip(NEXT) | instid1(VALU_DEP_1)
	v_fma_f64 v[213:214], -v[194:195], v[211:212], 1.0
	v_fma_f64 v[211:212], v[211:212], v[213:214], v[211:212]
	v_div_scale_f64 v[213:214], vcc_lo, 1.0, v[192:193], 1.0
	s_delay_alu instid0(VALU_DEP_1) | instskip(NEXT) | instid1(VALU_DEP_1)
	v_mul_f64 v[215:216], v[213:214], v[211:212]
	v_fma_f64 v[194:195], -v[194:195], v[215:216], v[213:214]
	s_delay_alu instid0(VALU_DEP_1) | instskip(NEXT) | instid1(VALU_DEP_1)
	v_div_fmas_f64 v[194:195], v[194:195], v[211:212], v[215:216]
	v_div_fixup_f64 v[194:195], v[194:195], v[192:193], 1.0
	s_delay_alu instid0(VALU_DEP_1)
	v_mul_f64 v[192:193], v[209:210], v[194:195]
	v_xor_b32_e32 v195, 0x80000000, v195
.LBB94_616:
	s_and_not1_saveexec_b32 s2, s2
	s_cbranch_execz .LBB94_618
; %bb.617:
	s_delay_alu instid0(VALU_DEP_1) | instskip(SKIP_1) | instid1(VALU_DEP_2)
	v_div_scale_f64 v[209:210], null, v[192:193], v[192:193], v[194:195]
	v_div_scale_f64 v[215:216], vcc_lo, v[194:195], v[192:193], v[194:195]
	v_rcp_f64_e32 v[211:212], v[209:210]
	s_waitcnt_depctr 0xfff
	v_fma_f64 v[213:214], -v[209:210], v[211:212], 1.0
	s_delay_alu instid0(VALU_DEP_1) | instskip(NEXT) | instid1(VALU_DEP_1)
	v_fma_f64 v[211:212], v[211:212], v[213:214], v[211:212]
	v_fma_f64 v[213:214], -v[209:210], v[211:212], 1.0
	s_delay_alu instid0(VALU_DEP_1) | instskip(NEXT) | instid1(VALU_DEP_1)
	v_fma_f64 v[211:212], v[211:212], v[213:214], v[211:212]
	v_mul_f64 v[213:214], v[215:216], v[211:212]
	s_delay_alu instid0(VALU_DEP_1) | instskip(NEXT) | instid1(VALU_DEP_1)
	v_fma_f64 v[209:210], -v[209:210], v[213:214], v[215:216]
	v_div_fmas_f64 v[209:210], v[209:210], v[211:212], v[213:214]
	s_delay_alu instid0(VALU_DEP_1) | instskip(NEXT) | instid1(VALU_DEP_1)
	v_div_fixup_f64 v[209:210], v[209:210], v[192:193], v[194:195]
	v_fma_f64 v[192:193], v[194:195], v[209:210], v[192:193]
	s_delay_alu instid0(VALU_DEP_1) | instskip(NEXT) | instid1(VALU_DEP_1)
	v_div_scale_f64 v[194:195], null, v[192:193], v[192:193], 1.0
	v_rcp_f64_e32 v[211:212], v[194:195]
	s_waitcnt_depctr 0xfff
	v_fma_f64 v[213:214], -v[194:195], v[211:212], 1.0
	s_delay_alu instid0(VALU_DEP_1) | instskip(NEXT) | instid1(VALU_DEP_1)
	v_fma_f64 v[211:212], v[211:212], v[213:214], v[211:212]
	v_fma_f64 v[213:214], -v[194:195], v[211:212], 1.0
	s_delay_alu instid0(VALU_DEP_1) | instskip(SKIP_1) | instid1(VALU_DEP_1)
	v_fma_f64 v[211:212], v[211:212], v[213:214], v[211:212]
	v_div_scale_f64 v[213:214], vcc_lo, 1.0, v[192:193], 1.0
	v_mul_f64 v[215:216], v[213:214], v[211:212]
	s_delay_alu instid0(VALU_DEP_1) | instskip(NEXT) | instid1(VALU_DEP_1)
	v_fma_f64 v[194:195], -v[194:195], v[215:216], v[213:214]
	v_div_fmas_f64 v[194:195], v[194:195], v[211:212], v[215:216]
	s_delay_alu instid0(VALU_DEP_1) | instskip(NEXT) | instid1(VALU_DEP_1)
	v_div_fixup_f64 v[192:193], v[194:195], v[192:193], 1.0
	v_mul_f64 v[194:195], v[209:210], -v[192:193]
.LBB94_618:
	s_or_b32 exec_lo, exec_lo, s2
.LBB94_619:
	s_delay_alu instid0(SALU_CYCLE_1) | instskip(NEXT) | instid1(SALU_CYCLE_1)
	s_or_b32 exec_lo, exec_lo, s3
	s_mov_b32 s2, exec_lo
	v_cmpx_ne_u32_e64 v208, v200
	s_xor_b32 s2, exec_lo, s2
	s_cbranch_execz .LBB94_625
; %bb.620:
	s_mov_b32 s3, exec_lo
	v_cmpx_eq_u32_e32 29, v208
	s_cbranch_execz .LBB94_624
; %bb.621:
	v_cmp_ne_u32_e32 vcc_lo, 29, v200
	s_xor_b32 s6, s4, -1
	s_delay_alu instid0(SALU_CYCLE_1) | instskip(NEXT) | instid1(SALU_CYCLE_1)
	s_and_b32 s7, s6, vcc_lo
	s_and_saveexec_b32 s6, s7
	s_cbranch_execz .LBB94_623
; %bb.622:
	v_ashrrev_i32_e32 v201, 31, v200
	s_delay_alu instid0(VALU_DEP_1) | instskip(NEXT) | instid1(VALU_DEP_1)
	v_lshlrev_b64 v[208:209], 2, v[200:201]
	v_add_co_u32 v208, vcc_lo, v198, v208
	s_delay_alu instid0(VALU_DEP_2)
	v_add_co_ci_u32_e32 v209, vcc_lo, v199, v209, vcc_lo
	s_clause 0x1
	flat_load_b32 v201, v[208:209]
	flat_load_b32 v206, v[198:199] offset:116
	s_waitcnt vmcnt(1) lgkmcnt(1)
	flat_store_b32 v[198:199], v201 offset:116
	s_waitcnt vmcnt(0) lgkmcnt(1)
	flat_store_b32 v[208:209], v206
.LBB94_623:
	s_or_b32 exec_lo, exec_lo, s6
	v_mov_b32_e32 v208, v200
	v_mov_b32_e32 v206, v200
.LBB94_624:
	s_or_b32 exec_lo, exec_lo, s3
.LBB94_625:
	s_and_not1_saveexec_b32 s2, s2
	s_cbranch_execz .LBB94_627
; %bb.626:
	v_mov_b32_e32 v208, 29
	ds_store_2addr_b64 v202, v[68:69], v[70:71] offset0:60 offset1:61
	ds_store_2addr_b64 v202, v[64:65], v[66:67] offset0:62 offset1:63
	;; [unrolled: 1-line block ×18, first 2 shown]
.LBB94_627:
	s_or_b32 exec_lo, exec_lo, s2
	s_delay_alu instid0(SALU_CYCLE_1)
	s_mov_b32 s2, exec_lo
	s_waitcnt lgkmcnt(0)
	s_waitcnt_vscnt null, 0x0
	s_barrier
	buffer_gl0_inv
	v_cmpx_lt_i32_e32 29, v208
	s_cbranch_execz .LBB94_629
; %bb.628:
	v_mul_f64 v[200:201], v[194:195], v[74:75]
	v_mul_f64 v[74:75], v[192:193], v[74:75]
	s_delay_alu instid0(VALU_DEP_2) | instskip(NEXT) | instid1(VALU_DEP_2)
	v_fma_f64 v[200:201], v[192:193], v[72:73], -v[200:201]
	v_fma_f64 v[74:75], v[194:195], v[72:73], v[74:75]
	ds_load_2addr_b64 v[192:195], v202 offset0:60 offset1:61
	s_waitcnt lgkmcnt(0)
	v_mul_f64 v[72:73], v[194:195], v[74:75]
	s_delay_alu instid0(VALU_DEP_1) | instskip(SKIP_1) | instid1(VALU_DEP_2)
	v_fma_f64 v[72:73], v[192:193], v[200:201], -v[72:73]
	v_mul_f64 v[192:193], v[192:193], v[74:75]
	v_add_f64 v[68:69], v[68:69], -v[72:73]
	s_delay_alu instid0(VALU_DEP_2) | instskip(NEXT) | instid1(VALU_DEP_1)
	v_fma_f64 v[192:193], v[194:195], v[200:201], v[192:193]
	v_add_f64 v[70:71], v[70:71], -v[192:193]
	ds_load_2addr_b64 v[192:195], v202 offset0:62 offset1:63
	s_waitcnt lgkmcnt(0)
	v_mul_f64 v[72:73], v[194:195], v[74:75]
	s_delay_alu instid0(VALU_DEP_1) | instskip(SKIP_1) | instid1(VALU_DEP_2)
	v_fma_f64 v[72:73], v[192:193], v[200:201], -v[72:73]
	v_mul_f64 v[192:193], v[192:193], v[74:75]
	v_add_f64 v[64:65], v[64:65], -v[72:73]
	s_delay_alu instid0(VALU_DEP_2) | instskip(NEXT) | instid1(VALU_DEP_1)
	v_fma_f64 v[192:193], v[194:195], v[200:201], v[192:193]
	v_add_f64 v[66:67], v[66:67], -v[192:193]
	;; [unrolled: 10-line block ×17, first 2 shown]
	ds_load_2addr_b64 v[192:195], v202 offset0:94 offset1:95
	s_waitcnt lgkmcnt(0)
	v_mul_f64 v[72:73], v[194:195], v[74:75]
	s_delay_alu instid0(VALU_DEP_1) | instskip(SKIP_1) | instid1(VALU_DEP_2)
	v_fma_f64 v[72:73], v[192:193], v[200:201], -v[72:73]
	v_mul_f64 v[192:193], v[192:193], v[74:75]
	v_add_f64 v[0:1], v[0:1], -v[72:73]
	s_delay_alu instid0(VALU_DEP_2) | instskip(SKIP_1) | instid1(VALU_DEP_2)
	v_fma_f64 v[192:193], v[194:195], v[200:201], v[192:193]
	v_dual_mov_b32 v72, v200 :: v_dual_mov_b32 v73, v201
	v_add_f64 v[2:3], v[2:3], -v[192:193]
.LBB94_629:
	s_or_b32 exec_lo, exec_lo, s2
	v_lshl_add_u32 v192, v208, 4, v202
	s_barrier
	buffer_gl0_inv
	v_mov_b32_e32 v200, 30
	ds_store_2addr_b64 v192, v[68:69], v[70:71] offset1:1
	s_waitcnt lgkmcnt(0)
	s_barrier
	buffer_gl0_inv
	ds_load_2addr_b64 v[192:195], v202 offset0:60 offset1:61
	s_cmp_lt_i32 s5, 32
	s_cbranch_scc1 .LBB94_632
; %bb.630:
	v_add3_u32 v201, v207, 0, 0x1f0
	v_mov_b32_e32 v200, 30
	s_mov_b32 s6, 31
	s_set_inst_prefetch_distance 0x1
	.p2align	6
.LBB94_631:                             ; =>This Inner Loop Header: Depth=1
	ds_load_2addr_b64 v[209:212], v201 offset1:1
	s_waitcnt lgkmcnt(1)
	v_cmp_gt_f64_e32 vcc_lo, 0, v[192:193]
	v_xor_b32_e32 v213, 0x80000000, v193
	v_cmp_gt_f64_e64 s2, 0, v[194:195]
	v_xor_b32_e32 v215, 0x80000000, v195
	v_add_nc_u32_e32 v201, 16, v201
	s_waitcnt lgkmcnt(0)
	v_cmp_gt_f64_e64 s3, 0, v[209:210]
	v_mov_b32_e32 v217, v209
	v_dual_mov_b32 v219, v211 :: v_dual_cndmask_b32 v214, v193, v213
	v_xor_b32_e32 v213, 0x80000000, v210
	v_cndmask_b32_e64 v216, v195, v215, s2
	v_xor_b32_e32 v215, 0x80000000, v212
	s_delay_alu instid0(VALU_DEP_3) | instskip(SKIP_2) | instid1(VALU_DEP_2)
	v_cndmask_b32_e64 v218, v210, v213, s3
	v_cmp_gt_f64_e64 s3, 0, v[211:212]
	v_cndmask_b32_e32 v213, v192, v192, vcc_lo
	v_cndmask_b32_e64 v220, v212, v215, s3
	v_cndmask_b32_e64 v215, v194, v194, s2
	s_delay_alu instid0(VALU_DEP_2) | instskip(NEXT) | instid1(VALU_DEP_2)
	v_add_f64 v[217:218], v[217:218], v[219:220]
	v_add_f64 v[213:214], v[213:214], v[215:216]
	s_delay_alu instid0(VALU_DEP_1) | instskip(SKIP_4) | instid1(SALU_CYCLE_1)
	v_cmp_lt_f64_e32 vcc_lo, v[213:214], v[217:218]
	v_dual_cndmask_b32 v194, v194, v211 :: v_dual_cndmask_b32 v193, v193, v210
	v_dual_cndmask_b32 v192, v192, v209 :: v_dual_cndmask_b32 v195, v195, v212
	v_cndmask_b32_e64 v200, v200, s6, vcc_lo
	s_add_i32 s6, s6, 1
	s_cmp_lg_u32 s5, s6
	s_cbranch_scc1 .LBB94_631
.LBB94_632:
	s_set_inst_prefetch_distance 0x2
	s_waitcnt lgkmcnt(0)
	v_cmp_eq_f64_e32 vcc_lo, 0, v[192:193]
	v_cmp_eq_f64_e64 s2, 0, v[194:195]
	s_delay_alu instid0(VALU_DEP_1) | instskip(NEXT) | instid1(SALU_CYCLE_1)
	s_and_b32 s2, vcc_lo, s2
	s_and_saveexec_b32 s3, s2
	s_delay_alu instid0(SALU_CYCLE_1)
	s_xor_b32 s2, exec_lo, s3
; %bb.633:
	v_cmp_ne_u32_e32 vcc_lo, 0, v205
	v_cndmask_b32_e32 v205, 31, v205, vcc_lo
; %bb.634:
	s_and_not1_saveexec_b32 s3, s2
	s_cbranch_execz .LBB94_640
; %bb.635:
	v_cmp_gt_f64_e32 vcc_lo, 0, v[192:193]
	v_cmp_gt_f64_e64 s2, 0, v[194:195]
	v_xor_b32_e32 v201, 0x80000000, v193
	v_xor_b32_e32 v209, 0x80000000, v195
	s_delay_alu instid0(VALU_DEP_2) | instskip(NEXT) | instid1(VALU_DEP_2)
	v_cndmask_b32_e32 v210, v193, v201, vcc_lo
	v_cndmask_b32_e64 v212, v195, v209, s2
	v_cndmask_b32_e32 v209, v192, v192, vcc_lo
	v_cndmask_b32_e64 v211, v194, v194, s2
	s_mov_b32 s2, exec_lo
	s_delay_alu instid0(VALU_DEP_1)
	v_cmpx_ngt_f64_e32 v[209:210], v[211:212]
	s_xor_b32 s2, exec_lo, s2
	s_cbranch_execz .LBB94_637
; %bb.636:
	v_div_scale_f64 v[209:210], null, v[194:195], v[194:195], v[192:193]
	v_div_scale_f64 v[215:216], vcc_lo, v[192:193], v[194:195], v[192:193]
	s_delay_alu instid0(VALU_DEP_2) | instskip(SKIP_2) | instid1(VALU_DEP_1)
	v_rcp_f64_e32 v[211:212], v[209:210]
	s_waitcnt_depctr 0xfff
	v_fma_f64 v[213:214], -v[209:210], v[211:212], 1.0
	v_fma_f64 v[211:212], v[211:212], v[213:214], v[211:212]
	s_delay_alu instid0(VALU_DEP_1) | instskip(NEXT) | instid1(VALU_DEP_1)
	v_fma_f64 v[213:214], -v[209:210], v[211:212], 1.0
	v_fma_f64 v[211:212], v[211:212], v[213:214], v[211:212]
	s_delay_alu instid0(VALU_DEP_1) | instskip(NEXT) | instid1(VALU_DEP_1)
	v_mul_f64 v[213:214], v[215:216], v[211:212]
	v_fma_f64 v[209:210], -v[209:210], v[213:214], v[215:216]
	s_delay_alu instid0(VALU_DEP_1) | instskip(NEXT) | instid1(VALU_DEP_1)
	v_div_fmas_f64 v[209:210], v[209:210], v[211:212], v[213:214]
	v_div_fixup_f64 v[209:210], v[209:210], v[194:195], v[192:193]
	s_delay_alu instid0(VALU_DEP_1) | instskip(NEXT) | instid1(VALU_DEP_1)
	v_fma_f64 v[192:193], v[192:193], v[209:210], v[194:195]
	v_div_scale_f64 v[194:195], null, v[192:193], v[192:193], 1.0
	s_delay_alu instid0(VALU_DEP_1) | instskip(SKIP_2) | instid1(VALU_DEP_1)
	v_rcp_f64_e32 v[211:212], v[194:195]
	s_waitcnt_depctr 0xfff
	v_fma_f64 v[213:214], -v[194:195], v[211:212], 1.0
	v_fma_f64 v[211:212], v[211:212], v[213:214], v[211:212]
	s_delay_alu instid0(VALU_DEP_1) | instskip(NEXT) | instid1(VALU_DEP_1)
	v_fma_f64 v[213:214], -v[194:195], v[211:212], 1.0
	v_fma_f64 v[211:212], v[211:212], v[213:214], v[211:212]
	v_div_scale_f64 v[213:214], vcc_lo, 1.0, v[192:193], 1.0
	s_delay_alu instid0(VALU_DEP_1) | instskip(NEXT) | instid1(VALU_DEP_1)
	v_mul_f64 v[215:216], v[213:214], v[211:212]
	v_fma_f64 v[194:195], -v[194:195], v[215:216], v[213:214]
	s_delay_alu instid0(VALU_DEP_1) | instskip(NEXT) | instid1(VALU_DEP_1)
	v_div_fmas_f64 v[194:195], v[194:195], v[211:212], v[215:216]
	v_div_fixup_f64 v[194:195], v[194:195], v[192:193], 1.0
	s_delay_alu instid0(VALU_DEP_1)
	v_mul_f64 v[192:193], v[209:210], v[194:195]
	v_xor_b32_e32 v195, 0x80000000, v195
.LBB94_637:
	s_and_not1_saveexec_b32 s2, s2
	s_cbranch_execz .LBB94_639
; %bb.638:
	s_delay_alu instid0(VALU_DEP_1) | instskip(SKIP_1) | instid1(VALU_DEP_2)
	v_div_scale_f64 v[209:210], null, v[192:193], v[192:193], v[194:195]
	v_div_scale_f64 v[215:216], vcc_lo, v[194:195], v[192:193], v[194:195]
	v_rcp_f64_e32 v[211:212], v[209:210]
	s_waitcnt_depctr 0xfff
	v_fma_f64 v[213:214], -v[209:210], v[211:212], 1.0
	s_delay_alu instid0(VALU_DEP_1) | instskip(NEXT) | instid1(VALU_DEP_1)
	v_fma_f64 v[211:212], v[211:212], v[213:214], v[211:212]
	v_fma_f64 v[213:214], -v[209:210], v[211:212], 1.0
	s_delay_alu instid0(VALU_DEP_1) | instskip(NEXT) | instid1(VALU_DEP_1)
	v_fma_f64 v[211:212], v[211:212], v[213:214], v[211:212]
	v_mul_f64 v[213:214], v[215:216], v[211:212]
	s_delay_alu instid0(VALU_DEP_1) | instskip(NEXT) | instid1(VALU_DEP_1)
	v_fma_f64 v[209:210], -v[209:210], v[213:214], v[215:216]
	v_div_fmas_f64 v[209:210], v[209:210], v[211:212], v[213:214]
	s_delay_alu instid0(VALU_DEP_1) | instskip(NEXT) | instid1(VALU_DEP_1)
	v_div_fixup_f64 v[209:210], v[209:210], v[192:193], v[194:195]
	v_fma_f64 v[192:193], v[194:195], v[209:210], v[192:193]
	s_delay_alu instid0(VALU_DEP_1) | instskip(NEXT) | instid1(VALU_DEP_1)
	v_div_scale_f64 v[194:195], null, v[192:193], v[192:193], 1.0
	v_rcp_f64_e32 v[211:212], v[194:195]
	s_waitcnt_depctr 0xfff
	v_fma_f64 v[213:214], -v[194:195], v[211:212], 1.0
	s_delay_alu instid0(VALU_DEP_1) | instskip(NEXT) | instid1(VALU_DEP_1)
	v_fma_f64 v[211:212], v[211:212], v[213:214], v[211:212]
	v_fma_f64 v[213:214], -v[194:195], v[211:212], 1.0
	s_delay_alu instid0(VALU_DEP_1) | instskip(SKIP_1) | instid1(VALU_DEP_1)
	v_fma_f64 v[211:212], v[211:212], v[213:214], v[211:212]
	v_div_scale_f64 v[213:214], vcc_lo, 1.0, v[192:193], 1.0
	v_mul_f64 v[215:216], v[213:214], v[211:212]
	s_delay_alu instid0(VALU_DEP_1) | instskip(NEXT) | instid1(VALU_DEP_1)
	v_fma_f64 v[194:195], -v[194:195], v[215:216], v[213:214]
	v_div_fmas_f64 v[194:195], v[194:195], v[211:212], v[215:216]
	s_delay_alu instid0(VALU_DEP_1) | instskip(NEXT) | instid1(VALU_DEP_1)
	v_div_fixup_f64 v[192:193], v[194:195], v[192:193], 1.0
	v_mul_f64 v[194:195], v[209:210], -v[192:193]
.LBB94_639:
	s_or_b32 exec_lo, exec_lo, s2
.LBB94_640:
	s_delay_alu instid0(SALU_CYCLE_1) | instskip(NEXT) | instid1(SALU_CYCLE_1)
	s_or_b32 exec_lo, exec_lo, s3
	s_mov_b32 s2, exec_lo
	v_cmpx_ne_u32_e64 v208, v200
	s_xor_b32 s2, exec_lo, s2
	s_cbranch_execz .LBB94_646
; %bb.641:
	s_mov_b32 s3, exec_lo
	v_cmpx_eq_u32_e32 30, v208
	s_cbranch_execz .LBB94_645
; %bb.642:
	v_cmp_ne_u32_e32 vcc_lo, 30, v200
	s_xor_b32 s6, s4, -1
	s_delay_alu instid0(SALU_CYCLE_1) | instskip(NEXT) | instid1(SALU_CYCLE_1)
	s_and_b32 s7, s6, vcc_lo
	s_and_saveexec_b32 s6, s7
	s_cbranch_execz .LBB94_644
; %bb.643:
	v_ashrrev_i32_e32 v201, 31, v200
	s_delay_alu instid0(VALU_DEP_1) | instskip(NEXT) | instid1(VALU_DEP_1)
	v_lshlrev_b64 v[208:209], 2, v[200:201]
	v_add_co_u32 v208, vcc_lo, v198, v208
	s_delay_alu instid0(VALU_DEP_2)
	v_add_co_ci_u32_e32 v209, vcc_lo, v199, v209, vcc_lo
	s_clause 0x1
	flat_load_b32 v201, v[208:209]
	flat_load_b32 v206, v[198:199] offset:120
	s_waitcnt vmcnt(1) lgkmcnt(1)
	flat_store_b32 v[198:199], v201 offset:120
	s_waitcnt vmcnt(0) lgkmcnt(1)
	flat_store_b32 v[208:209], v206
.LBB94_644:
	s_or_b32 exec_lo, exec_lo, s6
	v_mov_b32_e32 v208, v200
	v_mov_b32_e32 v206, v200
.LBB94_645:
	s_or_b32 exec_lo, exec_lo, s3
.LBB94_646:
	s_and_not1_saveexec_b32 s2, s2
	s_cbranch_execz .LBB94_648
; %bb.647:
	v_mov_b32_e32 v208, 30
	ds_store_2addr_b64 v202, v[64:65], v[66:67] offset0:62 offset1:63
	ds_store_2addr_b64 v202, v[60:61], v[62:63] offset0:64 offset1:65
	;; [unrolled: 1-line block ×17, first 2 shown]
.LBB94_648:
	s_or_b32 exec_lo, exec_lo, s2
	s_delay_alu instid0(SALU_CYCLE_1)
	s_mov_b32 s2, exec_lo
	s_waitcnt lgkmcnt(0)
	s_waitcnt_vscnt null, 0x0
	s_barrier
	buffer_gl0_inv
	v_cmpx_lt_i32_e32 30, v208
	s_cbranch_execz .LBB94_650
; %bb.649:
	v_mul_f64 v[200:201], v[194:195], v[70:71]
	v_mul_f64 v[70:71], v[192:193], v[70:71]
	s_delay_alu instid0(VALU_DEP_2) | instskip(NEXT) | instid1(VALU_DEP_2)
	v_fma_f64 v[200:201], v[192:193], v[68:69], -v[200:201]
	v_fma_f64 v[70:71], v[194:195], v[68:69], v[70:71]
	ds_load_2addr_b64 v[192:195], v202 offset0:62 offset1:63
	s_waitcnt lgkmcnt(0)
	v_mul_f64 v[68:69], v[194:195], v[70:71]
	s_delay_alu instid0(VALU_DEP_1) | instskip(SKIP_1) | instid1(VALU_DEP_2)
	v_fma_f64 v[68:69], v[192:193], v[200:201], -v[68:69]
	v_mul_f64 v[192:193], v[192:193], v[70:71]
	v_add_f64 v[64:65], v[64:65], -v[68:69]
	s_delay_alu instid0(VALU_DEP_2) | instskip(NEXT) | instid1(VALU_DEP_1)
	v_fma_f64 v[192:193], v[194:195], v[200:201], v[192:193]
	v_add_f64 v[66:67], v[66:67], -v[192:193]
	ds_load_2addr_b64 v[192:195], v202 offset0:64 offset1:65
	s_waitcnt lgkmcnt(0)
	v_mul_f64 v[68:69], v[194:195], v[70:71]
	s_delay_alu instid0(VALU_DEP_1) | instskip(SKIP_1) | instid1(VALU_DEP_2)
	v_fma_f64 v[68:69], v[192:193], v[200:201], -v[68:69]
	v_mul_f64 v[192:193], v[192:193], v[70:71]
	v_add_f64 v[60:61], v[60:61], -v[68:69]
	s_delay_alu instid0(VALU_DEP_2) | instskip(NEXT) | instid1(VALU_DEP_1)
	v_fma_f64 v[192:193], v[194:195], v[200:201], v[192:193]
	v_add_f64 v[62:63], v[62:63], -v[192:193]
	ds_load_2addr_b64 v[192:195], v202 offset0:66 offset1:67
	s_waitcnt lgkmcnt(0)
	v_mul_f64 v[68:69], v[194:195], v[70:71]
	s_delay_alu instid0(VALU_DEP_1) | instskip(SKIP_1) | instid1(VALU_DEP_2)
	v_fma_f64 v[68:69], v[192:193], v[200:201], -v[68:69]
	v_mul_f64 v[192:193], v[192:193], v[70:71]
	v_add_f64 v[56:57], v[56:57], -v[68:69]
	s_delay_alu instid0(VALU_DEP_2) | instskip(NEXT) | instid1(VALU_DEP_1)
	v_fma_f64 v[192:193], v[194:195], v[200:201], v[192:193]
	v_add_f64 v[58:59], v[58:59], -v[192:193]
	ds_load_2addr_b64 v[192:195], v202 offset0:68 offset1:69
	s_waitcnt lgkmcnt(0)
	v_mul_f64 v[68:69], v[194:195], v[70:71]
	s_delay_alu instid0(VALU_DEP_1) | instskip(SKIP_1) | instid1(VALU_DEP_2)
	v_fma_f64 v[68:69], v[192:193], v[200:201], -v[68:69]
	v_mul_f64 v[192:193], v[192:193], v[70:71]
	v_add_f64 v[52:53], v[52:53], -v[68:69]
	s_delay_alu instid0(VALU_DEP_2) | instskip(NEXT) | instid1(VALU_DEP_1)
	v_fma_f64 v[192:193], v[194:195], v[200:201], v[192:193]
	v_add_f64 v[54:55], v[54:55], -v[192:193]
	ds_load_2addr_b64 v[192:195], v202 offset0:70 offset1:71
	s_waitcnt lgkmcnt(0)
	v_mul_f64 v[68:69], v[194:195], v[70:71]
	s_delay_alu instid0(VALU_DEP_1) | instskip(SKIP_1) | instid1(VALU_DEP_2)
	v_fma_f64 v[68:69], v[192:193], v[200:201], -v[68:69]
	v_mul_f64 v[192:193], v[192:193], v[70:71]
	v_add_f64 v[48:49], v[48:49], -v[68:69]
	s_delay_alu instid0(VALU_DEP_2) | instskip(NEXT) | instid1(VALU_DEP_1)
	v_fma_f64 v[192:193], v[194:195], v[200:201], v[192:193]
	v_add_f64 v[50:51], v[50:51], -v[192:193]
	ds_load_2addr_b64 v[192:195], v202 offset0:72 offset1:73
	s_waitcnt lgkmcnt(0)
	v_mul_f64 v[68:69], v[194:195], v[70:71]
	s_delay_alu instid0(VALU_DEP_1) | instskip(SKIP_1) | instid1(VALU_DEP_2)
	v_fma_f64 v[68:69], v[192:193], v[200:201], -v[68:69]
	v_mul_f64 v[192:193], v[192:193], v[70:71]
	v_add_f64 v[44:45], v[44:45], -v[68:69]
	s_delay_alu instid0(VALU_DEP_2) | instskip(NEXT) | instid1(VALU_DEP_1)
	v_fma_f64 v[192:193], v[194:195], v[200:201], v[192:193]
	v_add_f64 v[46:47], v[46:47], -v[192:193]
	ds_load_2addr_b64 v[192:195], v202 offset0:74 offset1:75
	s_waitcnt lgkmcnt(0)
	v_mul_f64 v[68:69], v[194:195], v[70:71]
	s_delay_alu instid0(VALU_DEP_1) | instskip(SKIP_1) | instid1(VALU_DEP_2)
	v_fma_f64 v[68:69], v[192:193], v[200:201], -v[68:69]
	v_mul_f64 v[192:193], v[192:193], v[70:71]
	v_add_f64 v[40:41], v[40:41], -v[68:69]
	s_delay_alu instid0(VALU_DEP_2) | instskip(NEXT) | instid1(VALU_DEP_1)
	v_fma_f64 v[192:193], v[194:195], v[200:201], v[192:193]
	v_add_f64 v[42:43], v[42:43], -v[192:193]
	ds_load_2addr_b64 v[192:195], v202 offset0:76 offset1:77
	s_waitcnt lgkmcnt(0)
	v_mul_f64 v[68:69], v[194:195], v[70:71]
	s_delay_alu instid0(VALU_DEP_1) | instskip(SKIP_1) | instid1(VALU_DEP_2)
	v_fma_f64 v[68:69], v[192:193], v[200:201], -v[68:69]
	v_mul_f64 v[192:193], v[192:193], v[70:71]
	v_add_f64 v[36:37], v[36:37], -v[68:69]
	s_delay_alu instid0(VALU_DEP_2) | instskip(NEXT) | instid1(VALU_DEP_1)
	v_fma_f64 v[192:193], v[194:195], v[200:201], v[192:193]
	v_add_f64 v[38:39], v[38:39], -v[192:193]
	ds_load_2addr_b64 v[192:195], v202 offset0:78 offset1:79
	s_waitcnt lgkmcnt(0)
	v_mul_f64 v[68:69], v[194:195], v[70:71]
	s_delay_alu instid0(VALU_DEP_1) | instskip(SKIP_1) | instid1(VALU_DEP_2)
	v_fma_f64 v[68:69], v[192:193], v[200:201], -v[68:69]
	v_mul_f64 v[192:193], v[192:193], v[70:71]
	v_add_f64 v[32:33], v[32:33], -v[68:69]
	s_delay_alu instid0(VALU_DEP_2) | instskip(NEXT) | instid1(VALU_DEP_1)
	v_fma_f64 v[192:193], v[194:195], v[200:201], v[192:193]
	v_add_f64 v[34:35], v[34:35], -v[192:193]
	ds_load_2addr_b64 v[192:195], v202 offset0:80 offset1:81
	s_waitcnt lgkmcnt(0)
	v_mul_f64 v[68:69], v[194:195], v[70:71]
	s_delay_alu instid0(VALU_DEP_1) | instskip(SKIP_1) | instid1(VALU_DEP_2)
	v_fma_f64 v[68:69], v[192:193], v[200:201], -v[68:69]
	v_mul_f64 v[192:193], v[192:193], v[70:71]
	v_add_f64 v[28:29], v[28:29], -v[68:69]
	s_delay_alu instid0(VALU_DEP_2) | instskip(NEXT) | instid1(VALU_DEP_1)
	v_fma_f64 v[192:193], v[194:195], v[200:201], v[192:193]
	v_add_f64 v[30:31], v[30:31], -v[192:193]
	ds_load_2addr_b64 v[192:195], v202 offset0:82 offset1:83
	s_waitcnt lgkmcnt(0)
	v_mul_f64 v[68:69], v[194:195], v[70:71]
	s_delay_alu instid0(VALU_DEP_1) | instskip(SKIP_1) | instid1(VALU_DEP_2)
	v_fma_f64 v[68:69], v[192:193], v[200:201], -v[68:69]
	v_mul_f64 v[192:193], v[192:193], v[70:71]
	v_add_f64 v[24:25], v[24:25], -v[68:69]
	s_delay_alu instid0(VALU_DEP_2) | instskip(NEXT) | instid1(VALU_DEP_1)
	v_fma_f64 v[192:193], v[194:195], v[200:201], v[192:193]
	v_add_f64 v[26:27], v[26:27], -v[192:193]
	ds_load_2addr_b64 v[192:195], v202 offset0:84 offset1:85
	s_waitcnt lgkmcnt(0)
	v_mul_f64 v[68:69], v[194:195], v[70:71]
	s_delay_alu instid0(VALU_DEP_1) | instskip(SKIP_1) | instid1(VALU_DEP_2)
	v_fma_f64 v[68:69], v[192:193], v[200:201], -v[68:69]
	v_mul_f64 v[192:193], v[192:193], v[70:71]
	v_add_f64 v[20:21], v[20:21], -v[68:69]
	s_delay_alu instid0(VALU_DEP_2) | instskip(NEXT) | instid1(VALU_DEP_1)
	v_fma_f64 v[192:193], v[194:195], v[200:201], v[192:193]
	v_add_f64 v[22:23], v[22:23], -v[192:193]
	ds_load_2addr_b64 v[192:195], v202 offset0:86 offset1:87
	s_waitcnt lgkmcnt(0)
	v_mul_f64 v[68:69], v[194:195], v[70:71]
	s_delay_alu instid0(VALU_DEP_1) | instskip(SKIP_1) | instid1(VALU_DEP_2)
	v_fma_f64 v[68:69], v[192:193], v[200:201], -v[68:69]
	v_mul_f64 v[192:193], v[192:193], v[70:71]
	v_add_f64 v[16:17], v[16:17], -v[68:69]
	s_delay_alu instid0(VALU_DEP_2) | instskip(NEXT) | instid1(VALU_DEP_1)
	v_fma_f64 v[192:193], v[194:195], v[200:201], v[192:193]
	v_add_f64 v[18:19], v[18:19], -v[192:193]
	ds_load_2addr_b64 v[192:195], v202 offset0:88 offset1:89
	s_waitcnt lgkmcnt(0)
	v_mul_f64 v[68:69], v[194:195], v[70:71]
	s_delay_alu instid0(VALU_DEP_1) | instskip(SKIP_1) | instid1(VALU_DEP_2)
	v_fma_f64 v[68:69], v[192:193], v[200:201], -v[68:69]
	v_mul_f64 v[192:193], v[192:193], v[70:71]
	v_add_f64 v[12:13], v[12:13], -v[68:69]
	s_delay_alu instid0(VALU_DEP_2) | instskip(NEXT) | instid1(VALU_DEP_1)
	v_fma_f64 v[192:193], v[194:195], v[200:201], v[192:193]
	v_add_f64 v[14:15], v[14:15], -v[192:193]
	ds_load_2addr_b64 v[192:195], v202 offset0:90 offset1:91
	s_waitcnt lgkmcnt(0)
	v_mul_f64 v[68:69], v[194:195], v[70:71]
	s_delay_alu instid0(VALU_DEP_1) | instskip(SKIP_1) | instid1(VALU_DEP_2)
	v_fma_f64 v[68:69], v[192:193], v[200:201], -v[68:69]
	v_mul_f64 v[192:193], v[192:193], v[70:71]
	v_add_f64 v[8:9], v[8:9], -v[68:69]
	s_delay_alu instid0(VALU_DEP_2) | instskip(NEXT) | instid1(VALU_DEP_1)
	v_fma_f64 v[192:193], v[194:195], v[200:201], v[192:193]
	v_add_f64 v[10:11], v[10:11], -v[192:193]
	ds_load_2addr_b64 v[192:195], v202 offset0:92 offset1:93
	s_waitcnt lgkmcnt(0)
	v_mul_f64 v[68:69], v[194:195], v[70:71]
	s_delay_alu instid0(VALU_DEP_1) | instskip(SKIP_1) | instid1(VALU_DEP_2)
	v_fma_f64 v[68:69], v[192:193], v[200:201], -v[68:69]
	v_mul_f64 v[192:193], v[192:193], v[70:71]
	v_add_f64 v[4:5], v[4:5], -v[68:69]
	s_delay_alu instid0(VALU_DEP_2) | instskip(NEXT) | instid1(VALU_DEP_1)
	v_fma_f64 v[192:193], v[194:195], v[200:201], v[192:193]
	v_add_f64 v[6:7], v[6:7], -v[192:193]
	ds_load_2addr_b64 v[192:195], v202 offset0:94 offset1:95
	s_waitcnt lgkmcnt(0)
	v_mul_f64 v[68:69], v[194:195], v[70:71]
	s_delay_alu instid0(VALU_DEP_1) | instskip(SKIP_1) | instid1(VALU_DEP_2)
	v_fma_f64 v[68:69], v[192:193], v[200:201], -v[68:69]
	v_mul_f64 v[192:193], v[192:193], v[70:71]
	v_add_f64 v[0:1], v[0:1], -v[68:69]
	s_delay_alu instid0(VALU_DEP_2) | instskip(SKIP_1) | instid1(VALU_DEP_2)
	v_fma_f64 v[192:193], v[194:195], v[200:201], v[192:193]
	v_dual_mov_b32 v68, v200 :: v_dual_mov_b32 v69, v201
	v_add_f64 v[2:3], v[2:3], -v[192:193]
.LBB94_650:
	s_or_b32 exec_lo, exec_lo, s2
	v_lshl_add_u32 v192, v208, 4, v202
	s_barrier
	buffer_gl0_inv
	v_mov_b32_e32 v200, 31
	ds_store_2addr_b64 v192, v[64:65], v[66:67] offset1:1
	s_waitcnt lgkmcnt(0)
	s_barrier
	buffer_gl0_inv
	ds_load_2addr_b64 v[192:195], v202 offset0:62 offset1:63
	s_cmp_lt_i32 s5, 33
	s_cbranch_scc1 .LBB94_653
; %bb.651:
	v_add3_u32 v201, v207, 0, 0x200
	v_mov_b32_e32 v200, 31
	s_mov_b32 s6, 32
	s_set_inst_prefetch_distance 0x1
	.p2align	6
.LBB94_652:                             ; =>This Inner Loop Header: Depth=1
	ds_load_2addr_b64 v[209:212], v201 offset1:1
	s_waitcnt lgkmcnt(1)
	v_cmp_gt_f64_e32 vcc_lo, 0, v[192:193]
	v_xor_b32_e32 v213, 0x80000000, v193
	v_cmp_gt_f64_e64 s2, 0, v[194:195]
	v_xor_b32_e32 v215, 0x80000000, v195
	v_add_nc_u32_e32 v201, 16, v201
	s_waitcnt lgkmcnt(0)
	v_cmp_gt_f64_e64 s3, 0, v[209:210]
	v_mov_b32_e32 v217, v209
	v_dual_mov_b32 v219, v211 :: v_dual_cndmask_b32 v214, v193, v213
	v_xor_b32_e32 v213, 0x80000000, v210
	v_cndmask_b32_e64 v216, v195, v215, s2
	v_xor_b32_e32 v215, 0x80000000, v212
	s_delay_alu instid0(VALU_DEP_3) | instskip(SKIP_2) | instid1(VALU_DEP_2)
	v_cndmask_b32_e64 v218, v210, v213, s3
	v_cmp_gt_f64_e64 s3, 0, v[211:212]
	v_cndmask_b32_e32 v213, v192, v192, vcc_lo
	v_cndmask_b32_e64 v220, v212, v215, s3
	v_cndmask_b32_e64 v215, v194, v194, s2
	s_delay_alu instid0(VALU_DEP_2) | instskip(NEXT) | instid1(VALU_DEP_2)
	v_add_f64 v[217:218], v[217:218], v[219:220]
	v_add_f64 v[213:214], v[213:214], v[215:216]
	s_delay_alu instid0(VALU_DEP_1) | instskip(SKIP_4) | instid1(SALU_CYCLE_1)
	v_cmp_lt_f64_e32 vcc_lo, v[213:214], v[217:218]
	v_dual_cndmask_b32 v194, v194, v211 :: v_dual_cndmask_b32 v193, v193, v210
	v_dual_cndmask_b32 v192, v192, v209 :: v_dual_cndmask_b32 v195, v195, v212
	v_cndmask_b32_e64 v200, v200, s6, vcc_lo
	s_add_i32 s6, s6, 1
	s_cmp_lg_u32 s5, s6
	s_cbranch_scc1 .LBB94_652
.LBB94_653:
	s_set_inst_prefetch_distance 0x2
	s_waitcnt lgkmcnt(0)
	v_cmp_eq_f64_e32 vcc_lo, 0, v[192:193]
	v_cmp_eq_f64_e64 s2, 0, v[194:195]
	s_delay_alu instid0(VALU_DEP_1) | instskip(NEXT) | instid1(SALU_CYCLE_1)
	s_and_b32 s2, vcc_lo, s2
	s_and_saveexec_b32 s3, s2
	s_delay_alu instid0(SALU_CYCLE_1)
	s_xor_b32 s2, exec_lo, s3
; %bb.654:
	v_cmp_ne_u32_e32 vcc_lo, 0, v205
	v_cndmask_b32_e32 v205, 32, v205, vcc_lo
; %bb.655:
	s_and_not1_saveexec_b32 s3, s2
	s_cbranch_execz .LBB94_661
; %bb.656:
	v_cmp_gt_f64_e32 vcc_lo, 0, v[192:193]
	v_cmp_gt_f64_e64 s2, 0, v[194:195]
	v_xor_b32_e32 v201, 0x80000000, v193
	v_xor_b32_e32 v209, 0x80000000, v195
	s_delay_alu instid0(VALU_DEP_2) | instskip(NEXT) | instid1(VALU_DEP_2)
	v_cndmask_b32_e32 v210, v193, v201, vcc_lo
	v_cndmask_b32_e64 v212, v195, v209, s2
	v_cndmask_b32_e32 v209, v192, v192, vcc_lo
	v_cndmask_b32_e64 v211, v194, v194, s2
	s_mov_b32 s2, exec_lo
	s_delay_alu instid0(VALU_DEP_1)
	v_cmpx_ngt_f64_e32 v[209:210], v[211:212]
	s_xor_b32 s2, exec_lo, s2
	s_cbranch_execz .LBB94_658
; %bb.657:
	v_div_scale_f64 v[209:210], null, v[194:195], v[194:195], v[192:193]
	v_div_scale_f64 v[215:216], vcc_lo, v[192:193], v[194:195], v[192:193]
	s_delay_alu instid0(VALU_DEP_2) | instskip(SKIP_2) | instid1(VALU_DEP_1)
	v_rcp_f64_e32 v[211:212], v[209:210]
	s_waitcnt_depctr 0xfff
	v_fma_f64 v[213:214], -v[209:210], v[211:212], 1.0
	v_fma_f64 v[211:212], v[211:212], v[213:214], v[211:212]
	s_delay_alu instid0(VALU_DEP_1) | instskip(NEXT) | instid1(VALU_DEP_1)
	v_fma_f64 v[213:214], -v[209:210], v[211:212], 1.0
	v_fma_f64 v[211:212], v[211:212], v[213:214], v[211:212]
	s_delay_alu instid0(VALU_DEP_1) | instskip(NEXT) | instid1(VALU_DEP_1)
	v_mul_f64 v[213:214], v[215:216], v[211:212]
	v_fma_f64 v[209:210], -v[209:210], v[213:214], v[215:216]
	s_delay_alu instid0(VALU_DEP_1) | instskip(NEXT) | instid1(VALU_DEP_1)
	v_div_fmas_f64 v[209:210], v[209:210], v[211:212], v[213:214]
	v_div_fixup_f64 v[209:210], v[209:210], v[194:195], v[192:193]
	s_delay_alu instid0(VALU_DEP_1) | instskip(NEXT) | instid1(VALU_DEP_1)
	v_fma_f64 v[192:193], v[192:193], v[209:210], v[194:195]
	v_div_scale_f64 v[194:195], null, v[192:193], v[192:193], 1.0
	s_delay_alu instid0(VALU_DEP_1) | instskip(SKIP_2) | instid1(VALU_DEP_1)
	v_rcp_f64_e32 v[211:212], v[194:195]
	s_waitcnt_depctr 0xfff
	v_fma_f64 v[213:214], -v[194:195], v[211:212], 1.0
	v_fma_f64 v[211:212], v[211:212], v[213:214], v[211:212]
	s_delay_alu instid0(VALU_DEP_1) | instskip(NEXT) | instid1(VALU_DEP_1)
	v_fma_f64 v[213:214], -v[194:195], v[211:212], 1.0
	v_fma_f64 v[211:212], v[211:212], v[213:214], v[211:212]
	v_div_scale_f64 v[213:214], vcc_lo, 1.0, v[192:193], 1.0
	s_delay_alu instid0(VALU_DEP_1) | instskip(NEXT) | instid1(VALU_DEP_1)
	v_mul_f64 v[215:216], v[213:214], v[211:212]
	v_fma_f64 v[194:195], -v[194:195], v[215:216], v[213:214]
	s_delay_alu instid0(VALU_DEP_1) | instskip(NEXT) | instid1(VALU_DEP_1)
	v_div_fmas_f64 v[194:195], v[194:195], v[211:212], v[215:216]
	v_div_fixup_f64 v[194:195], v[194:195], v[192:193], 1.0
	s_delay_alu instid0(VALU_DEP_1)
	v_mul_f64 v[192:193], v[209:210], v[194:195]
	v_xor_b32_e32 v195, 0x80000000, v195
.LBB94_658:
	s_and_not1_saveexec_b32 s2, s2
	s_cbranch_execz .LBB94_660
; %bb.659:
	s_delay_alu instid0(VALU_DEP_1) | instskip(SKIP_1) | instid1(VALU_DEP_2)
	v_div_scale_f64 v[209:210], null, v[192:193], v[192:193], v[194:195]
	v_div_scale_f64 v[215:216], vcc_lo, v[194:195], v[192:193], v[194:195]
	v_rcp_f64_e32 v[211:212], v[209:210]
	s_waitcnt_depctr 0xfff
	v_fma_f64 v[213:214], -v[209:210], v[211:212], 1.0
	s_delay_alu instid0(VALU_DEP_1) | instskip(NEXT) | instid1(VALU_DEP_1)
	v_fma_f64 v[211:212], v[211:212], v[213:214], v[211:212]
	v_fma_f64 v[213:214], -v[209:210], v[211:212], 1.0
	s_delay_alu instid0(VALU_DEP_1) | instskip(NEXT) | instid1(VALU_DEP_1)
	v_fma_f64 v[211:212], v[211:212], v[213:214], v[211:212]
	v_mul_f64 v[213:214], v[215:216], v[211:212]
	s_delay_alu instid0(VALU_DEP_1) | instskip(NEXT) | instid1(VALU_DEP_1)
	v_fma_f64 v[209:210], -v[209:210], v[213:214], v[215:216]
	v_div_fmas_f64 v[209:210], v[209:210], v[211:212], v[213:214]
	s_delay_alu instid0(VALU_DEP_1) | instskip(NEXT) | instid1(VALU_DEP_1)
	v_div_fixup_f64 v[209:210], v[209:210], v[192:193], v[194:195]
	v_fma_f64 v[192:193], v[194:195], v[209:210], v[192:193]
	s_delay_alu instid0(VALU_DEP_1) | instskip(NEXT) | instid1(VALU_DEP_1)
	v_div_scale_f64 v[194:195], null, v[192:193], v[192:193], 1.0
	v_rcp_f64_e32 v[211:212], v[194:195]
	s_waitcnt_depctr 0xfff
	v_fma_f64 v[213:214], -v[194:195], v[211:212], 1.0
	s_delay_alu instid0(VALU_DEP_1) | instskip(NEXT) | instid1(VALU_DEP_1)
	v_fma_f64 v[211:212], v[211:212], v[213:214], v[211:212]
	v_fma_f64 v[213:214], -v[194:195], v[211:212], 1.0
	s_delay_alu instid0(VALU_DEP_1) | instskip(SKIP_1) | instid1(VALU_DEP_1)
	v_fma_f64 v[211:212], v[211:212], v[213:214], v[211:212]
	v_div_scale_f64 v[213:214], vcc_lo, 1.0, v[192:193], 1.0
	v_mul_f64 v[215:216], v[213:214], v[211:212]
	s_delay_alu instid0(VALU_DEP_1) | instskip(NEXT) | instid1(VALU_DEP_1)
	v_fma_f64 v[194:195], -v[194:195], v[215:216], v[213:214]
	v_div_fmas_f64 v[194:195], v[194:195], v[211:212], v[215:216]
	s_delay_alu instid0(VALU_DEP_1) | instskip(NEXT) | instid1(VALU_DEP_1)
	v_div_fixup_f64 v[192:193], v[194:195], v[192:193], 1.0
	v_mul_f64 v[194:195], v[209:210], -v[192:193]
.LBB94_660:
	s_or_b32 exec_lo, exec_lo, s2
.LBB94_661:
	s_delay_alu instid0(SALU_CYCLE_1) | instskip(NEXT) | instid1(SALU_CYCLE_1)
	s_or_b32 exec_lo, exec_lo, s3
	s_mov_b32 s2, exec_lo
	v_cmpx_ne_u32_e64 v208, v200
	s_xor_b32 s2, exec_lo, s2
	s_cbranch_execz .LBB94_667
; %bb.662:
	s_mov_b32 s3, exec_lo
	v_cmpx_eq_u32_e32 31, v208
	s_cbranch_execz .LBB94_666
; %bb.663:
	v_cmp_ne_u32_e32 vcc_lo, 31, v200
	s_xor_b32 s6, s4, -1
	s_delay_alu instid0(SALU_CYCLE_1) | instskip(NEXT) | instid1(SALU_CYCLE_1)
	s_and_b32 s7, s6, vcc_lo
	s_and_saveexec_b32 s6, s7
	s_cbranch_execz .LBB94_665
; %bb.664:
	v_ashrrev_i32_e32 v201, 31, v200
	s_delay_alu instid0(VALU_DEP_1) | instskip(NEXT) | instid1(VALU_DEP_1)
	v_lshlrev_b64 v[208:209], 2, v[200:201]
	v_add_co_u32 v208, vcc_lo, v198, v208
	s_delay_alu instid0(VALU_DEP_2)
	v_add_co_ci_u32_e32 v209, vcc_lo, v199, v209, vcc_lo
	s_clause 0x1
	flat_load_b32 v201, v[208:209]
	flat_load_b32 v206, v[198:199] offset:124
	s_waitcnt vmcnt(1) lgkmcnt(1)
	flat_store_b32 v[198:199], v201 offset:124
	s_waitcnt vmcnt(0) lgkmcnt(1)
	flat_store_b32 v[208:209], v206
.LBB94_665:
	s_or_b32 exec_lo, exec_lo, s6
	v_mov_b32_e32 v208, v200
	v_mov_b32_e32 v206, v200
.LBB94_666:
	s_or_b32 exec_lo, exec_lo, s3
.LBB94_667:
	s_and_not1_saveexec_b32 s2, s2
	s_cbranch_execz .LBB94_669
; %bb.668:
	v_mov_b32_e32 v208, 31
	ds_store_2addr_b64 v202, v[60:61], v[62:63] offset0:64 offset1:65
	ds_store_2addr_b64 v202, v[56:57], v[58:59] offset0:66 offset1:67
	;; [unrolled: 1-line block ×16, first 2 shown]
.LBB94_669:
	s_or_b32 exec_lo, exec_lo, s2
	s_delay_alu instid0(SALU_CYCLE_1)
	s_mov_b32 s2, exec_lo
	s_waitcnt lgkmcnt(0)
	s_waitcnt_vscnt null, 0x0
	s_barrier
	buffer_gl0_inv
	v_cmpx_lt_i32_e32 31, v208
	s_cbranch_execz .LBB94_671
; %bb.670:
	v_mul_f64 v[200:201], v[192:193], v[66:67]
	v_mul_f64 v[66:67], v[194:195], v[66:67]
	s_delay_alu instid0(VALU_DEP_2) | instskip(NEXT) | instid1(VALU_DEP_2)
	v_fma_f64 v[200:201], v[194:195], v[64:65], v[200:201]
	v_fma_f64 v[64:65], v[192:193], v[64:65], -v[66:67]
	ds_load_2addr_b64 v[192:195], v202 offset0:64 offset1:65
	s_waitcnt lgkmcnt(0)
	v_mul_f64 v[66:67], v[194:195], v[200:201]
	s_delay_alu instid0(VALU_DEP_1) | instskip(SKIP_1) | instid1(VALU_DEP_2)
	v_fma_f64 v[66:67], v[192:193], v[64:65], -v[66:67]
	v_mul_f64 v[192:193], v[192:193], v[200:201]
	v_add_f64 v[60:61], v[60:61], -v[66:67]
	s_delay_alu instid0(VALU_DEP_2) | instskip(NEXT) | instid1(VALU_DEP_1)
	v_fma_f64 v[192:193], v[194:195], v[64:65], v[192:193]
	v_add_f64 v[62:63], v[62:63], -v[192:193]
	ds_load_2addr_b64 v[192:195], v202 offset0:66 offset1:67
	s_waitcnt lgkmcnt(0)
	v_mul_f64 v[66:67], v[194:195], v[200:201]
	s_delay_alu instid0(VALU_DEP_1) | instskip(SKIP_1) | instid1(VALU_DEP_2)
	v_fma_f64 v[66:67], v[192:193], v[64:65], -v[66:67]
	v_mul_f64 v[192:193], v[192:193], v[200:201]
	v_add_f64 v[56:57], v[56:57], -v[66:67]
	s_delay_alu instid0(VALU_DEP_2) | instskip(NEXT) | instid1(VALU_DEP_1)
	v_fma_f64 v[192:193], v[194:195], v[64:65], v[192:193]
	v_add_f64 v[58:59], v[58:59], -v[192:193]
	;; [unrolled: 10-line block ×15, first 2 shown]
	ds_load_2addr_b64 v[192:195], v202 offset0:94 offset1:95
	s_waitcnt lgkmcnt(0)
	v_mul_f64 v[66:67], v[194:195], v[200:201]
	s_delay_alu instid0(VALU_DEP_1) | instskip(SKIP_1) | instid1(VALU_DEP_2)
	v_fma_f64 v[66:67], v[192:193], v[64:65], -v[66:67]
	v_mul_f64 v[192:193], v[192:193], v[200:201]
	v_add_f64 v[0:1], v[0:1], -v[66:67]
	s_delay_alu instid0(VALU_DEP_2) | instskip(SKIP_1) | instid1(VALU_DEP_2)
	v_fma_f64 v[192:193], v[194:195], v[64:65], v[192:193]
	v_dual_mov_b32 v66, v200 :: v_dual_mov_b32 v67, v201
	v_add_f64 v[2:3], v[2:3], -v[192:193]
.LBB94_671:
	s_or_b32 exec_lo, exec_lo, s2
	v_lshl_add_u32 v192, v208, 4, v202
	s_barrier
	buffer_gl0_inv
	v_mov_b32_e32 v200, 32
	ds_store_2addr_b64 v192, v[60:61], v[62:63] offset1:1
	s_waitcnt lgkmcnt(0)
	s_barrier
	buffer_gl0_inv
	ds_load_2addr_b64 v[192:195], v202 offset0:64 offset1:65
	s_cmp_lt_i32 s5, 34
	s_cbranch_scc1 .LBB94_674
; %bb.672:
	v_add3_u32 v201, v207, 0, 0x210
	v_mov_b32_e32 v200, 32
	s_mov_b32 s6, 33
	s_set_inst_prefetch_distance 0x1
	.p2align	6
.LBB94_673:                             ; =>This Inner Loop Header: Depth=1
	ds_load_2addr_b64 v[209:212], v201 offset1:1
	s_waitcnt lgkmcnt(1)
	v_cmp_gt_f64_e32 vcc_lo, 0, v[192:193]
	v_xor_b32_e32 v213, 0x80000000, v193
	v_cmp_gt_f64_e64 s2, 0, v[194:195]
	v_xor_b32_e32 v215, 0x80000000, v195
	v_add_nc_u32_e32 v201, 16, v201
	s_waitcnt lgkmcnt(0)
	v_cmp_gt_f64_e64 s3, 0, v[209:210]
	v_mov_b32_e32 v217, v209
	v_dual_mov_b32 v219, v211 :: v_dual_cndmask_b32 v214, v193, v213
	v_xor_b32_e32 v213, 0x80000000, v210
	v_cndmask_b32_e64 v216, v195, v215, s2
	v_xor_b32_e32 v215, 0x80000000, v212
	s_delay_alu instid0(VALU_DEP_3) | instskip(SKIP_2) | instid1(VALU_DEP_2)
	v_cndmask_b32_e64 v218, v210, v213, s3
	v_cmp_gt_f64_e64 s3, 0, v[211:212]
	v_cndmask_b32_e32 v213, v192, v192, vcc_lo
	v_cndmask_b32_e64 v220, v212, v215, s3
	v_cndmask_b32_e64 v215, v194, v194, s2
	s_delay_alu instid0(VALU_DEP_2) | instskip(NEXT) | instid1(VALU_DEP_2)
	v_add_f64 v[217:218], v[217:218], v[219:220]
	v_add_f64 v[213:214], v[213:214], v[215:216]
	s_delay_alu instid0(VALU_DEP_1) | instskip(SKIP_4) | instid1(SALU_CYCLE_1)
	v_cmp_lt_f64_e32 vcc_lo, v[213:214], v[217:218]
	v_dual_cndmask_b32 v194, v194, v211 :: v_dual_cndmask_b32 v193, v193, v210
	v_dual_cndmask_b32 v192, v192, v209 :: v_dual_cndmask_b32 v195, v195, v212
	v_cndmask_b32_e64 v200, v200, s6, vcc_lo
	s_add_i32 s6, s6, 1
	s_cmp_lg_u32 s5, s6
	s_cbranch_scc1 .LBB94_673
.LBB94_674:
	s_set_inst_prefetch_distance 0x2
	s_waitcnt lgkmcnt(0)
	v_cmp_eq_f64_e32 vcc_lo, 0, v[192:193]
	v_cmp_eq_f64_e64 s2, 0, v[194:195]
	s_delay_alu instid0(VALU_DEP_1) | instskip(NEXT) | instid1(SALU_CYCLE_1)
	s_and_b32 s2, vcc_lo, s2
	s_and_saveexec_b32 s3, s2
	s_delay_alu instid0(SALU_CYCLE_1)
	s_xor_b32 s2, exec_lo, s3
; %bb.675:
	v_cmp_ne_u32_e32 vcc_lo, 0, v205
	v_cndmask_b32_e32 v205, 33, v205, vcc_lo
; %bb.676:
	s_and_not1_saveexec_b32 s3, s2
	s_cbranch_execz .LBB94_682
; %bb.677:
	v_cmp_gt_f64_e32 vcc_lo, 0, v[192:193]
	v_cmp_gt_f64_e64 s2, 0, v[194:195]
	v_xor_b32_e32 v201, 0x80000000, v193
	v_xor_b32_e32 v209, 0x80000000, v195
	s_delay_alu instid0(VALU_DEP_2) | instskip(NEXT) | instid1(VALU_DEP_2)
	v_cndmask_b32_e32 v210, v193, v201, vcc_lo
	v_cndmask_b32_e64 v212, v195, v209, s2
	v_cndmask_b32_e32 v209, v192, v192, vcc_lo
	v_cndmask_b32_e64 v211, v194, v194, s2
	s_mov_b32 s2, exec_lo
	s_delay_alu instid0(VALU_DEP_1)
	v_cmpx_ngt_f64_e32 v[209:210], v[211:212]
	s_xor_b32 s2, exec_lo, s2
	s_cbranch_execz .LBB94_679
; %bb.678:
	v_div_scale_f64 v[209:210], null, v[194:195], v[194:195], v[192:193]
	v_div_scale_f64 v[215:216], vcc_lo, v[192:193], v[194:195], v[192:193]
	s_delay_alu instid0(VALU_DEP_2) | instskip(SKIP_2) | instid1(VALU_DEP_1)
	v_rcp_f64_e32 v[211:212], v[209:210]
	s_waitcnt_depctr 0xfff
	v_fma_f64 v[213:214], -v[209:210], v[211:212], 1.0
	v_fma_f64 v[211:212], v[211:212], v[213:214], v[211:212]
	s_delay_alu instid0(VALU_DEP_1) | instskip(NEXT) | instid1(VALU_DEP_1)
	v_fma_f64 v[213:214], -v[209:210], v[211:212], 1.0
	v_fma_f64 v[211:212], v[211:212], v[213:214], v[211:212]
	s_delay_alu instid0(VALU_DEP_1) | instskip(NEXT) | instid1(VALU_DEP_1)
	v_mul_f64 v[213:214], v[215:216], v[211:212]
	v_fma_f64 v[209:210], -v[209:210], v[213:214], v[215:216]
	s_delay_alu instid0(VALU_DEP_1) | instskip(NEXT) | instid1(VALU_DEP_1)
	v_div_fmas_f64 v[209:210], v[209:210], v[211:212], v[213:214]
	v_div_fixup_f64 v[209:210], v[209:210], v[194:195], v[192:193]
	s_delay_alu instid0(VALU_DEP_1) | instskip(NEXT) | instid1(VALU_DEP_1)
	v_fma_f64 v[192:193], v[192:193], v[209:210], v[194:195]
	v_div_scale_f64 v[194:195], null, v[192:193], v[192:193], 1.0
	s_delay_alu instid0(VALU_DEP_1) | instskip(SKIP_2) | instid1(VALU_DEP_1)
	v_rcp_f64_e32 v[211:212], v[194:195]
	s_waitcnt_depctr 0xfff
	v_fma_f64 v[213:214], -v[194:195], v[211:212], 1.0
	v_fma_f64 v[211:212], v[211:212], v[213:214], v[211:212]
	s_delay_alu instid0(VALU_DEP_1) | instskip(NEXT) | instid1(VALU_DEP_1)
	v_fma_f64 v[213:214], -v[194:195], v[211:212], 1.0
	v_fma_f64 v[211:212], v[211:212], v[213:214], v[211:212]
	v_div_scale_f64 v[213:214], vcc_lo, 1.0, v[192:193], 1.0
	s_delay_alu instid0(VALU_DEP_1) | instskip(NEXT) | instid1(VALU_DEP_1)
	v_mul_f64 v[215:216], v[213:214], v[211:212]
	v_fma_f64 v[194:195], -v[194:195], v[215:216], v[213:214]
	s_delay_alu instid0(VALU_DEP_1) | instskip(NEXT) | instid1(VALU_DEP_1)
	v_div_fmas_f64 v[194:195], v[194:195], v[211:212], v[215:216]
	v_div_fixup_f64 v[194:195], v[194:195], v[192:193], 1.0
	s_delay_alu instid0(VALU_DEP_1)
	v_mul_f64 v[192:193], v[209:210], v[194:195]
	v_xor_b32_e32 v195, 0x80000000, v195
.LBB94_679:
	s_and_not1_saveexec_b32 s2, s2
	s_cbranch_execz .LBB94_681
; %bb.680:
	s_delay_alu instid0(VALU_DEP_1) | instskip(SKIP_1) | instid1(VALU_DEP_2)
	v_div_scale_f64 v[209:210], null, v[192:193], v[192:193], v[194:195]
	v_div_scale_f64 v[215:216], vcc_lo, v[194:195], v[192:193], v[194:195]
	v_rcp_f64_e32 v[211:212], v[209:210]
	s_waitcnt_depctr 0xfff
	v_fma_f64 v[213:214], -v[209:210], v[211:212], 1.0
	s_delay_alu instid0(VALU_DEP_1) | instskip(NEXT) | instid1(VALU_DEP_1)
	v_fma_f64 v[211:212], v[211:212], v[213:214], v[211:212]
	v_fma_f64 v[213:214], -v[209:210], v[211:212], 1.0
	s_delay_alu instid0(VALU_DEP_1) | instskip(NEXT) | instid1(VALU_DEP_1)
	v_fma_f64 v[211:212], v[211:212], v[213:214], v[211:212]
	v_mul_f64 v[213:214], v[215:216], v[211:212]
	s_delay_alu instid0(VALU_DEP_1) | instskip(NEXT) | instid1(VALU_DEP_1)
	v_fma_f64 v[209:210], -v[209:210], v[213:214], v[215:216]
	v_div_fmas_f64 v[209:210], v[209:210], v[211:212], v[213:214]
	s_delay_alu instid0(VALU_DEP_1) | instskip(NEXT) | instid1(VALU_DEP_1)
	v_div_fixup_f64 v[209:210], v[209:210], v[192:193], v[194:195]
	v_fma_f64 v[192:193], v[194:195], v[209:210], v[192:193]
	s_delay_alu instid0(VALU_DEP_1) | instskip(NEXT) | instid1(VALU_DEP_1)
	v_div_scale_f64 v[194:195], null, v[192:193], v[192:193], 1.0
	v_rcp_f64_e32 v[211:212], v[194:195]
	s_waitcnt_depctr 0xfff
	v_fma_f64 v[213:214], -v[194:195], v[211:212], 1.0
	s_delay_alu instid0(VALU_DEP_1) | instskip(NEXT) | instid1(VALU_DEP_1)
	v_fma_f64 v[211:212], v[211:212], v[213:214], v[211:212]
	v_fma_f64 v[213:214], -v[194:195], v[211:212], 1.0
	s_delay_alu instid0(VALU_DEP_1) | instskip(SKIP_1) | instid1(VALU_DEP_1)
	v_fma_f64 v[211:212], v[211:212], v[213:214], v[211:212]
	v_div_scale_f64 v[213:214], vcc_lo, 1.0, v[192:193], 1.0
	v_mul_f64 v[215:216], v[213:214], v[211:212]
	s_delay_alu instid0(VALU_DEP_1) | instskip(NEXT) | instid1(VALU_DEP_1)
	v_fma_f64 v[194:195], -v[194:195], v[215:216], v[213:214]
	v_div_fmas_f64 v[194:195], v[194:195], v[211:212], v[215:216]
	s_delay_alu instid0(VALU_DEP_1) | instskip(NEXT) | instid1(VALU_DEP_1)
	v_div_fixup_f64 v[192:193], v[194:195], v[192:193], 1.0
	v_mul_f64 v[194:195], v[209:210], -v[192:193]
.LBB94_681:
	s_or_b32 exec_lo, exec_lo, s2
.LBB94_682:
	s_delay_alu instid0(SALU_CYCLE_1) | instskip(NEXT) | instid1(SALU_CYCLE_1)
	s_or_b32 exec_lo, exec_lo, s3
	s_mov_b32 s2, exec_lo
	v_cmpx_ne_u32_e64 v208, v200
	s_xor_b32 s2, exec_lo, s2
	s_cbranch_execz .LBB94_688
; %bb.683:
	s_mov_b32 s3, exec_lo
	v_cmpx_eq_u32_e32 32, v208
	s_cbranch_execz .LBB94_687
; %bb.684:
	v_cmp_ne_u32_e32 vcc_lo, 32, v200
	s_xor_b32 s6, s4, -1
	s_delay_alu instid0(SALU_CYCLE_1) | instskip(NEXT) | instid1(SALU_CYCLE_1)
	s_and_b32 s7, s6, vcc_lo
	s_and_saveexec_b32 s6, s7
	s_cbranch_execz .LBB94_686
; %bb.685:
	v_ashrrev_i32_e32 v201, 31, v200
	s_delay_alu instid0(VALU_DEP_1) | instskip(NEXT) | instid1(VALU_DEP_1)
	v_lshlrev_b64 v[208:209], 2, v[200:201]
	v_add_co_u32 v208, vcc_lo, v198, v208
	s_delay_alu instid0(VALU_DEP_2)
	v_add_co_ci_u32_e32 v209, vcc_lo, v199, v209, vcc_lo
	s_clause 0x1
	flat_load_b32 v201, v[208:209]
	flat_load_b32 v206, v[198:199] offset:128
	s_waitcnt vmcnt(1) lgkmcnt(1)
	flat_store_b32 v[198:199], v201 offset:128
	s_waitcnt vmcnt(0) lgkmcnt(1)
	flat_store_b32 v[208:209], v206
.LBB94_686:
	s_or_b32 exec_lo, exec_lo, s6
	v_mov_b32_e32 v208, v200
	v_mov_b32_e32 v206, v200
.LBB94_687:
	s_or_b32 exec_lo, exec_lo, s3
.LBB94_688:
	s_and_not1_saveexec_b32 s2, s2
	s_cbranch_execz .LBB94_690
; %bb.689:
	v_mov_b32_e32 v208, 32
	ds_store_2addr_b64 v202, v[56:57], v[58:59] offset0:66 offset1:67
	ds_store_2addr_b64 v202, v[52:53], v[54:55] offset0:68 offset1:69
	;; [unrolled: 1-line block ×15, first 2 shown]
.LBB94_690:
	s_or_b32 exec_lo, exec_lo, s2
	s_delay_alu instid0(SALU_CYCLE_1)
	s_mov_b32 s2, exec_lo
	s_waitcnt lgkmcnt(0)
	s_waitcnt_vscnt null, 0x0
	s_barrier
	buffer_gl0_inv
	v_cmpx_lt_i32_e32 32, v208
	s_cbranch_execz .LBB94_692
; %bb.691:
	v_mul_f64 v[200:201], v[192:193], v[62:63]
	v_mul_f64 v[62:63], v[194:195], v[62:63]
	s_delay_alu instid0(VALU_DEP_2) | instskip(NEXT) | instid1(VALU_DEP_2)
	v_fma_f64 v[200:201], v[194:195], v[60:61], v[200:201]
	v_fma_f64 v[60:61], v[192:193], v[60:61], -v[62:63]
	ds_load_2addr_b64 v[192:195], v202 offset0:66 offset1:67
	s_waitcnt lgkmcnt(0)
	v_mul_f64 v[62:63], v[194:195], v[200:201]
	s_delay_alu instid0(VALU_DEP_1) | instskip(SKIP_1) | instid1(VALU_DEP_2)
	v_fma_f64 v[62:63], v[192:193], v[60:61], -v[62:63]
	v_mul_f64 v[192:193], v[192:193], v[200:201]
	v_add_f64 v[56:57], v[56:57], -v[62:63]
	s_delay_alu instid0(VALU_DEP_2) | instskip(NEXT) | instid1(VALU_DEP_1)
	v_fma_f64 v[192:193], v[194:195], v[60:61], v[192:193]
	v_add_f64 v[58:59], v[58:59], -v[192:193]
	ds_load_2addr_b64 v[192:195], v202 offset0:68 offset1:69
	s_waitcnt lgkmcnt(0)
	v_mul_f64 v[62:63], v[194:195], v[200:201]
	s_delay_alu instid0(VALU_DEP_1) | instskip(SKIP_1) | instid1(VALU_DEP_2)
	v_fma_f64 v[62:63], v[192:193], v[60:61], -v[62:63]
	v_mul_f64 v[192:193], v[192:193], v[200:201]
	v_add_f64 v[52:53], v[52:53], -v[62:63]
	s_delay_alu instid0(VALU_DEP_2) | instskip(NEXT) | instid1(VALU_DEP_1)
	v_fma_f64 v[192:193], v[194:195], v[60:61], v[192:193]
	v_add_f64 v[54:55], v[54:55], -v[192:193]
	;; [unrolled: 10-line block ×14, first 2 shown]
	ds_load_2addr_b64 v[192:195], v202 offset0:94 offset1:95
	s_waitcnt lgkmcnt(0)
	v_mul_f64 v[62:63], v[194:195], v[200:201]
	s_delay_alu instid0(VALU_DEP_1) | instskip(SKIP_1) | instid1(VALU_DEP_2)
	v_fma_f64 v[62:63], v[192:193], v[60:61], -v[62:63]
	v_mul_f64 v[192:193], v[192:193], v[200:201]
	v_add_f64 v[0:1], v[0:1], -v[62:63]
	s_delay_alu instid0(VALU_DEP_2) | instskip(SKIP_1) | instid1(VALU_DEP_2)
	v_fma_f64 v[192:193], v[194:195], v[60:61], v[192:193]
	v_dual_mov_b32 v62, v200 :: v_dual_mov_b32 v63, v201
	v_add_f64 v[2:3], v[2:3], -v[192:193]
.LBB94_692:
	s_or_b32 exec_lo, exec_lo, s2
	v_lshl_add_u32 v192, v208, 4, v202
	s_barrier
	buffer_gl0_inv
	v_mov_b32_e32 v200, 33
	ds_store_2addr_b64 v192, v[56:57], v[58:59] offset1:1
	s_waitcnt lgkmcnt(0)
	s_barrier
	buffer_gl0_inv
	ds_load_2addr_b64 v[192:195], v202 offset0:66 offset1:67
	s_cmp_lt_i32 s5, 35
	s_cbranch_scc1 .LBB94_695
; %bb.693:
	v_add3_u32 v201, v207, 0, 0x220
	v_mov_b32_e32 v200, 33
	s_mov_b32 s6, 34
	s_set_inst_prefetch_distance 0x1
	.p2align	6
.LBB94_694:                             ; =>This Inner Loop Header: Depth=1
	ds_load_2addr_b64 v[209:212], v201 offset1:1
	s_waitcnt lgkmcnt(1)
	v_cmp_gt_f64_e32 vcc_lo, 0, v[192:193]
	v_xor_b32_e32 v213, 0x80000000, v193
	v_cmp_gt_f64_e64 s2, 0, v[194:195]
	v_xor_b32_e32 v215, 0x80000000, v195
	v_add_nc_u32_e32 v201, 16, v201
	s_waitcnt lgkmcnt(0)
	v_cmp_gt_f64_e64 s3, 0, v[209:210]
	v_mov_b32_e32 v217, v209
	v_dual_mov_b32 v219, v211 :: v_dual_cndmask_b32 v214, v193, v213
	v_xor_b32_e32 v213, 0x80000000, v210
	v_cndmask_b32_e64 v216, v195, v215, s2
	v_xor_b32_e32 v215, 0x80000000, v212
	s_delay_alu instid0(VALU_DEP_3) | instskip(SKIP_2) | instid1(VALU_DEP_2)
	v_cndmask_b32_e64 v218, v210, v213, s3
	v_cmp_gt_f64_e64 s3, 0, v[211:212]
	v_cndmask_b32_e32 v213, v192, v192, vcc_lo
	v_cndmask_b32_e64 v220, v212, v215, s3
	v_cndmask_b32_e64 v215, v194, v194, s2
	s_delay_alu instid0(VALU_DEP_2) | instskip(NEXT) | instid1(VALU_DEP_2)
	v_add_f64 v[217:218], v[217:218], v[219:220]
	v_add_f64 v[213:214], v[213:214], v[215:216]
	s_delay_alu instid0(VALU_DEP_1) | instskip(SKIP_4) | instid1(SALU_CYCLE_1)
	v_cmp_lt_f64_e32 vcc_lo, v[213:214], v[217:218]
	v_dual_cndmask_b32 v194, v194, v211 :: v_dual_cndmask_b32 v193, v193, v210
	v_dual_cndmask_b32 v192, v192, v209 :: v_dual_cndmask_b32 v195, v195, v212
	v_cndmask_b32_e64 v200, v200, s6, vcc_lo
	s_add_i32 s6, s6, 1
	s_cmp_lg_u32 s5, s6
	s_cbranch_scc1 .LBB94_694
.LBB94_695:
	s_set_inst_prefetch_distance 0x2
	s_waitcnt lgkmcnt(0)
	v_cmp_eq_f64_e32 vcc_lo, 0, v[192:193]
	v_cmp_eq_f64_e64 s2, 0, v[194:195]
	s_delay_alu instid0(VALU_DEP_1) | instskip(NEXT) | instid1(SALU_CYCLE_1)
	s_and_b32 s2, vcc_lo, s2
	s_and_saveexec_b32 s3, s2
	s_delay_alu instid0(SALU_CYCLE_1)
	s_xor_b32 s2, exec_lo, s3
; %bb.696:
	v_cmp_ne_u32_e32 vcc_lo, 0, v205
	v_cndmask_b32_e32 v205, 34, v205, vcc_lo
; %bb.697:
	s_and_not1_saveexec_b32 s3, s2
	s_cbranch_execz .LBB94_703
; %bb.698:
	v_cmp_gt_f64_e32 vcc_lo, 0, v[192:193]
	v_cmp_gt_f64_e64 s2, 0, v[194:195]
	v_xor_b32_e32 v201, 0x80000000, v193
	v_xor_b32_e32 v209, 0x80000000, v195
	s_delay_alu instid0(VALU_DEP_2) | instskip(NEXT) | instid1(VALU_DEP_2)
	v_cndmask_b32_e32 v210, v193, v201, vcc_lo
	v_cndmask_b32_e64 v212, v195, v209, s2
	v_cndmask_b32_e32 v209, v192, v192, vcc_lo
	v_cndmask_b32_e64 v211, v194, v194, s2
	s_mov_b32 s2, exec_lo
	s_delay_alu instid0(VALU_DEP_1)
	v_cmpx_ngt_f64_e32 v[209:210], v[211:212]
	s_xor_b32 s2, exec_lo, s2
	s_cbranch_execz .LBB94_700
; %bb.699:
	v_div_scale_f64 v[209:210], null, v[194:195], v[194:195], v[192:193]
	v_div_scale_f64 v[215:216], vcc_lo, v[192:193], v[194:195], v[192:193]
	s_delay_alu instid0(VALU_DEP_2) | instskip(SKIP_2) | instid1(VALU_DEP_1)
	v_rcp_f64_e32 v[211:212], v[209:210]
	s_waitcnt_depctr 0xfff
	v_fma_f64 v[213:214], -v[209:210], v[211:212], 1.0
	v_fma_f64 v[211:212], v[211:212], v[213:214], v[211:212]
	s_delay_alu instid0(VALU_DEP_1) | instskip(NEXT) | instid1(VALU_DEP_1)
	v_fma_f64 v[213:214], -v[209:210], v[211:212], 1.0
	v_fma_f64 v[211:212], v[211:212], v[213:214], v[211:212]
	s_delay_alu instid0(VALU_DEP_1) | instskip(NEXT) | instid1(VALU_DEP_1)
	v_mul_f64 v[213:214], v[215:216], v[211:212]
	v_fma_f64 v[209:210], -v[209:210], v[213:214], v[215:216]
	s_delay_alu instid0(VALU_DEP_1) | instskip(NEXT) | instid1(VALU_DEP_1)
	v_div_fmas_f64 v[209:210], v[209:210], v[211:212], v[213:214]
	v_div_fixup_f64 v[209:210], v[209:210], v[194:195], v[192:193]
	s_delay_alu instid0(VALU_DEP_1) | instskip(NEXT) | instid1(VALU_DEP_1)
	v_fma_f64 v[192:193], v[192:193], v[209:210], v[194:195]
	v_div_scale_f64 v[194:195], null, v[192:193], v[192:193], 1.0
	s_delay_alu instid0(VALU_DEP_1) | instskip(SKIP_2) | instid1(VALU_DEP_1)
	v_rcp_f64_e32 v[211:212], v[194:195]
	s_waitcnt_depctr 0xfff
	v_fma_f64 v[213:214], -v[194:195], v[211:212], 1.0
	v_fma_f64 v[211:212], v[211:212], v[213:214], v[211:212]
	s_delay_alu instid0(VALU_DEP_1) | instskip(NEXT) | instid1(VALU_DEP_1)
	v_fma_f64 v[213:214], -v[194:195], v[211:212], 1.0
	v_fma_f64 v[211:212], v[211:212], v[213:214], v[211:212]
	v_div_scale_f64 v[213:214], vcc_lo, 1.0, v[192:193], 1.0
	s_delay_alu instid0(VALU_DEP_1) | instskip(NEXT) | instid1(VALU_DEP_1)
	v_mul_f64 v[215:216], v[213:214], v[211:212]
	v_fma_f64 v[194:195], -v[194:195], v[215:216], v[213:214]
	s_delay_alu instid0(VALU_DEP_1) | instskip(NEXT) | instid1(VALU_DEP_1)
	v_div_fmas_f64 v[194:195], v[194:195], v[211:212], v[215:216]
	v_div_fixup_f64 v[194:195], v[194:195], v[192:193], 1.0
	s_delay_alu instid0(VALU_DEP_1)
	v_mul_f64 v[192:193], v[209:210], v[194:195]
	v_xor_b32_e32 v195, 0x80000000, v195
.LBB94_700:
	s_and_not1_saveexec_b32 s2, s2
	s_cbranch_execz .LBB94_702
; %bb.701:
	s_delay_alu instid0(VALU_DEP_1) | instskip(SKIP_1) | instid1(VALU_DEP_2)
	v_div_scale_f64 v[209:210], null, v[192:193], v[192:193], v[194:195]
	v_div_scale_f64 v[215:216], vcc_lo, v[194:195], v[192:193], v[194:195]
	v_rcp_f64_e32 v[211:212], v[209:210]
	s_waitcnt_depctr 0xfff
	v_fma_f64 v[213:214], -v[209:210], v[211:212], 1.0
	s_delay_alu instid0(VALU_DEP_1) | instskip(NEXT) | instid1(VALU_DEP_1)
	v_fma_f64 v[211:212], v[211:212], v[213:214], v[211:212]
	v_fma_f64 v[213:214], -v[209:210], v[211:212], 1.0
	s_delay_alu instid0(VALU_DEP_1) | instskip(NEXT) | instid1(VALU_DEP_1)
	v_fma_f64 v[211:212], v[211:212], v[213:214], v[211:212]
	v_mul_f64 v[213:214], v[215:216], v[211:212]
	s_delay_alu instid0(VALU_DEP_1) | instskip(NEXT) | instid1(VALU_DEP_1)
	v_fma_f64 v[209:210], -v[209:210], v[213:214], v[215:216]
	v_div_fmas_f64 v[209:210], v[209:210], v[211:212], v[213:214]
	s_delay_alu instid0(VALU_DEP_1) | instskip(NEXT) | instid1(VALU_DEP_1)
	v_div_fixup_f64 v[209:210], v[209:210], v[192:193], v[194:195]
	v_fma_f64 v[192:193], v[194:195], v[209:210], v[192:193]
	s_delay_alu instid0(VALU_DEP_1) | instskip(NEXT) | instid1(VALU_DEP_1)
	v_div_scale_f64 v[194:195], null, v[192:193], v[192:193], 1.0
	v_rcp_f64_e32 v[211:212], v[194:195]
	s_waitcnt_depctr 0xfff
	v_fma_f64 v[213:214], -v[194:195], v[211:212], 1.0
	s_delay_alu instid0(VALU_DEP_1) | instskip(NEXT) | instid1(VALU_DEP_1)
	v_fma_f64 v[211:212], v[211:212], v[213:214], v[211:212]
	v_fma_f64 v[213:214], -v[194:195], v[211:212], 1.0
	s_delay_alu instid0(VALU_DEP_1) | instskip(SKIP_1) | instid1(VALU_DEP_1)
	v_fma_f64 v[211:212], v[211:212], v[213:214], v[211:212]
	v_div_scale_f64 v[213:214], vcc_lo, 1.0, v[192:193], 1.0
	v_mul_f64 v[215:216], v[213:214], v[211:212]
	s_delay_alu instid0(VALU_DEP_1) | instskip(NEXT) | instid1(VALU_DEP_1)
	v_fma_f64 v[194:195], -v[194:195], v[215:216], v[213:214]
	v_div_fmas_f64 v[194:195], v[194:195], v[211:212], v[215:216]
	s_delay_alu instid0(VALU_DEP_1) | instskip(NEXT) | instid1(VALU_DEP_1)
	v_div_fixup_f64 v[192:193], v[194:195], v[192:193], 1.0
	v_mul_f64 v[194:195], v[209:210], -v[192:193]
.LBB94_702:
	s_or_b32 exec_lo, exec_lo, s2
.LBB94_703:
	s_delay_alu instid0(SALU_CYCLE_1) | instskip(NEXT) | instid1(SALU_CYCLE_1)
	s_or_b32 exec_lo, exec_lo, s3
	s_mov_b32 s2, exec_lo
	v_cmpx_ne_u32_e64 v208, v200
	s_xor_b32 s2, exec_lo, s2
	s_cbranch_execz .LBB94_709
; %bb.704:
	s_mov_b32 s3, exec_lo
	v_cmpx_eq_u32_e32 33, v208
	s_cbranch_execz .LBB94_708
; %bb.705:
	v_cmp_ne_u32_e32 vcc_lo, 33, v200
	s_xor_b32 s6, s4, -1
	s_delay_alu instid0(SALU_CYCLE_1) | instskip(NEXT) | instid1(SALU_CYCLE_1)
	s_and_b32 s7, s6, vcc_lo
	s_and_saveexec_b32 s6, s7
	s_cbranch_execz .LBB94_707
; %bb.706:
	v_ashrrev_i32_e32 v201, 31, v200
	s_delay_alu instid0(VALU_DEP_1) | instskip(NEXT) | instid1(VALU_DEP_1)
	v_lshlrev_b64 v[208:209], 2, v[200:201]
	v_add_co_u32 v208, vcc_lo, v198, v208
	s_delay_alu instid0(VALU_DEP_2)
	v_add_co_ci_u32_e32 v209, vcc_lo, v199, v209, vcc_lo
	s_clause 0x1
	flat_load_b32 v201, v[208:209]
	flat_load_b32 v206, v[198:199] offset:132
	s_waitcnt vmcnt(1) lgkmcnt(1)
	flat_store_b32 v[198:199], v201 offset:132
	s_waitcnt vmcnt(0) lgkmcnt(1)
	flat_store_b32 v[208:209], v206
.LBB94_707:
	s_or_b32 exec_lo, exec_lo, s6
	v_mov_b32_e32 v208, v200
	v_mov_b32_e32 v206, v200
.LBB94_708:
	s_or_b32 exec_lo, exec_lo, s3
.LBB94_709:
	s_and_not1_saveexec_b32 s2, s2
	s_cbranch_execz .LBB94_711
; %bb.710:
	v_mov_b32_e32 v208, 33
	ds_store_2addr_b64 v202, v[52:53], v[54:55] offset0:68 offset1:69
	ds_store_2addr_b64 v202, v[48:49], v[50:51] offset0:70 offset1:71
	;; [unrolled: 1-line block ×14, first 2 shown]
.LBB94_711:
	s_or_b32 exec_lo, exec_lo, s2
	s_delay_alu instid0(SALU_CYCLE_1)
	s_mov_b32 s2, exec_lo
	s_waitcnt lgkmcnt(0)
	s_waitcnt_vscnt null, 0x0
	s_barrier
	buffer_gl0_inv
	v_cmpx_lt_i32_e32 33, v208
	s_cbranch_execz .LBB94_713
; %bb.712:
	v_mul_f64 v[200:201], v[192:193], v[58:59]
	v_mul_f64 v[58:59], v[194:195], v[58:59]
	s_delay_alu instid0(VALU_DEP_2) | instskip(NEXT) | instid1(VALU_DEP_2)
	v_fma_f64 v[200:201], v[194:195], v[56:57], v[200:201]
	v_fma_f64 v[56:57], v[192:193], v[56:57], -v[58:59]
	ds_load_2addr_b64 v[192:195], v202 offset0:68 offset1:69
	s_waitcnt lgkmcnt(0)
	v_mul_f64 v[58:59], v[194:195], v[200:201]
	s_delay_alu instid0(VALU_DEP_1) | instskip(SKIP_1) | instid1(VALU_DEP_2)
	v_fma_f64 v[58:59], v[192:193], v[56:57], -v[58:59]
	v_mul_f64 v[192:193], v[192:193], v[200:201]
	v_add_f64 v[52:53], v[52:53], -v[58:59]
	s_delay_alu instid0(VALU_DEP_2) | instskip(NEXT) | instid1(VALU_DEP_1)
	v_fma_f64 v[192:193], v[194:195], v[56:57], v[192:193]
	v_add_f64 v[54:55], v[54:55], -v[192:193]
	ds_load_2addr_b64 v[192:195], v202 offset0:70 offset1:71
	s_waitcnt lgkmcnt(0)
	v_mul_f64 v[58:59], v[194:195], v[200:201]
	s_delay_alu instid0(VALU_DEP_1) | instskip(SKIP_1) | instid1(VALU_DEP_2)
	v_fma_f64 v[58:59], v[192:193], v[56:57], -v[58:59]
	v_mul_f64 v[192:193], v[192:193], v[200:201]
	v_add_f64 v[48:49], v[48:49], -v[58:59]
	s_delay_alu instid0(VALU_DEP_2) | instskip(NEXT) | instid1(VALU_DEP_1)
	v_fma_f64 v[192:193], v[194:195], v[56:57], v[192:193]
	v_add_f64 v[50:51], v[50:51], -v[192:193]
	;; [unrolled: 10-line block ×13, first 2 shown]
	ds_load_2addr_b64 v[192:195], v202 offset0:94 offset1:95
	s_waitcnt lgkmcnt(0)
	v_mul_f64 v[58:59], v[194:195], v[200:201]
	s_delay_alu instid0(VALU_DEP_1) | instskip(SKIP_1) | instid1(VALU_DEP_2)
	v_fma_f64 v[58:59], v[192:193], v[56:57], -v[58:59]
	v_mul_f64 v[192:193], v[192:193], v[200:201]
	v_add_f64 v[0:1], v[0:1], -v[58:59]
	s_delay_alu instid0(VALU_DEP_2) | instskip(SKIP_1) | instid1(VALU_DEP_2)
	v_fma_f64 v[192:193], v[194:195], v[56:57], v[192:193]
	v_dual_mov_b32 v58, v200 :: v_dual_mov_b32 v59, v201
	v_add_f64 v[2:3], v[2:3], -v[192:193]
.LBB94_713:
	s_or_b32 exec_lo, exec_lo, s2
	v_lshl_add_u32 v192, v208, 4, v202
	s_barrier
	buffer_gl0_inv
	v_mov_b32_e32 v200, 34
	ds_store_2addr_b64 v192, v[52:53], v[54:55] offset1:1
	s_waitcnt lgkmcnt(0)
	s_barrier
	buffer_gl0_inv
	ds_load_2addr_b64 v[192:195], v202 offset0:68 offset1:69
	s_cmp_lt_i32 s5, 36
	s_cbranch_scc1 .LBB94_716
; %bb.714:
	v_add3_u32 v201, v207, 0, 0x230
	v_mov_b32_e32 v200, 34
	s_mov_b32 s6, 35
	s_set_inst_prefetch_distance 0x1
	.p2align	6
.LBB94_715:                             ; =>This Inner Loop Header: Depth=1
	ds_load_2addr_b64 v[209:212], v201 offset1:1
	s_waitcnt lgkmcnt(1)
	v_cmp_gt_f64_e32 vcc_lo, 0, v[192:193]
	v_xor_b32_e32 v213, 0x80000000, v193
	v_cmp_gt_f64_e64 s2, 0, v[194:195]
	v_xor_b32_e32 v215, 0x80000000, v195
	v_add_nc_u32_e32 v201, 16, v201
	s_waitcnt lgkmcnt(0)
	v_cmp_gt_f64_e64 s3, 0, v[209:210]
	v_mov_b32_e32 v217, v209
	v_dual_mov_b32 v219, v211 :: v_dual_cndmask_b32 v214, v193, v213
	v_xor_b32_e32 v213, 0x80000000, v210
	v_cndmask_b32_e64 v216, v195, v215, s2
	v_xor_b32_e32 v215, 0x80000000, v212
	s_delay_alu instid0(VALU_DEP_3) | instskip(SKIP_2) | instid1(VALU_DEP_2)
	v_cndmask_b32_e64 v218, v210, v213, s3
	v_cmp_gt_f64_e64 s3, 0, v[211:212]
	v_cndmask_b32_e32 v213, v192, v192, vcc_lo
	v_cndmask_b32_e64 v220, v212, v215, s3
	v_cndmask_b32_e64 v215, v194, v194, s2
	s_delay_alu instid0(VALU_DEP_2) | instskip(NEXT) | instid1(VALU_DEP_2)
	v_add_f64 v[217:218], v[217:218], v[219:220]
	v_add_f64 v[213:214], v[213:214], v[215:216]
	s_delay_alu instid0(VALU_DEP_1) | instskip(SKIP_4) | instid1(SALU_CYCLE_1)
	v_cmp_lt_f64_e32 vcc_lo, v[213:214], v[217:218]
	v_dual_cndmask_b32 v194, v194, v211 :: v_dual_cndmask_b32 v193, v193, v210
	v_dual_cndmask_b32 v192, v192, v209 :: v_dual_cndmask_b32 v195, v195, v212
	v_cndmask_b32_e64 v200, v200, s6, vcc_lo
	s_add_i32 s6, s6, 1
	s_cmp_lg_u32 s5, s6
	s_cbranch_scc1 .LBB94_715
.LBB94_716:
	s_set_inst_prefetch_distance 0x2
	s_waitcnt lgkmcnt(0)
	v_cmp_eq_f64_e32 vcc_lo, 0, v[192:193]
	v_cmp_eq_f64_e64 s2, 0, v[194:195]
	s_delay_alu instid0(VALU_DEP_1) | instskip(NEXT) | instid1(SALU_CYCLE_1)
	s_and_b32 s2, vcc_lo, s2
	s_and_saveexec_b32 s3, s2
	s_delay_alu instid0(SALU_CYCLE_1)
	s_xor_b32 s2, exec_lo, s3
; %bb.717:
	v_cmp_ne_u32_e32 vcc_lo, 0, v205
	v_cndmask_b32_e32 v205, 35, v205, vcc_lo
; %bb.718:
	s_and_not1_saveexec_b32 s3, s2
	s_cbranch_execz .LBB94_724
; %bb.719:
	v_cmp_gt_f64_e32 vcc_lo, 0, v[192:193]
	v_cmp_gt_f64_e64 s2, 0, v[194:195]
	v_xor_b32_e32 v201, 0x80000000, v193
	v_xor_b32_e32 v209, 0x80000000, v195
	s_delay_alu instid0(VALU_DEP_2) | instskip(NEXT) | instid1(VALU_DEP_2)
	v_cndmask_b32_e32 v210, v193, v201, vcc_lo
	v_cndmask_b32_e64 v212, v195, v209, s2
	v_cndmask_b32_e32 v209, v192, v192, vcc_lo
	v_cndmask_b32_e64 v211, v194, v194, s2
	s_mov_b32 s2, exec_lo
	s_delay_alu instid0(VALU_DEP_1)
	v_cmpx_ngt_f64_e32 v[209:210], v[211:212]
	s_xor_b32 s2, exec_lo, s2
	s_cbranch_execz .LBB94_721
; %bb.720:
	v_div_scale_f64 v[209:210], null, v[194:195], v[194:195], v[192:193]
	v_div_scale_f64 v[215:216], vcc_lo, v[192:193], v[194:195], v[192:193]
	s_delay_alu instid0(VALU_DEP_2) | instskip(SKIP_2) | instid1(VALU_DEP_1)
	v_rcp_f64_e32 v[211:212], v[209:210]
	s_waitcnt_depctr 0xfff
	v_fma_f64 v[213:214], -v[209:210], v[211:212], 1.0
	v_fma_f64 v[211:212], v[211:212], v[213:214], v[211:212]
	s_delay_alu instid0(VALU_DEP_1) | instskip(NEXT) | instid1(VALU_DEP_1)
	v_fma_f64 v[213:214], -v[209:210], v[211:212], 1.0
	v_fma_f64 v[211:212], v[211:212], v[213:214], v[211:212]
	s_delay_alu instid0(VALU_DEP_1) | instskip(NEXT) | instid1(VALU_DEP_1)
	v_mul_f64 v[213:214], v[215:216], v[211:212]
	v_fma_f64 v[209:210], -v[209:210], v[213:214], v[215:216]
	s_delay_alu instid0(VALU_DEP_1) | instskip(NEXT) | instid1(VALU_DEP_1)
	v_div_fmas_f64 v[209:210], v[209:210], v[211:212], v[213:214]
	v_div_fixup_f64 v[209:210], v[209:210], v[194:195], v[192:193]
	s_delay_alu instid0(VALU_DEP_1) | instskip(NEXT) | instid1(VALU_DEP_1)
	v_fma_f64 v[192:193], v[192:193], v[209:210], v[194:195]
	v_div_scale_f64 v[194:195], null, v[192:193], v[192:193], 1.0
	s_delay_alu instid0(VALU_DEP_1) | instskip(SKIP_2) | instid1(VALU_DEP_1)
	v_rcp_f64_e32 v[211:212], v[194:195]
	s_waitcnt_depctr 0xfff
	v_fma_f64 v[213:214], -v[194:195], v[211:212], 1.0
	v_fma_f64 v[211:212], v[211:212], v[213:214], v[211:212]
	s_delay_alu instid0(VALU_DEP_1) | instskip(NEXT) | instid1(VALU_DEP_1)
	v_fma_f64 v[213:214], -v[194:195], v[211:212], 1.0
	v_fma_f64 v[211:212], v[211:212], v[213:214], v[211:212]
	v_div_scale_f64 v[213:214], vcc_lo, 1.0, v[192:193], 1.0
	s_delay_alu instid0(VALU_DEP_1) | instskip(NEXT) | instid1(VALU_DEP_1)
	v_mul_f64 v[215:216], v[213:214], v[211:212]
	v_fma_f64 v[194:195], -v[194:195], v[215:216], v[213:214]
	s_delay_alu instid0(VALU_DEP_1) | instskip(NEXT) | instid1(VALU_DEP_1)
	v_div_fmas_f64 v[194:195], v[194:195], v[211:212], v[215:216]
	v_div_fixup_f64 v[194:195], v[194:195], v[192:193], 1.0
	s_delay_alu instid0(VALU_DEP_1)
	v_mul_f64 v[192:193], v[209:210], v[194:195]
	v_xor_b32_e32 v195, 0x80000000, v195
.LBB94_721:
	s_and_not1_saveexec_b32 s2, s2
	s_cbranch_execz .LBB94_723
; %bb.722:
	s_delay_alu instid0(VALU_DEP_1) | instskip(SKIP_1) | instid1(VALU_DEP_2)
	v_div_scale_f64 v[209:210], null, v[192:193], v[192:193], v[194:195]
	v_div_scale_f64 v[215:216], vcc_lo, v[194:195], v[192:193], v[194:195]
	v_rcp_f64_e32 v[211:212], v[209:210]
	s_waitcnt_depctr 0xfff
	v_fma_f64 v[213:214], -v[209:210], v[211:212], 1.0
	s_delay_alu instid0(VALU_DEP_1) | instskip(NEXT) | instid1(VALU_DEP_1)
	v_fma_f64 v[211:212], v[211:212], v[213:214], v[211:212]
	v_fma_f64 v[213:214], -v[209:210], v[211:212], 1.0
	s_delay_alu instid0(VALU_DEP_1) | instskip(NEXT) | instid1(VALU_DEP_1)
	v_fma_f64 v[211:212], v[211:212], v[213:214], v[211:212]
	v_mul_f64 v[213:214], v[215:216], v[211:212]
	s_delay_alu instid0(VALU_DEP_1) | instskip(NEXT) | instid1(VALU_DEP_1)
	v_fma_f64 v[209:210], -v[209:210], v[213:214], v[215:216]
	v_div_fmas_f64 v[209:210], v[209:210], v[211:212], v[213:214]
	s_delay_alu instid0(VALU_DEP_1) | instskip(NEXT) | instid1(VALU_DEP_1)
	v_div_fixup_f64 v[209:210], v[209:210], v[192:193], v[194:195]
	v_fma_f64 v[192:193], v[194:195], v[209:210], v[192:193]
	s_delay_alu instid0(VALU_DEP_1) | instskip(NEXT) | instid1(VALU_DEP_1)
	v_div_scale_f64 v[194:195], null, v[192:193], v[192:193], 1.0
	v_rcp_f64_e32 v[211:212], v[194:195]
	s_waitcnt_depctr 0xfff
	v_fma_f64 v[213:214], -v[194:195], v[211:212], 1.0
	s_delay_alu instid0(VALU_DEP_1) | instskip(NEXT) | instid1(VALU_DEP_1)
	v_fma_f64 v[211:212], v[211:212], v[213:214], v[211:212]
	v_fma_f64 v[213:214], -v[194:195], v[211:212], 1.0
	s_delay_alu instid0(VALU_DEP_1) | instskip(SKIP_1) | instid1(VALU_DEP_1)
	v_fma_f64 v[211:212], v[211:212], v[213:214], v[211:212]
	v_div_scale_f64 v[213:214], vcc_lo, 1.0, v[192:193], 1.0
	v_mul_f64 v[215:216], v[213:214], v[211:212]
	s_delay_alu instid0(VALU_DEP_1) | instskip(NEXT) | instid1(VALU_DEP_1)
	v_fma_f64 v[194:195], -v[194:195], v[215:216], v[213:214]
	v_div_fmas_f64 v[194:195], v[194:195], v[211:212], v[215:216]
	s_delay_alu instid0(VALU_DEP_1) | instskip(NEXT) | instid1(VALU_DEP_1)
	v_div_fixup_f64 v[192:193], v[194:195], v[192:193], 1.0
	v_mul_f64 v[194:195], v[209:210], -v[192:193]
.LBB94_723:
	s_or_b32 exec_lo, exec_lo, s2
.LBB94_724:
	s_delay_alu instid0(SALU_CYCLE_1) | instskip(NEXT) | instid1(SALU_CYCLE_1)
	s_or_b32 exec_lo, exec_lo, s3
	s_mov_b32 s2, exec_lo
	v_cmpx_ne_u32_e64 v208, v200
	s_xor_b32 s2, exec_lo, s2
	s_cbranch_execz .LBB94_730
; %bb.725:
	s_mov_b32 s3, exec_lo
	v_cmpx_eq_u32_e32 34, v208
	s_cbranch_execz .LBB94_729
; %bb.726:
	v_cmp_ne_u32_e32 vcc_lo, 34, v200
	s_xor_b32 s6, s4, -1
	s_delay_alu instid0(SALU_CYCLE_1) | instskip(NEXT) | instid1(SALU_CYCLE_1)
	s_and_b32 s7, s6, vcc_lo
	s_and_saveexec_b32 s6, s7
	s_cbranch_execz .LBB94_728
; %bb.727:
	v_ashrrev_i32_e32 v201, 31, v200
	s_delay_alu instid0(VALU_DEP_1) | instskip(NEXT) | instid1(VALU_DEP_1)
	v_lshlrev_b64 v[208:209], 2, v[200:201]
	v_add_co_u32 v208, vcc_lo, v198, v208
	s_delay_alu instid0(VALU_DEP_2)
	v_add_co_ci_u32_e32 v209, vcc_lo, v199, v209, vcc_lo
	s_clause 0x1
	flat_load_b32 v201, v[208:209]
	flat_load_b32 v206, v[198:199] offset:136
	s_waitcnt vmcnt(1) lgkmcnt(1)
	flat_store_b32 v[198:199], v201 offset:136
	s_waitcnt vmcnt(0) lgkmcnt(1)
	flat_store_b32 v[208:209], v206
.LBB94_728:
	s_or_b32 exec_lo, exec_lo, s6
	v_mov_b32_e32 v208, v200
	v_mov_b32_e32 v206, v200
.LBB94_729:
	s_or_b32 exec_lo, exec_lo, s3
.LBB94_730:
	s_and_not1_saveexec_b32 s2, s2
	s_cbranch_execz .LBB94_732
; %bb.731:
	v_mov_b32_e32 v208, 34
	ds_store_2addr_b64 v202, v[48:49], v[50:51] offset0:70 offset1:71
	ds_store_2addr_b64 v202, v[44:45], v[46:47] offset0:72 offset1:73
	;; [unrolled: 1-line block ×13, first 2 shown]
.LBB94_732:
	s_or_b32 exec_lo, exec_lo, s2
	s_delay_alu instid0(SALU_CYCLE_1)
	s_mov_b32 s2, exec_lo
	s_waitcnt lgkmcnt(0)
	s_waitcnt_vscnt null, 0x0
	s_barrier
	buffer_gl0_inv
	v_cmpx_lt_i32_e32 34, v208
	s_cbranch_execz .LBB94_734
; %bb.733:
	v_mul_f64 v[200:201], v[192:193], v[54:55]
	v_mul_f64 v[54:55], v[194:195], v[54:55]
	s_delay_alu instid0(VALU_DEP_2) | instskip(NEXT) | instid1(VALU_DEP_2)
	v_fma_f64 v[200:201], v[194:195], v[52:53], v[200:201]
	v_fma_f64 v[52:53], v[192:193], v[52:53], -v[54:55]
	ds_load_2addr_b64 v[192:195], v202 offset0:70 offset1:71
	s_waitcnt lgkmcnt(0)
	v_mul_f64 v[54:55], v[194:195], v[200:201]
	s_delay_alu instid0(VALU_DEP_1) | instskip(SKIP_1) | instid1(VALU_DEP_2)
	v_fma_f64 v[54:55], v[192:193], v[52:53], -v[54:55]
	v_mul_f64 v[192:193], v[192:193], v[200:201]
	v_add_f64 v[48:49], v[48:49], -v[54:55]
	s_delay_alu instid0(VALU_DEP_2) | instskip(NEXT) | instid1(VALU_DEP_1)
	v_fma_f64 v[192:193], v[194:195], v[52:53], v[192:193]
	v_add_f64 v[50:51], v[50:51], -v[192:193]
	ds_load_2addr_b64 v[192:195], v202 offset0:72 offset1:73
	s_waitcnt lgkmcnt(0)
	v_mul_f64 v[54:55], v[194:195], v[200:201]
	s_delay_alu instid0(VALU_DEP_1) | instskip(SKIP_1) | instid1(VALU_DEP_2)
	v_fma_f64 v[54:55], v[192:193], v[52:53], -v[54:55]
	v_mul_f64 v[192:193], v[192:193], v[200:201]
	v_add_f64 v[44:45], v[44:45], -v[54:55]
	s_delay_alu instid0(VALU_DEP_2) | instskip(NEXT) | instid1(VALU_DEP_1)
	v_fma_f64 v[192:193], v[194:195], v[52:53], v[192:193]
	v_add_f64 v[46:47], v[46:47], -v[192:193]
	ds_load_2addr_b64 v[192:195], v202 offset0:74 offset1:75
	s_waitcnt lgkmcnt(0)
	v_mul_f64 v[54:55], v[194:195], v[200:201]
	s_delay_alu instid0(VALU_DEP_1) | instskip(SKIP_1) | instid1(VALU_DEP_2)
	v_fma_f64 v[54:55], v[192:193], v[52:53], -v[54:55]
	v_mul_f64 v[192:193], v[192:193], v[200:201]
	v_add_f64 v[40:41], v[40:41], -v[54:55]
	s_delay_alu instid0(VALU_DEP_2) | instskip(NEXT) | instid1(VALU_DEP_1)
	v_fma_f64 v[192:193], v[194:195], v[52:53], v[192:193]
	v_add_f64 v[42:43], v[42:43], -v[192:193]
	ds_load_2addr_b64 v[192:195], v202 offset0:76 offset1:77
	s_waitcnt lgkmcnt(0)
	v_mul_f64 v[54:55], v[194:195], v[200:201]
	s_delay_alu instid0(VALU_DEP_1) | instskip(SKIP_1) | instid1(VALU_DEP_2)
	v_fma_f64 v[54:55], v[192:193], v[52:53], -v[54:55]
	v_mul_f64 v[192:193], v[192:193], v[200:201]
	v_add_f64 v[36:37], v[36:37], -v[54:55]
	s_delay_alu instid0(VALU_DEP_2) | instskip(NEXT) | instid1(VALU_DEP_1)
	v_fma_f64 v[192:193], v[194:195], v[52:53], v[192:193]
	v_add_f64 v[38:39], v[38:39], -v[192:193]
	ds_load_2addr_b64 v[192:195], v202 offset0:78 offset1:79
	s_waitcnt lgkmcnt(0)
	v_mul_f64 v[54:55], v[194:195], v[200:201]
	s_delay_alu instid0(VALU_DEP_1) | instskip(SKIP_1) | instid1(VALU_DEP_2)
	v_fma_f64 v[54:55], v[192:193], v[52:53], -v[54:55]
	v_mul_f64 v[192:193], v[192:193], v[200:201]
	v_add_f64 v[32:33], v[32:33], -v[54:55]
	s_delay_alu instid0(VALU_DEP_2) | instskip(NEXT) | instid1(VALU_DEP_1)
	v_fma_f64 v[192:193], v[194:195], v[52:53], v[192:193]
	v_add_f64 v[34:35], v[34:35], -v[192:193]
	ds_load_2addr_b64 v[192:195], v202 offset0:80 offset1:81
	s_waitcnt lgkmcnt(0)
	v_mul_f64 v[54:55], v[194:195], v[200:201]
	s_delay_alu instid0(VALU_DEP_1) | instskip(SKIP_1) | instid1(VALU_DEP_2)
	v_fma_f64 v[54:55], v[192:193], v[52:53], -v[54:55]
	v_mul_f64 v[192:193], v[192:193], v[200:201]
	v_add_f64 v[28:29], v[28:29], -v[54:55]
	s_delay_alu instid0(VALU_DEP_2) | instskip(NEXT) | instid1(VALU_DEP_1)
	v_fma_f64 v[192:193], v[194:195], v[52:53], v[192:193]
	v_add_f64 v[30:31], v[30:31], -v[192:193]
	ds_load_2addr_b64 v[192:195], v202 offset0:82 offset1:83
	s_waitcnt lgkmcnt(0)
	v_mul_f64 v[54:55], v[194:195], v[200:201]
	s_delay_alu instid0(VALU_DEP_1) | instskip(SKIP_1) | instid1(VALU_DEP_2)
	v_fma_f64 v[54:55], v[192:193], v[52:53], -v[54:55]
	v_mul_f64 v[192:193], v[192:193], v[200:201]
	v_add_f64 v[24:25], v[24:25], -v[54:55]
	s_delay_alu instid0(VALU_DEP_2) | instskip(NEXT) | instid1(VALU_DEP_1)
	v_fma_f64 v[192:193], v[194:195], v[52:53], v[192:193]
	v_add_f64 v[26:27], v[26:27], -v[192:193]
	ds_load_2addr_b64 v[192:195], v202 offset0:84 offset1:85
	s_waitcnt lgkmcnt(0)
	v_mul_f64 v[54:55], v[194:195], v[200:201]
	s_delay_alu instid0(VALU_DEP_1) | instskip(SKIP_1) | instid1(VALU_DEP_2)
	v_fma_f64 v[54:55], v[192:193], v[52:53], -v[54:55]
	v_mul_f64 v[192:193], v[192:193], v[200:201]
	v_add_f64 v[20:21], v[20:21], -v[54:55]
	s_delay_alu instid0(VALU_DEP_2) | instskip(NEXT) | instid1(VALU_DEP_1)
	v_fma_f64 v[192:193], v[194:195], v[52:53], v[192:193]
	v_add_f64 v[22:23], v[22:23], -v[192:193]
	ds_load_2addr_b64 v[192:195], v202 offset0:86 offset1:87
	s_waitcnt lgkmcnt(0)
	v_mul_f64 v[54:55], v[194:195], v[200:201]
	s_delay_alu instid0(VALU_DEP_1) | instskip(SKIP_1) | instid1(VALU_DEP_2)
	v_fma_f64 v[54:55], v[192:193], v[52:53], -v[54:55]
	v_mul_f64 v[192:193], v[192:193], v[200:201]
	v_add_f64 v[16:17], v[16:17], -v[54:55]
	s_delay_alu instid0(VALU_DEP_2) | instskip(NEXT) | instid1(VALU_DEP_1)
	v_fma_f64 v[192:193], v[194:195], v[52:53], v[192:193]
	v_add_f64 v[18:19], v[18:19], -v[192:193]
	ds_load_2addr_b64 v[192:195], v202 offset0:88 offset1:89
	s_waitcnt lgkmcnt(0)
	v_mul_f64 v[54:55], v[194:195], v[200:201]
	s_delay_alu instid0(VALU_DEP_1) | instskip(SKIP_1) | instid1(VALU_DEP_2)
	v_fma_f64 v[54:55], v[192:193], v[52:53], -v[54:55]
	v_mul_f64 v[192:193], v[192:193], v[200:201]
	v_add_f64 v[12:13], v[12:13], -v[54:55]
	s_delay_alu instid0(VALU_DEP_2) | instskip(NEXT) | instid1(VALU_DEP_1)
	v_fma_f64 v[192:193], v[194:195], v[52:53], v[192:193]
	v_add_f64 v[14:15], v[14:15], -v[192:193]
	ds_load_2addr_b64 v[192:195], v202 offset0:90 offset1:91
	s_waitcnt lgkmcnt(0)
	v_mul_f64 v[54:55], v[194:195], v[200:201]
	s_delay_alu instid0(VALU_DEP_1) | instskip(SKIP_1) | instid1(VALU_DEP_2)
	v_fma_f64 v[54:55], v[192:193], v[52:53], -v[54:55]
	v_mul_f64 v[192:193], v[192:193], v[200:201]
	v_add_f64 v[8:9], v[8:9], -v[54:55]
	s_delay_alu instid0(VALU_DEP_2) | instskip(NEXT) | instid1(VALU_DEP_1)
	v_fma_f64 v[192:193], v[194:195], v[52:53], v[192:193]
	v_add_f64 v[10:11], v[10:11], -v[192:193]
	ds_load_2addr_b64 v[192:195], v202 offset0:92 offset1:93
	s_waitcnt lgkmcnt(0)
	v_mul_f64 v[54:55], v[194:195], v[200:201]
	s_delay_alu instid0(VALU_DEP_1) | instskip(SKIP_1) | instid1(VALU_DEP_2)
	v_fma_f64 v[54:55], v[192:193], v[52:53], -v[54:55]
	v_mul_f64 v[192:193], v[192:193], v[200:201]
	v_add_f64 v[4:5], v[4:5], -v[54:55]
	s_delay_alu instid0(VALU_DEP_2) | instskip(NEXT) | instid1(VALU_DEP_1)
	v_fma_f64 v[192:193], v[194:195], v[52:53], v[192:193]
	v_add_f64 v[6:7], v[6:7], -v[192:193]
	ds_load_2addr_b64 v[192:195], v202 offset0:94 offset1:95
	s_waitcnt lgkmcnt(0)
	v_mul_f64 v[54:55], v[194:195], v[200:201]
	s_delay_alu instid0(VALU_DEP_1) | instskip(SKIP_1) | instid1(VALU_DEP_2)
	v_fma_f64 v[54:55], v[192:193], v[52:53], -v[54:55]
	v_mul_f64 v[192:193], v[192:193], v[200:201]
	v_add_f64 v[0:1], v[0:1], -v[54:55]
	s_delay_alu instid0(VALU_DEP_2) | instskip(SKIP_1) | instid1(VALU_DEP_2)
	v_fma_f64 v[192:193], v[194:195], v[52:53], v[192:193]
	v_dual_mov_b32 v54, v200 :: v_dual_mov_b32 v55, v201
	v_add_f64 v[2:3], v[2:3], -v[192:193]
.LBB94_734:
	s_or_b32 exec_lo, exec_lo, s2
	v_lshl_add_u32 v192, v208, 4, v202
	s_barrier
	buffer_gl0_inv
	v_mov_b32_e32 v200, 35
	ds_store_2addr_b64 v192, v[48:49], v[50:51] offset1:1
	s_waitcnt lgkmcnt(0)
	s_barrier
	buffer_gl0_inv
	ds_load_2addr_b64 v[192:195], v202 offset0:70 offset1:71
	s_cmp_lt_i32 s5, 37
	s_cbranch_scc1 .LBB94_737
; %bb.735:
	v_add3_u32 v201, v207, 0, 0x240
	v_mov_b32_e32 v200, 35
	s_mov_b32 s6, 36
	s_set_inst_prefetch_distance 0x1
	.p2align	6
.LBB94_736:                             ; =>This Inner Loop Header: Depth=1
	ds_load_2addr_b64 v[209:212], v201 offset1:1
	s_waitcnt lgkmcnt(1)
	v_cmp_gt_f64_e32 vcc_lo, 0, v[192:193]
	v_xor_b32_e32 v213, 0x80000000, v193
	v_cmp_gt_f64_e64 s2, 0, v[194:195]
	v_xor_b32_e32 v215, 0x80000000, v195
	v_add_nc_u32_e32 v201, 16, v201
	s_waitcnt lgkmcnt(0)
	v_cmp_gt_f64_e64 s3, 0, v[209:210]
	v_mov_b32_e32 v217, v209
	v_dual_mov_b32 v219, v211 :: v_dual_cndmask_b32 v214, v193, v213
	v_xor_b32_e32 v213, 0x80000000, v210
	v_cndmask_b32_e64 v216, v195, v215, s2
	v_xor_b32_e32 v215, 0x80000000, v212
	s_delay_alu instid0(VALU_DEP_3) | instskip(SKIP_2) | instid1(VALU_DEP_2)
	v_cndmask_b32_e64 v218, v210, v213, s3
	v_cmp_gt_f64_e64 s3, 0, v[211:212]
	v_cndmask_b32_e32 v213, v192, v192, vcc_lo
	v_cndmask_b32_e64 v220, v212, v215, s3
	v_cndmask_b32_e64 v215, v194, v194, s2
	s_delay_alu instid0(VALU_DEP_2) | instskip(NEXT) | instid1(VALU_DEP_2)
	v_add_f64 v[217:218], v[217:218], v[219:220]
	v_add_f64 v[213:214], v[213:214], v[215:216]
	s_delay_alu instid0(VALU_DEP_1) | instskip(SKIP_4) | instid1(SALU_CYCLE_1)
	v_cmp_lt_f64_e32 vcc_lo, v[213:214], v[217:218]
	v_dual_cndmask_b32 v194, v194, v211 :: v_dual_cndmask_b32 v193, v193, v210
	v_dual_cndmask_b32 v192, v192, v209 :: v_dual_cndmask_b32 v195, v195, v212
	v_cndmask_b32_e64 v200, v200, s6, vcc_lo
	s_add_i32 s6, s6, 1
	s_cmp_lg_u32 s5, s6
	s_cbranch_scc1 .LBB94_736
.LBB94_737:
	s_set_inst_prefetch_distance 0x2
	s_waitcnt lgkmcnt(0)
	v_cmp_eq_f64_e32 vcc_lo, 0, v[192:193]
	v_cmp_eq_f64_e64 s2, 0, v[194:195]
	s_delay_alu instid0(VALU_DEP_1) | instskip(NEXT) | instid1(SALU_CYCLE_1)
	s_and_b32 s2, vcc_lo, s2
	s_and_saveexec_b32 s3, s2
	s_delay_alu instid0(SALU_CYCLE_1)
	s_xor_b32 s2, exec_lo, s3
; %bb.738:
	v_cmp_ne_u32_e32 vcc_lo, 0, v205
	v_cndmask_b32_e32 v205, 36, v205, vcc_lo
; %bb.739:
	s_and_not1_saveexec_b32 s3, s2
	s_cbranch_execz .LBB94_745
; %bb.740:
	v_cmp_gt_f64_e32 vcc_lo, 0, v[192:193]
	v_cmp_gt_f64_e64 s2, 0, v[194:195]
	v_xor_b32_e32 v201, 0x80000000, v193
	v_xor_b32_e32 v209, 0x80000000, v195
	s_delay_alu instid0(VALU_DEP_2) | instskip(NEXT) | instid1(VALU_DEP_2)
	v_cndmask_b32_e32 v210, v193, v201, vcc_lo
	v_cndmask_b32_e64 v212, v195, v209, s2
	v_cndmask_b32_e32 v209, v192, v192, vcc_lo
	v_cndmask_b32_e64 v211, v194, v194, s2
	s_mov_b32 s2, exec_lo
	s_delay_alu instid0(VALU_DEP_1)
	v_cmpx_ngt_f64_e32 v[209:210], v[211:212]
	s_xor_b32 s2, exec_lo, s2
	s_cbranch_execz .LBB94_742
; %bb.741:
	v_div_scale_f64 v[209:210], null, v[194:195], v[194:195], v[192:193]
	v_div_scale_f64 v[215:216], vcc_lo, v[192:193], v[194:195], v[192:193]
	s_delay_alu instid0(VALU_DEP_2) | instskip(SKIP_2) | instid1(VALU_DEP_1)
	v_rcp_f64_e32 v[211:212], v[209:210]
	s_waitcnt_depctr 0xfff
	v_fma_f64 v[213:214], -v[209:210], v[211:212], 1.0
	v_fma_f64 v[211:212], v[211:212], v[213:214], v[211:212]
	s_delay_alu instid0(VALU_DEP_1) | instskip(NEXT) | instid1(VALU_DEP_1)
	v_fma_f64 v[213:214], -v[209:210], v[211:212], 1.0
	v_fma_f64 v[211:212], v[211:212], v[213:214], v[211:212]
	s_delay_alu instid0(VALU_DEP_1) | instskip(NEXT) | instid1(VALU_DEP_1)
	v_mul_f64 v[213:214], v[215:216], v[211:212]
	v_fma_f64 v[209:210], -v[209:210], v[213:214], v[215:216]
	s_delay_alu instid0(VALU_DEP_1) | instskip(NEXT) | instid1(VALU_DEP_1)
	v_div_fmas_f64 v[209:210], v[209:210], v[211:212], v[213:214]
	v_div_fixup_f64 v[209:210], v[209:210], v[194:195], v[192:193]
	s_delay_alu instid0(VALU_DEP_1) | instskip(NEXT) | instid1(VALU_DEP_1)
	v_fma_f64 v[192:193], v[192:193], v[209:210], v[194:195]
	v_div_scale_f64 v[194:195], null, v[192:193], v[192:193], 1.0
	s_delay_alu instid0(VALU_DEP_1) | instskip(SKIP_2) | instid1(VALU_DEP_1)
	v_rcp_f64_e32 v[211:212], v[194:195]
	s_waitcnt_depctr 0xfff
	v_fma_f64 v[213:214], -v[194:195], v[211:212], 1.0
	v_fma_f64 v[211:212], v[211:212], v[213:214], v[211:212]
	s_delay_alu instid0(VALU_DEP_1) | instskip(NEXT) | instid1(VALU_DEP_1)
	v_fma_f64 v[213:214], -v[194:195], v[211:212], 1.0
	v_fma_f64 v[211:212], v[211:212], v[213:214], v[211:212]
	v_div_scale_f64 v[213:214], vcc_lo, 1.0, v[192:193], 1.0
	s_delay_alu instid0(VALU_DEP_1) | instskip(NEXT) | instid1(VALU_DEP_1)
	v_mul_f64 v[215:216], v[213:214], v[211:212]
	v_fma_f64 v[194:195], -v[194:195], v[215:216], v[213:214]
	s_delay_alu instid0(VALU_DEP_1) | instskip(NEXT) | instid1(VALU_DEP_1)
	v_div_fmas_f64 v[194:195], v[194:195], v[211:212], v[215:216]
	v_div_fixup_f64 v[194:195], v[194:195], v[192:193], 1.0
	s_delay_alu instid0(VALU_DEP_1)
	v_mul_f64 v[192:193], v[209:210], v[194:195]
	v_xor_b32_e32 v195, 0x80000000, v195
.LBB94_742:
	s_and_not1_saveexec_b32 s2, s2
	s_cbranch_execz .LBB94_744
; %bb.743:
	s_delay_alu instid0(VALU_DEP_1) | instskip(SKIP_1) | instid1(VALU_DEP_2)
	v_div_scale_f64 v[209:210], null, v[192:193], v[192:193], v[194:195]
	v_div_scale_f64 v[215:216], vcc_lo, v[194:195], v[192:193], v[194:195]
	v_rcp_f64_e32 v[211:212], v[209:210]
	s_waitcnt_depctr 0xfff
	v_fma_f64 v[213:214], -v[209:210], v[211:212], 1.0
	s_delay_alu instid0(VALU_DEP_1) | instskip(NEXT) | instid1(VALU_DEP_1)
	v_fma_f64 v[211:212], v[211:212], v[213:214], v[211:212]
	v_fma_f64 v[213:214], -v[209:210], v[211:212], 1.0
	s_delay_alu instid0(VALU_DEP_1) | instskip(NEXT) | instid1(VALU_DEP_1)
	v_fma_f64 v[211:212], v[211:212], v[213:214], v[211:212]
	v_mul_f64 v[213:214], v[215:216], v[211:212]
	s_delay_alu instid0(VALU_DEP_1) | instskip(NEXT) | instid1(VALU_DEP_1)
	v_fma_f64 v[209:210], -v[209:210], v[213:214], v[215:216]
	v_div_fmas_f64 v[209:210], v[209:210], v[211:212], v[213:214]
	s_delay_alu instid0(VALU_DEP_1) | instskip(NEXT) | instid1(VALU_DEP_1)
	v_div_fixup_f64 v[209:210], v[209:210], v[192:193], v[194:195]
	v_fma_f64 v[192:193], v[194:195], v[209:210], v[192:193]
	s_delay_alu instid0(VALU_DEP_1) | instskip(NEXT) | instid1(VALU_DEP_1)
	v_div_scale_f64 v[194:195], null, v[192:193], v[192:193], 1.0
	v_rcp_f64_e32 v[211:212], v[194:195]
	s_waitcnt_depctr 0xfff
	v_fma_f64 v[213:214], -v[194:195], v[211:212], 1.0
	s_delay_alu instid0(VALU_DEP_1) | instskip(NEXT) | instid1(VALU_DEP_1)
	v_fma_f64 v[211:212], v[211:212], v[213:214], v[211:212]
	v_fma_f64 v[213:214], -v[194:195], v[211:212], 1.0
	s_delay_alu instid0(VALU_DEP_1) | instskip(SKIP_1) | instid1(VALU_DEP_1)
	v_fma_f64 v[211:212], v[211:212], v[213:214], v[211:212]
	v_div_scale_f64 v[213:214], vcc_lo, 1.0, v[192:193], 1.0
	v_mul_f64 v[215:216], v[213:214], v[211:212]
	s_delay_alu instid0(VALU_DEP_1) | instskip(NEXT) | instid1(VALU_DEP_1)
	v_fma_f64 v[194:195], -v[194:195], v[215:216], v[213:214]
	v_div_fmas_f64 v[194:195], v[194:195], v[211:212], v[215:216]
	s_delay_alu instid0(VALU_DEP_1) | instskip(NEXT) | instid1(VALU_DEP_1)
	v_div_fixup_f64 v[192:193], v[194:195], v[192:193], 1.0
	v_mul_f64 v[194:195], v[209:210], -v[192:193]
.LBB94_744:
	s_or_b32 exec_lo, exec_lo, s2
.LBB94_745:
	s_delay_alu instid0(SALU_CYCLE_1) | instskip(NEXT) | instid1(SALU_CYCLE_1)
	s_or_b32 exec_lo, exec_lo, s3
	s_mov_b32 s2, exec_lo
	v_cmpx_ne_u32_e64 v208, v200
	s_xor_b32 s2, exec_lo, s2
	s_cbranch_execz .LBB94_751
; %bb.746:
	s_mov_b32 s3, exec_lo
	v_cmpx_eq_u32_e32 35, v208
	s_cbranch_execz .LBB94_750
; %bb.747:
	v_cmp_ne_u32_e32 vcc_lo, 35, v200
	s_xor_b32 s6, s4, -1
	s_delay_alu instid0(SALU_CYCLE_1) | instskip(NEXT) | instid1(SALU_CYCLE_1)
	s_and_b32 s7, s6, vcc_lo
	s_and_saveexec_b32 s6, s7
	s_cbranch_execz .LBB94_749
; %bb.748:
	v_ashrrev_i32_e32 v201, 31, v200
	s_delay_alu instid0(VALU_DEP_1) | instskip(NEXT) | instid1(VALU_DEP_1)
	v_lshlrev_b64 v[208:209], 2, v[200:201]
	v_add_co_u32 v208, vcc_lo, v198, v208
	s_delay_alu instid0(VALU_DEP_2)
	v_add_co_ci_u32_e32 v209, vcc_lo, v199, v209, vcc_lo
	s_clause 0x1
	flat_load_b32 v201, v[208:209]
	flat_load_b32 v206, v[198:199] offset:140
	s_waitcnt vmcnt(1) lgkmcnt(1)
	flat_store_b32 v[198:199], v201 offset:140
	s_waitcnt vmcnt(0) lgkmcnt(1)
	flat_store_b32 v[208:209], v206
.LBB94_749:
	s_or_b32 exec_lo, exec_lo, s6
	v_mov_b32_e32 v208, v200
	v_mov_b32_e32 v206, v200
.LBB94_750:
	s_or_b32 exec_lo, exec_lo, s3
.LBB94_751:
	s_and_not1_saveexec_b32 s2, s2
	s_cbranch_execz .LBB94_753
; %bb.752:
	v_mov_b32_e32 v208, 35
	ds_store_2addr_b64 v202, v[44:45], v[46:47] offset0:72 offset1:73
	ds_store_2addr_b64 v202, v[40:41], v[42:43] offset0:74 offset1:75
	;; [unrolled: 1-line block ×12, first 2 shown]
.LBB94_753:
	s_or_b32 exec_lo, exec_lo, s2
	s_delay_alu instid0(SALU_CYCLE_1)
	s_mov_b32 s2, exec_lo
	s_waitcnt lgkmcnt(0)
	s_waitcnt_vscnt null, 0x0
	s_barrier
	buffer_gl0_inv
	v_cmpx_lt_i32_e32 35, v208
	s_cbranch_execz .LBB94_755
; %bb.754:
	v_mul_f64 v[200:201], v[192:193], v[50:51]
	v_mul_f64 v[50:51], v[194:195], v[50:51]
	s_delay_alu instid0(VALU_DEP_2) | instskip(NEXT) | instid1(VALU_DEP_2)
	v_fma_f64 v[200:201], v[194:195], v[48:49], v[200:201]
	v_fma_f64 v[48:49], v[192:193], v[48:49], -v[50:51]
	ds_load_2addr_b64 v[192:195], v202 offset0:72 offset1:73
	s_waitcnt lgkmcnt(0)
	v_mul_f64 v[50:51], v[194:195], v[200:201]
	s_delay_alu instid0(VALU_DEP_1) | instskip(SKIP_1) | instid1(VALU_DEP_2)
	v_fma_f64 v[50:51], v[192:193], v[48:49], -v[50:51]
	v_mul_f64 v[192:193], v[192:193], v[200:201]
	v_add_f64 v[44:45], v[44:45], -v[50:51]
	s_delay_alu instid0(VALU_DEP_2) | instskip(NEXT) | instid1(VALU_DEP_1)
	v_fma_f64 v[192:193], v[194:195], v[48:49], v[192:193]
	v_add_f64 v[46:47], v[46:47], -v[192:193]
	ds_load_2addr_b64 v[192:195], v202 offset0:74 offset1:75
	s_waitcnt lgkmcnt(0)
	v_mul_f64 v[50:51], v[194:195], v[200:201]
	s_delay_alu instid0(VALU_DEP_1) | instskip(SKIP_1) | instid1(VALU_DEP_2)
	v_fma_f64 v[50:51], v[192:193], v[48:49], -v[50:51]
	v_mul_f64 v[192:193], v[192:193], v[200:201]
	v_add_f64 v[40:41], v[40:41], -v[50:51]
	s_delay_alu instid0(VALU_DEP_2) | instskip(NEXT) | instid1(VALU_DEP_1)
	v_fma_f64 v[192:193], v[194:195], v[48:49], v[192:193]
	v_add_f64 v[42:43], v[42:43], -v[192:193]
	;; [unrolled: 10-line block ×11, first 2 shown]
	ds_load_2addr_b64 v[192:195], v202 offset0:94 offset1:95
	s_waitcnt lgkmcnt(0)
	v_mul_f64 v[50:51], v[194:195], v[200:201]
	s_delay_alu instid0(VALU_DEP_1) | instskip(SKIP_1) | instid1(VALU_DEP_2)
	v_fma_f64 v[50:51], v[192:193], v[48:49], -v[50:51]
	v_mul_f64 v[192:193], v[192:193], v[200:201]
	v_add_f64 v[0:1], v[0:1], -v[50:51]
	s_delay_alu instid0(VALU_DEP_2) | instskip(SKIP_1) | instid1(VALU_DEP_2)
	v_fma_f64 v[192:193], v[194:195], v[48:49], v[192:193]
	v_dual_mov_b32 v50, v200 :: v_dual_mov_b32 v51, v201
	v_add_f64 v[2:3], v[2:3], -v[192:193]
.LBB94_755:
	s_or_b32 exec_lo, exec_lo, s2
	v_lshl_add_u32 v192, v208, 4, v202
	s_barrier
	buffer_gl0_inv
	v_mov_b32_e32 v200, 36
	ds_store_2addr_b64 v192, v[44:45], v[46:47] offset1:1
	s_waitcnt lgkmcnt(0)
	s_barrier
	buffer_gl0_inv
	ds_load_2addr_b64 v[192:195], v202 offset0:72 offset1:73
	s_cmp_lt_i32 s5, 38
	s_cbranch_scc1 .LBB94_758
; %bb.756:
	v_add3_u32 v201, v207, 0, 0x250
	v_mov_b32_e32 v200, 36
	s_mov_b32 s6, 37
	s_set_inst_prefetch_distance 0x1
	.p2align	6
.LBB94_757:                             ; =>This Inner Loop Header: Depth=1
	ds_load_2addr_b64 v[209:212], v201 offset1:1
	s_waitcnt lgkmcnt(1)
	v_cmp_gt_f64_e32 vcc_lo, 0, v[192:193]
	v_xor_b32_e32 v213, 0x80000000, v193
	v_cmp_gt_f64_e64 s2, 0, v[194:195]
	v_xor_b32_e32 v215, 0x80000000, v195
	v_add_nc_u32_e32 v201, 16, v201
	s_waitcnt lgkmcnt(0)
	v_cmp_gt_f64_e64 s3, 0, v[209:210]
	v_mov_b32_e32 v217, v209
	v_dual_mov_b32 v219, v211 :: v_dual_cndmask_b32 v214, v193, v213
	v_xor_b32_e32 v213, 0x80000000, v210
	v_cndmask_b32_e64 v216, v195, v215, s2
	v_xor_b32_e32 v215, 0x80000000, v212
	s_delay_alu instid0(VALU_DEP_3) | instskip(SKIP_2) | instid1(VALU_DEP_2)
	v_cndmask_b32_e64 v218, v210, v213, s3
	v_cmp_gt_f64_e64 s3, 0, v[211:212]
	v_cndmask_b32_e32 v213, v192, v192, vcc_lo
	v_cndmask_b32_e64 v220, v212, v215, s3
	v_cndmask_b32_e64 v215, v194, v194, s2
	s_delay_alu instid0(VALU_DEP_2) | instskip(NEXT) | instid1(VALU_DEP_2)
	v_add_f64 v[217:218], v[217:218], v[219:220]
	v_add_f64 v[213:214], v[213:214], v[215:216]
	s_delay_alu instid0(VALU_DEP_1) | instskip(SKIP_4) | instid1(SALU_CYCLE_1)
	v_cmp_lt_f64_e32 vcc_lo, v[213:214], v[217:218]
	v_dual_cndmask_b32 v194, v194, v211 :: v_dual_cndmask_b32 v193, v193, v210
	v_dual_cndmask_b32 v192, v192, v209 :: v_dual_cndmask_b32 v195, v195, v212
	v_cndmask_b32_e64 v200, v200, s6, vcc_lo
	s_add_i32 s6, s6, 1
	s_cmp_lg_u32 s5, s6
	s_cbranch_scc1 .LBB94_757
.LBB94_758:
	s_set_inst_prefetch_distance 0x2
	s_waitcnt lgkmcnt(0)
	v_cmp_eq_f64_e32 vcc_lo, 0, v[192:193]
	v_cmp_eq_f64_e64 s2, 0, v[194:195]
	s_delay_alu instid0(VALU_DEP_1) | instskip(NEXT) | instid1(SALU_CYCLE_1)
	s_and_b32 s2, vcc_lo, s2
	s_and_saveexec_b32 s3, s2
	s_delay_alu instid0(SALU_CYCLE_1)
	s_xor_b32 s2, exec_lo, s3
; %bb.759:
	v_cmp_ne_u32_e32 vcc_lo, 0, v205
	v_cndmask_b32_e32 v205, 37, v205, vcc_lo
; %bb.760:
	s_and_not1_saveexec_b32 s3, s2
	s_cbranch_execz .LBB94_766
; %bb.761:
	v_cmp_gt_f64_e32 vcc_lo, 0, v[192:193]
	v_cmp_gt_f64_e64 s2, 0, v[194:195]
	v_xor_b32_e32 v201, 0x80000000, v193
	v_xor_b32_e32 v209, 0x80000000, v195
	s_delay_alu instid0(VALU_DEP_2) | instskip(NEXT) | instid1(VALU_DEP_2)
	v_cndmask_b32_e32 v210, v193, v201, vcc_lo
	v_cndmask_b32_e64 v212, v195, v209, s2
	v_cndmask_b32_e32 v209, v192, v192, vcc_lo
	v_cndmask_b32_e64 v211, v194, v194, s2
	s_mov_b32 s2, exec_lo
	s_delay_alu instid0(VALU_DEP_1)
	v_cmpx_ngt_f64_e32 v[209:210], v[211:212]
	s_xor_b32 s2, exec_lo, s2
	s_cbranch_execz .LBB94_763
; %bb.762:
	v_div_scale_f64 v[209:210], null, v[194:195], v[194:195], v[192:193]
	v_div_scale_f64 v[215:216], vcc_lo, v[192:193], v[194:195], v[192:193]
	s_delay_alu instid0(VALU_DEP_2) | instskip(SKIP_2) | instid1(VALU_DEP_1)
	v_rcp_f64_e32 v[211:212], v[209:210]
	s_waitcnt_depctr 0xfff
	v_fma_f64 v[213:214], -v[209:210], v[211:212], 1.0
	v_fma_f64 v[211:212], v[211:212], v[213:214], v[211:212]
	s_delay_alu instid0(VALU_DEP_1) | instskip(NEXT) | instid1(VALU_DEP_1)
	v_fma_f64 v[213:214], -v[209:210], v[211:212], 1.0
	v_fma_f64 v[211:212], v[211:212], v[213:214], v[211:212]
	s_delay_alu instid0(VALU_DEP_1) | instskip(NEXT) | instid1(VALU_DEP_1)
	v_mul_f64 v[213:214], v[215:216], v[211:212]
	v_fma_f64 v[209:210], -v[209:210], v[213:214], v[215:216]
	s_delay_alu instid0(VALU_DEP_1) | instskip(NEXT) | instid1(VALU_DEP_1)
	v_div_fmas_f64 v[209:210], v[209:210], v[211:212], v[213:214]
	v_div_fixup_f64 v[209:210], v[209:210], v[194:195], v[192:193]
	s_delay_alu instid0(VALU_DEP_1) | instskip(NEXT) | instid1(VALU_DEP_1)
	v_fma_f64 v[192:193], v[192:193], v[209:210], v[194:195]
	v_div_scale_f64 v[194:195], null, v[192:193], v[192:193], 1.0
	s_delay_alu instid0(VALU_DEP_1) | instskip(SKIP_2) | instid1(VALU_DEP_1)
	v_rcp_f64_e32 v[211:212], v[194:195]
	s_waitcnt_depctr 0xfff
	v_fma_f64 v[213:214], -v[194:195], v[211:212], 1.0
	v_fma_f64 v[211:212], v[211:212], v[213:214], v[211:212]
	s_delay_alu instid0(VALU_DEP_1) | instskip(NEXT) | instid1(VALU_DEP_1)
	v_fma_f64 v[213:214], -v[194:195], v[211:212], 1.0
	v_fma_f64 v[211:212], v[211:212], v[213:214], v[211:212]
	v_div_scale_f64 v[213:214], vcc_lo, 1.0, v[192:193], 1.0
	s_delay_alu instid0(VALU_DEP_1) | instskip(NEXT) | instid1(VALU_DEP_1)
	v_mul_f64 v[215:216], v[213:214], v[211:212]
	v_fma_f64 v[194:195], -v[194:195], v[215:216], v[213:214]
	s_delay_alu instid0(VALU_DEP_1) | instskip(NEXT) | instid1(VALU_DEP_1)
	v_div_fmas_f64 v[194:195], v[194:195], v[211:212], v[215:216]
	v_div_fixup_f64 v[194:195], v[194:195], v[192:193], 1.0
	s_delay_alu instid0(VALU_DEP_1)
	v_mul_f64 v[192:193], v[209:210], v[194:195]
	v_xor_b32_e32 v195, 0x80000000, v195
.LBB94_763:
	s_and_not1_saveexec_b32 s2, s2
	s_cbranch_execz .LBB94_765
; %bb.764:
	s_delay_alu instid0(VALU_DEP_1) | instskip(SKIP_1) | instid1(VALU_DEP_2)
	v_div_scale_f64 v[209:210], null, v[192:193], v[192:193], v[194:195]
	v_div_scale_f64 v[215:216], vcc_lo, v[194:195], v[192:193], v[194:195]
	v_rcp_f64_e32 v[211:212], v[209:210]
	s_waitcnt_depctr 0xfff
	v_fma_f64 v[213:214], -v[209:210], v[211:212], 1.0
	s_delay_alu instid0(VALU_DEP_1) | instskip(NEXT) | instid1(VALU_DEP_1)
	v_fma_f64 v[211:212], v[211:212], v[213:214], v[211:212]
	v_fma_f64 v[213:214], -v[209:210], v[211:212], 1.0
	s_delay_alu instid0(VALU_DEP_1) | instskip(NEXT) | instid1(VALU_DEP_1)
	v_fma_f64 v[211:212], v[211:212], v[213:214], v[211:212]
	v_mul_f64 v[213:214], v[215:216], v[211:212]
	s_delay_alu instid0(VALU_DEP_1) | instskip(NEXT) | instid1(VALU_DEP_1)
	v_fma_f64 v[209:210], -v[209:210], v[213:214], v[215:216]
	v_div_fmas_f64 v[209:210], v[209:210], v[211:212], v[213:214]
	s_delay_alu instid0(VALU_DEP_1) | instskip(NEXT) | instid1(VALU_DEP_1)
	v_div_fixup_f64 v[209:210], v[209:210], v[192:193], v[194:195]
	v_fma_f64 v[192:193], v[194:195], v[209:210], v[192:193]
	s_delay_alu instid0(VALU_DEP_1) | instskip(NEXT) | instid1(VALU_DEP_1)
	v_div_scale_f64 v[194:195], null, v[192:193], v[192:193], 1.0
	v_rcp_f64_e32 v[211:212], v[194:195]
	s_waitcnt_depctr 0xfff
	v_fma_f64 v[213:214], -v[194:195], v[211:212], 1.0
	s_delay_alu instid0(VALU_DEP_1) | instskip(NEXT) | instid1(VALU_DEP_1)
	v_fma_f64 v[211:212], v[211:212], v[213:214], v[211:212]
	v_fma_f64 v[213:214], -v[194:195], v[211:212], 1.0
	s_delay_alu instid0(VALU_DEP_1) | instskip(SKIP_1) | instid1(VALU_DEP_1)
	v_fma_f64 v[211:212], v[211:212], v[213:214], v[211:212]
	v_div_scale_f64 v[213:214], vcc_lo, 1.0, v[192:193], 1.0
	v_mul_f64 v[215:216], v[213:214], v[211:212]
	s_delay_alu instid0(VALU_DEP_1) | instskip(NEXT) | instid1(VALU_DEP_1)
	v_fma_f64 v[194:195], -v[194:195], v[215:216], v[213:214]
	v_div_fmas_f64 v[194:195], v[194:195], v[211:212], v[215:216]
	s_delay_alu instid0(VALU_DEP_1) | instskip(NEXT) | instid1(VALU_DEP_1)
	v_div_fixup_f64 v[192:193], v[194:195], v[192:193], 1.0
	v_mul_f64 v[194:195], v[209:210], -v[192:193]
.LBB94_765:
	s_or_b32 exec_lo, exec_lo, s2
.LBB94_766:
	s_delay_alu instid0(SALU_CYCLE_1) | instskip(NEXT) | instid1(SALU_CYCLE_1)
	s_or_b32 exec_lo, exec_lo, s3
	s_mov_b32 s2, exec_lo
	v_cmpx_ne_u32_e64 v208, v200
	s_xor_b32 s2, exec_lo, s2
	s_cbranch_execz .LBB94_772
; %bb.767:
	s_mov_b32 s3, exec_lo
	v_cmpx_eq_u32_e32 36, v208
	s_cbranch_execz .LBB94_771
; %bb.768:
	v_cmp_ne_u32_e32 vcc_lo, 36, v200
	s_xor_b32 s6, s4, -1
	s_delay_alu instid0(SALU_CYCLE_1) | instskip(NEXT) | instid1(SALU_CYCLE_1)
	s_and_b32 s7, s6, vcc_lo
	s_and_saveexec_b32 s6, s7
	s_cbranch_execz .LBB94_770
; %bb.769:
	v_ashrrev_i32_e32 v201, 31, v200
	s_delay_alu instid0(VALU_DEP_1) | instskip(NEXT) | instid1(VALU_DEP_1)
	v_lshlrev_b64 v[208:209], 2, v[200:201]
	v_add_co_u32 v208, vcc_lo, v198, v208
	s_delay_alu instid0(VALU_DEP_2)
	v_add_co_ci_u32_e32 v209, vcc_lo, v199, v209, vcc_lo
	s_clause 0x1
	flat_load_b32 v201, v[208:209]
	flat_load_b32 v206, v[198:199] offset:144
	s_waitcnt vmcnt(1) lgkmcnt(1)
	flat_store_b32 v[198:199], v201 offset:144
	s_waitcnt vmcnt(0) lgkmcnt(1)
	flat_store_b32 v[208:209], v206
.LBB94_770:
	s_or_b32 exec_lo, exec_lo, s6
	v_mov_b32_e32 v208, v200
	v_mov_b32_e32 v206, v200
.LBB94_771:
	s_or_b32 exec_lo, exec_lo, s3
.LBB94_772:
	s_and_not1_saveexec_b32 s2, s2
	s_cbranch_execz .LBB94_774
; %bb.773:
	v_mov_b32_e32 v208, 36
	ds_store_2addr_b64 v202, v[40:41], v[42:43] offset0:74 offset1:75
	ds_store_2addr_b64 v202, v[36:37], v[38:39] offset0:76 offset1:77
	;; [unrolled: 1-line block ×11, first 2 shown]
.LBB94_774:
	s_or_b32 exec_lo, exec_lo, s2
	s_delay_alu instid0(SALU_CYCLE_1)
	s_mov_b32 s2, exec_lo
	s_waitcnt lgkmcnt(0)
	s_waitcnt_vscnt null, 0x0
	s_barrier
	buffer_gl0_inv
	v_cmpx_lt_i32_e32 36, v208
	s_cbranch_execz .LBB94_776
; %bb.775:
	v_mul_f64 v[200:201], v[192:193], v[46:47]
	v_mul_f64 v[46:47], v[194:195], v[46:47]
	s_delay_alu instid0(VALU_DEP_2) | instskip(NEXT) | instid1(VALU_DEP_2)
	v_fma_f64 v[200:201], v[194:195], v[44:45], v[200:201]
	v_fma_f64 v[44:45], v[192:193], v[44:45], -v[46:47]
	ds_load_2addr_b64 v[192:195], v202 offset0:74 offset1:75
	s_waitcnt lgkmcnt(0)
	v_mul_f64 v[46:47], v[194:195], v[200:201]
	s_delay_alu instid0(VALU_DEP_1) | instskip(SKIP_1) | instid1(VALU_DEP_2)
	v_fma_f64 v[46:47], v[192:193], v[44:45], -v[46:47]
	v_mul_f64 v[192:193], v[192:193], v[200:201]
	v_add_f64 v[40:41], v[40:41], -v[46:47]
	s_delay_alu instid0(VALU_DEP_2) | instskip(NEXT) | instid1(VALU_DEP_1)
	v_fma_f64 v[192:193], v[194:195], v[44:45], v[192:193]
	v_add_f64 v[42:43], v[42:43], -v[192:193]
	ds_load_2addr_b64 v[192:195], v202 offset0:76 offset1:77
	s_waitcnt lgkmcnt(0)
	v_mul_f64 v[46:47], v[194:195], v[200:201]
	s_delay_alu instid0(VALU_DEP_1) | instskip(SKIP_1) | instid1(VALU_DEP_2)
	v_fma_f64 v[46:47], v[192:193], v[44:45], -v[46:47]
	v_mul_f64 v[192:193], v[192:193], v[200:201]
	v_add_f64 v[36:37], v[36:37], -v[46:47]
	s_delay_alu instid0(VALU_DEP_2) | instskip(NEXT) | instid1(VALU_DEP_1)
	v_fma_f64 v[192:193], v[194:195], v[44:45], v[192:193]
	v_add_f64 v[38:39], v[38:39], -v[192:193]
	;; [unrolled: 10-line block ×10, first 2 shown]
	ds_load_2addr_b64 v[192:195], v202 offset0:94 offset1:95
	s_waitcnt lgkmcnt(0)
	v_mul_f64 v[46:47], v[194:195], v[200:201]
	s_delay_alu instid0(VALU_DEP_1) | instskip(SKIP_1) | instid1(VALU_DEP_2)
	v_fma_f64 v[46:47], v[192:193], v[44:45], -v[46:47]
	v_mul_f64 v[192:193], v[192:193], v[200:201]
	v_add_f64 v[0:1], v[0:1], -v[46:47]
	s_delay_alu instid0(VALU_DEP_2) | instskip(SKIP_1) | instid1(VALU_DEP_2)
	v_fma_f64 v[192:193], v[194:195], v[44:45], v[192:193]
	v_dual_mov_b32 v46, v200 :: v_dual_mov_b32 v47, v201
	v_add_f64 v[2:3], v[2:3], -v[192:193]
.LBB94_776:
	s_or_b32 exec_lo, exec_lo, s2
	v_lshl_add_u32 v192, v208, 4, v202
	s_barrier
	buffer_gl0_inv
	v_mov_b32_e32 v200, 37
	ds_store_2addr_b64 v192, v[40:41], v[42:43] offset1:1
	s_waitcnt lgkmcnt(0)
	s_barrier
	buffer_gl0_inv
	ds_load_2addr_b64 v[192:195], v202 offset0:74 offset1:75
	s_cmp_lt_i32 s5, 39
	s_cbranch_scc1 .LBB94_779
; %bb.777:
	v_add3_u32 v201, v207, 0, 0x260
	v_mov_b32_e32 v200, 37
	s_mov_b32 s6, 38
	s_set_inst_prefetch_distance 0x1
	.p2align	6
.LBB94_778:                             ; =>This Inner Loop Header: Depth=1
	ds_load_2addr_b64 v[209:212], v201 offset1:1
	s_waitcnt lgkmcnt(1)
	v_cmp_gt_f64_e32 vcc_lo, 0, v[192:193]
	v_xor_b32_e32 v213, 0x80000000, v193
	v_cmp_gt_f64_e64 s2, 0, v[194:195]
	v_xor_b32_e32 v215, 0x80000000, v195
	v_add_nc_u32_e32 v201, 16, v201
	s_waitcnt lgkmcnt(0)
	v_cmp_gt_f64_e64 s3, 0, v[209:210]
	v_mov_b32_e32 v217, v209
	v_dual_mov_b32 v219, v211 :: v_dual_cndmask_b32 v214, v193, v213
	v_xor_b32_e32 v213, 0x80000000, v210
	v_cndmask_b32_e64 v216, v195, v215, s2
	v_xor_b32_e32 v215, 0x80000000, v212
	s_delay_alu instid0(VALU_DEP_3) | instskip(SKIP_2) | instid1(VALU_DEP_2)
	v_cndmask_b32_e64 v218, v210, v213, s3
	v_cmp_gt_f64_e64 s3, 0, v[211:212]
	v_cndmask_b32_e32 v213, v192, v192, vcc_lo
	v_cndmask_b32_e64 v220, v212, v215, s3
	v_cndmask_b32_e64 v215, v194, v194, s2
	s_delay_alu instid0(VALU_DEP_2) | instskip(NEXT) | instid1(VALU_DEP_2)
	v_add_f64 v[217:218], v[217:218], v[219:220]
	v_add_f64 v[213:214], v[213:214], v[215:216]
	s_delay_alu instid0(VALU_DEP_1) | instskip(SKIP_4) | instid1(SALU_CYCLE_1)
	v_cmp_lt_f64_e32 vcc_lo, v[213:214], v[217:218]
	v_dual_cndmask_b32 v194, v194, v211 :: v_dual_cndmask_b32 v193, v193, v210
	v_dual_cndmask_b32 v192, v192, v209 :: v_dual_cndmask_b32 v195, v195, v212
	v_cndmask_b32_e64 v200, v200, s6, vcc_lo
	s_add_i32 s6, s6, 1
	s_cmp_lg_u32 s5, s6
	s_cbranch_scc1 .LBB94_778
.LBB94_779:
	s_set_inst_prefetch_distance 0x2
	s_waitcnt lgkmcnt(0)
	v_cmp_eq_f64_e32 vcc_lo, 0, v[192:193]
	v_cmp_eq_f64_e64 s2, 0, v[194:195]
	s_delay_alu instid0(VALU_DEP_1) | instskip(NEXT) | instid1(SALU_CYCLE_1)
	s_and_b32 s2, vcc_lo, s2
	s_and_saveexec_b32 s3, s2
	s_delay_alu instid0(SALU_CYCLE_1)
	s_xor_b32 s2, exec_lo, s3
; %bb.780:
	v_cmp_ne_u32_e32 vcc_lo, 0, v205
	v_cndmask_b32_e32 v205, 38, v205, vcc_lo
; %bb.781:
	s_and_not1_saveexec_b32 s3, s2
	s_cbranch_execz .LBB94_787
; %bb.782:
	v_cmp_gt_f64_e32 vcc_lo, 0, v[192:193]
	v_cmp_gt_f64_e64 s2, 0, v[194:195]
	v_xor_b32_e32 v201, 0x80000000, v193
	v_xor_b32_e32 v209, 0x80000000, v195
	s_delay_alu instid0(VALU_DEP_2) | instskip(NEXT) | instid1(VALU_DEP_2)
	v_cndmask_b32_e32 v210, v193, v201, vcc_lo
	v_cndmask_b32_e64 v212, v195, v209, s2
	v_cndmask_b32_e32 v209, v192, v192, vcc_lo
	v_cndmask_b32_e64 v211, v194, v194, s2
	s_mov_b32 s2, exec_lo
	s_delay_alu instid0(VALU_DEP_1)
	v_cmpx_ngt_f64_e32 v[209:210], v[211:212]
	s_xor_b32 s2, exec_lo, s2
	s_cbranch_execz .LBB94_784
; %bb.783:
	v_div_scale_f64 v[209:210], null, v[194:195], v[194:195], v[192:193]
	v_div_scale_f64 v[215:216], vcc_lo, v[192:193], v[194:195], v[192:193]
	s_delay_alu instid0(VALU_DEP_2) | instskip(SKIP_2) | instid1(VALU_DEP_1)
	v_rcp_f64_e32 v[211:212], v[209:210]
	s_waitcnt_depctr 0xfff
	v_fma_f64 v[213:214], -v[209:210], v[211:212], 1.0
	v_fma_f64 v[211:212], v[211:212], v[213:214], v[211:212]
	s_delay_alu instid0(VALU_DEP_1) | instskip(NEXT) | instid1(VALU_DEP_1)
	v_fma_f64 v[213:214], -v[209:210], v[211:212], 1.0
	v_fma_f64 v[211:212], v[211:212], v[213:214], v[211:212]
	s_delay_alu instid0(VALU_DEP_1) | instskip(NEXT) | instid1(VALU_DEP_1)
	v_mul_f64 v[213:214], v[215:216], v[211:212]
	v_fma_f64 v[209:210], -v[209:210], v[213:214], v[215:216]
	s_delay_alu instid0(VALU_DEP_1) | instskip(NEXT) | instid1(VALU_DEP_1)
	v_div_fmas_f64 v[209:210], v[209:210], v[211:212], v[213:214]
	v_div_fixup_f64 v[209:210], v[209:210], v[194:195], v[192:193]
	s_delay_alu instid0(VALU_DEP_1) | instskip(NEXT) | instid1(VALU_DEP_1)
	v_fma_f64 v[192:193], v[192:193], v[209:210], v[194:195]
	v_div_scale_f64 v[194:195], null, v[192:193], v[192:193], 1.0
	s_delay_alu instid0(VALU_DEP_1) | instskip(SKIP_2) | instid1(VALU_DEP_1)
	v_rcp_f64_e32 v[211:212], v[194:195]
	s_waitcnt_depctr 0xfff
	v_fma_f64 v[213:214], -v[194:195], v[211:212], 1.0
	v_fma_f64 v[211:212], v[211:212], v[213:214], v[211:212]
	s_delay_alu instid0(VALU_DEP_1) | instskip(NEXT) | instid1(VALU_DEP_1)
	v_fma_f64 v[213:214], -v[194:195], v[211:212], 1.0
	v_fma_f64 v[211:212], v[211:212], v[213:214], v[211:212]
	v_div_scale_f64 v[213:214], vcc_lo, 1.0, v[192:193], 1.0
	s_delay_alu instid0(VALU_DEP_1) | instskip(NEXT) | instid1(VALU_DEP_1)
	v_mul_f64 v[215:216], v[213:214], v[211:212]
	v_fma_f64 v[194:195], -v[194:195], v[215:216], v[213:214]
	s_delay_alu instid0(VALU_DEP_1) | instskip(NEXT) | instid1(VALU_DEP_1)
	v_div_fmas_f64 v[194:195], v[194:195], v[211:212], v[215:216]
	v_div_fixup_f64 v[194:195], v[194:195], v[192:193], 1.0
	s_delay_alu instid0(VALU_DEP_1)
	v_mul_f64 v[192:193], v[209:210], v[194:195]
	v_xor_b32_e32 v195, 0x80000000, v195
.LBB94_784:
	s_and_not1_saveexec_b32 s2, s2
	s_cbranch_execz .LBB94_786
; %bb.785:
	s_delay_alu instid0(VALU_DEP_1) | instskip(SKIP_1) | instid1(VALU_DEP_2)
	v_div_scale_f64 v[209:210], null, v[192:193], v[192:193], v[194:195]
	v_div_scale_f64 v[215:216], vcc_lo, v[194:195], v[192:193], v[194:195]
	v_rcp_f64_e32 v[211:212], v[209:210]
	s_waitcnt_depctr 0xfff
	v_fma_f64 v[213:214], -v[209:210], v[211:212], 1.0
	s_delay_alu instid0(VALU_DEP_1) | instskip(NEXT) | instid1(VALU_DEP_1)
	v_fma_f64 v[211:212], v[211:212], v[213:214], v[211:212]
	v_fma_f64 v[213:214], -v[209:210], v[211:212], 1.0
	s_delay_alu instid0(VALU_DEP_1) | instskip(NEXT) | instid1(VALU_DEP_1)
	v_fma_f64 v[211:212], v[211:212], v[213:214], v[211:212]
	v_mul_f64 v[213:214], v[215:216], v[211:212]
	s_delay_alu instid0(VALU_DEP_1) | instskip(NEXT) | instid1(VALU_DEP_1)
	v_fma_f64 v[209:210], -v[209:210], v[213:214], v[215:216]
	v_div_fmas_f64 v[209:210], v[209:210], v[211:212], v[213:214]
	s_delay_alu instid0(VALU_DEP_1) | instskip(NEXT) | instid1(VALU_DEP_1)
	v_div_fixup_f64 v[209:210], v[209:210], v[192:193], v[194:195]
	v_fma_f64 v[192:193], v[194:195], v[209:210], v[192:193]
	s_delay_alu instid0(VALU_DEP_1) | instskip(NEXT) | instid1(VALU_DEP_1)
	v_div_scale_f64 v[194:195], null, v[192:193], v[192:193], 1.0
	v_rcp_f64_e32 v[211:212], v[194:195]
	s_waitcnt_depctr 0xfff
	v_fma_f64 v[213:214], -v[194:195], v[211:212], 1.0
	s_delay_alu instid0(VALU_DEP_1) | instskip(NEXT) | instid1(VALU_DEP_1)
	v_fma_f64 v[211:212], v[211:212], v[213:214], v[211:212]
	v_fma_f64 v[213:214], -v[194:195], v[211:212], 1.0
	s_delay_alu instid0(VALU_DEP_1) | instskip(SKIP_1) | instid1(VALU_DEP_1)
	v_fma_f64 v[211:212], v[211:212], v[213:214], v[211:212]
	v_div_scale_f64 v[213:214], vcc_lo, 1.0, v[192:193], 1.0
	v_mul_f64 v[215:216], v[213:214], v[211:212]
	s_delay_alu instid0(VALU_DEP_1) | instskip(NEXT) | instid1(VALU_DEP_1)
	v_fma_f64 v[194:195], -v[194:195], v[215:216], v[213:214]
	v_div_fmas_f64 v[194:195], v[194:195], v[211:212], v[215:216]
	s_delay_alu instid0(VALU_DEP_1) | instskip(NEXT) | instid1(VALU_DEP_1)
	v_div_fixup_f64 v[192:193], v[194:195], v[192:193], 1.0
	v_mul_f64 v[194:195], v[209:210], -v[192:193]
.LBB94_786:
	s_or_b32 exec_lo, exec_lo, s2
.LBB94_787:
	s_delay_alu instid0(SALU_CYCLE_1) | instskip(NEXT) | instid1(SALU_CYCLE_1)
	s_or_b32 exec_lo, exec_lo, s3
	s_mov_b32 s2, exec_lo
	v_cmpx_ne_u32_e64 v208, v200
	s_xor_b32 s2, exec_lo, s2
	s_cbranch_execz .LBB94_793
; %bb.788:
	s_mov_b32 s3, exec_lo
	v_cmpx_eq_u32_e32 37, v208
	s_cbranch_execz .LBB94_792
; %bb.789:
	v_cmp_ne_u32_e32 vcc_lo, 37, v200
	s_xor_b32 s6, s4, -1
	s_delay_alu instid0(SALU_CYCLE_1) | instskip(NEXT) | instid1(SALU_CYCLE_1)
	s_and_b32 s7, s6, vcc_lo
	s_and_saveexec_b32 s6, s7
	s_cbranch_execz .LBB94_791
; %bb.790:
	v_ashrrev_i32_e32 v201, 31, v200
	s_delay_alu instid0(VALU_DEP_1) | instskip(NEXT) | instid1(VALU_DEP_1)
	v_lshlrev_b64 v[208:209], 2, v[200:201]
	v_add_co_u32 v208, vcc_lo, v198, v208
	s_delay_alu instid0(VALU_DEP_2)
	v_add_co_ci_u32_e32 v209, vcc_lo, v199, v209, vcc_lo
	s_clause 0x1
	flat_load_b32 v201, v[208:209]
	flat_load_b32 v206, v[198:199] offset:148
	s_waitcnt vmcnt(1) lgkmcnt(1)
	flat_store_b32 v[198:199], v201 offset:148
	s_waitcnt vmcnt(0) lgkmcnt(1)
	flat_store_b32 v[208:209], v206
.LBB94_791:
	s_or_b32 exec_lo, exec_lo, s6
	v_mov_b32_e32 v208, v200
	v_mov_b32_e32 v206, v200
.LBB94_792:
	s_or_b32 exec_lo, exec_lo, s3
.LBB94_793:
	s_and_not1_saveexec_b32 s2, s2
	s_cbranch_execz .LBB94_795
; %bb.794:
	v_mov_b32_e32 v208, 37
	ds_store_2addr_b64 v202, v[36:37], v[38:39] offset0:76 offset1:77
	ds_store_2addr_b64 v202, v[32:33], v[34:35] offset0:78 offset1:79
	ds_store_2addr_b64 v202, v[28:29], v[30:31] offset0:80 offset1:81
	ds_store_2addr_b64 v202, v[24:25], v[26:27] offset0:82 offset1:83
	ds_store_2addr_b64 v202, v[20:21], v[22:23] offset0:84 offset1:85
	ds_store_2addr_b64 v202, v[16:17], v[18:19] offset0:86 offset1:87
	ds_store_2addr_b64 v202, v[12:13], v[14:15] offset0:88 offset1:89
	ds_store_2addr_b64 v202, v[8:9], v[10:11] offset0:90 offset1:91
	ds_store_2addr_b64 v202, v[4:5], v[6:7] offset0:92 offset1:93
	ds_store_2addr_b64 v202, v[0:1], v[2:3] offset0:94 offset1:95
.LBB94_795:
	s_or_b32 exec_lo, exec_lo, s2
	s_delay_alu instid0(SALU_CYCLE_1)
	s_mov_b32 s2, exec_lo
	s_waitcnt lgkmcnt(0)
	s_waitcnt_vscnt null, 0x0
	s_barrier
	buffer_gl0_inv
	v_cmpx_lt_i32_e32 37, v208
	s_cbranch_execz .LBB94_797
; %bb.796:
	v_mul_f64 v[200:201], v[192:193], v[42:43]
	v_mul_f64 v[42:43], v[194:195], v[42:43]
	s_delay_alu instid0(VALU_DEP_2) | instskip(NEXT) | instid1(VALU_DEP_2)
	v_fma_f64 v[200:201], v[194:195], v[40:41], v[200:201]
	v_fma_f64 v[40:41], v[192:193], v[40:41], -v[42:43]
	ds_load_2addr_b64 v[192:195], v202 offset0:76 offset1:77
	s_waitcnt lgkmcnt(0)
	v_mul_f64 v[42:43], v[194:195], v[200:201]
	s_delay_alu instid0(VALU_DEP_1) | instskip(SKIP_1) | instid1(VALU_DEP_2)
	v_fma_f64 v[42:43], v[192:193], v[40:41], -v[42:43]
	v_mul_f64 v[192:193], v[192:193], v[200:201]
	v_add_f64 v[36:37], v[36:37], -v[42:43]
	s_delay_alu instid0(VALU_DEP_2) | instskip(NEXT) | instid1(VALU_DEP_1)
	v_fma_f64 v[192:193], v[194:195], v[40:41], v[192:193]
	v_add_f64 v[38:39], v[38:39], -v[192:193]
	ds_load_2addr_b64 v[192:195], v202 offset0:78 offset1:79
	s_waitcnt lgkmcnt(0)
	v_mul_f64 v[42:43], v[194:195], v[200:201]
	s_delay_alu instid0(VALU_DEP_1) | instskip(SKIP_1) | instid1(VALU_DEP_2)
	v_fma_f64 v[42:43], v[192:193], v[40:41], -v[42:43]
	v_mul_f64 v[192:193], v[192:193], v[200:201]
	v_add_f64 v[32:33], v[32:33], -v[42:43]
	s_delay_alu instid0(VALU_DEP_2) | instskip(NEXT) | instid1(VALU_DEP_1)
	v_fma_f64 v[192:193], v[194:195], v[40:41], v[192:193]
	v_add_f64 v[34:35], v[34:35], -v[192:193]
	;; [unrolled: 10-line block ×9, first 2 shown]
	ds_load_2addr_b64 v[192:195], v202 offset0:94 offset1:95
	s_waitcnt lgkmcnt(0)
	v_mul_f64 v[42:43], v[194:195], v[200:201]
	s_delay_alu instid0(VALU_DEP_1) | instskip(SKIP_1) | instid1(VALU_DEP_2)
	v_fma_f64 v[42:43], v[192:193], v[40:41], -v[42:43]
	v_mul_f64 v[192:193], v[192:193], v[200:201]
	v_add_f64 v[0:1], v[0:1], -v[42:43]
	s_delay_alu instid0(VALU_DEP_2) | instskip(SKIP_1) | instid1(VALU_DEP_2)
	v_fma_f64 v[192:193], v[194:195], v[40:41], v[192:193]
	v_dual_mov_b32 v42, v200 :: v_dual_mov_b32 v43, v201
	v_add_f64 v[2:3], v[2:3], -v[192:193]
.LBB94_797:
	s_or_b32 exec_lo, exec_lo, s2
	v_lshl_add_u32 v192, v208, 4, v202
	s_barrier
	buffer_gl0_inv
	v_mov_b32_e32 v200, 38
	ds_store_2addr_b64 v192, v[36:37], v[38:39] offset1:1
	s_waitcnt lgkmcnt(0)
	s_barrier
	buffer_gl0_inv
	ds_load_2addr_b64 v[192:195], v202 offset0:76 offset1:77
	s_cmp_lt_i32 s5, 40
	s_cbranch_scc1 .LBB94_800
; %bb.798:
	v_add3_u32 v201, v207, 0, 0x270
	v_mov_b32_e32 v200, 38
	s_mov_b32 s6, 39
	s_set_inst_prefetch_distance 0x1
	.p2align	6
.LBB94_799:                             ; =>This Inner Loop Header: Depth=1
	ds_load_2addr_b64 v[209:212], v201 offset1:1
	s_waitcnt lgkmcnt(1)
	v_cmp_gt_f64_e32 vcc_lo, 0, v[192:193]
	v_xor_b32_e32 v213, 0x80000000, v193
	v_cmp_gt_f64_e64 s2, 0, v[194:195]
	v_xor_b32_e32 v215, 0x80000000, v195
	v_add_nc_u32_e32 v201, 16, v201
	s_waitcnt lgkmcnt(0)
	v_cmp_gt_f64_e64 s3, 0, v[209:210]
	v_mov_b32_e32 v217, v209
	v_dual_mov_b32 v219, v211 :: v_dual_cndmask_b32 v214, v193, v213
	v_xor_b32_e32 v213, 0x80000000, v210
	v_cndmask_b32_e64 v216, v195, v215, s2
	v_xor_b32_e32 v215, 0x80000000, v212
	s_delay_alu instid0(VALU_DEP_3) | instskip(SKIP_2) | instid1(VALU_DEP_2)
	v_cndmask_b32_e64 v218, v210, v213, s3
	v_cmp_gt_f64_e64 s3, 0, v[211:212]
	v_cndmask_b32_e32 v213, v192, v192, vcc_lo
	v_cndmask_b32_e64 v220, v212, v215, s3
	v_cndmask_b32_e64 v215, v194, v194, s2
	s_delay_alu instid0(VALU_DEP_2) | instskip(NEXT) | instid1(VALU_DEP_2)
	v_add_f64 v[217:218], v[217:218], v[219:220]
	v_add_f64 v[213:214], v[213:214], v[215:216]
	s_delay_alu instid0(VALU_DEP_1) | instskip(SKIP_4) | instid1(SALU_CYCLE_1)
	v_cmp_lt_f64_e32 vcc_lo, v[213:214], v[217:218]
	v_dual_cndmask_b32 v194, v194, v211 :: v_dual_cndmask_b32 v193, v193, v210
	v_dual_cndmask_b32 v192, v192, v209 :: v_dual_cndmask_b32 v195, v195, v212
	v_cndmask_b32_e64 v200, v200, s6, vcc_lo
	s_add_i32 s6, s6, 1
	s_cmp_lg_u32 s5, s6
	s_cbranch_scc1 .LBB94_799
.LBB94_800:
	s_set_inst_prefetch_distance 0x2
	s_waitcnt lgkmcnt(0)
	v_cmp_eq_f64_e32 vcc_lo, 0, v[192:193]
	v_cmp_eq_f64_e64 s2, 0, v[194:195]
	s_delay_alu instid0(VALU_DEP_1) | instskip(NEXT) | instid1(SALU_CYCLE_1)
	s_and_b32 s2, vcc_lo, s2
	s_and_saveexec_b32 s3, s2
	s_delay_alu instid0(SALU_CYCLE_1)
	s_xor_b32 s2, exec_lo, s3
; %bb.801:
	v_cmp_ne_u32_e32 vcc_lo, 0, v205
	v_cndmask_b32_e32 v205, 39, v205, vcc_lo
; %bb.802:
	s_and_not1_saveexec_b32 s3, s2
	s_cbranch_execz .LBB94_808
; %bb.803:
	v_cmp_gt_f64_e32 vcc_lo, 0, v[192:193]
	v_cmp_gt_f64_e64 s2, 0, v[194:195]
	v_xor_b32_e32 v201, 0x80000000, v193
	v_xor_b32_e32 v209, 0x80000000, v195
	s_delay_alu instid0(VALU_DEP_2) | instskip(NEXT) | instid1(VALU_DEP_2)
	v_cndmask_b32_e32 v210, v193, v201, vcc_lo
	v_cndmask_b32_e64 v212, v195, v209, s2
	v_cndmask_b32_e32 v209, v192, v192, vcc_lo
	v_cndmask_b32_e64 v211, v194, v194, s2
	s_mov_b32 s2, exec_lo
	s_delay_alu instid0(VALU_DEP_1)
	v_cmpx_ngt_f64_e32 v[209:210], v[211:212]
	s_xor_b32 s2, exec_lo, s2
	s_cbranch_execz .LBB94_805
; %bb.804:
	v_div_scale_f64 v[209:210], null, v[194:195], v[194:195], v[192:193]
	v_div_scale_f64 v[215:216], vcc_lo, v[192:193], v[194:195], v[192:193]
	s_delay_alu instid0(VALU_DEP_2) | instskip(SKIP_2) | instid1(VALU_DEP_1)
	v_rcp_f64_e32 v[211:212], v[209:210]
	s_waitcnt_depctr 0xfff
	v_fma_f64 v[213:214], -v[209:210], v[211:212], 1.0
	v_fma_f64 v[211:212], v[211:212], v[213:214], v[211:212]
	s_delay_alu instid0(VALU_DEP_1) | instskip(NEXT) | instid1(VALU_DEP_1)
	v_fma_f64 v[213:214], -v[209:210], v[211:212], 1.0
	v_fma_f64 v[211:212], v[211:212], v[213:214], v[211:212]
	s_delay_alu instid0(VALU_DEP_1) | instskip(NEXT) | instid1(VALU_DEP_1)
	v_mul_f64 v[213:214], v[215:216], v[211:212]
	v_fma_f64 v[209:210], -v[209:210], v[213:214], v[215:216]
	s_delay_alu instid0(VALU_DEP_1) | instskip(NEXT) | instid1(VALU_DEP_1)
	v_div_fmas_f64 v[209:210], v[209:210], v[211:212], v[213:214]
	v_div_fixup_f64 v[209:210], v[209:210], v[194:195], v[192:193]
	s_delay_alu instid0(VALU_DEP_1) | instskip(NEXT) | instid1(VALU_DEP_1)
	v_fma_f64 v[192:193], v[192:193], v[209:210], v[194:195]
	v_div_scale_f64 v[194:195], null, v[192:193], v[192:193], 1.0
	s_delay_alu instid0(VALU_DEP_1) | instskip(SKIP_2) | instid1(VALU_DEP_1)
	v_rcp_f64_e32 v[211:212], v[194:195]
	s_waitcnt_depctr 0xfff
	v_fma_f64 v[213:214], -v[194:195], v[211:212], 1.0
	v_fma_f64 v[211:212], v[211:212], v[213:214], v[211:212]
	s_delay_alu instid0(VALU_DEP_1) | instskip(NEXT) | instid1(VALU_DEP_1)
	v_fma_f64 v[213:214], -v[194:195], v[211:212], 1.0
	v_fma_f64 v[211:212], v[211:212], v[213:214], v[211:212]
	v_div_scale_f64 v[213:214], vcc_lo, 1.0, v[192:193], 1.0
	s_delay_alu instid0(VALU_DEP_1) | instskip(NEXT) | instid1(VALU_DEP_1)
	v_mul_f64 v[215:216], v[213:214], v[211:212]
	v_fma_f64 v[194:195], -v[194:195], v[215:216], v[213:214]
	s_delay_alu instid0(VALU_DEP_1) | instskip(NEXT) | instid1(VALU_DEP_1)
	v_div_fmas_f64 v[194:195], v[194:195], v[211:212], v[215:216]
	v_div_fixup_f64 v[194:195], v[194:195], v[192:193], 1.0
	s_delay_alu instid0(VALU_DEP_1)
	v_mul_f64 v[192:193], v[209:210], v[194:195]
	v_xor_b32_e32 v195, 0x80000000, v195
.LBB94_805:
	s_and_not1_saveexec_b32 s2, s2
	s_cbranch_execz .LBB94_807
; %bb.806:
	s_delay_alu instid0(VALU_DEP_1) | instskip(SKIP_1) | instid1(VALU_DEP_2)
	v_div_scale_f64 v[209:210], null, v[192:193], v[192:193], v[194:195]
	v_div_scale_f64 v[215:216], vcc_lo, v[194:195], v[192:193], v[194:195]
	v_rcp_f64_e32 v[211:212], v[209:210]
	s_waitcnt_depctr 0xfff
	v_fma_f64 v[213:214], -v[209:210], v[211:212], 1.0
	s_delay_alu instid0(VALU_DEP_1) | instskip(NEXT) | instid1(VALU_DEP_1)
	v_fma_f64 v[211:212], v[211:212], v[213:214], v[211:212]
	v_fma_f64 v[213:214], -v[209:210], v[211:212], 1.0
	s_delay_alu instid0(VALU_DEP_1) | instskip(NEXT) | instid1(VALU_DEP_1)
	v_fma_f64 v[211:212], v[211:212], v[213:214], v[211:212]
	v_mul_f64 v[213:214], v[215:216], v[211:212]
	s_delay_alu instid0(VALU_DEP_1) | instskip(NEXT) | instid1(VALU_DEP_1)
	v_fma_f64 v[209:210], -v[209:210], v[213:214], v[215:216]
	v_div_fmas_f64 v[209:210], v[209:210], v[211:212], v[213:214]
	s_delay_alu instid0(VALU_DEP_1) | instskip(NEXT) | instid1(VALU_DEP_1)
	v_div_fixup_f64 v[209:210], v[209:210], v[192:193], v[194:195]
	v_fma_f64 v[192:193], v[194:195], v[209:210], v[192:193]
	s_delay_alu instid0(VALU_DEP_1) | instskip(NEXT) | instid1(VALU_DEP_1)
	v_div_scale_f64 v[194:195], null, v[192:193], v[192:193], 1.0
	v_rcp_f64_e32 v[211:212], v[194:195]
	s_waitcnt_depctr 0xfff
	v_fma_f64 v[213:214], -v[194:195], v[211:212], 1.0
	s_delay_alu instid0(VALU_DEP_1) | instskip(NEXT) | instid1(VALU_DEP_1)
	v_fma_f64 v[211:212], v[211:212], v[213:214], v[211:212]
	v_fma_f64 v[213:214], -v[194:195], v[211:212], 1.0
	s_delay_alu instid0(VALU_DEP_1) | instskip(SKIP_1) | instid1(VALU_DEP_1)
	v_fma_f64 v[211:212], v[211:212], v[213:214], v[211:212]
	v_div_scale_f64 v[213:214], vcc_lo, 1.0, v[192:193], 1.0
	v_mul_f64 v[215:216], v[213:214], v[211:212]
	s_delay_alu instid0(VALU_DEP_1) | instskip(NEXT) | instid1(VALU_DEP_1)
	v_fma_f64 v[194:195], -v[194:195], v[215:216], v[213:214]
	v_div_fmas_f64 v[194:195], v[194:195], v[211:212], v[215:216]
	s_delay_alu instid0(VALU_DEP_1) | instskip(NEXT) | instid1(VALU_DEP_1)
	v_div_fixup_f64 v[192:193], v[194:195], v[192:193], 1.0
	v_mul_f64 v[194:195], v[209:210], -v[192:193]
.LBB94_807:
	s_or_b32 exec_lo, exec_lo, s2
.LBB94_808:
	s_delay_alu instid0(SALU_CYCLE_1) | instskip(NEXT) | instid1(SALU_CYCLE_1)
	s_or_b32 exec_lo, exec_lo, s3
	s_mov_b32 s2, exec_lo
	v_cmpx_ne_u32_e64 v208, v200
	s_xor_b32 s2, exec_lo, s2
	s_cbranch_execz .LBB94_814
; %bb.809:
	s_mov_b32 s3, exec_lo
	v_cmpx_eq_u32_e32 38, v208
	s_cbranch_execz .LBB94_813
; %bb.810:
	v_cmp_ne_u32_e32 vcc_lo, 38, v200
	s_xor_b32 s6, s4, -1
	s_delay_alu instid0(SALU_CYCLE_1) | instskip(NEXT) | instid1(SALU_CYCLE_1)
	s_and_b32 s7, s6, vcc_lo
	s_and_saveexec_b32 s6, s7
	s_cbranch_execz .LBB94_812
; %bb.811:
	v_ashrrev_i32_e32 v201, 31, v200
	s_delay_alu instid0(VALU_DEP_1) | instskip(NEXT) | instid1(VALU_DEP_1)
	v_lshlrev_b64 v[208:209], 2, v[200:201]
	v_add_co_u32 v208, vcc_lo, v198, v208
	s_delay_alu instid0(VALU_DEP_2)
	v_add_co_ci_u32_e32 v209, vcc_lo, v199, v209, vcc_lo
	s_clause 0x1
	flat_load_b32 v201, v[208:209]
	flat_load_b32 v206, v[198:199] offset:152
	s_waitcnt vmcnt(1) lgkmcnt(1)
	flat_store_b32 v[198:199], v201 offset:152
	s_waitcnt vmcnt(0) lgkmcnt(1)
	flat_store_b32 v[208:209], v206
.LBB94_812:
	s_or_b32 exec_lo, exec_lo, s6
	v_mov_b32_e32 v208, v200
	v_mov_b32_e32 v206, v200
.LBB94_813:
	s_or_b32 exec_lo, exec_lo, s3
.LBB94_814:
	s_and_not1_saveexec_b32 s2, s2
	s_cbranch_execz .LBB94_816
; %bb.815:
	v_mov_b32_e32 v208, 38
	ds_store_2addr_b64 v202, v[32:33], v[34:35] offset0:78 offset1:79
	ds_store_2addr_b64 v202, v[28:29], v[30:31] offset0:80 offset1:81
	;; [unrolled: 1-line block ×9, first 2 shown]
.LBB94_816:
	s_or_b32 exec_lo, exec_lo, s2
	s_delay_alu instid0(SALU_CYCLE_1)
	s_mov_b32 s2, exec_lo
	s_waitcnt lgkmcnt(0)
	s_waitcnt_vscnt null, 0x0
	s_barrier
	buffer_gl0_inv
	v_cmpx_lt_i32_e32 38, v208
	s_cbranch_execz .LBB94_818
; %bb.817:
	v_mul_f64 v[200:201], v[192:193], v[38:39]
	v_mul_f64 v[38:39], v[194:195], v[38:39]
	s_delay_alu instid0(VALU_DEP_2) | instskip(NEXT) | instid1(VALU_DEP_2)
	v_fma_f64 v[200:201], v[194:195], v[36:37], v[200:201]
	v_fma_f64 v[36:37], v[192:193], v[36:37], -v[38:39]
	ds_load_2addr_b64 v[192:195], v202 offset0:78 offset1:79
	s_waitcnt lgkmcnt(0)
	v_mul_f64 v[38:39], v[194:195], v[200:201]
	s_delay_alu instid0(VALU_DEP_1) | instskip(SKIP_1) | instid1(VALU_DEP_2)
	v_fma_f64 v[38:39], v[192:193], v[36:37], -v[38:39]
	v_mul_f64 v[192:193], v[192:193], v[200:201]
	v_add_f64 v[32:33], v[32:33], -v[38:39]
	s_delay_alu instid0(VALU_DEP_2) | instskip(NEXT) | instid1(VALU_DEP_1)
	v_fma_f64 v[192:193], v[194:195], v[36:37], v[192:193]
	v_add_f64 v[34:35], v[34:35], -v[192:193]
	ds_load_2addr_b64 v[192:195], v202 offset0:80 offset1:81
	s_waitcnt lgkmcnt(0)
	v_mul_f64 v[38:39], v[194:195], v[200:201]
	s_delay_alu instid0(VALU_DEP_1) | instskip(SKIP_1) | instid1(VALU_DEP_2)
	v_fma_f64 v[38:39], v[192:193], v[36:37], -v[38:39]
	v_mul_f64 v[192:193], v[192:193], v[200:201]
	v_add_f64 v[28:29], v[28:29], -v[38:39]
	s_delay_alu instid0(VALU_DEP_2) | instskip(NEXT) | instid1(VALU_DEP_1)
	v_fma_f64 v[192:193], v[194:195], v[36:37], v[192:193]
	v_add_f64 v[30:31], v[30:31], -v[192:193]
	;; [unrolled: 10-line block ×8, first 2 shown]
	ds_load_2addr_b64 v[192:195], v202 offset0:94 offset1:95
	s_waitcnt lgkmcnt(0)
	v_mul_f64 v[38:39], v[194:195], v[200:201]
	s_delay_alu instid0(VALU_DEP_1) | instskip(SKIP_1) | instid1(VALU_DEP_2)
	v_fma_f64 v[38:39], v[192:193], v[36:37], -v[38:39]
	v_mul_f64 v[192:193], v[192:193], v[200:201]
	v_add_f64 v[0:1], v[0:1], -v[38:39]
	s_delay_alu instid0(VALU_DEP_2) | instskip(SKIP_1) | instid1(VALU_DEP_2)
	v_fma_f64 v[192:193], v[194:195], v[36:37], v[192:193]
	v_dual_mov_b32 v38, v200 :: v_dual_mov_b32 v39, v201
	v_add_f64 v[2:3], v[2:3], -v[192:193]
.LBB94_818:
	s_or_b32 exec_lo, exec_lo, s2
	v_lshl_add_u32 v192, v208, 4, v202
	s_barrier
	buffer_gl0_inv
	v_mov_b32_e32 v200, 39
	ds_store_2addr_b64 v192, v[32:33], v[34:35] offset1:1
	s_waitcnt lgkmcnt(0)
	s_barrier
	buffer_gl0_inv
	ds_load_2addr_b64 v[192:195], v202 offset0:78 offset1:79
	s_cmp_lt_i32 s5, 41
	s_cbranch_scc1 .LBB94_821
; %bb.819:
	v_add3_u32 v201, v207, 0, 0x280
	v_mov_b32_e32 v200, 39
	s_mov_b32 s6, 40
	s_set_inst_prefetch_distance 0x1
	.p2align	6
.LBB94_820:                             ; =>This Inner Loop Header: Depth=1
	ds_load_2addr_b64 v[209:212], v201 offset1:1
	s_waitcnt lgkmcnt(1)
	v_cmp_gt_f64_e32 vcc_lo, 0, v[192:193]
	v_xor_b32_e32 v213, 0x80000000, v193
	v_cmp_gt_f64_e64 s2, 0, v[194:195]
	v_xor_b32_e32 v215, 0x80000000, v195
	v_add_nc_u32_e32 v201, 16, v201
	s_waitcnt lgkmcnt(0)
	v_cmp_gt_f64_e64 s3, 0, v[209:210]
	v_mov_b32_e32 v217, v209
	v_dual_mov_b32 v219, v211 :: v_dual_cndmask_b32 v214, v193, v213
	v_xor_b32_e32 v213, 0x80000000, v210
	v_cndmask_b32_e64 v216, v195, v215, s2
	v_xor_b32_e32 v215, 0x80000000, v212
	s_delay_alu instid0(VALU_DEP_3) | instskip(SKIP_2) | instid1(VALU_DEP_2)
	v_cndmask_b32_e64 v218, v210, v213, s3
	v_cmp_gt_f64_e64 s3, 0, v[211:212]
	v_cndmask_b32_e32 v213, v192, v192, vcc_lo
	v_cndmask_b32_e64 v220, v212, v215, s3
	v_cndmask_b32_e64 v215, v194, v194, s2
	s_delay_alu instid0(VALU_DEP_2) | instskip(NEXT) | instid1(VALU_DEP_2)
	v_add_f64 v[217:218], v[217:218], v[219:220]
	v_add_f64 v[213:214], v[213:214], v[215:216]
	s_delay_alu instid0(VALU_DEP_1) | instskip(SKIP_4) | instid1(SALU_CYCLE_1)
	v_cmp_lt_f64_e32 vcc_lo, v[213:214], v[217:218]
	v_dual_cndmask_b32 v194, v194, v211 :: v_dual_cndmask_b32 v193, v193, v210
	v_dual_cndmask_b32 v192, v192, v209 :: v_dual_cndmask_b32 v195, v195, v212
	v_cndmask_b32_e64 v200, v200, s6, vcc_lo
	s_add_i32 s6, s6, 1
	s_cmp_lg_u32 s5, s6
	s_cbranch_scc1 .LBB94_820
.LBB94_821:
	s_set_inst_prefetch_distance 0x2
	s_waitcnt lgkmcnt(0)
	v_cmp_eq_f64_e32 vcc_lo, 0, v[192:193]
	v_cmp_eq_f64_e64 s2, 0, v[194:195]
	s_delay_alu instid0(VALU_DEP_1) | instskip(NEXT) | instid1(SALU_CYCLE_1)
	s_and_b32 s2, vcc_lo, s2
	s_and_saveexec_b32 s3, s2
	s_delay_alu instid0(SALU_CYCLE_1)
	s_xor_b32 s2, exec_lo, s3
; %bb.822:
	v_cmp_ne_u32_e32 vcc_lo, 0, v205
	v_cndmask_b32_e32 v205, 40, v205, vcc_lo
; %bb.823:
	s_and_not1_saveexec_b32 s3, s2
	s_cbranch_execz .LBB94_829
; %bb.824:
	v_cmp_gt_f64_e32 vcc_lo, 0, v[192:193]
	v_cmp_gt_f64_e64 s2, 0, v[194:195]
	v_xor_b32_e32 v201, 0x80000000, v193
	v_xor_b32_e32 v209, 0x80000000, v195
	s_delay_alu instid0(VALU_DEP_2) | instskip(NEXT) | instid1(VALU_DEP_2)
	v_cndmask_b32_e32 v210, v193, v201, vcc_lo
	v_cndmask_b32_e64 v212, v195, v209, s2
	v_cndmask_b32_e32 v209, v192, v192, vcc_lo
	v_cndmask_b32_e64 v211, v194, v194, s2
	s_mov_b32 s2, exec_lo
	s_delay_alu instid0(VALU_DEP_1)
	v_cmpx_ngt_f64_e32 v[209:210], v[211:212]
	s_xor_b32 s2, exec_lo, s2
	s_cbranch_execz .LBB94_826
; %bb.825:
	v_div_scale_f64 v[209:210], null, v[194:195], v[194:195], v[192:193]
	v_div_scale_f64 v[215:216], vcc_lo, v[192:193], v[194:195], v[192:193]
	s_delay_alu instid0(VALU_DEP_2) | instskip(SKIP_2) | instid1(VALU_DEP_1)
	v_rcp_f64_e32 v[211:212], v[209:210]
	s_waitcnt_depctr 0xfff
	v_fma_f64 v[213:214], -v[209:210], v[211:212], 1.0
	v_fma_f64 v[211:212], v[211:212], v[213:214], v[211:212]
	s_delay_alu instid0(VALU_DEP_1) | instskip(NEXT) | instid1(VALU_DEP_1)
	v_fma_f64 v[213:214], -v[209:210], v[211:212], 1.0
	v_fma_f64 v[211:212], v[211:212], v[213:214], v[211:212]
	s_delay_alu instid0(VALU_DEP_1) | instskip(NEXT) | instid1(VALU_DEP_1)
	v_mul_f64 v[213:214], v[215:216], v[211:212]
	v_fma_f64 v[209:210], -v[209:210], v[213:214], v[215:216]
	s_delay_alu instid0(VALU_DEP_1) | instskip(NEXT) | instid1(VALU_DEP_1)
	v_div_fmas_f64 v[209:210], v[209:210], v[211:212], v[213:214]
	v_div_fixup_f64 v[209:210], v[209:210], v[194:195], v[192:193]
	s_delay_alu instid0(VALU_DEP_1) | instskip(NEXT) | instid1(VALU_DEP_1)
	v_fma_f64 v[192:193], v[192:193], v[209:210], v[194:195]
	v_div_scale_f64 v[194:195], null, v[192:193], v[192:193], 1.0
	s_delay_alu instid0(VALU_DEP_1) | instskip(SKIP_2) | instid1(VALU_DEP_1)
	v_rcp_f64_e32 v[211:212], v[194:195]
	s_waitcnt_depctr 0xfff
	v_fma_f64 v[213:214], -v[194:195], v[211:212], 1.0
	v_fma_f64 v[211:212], v[211:212], v[213:214], v[211:212]
	s_delay_alu instid0(VALU_DEP_1) | instskip(NEXT) | instid1(VALU_DEP_1)
	v_fma_f64 v[213:214], -v[194:195], v[211:212], 1.0
	v_fma_f64 v[211:212], v[211:212], v[213:214], v[211:212]
	v_div_scale_f64 v[213:214], vcc_lo, 1.0, v[192:193], 1.0
	s_delay_alu instid0(VALU_DEP_1) | instskip(NEXT) | instid1(VALU_DEP_1)
	v_mul_f64 v[215:216], v[213:214], v[211:212]
	v_fma_f64 v[194:195], -v[194:195], v[215:216], v[213:214]
	s_delay_alu instid0(VALU_DEP_1) | instskip(NEXT) | instid1(VALU_DEP_1)
	v_div_fmas_f64 v[194:195], v[194:195], v[211:212], v[215:216]
	v_div_fixup_f64 v[194:195], v[194:195], v[192:193], 1.0
	s_delay_alu instid0(VALU_DEP_1)
	v_mul_f64 v[192:193], v[209:210], v[194:195]
	v_xor_b32_e32 v195, 0x80000000, v195
.LBB94_826:
	s_and_not1_saveexec_b32 s2, s2
	s_cbranch_execz .LBB94_828
; %bb.827:
	s_delay_alu instid0(VALU_DEP_1) | instskip(SKIP_1) | instid1(VALU_DEP_2)
	v_div_scale_f64 v[209:210], null, v[192:193], v[192:193], v[194:195]
	v_div_scale_f64 v[215:216], vcc_lo, v[194:195], v[192:193], v[194:195]
	v_rcp_f64_e32 v[211:212], v[209:210]
	s_waitcnt_depctr 0xfff
	v_fma_f64 v[213:214], -v[209:210], v[211:212], 1.0
	s_delay_alu instid0(VALU_DEP_1) | instskip(NEXT) | instid1(VALU_DEP_1)
	v_fma_f64 v[211:212], v[211:212], v[213:214], v[211:212]
	v_fma_f64 v[213:214], -v[209:210], v[211:212], 1.0
	s_delay_alu instid0(VALU_DEP_1) | instskip(NEXT) | instid1(VALU_DEP_1)
	v_fma_f64 v[211:212], v[211:212], v[213:214], v[211:212]
	v_mul_f64 v[213:214], v[215:216], v[211:212]
	s_delay_alu instid0(VALU_DEP_1) | instskip(NEXT) | instid1(VALU_DEP_1)
	v_fma_f64 v[209:210], -v[209:210], v[213:214], v[215:216]
	v_div_fmas_f64 v[209:210], v[209:210], v[211:212], v[213:214]
	s_delay_alu instid0(VALU_DEP_1) | instskip(NEXT) | instid1(VALU_DEP_1)
	v_div_fixup_f64 v[209:210], v[209:210], v[192:193], v[194:195]
	v_fma_f64 v[192:193], v[194:195], v[209:210], v[192:193]
	s_delay_alu instid0(VALU_DEP_1) | instskip(NEXT) | instid1(VALU_DEP_1)
	v_div_scale_f64 v[194:195], null, v[192:193], v[192:193], 1.0
	v_rcp_f64_e32 v[211:212], v[194:195]
	s_waitcnt_depctr 0xfff
	v_fma_f64 v[213:214], -v[194:195], v[211:212], 1.0
	s_delay_alu instid0(VALU_DEP_1) | instskip(NEXT) | instid1(VALU_DEP_1)
	v_fma_f64 v[211:212], v[211:212], v[213:214], v[211:212]
	v_fma_f64 v[213:214], -v[194:195], v[211:212], 1.0
	s_delay_alu instid0(VALU_DEP_1) | instskip(SKIP_1) | instid1(VALU_DEP_1)
	v_fma_f64 v[211:212], v[211:212], v[213:214], v[211:212]
	v_div_scale_f64 v[213:214], vcc_lo, 1.0, v[192:193], 1.0
	v_mul_f64 v[215:216], v[213:214], v[211:212]
	s_delay_alu instid0(VALU_DEP_1) | instskip(NEXT) | instid1(VALU_DEP_1)
	v_fma_f64 v[194:195], -v[194:195], v[215:216], v[213:214]
	v_div_fmas_f64 v[194:195], v[194:195], v[211:212], v[215:216]
	s_delay_alu instid0(VALU_DEP_1) | instskip(NEXT) | instid1(VALU_DEP_1)
	v_div_fixup_f64 v[192:193], v[194:195], v[192:193], 1.0
	v_mul_f64 v[194:195], v[209:210], -v[192:193]
.LBB94_828:
	s_or_b32 exec_lo, exec_lo, s2
.LBB94_829:
	s_delay_alu instid0(SALU_CYCLE_1) | instskip(NEXT) | instid1(SALU_CYCLE_1)
	s_or_b32 exec_lo, exec_lo, s3
	s_mov_b32 s2, exec_lo
	v_cmpx_ne_u32_e64 v208, v200
	s_xor_b32 s2, exec_lo, s2
	s_cbranch_execz .LBB94_835
; %bb.830:
	s_mov_b32 s3, exec_lo
	v_cmpx_eq_u32_e32 39, v208
	s_cbranch_execz .LBB94_834
; %bb.831:
	v_cmp_ne_u32_e32 vcc_lo, 39, v200
	s_xor_b32 s6, s4, -1
	s_delay_alu instid0(SALU_CYCLE_1) | instskip(NEXT) | instid1(SALU_CYCLE_1)
	s_and_b32 s7, s6, vcc_lo
	s_and_saveexec_b32 s6, s7
	s_cbranch_execz .LBB94_833
; %bb.832:
	v_ashrrev_i32_e32 v201, 31, v200
	s_delay_alu instid0(VALU_DEP_1) | instskip(NEXT) | instid1(VALU_DEP_1)
	v_lshlrev_b64 v[208:209], 2, v[200:201]
	v_add_co_u32 v208, vcc_lo, v198, v208
	s_delay_alu instid0(VALU_DEP_2)
	v_add_co_ci_u32_e32 v209, vcc_lo, v199, v209, vcc_lo
	s_clause 0x1
	flat_load_b32 v201, v[208:209]
	flat_load_b32 v206, v[198:199] offset:156
	s_waitcnt vmcnt(1) lgkmcnt(1)
	flat_store_b32 v[198:199], v201 offset:156
	s_waitcnt vmcnt(0) lgkmcnt(1)
	flat_store_b32 v[208:209], v206
.LBB94_833:
	s_or_b32 exec_lo, exec_lo, s6
	v_mov_b32_e32 v208, v200
	v_mov_b32_e32 v206, v200
.LBB94_834:
	s_or_b32 exec_lo, exec_lo, s3
.LBB94_835:
	s_and_not1_saveexec_b32 s2, s2
	s_cbranch_execz .LBB94_837
; %bb.836:
	v_mov_b32_e32 v208, 39
	ds_store_2addr_b64 v202, v[28:29], v[30:31] offset0:80 offset1:81
	ds_store_2addr_b64 v202, v[24:25], v[26:27] offset0:82 offset1:83
	;; [unrolled: 1-line block ×8, first 2 shown]
.LBB94_837:
	s_or_b32 exec_lo, exec_lo, s2
	s_delay_alu instid0(SALU_CYCLE_1)
	s_mov_b32 s2, exec_lo
	s_waitcnt lgkmcnt(0)
	s_waitcnt_vscnt null, 0x0
	s_barrier
	buffer_gl0_inv
	v_cmpx_lt_i32_e32 39, v208
	s_cbranch_execz .LBB94_839
; %bb.838:
	v_mul_f64 v[200:201], v[192:193], v[34:35]
	v_mul_f64 v[34:35], v[194:195], v[34:35]
	s_delay_alu instid0(VALU_DEP_2) | instskip(NEXT) | instid1(VALU_DEP_2)
	v_fma_f64 v[200:201], v[194:195], v[32:33], v[200:201]
	v_fma_f64 v[32:33], v[192:193], v[32:33], -v[34:35]
	ds_load_2addr_b64 v[192:195], v202 offset0:80 offset1:81
	s_waitcnt lgkmcnt(0)
	v_mul_f64 v[34:35], v[194:195], v[200:201]
	s_delay_alu instid0(VALU_DEP_1) | instskip(SKIP_1) | instid1(VALU_DEP_2)
	v_fma_f64 v[34:35], v[192:193], v[32:33], -v[34:35]
	v_mul_f64 v[192:193], v[192:193], v[200:201]
	v_add_f64 v[28:29], v[28:29], -v[34:35]
	s_delay_alu instid0(VALU_DEP_2) | instskip(NEXT) | instid1(VALU_DEP_1)
	v_fma_f64 v[192:193], v[194:195], v[32:33], v[192:193]
	v_add_f64 v[30:31], v[30:31], -v[192:193]
	ds_load_2addr_b64 v[192:195], v202 offset0:82 offset1:83
	s_waitcnt lgkmcnt(0)
	v_mul_f64 v[34:35], v[194:195], v[200:201]
	s_delay_alu instid0(VALU_DEP_1) | instskip(SKIP_1) | instid1(VALU_DEP_2)
	v_fma_f64 v[34:35], v[192:193], v[32:33], -v[34:35]
	v_mul_f64 v[192:193], v[192:193], v[200:201]
	v_add_f64 v[24:25], v[24:25], -v[34:35]
	s_delay_alu instid0(VALU_DEP_2) | instskip(NEXT) | instid1(VALU_DEP_1)
	v_fma_f64 v[192:193], v[194:195], v[32:33], v[192:193]
	v_add_f64 v[26:27], v[26:27], -v[192:193]
	;; [unrolled: 10-line block ×7, first 2 shown]
	ds_load_2addr_b64 v[192:195], v202 offset0:94 offset1:95
	s_waitcnt lgkmcnt(0)
	v_mul_f64 v[34:35], v[194:195], v[200:201]
	s_delay_alu instid0(VALU_DEP_1) | instskip(SKIP_1) | instid1(VALU_DEP_2)
	v_fma_f64 v[34:35], v[192:193], v[32:33], -v[34:35]
	v_mul_f64 v[192:193], v[192:193], v[200:201]
	v_add_f64 v[0:1], v[0:1], -v[34:35]
	s_delay_alu instid0(VALU_DEP_2) | instskip(SKIP_1) | instid1(VALU_DEP_2)
	v_fma_f64 v[192:193], v[194:195], v[32:33], v[192:193]
	v_dual_mov_b32 v34, v200 :: v_dual_mov_b32 v35, v201
	v_add_f64 v[2:3], v[2:3], -v[192:193]
.LBB94_839:
	s_or_b32 exec_lo, exec_lo, s2
	v_lshl_add_u32 v192, v208, 4, v202
	s_barrier
	buffer_gl0_inv
	v_mov_b32_e32 v200, 40
	ds_store_2addr_b64 v192, v[28:29], v[30:31] offset1:1
	s_waitcnt lgkmcnt(0)
	s_barrier
	buffer_gl0_inv
	ds_load_2addr_b64 v[192:195], v202 offset0:80 offset1:81
	s_cmp_lt_i32 s5, 42
	s_cbranch_scc1 .LBB94_842
; %bb.840:
	v_add3_u32 v201, v207, 0, 0x290
	v_mov_b32_e32 v200, 40
	s_mov_b32 s6, 41
	s_set_inst_prefetch_distance 0x1
	.p2align	6
.LBB94_841:                             ; =>This Inner Loop Header: Depth=1
	ds_load_2addr_b64 v[209:212], v201 offset1:1
	s_waitcnt lgkmcnt(1)
	v_cmp_gt_f64_e32 vcc_lo, 0, v[192:193]
	v_xor_b32_e32 v213, 0x80000000, v193
	v_cmp_gt_f64_e64 s2, 0, v[194:195]
	v_xor_b32_e32 v215, 0x80000000, v195
	v_add_nc_u32_e32 v201, 16, v201
	s_waitcnt lgkmcnt(0)
	v_cmp_gt_f64_e64 s3, 0, v[209:210]
	v_mov_b32_e32 v217, v209
	v_dual_mov_b32 v219, v211 :: v_dual_cndmask_b32 v214, v193, v213
	v_xor_b32_e32 v213, 0x80000000, v210
	v_cndmask_b32_e64 v216, v195, v215, s2
	v_xor_b32_e32 v215, 0x80000000, v212
	s_delay_alu instid0(VALU_DEP_3) | instskip(SKIP_2) | instid1(VALU_DEP_2)
	v_cndmask_b32_e64 v218, v210, v213, s3
	v_cmp_gt_f64_e64 s3, 0, v[211:212]
	v_cndmask_b32_e32 v213, v192, v192, vcc_lo
	v_cndmask_b32_e64 v220, v212, v215, s3
	v_cndmask_b32_e64 v215, v194, v194, s2
	s_delay_alu instid0(VALU_DEP_2) | instskip(NEXT) | instid1(VALU_DEP_2)
	v_add_f64 v[217:218], v[217:218], v[219:220]
	v_add_f64 v[213:214], v[213:214], v[215:216]
	s_delay_alu instid0(VALU_DEP_1) | instskip(SKIP_4) | instid1(SALU_CYCLE_1)
	v_cmp_lt_f64_e32 vcc_lo, v[213:214], v[217:218]
	v_dual_cndmask_b32 v194, v194, v211 :: v_dual_cndmask_b32 v193, v193, v210
	v_dual_cndmask_b32 v192, v192, v209 :: v_dual_cndmask_b32 v195, v195, v212
	v_cndmask_b32_e64 v200, v200, s6, vcc_lo
	s_add_i32 s6, s6, 1
	s_cmp_lg_u32 s5, s6
	s_cbranch_scc1 .LBB94_841
.LBB94_842:
	s_set_inst_prefetch_distance 0x2
	s_waitcnt lgkmcnt(0)
	v_cmp_eq_f64_e32 vcc_lo, 0, v[192:193]
	v_cmp_eq_f64_e64 s2, 0, v[194:195]
	s_delay_alu instid0(VALU_DEP_1) | instskip(NEXT) | instid1(SALU_CYCLE_1)
	s_and_b32 s2, vcc_lo, s2
	s_and_saveexec_b32 s3, s2
	s_delay_alu instid0(SALU_CYCLE_1)
	s_xor_b32 s2, exec_lo, s3
; %bb.843:
	v_cmp_ne_u32_e32 vcc_lo, 0, v205
	v_cndmask_b32_e32 v205, 41, v205, vcc_lo
; %bb.844:
	s_and_not1_saveexec_b32 s3, s2
	s_cbranch_execz .LBB94_850
; %bb.845:
	v_cmp_gt_f64_e32 vcc_lo, 0, v[192:193]
	v_cmp_gt_f64_e64 s2, 0, v[194:195]
	v_xor_b32_e32 v201, 0x80000000, v193
	v_xor_b32_e32 v209, 0x80000000, v195
	s_delay_alu instid0(VALU_DEP_2) | instskip(NEXT) | instid1(VALU_DEP_2)
	v_cndmask_b32_e32 v210, v193, v201, vcc_lo
	v_cndmask_b32_e64 v212, v195, v209, s2
	v_cndmask_b32_e32 v209, v192, v192, vcc_lo
	v_cndmask_b32_e64 v211, v194, v194, s2
	s_mov_b32 s2, exec_lo
	s_delay_alu instid0(VALU_DEP_1)
	v_cmpx_ngt_f64_e32 v[209:210], v[211:212]
	s_xor_b32 s2, exec_lo, s2
	s_cbranch_execz .LBB94_847
; %bb.846:
	v_div_scale_f64 v[209:210], null, v[194:195], v[194:195], v[192:193]
	v_div_scale_f64 v[215:216], vcc_lo, v[192:193], v[194:195], v[192:193]
	s_delay_alu instid0(VALU_DEP_2) | instskip(SKIP_2) | instid1(VALU_DEP_1)
	v_rcp_f64_e32 v[211:212], v[209:210]
	s_waitcnt_depctr 0xfff
	v_fma_f64 v[213:214], -v[209:210], v[211:212], 1.0
	v_fma_f64 v[211:212], v[211:212], v[213:214], v[211:212]
	s_delay_alu instid0(VALU_DEP_1) | instskip(NEXT) | instid1(VALU_DEP_1)
	v_fma_f64 v[213:214], -v[209:210], v[211:212], 1.0
	v_fma_f64 v[211:212], v[211:212], v[213:214], v[211:212]
	s_delay_alu instid0(VALU_DEP_1) | instskip(NEXT) | instid1(VALU_DEP_1)
	v_mul_f64 v[213:214], v[215:216], v[211:212]
	v_fma_f64 v[209:210], -v[209:210], v[213:214], v[215:216]
	s_delay_alu instid0(VALU_DEP_1) | instskip(NEXT) | instid1(VALU_DEP_1)
	v_div_fmas_f64 v[209:210], v[209:210], v[211:212], v[213:214]
	v_div_fixup_f64 v[209:210], v[209:210], v[194:195], v[192:193]
	s_delay_alu instid0(VALU_DEP_1) | instskip(NEXT) | instid1(VALU_DEP_1)
	v_fma_f64 v[192:193], v[192:193], v[209:210], v[194:195]
	v_div_scale_f64 v[194:195], null, v[192:193], v[192:193], 1.0
	s_delay_alu instid0(VALU_DEP_1) | instskip(SKIP_2) | instid1(VALU_DEP_1)
	v_rcp_f64_e32 v[211:212], v[194:195]
	s_waitcnt_depctr 0xfff
	v_fma_f64 v[213:214], -v[194:195], v[211:212], 1.0
	v_fma_f64 v[211:212], v[211:212], v[213:214], v[211:212]
	s_delay_alu instid0(VALU_DEP_1) | instskip(NEXT) | instid1(VALU_DEP_1)
	v_fma_f64 v[213:214], -v[194:195], v[211:212], 1.0
	v_fma_f64 v[211:212], v[211:212], v[213:214], v[211:212]
	v_div_scale_f64 v[213:214], vcc_lo, 1.0, v[192:193], 1.0
	s_delay_alu instid0(VALU_DEP_1) | instskip(NEXT) | instid1(VALU_DEP_1)
	v_mul_f64 v[215:216], v[213:214], v[211:212]
	v_fma_f64 v[194:195], -v[194:195], v[215:216], v[213:214]
	s_delay_alu instid0(VALU_DEP_1) | instskip(NEXT) | instid1(VALU_DEP_1)
	v_div_fmas_f64 v[194:195], v[194:195], v[211:212], v[215:216]
	v_div_fixup_f64 v[194:195], v[194:195], v[192:193], 1.0
	s_delay_alu instid0(VALU_DEP_1)
	v_mul_f64 v[192:193], v[209:210], v[194:195]
	v_xor_b32_e32 v195, 0x80000000, v195
.LBB94_847:
	s_and_not1_saveexec_b32 s2, s2
	s_cbranch_execz .LBB94_849
; %bb.848:
	s_delay_alu instid0(VALU_DEP_1) | instskip(SKIP_1) | instid1(VALU_DEP_2)
	v_div_scale_f64 v[209:210], null, v[192:193], v[192:193], v[194:195]
	v_div_scale_f64 v[215:216], vcc_lo, v[194:195], v[192:193], v[194:195]
	v_rcp_f64_e32 v[211:212], v[209:210]
	s_waitcnt_depctr 0xfff
	v_fma_f64 v[213:214], -v[209:210], v[211:212], 1.0
	s_delay_alu instid0(VALU_DEP_1) | instskip(NEXT) | instid1(VALU_DEP_1)
	v_fma_f64 v[211:212], v[211:212], v[213:214], v[211:212]
	v_fma_f64 v[213:214], -v[209:210], v[211:212], 1.0
	s_delay_alu instid0(VALU_DEP_1) | instskip(NEXT) | instid1(VALU_DEP_1)
	v_fma_f64 v[211:212], v[211:212], v[213:214], v[211:212]
	v_mul_f64 v[213:214], v[215:216], v[211:212]
	s_delay_alu instid0(VALU_DEP_1) | instskip(NEXT) | instid1(VALU_DEP_1)
	v_fma_f64 v[209:210], -v[209:210], v[213:214], v[215:216]
	v_div_fmas_f64 v[209:210], v[209:210], v[211:212], v[213:214]
	s_delay_alu instid0(VALU_DEP_1) | instskip(NEXT) | instid1(VALU_DEP_1)
	v_div_fixup_f64 v[209:210], v[209:210], v[192:193], v[194:195]
	v_fma_f64 v[192:193], v[194:195], v[209:210], v[192:193]
	s_delay_alu instid0(VALU_DEP_1) | instskip(NEXT) | instid1(VALU_DEP_1)
	v_div_scale_f64 v[194:195], null, v[192:193], v[192:193], 1.0
	v_rcp_f64_e32 v[211:212], v[194:195]
	s_waitcnt_depctr 0xfff
	v_fma_f64 v[213:214], -v[194:195], v[211:212], 1.0
	s_delay_alu instid0(VALU_DEP_1) | instskip(NEXT) | instid1(VALU_DEP_1)
	v_fma_f64 v[211:212], v[211:212], v[213:214], v[211:212]
	v_fma_f64 v[213:214], -v[194:195], v[211:212], 1.0
	s_delay_alu instid0(VALU_DEP_1) | instskip(SKIP_1) | instid1(VALU_DEP_1)
	v_fma_f64 v[211:212], v[211:212], v[213:214], v[211:212]
	v_div_scale_f64 v[213:214], vcc_lo, 1.0, v[192:193], 1.0
	v_mul_f64 v[215:216], v[213:214], v[211:212]
	s_delay_alu instid0(VALU_DEP_1) | instskip(NEXT) | instid1(VALU_DEP_1)
	v_fma_f64 v[194:195], -v[194:195], v[215:216], v[213:214]
	v_div_fmas_f64 v[194:195], v[194:195], v[211:212], v[215:216]
	s_delay_alu instid0(VALU_DEP_1) | instskip(NEXT) | instid1(VALU_DEP_1)
	v_div_fixup_f64 v[192:193], v[194:195], v[192:193], 1.0
	v_mul_f64 v[194:195], v[209:210], -v[192:193]
.LBB94_849:
	s_or_b32 exec_lo, exec_lo, s2
.LBB94_850:
	s_delay_alu instid0(SALU_CYCLE_1) | instskip(NEXT) | instid1(SALU_CYCLE_1)
	s_or_b32 exec_lo, exec_lo, s3
	s_mov_b32 s2, exec_lo
	v_cmpx_ne_u32_e64 v208, v200
	s_xor_b32 s2, exec_lo, s2
	s_cbranch_execz .LBB94_856
; %bb.851:
	s_mov_b32 s3, exec_lo
	v_cmpx_eq_u32_e32 40, v208
	s_cbranch_execz .LBB94_855
; %bb.852:
	v_cmp_ne_u32_e32 vcc_lo, 40, v200
	s_xor_b32 s6, s4, -1
	s_delay_alu instid0(SALU_CYCLE_1) | instskip(NEXT) | instid1(SALU_CYCLE_1)
	s_and_b32 s7, s6, vcc_lo
	s_and_saveexec_b32 s6, s7
	s_cbranch_execz .LBB94_854
; %bb.853:
	v_ashrrev_i32_e32 v201, 31, v200
	s_delay_alu instid0(VALU_DEP_1) | instskip(NEXT) | instid1(VALU_DEP_1)
	v_lshlrev_b64 v[208:209], 2, v[200:201]
	v_add_co_u32 v208, vcc_lo, v198, v208
	s_delay_alu instid0(VALU_DEP_2)
	v_add_co_ci_u32_e32 v209, vcc_lo, v199, v209, vcc_lo
	s_clause 0x1
	flat_load_b32 v201, v[208:209]
	flat_load_b32 v206, v[198:199] offset:160
	s_waitcnt vmcnt(1) lgkmcnt(1)
	flat_store_b32 v[198:199], v201 offset:160
	s_waitcnt vmcnt(0) lgkmcnt(1)
	flat_store_b32 v[208:209], v206
.LBB94_854:
	s_or_b32 exec_lo, exec_lo, s6
	v_mov_b32_e32 v208, v200
	v_mov_b32_e32 v206, v200
.LBB94_855:
	s_or_b32 exec_lo, exec_lo, s3
.LBB94_856:
	s_and_not1_saveexec_b32 s2, s2
	s_cbranch_execz .LBB94_858
; %bb.857:
	v_mov_b32_e32 v208, 40
	ds_store_2addr_b64 v202, v[24:25], v[26:27] offset0:82 offset1:83
	ds_store_2addr_b64 v202, v[20:21], v[22:23] offset0:84 offset1:85
	;; [unrolled: 1-line block ×7, first 2 shown]
.LBB94_858:
	s_or_b32 exec_lo, exec_lo, s2
	s_delay_alu instid0(SALU_CYCLE_1)
	s_mov_b32 s2, exec_lo
	s_waitcnt lgkmcnt(0)
	s_waitcnt_vscnt null, 0x0
	s_barrier
	buffer_gl0_inv
	v_cmpx_lt_i32_e32 40, v208
	s_cbranch_execz .LBB94_860
; %bb.859:
	v_mul_f64 v[200:201], v[192:193], v[30:31]
	v_mul_f64 v[30:31], v[194:195], v[30:31]
	s_delay_alu instid0(VALU_DEP_2) | instskip(NEXT) | instid1(VALU_DEP_2)
	v_fma_f64 v[200:201], v[194:195], v[28:29], v[200:201]
	v_fma_f64 v[28:29], v[192:193], v[28:29], -v[30:31]
	ds_load_2addr_b64 v[192:195], v202 offset0:82 offset1:83
	s_waitcnt lgkmcnt(0)
	v_mul_f64 v[30:31], v[194:195], v[200:201]
	s_delay_alu instid0(VALU_DEP_1) | instskip(SKIP_1) | instid1(VALU_DEP_2)
	v_fma_f64 v[30:31], v[192:193], v[28:29], -v[30:31]
	v_mul_f64 v[192:193], v[192:193], v[200:201]
	v_add_f64 v[24:25], v[24:25], -v[30:31]
	s_delay_alu instid0(VALU_DEP_2) | instskip(NEXT) | instid1(VALU_DEP_1)
	v_fma_f64 v[192:193], v[194:195], v[28:29], v[192:193]
	v_add_f64 v[26:27], v[26:27], -v[192:193]
	ds_load_2addr_b64 v[192:195], v202 offset0:84 offset1:85
	s_waitcnt lgkmcnt(0)
	v_mul_f64 v[30:31], v[194:195], v[200:201]
	s_delay_alu instid0(VALU_DEP_1) | instskip(SKIP_1) | instid1(VALU_DEP_2)
	v_fma_f64 v[30:31], v[192:193], v[28:29], -v[30:31]
	v_mul_f64 v[192:193], v[192:193], v[200:201]
	v_add_f64 v[20:21], v[20:21], -v[30:31]
	s_delay_alu instid0(VALU_DEP_2) | instskip(NEXT) | instid1(VALU_DEP_1)
	v_fma_f64 v[192:193], v[194:195], v[28:29], v[192:193]
	v_add_f64 v[22:23], v[22:23], -v[192:193]
	;; [unrolled: 10-line block ×6, first 2 shown]
	ds_load_2addr_b64 v[192:195], v202 offset0:94 offset1:95
	s_waitcnt lgkmcnt(0)
	v_mul_f64 v[30:31], v[194:195], v[200:201]
	s_delay_alu instid0(VALU_DEP_1) | instskip(SKIP_1) | instid1(VALU_DEP_2)
	v_fma_f64 v[30:31], v[192:193], v[28:29], -v[30:31]
	v_mul_f64 v[192:193], v[192:193], v[200:201]
	v_add_f64 v[0:1], v[0:1], -v[30:31]
	s_delay_alu instid0(VALU_DEP_2) | instskip(SKIP_1) | instid1(VALU_DEP_2)
	v_fma_f64 v[192:193], v[194:195], v[28:29], v[192:193]
	v_dual_mov_b32 v30, v200 :: v_dual_mov_b32 v31, v201
	v_add_f64 v[2:3], v[2:3], -v[192:193]
.LBB94_860:
	s_or_b32 exec_lo, exec_lo, s2
	v_lshl_add_u32 v192, v208, 4, v202
	s_barrier
	buffer_gl0_inv
	v_mov_b32_e32 v200, 41
	ds_store_2addr_b64 v192, v[24:25], v[26:27] offset1:1
	s_waitcnt lgkmcnt(0)
	s_barrier
	buffer_gl0_inv
	ds_load_2addr_b64 v[192:195], v202 offset0:82 offset1:83
	s_cmp_lt_i32 s5, 43
	s_cbranch_scc1 .LBB94_863
; %bb.861:
	v_add3_u32 v201, v207, 0, 0x2a0
	v_mov_b32_e32 v200, 41
	s_mov_b32 s6, 42
	s_set_inst_prefetch_distance 0x1
	.p2align	6
.LBB94_862:                             ; =>This Inner Loop Header: Depth=1
	ds_load_2addr_b64 v[209:212], v201 offset1:1
	s_waitcnt lgkmcnt(1)
	v_cmp_gt_f64_e32 vcc_lo, 0, v[192:193]
	v_xor_b32_e32 v213, 0x80000000, v193
	v_cmp_gt_f64_e64 s2, 0, v[194:195]
	v_xor_b32_e32 v215, 0x80000000, v195
	v_add_nc_u32_e32 v201, 16, v201
	s_waitcnt lgkmcnt(0)
	v_cmp_gt_f64_e64 s3, 0, v[209:210]
	v_mov_b32_e32 v217, v209
	v_dual_mov_b32 v219, v211 :: v_dual_cndmask_b32 v214, v193, v213
	v_xor_b32_e32 v213, 0x80000000, v210
	v_cndmask_b32_e64 v216, v195, v215, s2
	v_xor_b32_e32 v215, 0x80000000, v212
	s_delay_alu instid0(VALU_DEP_3) | instskip(SKIP_2) | instid1(VALU_DEP_2)
	v_cndmask_b32_e64 v218, v210, v213, s3
	v_cmp_gt_f64_e64 s3, 0, v[211:212]
	v_cndmask_b32_e32 v213, v192, v192, vcc_lo
	v_cndmask_b32_e64 v220, v212, v215, s3
	v_cndmask_b32_e64 v215, v194, v194, s2
	s_delay_alu instid0(VALU_DEP_2) | instskip(NEXT) | instid1(VALU_DEP_2)
	v_add_f64 v[217:218], v[217:218], v[219:220]
	v_add_f64 v[213:214], v[213:214], v[215:216]
	s_delay_alu instid0(VALU_DEP_1) | instskip(SKIP_4) | instid1(SALU_CYCLE_1)
	v_cmp_lt_f64_e32 vcc_lo, v[213:214], v[217:218]
	v_dual_cndmask_b32 v194, v194, v211 :: v_dual_cndmask_b32 v193, v193, v210
	v_dual_cndmask_b32 v192, v192, v209 :: v_dual_cndmask_b32 v195, v195, v212
	v_cndmask_b32_e64 v200, v200, s6, vcc_lo
	s_add_i32 s6, s6, 1
	s_cmp_lg_u32 s5, s6
	s_cbranch_scc1 .LBB94_862
.LBB94_863:
	s_set_inst_prefetch_distance 0x2
	s_waitcnt lgkmcnt(0)
	v_cmp_eq_f64_e32 vcc_lo, 0, v[192:193]
	v_cmp_eq_f64_e64 s2, 0, v[194:195]
	s_delay_alu instid0(VALU_DEP_1) | instskip(NEXT) | instid1(SALU_CYCLE_1)
	s_and_b32 s2, vcc_lo, s2
	s_and_saveexec_b32 s3, s2
	s_delay_alu instid0(SALU_CYCLE_1)
	s_xor_b32 s2, exec_lo, s3
; %bb.864:
	v_cmp_ne_u32_e32 vcc_lo, 0, v205
	v_cndmask_b32_e32 v205, 42, v205, vcc_lo
; %bb.865:
	s_and_not1_saveexec_b32 s3, s2
	s_cbranch_execz .LBB94_871
; %bb.866:
	v_cmp_gt_f64_e32 vcc_lo, 0, v[192:193]
	v_cmp_gt_f64_e64 s2, 0, v[194:195]
	v_xor_b32_e32 v201, 0x80000000, v193
	v_xor_b32_e32 v209, 0x80000000, v195
	s_delay_alu instid0(VALU_DEP_2) | instskip(NEXT) | instid1(VALU_DEP_2)
	v_cndmask_b32_e32 v210, v193, v201, vcc_lo
	v_cndmask_b32_e64 v212, v195, v209, s2
	v_cndmask_b32_e32 v209, v192, v192, vcc_lo
	v_cndmask_b32_e64 v211, v194, v194, s2
	s_mov_b32 s2, exec_lo
	s_delay_alu instid0(VALU_DEP_1)
	v_cmpx_ngt_f64_e32 v[209:210], v[211:212]
	s_xor_b32 s2, exec_lo, s2
	s_cbranch_execz .LBB94_868
; %bb.867:
	v_div_scale_f64 v[209:210], null, v[194:195], v[194:195], v[192:193]
	v_div_scale_f64 v[215:216], vcc_lo, v[192:193], v[194:195], v[192:193]
	s_delay_alu instid0(VALU_DEP_2) | instskip(SKIP_2) | instid1(VALU_DEP_1)
	v_rcp_f64_e32 v[211:212], v[209:210]
	s_waitcnt_depctr 0xfff
	v_fma_f64 v[213:214], -v[209:210], v[211:212], 1.0
	v_fma_f64 v[211:212], v[211:212], v[213:214], v[211:212]
	s_delay_alu instid0(VALU_DEP_1) | instskip(NEXT) | instid1(VALU_DEP_1)
	v_fma_f64 v[213:214], -v[209:210], v[211:212], 1.0
	v_fma_f64 v[211:212], v[211:212], v[213:214], v[211:212]
	s_delay_alu instid0(VALU_DEP_1) | instskip(NEXT) | instid1(VALU_DEP_1)
	v_mul_f64 v[213:214], v[215:216], v[211:212]
	v_fma_f64 v[209:210], -v[209:210], v[213:214], v[215:216]
	s_delay_alu instid0(VALU_DEP_1) | instskip(NEXT) | instid1(VALU_DEP_1)
	v_div_fmas_f64 v[209:210], v[209:210], v[211:212], v[213:214]
	v_div_fixup_f64 v[209:210], v[209:210], v[194:195], v[192:193]
	s_delay_alu instid0(VALU_DEP_1) | instskip(NEXT) | instid1(VALU_DEP_1)
	v_fma_f64 v[192:193], v[192:193], v[209:210], v[194:195]
	v_div_scale_f64 v[194:195], null, v[192:193], v[192:193], 1.0
	s_delay_alu instid0(VALU_DEP_1) | instskip(SKIP_2) | instid1(VALU_DEP_1)
	v_rcp_f64_e32 v[211:212], v[194:195]
	s_waitcnt_depctr 0xfff
	v_fma_f64 v[213:214], -v[194:195], v[211:212], 1.0
	v_fma_f64 v[211:212], v[211:212], v[213:214], v[211:212]
	s_delay_alu instid0(VALU_DEP_1) | instskip(NEXT) | instid1(VALU_DEP_1)
	v_fma_f64 v[213:214], -v[194:195], v[211:212], 1.0
	v_fma_f64 v[211:212], v[211:212], v[213:214], v[211:212]
	v_div_scale_f64 v[213:214], vcc_lo, 1.0, v[192:193], 1.0
	s_delay_alu instid0(VALU_DEP_1) | instskip(NEXT) | instid1(VALU_DEP_1)
	v_mul_f64 v[215:216], v[213:214], v[211:212]
	v_fma_f64 v[194:195], -v[194:195], v[215:216], v[213:214]
	s_delay_alu instid0(VALU_DEP_1) | instskip(NEXT) | instid1(VALU_DEP_1)
	v_div_fmas_f64 v[194:195], v[194:195], v[211:212], v[215:216]
	v_div_fixup_f64 v[194:195], v[194:195], v[192:193], 1.0
	s_delay_alu instid0(VALU_DEP_1)
	v_mul_f64 v[192:193], v[209:210], v[194:195]
	v_xor_b32_e32 v195, 0x80000000, v195
.LBB94_868:
	s_and_not1_saveexec_b32 s2, s2
	s_cbranch_execz .LBB94_870
; %bb.869:
	s_delay_alu instid0(VALU_DEP_1) | instskip(SKIP_1) | instid1(VALU_DEP_2)
	v_div_scale_f64 v[209:210], null, v[192:193], v[192:193], v[194:195]
	v_div_scale_f64 v[215:216], vcc_lo, v[194:195], v[192:193], v[194:195]
	v_rcp_f64_e32 v[211:212], v[209:210]
	s_waitcnt_depctr 0xfff
	v_fma_f64 v[213:214], -v[209:210], v[211:212], 1.0
	s_delay_alu instid0(VALU_DEP_1) | instskip(NEXT) | instid1(VALU_DEP_1)
	v_fma_f64 v[211:212], v[211:212], v[213:214], v[211:212]
	v_fma_f64 v[213:214], -v[209:210], v[211:212], 1.0
	s_delay_alu instid0(VALU_DEP_1) | instskip(NEXT) | instid1(VALU_DEP_1)
	v_fma_f64 v[211:212], v[211:212], v[213:214], v[211:212]
	v_mul_f64 v[213:214], v[215:216], v[211:212]
	s_delay_alu instid0(VALU_DEP_1) | instskip(NEXT) | instid1(VALU_DEP_1)
	v_fma_f64 v[209:210], -v[209:210], v[213:214], v[215:216]
	v_div_fmas_f64 v[209:210], v[209:210], v[211:212], v[213:214]
	s_delay_alu instid0(VALU_DEP_1) | instskip(NEXT) | instid1(VALU_DEP_1)
	v_div_fixup_f64 v[209:210], v[209:210], v[192:193], v[194:195]
	v_fma_f64 v[192:193], v[194:195], v[209:210], v[192:193]
	s_delay_alu instid0(VALU_DEP_1) | instskip(NEXT) | instid1(VALU_DEP_1)
	v_div_scale_f64 v[194:195], null, v[192:193], v[192:193], 1.0
	v_rcp_f64_e32 v[211:212], v[194:195]
	s_waitcnt_depctr 0xfff
	v_fma_f64 v[213:214], -v[194:195], v[211:212], 1.0
	s_delay_alu instid0(VALU_DEP_1) | instskip(NEXT) | instid1(VALU_DEP_1)
	v_fma_f64 v[211:212], v[211:212], v[213:214], v[211:212]
	v_fma_f64 v[213:214], -v[194:195], v[211:212], 1.0
	s_delay_alu instid0(VALU_DEP_1) | instskip(SKIP_1) | instid1(VALU_DEP_1)
	v_fma_f64 v[211:212], v[211:212], v[213:214], v[211:212]
	v_div_scale_f64 v[213:214], vcc_lo, 1.0, v[192:193], 1.0
	v_mul_f64 v[215:216], v[213:214], v[211:212]
	s_delay_alu instid0(VALU_DEP_1) | instskip(NEXT) | instid1(VALU_DEP_1)
	v_fma_f64 v[194:195], -v[194:195], v[215:216], v[213:214]
	v_div_fmas_f64 v[194:195], v[194:195], v[211:212], v[215:216]
	s_delay_alu instid0(VALU_DEP_1) | instskip(NEXT) | instid1(VALU_DEP_1)
	v_div_fixup_f64 v[192:193], v[194:195], v[192:193], 1.0
	v_mul_f64 v[194:195], v[209:210], -v[192:193]
.LBB94_870:
	s_or_b32 exec_lo, exec_lo, s2
.LBB94_871:
	s_delay_alu instid0(SALU_CYCLE_1) | instskip(NEXT) | instid1(SALU_CYCLE_1)
	s_or_b32 exec_lo, exec_lo, s3
	s_mov_b32 s2, exec_lo
	v_cmpx_ne_u32_e64 v208, v200
	s_xor_b32 s2, exec_lo, s2
	s_cbranch_execz .LBB94_877
; %bb.872:
	s_mov_b32 s3, exec_lo
	v_cmpx_eq_u32_e32 41, v208
	s_cbranch_execz .LBB94_876
; %bb.873:
	v_cmp_ne_u32_e32 vcc_lo, 41, v200
	s_xor_b32 s6, s4, -1
	s_delay_alu instid0(SALU_CYCLE_1) | instskip(NEXT) | instid1(SALU_CYCLE_1)
	s_and_b32 s7, s6, vcc_lo
	s_and_saveexec_b32 s6, s7
	s_cbranch_execz .LBB94_875
; %bb.874:
	v_ashrrev_i32_e32 v201, 31, v200
	s_delay_alu instid0(VALU_DEP_1) | instskip(NEXT) | instid1(VALU_DEP_1)
	v_lshlrev_b64 v[208:209], 2, v[200:201]
	v_add_co_u32 v208, vcc_lo, v198, v208
	s_delay_alu instid0(VALU_DEP_2)
	v_add_co_ci_u32_e32 v209, vcc_lo, v199, v209, vcc_lo
	s_clause 0x1
	flat_load_b32 v201, v[208:209]
	flat_load_b32 v206, v[198:199] offset:164
	s_waitcnt vmcnt(1) lgkmcnt(1)
	flat_store_b32 v[198:199], v201 offset:164
	s_waitcnt vmcnt(0) lgkmcnt(1)
	flat_store_b32 v[208:209], v206
.LBB94_875:
	s_or_b32 exec_lo, exec_lo, s6
	v_mov_b32_e32 v208, v200
	v_mov_b32_e32 v206, v200
.LBB94_876:
	s_or_b32 exec_lo, exec_lo, s3
.LBB94_877:
	s_and_not1_saveexec_b32 s2, s2
	s_cbranch_execz .LBB94_879
; %bb.878:
	v_mov_b32_e32 v208, 41
	ds_store_2addr_b64 v202, v[20:21], v[22:23] offset0:84 offset1:85
	ds_store_2addr_b64 v202, v[16:17], v[18:19] offset0:86 offset1:87
	;; [unrolled: 1-line block ×6, first 2 shown]
.LBB94_879:
	s_or_b32 exec_lo, exec_lo, s2
	s_delay_alu instid0(SALU_CYCLE_1)
	s_mov_b32 s2, exec_lo
	s_waitcnt lgkmcnt(0)
	s_waitcnt_vscnt null, 0x0
	s_barrier
	buffer_gl0_inv
	v_cmpx_lt_i32_e32 41, v208
	s_cbranch_execz .LBB94_881
; %bb.880:
	v_mul_f64 v[200:201], v[192:193], v[26:27]
	v_mul_f64 v[26:27], v[194:195], v[26:27]
	ds_load_2addr_b64 v[209:212], v202 offset0:84 offset1:85
	ds_load_2addr_b64 v[213:216], v202 offset0:86 offset1:87
	;; [unrolled: 1-line block ×6, first 2 shown]
	v_fma_f64 v[194:195], v[194:195], v[24:25], v[200:201]
	v_fma_f64 v[24:25], v[192:193], v[24:25], -v[26:27]
	s_waitcnt lgkmcnt(5)
	s_delay_alu instid0(VALU_DEP_2)
	v_mul_f64 v[26:27], v[211:212], v[194:195]
	v_mul_f64 v[192:193], v[209:210], v[194:195]
	s_waitcnt lgkmcnt(4)
	v_mul_f64 v[200:201], v[215:216], v[194:195]
	v_mul_f64 v[233:234], v[213:214], v[194:195]
	s_waitcnt lgkmcnt(3)
	;; [unrolled: 3-line block ×5, first 2 shown]
	v_mul_f64 v[247:248], v[231:232], v[194:195]
	v_mul_f64 v[249:250], v[229:230], v[194:195]
	v_fma_f64 v[26:27], v[209:210], v[24:25], -v[26:27]
	v_fma_f64 v[192:193], v[211:212], v[24:25], v[192:193]
	v_fma_f64 v[200:201], v[213:214], v[24:25], -v[200:201]
	v_fma_f64 v[209:210], v[215:216], v[24:25], v[233:234]
	;; [unrolled: 2-line block ×6, first 2 shown]
	v_add_f64 v[20:21], v[20:21], -v[26:27]
	v_add_f64 v[22:23], v[22:23], -v[192:193]
	;; [unrolled: 1-line block ×12, first 2 shown]
	v_dual_mov_b32 v26, v194 :: v_dual_mov_b32 v27, v195
.LBB94_881:
	s_or_b32 exec_lo, exec_lo, s2
	v_lshl_add_u32 v192, v208, 4, v202
	s_barrier
	buffer_gl0_inv
	v_mov_b32_e32 v200, 42
	ds_store_2addr_b64 v192, v[20:21], v[22:23] offset1:1
	s_waitcnt lgkmcnt(0)
	s_barrier
	buffer_gl0_inv
	ds_load_2addr_b64 v[192:195], v202 offset0:84 offset1:85
	s_cmp_lt_i32 s5, 44
	s_cbranch_scc1 .LBB94_884
; %bb.882:
	v_add3_u32 v201, v207, 0, 0x2b0
	v_mov_b32_e32 v200, 42
	s_mov_b32 s6, 43
	s_set_inst_prefetch_distance 0x1
	.p2align	6
.LBB94_883:                             ; =>This Inner Loop Header: Depth=1
	ds_load_2addr_b64 v[209:212], v201 offset1:1
	s_waitcnt lgkmcnt(1)
	v_cmp_gt_f64_e32 vcc_lo, 0, v[192:193]
	v_xor_b32_e32 v213, 0x80000000, v193
	v_cmp_gt_f64_e64 s2, 0, v[194:195]
	v_xor_b32_e32 v215, 0x80000000, v195
	v_add_nc_u32_e32 v201, 16, v201
	s_waitcnt lgkmcnt(0)
	v_cmp_gt_f64_e64 s3, 0, v[209:210]
	v_mov_b32_e32 v217, v209
	v_dual_mov_b32 v219, v211 :: v_dual_cndmask_b32 v214, v193, v213
	v_xor_b32_e32 v213, 0x80000000, v210
	v_cndmask_b32_e64 v216, v195, v215, s2
	v_xor_b32_e32 v215, 0x80000000, v212
	s_delay_alu instid0(VALU_DEP_3) | instskip(SKIP_2) | instid1(VALU_DEP_2)
	v_cndmask_b32_e64 v218, v210, v213, s3
	v_cmp_gt_f64_e64 s3, 0, v[211:212]
	v_cndmask_b32_e32 v213, v192, v192, vcc_lo
	v_cndmask_b32_e64 v220, v212, v215, s3
	v_cndmask_b32_e64 v215, v194, v194, s2
	s_delay_alu instid0(VALU_DEP_2) | instskip(NEXT) | instid1(VALU_DEP_2)
	v_add_f64 v[217:218], v[217:218], v[219:220]
	v_add_f64 v[213:214], v[213:214], v[215:216]
	s_delay_alu instid0(VALU_DEP_1) | instskip(SKIP_4) | instid1(SALU_CYCLE_1)
	v_cmp_lt_f64_e32 vcc_lo, v[213:214], v[217:218]
	v_dual_cndmask_b32 v194, v194, v211 :: v_dual_cndmask_b32 v193, v193, v210
	v_dual_cndmask_b32 v192, v192, v209 :: v_dual_cndmask_b32 v195, v195, v212
	v_cndmask_b32_e64 v200, v200, s6, vcc_lo
	s_add_i32 s6, s6, 1
	s_cmp_lg_u32 s5, s6
	s_cbranch_scc1 .LBB94_883
.LBB94_884:
	s_set_inst_prefetch_distance 0x2
	s_waitcnt lgkmcnt(0)
	v_cmp_eq_f64_e32 vcc_lo, 0, v[192:193]
	v_cmp_eq_f64_e64 s2, 0, v[194:195]
	s_delay_alu instid0(VALU_DEP_1) | instskip(NEXT) | instid1(SALU_CYCLE_1)
	s_and_b32 s2, vcc_lo, s2
	s_and_saveexec_b32 s3, s2
	s_delay_alu instid0(SALU_CYCLE_1)
	s_xor_b32 s2, exec_lo, s3
; %bb.885:
	v_cmp_ne_u32_e32 vcc_lo, 0, v205
	v_cndmask_b32_e32 v205, 43, v205, vcc_lo
; %bb.886:
	s_and_not1_saveexec_b32 s3, s2
	s_cbranch_execz .LBB94_892
; %bb.887:
	v_cmp_gt_f64_e32 vcc_lo, 0, v[192:193]
	v_cmp_gt_f64_e64 s2, 0, v[194:195]
	v_xor_b32_e32 v201, 0x80000000, v193
	v_xor_b32_e32 v209, 0x80000000, v195
	s_delay_alu instid0(VALU_DEP_2) | instskip(NEXT) | instid1(VALU_DEP_2)
	v_cndmask_b32_e32 v210, v193, v201, vcc_lo
	v_cndmask_b32_e64 v212, v195, v209, s2
	v_cndmask_b32_e32 v209, v192, v192, vcc_lo
	v_cndmask_b32_e64 v211, v194, v194, s2
	s_mov_b32 s2, exec_lo
	s_delay_alu instid0(VALU_DEP_1)
	v_cmpx_ngt_f64_e32 v[209:210], v[211:212]
	s_xor_b32 s2, exec_lo, s2
	s_cbranch_execz .LBB94_889
; %bb.888:
	v_div_scale_f64 v[209:210], null, v[194:195], v[194:195], v[192:193]
	v_div_scale_f64 v[215:216], vcc_lo, v[192:193], v[194:195], v[192:193]
	s_delay_alu instid0(VALU_DEP_2) | instskip(SKIP_2) | instid1(VALU_DEP_1)
	v_rcp_f64_e32 v[211:212], v[209:210]
	s_waitcnt_depctr 0xfff
	v_fma_f64 v[213:214], -v[209:210], v[211:212], 1.0
	v_fma_f64 v[211:212], v[211:212], v[213:214], v[211:212]
	s_delay_alu instid0(VALU_DEP_1) | instskip(NEXT) | instid1(VALU_DEP_1)
	v_fma_f64 v[213:214], -v[209:210], v[211:212], 1.0
	v_fma_f64 v[211:212], v[211:212], v[213:214], v[211:212]
	s_delay_alu instid0(VALU_DEP_1) | instskip(NEXT) | instid1(VALU_DEP_1)
	v_mul_f64 v[213:214], v[215:216], v[211:212]
	v_fma_f64 v[209:210], -v[209:210], v[213:214], v[215:216]
	s_delay_alu instid0(VALU_DEP_1) | instskip(NEXT) | instid1(VALU_DEP_1)
	v_div_fmas_f64 v[209:210], v[209:210], v[211:212], v[213:214]
	v_div_fixup_f64 v[209:210], v[209:210], v[194:195], v[192:193]
	s_delay_alu instid0(VALU_DEP_1) | instskip(NEXT) | instid1(VALU_DEP_1)
	v_fma_f64 v[192:193], v[192:193], v[209:210], v[194:195]
	v_div_scale_f64 v[194:195], null, v[192:193], v[192:193], 1.0
	s_delay_alu instid0(VALU_DEP_1) | instskip(SKIP_2) | instid1(VALU_DEP_1)
	v_rcp_f64_e32 v[211:212], v[194:195]
	s_waitcnt_depctr 0xfff
	v_fma_f64 v[213:214], -v[194:195], v[211:212], 1.0
	v_fma_f64 v[211:212], v[211:212], v[213:214], v[211:212]
	s_delay_alu instid0(VALU_DEP_1) | instskip(NEXT) | instid1(VALU_DEP_1)
	v_fma_f64 v[213:214], -v[194:195], v[211:212], 1.0
	v_fma_f64 v[211:212], v[211:212], v[213:214], v[211:212]
	v_div_scale_f64 v[213:214], vcc_lo, 1.0, v[192:193], 1.0
	s_delay_alu instid0(VALU_DEP_1) | instskip(NEXT) | instid1(VALU_DEP_1)
	v_mul_f64 v[215:216], v[213:214], v[211:212]
	v_fma_f64 v[194:195], -v[194:195], v[215:216], v[213:214]
	s_delay_alu instid0(VALU_DEP_1) | instskip(NEXT) | instid1(VALU_DEP_1)
	v_div_fmas_f64 v[194:195], v[194:195], v[211:212], v[215:216]
	v_div_fixup_f64 v[194:195], v[194:195], v[192:193], 1.0
	s_delay_alu instid0(VALU_DEP_1)
	v_mul_f64 v[192:193], v[209:210], v[194:195]
	v_xor_b32_e32 v195, 0x80000000, v195
.LBB94_889:
	s_and_not1_saveexec_b32 s2, s2
	s_cbranch_execz .LBB94_891
; %bb.890:
	s_delay_alu instid0(VALU_DEP_1) | instskip(SKIP_1) | instid1(VALU_DEP_2)
	v_div_scale_f64 v[209:210], null, v[192:193], v[192:193], v[194:195]
	v_div_scale_f64 v[215:216], vcc_lo, v[194:195], v[192:193], v[194:195]
	v_rcp_f64_e32 v[211:212], v[209:210]
	s_waitcnt_depctr 0xfff
	v_fma_f64 v[213:214], -v[209:210], v[211:212], 1.0
	s_delay_alu instid0(VALU_DEP_1) | instskip(NEXT) | instid1(VALU_DEP_1)
	v_fma_f64 v[211:212], v[211:212], v[213:214], v[211:212]
	v_fma_f64 v[213:214], -v[209:210], v[211:212], 1.0
	s_delay_alu instid0(VALU_DEP_1) | instskip(NEXT) | instid1(VALU_DEP_1)
	v_fma_f64 v[211:212], v[211:212], v[213:214], v[211:212]
	v_mul_f64 v[213:214], v[215:216], v[211:212]
	s_delay_alu instid0(VALU_DEP_1) | instskip(NEXT) | instid1(VALU_DEP_1)
	v_fma_f64 v[209:210], -v[209:210], v[213:214], v[215:216]
	v_div_fmas_f64 v[209:210], v[209:210], v[211:212], v[213:214]
	s_delay_alu instid0(VALU_DEP_1) | instskip(NEXT) | instid1(VALU_DEP_1)
	v_div_fixup_f64 v[209:210], v[209:210], v[192:193], v[194:195]
	v_fma_f64 v[192:193], v[194:195], v[209:210], v[192:193]
	s_delay_alu instid0(VALU_DEP_1) | instskip(NEXT) | instid1(VALU_DEP_1)
	v_div_scale_f64 v[194:195], null, v[192:193], v[192:193], 1.0
	v_rcp_f64_e32 v[211:212], v[194:195]
	s_waitcnt_depctr 0xfff
	v_fma_f64 v[213:214], -v[194:195], v[211:212], 1.0
	s_delay_alu instid0(VALU_DEP_1) | instskip(NEXT) | instid1(VALU_DEP_1)
	v_fma_f64 v[211:212], v[211:212], v[213:214], v[211:212]
	v_fma_f64 v[213:214], -v[194:195], v[211:212], 1.0
	s_delay_alu instid0(VALU_DEP_1) | instskip(SKIP_1) | instid1(VALU_DEP_1)
	v_fma_f64 v[211:212], v[211:212], v[213:214], v[211:212]
	v_div_scale_f64 v[213:214], vcc_lo, 1.0, v[192:193], 1.0
	v_mul_f64 v[215:216], v[213:214], v[211:212]
	s_delay_alu instid0(VALU_DEP_1) | instskip(NEXT) | instid1(VALU_DEP_1)
	v_fma_f64 v[194:195], -v[194:195], v[215:216], v[213:214]
	v_div_fmas_f64 v[194:195], v[194:195], v[211:212], v[215:216]
	s_delay_alu instid0(VALU_DEP_1) | instskip(NEXT) | instid1(VALU_DEP_1)
	v_div_fixup_f64 v[192:193], v[194:195], v[192:193], 1.0
	v_mul_f64 v[194:195], v[209:210], -v[192:193]
.LBB94_891:
	s_or_b32 exec_lo, exec_lo, s2
.LBB94_892:
	s_delay_alu instid0(SALU_CYCLE_1) | instskip(NEXT) | instid1(SALU_CYCLE_1)
	s_or_b32 exec_lo, exec_lo, s3
	s_mov_b32 s2, exec_lo
	v_cmpx_ne_u32_e64 v208, v200
	s_xor_b32 s2, exec_lo, s2
	s_cbranch_execz .LBB94_898
; %bb.893:
	s_mov_b32 s3, exec_lo
	v_cmpx_eq_u32_e32 42, v208
	s_cbranch_execz .LBB94_897
; %bb.894:
	v_cmp_ne_u32_e32 vcc_lo, 42, v200
	s_xor_b32 s6, s4, -1
	s_delay_alu instid0(SALU_CYCLE_1) | instskip(NEXT) | instid1(SALU_CYCLE_1)
	s_and_b32 s7, s6, vcc_lo
	s_and_saveexec_b32 s6, s7
	s_cbranch_execz .LBB94_896
; %bb.895:
	v_ashrrev_i32_e32 v201, 31, v200
	s_delay_alu instid0(VALU_DEP_1) | instskip(NEXT) | instid1(VALU_DEP_1)
	v_lshlrev_b64 v[208:209], 2, v[200:201]
	v_add_co_u32 v208, vcc_lo, v198, v208
	s_delay_alu instid0(VALU_DEP_2)
	v_add_co_ci_u32_e32 v209, vcc_lo, v199, v209, vcc_lo
	s_clause 0x1
	flat_load_b32 v201, v[208:209]
	flat_load_b32 v206, v[198:199] offset:168
	s_waitcnt vmcnt(1) lgkmcnt(1)
	flat_store_b32 v[198:199], v201 offset:168
	s_waitcnt vmcnt(0) lgkmcnt(1)
	flat_store_b32 v[208:209], v206
.LBB94_896:
	s_or_b32 exec_lo, exec_lo, s6
	v_mov_b32_e32 v208, v200
	v_mov_b32_e32 v206, v200
.LBB94_897:
	s_or_b32 exec_lo, exec_lo, s3
.LBB94_898:
	s_and_not1_saveexec_b32 s2, s2
	s_cbranch_execz .LBB94_900
; %bb.899:
	v_mov_b32_e32 v208, 42
	ds_store_2addr_b64 v202, v[16:17], v[18:19] offset0:86 offset1:87
	ds_store_2addr_b64 v202, v[12:13], v[14:15] offset0:88 offset1:89
	;; [unrolled: 1-line block ×5, first 2 shown]
.LBB94_900:
	s_or_b32 exec_lo, exec_lo, s2
	s_delay_alu instid0(SALU_CYCLE_1)
	s_mov_b32 s2, exec_lo
	s_waitcnt lgkmcnt(0)
	s_waitcnt_vscnt null, 0x0
	s_barrier
	buffer_gl0_inv
	v_cmpx_lt_i32_e32 42, v208
	s_cbranch_execz .LBB94_902
; %bb.901:
	v_mul_f64 v[200:201], v[192:193], v[22:23]
	v_mul_f64 v[22:23], v[194:195], v[22:23]
	ds_load_2addr_b64 v[209:212], v202 offset0:86 offset1:87
	ds_load_2addr_b64 v[213:216], v202 offset0:88 offset1:89
	;; [unrolled: 1-line block ×5, first 2 shown]
	v_fma_f64 v[194:195], v[194:195], v[20:21], v[200:201]
	v_fma_f64 v[20:21], v[192:193], v[20:21], -v[22:23]
	s_waitcnt lgkmcnt(4)
	s_delay_alu instid0(VALU_DEP_2)
	v_mul_f64 v[22:23], v[211:212], v[194:195]
	v_mul_f64 v[192:193], v[209:210], v[194:195]
	s_waitcnt lgkmcnt(3)
	v_mul_f64 v[200:201], v[215:216], v[194:195]
	v_mul_f64 v[229:230], v[213:214], v[194:195]
	s_waitcnt lgkmcnt(2)
	;; [unrolled: 3-line block ×4, first 2 shown]
	v_mul_f64 v[239:240], v[227:228], v[194:195]
	v_mul_f64 v[241:242], v[225:226], v[194:195]
	v_fma_f64 v[22:23], v[209:210], v[20:21], -v[22:23]
	v_fma_f64 v[192:193], v[211:212], v[20:21], v[192:193]
	v_fma_f64 v[200:201], v[213:214], v[20:21], -v[200:201]
	v_fma_f64 v[209:210], v[215:216], v[20:21], v[229:230]
	;; [unrolled: 2-line block ×5, first 2 shown]
	v_add_f64 v[16:17], v[16:17], -v[22:23]
	v_add_f64 v[18:19], v[18:19], -v[192:193]
	;; [unrolled: 1-line block ×10, first 2 shown]
	v_dual_mov_b32 v22, v194 :: v_dual_mov_b32 v23, v195
.LBB94_902:
	s_or_b32 exec_lo, exec_lo, s2
	v_lshl_add_u32 v192, v208, 4, v202
	s_barrier
	buffer_gl0_inv
	v_mov_b32_e32 v200, 43
	ds_store_2addr_b64 v192, v[16:17], v[18:19] offset1:1
	s_waitcnt lgkmcnt(0)
	s_barrier
	buffer_gl0_inv
	ds_load_2addr_b64 v[192:195], v202 offset0:86 offset1:87
	s_cmp_lt_i32 s5, 45
	s_cbranch_scc1 .LBB94_905
; %bb.903:
	v_add3_u32 v201, v207, 0, 0x2c0
	v_mov_b32_e32 v200, 43
	s_mov_b32 s6, 44
	s_set_inst_prefetch_distance 0x1
	.p2align	6
.LBB94_904:                             ; =>This Inner Loop Header: Depth=1
	ds_load_2addr_b64 v[209:212], v201 offset1:1
	s_waitcnt lgkmcnt(1)
	v_cmp_gt_f64_e32 vcc_lo, 0, v[192:193]
	v_xor_b32_e32 v213, 0x80000000, v193
	v_cmp_gt_f64_e64 s2, 0, v[194:195]
	v_xor_b32_e32 v215, 0x80000000, v195
	v_add_nc_u32_e32 v201, 16, v201
	s_waitcnt lgkmcnt(0)
	v_cmp_gt_f64_e64 s3, 0, v[209:210]
	v_mov_b32_e32 v217, v209
	v_dual_mov_b32 v219, v211 :: v_dual_cndmask_b32 v214, v193, v213
	v_xor_b32_e32 v213, 0x80000000, v210
	v_cndmask_b32_e64 v216, v195, v215, s2
	v_xor_b32_e32 v215, 0x80000000, v212
	s_delay_alu instid0(VALU_DEP_3) | instskip(SKIP_2) | instid1(VALU_DEP_2)
	v_cndmask_b32_e64 v218, v210, v213, s3
	v_cmp_gt_f64_e64 s3, 0, v[211:212]
	v_cndmask_b32_e32 v213, v192, v192, vcc_lo
	v_cndmask_b32_e64 v220, v212, v215, s3
	v_cndmask_b32_e64 v215, v194, v194, s2
	s_delay_alu instid0(VALU_DEP_2) | instskip(NEXT) | instid1(VALU_DEP_2)
	v_add_f64 v[217:218], v[217:218], v[219:220]
	v_add_f64 v[213:214], v[213:214], v[215:216]
	s_delay_alu instid0(VALU_DEP_1) | instskip(SKIP_4) | instid1(SALU_CYCLE_1)
	v_cmp_lt_f64_e32 vcc_lo, v[213:214], v[217:218]
	v_dual_cndmask_b32 v194, v194, v211 :: v_dual_cndmask_b32 v193, v193, v210
	v_dual_cndmask_b32 v192, v192, v209 :: v_dual_cndmask_b32 v195, v195, v212
	v_cndmask_b32_e64 v200, v200, s6, vcc_lo
	s_add_i32 s6, s6, 1
	s_cmp_lg_u32 s5, s6
	s_cbranch_scc1 .LBB94_904
.LBB94_905:
	s_set_inst_prefetch_distance 0x2
	s_waitcnt lgkmcnt(0)
	v_cmp_eq_f64_e32 vcc_lo, 0, v[192:193]
	v_cmp_eq_f64_e64 s2, 0, v[194:195]
	s_delay_alu instid0(VALU_DEP_1) | instskip(NEXT) | instid1(SALU_CYCLE_1)
	s_and_b32 s2, vcc_lo, s2
	s_and_saveexec_b32 s3, s2
	s_delay_alu instid0(SALU_CYCLE_1)
	s_xor_b32 s2, exec_lo, s3
; %bb.906:
	v_cmp_ne_u32_e32 vcc_lo, 0, v205
	v_cndmask_b32_e32 v205, 44, v205, vcc_lo
; %bb.907:
	s_and_not1_saveexec_b32 s3, s2
	s_cbranch_execz .LBB94_913
; %bb.908:
	v_cmp_gt_f64_e32 vcc_lo, 0, v[192:193]
	v_cmp_gt_f64_e64 s2, 0, v[194:195]
	v_xor_b32_e32 v201, 0x80000000, v193
	v_xor_b32_e32 v209, 0x80000000, v195
	s_delay_alu instid0(VALU_DEP_2) | instskip(NEXT) | instid1(VALU_DEP_2)
	v_cndmask_b32_e32 v210, v193, v201, vcc_lo
	v_cndmask_b32_e64 v212, v195, v209, s2
	v_cndmask_b32_e32 v209, v192, v192, vcc_lo
	v_cndmask_b32_e64 v211, v194, v194, s2
	s_mov_b32 s2, exec_lo
	s_delay_alu instid0(VALU_DEP_1)
	v_cmpx_ngt_f64_e32 v[209:210], v[211:212]
	s_xor_b32 s2, exec_lo, s2
	s_cbranch_execz .LBB94_910
; %bb.909:
	v_div_scale_f64 v[209:210], null, v[194:195], v[194:195], v[192:193]
	v_div_scale_f64 v[215:216], vcc_lo, v[192:193], v[194:195], v[192:193]
	s_delay_alu instid0(VALU_DEP_2) | instskip(SKIP_2) | instid1(VALU_DEP_1)
	v_rcp_f64_e32 v[211:212], v[209:210]
	s_waitcnt_depctr 0xfff
	v_fma_f64 v[213:214], -v[209:210], v[211:212], 1.0
	v_fma_f64 v[211:212], v[211:212], v[213:214], v[211:212]
	s_delay_alu instid0(VALU_DEP_1) | instskip(NEXT) | instid1(VALU_DEP_1)
	v_fma_f64 v[213:214], -v[209:210], v[211:212], 1.0
	v_fma_f64 v[211:212], v[211:212], v[213:214], v[211:212]
	s_delay_alu instid0(VALU_DEP_1) | instskip(NEXT) | instid1(VALU_DEP_1)
	v_mul_f64 v[213:214], v[215:216], v[211:212]
	v_fma_f64 v[209:210], -v[209:210], v[213:214], v[215:216]
	s_delay_alu instid0(VALU_DEP_1) | instskip(NEXT) | instid1(VALU_DEP_1)
	v_div_fmas_f64 v[209:210], v[209:210], v[211:212], v[213:214]
	v_div_fixup_f64 v[209:210], v[209:210], v[194:195], v[192:193]
	s_delay_alu instid0(VALU_DEP_1) | instskip(NEXT) | instid1(VALU_DEP_1)
	v_fma_f64 v[192:193], v[192:193], v[209:210], v[194:195]
	v_div_scale_f64 v[194:195], null, v[192:193], v[192:193], 1.0
	s_delay_alu instid0(VALU_DEP_1) | instskip(SKIP_2) | instid1(VALU_DEP_1)
	v_rcp_f64_e32 v[211:212], v[194:195]
	s_waitcnt_depctr 0xfff
	v_fma_f64 v[213:214], -v[194:195], v[211:212], 1.0
	v_fma_f64 v[211:212], v[211:212], v[213:214], v[211:212]
	s_delay_alu instid0(VALU_DEP_1) | instskip(NEXT) | instid1(VALU_DEP_1)
	v_fma_f64 v[213:214], -v[194:195], v[211:212], 1.0
	v_fma_f64 v[211:212], v[211:212], v[213:214], v[211:212]
	v_div_scale_f64 v[213:214], vcc_lo, 1.0, v[192:193], 1.0
	s_delay_alu instid0(VALU_DEP_1) | instskip(NEXT) | instid1(VALU_DEP_1)
	v_mul_f64 v[215:216], v[213:214], v[211:212]
	v_fma_f64 v[194:195], -v[194:195], v[215:216], v[213:214]
	s_delay_alu instid0(VALU_DEP_1) | instskip(NEXT) | instid1(VALU_DEP_1)
	v_div_fmas_f64 v[194:195], v[194:195], v[211:212], v[215:216]
	v_div_fixup_f64 v[194:195], v[194:195], v[192:193], 1.0
	s_delay_alu instid0(VALU_DEP_1)
	v_mul_f64 v[192:193], v[209:210], v[194:195]
	v_xor_b32_e32 v195, 0x80000000, v195
.LBB94_910:
	s_and_not1_saveexec_b32 s2, s2
	s_cbranch_execz .LBB94_912
; %bb.911:
	s_delay_alu instid0(VALU_DEP_1) | instskip(SKIP_1) | instid1(VALU_DEP_2)
	v_div_scale_f64 v[209:210], null, v[192:193], v[192:193], v[194:195]
	v_div_scale_f64 v[215:216], vcc_lo, v[194:195], v[192:193], v[194:195]
	v_rcp_f64_e32 v[211:212], v[209:210]
	s_waitcnt_depctr 0xfff
	v_fma_f64 v[213:214], -v[209:210], v[211:212], 1.0
	s_delay_alu instid0(VALU_DEP_1) | instskip(NEXT) | instid1(VALU_DEP_1)
	v_fma_f64 v[211:212], v[211:212], v[213:214], v[211:212]
	v_fma_f64 v[213:214], -v[209:210], v[211:212], 1.0
	s_delay_alu instid0(VALU_DEP_1) | instskip(NEXT) | instid1(VALU_DEP_1)
	v_fma_f64 v[211:212], v[211:212], v[213:214], v[211:212]
	v_mul_f64 v[213:214], v[215:216], v[211:212]
	s_delay_alu instid0(VALU_DEP_1) | instskip(NEXT) | instid1(VALU_DEP_1)
	v_fma_f64 v[209:210], -v[209:210], v[213:214], v[215:216]
	v_div_fmas_f64 v[209:210], v[209:210], v[211:212], v[213:214]
	s_delay_alu instid0(VALU_DEP_1) | instskip(NEXT) | instid1(VALU_DEP_1)
	v_div_fixup_f64 v[209:210], v[209:210], v[192:193], v[194:195]
	v_fma_f64 v[192:193], v[194:195], v[209:210], v[192:193]
	s_delay_alu instid0(VALU_DEP_1) | instskip(NEXT) | instid1(VALU_DEP_1)
	v_div_scale_f64 v[194:195], null, v[192:193], v[192:193], 1.0
	v_rcp_f64_e32 v[211:212], v[194:195]
	s_waitcnt_depctr 0xfff
	v_fma_f64 v[213:214], -v[194:195], v[211:212], 1.0
	s_delay_alu instid0(VALU_DEP_1) | instskip(NEXT) | instid1(VALU_DEP_1)
	v_fma_f64 v[211:212], v[211:212], v[213:214], v[211:212]
	v_fma_f64 v[213:214], -v[194:195], v[211:212], 1.0
	s_delay_alu instid0(VALU_DEP_1) | instskip(SKIP_1) | instid1(VALU_DEP_1)
	v_fma_f64 v[211:212], v[211:212], v[213:214], v[211:212]
	v_div_scale_f64 v[213:214], vcc_lo, 1.0, v[192:193], 1.0
	v_mul_f64 v[215:216], v[213:214], v[211:212]
	s_delay_alu instid0(VALU_DEP_1) | instskip(NEXT) | instid1(VALU_DEP_1)
	v_fma_f64 v[194:195], -v[194:195], v[215:216], v[213:214]
	v_div_fmas_f64 v[194:195], v[194:195], v[211:212], v[215:216]
	s_delay_alu instid0(VALU_DEP_1) | instskip(NEXT) | instid1(VALU_DEP_1)
	v_div_fixup_f64 v[192:193], v[194:195], v[192:193], 1.0
	v_mul_f64 v[194:195], v[209:210], -v[192:193]
.LBB94_912:
	s_or_b32 exec_lo, exec_lo, s2
.LBB94_913:
	s_delay_alu instid0(SALU_CYCLE_1) | instskip(NEXT) | instid1(SALU_CYCLE_1)
	s_or_b32 exec_lo, exec_lo, s3
	s_mov_b32 s2, exec_lo
	v_cmpx_ne_u32_e64 v208, v200
	s_xor_b32 s2, exec_lo, s2
	s_cbranch_execz .LBB94_919
; %bb.914:
	s_mov_b32 s3, exec_lo
	v_cmpx_eq_u32_e32 43, v208
	s_cbranch_execz .LBB94_918
; %bb.915:
	v_cmp_ne_u32_e32 vcc_lo, 43, v200
	s_xor_b32 s6, s4, -1
	s_delay_alu instid0(SALU_CYCLE_1) | instskip(NEXT) | instid1(SALU_CYCLE_1)
	s_and_b32 s7, s6, vcc_lo
	s_and_saveexec_b32 s6, s7
	s_cbranch_execz .LBB94_917
; %bb.916:
	v_ashrrev_i32_e32 v201, 31, v200
	s_delay_alu instid0(VALU_DEP_1) | instskip(NEXT) | instid1(VALU_DEP_1)
	v_lshlrev_b64 v[208:209], 2, v[200:201]
	v_add_co_u32 v208, vcc_lo, v198, v208
	s_delay_alu instid0(VALU_DEP_2)
	v_add_co_ci_u32_e32 v209, vcc_lo, v199, v209, vcc_lo
	s_clause 0x1
	flat_load_b32 v201, v[208:209]
	flat_load_b32 v206, v[198:199] offset:172
	s_waitcnt vmcnt(1) lgkmcnt(1)
	flat_store_b32 v[198:199], v201 offset:172
	s_waitcnt vmcnt(0) lgkmcnt(1)
	flat_store_b32 v[208:209], v206
.LBB94_917:
	s_or_b32 exec_lo, exec_lo, s6
	v_mov_b32_e32 v208, v200
	v_mov_b32_e32 v206, v200
.LBB94_918:
	s_or_b32 exec_lo, exec_lo, s3
.LBB94_919:
	s_and_not1_saveexec_b32 s2, s2
	s_cbranch_execz .LBB94_921
; %bb.920:
	v_mov_b32_e32 v208, 43
	ds_store_2addr_b64 v202, v[12:13], v[14:15] offset0:88 offset1:89
	ds_store_2addr_b64 v202, v[8:9], v[10:11] offset0:90 offset1:91
	;; [unrolled: 1-line block ×4, first 2 shown]
.LBB94_921:
	s_or_b32 exec_lo, exec_lo, s2
	s_delay_alu instid0(SALU_CYCLE_1)
	s_mov_b32 s2, exec_lo
	s_waitcnt lgkmcnt(0)
	s_waitcnt_vscnt null, 0x0
	s_barrier
	buffer_gl0_inv
	v_cmpx_lt_i32_e32 43, v208
	s_cbranch_execz .LBB94_923
; %bb.922:
	v_mul_f64 v[200:201], v[192:193], v[18:19]
	v_mul_f64 v[18:19], v[194:195], v[18:19]
	ds_load_2addr_b64 v[209:212], v202 offset0:88 offset1:89
	ds_load_2addr_b64 v[213:216], v202 offset0:90 offset1:91
	;; [unrolled: 1-line block ×4, first 2 shown]
	v_fma_f64 v[194:195], v[194:195], v[16:17], v[200:201]
	v_fma_f64 v[16:17], v[192:193], v[16:17], -v[18:19]
	s_waitcnt lgkmcnt(3)
	s_delay_alu instid0(VALU_DEP_2)
	v_mul_f64 v[18:19], v[211:212], v[194:195]
	v_mul_f64 v[192:193], v[209:210], v[194:195]
	s_waitcnt lgkmcnt(2)
	v_mul_f64 v[200:201], v[215:216], v[194:195]
	v_mul_f64 v[225:226], v[213:214], v[194:195]
	s_waitcnt lgkmcnt(1)
	;; [unrolled: 3-line block ×3, first 2 shown]
	v_mul_f64 v[231:232], v[223:224], v[194:195]
	v_mul_f64 v[233:234], v[221:222], v[194:195]
	v_fma_f64 v[18:19], v[209:210], v[16:17], -v[18:19]
	v_fma_f64 v[192:193], v[211:212], v[16:17], v[192:193]
	v_fma_f64 v[200:201], v[213:214], v[16:17], -v[200:201]
	v_fma_f64 v[209:210], v[215:216], v[16:17], v[225:226]
	;; [unrolled: 2-line block ×4, first 2 shown]
	v_add_f64 v[12:13], v[12:13], -v[18:19]
	v_add_f64 v[14:15], v[14:15], -v[192:193]
	;; [unrolled: 1-line block ×8, first 2 shown]
	v_dual_mov_b32 v18, v194 :: v_dual_mov_b32 v19, v195
.LBB94_923:
	s_or_b32 exec_lo, exec_lo, s2
	v_lshl_add_u32 v192, v208, 4, v202
	s_barrier
	buffer_gl0_inv
	v_mov_b32_e32 v200, 44
	ds_store_2addr_b64 v192, v[12:13], v[14:15] offset1:1
	s_waitcnt lgkmcnt(0)
	s_barrier
	buffer_gl0_inv
	ds_load_2addr_b64 v[192:195], v202 offset0:88 offset1:89
	s_cmp_lt_i32 s5, 46
	s_cbranch_scc1 .LBB94_926
; %bb.924:
	v_add3_u32 v201, v207, 0, 0x2d0
	v_mov_b32_e32 v200, 44
	s_mov_b32 s6, 45
	s_set_inst_prefetch_distance 0x1
	.p2align	6
.LBB94_925:                             ; =>This Inner Loop Header: Depth=1
	ds_load_2addr_b64 v[209:212], v201 offset1:1
	s_waitcnt lgkmcnt(1)
	v_cmp_gt_f64_e32 vcc_lo, 0, v[192:193]
	v_xor_b32_e32 v213, 0x80000000, v193
	v_cmp_gt_f64_e64 s2, 0, v[194:195]
	v_xor_b32_e32 v215, 0x80000000, v195
	v_add_nc_u32_e32 v201, 16, v201
	s_waitcnt lgkmcnt(0)
	v_cmp_gt_f64_e64 s3, 0, v[209:210]
	v_mov_b32_e32 v217, v209
	v_dual_mov_b32 v219, v211 :: v_dual_cndmask_b32 v214, v193, v213
	v_xor_b32_e32 v213, 0x80000000, v210
	v_cndmask_b32_e64 v216, v195, v215, s2
	v_xor_b32_e32 v215, 0x80000000, v212
	s_delay_alu instid0(VALU_DEP_3) | instskip(SKIP_2) | instid1(VALU_DEP_2)
	v_cndmask_b32_e64 v218, v210, v213, s3
	v_cmp_gt_f64_e64 s3, 0, v[211:212]
	v_cndmask_b32_e32 v213, v192, v192, vcc_lo
	v_cndmask_b32_e64 v220, v212, v215, s3
	v_cndmask_b32_e64 v215, v194, v194, s2
	s_delay_alu instid0(VALU_DEP_2) | instskip(NEXT) | instid1(VALU_DEP_2)
	v_add_f64 v[217:218], v[217:218], v[219:220]
	v_add_f64 v[213:214], v[213:214], v[215:216]
	s_delay_alu instid0(VALU_DEP_1) | instskip(SKIP_4) | instid1(SALU_CYCLE_1)
	v_cmp_lt_f64_e32 vcc_lo, v[213:214], v[217:218]
	v_dual_cndmask_b32 v194, v194, v211 :: v_dual_cndmask_b32 v193, v193, v210
	v_dual_cndmask_b32 v192, v192, v209 :: v_dual_cndmask_b32 v195, v195, v212
	v_cndmask_b32_e64 v200, v200, s6, vcc_lo
	s_add_i32 s6, s6, 1
	s_cmp_lg_u32 s5, s6
	s_cbranch_scc1 .LBB94_925
.LBB94_926:
	s_set_inst_prefetch_distance 0x2
	s_waitcnt lgkmcnt(0)
	v_cmp_eq_f64_e32 vcc_lo, 0, v[192:193]
	v_cmp_eq_f64_e64 s2, 0, v[194:195]
	s_delay_alu instid0(VALU_DEP_1) | instskip(NEXT) | instid1(SALU_CYCLE_1)
	s_and_b32 s2, vcc_lo, s2
	s_and_saveexec_b32 s3, s2
	s_delay_alu instid0(SALU_CYCLE_1)
	s_xor_b32 s2, exec_lo, s3
; %bb.927:
	v_cmp_ne_u32_e32 vcc_lo, 0, v205
	v_cndmask_b32_e32 v205, 45, v205, vcc_lo
; %bb.928:
	s_and_not1_saveexec_b32 s3, s2
	s_cbranch_execz .LBB94_934
; %bb.929:
	v_cmp_gt_f64_e32 vcc_lo, 0, v[192:193]
	v_cmp_gt_f64_e64 s2, 0, v[194:195]
	v_xor_b32_e32 v201, 0x80000000, v193
	v_xor_b32_e32 v209, 0x80000000, v195
	s_delay_alu instid0(VALU_DEP_2) | instskip(NEXT) | instid1(VALU_DEP_2)
	v_cndmask_b32_e32 v210, v193, v201, vcc_lo
	v_cndmask_b32_e64 v212, v195, v209, s2
	v_cndmask_b32_e32 v209, v192, v192, vcc_lo
	v_cndmask_b32_e64 v211, v194, v194, s2
	s_mov_b32 s2, exec_lo
	s_delay_alu instid0(VALU_DEP_1)
	v_cmpx_ngt_f64_e32 v[209:210], v[211:212]
	s_xor_b32 s2, exec_lo, s2
	s_cbranch_execz .LBB94_931
; %bb.930:
	v_div_scale_f64 v[209:210], null, v[194:195], v[194:195], v[192:193]
	v_div_scale_f64 v[215:216], vcc_lo, v[192:193], v[194:195], v[192:193]
	s_delay_alu instid0(VALU_DEP_2) | instskip(SKIP_2) | instid1(VALU_DEP_1)
	v_rcp_f64_e32 v[211:212], v[209:210]
	s_waitcnt_depctr 0xfff
	v_fma_f64 v[213:214], -v[209:210], v[211:212], 1.0
	v_fma_f64 v[211:212], v[211:212], v[213:214], v[211:212]
	s_delay_alu instid0(VALU_DEP_1) | instskip(NEXT) | instid1(VALU_DEP_1)
	v_fma_f64 v[213:214], -v[209:210], v[211:212], 1.0
	v_fma_f64 v[211:212], v[211:212], v[213:214], v[211:212]
	s_delay_alu instid0(VALU_DEP_1) | instskip(NEXT) | instid1(VALU_DEP_1)
	v_mul_f64 v[213:214], v[215:216], v[211:212]
	v_fma_f64 v[209:210], -v[209:210], v[213:214], v[215:216]
	s_delay_alu instid0(VALU_DEP_1) | instskip(NEXT) | instid1(VALU_DEP_1)
	v_div_fmas_f64 v[209:210], v[209:210], v[211:212], v[213:214]
	v_div_fixup_f64 v[209:210], v[209:210], v[194:195], v[192:193]
	s_delay_alu instid0(VALU_DEP_1) | instskip(NEXT) | instid1(VALU_DEP_1)
	v_fma_f64 v[192:193], v[192:193], v[209:210], v[194:195]
	v_div_scale_f64 v[194:195], null, v[192:193], v[192:193], 1.0
	s_delay_alu instid0(VALU_DEP_1) | instskip(SKIP_2) | instid1(VALU_DEP_1)
	v_rcp_f64_e32 v[211:212], v[194:195]
	s_waitcnt_depctr 0xfff
	v_fma_f64 v[213:214], -v[194:195], v[211:212], 1.0
	v_fma_f64 v[211:212], v[211:212], v[213:214], v[211:212]
	s_delay_alu instid0(VALU_DEP_1) | instskip(NEXT) | instid1(VALU_DEP_1)
	v_fma_f64 v[213:214], -v[194:195], v[211:212], 1.0
	v_fma_f64 v[211:212], v[211:212], v[213:214], v[211:212]
	v_div_scale_f64 v[213:214], vcc_lo, 1.0, v[192:193], 1.0
	s_delay_alu instid0(VALU_DEP_1) | instskip(NEXT) | instid1(VALU_DEP_1)
	v_mul_f64 v[215:216], v[213:214], v[211:212]
	v_fma_f64 v[194:195], -v[194:195], v[215:216], v[213:214]
	s_delay_alu instid0(VALU_DEP_1) | instskip(NEXT) | instid1(VALU_DEP_1)
	v_div_fmas_f64 v[194:195], v[194:195], v[211:212], v[215:216]
	v_div_fixup_f64 v[194:195], v[194:195], v[192:193], 1.0
	s_delay_alu instid0(VALU_DEP_1)
	v_mul_f64 v[192:193], v[209:210], v[194:195]
	v_xor_b32_e32 v195, 0x80000000, v195
.LBB94_931:
	s_and_not1_saveexec_b32 s2, s2
	s_cbranch_execz .LBB94_933
; %bb.932:
	s_delay_alu instid0(VALU_DEP_1) | instskip(SKIP_1) | instid1(VALU_DEP_2)
	v_div_scale_f64 v[209:210], null, v[192:193], v[192:193], v[194:195]
	v_div_scale_f64 v[215:216], vcc_lo, v[194:195], v[192:193], v[194:195]
	v_rcp_f64_e32 v[211:212], v[209:210]
	s_waitcnt_depctr 0xfff
	v_fma_f64 v[213:214], -v[209:210], v[211:212], 1.0
	s_delay_alu instid0(VALU_DEP_1) | instskip(NEXT) | instid1(VALU_DEP_1)
	v_fma_f64 v[211:212], v[211:212], v[213:214], v[211:212]
	v_fma_f64 v[213:214], -v[209:210], v[211:212], 1.0
	s_delay_alu instid0(VALU_DEP_1) | instskip(NEXT) | instid1(VALU_DEP_1)
	v_fma_f64 v[211:212], v[211:212], v[213:214], v[211:212]
	v_mul_f64 v[213:214], v[215:216], v[211:212]
	s_delay_alu instid0(VALU_DEP_1) | instskip(NEXT) | instid1(VALU_DEP_1)
	v_fma_f64 v[209:210], -v[209:210], v[213:214], v[215:216]
	v_div_fmas_f64 v[209:210], v[209:210], v[211:212], v[213:214]
	s_delay_alu instid0(VALU_DEP_1) | instskip(NEXT) | instid1(VALU_DEP_1)
	v_div_fixup_f64 v[209:210], v[209:210], v[192:193], v[194:195]
	v_fma_f64 v[192:193], v[194:195], v[209:210], v[192:193]
	s_delay_alu instid0(VALU_DEP_1) | instskip(NEXT) | instid1(VALU_DEP_1)
	v_div_scale_f64 v[194:195], null, v[192:193], v[192:193], 1.0
	v_rcp_f64_e32 v[211:212], v[194:195]
	s_waitcnt_depctr 0xfff
	v_fma_f64 v[213:214], -v[194:195], v[211:212], 1.0
	s_delay_alu instid0(VALU_DEP_1) | instskip(NEXT) | instid1(VALU_DEP_1)
	v_fma_f64 v[211:212], v[211:212], v[213:214], v[211:212]
	v_fma_f64 v[213:214], -v[194:195], v[211:212], 1.0
	s_delay_alu instid0(VALU_DEP_1) | instskip(SKIP_1) | instid1(VALU_DEP_1)
	v_fma_f64 v[211:212], v[211:212], v[213:214], v[211:212]
	v_div_scale_f64 v[213:214], vcc_lo, 1.0, v[192:193], 1.0
	v_mul_f64 v[215:216], v[213:214], v[211:212]
	s_delay_alu instid0(VALU_DEP_1) | instskip(NEXT) | instid1(VALU_DEP_1)
	v_fma_f64 v[194:195], -v[194:195], v[215:216], v[213:214]
	v_div_fmas_f64 v[194:195], v[194:195], v[211:212], v[215:216]
	s_delay_alu instid0(VALU_DEP_1) | instskip(NEXT) | instid1(VALU_DEP_1)
	v_div_fixup_f64 v[192:193], v[194:195], v[192:193], 1.0
	v_mul_f64 v[194:195], v[209:210], -v[192:193]
.LBB94_933:
	s_or_b32 exec_lo, exec_lo, s2
.LBB94_934:
	s_delay_alu instid0(SALU_CYCLE_1) | instskip(NEXT) | instid1(SALU_CYCLE_1)
	s_or_b32 exec_lo, exec_lo, s3
	s_mov_b32 s2, exec_lo
	v_cmpx_ne_u32_e64 v208, v200
	s_xor_b32 s2, exec_lo, s2
	s_cbranch_execz .LBB94_940
; %bb.935:
	s_mov_b32 s3, exec_lo
	v_cmpx_eq_u32_e32 44, v208
	s_cbranch_execz .LBB94_939
; %bb.936:
	v_cmp_ne_u32_e32 vcc_lo, 44, v200
	s_xor_b32 s6, s4, -1
	s_delay_alu instid0(SALU_CYCLE_1) | instskip(NEXT) | instid1(SALU_CYCLE_1)
	s_and_b32 s7, s6, vcc_lo
	s_and_saveexec_b32 s6, s7
	s_cbranch_execz .LBB94_938
; %bb.937:
	v_ashrrev_i32_e32 v201, 31, v200
	s_delay_alu instid0(VALU_DEP_1) | instskip(NEXT) | instid1(VALU_DEP_1)
	v_lshlrev_b64 v[208:209], 2, v[200:201]
	v_add_co_u32 v208, vcc_lo, v198, v208
	s_delay_alu instid0(VALU_DEP_2)
	v_add_co_ci_u32_e32 v209, vcc_lo, v199, v209, vcc_lo
	s_clause 0x1
	flat_load_b32 v201, v[208:209]
	flat_load_b32 v206, v[198:199] offset:176
	s_waitcnt vmcnt(1) lgkmcnt(1)
	flat_store_b32 v[198:199], v201 offset:176
	s_waitcnt vmcnt(0) lgkmcnt(1)
	flat_store_b32 v[208:209], v206
.LBB94_938:
	s_or_b32 exec_lo, exec_lo, s6
	v_mov_b32_e32 v208, v200
	v_mov_b32_e32 v206, v200
.LBB94_939:
	s_or_b32 exec_lo, exec_lo, s3
.LBB94_940:
	s_and_not1_saveexec_b32 s2, s2
	s_cbranch_execz .LBB94_942
; %bb.941:
	v_mov_b32_e32 v208, 44
	ds_store_2addr_b64 v202, v[8:9], v[10:11] offset0:90 offset1:91
	ds_store_2addr_b64 v202, v[4:5], v[6:7] offset0:92 offset1:93
	;; [unrolled: 1-line block ×3, first 2 shown]
.LBB94_942:
	s_or_b32 exec_lo, exec_lo, s2
	s_delay_alu instid0(SALU_CYCLE_1)
	s_mov_b32 s2, exec_lo
	s_waitcnt lgkmcnt(0)
	s_waitcnt_vscnt null, 0x0
	s_barrier
	buffer_gl0_inv
	v_cmpx_lt_i32_e32 44, v208
	s_cbranch_execz .LBB94_944
; %bb.943:
	v_mul_f64 v[200:201], v[192:193], v[14:15]
	v_mul_f64 v[14:15], v[194:195], v[14:15]
	ds_load_2addr_b64 v[209:212], v202 offset0:90 offset1:91
	ds_load_2addr_b64 v[213:216], v202 offset0:92 offset1:93
	;; [unrolled: 1-line block ×3, first 2 shown]
	v_fma_f64 v[194:195], v[194:195], v[12:13], v[200:201]
	v_fma_f64 v[12:13], v[192:193], v[12:13], -v[14:15]
	s_waitcnt lgkmcnt(2)
	s_delay_alu instid0(VALU_DEP_2)
	v_mul_f64 v[14:15], v[211:212], v[194:195]
	v_mul_f64 v[192:193], v[209:210], v[194:195]
	s_waitcnt lgkmcnt(1)
	v_mul_f64 v[200:201], v[215:216], v[194:195]
	v_mul_f64 v[221:222], v[213:214], v[194:195]
	s_waitcnt lgkmcnt(0)
	v_mul_f64 v[223:224], v[219:220], v[194:195]
	v_mul_f64 v[225:226], v[217:218], v[194:195]
	v_fma_f64 v[14:15], v[209:210], v[12:13], -v[14:15]
	v_fma_f64 v[192:193], v[211:212], v[12:13], v[192:193]
	v_fma_f64 v[200:201], v[213:214], v[12:13], -v[200:201]
	v_fma_f64 v[209:210], v[215:216], v[12:13], v[221:222]
	;; [unrolled: 2-line block ×3, first 2 shown]
	v_add_f64 v[8:9], v[8:9], -v[14:15]
	v_add_f64 v[10:11], v[10:11], -v[192:193]
	;; [unrolled: 1-line block ×6, first 2 shown]
	v_dual_mov_b32 v14, v194 :: v_dual_mov_b32 v15, v195
.LBB94_944:
	s_or_b32 exec_lo, exec_lo, s2
	v_lshl_add_u32 v192, v208, 4, v202
	s_barrier
	buffer_gl0_inv
	v_mov_b32_e32 v200, 45
	ds_store_2addr_b64 v192, v[8:9], v[10:11] offset1:1
	s_waitcnt lgkmcnt(0)
	s_barrier
	buffer_gl0_inv
	ds_load_2addr_b64 v[192:195], v202 offset0:90 offset1:91
	s_cmp_lt_i32 s5, 47
	s_cbranch_scc1 .LBB94_947
; %bb.945:
	v_add3_u32 v201, v207, 0, 0x2e0
	v_mov_b32_e32 v200, 45
	s_mov_b32 s6, 46
	s_set_inst_prefetch_distance 0x1
	.p2align	6
.LBB94_946:                             ; =>This Inner Loop Header: Depth=1
	ds_load_2addr_b64 v[209:212], v201 offset1:1
	s_waitcnt lgkmcnt(1)
	v_cmp_gt_f64_e32 vcc_lo, 0, v[192:193]
	v_xor_b32_e32 v213, 0x80000000, v193
	v_cmp_gt_f64_e64 s2, 0, v[194:195]
	v_xor_b32_e32 v215, 0x80000000, v195
	v_add_nc_u32_e32 v201, 16, v201
	s_waitcnt lgkmcnt(0)
	v_cmp_gt_f64_e64 s3, 0, v[209:210]
	v_mov_b32_e32 v217, v209
	v_dual_mov_b32 v219, v211 :: v_dual_cndmask_b32 v214, v193, v213
	v_xor_b32_e32 v213, 0x80000000, v210
	v_cndmask_b32_e64 v216, v195, v215, s2
	v_xor_b32_e32 v215, 0x80000000, v212
	s_delay_alu instid0(VALU_DEP_3) | instskip(SKIP_2) | instid1(VALU_DEP_2)
	v_cndmask_b32_e64 v218, v210, v213, s3
	v_cmp_gt_f64_e64 s3, 0, v[211:212]
	v_cndmask_b32_e32 v213, v192, v192, vcc_lo
	v_cndmask_b32_e64 v220, v212, v215, s3
	v_cndmask_b32_e64 v215, v194, v194, s2
	s_delay_alu instid0(VALU_DEP_2) | instskip(NEXT) | instid1(VALU_DEP_2)
	v_add_f64 v[217:218], v[217:218], v[219:220]
	v_add_f64 v[213:214], v[213:214], v[215:216]
	s_delay_alu instid0(VALU_DEP_1) | instskip(SKIP_4) | instid1(SALU_CYCLE_1)
	v_cmp_lt_f64_e32 vcc_lo, v[213:214], v[217:218]
	v_dual_cndmask_b32 v194, v194, v211 :: v_dual_cndmask_b32 v193, v193, v210
	v_dual_cndmask_b32 v192, v192, v209 :: v_dual_cndmask_b32 v195, v195, v212
	v_cndmask_b32_e64 v200, v200, s6, vcc_lo
	s_add_i32 s6, s6, 1
	s_cmp_lg_u32 s5, s6
	s_cbranch_scc1 .LBB94_946
.LBB94_947:
	s_set_inst_prefetch_distance 0x2
	s_waitcnt lgkmcnt(0)
	v_cmp_eq_f64_e32 vcc_lo, 0, v[192:193]
	v_cmp_eq_f64_e64 s2, 0, v[194:195]
	s_delay_alu instid0(VALU_DEP_1) | instskip(NEXT) | instid1(SALU_CYCLE_1)
	s_and_b32 s2, vcc_lo, s2
	s_and_saveexec_b32 s3, s2
	s_delay_alu instid0(SALU_CYCLE_1)
	s_xor_b32 s2, exec_lo, s3
; %bb.948:
	v_cmp_ne_u32_e32 vcc_lo, 0, v205
	v_cndmask_b32_e32 v205, 46, v205, vcc_lo
; %bb.949:
	s_and_not1_saveexec_b32 s3, s2
	s_cbranch_execz .LBB94_955
; %bb.950:
	v_cmp_gt_f64_e32 vcc_lo, 0, v[192:193]
	v_cmp_gt_f64_e64 s2, 0, v[194:195]
	v_xor_b32_e32 v201, 0x80000000, v193
	v_xor_b32_e32 v209, 0x80000000, v195
	s_delay_alu instid0(VALU_DEP_2) | instskip(NEXT) | instid1(VALU_DEP_2)
	v_cndmask_b32_e32 v210, v193, v201, vcc_lo
	v_cndmask_b32_e64 v212, v195, v209, s2
	v_cndmask_b32_e32 v209, v192, v192, vcc_lo
	v_cndmask_b32_e64 v211, v194, v194, s2
	s_mov_b32 s2, exec_lo
	s_delay_alu instid0(VALU_DEP_1)
	v_cmpx_ngt_f64_e32 v[209:210], v[211:212]
	s_xor_b32 s2, exec_lo, s2
	s_cbranch_execz .LBB94_952
; %bb.951:
	v_div_scale_f64 v[209:210], null, v[194:195], v[194:195], v[192:193]
	v_div_scale_f64 v[215:216], vcc_lo, v[192:193], v[194:195], v[192:193]
	s_delay_alu instid0(VALU_DEP_2) | instskip(SKIP_2) | instid1(VALU_DEP_1)
	v_rcp_f64_e32 v[211:212], v[209:210]
	s_waitcnt_depctr 0xfff
	v_fma_f64 v[213:214], -v[209:210], v[211:212], 1.0
	v_fma_f64 v[211:212], v[211:212], v[213:214], v[211:212]
	s_delay_alu instid0(VALU_DEP_1) | instskip(NEXT) | instid1(VALU_DEP_1)
	v_fma_f64 v[213:214], -v[209:210], v[211:212], 1.0
	v_fma_f64 v[211:212], v[211:212], v[213:214], v[211:212]
	s_delay_alu instid0(VALU_DEP_1) | instskip(NEXT) | instid1(VALU_DEP_1)
	v_mul_f64 v[213:214], v[215:216], v[211:212]
	v_fma_f64 v[209:210], -v[209:210], v[213:214], v[215:216]
	s_delay_alu instid0(VALU_DEP_1) | instskip(NEXT) | instid1(VALU_DEP_1)
	v_div_fmas_f64 v[209:210], v[209:210], v[211:212], v[213:214]
	v_div_fixup_f64 v[209:210], v[209:210], v[194:195], v[192:193]
	s_delay_alu instid0(VALU_DEP_1) | instskip(NEXT) | instid1(VALU_DEP_1)
	v_fma_f64 v[192:193], v[192:193], v[209:210], v[194:195]
	v_div_scale_f64 v[194:195], null, v[192:193], v[192:193], 1.0
	s_delay_alu instid0(VALU_DEP_1) | instskip(SKIP_2) | instid1(VALU_DEP_1)
	v_rcp_f64_e32 v[211:212], v[194:195]
	s_waitcnt_depctr 0xfff
	v_fma_f64 v[213:214], -v[194:195], v[211:212], 1.0
	v_fma_f64 v[211:212], v[211:212], v[213:214], v[211:212]
	s_delay_alu instid0(VALU_DEP_1) | instskip(NEXT) | instid1(VALU_DEP_1)
	v_fma_f64 v[213:214], -v[194:195], v[211:212], 1.0
	v_fma_f64 v[211:212], v[211:212], v[213:214], v[211:212]
	v_div_scale_f64 v[213:214], vcc_lo, 1.0, v[192:193], 1.0
	s_delay_alu instid0(VALU_DEP_1) | instskip(NEXT) | instid1(VALU_DEP_1)
	v_mul_f64 v[215:216], v[213:214], v[211:212]
	v_fma_f64 v[194:195], -v[194:195], v[215:216], v[213:214]
	s_delay_alu instid0(VALU_DEP_1) | instskip(NEXT) | instid1(VALU_DEP_1)
	v_div_fmas_f64 v[194:195], v[194:195], v[211:212], v[215:216]
	v_div_fixup_f64 v[194:195], v[194:195], v[192:193], 1.0
	s_delay_alu instid0(VALU_DEP_1)
	v_mul_f64 v[192:193], v[209:210], v[194:195]
	v_xor_b32_e32 v195, 0x80000000, v195
.LBB94_952:
	s_and_not1_saveexec_b32 s2, s2
	s_cbranch_execz .LBB94_954
; %bb.953:
	s_delay_alu instid0(VALU_DEP_1) | instskip(SKIP_1) | instid1(VALU_DEP_2)
	v_div_scale_f64 v[209:210], null, v[192:193], v[192:193], v[194:195]
	v_div_scale_f64 v[215:216], vcc_lo, v[194:195], v[192:193], v[194:195]
	v_rcp_f64_e32 v[211:212], v[209:210]
	s_waitcnt_depctr 0xfff
	v_fma_f64 v[213:214], -v[209:210], v[211:212], 1.0
	s_delay_alu instid0(VALU_DEP_1) | instskip(NEXT) | instid1(VALU_DEP_1)
	v_fma_f64 v[211:212], v[211:212], v[213:214], v[211:212]
	v_fma_f64 v[213:214], -v[209:210], v[211:212], 1.0
	s_delay_alu instid0(VALU_DEP_1) | instskip(NEXT) | instid1(VALU_DEP_1)
	v_fma_f64 v[211:212], v[211:212], v[213:214], v[211:212]
	v_mul_f64 v[213:214], v[215:216], v[211:212]
	s_delay_alu instid0(VALU_DEP_1) | instskip(NEXT) | instid1(VALU_DEP_1)
	v_fma_f64 v[209:210], -v[209:210], v[213:214], v[215:216]
	v_div_fmas_f64 v[209:210], v[209:210], v[211:212], v[213:214]
	s_delay_alu instid0(VALU_DEP_1) | instskip(NEXT) | instid1(VALU_DEP_1)
	v_div_fixup_f64 v[209:210], v[209:210], v[192:193], v[194:195]
	v_fma_f64 v[192:193], v[194:195], v[209:210], v[192:193]
	s_delay_alu instid0(VALU_DEP_1) | instskip(NEXT) | instid1(VALU_DEP_1)
	v_div_scale_f64 v[194:195], null, v[192:193], v[192:193], 1.0
	v_rcp_f64_e32 v[211:212], v[194:195]
	s_waitcnt_depctr 0xfff
	v_fma_f64 v[213:214], -v[194:195], v[211:212], 1.0
	s_delay_alu instid0(VALU_DEP_1) | instskip(NEXT) | instid1(VALU_DEP_1)
	v_fma_f64 v[211:212], v[211:212], v[213:214], v[211:212]
	v_fma_f64 v[213:214], -v[194:195], v[211:212], 1.0
	s_delay_alu instid0(VALU_DEP_1) | instskip(SKIP_1) | instid1(VALU_DEP_1)
	v_fma_f64 v[211:212], v[211:212], v[213:214], v[211:212]
	v_div_scale_f64 v[213:214], vcc_lo, 1.0, v[192:193], 1.0
	v_mul_f64 v[215:216], v[213:214], v[211:212]
	s_delay_alu instid0(VALU_DEP_1) | instskip(NEXT) | instid1(VALU_DEP_1)
	v_fma_f64 v[194:195], -v[194:195], v[215:216], v[213:214]
	v_div_fmas_f64 v[194:195], v[194:195], v[211:212], v[215:216]
	s_delay_alu instid0(VALU_DEP_1) | instskip(NEXT) | instid1(VALU_DEP_1)
	v_div_fixup_f64 v[192:193], v[194:195], v[192:193], 1.0
	v_mul_f64 v[194:195], v[209:210], -v[192:193]
.LBB94_954:
	s_or_b32 exec_lo, exec_lo, s2
.LBB94_955:
	s_delay_alu instid0(SALU_CYCLE_1) | instskip(NEXT) | instid1(SALU_CYCLE_1)
	s_or_b32 exec_lo, exec_lo, s3
	s_mov_b32 s2, exec_lo
	v_cmpx_ne_u32_e64 v208, v200
	s_xor_b32 s2, exec_lo, s2
	s_cbranch_execz .LBB94_961
; %bb.956:
	s_mov_b32 s3, exec_lo
	v_cmpx_eq_u32_e32 45, v208
	s_cbranch_execz .LBB94_960
; %bb.957:
	v_cmp_ne_u32_e32 vcc_lo, 45, v200
	s_xor_b32 s6, s4, -1
	s_delay_alu instid0(SALU_CYCLE_1) | instskip(NEXT) | instid1(SALU_CYCLE_1)
	s_and_b32 s7, s6, vcc_lo
	s_and_saveexec_b32 s6, s7
	s_cbranch_execz .LBB94_959
; %bb.958:
	v_ashrrev_i32_e32 v201, 31, v200
	s_delay_alu instid0(VALU_DEP_1) | instskip(NEXT) | instid1(VALU_DEP_1)
	v_lshlrev_b64 v[208:209], 2, v[200:201]
	v_add_co_u32 v208, vcc_lo, v198, v208
	s_delay_alu instid0(VALU_DEP_2)
	v_add_co_ci_u32_e32 v209, vcc_lo, v199, v209, vcc_lo
	s_clause 0x1
	flat_load_b32 v201, v[208:209]
	flat_load_b32 v206, v[198:199] offset:180
	s_waitcnt vmcnt(1) lgkmcnt(1)
	flat_store_b32 v[198:199], v201 offset:180
	s_waitcnt vmcnt(0) lgkmcnt(1)
	flat_store_b32 v[208:209], v206
.LBB94_959:
	s_or_b32 exec_lo, exec_lo, s6
	v_mov_b32_e32 v208, v200
	v_mov_b32_e32 v206, v200
.LBB94_960:
	s_or_b32 exec_lo, exec_lo, s3
.LBB94_961:
	s_and_not1_saveexec_b32 s2, s2
	s_cbranch_execz .LBB94_963
; %bb.962:
	v_mov_b32_e32 v208, 45
	ds_store_2addr_b64 v202, v[4:5], v[6:7] offset0:92 offset1:93
	ds_store_2addr_b64 v202, v[0:1], v[2:3] offset0:94 offset1:95
.LBB94_963:
	s_or_b32 exec_lo, exec_lo, s2
	s_delay_alu instid0(SALU_CYCLE_1)
	s_mov_b32 s2, exec_lo
	s_waitcnt lgkmcnt(0)
	s_waitcnt_vscnt null, 0x0
	s_barrier
	buffer_gl0_inv
	v_cmpx_lt_i32_e32 45, v208
	s_cbranch_execz .LBB94_965
; %bb.964:
	v_mul_f64 v[200:201], v[192:193], v[10:11]
	v_mul_f64 v[10:11], v[194:195], v[10:11]
	ds_load_2addr_b64 v[209:212], v202 offset0:92 offset1:93
	ds_load_2addr_b64 v[213:216], v202 offset0:94 offset1:95
	v_fma_f64 v[194:195], v[194:195], v[8:9], v[200:201]
	v_fma_f64 v[8:9], v[192:193], v[8:9], -v[10:11]
	s_waitcnt lgkmcnt(1)
	s_delay_alu instid0(VALU_DEP_2) | instskip(SKIP_4) | instid1(VALU_DEP_4)
	v_mul_f64 v[10:11], v[211:212], v[194:195]
	v_mul_f64 v[192:193], v[209:210], v[194:195]
	s_waitcnt lgkmcnt(0)
	v_mul_f64 v[200:201], v[215:216], v[194:195]
	v_mul_f64 v[217:218], v[213:214], v[194:195]
	v_fma_f64 v[10:11], v[209:210], v[8:9], -v[10:11]
	s_delay_alu instid0(VALU_DEP_4) | instskip(NEXT) | instid1(VALU_DEP_4)
	v_fma_f64 v[192:193], v[211:212], v[8:9], v[192:193]
	v_fma_f64 v[200:201], v[213:214], v[8:9], -v[200:201]
	s_delay_alu instid0(VALU_DEP_4) | instskip(NEXT) | instid1(VALU_DEP_4)
	v_fma_f64 v[209:210], v[215:216], v[8:9], v[217:218]
	v_add_f64 v[4:5], v[4:5], -v[10:11]
	s_delay_alu instid0(VALU_DEP_4) | instskip(NEXT) | instid1(VALU_DEP_4)
	v_add_f64 v[6:7], v[6:7], -v[192:193]
	v_add_f64 v[0:1], v[0:1], -v[200:201]
	s_delay_alu instid0(VALU_DEP_4)
	v_add_f64 v[2:3], v[2:3], -v[209:210]
	v_dual_mov_b32 v10, v194 :: v_dual_mov_b32 v11, v195
.LBB94_965:
	s_or_b32 exec_lo, exec_lo, s2
	v_lshl_add_u32 v192, v208, 4, v202
	s_barrier
	buffer_gl0_inv
	v_mov_b32_e32 v200, 46
	ds_store_2addr_b64 v192, v[4:5], v[6:7] offset1:1
	s_waitcnt lgkmcnt(0)
	s_barrier
	buffer_gl0_inv
	ds_load_2addr_b64 v[192:195], v202 offset0:92 offset1:93
	s_cmp_lt_i32 s5, 48
	s_cbranch_scc1 .LBB94_968
; %bb.966:
	v_add3_u32 v201, v207, 0, 0x2f0
	v_mov_b32_e32 v200, 46
	s_mov_b32 s6, 47
	s_set_inst_prefetch_distance 0x1
	.p2align	6
.LBB94_967:                             ; =>This Inner Loop Header: Depth=1
	ds_load_2addr_b64 v[209:212], v201 offset1:1
	s_waitcnt lgkmcnt(1)
	v_cmp_gt_f64_e32 vcc_lo, 0, v[192:193]
	v_xor_b32_e32 v213, 0x80000000, v193
	v_cmp_gt_f64_e64 s2, 0, v[194:195]
	v_xor_b32_e32 v215, 0x80000000, v195
	v_add_nc_u32_e32 v201, 16, v201
	s_waitcnt lgkmcnt(0)
	v_cmp_gt_f64_e64 s3, 0, v[209:210]
	v_mov_b32_e32 v217, v209
	v_dual_mov_b32 v219, v211 :: v_dual_cndmask_b32 v214, v193, v213
	v_xor_b32_e32 v213, 0x80000000, v210
	v_cndmask_b32_e64 v216, v195, v215, s2
	v_xor_b32_e32 v215, 0x80000000, v212
	s_delay_alu instid0(VALU_DEP_3) | instskip(SKIP_2) | instid1(VALU_DEP_2)
	v_cndmask_b32_e64 v218, v210, v213, s3
	v_cmp_gt_f64_e64 s3, 0, v[211:212]
	v_cndmask_b32_e32 v213, v192, v192, vcc_lo
	v_cndmask_b32_e64 v220, v212, v215, s3
	v_cndmask_b32_e64 v215, v194, v194, s2
	s_delay_alu instid0(VALU_DEP_2) | instskip(NEXT) | instid1(VALU_DEP_2)
	v_add_f64 v[217:218], v[217:218], v[219:220]
	v_add_f64 v[213:214], v[213:214], v[215:216]
	s_delay_alu instid0(VALU_DEP_1) | instskip(SKIP_4) | instid1(SALU_CYCLE_1)
	v_cmp_lt_f64_e32 vcc_lo, v[213:214], v[217:218]
	v_dual_cndmask_b32 v194, v194, v211 :: v_dual_cndmask_b32 v193, v193, v210
	v_dual_cndmask_b32 v192, v192, v209 :: v_dual_cndmask_b32 v195, v195, v212
	v_cndmask_b32_e64 v200, v200, s6, vcc_lo
	s_add_i32 s6, s6, 1
	s_cmp_lg_u32 s5, s6
	s_cbranch_scc1 .LBB94_967
.LBB94_968:
	s_set_inst_prefetch_distance 0x2
	s_waitcnt lgkmcnt(0)
	v_cmp_eq_f64_e32 vcc_lo, 0, v[192:193]
	v_cmp_eq_f64_e64 s2, 0, v[194:195]
	s_delay_alu instid0(VALU_DEP_1) | instskip(NEXT) | instid1(SALU_CYCLE_1)
	s_and_b32 s2, vcc_lo, s2
	s_and_saveexec_b32 s3, s2
	s_delay_alu instid0(SALU_CYCLE_1)
	s_xor_b32 s2, exec_lo, s3
; %bb.969:
	v_cmp_ne_u32_e32 vcc_lo, 0, v205
	v_cndmask_b32_e32 v205, 47, v205, vcc_lo
; %bb.970:
	s_and_not1_saveexec_b32 s3, s2
	s_cbranch_execz .LBB94_976
; %bb.971:
	v_cmp_gt_f64_e32 vcc_lo, 0, v[192:193]
	v_cmp_gt_f64_e64 s2, 0, v[194:195]
	v_xor_b32_e32 v201, 0x80000000, v193
	v_xor_b32_e32 v209, 0x80000000, v195
	s_delay_alu instid0(VALU_DEP_2) | instskip(NEXT) | instid1(VALU_DEP_2)
	v_cndmask_b32_e32 v210, v193, v201, vcc_lo
	v_cndmask_b32_e64 v212, v195, v209, s2
	v_cndmask_b32_e32 v209, v192, v192, vcc_lo
	v_cndmask_b32_e64 v211, v194, v194, s2
	s_mov_b32 s2, exec_lo
	s_delay_alu instid0(VALU_DEP_1)
	v_cmpx_ngt_f64_e32 v[209:210], v[211:212]
	s_xor_b32 s2, exec_lo, s2
	s_cbranch_execz .LBB94_973
; %bb.972:
	v_div_scale_f64 v[209:210], null, v[194:195], v[194:195], v[192:193]
	v_div_scale_f64 v[215:216], vcc_lo, v[192:193], v[194:195], v[192:193]
	s_delay_alu instid0(VALU_DEP_2) | instskip(SKIP_2) | instid1(VALU_DEP_1)
	v_rcp_f64_e32 v[211:212], v[209:210]
	s_waitcnt_depctr 0xfff
	v_fma_f64 v[213:214], -v[209:210], v[211:212], 1.0
	v_fma_f64 v[211:212], v[211:212], v[213:214], v[211:212]
	s_delay_alu instid0(VALU_DEP_1) | instskip(NEXT) | instid1(VALU_DEP_1)
	v_fma_f64 v[213:214], -v[209:210], v[211:212], 1.0
	v_fma_f64 v[211:212], v[211:212], v[213:214], v[211:212]
	s_delay_alu instid0(VALU_DEP_1) | instskip(NEXT) | instid1(VALU_DEP_1)
	v_mul_f64 v[213:214], v[215:216], v[211:212]
	v_fma_f64 v[209:210], -v[209:210], v[213:214], v[215:216]
	s_delay_alu instid0(VALU_DEP_1) | instskip(NEXT) | instid1(VALU_DEP_1)
	v_div_fmas_f64 v[209:210], v[209:210], v[211:212], v[213:214]
	v_div_fixup_f64 v[209:210], v[209:210], v[194:195], v[192:193]
	s_delay_alu instid0(VALU_DEP_1) | instskip(NEXT) | instid1(VALU_DEP_1)
	v_fma_f64 v[192:193], v[192:193], v[209:210], v[194:195]
	v_div_scale_f64 v[194:195], null, v[192:193], v[192:193], 1.0
	s_delay_alu instid0(VALU_DEP_1) | instskip(SKIP_2) | instid1(VALU_DEP_1)
	v_rcp_f64_e32 v[211:212], v[194:195]
	s_waitcnt_depctr 0xfff
	v_fma_f64 v[213:214], -v[194:195], v[211:212], 1.0
	v_fma_f64 v[211:212], v[211:212], v[213:214], v[211:212]
	s_delay_alu instid0(VALU_DEP_1) | instskip(NEXT) | instid1(VALU_DEP_1)
	v_fma_f64 v[213:214], -v[194:195], v[211:212], 1.0
	v_fma_f64 v[211:212], v[211:212], v[213:214], v[211:212]
	v_div_scale_f64 v[213:214], vcc_lo, 1.0, v[192:193], 1.0
	s_delay_alu instid0(VALU_DEP_1) | instskip(NEXT) | instid1(VALU_DEP_1)
	v_mul_f64 v[215:216], v[213:214], v[211:212]
	v_fma_f64 v[194:195], -v[194:195], v[215:216], v[213:214]
	s_delay_alu instid0(VALU_DEP_1) | instskip(NEXT) | instid1(VALU_DEP_1)
	v_div_fmas_f64 v[194:195], v[194:195], v[211:212], v[215:216]
	v_div_fixup_f64 v[194:195], v[194:195], v[192:193], 1.0
	s_delay_alu instid0(VALU_DEP_1)
	v_mul_f64 v[192:193], v[209:210], v[194:195]
	v_xor_b32_e32 v195, 0x80000000, v195
.LBB94_973:
	s_and_not1_saveexec_b32 s2, s2
	s_cbranch_execz .LBB94_975
; %bb.974:
	s_delay_alu instid0(VALU_DEP_1) | instskip(SKIP_1) | instid1(VALU_DEP_2)
	v_div_scale_f64 v[209:210], null, v[192:193], v[192:193], v[194:195]
	v_div_scale_f64 v[215:216], vcc_lo, v[194:195], v[192:193], v[194:195]
	v_rcp_f64_e32 v[211:212], v[209:210]
	s_waitcnt_depctr 0xfff
	v_fma_f64 v[213:214], -v[209:210], v[211:212], 1.0
	s_delay_alu instid0(VALU_DEP_1) | instskip(NEXT) | instid1(VALU_DEP_1)
	v_fma_f64 v[211:212], v[211:212], v[213:214], v[211:212]
	v_fma_f64 v[213:214], -v[209:210], v[211:212], 1.0
	s_delay_alu instid0(VALU_DEP_1) | instskip(NEXT) | instid1(VALU_DEP_1)
	v_fma_f64 v[211:212], v[211:212], v[213:214], v[211:212]
	v_mul_f64 v[213:214], v[215:216], v[211:212]
	s_delay_alu instid0(VALU_DEP_1) | instskip(NEXT) | instid1(VALU_DEP_1)
	v_fma_f64 v[209:210], -v[209:210], v[213:214], v[215:216]
	v_div_fmas_f64 v[209:210], v[209:210], v[211:212], v[213:214]
	s_delay_alu instid0(VALU_DEP_1) | instskip(NEXT) | instid1(VALU_DEP_1)
	v_div_fixup_f64 v[209:210], v[209:210], v[192:193], v[194:195]
	v_fma_f64 v[192:193], v[194:195], v[209:210], v[192:193]
	s_delay_alu instid0(VALU_DEP_1) | instskip(NEXT) | instid1(VALU_DEP_1)
	v_div_scale_f64 v[194:195], null, v[192:193], v[192:193], 1.0
	v_rcp_f64_e32 v[211:212], v[194:195]
	s_waitcnt_depctr 0xfff
	v_fma_f64 v[213:214], -v[194:195], v[211:212], 1.0
	s_delay_alu instid0(VALU_DEP_1) | instskip(NEXT) | instid1(VALU_DEP_1)
	v_fma_f64 v[211:212], v[211:212], v[213:214], v[211:212]
	v_fma_f64 v[213:214], -v[194:195], v[211:212], 1.0
	s_delay_alu instid0(VALU_DEP_1) | instskip(SKIP_1) | instid1(VALU_DEP_1)
	v_fma_f64 v[211:212], v[211:212], v[213:214], v[211:212]
	v_div_scale_f64 v[213:214], vcc_lo, 1.0, v[192:193], 1.0
	v_mul_f64 v[215:216], v[213:214], v[211:212]
	s_delay_alu instid0(VALU_DEP_1) | instskip(NEXT) | instid1(VALU_DEP_1)
	v_fma_f64 v[194:195], -v[194:195], v[215:216], v[213:214]
	v_div_fmas_f64 v[194:195], v[194:195], v[211:212], v[215:216]
	s_delay_alu instid0(VALU_DEP_1) | instskip(NEXT) | instid1(VALU_DEP_1)
	v_div_fixup_f64 v[192:193], v[194:195], v[192:193], 1.0
	v_mul_f64 v[194:195], v[209:210], -v[192:193]
.LBB94_975:
	s_or_b32 exec_lo, exec_lo, s2
.LBB94_976:
	s_delay_alu instid0(SALU_CYCLE_1) | instskip(NEXT) | instid1(SALU_CYCLE_1)
	s_or_b32 exec_lo, exec_lo, s3
	s_mov_b32 s2, exec_lo
	v_cmpx_ne_u32_e64 v208, v200
	s_xor_b32 s2, exec_lo, s2
	s_cbranch_execz .LBB94_982
; %bb.977:
	s_mov_b32 s3, exec_lo
	v_cmpx_eq_u32_e32 46, v208
	s_cbranch_execz .LBB94_981
; %bb.978:
	v_cmp_ne_u32_e32 vcc_lo, 46, v200
	s_xor_b32 s6, s4, -1
	s_delay_alu instid0(SALU_CYCLE_1) | instskip(NEXT) | instid1(SALU_CYCLE_1)
	s_and_b32 s7, s6, vcc_lo
	s_and_saveexec_b32 s6, s7
	s_cbranch_execz .LBB94_980
; %bb.979:
	v_ashrrev_i32_e32 v201, 31, v200
	s_delay_alu instid0(VALU_DEP_1) | instskip(NEXT) | instid1(VALU_DEP_1)
	v_lshlrev_b64 v[208:209], 2, v[200:201]
	v_add_co_u32 v208, vcc_lo, v198, v208
	s_delay_alu instid0(VALU_DEP_2)
	v_add_co_ci_u32_e32 v209, vcc_lo, v199, v209, vcc_lo
	s_clause 0x1
	flat_load_b32 v201, v[208:209]
	flat_load_b32 v206, v[198:199] offset:184
	s_waitcnt vmcnt(1) lgkmcnt(1)
	flat_store_b32 v[198:199], v201 offset:184
	s_waitcnt vmcnt(0) lgkmcnt(1)
	flat_store_b32 v[208:209], v206
.LBB94_980:
	s_or_b32 exec_lo, exec_lo, s6
	v_mov_b32_e32 v208, v200
	v_mov_b32_e32 v206, v200
.LBB94_981:
	s_or_b32 exec_lo, exec_lo, s3
.LBB94_982:
	s_and_not1_saveexec_b32 s2, s2
	s_cbranch_execz .LBB94_984
; %bb.983:
	v_mov_b32_e32 v208, 46
	ds_store_2addr_b64 v202, v[0:1], v[2:3] offset0:94 offset1:95
.LBB94_984:
	s_or_b32 exec_lo, exec_lo, s2
	s_delay_alu instid0(SALU_CYCLE_1)
	s_mov_b32 s2, exec_lo
	s_waitcnt lgkmcnt(0)
	s_waitcnt_vscnt null, 0x0
	s_barrier
	buffer_gl0_inv
	v_cmpx_lt_i32_e32 46, v208
	s_cbranch_execz .LBB94_986
; %bb.985:
	v_mul_f64 v[200:201], v[192:193], v[6:7]
	v_mul_f64 v[6:7], v[194:195], v[6:7]
	ds_load_2addr_b64 v[209:212], v202 offset0:94 offset1:95
	v_fma_f64 v[194:195], v[194:195], v[4:5], v[200:201]
	v_fma_f64 v[4:5], v[192:193], v[4:5], -v[6:7]
	s_waitcnt lgkmcnt(0)
	s_delay_alu instid0(VALU_DEP_2) | instskip(SKIP_1) | instid1(VALU_DEP_2)
	v_mul_f64 v[6:7], v[211:212], v[194:195]
	v_mul_f64 v[192:193], v[209:210], v[194:195]
	v_fma_f64 v[6:7], v[209:210], v[4:5], -v[6:7]
	s_delay_alu instid0(VALU_DEP_2) | instskip(NEXT) | instid1(VALU_DEP_2)
	v_fma_f64 v[192:193], v[211:212], v[4:5], v[192:193]
	v_add_f64 v[0:1], v[0:1], -v[6:7]
	s_delay_alu instid0(VALU_DEP_2)
	v_add_f64 v[2:3], v[2:3], -v[192:193]
	v_dual_mov_b32 v6, v194 :: v_dual_mov_b32 v7, v195
.LBB94_986:
	s_or_b32 exec_lo, exec_lo, s2
	v_lshl_add_u32 v192, v208, 4, v202
	s_barrier
	buffer_gl0_inv
	v_mov_b32_e32 v200, 47
	ds_store_2addr_b64 v192, v[0:1], v[2:3] offset1:1
	s_waitcnt lgkmcnt(0)
	s_barrier
	buffer_gl0_inv
	ds_load_2addr_b64 v[192:195], v202 offset0:94 offset1:95
	s_cmp_lt_i32 s5, 49
	s_cbranch_scc1 .LBB94_989
; %bb.987:
	v_add3_u32 v201, v207, 0, 0x300
	v_mov_b32_e32 v200, 47
	s_mov_b32 s6, 48
	s_set_inst_prefetch_distance 0x1
	.p2align	6
.LBB94_988:                             ; =>This Inner Loop Header: Depth=1
	ds_load_2addr_b64 v[209:212], v201 offset1:1
	s_waitcnt lgkmcnt(1)
	v_cmp_gt_f64_e32 vcc_lo, 0, v[192:193]
	v_xor_b32_e32 v202, 0x80000000, v193
	v_cmp_gt_f64_e64 s2, 0, v[194:195]
	v_xor_b32_e32 v207, 0x80000000, v195
	v_add_nc_u32_e32 v201, 16, v201
	s_waitcnt lgkmcnt(0)
	v_cmp_gt_f64_e64 s3, 0, v[209:210]
	v_mov_b32_e32 v217, v209
	v_dual_mov_b32 v219, v211 :: v_dual_cndmask_b32 v214, v193, v202
	v_xor_b32_e32 v202, 0x80000000, v210
	v_cndmask_b32_e64 v216, v195, v207, s2
	v_xor_b32_e32 v207, 0x80000000, v212
	v_cndmask_b32_e32 v213, v192, v192, vcc_lo
	v_cndmask_b32_e64 v215, v194, v194, s2
	s_delay_alu instid0(VALU_DEP_1) | instskip(SKIP_2) | instid1(VALU_DEP_1)
	v_add_f64 v[213:214], v[213:214], v[215:216]
	v_cndmask_b32_e64 v218, v210, v202, s3
	v_cmp_gt_f64_e64 s3, 0, v[211:212]
	v_cndmask_b32_e64 v220, v212, v207, s3
	s_delay_alu instid0(VALU_DEP_1) | instskip(NEXT) | instid1(VALU_DEP_1)
	v_add_f64 v[217:218], v[217:218], v[219:220]
	v_cmp_lt_f64_e32 vcc_lo, v[213:214], v[217:218]
	v_dual_cndmask_b32 v194, v194, v211 :: v_dual_cndmask_b32 v193, v193, v210
	v_dual_cndmask_b32 v192, v192, v209 :: v_dual_cndmask_b32 v195, v195, v212
	v_cndmask_b32_e64 v200, v200, s6, vcc_lo
	s_add_i32 s6, s6, 1
	s_delay_alu instid0(SALU_CYCLE_1)
	s_cmp_lg_u32 s5, s6
	s_cbranch_scc1 .LBB94_988
.LBB94_989:
	s_set_inst_prefetch_distance 0x2
	s_waitcnt lgkmcnt(0)
	v_cmp_eq_f64_e32 vcc_lo, 0, v[192:193]
	v_cmp_eq_f64_e64 s2, 0, v[194:195]
	s_delay_alu instid0(VALU_DEP_1) | instskip(NEXT) | instid1(SALU_CYCLE_1)
	s_and_b32 s2, vcc_lo, s2
	s_and_saveexec_b32 s3, s2
	s_delay_alu instid0(SALU_CYCLE_1)
	s_xor_b32 s2, exec_lo, s3
; %bb.990:
	v_cmp_ne_u32_e32 vcc_lo, 0, v205
	v_cndmask_b32_e32 v205, 48, v205, vcc_lo
; %bb.991:
	s_and_not1_saveexec_b32 s3, s2
	s_cbranch_execz .LBB94_997
; %bb.992:
	v_cmp_gt_f64_e32 vcc_lo, 0, v[192:193]
	v_cmp_gt_f64_e64 s2, 0, v[194:195]
	v_xor_b32_e32 v201, 0x80000000, v193
	v_xor_b32_e32 v207, 0x80000000, v195
	s_delay_alu instid0(VALU_DEP_2) | instskip(NEXT) | instid1(VALU_DEP_2)
	v_dual_cndmask_b32 v202, v193, v201 :: v_dual_cndmask_b32 v201, v192, v192
	v_cndmask_b32_e64 v210, v195, v207, s2
	v_cndmask_b32_e64 v209, v194, v194, s2
	s_mov_b32 s2, exec_lo
	s_delay_alu instid0(VALU_DEP_1)
	v_cmpx_ngt_f64_e32 v[201:202], v[209:210]
	s_xor_b32 s2, exec_lo, s2
	s_cbranch_execz .LBB94_994
; %bb.993:
	v_div_scale_f64 v[201:202], null, v[194:195], v[194:195], v[192:193]
	v_div_scale_f64 v[213:214], vcc_lo, v[192:193], v[194:195], v[192:193]
	s_delay_alu instid0(VALU_DEP_2) | instskip(SKIP_2) | instid1(VALU_DEP_1)
	v_rcp_f64_e32 v[209:210], v[201:202]
	s_waitcnt_depctr 0xfff
	v_fma_f64 v[211:212], -v[201:202], v[209:210], 1.0
	v_fma_f64 v[209:210], v[209:210], v[211:212], v[209:210]
	s_delay_alu instid0(VALU_DEP_1) | instskip(NEXT) | instid1(VALU_DEP_1)
	v_fma_f64 v[211:212], -v[201:202], v[209:210], 1.0
	v_fma_f64 v[209:210], v[209:210], v[211:212], v[209:210]
	s_delay_alu instid0(VALU_DEP_1) | instskip(NEXT) | instid1(VALU_DEP_1)
	v_mul_f64 v[211:212], v[213:214], v[209:210]
	v_fma_f64 v[201:202], -v[201:202], v[211:212], v[213:214]
	s_delay_alu instid0(VALU_DEP_1) | instskip(NEXT) | instid1(VALU_DEP_1)
	v_div_fmas_f64 v[201:202], v[201:202], v[209:210], v[211:212]
	v_div_fixup_f64 v[201:202], v[201:202], v[194:195], v[192:193]
	s_delay_alu instid0(VALU_DEP_1) | instskip(NEXT) | instid1(VALU_DEP_1)
	v_fma_f64 v[192:193], v[192:193], v[201:202], v[194:195]
	v_div_scale_f64 v[194:195], null, v[192:193], v[192:193], 1.0
	s_delay_alu instid0(VALU_DEP_1) | instskip(SKIP_2) | instid1(VALU_DEP_1)
	v_rcp_f64_e32 v[209:210], v[194:195]
	s_waitcnt_depctr 0xfff
	v_fma_f64 v[211:212], -v[194:195], v[209:210], 1.0
	v_fma_f64 v[209:210], v[209:210], v[211:212], v[209:210]
	s_delay_alu instid0(VALU_DEP_1) | instskip(NEXT) | instid1(VALU_DEP_1)
	v_fma_f64 v[211:212], -v[194:195], v[209:210], 1.0
	v_fma_f64 v[209:210], v[209:210], v[211:212], v[209:210]
	v_div_scale_f64 v[211:212], vcc_lo, 1.0, v[192:193], 1.0
	s_delay_alu instid0(VALU_DEP_1) | instskip(NEXT) | instid1(VALU_DEP_1)
	v_mul_f64 v[213:214], v[211:212], v[209:210]
	v_fma_f64 v[194:195], -v[194:195], v[213:214], v[211:212]
	s_delay_alu instid0(VALU_DEP_1) | instskip(NEXT) | instid1(VALU_DEP_1)
	v_div_fmas_f64 v[194:195], v[194:195], v[209:210], v[213:214]
	v_div_fixup_f64 v[194:195], v[194:195], v[192:193], 1.0
	s_delay_alu instid0(VALU_DEP_1)
	v_mul_f64 v[192:193], v[201:202], v[194:195]
	v_xor_b32_e32 v195, 0x80000000, v195
.LBB94_994:
	s_and_not1_saveexec_b32 s2, s2
	s_cbranch_execz .LBB94_996
; %bb.995:
	s_delay_alu instid0(VALU_DEP_1) | instskip(SKIP_1) | instid1(VALU_DEP_2)
	v_div_scale_f64 v[201:202], null, v[192:193], v[192:193], v[194:195]
	v_div_scale_f64 v[213:214], vcc_lo, v[194:195], v[192:193], v[194:195]
	v_rcp_f64_e32 v[209:210], v[201:202]
	s_waitcnt_depctr 0xfff
	v_fma_f64 v[211:212], -v[201:202], v[209:210], 1.0
	s_delay_alu instid0(VALU_DEP_1) | instskip(NEXT) | instid1(VALU_DEP_1)
	v_fma_f64 v[209:210], v[209:210], v[211:212], v[209:210]
	v_fma_f64 v[211:212], -v[201:202], v[209:210], 1.0
	s_delay_alu instid0(VALU_DEP_1) | instskip(NEXT) | instid1(VALU_DEP_1)
	v_fma_f64 v[209:210], v[209:210], v[211:212], v[209:210]
	v_mul_f64 v[211:212], v[213:214], v[209:210]
	s_delay_alu instid0(VALU_DEP_1) | instskip(NEXT) | instid1(VALU_DEP_1)
	v_fma_f64 v[201:202], -v[201:202], v[211:212], v[213:214]
	v_div_fmas_f64 v[201:202], v[201:202], v[209:210], v[211:212]
	s_delay_alu instid0(VALU_DEP_1) | instskip(NEXT) | instid1(VALU_DEP_1)
	v_div_fixup_f64 v[201:202], v[201:202], v[192:193], v[194:195]
	v_fma_f64 v[192:193], v[194:195], v[201:202], v[192:193]
	s_delay_alu instid0(VALU_DEP_1) | instskip(NEXT) | instid1(VALU_DEP_1)
	v_div_scale_f64 v[194:195], null, v[192:193], v[192:193], 1.0
	v_rcp_f64_e32 v[209:210], v[194:195]
	s_waitcnt_depctr 0xfff
	v_fma_f64 v[211:212], -v[194:195], v[209:210], 1.0
	s_delay_alu instid0(VALU_DEP_1) | instskip(NEXT) | instid1(VALU_DEP_1)
	v_fma_f64 v[209:210], v[209:210], v[211:212], v[209:210]
	v_fma_f64 v[211:212], -v[194:195], v[209:210], 1.0
	s_delay_alu instid0(VALU_DEP_1) | instskip(SKIP_1) | instid1(VALU_DEP_1)
	v_fma_f64 v[209:210], v[209:210], v[211:212], v[209:210]
	v_div_scale_f64 v[211:212], vcc_lo, 1.0, v[192:193], 1.0
	v_mul_f64 v[213:214], v[211:212], v[209:210]
	s_delay_alu instid0(VALU_DEP_1) | instskip(NEXT) | instid1(VALU_DEP_1)
	v_fma_f64 v[194:195], -v[194:195], v[213:214], v[211:212]
	v_div_fmas_f64 v[194:195], v[194:195], v[209:210], v[213:214]
	s_delay_alu instid0(VALU_DEP_1) | instskip(NEXT) | instid1(VALU_DEP_1)
	v_div_fixup_f64 v[192:193], v[194:195], v[192:193], 1.0
	v_mul_f64 v[194:195], v[201:202], -v[192:193]
.LBB94_996:
	s_or_b32 exec_lo, exec_lo, s2
.LBB94_997:
	s_delay_alu instid0(SALU_CYCLE_1)
	s_or_b32 exec_lo, exec_lo, s3
	v_mov_b32_e32 v201, 47
	s_mov_b32 s2, exec_lo
	v_cmpx_ne_u32_e64 v208, v200
	s_cbranch_execz .LBB94_1003
; %bb.998:
	s_mov_b32 s3, exec_lo
	v_cmpx_eq_u32_e32 47, v208
	s_cbranch_execz .LBB94_1002
; %bb.999:
	v_cmp_ne_u32_e32 vcc_lo, 47, v200
	s_xor_b32 s4, s4, -1
	s_delay_alu instid0(SALU_CYCLE_1) | instskip(NEXT) | instid1(SALU_CYCLE_1)
	s_and_b32 s5, s4, vcc_lo
	s_and_saveexec_b32 s4, s5
	s_cbranch_execz .LBB94_1001
; %bb.1000:
	v_ashrrev_i32_e32 v201, 31, v200
	s_delay_alu instid0(VALU_DEP_1) | instskip(NEXT) | instid1(VALU_DEP_1)
	v_lshlrev_b64 v[201:202], 2, v[200:201]
	v_add_co_u32 v201, vcc_lo, v198, v201
	s_delay_alu instid0(VALU_DEP_2)
	v_add_co_ci_u32_e32 v202, vcc_lo, v199, v202, vcc_lo
	s_clause 0x1
	flat_load_b32 v206, v[201:202]
	flat_load_b32 v207, v[198:199] offset:188
	s_waitcnt vmcnt(1) lgkmcnt(1)
	flat_store_b32 v[198:199], v206 offset:188
	s_waitcnt vmcnt(0) lgkmcnt(1)
	flat_store_b32 v[201:202], v207
.LBB94_1001:
	s_or_b32 exec_lo, exec_lo, s4
	v_mov_b32_e32 v208, v200
	v_mov_b32_e32 v206, v200
.LBB94_1002:
	s_or_b32 exec_lo, exec_lo, s3
	s_delay_alu instid0(VALU_DEP_2)
	v_mov_b32_e32 v201, v208
.LBB94_1003:
	s_or_b32 exec_lo, exec_lo, s2
	s_delay_alu instid0(SALU_CYCLE_1)
	s_mov_b32 s2, exec_lo
	s_waitcnt lgkmcnt(0)
	s_waitcnt_vscnt null, 0x0
	s_barrier
	buffer_gl0_inv
	v_cmpx_lt_i32_e32 47, v201
; %bb.1004:
	v_mul_f64 v[198:199], v[194:195], v[2:3]
	v_mul_f64 v[2:3], v[192:193], v[2:3]
	s_delay_alu instid0(VALU_DEP_2) | instskip(NEXT) | instid1(VALU_DEP_2)
	v_fma_f64 v[192:193], v[192:193], v[0:1], -v[198:199]
	v_fma_f64 v[2:3], v[194:195], v[0:1], v[2:3]
	s_delay_alu instid0(VALU_DEP_2)
	v_dual_mov_b32 v0, v192 :: v_dual_mov_b32 v1, v193
; %bb.1005:
	s_or_b32 exec_lo, exec_lo, s2
	s_load_b256 s[0:7], s[0:1], 0x28
	v_ashrrev_i32_e32 v202, 31, v201
	s_mov_b32 s9, exec_lo
	s_waitcnt lgkmcnt(0)
	s_barrier
	buffer_gl0_inv
	v_cmpx_gt_i32_e32 48, v201
	s_cbranch_execz .LBB94_1007
; %bb.1006:
	v_mul_lo_u32 v194, v197, s4
	v_mul_lo_u32 v195, v196, s5
	v_mad_u64_u32 v[192:193], null, v196, s4, 0
	s_lshl_b64 s[2:3], s[2:3], 2
	s_delay_alu instid0(SALU_CYCLE_1) | instskip(SKIP_1) | instid1(VALU_DEP_1)
	s_add_u32 s0, s2, s0
	s_addc_u32 s1, s3, s1
	v_add3_u32 v193, v193, v195, v194
	v_lshlrev_b64 v[194:195], 2, v[201:202]
	s_delay_alu instid0(VALU_DEP_2) | instskip(NEXT) | instid1(VALU_DEP_1)
	v_lshlrev_b64 v[192:193], 2, v[192:193]
	v_add_co_u32 v192, vcc_lo, s0, v192
	s_delay_alu instid0(VALU_DEP_2) | instskip(NEXT) | instid1(VALU_DEP_2)
	v_add_co_ci_u32_e32 v193, vcc_lo, s1, v193, vcc_lo
	v_add_co_u32 v192, vcc_lo, v192, v194
	s_delay_alu instid0(VALU_DEP_2)
	v_add_co_ci_u32_e32 v193, vcc_lo, v193, v195, vcc_lo
	v_add3_u32 v194, v206, s13, 1
	global_store_b32 v[192:193], v194, off
.LBB94_1007:
	s_or_b32 exec_lo, exec_lo, s9
	s_delay_alu instid0(SALU_CYCLE_1)
	s_mov_b32 s1, exec_lo
	v_cmpx_eq_u32_e32 0, v201
	s_cbranch_execz .LBB94_1010
; %bb.1008:
	v_lshlrev_b64 v[192:193], 2, v[196:197]
	v_cmp_lt_i32_e64 s0, 0, v205
	s_delay_alu instid0(VALU_DEP_2) | instskip(NEXT) | instid1(VALU_DEP_3)
	v_add_co_u32 v192, vcc_lo, s6, v192
	v_add_co_ci_u32_e32 v193, vcc_lo, s7, v193, vcc_lo
	global_load_b32 v194, v[192:193], off
	s_waitcnt vmcnt(0)
	v_cmp_eq_u32_e32 vcc_lo, 0, v194
	s_and_b32 s0, vcc_lo, s0
	s_delay_alu instid0(SALU_CYCLE_1)
	s_and_b32 exec_lo, exec_lo, s0
	s_cbranch_execz .LBB94_1010
; %bb.1009:
	v_add_nc_u32_e32 v194, s13, v205
	global_store_b32 v[192:193], v194, off
.LBB94_1010:
	s_or_b32 exec_lo, exec_lo, s1
	v_lshlrev_b64 v[194:195], 4, v[201:202]
	v_add3_u32 v192, s8, s8, v201
	s_delay_alu instid0(VALU_DEP_1) | instskip(NEXT) | instid1(VALU_DEP_3)
	v_ashrrev_i32_e32 v193, 31, v192
	v_add_co_u32 v194, vcc_lo, v203, v194
	s_delay_alu instid0(VALU_DEP_4) | instskip(SKIP_1) | instid1(VALU_DEP_4)
	v_add_co_ci_u32_e32 v195, vcc_lo, v204, v195, vcc_lo
	v_add_nc_u32_e32 v196, s8, v192
	v_lshlrev_b64 v[192:193], 4, v[192:193]
	global_store_b128 v[194:195], v[188:191], off
	v_add_co_u32 v188, vcc_lo, v194, s10
	v_add_nc_u32_e32 v190, s8, v196
	v_ashrrev_i32_e32 v197, 31, v196
	v_add_co_ci_u32_e32 v189, vcc_lo, s11, v195, vcc_lo
	v_add_co_u32 v192, vcc_lo, v203, v192
	s_delay_alu instid0(VALU_DEP_4) | instskip(SKIP_3) | instid1(VALU_DEP_4)
	v_add_nc_u32_e32 v194, s8, v190
	v_ashrrev_i32_e32 v191, 31, v190
	v_add_co_ci_u32_e32 v193, vcc_lo, v204, v193, vcc_lo
	v_lshlrev_b64 v[196:197], 4, v[196:197]
	v_ashrrev_i32_e32 v195, 31, v194
	s_clause 0x1
	global_store_b128 v[188:189], v[180:183], off
	global_store_b128 v[192:193], v[184:187], off
	v_lshlrev_b64 v[180:181], 4, v[190:191]
	v_add_nc_u32_e32 v186, s8, v194
	v_add_co_u32 v182, vcc_lo, v203, v196
	v_lshlrev_b64 v[184:185], 4, v[194:195]
	v_add_co_ci_u32_e32 v183, vcc_lo, v204, v197, vcc_lo
	v_add_co_u32 v180, vcc_lo, v203, v180
	v_add_co_ci_u32_e32 v181, vcc_lo, v204, v181, vcc_lo
	s_delay_alu instid0(VALU_DEP_4)
	v_add_co_u32 v184, vcc_lo, v203, v184
	v_add_nc_u32_e32 v188, s8, v186
	v_add_co_ci_u32_e32 v185, vcc_lo, v204, v185, vcc_lo
	v_ashrrev_i32_e32 v187, 31, v186
	global_store_b128 v[182:183], v[176:179], off
	v_ashrrev_i32_e32 v189, 31, v188
	s_clause 0x1
	global_store_b128 v[180:181], v[172:175], off
	global_store_b128 v[184:185], v[168:171], off
	v_add_nc_u32_e32 v170, s8, v188
	v_lshlrev_b64 v[176:177], 4, v[186:187]
	v_lshlrev_b64 v[168:169], 4, v[188:189]
	s_delay_alu instid0(VALU_DEP_3) | instskip(SKIP_1) | instid1(VALU_DEP_4)
	v_add_nc_u32_e32 v174, s8, v170
	v_ashrrev_i32_e32 v171, 31, v170
	v_add_co_u32 v172, vcc_lo, v203, v176
	v_add_co_ci_u32_e32 v173, vcc_lo, v204, v177, vcc_lo
	s_delay_alu instid0(VALU_DEP_4)
	v_add_nc_u32_e32 v176, s8, v174
	v_add_co_u32 v168, vcc_lo, v203, v168
	v_ashrrev_i32_e32 v175, 31, v174
	v_add_co_ci_u32_e32 v169, vcc_lo, v204, v169, vcc_lo
	v_lshlrev_b64 v[170:171], 4, v[170:171]
	v_ashrrev_i32_e32 v177, 31, v176
	s_clause 0x1
	global_store_b128 v[172:173], v[164:167], off
	global_store_b128 v[168:169], v[160:163], off
	v_lshlrev_b64 v[160:161], 4, v[174:175]
	v_add_nc_u32_e32 v166, s8, v176
	v_add_co_u32 v162, vcc_lo, v203, v170
	v_lshlrev_b64 v[164:165], 4, v[176:177]
	v_add_co_ci_u32_e32 v163, vcc_lo, v204, v171, vcc_lo
	v_add_co_u32 v160, vcc_lo, v203, v160
	v_add_co_ci_u32_e32 v161, vcc_lo, v204, v161, vcc_lo
	s_delay_alu instid0(VALU_DEP_4)
	v_add_co_u32 v164, vcc_lo, v203, v164
	v_add_nc_u32_e32 v168, s8, v166
	v_add_co_ci_u32_e32 v165, vcc_lo, v204, v165, vcc_lo
	v_ashrrev_i32_e32 v167, 31, v166
	global_store_b128 v[162:163], v[156:159], off
	v_ashrrev_i32_e32 v169, 31, v168
	s_clause 0x1
	global_store_b128 v[160:161], v[152:155], off
	global_store_b128 v[164:165], v[148:151], off
	v_add_nc_u32_e32 v150, s8, v168
	v_lshlrev_b64 v[156:157], 4, v[166:167]
	v_lshlrev_b64 v[148:149], 4, v[168:169]
	s_delay_alu instid0(VALU_DEP_3) | instskip(SKIP_1) | instid1(VALU_DEP_4)
	v_add_nc_u32_e32 v154, s8, v150
	v_ashrrev_i32_e32 v151, 31, v150
	v_add_co_u32 v152, vcc_lo, v203, v156
	v_add_co_ci_u32_e32 v153, vcc_lo, v204, v157, vcc_lo
	s_delay_alu instid0(VALU_DEP_4)
	v_add_nc_u32_e32 v156, s8, v154
	v_add_co_u32 v148, vcc_lo, v203, v148
	;; [unrolled: 35-line block ×7, first 2 shown]
	v_ashrrev_i32_e32 v55, 31, v54
	v_add_co_ci_u32_e32 v49, vcc_lo, v204, v49, vcc_lo
	v_lshlrev_b64 v[50:51], 4, v[50:51]
	v_ashrrev_i32_e32 v57, 31, v56
	s_clause 0x1
	global_store_b128 v[52:53], v[44:47], off
	global_store_b128 v[48:49], v[40:43], off
	v_lshlrev_b64 v[40:41], 4, v[54:55]
	v_add_nc_u32_e32 v46, s8, v56
	v_add_co_u32 v42, vcc_lo, v203, v50
	v_lshlrev_b64 v[44:45], 4, v[56:57]
	v_add_co_ci_u32_e32 v43, vcc_lo, v204, v51, vcc_lo
	v_add_co_u32 v40, vcc_lo, v203, v40
	v_add_nc_u32_e32 v48, s8, v46
	v_add_co_ci_u32_e32 v41, vcc_lo, v204, v41, vcc_lo
	v_ashrrev_i32_e32 v47, 31, v46
	v_add_co_u32 v44, vcc_lo, v203, v44
	v_add_co_ci_u32_e32 v45, vcc_lo, v204, v45, vcc_lo
	v_ashrrev_i32_e32 v49, 31, v48
	global_store_b128 v[42:43], v[36:39], off
	v_lshlrev_b64 v[36:37], 4, v[46:47]
	s_clause 0x1
	global_store_b128 v[40:41], v[32:35], off
	global_store_b128 v[44:45], v[28:31], off
	v_add_nc_u32_e32 v30, s8, v48
	v_lshlrev_b64 v[28:29], 4, v[48:49]
	v_add_co_u32 v32, vcc_lo, v203, v36
	s_delay_alu instid0(VALU_DEP_3) | instskip(SKIP_1) | instid1(VALU_DEP_4)
	v_add_nc_u32_e32 v34, s8, v30
	v_add_co_ci_u32_e32 v33, vcc_lo, v204, v37, vcc_lo
	v_add_co_u32 v28, vcc_lo, v203, v28
	v_add_co_ci_u32_e32 v29, vcc_lo, v204, v29, vcc_lo
	s_delay_alu instid0(VALU_DEP_4)
	v_add_nc_u32_e32 v36, s8, v34
	v_ashrrev_i32_e32 v31, 31, v30
	s_clause 0x1
	global_store_b128 v[32:33], v[24:27], off
	global_store_b128 v[28:29], v[20:23], off
	v_ashrrev_i32_e32 v35, 31, v34
	v_add_nc_u32_e32 v22, s8, v36
	v_lshlrev_b64 v[24:25], 4, v[30:31]
	v_ashrrev_i32_e32 v37, 31, v36
	s_delay_alu instid0(VALU_DEP_4) | instskip(NEXT) | instid1(VALU_DEP_4)
	v_lshlrev_b64 v[20:21], 4, v[34:35]
	v_add_nc_u32_e32 v28, s8, v22
	v_ashrrev_i32_e32 v23, 31, v22
	v_add_co_u32 v24, vcc_lo, v203, v24
	v_lshlrev_b64 v[26:27], 4, v[36:37]
	s_delay_alu instid0(VALU_DEP_4)
	v_ashrrev_i32_e32 v29, 31, v28
	v_add_co_ci_u32_e32 v25, vcc_lo, v204, v25, vcc_lo
	v_add_co_u32 v20, vcc_lo, v203, v20
	v_lshlrev_b64 v[22:23], 4, v[22:23]
	v_add_co_ci_u32_e32 v21, vcc_lo, v204, v21, vcc_lo
	v_add_co_u32 v26, vcc_lo, v203, v26
	v_lshlrev_b64 v[28:29], 4, v[28:29]
	v_add_co_ci_u32_e32 v27, vcc_lo, v204, v27, vcc_lo
	v_add_co_u32 v22, vcc_lo, v203, v22
	v_add_co_ci_u32_e32 v23, vcc_lo, v204, v23, vcc_lo
	s_delay_alu instid0(VALU_DEP_4)
	v_add_co_u32 v28, vcc_lo, v203, v28
	v_add_co_ci_u32_e32 v29, vcc_lo, v204, v29, vcc_lo
	s_clause 0x4
	global_store_b128 v[24:25], v[16:19], off
	global_store_b128 v[20:21], v[12:15], off
	;; [unrolled: 1-line block ×5, first 2 shown]
.LBB94_1011:
	s_nop 0
	s_sendmsg sendmsg(MSG_DEALLOC_VGPRS)
	s_endpgm
	.section	.rodata,"a",@progbits
	.p2align	6, 0x0
	.amdhsa_kernel _ZN9rocsolver6v33100L18getf2_small_kernelILi48E19rocblas_complex_numIdEiiPKPS3_EEvT1_T3_lS7_lPS7_llPT2_S7_S7_S9_l
		.amdhsa_group_segment_fixed_size 0
		.amdhsa_private_segment_fixed_size 0
		.amdhsa_kernarg_size 352
		.amdhsa_user_sgpr_count 14
		.amdhsa_user_sgpr_dispatch_ptr 0
		.amdhsa_user_sgpr_queue_ptr 0
		.amdhsa_user_sgpr_kernarg_segment_ptr 1
		.amdhsa_user_sgpr_dispatch_id 0
		.amdhsa_user_sgpr_private_segment_size 0
		.amdhsa_wavefront_size32 1
		.amdhsa_uses_dynamic_stack 0
		.amdhsa_enable_private_segment 0
		.amdhsa_system_sgpr_workgroup_id_x 1
		.amdhsa_system_sgpr_workgroup_id_y 1
		.amdhsa_system_sgpr_workgroup_id_z 0
		.amdhsa_system_sgpr_workgroup_info 0
		.amdhsa_system_vgpr_workitem_id 1
		.amdhsa_next_free_vgpr 251
		.amdhsa_next_free_sgpr 18
		.amdhsa_reserve_vcc 1
		.amdhsa_float_round_mode_32 0
		.amdhsa_float_round_mode_16_64 0
		.amdhsa_float_denorm_mode_32 3
		.amdhsa_float_denorm_mode_16_64 3
		.amdhsa_dx10_clamp 1
		.amdhsa_ieee_mode 1
		.amdhsa_fp16_overflow 0
		.amdhsa_workgroup_processor_mode 1
		.amdhsa_memory_ordered 1
		.amdhsa_forward_progress 0
		.amdhsa_shared_vgpr_count 0
		.amdhsa_exception_fp_ieee_invalid_op 0
		.amdhsa_exception_fp_denorm_src 0
		.amdhsa_exception_fp_ieee_div_zero 0
		.amdhsa_exception_fp_ieee_overflow 0
		.amdhsa_exception_fp_ieee_underflow 0
		.amdhsa_exception_fp_ieee_inexact 0
		.amdhsa_exception_int_div_zero 0
	.end_amdhsa_kernel
	.section	.text._ZN9rocsolver6v33100L18getf2_small_kernelILi48E19rocblas_complex_numIdEiiPKPS3_EEvT1_T3_lS7_lPS7_llPT2_S7_S7_S9_l,"axG",@progbits,_ZN9rocsolver6v33100L18getf2_small_kernelILi48E19rocblas_complex_numIdEiiPKPS3_EEvT1_T3_lS7_lPS7_llPT2_S7_S7_S9_l,comdat
.Lfunc_end94:
	.size	_ZN9rocsolver6v33100L18getf2_small_kernelILi48E19rocblas_complex_numIdEiiPKPS3_EEvT1_T3_lS7_lPS7_llPT2_S7_S7_S9_l, .Lfunc_end94-_ZN9rocsolver6v33100L18getf2_small_kernelILi48E19rocblas_complex_numIdEiiPKPS3_EEvT1_T3_lS7_lPS7_llPT2_S7_S7_S9_l
                                        ; -- End function
	.section	.AMDGPU.csdata,"",@progbits
; Kernel info:
; codeLenInByte = 145368
; NumSgprs: 20
; NumVgprs: 251
; ScratchSize: 0
; MemoryBound: 0
; FloatMode: 240
; IeeeMode: 1
; LDSByteSize: 0 bytes/workgroup (compile time only)
; SGPRBlocks: 2
; VGPRBlocks: 31
; NumSGPRsForWavesPerEU: 20
; NumVGPRsForWavesPerEU: 251
; Occupancy: 5
; WaveLimiterHint : 1
; COMPUTE_PGM_RSRC2:SCRATCH_EN: 0
; COMPUTE_PGM_RSRC2:USER_SGPR: 14
; COMPUTE_PGM_RSRC2:TRAP_HANDLER: 0
; COMPUTE_PGM_RSRC2:TGID_X_EN: 1
; COMPUTE_PGM_RSRC2:TGID_Y_EN: 1
; COMPUTE_PGM_RSRC2:TGID_Z_EN: 0
; COMPUTE_PGM_RSRC2:TIDIG_COMP_CNT: 1
	.section	.text._ZN9rocsolver6v33100L23getf2_npvt_small_kernelILi48E19rocblas_complex_numIdEiiPKPS3_EEvT1_T3_lS7_lPT2_S7_S7_,"axG",@progbits,_ZN9rocsolver6v33100L23getf2_npvt_small_kernelILi48E19rocblas_complex_numIdEiiPKPS3_EEvT1_T3_lS7_lPT2_S7_S7_,comdat
	.globl	_ZN9rocsolver6v33100L23getf2_npvt_small_kernelILi48E19rocblas_complex_numIdEiiPKPS3_EEvT1_T3_lS7_lPT2_S7_S7_ ; -- Begin function _ZN9rocsolver6v33100L23getf2_npvt_small_kernelILi48E19rocblas_complex_numIdEiiPKPS3_EEvT1_T3_lS7_lPT2_S7_S7_
	.p2align	8
	.type	_ZN9rocsolver6v33100L23getf2_npvt_small_kernelILi48E19rocblas_complex_numIdEiiPKPS3_EEvT1_T3_lS7_lPT2_S7_S7_,@function
_ZN9rocsolver6v33100L23getf2_npvt_small_kernelILi48E19rocblas_complex_numIdEiiPKPS3_EEvT1_T3_lS7_lPT2_S7_S7_: ; @_ZN9rocsolver6v33100L23getf2_npvt_small_kernelILi48E19rocblas_complex_numIdEiiPKPS3_EEvT1_T3_lS7_lPT2_S7_S7_
; %bb.0:
	s_clause 0x1
	s_load_b32 s2, s[0:1], 0x44
	s_load_b64 s[10:11], s[0:1], 0x30
	v_bfe_u32 v1, v0, 10, 10
	s_waitcnt lgkmcnt(0)
	s_lshr_b32 s9, s2, 16
	s_mov_b32 s2, exec_lo
	s_delay_alu instid0(VALU_DEP_1) | instskip(NEXT) | instid1(VALU_DEP_1)
	v_mad_u64_u32 v[2:3], null, s15, s9, v[1:2]
	v_cmpx_gt_i32_e64 s10, v2
	s_cbranch_execz .LBB95_437
; %bb.1:
	s_clause 0x1
	s_load_b128 s[4:7], s[0:1], 0x8
	s_load_b32 s8, s[0:1], 0x18
	v_ashrrev_i32_e32 v3, 31, v2
	v_and_b32_e32 v252, 0x3ff, v0
	v_mad_u32_u24 v189, 0x300, v1, 0
	v_lshlrev_b32_e32 v1, 4, v1
	s_mulk_i32 s9, 0x300
	scratch_store_b64 off, v[2:3], off offset:944 ; 8-byte Folded Spill
	v_lshlrev_b64 v[2:3], 3, v[2:3]
	v_add3_u32 v188, 0, s9, v1
	s_waitcnt lgkmcnt(0)
	s_delay_alu instid0(VALU_DEP_2) | instskip(NEXT) | instid1(VALU_DEP_3)
	v_add_co_u32 v2, vcc_lo, s4, v2
	v_add_co_ci_u32_e32 v3, vcc_lo, s5, v3, vcc_lo
	v_add3_u32 v4, s8, s8, v252
	s_lshl_b64 s[2:3], s[6:7], 4
	s_ashr_i32 s9, s8, 31
	global_load_b64 v[2:3], v[2:3], off
	s_lshl_b64 s[4:5], s[8:9], 4
	v_add_nc_u32_e32 v6, s8, v4
	v_ashrrev_i32_e32 v5, 31, v4
	s_delay_alu instid0(VALU_DEP_2) | instskip(SKIP_1) | instid1(VALU_DEP_3)
	v_add_nc_u32_e32 v10, s8, v6
	v_ashrrev_i32_e32 v7, 31, v6
	v_lshlrev_b64 v[8:9], 4, v[4:5]
	s_delay_alu instid0(VALU_DEP_3) | instskip(SKIP_1) | instid1(VALU_DEP_4)
	v_add_nc_u32_e32 v12, s8, v10
	v_ashrrev_i32_e32 v11, 31, v10
	v_lshlrev_b64 v[6:7], 4, v[6:7]
	s_delay_alu instid0(VALU_DEP_3) | instskip(SKIP_1) | instid1(VALU_DEP_4)
	;; [unrolled: 4-line block ×26, first 2 shown]
	v_ashrrev_i32_e32 v59, 31, v58
	v_add_nc_u32_e32 v60, s8, v58
	v_lshlrev_b64 v[56:57], 4, v[56:57]
	s_delay_alu instid0(VALU_DEP_2) | instskip(SKIP_4) | instid1(VALU_DEP_3)
	v_ashrrev_i32_e32 v61, 31, v60
	s_waitcnt vmcnt(0)
	v_add_co_u32 v0, vcc_lo, v2, s2
	v_add_co_ci_u32_e32 v62, vcc_lo, s3, v3, vcc_lo
	v_lshlrev_b64 v[2:3], 4, v[58:59]
	v_add_co_u32 v101, vcc_lo, v0, v8
	s_delay_alu instid0(VALU_DEP_3)
	v_add_co_ci_u32_e32 v102, vcc_lo, v62, v9, vcc_lo
	v_add_co_u32 v99, vcc_lo, v0, v6
	v_add_co_ci_u32_e32 v100, vcc_lo, v62, v7, vcc_lo
	v_add_co_u32 v97, vcc_lo, v0, v4
	;; [unrolled: 2-line block ×27, first 2 shown]
	v_add_co_ci_u32_e32 v32, vcc_lo, v62, v3, vcc_lo
	v_lshlrev_b64 v[2:3], 4, v[60:61]
	global_load_b128 v[168:171], v[95:96], off
	s_clause 0x3
	scratch_store_b64 off, v[101:102], off offset:376
	scratch_store_b64 off, v[99:100], off offset:368
	;; [unrolled: 1-line block ×4, first 2 shown]
	v_add_co_u32 v29, vcc_lo, v0, v2
	v_add_nc_u32_e32 v2, s8, v60
	v_add_co_ci_u32_e32 v30, vcc_lo, v62, v3, vcc_lo
	s_clause 0x2
	global_load_b128 v[180:183], v[101:102], off
	global_load_b128 v[176:179], v[99:100], off
	;; [unrolled: 1-line block ×3, first 2 shown]
	v_ashrrev_i32_e32 v3, 31, v2
	v_cmp_ne_u32_e64 s3, 0, v252
	v_cmp_eq_u32_e64 s2, 0, v252
	s_delay_alu instid0(VALU_DEP_3) | instskip(SKIP_1) | instid1(VALU_DEP_2)
	v_lshlrev_b64 v[3:4], 4, v[2:3]
	v_add_nc_u32_e32 v2, s8, v2
	v_add_co_u32 v27, vcc_lo, v0, v3
	s_delay_alu instid0(VALU_DEP_2) | instskip(NEXT) | instid1(VALU_DEP_4)
	v_ashrrev_i32_e32 v3, 31, v2
	v_add_co_ci_u32_e32 v28, vcc_lo, v62, v4, vcc_lo
	s_delay_alu instid0(VALU_DEP_2) | instskip(SKIP_1) | instid1(VALU_DEP_2)
	v_lshlrev_b64 v[3:4], 4, v[2:3]
	v_add_nc_u32_e32 v2, s8, v2
	v_add_co_u32 v25, vcc_lo, v0, v3
	s_delay_alu instid0(VALU_DEP_2) | instskip(NEXT) | instid1(VALU_DEP_4)
	v_ashrrev_i32_e32 v3, 31, v2
	v_add_co_ci_u32_e32 v26, vcc_lo, v62, v4, vcc_lo
	s_delay_alu instid0(VALU_DEP_2) | instskip(SKIP_1) | instid1(VALU_DEP_2)
	;; [unrolled: 7-line block ×15, first 2 shown]
	v_lshlrev_b64 v[3:4], 4, v[2:3]
	v_add_nc_u32_e32 v2, s8, v2
	v_add_co_u32 v196, vcc_lo, v0, v3
	s_delay_alu instid0(VALU_DEP_2) | instskip(NEXT) | instid1(VALU_DEP_4)
	v_ashrrev_i32_e32 v3, 31, v2
	v_add_co_ci_u32_e32 v197, vcc_lo, v62, v4, vcc_lo
	s_delay_alu instid0(VALU_DEP_2) | instskip(NEXT) | instid1(VALU_DEP_1)
	v_lshlrev_b64 v[2:3], 4, v[2:3]
	v_add_co_u32 v198, vcc_lo, v0, v2
	v_lshlrev_b32_e32 v2, 4, v252
	s_delay_alu instid0(VALU_DEP_3) | instskip(NEXT) | instid1(VALU_DEP_2)
	v_add_co_ci_u32_e32 v199, vcc_lo, v62, v3, vcc_lo
	v_add_co_u32 v2, vcc_lo, v0, v2
	v_add_co_ci_u32_e32 v3, vcc_lo, 0, v62, vcc_lo
	s_delay_alu instid0(VALU_DEP_2)
	v_add_co_u32 v0, vcc_lo, v2, s4
	global_load_b128 v[45:48], v[2:3], off
	v_add_co_ci_u32_e32 v1, vcc_lo, s5, v3, vcc_lo
	scratch_store_b64 off, v[2:3], off offset:392 ; 8-byte Folded Spill
	s_waitcnt vmcnt(0)
	s_clause 0x1
	scratch_store_b128 off, v[45:48], off
	scratch_store_b64 off, v[0:1], off offset:384
	global_load_b128 v[184:187], v[0:1], off
	s_clause 0x1
	scratch_store_b64 off, v[93:94], off offset:344
	scratch_store_b64 off, v[91:92], off offset:336
	s_clause 0x1
	global_load_b128 v[164:167], v[93:94], off
	global_load_b128 v[160:163], v[91:92], off
	s_clause 0x3
	scratch_store_b64 off, v[89:90], off offset:328
	scratch_store_b64 off, v[87:88], off offset:320
	scratch_store_b64 off, v[85:86], off offset:312
	scratch_store_b64 off, v[83:84], off offset:304
	s_clause 0x3
	global_load_b128 v[156:159], v[89:90], off
	global_load_b128 v[152:155], v[87:88], off
	global_load_b128 v[148:151], v[85:86], off
	global_load_b128 v[144:147], v[83:84], off
	s_clause 0x3
	scratch_store_b64 off, v[81:82], off offset:296
	scratch_store_b64 off, v[79:80], off offset:288
	scratch_store_b64 off, v[77:78], off offset:280
	scratch_store_b64 off, v[75:76], off offset:272
	s_clause 0x3
	global_load_b128 v[140:143], v[81:82], off
	global_load_b128 v[136:139], v[79:80], off
	;; [unrolled: 10-line block ×4, first 2 shown]
	s_clause 0x3
	scratch_store_b64 off, v[58:59], off offset:200
	scratch_store_b64 off, v[43:44], off offset:192
	;; [unrolled: 1-line block ×4, first 2 shown]
	s_clause 0x5
	global_load_b128 v[100:103], v[58:59], off
	global_load_b128 v[96:99], v[43:44], off
	;; [unrolled: 1-line block ×6, first 2 shown]
	s_clause 0x3
	scratch_store_b64 off, v[35:36], off offset:144
	scratch_store_b64 off, v[192:193], off offset:152
	scratch_store_b64 off, v[39:40], off offset:168
	scratch_store_b64 off, v[37:38], off offset:160
	s_clause 0x1
	global_load_b128 v[76:79], v[33:34], off
	global_load_b128 v[72:75], v[31:32], off
	s_clause 0x3
	scratch_store_b64 off, v[29:30], off offset:112
	scratch_store_b64 off, v[190:191], off offset:120
	scratch_store_b64 off, v[33:34], off offset:136
	scratch_store_b64 off, v[31:32], off offset:128
	s_clause 0x1
	global_load_b128 v[68:71], v[29:30], off
	global_load_b128 v[64:67], v[27:28], off
	;; [unrolled: 8-line block ×3, first 2 shown]
	global_load_b128 v[52:55], v[21:22], off
	global_load_b128 v[48:51], v[19:20], off
	s_clause 0x3
	scratch_store_b64 off, v[19:20], off offset:72
	scratch_store_b64 off, v[17:18], off offset:64
	;; [unrolled: 1-line block ×4, first 2 shown]
	s_clause 0x5
	global_load_b128 v[44:47], v[17:18], off
	global_load_b128 v[40:43], v[15:16], off
	;; [unrolled: 1-line block ×6, first 2 shown]
	s_clause 0x3
	scratch_store_b64 off, v[5:6], off offset:16
	scratch_store_b64 off, v[7:8], off offset:24
	;; [unrolled: 1-line block ×4, first 2 shown]
	s_clause 0x5
	global_load_b128 v[24:27], v[5:6], off
	global_load_b128 v[16:19], v[190:191], off
	;; [unrolled: 1-line block ×6, first 2 shown]
	s_and_saveexec_b32 s5, s2
	s_cbranch_execz .LBB95_8
; %bb.2:
	scratch_load_b128 v[190:193], off, off  ; 16-byte Folded Reload
	s_waitcnt vmcnt(0)
	ds_store_2addr_b64 v188, v[190:191], v[192:193] offset1:1
	ds_store_2addr_b64 v189, v[184:185], v[186:187] offset0:2 offset1:3
	ds_store_2addr_b64 v189, v[180:181], v[182:183] offset0:4 offset1:5
	;; [unrolled: 1-line block ×47, first 2 shown]
	ds_load_2addr_b64 v[192:195], v188 offset1:1
	s_waitcnt lgkmcnt(0)
	v_cmp_neq_f64_e32 vcc_lo, 0, v[192:193]
	v_cmp_neq_f64_e64 s4, 0, v[194:195]
	s_delay_alu instid0(VALU_DEP_1) | instskip(NEXT) | instid1(SALU_CYCLE_1)
	s_or_b32 s4, vcc_lo, s4
	s_and_b32 exec_lo, exec_lo, s4
	s_cbranch_execz .LBB95_8
; %bb.3:
	v_cmp_gt_f64_e32 vcc_lo, 0, v[192:193]
	v_xor_b32_e32 v190, 0x80000000, v193
	v_xor_b32_e32 v196, 0x80000000, v195
	s_mov_b32 s4, exec_lo
                                        ; implicit-def: $vgpr200_vgpr201
	s_delay_alu instid0(VALU_DEP_2) | instskip(SKIP_1) | instid1(VALU_DEP_3)
	v_dual_cndmask_b32 v191, v193, v190 :: v_dual_cndmask_b32 v190, v192, v192
	v_cmp_gt_f64_e32 vcc_lo, 0, v[194:195]
	v_dual_cndmask_b32 v197, v195, v196 :: v_dual_cndmask_b32 v196, v194, v194
	s_delay_alu instid0(VALU_DEP_1)
	v_cmpx_ngt_f64_e32 v[190:191], v[196:197]
	s_xor_b32 s4, exec_lo, s4
                                        ; implicit-def: $vgpr196_vgpr197_vgpr198_vgpr199
	s_cbranch_execz .LBB95_5
; %bb.4:
	v_div_scale_f64 v[190:191], null, v[194:195], v[194:195], v[192:193]
	v_div_scale_f64 v[200:201], vcc_lo, v[192:193], v[194:195], v[192:193]
	s_delay_alu instid0(VALU_DEP_2) | instskip(SKIP_2) | instid1(VALU_DEP_1)
	v_rcp_f64_e32 v[196:197], v[190:191]
	s_waitcnt_depctr 0xfff
	v_fma_f64 v[198:199], -v[190:191], v[196:197], 1.0
	v_fma_f64 v[196:197], v[196:197], v[198:199], v[196:197]
	s_delay_alu instid0(VALU_DEP_1) | instskip(NEXT) | instid1(VALU_DEP_1)
	v_fma_f64 v[198:199], -v[190:191], v[196:197], 1.0
	v_fma_f64 v[196:197], v[196:197], v[198:199], v[196:197]
	s_delay_alu instid0(VALU_DEP_1) | instskip(NEXT) | instid1(VALU_DEP_1)
	v_mul_f64 v[198:199], v[200:201], v[196:197]
	v_fma_f64 v[190:191], -v[190:191], v[198:199], v[200:201]
	s_delay_alu instid0(VALU_DEP_1) | instskip(NEXT) | instid1(VALU_DEP_1)
	v_div_fmas_f64 v[190:191], v[190:191], v[196:197], v[198:199]
	v_div_fixup_f64 v[190:191], v[190:191], v[194:195], v[192:193]
	s_delay_alu instid0(VALU_DEP_1) | instskip(NEXT) | instid1(VALU_DEP_1)
	v_fma_f64 v[192:193], v[192:193], v[190:191], v[194:195]
	v_div_scale_f64 v[194:195], null, v[192:193], v[192:193], 1.0
	s_delay_alu instid0(VALU_DEP_1) | instskip(SKIP_2) | instid1(VALU_DEP_1)
	v_rcp_f64_e32 v[196:197], v[194:195]
	s_waitcnt_depctr 0xfff
	v_fma_f64 v[198:199], -v[194:195], v[196:197], 1.0
	v_fma_f64 v[196:197], v[196:197], v[198:199], v[196:197]
	s_delay_alu instid0(VALU_DEP_1) | instskip(NEXT) | instid1(VALU_DEP_1)
	v_fma_f64 v[198:199], -v[194:195], v[196:197], 1.0
	v_fma_f64 v[196:197], v[196:197], v[198:199], v[196:197]
	v_div_scale_f64 v[198:199], vcc_lo, 1.0, v[192:193], 1.0
	s_delay_alu instid0(VALU_DEP_1) | instskip(NEXT) | instid1(VALU_DEP_1)
	v_mul_f64 v[200:201], v[198:199], v[196:197]
	v_fma_f64 v[194:195], -v[194:195], v[200:201], v[198:199]
	s_delay_alu instid0(VALU_DEP_1) | instskip(NEXT) | instid1(VALU_DEP_1)
	v_div_fmas_f64 v[194:195], v[194:195], v[196:197], v[200:201]
	v_div_fixup_f64 v[198:199], v[194:195], v[192:193], 1.0
                                        ; implicit-def: $vgpr192_vgpr193
	s_delay_alu instid0(VALU_DEP_1)
	v_mul_f64 v[200:201], v[190:191], v[198:199]
	v_xor_b32_e32 v199, 0x80000000, v199
.LBB95_5:
	s_and_not1_saveexec_b32 s4, s4
	s_cbranch_execz .LBB95_7
; %bb.6:
	v_div_scale_f64 v[190:191], null, v[192:193], v[192:193], v[194:195]
	v_div_scale_f64 v[200:201], vcc_lo, v[194:195], v[192:193], v[194:195]
	s_delay_alu instid0(VALU_DEP_2) | instskip(SKIP_2) | instid1(VALU_DEP_1)
	v_rcp_f64_e32 v[196:197], v[190:191]
	s_waitcnt_depctr 0xfff
	v_fma_f64 v[198:199], -v[190:191], v[196:197], 1.0
	v_fma_f64 v[196:197], v[196:197], v[198:199], v[196:197]
	s_delay_alu instid0(VALU_DEP_1) | instskip(NEXT) | instid1(VALU_DEP_1)
	v_fma_f64 v[198:199], -v[190:191], v[196:197], 1.0
	v_fma_f64 v[196:197], v[196:197], v[198:199], v[196:197]
	s_delay_alu instid0(VALU_DEP_1) | instskip(NEXT) | instid1(VALU_DEP_1)
	v_mul_f64 v[198:199], v[200:201], v[196:197]
	v_fma_f64 v[190:191], -v[190:191], v[198:199], v[200:201]
	s_delay_alu instid0(VALU_DEP_1) | instskip(NEXT) | instid1(VALU_DEP_1)
	v_div_fmas_f64 v[190:191], v[190:191], v[196:197], v[198:199]
	v_div_fixup_f64 v[190:191], v[190:191], v[192:193], v[194:195]
	s_delay_alu instid0(VALU_DEP_1) | instskip(NEXT) | instid1(VALU_DEP_1)
	v_fma_f64 v[192:193], v[194:195], v[190:191], v[192:193]
	v_div_scale_f64 v[194:195], null, v[192:193], v[192:193], 1.0
	s_delay_alu instid0(VALU_DEP_1) | instskip(SKIP_2) | instid1(VALU_DEP_1)
	v_rcp_f64_e32 v[196:197], v[194:195]
	s_waitcnt_depctr 0xfff
	v_fma_f64 v[198:199], -v[194:195], v[196:197], 1.0
	v_fma_f64 v[196:197], v[196:197], v[198:199], v[196:197]
	s_delay_alu instid0(VALU_DEP_1) | instskip(NEXT) | instid1(VALU_DEP_1)
	v_fma_f64 v[198:199], -v[194:195], v[196:197], 1.0
	v_fma_f64 v[196:197], v[196:197], v[198:199], v[196:197]
	v_div_scale_f64 v[198:199], vcc_lo, 1.0, v[192:193], 1.0
	s_delay_alu instid0(VALU_DEP_1) | instskip(NEXT) | instid1(VALU_DEP_1)
	v_mul_f64 v[200:201], v[198:199], v[196:197]
	v_fma_f64 v[194:195], -v[194:195], v[200:201], v[198:199]
	s_delay_alu instid0(VALU_DEP_1) | instskip(NEXT) | instid1(VALU_DEP_1)
	v_div_fmas_f64 v[194:195], v[194:195], v[196:197], v[200:201]
	v_div_fixup_f64 v[200:201], v[194:195], v[192:193], 1.0
	s_delay_alu instid0(VALU_DEP_1)
	v_mul_f64 v[198:199], v[190:191], -v[200:201]
.LBB95_7:
	s_or_b32 exec_lo, exec_lo, s4
	ds_store_2addr_b64 v188, v[200:201], v[198:199] offset1:1
.LBB95_8:
	s_or_b32 exec_lo, exec_lo, s5
	s_waitcnt vmcnt(0) lgkmcnt(0)
	s_waitcnt_vscnt null, 0x0
	s_barrier
	buffer_gl0_inv
	ds_load_2addr_b64 v[190:193], v188 offset1:1
	s_waitcnt lgkmcnt(0)
	scratch_store_b128 off, v[190:193], off offset:400 ; 16-byte Folded Spill
	s_and_saveexec_b32 s4, s3
	s_cbranch_execz .LBB95_10
; %bb.9:
	s_clause 0x1
	scratch_load_b128 v[196:199], off, off
	scratch_load_b128 v[200:203], off, off offset:400
	s_waitcnt vmcnt(0)
	v_mul_f64 v[190:191], v[202:203], v[198:199]
	s_delay_alu instid0(VALU_DEP_1) | instskip(SKIP_1) | instid1(VALU_DEP_1)
	v_fma_f64 v[192:193], v[200:201], v[196:197], -v[190:191]
	v_mul_f64 v[190:191], v[200:201], v[198:199]
	v_fma_f64 v[198:199], v[202:203], v[196:197], v[190:191]
	ds_load_2addr_b64 v[194:197], v189 offset0:2 offset1:3
	s_waitcnt lgkmcnt(0)
	v_mul_f64 v[190:191], v[196:197], v[198:199]
	s_delay_alu instid0(VALU_DEP_1) | instskip(SKIP_1) | instid1(VALU_DEP_2)
	v_fma_f64 v[190:191], v[194:195], v[192:193], -v[190:191]
	v_mul_f64 v[194:195], v[194:195], v[198:199]
	v_add_f64 v[184:185], v[184:185], -v[190:191]
	s_delay_alu instid0(VALU_DEP_2) | instskip(NEXT) | instid1(VALU_DEP_1)
	v_fma_f64 v[194:195], v[196:197], v[192:193], v[194:195]
	v_add_f64 v[186:187], v[186:187], -v[194:195]
	ds_load_2addr_b64 v[194:197], v189 offset0:4 offset1:5
	s_waitcnt lgkmcnt(0)
	v_mul_f64 v[190:191], v[196:197], v[198:199]
	s_delay_alu instid0(VALU_DEP_1) | instskip(SKIP_1) | instid1(VALU_DEP_2)
	v_fma_f64 v[190:191], v[194:195], v[192:193], -v[190:191]
	v_mul_f64 v[194:195], v[194:195], v[198:199]
	v_add_f64 v[180:181], v[180:181], -v[190:191]
	s_delay_alu instid0(VALU_DEP_2) | instskip(NEXT) | instid1(VALU_DEP_1)
	v_fma_f64 v[194:195], v[196:197], v[192:193], v[194:195]
	v_add_f64 v[182:183], v[182:183], -v[194:195]
	;; [unrolled: 10-line block ×46, first 2 shown]
	ds_load_2addr_b64 v[194:197], v189 offset0:94 offset1:95
	s_waitcnt lgkmcnt(0)
	v_mul_f64 v[190:191], v[196:197], v[198:199]
	s_delay_alu instid0(VALU_DEP_1) | instskip(SKIP_1) | instid1(VALU_DEP_2)
	v_fma_f64 v[190:191], v[194:195], v[192:193], -v[190:191]
	v_mul_f64 v[194:195], v[194:195], v[198:199]
	v_add_f64 v[0:1], v[0:1], -v[190:191]
	s_delay_alu instid0(VALU_DEP_2)
	v_fma_f64 v[194:195], v[196:197], v[192:193], v[194:195]
	v_dual_mov_b32 v197, v193 :: v_dual_mov_b32 v196, v192
	scratch_store_b128 off, v[196:199], off ; 16-byte Folded Spill
	v_add_f64 v[2:3], v[2:3], -v[194:195]
.LBB95_10:
	s_or_b32 exec_lo, exec_lo, s4
	s_delay_alu instid0(SALU_CYCLE_1)
	s_mov_b32 s4, exec_lo
	s_waitcnt_vscnt null, 0x0
	s_barrier
	buffer_gl0_inv
	v_cmpx_eq_u32_e32 1, v252
	s_cbranch_execz .LBB95_17
; %bb.11:
	ds_store_2addr_b64 v188, v[184:185], v[186:187] offset1:1
	ds_store_2addr_b64 v189, v[180:181], v[182:183] offset0:4 offset1:5
	ds_store_2addr_b64 v189, v[176:177], v[178:179] offset0:6 offset1:7
	;; [unrolled: 1-line block ×46, first 2 shown]
	ds_load_2addr_b64 v[192:195], v188 offset1:1
	s_waitcnt lgkmcnt(0)
	v_cmp_neq_f64_e32 vcc_lo, 0, v[192:193]
	v_cmp_neq_f64_e64 s3, 0, v[194:195]
	s_delay_alu instid0(VALU_DEP_1) | instskip(NEXT) | instid1(SALU_CYCLE_1)
	s_or_b32 s3, vcc_lo, s3
	s_and_b32 exec_lo, exec_lo, s3
	s_cbranch_execz .LBB95_17
; %bb.12:
	v_cmp_gt_f64_e32 vcc_lo, 0, v[192:193]
	v_xor_b32_e32 v190, 0x80000000, v193
	v_xor_b32_e32 v196, 0x80000000, v195
	s_mov_b32 s3, exec_lo
                                        ; implicit-def: $vgpr200_vgpr201
	s_delay_alu instid0(VALU_DEP_2) | instskip(SKIP_1) | instid1(VALU_DEP_3)
	v_dual_cndmask_b32 v191, v193, v190 :: v_dual_cndmask_b32 v190, v192, v192
	v_cmp_gt_f64_e32 vcc_lo, 0, v[194:195]
	v_dual_cndmask_b32 v197, v195, v196 :: v_dual_cndmask_b32 v196, v194, v194
	s_delay_alu instid0(VALU_DEP_1)
	v_cmpx_ngt_f64_e32 v[190:191], v[196:197]
	s_xor_b32 s3, exec_lo, s3
                                        ; implicit-def: $vgpr196_vgpr197_vgpr198_vgpr199
	s_cbranch_execz .LBB95_14
; %bb.13:
	v_div_scale_f64 v[190:191], null, v[194:195], v[194:195], v[192:193]
	v_div_scale_f64 v[200:201], vcc_lo, v[192:193], v[194:195], v[192:193]
	s_delay_alu instid0(VALU_DEP_2) | instskip(SKIP_2) | instid1(VALU_DEP_1)
	v_rcp_f64_e32 v[196:197], v[190:191]
	s_waitcnt_depctr 0xfff
	v_fma_f64 v[198:199], -v[190:191], v[196:197], 1.0
	v_fma_f64 v[196:197], v[196:197], v[198:199], v[196:197]
	s_delay_alu instid0(VALU_DEP_1) | instskip(NEXT) | instid1(VALU_DEP_1)
	v_fma_f64 v[198:199], -v[190:191], v[196:197], 1.0
	v_fma_f64 v[196:197], v[196:197], v[198:199], v[196:197]
	s_delay_alu instid0(VALU_DEP_1) | instskip(NEXT) | instid1(VALU_DEP_1)
	v_mul_f64 v[198:199], v[200:201], v[196:197]
	v_fma_f64 v[190:191], -v[190:191], v[198:199], v[200:201]
	s_delay_alu instid0(VALU_DEP_1) | instskip(NEXT) | instid1(VALU_DEP_1)
	v_div_fmas_f64 v[190:191], v[190:191], v[196:197], v[198:199]
	v_div_fixup_f64 v[190:191], v[190:191], v[194:195], v[192:193]
	s_delay_alu instid0(VALU_DEP_1) | instskip(NEXT) | instid1(VALU_DEP_1)
	v_fma_f64 v[192:193], v[192:193], v[190:191], v[194:195]
	v_div_scale_f64 v[194:195], null, v[192:193], v[192:193], 1.0
	s_delay_alu instid0(VALU_DEP_1) | instskip(SKIP_2) | instid1(VALU_DEP_1)
	v_rcp_f64_e32 v[196:197], v[194:195]
	s_waitcnt_depctr 0xfff
	v_fma_f64 v[198:199], -v[194:195], v[196:197], 1.0
	v_fma_f64 v[196:197], v[196:197], v[198:199], v[196:197]
	s_delay_alu instid0(VALU_DEP_1) | instskip(NEXT) | instid1(VALU_DEP_1)
	v_fma_f64 v[198:199], -v[194:195], v[196:197], 1.0
	v_fma_f64 v[196:197], v[196:197], v[198:199], v[196:197]
	v_div_scale_f64 v[198:199], vcc_lo, 1.0, v[192:193], 1.0
	s_delay_alu instid0(VALU_DEP_1) | instskip(NEXT) | instid1(VALU_DEP_1)
	v_mul_f64 v[200:201], v[198:199], v[196:197]
	v_fma_f64 v[194:195], -v[194:195], v[200:201], v[198:199]
	s_delay_alu instid0(VALU_DEP_1) | instskip(NEXT) | instid1(VALU_DEP_1)
	v_div_fmas_f64 v[194:195], v[194:195], v[196:197], v[200:201]
	v_div_fixup_f64 v[198:199], v[194:195], v[192:193], 1.0
                                        ; implicit-def: $vgpr192_vgpr193
	s_delay_alu instid0(VALU_DEP_1)
	v_mul_f64 v[200:201], v[190:191], v[198:199]
	v_xor_b32_e32 v199, 0x80000000, v199
.LBB95_14:
	s_and_not1_saveexec_b32 s3, s3
	s_cbranch_execz .LBB95_16
; %bb.15:
	v_div_scale_f64 v[190:191], null, v[192:193], v[192:193], v[194:195]
	v_div_scale_f64 v[200:201], vcc_lo, v[194:195], v[192:193], v[194:195]
	s_delay_alu instid0(VALU_DEP_2) | instskip(SKIP_2) | instid1(VALU_DEP_1)
	v_rcp_f64_e32 v[196:197], v[190:191]
	s_waitcnt_depctr 0xfff
	v_fma_f64 v[198:199], -v[190:191], v[196:197], 1.0
	v_fma_f64 v[196:197], v[196:197], v[198:199], v[196:197]
	s_delay_alu instid0(VALU_DEP_1) | instskip(NEXT) | instid1(VALU_DEP_1)
	v_fma_f64 v[198:199], -v[190:191], v[196:197], 1.0
	v_fma_f64 v[196:197], v[196:197], v[198:199], v[196:197]
	s_delay_alu instid0(VALU_DEP_1) | instskip(NEXT) | instid1(VALU_DEP_1)
	v_mul_f64 v[198:199], v[200:201], v[196:197]
	v_fma_f64 v[190:191], -v[190:191], v[198:199], v[200:201]
	s_delay_alu instid0(VALU_DEP_1) | instskip(NEXT) | instid1(VALU_DEP_1)
	v_div_fmas_f64 v[190:191], v[190:191], v[196:197], v[198:199]
	v_div_fixup_f64 v[190:191], v[190:191], v[192:193], v[194:195]
	s_delay_alu instid0(VALU_DEP_1) | instskip(NEXT) | instid1(VALU_DEP_1)
	v_fma_f64 v[192:193], v[194:195], v[190:191], v[192:193]
	v_div_scale_f64 v[194:195], null, v[192:193], v[192:193], 1.0
	s_delay_alu instid0(VALU_DEP_1) | instskip(SKIP_2) | instid1(VALU_DEP_1)
	v_rcp_f64_e32 v[196:197], v[194:195]
	s_waitcnt_depctr 0xfff
	v_fma_f64 v[198:199], -v[194:195], v[196:197], 1.0
	v_fma_f64 v[196:197], v[196:197], v[198:199], v[196:197]
	s_delay_alu instid0(VALU_DEP_1) | instskip(NEXT) | instid1(VALU_DEP_1)
	v_fma_f64 v[198:199], -v[194:195], v[196:197], 1.0
	v_fma_f64 v[196:197], v[196:197], v[198:199], v[196:197]
	v_div_scale_f64 v[198:199], vcc_lo, 1.0, v[192:193], 1.0
	s_delay_alu instid0(VALU_DEP_1) | instskip(NEXT) | instid1(VALU_DEP_1)
	v_mul_f64 v[200:201], v[198:199], v[196:197]
	v_fma_f64 v[194:195], -v[194:195], v[200:201], v[198:199]
	s_delay_alu instid0(VALU_DEP_1) | instskip(NEXT) | instid1(VALU_DEP_1)
	v_div_fmas_f64 v[194:195], v[194:195], v[196:197], v[200:201]
	v_div_fixup_f64 v[200:201], v[194:195], v[192:193], 1.0
	s_delay_alu instid0(VALU_DEP_1)
	v_mul_f64 v[198:199], v[190:191], -v[200:201]
.LBB95_16:
	s_or_b32 exec_lo, exec_lo, s3
	ds_store_2addr_b64 v188, v[200:201], v[198:199] offset1:1
.LBB95_17:
	s_or_b32 exec_lo, exec_lo, s4
	s_waitcnt lgkmcnt(0)
	s_barrier
	buffer_gl0_inv
	ds_load_2addr_b64 v[190:193], v188 offset1:1
	s_mov_b32 s3, exec_lo
	s_waitcnt lgkmcnt(0)
	scratch_store_b128 off, v[190:193], off offset:416 ; 16-byte Folded Spill
	v_cmpx_lt_u32_e32 1, v252
	s_cbranch_execz .LBB95_19
; %bb.18:
	scratch_load_b128 v[194:197], off, off offset:416 ; 16-byte Folded Reload
	s_waitcnt vmcnt(0)
	v_mul_f64 v[190:191], v[196:197], v[186:187]
	v_mul_f64 v[186:187], v[194:195], v[186:187]
	s_delay_alu instid0(VALU_DEP_2) | instskip(NEXT) | instid1(VALU_DEP_2)
	v_fma_f64 v[192:193], v[194:195], v[184:185], -v[190:191]
	v_fma_f64 v[186:187], v[196:197], v[184:185], v[186:187]
	ds_load_2addr_b64 v[194:197], v189 offset0:4 offset1:5
	s_waitcnt lgkmcnt(0)
	v_mul_f64 v[184:185], v[196:197], v[186:187]
	v_mul_f64 v[190:191], v[194:195], v[186:187]
	s_delay_alu instid0(VALU_DEP_2) | instskip(NEXT) | instid1(VALU_DEP_2)
	v_fma_f64 v[184:185], v[194:195], v[192:193], -v[184:185]
	v_fma_f64 v[190:191], v[196:197], v[192:193], v[190:191]
	ds_load_2addr_b64 v[194:197], v189 offset0:6 offset1:7
	v_add_f64 v[180:181], v[180:181], -v[184:185]
	v_add_f64 v[182:183], v[182:183], -v[190:191]
	s_waitcnt lgkmcnt(0)
	v_mul_f64 v[184:185], v[196:197], v[186:187]
	v_mul_f64 v[190:191], v[194:195], v[186:187]
	s_delay_alu instid0(VALU_DEP_2) | instskip(NEXT) | instid1(VALU_DEP_2)
	v_fma_f64 v[184:185], v[194:195], v[192:193], -v[184:185]
	v_fma_f64 v[190:191], v[196:197], v[192:193], v[190:191]
	ds_load_2addr_b64 v[194:197], v189 offset0:8 offset1:9
	v_add_f64 v[176:177], v[176:177], -v[184:185]
	v_add_f64 v[178:179], v[178:179], -v[190:191]
	;; [unrolled: 9-line block ×45, first 2 shown]
	s_waitcnt lgkmcnt(0)
	v_mul_f64 v[184:185], v[196:197], v[186:187]
	v_mul_f64 v[190:191], v[194:195], v[186:187]
	s_delay_alu instid0(VALU_DEP_2) | instskip(NEXT) | instid1(VALU_DEP_2)
	v_fma_f64 v[184:185], v[194:195], v[192:193], -v[184:185]
	v_fma_f64 v[190:191], v[196:197], v[192:193], v[190:191]
	s_delay_alu instid0(VALU_DEP_2) | instskip(NEXT) | instid1(VALU_DEP_2)
	v_add_f64 v[0:1], v[0:1], -v[184:185]
	v_add_f64 v[2:3], v[2:3], -v[190:191]
	v_dual_mov_b32 v184, v192 :: v_dual_mov_b32 v185, v193
.LBB95_19:
	s_or_b32 exec_lo, exec_lo, s3
	s_delay_alu instid0(SALU_CYCLE_1)
	s_mov_b32 s4, exec_lo
	s_waitcnt_vscnt null, 0x0
	s_barrier
	buffer_gl0_inv
	v_cmpx_eq_u32_e32 2, v252
	s_cbranch_execz .LBB95_26
; %bb.20:
	ds_store_2addr_b64 v188, v[180:181], v[182:183] offset1:1
	ds_store_2addr_b64 v189, v[176:177], v[178:179] offset0:6 offset1:7
	ds_store_2addr_b64 v189, v[172:173], v[174:175] offset0:8 offset1:9
	;; [unrolled: 1-line block ×45, first 2 shown]
	ds_load_2addr_b64 v[192:195], v188 offset1:1
	s_waitcnt lgkmcnt(0)
	v_cmp_neq_f64_e32 vcc_lo, 0, v[192:193]
	v_cmp_neq_f64_e64 s3, 0, v[194:195]
	s_delay_alu instid0(VALU_DEP_1) | instskip(NEXT) | instid1(SALU_CYCLE_1)
	s_or_b32 s3, vcc_lo, s3
	s_and_b32 exec_lo, exec_lo, s3
	s_cbranch_execz .LBB95_26
; %bb.21:
	v_cmp_gt_f64_e32 vcc_lo, 0, v[192:193]
	v_xor_b32_e32 v190, 0x80000000, v193
	v_xor_b32_e32 v196, 0x80000000, v195
	s_mov_b32 s3, exec_lo
                                        ; implicit-def: $vgpr200_vgpr201
	s_delay_alu instid0(VALU_DEP_2) | instskip(SKIP_1) | instid1(VALU_DEP_3)
	v_dual_cndmask_b32 v191, v193, v190 :: v_dual_cndmask_b32 v190, v192, v192
	v_cmp_gt_f64_e32 vcc_lo, 0, v[194:195]
	v_dual_cndmask_b32 v197, v195, v196 :: v_dual_cndmask_b32 v196, v194, v194
	s_delay_alu instid0(VALU_DEP_1)
	v_cmpx_ngt_f64_e32 v[190:191], v[196:197]
	s_xor_b32 s3, exec_lo, s3
                                        ; implicit-def: $vgpr196_vgpr197_vgpr198_vgpr199
	s_cbranch_execz .LBB95_23
; %bb.22:
	v_div_scale_f64 v[190:191], null, v[194:195], v[194:195], v[192:193]
	v_div_scale_f64 v[200:201], vcc_lo, v[192:193], v[194:195], v[192:193]
	s_delay_alu instid0(VALU_DEP_2) | instskip(SKIP_2) | instid1(VALU_DEP_1)
	v_rcp_f64_e32 v[196:197], v[190:191]
	s_waitcnt_depctr 0xfff
	v_fma_f64 v[198:199], -v[190:191], v[196:197], 1.0
	v_fma_f64 v[196:197], v[196:197], v[198:199], v[196:197]
	s_delay_alu instid0(VALU_DEP_1) | instskip(NEXT) | instid1(VALU_DEP_1)
	v_fma_f64 v[198:199], -v[190:191], v[196:197], 1.0
	v_fma_f64 v[196:197], v[196:197], v[198:199], v[196:197]
	s_delay_alu instid0(VALU_DEP_1) | instskip(NEXT) | instid1(VALU_DEP_1)
	v_mul_f64 v[198:199], v[200:201], v[196:197]
	v_fma_f64 v[190:191], -v[190:191], v[198:199], v[200:201]
	s_delay_alu instid0(VALU_DEP_1) | instskip(NEXT) | instid1(VALU_DEP_1)
	v_div_fmas_f64 v[190:191], v[190:191], v[196:197], v[198:199]
	v_div_fixup_f64 v[190:191], v[190:191], v[194:195], v[192:193]
	s_delay_alu instid0(VALU_DEP_1) | instskip(NEXT) | instid1(VALU_DEP_1)
	v_fma_f64 v[192:193], v[192:193], v[190:191], v[194:195]
	v_div_scale_f64 v[194:195], null, v[192:193], v[192:193], 1.0
	s_delay_alu instid0(VALU_DEP_1) | instskip(SKIP_2) | instid1(VALU_DEP_1)
	v_rcp_f64_e32 v[196:197], v[194:195]
	s_waitcnt_depctr 0xfff
	v_fma_f64 v[198:199], -v[194:195], v[196:197], 1.0
	v_fma_f64 v[196:197], v[196:197], v[198:199], v[196:197]
	s_delay_alu instid0(VALU_DEP_1) | instskip(NEXT) | instid1(VALU_DEP_1)
	v_fma_f64 v[198:199], -v[194:195], v[196:197], 1.0
	v_fma_f64 v[196:197], v[196:197], v[198:199], v[196:197]
	v_div_scale_f64 v[198:199], vcc_lo, 1.0, v[192:193], 1.0
	s_delay_alu instid0(VALU_DEP_1) | instskip(NEXT) | instid1(VALU_DEP_1)
	v_mul_f64 v[200:201], v[198:199], v[196:197]
	v_fma_f64 v[194:195], -v[194:195], v[200:201], v[198:199]
	s_delay_alu instid0(VALU_DEP_1) | instskip(NEXT) | instid1(VALU_DEP_1)
	v_div_fmas_f64 v[194:195], v[194:195], v[196:197], v[200:201]
	v_div_fixup_f64 v[198:199], v[194:195], v[192:193], 1.0
                                        ; implicit-def: $vgpr192_vgpr193
	s_delay_alu instid0(VALU_DEP_1)
	v_mul_f64 v[200:201], v[190:191], v[198:199]
	v_xor_b32_e32 v199, 0x80000000, v199
.LBB95_23:
	s_and_not1_saveexec_b32 s3, s3
	s_cbranch_execz .LBB95_25
; %bb.24:
	v_div_scale_f64 v[190:191], null, v[192:193], v[192:193], v[194:195]
	v_div_scale_f64 v[200:201], vcc_lo, v[194:195], v[192:193], v[194:195]
	s_delay_alu instid0(VALU_DEP_2) | instskip(SKIP_2) | instid1(VALU_DEP_1)
	v_rcp_f64_e32 v[196:197], v[190:191]
	s_waitcnt_depctr 0xfff
	v_fma_f64 v[198:199], -v[190:191], v[196:197], 1.0
	v_fma_f64 v[196:197], v[196:197], v[198:199], v[196:197]
	s_delay_alu instid0(VALU_DEP_1) | instskip(NEXT) | instid1(VALU_DEP_1)
	v_fma_f64 v[198:199], -v[190:191], v[196:197], 1.0
	v_fma_f64 v[196:197], v[196:197], v[198:199], v[196:197]
	s_delay_alu instid0(VALU_DEP_1) | instskip(NEXT) | instid1(VALU_DEP_1)
	v_mul_f64 v[198:199], v[200:201], v[196:197]
	v_fma_f64 v[190:191], -v[190:191], v[198:199], v[200:201]
	s_delay_alu instid0(VALU_DEP_1) | instskip(NEXT) | instid1(VALU_DEP_1)
	v_div_fmas_f64 v[190:191], v[190:191], v[196:197], v[198:199]
	v_div_fixup_f64 v[190:191], v[190:191], v[192:193], v[194:195]
	s_delay_alu instid0(VALU_DEP_1) | instskip(NEXT) | instid1(VALU_DEP_1)
	v_fma_f64 v[192:193], v[194:195], v[190:191], v[192:193]
	v_div_scale_f64 v[194:195], null, v[192:193], v[192:193], 1.0
	s_delay_alu instid0(VALU_DEP_1) | instskip(SKIP_2) | instid1(VALU_DEP_1)
	v_rcp_f64_e32 v[196:197], v[194:195]
	s_waitcnt_depctr 0xfff
	v_fma_f64 v[198:199], -v[194:195], v[196:197], 1.0
	v_fma_f64 v[196:197], v[196:197], v[198:199], v[196:197]
	s_delay_alu instid0(VALU_DEP_1) | instskip(NEXT) | instid1(VALU_DEP_1)
	v_fma_f64 v[198:199], -v[194:195], v[196:197], 1.0
	v_fma_f64 v[196:197], v[196:197], v[198:199], v[196:197]
	v_div_scale_f64 v[198:199], vcc_lo, 1.0, v[192:193], 1.0
	s_delay_alu instid0(VALU_DEP_1) | instskip(NEXT) | instid1(VALU_DEP_1)
	v_mul_f64 v[200:201], v[198:199], v[196:197]
	v_fma_f64 v[194:195], -v[194:195], v[200:201], v[198:199]
	s_delay_alu instid0(VALU_DEP_1) | instskip(NEXT) | instid1(VALU_DEP_1)
	v_div_fmas_f64 v[194:195], v[194:195], v[196:197], v[200:201]
	v_div_fixup_f64 v[200:201], v[194:195], v[192:193], 1.0
	s_delay_alu instid0(VALU_DEP_1)
	v_mul_f64 v[198:199], v[190:191], -v[200:201]
.LBB95_25:
	s_or_b32 exec_lo, exec_lo, s3
	ds_store_2addr_b64 v188, v[200:201], v[198:199] offset1:1
.LBB95_26:
	s_or_b32 exec_lo, exec_lo, s4
	s_waitcnt lgkmcnt(0)
	s_barrier
	buffer_gl0_inv
	ds_load_2addr_b64 v[190:193], v188 offset1:1
	s_mov_b32 s3, exec_lo
	s_waitcnt lgkmcnt(0)
	scratch_store_b128 off, v[190:193], off offset:432 ; 16-byte Folded Spill
	v_cmpx_lt_u32_e32 2, v252
	s_cbranch_execz .LBB95_28
; %bb.27:
	scratch_load_b128 v[194:197], off, off offset:432 ; 16-byte Folded Reload
	s_waitcnt vmcnt(0)
	v_mul_f64 v[190:191], v[196:197], v[182:183]
	v_mul_f64 v[182:183], v[194:195], v[182:183]
	s_delay_alu instid0(VALU_DEP_2) | instskip(NEXT) | instid1(VALU_DEP_2)
	v_fma_f64 v[192:193], v[194:195], v[180:181], -v[190:191]
	v_fma_f64 v[182:183], v[196:197], v[180:181], v[182:183]
	ds_load_2addr_b64 v[194:197], v189 offset0:6 offset1:7
	s_waitcnt lgkmcnt(0)
	v_mul_f64 v[180:181], v[196:197], v[182:183]
	v_mul_f64 v[190:191], v[194:195], v[182:183]
	s_delay_alu instid0(VALU_DEP_2) | instskip(NEXT) | instid1(VALU_DEP_2)
	v_fma_f64 v[180:181], v[194:195], v[192:193], -v[180:181]
	v_fma_f64 v[190:191], v[196:197], v[192:193], v[190:191]
	ds_load_2addr_b64 v[194:197], v189 offset0:8 offset1:9
	v_add_f64 v[176:177], v[176:177], -v[180:181]
	v_add_f64 v[178:179], v[178:179], -v[190:191]
	s_waitcnt lgkmcnt(0)
	v_mul_f64 v[180:181], v[196:197], v[182:183]
	v_mul_f64 v[190:191], v[194:195], v[182:183]
	s_delay_alu instid0(VALU_DEP_2) | instskip(NEXT) | instid1(VALU_DEP_2)
	v_fma_f64 v[180:181], v[194:195], v[192:193], -v[180:181]
	v_fma_f64 v[190:191], v[196:197], v[192:193], v[190:191]
	ds_load_2addr_b64 v[194:197], v189 offset0:10 offset1:11
	v_add_f64 v[172:173], v[172:173], -v[180:181]
	v_add_f64 v[174:175], v[174:175], -v[190:191]
	;; [unrolled: 9-line block ×44, first 2 shown]
	s_waitcnt lgkmcnt(0)
	v_mul_f64 v[180:181], v[196:197], v[182:183]
	v_mul_f64 v[190:191], v[194:195], v[182:183]
	s_delay_alu instid0(VALU_DEP_2) | instskip(NEXT) | instid1(VALU_DEP_2)
	v_fma_f64 v[180:181], v[194:195], v[192:193], -v[180:181]
	v_fma_f64 v[190:191], v[196:197], v[192:193], v[190:191]
	s_delay_alu instid0(VALU_DEP_2) | instskip(NEXT) | instid1(VALU_DEP_2)
	v_add_f64 v[0:1], v[0:1], -v[180:181]
	v_add_f64 v[2:3], v[2:3], -v[190:191]
	v_dual_mov_b32 v180, v192 :: v_dual_mov_b32 v181, v193
.LBB95_28:
	s_or_b32 exec_lo, exec_lo, s3
	s_delay_alu instid0(SALU_CYCLE_1)
	s_mov_b32 s4, exec_lo
	s_waitcnt_vscnt null, 0x0
	s_barrier
	buffer_gl0_inv
	v_cmpx_eq_u32_e32 3, v252
	s_cbranch_execz .LBB95_35
; %bb.29:
	ds_store_2addr_b64 v188, v[176:177], v[178:179] offset1:1
	ds_store_2addr_b64 v189, v[172:173], v[174:175] offset0:8 offset1:9
	ds_store_2addr_b64 v189, v[168:169], v[170:171] offset0:10 offset1:11
	;; [unrolled: 1-line block ×44, first 2 shown]
	ds_load_2addr_b64 v[192:195], v188 offset1:1
	s_waitcnt lgkmcnt(0)
	v_cmp_neq_f64_e32 vcc_lo, 0, v[192:193]
	v_cmp_neq_f64_e64 s3, 0, v[194:195]
	s_delay_alu instid0(VALU_DEP_1) | instskip(NEXT) | instid1(SALU_CYCLE_1)
	s_or_b32 s3, vcc_lo, s3
	s_and_b32 exec_lo, exec_lo, s3
	s_cbranch_execz .LBB95_35
; %bb.30:
	v_cmp_gt_f64_e32 vcc_lo, 0, v[192:193]
	v_xor_b32_e32 v190, 0x80000000, v193
	v_xor_b32_e32 v196, 0x80000000, v195
	s_mov_b32 s3, exec_lo
                                        ; implicit-def: $vgpr200_vgpr201
	s_delay_alu instid0(VALU_DEP_2) | instskip(SKIP_1) | instid1(VALU_DEP_3)
	v_dual_cndmask_b32 v191, v193, v190 :: v_dual_cndmask_b32 v190, v192, v192
	v_cmp_gt_f64_e32 vcc_lo, 0, v[194:195]
	v_dual_cndmask_b32 v197, v195, v196 :: v_dual_cndmask_b32 v196, v194, v194
	s_delay_alu instid0(VALU_DEP_1)
	v_cmpx_ngt_f64_e32 v[190:191], v[196:197]
	s_xor_b32 s3, exec_lo, s3
                                        ; implicit-def: $vgpr196_vgpr197_vgpr198_vgpr199
	s_cbranch_execz .LBB95_32
; %bb.31:
	v_div_scale_f64 v[190:191], null, v[194:195], v[194:195], v[192:193]
	v_div_scale_f64 v[200:201], vcc_lo, v[192:193], v[194:195], v[192:193]
	s_delay_alu instid0(VALU_DEP_2) | instskip(SKIP_2) | instid1(VALU_DEP_1)
	v_rcp_f64_e32 v[196:197], v[190:191]
	s_waitcnt_depctr 0xfff
	v_fma_f64 v[198:199], -v[190:191], v[196:197], 1.0
	v_fma_f64 v[196:197], v[196:197], v[198:199], v[196:197]
	s_delay_alu instid0(VALU_DEP_1) | instskip(NEXT) | instid1(VALU_DEP_1)
	v_fma_f64 v[198:199], -v[190:191], v[196:197], 1.0
	v_fma_f64 v[196:197], v[196:197], v[198:199], v[196:197]
	s_delay_alu instid0(VALU_DEP_1) | instskip(NEXT) | instid1(VALU_DEP_1)
	v_mul_f64 v[198:199], v[200:201], v[196:197]
	v_fma_f64 v[190:191], -v[190:191], v[198:199], v[200:201]
	s_delay_alu instid0(VALU_DEP_1) | instskip(NEXT) | instid1(VALU_DEP_1)
	v_div_fmas_f64 v[190:191], v[190:191], v[196:197], v[198:199]
	v_div_fixup_f64 v[190:191], v[190:191], v[194:195], v[192:193]
	s_delay_alu instid0(VALU_DEP_1) | instskip(NEXT) | instid1(VALU_DEP_1)
	v_fma_f64 v[192:193], v[192:193], v[190:191], v[194:195]
	v_div_scale_f64 v[194:195], null, v[192:193], v[192:193], 1.0
	s_delay_alu instid0(VALU_DEP_1) | instskip(SKIP_2) | instid1(VALU_DEP_1)
	v_rcp_f64_e32 v[196:197], v[194:195]
	s_waitcnt_depctr 0xfff
	v_fma_f64 v[198:199], -v[194:195], v[196:197], 1.0
	v_fma_f64 v[196:197], v[196:197], v[198:199], v[196:197]
	s_delay_alu instid0(VALU_DEP_1) | instskip(NEXT) | instid1(VALU_DEP_1)
	v_fma_f64 v[198:199], -v[194:195], v[196:197], 1.0
	v_fma_f64 v[196:197], v[196:197], v[198:199], v[196:197]
	v_div_scale_f64 v[198:199], vcc_lo, 1.0, v[192:193], 1.0
	s_delay_alu instid0(VALU_DEP_1) | instskip(NEXT) | instid1(VALU_DEP_1)
	v_mul_f64 v[200:201], v[198:199], v[196:197]
	v_fma_f64 v[194:195], -v[194:195], v[200:201], v[198:199]
	s_delay_alu instid0(VALU_DEP_1) | instskip(NEXT) | instid1(VALU_DEP_1)
	v_div_fmas_f64 v[194:195], v[194:195], v[196:197], v[200:201]
	v_div_fixup_f64 v[198:199], v[194:195], v[192:193], 1.0
                                        ; implicit-def: $vgpr192_vgpr193
	s_delay_alu instid0(VALU_DEP_1)
	v_mul_f64 v[200:201], v[190:191], v[198:199]
	v_xor_b32_e32 v199, 0x80000000, v199
.LBB95_32:
	s_and_not1_saveexec_b32 s3, s3
	s_cbranch_execz .LBB95_34
; %bb.33:
	v_div_scale_f64 v[190:191], null, v[192:193], v[192:193], v[194:195]
	v_div_scale_f64 v[200:201], vcc_lo, v[194:195], v[192:193], v[194:195]
	s_delay_alu instid0(VALU_DEP_2) | instskip(SKIP_2) | instid1(VALU_DEP_1)
	v_rcp_f64_e32 v[196:197], v[190:191]
	s_waitcnt_depctr 0xfff
	v_fma_f64 v[198:199], -v[190:191], v[196:197], 1.0
	v_fma_f64 v[196:197], v[196:197], v[198:199], v[196:197]
	s_delay_alu instid0(VALU_DEP_1) | instskip(NEXT) | instid1(VALU_DEP_1)
	v_fma_f64 v[198:199], -v[190:191], v[196:197], 1.0
	v_fma_f64 v[196:197], v[196:197], v[198:199], v[196:197]
	s_delay_alu instid0(VALU_DEP_1) | instskip(NEXT) | instid1(VALU_DEP_1)
	v_mul_f64 v[198:199], v[200:201], v[196:197]
	v_fma_f64 v[190:191], -v[190:191], v[198:199], v[200:201]
	s_delay_alu instid0(VALU_DEP_1) | instskip(NEXT) | instid1(VALU_DEP_1)
	v_div_fmas_f64 v[190:191], v[190:191], v[196:197], v[198:199]
	v_div_fixup_f64 v[190:191], v[190:191], v[192:193], v[194:195]
	s_delay_alu instid0(VALU_DEP_1) | instskip(NEXT) | instid1(VALU_DEP_1)
	v_fma_f64 v[192:193], v[194:195], v[190:191], v[192:193]
	v_div_scale_f64 v[194:195], null, v[192:193], v[192:193], 1.0
	s_delay_alu instid0(VALU_DEP_1) | instskip(SKIP_2) | instid1(VALU_DEP_1)
	v_rcp_f64_e32 v[196:197], v[194:195]
	s_waitcnt_depctr 0xfff
	v_fma_f64 v[198:199], -v[194:195], v[196:197], 1.0
	v_fma_f64 v[196:197], v[196:197], v[198:199], v[196:197]
	s_delay_alu instid0(VALU_DEP_1) | instskip(NEXT) | instid1(VALU_DEP_1)
	v_fma_f64 v[198:199], -v[194:195], v[196:197], 1.0
	v_fma_f64 v[196:197], v[196:197], v[198:199], v[196:197]
	v_div_scale_f64 v[198:199], vcc_lo, 1.0, v[192:193], 1.0
	s_delay_alu instid0(VALU_DEP_1) | instskip(NEXT) | instid1(VALU_DEP_1)
	v_mul_f64 v[200:201], v[198:199], v[196:197]
	v_fma_f64 v[194:195], -v[194:195], v[200:201], v[198:199]
	s_delay_alu instid0(VALU_DEP_1) | instskip(NEXT) | instid1(VALU_DEP_1)
	v_div_fmas_f64 v[194:195], v[194:195], v[196:197], v[200:201]
	v_div_fixup_f64 v[200:201], v[194:195], v[192:193], 1.0
	s_delay_alu instid0(VALU_DEP_1)
	v_mul_f64 v[198:199], v[190:191], -v[200:201]
.LBB95_34:
	s_or_b32 exec_lo, exec_lo, s3
	ds_store_2addr_b64 v188, v[200:201], v[198:199] offset1:1
.LBB95_35:
	s_or_b32 exec_lo, exec_lo, s4
	s_waitcnt lgkmcnt(0)
	s_barrier
	buffer_gl0_inv
	ds_load_2addr_b64 v[190:193], v188 offset1:1
	s_mov_b32 s3, exec_lo
	s_waitcnt lgkmcnt(0)
	scratch_store_b128 off, v[190:193], off offset:448 ; 16-byte Folded Spill
	v_cmpx_lt_u32_e32 3, v252
	s_cbranch_execz .LBB95_37
; %bb.36:
	scratch_load_b128 v[194:197], off, off offset:448 ; 16-byte Folded Reload
	s_waitcnt vmcnt(0)
	v_mul_f64 v[190:191], v[196:197], v[178:179]
	v_mul_f64 v[178:179], v[194:195], v[178:179]
	s_delay_alu instid0(VALU_DEP_2) | instskip(NEXT) | instid1(VALU_DEP_2)
	v_fma_f64 v[192:193], v[194:195], v[176:177], -v[190:191]
	v_fma_f64 v[178:179], v[196:197], v[176:177], v[178:179]
	ds_load_2addr_b64 v[194:197], v189 offset0:8 offset1:9
	s_waitcnt lgkmcnt(0)
	v_mul_f64 v[176:177], v[196:197], v[178:179]
	v_mul_f64 v[190:191], v[194:195], v[178:179]
	s_delay_alu instid0(VALU_DEP_2) | instskip(NEXT) | instid1(VALU_DEP_2)
	v_fma_f64 v[176:177], v[194:195], v[192:193], -v[176:177]
	v_fma_f64 v[190:191], v[196:197], v[192:193], v[190:191]
	ds_load_2addr_b64 v[194:197], v189 offset0:10 offset1:11
	v_add_f64 v[172:173], v[172:173], -v[176:177]
	v_add_f64 v[174:175], v[174:175], -v[190:191]
	s_waitcnt lgkmcnt(0)
	v_mul_f64 v[176:177], v[196:197], v[178:179]
	v_mul_f64 v[190:191], v[194:195], v[178:179]
	s_delay_alu instid0(VALU_DEP_2) | instskip(NEXT) | instid1(VALU_DEP_2)
	v_fma_f64 v[176:177], v[194:195], v[192:193], -v[176:177]
	v_fma_f64 v[190:191], v[196:197], v[192:193], v[190:191]
	ds_load_2addr_b64 v[194:197], v189 offset0:12 offset1:13
	v_add_f64 v[168:169], v[168:169], -v[176:177]
	v_add_f64 v[170:171], v[170:171], -v[190:191]
	;; [unrolled: 9-line block ×43, first 2 shown]
	s_waitcnt lgkmcnt(0)
	v_mul_f64 v[176:177], v[196:197], v[178:179]
	v_mul_f64 v[190:191], v[194:195], v[178:179]
	s_delay_alu instid0(VALU_DEP_2) | instskip(NEXT) | instid1(VALU_DEP_2)
	v_fma_f64 v[176:177], v[194:195], v[192:193], -v[176:177]
	v_fma_f64 v[190:191], v[196:197], v[192:193], v[190:191]
	s_delay_alu instid0(VALU_DEP_2) | instskip(NEXT) | instid1(VALU_DEP_2)
	v_add_f64 v[0:1], v[0:1], -v[176:177]
	v_add_f64 v[2:3], v[2:3], -v[190:191]
	v_dual_mov_b32 v176, v192 :: v_dual_mov_b32 v177, v193
.LBB95_37:
	s_or_b32 exec_lo, exec_lo, s3
	s_delay_alu instid0(SALU_CYCLE_1)
	s_mov_b32 s4, exec_lo
	s_waitcnt_vscnt null, 0x0
	s_barrier
	buffer_gl0_inv
	v_cmpx_eq_u32_e32 4, v252
	s_cbranch_execz .LBB95_44
; %bb.38:
	ds_store_2addr_b64 v188, v[172:173], v[174:175] offset1:1
	ds_store_2addr_b64 v189, v[168:169], v[170:171] offset0:10 offset1:11
	ds_store_2addr_b64 v189, v[164:165], v[166:167] offset0:12 offset1:13
	;; [unrolled: 1-line block ×43, first 2 shown]
	ds_load_2addr_b64 v[192:195], v188 offset1:1
	s_waitcnt lgkmcnt(0)
	v_cmp_neq_f64_e32 vcc_lo, 0, v[192:193]
	v_cmp_neq_f64_e64 s3, 0, v[194:195]
	s_delay_alu instid0(VALU_DEP_1) | instskip(NEXT) | instid1(SALU_CYCLE_1)
	s_or_b32 s3, vcc_lo, s3
	s_and_b32 exec_lo, exec_lo, s3
	s_cbranch_execz .LBB95_44
; %bb.39:
	v_cmp_gt_f64_e32 vcc_lo, 0, v[192:193]
	v_xor_b32_e32 v190, 0x80000000, v193
	v_xor_b32_e32 v196, 0x80000000, v195
	s_mov_b32 s3, exec_lo
                                        ; implicit-def: $vgpr200_vgpr201
	s_delay_alu instid0(VALU_DEP_2) | instskip(SKIP_1) | instid1(VALU_DEP_3)
	v_dual_cndmask_b32 v191, v193, v190 :: v_dual_cndmask_b32 v190, v192, v192
	v_cmp_gt_f64_e32 vcc_lo, 0, v[194:195]
	v_dual_cndmask_b32 v197, v195, v196 :: v_dual_cndmask_b32 v196, v194, v194
	s_delay_alu instid0(VALU_DEP_1)
	v_cmpx_ngt_f64_e32 v[190:191], v[196:197]
	s_xor_b32 s3, exec_lo, s3
                                        ; implicit-def: $vgpr196_vgpr197_vgpr198_vgpr199
	s_cbranch_execz .LBB95_41
; %bb.40:
	v_div_scale_f64 v[190:191], null, v[194:195], v[194:195], v[192:193]
	v_div_scale_f64 v[200:201], vcc_lo, v[192:193], v[194:195], v[192:193]
	s_delay_alu instid0(VALU_DEP_2) | instskip(SKIP_2) | instid1(VALU_DEP_1)
	v_rcp_f64_e32 v[196:197], v[190:191]
	s_waitcnt_depctr 0xfff
	v_fma_f64 v[198:199], -v[190:191], v[196:197], 1.0
	v_fma_f64 v[196:197], v[196:197], v[198:199], v[196:197]
	s_delay_alu instid0(VALU_DEP_1) | instskip(NEXT) | instid1(VALU_DEP_1)
	v_fma_f64 v[198:199], -v[190:191], v[196:197], 1.0
	v_fma_f64 v[196:197], v[196:197], v[198:199], v[196:197]
	s_delay_alu instid0(VALU_DEP_1) | instskip(NEXT) | instid1(VALU_DEP_1)
	v_mul_f64 v[198:199], v[200:201], v[196:197]
	v_fma_f64 v[190:191], -v[190:191], v[198:199], v[200:201]
	s_delay_alu instid0(VALU_DEP_1) | instskip(NEXT) | instid1(VALU_DEP_1)
	v_div_fmas_f64 v[190:191], v[190:191], v[196:197], v[198:199]
	v_div_fixup_f64 v[190:191], v[190:191], v[194:195], v[192:193]
	s_delay_alu instid0(VALU_DEP_1) | instskip(NEXT) | instid1(VALU_DEP_1)
	v_fma_f64 v[192:193], v[192:193], v[190:191], v[194:195]
	v_div_scale_f64 v[194:195], null, v[192:193], v[192:193], 1.0
	s_delay_alu instid0(VALU_DEP_1) | instskip(SKIP_2) | instid1(VALU_DEP_1)
	v_rcp_f64_e32 v[196:197], v[194:195]
	s_waitcnt_depctr 0xfff
	v_fma_f64 v[198:199], -v[194:195], v[196:197], 1.0
	v_fma_f64 v[196:197], v[196:197], v[198:199], v[196:197]
	s_delay_alu instid0(VALU_DEP_1) | instskip(NEXT) | instid1(VALU_DEP_1)
	v_fma_f64 v[198:199], -v[194:195], v[196:197], 1.0
	v_fma_f64 v[196:197], v[196:197], v[198:199], v[196:197]
	v_div_scale_f64 v[198:199], vcc_lo, 1.0, v[192:193], 1.0
	s_delay_alu instid0(VALU_DEP_1) | instskip(NEXT) | instid1(VALU_DEP_1)
	v_mul_f64 v[200:201], v[198:199], v[196:197]
	v_fma_f64 v[194:195], -v[194:195], v[200:201], v[198:199]
	s_delay_alu instid0(VALU_DEP_1) | instskip(NEXT) | instid1(VALU_DEP_1)
	v_div_fmas_f64 v[194:195], v[194:195], v[196:197], v[200:201]
	v_div_fixup_f64 v[198:199], v[194:195], v[192:193], 1.0
                                        ; implicit-def: $vgpr192_vgpr193
	s_delay_alu instid0(VALU_DEP_1)
	v_mul_f64 v[200:201], v[190:191], v[198:199]
	v_xor_b32_e32 v199, 0x80000000, v199
.LBB95_41:
	s_and_not1_saveexec_b32 s3, s3
	s_cbranch_execz .LBB95_43
; %bb.42:
	v_div_scale_f64 v[190:191], null, v[192:193], v[192:193], v[194:195]
	v_div_scale_f64 v[200:201], vcc_lo, v[194:195], v[192:193], v[194:195]
	s_delay_alu instid0(VALU_DEP_2) | instskip(SKIP_2) | instid1(VALU_DEP_1)
	v_rcp_f64_e32 v[196:197], v[190:191]
	s_waitcnt_depctr 0xfff
	v_fma_f64 v[198:199], -v[190:191], v[196:197], 1.0
	v_fma_f64 v[196:197], v[196:197], v[198:199], v[196:197]
	s_delay_alu instid0(VALU_DEP_1) | instskip(NEXT) | instid1(VALU_DEP_1)
	v_fma_f64 v[198:199], -v[190:191], v[196:197], 1.0
	v_fma_f64 v[196:197], v[196:197], v[198:199], v[196:197]
	s_delay_alu instid0(VALU_DEP_1) | instskip(NEXT) | instid1(VALU_DEP_1)
	v_mul_f64 v[198:199], v[200:201], v[196:197]
	v_fma_f64 v[190:191], -v[190:191], v[198:199], v[200:201]
	s_delay_alu instid0(VALU_DEP_1) | instskip(NEXT) | instid1(VALU_DEP_1)
	v_div_fmas_f64 v[190:191], v[190:191], v[196:197], v[198:199]
	v_div_fixup_f64 v[190:191], v[190:191], v[192:193], v[194:195]
	s_delay_alu instid0(VALU_DEP_1) | instskip(NEXT) | instid1(VALU_DEP_1)
	v_fma_f64 v[192:193], v[194:195], v[190:191], v[192:193]
	v_div_scale_f64 v[194:195], null, v[192:193], v[192:193], 1.0
	s_delay_alu instid0(VALU_DEP_1) | instskip(SKIP_2) | instid1(VALU_DEP_1)
	v_rcp_f64_e32 v[196:197], v[194:195]
	s_waitcnt_depctr 0xfff
	v_fma_f64 v[198:199], -v[194:195], v[196:197], 1.0
	v_fma_f64 v[196:197], v[196:197], v[198:199], v[196:197]
	s_delay_alu instid0(VALU_DEP_1) | instskip(NEXT) | instid1(VALU_DEP_1)
	v_fma_f64 v[198:199], -v[194:195], v[196:197], 1.0
	v_fma_f64 v[196:197], v[196:197], v[198:199], v[196:197]
	v_div_scale_f64 v[198:199], vcc_lo, 1.0, v[192:193], 1.0
	s_delay_alu instid0(VALU_DEP_1) | instskip(NEXT) | instid1(VALU_DEP_1)
	v_mul_f64 v[200:201], v[198:199], v[196:197]
	v_fma_f64 v[194:195], -v[194:195], v[200:201], v[198:199]
	s_delay_alu instid0(VALU_DEP_1) | instskip(NEXT) | instid1(VALU_DEP_1)
	v_div_fmas_f64 v[194:195], v[194:195], v[196:197], v[200:201]
	v_div_fixup_f64 v[200:201], v[194:195], v[192:193], 1.0
	s_delay_alu instid0(VALU_DEP_1)
	v_mul_f64 v[198:199], v[190:191], -v[200:201]
.LBB95_43:
	s_or_b32 exec_lo, exec_lo, s3
	ds_store_2addr_b64 v188, v[200:201], v[198:199] offset1:1
.LBB95_44:
	s_or_b32 exec_lo, exec_lo, s4
	s_waitcnt lgkmcnt(0)
	s_barrier
	buffer_gl0_inv
	ds_load_2addr_b64 v[190:193], v188 offset1:1
	s_mov_b32 s3, exec_lo
	s_waitcnt lgkmcnt(0)
	scratch_store_b128 off, v[190:193], off offset:464 ; 16-byte Folded Spill
	v_cmpx_lt_u32_e32 4, v252
	s_cbranch_execz .LBB95_46
; %bb.45:
	scratch_load_b128 v[194:197], off, off offset:464 ; 16-byte Folded Reload
	s_waitcnt vmcnt(0)
	v_mul_f64 v[190:191], v[196:197], v[174:175]
	v_mul_f64 v[174:175], v[194:195], v[174:175]
	s_delay_alu instid0(VALU_DEP_2) | instskip(NEXT) | instid1(VALU_DEP_2)
	v_fma_f64 v[192:193], v[194:195], v[172:173], -v[190:191]
	v_fma_f64 v[174:175], v[196:197], v[172:173], v[174:175]
	ds_load_2addr_b64 v[194:197], v189 offset0:10 offset1:11
	s_waitcnt lgkmcnt(0)
	v_mul_f64 v[172:173], v[196:197], v[174:175]
	v_mul_f64 v[190:191], v[194:195], v[174:175]
	s_delay_alu instid0(VALU_DEP_2) | instskip(NEXT) | instid1(VALU_DEP_2)
	v_fma_f64 v[172:173], v[194:195], v[192:193], -v[172:173]
	v_fma_f64 v[190:191], v[196:197], v[192:193], v[190:191]
	ds_load_2addr_b64 v[194:197], v189 offset0:12 offset1:13
	v_add_f64 v[168:169], v[168:169], -v[172:173]
	v_add_f64 v[170:171], v[170:171], -v[190:191]
	s_waitcnt lgkmcnt(0)
	v_mul_f64 v[172:173], v[196:197], v[174:175]
	v_mul_f64 v[190:191], v[194:195], v[174:175]
	s_delay_alu instid0(VALU_DEP_2) | instskip(NEXT) | instid1(VALU_DEP_2)
	v_fma_f64 v[172:173], v[194:195], v[192:193], -v[172:173]
	v_fma_f64 v[190:191], v[196:197], v[192:193], v[190:191]
	ds_load_2addr_b64 v[194:197], v189 offset0:14 offset1:15
	v_add_f64 v[164:165], v[164:165], -v[172:173]
	v_add_f64 v[166:167], v[166:167], -v[190:191]
	;; [unrolled: 9-line block ×42, first 2 shown]
	s_waitcnt lgkmcnt(0)
	v_mul_f64 v[172:173], v[196:197], v[174:175]
	v_mul_f64 v[190:191], v[194:195], v[174:175]
	s_delay_alu instid0(VALU_DEP_2) | instskip(NEXT) | instid1(VALU_DEP_2)
	v_fma_f64 v[172:173], v[194:195], v[192:193], -v[172:173]
	v_fma_f64 v[190:191], v[196:197], v[192:193], v[190:191]
	s_delay_alu instid0(VALU_DEP_2) | instskip(NEXT) | instid1(VALU_DEP_2)
	v_add_f64 v[0:1], v[0:1], -v[172:173]
	v_add_f64 v[2:3], v[2:3], -v[190:191]
	v_dual_mov_b32 v172, v192 :: v_dual_mov_b32 v173, v193
.LBB95_46:
	s_or_b32 exec_lo, exec_lo, s3
	s_delay_alu instid0(SALU_CYCLE_1)
	s_mov_b32 s4, exec_lo
	s_waitcnt_vscnt null, 0x0
	s_barrier
	buffer_gl0_inv
	v_cmpx_eq_u32_e32 5, v252
	s_cbranch_execz .LBB95_53
; %bb.47:
	ds_store_2addr_b64 v188, v[168:169], v[170:171] offset1:1
	ds_store_2addr_b64 v189, v[164:165], v[166:167] offset0:12 offset1:13
	ds_store_2addr_b64 v189, v[160:161], v[162:163] offset0:14 offset1:15
	;; [unrolled: 1-line block ×42, first 2 shown]
	ds_load_2addr_b64 v[192:195], v188 offset1:1
	s_waitcnt lgkmcnt(0)
	v_cmp_neq_f64_e32 vcc_lo, 0, v[192:193]
	v_cmp_neq_f64_e64 s3, 0, v[194:195]
	s_delay_alu instid0(VALU_DEP_1) | instskip(NEXT) | instid1(SALU_CYCLE_1)
	s_or_b32 s3, vcc_lo, s3
	s_and_b32 exec_lo, exec_lo, s3
	s_cbranch_execz .LBB95_53
; %bb.48:
	v_cmp_gt_f64_e32 vcc_lo, 0, v[192:193]
	v_xor_b32_e32 v190, 0x80000000, v193
	v_xor_b32_e32 v196, 0x80000000, v195
	s_mov_b32 s3, exec_lo
                                        ; implicit-def: $vgpr200_vgpr201
	s_delay_alu instid0(VALU_DEP_2) | instskip(SKIP_1) | instid1(VALU_DEP_3)
	v_dual_cndmask_b32 v191, v193, v190 :: v_dual_cndmask_b32 v190, v192, v192
	v_cmp_gt_f64_e32 vcc_lo, 0, v[194:195]
	v_dual_cndmask_b32 v197, v195, v196 :: v_dual_cndmask_b32 v196, v194, v194
	s_delay_alu instid0(VALU_DEP_1)
	v_cmpx_ngt_f64_e32 v[190:191], v[196:197]
	s_xor_b32 s3, exec_lo, s3
                                        ; implicit-def: $vgpr196_vgpr197_vgpr198_vgpr199
	s_cbranch_execz .LBB95_50
; %bb.49:
	v_div_scale_f64 v[190:191], null, v[194:195], v[194:195], v[192:193]
	v_div_scale_f64 v[200:201], vcc_lo, v[192:193], v[194:195], v[192:193]
	s_delay_alu instid0(VALU_DEP_2) | instskip(SKIP_2) | instid1(VALU_DEP_1)
	v_rcp_f64_e32 v[196:197], v[190:191]
	s_waitcnt_depctr 0xfff
	v_fma_f64 v[198:199], -v[190:191], v[196:197], 1.0
	v_fma_f64 v[196:197], v[196:197], v[198:199], v[196:197]
	s_delay_alu instid0(VALU_DEP_1) | instskip(NEXT) | instid1(VALU_DEP_1)
	v_fma_f64 v[198:199], -v[190:191], v[196:197], 1.0
	v_fma_f64 v[196:197], v[196:197], v[198:199], v[196:197]
	s_delay_alu instid0(VALU_DEP_1) | instskip(NEXT) | instid1(VALU_DEP_1)
	v_mul_f64 v[198:199], v[200:201], v[196:197]
	v_fma_f64 v[190:191], -v[190:191], v[198:199], v[200:201]
	s_delay_alu instid0(VALU_DEP_1) | instskip(NEXT) | instid1(VALU_DEP_1)
	v_div_fmas_f64 v[190:191], v[190:191], v[196:197], v[198:199]
	v_div_fixup_f64 v[190:191], v[190:191], v[194:195], v[192:193]
	s_delay_alu instid0(VALU_DEP_1) | instskip(NEXT) | instid1(VALU_DEP_1)
	v_fma_f64 v[192:193], v[192:193], v[190:191], v[194:195]
	v_div_scale_f64 v[194:195], null, v[192:193], v[192:193], 1.0
	s_delay_alu instid0(VALU_DEP_1) | instskip(SKIP_2) | instid1(VALU_DEP_1)
	v_rcp_f64_e32 v[196:197], v[194:195]
	s_waitcnt_depctr 0xfff
	v_fma_f64 v[198:199], -v[194:195], v[196:197], 1.0
	v_fma_f64 v[196:197], v[196:197], v[198:199], v[196:197]
	s_delay_alu instid0(VALU_DEP_1) | instskip(NEXT) | instid1(VALU_DEP_1)
	v_fma_f64 v[198:199], -v[194:195], v[196:197], 1.0
	v_fma_f64 v[196:197], v[196:197], v[198:199], v[196:197]
	v_div_scale_f64 v[198:199], vcc_lo, 1.0, v[192:193], 1.0
	s_delay_alu instid0(VALU_DEP_1) | instskip(NEXT) | instid1(VALU_DEP_1)
	v_mul_f64 v[200:201], v[198:199], v[196:197]
	v_fma_f64 v[194:195], -v[194:195], v[200:201], v[198:199]
	s_delay_alu instid0(VALU_DEP_1) | instskip(NEXT) | instid1(VALU_DEP_1)
	v_div_fmas_f64 v[194:195], v[194:195], v[196:197], v[200:201]
	v_div_fixup_f64 v[198:199], v[194:195], v[192:193], 1.0
                                        ; implicit-def: $vgpr192_vgpr193
	s_delay_alu instid0(VALU_DEP_1)
	v_mul_f64 v[200:201], v[190:191], v[198:199]
	v_xor_b32_e32 v199, 0x80000000, v199
.LBB95_50:
	s_and_not1_saveexec_b32 s3, s3
	s_cbranch_execz .LBB95_52
; %bb.51:
	v_div_scale_f64 v[190:191], null, v[192:193], v[192:193], v[194:195]
	v_div_scale_f64 v[200:201], vcc_lo, v[194:195], v[192:193], v[194:195]
	s_delay_alu instid0(VALU_DEP_2) | instskip(SKIP_2) | instid1(VALU_DEP_1)
	v_rcp_f64_e32 v[196:197], v[190:191]
	s_waitcnt_depctr 0xfff
	v_fma_f64 v[198:199], -v[190:191], v[196:197], 1.0
	v_fma_f64 v[196:197], v[196:197], v[198:199], v[196:197]
	s_delay_alu instid0(VALU_DEP_1) | instskip(NEXT) | instid1(VALU_DEP_1)
	v_fma_f64 v[198:199], -v[190:191], v[196:197], 1.0
	v_fma_f64 v[196:197], v[196:197], v[198:199], v[196:197]
	s_delay_alu instid0(VALU_DEP_1) | instskip(NEXT) | instid1(VALU_DEP_1)
	v_mul_f64 v[198:199], v[200:201], v[196:197]
	v_fma_f64 v[190:191], -v[190:191], v[198:199], v[200:201]
	s_delay_alu instid0(VALU_DEP_1) | instskip(NEXT) | instid1(VALU_DEP_1)
	v_div_fmas_f64 v[190:191], v[190:191], v[196:197], v[198:199]
	v_div_fixup_f64 v[190:191], v[190:191], v[192:193], v[194:195]
	s_delay_alu instid0(VALU_DEP_1) | instskip(NEXT) | instid1(VALU_DEP_1)
	v_fma_f64 v[192:193], v[194:195], v[190:191], v[192:193]
	v_div_scale_f64 v[194:195], null, v[192:193], v[192:193], 1.0
	s_delay_alu instid0(VALU_DEP_1) | instskip(SKIP_2) | instid1(VALU_DEP_1)
	v_rcp_f64_e32 v[196:197], v[194:195]
	s_waitcnt_depctr 0xfff
	v_fma_f64 v[198:199], -v[194:195], v[196:197], 1.0
	v_fma_f64 v[196:197], v[196:197], v[198:199], v[196:197]
	s_delay_alu instid0(VALU_DEP_1) | instskip(NEXT) | instid1(VALU_DEP_1)
	v_fma_f64 v[198:199], -v[194:195], v[196:197], 1.0
	v_fma_f64 v[196:197], v[196:197], v[198:199], v[196:197]
	v_div_scale_f64 v[198:199], vcc_lo, 1.0, v[192:193], 1.0
	s_delay_alu instid0(VALU_DEP_1) | instskip(NEXT) | instid1(VALU_DEP_1)
	v_mul_f64 v[200:201], v[198:199], v[196:197]
	v_fma_f64 v[194:195], -v[194:195], v[200:201], v[198:199]
	s_delay_alu instid0(VALU_DEP_1) | instskip(NEXT) | instid1(VALU_DEP_1)
	v_div_fmas_f64 v[194:195], v[194:195], v[196:197], v[200:201]
	v_div_fixup_f64 v[200:201], v[194:195], v[192:193], 1.0
	s_delay_alu instid0(VALU_DEP_1)
	v_mul_f64 v[198:199], v[190:191], -v[200:201]
.LBB95_52:
	s_or_b32 exec_lo, exec_lo, s3
	ds_store_2addr_b64 v188, v[200:201], v[198:199] offset1:1
.LBB95_53:
	s_or_b32 exec_lo, exec_lo, s4
	s_waitcnt lgkmcnt(0)
	s_barrier
	buffer_gl0_inv
	ds_load_2addr_b64 v[190:193], v188 offset1:1
	s_mov_b32 s3, exec_lo
	s_waitcnt lgkmcnt(0)
	scratch_store_b128 off, v[190:193], off offset:480 ; 16-byte Folded Spill
	v_cmpx_lt_u32_e32 5, v252
	s_cbranch_execz .LBB95_55
; %bb.54:
	scratch_load_b128 v[194:197], off, off offset:480 ; 16-byte Folded Reload
	s_waitcnt vmcnt(0)
	v_mul_f64 v[190:191], v[196:197], v[170:171]
	v_mul_f64 v[170:171], v[194:195], v[170:171]
	s_delay_alu instid0(VALU_DEP_2) | instskip(NEXT) | instid1(VALU_DEP_2)
	v_fma_f64 v[192:193], v[194:195], v[168:169], -v[190:191]
	v_fma_f64 v[170:171], v[196:197], v[168:169], v[170:171]
	ds_load_2addr_b64 v[194:197], v189 offset0:12 offset1:13
	s_waitcnt lgkmcnt(0)
	v_mul_f64 v[168:169], v[196:197], v[170:171]
	v_mul_f64 v[190:191], v[194:195], v[170:171]
	s_delay_alu instid0(VALU_DEP_2) | instskip(NEXT) | instid1(VALU_DEP_2)
	v_fma_f64 v[168:169], v[194:195], v[192:193], -v[168:169]
	v_fma_f64 v[190:191], v[196:197], v[192:193], v[190:191]
	ds_load_2addr_b64 v[194:197], v189 offset0:14 offset1:15
	v_add_f64 v[164:165], v[164:165], -v[168:169]
	v_add_f64 v[166:167], v[166:167], -v[190:191]
	s_waitcnt lgkmcnt(0)
	v_mul_f64 v[168:169], v[196:197], v[170:171]
	v_mul_f64 v[190:191], v[194:195], v[170:171]
	s_delay_alu instid0(VALU_DEP_2) | instskip(NEXT) | instid1(VALU_DEP_2)
	v_fma_f64 v[168:169], v[194:195], v[192:193], -v[168:169]
	v_fma_f64 v[190:191], v[196:197], v[192:193], v[190:191]
	ds_load_2addr_b64 v[194:197], v189 offset0:16 offset1:17
	v_add_f64 v[160:161], v[160:161], -v[168:169]
	v_add_f64 v[162:163], v[162:163], -v[190:191]
	;; [unrolled: 9-line block ×41, first 2 shown]
	s_waitcnt lgkmcnt(0)
	v_mul_f64 v[168:169], v[196:197], v[170:171]
	v_mul_f64 v[190:191], v[194:195], v[170:171]
	s_delay_alu instid0(VALU_DEP_2) | instskip(NEXT) | instid1(VALU_DEP_2)
	v_fma_f64 v[168:169], v[194:195], v[192:193], -v[168:169]
	v_fma_f64 v[190:191], v[196:197], v[192:193], v[190:191]
	s_delay_alu instid0(VALU_DEP_2) | instskip(NEXT) | instid1(VALU_DEP_2)
	v_add_f64 v[0:1], v[0:1], -v[168:169]
	v_add_f64 v[2:3], v[2:3], -v[190:191]
	v_dual_mov_b32 v168, v192 :: v_dual_mov_b32 v169, v193
.LBB95_55:
	s_or_b32 exec_lo, exec_lo, s3
	s_delay_alu instid0(SALU_CYCLE_1)
	s_mov_b32 s4, exec_lo
	s_waitcnt_vscnt null, 0x0
	s_barrier
	buffer_gl0_inv
	v_cmpx_eq_u32_e32 6, v252
	s_cbranch_execz .LBB95_62
; %bb.56:
	ds_store_2addr_b64 v188, v[164:165], v[166:167] offset1:1
	ds_store_2addr_b64 v189, v[160:161], v[162:163] offset0:14 offset1:15
	ds_store_2addr_b64 v189, v[156:157], v[158:159] offset0:16 offset1:17
	;; [unrolled: 1-line block ×41, first 2 shown]
	ds_load_2addr_b64 v[192:195], v188 offset1:1
	s_waitcnt lgkmcnt(0)
	v_cmp_neq_f64_e32 vcc_lo, 0, v[192:193]
	v_cmp_neq_f64_e64 s3, 0, v[194:195]
	s_delay_alu instid0(VALU_DEP_1) | instskip(NEXT) | instid1(SALU_CYCLE_1)
	s_or_b32 s3, vcc_lo, s3
	s_and_b32 exec_lo, exec_lo, s3
	s_cbranch_execz .LBB95_62
; %bb.57:
	v_cmp_gt_f64_e32 vcc_lo, 0, v[192:193]
	v_xor_b32_e32 v190, 0x80000000, v193
	v_xor_b32_e32 v196, 0x80000000, v195
	s_mov_b32 s3, exec_lo
                                        ; implicit-def: $vgpr200_vgpr201
	s_delay_alu instid0(VALU_DEP_2) | instskip(SKIP_1) | instid1(VALU_DEP_3)
	v_dual_cndmask_b32 v191, v193, v190 :: v_dual_cndmask_b32 v190, v192, v192
	v_cmp_gt_f64_e32 vcc_lo, 0, v[194:195]
	v_dual_cndmask_b32 v197, v195, v196 :: v_dual_cndmask_b32 v196, v194, v194
	s_delay_alu instid0(VALU_DEP_1)
	v_cmpx_ngt_f64_e32 v[190:191], v[196:197]
	s_xor_b32 s3, exec_lo, s3
                                        ; implicit-def: $vgpr196_vgpr197_vgpr198_vgpr199
	s_cbranch_execz .LBB95_59
; %bb.58:
	v_div_scale_f64 v[190:191], null, v[194:195], v[194:195], v[192:193]
	v_div_scale_f64 v[200:201], vcc_lo, v[192:193], v[194:195], v[192:193]
	s_delay_alu instid0(VALU_DEP_2) | instskip(SKIP_2) | instid1(VALU_DEP_1)
	v_rcp_f64_e32 v[196:197], v[190:191]
	s_waitcnt_depctr 0xfff
	v_fma_f64 v[198:199], -v[190:191], v[196:197], 1.0
	v_fma_f64 v[196:197], v[196:197], v[198:199], v[196:197]
	s_delay_alu instid0(VALU_DEP_1) | instskip(NEXT) | instid1(VALU_DEP_1)
	v_fma_f64 v[198:199], -v[190:191], v[196:197], 1.0
	v_fma_f64 v[196:197], v[196:197], v[198:199], v[196:197]
	s_delay_alu instid0(VALU_DEP_1) | instskip(NEXT) | instid1(VALU_DEP_1)
	v_mul_f64 v[198:199], v[200:201], v[196:197]
	v_fma_f64 v[190:191], -v[190:191], v[198:199], v[200:201]
	s_delay_alu instid0(VALU_DEP_1) | instskip(NEXT) | instid1(VALU_DEP_1)
	v_div_fmas_f64 v[190:191], v[190:191], v[196:197], v[198:199]
	v_div_fixup_f64 v[190:191], v[190:191], v[194:195], v[192:193]
	s_delay_alu instid0(VALU_DEP_1) | instskip(NEXT) | instid1(VALU_DEP_1)
	v_fma_f64 v[192:193], v[192:193], v[190:191], v[194:195]
	v_div_scale_f64 v[194:195], null, v[192:193], v[192:193], 1.0
	s_delay_alu instid0(VALU_DEP_1) | instskip(SKIP_2) | instid1(VALU_DEP_1)
	v_rcp_f64_e32 v[196:197], v[194:195]
	s_waitcnt_depctr 0xfff
	v_fma_f64 v[198:199], -v[194:195], v[196:197], 1.0
	v_fma_f64 v[196:197], v[196:197], v[198:199], v[196:197]
	s_delay_alu instid0(VALU_DEP_1) | instskip(NEXT) | instid1(VALU_DEP_1)
	v_fma_f64 v[198:199], -v[194:195], v[196:197], 1.0
	v_fma_f64 v[196:197], v[196:197], v[198:199], v[196:197]
	v_div_scale_f64 v[198:199], vcc_lo, 1.0, v[192:193], 1.0
	s_delay_alu instid0(VALU_DEP_1) | instskip(NEXT) | instid1(VALU_DEP_1)
	v_mul_f64 v[200:201], v[198:199], v[196:197]
	v_fma_f64 v[194:195], -v[194:195], v[200:201], v[198:199]
	s_delay_alu instid0(VALU_DEP_1) | instskip(NEXT) | instid1(VALU_DEP_1)
	v_div_fmas_f64 v[194:195], v[194:195], v[196:197], v[200:201]
	v_div_fixup_f64 v[198:199], v[194:195], v[192:193], 1.0
                                        ; implicit-def: $vgpr192_vgpr193
	s_delay_alu instid0(VALU_DEP_1)
	v_mul_f64 v[200:201], v[190:191], v[198:199]
	v_xor_b32_e32 v199, 0x80000000, v199
.LBB95_59:
	s_and_not1_saveexec_b32 s3, s3
	s_cbranch_execz .LBB95_61
; %bb.60:
	v_div_scale_f64 v[190:191], null, v[192:193], v[192:193], v[194:195]
	v_div_scale_f64 v[200:201], vcc_lo, v[194:195], v[192:193], v[194:195]
	s_delay_alu instid0(VALU_DEP_2) | instskip(SKIP_2) | instid1(VALU_DEP_1)
	v_rcp_f64_e32 v[196:197], v[190:191]
	s_waitcnt_depctr 0xfff
	v_fma_f64 v[198:199], -v[190:191], v[196:197], 1.0
	v_fma_f64 v[196:197], v[196:197], v[198:199], v[196:197]
	s_delay_alu instid0(VALU_DEP_1) | instskip(NEXT) | instid1(VALU_DEP_1)
	v_fma_f64 v[198:199], -v[190:191], v[196:197], 1.0
	v_fma_f64 v[196:197], v[196:197], v[198:199], v[196:197]
	s_delay_alu instid0(VALU_DEP_1) | instskip(NEXT) | instid1(VALU_DEP_1)
	v_mul_f64 v[198:199], v[200:201], v[196:197]
	v_fma_f64 v[190:191], -v[190:191], v[198:199], v[200:201]
	s_delay_alu instid0(VALU_DEP_1) | instskip(NEXT) | instid1(VALU_DEP_1)
	v_div_fmas_f64 v[190:191], v[190:191], v[196:197], v[198:199]
	v_div_fixup_f64 v[190:191], v[190:191], v[192:193], v[194:195]
	s_delay_alu instid0(VALU_DEP_1) | instskip(NEXT) | instid1(VALU_DEP_1)
	v_fma_f64 v[192:193], v[194:195], v[190:191], v[192:193]
	v_div_scale_f64 v[194:195], null, v[192:193], v[192:193], 1.0
	s_delay_alu instid0(VALU_DEP_1) | instskip(SKIP_2) | instid1(VALU_DEP_1)
	v_rcp_f64_e32 v[196:197], v[194:195]
	s_waitcnt_depctr 0xfff
	v_fma_f64 v[198:199], -v[194:195], v[196:197], 1.0
	v_fma_f64 v[196:197], v[196:197], v[198:199], v[196:197]
	s_delay_alu instid0(VALU_DEP_1) | instskip(NEXT) | instid1(VALU_DEP_1)
	v_fma_f64 v[198:199], -v[194:195], v[196:197], 1.0
	v_fma_f64 v[196:197], v[196:197], v[198:199], v[196:197]
	v_div_scale_f64 v[198:199], vcc_lo, 1.0, v[192:193], 1.0
	s_delay_alu instid0(VALU_DEP_1) | instskip(NEXT) | instid1(VALU_DEP_1)
	v_mul_f64 v[200:201], v[198:199], v[196:197]
	v_fma_f64 v[194:195], -v[194:195], v[200:201], v[198:199]
	s_delay_alu instid0(VALU_DEP_1) | instskip(NEXT) | instid1(VALU_DEP_1)
	v_div_fmas_f64 v[194:195], v[194:195], v[196:197], v[200:201]
	v_div_fixup_f64 v[200:201], v[194:195], v[192:193], 1.0
	s_delay_alu instid0(VALU_DEP_1)
	v_mul_f64 v[198:199], v[190:191], -v[200:201]
.LBB95_61:
	s_or_b32 exec_lo, exec_lo, s3
	ds_store_2addr_b64 v188, v[200:201], v[198:199] offset1:1
.LBB95_62:
	s_or_b32 exec_lo, exec_lo, s4
	s_waitcnt lgkmcnt(0)
	s_barrier
	buffer_gl0_inv
	ds_load_2addr_b64 v[190:193], v188 offset1:1
	s_mov_b32 s3, exec_lo
	s_waitcnt lgkmcnt(0)
	scratch_store_b128 off, v[190:193], off offset:496 ; 16-byte Folded Spill
	v_cmpx_lt_u32_e32 6, v252
	s_cbranch_execz .LBB95_64
; %bb.63:
	scratch_load_b128 v[194:197], off, off offset:496 ; 16-byte Folded Reload
	s_waitcnt vmcnt(0)
	v_mul_f64 v[190:191], v[196:197], v[166:167]
	v_mul_f64 v[166:167], v[194:195], v[166:167]
	s_delay_alu instid0(VALU_DEP_2) | instskip(NEXT) | instid1(VALU_DEP_2)
	v_fma_f64 v[192:193], v[194:195], v[164:165], -v[190:191]
	v_fma_f64 v[166:167], v[196:197], v[164:165], v[166:167]
	ds_load_2addr_b64 v[194:197], v189 offset0:14 offset1:15
	s_waitcnt lgkmcnt(0)
	v_mul_f64 v[164:165], v[196:197], v[166:167]
	v_mul_f64 v[190:191], v[194:195], v[166:167]
	s_delay_alu instid0(VALU_DEP_2) | instskip(NEXT) | instid1(VALU_DEP_2)
	v_fma_f64 v[164:165], v[194:195], v[192:193], -v[164:165]
	v_fma_f64 v[190:191], v[196:197], v[192:193], v[190:191]
	ds_load_2addr_b64 v[194:197], v189 offset0:16 offset1:17
	v_add_f64 v[160:161], v[160:161], -v[164:165]
	v_add_f64 v[162:163], v[162:163], -v[190:191]
	s_waitcnt lgkmcnt(0)
	v_mul_f64 v[164:165], v[196:197], v[166:167]
	v_mul_f64 v[190:191], v[194:195], v[166:167]
	s_delay_alu instid0(VALU_DEP_2) | instskip(NEXT) | instid1(VALU_DEP_2)
	v_fma_f64 v[164:165], v[194:195], v[192:193], -v[164:165]
	v_fma_f64 v[190:191], v[196:197], v[192:193], v[190:191]
	ds_load_2addr_b64 v[194:197], v189 offset0:18 offset1:19
	v_add_f64 v[156:157], v[156:157], -v[164:165]
	v_add_f64 v[158:159], v[158:159], -v[190:191]
	;; [unrolled: 9-line block ×40, first 2 shown]
	s_waitcnt lgkmcnt(0)
	v_mul_f64 v[164:165], v[196:197], v[166:167]
	v_mul_f64 v[190:191], v[194:195], v[166:167]
	s_delay_alu instid0(VALU_DEP_2) | instskip(NEXT) | instid1(VALU_DEP_2)
	v_fma_f64 v[164:165], v[194:195], v[192:193], -v[164:165]
	v_fma_f64 v[190:191], v[196:197], v[192:193], v[190:191]
	s_delay_alu instid0(VALU_DEP_2) | instskip(NEXT) | instid1(VALU_DEP_2)
	v_add_f64 v[0:1], v[0:1], -v[164:165]
	v_add_f64 v[2:3], v[2:3], -v[190:191]
	v_dual_mov_b32 v164, v192 :: v_dual_mov_b32 v165, v193
.LBB95_64:
	s_or_b32 exec_lo, exec_lo, s3
	s_delay_alu instid0(SALU_CYCLE_1)
	s_mov_b32 s4, exec_lo
	s_waitcnt_vscnt null, 0x0
	s_barrier
	buffer_gl0_inv
	v_cmpx_eq_u32_e32 7, v252
	s_cbranch_execz .LBB95_71
; %bb.65:
	ds_store_2addr_b64 v188, v[160:161], v[162:163] offset1:1
	ds_store_2addr_b64 v189, v[156:157], v[158:159] offset0:16 offset1:17
	ds_store_2addr_b64 v189, v[152:153], v[154:155] offset0:18 offset1:19
	;; [unrolled: 1-line block ×40, first 2 shown]
	ds_load_2addr_b64 v[192:195], v188 offset1:1
	s_waitcnt lgkmcnt(0)
	v_cmp_neq_f64_e32 vcc_lo, 0, v[192:193]
	v_cmp_neq_f64_e64 s3, 0, v[194:195]
	s_delay_alu instid0(VALU_DEP_1) | instskip(NEXT) | instid1(SALU_CYCLE_1)
	s_or_b32 s3, vcc_lo, s3
	s_and_b32 exec_lo, exec_lo, s3
	s_cbranch_execz .LBB95_71
; %bb.66:
	v_cmp_gt_f64_e32 vcc_lo, 0, v[192:193]
	v_xor_b32_e32 v190, 0x80000000, v193
	v_xor_b32_e32 v196, 0x80000000, v195
	s_mov_b32 s3, exec_lo
                                        ; implicit-def: $vgpr200_vgpr201
	s_delay_alu instid0(VALU_DEP_2) | instskip(SKIP_1) | instid1(VALU_DEP_3)
	v_dual_cndmask_b32 v191, v193, v190 :: v_dual_cndmask_b32 v190, v192, v192
	v_cmp_gt_f64_e32 vcc_lo, 0, v[194:195]
	v_dual_cndmask_b32 v197, v195, v196 :: v_dual_cndmask_b32 v196, v194, v194
	s_delay_alu instid0(VALU_DEP_1)
	v_cmpx_ngt_f64_e32 v[190:191], v[196:197]
	s_xor_b32 s3, exec_lo, s3
                                        ; implicit-def: $vgpr196_vgpr197_vgpr198_vgpr199
	s_cbranch_execz .LBB95_68
; %bb.67:
	v_div_scale_f64 v[190:191], null, v[194:195], v[194:195], v[192:193]
	v_div_scale_f64 v[200:201], vcc_lo, v[192:193], v[194:195], v[192:193]
	s_delay_alu instid0(VALU_DEP_2) | instskip(SKIP_2) | instid1(VALU_DEP_1)
	v_rcp_f64_e32 v[196:197], v[190:191]
	s_waitcnt_depctr 0xfff
	v_fma_f64 v[198:199], -v[190:191], v[196:197], 1.0
	v_fma_f64 v[196:197], v[196:197], v[198:199], v[196:197]
	s_delay_alu instid0(VALU_DEP_1) | instskip(NEXT) | instid1(VALU_DEP_1)
	v_fma_f64 v[198:199], -v[190:191], v[196:197], 1.0
	v_fma_f64 v[196:197], v[196:197], v[198:199], v[196:197]
	s_delay_alu instid0(VALU_DEP_1) | instskip(NEXT) | instid1(VALU_DEP_1)
	v_mul_f64 v[198:199], v[200:201], v[196:197]
	v_fma_f64 v[190:191], -v[190:191], v[198:199], v[200:201]
	s_delay_alu instid0(VALU_DEP_1) | instskip(NEXT) | instid1(VALU_DEP_1)
	v_div_fmas_f64 v[190:191], v[190:191], v[196:197], v[198:199]
	v_div_fixup_f64 v[190:191], v[190:191], v[194:195], v[192:193]
	s_delay_alu instid0(VALU_DEP_1) | instskip(NEXT) | instid1(VALU_DEP_1)
	v_fma_f64 v[192:193], v[192:193], v[190:191], v[194:195]
	v_div_scale_f64 v[194:195], null, v[192:193], v[192:193], 1.0
	s_delay_alu instid0(VALU_DEP_1) | instskip(SKIP_2) | instid1(VALU_DEP_1)
	v_rcp_f64_e32 v[196:197], v[194:195]
	s_waitcnt_depctr 0xfff
	v_fma_f64 v[198:199], -v[194:195], v[196:197], 1.0
	v_fma_f64 v[196:197], v[196:197], v[198:199], v[196:197]
	s_delay_alu instid0(VALU_DEP_1) | instskip(NEXT) | instid1(VALU_DEP_1)
	v_fma_f64 v[198:199], -v[194:195], v[196:197], 1.0
	v_fma_f64 v[196:197], v[196:197], v[198:199], v[196:197]
	v_div_scale_f64 v[198:199], vcc_lo, 1.0, v[192:193], 1.0
	s_delay_alu instid0(VALU_DEP_1) | instskip(NEXT) | instid1(VALU_DEP_1)
	v_mul_f64 v[200:201], v[198:199], v[196:197]
	v_fma_f64 v[194:195], -v[194:195], v[200:201], v[198:199]
	s_delay_alu instid0(VALU_DEP_1) | instskip(NEXT) | instid1(VALU_DEP_1)
	v_div_fmas_f64 v[194:195], v[194:195], v[196:197], v[200:201]
	v_div_fixup_f64 v[198:199], v[194:195], v[192:193], 1.0
                                        ; implicit-def: $vgpr192_vgpr193
	s_delay_alu instid0(VALU_DEP_1)
	v_mul_f64 v[200:201], v[190:191], v[198:199]
	v_xor_b32_e32 v199, 0x80000000, v199
.LBB95_68:
	s_and_not1_saveexec_b32 s3, s3
	s_cbranch_execz .LBB95_70
; %bb.69:
	v_div_scale_f64 v[190:191], null, v[192:193], v[192:193], v[194:195]
	v_div_scale_f64 v[200:201], vcc_lo, v[194:195], v[192:193], v[194:195]
	s_delay_alu instid0(VALU_DEP_2) | instskip(SKIP_2) | instid1(VALU_DEP_1)
	v_rcp_f64_e32 v[196:197], v[190:191]
	s_waitcnt_depctr 0xfff
	v_fma_f64 v[198:199], -v[190:191], v[196:197], 1.0
	v_fma_f64 v[196:197], v[196:197], v[198:199], v[196:197]
	s_delay_alu instid0(VALU_DEP_1) | instskip(NEXT) | instid1(VALU_DEP_1)
	v_fma_f64 v[198:199], -v[190:191], v[196:197], 1.0
	v_fma_f64 v[196:197], v[196:197], v[198:199], v[196:197]
	s_delay_alu instid0(VALU_DEP_1) | instskip(NEXT) | instid1(VALU_DEP_1)
	v_mul_f64 v[198:199], v[200:201], v[196:197]
	v_fma_f64 v[190:191], -v[190:191], v[198:199], v[200:201]
	s_delay_alu instid0(VALU_DEP_1) | instskip(NEXT) | instid1(VALU_DEP_1)
	v_div_fmas_f64 v[190:191], v[190:191], v[196:197], v[198:199]
	v_div_fixup_f64 v[190:191], v[190:191], v[192:193], v[194:195]
	s_delay_alu instid0(VALU_DEP_1) | instskip(NEXT) | instid1(VALU_DEP_1)
	v_fma_f64 v[192:193], v[194:195], v[190:191], v[192:193]
	v_div_scale_f64 v[194:195], null, v[192:193], v[192:193], 1.0
	s_delay_alu instid0(VALU_DEP_1) | instskip(SKIP_2) | instid1(VALU_DEP_1)
	v_rcp_f64_e32 v[196:197], v[194:195]
	s_waitcnt_depctr 0xfff
	v_fma_f64 v[198:199], -v[194:195], v[196:197], 1.0
	v_fma_f64 v[196:197], v[196:197], v[198:199], v[196:197]
	s_delay_alu instid0(VALU_DEP_1) | instskip(NEXT) | instid1(VALU_DEP_1)
	v_fma_f64 v[198:199], -v[194:195], v[196:197], 1.0
	v_fma_f64 v[196:197], v[196:197], v[198:199], v[196:197]
	v_div_scale_f64 v[198:199], vcc_lo, 1.0, v[192:193], 1.0
	s_delay_alu instid0(VALU_DEP_1) | instskip(NEXT) | instid1(VALU_DEP_1)
	v_mul_f64 v[200:201], v[198:199], v[196:197]
	v_fma_f64 v[194:195], -v[194:195], v[200:201], v[198:199]
	s_delay_alu instid0(VALU_DEP_1) | instskip(NEXT) | instid1(VALU_DEP_1)
	v_div_fmas_f64 v[194:195], v[194:195], v[196:197], v[200:201]
	v_div_fixup_f64 v[200:201], v[194:195], v[192:193], 1.0
	s_delay_alu instid0(VALU_DEP_1)
	v_mul_f64 v[198:199], v[190:191], -v[200:201]
.LBB95_70:
	s_or_b32 exec_lo, exec_lo, s3
	ds_store_2addr_b64 v188, v[200:201], v[198:199] offset1:1
.LBB95_71:
	s_or_b32 exec_lo, exec_lo, s4
	s_waitcnt lgkmcnt(0)
	s_barrier
	buffer_gl0_inv
	ds_load_2addr_b64 v[190:193], v188 offset1:1
	s_mov_b32 s3, exec_lo
	s_waitcnt lgkmcnt(0)
	scratch_store_b128 off, v[190:193], off offset:512 ; 16-byte Folded Spill
	v_cmpx_lt_u32_e32 7, v252
	s_cbranch_execz .LBB95_73
; %bb.72:
	scratch_load_b128 v[194:197], off, off offset:512 ; 16-byte Folded Reload
	s_waitcnt vmcnt(0)
	v_mul_f64 v[190:191], v[196:197], v[162:163]
	v_mul_f64 v[162:163], v[194:195], v[162:163]
	s_delay_alu instid0(VALU_DEP_2) | instskip(NEXT) | instid1(VALU_DEP_2)
	v_fma_f64 v[192:193], v[194:195], v[160:161], -v[190:191]
	v_fma_f64 v[162:163], v[196:197], v[160:161], v[162:163]
	ds_load_2addr_b64 v[194:197], v189 offset0:16 offset1:17
	s_waitcnt lgkmcnt(0)
	v_mul_f64 v[160:161], v[196:197], v[162:163]
	v_mul_f64 v[190:191], v[194:195], v[162:163]
	s_delay_alu instid0(VALU_DEP_2) | instskip(NEXT) | instid1(VALU_DEP_2)
	v_fma_f64 v[160:161], v[194:195], v[192:193], -v[160:161]
	v_fma_f64 v[190:191], v[196:197], v[192:193], v[190:191]
	ds_load_2addr_b64 v[194:197], v189 offset0:18 offset1:19
	v_add_f64 v[156:157], v[156:157], -v[160:161]
	v_add_f64 v[158:159], v[158:159], -v[190:191]
	s_waitcnt lgkmcnt(0)
	v_mul_f64 v[160:161], v[196:197], v[162:163]
	v_mul_f64 v[190:191], v[194:195], v[162:163]
	s_delay_alu instid0(VALU_DEP_2) | instskip(NEXT) | instid1(VALU_DEP_2)
	v_fma_f64 v[160:161], v[194:195], v[192:193], -v[160:161]
	v_fma_f64 v[190:191], v[196:197], v[192:193], v[190:191]
	ds_load_2addr_b64 v[194:197], v189 offset0:20 offset1:21
	v_add_f64 v[152:153], v[152:153], -v[160:161]
	v_add_f64 v[154:155], v[154:155], -v[190:191]
	;; [unrolled: 9-line block ×39, first 2 shown]
	s_waitcnt lgkmcnt(0)
	v_mul_f64 v[160:161], v[196:197], v[162:163]
	v_mul_f64 v[190:191], v[194:195], v[162:163]
	s_delay_alu instid0(VALU_DEP_2) | instskip(NEXT) | instid1(VALU_DEP_2)
	v_fma_f64 v[160:161], v[194:195], v[192:193], -v[160:161]
	v_fma_f64 v[190:191], v[196:197], v[192:193], v[190:191]
	s_delay_alu instid0(VALU_DEP_2) | instskip(NEXT) | instid1(VALU_DEP_2)
	v_add_f64 v[0:1], v[0:1], -v[160:161]
	v_add_f64 v[2:3], v[2:3], -v[190:191]
	v_dual_mov_b32 v160, v192 :: v_dual_mov_b32 v161, v193
.LBB95_73:
	s_or_b32 exec_lo, exec_lo, s3
	s_delay_alu instid0(SALU_CYCLE_1)
	s_mov_b32 s4, exec_lo
	s_waitcnt_vscnt null, 0x0
	s_barrier
	buffer_gl0_inv
	v_cmpx_eq_u32_e32 8, v252
	s_cbranch_execz .LBB95_80
; %bb.74:
	ds_store_2addr_b64 v188, v[156:157], v[158:159] offset1:1
	ds_store_2addr_b64 v189, v[152:153], v[154:155] offset0:18 offset1:19
	ds_store_2addr_b64 v189, v[148:149], v[150:151] offset0:20 offset1:21
	;; [unrolled: 1-line block ×39, first 2 shown]
	ds_load_2addr_b64 v[192:195], v188 offset1:1
	s_waitcnt lgkmcnt(0)
	v_cmp_neq_f64_e32 vcc_lo, 0, v[192:193]
	v_cmp_neq_f64_e64 s3, 0, v[194:195]
	s_delay_alu instid0(VALU_DEP_1) | instskip(NEXT) | instid1(SALU_CYCLE_1)
	s_or_b32 s3, vcc_lo, s3
	s_and_b32 exec_lo, exec_lo, s3
	s_cbranch_execz .LBB95_80
; %bb.75:
	v_cmp_gt_f64_e32 vcc_lo, 0, v[192:193]
	v_xor_b32_e32 v190, 0x80000000, v193
	v_xor_b32_e32 v196, 0x80000000, v195
	s_mov_b32 s3, exec_lo
                                        ; implicit-def: $vgpr200_vgpr201
	s_delay_alu instid0(VALU_DEP_2) | instskip(SKIP_1) | instid1(VALU_DEP_3)
	v_dual_cndmask_b32 v191, v193, v190 :: v_dual_cndmask_b32 v190, v192, v192
	v_cmp_gt_f64_e32 vcc_lo, 0, v[194:195]
	v_dual_cndmask_b32 v197, v195, v196 :: v_dual_cndmask_b32 v196, v194, v194
	s_delay_alu instid0(VALU_DEP_1)
	v_cmpx_ngt_f64_e32 v[190:191], v[196:197]
	s_xor_b32 s3, exec_lo, s3
                                        ; implicit-def: $vgpr196_vgpr197_vgpr198_vgpr199
	s_cbranch_execz .LBB95_77
; %bb.76:
	v_div_scale_f64 v[190:191], null, v[194:195], v[194:195], v[192:193]
	v_div_scale_f64 v[200:201], vcc_lo, v[192:193], v[194:195], v[192:193]
	s_delay_alu instid0(VALU_DEP_2) | instskip(SKIP_2) | instid1(VALU_DEP_1)
	v_rcp_f64_e32 v[196:197], v[190:191]
	s_waitcnt_depctr 0xfff
	v_fma_f64 v[198:199], -v[190:191], v[196:197], 1.0
	v_fma_f64 v[196:197], v[196:197], v[198:199], v[196:197]
	s_delay_alu instid0(VALU_DEP_1) | instskip(NEXT) | instid1(VALU_DEP_1)
	v_fma_f64 v[198:199], -v[190:191], v[196:197], 1.0
	v_fma_f64 v[196:197], v[196:197], v[198:199], v[196:197]
	s_delay_alu instid0(VALU_DEP_1) | instskip(NEXT) | instid1(VALU_DEP_1)
	v_mul_f64 v[198:199], v[200:201], v[196:197]
	v_fma_f64 v[190:191], -v[190:191], v[198:199], v[200:201]
	s_delay_alu instid0(VALU_DEP_1) | instskip(NEXT) | instid1(VALU_DEP_1)
	v_div_fmas_f64 v[190:191], v[190:191], v[196:197], v[198:199]
	v_div_fixup_f64 v[190:191], v[190:191], v[194:195], v[192:193]
	s_delay_alu instid0(VALU_DEP_1) | instskip(NEXT) | instid1(VALU_DEP_1)
	v_fma_f64 v[192:193], v[192:193], v[190:191], v[194:195]
	v_div_scale_f64 v[194:195], null, v[192:193], v[192:193], 1.0
	s_delay_alu instid0(VALU_DEP_1) | instskip(SKIP_2) | instid1(VALU_DEP_1)
	v_rcp_f64_e32 v[196:197], v[194:195]
	s_waitcnt_depctr 0xfff
	v_fma_f64 v[198:199], -v[194:195], v[196:197], 1.0
	v_fma_f64 v[196:197], v[196:197], v[198:199], v[196:197]
	s_delay_alu instid0(VALU_DEP_1) | instskip(NEXT) | instid1(VALU_DEP_1)
	v_fma_f64 v[198:199], -v[194:195], v[196:197], 1.0
	v_fma_f64 v[196:197], v[196:197], v[198:199], v[196:197]
	v_div_scale_f64 v[198:199], vcc_lo, 1.0, v[192:193], 1.0
	s_delay_alu instid0(VALU_DEP_1) | instskip(NEXT) | instid1(VALU_DEP_1)
	v_mul_f64 v[200:201], v[198:199], v[196:197]
	v_fma_f64 v[194:195], -v[194:195], v[200:201], v[198:199]
	s_delay_alu instid0(VALU_DEP_1) | instskip(NEXT) | instid1(VALU_DEP_1)
	v_div_fmas_f64 v[194:195], v[194:195], v[196:197], v[200:201]
	v_div_fixup_f64 v[198:199], v[194:195], v[192:193], 1.0
                                        ; implicit-def: $vgpr192_vgpr193
	s_delay_alu instid0(VALU_DEP_1)
	v_mul_f64 v[200:201], v[190:191], v[198:199]
	v_xor_b32_e32 v199, 0x80000000, v199
.LBB95_77:
	s_and_not1_saveexec_b32 s3, s3
	s_cbranch_execz .LBB95_79
; %bb.78:
	v_div_scale_f64 v[190:191], null, v[192:193], v[192:193], v[194:195]
	v_div_scale_f64 v[200:201], vcc_lo, v[194:195], v[192:193], v[194:195]
	s_delay_alu instid0(VALU_DEP_2) | instskip(SKIP_2) | instid1(VALU_DEP_1)
	v_rcp_f64_e32 v[196:197], v[190:191]
	s_waitcnt_depctr 0xfff
	v_fma_f64 v[198:199], -v[190:191], v[196:197], 1.0
	v_fma_f64 v[196:197], v[196:197], v[198:199], v[196:197]
	s_delay_alu instid0(VALU_DEP_1) | instskip(NEXT) | instid1(VALU_DEP_1)
	v_fma_f64 v[198:199], -v[190:191], v[196:197], 1.0
	v_fma_f64 v[196:197], v[196:197], v[198:199], v[196:197]
	s_delay_alu instid0(VALU_DEP_1) | instskip(NEXT) | instid1(VALU_DEP_1)
	v_mul_f64 v[198:199], v[200:201], v[196:197]
	v_fma_f64 v[190:191], -v[190:191], v[198:199], v[200:201]
	s_delay_alu instid0(VALU_DEP_1) | instskip(NEXT) | instid1(VALU_DEP_1)
	v_div_fmas_f64 v[190:191], v[190:191], v[196:197], v[198:199]
	v_div_fixup_f64 v[190:191], v[190:191], v[192:193], v[194:195]
	s_delay_alu instid0(VALU_DEP_1) | instskip(NEXT) | instid1(VALU_DEP_1)
	v_fma_f64 v[192:193], v[194:195], v[190:191], v[192:193]
	v_div_scale_f64 v[194:195], null, v[192:193], v[192:193], 1.0
	s_delay_alu instid0(VALU_DEP_1) | instskip(SKIP_2) | instid1(VALU_DEP_1)
	v_rcp_f64_e32 v[196:197], v[194:195]
	s_waitcnt_depctr 0xfff
	v_fma_f64 v[198:199], -v[194:195], v[196:197], 1.0
	v_fma_f64 v[196:197], v[196:197], v[198:199], v[196:197]
	s_delay_alu instid0(VALU_DEP_1) | instskip(NEXT) | instid1(VALU_DEP_1)
	v_fma_f64 v[198:199], -v[194:195], v[196:197], 1.0
	v_fma_f64 v[196:197], v[196:197], v[198:199], v[196:197]
	v_div_scale_f64 v[198:199], vcc_lo, 1.0, v[192:193], 1.0
	s_delay_alu instid0(VALU_DEP_1) | instskip(NEXT) | instid1(VALU_DEP_1)
	v_mul_f64 v[200:201], v[198:199], v[196:197]
	v_fma_f64 v[194:195], -v[194:195], v[200:201], v[198:199]
	s_delay_alu instid0(VALU_DEP_1) | instskip(NEXT) | instid1(VALU_DEP_1)
	v_div_fmas_f64 v[194:195], v[194:195], v[196:197], v[200:201]
	v_div_fixup_f64 v[200:201], v[194:195], v[192:193], 1.0
	s_delay_alu instid0(VALU_DEP_1)
	v_mul_f64 v[198:199], v[190:191], -v[200:201]
.LBB95_79:
	s_or_b32 exec_lo, exec_lo, s3
	ds_store_2addr_b64 v188, v[200:201], v[198:199] offset1:1
.LBB95_80:
	s_or_b32 exec_lo, exec_lo, s4
	s_waitcnt lgkmcnt(0)
	s_barrier
	buffer_gl0_inv
	ds_load_2addr_b64 v[190:193], v188 offset1:1
	s_mov_b32 s3, exec_lo
	s_waitcnt lgkmcnt(0)
	scratch_store_b128 off, v[190:193], off offset:528 ; 16-byte Folded Spill
	v_cmpx_lt_u32_e32 8, v252
	s_cbranch_execz .LBB95_82
; %bb.81:
	scratch_load_b128 v[194:197], off, off offset:528 ; 16-byte Folded Reload
	s_waitcnt vmcnt(0)
	v_mul_f64 v[190:191], v[196:197], v[158:159]
	v_mul_f64 v[158:159], v[194:195], v[158:159]
	s_delay_alu instid0(VALU_DEP_2) | instskip(NEXT) | instid1(VALU_DEP_2)
	v_fma_f64 v[192:193], v[194:195], v[156:157], -v[190:191]
	v_fma_f64 v[158:159], v[196:197], v[156:157], v[158:159]
	ds_load_2addr_b64 v[194:197], v189 offset0:18 offset1:19
	s_waitcnt lgkmcnt(0)
	v_mul_f64 v[156:157], v[196:197], v[158:159]
	v_mul_f64 v[190:191], v[194:195], v[158:159]
	s_delay_alu instid0(VALU_DEP_2) | instskip(NEXT) | instid1(VALU_DEP_2)
	v_fma_f64 v[156:157], v[194:195], v[192:193], -v[156:157]
	v_fma_f64 v[190:191], v[196:197], v[192:193], v[190:191]
	ds_load_2addr_b64 v[194:197], v189 offset0:20 offset1:21
	v_add_f64 v[152:153], v[152:153], -v[156:157]
	v_add_f64 v[154:155], v[154:155], -v[190:191]
	s_waitcnt lgkmcnt(0)
	v_mul_f64 v[156:157], v[196:197], v[158:159]
	v_mul_f64 v[190:191], v[194:195], v[158:159]
	s_delay_alu instid0(VALU_DEP_2) | instskip(NEXT) | instid1(VALU_DEP_2)
	v_fma_f64 v[156:157], v[194:195], v[192:193], -v[156:157]
	v_fma_f64 v[190:191], v[196:197], v[192:193], v[190:191]
	ds_load_2addr_b64 v[194:197], v189 offset0:22 offset1:23
	v_add_f64 v[148:149], v[148:149], -v[156:157]
	v_add_f64 v[150:151], v[150:151], -v[190:191]
	;; [unrolled: 9-line block ×38, first 2 shown]
	s_waitcnt lgkmcnt(0)
	v_mul_f64 v[156:157], v[196:197], v[158:159]
	v_mul_f64 v[190:191], v[194:195], v[158:159]
	s_delay_alu instid0(VALU_DEP_2) | instskip(NEXT) | instid1(VALU_DEP_2)
	v_fma_f64 v[156:157], v[194:195], v[192:193], -v[156:157]
	v_fma_f64 v[190:191], v[196:197], v[192:193], v[190:191]
	s_delay_alu instid0(VALU_DEP_2) | instskip(NEXT) | instid1(VALU_DEP_2)
	v_add_f64 v[0:1], v[0:1], -v[156:157]
	v_add_f64 v[2:3], v[2:3], -v[190:191]
	v_dual_mov_b32 v156, v192 :: v_dual_mov_b32 v157, v193
.LBB95_82:
	s_or_b32 exec_lo, exec_lo, s3
	s_delay_alu instid0(SALU_CYCLE_1)
	s_mov_b32 s4, exec_lo
	s_waitcnt_vscnt null, 0x0
	s_barrier
	buffer_gl0_inv
	v_cmpx_eq_u32_e32 9, v252
	s_cbranch_execz .LBB95_89
; %bb.83:
	ds_store_2addr_b64 v188, v[152:153], v[154:155] offset1:1
	ds_store_2addr_b64 v189, v[148:149], v[150:151] offset0:20 offset1:21
	ds_store_2addr_b64 v189, v[144:145], v[146:147] offset0:22 offset1:23
	;; [unrolled: 1-line block ×38, first 2 shown]
	ds_load_2addr_b64 v[192:195], v188 offset1:1
	s_waitcnt lgkmcnt(0)
	v_cmp_neq_f64_e32 vcc_lo, 0, v[192:193]
	v_cmp_neq_f64_e64 s3, 0, v[194:195]
	s_delay_alu instid0(VALU_DEP_1) | instskip(NEXT) | instid1(SALU_CYCLE_1)
	s_or_b32 s3, vcc_lo, s3
	s_and_b32 exec_lo, exec_lo, s3
	s_cbranch_execz .LBB95_89
; %bb.84:
	v_cmp_gt_f64_e32 vcc_lo, 0, v[192:193]
	v_xor_b32_e32 v190, 0x80000000, v193
	v_xor_b32_e32 v196, 0x80000000, v195
	s_mov_b32 s3, exec_lo
                                        ; implicit-def: $vgpr200_vgpr201
	s_delay_alu instid0(VALU_DEP_2) | instskip(SKIP_1) | instid1(VALU_DEP_3)
	v_dual_cndmask_b32 v191, v193, v190 :: v_dual_cndmask_b32 v190, v192, v192
	v_cmp_gt_f64_e32 vcc_lo, 0, v[194:195]
	v_dual_cndmask_b32 v197, v195, v196 :: v_dual_cndmask_b32 v196, v194, v194
	s_delay_alu instid0(VALU_DEP_1)
	v_cmpx_ngt_f64_e32 v[190:191], v[196:197]
	s_xor_b32 s3, exec_lo, s3
                                        ; implicit-def: $vgpr196_vgpr197_vgpr198_vgpr199
	s_cbranch_execz .LBB95_86
; %bb.85:
	v_div_scale_f64 v[190:191], null, v[194:195], v[194:195], v[192:193]
	v_div_scale_f64 v[200:201], vcc_lo, v[192:193], v[194:195], v[192:193]
	s_delay_alu instid0(VALU_DEP_2) | instskip(SKIP_2) | instid1(VALU_DEP_1)
	v_rcp_f64_e32 v[196:197], v[190:191]
	s_waitcnt_depctr 0xfff
	v_fma_f64 v[198:199], -v[190:191], v[196:197], 1.0
	v_fma_f64 v[196:197], v[196:197], v[198:199], v[196:197]
	s_delay_alu instid0(VALU_DEP_1) | instskip(NEXT) | instid1(VALU_DEP_1)
	v_fma_f64 v[198:199], -v[190:191], v[196:197], 1.0
	v_fma_f64 v[196:197], v[196:197], v[198:199], v[196:197]
	s_delay_alu instid0(VALU_DEP_1) | instskip(NEXT) | instid1(VALU_DEP_1)
	v_mul_f64 v[198:199], v[200:201], v[196:197]
	v_fma_f64 v[190:191], -v[190:191], v[198:199], v[200:201]
	s_delay_alu instid0(VALU_DEP_1) | instskip(NEXT) | instid1(VALU_DEP_1)
	v_div_fmas_f64 v[190:191], v[190:191], v[196:197], v[198:199]
	v_div_fixup_f64 v[190:191], v[190:191], v[194:195], v[192:193]
	s_delay_alu instid0(VALU_DEP_1) | instskip(NEXT) | instid1(VALU_DEP_1)
	v_fma_f64 v[192:193], v[192:193], v[190:191], v[194:195]
	v_div_scale_f64 v[194:195], null, v[192:193], v[192:193], 1.0
	s_delay_alu instid0(VALU_DEP_1) | instskip(SKIP_2) | instid1(VALU_DEP_1)
	v_rcp_f64_e32 v[196:197], v[194:195]
	s_waitcnt_depctr 0xfff
	v_fma_f64 v[198:199], -v[194:195], v[196:197], 1.0
	v_fma_f64 v[196:197], v[196:197], v[198:199], v[196:197]
	s_delay_alu instid0(VALU_DEP_1) | instskip(NEXT) | instid1(VALU_DEP_1)
	v_fma_f64 v[198:199], -v[194:195], v[196:197], 1.0
	v_fma_f64 v[196:197], v[196:197], v[198:199], v[196:197]
	v_div_scale_f64 v[198:199], vcc_lo, 1.0, v[192:193], 1.0
	s_delay_alu instid0(VALU_DEP_1) | instskip(NEXT) | instid1(VALU_DEP_1)
	v_mul_f64 v[200:201], v[198:199], v[196:197]
	v_fma_f64 v[194:195], -v[194:195], v[200:201], v[198:199]
	s_delay_alu instid0(VALU_DEP_1) | instskip(NEXT) | instid1(VALU_DEP_1)
	v_div_fmas_f64 v[194:195], v[194:195], v[196:197], v[200:201]
	v_div_fixup_f64 v[198:199], v[194:195], v[192:193], 1.0
                                        ; implicit-def: $vgpr192_vgpr193
	s_delay_alu instid0(VALU_DEP_1)
	v_mul_f64 v[200:201], v[190:191], v[198:199]
	v_xor_b32_e32 v199, 0x80000000, v199
.LBB95_86:
	s_and_not1_saveexec_b32 s3, s3
	s_cbranch_execz .LBB95_88
; %bb.87:
	v_div_scale_f64 v[190:191], null, v[192:193], v[192:193], v[194:195]
	v_div_scale_f64 v[200:201], vcc_lo, v[194:195], v[192:193], v[194:195]
	s_delay_alu instid0(VALU_DEP_2) | instskip(SKIP_2) | instid1(VALU_DEP_1)
	v_rcp_f64_e32 v[196:197], v[190:191]
	s_waitcnt_depctr 0xfff
	v_fma_f64 v[198:199], -v[190:191], v[196:197], 1.0
	v_fma_f64 v[196:197], v[196:197], v[198:199], v[196:197]
	s_delay_alu instid0(VALU_DEP_1) | instskip(NEXT) | instid1(VALU_DEP_1)
	v_fma_f64 v[198:199], -v[190:191], v[196:197], 1.0
	v_fma_f64 v[196:197], v[196:197], v[198:199], v[196:197]
	s_delay_alu instid0(VALU_DEP_1) | instskip(NEXT) | instid1(VALU_DEP_1)
	v_mul_f64 v[198:199], v[200:201], v[196:197]
	v_fma_f64 v[190:191], -v[190:191], v[198:199], v[200:201]
	s_delay_alu instid0(VALU_DEP_1) | instskip(NEXT) | instid1(VALU_DEP_1)
	v_div_fmas_f64 v[190:191], v[190:191], v[196:197], v[198:199]
	v_div_fixup_f64 v[190:191], v[190:191], v[192:193], v[194:195]
	s_delay_alu instid0(VALU_DEP_1) | instskip(NEXT) | instid1(VALU_DEP_1)
	v_fma_f64 v[192:193], v[194:195], v[190:191], v[192:193]
	v_div_scale_f64 v[194:195], null, v[192:193], v[192:193], 1.0
	s_delay_alu instid0(VALU_DEP_1) | instskip(SKIP_2) | instid1(VALU_DEP_1)
	v_rcp_f64_e32 v[196:197], v[194:195]
	s_waitcnt_depctr 0xfff
	v_fma_f64 v[198:199], -v[194:195], v[196:197], 1.0
	v_fma_f64 v[196:197], v[196:197], v[198:199], v[196:197]
	s_delay_alu instid0(VALU_DEP_1) | instskip(NEXT) | instid1(VALU_DEP_1)
	v_fma_f64 v[198:199], -v[194:195], v[196:197], 1.0
	v_fma_f64 v[196:197], v[196:197], v[198:199], v[196:197]
	v_div_scale_f64 v[198:199], vcc_lo, 1.0, v[192:193], 1.0
	s_delay_alu instid0(VALU_DEP_1) | instskip(NEXT) | instid1(VALU_DEP_1)
	v_mul_f64 v[200:201], v[198:199], v[196:197]
	v_fma_f64 v[194:195], -v[194:195], v[200:201], v[198:199]
	s_delay_alu instid0(VALU_DEP_1) | instskip(NEXT) | instid1(VALU_DEP_1)
	v_div_fmas_f64 v[194:195], v[194:195], v[196:197], v[200:201]
	v_div_fixup_f64 v[200:201], v[194:195], v[192:193], 1.0
	s_delay_alu instid0(VALU_DEP_1)
	v_mul_f64 v[198:199], v[190:191], -v[200:201]
.LBB95_88:
	s_or_b32 exec_lo, exec_lo, s3
	ds_store_2addr_b64 v188, v[200:201], v[198:199] offset1:1
.LBB95_89:
	s_or_b32 exec_lo, exec_lo, s4
	s_waitcnt lgkmcnt(0)
	s_barrier
	buffer_gl0_inv
	ds_load_2addr_b64 v[190:193], v188 offset1:1
	s_mov_b32 s3, exec_lo
	s_waitcnt lgkmcnt(0)
	scratch_store_b128 off, v[190:193], off offset:544 ; 16-byte Folded Spill
	v_cmpx_lt_u32_e32 9, v252
	s_cbranch_execz .LBB95_91
; %bb.90:
	scratch_load_b128 v[194:197], off, off offset:544 ; 16-byte Folded Reload
	s_waitcnt vmcnt(0)
	v_mul_f64 v[190:191], v[196:197], v[154:155]
	v_mul_f64 v[154:155], v[194:195], v[154:155]
	s_delay_alu instid0(VALU_DEP_2) | instskip(NEXT) | instid1(VALU_DEP_2)
	v_fma_f64 v[192:193], v[194:195], v[152:153], -v[190:191]
	v_fma_f64 v[154:155], v[196:197], v[152:153], v[154:155]
	ds_load_2addr_b64 v[194:197], v189 offset0:20 offset1:21
	s_waitcnt lgkmcnt(0)
	v_mul_f64 v[152:153], v[196:197], v[154:155]
	v_mul_f64 v[190:191], v[194:195], v[154:155]
	s_delay_alu instid0(VALU_DEP_2) | instskip(NEXT) | instid1(VALU_DEP_2)
	v_fma_f64 v[152:153], v[194:195], v[192:193], -v[152:153]
	v_fma_f64 v[190:191], v[196:197], v[192:193], v[190:191]
	ds_load_2addr_b64 v[194:197], v189 offset0:22 offset1:23
	v_add_f64 v[148:149], v[148:149], -v[152:153]
	v_add_f64 v[150:151], v[150:151], -v[190:191]
	s_waitcnt lgkmcnt(0)
	v_mul_f64 v[152:153], v[196:197], v[154:155]
	v_mul_f64 v[190:191], v[194:195], v[154:155]
	s_delay_alu instid0(VALU_DEP_2) | instskip(NEXT) | instid1(VALU_DEP_2)
	v_fma_f64 v[152:153], v[194:195], v[192:193], -v[152:153]
	v_fma_f64 v[190:191], v[196:197], v[192:193], v[190:191]
	ds_load_2addr_b64 v[194:197], v189 offset0:24 offset1:25
	v_add_f64 v[144:145], v[144:145], -v[152:153]
	v_add_f64 v[146:147], v[146:147], -v[190:191]
	;; [unrolled: 9-line block ×37, first 2 shown]
	s_waitcnt lgkmcnt(0)
	v_mul_f64 v[152:153], v[196:197], v[154:155]
	v_mul_f64 v[190:191], v[194:195], v[154:155]
	s_delay_alu instid0(VALU_DEP_2) | instskip(NEXT) | instid1(VALU_DEP_2)
	v_fma_f64 v[152:153], v[194:195], v[192:193], -v[152:153]
	v_fma_f64 v[190:191], v[196:197], v[192:193], v[190:191]
	s_delay_alu instid0(VALU_DEP_2) | instskip(NEXT) | instid1(VALU_DEP_2)
	v_add_f64 v[0:1], v[0:1], -v[152:153]
	v_add_f64 v[2:3], v[2:3], -v[190:191]
	v_dual_mov_b32 v152, v192 :: v_dual_mov_b32 v153, v193
.LBB95_91:
	s_or_b32 exec_lo, exec_lo, s3
	s_delay_alu instid0(SALU_CYCLE_1)
	s_mov_b32 s4, exec_lo
	s_waitcnt_vscnt null, 0x0
	s_barrier
	buffer_gl0_inv
	v_cmpx_eq_u32_e32 10, v252
	s_cbranch_execz .LBB95_98
; %bb.92:
	ds_store_2addr_b64 v188, v[148:149], v[150:151] offset1:1
	ds_store_2addr_b64 v189, v[144:145], v[146:147] offset0:22 offset1:23
	ds_store_2addr_b64 v189, v[140:141], v[142:143] offset0:24 offset1:25
	;; [unrolled: 1-line block ×37, first 2 shown]
	ds_load_2addr_b64 v[192:195], v188 offset1:1
	s_waitcnt lgkmcnt(0)
	v_cmp_neq_f64_e32 vcc_lo, 0, v[192:193]
	v_cmp_neq_f64_e64 s3, 0, v[194:195]
	s_delay_alu instid0(VALU_DEP_1) | instskip(NEXT) | instid1(SALU_CYCLE_1)
	s_or_b32 s3, vcc_lo, s3
	s_and_b32 exec_lo, exec_lo, s3
	s_cbranch_execz .LBB95_98
; %bb.93:
	v_cmp_gt_f64_e32 vcc_lo, 0, v[192:193]
	v_xor_b32_e32 v190, 0x80000000, v193
	v_xor_b32_e32 v196, 0x80000000, v195
	s_mov_b32 s3, exec_lo
                                        ; implicit-def: $vgpr200_vgpr201
	s_delay_alu instid0(VALU_DEP_2) | instskip(SKIP_1) | instid1(VALU_DEP_3)
	v_dual_cndmask_b32 v191, v193, v190 :: v_dual_cndmask_b32 v190, v192, v192
	v_cmp_gt_f64_e32 vcc_lo, 0, v[194:195]
	v_dual_cndmask_b32 v197, v195, v196 :: v_dual_cndmask_b32 v196, v194, v194
	s_delay_alu instid0(VALU_DEP_1)
	v_cmpx_ngt_f64_e32 v[190:191], v[196:197]
	s_xor_b32 s3, exec_lo, s3
                                        ; implicit-def: $vgpr196_vgpr197_vgpr198_vgpr199
	s_cbranch_execz .LBB95_95
; %bb.94:
	v_div_scale_f64 v[190:191], null, v[194:195], v[194:195], v[192:193]
	v_div_scale_f64 v[200:201], vcc_lo, v[192:193], v[194:195], v[192:193]
	s_delay_alu instid0(VALU_DEP_2) | instskip(SKIP_2) | instid1(VALU_DEP_1)
	v_rcp_f64_e32 v[196:197], v[190:191]
	s_waitcnt_depctr 0xfff
	v_fma_f64 v[198:199], -v[190:191], v[196:197], 1.0
	v_fma_f64 v[196:197], v[196:197], v[198:199], v[196:197]
	s_delay_alu instid0(VALU_DEP_1) | instskip(NEXT) | instid1(VALU_DEP_1)
	v_fma_f64 v[198:199], -v[190:191], v[196:197], 1.0
	v_fma_f64 v[196:197], v[196:197], v[198:199], v[196:197]
	s_delay_alu instid0(VALU_DEP_1) | instskip(NEXT) | instid1(VALU_DEP_1)
	v_mul_f64 v[198:199], v[200:201], v[196:197]
	v_fma_f64 v[190:191], -v[190:191], v[198:199], v[200:201]
	s_delay_alu instid0(VALU_DEP_1) | instskip(NEXT) | instid1(VALU_DEP_1)
	v_div_fmas_f64 v[190:191], v[190:191], v[196:197], v[198:199]
	v_div_fixup_f64 v[190:191], v[190:191], v[194:195], v[192:193]
	s_delay_alu instid0(VALU_DEP_1) | instskip(NEXT) | instid1(VALU_DEP_1)
	v_fma_f64 v[192:193], v[192:193], v[190:191], v[194:195]
	v_div_scale_f64 v[194:195], null, v[192:193], v[192:193], 1.0
	s_delay_alu instid0(VALU_DEP_1) | instskip(SKIP_2) | instid1(VALU_DEP_1)
	v_rcp_f64_e32 v[196:197], v[194:195]
	s_waitcnt_depctr 0xfff
	v_fma_f64 v[198:199], -v[194:195], v[196:197], 1.0
	v_fma_f64 v[196:197], v[196:197], v[198:199], v[196:197]
	s_delay_alu instid0(VALU_DEP_1) | instskip(NEXT) | instid1(VALU_DEP_1)
	v_fma_f64 v[198:199], -v[194:195], v[196:197], 1.0
	v_fma_f64 v[196:197], v[196:197], v[198:199], v[196:197]
	v_div_scale_f64 v[198:199], vcc_lo, 1.0, v[192:193], 1.0
	s_delay_alu instid0(VALU_DEP_1) | instskip(NEXT) | instid1(VALU_DEP_1)
	v_mul_f64 v[200:201], v[198:199], v[196:197]
	v_fma_f64 v[194:195], -v[194:195], v[200:201], v[198:199]
	s_delay_alu instid0(VALU_DEP_1) | instskip(NEXT) | instid1(VALU_DEP_1)
	v_div_fmas_f64 v[194:195], v[194:195], v[196:197], v[200:201]
	v_div_fixup_f64 v[198:199], v[194:195], v[192:193], 1.0
                                        ; implicit-def: $vgpr192_vgpr193
	s_delay_alu instid0(VALU_DEP_1)
	v_mul_f64 v[200:201], v[190:191], v[198:199]
	v_xor_b32_e32 v199, 0x80000000, v199
.LBB95_95:
	s_and_not1_saveexec_b32 s3, s3
	s_cbranch_execz .LBB95_97
; %bb.96:
	v_div_scale_f64 v[190:191], null, v[192:193], v[192:193], v[194:195]
	v_div_scale_f64 v[200:201], vcc_lo, v[194:195], v[192:193], v[194:195]
	s_delay_alu instid0(VALU_DEP_2) | instskip(SKIP_2) | instid1(VALU_DEP_1)
	v_rcp_f64_e32 v[196:197], v[190:191]
	s_waitcnt_depctr 0xfff
	v_fma_f64 v[198:199], -v[190:191], v[196:197], 1.0
	v_fma_f64 v[196:197], v[196:197], v[198:199], v[196:197]
	s_delay_alu instid0(VALU_DEP_1) | instskip(NEXT) | instid1(VALU_DEP_1)
	v_fma_f64 v[198:199], -v[190:191], v[196:197], 1.0
	v_fma_f64 v[196:197], v[196:197], v[198:199], v[196:197]
	s_delay_alu instid0(VALU_DEP_1) | instskip(NEXT) | instid1(VALU_DEP_1)
	v_mul_f64 v[198:199], v[200:201], v[196:197]
	v_fma_f64 v[190:191], -v[190:191], v[198:199], v[200:201]
	s_delay_alu instid0(VALU_DEP_1) | instskip(NEXT) | instid1(VALU_DEP_1)
	v_div_fmas_f64 v[190:191], v[190:191], v[196:197], v[198:199]
	v_div_fixup_f64 v[190:191], v[190:191], v[192:193], v[194:195]
	s_delay_alu instid0(VALU_DEP_1) | instskip(NEXT) | instid1(VALU_DEP_1)
	v_fma_f64 v[192:193], v[194:195], v[190:191], v[192:193]
	v_div_scale_f64 v[194:195], null, v[192:193], v[192:193], 1.0
	s_delay_alu instid0(VALU_DEP_1) | instskip(SKIP_2) | instid1(VALU_DEP_1)
	v_rcp_f64_e32 v[196:197], v[194:195]
	s_waitcnt_depctr 0xfff
	v_fma_f64 v[198:199], -v[194:195], v[196:197], 1.0
	v_fma_f64 v[196:197], v[196:197], v[198:199], v[196:197]
	s_delay_alu instid0(VALU_DEP_1) | instskip(NEXT) | instid1(VALU_DEP_1)
	v_fma_f64 v[198:199], -v[194:195], v[196:197], 1.0
	v_fma_f64 v[196:197], v[196:197], v[198:199], v[196:197]
	v_div_scale_f64 v[198:199], vcc_lo, 1.0, v[192:193], 1.0
	s_delay_alu instid0(VALU_DEP_1) | instskip(NEXT) | instid1(VALU_DEP_1)
	v_mul_f64 v[200:201], v[198:199], v[196:197]
	v_fma_f64 v[194:195], -v[194:195], v[200:201], v[198:199]
	s_delay_alu instid0(VALU_DEP_1) | instskip(NEXT) | instid1(VALU_DEP_1)
	v_div_fmas_f64 v[194:195], v[194:195], v[196:197], v[200:201]
	v_div_fixup_f64 v[200:201], v[194:195], v[192:193], 1.0
	s_delay_alu instid0(VALU_DEP_1)
	v_mul_f64 v[198:199], v[190:191], -v[200:201]
.LBB95_97:
	s_or_b32 exec_lo, exec_lo, s3
	ds_store_2addr_b64 v188, v[200:201], v[198:199] offset1:1
.LBB95_98:
	s_or_b32 exec_lo, exec_lo, s4
	s_waitcnt lgkmcnt(0)
	s_barrier
	buffer_gl0_inv
	ds_load_2addr_b64 v[190:193], v188 offset1:1
	s_mov_b32 s3, exec_lo
	s_waitcnt lgkmcnt(0)
	scratch_store_b128 off, v[190:193], off offset:560 ; 16-byte Folded Spill
	v_cmpx_lt_u32_e32 10, v252
	s_cbranch_execz .LBB95_100
; %bb.99:
	scratch_load_b128 v[194:197], off, off offset:560 ; 16-byte Folded Reload
	s_waitcnt vmcnt(0)
	v_mul_f64 v[190:191], v[196:197], v[150:151]
	v_mul_f64 v[150:151], v[194:195], v[150:151]
	s_delay_alu instid0(VALU_DEP_2) | instskip(NEXT) | instid1(VALU_DEP_2)
	v_fma_f64 v[192:193], v[194:195], v[148:149], -v[190:191]
	v_fma_f64 v[150:151], v[196:197], v[148:149], v[150:151]
	ds_load_2addr_b64 v[194:197], v189 offset0:22 offset1:23
	s_waitcnt lgkmcnt(0)
	v_mul_f64 v[148:149], v[196:197], v[150:151]
	v_mul_f64 v[190:191], v[194:195], v[150:151]
	s_delay_alu instid0(VALU_DEP_2) | instskip(NEXT) | instid1(VALU_DEP_2)
	v_fma_f64 v[148:149], v[194:195], v[192:193], -v[148:149]
	v_fma_f64 v[190:191], v[196:197], v[192:193], v[190:191]
	ds_load_2addr_b64 v[194:197], v189 offset0:24 offset1:25
	v_add_f64 v[144:145], v[144:145], -v[148:149]
	v_add_f64 v[146:147], v[146:147], -v[190:191]
	s_waitcnt lgkmcnt(0)
	v_mul_f64 v[148:149], v[196:197], v[150:151]
	v_mul_f64 v[190:191], v[194:195], v[150:151]
	s_delay_alu instid0(VALU_DEP_2) | instskip(NEXT) | instid1(VALU_DEP_2)
	v_fma_f64 v[148:149], v[194:195], v[192:193], -v[148:149]
	v_fma_f64 v[190:191], v[196:197], v[192:193], v[190:191]
	ds_load_2addr_b64 v[194:197], v189 offset0:26 offset1:27
	v_add_f64 v[140:141], v[140:141], -v[148:149]
	v_add_f64 v[142:143], v[142:143], -v[190:191]
	;; [unrolled: 9-line block ×36, first 2 shown]
	s_waitcnt lgkmcnt(0)
	v_mul_f64 v[148:149], v[196:197], v[150:151]
	v_mul_f64 v[190:191], v[194:195], v[150:151]
	s_delay_alu instid0(VALU_DEP_2) | instskip(NEXT) | instid1(VALU_DEP_2)
	v_fma_f64 v[148:149], v[194:195], v[192:193], -v[148:149]
	v_fma_f64 v[190:191], v[196:197], v[192:193], v[190:191]
	s_delay_alu instid0(VALU_DEP_2) | instskip(NEXT) | instid1(VALU_DEP_2)
	v_add_f64 v[0:1], v[0:1], -v[148:149]
	v_add_f64 v[2:3], v[2:3], -v[190:191]
	v_dual_mov_b32 v148, v192 :: v_dual_mov_b32 v149, v193
.LBB95_100:
	s_or_b32 exec_lo, exec_lo, s3
	s_delay_alu instid0(SALU_CYCLE_1)
	s_mov_b32 s4, exec_lo
	s_waitcnt_vscnt null, 0x0
	s_barrier
	buffer_gl0_inv
	v_cmpx_eq_u32_e32 11, v252
	s_cbranch_execz .LBB95_107
; %bb.101:
	ds_store_2addr_b64 v188, v[144:145], v[146:147] offset1:1
	ds_store_2addr_b64 v189, v[140:141], v[142:143] offset0:24 offset1:25
	ds_store_2addr_b64 v189, v[136:137], v[138:139] offset0:26 offset1:27
	;; [unrolled: 1-line block ×36, first 2 shown]
	ds_load_2addr_b64 v[192:195], v188 offset1:1
	s_waitcnt lgkmcnt(0)
	v_cmp_neq_f64_e32 vcc_lo, 0, v[192:193]
	v_cmp_neq_f64_e64 s3, 0, v[194:195]
	s_delay_alu instid0(VALU_DEP_1) | instskip(NEXT) | instid1(SALU_CYCLE_1)
	s_or_b32 s3, vcc_lo, s3
	s_and_b32 exec_lo, exec_lo, s3
	s_cbranch_execz .LBB95_107
; %bb.102:
	v_cmp_gt_f64_e32 vcc_lo, 0, v[192:193]
	v_xor_b32_e32 v190, 0x80000000, v193
	v_xor_b32_e32 v196, 0x80000000, v195
	s_mov_b32 s3, exec_lo
                                        ; implicit-def: $vgpr200_vgpr201
	s_delay_alu instid0(VALU_DEP_2) | instskip(SKIP_1) | instid1(VALU_DEP_3)
	v_dual_cndmask_b32 v191, v193, v190 :: v_dual_cndmask_b32 v190, v192, v192
	v_cmp_gt_f64_e32 vcc_lo, 0, v[194:195]
	v_dual_cndmask_b32 v197, v195, v196 :: v_dual_cndmask_b32 v196, v194, v194
	s_delay_alu instid0(VALU_DEP_1)
	v_cmpx_ngt_f64_e32 v[190:191], v[196:197]
	s_xor_b32 s3, exec_lo, s3
                                        ; implicit-def: $vgpr196_vgpr197_vgpr198_vgpr199
	s_cbranch_execz .LBB95_104
; %bb.103:
	v_div_scale_f64 v[190:191], null, v[194:195], v[194:195], v[192:193]
	v_div_scale_f64 v[200:201], vcc_lo, v[192:193], v[194:195], v[192:193]
	s_delay_alu instid0(VALU_DEP_2) | instskip(SKIP_2) | instid1(VALU_DEP_1)
	v_rcp_f64_e32 v[196:197], v[190:191]
	s_waitcnt_depctr 0xfff
	v_fma_f64 v[198:199], -v[190:191], v[196:197], 1.0
	v_fma_f64 v[196:197], v[196:197], v[198:199], v[196:197]
	s_delay_alu instid0(VALU_DEP_1) | instskip(NEXT) | instid1(VALU_DEP_1)
	v_fma_f64 v[198:199], -v[190:191], v[196:197], 1.0
	v_fma_f64 v[196:197], v[196:197], v[198:199], v[196:197]
	s_delay_alu instid0(VALU_DEP_1) | instskip(NEXT) | instid1(VALU_DEP_1)
	v_mul_f64 v[198:199], v[200:201], v[196:197]
	v_fma_f64 v[190:191], -v[190:191], v[198:199], v[200:201]
	s_delay_alu instid0(VALU_DEP_1) | instskip(NEXT) | instid1(VALU_DEP_1)
	v_div_fmas_f64 v[190:191], v[190:191], v[196:197], v[198:199]
	v_div_fixup_f64 v[190:191], v[190:191], v[194:195], v[192:193]
	s_delay_alu instid0(VALU_DEP_1) | instskip(NEXT) | instid1(VALU_DEP_1)
	v_fma_f64 v[192:193], v[192:193], v[190:191], v[194:195]
	v_div_scale_f64 v[194:195], null, v[192:193], v[192:193], 1.0
	s_delay_alu instid0(VALU_DEP_1) | instskip(SKIP_2) | instid1(VALU_DEP_1)
	v_rcp_f64_e32 v[196:197], v[194:195]
	s_waitcnt_depctr 0xfff
	v_fma_f64 v[198:199], -v[194:195], v[196:197], 1.0
	v_fma_f64 v[196:197], v[196:197], v[198:199], v[196:197]
	s_delay_alu instid0(VALU_DEP_1) | instskip(NEXT) | instid1(VALU_DEP_1)
	v_fma_f64 v[198:199], -v[194:195], v[196:197], 1.0
	v_fma_f64 v[196:197], v[196:197], v[198:199], v[196:197]
	v_div_scale_f64 v[198:199], vcc_lo, 1.0, v[192:193], 1.0
	s_delay_alu instid0(VALU_DEP_1) | instskip(NEXT) | instid1(VALU_DEP_1)
	v_mul_f64 v[200:201], v[198:199], v[196:197]
	v_fma_f64 v[194:195], -v[194:195], v[200:201], v[198:199]
	s_delay_alu instid0(VALU_DEP_1) | instskip(NEXT) | instid1(VALU_DEP_1)
	v_div_fmas_f64 v[194:195], v[194:195], v[196:197], v[200:201]
	v_div_fixup_f64 v[198:199], v[194:195], v[192:193], 1.0
                                        ; implicit-def: $vgpr192_vgpr193
	s_delay_alu instid0(VALU_DEP_1)
	v_mul_f64 v[200:201], v[190:191], v[198:199]
	v_xor_b32_e32 v199, 0x80000000, v199
.LBB95_104:
	s_and_not1_saveexec_b32 s3, s3
	s_cbranch_execz .LBB95_106
; %bb.105:
	v_div_scale_f64 v[190:191], null, v[192:193], v[192:193], v[194:195]
	v_div_scale_f64 v[200:201], vcc_lo, v[194:195], v[192:193], v[194:195]
	s_delay_alu instid0(VALU_DEP_2) | instskip(SKIP_2) | instid1(VALU_DEP_1)
	v_rcp_f64_e32 v[196:197], v[190:191]
	s_waitcnt_depctr 0xfff
	v_fma_f64 v[198:199], -v[190:191], v[196:197], 1.0
	v_fma_f64 v[196:197], v[196:197], v[198:199], v[196:197]
	s_delay_alu instid0(VALU_DEP_1) | instskip(NEXT) | instid1(VALU_DEP_1)
	v_fma_f64 v[198:199], -v[190:191], v[196:197], 1.0
	v_fma_f64 v[196:197], v[196:197], v[198:199], v[196:197]
	s_delay_alu instid0(VALU_DEP_1) | instskip(NEXT) | instid1(VALU_DEP_1)
	v_mul_f64 v[198:199], v[200:201], v[196:197]
	v_fma_f64 v[190:191], -v[190:191], v[198:199], v[200:201]
	s_delay_alu instid0(VALU_DEP_1) | instskip(NEXT) | instid1(VALU_DEP_1)
	v_div_fmas_f64 v[190:191], v[190:191], v[196:197], v[198:199]
	v_div_fixup_f64 v[190:191], v[190:191], v[192:193], v[194:195]
	s_delay_alu instid0(VALU_DEP_1) | instskip(NEXT) | instid1(VALU_DEP_1)
	v_fma_f64 v[192:193], v[194:195], v[190:191], v[192:193]
	v_div_scale_f64 v[194:195], null, v[192:193], v[192:193], 1.0
	s_delay_alu instid0(VALU_DEP_1) | instskip(SKIP_2) | instid1(VALU_DEP_1)
	v_rcp_f64_e32 v[196:197], v[194:195]
	s_waitcnt_depctr 0xfff
	v_fma_f64 v[198:199], -v[194:195], v[196:197], 1.0
	v_fma_f64 v[196:197], v[196:197], v[198:199], v[196:197]
	s_delay_alu instid0(VALU_DEP_1) | instskip(NEXT) | instid1(VALU_DEP_1)
	v_fma_f64 v[198:199], -v[194:195], v[196:197], 1.0
	v_fma_f64 v[196:197], v[196:197], v[198:199], v[196:197]
	v_div_scale_f64 v[198:199], vcc_lo, 1.0, v[192:193], 1.0
	s_delay_alu instid0(VALU_DEP_1) | instskip(NEXT) | instid1(VALU_DEP_1)
	v_mul_f64 v[200:201], v[198:199], v[196:197]
	v_fma_f64 v[194:195], -v[194:195], v[200:201], v[198:199]
	s_delay_alu instid0(VALU_DEP_1) | instskip(NEXT) | instid1(VALU_DEP_1)
	v_div_fmas_f64 v[194:195], v[194:195], v[196:197], v[200:201]
	v_div_fixup_f64 v[200:201], v[194:195], v[192:193], 1.0
	s_delay_alu instid0(VALU_DEP_1)
	v_mul_f64 v[198:199], v[190:191], -v[200:201]
.LBB95_106:
	s_or_b32 exec_lo, exec_lo, s3
	ds_store_2addr_b64 v188, v[200:201], v[198:199] offset1:1
.LBB95_107:
	s_or_b32 exec_lo, exec_lo, s4
	s_waitcnt lgkmcnt(0)
	s_barrier
	buffer_gl0_inv
	ds_load_2addr_b64 v[190:193], v188 offset1:1
	s_mov_b32 s3, exec_lo
	s_waitcnt lgkmcnt(0)
	scratch_store_b128 off, v[190:193], off offset:576 ; 16-byte Folded Spill
	v_cmpx_lt_u32_e32 11, v252
	s_cbranch_execz .LBB95_109
; %bb.108:
	scratch_load_b128 v[194:197], off, off offset:576 ; 16-byte Folded Reload
	s_waitcnt vmcnt(0)
	v_mul_f64 v[190:191], v[196:197], v[146:147]
	v_mul_f64 v[146:147], v[194:195], v[146:147]
	s_delay_alu instid0(VALU_DEP_2) | instskip(NEXT) | instid1(VALU_DEP_2)
	v_fma_f64 v[192:193], v[194:195], v[144:145], -v[190:191]
	v_fma_f64 v[146:147], v[196:197], v[144:145], v[146:147]
	ds_load_2addr_b64 v[194:197], v189 offset0:24 offset1:25
	s_waitcnt lgkmcnt(0)
	v_mul_f64 v[144:145], v[196:197], v[146:147]
	v_mul_f64 v[190:191], v[194:195], v[146:147]
	s_delay_alu instid0(VALU_DEP_2) | instskip(NEXT) | instid1(VALU_DEP_2)
	v_fma_f64 v[144:145], v[194:195], v[192:193], -v[144:145]
	v_fma_f64 v[190:191], v[196:197], v[192:193], v[190:191]
	ds_load_2addr_b64 v[194:197], v189 offset0:26 offset1:27
	v_add_f64 v[140:141], v[140:141], -v[144:145]
	v_add_f64 v[142:143], v[142:143], -v[190:191]
	s_waitcnt lgkmcnt(0)
	v_mul_f64 v[144:145], v[196:197], v[146:147]
	v_mul_f64 v[190:191], v[194:195], v[146:147]
	s_delay_alu instid0(VALU_DEP_2) | instskip(NEXT) | instid1(VALU_DEP_2)
	v_fma_f64 v[144:145], v[194:195], v[192:193], -v[144:145]
	v_fma_f64 v[190:191], v[196:197], v[192:193], v[190:191]
	ds_load_2addr_b64 v[194:197], v189 offset0:28 offset1:29
	v_add_f64 v[136:137], v[136:137], -v[144:145]
	v_add_f64 v[138:139], v[138:139], -v[190:191]
	;; [unrolled: 9-line block ×35, first 2 shown]
	s_waitcnt lgkmcnt(0)
	v_mul_f64 v[144:145], v[196:197], v[146:147]
	v_mul_f64 v[190:191], v[194:195], v[146:147]
	s_delay_alu instid0(VALU_DEP_2) | instskip(NEXT) | instid1(VALU_DEP_2)
	v_fma_f64 v[144:145], v[194:195], v[192:193], -v[144:145]
	v_fma_f64 v[190:191], v[196:197], v[192:193], v[190:191]
	s_delay_alu instid0(VALU_DEP_2) | instskip(NEXT) | instid1(VALU_DEP_2)
	v_add_f64 v[0:1], v[0:1], -v[144:145]
	v_add_f64 v[2:3], v[2:3], -v[190:191]
	v_dual_mov_b32 v144, v192 :: v_dual_mov_b32 v145, v193
.LBB95_109:
	s_or_b32 exec_lo, exec_lo, s3
	s_delay_alu instid0(SALU_CYCLE_1)
	s_mov_b32 s4, exec_lo
	s_waitcnt_vscnt null, 0x0
	s_barrier
	buffer_gl0_inv
	v_cmpx_eq_u32_e32 12, v252
	s_cbranch_execz .LBB95_116
; %bb.110:
	ds_store_2addr_b64 v188, v[140:141], v[142:143] offset1:1
	ds_store_2addr_b64 v189, v[136:137], v[138:139] offset0:26 offset1:27
	ds_store_2addr_b64 v189, v[132:133], v[134:135] offset0:28 offset1:29
	;; [unrolled: 1-line block ×35, first 2 shown]
	ds_load_2addr_b64 v[192:195], v188 offset1:1
	s_waitcnt lgkmcnt(0)
	v_cmp_neq_f64_e32 vcc_lo, 0, v[192:193]
	v_cmp_neq_f64_e64 s3, 0, v[194:195]
	s_delay_alu instid0(VALU_DEP_1) | instskip(NEXT) | instid1(SALU_CYCLE_1)
	s_or_b32 s3, vcc_lo, s3
	s_and_b32 exec_lo, exec_lo, s3
	s_cbranch_execz .LBB95_116
; %bb.111:
	v_cmp_gt_f64_e32 vcc_lo, 0, v[192:193]
	v_xor_b32_e32 v190, 0x80000000, v193
	v_xor_b32_e32 v196, 0x80000000, v195
	s_mov_b32 s3, exec_lo
                                        ; implicit-def: $vgpr200_vgpr201
	s_delay_alu instid0(VALU_DEP_2) | instskip(SKIP_1) | instid1(VALU_DEP_3)
	v_dual_cndmask_b32 v191, v193, v190 :: v_dual_cndmask_b32 v190, v192, v192
	v_cmp_gt_f64_e32 vcc_lo, 0, v[194:195]
	v_dual_cndmask_b32 v197, v195, v196 :: v_dual_cndmask_b32 v196, v194, v194
	s_delay_alu instid0(VALU_DEP_1)
	v_cmpx_ngt_f64_e32 v[190:191], v[196:197]
	s_xor_b32 s3, exec_lo, s3
                                        ; implicit-def: $vgpr196_vgpr197_vgpr198_vgpr199
	s_cbranch_execz .LBB95_113
; %bb.112:
	v_div_scale_f64 v[190:191], null, v[194:195], v[194:195], v[192:193]
	v_div_scale_f64 v[200:201], vcc_lo, v[192:193], v[194:195], v[192:193]
	s_delay_alu instid0(VALU_DEP_2) | instskip(SKIP_2) | instid1(VALU_DEP_1)
	v_rcp_f64_e32 v[196:197], v[190:191]
	s_waitcnt_depctr 0xfff
	v_fma_f64 v[198:199], -v[190:191], v[196:197], 1.0
	v_fma_f64 v[196:197], v[196:197], v[198:199], v[196:197]
	s_delay_alu instid0(VALU_DEP_1) | instskip(NEXT) | instid1(VALU_DEP_1)
	v_fma_f64 v[198:199], -v[190:191], v[196:197], 1.0
	v_fma_f64 v[196:197], v[196:197], v[198:199], v[196:197]
	s_delay_alu instid0(VALU_DEP_1) | instskip(NEXT) | instid1(VALU_DEP_1)
	v_mul_f64 v[198:199], v[200:201], v[196:197]
	v_fma_f64 v[190:191], -v[190:191], v[198:199], v[200:201]
	s_delay_alu instid0(VALU_DEP_1) | instskip(NEXT) | instid1(VALU_DEP_1)
	v_div_fmas_f64 v[190:191], v[190:191], v[196:197], v[198:199]
	v_div_fixup_f64 v[190:191], v[190:191], v[194:195], v[192:193]
	s_delay_alu instid0(VALU_DEP_1) | instskip(NEXT) | instid1(VALU_DEP_1)
	v_fma_f64 v[192:193], v[192:193], v[190:191], v[194:195]
	v_div_scale_f64 v[194:195], null, v[192:193], v[192:193], 1.0
	s_delay_alu instid0(VALU_DEP_1) | instskip(SKIP_2) | instid1(VALU_DEP_1)
	v_rcp_f64_e32 v[196:197], v[194:195]
	s_waitcnt_depctr 0xfff
	v_fma_f64 v[198:199], -v[194:195], v[196:197], 1.0
	v_fma_f64 v[196:197], v[196:197], v[198:199], v[196:197]
	s_delay_alu instid0(VALU_DEP_1) | instskip(NEXT) | instid1(VALU_DEP_1)
	v_fma_f64 v[198:199], -v[194:195], v[196:197], 1.0
	v_fma_f64 v[196:197], v[196:197], v[198:199], v[196:197]
	v_div_scale_f64 v[198:199], vcc_lo, 1.0, v[192:193], 1.0
	s_delay_alu instid0(VALU_DEP_1) | instskip(NEXT) | instid1(VALU_DEP_1)
	v_mul_f64 v[200:201], v[198:199], v[196:197]
	v_fma_f64 v[194:195], -v[194:195], v[200:201], v[198:199]
	s_delay_alu instid0(VALU_DEP_1) | instskip(NEXT) | instid1(VALU_DEP_1)
	v_div_fmas_f64 v[194:195], v[194:195], v[196:197], v[200:201]
	v_div_fixup_f64 v[198:199], v[194:195], v[192:193], 1.0
                                        ; implicit-def: $vgpr192_vgpr193
	s_delay_alu instid0(VALU_DEP_1)
	v_mul_f64 v[200:201], v[190:191], v[198:199]
	v_xor_b32_e32 v199, 0x80000000, v199
.LBB95_113:
	s_and_not1_saveexec_b32 s3, s3
	s_cbranch_execz .LBB95_115
; %bb.114:
	v_div_scale_f64 v[190:191], null, v[192:193], v[192:193], v[194:195]
	v_div_scale_f64 v[200:201], vcc_lo, v[194:195], v[192:193], v[194:195]
	s_delay_alu instid0(VALU_DEP_2) | instskip(SKIP_2) | instid1(VALU_DEP_1)
	v_rcp_f64_e32 v[196:197], v[190:191]
	s_waitcnt_depctr 0xfff
	v_fma_f64 v[198:199], -v[190:191], v[196:197], 1.0
	v_fma_f64 v[196:197], v[196:197], v[198:199], v[196:197]
	s_delay_alu instid0(VALU_DEP_1) | instskip(NEXT) | instid1(VALU_DEP_1)
	v_fma_f64 v[198:199], -v[190:191], v[196:197], 1.0
	v_fma_f64 v[196:197], v[196:197], v[198:199], v[196:197]
	s_delay_alu instid0(VALU_DEP_1) | instskip(NEXT) | instid1(VALU_DEP_1)
	v_mul_f64 v[198:199], v[200:201], v[196:197]
	v_fma_f64 v[190:191], -v[190:191], v[198:199], v[200:201]
	s_delay_alu instid0(VALU_DEP_1) | instskip(NEXT) | instid1(VALU_DEP_1)
	v_div_fmas_f64 v[190:191], v[190:191], v[196:197], v[198:199]
	v_div_fixup_f64 v[190:191], v[190:191], v[192:193], v[194:195]
	s_delay_alu instid0(VALU_DEP_1) | instskip(NEXT) | instid1(VALU_DEP_1)
	v_fma_f64 v[192:193], v[194:195], v[190:191], v[192:193]
	v_div_scale_f64 v[194:195], null, v[192:193], v[192:193], 1.0
	s_delay_alu instid0(VALU_DEP_1) | instskip(SKIP_2) | instid1(VALU_DEP_1)
	v_rcp_f64_e32 v[196:197], v[194:195]
	s_waitcnt_depctr 0xfff
	v_fma_f64 v[198:199], -v[194:195], v[196:197], 1.0
	v_fma_f64 v[196:197], v[196:197], v[198:199], v[196:197]
	s_delay_alu instid0(VALU_DEP_1) | instskip(NEXT) | instid1(VALU_DEP_1)
	v_fma_f64 v[198:199], -v[194:195], v[196:197], 1.0
	v_fma_f64 v[196:197], v[196:197], v[198:199], v[196:197]
	v_div_scale_f64 v[198:199], vcc_lo, 1.0, v[192:193], 1.0
	s_delay_alu instid0(VALU_DEP_1) | instskip(NEXT) | instid1(VALU_DEP_1)
	v_mul_f64 v[200:201], v[198:199], v[196:197]
	v_fma_f64 v[194:195], -v[194:195], v[200:201], v[198:199]
	s_delay_alu instid0(VALU_DEP_1) | instskip(NEXT) | instid1(VALU_DEP_1)
	v_div_fmas_f64 v[194:195], v[194:195], v[196:197], v[200:201]
	v_div_fixup_f64 v[200:201], v[194:195], v[192:193], 1.0
	s_delay_alu instid0(VALU_DEP_1)
	v_mul_f64 v[198:199], v[190:191], -v[200:201]
.LBB95_115:
	s_or_b32 exec_lo, exec_lo, s3
	ds_store_2addr_b64 v188, v[200:201], v[198:199] offset1:1
.LBB95_116:
	s_or_b32 exec_lo, exec_lo, s4
	s_waitcnt lgkmcnt(0)
	s_barrier
	buffer_gl0_inv
	ds_load_2addr_b64 v[190:193], v188 offset1:1
	s_mov_b32 s3, exec_lo
	s_waitcnt lgkmcnt(0)
	scratch_store_b128 off, v[190:193], off offset:592 ; 16-byte Folded Spill
	v_cmpx_lt_u32_e32 12, v252
	s_cbranch_execz .LBB95_118
; %bb.117:
	scratch_load_b128 v[194:197], off, off offset:592 ; 16-byte Folded Reload
	s_waitcnt vmcnt(0)
	v_mul_f64 v[190:191], v[196:197], v[142:143]
	v_mul_f64 v[142:143], v[194:195], v[142:143]
	s_delay_alu instid0(VALU_DEP_2) | instskip(NEXT) | instid1(VALU_DEP_2)
	v_fma_f64 v[192:193], v[194:195], v[140:141], -v[190:191]
	v_fma_f64 v[142:143], v[196:197], v[140:141], v[142:143]
	ds_load_2addr_b64 v[194:197], v189 offset0:26 offset1:27
	s_waitcnt lgkmcnt(0)
	v_mul_f64 v[140:141], v[196:197], v[142:143]
	v_mul_f64 v[190:191], v[194:195], v[142:143]
	s_delay_alu instid0(VALU_DEP_2) | instskip(NEXT) | instid1(VALU_DEP_2)
	v_fma_f64 v[140:141], v[194:195], v[192:193], -v[140:141]
	v_fma_f64 v[190:191], v[196:197], v[192:193], v[190:191]
	ds_load_2addr_b64 v[194:197], v189 offset0:28 offset1:29
	v_add_f64 v[136:137], v[136:137], -v[140:141]
	v_add_f64 v[138:139], v[138:139], -v[190:191]
	s_waitcnt lgkmcnt(0)
	v_mul_f64 v[140:141], v[196:197], v[142:143]
	v_mul_f64 v[190:191], v[194:195], v[142:143]
	s_delay_alu instid0(VALU_DEP_2) | instskip(NEXT) | instid1(VALU_DEP_2)
	v_fma_f64 v[140:141], v[194:195], v[192:193], -v[140:141]
	v_fma_f64 v[190:191], v[196:197], v[192:193], v[190:191]
	ds_load_2addr_b64 v[194:197], v189 offset0:30 offset1:31
	v_add_f64 v[132:133], v[132:133], -v[140:141]
	v_add_f64 v[134:135], v[134:135], -v[190:191]
	;; [unrolled: 9-line block ×34, first 2 shown]
	s_waitcnt lgkmcnt(0)
	v_mul_f64 v[140:141], v[196:197], v[142:143]
	v_mul_f64 v[190:191], v[194:195], v[142:143]
	s_delay_alu instid0(VALU_DEP_2) | instskip(NEXT) | instid1(VALU_DEP_2)
	v_fma_f64 v[140:141], v[194:195], v[192:193], -v[140:141]
	v_fma_f64 v[190:191], v[196:197], v[192:193], v[190:191]
	s_delay_alu instid0(VALU_DEP_2) | instskip(NEXT) | instid1(VALU_DEP_2)
	v_add_f64 v[0:1], v[0:1], -v[140:141]
	v_add_f64 v[2:3], v[2:3], -v[190:191]
	v_dual_mov_b32 v140, v192 :: v_dual_mov_b32 v141, v193
.LBB95_118:
	s_or_b32 exec_lo, exec_lo, s3
	s_delay_alu instid0(SALU_CYCLE_1)
	s_mov_b32 s4, exec_lo
	s_waitcnt_vscnt null, 0x0
	s_barrier
	buffer_gl0_inv
	v_cmpx_eq_u32_e32 13, v252
	s_cbranch_execz .LBB95_125
; %bb.119:
	ds_store_2addr_b64 v188, v[136:137], v[138:139] offset1:1
	ds_store_2addr_b64 v189, v[132:133], v[134:135] offset0:28 offset1:29
	ds_store_2addr_b64 v189, v[128:129], v[130:131] offset0:30 offset1:31
	;; [unrolled: 1-line block ×34, first 2 shown]
	ds_load_2addr_b64 v[192:195], v188 offset1:1
	s_waitcnt lgkmcnt(0)
	v_cmp_neq_f64_e32 vcc_lo, 0, v[192:193]
	v_cmp_neq_f64_e64 s3, 0, v[194:195]
	s_delay_alu instid0(VALU_DEP_1) | instskip(NEXT) | instid1(SALU_CYCLE_1)
	s_or_b32 s3, vcc_lo, s3
	s_and_b32 exec_lo, exec_lo, s3
	s_cbranch_execz .LBB95_125
; %bb.120:
	v_cmp_gt_f64_e32 vcc_lo, 0, v[192:193]
	v_xor_b32_e32 v190, 0x80000000, v193
	v_xor_b32_e32 v196, 0x80000000, v195
	s_mov_b32 s3, exec_lo
                                        ; implicit-def: $vgpr200_vgpr201
	s_delay_alu instid0(VALU_DEP_2) | instskip(SKIP_1) | instid1(VALU_DEP_3)
	v_dual_cndmask_b32 v191, v193, v190 :: v_dual_cndmask_b32 v190, v192, v192
	v_cmp_gt_f64_e32 vcc_lo, 0, v[194:195]
	v_dual_cndmask_b32 v197, v195, v196 :: v_dual_cndmask_b32 v196, v194, v194
	s_delay_alu instid0(VALU_DEP_1)
	v_cmpx_ngt_f64_e32 v[190:191], v[196:197]
	s_xor_b32 s3, exec_lo, s3
                                        ; implicit-def: $vgpr196_vgpr197_vgpr198_vgpr199
	s_cbranch_execz .LBB95_122
; %bb.121:
	v_div_scale_f64 v[190:191], null, v[194:195], v[194:195], v[192:193]
	v_div_scale_f64 v[200:201], vcc_lo, v[192:193], v[194:195], v[192:193]
	s_delay_alu instid0(VALU_DEP_2) | instskip(SKIP_2) | instid1(VALU_DEP_1)
	v_rcp_f64_e32 v[196:197], v[190:191]
	s_waitcnt_depctr 0xfff
	v_fma_f64 v[198:199], -v[190:191], v[196:197], 1.0
	v_fma_f64 v[196:197], v[196:197], v[198:199], v[196:197]
	s_delay_alu instid0(VALU_DEP_1) | instskip(NEXT) | instid1(VALU_DEP_1)
	v_fma_f64 v[198:199], -v[190:191], v[196:197], 1.0
	v_fma_f64 v[196:197], v[196:197], v[198:199], v[196:197]
	s_delay_alu instid0(VALU_DEP_1) | instskip(NEXT) | instid1(VALU_DEP_1)
	v_mul_f64 v[198:199], v[200:201], v[196:197]
	v_fma_f64 v[190:191], -v[190:191], v[198:199], v[200:201]
	s_delay_alu instid0(VALU_DEP_1) | instskip(NEXT) | instid1(VALU_DEP_1)
	v_div_fmas_f64 v[190:191], v[190:191], v[196:197], v[198:199]
	v_div_fixup_f64 v[190:191], v[190:191], v[194:195], v[192:193]
	s_delay_alu instid0(VALU_DEP_1) | instskip(NEXT) | instid1(VALU_DEP_1)
	v_fma_f64 v[192:193], v[192:193], v[190:191], v[194:195]
	v_div_scale_f64 v[194:195], null, v[192:193], v[192:193], 1.0
	s_delay_alu instid0(VALU_DEP_1) | instskip(SKIP_2) | instid1(VALU_DEP_1)
	v_rcp_f64_e32 v[196:197], v[194:195]
	s_waitcnt_depctr 0xfff
	v_fma_f64 v[198:199], -v[194:195], v[196:197], 1.0
	v_fma_f64 v[196:197], v[196:197], v[198:199], v[196:197]
	s_delay_alu instid0(VALU_DEP_1) | instskip(NEXT) | instid1(VALU_DEP_1)
	v_fma_f64 v[198:199], -v[194:195], v[196:197], 1.0
	v_fma_f64 v[196:197], v[196:197], v[198:199], v[196:197]
	v_div_scale_f64 v[198:199], vcc_lo, 1.0, v[192:193], 1.0
	s_delay_alu instid0(VALU_DEP_1) | instskip(NEXT) | instid1(VALU_DEP_1)
	v_mul_f64 v[200:201], v[198:199], v[196:197]
	v_fma_f64 v[194:195], -v[194:195], v[200:201], v[198:199]
	s_delay_alu instid0(VALU_DEP_1) | instskip(NEXT) | instid1(VALU_DEP_1)
	v_div_fmas_f64 v[194:195], v[194:195], v[196:197], v[200:201]
	v_div_fixup_f64 v[198:199], v[194:195], v[192:193], 1.0
                                        ; implicit-def: $vgpr192_vgpr193
	s_delay_alu instid0(VALU_DEP_1)
	v_mul_f64 v[200:201], v[190:191], v[198:199]
	v_xor_b32_e32 v199, 0x80000000, v199
.LBB95_122:
	s_and_not1_saveexec_b32 s3, s3
	s_cbranch_execz .LBB95_124
; %bb.123:
	v_div_scale_f64 v[190:191], null, v[192:193], v[192:193], v[194:195]
	v_div_scale_f64 v[200:201], vcc_lo, v[194:195], v[192:193], v[194:195]
	s_delay_alu instid0(VALU_DEP_2) | instskip(SKIP_2) | instid1(VALU_DEP_1)
	v_rcp_f64_e32 v[196:197], v[190:191]
	s_waitcnt_depctr 0xfff
	v_fma_f64 v[198:199], -v[190:191], v[196:197], 1.0
	v_fma_f64 v[196:197], v[196:197], v[198:199], v[196:197]
	s_delay_alu instid0(VALU_DEP_1) | instskip(NEXT) | instid1(VALU_DEP_1)
	v_fma_f64 v[198:199], -v[190:191], v[196:197], 1.0
	v_fma_f64 v[196:197], v[196:197], v[198:199], v[196:197]
	s_delay_alu instid0(VALU_DEP_1) | instskip(NEXT) | instid1(VALU_DEP_1)
	v_mul_f64 v[198:199], v[200:201], v[196:197]
	v_fma_f64 v[190:191], -v[190:191], v[198:199], v[200:201]
	s_delay_alu instid0(VALU_DEP_1) | instskip(NEXT) | instid1(VALU_DEP_1)
	v_div_fmas_f64 v[190:191], v[190:191], v[196:197], v[198:199]
	v_div_fixup_f64 v[190:191], v[190:191], v[192:193], v[194:195]
	s_delay_alu instid0(VALU_DEP_1) | instskip(NEXT) | instid1(VALU_DEP_1)
	v_fma_f64 v[192:193], v[194:195], v[190:191], v[192:193]
	v_div_scale_f64 v[194:195], null, v[192:193], v[192:193], 1.0
	s_delay_alu instid0(VALU_DEP_1) | instskip(SKIP_2) | instid1(VALU_DEP_1)
	v_rcp_f64_e32 v[196:197], v[194:195]
	s_waitcnt_depctr 0xfff
	v_fma_f64 v[198:199], -v[194:195], v[196:197], 1.0
	v_fma_f64 v[196:197], v[196:197], v[198:199], v[196:197]
	s_delay_alu instid0(VALU_DEP_1) | instskip(NEXT) | instid1(VALU_DEP_1)
	v_fma_f64 v[198:199], -v[194:195], v[196:197], 1.0
	v_fma_f64 v[196:197], v[196:197], v[198:199], v[196:197]
	v_div_scale_f64 v[198:199], vcc_lo, 1.0, v[192:193], 1.0
	s_delay_alu instid0(VALU_DEP_1) | instskip(NEXT) | instid1(VALU_DEP_1)
	v_mul_f64 v[200:201], v[198:199], v[196:197]
	v_fma_f64 v[194:195], -v[194:195], v[200:201], v[198:199]
	s_delay_alu instid0(VALU_DEP_1) | instskip(NEXT) | instid1(VALU_DEP_1)
	v_div_fmas_f64 v[194:195], v[194:195], v[196:197], v[200:201]
	v_div_fixup_f64 v[200:201], v[194:195], v[192:193], 1.0
	s_delay_alu instid0(VALU_DEP_1)
	v_mul_f64 v[198:199], v[190:191], -v[200:201]
.LBB95_124:
	s_or_b32 exec_lo, exec_lo, s3
	ds_store_2addr_b64 v188, v[200:201], v[198:199] offset1:1
.LBB95_125:
	s_or_b32 exec_lo, exec_lo, s4
	s_waitcnt lgkmcnt(0)
	s_barrier
	buffer_gl0_inv
	ds_load_2addr_b64 v[190:193], v188 offset1:1
	s_mov_b32 s3, exec_lo
	s_waitcnt lgkmcnt(0)
	scratch_store_b128 off, v[190:193], off offset:608 ; 16-byte Folded Spill
	v_cmpx_lt_u32_e32 13, v252
	s_cbranch_execz .LBB95_127
; %bb.126:
	scratch_load_b128 v[194:197], off, off offset:608 ; 16-byte Folded Reload
	s_waitcnt vmcnt(0)
	v_mul_f64 v[190:191], v[196:197], v[138:139]
	v_mul_f64 v[138:139], v[194:195], v[138:139]
	s_delay_alu instid0(VALU_DEP_2) | instskip(NEXT) | instid1(VALU_DEP_2)
	v_fma_f64 v[192:193], v[194:195], v[136:137], -v[190:191]
	v_fma_f64 v[138:139], v[196:197], v[136:137], v[138:139]
	ds_load_2addr_b64 v[194:197], v189 offset0:28 offset1:29
	s_waitcnt lgkmcnt(0)
	v_mul_f64 v[136:137], v[196:197], v[138:139]
	v_mul_f64 v[190:191], v[194:195], v[138:139]
	s_delay_alu instid0(VALU_DEP_2) | instskip(NEXT) | instid1(VALU_DEP_2)
	v_fma_f64 v[136:137], v[194:195], v[192:193], -v[136:137]
	v_fma_f64 v[190:191], v[196:197], v[192:193], v[190:191]
	ds_load_2addr_b64 v[194:197], v189 offset0:30 offset1:31
	v_add_f64 v[132:133], v[132:133], -v[136:137]
	v_add_f64 v[134:135], v[134:135], -v[190:191]
	s_waitcnt lgkmcnt(0)
	v_mul_f64 v[136:137], v[196:197], v[138:139]
	v_mul_f64 v[190:191], v[194:195], v[138:139]
	s_delay_alu instid0(VALU_DEP_2) | instskip(NEXT) | instid1(VALU_DEP_2)
	v_fma_f64 v[136:137], v[194:195], v[192:193], -v[136:137]
	v_fma_f64 v[190:191], v[196:197], v[192:193], v[190:191]
	ds_load_2addr_b64 v[194:197], v189 offset0:32 offset1:33
	v_add_f64 v[128:129], v[128:129], -v[136:137]
	v_add_f64 v[130:131], v[130:131], -v[190:191]
	;; [unrolled: 9-line block ×33, first 2 shown]
	s_waitcnt lgkmcnt(0)
	v_mul_f64 v[136:137], v[196:197], v[138:139]
	v_mul_f64 v[190:191], v[194:195], v[138:139]
	s_delay_alu instid0(VALU_DEP_2) | instskip(NEXT) | instid1(VALU_DEP_2)
	v_fma_f64 v[136:137], v[194:195], v[192:193], -v[136:137]
	v_fma_f64 v[190:191], v[196:197], v[192:193], v[190:191]
	s_delay_alu instid0(VALU_DEP_2) | instskip(NEXT) | instid1(VALU_DEP_2)
	v_add_f64 v[0:1], v[0:1], -v[136:137]
	v_add_f64 v[2:3], v[2:3], -v[190:191]
	v_dual_mov_b32 v136, v192 :: v_dual_mov_b32 v137, v193
.LBB95_127:
	s_or_b32 exec_lo, exec_lo, s3
	s_delay_alu instid0(SALU_CYCLE_1)
	s_mov_b32 s4, exec_lo
	s_waitcnt_vscnt null, 0x0
	s_barrier
	buffer_gl0_inv
	v_cmpx_eq_u32_e32 14, v252
	s_cbranch_execz .LBB95_134
; %bb.128:
	ds_store_2addr_b64 v188, v[132:133], v[134:135] offset1:1
	ds_store_2addr_b64 v189, v[128:129], v[130:131] offset0:30 offset1:31
	ds_store_2addr_b64 v189, v[124:125], v[126:127] offset0:32 offset1:33
	;; [unrolled: 1-line block ×33, first 2 shown]
	ds_load_2addr_b64 v[192:195], v188 offset1:1
	s_waitcnt lgkmcnt(0)
	v_cmp_neq_f64_e32 vcc_lo, 0, v[192:193]
	v_cmp_neq_f64_e64 s3, 0, v[194:195]
	s_delay_alu instid0(VALU_DEP_1) | instskip(NEXT) | instid1(SALU_CYCLE_1)
	s_or_b32 s3, vcc_lo, s3
	s_and_b32 exec_lo, exec_lo, s3
	s_cbranch_execz .LBB95_134
; %bb.129:
	v_cmp_gt_f64_e32 vcc_lo, 0, v[192:193]
	v_xor_b32_e32 v190, 0x80000000, v193
	v_xor_b32_e32 v196, 0x80000000, v195
	s_mov_b32 s3, exec_lo
                                        ; implicit-def: $vgpr200_vgpr201
	s_delay_alu instid0(VALU_DEP_2) | instskip(SKIP_1) | instid1(VALU_DEP_3)
	v_dual_cndmask_b32 v191, v193, v190 :: v_dual_cndmask_b32 v190, v192, v192
	v_cmp_gt_f64_e32 vcc_lo, 0, v[194:195]
	v_dual_cndmask_b32 v197, v195, v196 :: v_dual_cndmask_b32 v196, v194, v194
	s_delay_alu instid0(VALU_DEP_1)
	v_cmpx_ngt_f64_e32 v[190:191], v[196:197]
	s_xor_b32 s3, exec_lo, s3
                                        ; implicit-def: $vgpr196_vgpr197_vgpr198_vgpr199
	s_cbranch_execz .LBB95_131
; %bb.130:
	v_div_scale_f64 v[190:191], null, v[194:195], v[194:195], v[192:193]
	v_div_scale_f64 v[200:201], vcc_lo, v[192:193], v[194:195], v[192:193]
	s_delay_alu instid0(VALU_DEP_2) | instskip(SKIP_2) | instid1(VALU_DEP_1)
	v_rcp_f64_e32 v[196:197], v[190:191]
	s_waitcnt_depctr 0xfff
	v_fma_f64 v[198:199], -v[190:191], v[196:197], 1.0
	v_fma_f64 v[196:197], v[196:197], v[198:199], v[196:197]
	s_delay_alu instid0(VALU_DEP_1) | instskip(NEXT) | instid1(VALU_DEP_1)
	v_fma_f64 v[198:199], -v[190:191], v[196:197], 1.0
	v_fma_f64 v[196:197], v[196:197], v[198:199], v[196:197]
	s_delay_alu instid0(VALU_DEP_1) | instskip(NEXT) | instid1(VALU_DEP_1)
	v_mul_f64 v[198:199], v[200:201], v[196:197]
	v_fma_f64 v[190:191], -v[190:191], v[198:199], v[200:201]
	s_delay_alu instid0(VALU_DEP_1) | instskip(NEXT) | instid1(VALU_DEP_1)
	v_div_fmas_f64 v[190:191], v[190:191], v[196:197], v[198:199]
	v_div_fixup_f64 v[190:191], v[190:191], v[194:195], v[192:193]
	s_delay_alu instid0(VALU_DEP_1) | instskip(NEXT) | instid1(VALU_DEP_1)
	v_fma_f64 v[192:193], v[192:193], v[190:191], v[194:195]
	v_div_scale_f64 v[194:195], null, v[192:193], v[192:193], 1.0
	s_delay_alu instid0(VALU_DEP_1) | instskip(SKIP_2) | instid1(VALU_DEP_1)
	v_rcp_f64_e32 v[196:197], v[194:195]
	s_waitcnt_depctr 0xfff
	v_fma_f64 v[198:199], -v[194:195], v[196:197], 1.0
	v_fma_f64 v[196:197], v[196:197], v[198:199], v[196:197]
	s_delay_alu instid0(VALU_DEP_1) | instskip(NEXT) | instid1(VALU_DEP_1)
	v_fma_f64 v[198:199], -v[194:195], v[196:197], 1.0
	v_fma_f64 v[196:197], v[196:197], v[198:199], v[196:197]
	v_div_scale_f64 v[198:199], vcc_lo, 1.0, v[192:193], 1.0
	s_delay_alu instid0(VALU_DEP_1) | instskip(NEXT) | instid1(VALU_DEP_1)
	v_mul_f64 v[200:201], v[198:199], v[196:197]
	v_fma_f64 v[194:195], -v[194:195], v[200:201], v[198:199]
	s_delay_alu instid0(VALU_DEP_1) | instskip(NEXT) | instid1(VALU_DEP_1)
	v_div_fmas_f64 v[194:195], v[194:195], v[196:197], v[200:201]
	v_div_fixup_f64 v[198:199], v[194:195], v[192:193], 1.0
                                        ; implicit-def: $vgpr192_vgpr193
	s_delay_alu instid0(VALU_DEP_1)
	v_mul_f64 v[200:201], v[190:191], v[198:199]
	v_xor_b32_e32 v199, 0x80000000, v199
.LBB95_131:
	s_and_not1_saveexec_b32 s3, s3
	s_cbranch_execz .LBB95_133
; %bb.132:
	v_div_scale_f64 v[190:191], null, v[192:193], v[192:193], v[194:195]
	v_div_scale_f64 v[200:201], vcc_lo, v[194:195], v[192:193], v[194:195]
	s_delay_alu instid0(VALU_DEP_2) | instskip(SKIP_2) | instid1(VALU_DEP_1)
	v_rcp_f64_e32 v[196:197], v[190:191]
	s_waitcnt_depctr 0xfff
	v_fma_f64 v[198:199], -v[190:191], v[196:197], 1.0
	v_fma_f64 v[196:197], v[196:197], v[198:199], v[196:197]
	s_delay_alu instid0(VALU_DEP_1) | instskip(NEXT) | instid1(VALU_DEP_1)
	v_fma_f64 v[198:199], -v[190:191], v[196:197], 1.0
	v_fma_f64 v[196:197], v[196:197], v[198:199], v[196:197]
	s_delay_alu instid0(VALU_DEP_1) | instskip(NEXT) | instid1(VALU_DEP_1)
	v_mul_f64 v[198:199], v[200:201], v[196:197]
	v_fma_f64 v[190:191], -v[190:191], v[198:199], v[200:201]
	s_delay_alu instid0(VALU_DEP_1) | instskip(NEXT) | instid1(VALU_DEP_1)
	v_div_fmas_f64 v[190:191], v[190:191], v[196:197], v[198:199]
	v_div_fixup_f64 v[190:191], v[190:191], v[192:193], v[194:195]
	s_delay_alu instid0(VALU_DEP_1) | instskip(NEXT) | instid1(VALU_DEP_1)
	v_fma_f64 v[192:193], v[194:195], v[190:191], v[192:193]
	v_div_scale_f64 v[194:195], null, v[192:193], v[192:193], 1.0
	s_delay_alu instid0(VALU_DEP_1) | instskip(SKIP_2) | instid1(VALU_DEP_1)
	v_rcp_f64_e32 v[196:197], v[194:195]
	s_waitcnt_depctr 0xfff
	v_fma_f64 v[198:199], -v[194:195], v[196:197], 1.0
	v_fma_f64 v[196:197], v[196:197], v[198:199], v[196:197]
	s_delay_alu instid0(VALU_DEP_1) | instskip(NEXT) | instid1(VALU_DEP_1)
	v_fma_f64 v[198:199], -v[194:195], v[196:197], 1.0
	v_fma_f64 v[196:197], v[196:197], v[198:199], v[196:197]
	v_div_scale_f64 v[198:199], vcc_lo, 1.0, v[192:193], 1.0
	s_delay_alu instid0(VALU_DEP_1) | instskip(NEXT) | instid1(VALU_DEP_1)
	v_mul_f64 v[200:201], v[198:199], v[196:197]
	v_fma_f64 v[194:195], -v[194:195], v[200:201], v[198:199]
	s_delay_alu instid0(VALU_DEP_1) | instskip(NEXT) | instid1(VALU_DEP_1)
	v_div_fmas_f64 v[194:195], v[194:195], v[196:197], v[200:201]
	v_div_fixup_f64 v[200:201], v[194:195], v[192:193], 1.0
	s_delay_alu instid0(VALU_DEP_1)
	v_mul_f64 v[198:199], v[190:191], -v[200:201]
.LBB95_133:
	s_or_b32 exec_lo, exec_lo, s3
	ds_store_2addr_b64 v188, v[200:201], v[198:199] offset1:1
.LBB95_134:
	s_or_b32 exec_lo, exec_lo, s4
	s_waitcnt lgkmcnt(0)
	s_barrier
	buffer_gl0_inv
	ds_load_2addr_b64 v[190:193], v188 offset1:1
	s_mov_b32 s3, exec_lo
	s_waitcnt lgkmcnt(0)
	scratch_store_b128 off, v[190:193], off offset:624 ; 16-byte Folded Spill
	v_cmpx_lt_u32_e32 14, v252
	s_cbranch_execz .LBB95_136
; %bb.135:
	scratch_load_b128 v[194:197], off, off offset:624 ; 16-byte Folded Reload
	s_waitcnt vmcnt(0)
	v_mul_f64 v[190:191], v[196:197], v[134:135]
	v_mul_f64 v[134:135], v[194:195], v[134:135]
	s_delay_alu instid0(VALU_DEP_2) | instskip(NEXT) | instid1(VALU_DEP_2)
	v_fma_f64 v[192:193], v[194:195], v[132:133], -v[190:191]
	v_fma_f64 v[134:135], v[196:197], v[132:133], v[134:135]
	ds_load_2addr_b64 v[194:197], v189 offset0:30 offset1:31
	s_waitcnt lgkmcnt(0)
	v_mul_f64 v[132:133], v[196:197], v[134:135]
	v_mul_f64 v[190:191], v[194:195], v[134:135]
	s_delay_alu instid0(VALU_DEP_2) | instskip(NEXT) | instid1(VALU_DEP_2)
	v_fma_f64 v[132:133], v[194:195], v[192:193], -v[132:133]
	v_fma_f64 v[190:191], v[196:197], v[192:193], v[190:191]
	ds_load_2addr_b64 v[194:197], v189 offset0:32 offset1:33
	v_add_f64 v[128:129], v[128:129], -v[132:133]
	v_add_f64 v[130:131], v[130:131], -v[190:191]
	s_waitcnt lgkmcnt(0)
	v_mul_f64 v[132:133], v[196:197], v[134:135]
	v_mul_f64 v[190:191], v[194:195], v[134:135]
	s_delay_alu instid0(VALU_DEP_2) | instskip(NEXT) | instid1(VALU_DEP_2)
	v_fma_f64 v[132:133], v[194:195], v[192:193], -v[132:133]
	v_fma_f64 v[190:191], v[196:197], v[192:193], v[190:191]
	ds_load_2addr_b64 v[194:197], v189 offset0:34 offset1:35
	v_add_f64 v[124:125], v[124:125], -v[132:133]
	v_add_f64 v[126:127], v[126:127], -v[190:191]
	;; [unrolled: 9-line block ×32, first 2 shown]
	s_waitcnt lgkmcnt(0)
	v_mul_f64 v[132:133], v[196:197], v[134:135]
	v_mul_f64 v[190:191], v[194:195], v[134:135]
	s_delay_alu instid0(VALU_DEP_2) | instskip(NEXT) | instid1(VALU_DEP_2)
	v_fma_f64 v[132:133], v[194:195], v[192:193], -v[132:133]
	v_fma_f64 v[190:191], v[196:197], v[192:193], v[190:191]
	s_delay_alu instid0(VALU_DEP_2) | instskip(NEXT) | instid1(VALU_DEP_2)
	v_add_f64 v[0:1], v[0:1], -v[132:133]
	v_add_f64 v[2:3], v[2:3], -v[190:191]
	v_dual_mov_b32 v132, v192 :: v_dual_mov_b32 v133, v193
.LBB95_136:
	s_or_b32 exec_lo, exec_lo, s3
	s_delay_alu instid0(SALU_CYCLE_1)
	s_mov_b32 s4, exec_lo
	s_waitcnt_vscnt null, 0x0
	s_barrier
	buffer_gl0_inv
	v_cmpx_eq_u32_e32 15, v252
	s_cbranch_execz .LBB95_143
; %bb.137:
	ds_store_2addr_b64 v188, v[128:129], v[130:131] offset1:1
	ds_store_2addr_b64 v189, v[124:125], v[126:127] offset0:32 offset1:33
	ds_store_2addr_b64 v189, v[120:121], v[122:123] offset0:34 offset1:35
	ds_store_2addr_b64 v189, v[116:117], v[118:119] offset0:36 offset1:37
	ds_store_2addr_b64 v189, v[112:113], v[114:115] offset0:38 offset1:39
	ds_store_2addr_b64 v189, v[108:109], v[110:111] offset0:40 offset1:41
	ds_store_2addr_b64 v189, v[104:105], v[106:107] offset0:42 offset1:43
	ds_store_2addr_b64 v189, v[100:101], v[102:103] offset0:44 offset1:45
	ds_store_2addr_b64 v189, v[96:97], v[98:99] offset0:46 offset1:47
	ds_store_2addr_b64 v189, v[92:93], v[94:95] offset0:48 offset1:49
	ds_store_2addr_b64 v189, v[88:89], v[90:91] offset0:50 offset1:51
	ds_store_2addr_b64 v189, v[84:85], v[86:87] offset0:52 offset1:53
	ds_store_2addr_b64 v189, v[80:81], v[82:83] offset0:54 offset1:55
	ds_store_2addr_b64 v189, v[76:77], v[78:79] offset0:56 offset1:57
	ds_store_2addr_b64 v189, v[72:73], v[74:75] offset0:58 offset1:59
	ds_store_2addr_b64 v189, v[68:69], v[70:71] offset0:60 offset1:61
	ds_store_2addr_b64 v189, v[64:65], v[66:67] offset0:62 offset1:63
	ds_store_2addr_b64 v189, v[60:61], v[62:63] offset0:64 offset1:65
	ds_store_2addr_b64 v189, v[56:57], v[58:59] offset0:66 offset1:67
	ds_store_2addr_b64 v189, v[52:53], v[54:55] offset0:68 offset1:69
	ds_store_2addr_b64 v189, v[48:49], v[50:51] offset0:70 offset1:71
	ds_store_2addr_b64 v189, v[44:45], v[46:47] offset0:72 offset1:73
	ds_store_2addr_b64 v189, v[40:41], v[42:43] offset0:74 offset1:75
	ds_store_2addr_b64 v189, v[36:37], v[38:39] offset0:76 offset1:77
	ds_store_2addr_b64 v189, v[32:33], v[34:35] offset0:78 offset1:79
	ds_store_2addr_b64 v189, v[28:29], v[30:31] offset0:80 offset1:81
	ds_store_2addr_b64 v189, v[24:25], v[26:27] offset0:82 offset1:83
	ds_store_2addr_b64 v189, v[20:21], v[22:23] offset0:84 offset1:85
	ds_store_2addr_b64 v189, v[16:17], v[18:19] offset0:86 offset1:87
	ds_store_2addr_b64 v189, v[12:13], v[14:15] offset0:88 offset1:89
	ds_store_2addr_b64 v189, v[8:9], v[10:11] offset0:90 offset1:91
	ds_store_2addr_b64 v189, v[4:5], v[6:7] offset0:92 offset1:93
	ds_store_2addr_b64 v189, v[0:1], v[2:3] offset0:94 offset1:95
	ds_load_2addr_b64 v[192:195], v188 offset1:1
	s_waitcnt lgkmcnt(0)
	v_cmp_neq_f64_e32 vcc_lo, 0, v[192:193]
	v_cmp_neq_f64_e64 s3, 0, v[194:195]
	s_delay_alu instid0(VALU_DEP_1) | instskip(NEXT) | instid1(SALU_CYCLE_1)
	s_or_b32 s3, vcc_lo, s3
	s_and_b32 exec_lo, exec_lo, s3
	s_cbranch_execz .LBB95_143
; %bb.138:
	v_cmp_gt_f64_e32 vcc_lo, 0, v[192:193]
	v_xor_b32_e32 v190, 0x80000000, v193
	v_xor_b32_e32 v196, 0x80000000, v195
	s_mov_b32 s3, exec_lo
                                        ; implicit-def: $vgpr200_vgpr201
	s_delay_alu instid0(VALU_DEP_2) | instskip(SKIP_1) | instid1(VALU_DEP_3)
	v_dual_cndmask_b32 v191, v193, v190 :: v_dual_cndmask_b32 v190, v192, v192
	v_cmp_gt_f64_e32 vcc_lo, 0, v[194:195]
	v_dual_cndmask_b32 v197, v195, v196 :: v_dual_cndmask_b32 v196, v194, v194
	s_delay_alu instid0(VALU_DEP_1)
	v_cmpx_ngt_f64_e32 v[190:191], v[196:197]
	s_xor_b32 s3, exec_lo, s3
                                        ; implicit-def: $vgpr196_vgpr197_vgpr198_vgpr199
	s_cbranch_execz .LBB95_140
; %bb.139:
	v_div_scale_f64 v[190:191], null, v[194:195], v[194:195], v[192:193]
	v_div_scale_f64 v[200:201], vcc_lo, v[192:193], v[194:195], v[192:193]
	s_delay_alu instid0(VALU_DEP_2) | instskip(SKIP_2) | instid1(VALU_DEP_1)
	v_rcp_f64_e32 v[196:197], v[190:191]
	s_waitcnt_depctr 0xfff
	v_fma_f64 v[198:199], -v[190:191], v[196:197], 1.0
	v_fma_f64 v[196:197], v[196:197], v[198:199], v[196:197]
	s_delay_alu instid0(VALU_DEP_1) | instskip(NEXT) | instid1(VALU_DEP_1)
	v_fma_f64 v[198:199], -v[190:191], v[196:197], 1.0
	v_fma_f64 v[196:197], v[196:197], v[198:199], v[196:197]
	s_delay_alu instid0(VALU_DEP_1) | instskip(NEXT) | instid1(VALU_DEP_1)
	v_mul_f64 v[198:199], v[200:201], v[196:197]
	v_fma_f64 v[190:191], -v[190:191], v[198:199], v[200:201]
	s_delay_alu instid0(VALU_DEP_1) | instskip(NEXT) | instid1(VALU_DEP_1)
	v_div_fmas_f64 v[190:191], v[190:191], v[196:197], v[198:199]
	v_div_fixup_f64 v[190:191], v[190:191], v[194:195], v[192:193]
	s_delay_alu instid0(VALU_DEP_1) | instskip(NEXT) | instid1(VALU_DEP_1)
	v_fma_f64 v[192:193], v[192:193], v[190:191], v[194:195]
	v_div_scale_f64 v[194:195], null, v[192:193], v[192:193], 1.0
	s_delay_alu instid0(VALU_DEP_1) | instskip(SKIP_2) | instid1(VALU_DEP_1)
	v_rcp_f64_e32 v[196:197], v[194:195]
	s_waitcnt_depctr 0xfff
	v_fma_f64 v[198:199], -v[194:195], v[196:197], 1.0
	v_fma_f64 v[196:197], v[196:197], v[198:199], v[196:197]
	s_delay_alu instid0(VALU_DEP_1) | instskip(NEXT) | instid1(VALU_DEP_1)
	v_fma_f64 v[198:199], -v[194:195], v[196:197], 1.0
	v_fma_f64 v[196:197], v[196:197], v[198:199], v[196:197]
	v_div_scale_f64 v[198:199], vcc_lo, 1.0, v[192:193], 1.0
	s_delay_alu instid0(VALU_DEP_1) | instskip(NEXT) | instid1(VALU_DEP_1)
	v_mul_f64 v[200:201], v[198:199], v[196:197]
	v_fma_f64 v[194:195], -v[194:195], v[200:201], v[198:199]
	s_delay_alu instid0(VALU_DEP_1) | instskip(NEXT) | instid1(VALU_DEP_1)
	v_div_fmas_f64 v[194:195], v[194:195], v[196:197], v[200:201]
	v_div_fixup_f64 v[198:199], v[194:195], v[192:193], 1.0
                                        ; implicit-def: $vgpr192_vgpr193
	s_delay_alu instid0(VALU_DEP_1)
	v_mul_f64 v[200:201], v[190:191], v[198:199]
	v_xor_b32_e32 v199, 0x80000000, v199
.LBB95_140:
	s_and_not1_saveexec_b32 s3, s3
	s_cbranch_execz .LBB95_142
; %bb.141:
	v_div_scale_f64 v[190:191], null, v[192:193], v[192:193], v[194:195]
	v_div_scale_f64 v[200:201], vcc_lo, v[194:195], v[192:193], v[194:195]
	s_delay_alu instid0(VALU_DEP_2) | instskip(SKIP_2) | instid1(VALU_DEP_1)
	v_rcp_f64_e32 v[196:197], v[190:191]
	s_waitcnt_depctr 0xfff
	v_fma_f64 v[198:199], -v[190:191], v[196:197], 1.0
	v_fma_f64 v[196:197], v[196:197], v[198:199], v[196:197]
	s_delay_alu instid0(VALU_DEP_1) | instskip(NEXT) | instid1(VALU_DEP_1)
	v_fma_f64 v[198:199], -v[190:191], v[196:197], 1.0
	v_fma_f64 v[196:197], v[196:197], v[198:199], v[196:197]
	s_delay_alu instid0(VALU_DEP_1) | instskip(NEXT) | instid1(VALU_DEP_1)
	v_mul_f64 v[198:199], v[200:201], v[196:197]
	v_fma_f64 v[190:191], -v[190:191], v[198:199], v[200:201]
	s_delay_alu instid0(VALU_DEP_1) | instskip(NEXT) | instid1(VALU_DEP_1)
	v_div_fmas_f64 v[190:191], v[190:191], v[196:197], v[198:199]
	v_div_fixup_f64 v[190:191], v[190:191], v[192:193], v[194:195]
	s_delay_alu instid0(VALU_DEP_1) | instskip(NEXT) | instid1(VALU_DEP_1)
	v_fma_f64 v[192:193], v[194:195], v[190:191], v[192:193]
	v_div_scale_f64 v[194:195], null, v[192:193], v[192:193], 1.0
	s_delay_alu instid0(VALU_DEP_1) | instskip(SKIP_2) | instid1(VALU_DEP_1)
	v_rcp_f64_e32 v[196:197], v[194:195]
	s_waitcnt_depctr 0xfff
	v_fma_f64 v[198:199], -v[194:195], v[196:197], 1.0
	v_fma_f64 v[196:197], v[196:197], v[198:199], v[196:197]
	s_delay_alu instid0(VALU_DEP_1) | instskip(NEXT) | instid1(VALU_DEP_1)
	v_fma_f64 v[198:199], -v[194:195], v[196:197], 1.0
	v_fma_f64 v[196:197], v[196:197], v[198:199], v[196:197]
	v_div_scale_f64 v[198:199], vcc_lo, 1.0, v[192:193], 1.0
	s_delay_alu instid0(VALU_DEP_1) | instskip(NEXT) | instid1(VALU_DEP_1)
	v_mul_f64 v[200:201], v[198:199], v[196:197]
	v_fma_f64 v[194:195], -v[194:195], v[200:201], v[198:199]
	s_delay_alu instid0(VALU_DEP_1) | instskip(NEXT) | instid1(VALU_DEP_1)
	v_div_fmas_f64 v[194:195], v[194:195], v[196:197], v[200:201]
	v_div_fixup_f64 v[200:201], v[194:195], v[192:193], 1.0
	s_delay_alu instid0(VALU_DEP_1)
	v_mul_f64 v[198:199], v[190:191], -v[200:201]
.LBB95_142:
	s_or_b32 exec_lo, exec_lo, s3
	ds_store_2addr_b64 v188, v[200:201], v[198:199] offset1:1
.LBB95_143:
	s_or_b32 exec_lo, exec_lo, s4
	s_waitcnt lgkmcnt(0)
	s_barrier
	buffer_gl0_inv
	ds_load_2addr_b64 v[190:193], v188 offset1:1
	s_mov_b32 s3, exec_lo
	s_waitcnt lgkmcnt(0)
	scratch_store_b128 off, v[190:193], off offset:640 ; 16-byte Folded Spill
	v_cmpx_lt_u32_e32 15, v252
	s_cbranch_execz .LBB95_145
; %bb.144:
	scratch_load_b128 v[194:197], off, off offset:640 ; 16-byte Folded Reload
	s_waitcnt vmcnt(0)
	v_mul_f64 v[190:191], v[196:197], v[130:131]
	v_mul_f64 v[130:131], v[194:195], v[130:131]
	s_delay_alu instid0(VALU_DEP_2) | instskip(NEXT) | instid1(VALU_DEP_2)
	v_fma_f64 v[192:193], v[194:195], v[128:129], -v[190:191]
	v_fma_f64 v[130:131], v[196:197], v[128:129], v[130:131]
	ds_load_2addr_b64 v[194:197], v189 offset0:32 offset1:33
	s_waitcnt lgkmcnt(0)
	v_mul_f64 v[128:129], v[196:197], v[130:131]
	v_mul_f64 v[190:191], v[194:195], v[130:131]
	s_delay_alu instid0(VALU_DEP_2) | instskip(NEXT) | instid1(VALU_DEP_2)
	v_fma_f64 v[128:129], v[194:195], v[192:193], -v[128:129]
	v_fma_f64 v[190:191], v[196:197], v[192:193], v[190:191]
	ds_load_2addr_b64 v[194:197], v189 offset0:34 offset1:35
	v_add_f64 v[124:125], v[124:125], -v[128:129]
	v_add_f64 v[126:127], v[126:127], -v[190:191]
	s_waitcnt lgkmcnt(0)
	v_mul_f64 v[128:129], v[196:197], v[130:131]
	v_mul_f64 v[190:191], v[194:195], v[130:131]
	s_delay_alu instid0(VALU_DEP_2) | instskip(NEXT) | instid1(VALU_DEP_2)
	v_fma_f64 v[128:129], v[194:195], v[192:193], -v[128:129]
	v_fma_f64 v[190:191], v[196:197], v[192:193], v[190:191]
	ds_load_2addr_b64 v[194:197], v189 offset0:36 offset1:37
	v_add_f64 v[120:121], v[120:121], -v[128:129]
	v_add_f64 v[122:123], v[122:123], -v[190:191]
	;; [unrolled: 9-line block ×31, first 2 shown]
	s_waitcnt lgkmcnt(0)
	v_mul_f64 v[128:129], v[196:197], v[130:131]
	v_mul_f64 v[190:191], v[194:195], v[130:131]
	s_delay_alu instid0(VALU_DEP_2) | instskip(NEXT) | instid1(VALU_DEP_2)
	v_fma_f64 v[128:129], v[194:195], v[192:193], -v[128:129]
	v_fma_f64 v[190:191], v[196:197], v[192:193], v[190:191]
	s_delay_alu instid0(VALU_DEP_2) | instskip(NEXT) | instid1(VALU_DEP_2)
	v_add_f64 v[0:1], v[0:1], -v[128:129]
	v_add_f64 v[2:3], v[2:3], -v[190:191]
	v_dual_mov_b32 v128, v192 :: v_dual_mov_b32 v129, v193
.LBB95_145:
	s_or_b32 exec_lo, exec_lo, s3
	s_delay_alu instid0(SALU_CYCLE_1)
	s_mov_b32 s4, exec_lo
	s_waitcnt_vscnt null, 0x0
	s_barrier
	buffer_gl0_inv
	v_cmpx_eq_u32_e32 16, v252
	s_cbranch_execz .LBB95_152
; %bb.146:
	ds_store_2addr_b64 v188, v[124:125], v[126:127] offset1:1
	ds_store_2addr_b64 v189, v[120:121], v[122:123] offset0:34 offset1:35
	ds_store_2addr_b64 v189, v[116:117], v[118:119] offset0:36 offset1:37
	ds_store_2addr_b64 v189, v[112:113], v[114:115] offset0:38 offset1:39
	ds_store_2addr_b64 v189, v[108:109], v[110:111] offset0:40 offset1:41
	ds_store_2addr_b64 v189, v[104:105], v[106:107] offset0:42 offset1:43
	ds_store_2addr_b64 v189, v[100:101], v[102:103] offset0:44 offset1:45
	ds_store_2addr_b64 v189, v[96:97], v[98:99] offset0:46 offset1:47
	ds_store_2addr_b64 v189, v[92:93], v[94:95] offset0:48 offset1:49
	ds_store_2addr_b64 v189, v[88:89], v[90:91] offset0:50 offset1:51
	ds_store_2addr_b64 v189, v[84:85], v[86:87] offset0:52 offset1:53
	ds_store_2addr_b64 v189, v[80:81], v[82:83] offset0:54 offset1:55
	ds_store_2addr_b64 v189, v[76:77], v[78:79] offset0:56 offset1:57
	ds_store_2addr_b64 v189, v[72:73], v[74:75] offset0:58 offset1:59
	ds_store_2addr_b64 v189, v[68:69], v[70:71] offset0:60 offset1:61
	ds_store_2addr_b64 v189, v[64:65], v[66:67] offset0:62 offset1:63
	ds_store_2addr_b64 v189, v[60:61], v[62:63] offset0:64 offset1:65
	ds_store_2addr_b64 v189, v[56:57], v[58:59] offset0:66 offset1:67
	ds_store_2addr_b64 v189, v[52:53], v[54:55] offset0:68 offset1:69
	ds_store_2addr_b64 v189, v[48:49], v[50:51] offset0:70 offset1:71
	ds_store_2addr_b64 v189, v[44:45], v[46:47] offset0:72 offset1:73
	ds_store_2addr_b64 v189, v[40:41], v[42:43] offset0:74 offset1:75
	ds_store_2addr_b64 v189, v[36:37], v[38:39] offset0:76 offset1:77
	ds_store_2addr_b64 v189, v[32:33], v[34:35] offset0:78 offset1:79
	ds_store_2addr_b64 v189, v[28:29], v[30:31] offset0:80 offset1:81
	ds_store_2addr_b64 v189, v[24:25], v[26:27] offset0:82 offset1:83
	ds_store_2addr_b64 v189, v[20:21], v[22:23] offset0:84 offset1:85
	ds_store_2addr_b64 v189, v[16:17], v[18:19] offset0:86 offset1:87
	ds_store_2addr_b64 v189, v[12:13], v[14:15] offset0:88 offset1:89
	ds_store_2addr_b64 v189, v[8:9], v[10:11] offset0:90 offset1:91
	ds_store_2addr_b64 v189, v[4:5], v[6:7] offset0:92 offset1:93
	ds_store_2addr_b64 v189, v[0:1], v[2:3] offset0:94 offset1:95
	ds_load_2addr_b64 v[192:195], v188 offset1:1
	s_waitcnt lgkmcnt(0)
	v_cmp_neq_f64_e32 vcc_lo, 0, v[192:193]
	v_cmp_neq_f64_e64 s3, 0, v[194:195]
	s_delay_alu instid0(VALU_DEP_1) | instskip(NEXT) | instid1(SALU_CYCLE_1)
	s_or_b32 s3, vcc_lo, s3
	s_and_b32 exec_lo, exec_lo, s3
	s_cbranch_execz .LBB95_152
; %bb.147:
	v_cmp_gt_f64_e32 vcc_lo, 0, v[192:193]
	v_xor_b32_e32 v190, 0x80000000, v193
	v_xor_b32_e32 v196, 0x80000000, v195
	s_mov_b32 s3, exec_lo
                                        ; implicit-def: $vgpr200_vgpr201
	s_delay_alu instid0(VALU_DEP_2) | instskip(SKIP_1) | instid1(VALU_DEP_3)
	v_dual_cndmask_b32 v191, v193, v190 :: v_dual_cndmask_b32 v190, v192, v192
	v_cmp_gt_f64_e32 vcc_lo, 0, v[194:195]
	v_dual_cndmask_b32 v197, v195, v196 :: v_dual_cndmask_b32 v196, v194, v194
	s_delay_alu instid0(VALU_DEP_1)
	v_cmpx_ngt_f64_e32 v[190:191], v[196:197]
	s_xor_b32 s3, exec_lo, s3
                                        ; implicit-def: $vgpr196_vgpr197_vgpr198_vgpr199
	s_cbranch_execz .LBB95_149
; %bb.148:
	v_div_scale_f64 v[190:191], null, v[194:195], v[194:195], v[192:193]
	v_div_scale_f64 v[200:201], vcc_lo, v[192:193], v[194:195], v[192:193]
	s_delay_alu instid0(VALU_DEP_2) | instskip(SKIP_2) | instid1(VALU_DEP_1)
	v_rcp_f64_e32 v[196:197], v[190:191]
	s_waitcnt_depctr 0xfff
	v_fma_f64 v[198:199], -v[190:191], v[196:197], 1.0
	v_fma_f64 v[196:197], v[196:197], v[198:199], v[196:197]
	s_delay_alu instid0(VALU_DEP_1) | instskip(NEXT) | instid1(VALU_DEP_1)
	v_fma_f64 v[198:199], -v[190:191], v[196:197], 1.0
	v_fma_f64 v[196:197], v[196:197], v[198:199], v[196:197]
	s_delay_alu instid0(VALU_DEP_1) | instskip(NEXT) | instid1(VALU_DEP_1)
	v_mul_f64 v[198:199], v[200:201], v[196:197]
	v_fma_f64 v[190:191], -v[190:191], v[198:199], v[200:201]
	s_delay_alu instid0(VALU_DEP_1) | instskip(NEXT) | instid1(VALU_DEP_1)
	v_div_fmas_f64 v[190:191], v[190:191], v[196:197], v[198:199]
	v_div_fixup_f64 v[190:191], v[190:191], v[194:195], v[192:193]
	s_delay_alu instid0(VALU_DEP_1) | instskip(NEXT) | instid1(VALU_DEP_1)
	v_fma_f64 v[192:193], v[192:193], v[190:191], v[194:195]
	v_div_scale_f64 v[194:195], null, v[192:193], v[192:193], 1.0
	s_delay_alu instid0(VALU_DEP_1) | instskip(SKIP_2) | instid1(VALU_DEP_1)
	v_rcp_f64_e32 v[196:197], v[194:195]
	s_waitcnt_depctr 0xfff
	v_fma_f64 v[198:199], -v[194:195], v[196:197], 1.0
	v_fma_f64 v[196:197], v[196:197], v[198:199], v[196:197]
	s_delay_alu instid0(VALU_DEP_1) | instskip(NEXT) | instid1(VALU_DEP_1)
	v_fma_f64 v[198:199], -v[194:195], v[196:197], 1.0
	v_fma_f64 v[196:197], v[196:197], v[198:199], v[196:197]
	v_div_scale_f64 v[198:199], vcc_lo, 1.0, v[192:193], 1.0
	s_delay_alu instid0(VALU_DEP_1) | instskip(NEXT) | instid1(VALU_DEP_1)
	v_mul_f64 v[200:201], v[198:199], v[196:197]
	v_fma_f64 v[194:195], -v[194:195], v[200:201], v[198:199]
	s_delay_alu instid0(VALU_DEP_1) | instskip(NEXT) | instid1(VALU_DEP_1)
	v_div_fmas_f64 v[194:195], v[194:195], v[196:197], v[200:201]
	v_div_fixup_f64 v[198:199], v[194:195], v[192:193], 1.0
                                        ; implicit-def: $vgpr192_vgpr193
	s_delay_alu instid0(VALU_DEP_1)
	v_mul_f64 v[200:201], v[190:191], v[198:199]
	v_xor_b32_e32 v199, 0x80000000, v199
.LBB95_149:
	s_and_not1_saveexec_b32 s3, s3
	s_cbranch_execz .LBB95_151
; %bb.150:
	v_div_scale_f64 v[190:191], null, v[192:193], v[192:193], v[194:195]
	v_div_scale_f64 v[200:201], vcc_lo, v[194:195], v[192:193], v[194:195]
	s_delay_alu instid0(VALU_DEP_2) | instskip(SKIP_2) | instid1(VALU_DEP_1)
	v_rcp_f64_e32 v[196:197], v[190:191]
	s_waitcnt_depctr 0xfff
	v_fma_f64 v[198:199], -v[190:191], v[196:197], 1.0
	v_fma_f64 v[196:197], v[196:197], v[198:199], v[196:197]
	s_delay_alu instid0(VALU_DEP_1) | instskip(NEXT) | instid1(VALU_DEP_1)
	v_fma_f64 v[198:199], -v[190:191], v[196:197], 1.0
	v_fma_f64 v[196:197], v[196:197], v[198:199], v[196:197]
	s_delay_alu instid0(VALU_DEP_1) | instskip(NEXT) | instid1(VALU_DEP_1)
	v_mul_f64 v[198:199], v[200:201], v[196:197]
	v_fma_f64 v[190:191], -v[190:191], v[198:199], v[200:201]
	s_delay_alu instid0(VALU_DEP_1) | instskip(NEXT) | instid1(VALU_DEP_1)
	v_div_fmas_f64 v[190:191], v[190:191], v[196:197], v[198:199]
	v_div_fixup_f64 v[190:191], v[190:191], v[192:193], v[194:195]
	s_delay_alu instid0(VALU_DEP_1) | instskip(NEXT) | instid1(VALU_DEP_1)
	v_fma_f64 v[192:193], v[194:195], v[190:191], v[192:193]
	v_div_scale_f64 v[194:195], null, v[192:193], v[192:193], 1.0
	s_delay_alu instid0(VALU_DEP_1) | instskip(SKIP_2) | instid1(VALU_DEP_1)
	v_rcp_f64_e32 v[196:197], v[194:195]
	s_waitcnt_depctr 0xfff
	v_fma_f64 v[198:199], -v[194:195], v[196:197], 1.0
	v_fma_f64 v[196:197], v[196:197], v[198:199], v[196:197]
	s_delay_alu instid0(VALU_DEP_1) | instskip(NEXT) | instid1(VALU_DEP_1)
	v_fma_f64 v[198:199], -v[194:195], v[196:197], 1.0
	v_fma_f64 v[196:197], v[196:197], v[198:199], v[196:197]
	v_div_scale_f64 v[198:199], vcc_lo, 1.0, v[192:193], 1.0
	s_delay_alu instid0(VALU_DEP_1) | instskip(NEXT) | instid1(VALU_DEP_1)
	v_mul_f64 v[200:201], v[198:199], v[196:197]
	v_fma_f64 v[194:195], -v[194:195], v[200:201], v[198:199]
	s_delay_alu instid0(VALU_DEP_1) | instskip(NEXT) | instid1(VALU_DEP_1)
	v_div_fmas_f64 v[194:195], v[194:195], v[196:197], v[200:201]
	v_div_fixup_f64 v[200:201], v[194:195], v[192:193], 1.0
	s_delay_alu instid0(VALU_DEP_1)
	v_mul_f64 v[198:199], v[190:191], -v[200:201]
.LBB95_151:
	s_or_b32 exec_lo, exec_lo, s3
	ds_store_2addr_b64 v188, v[200:201], v[198:199] offset1:1
.LBB95_152:
	s_or_b32 exec_lo, exec_lo, s4
	s_waitcnt lgkmcnt(0)
	s_barrier
	buffer_gl0_inv
	ds_load_2addr_b64 v[190:193], v188 offset1:1
	s_mov_b32 s3, exec_lo
	s_waitcnt lgkmcnt(0)
	scratch_store_b128 off, v[190:193], off offset:656 ; 16-byte Folded Spill
	v_cmpx_lt_u32_e32 16, v252
	s_cbranch_execz .LBB95_154
; %bb.153:
	scratch_load_b128 v[194:197], off, off offset:656 ; 16-byte Folded Reload
	s_waitcnt vmcnt(0)
	v_mul_f64 v[190:191], v[196:197], v[126:127]
	v_mul_f64 v[126:127], v[194:195], v[126:127]
	s_delay_alu instid0(VALU_DEP_2) | instskip(NEXT) | instid1(VALU_DEP_2)
	v_fma_f64 v[192:193], v[194:195], v[124:125], -v[190:191]
	v_fma_f64 v[126:127], v[196:197], v[124:125], v[126:127]
	ds_load_2addr_b64 v[194:197], v189 offset0:34 offset1:35
	s_waitcnt lgkmcnt(0)
	v_mul_f64 v[124:125], v[196:197], v[126:127]
	v_mul_f64 v[190:191], v[194:195], v[126:127]
	s_delay_alu instid0(VALU_DEP_2) | instskip(NEXT) | instid1(VALU_DEP_2)
	v_fma_f64 v[124:125], v[194:195], v[192:193], -v[124:125]
	v_fma_f64 v[190:191], v[196:197], v[192:193], v[190:191]
	ds_load_2addr_b64 v[194:197], v189 offset0:36 offset1:37
	v_add_f64 v[120:121], v[120:121], -v[124:125]
	v_add_f64 v[122:123], v[122:123], -v[190:191]
	s_waitcnt lgkmcnt(0)
	v_mul_f64 v[124:125], v[196:197], v[126:127]
	v_mul_f64 v[190:191], v[194:195], v[126:127]
	s_delay_alu instid0(VALU_DEP_2) | instskip(NEXT) | instid1(VALU_DEP_2)
	v_fma_f64 v[124:125], v[194:195], v[192:193], -v[124:125]
	v_fma_f64 v[190:191], v[196:197], v[192:193], v[190:191]
	ds_load_2addr_b64 v[194:197], v189 offset0:38 offset1:39
	v_add_f64 v[116:117], v[116:117], -v[124:125]
	v_add_f64 v[118:119], v[118:119], -v[190:191]
	;; [unrolled: 9-line block ×30, first 2 shown]
	s_waitcnt lgkmcnt(0)
	v_mul_f64 v[124:125], v[196:197], v[126:127]
	v_mul_f64 v[190:191], v[194:195], v[126:127]
	s_delay_alu instid0(VALU_DEP_2) | instskip(NEXT) | instid1(VALU_DEP_2)
	v_fma_f64 v[124:125], v[194:195], v[192:193], -v[124:125]
	v_fma_f64 v[190:191], v[196:197], v[192:193], v[190:191]
	s_delay_alu instid0(VALU_DEP_2) | instskip(NEXT) | instid1(VALU_DEP_2)
	v_add_f64 v[0:1], v[0:1], -v[124:125]
	v_add_f64 v[2:3], v[2:3], -v[190:191]
	v_dual_mov_b32 v124, v192 :: v_dual_mov_b32 v125, v193
.LBB95_154:
	s_or_b32 exec_lo, exec_lo, s3
	s_delay_alu instid0(SALU_CYCLE_1)
	s_mov_b32 s4, exec_lo
	s_waitcnt_vscnt null, 0x0
	s_barrier
	buffer_gl0_inv
	v_cmpx_eq_u32_e32 17, v252
	s_cbranch_execz .LBB95_161
; %bb.155:
	ds_store_2addr_b64 v188, v[120:121], v[122:123] offset1:1
	ds_store_2addr_b64 v189, v[116:117], v[118:119] offset0:36 offset1:37
	ds_store_2addr_b64 v189, v[112:113], v[114:115] offset0:38 offset1:39
	;; [unrolled: 1-line block ×30, first 2 shown]
	ds_load_2addr_b64 v[192:195], v188 offset1:1
	s_waitcnt lgkmcnt(0)
	v_cmp_neq_f64_e32 vcc_lo, 0, v[192:193]
	v_cmp_neq_f64_e64 s3, 0, v[194:195]
	s_delay_alu instid0(VALU_DEP_1) | instskip(NEXT) | instid1(SALU_CYCLE_1)
	s_or_b32 s3, vcc_lo, s3
	s_and_b32 exec_lo, exec_lo, s3
	s_cbranch_execz .LBB95_161
; %bb.156:
	v_cmp_gt_f64_e32 vcc_lo, 0, v[192:193]
	v_xor_b32_e32 v190, 0x80000000, v193
	v_xor_b32_e32 v196, 0x80000000, v195
	s_mov_b32 s3, exec_lo
                                        ; implicit-def: $vgpr200_vgpr201
	s_delay_alu instid0(VALU_DEP_2) | instskip(SKIP_1) | instid1(VALU_DEP_3)
	v_dual_cndmask_b32 v191, v193, v190 :: v_dual_cndmask_b32 v190, v192, v192
	v_cmp_gt_f64_e32 vcc_lo, 0, v[194:195]
	v_dual_cndmask_b32 v197, v195, v196 :: v_dual_cndmask_b32 v196, v194, v194
	s_delay_alu instid0(VALU_DEP_1)
	v_cmpx_ngt_f64_e32 v[190:191], v[196:197]
	s_xor_b32 s3, exec_lo, s3
                                        ; implicit-def: $vgpr196_vgpr197_vgpr198_vgpr199
	s_cbranch_execz .LBB95_158
; %bb.157:
	v_div_scale_f64 v[190:191], null, v[194:195], v[194:195], v[192:193]
	v_div_scale_f64 v[200:201], vcc_lo, v[192:193], v[194:195], v[192:193]
	s_delay_alu instid0(VALU_DEP_2) | instskip(SKIP_2) | instid1(VALU_DEP_1)
	v_rcp_f64_e32 v[196:197], v[190:191]
	s_waitcnt_depctr 0xfff
	v_fma_f64 v[198:199], -v[190:191], v[196:197], 1.0
	v_fma_f64 v[196:197], v[196:197], v[198:199], v[196:197]
	s_delay_alu instid0(VALU_DEP_1) | instskip(NEXT) | instid1(VALU_DEP_1)
	v_fma_f64 v[198:199], -v[190:191], v[196:197], 1.0
	v_fma_f64 v[196:197], v[196:197], v[198:199], v[196:197]
	s_delay_alu instid0(VALU_DEP_1) | instskip(NEXT) | instid1(VALU_DEP_1)
	v_mul_f64 v[198:199], v[200:201], v[196:197]
	v_fma_f64 v[190:191], -v[190:191], v[198:199], v[200:201]
	s_delay_alu instid0(VALU_DEP_1) | instskip(NEXT) | instid1(VALU_DEP_1)
	v_div_fmas_f64 v[190:191], v[190:191], v[196:197], v[198:199]
	v_div_fixup_f64 v[190:191], v[190:191], v[194:195], v[192:193]
	s_delay_alu instid0(VALU_DEP_1) | instskip(NEXT) | instid1(VALU_DEP_1)
	v_fma_f64 v[192:193], v[192:193], v[190:191], v[194:195]
	v_div_scale_f64 v[194:195], null, v[192:193], v[192:193], 1.0
	s_delay_alu instid0(VALU_DEP_1) | instskip(SKIP_2) | instid1(VALU_DEP_1)
	v_rcp_f64_e32 v[196:197], v[194:195]
	s_waitcnt_depctr 0xfff
	v_fma_f64 v[198:199], -v[194:195], v[196:197], 1.0
	v_fma_f64 v[196:197], v[196:197], v[198:199], v[196:197]
	s_delay_alu instid0(VALU_DEP_1) | instskip(NEXT) | instid1(VALU_DEP_1)
	v_fma_f64 v[198:199], -v[194:195], v[196:197], 1.0
	v_fma_f64 v[196:197], v[196:197], v[198:199], v[196:197]
	v_div_scale_f64 v[198:199], vcc_lo, 1.0, v[192:193], 1.0
	s_delay_alu instid0(VALU_DEP_1) | instskip(NEXT) | instid1(VALU_DEP_1)
	v_mul_f64 v[200:201], v[198:199], v[196:197]
	v_fma_f64 v[194:195], -v[194:195], v[200:201], v[198:199]
	s_delay_alu instid0(VALU_DEP_1) | instskip(NEXT) | instid1(VALU_DEP_1)
	v_div_fmas_f64 v[194:195], v[194:195], v[196:197], v[200:201]
	v_div_fixup_f64 v[198:199], v[194:195], v[192:193], 1.0
                                        ; implicit-def: $vgpr192_vgpr193
	s_delay_alu instid0(VALU_DEP_1)
	v_mul_f64 v[200:201], v[190:191], v[198:199]
	v_xor_b32_e32 v199, 0x80000000, v199
.LBB95_158:
	s_and_not1_saveexec_b32 s3, s3
	s_cbranch_execz .LBB95_160
; %bb.159:
	v_div_scale_f64 v[190:191], null, v[192:193], v[192:193], v[194:195]
	v_div_scale_f64 v[200:201], vcc_lo, v[194:195], v[192:193], v[194:195]
	s_delay_alu instid0(VALU_DEP_2) | instskip(SKIP_2) | instid1(VALU_DEP_1)
	v_rcp_f64_e32 v[196:197], v[190:191]
	s_waitcnt_depctr 0xfff
	v_fma_f64 v[198:199], -v[190:191], v[196:197], 1.0
	v_fma_f64 v[196:197], v[196:197], v[198:199], v[196:197]
	s_delay_alu instid0(VALU_DEP_1) | instskip(NEXT) | instid1(VALU_DEP_1)
	v_fma_f64 v[198:199], -v[190:191], v[196:197], 1.0
	v_fma_f64 v[196:197], v[196:197], v[198:199], v[196:197]
	s_delay_alu instid0(VALU_DEP_1) | instskip(NEXT) | instid1(VALU_DEP_1)
	v_mul_f64 v[198:199], v[200:201], v[196:197]
	v_fma_f64 v[190:191], -v[190:191], v[198:199], v[200:201]
	s_delay_alu instid0(VALU_DEP_1) | instskip(NEXT) | instid1(VALU_DEP_1)
	v_div_fmas_f64 v[190:191], v[190:191], v[196:197], v[198:199]
	v_div_fixup_f64 v[190:191], v[190:191], v[192:193], v[194:195]
	s_delay_alu instid0(VALU_DEP_1) | instskip(NEXT) | instid1(VALU_DEP_1)
	v_fma_f64 v[192:193], v[194:195], v[190:191], v[192:193]
	v_div_scale_f64 v[194:195], null, v[192:193], v[192:193], 1.0
	s_delay_alu instid0(VALU_DEP_1) | instskip(SKIP_2) | instid1(VALU_DEP_1)
	v_rcp_f64_e32 v[196:197], v[194:195]
	s_waitcnt_depctr 0xfff
	v_fma_f64 v[198:199], -v[194:195], v[196:197], 1.0
	v_fma_f64 v[196:197], v[196:197], v[198:199], v[196:197]
	s_delay_alu instid0(VALU_DEP_1) | instskip(NEXT) | instid1(VALU_DEP_1)
	v_fma_f64 v[198:199], -v[194:195], v[196:197], 1.0
	v_fma_f64 v[196:197], v[196:197], v[198:199], v[196:197]
	v_div_scale_f64 v[198:199], vcc_lo, 1.0, v[192:193], 1.0
	s_delay_alu instid0(VALU_DEP_1) | instskip(NEXT) | instid1(VALU_DEP_1)
	v_mul_f64 v[200:201], v[198:199], v[196:197]
	v_fma_f64 v[194:195], -v[194:195], v[200:201], v[198:199]
	s_delay_alu instid0(VALU_DEP_1) | instskip(NEXT) | instid1(VALU_DEP_1)
	v_div_fmas_f64 v[194:195], v[194:195], v[196:197], v[200:201]
	v_div_fixup_f64 v[200:201], v[194:195], v[192:193], 1.0
	s_delay_alu instid0(VALU_DEP_1)
	v_mul_f64 v[198:199], v[190:191], -v[200:201]
.LBB95_160:
	s_or_b32 exec_lo, exec_lo, s3
	ds_store_2addr_b64 v188, v[200:201], v[198:199] offset1:1
.LBB95_161:
	s_or_b32 exec_lo, exec_lo, s4
	s_waitcnt lgkmcnt(0)
	s_barrier
	buffer_gl0_inv
	ds_load_2addr_b64 v[190:193], v188 offset1:1
	s_mov_b32 s3, exec_lo
	s_waitcnt lgkmcnt(0)
	scratch_store_b128 off, v[190:193], off offset:672 ; 16-byte Folded Spill
	v_cmpx_lt_u32_e32 17, v252
	s_cbranch_execz .LBB95_163
; %bb.162:
	scratch_load_b128 v[194:197], off, off offset:672 ; 16-byte Folded Reload
	s_waitcnt vmcnt(0)
	v_mul_f64 v[190:191], v[196:197], v[122:123]
	v_mul_f64 v[122:123], v[194:195], v[122:123]
	s_delay_alu instid0(VALU_DEP_2) | instskip(NEXT) | instid1(VALU_DEP_2)
	v_fma_f64 v[192:193], v[194:195], v[120:121], -v[190:191]
	v_fma_f64 v[122:123], v[196:197], v[120:121], v[122:123]
	ds_load_2addr_b64 v[194:197], v189 offset0:36 offset1:37
	s_waitcnt lgkmcnt(0)
	v_mul_f64 v[120:121], v[196:197], v[122:123]
	v_mul_f64 v[190:191], v[194:195], v[122:123]
	s_delay_alu instid0(VALU_DEP_2) | instskip(NEXT) | instid1(VALU_DEP_2)
	v_fma_f64 v[120:121], v[194:195], v[192:193], -v[120:121]
	v_fma_f64 v[190:191], v[196:197], v[192:193], v[190:191]
	ds_load_2addr_b64 v[194:197], v189 offset0:38 offset1:39
	v_add_f64 v[116:117], v[116:117], -v[120:121]
	v_add_f64 v[118:119], v[118:119], -v[190:191]
	s_waitcnt lgkmcnt(0)
	v_mul_f64 v[120:121], v[196:197], v[122:123]
	v_mul_f64 v[190:191], v[194:195], v[122:123]
	s_delay_alu instid0(VALU_DEP_2) | instskip(NEXT) | instid1(VALU_DEP_2)
	v_fma_f64 v[120:121], v[194:195], v[192:193], -v[120:121]
	v_fma_f64 v[190:191], v[196:197], v[192:193], v[190:191]
	ds_load_2addr_b64 v[194:197], v189 offset0:40 offset1:41
	v_add_f64 v[112:113], v[112:113], -v[120:121]
	v_add_f64 v[114:115], v[114:115], -v[190:191]
	;; [unrolled: 9-line block ×29, first 2 shown]
	s_waitcnt lgkmcnt(0)
	v_mul_f64 v[120:121], v[196:197], v[122:123]
	v_mul_f64 v[190:191], v[194:195], v[122:123]
	s_delay_alu instid0(VALU_DEP_2) | instskip(NEXT) | instid1(VALU_DEP_2)
	v_fma_f64 v[120:121], v[194:195], v[192:193], -v[120:121]
	v_fma_f64 v[190:191], v[196:197], v[192:193], v[190:191]
	s_delay_alu instid0(VALU_DEP_2) | instskip(NEXT) | instid1(VALU_DEP_2)
	v_add_f64 v[0:1], v[0:1], -v[120:121]
	v_add_f64 v[2:3], v[2:3], -v[190:191]
	v_dual_mov_b32 v120, v192 :: v_dual_mov_b32 v121, v193
.LBB95_163:
	s_or_b32 exec_lo, exec_lo, s3
	s_delay_alu instid0(SALU_CYCLE_1)
	s_mov_b32 s4, exec_lo
	s_waitcnt_vscnt null, 0x0
	s_barrier
	buffer_gl0_inv
	v_cmpx_eq_u32_e32 18, v252
	s_cbranch_execz .LBB95_170
; %bb.164:
	ds_store_2addr_b64 v188, v[116:117], v[118:119] offset1:1
	ds_store_2addr_b64 v189, v[112:113], v[114:115] offset0:38 offset1:39
	ds_store_2addr_b64 v189, v[108:109], v[110:111] offset0:40 offset1:41
	;; [unrolled: 1-line block ×29, first 2 shown]
	ds_load_2addr_b64 v[192:195], v188 offset1:1
	s_waitcnt lgkmcnt(0)
	v_cmp_neq_f64_e32 vcc_lo, 0, v[192:193]
	v_cmp_neq_f64_e64 s3, 0, v[194:195]
	s_delay_alu instid0(VALU_DEP_1) | instskip(NEXT) | instid1(SALU_CYCLE_1)
	s_or_b32 s3, vcc_lo, s3
	s_and_b32 exec_lo, exec_lo, s3
	s_cbranch_execz .LBB95_170
; %bb.165:
	v_cmp_gt_f64_e32 vcc_lo, 0, v[192:193]
	v_xor_b32_e32 v190, 0x80000000, v193
	v_xor_b32_e32 v196, 0x80000000, v195
	s_mov_b32 s3, exec_lo
                                        ; implicit-def: $vgpr200_vgpr201
	s_delay_alu instid0(VALU_DEP_2) | instskip(SKIP_1) | instid1(VALU_DEP_3)
	v_dual_cndmask_b32 v191, v193, v190 :: v_dual_cndmask_b32 v190, v192, v192
	v_cmp_gt_f64_e32 vcc_lo, 0, v[194:195]
	v_dual_cndmask_b32 v197, v195, v196 :: v_dual_cndmask_b32 v196, v194, v194
	s_delay_alu instid0(VALU_DEP_1)
	v_cmpx_ngt_f64_e32 v[190:191], v[196:197]
	s_xor_b32 s3, exec_lo, s3
                                        ; implicit-def: $vgpr196_vgpr197_vgpr198_vgpr199
	s_cbranch_execz .LBB95_167
; %bb.166:
	v_div_scale_f64 v[190:191], null, v[194:195], v[194:195], v[192:193]
	v_div_scale_f64 v[200:201], vcc_lo, v[192:193], v[194:195], v[192:193]
	s_delay_alu instid0(VALU_DEP_2) | instskip(SKIP_2) | instid1(VALU_DEP_1)
	v_rcp_f64_e32 v[196:197], v[190:191]
	s_waitcnt_depctr 0xfff
	v_fma_f64 v[198:199], -v[190:191], v[196:197], 1.0
	v_fma_f64 v[196:197], v[196:197], v[198:199], v[196:197]
	s_delay_alu instid0(VALU_DEP_1) | instskip(NEXT) | instid1(VALU_DEP_1)
	v_fma_f64 v[198:199], -v[190:191], v[196:197], 1.0
	v_fma_f64 v[196:197], v[196:197], v[198:199], v[196:197]
	s_delay_alu instid0(VALU_DEP_1) | instskip(NEXT) | instid1(VALU_DEP_1)
	v_mul_f64 v[198:199], v[200:201], v[196:197]
	v_fma_f64 v[190:191], -v[190:191], v[198:199], v[200:201]
	s_delay_alu instid0(VALU_DEP_1) | instskip(NEXT) | instid1(VALU_DEP_1)
	v_div_fmas_f64 v[190:191], v[190:191], v[196:197], v[198:199]
	v_div_fixup_f64 v[190:191], v[190:191], v[194:195], v[192:193]
	s_delay_alu instid0(VALU_DEP_1) | instskip(NEXT) | instid1(VALU_DEP_1)
	v_fma_f64 v[192:193], v[192:193], v[190:191], v[194:195]
	v_div_scale_f64 v[194:195], null, v[192:193], v[192:193], 1.0
	s_delay_alu instid0(VALU_DEP_1) | instskip(SKIP_2) | instid1(VALU_DEP_1)
	v_rcp_f64_e32 v[196:197], v[194:195]
	s_waitcnt_depctr 0xfff
	v_fma_f64 v[198:199], -v[194:195], v[196:197], 1.0
	v_fma_f64 v[196:197], v[196:197], v[198:199], v[196:197]
	s_delay_alu instid0(VALU_DEP_1) | instskip(NEXT) | instid1(VALU_DEP_1)
	v_fma_f64 v[198:199], -v[194:195], v[196:197], 1.0
	v_fma_f64 v[196:197], v[196:197], v[198:199], v[196:197]
	v_div_scale_f64 v[198:199], vcc_lo, 1.0, v[192:193], 1.0
	s_delay_alu instid0(VALU_DEP_1) | instskip(NEXT) | instid1(VALU_DEP_1)
	v_mul_f64 v[200:201], v[198:199], v[196:197]
	v_fma_f64 v[194:195], -v[194:195], v[200:201], v[198:199]
	s_delay_alu instid0(VALU_DEP_1) | instskip(NEXT) | instid1(VALU_DEP_1)
	v_div_fmas_f64 v[194:195], v[194:195], v[196:197], v[200:201]
	v_div_fixup_f64 v[198:199], v[194:195], v[192:193], 1.0
                                        ; implicit-def: $vgpr192_vgpr193
	s_delay_alu instid0(VALU_DEP_1)
	v_mul_f64 v[200:201], v[190:191], v[198:199]
	v_xor_b32_e32 v199, 0x80000000, v199
.LBB95_167:
	s_and_not1_saveexec_b32 s3, s3
	s_cbranch_execz .LBB95_169
; %bb.168:
	v_div_scale_f64 v[190:191], null, v[192:193], v[192:193], v[194:195]
	v_div_scale_f64 v[200:201], vcc_lo, v[194:195], v[192:193], v[194:195]
	s_delay_alu instid0(VALU_DEP_2) | instskip(SKIP_2) | instid1(VALU_DEP_1)
	v_rcp_f64_e32 v[196:197], v[190:191]
	s_waitcnt_depctr 0xfff
	v_fma_f64 v[198:199], -v[190:191], v[196:197], 1.0
	v_fma_f64 v[196:197], v[196:197], v[198:199], v[196:197]
	s_delay_alu instid0(VALU_DEP_1) | instskip(NEXT) | instid1(VALU_DEP_1)
	v_fma_f64 v[198:199], -v[190:191], v[196:197], 1.0
	v_fma_f64 v[196:197], v[196:197], v[198:199], v[196:197]
	s_delay_alu instid0(VALU_DEP_1) | instskip(NEXT) | instid1(VALU_DEP_1)
	v_mul_f64 v[198:199], v[200:201], v[196:197]
	v_fma_f64 v[190:191], -v[190:191], v[198:199], v[200:201]
	s_delay_alu instid0(VALU_DEP_1) | instskip(NEXT) | instid1(VALU_DEP_1)
	v_div_fmas_f64 v[190:191], v[190:191], v[196:197], v[198:199]
	v_div_fixup_f64 v[190:191], v[190:191], v[192:193], v[194:195]
	s_delay_alu instid0(VALU_DEP_1) | instskip(NEXT) | instid1(VALU_DEP_1)
	v_fma_f64 v[192:193], v[194:195], v[190:191], v[192:193]
	v_div_scale_f64 v[194:195], null, v[192:193], v[192:193], 1.0
	s_delay_alu instid0(VALU_DEP_1) | instskip(SKIP_2) | instid1(VALU_DEP_1)
	v_rcp_f64_e32 v[196:197], v[194:195]
	s_waitcnt_depctr 0xfff
	v_fma_f64 v[198:199], -v[194:195], v[196:197], 1.0
	v_fma_f64 v[196:197], v[196:197], v[198:199], v[196:197]
	s_delay_alu instid0(VALU_DEP_1) | instskip(NEXT) | instid1(VALU_DEP_1)
	v_fma_f64 v[198:199], -v[194:195], v[196:197], 1.0
	v_fma_f64 v[196:197], v[196:197], v[198:199], v[196:197]
	v_div_scale_f64 v[198:199], vcc_lo, 1.0, v[192:193], 1.0
	s_delay_alu instid0(VALU_DEP_1) | instskip(NEXT) | instid1(VALU_DEP_1)
	v_mul_f64 v[200:201], v[198:199], v[196:197]
	v_fma_f64 v[194:195], -v[194:195], v[200:201], v[198:199]
	s_delay_alu instid0(VALU_DEP_1) | instskip(NEXT) | instid1(VALU_DEP_1)
	v_div_fmas_f64 v[194:195], v[194:195], v[196:197], v[200:201]
	v_div_fixup_f64 v[200:201], v[194:195], v[192:193], 1.0
	s_delay_alu instid0(VALU_DEP_1)
	v_mul_f64 v[198:199], v[190:191], -v[200:201]
.LBB95_169:
	s_or_b32 exec_lo, exec_lo, s3
	ds_store_2addr_b64 v188, v[200:201], v[198:199] offset1:1
.LBB95_170:
	s_or_b32 exec_lo, exec_lo, s4
	s_waitcnt lgkmcnt(0)
	s_barrier
	buffer_gl0_inv
	ds_load_2addr_b64 v[190:193], v188 offset1:1
	s_mov_b32 s3, exec_lo
	s_waitcnt lgkmcnt(0)
	scratch_store_b128 off, v[190:193], off offset:688 ; 16-byte Folded Spill
	v_cmpx_lt_u32_e32 18, v252
	s_cbranch_execz .LBB95_172
; %bb.171:
	scratch_load_b128 v[194:197], off, off offset:688 ; 16-byte Folded Reload
	s_waitcnt vmcnt(0)
	v_mul_f64 v[190:191], v[196:197], v[118:119]
	v_mul_f64 v[118:119], v[194:195], v[118:119]
	s_delay_alu instid0(VALU_DEP_2) | instskip(NEXT) | instid1(VALU_DEP_2)
	v_fma_f64 v[192:193], v[194:195], v[116:117], -v[190:191]
	v_fma_f64 v[118:119], v[196:197], v[116:117], v[118:119]
	ds_load_2addr_b64 v[194:197], v189 offset0:38 offset1:39
	s_waitcnt lgkmcnt(0)
	v_mul_f64 v[116:117], v[196:197], v[118:119]
	v_mul_f64 v[190:191], v[194:195], v[118:119]
	s_delay_alu instid0(VALU_DEP_2) | instskip(NEXT) | instid1(VALU_DEP_2)
	v_fma_f64 v[116:117], v[194:195], v[192:193], -v[116:117]
	v_fma_f64 v[190:191], v[196:197], v[192:193], v[190:191]
	ds_load_2addr_b64 v[194:197], v189 offset0:40 offset1:41
	v_add_f64 v[112:113], v[112:113], -v[116:117]
	v_add_f64 v[114:115], v[114:115], -v[190:191]
	s_waitcnt lgkmcnt(0)
	v_mul_f64 v[116:117], v[196:197], v[118:119]
	v_mul_f64 v[190:191], v[194:195], v[118:119]
	s_delay_alu instid0(VALU_DEP_2) | instskip(NEXT) | instid1(VALU_DEP_2)
	v_fma_f64 v[116:117], v[194:195], v[192:193], -v[116:117]
	v_fma_f64 v[190:191], v[196:197], v[192:193], v[190:191]
	ds_load_2addr_b64 v[194:197], v189 offset0:42 offset1:43
	v_add_f64 v[108:109], v[108:109], -v[116:117]
	v_add_f64 v[110:111], v[110:111], -v[190:191]
	;; [unrolled: 9-line block ×28, first 2 shown]
	s_waitcnt lgkmcnt(0)
	v_mul_f64 v[116:117], v[196:197], v[118:119]
	v_mul_f64 v[190:191], v[194:195], v[118:119]
	s_delay_alu instid0(VALU_DEP_2) | instskip(NEXT) | instid1(VALU_DEP_2)
	v_fma_f64 v[116:117], v[194:195], v[192:193], -v[116:117]
	v_fma_f64 v[190:191], v[196:197], v[192:193], v[190:191]
	s_delay_alu instid0(VALU_DEP_2) | instskip(NEXT) | instid1(VALU_DEP_2)
	v_add_f64 v[0:1], v[0:1], -v[116:117]
	v_add_f64 v[2:3], v[2:3], -v[190:191]
	v_dual_mov_b32 v116, v192 :: v_dual_mov_b32 v117, v193
.LBB95_172:
	s_or_b32 exec_lo, exec_lo, s3
	s_delay_alu instid0(SALU_CYCLE_1)
	s_mov_b32 s4, exec_lo
	s_waitcnt_vscnt null, 0x0
	s_barrier
	buffer_gl0_inv
	v_cmpx_eq_u32_e32 19, v252
	s_cbranch_execz .LBB95_179
; %bb.173:
	ds_store_2addr_b64 v188, v[112:113], v[114:115] offset1:1
	ds_store_2addr_b64 v189, v[108:109], v[110:111] offset0:40 offset1:41
	ds_store_2addr_b64 v189, v[104:105], v[106:107] offset0:42 offset1:43
	;; [unrolled: 1-line block ×28, first 2 shown]
	ds_load_2addr_b64 v[192:195], v188 offset1:1
	s_waitcnt lgkmcnt(0)
	v_cmp_neq_f64_e32 vcc_lo, 0, v[192:193]
	v_cmp_neq_f64_e64 s3, 0, v[194:195]
	s_delay_alu instid0(VALU_DEP_1) | instskip(NEXT) | instid1(SALU_CYCLE_1)
	s_or_b32 s3, vcc_lo, s3
	s_and_b32 exec_lo, exec_lo, s3
	s_cbranch_execz .LBB95_179
; %bb.174:
	v_cmp_gt_f64_e32 vcc_lo, 0, v[192:193]
	v_xor_b32_e32 v190, 0x80000000, v193
	v_xor_b32_e32 v196, 0x80000000, v195
	s_mov_b32 s3, exec_lo
                                        ; implicit-def: $vgpr200_vgpr201
	s_delay_alu instid0(VALU_DEP_2) | instskip(SKIP_1) | instid1(VALU_DEP_3)
	v_dual_cndmask_b32 v191, v193, v190 :: v_dual_cndmask_b32 v190, v192, v192
	v_cmp_gt_f64_e32 vcc_lo, 0, v[194:195]
	v_dual_cndmask_b32 v197, v195, v196 :: v_dual_cndmask_b32 v196, v194, v194
	s_delay_alu instid0(VALU_DEP_1)
	v_cmpx_ngt_f64_e32 v[190:191], v[196:197]
	s_xor_b32 s3, exec_lo, s3
                                        ; implicit-def: $vgpr196_vgpr197_vgpr198_vgpr199
	s_cbranch_execz .LBB95_176
; %bb.175:
	v_div_scale_f64 v[190:191], null, v[194:195], v[194:195], v[192:193]
	v_div_scale_f64 v[200:201], vcc_lo, v[192:193], v[194:195], v[192:193]
	s_delay_alu instid0(VALU_DEP_2) | instskip(SKIP_2) | instid1(VALU_DEP_1)
	v_rcp_f64_e32 v[196:197], v[190:191]
	s_waitcnt_depctr 0xfff
	v_fma_f64 v[198:199], -v[190:191], v[196:197], 1.0
	v_fma_f64 v[196:197], v[196:197], v[198:199], v[196:197]
	s_delay_alu instid0(VALU_DEP_1) | instskip(NEXT) | instid1(VALU_DEP_1)
	v_fma_f64 v[198:199], -v[190:191], v[196:197], 1.0
	v_fma_f64 v[196:197], v[196:197], v[198:199], v[196:197]
	s_delay_alu instid0(VALU_DEP_1) | instskip(NEXT) | instid1(VALU_DEP_1)
	v_mul_f64 v[198:199], v[200:201], v[196:197]
	v_fma_f64 v[190:191], -v[190:191], v[198:199], v[200:201]
	s_delay_alu instid0(VALU_DEP_1) | instskip(NEXT) | instid1(VALU_DEP_1)
	v_div_fmas_f64 v[190:191], v[190:191], v[196:197], v[198:199]
	v_div_fixup_f64 v[190:191], v[190:191], v[194:195], v[192:193]
	s_delay_alu instid0(VALU_DEP_1) | instskip(NEXT) | instid1(VALU_DEP_1)
	v_fma_f64 v[192:193], v[192:193], v[190:191], v[194:195]
	v_div_scale_f64 v[194:195], null, v[192:193], v[192:193], 1.0
	s_delay_alu instid0(VALU_DEP_1) | instskip(SKIP_2) | instid1(VALU_DEP_1)
	v_rcp_f64_e32 v[196:197], v[194:195]
	s_waitcnt_depctr 0xfff
	v_fma_f64 v[198:199], -v[194:195], v[196:197], 1.0
	v_fma_f64 v[196:197], v[196:197], v[198:199], v[196:197]
	s_delay_alu instid0(VALU_DEP_1) | instskip(NEXT) | instid1(VALU_DEP_1)
	v_fma_f64 v[198:199], -v[194:195], v[196:197], 1.0
	v_fma_f64 v[196:197], v[196:197], v[198:199], v[196:197]
	v_div_scale_f64 v[198:199], vcc_lo, 1.0, v[192:193], 1.0
	s_delay_alu instid0(VALU_DEP_1) | instskip(NEXT) | instid1(VALU_DEP_1)
	v_mul_f64 v[200:201], v[198:199], v[196:197]
	v_fma_f64 v[194:195], -v[194:195], v[200:201], v[198:199]
	s_delay_alu instid0(VALU_DEP_1) | instskip(NEXT) | instid1(VALU_DEP_1)
	v_div_fmas_f64 v[194:195], v[194:195], v[196:197], v[200:201]
	v_div_fixup_f64 v[198:199], v[194:195], v[192:193], 1.0
                                        ; implicit-def: $vgpr192_vgpr193
	s_delay_alu instid0(VALU_DEP_1)
	v_mul_f64 v[200:201], v[190:191], v[198:199]
	v_xor_b32_e32 v199, 0x80000000, v199
.LBB95_176:
	s_and_not1_saveexec_b32 s3, s3
	s_cbranch_execz .LBB95_178
; %bb.177:
	v_div_scale_f64 v[190:191], null, v[192:193], v[192:193], v[194:195]
	v_div_scale_f64 v[200:201], vcc_lo, v[194:195], v[192:193], v[194:195]
	s_delay_alu instid0(VALU_DEP_2) | instskip(SKIP_2) | instid1(VALU_DEP_1)
	v_rcp_f64_e32 v[196:197], v[190:191]
	s_waitcnt_depctr 0xfff
	v_fma_f64 v[198:199], -v[190:191], v[196:197], 1.0
	v_fma_f64 v[196:197], v[196:197], v[198:199], v[196:197]
	s_delay_alu instid0(VALU_DEP_1) | instskip(NEXT) | instid1(VALU_DEP_1)
	v_fma_f64 v[198:199], -v[190:191], v[196:197], 1.0
	v_fma_f64 v[196:197], v[196:197], v[198:199], v[196:197]
	s_delay_alu instid0(VALU_DEP_1) | instskip(NEXT) | instid1(VALU_DEP_1)
	v_mul_f64 v[198:199], v[200:201], v[196:197]
	v_fma_f64 v[190:191], -v[190:191], v[198:199], v[200:201]
	s_delay_alu instid0(VALU_DEP_1) | instskip(NEXT) | instid1(VALU_DEP_1)
	v_div_fmas_f64 v[190:191], v[190:191], v[196:197], v[198:199]
	v_div_fixup_f64 v[190:191], v[190:191], v[192:193], v[194:195]
	s_delay_alu instid0(VALU_DEP_1) | instskip(NEXT) | instid1(VALU_DEP_1)
	v_fma_f64 v[192:193], v[194:195], v[190:191], v[192:193]
	v_div_scale_f64 v[194:195], null, v[192:193], v[192:193], 1.0
	s_delay_alu instid0(VALU_DEP_1) | instskip(SKIP_2) | instid1(VALU_DEP_1)
	v_rcp_f64_e32 v[196:197], v[194:195]
	s_waitcnt_depctr 0xfff
	v_fma_f64 v[198:199], -v[194:195], v[196:197], 1.0
	v_fma_f64 v[196:197], v[196:197], v[198:199], v[196:197]
	s_delay_alu instid0(VALU_DEP_1) | instskip(NEXT) | instid1(VALU_DEP_1)
	v_fma_f64 v[198:199], -v[194:195], v[196:197], 1.0
	v_fma_f64 v[196:197], v[196:197], v[198:199], v[196:197]
	v_div_scale_f64 v[198:199], vcc_lo, 1.0, v[192:193], 1.0
	s_delay_alu instid0(VALU_DEP_1) | instskip(NEXT) | instid1(VALU_DEP_1)
	v_mul_f64 v[200:201], v[198:199], v[196:197]
	v_fma_f64 v[194:195], -v[194:195], v[200:201], v[198:199]
	s_delay_alu instid0(VALU_DEP_1) | instskip(NEXT) | instid1(VALU_DEP_1)
	v_div_fmas_f64 v[194:195], v[194:195], v[196:197], v[200:201]
	v_div_fixup_f64 v[200:201], v[194:195], v[192:193], 1.0
	s_delay_alu instid0(VALU_DEP_1)
	v_mul_f64 v[198:199], v[190:191], -v[200:201]
.LBB95_178:
	s_or_b32 exec_lo, exec_lo, s3
	ds_store_2addr_b64 v188, v[200:201], v[198:199] offset1:1
.LBB95_179:
	s_or_b32 exec_lo, exec_lo, s4
	s_waitcnt lgkmcnt(0)
	s_barrier
	buffer_gl0_inv
	ds_load_2addr_b64 v[190:193], v188 offset1:1
	s_mov_b32 s3, exec_lo
	s_waitcnt lgkmcnt(0)
	scratch_store_b128 off, v[190:193], off offset:704 ; 16-byte Folded Spill
	v_cmpx_lt_u32_e32 19, v252
	s_cbranch_execz .LBB95_181
; %bb.180:
	scratch_load_b128 v[194:197], off, off offset:704 ; 16-byte Folded Reload
	s_waitcnt vmcnt(0)
	v_mul_f64 v[190:191], v[196:197], v[114:115]
	v_mul_f64 v[114:115], v[194:195], v[114:115]
	s_delay_alu instid0(VALU_DEP_2) | instskip(NEXT) | instid1(VALU_DEP_2)
	v_fma_f64 v[192:193], v[194:195], v[112:113], -v[190:191]
	v_fma_f64 v[114:115], v[196:197], v[112:113], v[114:115]
	ds_load_2addr_b64 v[194:197], v189 offset0:40 offset1:41
	s_waitcnt lgkmcnt(0)
	v_mul_f64 v[112:113], v[196:197], v[114:115]
	v_mul_f64 v[190:191], v[194:195], v[114:115]
	s_delay_alu instid0(VALU_DEP_2) | instskip(NEXT) | instid1(VALU_DEP_2)
	v_fma_f64 v[112:113], v[194:195], v[192:193], -v[112:113]
	v_fma_f64 v[190:191], v[196:197], v[192:193], v[190:191]
	ds_load_2addr_b64 v[194:197], v189 offset0:42 offset1:43
	v_add_f64 v[108:109], v[108:109], -v[112:113]
	v_add_f64 v[110:111], v[110:111], -v[190:191]
	s_waitcnt lgkmcnt(0)
	v_mul_f64 v[112:113], v[196:197], v[114:115]
	v_mul_f64 v[190:191], v[194:195], v[114:115]
	s_delay_alu instid0(VALU_DEP_2) | instskip(NEXT) | instid1(VALU_DEP_2)
	v_fma_f64 v[112:113], v[194:195], v[192:193], -v[112:113]
	v_fma_f64 v[190:191], v[196:197], v[192:193], v[190:191]
	ds_load_2addr_b64 v[194:197], v189 offset0:44 offset1:45
	v_add_f64 v[104:105], v[104:105], -v[112:113]
	v_add_f64 v[106:107], v[106:107], -v[190:191]
	;; [unrolled: 9-line block ×27, first 2 shown]
	s_waitcnt lgkmcnt(0)
	v_mul_f64 v[112:113], v[196:197], v[114:115]
	v_mul_f64 v[190:191], v[194:195], v[114:115]
	s_delay_alu instid0(VALU_DEP_2) | instskip(NEXT) | instid1(VALU_DEP_2)
	v_fma_f64 v[112:113], v[194:195], v[192:193], -v[112:113]
	v_fma_f64 v[190:191], v[196:197], v[192:193], v[190:191]
	s_delay_alu instid0(VALU_DEP_2) | instskip(NEXT) | instid1(VALU_DEP_2)
	v_add_f64 v[0:1], v[0:1], -v[112:113]
	v_add_f64 v[2:3], v[2:3], -v[190:191]
	v_dual_mov_b32 v112, v192 :: v_dual_mov_b32 v113, v193
.LBB95_181:
	s_or_b32 exec_lo, exec_lo, s3
	s_delay_alu instid0(SALU_CYCLE_1)
	s_mov_b32 s4, exec_lo
	s_waitcnt_vscnt null, 0x0
	s_barrier
	buffer_gl0_inv
	v_cmpx_eq_u32_e32 20, v252
	s_cbranch_execz .LBB95_188
; %bb.182:
	ds_store_2addr_b64 v188, v[108:109], v[110:111] offset1:1
	ds_store_2addr_b64 v189, v[104:105], v[106:107] offset0:42 offset1:43
	ds_store_2addr_b64 v189, v[100:101], v[102:103] offset0:44 offset1:45
	;; [unrolled: 1-line block ×27, first 2 shown]
	ds_load_2addr_b64 v[192:195], v188 offset1:1
	s_waitcnt lgkmcnt(0)
	v_cmp_neq_f64_e32 vcc_lo, 0, v[192:193]
	v_cmp_neq_f64_e64 s3, 0, v[194:195]
	s_delay_alu instid0(VALU_DEP_1) | instskip(NEXT) | instid1(SALU_CYCLE_1)
	s_or_b32 s3, vcc_lo, s3
	s_and_b32 exec_lo, exec_lo, s3
	s_cbranch_execz .LBB95_188
; %bb.183:
	v_cmp_gt_f64_e32 vcc_lo, 0, v[192:193]
	v_xor_b32_e32 v190, 0x80000000, v193
	v_xor_b32_e32 v196, 0x80000000, v195
	s_mov_b32 s3, exec_lo
                                        ; implicit-def: $vgpr200_vgpr201
	s_delay_alu instid0(VALU_DEP_2) | instskip(SKIP_1) | instid1(VALU_DEP_3)
	v_dual_cndmask_b32 v191, v193, v190 :: v_dual_cndmask_b32 v190, v192, v192
	v_cmp_gt_f64_e32 vcc_lo, 0, v[194:195]
	v_dual_cndmask_b32 v197, v195, v196 :: v_dual_cndmask_b32 v196, v194, v194
	s_delay_alu instid0(VALU_DEP_1)
	v_cmpx_ngt_f64_e32 v[190:191], v[196:197]
	s_xor_b32 s3, exec_lo, s3
                                        ; implicit-def: $vgpr196_vgpr197_vgpr198_vgpr199
	s_cbranch_execz .LBB95_185
; %bb.184:
	v_div_scale_f64 v[190:191], null, v[194:195], v[194:195], v[192:193]
	v_div_scale_f64 v[200:201], vcc_lo, v[192:193], v[194:195], v[192:193]
	s_delay_alu instid0(VALU_DEP_2) | instskip(SKIP_2) | instid1(VALU_DEP_1)
	v_rcp_f64_e32 v[196:197], v[190:191]
	s_waitcnt_depctr 0xfff
	v_fma_f64 v[198:199], -v[190:191], v[196:197], 1.0
	v_fma_f64 v[196:197], v[196:197], v[198:199], v[196:197]
	s_delay_alu instid0(VALU_DEP_1) | instskip(NEXT) | instid1(VALU_DEP_1)
	v_fma_f64 v[198:199], -v[190:191], v[196:197], 1.0
	v_fma_f64 v[196:197], v[196:197], v[198:199], v[196:197]
	s_delay_alu instid0(VALU_DEP_1) | instskip(NEXT) | instid1(VALU_DEP_1)
	v_mul_f64 v[198:199], v[200:201], v[196:197]
	v_fma_f64 v[190:191], -v[190:191], v[198:199], v[200:201]
	s_delay_alu instid0(VALU_DEP_1) | instskip(NEXT) | instid1(VALU_DEP_1)
	v_div_fmas_f64 v[190:191], v[190:191], v[196:197], v[198:199]
	v_div_fixup_f64 v[190:191], v[190:191], v[194:195], v[192:193]
	s_delay_alu instid0(VALU_DEP_1) | instskip(NEXT) | instid1(VALU_DEP_1)
	v_fma_f64 v[192:193], v[192:193], v[190:191], v[194:195]
	v_div_scale_f64 v[194:195], null, v[192:193], v[192:193], 1.0
	s_delay_alu instid0(VALU_DEP_1) | instskip(SKIP_2) | instid1(VALU_DEP_1)
	v_rcp_f64_e32 v[196:197], v[194:195]
	s_waitcnt_depctr 0xfff
	v_fma_f64 v[198:199], -v[194:195], v[196:197], 1.0
	v_fma_f64 v[196:197], v[196:197], v[198:199], v[196:197]
	s_delay_alu instid0(VALU_DEP_1) | instskip(NEXT) | instid1(VALU_DEP_1)
	v_fma_f64 v[198:199], -v[194:195], v[196:197], 1.0
	v_fma_f64 v[196:197], v[196:197], v[198:199], v[196:197]
	v_div_scale_f64 v[198:199], vcc_lo, 1.0, v[192:193], 1.0
	s_delay_alu instid0(VALU_DEP_1) | instskip(NEXT) | instid1(VALU_DEP_1)
	v_mul_f64 v[200:201], v[198:199], v[196:197]
	v_fma_f64 v[194:195], -v[194:195], v[200:201], v[198:199]
	s_delay_alu instid0(VALU_DEP_1) | instskip(NEXT) | instid1(VALU_DEP_1)
	v_div_fmas_f64 v[194:195], v[194:195], v[196:197], v[200:201]
	v_div_fixup_f64 v[198:199], v[194:195], v[192:193], 1.0
                                        ; implicit-def: $vgpr192_vgpr193
	s_delay_alu instid0(VALU_DEP_1)
	v_mul_f64 v[200:201], v[190:191], v[198:199]
	v_xor_b32_e32 v199, 0x80000000, v199
.LBB95_185:
	s_and_not1_saveexec_b32 s3, s3
	s_cbranch_execz .LBB95_187
; %bb.186:
	v_div_scale_f64 v[190:191], null, v[192:193], v[192:193], v[194:195]
	v_div_scale_f64 v[200:201], vcc_lo, v[194:195], v[192:193], v[194:195]
	s_delay_alu instid0(VALU_DEP_2) | instskip(SKIP_2) | instid1(VALU_DEP_1)
	v_rcp_f64_e32 v[196:197], v[190:191]
	s_waitcnt_depctr 0xfff
	v_fma_f64 v[198:199], -v[190:191], v[196:197], 1.0
	v_fma_f64 v[196:197], v[196:197], v[198:199], v[196:197]
	s_delay_alu instid0(VALU_DEP_1) | instskip(NEXT) | instid1(VALU_DEP_1)
	v_fma_f64 v[198:199], -v[190:191], v[196:197], 1.0
	v_fma_f64 v[196:197], v[196:197], v[198:199], v[196:197]
	s_delay_alu instid0(VALU_DEP_1) | instskip(NEXT) | instid1(VALU_DEP_1)
	v_mul_f64 v[198:199], v[200:201], v[196:197]
	v_fma_f64 v[190:191], -v[190:191], v[198:199], v[200:201]
	s_delay_alu instid0(VALU_DEP_1) | instskip(NEXT) | instid1(VALU_DEP_1)
	v_div_fmas_f64 v[190:191], v[190:191], v[196:197], v[198:199]
	v_div_fixup_f64 v[190:191], v[190:191], v[192:193], v[194:195]
	s_delay_alu instid0(VALU_DEP_1) | instskip(NEXT) | instid1(VALU_DEP_1)
	v_fma_f64 v[192:193], v[194:195], v[190:191], v[192:193]
	v_div_scale_f64 v[194:195], null, v[192:193], v[192:193], 1.0
	s_delay_alu instid0(VALU_DEP_1) | instskip(SKIP_2) | instid1(VALU_DEP_1)
	v_rcp_f64_e32 v[196:197], v[194:195]
	s_waitcnt_depctr 0xfff
	v_fma_f64 v[198:199], -v[194:195], v[196:197], 1.0
	v_fma_f64 v[196:197], v[196:197], v[198:199], v[196:197]
	s_delay_alu instid0(VALU_DEP_1) | instskip(NEXT) | instid1(VALU_DEP_1)
	v_fma_f64 v[198:199], -v[194:195], v[196:197], 1.0
	v_fma_f64 v[196:197], v[196:197], v[198:199], v[196:197]
	v_div_scale_f64 v[198:199], vcc_lo, 1.0, v[192:193], 1.0
	s_delay_alu instid0(VALU_DEP_1) | instskip(NEXT) | instid1(VALU_DEP_1)
	v_mul_f64 v[200:201], v[198:199], v[196:197]
	v_fma_f64 v[194:195], -v[194:195], v[200:201], v[198:199]
	s_delay_alu instid0(VALU_DEP_1) | instskip(NEXT) | instid1(VALU_DEP_1)
	v_div_fmas_f64 v[194:195], v[194:195], v[196:197], v[200:201]
	v_div_fixup_f64 v[200:201], v[194:195], v[192:193], 1.0
	s_delay_alu instid0(VALU_DEP_1)
	v_mul_f64 v[198:199], v[190:191], -v[200:201]
.LBB95_187:
	s_or_b32 exec_lo, exec_lo, s3
	ds_store_2addr_b64 v188, v[200:201], v[198:199] offset1:1
.LBB95_188:
	s_or_b32 exec_lo, exec_lo, s4
	s_waitcnt lgkmcnt(0)
	s_barrier
	buffer_gl0_inv
	ds_load_2addr_b64 v[190:193], v188 offset1:1
	s_mov_b32 s3, exec_lo
	s_waitcnt lgkmcnt(0)
	scratch_store_b128 off, v[190:193], off offset:720 ; 16-byte Folded Spill
	v_cmpx_lt_u32_e32 20, v252
	s_cbranch_execz .LBB95_190
; %bb.189:
	scratch_load_b128 v[194:197], off, off offset:720 ; 16-byte Folded Reload
	s_waitcnt vmcnt(0)
	v_mul_f64 v[190:191], v[196:197], v[110:111]
	v_mul_f64 v[110:111], v[194:195], v[110:111]
	s_delay_alu instid0(VALU_DEP_2) | instskip(NEXT) | instid1(VALU_DEP_2)
	v_fma_f64 v[192:193], v[194:195], v[108:109], -v[190:191]
	v_fma_f64 v[110:111], v[196:197], v[108:109], v[110:111]
	ds_load_2addr_b64 v[194:197], v189 offset0:42 offset1:43
	s_waitcnt lgkmcnt(0)
	v_mul_f64 v[108:109], v[196:197], v[110:111]
	v_mul_f64 v[190:191], v[194:195], v[110:111]
	s_delay_alu instid0(VALU_DEP_2) | instskip(NEXT) | instid1(VALU_DEP_2)
	v_fma_f64 v[108:109], v[194:195], v[192:193], -v[108:109]
	v_fma_f64 v[190:191], v[196:197], v[192:193], v[190:191]
	ds_load_2addr_b64 v[194:197], v189 offset0:44 offset1:45
	v_add_f64 v[104:105], v[104:105], -v[108:109]
	v_add_f64 v[106:107], v[106:107], -v[190:191]
	s_waitcnt lgkmcnt(0)
	v_mul_f64 v[108:109], v[196:197], v[110:111]
	v_mul_f64 v[190:191], v[194:195], v[110:111]
	s_delay_alu instid0(VALU_DEP_2) | instskip(NEXT) | instid1(VALU_DEP_2)
	v_fma_f64 v[108:109], v[194:195], v[192:193], -v[108:109]
	v_fma_f64 v[190:191], v[196:197], v[192:193], v[190:191]
	ds_load_2addr_b64 v[194:197], v189 offset0:46 offset1:47
	v_add_f64 v[100:101], v[100:101], -v[108:109]
	v_add_f64 v[102:103], v[102:103], -v[190:191]
	;; [unrolled: 9-line block ×26, first 2 shown]
	s_waitcnt lgkmcnt(0)
	v_mul_f64 v[108:109], v[196:197], v[110:111]
	v_mul_f64 v[190:191], v[194:195], v[110:111]
	s_delay_alu instid0(VALU_DEP_2) | instskip(NEXT) | instid1(VALU_DEP_2)
	v_fma_f64 v[108:109], v[194:195], v[192:193], -v[108:109]
	v_fma_f64 v[190:191], v[196:197], v[192:193], v[190:191]
	s_delay_alu instid0(VALU_DEP_2) | instskip(NEXT) | instid1(VALU_DEP_2)
	v_add_f64 v[0:1], v[0:1], -v[108:109]
	v_add_f64 v[2:3], v[2:3], -v[190:191]
	v_dual_mov_b32 v108, v192 :: v_dual_mov_b32 v109, v193
.LBB95_190:
	s_or_b32 exec_lo, exec_lo, s3
	s_delay_alu instid0(SALU_CYCLE_1)
	s_mov_b32 s4, exec_lo
	s_waitcnt_vscnt null, 0x0
	s_barrier
	buffer_gl0_inv
	v_cmpx_eq_u32_e32 21, v252
	s_cbranch_execz .LBB95_197
; %bb.191:
	ds_store_2addr_b64 v188, v[104:105], v[106:107] offset1:1
	ds_store_2addr_b64 v189, v[100:101], v[102:103] offset0:44 offset1:45
	ds_store_2addr_b64 v189, v[96:97], v[98:99] offset0:46 offset1:47
	;; [unrolled: 1-line block ×26, first 2 shown]
	ds_load_2addr_b64 v[192:195], v188 offset1:1
	s_waitcnt lgkmcnt(0)
	v_cmp_neq_f64_e32 vcc_lo, 0, v[192:193]
	v_cmp_neq_f64_e64 s3, 0, v[194:195]
	s_delay_alu instid0(VALU_DEP_1) | instskip(NEXT) | instid1(SALU_CYCLE_1)
	s_or_b32 s3, vcc_lo, s3
	s_and_b32 exec_lo, exec_lo, s3
	s_cbranch_execz .LBB95_197
; %bb.192:
	v_cmp_gt_f64_e32 vcc_lo, 0, v[192:193]
	v_xor_b32_e32 v190, 0x80000000, v193
	v_xor_b32_e32 v196, 0x80000000, v195
	s_mov_b32 s3, exec_lo
                                        ; implicit-def: $vgpr200_vgpr201
	s_delay_alu instid0(VALU_DEP_2) | instskip(SKIP_1) | instid1(VALU_DEP_3)
	v_dual_cndmask_b32 v191, v193, v190 :: v_dual_cndmask_b32 v190, v192, v192
	v_cmp_gt_f64_e32 vcc_lo, 0, v[194:195]
	v_dual_cndmask_b32 v197, v195, v196 :: v_dual_cndmask_b32 v196, v194, v194
	s_delay_alu instid0(VALU_DEP_1)
	v_cmpx_ngt_f64_e32 v[190:191], v[196:197]
	s_xor_b32 s3, exec_lo, s3
                                        ; implicit-def: $vgpr196_vgpr197_vgpr198_vgpr199
	s_cbranch_execz .LBB95_194
; %bb.193:
	v_div_scale_f64 v[190:191], null, v[194:195], v[194:195], v[192:193]
	v_div_scale_f64 v[200:201], vcc_lo, v[192:193], v[194:195], v[192:193]
	s_delay_alu instid0(VALU_DEP_2) | instskip(SKIP_2) | instid1(VALU_DEP_1)
	v_rcp_f64_e32 v[196:197], v[190:191]
	s_waitcnt_depctr 0xfff
	v_fma_f64 v[198:199], -v[190:191], v[196:197], 1.0
	v_fma_f64 v[196:197], v[196:197], v[198:199], v[196:197]
	s_delay_alu instid0(VALU_DEP_1) | instskip(NEXT) | instid1(VALU_DEP_1)
	v_fma_f64 v[198:199], -v[190:191], v[196:197], 1.0
	v_fma_f64 v[196:197], v[196:197], v[198:199], v[196:197]
	s_delay_alu instid0(VALU_DEP_1) | instskip(NEXT) | instid1(VALU_DEP_1)
	v_mul_f64 v[198:199], v[200:201], v[196:197]
	v_fma_f64 v[190:191], -v[190:191], v[198:199], v[200:201]
	s_delay_alu instid0(VALU_DEP_1) | instskip(NEXT) | instid1(VALU_DEP_1)
	v_div_fmas_f64 v[190:191], v[190:191], v[196:197], v[198:199]
	v_div_fixup_f64 v[190:191], v[190:191], v[194:195], v[192:193]
	s_delay_alu instid0(VALU_DEP_1) | instskip(NEXT) | instid1(VALU_DEP_1)
	v_fma_f64 v[192:193], v[192:193], v[190:191], v[194:195]
	v_div_scale_f64 v[194:195], null, v[192:193], v[192:193], 1.0
	s_delay_alu instid0(VALU_DEP_1) | instskip(SKIP_2) | instid1(VALU_DEP_1)
	v_rcp_f64_e32 v[196:197], v[194:195]
	s_waitcnt_depctr 0xfff
	v_fma_f64 v[198:199], -v[194:195], v[196:197], 1.0
	v_fma_f64 v[196:197], v[196:197], v[198:199], v[196:197]
	s_delay_alu instid0(VALU_DEP_1) | instskip(NEXT) | instid1(VALU_DEP_1)
	v_fma_f64 v[198:199], -v[194:195], v[196:197], 1.0
	v_fma_f64 v[196:197], v[196:197], v[198:199], v[196:197]
	v_div_scale_f64 v[198:199], vcc_lo, 1.0, v[192:193], 1.0
	s_delay_alu instid0(VALU_DEP_1) | instskip(NEXT) | instid1(VALU_DEP_1)
	v_mul_f64 v[200:201], v[198:199], v[196:197]
	v_fma_f64 v[194:195], -v[194:195], v[200:201], v[198:199]
	s_delay_alu instid0(VALU_DEP_1) | instskip(NEXT) | instid1(VALU_DEP_1)
	v_div_fmas_f64 v[194:195], v[194:195], v[196:197], v[200:201]
	v_div_fixup_f64 v[198:199], v[194:195], v[192:193], 1.0
                                        ; implicit-def: $vgpr192_vgpr193
	s_delay_alu instid0(VALU_DEP_1)
	v_mul_f64 v[200:201], v[190:191], v[198:199]
	v_xor_b32_e32 v199, 0x80000000, v199
.LBB95_194:
	s_and_not1_saveexec_b32 s3, s3
	s_cbranch_execz .LBB95_196
; %bb.195:
	v_div_scale_f64 v[190:191], null, v[192:193], v[192:193], v[194:195]
	v_div_scale_f64 v[200:201], vcc_lo, v[194:195], v[192:193], v[194:195]
	s_delay_alu instid0(VALU_DEP_2) | instskip(SKIP_2) | instid1(VALU_DEP_1)
	v_rcp_f64_e32 v[196:197], v[190:191]
	s_waitcnt_depctr 0xfff
	v_fma_f64 v[198:199], -v[190:191], v[196:197], 1.0
	v_fma_f64 v[196:197], v[196:197], v[198:199], v[196:197]
	s_delay_alu instid0(VALU_DEP_1) | instskip(NEXT) | instid1(VALU_DEP_1)
	v_fma_f64 v[198:199], -v[190:191], v[196:197], 1.0
	v_fma_f64 v[196:197], v[196:197], v[198:199], v[196:197]
	s_delay_alu instid0(VALU_DEP_1) | instskip(NEXT) | instid1(VALU_DEP_1)
	v_mul_f64 v[198:199], v[200:201], v[196:197]
	v_fma_f64 v[190:191], -v[190:191], v[198:199], v[200:201]
	s_delay_alu instid0(VALU_DEP_1) | instskip(NEXT) | instid1(VALU_DEP_1)
	v_div_fmas_f64 v[190:191], v[190:191], v[196:197], v[198:199]
	v_div_fixup_f64 v[190:191], v[190:191], v[192:193], v[194:195]
	s_delay_alu instid0(VALU_DEP_1) | instskip(NEXT) | instid1(VALU_DEP_1)
	v_fma_f64 v[192:193], v[194:195], v[190:191], v[192:193]
	v_div_scale_f64 v[194:195], null, v[192:193], v[192:193], 1.0
	s_delay_alu instid0(VALU_DEP_1) | instskip(SKIP_2) | instid1(VALU_DEP_1)
	v_rcp_f64_e32 v[196:197], v[194:195]
	s_waitcnt_depctr 0xfff
	v_fma_f64 v[198:199], -v[194:195], v[196:197], 1.0
	v_fma_f64 v[196:197], v[196:197], v[198:199], v[196:197]
	s_delay_alu instid0(VALU_DEP_1) | instskip(NEXT) | instid1(VALU_DEP_1)
	v_fma_f64 v[198:199], -v[194:195], v[196:197], 1.0
	v_fma_f64 v[196:197], v[196:197], v[198:199], v[196:197]
	v_div_scale_f64 v[198:199], vcc_lo, 1.0, v[192:193], 1.0
	s_delay_alu instid0(VALU_DEP_1) | instskip(NEXT) | instid1(VALU_DEP_1)
	v_mul_f64 v[200:201], v[198:199], v[196:197]
	v_fma_f64 v[194:195], -v[194:195], v[200:201], v[198:199]
	s_delay_alu instid0(VALU_DEP_1) | instskip(NEXT) | instid1(VALU_DEP_1)
	v_div_fmas_f64 v[194:195], v[194:195], v[196:197], v[200:201]
	v_div_fixup_f64 v[200:201], v[194:195], v[192:193], 1.0
	s_delay_alu instid0(VALU_DEP_1)
	v_mul_f64 v[198:199], v[190:191], -v[200:201]
.LBB95_196:
	s_or_b32 exec_lo, exec_lo, s3
	ds_store_2addr_b64 v188, v[200:201], v[198:199] offset1:1
.LBB95_197:
	s_or_b32 exec_lo, exec_lo, s4
	s_waitcnt lgkmcnt(0)
	s_barrier
	buffer_gl0_inv
	ds_load_2addr_b64 v[190:193], v188 offset1:1
	s_mov_b32 s3, exec_lo
	s_waitcnt lgkmcnt(0)
	scratch_store_b128 off, v[190:193], off offset:736 ; 16-byte Folded Spill
	v_cmpx_lt_u32_e32 21, v252
	s_cbranch_execz .LBB95_199
; %bb.198:
	scratch_load_b128 v[194:197], off, off offset:736 ; 16-byte Folded Reload
	s_waitcnt vmcnt(0)
	v_mul_f64 v[190:191], v[196:197], v[106:107]
	v_mul_f64 v[106:107], v[194:195], v[106:107]
	s_delay_alu instid0(VALU_DEP_2) | instskip(NEXT) | instid1(VALU_DEP_2)
	v_fma_f64 v[192:193], v[194:195], v[104:105], -v[190:191]
	v_fma_f64 v[106:107], v[196:197], v[104:105], v[106:107]
	ds_load_2addr_b64 v[194:197], v189 offset0:44 offset1:45
	s_waitcnt lgkmcnt(0)
	v_mul_f64 v[104:105], v[196:197], v[106:107]
	v_mul_f64 v[190:191], v[194:195], v[106:107]
	s_delay_alu instid0(VALU_DEP_2) | instskip(NEXT) | instid1(VALU_DEP_2)
	v_fma_f64 v[104:105], v[194:195], v[192:193], -v[104:105]
	v_fma_f64 v[190:191], v[196:197], v[192:193], v[190:191]
	ds_load_2addr_b64 v[194:197], v189 offset0:46 offset1:47
	v_add_f64 v[100:101], v[100:101], -v[104:105]
	v_add_f64 v[102:103], v[102:103], -v[190:191]
	s_waitcnt lgkmcnt(0)
	v_mul_f64 v[104:105], v[196:197], v[106:107]
	v_mul_f64 v[190:191], v[194:195], v[106:107]
	s_delay_alu instid0(VALU_DEP_2) | instskip(NEXT) | instid1(VALU_DEP_2)
	v_fma_f64 v[104:105], v[194:195], v[192:193], -v[104:105]
	v_fma_f64 v[190:191], v[196:197], v[192:193], v[190:191]
	ds_load_2addr_b64 v[194:197], v189 offset0:48 offset1:49
	v_add_f64 v[96:97], v[96:97], -v[104:105]
	v_add_f64 v[98:99], v[98:99], -v[190:191]
	;; [unrolled: 9-line block ×25, first 2 shown]
	s_waitcnt lgkmcnt(0)
	v_mul_f64 v[104:105], v[196:197], v[106:107]
	v_mul_f64 v[190:191], v[194:195], v[106:107]
	s_delay_alu instid0(VALU_DEP_2) | instskip(NEXT) | instid1(VALU_DEP_2)
	v_fma_f64 v[104:105], v[194:195], v[192:193], -v[104:105]
	v_fma_f64 v[190:191], v[196:197], v[192:193], v[190:191]
	s_delay_alu instid0(VALU_DEP_2) | instskip(NEXT) | instid1(VALU_DEP_2)
	v_add_f64 v[0:1], v[0:1], -v[104:105]
	v_add_f64 v[2:3], v[2:3], -v[190:191]
	v_dual_mov_b32 v104, v192 :: v_dual_mov_b32 v105, v193
.LBB95_199:
	s_or_b32 exec_lo, exec_lo, s3
	s_delay_alu instid0(SALU_CYCLE_1)
	s_mov_b32 s4, exec_lo
	s_waitcnt_vscnt null, 0x0
	s_barrier
	buffer_gl0_inv
	v_cmpx_eq_u32_e32 22, v252
	s_cbranch_execz .LBB95_206
; %bb.200:
	ds_store_2addr_b64 v188, v[100:101], v[102:103] offset1:1
	ds_store_2addr_b64 v189, v[96:97], v[98:99] offset0:46 offset1:47
	ds_store_2addr_b64 v189, v[92:93], v[94:95] offset0:48 offset1:49
	;; [unrolled: 1-line block ×25, first 2 shown]
	ds_load_2addr_b64 v[192:195], v188 offset1:1
	s_waitcnt lgkmcnt(0)
	v_cmp_neq_f64_e32 vcc_lo, 0, v[192:193]
	v_cmp_neq_f64_e64 s3, 0, v[194:195]
	s_delay_alu instid0(VALU_DEP_1) | instskip(NEXT) | instid1(SALU_CYCLE_1)
	s_or_b32 s3, vcc_lo, s3
	s_and_b32 exec_lo, exec_lo, s3
	s_cbranch_execz .LBB95_206
; %bb.201:
	v_cmp_gt_f64_e32 vcc_lo, 0, v[192:193]
	v_xor_b32_e32 v190, 0x80000000, v193
	v_xor_b32_e32 v196, 0x80000000, v195
	s_mov_b32 s3, exec_lo
                                        ; implicit-def: $vgpr200_vgpr201
	s_delay_alu instid0(VALU_DEP_2) | instskip(SKIP_1) | instid1(VALU_DEP_3)
	v_dual_cndmask_b32 v191, v193, v190 :: v_dual_cndmask_b32 v190, v192, v192
	v_cmp_gt_f64_e32 vcc_lo, 0, v[194:195]
	v_dual_cndmask_b32 v197, v195, v196 :: v_dual_cndmask_b32 v196, v194, v194
	s_delay_alu instid0(VALU_DEP_1)
	v_cmpx_ngt_f64_e32 v[190:191], v[196:197]
	s_xor_b32 s3, exec_lo, s3
                                        ; implicit-def: $vgpr196_vgpr197_vgpr198_vgpr199
	s_cbranch_execz .LBB95_203
; %bb.202:
	v_div_scale_f64 v[190:191], null, v[194:195], v[194:195], v[192:193]
	v_div_scale_f64 v[200:201], vcc_lo, v[192:193], v[194:195], v[192:193]
	s_delay_alu instid0(VALU_DEP_2) | instskip(SKIP_2) | instid1(VALU_DEP_1)
	v_rcp_f64_e32 v[196:197], v[190:191]
	s_waitcnt_depctr 0xfff
	v_fma_f64 v[198:199], -v[190:191], v[196:197], 1.0
	v_fma_f64 v[196:197], v[196:197], v[198:199], v[196:197]
	s_delay_alu instid0(VALU_DEP_1) | instskip(NEXT) | instid1(VALU_DEP_1)
	v_fma_f64 v[198:199], -v[190:191], v[196:197], 1.0
	v_fma_f64 v[196:197], v[196:197], v[198:199], v[196:197]
	s_delay_alu instid0(VALU_DEP_1) | instskip(NEXT) | instid1(VALU_DEP_1)
	v_mul_f64 v[198:199], v[200:201], v[196:197]
	v_fma_f64 v[190:191], -v[190:191], v[198:199], v[200:201]
	s_delay_alu instid0(VALU_DEP_1) | instskip(NEXT) | instid1(VALU_DEP_1)
	v_div_fmas_f64 v[190:191], v[190:191], v[196:197], v[198:199]
	v_div_fixup_f64 v[190:191], v[190:191], v[194:195], v[192:193]
	s_delay_alu instid0(VALU_DEP_1) | instskip(NEXT) | instid1(VALU_DEP_1)
	v_fma_f64 v[192:193], v[192:193], v[190:191], v[194:195]
	v_div_scale_f64 v[194:195], null, v[192:193], v[192:193], 1.0
	s_delay_alu instid0(VALU_DEP_1) | instskip(SKIP_2) | instid1(VALU_DEP_1)
	v_rcp_f64_e32 v[196:197], v[194:195]
	s_waitcnt_depctr 0xfff
	v_fma_f64 v[198:199], -v[194:195], v[196:197], 1.0
	v_fma_f64 v[196:197], v[196:197], v[198:199], v[196:197]
	s_delay_alu instid0(VALU_DEP_1) | instskip(NEXT) | instid1(VALU_DEP_1)
	v_fma_f64 v[198:199], -v[194:195], v[196:197], 1.0
	v_fma_f64 v[196:197], v[196:197], v[198:199], v[196:197]
	v_div_scale_f64 v[198:199], vcc_lo, 1.0, v[192:193], 1.0
	s_delay_alu instid0(VALU_DEP_1) | instskip(NEXT) | instid1(VALU_DEP_1)
	v_mul_f64 v[200:201], v[198:199], v[196:197]
	v_fma_f64 v[194:195], -v[194:195], v[200:201], v[198:199]
	s_delay_alu instid0(VALU_DEP_1) | instskip(NEXT) | instid1(VALU_DEP_1)
	v_div_fmas_f64 v[194:195], v[194:195], v[196:197], v[200:201]
	v_div_fixup_f64 v[198:199], v[194:195], v[192:193], 1.0
                                        ; implicit-def: $vgpr192_vgpr193
	s_delay_alu instid0(VALU_DEP_1)
	v_mul_f64 v[200:201], v[190:191], v[198:199]
	v_xor_b32_e32 v199, 0x80000000, v199
.LBB95_203:
	s_and_not1_saveexec_b32 s3, s3
	s_cbranch_execz .LBB95_205
; %bb.204:
	v_div_scale_f64 v[190:191], null, v[192:193], v[192:193], v[194:195]
	v_div_scale_f64 v[200:201], vcc_lo, v[194:195], v[192:193], v[194:195]
	s_delay_alu instid0(VALU_DEP_2) | instskip(SKIP_2) | instid1(VALU_DEP_1)
	v_rcp_f64_e32 v[196:197], v[190:191]
	s_waitcnt_depctr 0xfff
	v_fma_f64 v[198:199], -v[190:191], v[196:197], 1.0
	v_fma_f64 v[196:197], v[196:197], v[198:199], v[196:197]
	s_delay_alu instid0(VALU_DEP_1) | instskip(NEXT) | instid1(VALU_DEP_1)
	v_fma_f64 v[198:199], -v[190:191], v[196:197], 1.0
	v_fma_f64 v[196:197], v[196:197], v[198:199], v[196:197]
	s_delay_alu instid0(VALU_DEP_1) | instskip(NEXT) | instid1(VALU_DEP_1)
	v_mul_f64 v[198:199], v[200:201], v[196:197]
	v_fma_f64 v[190:191], -v[190:191], v[198:199], v[200:201]
	s_delay_alu instid0(VALU_DEP_1) | instskip(NEXT) | instid1(VALU_DEP_1)
	v_div_fmas_f64 v[190:191], v[190:191], v[196:197], v[198:199]
	v_div_fixup_f64 v[190:191], v[190:191], v[192:193], v[194:195]
	s_delay_alu instid0(VALU_DEP_1) | instskip(NEXT) | instid1(VALU_DEP_1)
	v_fma_f64 v[192:193], v[194:195], v[190:191], v[192:193]
	v_div_scale_f64 v[194:195], null, v[192:193], v[192:193], 1.0
	s_delay_alu instid0(VALU_DEP_1) | instskip(SKIP_2) | instid1(VALU_DEP_1)
	v_rcp_f64_e32 v[196:197], v[194:195]
	s_waitcnt_depctr 0xfff
	v_fma_f64 v[198:199], -v[194:195], v[196:197], 1.0
	v_fma_f64 v[196:197], v[196:197], v[198:199], v[196:197]
	s_delay_alu instid0(VALU_DEP_1) | instskip(NEXT) | instid1(VALU_DEP_1)
	v_fma_f64 v[198:199], -v[194:195], v[196:197], 1.0
	v_fma_f64 v[196:197], v[196:197], v[198:199], v[196:197]
	v_div_scale_f64 v[198:199], vcc_lo, 1.0, v[192:193], 1.0
	s_delay_alu instid0(VALU_DEP_1) | instskip(NEXT) | instid1(VALU_DEP_1)
	v_mul_f64 v[200:201], v[198:199], v[196:197]
	v_fma_f64 v[194:195], -v[194:195], v[200:201], v[198:199]
	s_delay_alu instid0(VALU_DEP_1) | instskip(NEXT) | instid1(VALU_DEP_1)
	v_div_fmas_f64 v[194:195], v[194:195], v[196:197], v[200:201]
	v_div_fixup_f64 v[200:201], v[194:195], v[192:193], 1.0
	s_delay_alu instid0(VALU_DEP_1)
	v_mul_f64 v[198:199], v[190:191], -v[200:201]
.LBB95_205:
	s_or_b32 exec_lo, exec_lo, s3
	ds_store_2addr_b64 v188, v[200:201], v[198:199] offset1:1
.LBB95_206:
	s_or_b32 exec_lo, exec_lo, s4
	s_waitcnt lgkmcnt(0)
	s_barrier
	buffer_gl0_inv
	ds_load_2addr_b64 v[190:193], v188 offset1:1
	s_mov_b32 s3, exec_lo
	s_waitcnt lgkmcnt(0)
	scratch_store_b128 off, v[190:193], off offset:752 ; 16-byte Folded Spill
	v_cmpx_lt_u32_e32 22, v252
	s_cbranch_execz .LBB95_208
; %bb.207:
	scratch_load_b128 v[194:197], off, off offset:752 ; 16-byte Folded Reload
	s_waitcnt vmcnt(0)
	v_mul_f64 v[190:191], v[196:197], v[102:103]
	v_mul_f64 v[102:103], v[194:195], v[102:103]
	s_delay_alu instid0(VALU_DEP_2) | instskip(NEXT) | instid1(VALU_DEP_2)
	v_fma_f64 v[192:193], v[194:195], v[100:101], -v[190:191]
	v_fma_f64 v[102:103], v[196:197], v[100:101], v[102:103]
	ds_load_2addr_b64 v[194:197], v189 offset0:46 offset1:47
	s_waitcnt lgkmcnt(0)
	v_mul_f64 v[100:101], v[196:197], v[102:103]
	v_mul_f64 v[190:191], v[194:195], v[102:103]
	s_delay_alu instid0(VALU_DEP_2) | instskip(NEXT) | instid1(VALU_DEP_2)
	v_fma_f64 v[100:101], v[194:195], v[192:193], -v[100:101]
	v_fma_f64 v[190:191], v[196:197], v[192:193], v[190:191]
	ds_load_2addr_b64 v[194:197], v189 offset0:48 offset1:49
	v_add_f64 v[96:97], v[96:97], -v[100:101]
	v_add_f64 v[98:99], v[98:99], -v[190:191]
	s_waitcnt lgkmcnt(0)
	v_mul_f64 v[100:101], v[196:197], v[102:103]
	v_mul_f64 v[190:191], v[194:195], v[102:103]
	s_delay_alu instid0(VALU_DEP_2) | instskip(NEXT) | instid1(VALU_DEP_2)
	v_fma_f64 v[100:101], v[194:195], v[192:193], -v[100:101]
	v_fma_f64 v[190:191], v[196:197], v[192:193], v[190:191]
	ds_load_2addr_b64 v[194:197], v189 offset0:50 offset1:51
	v_add_f64 v[92:93], v[92:93], -v[100:101]
	v_add_f64 v[94:95], v[94:95], -v[190:191]
	;; [unrolled: 9-line block ×24, first 2 shown]
	s_waitcnt lgkmcnt(0)
	v_mul_f64 v[100:101], v[196:197], v[102:103]
	v_mul_f64 v[190:191], v[194:195], v[102:103]
	s_delay_alu instid0(VALU_DEP_2) | instskip(NEXT) | instid1(VALU_DEP_2)
	v_fma_f64 v[100:101], v[194:195], v[192:193], -v[100:101]
	v_fma_f64 v[190:191], v[196:197], v[192:193], v[190:191]
	s_delay_alu instid0(VALU_DEP_2) | instskip(NEXT) | instid1(VALU_DEP_2)
	v_add_f64 v[0:1], v[0:1], -v[100:101]
	v_add_f64 v[2:3], v[2:3], -v[190:191]
	v_dual_mov_b32 v100, v192 :: v_dual_mov_b32 v101, v193
.LBB95_208:
	s_or_b32 exec_lo, exec_lo, s3
	s_delay_alu instid0(SALU_CYCLE_1)
	s_mov_b32 s4, exec_lo
	s_waitcnt_vscnt null, 0x0
	s_barrier
	buffer_gl0_inv
	v_cmpx_eq_u32_e32 23, v252
	s_cbranch_execz .LBB95_215
; %bb.209:
	ds_store_2addr_b64 v188, v[96:97], v[98:99] offset1:1
	ds_store_2addr_b64 v189, v[92:93], v[94:95] offset0:48 offset1:49
	ds_store_2addr_b64 v189, v[88:89], v[90:91] offset0:50 offset1:51
	;; [unrolled: 1-line block ×24, first 2 shown]
	ds_load_2addr_b64 v[192:195], v188 offset1:1
	s_waitcnt lgkmcnt(0)
	v_cmp_neq_f64_e32 vcc_lo, 0, v[192:193]
	v_cmp_neq_f64_e64 s3, 0, v[194:195]
	s_delay_alu instid0(VALU_DEP_1) | instskip(NEXT) | instid1(SALU_CYCLE_1)
	s_or_b32 s3, vcc_lo, s3
	s_and_b32 exec_lo, exec_lo, s3
	s_cbranch_execz .LBB95_215
; %bb.210:
	v_cmp_gt_f64_e32 vcc_lo, 0, v[192:193]
	v_xor_b32_e32 v190, 0x80000000, v193
	v_xor_b32_e32 v196, 0x80000000, v195
	s_mov_b32 s3, exec_lo
                                        ; implicit-def: $vgpr200_vgpr201
	s_delay_alu instid0(VALU_DEP_2) | instskip(SKIP_1) | instid1(VALU_DEP_3)
	v_dual_cndmask_b32 v191, v193, v190 :: v_dual_cndmask_b32 v190, v192, v192
	v_cmp_gt_f64_e32 vcc_lo, 0, v[194:195]
	v_dual_cndmask_b32 v197, v195, v196 :: v_dual_cndmask_b32 v196, v194, v194
	s_delay_alu instid0(VALU_DEP_1)
	v_cmpx_ngt_f64_e32 v[190:191], v[196:197]
	s_xor_b32 s3, exec_lo, s3
                                        ; implicit-def: $vgpr196_vgpr197_vgpr198_vgpr199
	s_cbranch_execz .LBB95_212
; %bb.211:
	v_div_scale_f64 v[190:191], null, v[194:195], v[194:195], v[192:193]
	v_div_scale_f64 v[200:201], vcc_lo, v[192:193], v[194:195], v[192:193]
	s_delay_alu instid0(VALU_DEP_2) | instskip(SKIP_2) | instid1(VALU_DEP_1)
	v_rcp_f64_e32 v[196:197], v[190:191]
	s_waitcnt_depctr 0xfff
	v_fma_f64 v[198:199], -v[190:191], v[196:197], 1.0
	v_fma_f64 v[196:197], v[196:197], v[198:199], v[196:197]
	s_delay_alu instid0(VALU_DEP_1) | instskip(NEXT) | instid1(VALU_DEP_1)
	v_fma_f64 v[198:199], -v[190:191], v[196:197], 1.0
	v_fma_f64 v[196:197], v[196:197], v[198:199], v[196:197]
	s_delay_alu instid0(VALU_DEP_1) | instskip(NEXT) | instid1(VALU_DEP_1)
	v_mul_f64 v[198:199], v[200:201], v[196:197]
	v_fma_f64 v[190:191], -v[190:191], v[198:199], v[200:201]
	s_delay_alu instid0(VALU_DEP_1) | instskip(NEXT) | instid1(VALU_DEP_1)
	v_div_fmas_f64 v[190:191], v[190:191], v[196:197], v[198:199]
	v_div_fixup_f64 v[190:191], v[190:191], v[194:195], v[192:193]
	s_delay_alu instid0(VALU_DEP_1) | instskip(NEXT) | instid1(VALU_DEP_1)
	v_fma_f64 v[192:193], v[192:193], v[190:191], v[194:195]
	v_div_scale_f64 v[194:195], null, v[192:193], v[192:193], 1.0
	s_delay_alu instid0(VALU_DEP_1) | instskip(SKIP_2) | instid1(VALU_DEP_1)
	v_rcp_f64_e32 v[196:197], v[194:195]
	s_waitcnt_depctr 0xfff
	v_fma_f64 v[198:199], -v[194:195], v[196:197], 1.0
	v_fma_f64 v[196:197], v[196:197], v[198:199], v[196:197]
	s_delay_alu instid0(VALU_DEP_1) | instskip(NEXT) | instid1(VALU_DEP_1)
	v_fma_f64 v[198:199], -v[194:195], v[196:197], 1.0
	v_fma_f64 v[196:197], v[196:197], v[198:199], v[196:197]
	v_div_scale_f64 v[198:199], vcc_lo, 1.0, v[192:193], 1.0
	s_delay_alu instid0(VALU_DEP_1) | instskip(NEXT) | instid1(VALU_DEP_1)
	v_mul_f64 v[200:201], v[198:199], v[196:197]
	v_fma_f64 v[194:195], -v[194:195], v[200:201], v[198:199]
	s_delay_alu instid0(VALU_DEP_1) | instskip(NEXT) | instid1(VALU_DEP_1)
	v_div_fmas_f64 v[194:195], v[194:195], v[196:197], v[200:201]
	v_div_fixup_f64 v[198:199], v[194:195], v[192:193], 1.0
                                        ; implicit-def: $vgpr192_vgpr193
	s_delay_alu instid0(VALU_DEP_1)
	v_mul_f64 v[200:201], v[190:191], v[198:199]
	v_xor_b32_e32 v199, 0x80000000, v199
.LBB95_212:
	s_and_not1_saveexec_b32 s3, s3
	s_cbranch_execz .LBB95_214
; %bb.213:
	v_div_scale_f64 v[190:191], null, v[192:193], v[192:193], v[194:195]
	v_div_scale_f64 v[200:201], vcc_lo, v[194:195], v[192:193], v[194:195]
	s_delay_alu instid0(VALU_DEP_2) | instskip(SKIP_2) | instid1(VALU_DEP_1)
	v_rcp_f64_e32 v[196:197], v[190:191]
	s_waitcnt_depctr 0xfff
	v_fma_f64 v[198:199], -v[190:191], v[196:197], 1.0
	v_fma_f64 v[196:197], v[196:197], v[198:199], v[196:197]
	s_delay_alu instid0(VALU_DEP_1) | instskip(NEXT) | instid1(VALU_DEP_1)
	v_fma_f64 v[198:199], -v[190:191], v[196:197], 1.0
	v_fma_f64 v[196:197], v[196:197], v[198:199], v[196:197]
	s_delay_alu instid0(VALU_DEP_1) | instskip(NEXT) | instid1(VALU_DEP_1)
	v_mul_f64 v[198:199], v[200:201], v[196:197]
	v_fma_f64 v[190:191], -v[190:191], v[198:199], v[200:201]
	s_delay_alu instid0(VALU_DEP_1) | instskip(NEXT) | instid1(VALU_DEP_1)
	v_div_fmas_f64 v[190:191], v[190:191], v[196:197], v[198:199]
	v_div_fixup_f64 v[190:191], v[190:191], v[192:193], v[194:195]
	s_delay_alu instid0(VALU_DEP_1) | instskip(NEXT) | instid1(VALU_DEP_1)
	v_fma_f64 v[192:193], v[194:195], v[190:191], v[192:193]
	v_div_scale_f64 v[194:195], null, v[192:193], v[192:193], 1.0
	s_delay_alu instid0(VALU_DEP_1) | instskip(SKIP_2) | instid1(VALU_DEP_1)
	v_rcp_f64_e32 v[196:197], v[194:195]
	s_waitcnt_depctr 0xfff
	v_fma_f64 v[198:199], -v[194:195], v[196:197], 1.0
	v_fma_f64 v[196:197], v[196:197], v[198:199], v[196:197]
	s_delay_alu instid0(VALU_DEP_1) | instskip(NEXT) | instid1(VALU_DEP_1)
	v_fma_f64 v[198:199], -v[194:195], v[196:197], 1.0
	v_fma_f64 v[196:197], v[196:197], v[198:199], v[196:197]
	v_div_scale_f64 v[198:199], vcc_lo, 1.0, v[192:193], 1.0
	s_delay_alu instid0(VALU_DEP_1) | instskip(NEXT) | instid1(VALU_DEP_1)
	v_mul_f64 v[200:201], v[198:199], v[196:197]
	v_fma_f64 v[194:195], -v[194:195], v[200:201], v[198:199]
	s_delay_alu instid0(VALU_DEP_1) | instskip(NEXT) | instid1(VALU_DEP_1)
	v_div_fmas_f64 v[194:195], v[194:195], v[196:197], v[200:201]
	v_div_fixup_f64 v[200:201], v[194:195], v[192:193], 1.0
	s_delay_alu instid0(VALU_DEP_1)
	v_mul_f64 v[198:199], v[190:191], -v[200:201]
.LBB95_214:
	s_or_b32 exec_lo, exec_lo, s3
	ds_store_2addr_b64 v188, v[200:201], v[198:199] offset1:1
.LBB95_215:
	s_or_b32 exec_lo, exec_lo, s4
	s_waitcnt lgkmcnt(0)
	s_barrier
	buffer_gl0_inv
	ds_load_2addr_b64 v[190:193], v188 offset1:1
	s_mov_b32 s3, exec_lo
	s_waitcnt lgkmcnt(0)
	scratch_store_b128 off, v[190:193], off offset:768 ; 16-byte Folded Spill
	v_cmpx_lt_u32_e32 23, v252
	s_cbranch_execz .LBB95_217
; %bb.216:
	scratch_load_b128 v[194:197], off, off offset:768 ; 16-byte Folded Reload
	s_waitcnt vmcnt(0)
	v_mul_f64 v[190:191], v[196:197], v[98:99]
	v_mul_f64 v[98:99], v[194:195], v[98:99]
	s_delay_alu instid0(VALU_DEP_2) | instskip(NEXT) | instid1(VALU_DEP_2)
	v_fma_f64 v[192:193], v[194:195], v[96:97], -v[190:191]
	v_fma_f64 v[98:99], v[196:197], v[96:97], v[98:99]
	ds_load_2addr_b64 v[194:197], v189 offset0:48 offset1:49
	s_waitcnt lgkmcnt(0)
	v_mul_f64 v[96:97], v[196:197], v[98:99]
	v_mul_f64 v[190:191], v[194:195], v[98:99]
	s_delay_alu instid0(VALU_DEP_2) | instskip(NEXT) | instid1(VALU_DEP_2)
	v_fma_f64 v[96:97], v[194:195], v[192:193], -v[96:97]
	v_fma_f64 v[190:191], v[196:197], v[192:193], v[190:191]
	ds_load_2addr_b64 v[194:197], v189 offset0:50 offset1:51
	v_add_f64 v[92:93], v[92:93], -v[96:97]
	v_add_f64 v[94:95], v[94:95], -v[190:191]
	s_waitcnt lgkmcnt(0)
	v_mul_f64 v[96:97], v[196:197], v[98:99]
	v_mul_f64 v[190:191], v[194:195], v[98:99]
	s_delay_alu instid0(VALU_DEP_2) | instskip(NEXT) | instid1(VALU_DEP_2)
	v_fma_f64 v[96:97], v[194:195], v[192:193], -v[96:97]
	v_fma_f64 v[190:191], v[196:197], v[192:193], v[190:191]
	ds_load_2addr_b64 v[194:197], v189 offset0:52 offset1:53
	v_add_f64 v[88:89], v[88:89], -v[96:97]
	v_add_f64 v[90:91], v[90:91], -v[190:191]
	;; [unrolled: 9-line block ×23, first 2 shown]
	s_waitcnt lgkmcnt(0)
	v_mul_f64 v[96:97], v[196:197], v[98:99]
	v_mul_f64 v[190:191], v[194:195], v[98:99]
	s_delay_alu instid0(VALU_DEP_2) | instskip(NEXT) | instid1(VALU_DEP_2)
	v_fma_f64 v[96:97], v[194:195], v[192:193], -v[96:97]
	v_fma_f64 v[190:191], v[196:197], v[192:193], v[190:191]
	s_delay_alu instid0(VALU_DEP_2) | instskip(NEXT) | instid1(VALU_DEP_2)
	v_add_f64 v[0:1], v[0:1], -v[96:97]
	v_add_f64 v[2:3], v[2:3], -v[190:191]
	v_dual_mov_b32 v96, v192 :: v_dual_mov_b32 v97, v193
.LBB95_217:
	s_or_b32 exec_lo, exec_lo, s3
	s_delay_alu instid0(SALU_CYCLE_1)
	s_mov_b32 s4, exec_lo
	s_waitcnt_vscnt null, 0x0
	s_barrier
	buffer_gl0_inv
	v_cmpx_eq_u32_e32 24, v252
	s_cbranch_execz .LBB95_224
; %bb.218:
	ds_store_2addr_b64 v188, v[92:93], v[94:95] offset1:1
	ds_store_2addr_b64 v189, v[88:89], v[90:91] offset0:50 offset1:51
	ds_store_2addr_b64 v189, v[84:85], v[86:87] offset0:52 offset1:53
	;; [unrolled: 1-line block ×23, first 2 shown]
	ds_load_2addr_b64 v[192:195], v188 offset1:1
	s_waitcnt lgkmcnt(0)
	v_cmp_neq_f64_e32 vcc_lo, 0, v[192:193]
	v_cmp_neq_f64_e64 s3, 0, v[194:195]
	s_delay_alu instid0(VALU_DEP_1) | instskip(NEXT) | instid1(SALU_CYCLE_1)
	s_or_b32 s3, vcc_lo, s3
	s_and_b32 exec_lo, exec_lo, s3
	s_cbranch_execz .LBB95_224
; %bb.219:
	v_cmp_gt_f64_e32 vcc_lo, 0, v[192:193]
	v_xor_b32_e32 v190, 0x80000000, v193
	v_xor_b32_e32 v196, 0x80000000, v195
	s_mov_b32 s3, exec_lo
                                        ; implicit-def: $vgpr200_vgpr201
	s_delay_alu instid0(VALU_DEP_2) | instskip(SKIP_1) | instid1(VALU_DEP_3)
	v_dual_cndmask_b32 v191, v193, v190 :: v_dual_cndmask_b32 v190, v192, v192
	v_cmp_gt_f64_e32 vcc_lo, 0, v[194:195]
	v_dual_cndmask_b32 v197, v195, v196 :: v_dual_cndmask_b32 v196, v194, v194
	s_delay_alu instid0(VALU_DEP_1)
	v_cmpx_ngt_f64_e32 v[190:191], v[196:197]
	s_xor_b32 s3, exec_lo, s3
                                        ; implicit-def: $vgpr196_vgpr197_vgpr198_vgpr199
	s_cbranch_execz .LBB95_221
; %bb.220:
	v_div_scale_f64 v[190:191], null, v[194:195], v[194:195], v[192:193]
	v_div_scale_f64 v[200:201], vcc_lo, v[192:193], v[194:195], v[192:193]
	s_delay_alu instid0(VALU_DEP_2) | instskip(SKIP_2) | instid1(VALU_DEP_1)
	v_rcp_f64_e32 v[196:197], v[190:191]
	s_waitcnt_depctr 0xfff
	v_fma_f64 v[198:199], -v[190:191], v[196:197], 1.0
	v_fma_f64 v[196:197], v[196:197], v[198:199], v[196:197]
	s_delay_alu instid0(VALU_DEP_1) | instskip(NEXT) | instid1(VALU_DEP_1)
	v_fma_f64 v[198:199], -v[190:191], v[196:197], 1.0
	v_fma_f64 v[196:197], v[196:197], v[198:199], v[196:197]
	s_delay_alu instid0(VALU_DEP_1) | instskip(NEXT) | instid1(VALU_DEP_1)
	v_mul_f64 v[198:199], v[200:201], v[196:197]
	v_fma_f64 v[190:191], -v[190:191], v[198:199], v[200:201]
	s_delay_alu instid0(VALU_DEP_1) | instskip(NEXT) | instid1(VALU_DEP_1)
	v_div_fmas_f64 v[190:191], v[190:191], v[196:197], v[198:199]
	v_div_fixup_f64 v[190:191], v[190:191], v[194:195], v[192:193]
	s_delay_alu instid0(VALU_DEP_1) | instskip(NEXT) | instid1(VALU_DEP_1)
	v_fma_f64 v[192:193], v[192:193], v[190:191], v[194:195]
	v_div_scale_f64 v[194:195], null, v[192:193], v[192:193], 1.0
	s_delay_alu instid0(VALU_DEP_1) | instskip(SKIP_2) | instid1(VALU_DEP_1)
	v_rcp_f64_e32 v[196:197], v[194:195]
	s_waitcnt_depctr 0xfff
	v_fma_f64 v[198:199], -v[194:195], v[196:197], 1.0
	v_fma_f64 v[196:197], v[196:197], v[198:199], v[196:197]
	s_delay_alu instid0(VALU_DEP_1) | instskip(NEXT) | instid1(VALU_DEP_1)
	v_fma_f64 v[198:199], -v[194:195], v[196:197], 1.0
	v_fma_f64 v[196:197], v[196:197], v[198:199], v[196:197]
	v_div_scale_f64 v[198:199], vcc_lo, 1.0, v[192:193], 1.0
	s_delay_alu instid0(VALU_DEP_1) | instskip(NEXT) | instid1(VALU_DEP_1)
	v_mul_f64 v[200:201], v[198:199], v[196:197]
	v_fma_f64 v[194:195], -v[194:195], v[200:201], v[198:199]
	s_delay_alu instid0(VALU_DEP_1) | instskip(NEXT) | instid1(VALU_DEP_1)
	v_div_fmas_f64 v[194:195], v[194:195], v[196:197], v[200:201]
	v_div_fixup_f64 v[198:199], v[194:195], v[192:193], 1.0
                                        ; implicit-def: $vgpr192_vgpr193
	s_delay_alu instid0(VALU_DEP_1)
	v_mul_f64 v[200:201], v[190:191], v[198:199]
	v_xor_b32_e32 v199, 0x80000000, v199
.LBB95_221:
	s_and_not1_saveexec_b32 s3, s3
	s_cbranch_execz .LBB95_223
; %bb.222:
	v_div_scale_f64 v[190:191], null, v[192:193], v[192:193], v[194:195]
	v_div_scale_f64 v[200:201], vcc_lo, v[194:195], v[192:193], v[194:195]
	s_delay_alu instid0(VALU_DEP_2) | instskip(SKIP_2) | instid1(VALU_DEP_1)
	v_rcp_f64_e32 v[196:197], v[190:191]
	s_waitcnt_depctr 0xfff
	v_fma_f64 v[198:199], -v[190:191], v[196:197], 1.0
	v_fma_f64 v[196:197], v[196:197], v[198:199], v[196:197]
	s_delay_alu instid0(VALU_DEP_1) | instskip(NEXT) | instid1(VALU_DEP_1)
	v_fma_f64 v[198:199], -v[190:191], v[196:197], 1.0
	v_fma_f64 v[196:197], v[196:197], v[198:199], v[196:197]
	s_delay_alu instid0(VALU_DEP_1) | instskip(NEXT) | instid1(VALU_DEP_1)
	v_mul_f64 v[198:199], v[200:201], v[196:197]
	v_fma_f64 v[190:191], -v[190:191], v[198:199], v[200:201]
	s_delay_alu instid0(VALU_DEP_1) | instskip(NEXT) | instid1(VALU_DEP_1)
	v_div_fmas_f64 v[190:191], v[190:191], v[196:197], v[198:199]
	v_div_fixup_f64 v[190:191], v[190:191], v[192:193], v[194:195]
	s_delay_alu instid0(VALU_DEP_1) | instskip(NEXT) | instid1(VALU_DEP_1)
	v_fma_f64 v[192:193], v[194:195], v[190:191], v[192:193]
	v_div_scale_f64 v[194:195], null, v[192:193], v[192:193], 1.0
	s_delay_alu instid0(VALU_DEP_1) | instskip(SKIP_2) | instid1(VALU_DEP_1)
	v_rcp_f64_e32 v[196:197], v[194:195]
	s_waitcnt_depctr 0xfff
	v_fma_f64 v[198:199], -v[194:195], v[196:197], 1.0
	v_fma_f64 v[196:197], v[196:197], v[198:199], v[196:197]
	s_delay_alu instid0(VALU_DEP_1) | instskip(NEXT) | instid1(VALU_DEP_1)
	v_fma_f64 v[198:199], -v[194:195], v[196:197], 1.0
	v_fma_f64 v[196:197], v[196:197], v[198:199], v[196:197]
	v_div_scale_f64 v[198:199], vcc_lo, 1.0, v[192:193], 1.0
	s_delay_alu instid0(VALU_DEP_1) | instskip(NEXT) | instid1(VALU_DEP_1)
	v_mul_f64 v[200:201], v[198:199], v[196:197]
	v_fma_f64 v[194:195], -v[194:195], v[200:201], v[198:199]
	s_delay_alu instid0(VALU_DEP_1) | instskip(NEXT) | instid1(VALU_DEP_1)
	v_div_fmas_f64 v[194:195], v[194:195], v[196:197], v[200:201]
	v_div_fixup_f64 v[200:201], v[194:195], v[192:193], 1.0
	s_delay_alu instid0(VALU_DEP_1)
	v_mul_f64 v[198:199], v[190:191], -v[200:201]
.LBB95_223:
	s_or_b32 exec_lo, exec_lo, s3
	ds_store_2addr_b64 v188, v[200:201], v[198:199] offset1:1
.LBB95_224:
	s_or_b32 exec_lo, exec_lo, s4
	s_waitcnt lgkmcnt(0)
	s_barrier
	buffer_gl0_inv
	ds_load_2addr_b64 v[190:193], v188 offset1:1
	s_mov_b32 s3, exec_lo
	s_waitcnt lgkmcnt(0)
	scratch_store_b128 off, v[190:193], off offset:784 ; 16-byte Folded Spill
	v_cmpx_lt_u32_e32 24, v252
	s_cbranch_execz .LBB95_226
; %bb.225:
	scratch_load_b128 v[194:197], off, off offset:784 ; 16-byte Folded Reload
	s_waitcnt vmcnt(0)
	v_mul_f64 v[190:191], v[196:197], v[94:95]
	v_mul_f64 v[94:95], v[194:195], v[94:95]
	s_delay_alu instid0(VALU_DEP_2) | instskip(NEXT) | instid1(VALU_DEP_2)
	v_fma_f64 v[192:193], v[194:195], v[92:93], -v[190:191]
	v_fma_f64 v[94:95], v[196:197], v[92:93], v[94:95]
	ds_load_2addr_b64 v[194:197], v189 offset0:50 offset1:51
	s_waitcnt lgkmcnt(0)
	v_mul_f64 v[92:93], v[196:197], v[94:95]
	v_mul_f64 v[190:191], v[194:195], v[94:95]
	s_delay_alu instid0(VALU_DEP_2) | instskip(NEXT) | instid1(VALU_DEP_2)
	v_fma_f64 v[92:93], v[194:195], v[192:193], -v[92:93]
	v_fma_f64 v[190:191], v[196:197], v[192:193], v[190:191]
	ds_load_2addr_b64 v[194:197], v189 offset0:52 offset1:53
	v_add_f64 v[88:89], v[88:89], -v[92:93]
	v_add_f64 v[90:91], v[90:91], -v[190:191]
	s_waitcnt lgkmcnt(0)
	v_mul_f64 v[92:93], v[196:197], v[94:95]
	v_mul_f64 v[190:191], v[194:195], v[94:95]
	s_delay_alu instid0(VALU_DEP_2) | instskip(NEXT) | instid1(VALU_DEP_2)
	v_fma_f64 v[92:93], v[194:195], v[192:193], -v[92:93]
	v_fma_f64 v[190:191], v[196:197], v[192:193], v[190:191]
	ds_load_2addr_b64 v[194:197], v189 offset0:54 offset1:55
	v_add_f64 v[84:85], v[84:85], -v[92:93]
	v_add_f64 v[86:87], v[86:87], -v[190:191]
	;; [unrolled: 9-line block ×22, first 2 shown]
	s_waitcnt lgkmcnt(0)
	v_mul_f64 v[92:93], v[196:197], v[94:95]
	v_mul_f64 v[190:191], v[194:195], v[94:95]
	s_delay_alu instid0(VALU_DEP_2) | instskip(NEXT) | instid1(VALU_DEP_2)
	v_fma_f64 v[92:93], v[194:195], v[192:193], -v[92:93]
	v_fma_f64 v[190:191], v[196:197], v[192:193], v[190:191]
	s_delay_alu instid0(VALU_DEP_2) | instskip(NEXT) | instid1(VALU_DEP_2)
	v_add_f64 v[0:1], v[0:1], -v[92:93]
	v_add_f64 v[2:3], v[2:3], -v[190:191]
	v_dual_mov_b32 v92, v192 :: v_dual_mov_b32 v93, v193
.LBB95_226:
	s_or_b32 exec_lo, exec_lo, s3
	s_delay_alu instid0(SALU_CYCLE_1)
	s_mov_b32 s4, exec_lo
	s_waitcnt_vscnt null, 0x0
	s_barrier
	buffer_gl0_inv
	v_cmpx_eq_u32_e32 25, v252
	s_cbranch_execz .LBB95_233
; %bb.227:
	ds_store_2addr_b64 v188, v[88:89], v[90:91] offset1:1
	ds_store_2addr_b64 v189, v[84:85], v[86:87] offset0:52 offset1:53
	ds_store_2addr_b64 v189, v[80:81], v[82:83] offset0:54 offset1:55
	;; [unrolled: 1-line block ×22, first 2 shown]
	ds_load_2addr_b64 v[192:195], v188 offset1:1
	s_waitcnt lgkmcnt(0)
	v_cmp_neq_f64_e32 vcc_lo, 0, v[192:193]
	v_cmp_neq_f64_e64 s3, 0, v[194:195]
	s_delay_alu instid0(VALU_DEP_1) | instskip(NEXT) | instid1(SALU_CYCLE_1)
	s_or_b32 s3, vcc_lo, s3
	s_and_b32 exec_lo, exec_lo, s3
	s_cbranch_execz .LBB95_233
; %bb.228:
	v_cmp_gt_f64_e32 vcc_lo, 0, v[192:193]
	v_xor_b32_e32 v190, 0x80000000, v193
	v_xor_b32_e32 v196, 0x80000000, v195
	s_mov_b32 s3, exec_lo
                                        ; implicit-def: $vgpr200_vgpr201
	s_delay_alu instid0(VALU_DEP_2) | instskip(SKIP_1) | instid1(VALU_DEP_3)
	v_dual_cndmask_b32 v191, v193, v190 :: v_dual_cndmask_b32 v190, v192, v192
	v_cmp_gt_f64_e32 vcc_lo, 0, v[194:195]
	v_dual_cndmask_b32 v197, v195, v196 :: v_dual_cndmask_b32 v196, v194, v194
	s_delay_alu instid0(VALU_DEP_1)
	v_cmpx_ngt_f64_e32 v[190:191], v[196:197]
	s_xor_b32 s3, exec_lo, s3
                                        ; implicit-def: $vgpr196_vgpr197_vgpr198_vgpr199
	s_cbranch_execz .LBB95_230
; %bb.229:
	v_div_scale_f64 v[190:191], null, v[194:195], v[194:195], v[192:193]
	v_div_scale_f64 v[200:201], vcc_lo, v[192:193], v[194:195], v[192:193]
	s_delay_alu instid0(VALU_DEP_2) | instskip(SKIP_2) | instid1(VALU_DEP_1)
	v_rcp_f64_e32 v[196:197], v[190:191]
	s_waitcnt_depctr 0xfff
	v_fma_f64 v[198:199], -v[190:191], v[196:197], 1.0
	v_fma_f64 v[196:197], v[196:197], v[198:199], v[196:197]
	s_delay_alu instid0(VALU_DEP_1) | instskip(NEXT) | instid1(VALU_DEP_1)
	v_fma_f64 v[198:199], -v[190:191], v[196:197], 1.0
	v_fma_f64 v[196:197], v[196:197], v[198:199], v[196:197]
	s_delay_alu instid0(VALU_DEP_1) | instskip(NEXT) | instid1(VALU_DEP_1)
	v_mul_f64 v[198:199], v[200:201], v[196:197]
	v_fma_f64 v[190:191], -v[190:191], v[198:199], v[200:201]
	s_delay_alu instid0(VALU_DEP_1) | instskip(NEXT) | instid1(VALU_DEP_1)
	v_div_fmas_f64 v[190:191], v[190:191], v[196:197], v[198:199]
	v_div_fixup_f64 v[190:191], v[190:191], v[194:195], v[192:193]
	s_delay_alu instid0(VALU_DEP_1) | instskip(NEXT) | instid1(VALU_DEP_1)
	v_fma_f64 v[192:193], v[192:193], v[190:191], v[194:195]
	v_div_scale_f64 v[194:195], null, v[192:193], v[192:193], 1.0
	s_delay_alu instid0(VALU_DEP_1) | instskip(SKIP_2) | instid1(VALU_DEP_1)
	v_rcp_f64_e32 v[196:197], v[194:195]
	s_waitcnt_depctr 0xfff
	v_fma_f64 v[198:199], -v[194:195], v[196:197], 1.0
	v_fma_f64 v[196:197], v[196:197], v[198:199], v[196:197]
	s_delay_alu instid0(VALU_DEP_1) | instskip(NEXT) | instid1(VALU_DEP_1)
	v_fma_f64 v[198:199], -v[194:195], v[196:197], 1.0
	v_fma_f64 v[196:197], v[196:197], v[198:199], v[196:197]
	v_div_scale_f64 v[198:199], vcc_lo, 1.0, v[192:193], 1.0
	s_delay_alu instid0(VALU_DEP_1) | instskip(NEXT) | instid1(VALU_DEP_1)
	v_mul_f64 v[200:201], v[198:199], v[196:197]
	v_fma_f64 v[194:195], -v[194:195], v[200:201], v[198:199]
	s_delay_alu instid0(VALU_DEP_1) | instskip(NEXT) | instid1(VALU_DEP_1)
	v_div_fmas_f64 v[194:195], v[194:195], v[196:197], v[200:201]
	v_div_fixup_f64 v[198:199], v[194:195], v[192:193], 1.0
                                        ; implicit-def: $vgpr192_vgpr193
	s_delay_alu instid0(VALU_DEP_1)
	v_mul_f64 v[200:201], v[190:191], v[198:199]
	v_xor_b32_e32 v199, 0x80000000, v199
.LBB95_230:
	s_and_not1_saveexec_b32 s3, s3
	s_cbranch_execz .LBB95_232
; %bb.231:
	v_div_scale_f64 v[190:191], null, v[192:193], v[192:193], v[194:195]
	v_div_scale_f64 v[200:201], vcc_lo, v[194:195], v[192:193], v[194:195]
	s_delay_alu instid0(VALU_DEP_2) | instskip(SKIP_2) | instid1(VALU_DEP_1)
	v_rcp_f64_e32 v[196:197], v[190:191]
	s_waitcnt_depctr 0xfff
	v_fma_f64 v[198:199], -v[190:191], v[196:197], 1.0
	v_fma_f64 v[196:197], v[196:197], v[198:199], v[196:197]
	s_delay_alu instid0(VALU_DEP_1) | instskip(NEXT) | instid1(VALU_DEP_1)
	v_fma_f64 v[198:199], -v[190:191], v[196:197], 1.0
	v_fma_f64 v[196:197], v[196:197], v[198:199], v[196:197]
	s_delay_alu instid0(VALU_DEP_1) | instskip(NEXT) | instid1(VALU_DEP_1)
	v_mul_f64 v[198:199], v[200:201], v[196:197]
	v_fma_f64 v[190:191], -v[190:191], v[198:199], v[200:201]
	s_delay_alu instid0(VALU_DEP_1) | instskip(NEXT) | instid1(VALU_DEP_1)
	v_div_fmas_f64 v[190:191], v[190:191], v[196:197], v[198:199]
	v_div_fixup_f64 v[190:191], v[190:191], v[192:193], v[194:195]
	s_delay_alu instid0(VALU_DEP_1) | instskip(NEXT) | instid1(VALU_DEP_1)
	v_fma_f64 v[192:193], v[194:195], v[190:191], v[192:193]
	v_div_scale_f64 v[194:195], null, v[192:193], v[192:193], 1.0
	s_delay_alu instid0(VALU_DEP_1) | instskip(SKIP_2) | instid1(VALU_DEP_1)
	v_rcp_f64_e32 v[196:197], v[194:195]
	s_waitcnt_depctr 0xfff
	v_fma_f64 v[198:199], -v[194:195], v[196:197], 1.0
	v_fma_f64 v[196:197], v[196:197], v[198:199], v[196:197]
	s_delay_alu instid0(VALU_DEP_1) | instskip(NEXT) | instid1(VALU_DEP_1)
	v_fma_f64 v[198:199], -v[194:195], v[196:197], 1.0
	v_fma_f64 v[196:197], v[196:197], v[198:199], v[196:197]
	v_div_scale_f64 v[198:199], vcc_lo, 1.0, v[192:193], 1.0
	s_delay_alu instid0(VALU_DEP_1) | instskip(NEXT) | instid1(VALU_DEP_1)
	v_mul_f64 v[200:201], v[198:199], v[196:197]
	v_fma_f64 v[194:195], -v[194:195], v[200:201], v[198:199]
	s_delay_alu instid0(VALU_DEP_1) | instskip(NEXT) | instid1(VALU_DEP_1)
	v_div_fmas_f64 v[194:195], v[194:195], v[196:197], v[200:201]
	v_div_fixup_f64 v[200:201], v[194:195], v[192:193], 1.0
	s_delay_alu instid0(VALU_DEP_1)
	v_mul_f64 v[198:199], v[190:191], -v[200:201]
.LBB95_232:
	s_or_b32 exec_lo, exec_lo, s3
	ds_store_2addr_b64 v188, v[200:201], v[198:199] offset1:1
.LBB95_233:
	s_or_b32 exec_lo, exec_lo, s4
	s_waitcnt lgkmcnt(0)
	s_barrier
	buffer_gl0_inv
	ds_load_2addr_b64 v[190:193], v188 offset1:1
	s_mov_b32 s3, exec_lo
	s_waitcnt lgkmcnt(0)
	scratch_store_b128 off, v[190:193], off offset:800 ; 16-byte Folded Spill
	v_cmpx_lt_u32_e32 25, v252
	s_cbranch_execz .LBB95_235
; %bb.234:
	scratch_load_b128 v[194:197], off, off offset:800 ; 16-byte Folded Reload
	s_waitcnt vmcnt(0)
	v_mul_f64 v[190:191], v[196:197], v[90:91]
	v_mul_f64 v[90:91], v[194:195], v[90:91]
	s_delay_alu instid0(VALU_DEP_2) | instskip(NEXT) | instid1(VALU_DEP_2)
	v_fma_f64 v[192:193], v[194:195], v[88:89], -v[190:191]
	v_fma_f64 v[90:91], v[196:197], v[88:89], v[90:91]
	ds_load_2addr_b64 v[194:197], v189 offset0:52 offset1:53
	s_waitcnt lgkmcnt(0)
	v_mul_f64 v[88:89], v[196:197], v[90:91]
	v_mul_f64 v[190:191], v[194:195], v[90:91]
	s_delay_alu instid0(VALU_DEP_2) | instskip(NEXT) | instid1(VALU_DEP_2)
	v_fma_f64 v[88:89], v[194:195], v[192:193], -v[88:89]
	v_fma_f64 v[190:191], v[196:197], v[192:193], v[190:191]
	ds_load_2addr_b64 v[194:197], v189 offset0:54 offset1:55
	v_add_f64 v[84:85], v[84:85], -v[88:89]
	v_add_f64 v[86:87], v[86:87], -v[190:191]
	s_waitcnt lgkmcnt(0)
	v_mul_f64 v[88:89], v[196:197], v[90:91]
	v_mul_f64 v[190:191], v[194:195], v[90:91]
	s_delay_alu instid0(VALU_DEP_2) | instskip(NEXT) | instid1(VALU_DEP_2)
	v_fma_f64 v[88:89], v[194:195], v[192:193], -v[88:89]
	v_fma_f64 v[190:191], v[196:197], v[192:193], v[190:191]
	ds_load_2addr_b64 v[194:197], v189 offset0:56 offset1:57
	v_add_f64 v[80:81], v[80:81], -v[88:89]
	v_add_f64 v[82:83], v[82:83], -v[190:191]
	;; [unrolled: 9-line block ×21, first 2 shown]
	s_waitcnt lgkmcnt(0)
	v_mul_f64 v[88:89], v[196:197], v[90:91]
	v_mul_f64 v[190:191], v[194:195], v[90:91]
	s_delay_alu instid0(VALU_DEP_2) | instskip(NEXT) | instid1(VALU_DEP_2)
	v_fma_f64 v[88:89], v[194:195], v[192:193], -v[88:89]
	v_fma_f64 v[190:191], v[196:197], v[192:193], v[190:191]
	s_delay_alu instid0(VALU_DEP_2) | instskip(NEXT) | instid1(VALU_DEP_2)
	v_add_f64 v[0:1], v[0:1], -v[88:89]
	v_add_f64 v[2:3], v[2:3], -v[190:191]
	v_dual_mov_b32 v88, v192 :: v_dual_mov_b32 v89, v193
.LBB95_235:
	s_or_b32 exec_lo, exec_lo, s3
	s_delay_alu instid0(SALU_CYCLE_1)
	s_mov_b32 s4, exec_lo
	s_waitcnt_vscnt null, 0x0
	s_barrier
	buffer_gl0_inv
	v_cmpx_eq_u32_e32 26, v252
	s_cbranch_execz .LBB95_242
; %bb.236:
	ds_store_2addr_b64 v188, v[84:85], v[86:87] offset1:1
	ds_store_2addr_b64 v189, v[80:81], v[82:83] offset0:54 offset1:55
	ds_store_2addr_b64 v189, v[76:77], v[78:79] offset0:56 offset1:57
	;; [unrolled: 1-line block ×21, first 2 shown]
	ds_load_2addr_b64 v[192:195], v188 offset1:1
	s_waitcnt lgkmcnt(0)
	v_cmp_neq_f64_e32 vcc_lo, 0, v[192:193]
	v_cmp_neq_f64_e64 s3, 0, v[194:195]
	s_delay_alu instid0(VALU_DEP_1) | instskip(NEXT) | instid1(SALU_CYCLE_1)
	s_or_b32 s3, vcc_lo, s3
	s_and_b32 exec_lo, exec_lo, s3
	s_cbranch_execz .LBB95_242
; %bb.237:
	v_cmp_gt_f64_e32 vcc_lo, 0, v[192:193]
	v_xor_b32_e32 v190, 0x80000000, v193
	v_xor_b32_e32 v196, 0x80000000, v195
	s_mov_b32 s3, exec_lo
                                        ; implicit-def: $vgpr200_vgpr201
	s_delay_alu instid0(VALU_DEP_2) | instskip(SKIP_1) | instid1(VALU_DEP_3)
	v_dual_cndmask_b32 v191, v193, v190 :: v_dual_cndmask_b32 v190, v192, v192
	v_cmp_gt_f64_e32 vcc_lo, 0, v[194:195]
	v_dual_cndmask_b32 v197, v195, v196 :: v_dual_cndmask_b32 v196, v194, v194
	s_delay_alu instid0(VALU_DEP_1)
	v_cmpx_ngt_f64_e32 v[190:191], v[196:197]
	s_xor_b32 s3, exec_lo, s3
                                        ; implicit-def: $vgpr196_vgpr197_vgpr198_vgpr199
	s_cbranch_execz .LBB95_239
; %bb.238:
	v_div_scale_f64 v[190:191], null, v[194:195], v[194:195], v[192:193]
	v_div_scale_f64 v[200:201], vcc_lo, v[192:193], v[194:195], v[192:193]
	s_delay_alu instid0(VALU_DEP_2) | instskip(SKIP_2) | instid1(VALU_DEP_1)
	v_rcp_f64_e32 v[196:197], v[190:191]
	s_waitcnt_depctr 0xfff
	v_fma_f64 v[198:199], -v[190:191], v[196:197], 1.0
	v_fma_f64 v[196:197], v[196:197], v[198:199], v[196:197]
	s_delay_alu instid0(VALU_DEP_1) | instskip(NEXT) | instid1(VALU_DEP_1)
	v_fma_f64 v[198:199], -v[190:191], v[196:197], 1.0
	v_fma_f64 v[196:197], v[196:197], v[198:199], v[196:197]
	s_delay_alu instid0(VALU_DEP_1) | instskip(NEXT) | instid1(VALU_DEP_1)
	v_mul_f64 v[198:199], v[200:201], v[196:197]
	v_fma_f64 v[190:191], -v[190:191], v[198:199], v[200:201]
	s_delay_alu instid0(VALU_DEP_1) | instskip(NEXT) | instid1(VALU_DEP_1)
	v_div_fmas_f64 v[190:191], v[190:191], v[196:197], v[198:199]
	v_div_fixup_f64 v[190:191], v[190:191], v[194:195], v[192:193]
	s_delay_alu instid0(VALU_DEP_1) | instskip(NEXT) | instid1(VALU_DEP_1)
	v_fma_f64 v[192:193], v[192:193], v[190:191], v[194:195]
	v_div_scale_f64 v[194:195], null, v[192:193], v[192:193], 1.0
	s_delay_alu instid0(VALU_DEP_1) | instskip(SKIP_2) | instid1(VALU_DEP_1)
	v_rcp_f64_e32 v[196:197], v[194:195]
	s_waitcnt_depctr 0xfff
	v_fma_f64 v[198:199], -v[194:195], v[196:197], 1.0
	v_fma_f64 v[196:197], v[196:197], v[198:199], v[196:197]
	s_delay_alu instid0(VALU_DEP_1) | instskip(NEXT) | instid1(VALU_DEP_1)
	v_fma_f64 v[198:199], -v[194:195], v[196:197], 1.0
	v_fma_f64 v[196:197], v[196:197], v[198:199], v[196:197]
	v_div_scale_f64 v[198:199], vcc_lo, 1.0, v[192:193], 1.0
	s_delay_alu instid0(VALU_DEP_1) | instskip(NEXT) | instid1(VALU_DEP_1)
	v_mul_f64 v[200:201], v[198:199], v[196:197]
	v_fma_f64 v[194:195], -v[194:195], v[200:201], v[198:199]
	s_delay_alu instid0(VALU_DEP_1) | instskip(NEXT) | instid1(VALU_DEP_1)
	v_div_fmas_f64 v[194:195], v[194:195], v[196:197], v[200:201]
	v_div_fixup_f64 v[198:199], v[194:195], v[192:193], 1.0
                                        ; implicit-def: $vgpr192_vgpr193
	s_delay_alu instid0(VALU_DEP_1)
	v_mul_f64 v[200:201], v[190:191], v[198:199]
	v_xor_b32_e32 v199, 0x80000000, v199
.LBB95_239:
	s_and_not1_saveexec_b32 s3, s3
	s_cbranch_execz .LBB95_241
; %bb.240:
	v_div_scale_f64 v[190:191], null, v[192:193], v[192:193], v[194:195]
	v_div_scale_f64 v[200:201], vcc_lo, v[194:195], v[192:193], v[194:195]
	s_delay_alu instid0(VALU_DEP_2) | instskip(SKIP_2) | instid1(VALU_DEP_1)
	v_rcp_f64_e32 v[196:197], v[190:191]
	s_waitcnt_depctr 0xfff
	v_fma_f64 v[198:199], -v[190:191], v[196:197], 1.0
	v_fma_f64 v[196:197], v[196:197], v[198:199], v[196:197]
	s_delay_alu instid0(VALU_DEP_1) | instskip(NEXT) | instid1(VALU_DEP_1)
	v_fma_f64 v[198:199], -v[190:191], v[196:197], 1.0
	v_fma_f64 v[196:197], v[196:197], v[198:199], v[196:197]
	s_delay_alu instid0(VALU_DEP_1) | instskip(NEXT) | instid1(VALU_DEP_1)
	v_mul_f64 v[198:199], v[200:201], v[196:197]
	v_fma_f64 v[190:191], -v[190:191], v[198:199], v[200:201]
	s_delay_alu instid0(VALU_DEP_1) | instskip(NEXT) | instid1(VALU_DEP_1)
	v_div_fmas_f64 v[190:191], v[190:191], v[196:197], v[198:199]
	v_div_fixup_f64 v[190:191], v[190:191], v[192:193], v[194:195]
	s_delay_alu instid0(VALU_DEP_1) | instskip(NEXT) | instid1(VALU_DEP_1)
	v_fma_f64 v[192:193], v[194:195], v[190:191], v[192:193]
	v_div_scale_f64 v[194:195], null, v[192:193], v[192:193], 1.0
	s_delay_alu instid0(VALU_DEP_1) | instskip(SKIP_2) | instid1(VALU_DEP_1)
	v_rcp_f64_e32 v[196:197], v[194:195]
	s_waitcnt_depctr 0xfff
	v_fma_f64 v[198:199], -v[194:195], v[196:197], 1.0
	v_fma_f64 v[196:197], v[196:197], v[198:199], v[196:197]
	s_delay_alu instid0(VALU_DEP_1) | instskip(NEXT) | instid1(VALU_DEP_1)
	v_fma_f64 v[198:199], -v[194:195], v[196:197], 1.0
	v_fma_f64 v[196:197], v[196:197], v[198:199], v[196:197]
	v_div_scale_f64 v[198:199], vcc_lo, 1.0, v[192:193], 1.0
	s_delay_alu instid0(VALU_DEP_1) | instskip(NEXT) | instid1(VALU_DEP_1)
	v_mul_f64 v[200:201], v[198:199], v[196:197]
	v_fma_f64 v[194:195], -v[194:195], v[200:201], v[198:199]
	s_delay_alu instid0(VALU_DEP_1) | instskip(NEXT) | instid1(VALU_DEP_1)
	v_div_fmas_f64 v[194:195], v[194:195], v[196:197], v[200:201]
	v_div_fixup_f64 v[200:201], v[194:195], v[192:193], 1.0
	s_delay_alu instid0(VALU_DEP_1)
	v_mul_f64 v[198:199], v[190:191], -v[200:201]
.LBB95_241:
	s_or_b32 exec_lo, exec_lo, s3
	ds_store_2addr_b64 v188, v[200:201], v[198:199] offset1:1
.LBB95_242:
	s_or_b32 exec_lo, exec_lo, s4
	s_waitcnt lgkmcnt(0)
	s_barrier
	buffer_gl0_inv
	ds_load_2addr_b64 v[190:193], v188 offset1:1
	s_mov_b32 s3, exec_lo
	s_waitcnt lgkmcnt(0)
	scratch_store_b128 off, v[190:193], off offset:816 ; 16-byte Folded Spill
	v_cmpx_lt_u32_e32 26, v252
	s_cbranch_execz .LBB95_244
; %bb.243:
	scratch_load_b128 v[194:197], off, off offset:816 ; 16-byte Folded Reload
	s_waitcnt vmcnt(0)
	v_mul_f64 v[190:191], v[196:197], v[86:87]
	v_mul_f64 v[86:87], v[194:195], v[86:87]
	s_delay_alu instid0(VALU_DEP_2) | instskip(NEXT) | instid1(VALU_DEP_2)
	v_fma_f64 v[192:193], v[194:195], v[84:85], -v[190:191]
	v_fma_f64 v[86:87], v[196:197], v[84:85], v[86:87]
	ds_load_2addr_b64 v[194:197], v189 offset0:54 offset1:55
	s_waitcnt lgkmcnt(0)
	v_mul_f64 v[84:85], v[196:197], v[86:87]
	v_mul_f64 v[190:191], v[194:195], v[86:87]
	s_delay_alu instid0(VALU_DEP_2) | instskip(NEXT) | instid1(VALU_DEP_2)
	v_fma_f64 v[84:85], v[194:195], v[192:193], -v[84:85]
	v_fma_f64 v[190:191], v[196:197], v[192:193], v[190:191]
	ds_load_2addr_b64 v[194:197], v189 offset0:56 offset1:57
	v_add_f64 v[80:81], v[80:81], -v[84:85]
	v_add_f64 v[82:83], v[82:83], -v[190:191]
	s_waitcnt lgkmcnt(0)
	v_mul_f64 v[84:85], v[196:197], v[86:87]
	v_mul_f64 v[190:191], v[194:195], v[86:87]
	s_delay_alu instid0(VALU_DEP_2) | instskip(NEXT) | instid1(VALU_DEP_2)
	v_fma_f64 v[84:85], v[194:195], v[192:193], -v[84:85]
	v_fma_f64 v[190:191], v[196:197], v[192:193], v[190:191]
	ds_load_2addr_b64 v[194:197], v189 offset0:58 offset1:59
	v_add_f64 v[76:77], v[76:77], -v[84:85]
	v_add_f64 v[78:79], v[78:79], -v[190:191]
	;; [unrolled: 9-line block ×20, first 2 shown]
	s_waitcnt lgkmcnt(0)
	v_mul_f64 v[84:85], v[196:197], v[86:87]
	v_mul_f64 v[190:191], v[194:195], v[86:87]
	s_delay_alu instid0(VALU_DEP_2) | instskip(NEXT) | instid1(VALU_DEP_2)
	v_fma_f64 v[84:85], v[194:195], v[192:193], -v[84:85]
	v_fma_f64 v[190:191], v[196:197], v[192:193], v[190:191]
	s_delay_alu instid0(VALU_DEP_2) | instskip(NEXT) | instid1(VALU_DEP_2)
	v_add_f64 v[0:1], v[0:1], -v[84:85]
	v_add_f64 v[2:3], v[2:3], -v[190:191]
	v_dual_mov_b32 v84, v192 :: v_dual_mov_b32 v85, v193
.LBB95_244:
	s_or_b32 exec_lo, exec_lo, s3
	s_delay_alu instid0(SALU_CYCLE_1)
	s_mov_b32 s4, exec_lo
	s_waitcnt_vscnt null, 0x0
	s_barrier
	buffer_gl0_inv
	v_cmpx_eq_u32_e32 27, v252
	s_cbranch_execz .LBB95_251
; %bb.245:
	ds_store_2addr_b64 v188, v[80:81], v[82:83] offset1:1
	ds_store_2addr_b64 v189, v[76:77], v[78:79] offset0:56 offset1:57
	ds_store_2addr_b64 v189, v[72:73], v[74:75] offset0:58 offset1:59
	;; [unrolled: 1-line block ×20, first 2 shown]
	ds_load_2addr_b64 v[192:195], v188 offset1:1
	s_waitcnt lgkmcnt(0)
	v_cmp_neq_f64_e32 vcc_lo, 0, v[192:193]
	v_cmp_neq_f64_e64 s3, 0, v[194:195]
	s_delay_alu instid0(VALU_DEP_1) | instskip(NEXT) | instid1(SALU_CYCLE_1)
	s_or_b32 s3, vcc_lo, s3
	s_and_b32 exec_lo, exec_lo, s3
	s_cbranch_execz .LBB95_251
; %bb.246:
	v_cmp_gt_f64_e32 vcc_lo, 0, v[192:193]
	v_xor_b32_e32 v190, 0x80000000, v193
	v_xor_b32_e32 v196, 0x80000000, v195
	s_mov_b32 s3, exec_lo
                                        ; implicit-def: $vgpr200_vgpr201
	s_delay_alu instid0(VALU_DEP_2) | instskip(SKIP_1) | instid1(VALU_DEP_3)
	v_dual_cndmask_b32 v191, v193, v190 :: v_dual_cndmask_b32 v190, v192, v192
	v_cmp_gt_f64_e32 vcc_lo, 0, v[194:195]
	v_dual_cndmask_b32 v197, v195, v196 :: v_dual_cndmask_b32 v196, v194, v194
	s_delay_alu instid0(VALU_DEP_1)
	v_cmpx_ngt_f64_e32 v[190:191], v[196:197]
	s_xor_b32 s3, exec_lo, s3
                                        ; implicit-def: $vgpr196_vgpr197_vgpr198_vgpr199
	s_cbranch_execz .LBB95_248
; %bb.247:
	v_div_scale_f64 v[190:191], null, v[194:195], v[194:195], v[192:193]
	v_div_scale_f64 v[200:201], vcc_lo, v[192:193], v[194:195], v[192:193]
	s_delay_alu instid0(VALU_DEP_2) | instskip(SKIP_2) | instid1(VALU_DEP_1)
	v_rcp_f64_e32 v[196:197], v[190:191]
	s_waitcnt_depctr 0xfff
	v_fma_f64 v[198:199], -v[190:191], v[196:197], 1.0
	v_fma_f64 v[196:197], v[196:197], v[198:199], v[196:197]
	s_delay_alu instid0(VALU_DEP_1) | instskip(NEXT) | instid1(VALU_DEP_1)
	v_fma_f64 v[198:199], -v[190:191], v[196:197], 1.0
	v_fma_f64 v[196:197], v[196:197], v[198:199], v[196:197]
	s_delay_alu instid0(VALU_DEP_1) | instskip(NEXT) | instid1(VALU_DEP_1)
	v_mul_f64 v[198:199], v[200:201], v[196:197]
	v_fma_f64 v[190:191], -v[190:191], v[198:199], v[200:201]
	s_delay_alu instid0(VALU_DEP_1) | instskip(NEXT) | instid1(VALU_DEP_1)
	v_div_fmas_f64 v[190:191], v[190:191], v[196:197], v[198:199]
	v_div_fixup_f64 v[190:191], v[190:191], v[194:195], v[192:193]
	s_delay_alu instid0(VALU_DEP_1) | instskip(NEXT) | instid1(VALU_DEP_1)
	v_fma_f64 v[192:193], v[192:193], v[190:191], v[194:195]
	v_div_scale_f64 v[194:195], null, v[192:193], v[192:193], 1.0
	s_delay_alu instid0(VALU_DEP_1) | instskip(SKIP_2) | instid1(VALU_DEP_1)
	v_rcp_f64_e32 v[196:197], v[194:195]
	s_waitcnt_depctr 0xfff
	v_fma_f64 v[198:199], -v[194:195], v[196:197], 1.0
	v_fma_f64 v[196:197], v[196:197], v[198:199], v[196:197]
	s_delay_alu instid0(VALU_DEP_1) | instskip(NEXT) | instid1(VALU_DEP_1)
	v_fma_f64 v[198:199], -v[194:195], v[196:197], 1.0
	v_fma_f64 v[196:197], v[196:197], v[198:199], v[196:197]
	v_div_scale_f64 v[198:199], vcc_lo, 1.0, v[192:193], 1.0
	s_delay_alu instid0(VALU_DEP_1) | instskip(NEXT) | instid1(VALU_DEP_1)
	v_mul_f64 v[200:201], v[198:199], v[196:197]
	v_fma_f64 v[194:195], -v[194:195], v[200:201], v[198:199]
	s_delay_alu instid0(VALU_DEP_1) | instskip(NEXT) | instid1(VALU_DEP_1)
	v_div_fmas_f64 v[194:195], v[194:195], v[196:197], v[200:201]
	v_div_fixup_f64 v[198:199], v[194:195], v[192:193], 1.0
                                        ; implicit-def: $vgpr192_vgpr193
	s_delay_alu instid0(VALU_DEP_1)
	v_mul_f64 v[200:201], v[190:191], v[198:199]
	v_xor_b32_e32 v199, 0x80000000, v199
.LBB95_248:
	s_and_not1_saveexec_b32 s3, s3
	s_cbranch_execz .LBB95_250
; %bb.249:
	v_div_scale_f64 v[190:191], null, v[192:193], v[192:193], v[194:195]
	v_div_scale_f64 v[200:201], vcc_lo, v[194:195], v[192:193], v[194:195]
	s_delay_alu instid0(VALU_DEP_2) | instskip(SKIP_2) | instid1(VALU_DEP_1)
	v_rcp_f64_e32 v[196:197], v[190:191]
	s_waitcnt_depctr 0xfff
	v_fma_f64 v[198:199], -v[190:191], v[196:197], 1.0
	v_fma_f64 v[196:197], v[196:197], v[198:199], v[196:197]
	s_delay_alu instid0(VALU_DEP_1) | instskip(NEXT) | instid1(VALU_DEP_1)
	v_fma_f64 v[198:199], -v[190:191], v[196:197], 1.0
	v_fma_f64 v[196:197], v[196:197], v[198:199], v[196:197]
	s_delay_alu instid0(VALU_DEP_1) | instskip(NEXT) | instid1(VALU_DEP_1)
	v_mul_f64 v[198:199], v[200:201], v[196:197]
	v_fma_f64 v[190:191], -v[190:191], v[198:199], v[200:201]
	s_delay_alu instid0(VALU_DEP_1) | instskip(NEXT) | instid1(VALU_DEP_1)
	v_div_fmas_f64 v[190:191], v[190:191], v[196:197], v[198:199]
	v_div_fixup_f64 v[190:191], v[190:191], v[192:193], v[194:195]
	s_delay_alu instid0(VALU_DEP_1) | instskip(NEXT) | instid1(VALU_DEP_1)
	v_fma_f64 v[192:193], v[194:195], v[190:191], v[192:193]
	v_div_scale_f64 v[194:195], null, v[192:193], v[192:193], 1.0
	s_delay_alu instid0(VALU_DEP_1) | instskip(SKIP_2) | instid1(VALU_DEP_1)
	v_rcp_f64_e32 v[196:197], v[194:195]
	s_waitcnt_depctr 0xfff
	v_fma_f64 v[198:199], -v[194:195], v[196:197], 1.0
	v_fma_f64 v[196:197], v[196:197], v[198:199], v[196:197]
	s_delay_alu instid0(VALU_DEP_1) | instskip(NEXT) | instid1(VALU_DEP_1)
	v_fma_f64 v[198:199], -v[194:195], v[196:197], 1.0
	v_fma_f64 v[196:197], v[196:197], v[198:199], v[196:197]
	v_div_scale_f64 v[198:199], vcc_lo, 1.0, v[192:193], 1.0
	s_delay_alu instid0(VALU_DEP_1) | instskip(NEXT) | instid1(VALU_DEP_1)
	v_mul_f64 v[200:201], v[198:199], v[196:197]
	v_fma_f64 v[194:195], -v[194:195], v[200:201], v[198:199]
	s_delay_alu instid0(VALU_DEP_1) | instskip(NEXT) | instid1(VALU_DEP_1)
	v_div_fmas_f64 v[194:195], v[194:195], v[196:197], v[200:201]
	v_div_fixup_f64 v[200:201], v[194:195], v[192:193], 1.0
	s_delay_alu instid0(VALU_DEP_1)
	v_mul_f64 v[198:199], v[190:191], -v[200:201]
.LBB95_250:
	s_or_b32 exec_lo, exec_lo, s3
	ds_store_2addr_b64 v188, v[200:201], v[198:199] offset1:1
.LBB95_251:
	s_or_b32 exec_lo, exec_lo, s4
	s_waitcnt lgkmcnt(0)
	s_barrier
	buffer_gl0_inv
	ds_load_2addr_b64 v[190:193], v188 offset1:1
	s_mov_b32 s3, exec_lo
	s_waitcnt lgkmcnt(0)
	scratch_store_b128 off, v[190:193], off offset:832 ; 16-byte Folded Spill
	v_cmpx_lt_u32_e32 27, v252
	s_cbranch_execz .LBB95_253
; %bb.252:
	scratch_load_b128 v[194:197], off, off offset:832 ; 16-byte Folded Reload
	s_waitcnt vmcnt(0)
	v_mul_f64 v[190:191], v[196:197], v[82:83]
	v_mul_f64 v[82:83], v[194:195], v[82:83]
	s_delay_alu instid0(VALU_DEP_2) | instskip(NEXT) | instid1(VALU_DEP_2)
	v_fma_f64 v[192:193], v[194:195], v[80:81], -v[190:191]
	v_fma_f64 v[82:83], v[196:197], v[80:81], v[82:83]
	ds_load_2addr_b64 v[194:197], v189 offset0:56 offset1:57
	s_waitcnt lgkmcnt(0)
	v_mul_f64 v[80:81], v[196:197], v[82:83]
	v_mul_f64 v[190:191], v[194:195], v[82:83]
	s_delay_alu instid0(VALU_DEP_2) | instskip(NEXT) | instid1(VALU_DEP_2)
	v_fma_f64 v[80:81], v[194:195], v[192:193], -v[80:81]
	v_fma_f64 v[190:191], v[196:197], v[192:193], v[190:191]
	ds_load_2addr_b64 v[194:197], v189 offset0:58 offset1:59
	v_add_f64 v[76:77], v[76:77], -v[80:81]
	v_add_f64 v[78:79], v[78:79], -v[190:191]
	s_waitcnt lgkmcnt(0)
	v_mul_f64 v[80:81], v[196:197], v[82:83]
	v_mul_f64 v[190:191], v[194:195], v[82:83]
	s_delay_alu instid0(VALU_DEP_2) | instskip(NEXT) | instid1(VALU_DEP_2)
	v_fma_f64 v[80:81], v[194:195], v[192:193], -v[80:81]
	v_fma_f64 v[190:191], v[196:197], v[192:193], v[190:191]
	ds_load_2addr_b64 v[194:197], v189 offset0:60 offset1:61
	v_add_f64 v[72:73], v[72:73], -v[80:81]
	v_add_f64 v[74:75], v[74:75], -v[190:191]
	;; [unrolled: 9-line block ×19, first 2 shown]
	s_waitcnt lgkmcnt(0)
	v_mul_f64 v[80:81], v[196:197], v[82:83]
	v_mul_f64 v[190:191], v[194:195], v[82:83]
	s_delay_alu instid0(VALU_DEP_2) | instskip(NEXT) | instid1(VALU_DEP_2)
	v_fma_f64 v[80:81], v[194:195], v[192:193], -v[80:81]
	v_fma_f64 v[190:191], v[196:197], v[192:193], v[190:191]
	s_delay_alu instid0(VALU_DEP_2) | instskip(NEXT) | instid1(VALU_DEP_2)
	v_add_f64 v[0:1], v[0:1], -v[80:81]
	v_add_f64 v[2:3], v[2:3], -v[190:191]
	v_dual_mov_b32 v80, v192 :: v_dual_mov_b32 v81, v193
.LBB95_253:
	s_or_b32 exec_lo, exec_lo, s3
	s_delay_alu instid0(SALU_CYCLE_1)
	s_mov_b32 s4, exec_lo
	s_waitcnt_vscnt null, 0x0
	s_barrier
	buffer_gl0_inv
	v_cmpx_eq_u32_e32 28, v252
	s_cbranch_execz .LBB95_260
; %bb.254:
	ds_store_2addr_b64 v188, v[76:77], v[78:79] offset1:1
	ds_store_2addr_b64 v189, v[72:73], v[74:75] offset0:58 offset1:59
	ds_store_2addr_b64 v189, v[68:69], v[70:71] offset0:60 offset1:61
	;; [unrolled: 1-line block ×19, first 2 shown]
	ds_load_2addr_b64 v[192:195], v188 offset1:1
	s_waitcnt lgkmcnt(0)
	v_cmp_neq_f64_e32 vcc_lo, 0, v[192:193]
	v_cmp_neq_f64_e64 s3, 0, v[194:195]
	s_delay_alu instid0(VALU_DEP_1) | instskip(NEXT) | instid1(SALU_CYCLE_1)
	s_or_b32 s3, vcc_lo, s3
	s_and_b32 exec_lo, exec_lo, s3
	s_cbranch_execz .LBB95_260
; %bb.255:
	v_cmp_gt_f64_e32 vcc_lo, 0, v[192:193]
	v_xor_b32_e32 v190, 0x80000000, v193
	v_xor_b32_e32 v196, 0x80000000, v195
	s_mov_b32 s3, exec_lo
                                        ; implicit-def: $vgpr200_vgpr201
	s_delay_alu instid0(VALU_DEP_2) | instskip(SKIP_1) | instid1(VALU_DEP_3)
	v_dual_cndmask_b32 v191, v193, v190 :: v_dual_cndmask_b32 v190, v192, v192
	v_cmp_gt_f64_e32 vcc_lo, 0, v[194:195]
	v_dual_cndmask_b32 v197, v195, v196 :: v_dual_cndmask_b32 v196, v194, v194
	s_delay_alu instid0(VALU_DEP_1)
	v_cmpx_ngt_f64_e32 v[190:191], v[196:197]
	s_xor_b32 s3, exec_lo, s3
                                        ; implicit-def: $vgpr196_vgpr197_vgpr198_vgpr199
	s_cbranch_execz .LBB95_257
; %bb.256:
	v_div_scale_f64 v[190:191], null, v[194:195], v[194:195], v[192:193]
	v_div_scale_f64 v[200:201], vcc_lo, v[192:193], v[194:195], v[192:193]
	s_delay_alu instid0(VALU_DEP_2) | instskip(SKIP_2) | instid1(VALU_DEP_1)
	v_rcp_f64_e32 v[196:197], v[190:191]
	s_waitcnt_depctr 0xfff
	v_fma_f64 v[198:199], -v[190:191], v[196:197], 1.0
	v_fma_f64 v[196:197], v[196:197], v[198:199], v[196:197]
	s_delay_alu instid0(VALU_DEP_1) | instskip(NEXT) | instid1(VALU_DEP_1)
	v_fma_f64 v[198:199], -v[190:191], v[196:197], 1.0
	v_fma_f64 v[196:197], v[196:197], v[198:199], v[196:197]
	s_delay_alu instid0(VALU_DEP_1) | instskip(NEXT) | instid1(VALU_DEP_1)
	v_mul_f64 v[198:199], v[200:201], v[196:197]
	v_fma_f64 v[190:191], -v[190:191], v[198:199], v[200:201]
	s_delay_alu instid0(VALU_DEP_1) | instskip(NEXT) | instid1(VALU_DEP_1)
	v_div_fmas_f64 v[190:191], v[190:191], v[196:197], v[198:199]
	v_div_fixup_f64 v[190:191], v[190:191], v[194:195], v[192:193]
	s_delay_alu instid0(VALU_DEP_1) | instskip(NEXT) | instid1(VALU_DEP_1)
	v_fma_f64 v[192:193], v[192:193], v[190:191], v[194:195]
	v_div_scale_f64 v[194:195], null, v[192:193], v[192:193], 1.0
	s_delay_alu instid0(VALU_DEP_1) | instskip(SKIP_2) | instid1(VALU_DEP_1)
	v_rcp_f64_e32 v[196:197], v[194:195]
	s_waitcnt_depctr 0xfff
	v_fma_f64 v[198:199], -v[194:195], v[196:197], 1.0
	v_fma_f64 v[196:197], v[196:197], v[198:199], v[196:197]
	s_delay_alu instid0(VALU_DEP_1) | instskip(NEXT) | instid1(VALU_DEP_1)
	v_fma_f64 v[198:199], -v[194:195], v[196:197], 1.0
	v_fma_f64 v[196:197], v[196:197], v[198:199], v[196:197]
	v_div_scale_f64 v[198:199], vcc_lo, 1.0, v[192:193], 1.0
	s_delay_alu instid0(VALU_DEP_1) | instskip(NEXT) | instid1(VALU_DEP_1)
	v_mul_f64 v[200:201], v[198:199], v[196:197]
	v_fma_f64 v[194:195], -v[194:195], v[200:201], v[198:199]
	s_delay_alu instid0(VALU_DEP_1) | instskip(NEXT) | instid1(VALU_DEP_1)
	v_div_fmas_f64 v[194:195], v[194:195], v[196:197], v[200:201]
	v_div_fixup_f64 v[198:199], v[194:195], v[192:193], 1.0
                                        ; implicit-def: $vgpr192_vgpr193
	s_delay_alu instid0(VALU_DEP_1)
	v_mul_f64 v[200:201], v[190:191], v[198:199]
	v_xor_b32_e32 v199, 0x80000000, v199
.LBB95_257:
	s_and_not1_saveexec_b32 s3, s3
	s_cbranch_execz .LBB95_259
; %bb.258:
	v_div_scale_f64 v[190:191], null, v[192:193], v[192:193], v[194:195]
	v_div_scale_f64 v[200:201], vcc_lo, v[194:195], v[192:193], v[194:195]
	s_delay_alu instid0(VALU_DEP_2) | instskip(SKIP_2) | instid1(VALU_DEP_1)
	v_rcp_f64_e32 v[196:197], v[190:191]
	s_waitcnt_depctr 0xfff
	v_fma_f64 v[198:199], -v[190:191], v[196:197], 1.0
	v_fma_f64 v[196:197], v[196:197], v[198:199], v[196:197]
	s_delay_alu instid0(VALU_DEP_1) | instskip(NEXT) | instid1(VALU_DEP_1)
	v_fma_f64 v[198:199], -v[190:191], v[196:197], 1.0
	v_fma_f64 v[196:197], v[196:197], v[198:199], v[196:197]
	s_delay_alu instid0(VALU_DEP_1) | instskip(NEXT) | instid1(VALU_DEP_1)
	v_mul_f64 v[198:199], v[200:201], v[196:197]
	v_fma_f64 v[190:191], -v[190:191], v[198:199], v[200:201]
	s_delay_alu instid0(VALU_DEP_1) | instskip(NEXT) | instid1(VALU_DEP_1)
	v_div_fmas_f64 v[190:191], v[190:191], v[196:197], v[198:199]
	v_div_fixup_f64 v[190:191], v[190:191], v[192:193], v[194:195]
	s_delay_alu instid0(VALU_DEP_1) | instskip(NEXT) | instid1(VALU_DEP_1)
	v_fma_f64 v[192:193], v[194:195], v[190:191], v[192:193]
	v_div_scale_f64 v[194:195], null, v[192:193], v[192:193], 1.0
	s_delay_alu instid0(VALU_DEP_1) | instskip(SKIP_2) | instid1(VALU_DEP_1)
	v_rcp_f64_e32 v[196:197], v[194:195]
	s_waitcnt_depctr 0xfff
	v_fma_f64 v[198:199], -v[194:195], v[196:197], 1.0
	v_fma_f64 v[196:197], v[196:197], v[198:199], v[196:197]
	s_delay_alu instid0(VALU_DEP_1) | instskip(NEXT) | instid1(VALU_DEP_1)
	v_fma_f64 v[198:199], -v[194:195], v[196:197], 1.0
	v_fma_f64 v[196:197], v[196:197], v[198:199], v[196:197]
	v_div_scale_f64 v[198:199], vcc_lo, 1.0, v[192:193], 1.0
	s_delay_alu instid0(VALU_DEP_1) | instskip(NEXT) | instid1(VALU_DEP_1)
	v_mul_f64 v[200:201], v[198:199], v[196:197]
	v_fma_f64 v[194:195], -v[194:195], v[200:201], v[198:199]
	s_delay_alu instid0(VALU_DEP_1) | instskip(NEXT) | instid1(VALU_DEP_1)
	v_div_fmas_f64 v[194:195], v[194:195], v[196:197], v[200:201]
	v_div_fixup_f64 v[200:201], v[194:195], v[192:193], 1.0
	s_delay_alu instid0(VALU_DEP_1)
	v_mul_f64 v[198:199], v[190:191], -v[200:201]
.LBB95_259:
	s_or_b32 exec_lo, exec_lo, s3
	ds_store_2addr_b64 v188, v[200:201], v[198:199] offset1:1
.LBB95_260:
	s_or_b32 exec_lo, exec_lo, s4
	s_waitcnt lgkmcnt(0)
	s_barrier
	buffer_gl0_inv
	ds_load_2addr_b64 v[190:193], v188 offset1:1
	s_mov_b32 s3, exec_lo
	s_waitcnt lgkmcnt(0)
	scratch_store_b128 off, v[190:193], off offset:848 ; 16-byte Folded Spill
	v_cmpx_lt_u32_e32 28, v252
	s_cbranch_execz .LBB95_262
; %bb.261:
	scratch_load_b128 v[194:197], off, off offset:848 ; 16-byte Folded Reload
	s_waitcnt vmcnt(0)
	v_mul_f64 v[190:191], v[196:197], v[78:79]
	v_mul_f64 v[78:79], v[194:195], v[78:79]
	s_delay_alu instid0(VALU_DEP_2) | instskip(NEXT) | instid1(VALU_DEP_2)
	v_fma_f64 v[192:193], v[194:195], v[76:77], -v[190:191]
	v_fma_f64 v[78:79], v[196:197], v[76:77], v[78:79]
	ds_load_2addr_b64 v[194:197], v189 offset0:58 offset1:59
	s_waitcnt lgkmcnt(0)
	v_mul_f64 v[76:77], v[196:197], v[78:79]
	v_mul_f64 v[190:191], v[194:195], v[78:79]
	s_delay_alu instid0(VALU_DEP_2) | instskip(NEXT) | instid1(VALU_DEP_2)
	v_fma_f64 v[76:77], v[194:195], v[192:193], -v[76:77]
	v_fma_f64 v[190:191], v[196:197], v[192:193], v[190:191]
	ds_load_2addr_b64 v[194:197], v189 offset0:60 offset1:61
	v_add_f64 v[72:73], v[72:73], -v[76:77]
	v_add_f64 v[74:75], v[74:75], -v[190:191]
	s_waitcnt lgkmcnt(0)
	v_mul_f64 v[76:77], v[196:197], v[78:79]
	v_mul_f64 v[190:191], v[194:195], v[78:79]
	s_delay_alu instid0(VALU_DEP_2) | instskip(NEXT) | instid1(VALU_DEP_2)
	v_fma_f64 v[76:77], v[194:195], v[192:193], -v[76:77]
	v_fma_f64 v[190:191], v[196:197], v[192:193], v[190:191]
	ds_load_2addr_b64 v[194:197], v189 offset0:62 offset1:63
	v_add_f64 v[68:69], v[68:69], -v[76:77]
	v_add_f64 v[70:71], v[70:71], -v[190:191]
	;; [unrolled: 9-line block ×18, first 2 shown]
	s_waitcnt lgkmcnt(0)
	v_mul_f64 v[76:77], v[196:197], v[78:79]
	v_mul_f64 v[190:191], v[194:195], v[78:79]
	s_delay_alu instid0(VALU_DEP_2) | instskip(NEXT) | instid1(VALU_DEP_2)
	v_fma_f64 v[76:77], v[194:195], v[192:193], -v[76:77]
	v_fma_f64 v[190:191], v[196:197], v[192:193], v[190:191]
	s_delay_alu instid0(VALU_DEP_2) | instskip(NEXT) | instid1(VALU_DEP_2)
	v_add_f64 v[0:1], v[0:1], -v[76:77]
	v_add_f64 v[2:3], v[2:3], -v[190:191]
	v_dual_mov_b32 v76, v192 :: v_dual_mov_b32 v77, v193
.LBB95_262:
	s_or_b32 exec_lo, exec_lo, s3
	s_delay_alu instid0(SALU_CYCLE_1)
	s_mov_b32 s4, exec_lo
	s_waitcnt_vscnt null, 0x0
	s_barrier
	buffer_gl0_inv
	v_cmpx_eq_u32_e32 29, v252
	s_cbranch_execz .LBB95_269
; %bb.263:
	ds_store_2addr_b64 v188, v[72:73], v[74:75] offset1:1
	ds_store_2addr_b64 v189, v[68:69], v[70:71] offset0:60 offset1:61
	ds_store_2addr_b64 v189, v[64:65], v[66:67] offset0:62 offset1:63
	;; [unrolled: 1-line block ×18, first 2 shown]
	ds_load_2addr_b64 v[192:195], v188 offset1:1
	s_waitcnt lgkmcnt(0)
	v_cmp_neq_f64_e32 vcc_lo, 0, v[192:193]
	v_cmp_neq_f64_e64 s3, 0, v[194:195]
	s_delay_alu instid0(VALU_DEP_1) | instskip(NEXT) | instid1(SALU_CYCLE_1)
	s_or_b32 s3, vcc_lo, s3
	s_and_b32 exec_lo, exec_lo, s3
	s_cbranch_execz .LBB95_269
; %bb.264:
	v_cmp_gt_f64_e32 vcc_lo, 0, v[192:193]
	v_xor_b32_e32 v190, 0x80000000, v193
	v_xor_b32_e32 v196, 0x80000000, v195
	s_mov_b32 s3, exec_lo
                                        ; implicit-def: $vgpr200_vgpr201
	s_delay_alu instid0(VALU_DEP_2) | instskip(SKIP_1) | instid1(VALU_DEP_3)
	v_dual_cndmask_b32 v191, v193, v190 :: v_dual_cndmask_b32 v190, v192, v192
	v_cmp_gt_f64_e32 vcc_lo, 0, v[194:195]
	v_dual_cndmask_b32 v197, v195, v196 :: v_dual_cndmask_b32 v196, v194, v194
	s_delay_alu instid0(VALU_DEP_1)
	v_cmpx_ngt_f64_e32 v[190:191], v[196:197]
	s_xor_b32 s3, exec_lo, s3
                                        ; implicit-def: $vgpr196_vgpr197_vgpr198_vgpr199
	s_cbranch_execz .LBB95_266
; %bb.265:
	v_div_scale_f64 v[190:191], null, v[194:195], v[194:195], v[192:193]
	v_div_scale_f64 v[200:201], vcc_lo, v[192:193], v[194:195], v[192:193]
	s_delay_alu instid0(VALU_DEP_2) | instskip(SKIP_2) | instid1(VALU_DEP_1)
	v_rcp_f64_e32 v[196:197], v[190:191]
	s_waitcnt_depctr 0xfff
	v_fma_f64 v[198:199], -v[190:191], v[196:197], 1.0
	v_fma_f64 v[196:197], v[196:197], v[198:199], v[196:197]
	s_delay_alu instid0(VALU_DEP_1) | instskip(NEXT) | instid1(VALU_DEP_1)
	v_fma_f64 v[198:199], -v[190:191], v[196:197], 1.0
	v_fma_f64 v[196:197], v[196:197], v[198:199], v[196:197]
	s_delay_alu instid0(VALU_DEP_1) | instskip(NEXT) | instid1(VALU_DEP_1)
	v_mul_f64 v[198:199], v[200:201], v[196:197]
	v_fma_f64 v[190:191], -v[190:191], v[198:199], v[200:201]
	s_delay_alu instid0(VALU_DEP_1) | instskip(NEXT) | instid1(VALU_DEP_1)
	v_div_fmas_f64 v[190:191], v[190:191], v[196:197], v[198:199]
	v_div_fixup_f64 v[190:191], v[190:191], v[194:195], v[192:193]
	s_delay_alu instid0(VALU_DEP_1) | instskip(NEXT) | instid1(VALU_DEP_1)
	v_fma_f64 v[192:193], v[192:193], v[190:191], v[194:195]
	v_div_scale_f64 v[194:195], null, v[192:193], v[192:193], 1.0
	s_delay_alu instid0(VALU_DEP_1) | instskip(SKIP_2) | instid1(VALU_DEP_1)
	v_rcp_f64_e32 v[196:197], v[194:195]
	s_waitcnt_depctr 0xfff
	v_fma_f64 v[198:199], -v[194:195], v[196:197], 1.0
	v_fma_f64 v[196:197], v[196:197], v[198:199], v[196:197]
	s_delay_alu instid0(VALU_DEP_1) | instskip(NEXT) | instid1(VALU_DEP_1)
	v_fma_f64 v[198:199], -v[194:195], v[196:197], 1.0
	v_fma_f64 v[196:197], v[196:197], v[198:199], v[196:197]
	v_div_scale_f64 v[198:199], vcc_lo, 1.0, v[192:193], 1.0
	s_delay_alu instid0(VALU_DEP_1) | instskip(NEXT) | instid1(VALU_DEP_1)
	v_mul_f64 v[200:201], v[198:199], v[196:197]
	v_fma_f64 v[194:195], -v[194:195], v[200:201], v[198:199]
	s_delay_alu instid0(VALU_DEP_1) | instskip(NEXT) | instid1(VALU_DEP_1)
	v_div_fmas_f64 v[194:195], v[194:195], v[196:197], v[200:201]
	v_div_fixup_f64 v[198:199], v[194:195], v[192:193], 1.0
                                        ; implicit-def: $vgpr192_vgpr193
	s_delay_alu instid0(VALU_DEP_1)
	v_mul_f64 v[200:201], v[190:191], v[198:199]
	v_xor_b32_e32 v199, 0x80000000, v199
.LBB95_266:
	s_and_not1_saveexec_b32 s3, s3
	s_cbranch_execz .LBB95_268
; %bb.267:
	v_div_scale_f64 v[190:191], null, v[192:193], v[192:193], v[194:195]
	v_div_scale_f64 v[200:201], vcc_lo, v[194:195], v[192:193], v[194:195]
	s_delay_alu instid0(VALU_DEP_2) | instskip(SKIP_2) | instid1(VALU_DEP_1)
	v_rcp_f64_e32 v[196:197], v[190:191]
	s_waitcnt_depctr 0xfff
	v_fma_f64 v[198:199], -v[190:191], v[196:197], 1.0
	v_fma_f64 v[196:197], v[196:197], v[198:199], v[196:197]
	s_delay_alu instid0(VALU_DEP_1) | instskip(NEXT) | instid1(VALU_DEP_1)
	v_fma_f64 v[198:199], -v[190:191], v[196:197], 1.0
	v_fma_f64 v[196:197], v[196:197], v[198:199], v[196:197]
	s_delay_alu instid0(VALU_DEP_1) | instskip(NEXT) | instid1(VALU_DEP_1)
	v_mul_f64 v[198:199], v[200:201], v[196:197]
	v_fma_f64 v[190:191], -v[190:191], v[198:199], v[200:201]
	s_delay_alu instid0(VALU_DEP_1) | instskip(NEXT) | instid1(VALU_DEP_1)
	v_div_fmas_f64 v[190:191], v[190:191], v[196:197], v[198:199]
	v_div_fixup_f64 v[190:191], v[190:191], v[192:193], v[194:195]
	s_delay_alu instid0(VALU_DEP_1) | instskip(NEXT) | instid1(VALU_DEP_1)
	v_fma_f64 v[192:193], v[194:195], v[190:191], v[192:193]
	v_div_scale_f64 v[194:195], null, v[192:193], v[192:193], 1.0
	s_delay_alu instid0(VALU_DEP_1) | instskip(SKIP_2) | instid1(VALU_DEP_1)
	v_rcp_f64_e32 v[196:197], v[194:195]
	s_waitcnt_depctr 0xfff
	v_fma_f64 v[198:199], -v[194:195], v[196:197], 1.0
	v_fma_f64 v[196:197], v[196:197], v[198:199], v[196:197]
	s_delay_alu instid0(VALU_DEP_1) | instskip(NEXT) | instid1(VALU_DEP_1)
	v_fma_f64 v[198:199], -v[194:195], v[196:197], 1.0
	v_fma_f64 v[196:197], v[196:197], v[198:199], v[196:197]
	v_div_scale_f64 v[198:199], vcc_lo, 1.0, v[192:193], 1.0
	s_delay_alu instid0(VALU_DEP_1) | instskip(NEXT) | instid1(VALU_DEP_1)
	v_mul_f64 v[200:201], v[198:199], v[196:197]
	v_fma_f64 v[194:195], -v[194:195], v[200:201], v[198:199]
	s_delay_alu instid0(VALU_DEP_1) | instskip(NEXT) | instid1(VALU_DEP_1)
	v_div_fmas_f64 v[194:195], v[194:195], v[196:197], v[200:201]
	v_div_fixup_f64 v[200:201], v[194:195], v[192:193], 1.0
	s_delay_alu instid0(VALU_DEP_1)
	v_mul_f64 v[198:199], v[190:191], -v[200:201]
.LBB95_268:
	s_or_b32 exec_lo, exec_lo, s3
	ds_store_2addr_b64 v188, v[200:201], v[198:199] offset1:1
.LBB95_269:
	s_or_b32 exec_lo, exec_lo, s4
	s_waitcnt lgkmcnt(0)
	s_barrier
	buffer_gl0_inv
	ds_load_2addr_b64 v[190:193], v188 offset1:1
	s_mov_b32 s3, exec_lo
	s_waitcnt lgkmcnt(0)
	scratch_store_b128 off, v[190:193], off offset:864 ; 16-byte Folded Spill
	v_cmpx_lt_u32_e32 29, v252
	s_cbranch_execz .LBB95_271
; %bb.270:
	scratch_load_b128 v[194:197], off, off offset:864 ; 16-byte Folded Reload
	s_waitcnt vmcnt(0)
	v_mul_f64 v[190:191], v[196:197], v[74:75]
	v_mul_f64 v[74:75], v[194:195], v[74:75]
	s_delay_alu instid0(VALU_DEP_2) | instskip(NEXT) | instid1(VALU_DEP_2)
	v_fma_f64 v[192:193], v[194:195], v[72:73], -v[190:191]
	v_fma_f64 v[74:75], v[196:197], v[72:73], v[74:75]
	ds_load_2addr_b64 v[194:197], v189 offset0:60 offset1:61
	s_waitcnt lgkmcnt(0)
	v_mul_f64 v[72:73], v[196:197], v[74:75]
	v_mul_f64 v[190:191], v[194:195], v[74:75]
	s_delay_alu instid0(VALU_DEP_2) | instskip(NEXT) | instid1(VALU_DEP_2)
	v_fma_f64 v[72:73], v[194:195], v[192:193], -v[72:73]
	v_fma_f64 v[190:191], v[196:197], v[192:193], v[190:191]
	ds_load_2addr_b64 v[194:197], v189 offset0:62 offset1:63
	v_add_f64 v[68:69], v[68:69], -v[72:73]
	v_add_f64 v[70:71], v[70:71], -v[190:191]
	s_waitcnt lgkmcnt(0)
	v_mul_f64 v[72:73], v[196:197], v[74:75]
	v_mul_f64 v[190:191], v[194:195], v[74:75]
	s_delay_alu instid0(VALU_DEP_2) | instskip(NEXT) | instid1(VALU_DEP_2)
	v_fma_f64 v[72:73], v[194:195], v[192:193], -v[72:73]
	v_fma_f64 v[190:191], v[196:197], v[192:193], v[190:191]
	ds_load_2addr_b64 v[194:197], v189 offset0:64 offset1:65
	v_add_f64 v[64:65], v[64:65], -v[72:73]
	v_add_f64 v[66:67], v[66:67], -v[190:191]
	;; [unrolled: 9-line block ×17, first 2 shown]
	s_waitcnt lgkmcnt(0)
	v_mul_f64 v[72:73], v[196:197], v[74:75]
	v_mul_f64 v[190:191], v[194:195], v[74:75]
	s_delay_alu instid0(VALU_DEP_2) | instskip(NEXT) | instid1(VALU_DEP_2)
	v_fma_f64 v[72:73], v[194:195], v[192:193], -v[72:73]
	v_fma_f64 v[190:191], v[196:197], v[192:193], v[190:191]
	s_delay_alu instid0(VALU_DEP_2) | instskip(NEXT) | instid1(VALU_DEP_2)
	v_add_f64 v[0:1], v[0:1], -v[72:73]
	v_add_f64 v[2:3], v[2:3], -v[190:191]
	v_dual_mov_b32 v72, v192 :: v_dual_mov_b32 v73, v193
.LBB95_271:
	s_or_b32 exec_lo, exec_lo, s3
	s_delay_alu instid0(SALU_CYCLE_1)
	s_mov_b32 s4, exec_lo
	s_waitcnt_vscnt null, 0x0
	s_barrier
	buffer_gl0_inv
	v_cmpx_eq_u32_e32 30, v252
	s_cbranch_execz .LBB95_278
; %bb.272:
	ds_store_2addr_b64 v188, v[68:69], v[70:71] offset1:1
	ds_store_2addr_b64 v189, v[64:65], v[66:67] offset0:62 offset1:63
	ds_store_2addr_b64 v189, v[60:61], v[62:63] offset0:64 offset1:65
	;; [unrolled: 1-line block ×17, first 2 shown]
	ds_load_2addr_b64 v[192:195], v188 offset1:1
	s_waitcnt lgkmcnt(0)
	v_cmp_neq_f64_e32 vcc_lo, 0, v[192:193]
	v_cmp_neq_f64_e64 s3, 0, v[194:195]
	s_delay_alu instid0(VALU_DEP_1) | instskip(NEXT) | instid1(SALU_CYCLE_1)
	s_or_b32 s3, vcc_lo, s3
	s_and_b32 exec_lo, exec_lo, s3
	s_cbranch_execz .LBB95_278
; %bb.273:
	v_cmp_gt_f64_e32 vcc_lo, 0, v[192:193]
	v_xor_b32_e32 v190, 0x80000000, v193
	v_xor_b32_e32 v196, 0x80000000, v195
	s_mov_b32 s3, exec_lo
                                        ; implicit-def: $vgpr200_vgpr201
	s_delay_alu instid0(VALU_DEP_2) | instskip(SKIP_1) | instid1(VALU_DEP_3)
	v_dual_cndmask_b32 v191, v193, v190 :: v_dual_cndmask_b32 v190, v192, v192
	v_cmp_gt_f64_e32 vcc_lo, 0, v[194:195]
	v_dual_cndmask_b32 v197, v195, v196 :: v_dual_cndmask_b32 v196, v194, v194
	s_delay_alu instid0(VALU_DEP_1)
	v_cmpx_ngt_f64_e32 v[190:191], v[196:197]
	s_xor_b32 s3, exec_lo, s3
                                        ; implicit-def: $vgpr196_vgpr197_vgpr198_vgpr199
	s_cbranch_execz .LBB95_275
; %bb.274:
	v_div_scale_f64 v[190:191], null, v[194:195], v[194:195], v[192:193]
	v_div_scale_f64 v[200:201], vcc_lo, v[192:193], v[194:195], v[192:193]
	s_delay_alu instid0(VALU_DEP_2) | instskip(SKIP_2) | instid1(VALU_DEP_1)
	v_rcp_f64_e32 v[196:197], v[190:191]
	s_waitcnt_depctr 0xfff
	v_fma_f64 v[198:199], -v[190:191], v[196:197], 1.0
	v_fma_f64 v[196:197], v[196:197], v[198:199], v[196:197]
	s_delay_alu instid0(VALU_DEP_1) | instskip(NEXT) | instid1(VALU_DEP_1)
	v_fma_f64 v[198:199], -v[190:191], v[196:197], 1.0
	v_fma_f64 v[196:197], v[196:197], v[198:199], v[196:197]
	s_delay_alu instid0(VALU_DEP_1) | instskip(NEXT) | instid1(VALU_DEP_1)
	v_mul_f64 v[198:199], v[200:201], v[196:197]
	v_fma_f64 v[190:191], -v[190:191], v[198:199], v[200:201]
	s_delay_alu instid0(VALU_DEP_1) | instskip(NEXT) | instid1(VALU_DEP_1)
	v_div_fmas_f64 v[190:191], v[190:191], v[196:197], v[198:199]
	v_div_fixup_f64 v[190:191], v[190:191], v[194:195], v[192:193]
	s_delay_alu instid0(VALU_DEP_1) | instskip(NEXT) | instid1(VALU_DEP_1)
	v_fma_f64 v[192:193], v[192:193], v[190:191], v[194:195]
	v_div_scale_f64 v[194:195], null, v[192:193], v[192:193], 1.0
	s_delay_alu instid0(VALU_DEP_1) | instskip(SKIP_2) | instid1(VALU_DEP_1)
	v_rcp_f64_e32 v[196:197], v[194:195]
	s_waitcnt_depctr 0xfff
	v_fma_f64 v[198:199], -v[194:195], v[196:197], 1.0
	v_fma_f64 v[196:197], v[196:197], v[198:199], v[196:197]
	s_delay_alu instid0(VALU_DEP_1) | instskip(NEXT) | instid1(VALU_DEP_1)
	v_fma_f64 v[198:199], -v[194:195], v[196:197], 1.0
	v_fma_f64 v[196:197], v[196:197], v[198:199], v[196:197]
	v_div_scale_f64 v[198:199], vcc_lo, 1.0, v[192:193], 1.0
	s_delay_alu instid0(VALU_DEP_1) | instskip(NEXT) | instid1(VALU_DEP_1)
	v_mul_f64 v[200:201], v[198:199], v[196:197]
	v_fma_f64 v[194:195], -v[194:195], v[200:201], v[198:199]
	s_delay_alu instid0(VALU_DEP_1) | instskip(NEXT) | instid1(VALU_DEP_1)
	v_div_fmas_f64 v[194:195], v[194:195], v[196:197], v[200:201]
	v_div_fixup_f64 v[198:199], v[194:195], v[192:193], 1.0
                                        ; implicit-def: $vgpr192_vgpr193
	s_delay_alu instid0(VALU_DEP_1)
	v_mul_f64 v[200:201], v[190:191], v[198:199]
	v_xor_b32_e32 v199, 0x80000000, v199
.LBB95_275:
	s_and_not1_saveexec_b32 s3, s3
	s_cbranch_execz .LBB95_277
; %bb.276:
	v_div_scale_f64 v[190:191], null, v[192:193], v[192:193], v[194:195]
	v_div_scale_f64 v[200:201], vcc_lo, v[194:195], v[192:193], v[194:195]
	s_delay_alu instid0(VALU_DEP_2) | instskip(SKIP_2) | instid1(VALU_DEP_1)
	v_rcp_f64_e32 v[196:197], v[190:191]
	s_waitcnt_depctr 0xfff
	v_fma_f64 v[198:199], -v[190:191], v[196:197], 1.0
	v_fma_f64 v[196:197], v[196:197], v[198:199], v[196:197]
	s_delay_alu instid0(VALU_DEP_1) | instskip(NEXT) | instid1(VALU_DEP_1)
	v_fma_f64 v[198:199], -v[190:191], v[196:197], 1.0
	v_fma_f64 v[196:197], v[196:197], v[198:199], v[196:197]
	s_delay_alu instid0(VALU_DEP_1) | instskip(NEXT) | instid1(VALU_DEP_1)
	v_mul_f64 v[198:199], v[200:201], v[196:197]
	v_fma_f64 v[190:191], -v[190:191], v[198:199], v[200:201]
	s_delay_alu instid0(VALU_DEP_1) | instskip(NEXT) | instid1(VALU_DEP_1)
	v_div_fmas_f64 v[190:191], v[190:191], v[196:197], v[198:199]
	v_div_fixup_f64 v[190:191], v[190:191], v[192:193], v[194:195]
	s_delay_alu instid0(VALU_DEP_1) | instskip(NEXT) | instid1(VALU_DEP_1)
	v_fma_f64 v[192:193], v[194:195], v[190:191], v[192:193]
	v_div_scale_f64 v[194:195], null, v[192:193], v[192:193], 1.0
	s_delay_alu instid0(VALU_DEP_1) | instskip(SKIP_2) | instid1(VALU_DEP_1)
	v_rcp_f64_e32 v[196:197], v[194:195]
	s_waitcnt_depctr 0xfff
	v_fma_f64 v[198:199], -v[194:195], v[196:197], 1.0
	v_fma_f64 v[196:197], v[196:197], v[198:199], v[196:197]
	s_delay_alu instid0(VALU_DEP_1) | instskip(NEXT) | instid1(VALU_DEP_1)
	v_fma_f64 v[198:199], -v[194:195], v[196:197], 1.0
	v_fma_f64 v[196:197], v[196:197], v[198:199], v[196:197]
	v_div_scale_f64 v[198:199], vcc_lo, 1.0, v[192:193], 1.0
	s_delay_alu instid0(VALU_DEP_1) | instskip(NEXT) | instid1(VALU_DEP_1)
	v_mul_f64 v[200:201], v[198:199], v[196:197]
	v_fma_f64 v[194:195], -v[194:195], v[200:201], v[198:199]
	s_delay_alu instid0(VALU_DEP_1) | instskip(NEXT) | instid1(VALU_DEP_1)
	v_div_fmas_f64 v[194:195], v[194:195], v[196:197], v[200:201]
	v_div_fixup_f64 v[200:201], v[194:195], v[192:193], 1.0
	s_delay_alu instid0(VALU_DEP_1)
	v_mul_f64 v[198:199], v[190:191], -v[200:201]
.LBB95_277:
	s_or_b32 exec_lo, exec_lo, s3
	ds_store_2addr_b64 v188, v[200:201], v[198:199] offset1:1
.LBB95_278:
	s_or_b32 exec_lo, exec_lo, s4
	s_waitcnt lgkmcnt(0)
	s_barrier
	buffer_gl0_inv
	ds_load_2addr_b64 v[190:193], v188 offset1:1
	s_mov_b32 s3, exec_lo
	s_waitcnt lgkmcnt(0)
	scratch_store_b128 off, v[190:193], off offset:880 ; 16-byte Folded Spill
	v_cmpx_lt_u32_e32 30, v252
	s_cbranch_execz .LBB95_280
; %bb.279:
	scratch_load_b128 v[194:197], off, off offset:880 ; 16-byte Folded Reload
	s_waitcnt vmcnt(0)
	v_mul_f64 v[190:191], v[196:197], v[70:71]
	v_mul_f64 v[70:71], v[194:195], v[70:71]
	s_delay_alu instid0(VALU_DEP_2) | instskip(NEXT) | instid1(VALU_DEP_2)
	v_fma_f64 v[192:193], v[194:195], v[68:69], -v[190:191]
	v_fma_f64 v[70:71], v[196:197], v[68:69], v[70:71]
	ds_load_2addr_b64 v[194:197], v189 offset0:62 offset1:63
	s_waitcnt lgkmcnt(0)
	v_mul_f64 v[68:69], v[196:197], v[70:71]
	v_mul_f64 v[190:191], v[194:195], v[70:71]
	s_delay_alu instid0(VALU_DEP_2) | instskip(NEXT) | instid1(VALU_DEP_2)
	v_fma_f64 v[68:69], v[194:195], v[192:193], -v[68:69]
	v_fma_f64 v[190:191], v[196:197], v[192:193], v[190:191]
	ds_load_2addr_b64 v[194:197], v189 offset0:64 offset1:65
	v_add_f64 v[64:65], v[64:65], -v[68:69]
	v_add_f64 v[66:67], v[66:67], -v[190:191]
	s_waitcnt lgkmcnt(0)
	v_mul_f64 v[68:69], v[196:197], v[70:71]
	v_mul_f64 v[190:191], v[194:195], v[70:71]
	s_delay_alu instid0(VALU_DEP_2) | instskip(NEXT) | instid1(VALU_DEP_2)
	v_fma_f64 v[68:69], v[194:195], v[192:193], -v[68:69]
	v_fma_f64 v[190:191], v[196:197], v[192:193], v[190:191]
	ds_load_2addr_b64 v[194:197], v189 offset0:66 offset1:67
	v_add_f64 v[60:61], v[60:61], -v[68:69]
	v_add_f64 v[62:63], v[62:63], -v[190:191]
	;; [unrolled: 9-line block ×16, first 2 shown]
	s_waitcnt lgkmcnt(0)
	v_mul_f64 v[68:69], v[196:197], v[70:71]
	v_mul_f64 v[190:191], v[194:195], v[70:71]
	s_delay_alu instid0(VALU_DEP_2) | instskip(NEXT) | instid1(VALU_DEP_2)
	v_fma_f64 v[68:69], v[194:195], v[192:193], -v[68:69]
	v_fma_f64 v[190:191], v[196:197], v[192:193], v[190:191]
	s_delay_alu instid0(VALU_DEP_2) | instskip(NEXT) | instid1(VALU_DEP_2)
	v_add_f64 v[0:1], v[0:1], -v[68:69]
	v_add_f64 v[2:3], v[2:3], -v[190:191]
	v_dual_mov_b32 v68, v192 :: v_dual_mov_b32 v69, v193
.LBB95_280:
	s_or_b32 exec_lo, exec_lo, s3
	s_delay_alu instid0(SALU_CYCLE_1)
	s_mov_b32 s4, exec_lo
	s_waitcnt_vscnt null, 0x0
	s_barrier
	buffer_gl0_inv
	v_cmpx_eq_u32_e32 31, v252
	s_cbranch_execz .LBB95_287
; %bb.281:
	ds_store_2addr_b64 v188, v[64:65], v[66:67] offset1:1
	ds_store_2addr_b64 v189, v[60:61], v[62:63] offset0:64 offset1:65
	ds_store_2addr_b64 v189, v[56:57], v[58:59] offset0:66 offset1:67
	;; [unrolled: 1-line block ×16, first 2 shown]
	ds_load_2addr_b64 v[192:195], v188 offset1:1
	s_waitcnt lgkmcnt(0)
	v_cmp_neq_f64_e32 vcc_lo, 0, v[192:193]
	v_cmp_neq_f64_e64 s3, 0, v[194:195]
	s_delay_alu instid0(VALU_DEP_1) | instskip(NEXT) | instid1(SALU_CYCLE_1)
	s_or_b32 s3, vcc_lo, s3
	s_and_b32 exec_lo, exec_lo, s3
	s_cbranch_execz .LBB95_287
; %bb.282:
	v_cmp_gt_f64_e32 vcc_lo, 0, v[192:193]
	v_xor_b32_e32 v190, 0x80000000, v193
	v_xor_b32_e32 v196, 0x80000000, v195
	s_mov_b32 s3, exec_lo
                                        ; implicit-def: $vgpr200_vgpr201
	s_delay_alu instid0(VALU_DEP_2) | instskip(SKIP_1) | instid1(VALU_DEP_3)
	v_dual_cndmask_b32 v191, v193, v190 :: v_dual_cndmask_b32 v190, v192, v192
	v_cmp_gt_f64_e32 vcc_lo, 0, v[194:195]
	v_dual_cndmask_b32 v197, v195, v196 :: v_dual_cndmask_b32 v196, v194, v194
	s_delay_alu instid0(VALU_DEP_1)
	v_cmpx_ngt_f64_e32 v[190:191], v[196:197]
	s_xor_b32 s3, exec_lo, s3
                                        ; implicit-def: $vgpr196_vgpr197_vgpr198_vgpr199
	s_cbranch_execz .LBB95_284
; %bb.283:
	v_div_scale_f64 v[190:191], null, v[194:195], v[194:195], v[192:193]
	v_div_scale_f64 v[200:201], vcc_lo, v[192:193], v[194:195], v[192:193]
	s_delay_alu instid0(VALU_DEP_2) | instskip(SKIP_2) | instid1(VALU_DEP_1)
	v_rcp_f64_e32 v[196:197], v[190:191]
	s_waitcnt_depctr 0xfff
	v_fma_f64 v[198:199], -v[190:191], v[196:197], 1.0
	v_fma_f64 v[196:197], v[196:197], v[198:199], v[196:197]
	s_delay_alu instid0(VALU_DEP_1) | instskip(NEXT) | instid1(VALU_DEP_1)
	v_fma_f64 v[198:199], -v[190:191], v[196:197], 1.0
	v_fma_f64 v[196:197], v[196:197], v[198:199], v[196:197]
	s_delay_alu instid0(VALU_DEP_1) | instskip(NEXT) | instid1(VALU_DEP_1)
	v_mul_f64 v[198:199], v[200:201], v[196:197]
	v_fma_f64 v[190:191], -v[190:191], v[198:199], v[200:201]
	s_delay_alu instid0(VALU_DEP_1) | instskip(NEXT) | instid1(VALU_DEP_1)
	v_div_fmas_f64 v[190:191], v[190:191], v[196:197], v[198:199]
	v_div_fixup_f64 v[190:191], v[190:191], v[194:195], v[192:193]
	s_delay_alu instid0(VALU_DEP_1) | instskip(NEXT) | instid1(VALU_DEP_1)
	v_fma_f64 v[192:193], v[192:193], v[190:191], v[194:195]
	v_div_scale_f64 v[194:195], null, v[192:193], v[192:193], 1.0
	s_delay_alu instid0(VALU_DEP_1) | instskip(SKIP_2) | instid1(VALU_DEP_1)
	v_rcp_f64_e32 v[196:197], v[194:195]
	s_waitcnt_depctr 0xfff
	v_fma_f64 v[198:199], -v[194:195], v[196:197], 1.0
	v_fma_f64 v[196:197], v[196:197], v[198:199], v[196:197]
	s_delay_alu instid0(VALU_DEP_1) | instskip(NEXT) | instid1(VALU_DEP_1)
	v_fma_f64 v[198:199], -v[194:195], v[196:197], 1.0
	v_fma_f64 v[196:197], v[196:197], v[198:199], v[196:197]
	v_div_scale_f64 v[198:199], vcc_lo, 1.0, v[192:193], 1.0
	s_delay_alu instid0(VALU_DEP_1) | instskip(NEXT) | instid1(VALU_DEP_1)
	v_mul_f64 v[200:201], v[198:199], v[196:197]
	v_fma_f64 v[194:195], -v[194:195], v[200:201], v[198:199]
	s_delay_alu instid0(VALU_DEP_1) | instskip(NEXT) | instid1(VALU_DEP_1)
	v_div_fmas_f64 v[194:195], v[194:195], v[196:197], v[200:201]
	v_div_fixup_f64 v[198:199], v[194:195], v[192:193], 1.0
                                        ; implicit-def: $vgpr192_vgpr193
	s_delay_alu instid0(VALU_DEP_1)
	v_mul_f64 v[200:201], v[190:191], v[198:199]
	v_xor_b32_e32 v199, 0x80000000, v199
.LBB95_284:
	s_and_not1_saveexec_b32 s3, s3
	s_cbranch_execz .LBB95_286
; %bb.285:
	v_div_scale_f64 v[190:191], null, v[192:193], v[192:193], v[194:195]
	v_div_scale_f64 v[200:201], vcc_lo, v[194:195], v[192:193], v[194:195]
	s_delay_alu instid0(VALU_DEP_2) | instskip(SKIP_2) | instid1(VALU_DEP_1)
	v_rcp_f64_e32 v[196:197], v[190:191]
	s_waitcnt_depctr 0xfff
	v_fma_f64 v[198:199], -v[190:191], v[196:197], 1.0
	v_fma_f64 v[196:197], v[196:197], v[198:199], v[196:197]
	s_delay_alu instid0(VALU_DEP_1) | instskip(NEXT) | instid1(VALU_DEP_1)
	v_fma_f64 v[198:199], -v[190:191], v[196:197], 1.0
	v_fma_f64 v[196:197], v[196:197], v[198:199], v[196:197]
	s_delay_alu instid0(VALU_DEP_1) | instskip(NEXT) | instid1(VALU_DEP_1)
	v_mul_f64 v[198:199], v[200:201], v[196:197]
	v_fma_f64 v[190:191], -v[190:191], v[198:199], v[200:201]
	s_delay_alu instid0(VALU_DEP_1) | instskip(NEXT) | instid1(VALU_DEP_1)
	v_div_fmas_f64 v[190:191], v[190:191], v[196:197], v[198:199]
	v_div_fixup_f64 v[190:191], v[190:191], v[192:193], v[194:195]
	s_delay_alu instid0(VALU_DEP_1) | instskip(NEXT) | instid1(VALU_DEP_1)
	v_fma_f64 v[192:193], v[194:195], v[190:191], v[192:193]
	v_div_scale_f64 v[194:195], null, v[192:193], v[192:193], 1.0
	s_delay_alu instid0(VALU_DEP_1) | instskip(SKIP_2) | instid1(VALU_DEP_1)
	v_rcp_f64_e32 v[196:197], v[194:195]
	s_waitcnt_depctr 0xfff
	v_fma_f64 v[198:199], -v[194:195], v[196:197], 1.0
	v_fma_f64 v[196:197], v[196:197], v[198:199], v[196:197]
	s_delay_alu instid0(VALU_DEP_1) | instskip(NEXT) | instid1(VALU_DEP_1)
	v_fma_f64 v[198:199], -v[194:195], v[196:197], 1.0
	v_fma_f64 v[196:197], v[196:197], v[198:199], v[196:197]
	v_div_scale_f64 v[198:199], vcc_lo, 1.0, v[192:193], 1.0
	s_delay_alu instid0(VALU_DEP_1) | instskip(NEXT) | instid1(VALU_DEP_1)
	v_mul_f64 v[200:201], v[198:199], v[196:197]
	v_fma_f64 v[194:195], -v[194:195], v[200:201], v[198:199]
	s_delay_alu instid0(VALU_DEP_1) | instskip(NEXT) | instid1(VALU_DEP_1)
	v_div_fmas_f64 v[194:195], v[194:195], v[196:197], v[200:201]
	v_div_fixup_f64 v[200:201], v[194:195], v[192:193], 1.0
	s_delay_alu instid0(VALU_DEP_1)
	v_mul_f64 v[198:199], v[190:191], -v[200:201]
.LBB95_286:
	s_or_b32 exec_lo, exec_lo, s3
	ds_store_2addr_b64 v188, v[200:201], v[198:199] offset1:1
.LBB95_287:
	s_or_b32 exec_lo, exec_lo, s4
	s_waitcnt lgkmcnt(0)
	s_barrier
	buffer_gl0_inv
	ds_load_2addr_b64 v[190:193], v188 offset1:1
	s_mov_b32 s3, exec_lo
	s_waitcnt lgkmcnt(0)
	scratch_store_b128 off, v[190:193], off offset:896 ; 16-byte Folded Spill
	v_cmpx_lt_u32_e32 31, v252
	s_cbranch_execz .LBB95_289
; %bb.288:
	scratch_load_b128 v[194:197], off, off offset:896 ; 16-byte Folded Reload
	s_waitcnt vmcnt(0)
	v_mul_f64 v[190:191], v[194:195], v[66:67]
	v_mul_f64 v[66:67], v[196:197], v[66:67]
	s_delay_alu instid0(VALU_DEP_2) | instskip(NEXT) | instid1(VALU_DEP_2)
	v_fma_f64 v[192:193], v[196:197], v[64:65], v[190:191]
	v_fma_f64 v[64:65], v[194:195], v[64:65], -v[66:67]
	ds_load_2addr_b64 v[194:197], v189 offset0:64 offset1:65
	s_waitcnt lgkmcnt(0)
	v_mul_f64 v[66:67], v[196:197], v[192:193]
	v_mul_f64 v[190:191], v[194:195], v[192:193]
	s_delay_alu instid0(VALU_DEP_2) | instskip(NEXT) | instid1(VALU_DEP_2)
	v_fma_f64 v[66:67], v[194:195], v[64:65], -v[66:67]
	v_fma_f64 v[190:191], v[196:197], v[64:65], v[190:191]
	ds_load_2addr_b64 v[194:197], v189 offset0:66 offset1:67
	v_add_f64 v[60:61], v[60:61], -v[66:67]
	v_add_f64 v[62:63], v[62:63], -v[190:191]
	s_waitcnt lgkmcnt(0)
	v_mul_f64 v[66:67], v[196:197], v[192:193]
	v_mul_f64 v[190:191], v[194:195], v[192:193]
	s_delay_alu instid0(VALU_DEP_2) | instskip(NEXT) | instid1(VALU_DEP_2)
	v_fma_f64 v[66:67], v[194:195], v[64:65], -v[66:67]
	v_fma_f64 v[190:191], v[196:197], v[64:65], v[190:191]
	ds_load_2addr_b64 v[194:197], v189 offset0:68 offset1:69
	v_add_f64 v[56:57], v[56:57], -v[66:67]
	v_add_f64 v[58:59], v[58:59], -v[190:191]
	;; [unrolled: 9-line block ×15, first 2 shown]
	s_waitcnt lgkmcnt(0)
	v_mul_f64 v[66:67], v[196:197], v[192:193]
	v_mul_f64 v[190:191], v[194:195], v[192:193]
	s_delay_alu instid0(VALU_DEP_2) | instskip(NEXT) | instid1(VALU_DEP_2)
	v_fma_f64 v[66:67], v[194:195], v[64:65], -v[66:67]
	v_fma_f64 v[190:191], v[196:197], v[64:65], v[190:191]
	s_delay_alu instid0(VALU_DEP_2) | instskip(NEXT) | instid1(VALU_DEP_2)
	v_add_f64 v[0:1], v[0:1], -v[66:67]
	v_add_f64 v[2:3], v[2:3], -v[190:191]
	v_dual_mov_b32 v66, v192 :: v_dual_mov_b32 v67, v193
.LBB95_289:
	s_or_b32 exec_lo, exec_lo, s3
	s_delay_alu instid0(SALU_CYCLE_1)
	s_mov_b32 s4, exec_lo
	s_waitcnt_vscnt null, 0x0
	s_barrier
	buffer_gl0_inv
	v_cmpx_eq_u32_e32 32, v252
	s_cbranch_execz .LBB95_296
; %bb.290:
	ds_store_2addr_b64 v188, v[60:61], v[62:63] offset1:1
	ds_store_2addr_b64 v189, v[56:57], v[58:59] offset0:66 offset1:67
	ds_store_2addr_b64 v189, v[52:53], v[54:55] offset0:68 offset1:69
	ds_store_2addr_b64 v189, v[48:49], v[50:51] offset0:70 offset1:71
	ds_store_2addr_b64 v189, v[44:45], v[46:47] offset0:72 offset1:73
	ds_store_2addr_b64 v189, v[40:41], v[42:43] offset0:74 offset1:75
	ds_store_2addr_b64 v189, v[36:37], v[38:39] offset0:76 offset1:77
	ds_store_2addr_b64 v189, v[32:33], v[34:35] offset0:78 offset1:79
	ds_store_2addr_b64 v189, v[28:29], v[30:31] offset0:80 offset1:81
	ds_store_2addr_b64 v189, v[24:25], v[26:27] offset0:82 offset1:83
	ds_store_2addr_b64 v189, v[20:21], v[22:23] offset0:84 offset1:85
	ds_store_2addr_b64 v189, v[16:17], v[18:19] offset0:86 offset1:87
	ds_store_2addr_b64 v189, v[12:13], v[14:15] offset0:88 offset1:89
	ds_store_2addr_b64 v189, v[8:9], v[10:11] offset0:90 offset1:91
	ds_store_2addr_b64 v189, v[4:5], v[6:7] offset0:92 offset1:93
	ds_store_2addr_b64 v189, v[0:1], v[2:3] offset0:94 offset1:95
	ds_load_2addr_b64 v[192:195], v188 offset1:1
	s_waitcnt lgkmcnt(0)
	v_cmp_neq_f64_e32 vcc_lo, 0, v[192:193]
	v_cmp_neq_f64_e64 s3, 0, v[194:195]
	s_delay_alu instid0(VALU_DEP_1) | instskip(NEXT) | instid1(SALU_CYCLE_1)
	s_or_b32 s3, vcc_lo, s3
	s_and_b32 exec_lo, exec_lo, s3
	s_cbranch_execz .LBB95_296
; %bb.291:
	v_cmp_gt_f64_e32 vcc_lo, 0, v[192:193]
	v_xor_b32_e32 v190, 0x80000000, v193
	v_xor_b32_e32 v196, 0x80000000, v195
	s_mov_b32 s3, exec_lo
                                        ; implicit-def: $vgpr200_vgpr201
	s_delay_alu instid0(VALU_DEP_2) | instskip(SKIP_1) | instid1(VALU_DEP_3)
	v_dual_cndmask_b32 v191, v193, v190 :: v_dual_cndmask_b32 v190, v192, v192
	v_cmp_gt_f64_e32 vcc_lo, 0, v[194:195]
	v_dual_cndmask_b32 v197, v195, v196 :: v_dual_cndmask_b32 v196, v194, v194
	s_delay_alu instid0(VALU_DEP_1)
	v_cmpx_ngt_f64_e32 v[190:191], v[196:197]
	s_xor_b32 s3, exec_lo, s3
                                        ; implicit-def: $vgpr196_vgpr197_vgpr198_vgpr199
	s_cbranch_execz .LBB95_293
; %bb.292:
	v_div_scale_f64 v[190:191], null, v[194:195], v[194:195], v[192:193]
	v_div_scale_f64 v[200:201], vcc_lo, v[192:193], v[194:195], v[192:193]
	s_delay_alu instid0(VALU_DEP_2) | instskip(SKIP_2) | instid1(VALU_DEP_1)
	v_rcp_f64_e32 v[196:197], v[190:191]
	s_waitcnt_depctr 0xfff
	v_fma_f64 v[198:199], -v[190:191], v[196:197], 1.0
	v_fma_f64 v[196:197], v[196:197], v[198:199], v[196:197]
	s_delay_alu instid0(VALU_DEP_1) | instskip(NEXT) | instid1(VALU_DEP_1)
	v_fma_f64 v[198:199], -v[190:191], v[196:197], 1.0
	v_fma_f64 v[196:197], v[196:197], v[198:199], v[196:197]
	s_delay_alu instid0(VALU_DEP_1) | instskip(NEXT) | instid1(VALU_DEP_1)
	v_mul_f64 v[198:199], v[200:201], v[196:197]
	v_fma_f64 v[190:191], -v[190:191], v[198:199], v[200:201]
	s_delay_alu instid0(VALU_DEP_1) | instskip(NEXT) | instid1(VALU_DEP_1)
	v_div_fmas_f64 v[190:191], v[190:191], v[196:197], v[198:199]
	v_div_fixup_f64 v[190:191], v[190:191], v[194:195], v[192:193]
	s_delay_alu instid0(VALU_DEP_1) | instskip(NEXT) | instid1(VALU_DEP_1)
	v_fma_f64 v[192:193], v[192:193], v[190:191], v[194:195]
	v_div_scale_f64 v[194:195], null, v[192:193], v[192:193], 1.0
	s_delay_alu instid0(VALU_DEP_1) | instskip(SKIP_2) | instid1(VALU_DEP_1)
	v_rcp_f64_e32 v[196:197], v[194:195]
	s_waitcnt_depctr 0xfff
	v_fma_f64 v[198:199], -v[194:195], v[196:197], 1.0
	v_fma_f64 v[196:197], v[196:197], v[198:199], v[196:197]
	s_delay_alu instid0(VALU_DEP_1) | instskip(NEXT) | instid1(VALU_DEP_1)
	v_fma_f64 v[198:199], -v[194:195], v[196:197], 1.0
	v_fma_f64 v[196:197], v[196:197], v[198:199], v[196:197]
	v_div_scale_f64 v[198:199], vcc_lo, 1.0, v[192:193], 1.0
	s_delay_alu instid0(VALU_DEP_1) | instskip(NEXT) | instid1(VALU_DEP_1)
	v_mul_f64 v[200:201], v[198:199], v[196:197]
	v_fma_f64 v[194:195], -v[194:195], v[200:201], v[198:199]
	s_delay_alu instid0(VALU_DEP_1) | instskip(NEXT) | instid1(VALU_DEP_1)
	v_div_fmas_f64 v[194:195], v[194:195], v[196:197], v[200:201]
	v_div_fixup_f64 v[198:199], v[194:195], v[192:193], 1.0
                                        ; implicit-def: $vgpr192_vgpr193
	s_delay_alu instid0(VALU_DEP_1)
	v_mul_f64 v[200:201], v[190:191], v[198:199]
	v_xor_b32_e32 v199, 0x80000000, v199
.LBB95_293:
	s_and_not1_saveexec_b32 s3, s3
	s_cbranch_execz .LBB95_295
; %bb.294:
	v_div_scale_f64 v[190:191], null, v[192:193], v[192:193], v[194:195]
	v_div_scale_f64 v[200:201], vcc_lo, v[194:195], v[192:193], v[194:195]
	s_delay_alu instid0(VALU_DEP_2) | instskip(SKIP_2) | instid1(VALU_DEP_1)
	v_rcp_f64_e32 v[196:197], v[190:191]
	s_waitcnt_depctr 0xfff
	v_fma_f64 v[198:199], -v[190:191], v[196:197], 1.0
	v_fma_f64 v[196:197], v[196:197], v[198:199], v[196:197]
	s_delay_alu instid0(VALU_DEP_1) | instskip(NEXT) | instid1(VALU_DEP_1)
	v_fma_f64 v[198:199], -v[190:191], v[196:197], 1.0
	v_fma_f64 v[196:197], v[196:197], v[198:199], v[196:197]
	s_delay_alu instid0(VALU_DEP_1) | instskip(NEXT) | instid1(VALU_DEP_1)
	v_mul_f64 v[198:199], v[200:201], v[196:197]
	v_fma_f64 v[190:191], -v[190:191], v[198:199], v[200:201]
	s_delay_alu instid0(VALU_DEP_1) | instskip(NEXT) | instid1(VALU_DEP_1)
	v_div_fmas_f64 v[190:191], v[190:191], v[196:197], v[198:199]
	v_div_fixup_f64 v[190:191], v[190:191], v[192:193], v[194:195]
	s_delay_alu instid0(VALU_DEP_1) | instskip(NEXT) | instid1(VALU_DEP_1)
	v_fma_f64 v[192:193], v[194:195], v[190:191], v[192:193]
	v_div_scale_f64 v[194:195], null, v[192:193], v[192:193], 1.0
	s_delay_alu instid0(VALU_DEP_1) | instskip(SKIP_2) | instid1(VALU_DEP_1)
	v_rcp_f64_e32 v[196:197], v[194:195]
	s_waitcnt_depctr 0xfff
	v_fma_f64 v[198:199], -v[194:195], v[196:197], 1.0
	v_fma_f64 v[196:197], v[196:197], v[198:199], v[196:197]
	s_delay_alu instid0(VALU_DEP_1) | instskip(NEXT) | instid1(VALU_DEP_1)
	v_fma_f64 v[198:199], -v[194:195], v[196:197], 1.0
	v_fma_f64 v[196:197], v[196:197], v[198:199], v[196:197]
	v_div_scale_f64 v[198:199], vcc_lo, 1.0, v[192:193], 1.0
	s_delay_alu instid0(VALU_DEP_1) | instskip(NEXT) | instid1(VALU_DEP_1)
	v_mul_f64 v[200:201], v[198:199], v[196:197]
	v_fma_f64 v[194:195], -v[194:195], v[200:201], v[198:199]
	s_delay_alu instid0(VALU_DEP_1) | instskip(NEXT) | instid1(VALU_DEP_1)
	v_div_fmas_f64 v[194:195], v[194:195], v[196:197], v[200:201]
	v_div_fixup_f64 v[200:201], v[194:195], v[192:193], 1.0
	s_delay_alu instid0(VALU_DEP_1)
	v_mul_f64 v[198:199], v[190:191], -v[200:201]
.LBB95_295:
	s_or_b32 exec_lo, exec_lo, s3
	ds_store_2addr_b64 v188, v[200:201], v[198:199] offset1:1
.LBB95_296:
	s_or_b32 exec_lo, exec_lo, s4
	s_waitcnt lgkmcnt(0)
	s_barrier
	buffer_gl0_inv
	ds_load_2addr_b64 v[190:193], v188 offset1:1
	s_mov_b32 s3, exec_lo
	s_waitcnt lgkmcnt(0)
	scratch_store_b128 off, v[190:193], off offset:912 ; 16-byte Folded Spill
	v_cmpx_lt_u32_e32 32, v252
	s_cbranch_execz .LBB95_298
; %bb.297:
	scratch_load_b128 v[194:197], off, off offset:912 ; 16-byte Folded Reload
	s_waitcnt vmcnt(0)
	v_mul_f64 v[190:191], v[194:195], v[62:63]
	v_mul_f64 v[62:63], v[196:197], v[62:63]
	s_delay_alu instid0(VALU_DEP_2) | instskip(NEXT) | instid1(VALU_DEP_2)
	v_fma_f64 v[192:193], v[196:197], v[60:61], v[190:191]
	v_fma_f64 v[60:61], v[194:195], v[60:61], -v[62:63]
	ds_load_2addr_b64 v[194:197], v189 offset0:66 offset1:67
	s_waitcnt lgkmcnt(0)
	v_mul_f64 v[62:63], v[196:197], v[192:193]
	v_mul_f64 v[190:191], v[194:195], v[192:193]
	s_delay_alu instid0(VALU_DEP_2) | instskip(NEXT) | instid1(VALU_DEP_2)
	v_fma_f64 v[62:63], v[194:195], v[60:61], -v[62:63]
	v_fma_f64 v[190:191], v[196:197], v[60:61], v[190:191]
	ds_load_2addr_b64 v[194:197], v189 offset0:68 offset1:69
	v_add_f64 v[56:57], v[56:57], -v[62:63]
	v_add_f64 v[58:59], v[58:59], -v[190:191]
	s_waitcnt lgkmcnt(0)
	v_mul_f64 v[62:63], v[196:197], v[192:193]
	v_mul_f64 v[190:191], v[194:195], v[192:193]
	s_delay_alu instid0(VALU_DEP_2) | instskip(NEXT) | instid1(VALU_DEP_2)
	v_fma_f64 v[62:63], v[194:195], v[60:61], -v[62:63]
	v_fma_f64 v[190:191], v[196:197], v[60:61], v[190:191]
	ds_load_2addr_b64 v[194:197], v189 offset0:70 offset1:71
	v_add_f64 v[52:53], v[52:53], -v[62:63]
	v_add_f64 v[54:55], v[54:55], -v[190:191]
	;; [unrolled: 9-line block ×14, first 2 shown]
	s_waitcnt lgkmcnt(0)
	v_mul_f64 v[62:63], v[196:197], v[192:193]
	v_mul_f64 v[190:191], v[194:195], v[192:193]
	s_delay_alu instid0(VALU_DEP_2) | instskip(NEXT) | instid1(VALU_DEP_2)
	v_fma_f64 v[62:63], v[194:195], v[60:61], -v[62:63]
	v_fma_f64 v[190:191], v[196:197], v[60:61], v[190:191]
	s_delay_alu instid0(VALU_DEP_2) | instskip(NEXT) | instid1(VALU_DEP_2)
	v_add_f64 v[0:1], v[0:1], -v[62:63]
	v_add_f64 v[2:3], v[2:3], -v[190:191]
	v_dual_mov_b32 v62, v192 :: v_dual_mov_b32 v63, v193
.LBB95_298:
	s_or_b32 exec_lo, exec_lo, s3
	s_delay_alu instid0(SALU_CYCLE_1)
	s_mov_b32 s4, exec_lo
	s_waitcnt_vscnt null, 0x0
	s_barrier
	buffer_gl0_inv
	v_cmpx_eq_u32_e32 33, v252
	s_cbranch_execz .LBB95_305
; %bb.299:
	ds_store_2addr_b64 v188, v[56:57], v[58:59] offset1:1
	ds_store_2addr_b64 v189, v[52:53], v[54:55] offset0:68 offset1:69
	ds_store_2addr_b64 v189, v[48:49], v[50:51] offset0:70 offset1:71
	ds_store_2addr_b64 v189, v[44:45], v[46:47] offset0:72 offset1:73
	ds_store_2addr_b64 v189, v[40:41], v[42:43] offset0:74 offset1:75
	ds_store_2addr_b64 v189, v[36:37], v[38:39] offset0:76 offset1:77
	ds_store_2addr_b64 v189, v[32:33], v[34:35] offset0:78 offset1:79
	ds_store_2addr_b64 v189, v[28:29], v[30:31] offset0:80 offset1:81
	ds_store_2addr_b64 v189, v[24:25], v[26:27] offset0:82 offset1:83
	ds_store_2addr_b64 v189, v[20:21], v[22:23] offset0:84 offset1:85
	ds_store_2addr_b64 v189, v[16:17], v[18:19] offset0:86 offset1:87
	ds_store_2addr_b64 v189, v[12:13], v[14:15] offset0:88 offset1:89
	ds_store_2addr_b64 v189, v[8:9], v[10:11] offset0:90 offset1:91
	ds_store_2addr_b64 v189, v[4:5], v[6:7] offset0:92 offset1:93
	ds_store_2addr_b64 v189, v[0:1], v[2:3] offset0:94 offset1:95
	ds_load_2addr_b64 v[196:199], v188 offset1:1
	s_waitcnt lgkmcnt(0)
	v_cmp_neq_f64_e32 vcc_lo, 0, v[196:197]
	v_cmp_neq_f64_e64 s3, 0, v[198:199]
	s_delay_alu instid0(VALU_DEP_1) | instskip(NEXT) | instid1(SALU_CYCLE_1)
	s_or_b32 s3, vcc_lo, s3
	s_and_b32 exec_lo, exec_lo, s3
	s_cbranch_execz .LBB95_305
; %bb.300:
	v_cmp_gt_f64_e32 vcc_lo, 0, v[196:197]
	v_xor_b32_e32 v190, 0x80000000, v197
	v_xor_b32_e32 v192, 0x80000000, v199
	s_delay_alu instid0(VALU_DEP_2) | instskip(SKIP_1) | instid1(VALU_DEP_3)
	v_dual_cndmask_b32 v191, v197, v190 :: v_dual_cndmask_b32 v190, v196, v196
	v_cmp_gt_f64_e32 vcc_lo, 0, v[198:199]
	v_dual_cndmask_b32 v193, v199, v192 :: v_dual_cndmask_b32 v192, v198, v198
	s_delay_alu instid0(VALU_DEP_1) | instskip(SKIP_1) | instid1(SALU_CYCLE_1)
	v_cmp_ngt_f64_e32 vcc_lo, v[190:191], v[192:193]
                                        ; implicit-def: $vgpr192_vgpr193
	s_and_saveexec_b32 s3, vcc_lo
	s_xor_b32 s3, exec_lo, s3
                                        ; implicit-def: $vgpr200_vgpr201_vgpr202_vgpr203
	s_cbranch_execz .LBB95_302
; %bb.301:
	v_div_scale_f64 v[190:191], null, v[198:199], v[198:199], v[196:197]
	v_div_scale_f64 v[200:201], vcc_lo, v[196:197], v[198:199], v[196:197]
	s_delay_alu instid0(VALU_DEP_2) | instskip(SKIP_2) | instid1(VALU_DEP_1)
	v_rcp_f64_e32 v[192:193], v[190:191]
	s_waitcnt_depctr 0xfff
	v_fma_f64 v[194:195], -v[190:191], v[192:193], 1.0
	v_fma_f64 v[192:193], v[192:193], v[194:195], v[192:193]
	s_delay_alu instid0(VALU_DEP_1) | instskip(NEXT) | instid1(VALU_DEP_1)
	v_fma_f64 v[194:195], -v[190:191], v[192:193], 1.0
	v_fma_f64 v[192:193], v[192:193], v[194:195], v[192:193]
	s_delay_alu instid0(VALU_DEP_1) | instskip(NEXT) | instid1(VALU_DEP_1)
	v_mul_f64 v[194:195], v[200:201], v[192:193]
	v_fma_f64 v[190:191], -v[190:191], v[194:195], v[200:201]
	s_delay_alu instid0(VALU_DEP_1) | instskip(NEXT) | instid1(VALU_DEP_1)
	v_div_fmas_f64 v[190:191], v[190:191], v[192:193], v[194:195]
	v_div_fixup_f64 v[190:191], v[190:191], v[198:199], v[196:197]
	s_delay_alu instid0(VALU_DEP_1) | instskip(NEXT) | instid1(VALU_DEP_1)
	v_fma_f64 v[192:193], v[196:197], v[190:191], v[198:199]
	v_div_scale_f64 v[194:195], null, v[192:193], v[192:193], 1.0
	s_delay_alu instid0(VALU_DEP_1) | instskip(SKIP_2) | instid1(VALU_DEP_1)
	v_rcp_f64_e32 v[196:197], v[194:195]
	s_waitcnt_depctr 0xfff
	v_fma_f64 v[198:199], -v[194:195], v[196:197], 1.0
	v_fma_f64 v[196:197], v[196:197], v[198:199], v[196:197]
	s_delay_alu instid0(VALU_DEP_1) | instskip(NEXT) | instid1(VALU_DEP_1)
	v_fma_f64 v[198:199], -v[194:195], v[196:197], 1.0
	v_fma_f64 v[196:197], v[196:197], v[198:199], v[196:197]
	v_div_scale_f64 v[198:199], vcc_lo, 1.0, v[192:193], 1.0
	s_delay_alu instid0(VALU_DEP_1) | instskip(NEXT) | instid1(VALU_DEP_1)
	v_mul_f64 v[200:201], v[198:199], v[196:197]
	v_fma_f64 v[194:195], -v[194:195], v[200:201], v[198:199]
	s_delay_alu instid0(VALU_DEP_1) | instskip(NEXT) | instid1(VALU_DEP_1)
	v_div_fmas_f64 v[194:195], v[194:195], v[196:197], v[200:201]
                                        ; implicit-def: $vgpr196_vgpr197
	v_div_fixup_f64 v[202:203], v[194:195], v[192:193], 1.0
	s_delay_alu instid0(VALU_DEP_1)
	v_mul_f64 v[192:193], v[190:191], v[202:203]
	v_xor_b32_e32 v203, 0x80000000, v203
.LBB95_302:
	s_and_not1_saveexec_b32 s3, s3
	s_cbranch_execz .LBB95_304
; %bb.303:
	v_div_scale_f64 v[190:191], null, v[196:197], v[196:197], v[198:199]
	v_div_scale_f64 v[200:201], vcc_lo, v[198:199], v[196:197], v[198:199]
	s_delay_alu instid0(VALU_DEP_2) | instskip(SKIP_2) | instid1(VALU_DEP_1)
	v_rcp_f64_e32 v[192:193], v[190:191]
	s_waitcnt_depctr 0xfff
	v_fma_f64 v[194:195], -v[190:191], v[192:193], 1.0
	v_fma_f64 v[192:193], v[192:193], v[194:195], v[192:193]
	s_delay_alu instid0(VALU_DEP_1) | instskip(NEXT) | instid1(VALU_DEP_1)
	v_fma_f64 v[194:195], -v[190:191], v[192:193], 1.0
	v_fma_f64 v[192:193], v[192:193], v[194:195], v[192:193]
	s_delay_alu instid0(VALU_DEP_1) | instskip(NEXT) | instid1(VALU_DEP_1)
	v_mul_f64 v[194:195], v[200:201], v[192:193]
	v_fma_f64 v[190:191], -v[190:191], v[194:195], v[200:201]
	s_delay_alu instid0(VALU_DEP_1) | instskip(NEXT) | instid1(VALU_DEP_1)
	v_div_fmas_f64 v[190:191], v[190:191], v[192:193], v[194:195]
	v_div_fixup_f64 v[190:191], v[190:191], v[196:197], v[198:199]
	s_delay_alu instid0(VALU_DEP_1) | instskip(NEXT) | instid1(VALU_DEP_1)
	v_fma_f64 v[192:193], v[198:199], v[190:191], v[196:197]
	v_div_scale_f64 v[194:195], null, v[192:193], v[192:193], 1.0
	s_delay_alu instid0(VALU_DEP_1) | instskip(SKIP_2) | instid1(VALU_DEP_1)
	v_rcp_f64_e32 v[196:197], v[194:195]
	s_waitcnt_depctr 0xfff
	v_fma_f64 v[198:199], -v[194:195], v[196:197], 1.0
	v_fma_f64 v[196:197], v[196:197], v[198:199], v[196:197]
	s_delay_alu instid0(VALU_DEP_1) | instskip(NEXT) | instid1(VALU_DEP_1)
	v_fma_f64 v[198:199], -v[194:195], v[196:197], 1.0
	v_fma_f64 v[196:197], v[196:197], v[198:199], v[196:197]
	v_div_scale_f64 v[198:199], vcc_lo, 1.0, v[192:193], 1.0
	s_delay_alu instid0(VALU_DEP_1) | instskip(NEXT) | instid1(VALU_DEP_1)
	v_mul_f64 v[200:201], v[198:199], v[196:197]
	v_fma_f64 v[194:195], -v[194:195], v[200:201], v[198:199]
	s_delay_alu instid0(VALU_DEP_1) | instskip(NEXT) | instid1(VALU_DEP_1)
	v_div_fmas_f64 v[194:195], v[194:195], v[196:197], v[200:201]
	v_div_fixup_f64 v[192:193], v[194:195], v[192:193], 1.0
	s_delay_alu instid0(VALU_DEP_1)
	v_mul_f64 v[202:203], v[190:191], -v[192:193]
.LBB95_304:
	s_or_b32 exec_lo, exec_lo, s3
	ds_store_2addr_b64 v188, v[192:193], v[202:203] offset1:1
.LBB95_305:
	s_or_b32 exec_lo, exec_lo, s4
	s_waitcnt lgkmcnt(0)
	s_barrier
	buffer_gl0_inv
	ds_load_2addr_b64 v[190:193], v188 offset1:1
	s_mov_b32 s3, exec_lo
	s_waitcnt lgkmcnt(0)
	scratch_store_b128 off, v[190:193], off offset:928 ; 16-byte Folded Spill
	v_cmpx_lt_u32_e32 33, v252
	s_cbranch_execz .LBB95_307
; %bb.306:
	scratch_load_b128 v[194:197], off, off offset:928 ; 16-byte Folded Reload
	ds_load_2addr_b64 v[200:203], v189 offset0:68 offset1:69
	s_waitcnt vmcnt(0)
	v_mul_f64 v[190:191], v[194:195], v[58:59]
	v_mul_f64 v[58:59], v[196:197], v[58:59]
	s_delay_alu instid0(VALU_DEP_2) | instskip(NEXT) | instid1(VALU_DEP_2)
	v_fma_f64 v[192:193], v[196:197], v[56:57], v[190:191]
	v_fma_f64 v[56:57], v[194:195], v[56:57], -v[58:59]
	s_waitcnt lgkmcnt(0)
	s_delay_alu instid0(VALU_DEP_2) | instskip(SKIP_1) | instid1(VALU_DEP_2)
	v_mul_f64 v[58:59], v[202:203], v[192:193]
	v_mul_f64 v[190:191], v[200:201], v[192:193]
	v_fma_f64 v[58:59], v[200:201], v[56:57], -v[58:59]
	s_delay_alu instid0(VALU_DEP_2)
	v_fma_f64 v[190:191], v[202:203], v[56:57], v[190:191]
	ds_load_2addr_b64 v[200:203], v189 offset0:70 offset1:71
	v_add_f64 v[52:53], v[52:53], -v[58:59]
	v_add_f64 v[54:55], v[54:55], -v[190:191]
	s_waitcnt lgkmcnt(0)
	v_mul_f64 v[58:59], v[202:203], v[192:193]
	v_mul_f64 v[190:191], v[200:201], v[192:193]
	s_delay_alu instid0(VALU_DEP_2) | instskip(NEXT) | instid1(VALU_DEP_2)
	v_fma_f64 v[58:59], v[200:201], v[56:57], -v[58:59]
	v_fma_f64 v[190:191], v[202:203], v[56:57], v[190:191]
	ds_load_2addr_b64 v[200:203], v189 offset0:72 offset1:73
	v_add_f64 v[48:49], v[48:49], -v[58:59]
	v_add_f64 v[50:51], v[50:51], -v[190:191]
	s_waitcnt lgkmcnt(0)
	v_mul_f64 v[58:59], v[202:203], v[192:193]
	v_mul_f64 v[190:191], v[200:201], v[192:193]
	s_delay_alu instid0(VALU_DEP_2) | instskip(NEXT) | instid1(VALU_DEP_2)
	v_fma_f64 v[58:59], v[200:201], v[56:57], -v[58:59]
	;; [unrolled: 9-line block ×13, first 2 shown]
	v_fma_f64 v[190:191], v[202:203], v[56:57], v[190:191]
	s_delay_alu instid0(VALU_DEP_2) | instskip(NEXT) | instid1(VALU_DEP_2)
	v_add_f64 v[0:1], v[0:1], -v[58:59]
	v_add_f64 v[2:3], v[2:3], -v[190:191]
	v_dual_mov_b32 v58, v192 :: v_dual_mov_b32 v59, v193
.LBB95_307:
	s_or_b32 exec_lo, exec_lo, s3
	s_delay_alu instid0(SALU_CYCLE_1)
	s_mov_b32 s4, exec_lo
	s_waitcnt_vscnt null, 0x0
	s_barrier
	buffer_gl0_inv
	v_cmpx_eq_u32_e32 34, v252
	s_cbranch_execz .LBB95_314
; %bb.308:
	ds_store_2addr_b64 v188, v[52:53], v[54:55] offset1:1
	ds_store_2addr_b64 v189, v[48:49], v[50:51] offset0:70 offset1:71
	ds_store_2addr_b64 v189, v[44:45], v[46:47] offset0:72 offset1:73
	;; [unrolled: 1-line block ×13, first 2 shown]
	ds_load_2addr_b64 v[200:203], v188 offset1:1
	s_waitcnt lgkmcnt(0)
	v_cmp_neq_f64_e32 vcc_lo, 0, v[200:201]
	v_cmp_neq_f64_e64 s3, 0, v[202:203]
	s_delay_alu instid0(VALU_DEP_1) | instskip(NEXT) | instid1(SALU_CYCLE_1)
	s_or_b32 s3, vcc_lo, s3
	s_and_b32 exec_lo, exec_lo, s3
	s_cbranch_execz .LBB95_314
; %bb.309:
	v_cmp_gt_f64_e32 vcc_lo, 0, v[200:201]
	v_xor_b32_e32 v190, 0x80000000, v201
	v_xor_b32_e32 v192, 0x80000000, v203
	s_delay_alu instid0(VALU_DEP_2) | instskip(SKIP_1) | instid1(VALU_DEP_3)
	v_dual_cndmask_b32 v191, v201, v190 :: v_dual_cndmask_b32 v190, v200, v200
	v_cmp_gt_f64_e32 vcc_lo, 0, v[202:203]
	v_dual_cndmask_b32 v193, v203, v192 :: v_dual_cndmask_b32 v192, v202, v202
	s_delay_alu instid0(VALU_DEP_1) | instskip(SKIP_1) | instid1(SALU_CYCLE_1)
	v_cmp_ngt_f64_e32 vcc_lo, v[190:191], v[192:193]
                                        ; implicit-def: $vgpr192_vgpr193
	s_and_saveexec_b32 s3, vcc_lo
	s_xor_b32 s3, exec_lo, s3
                                        ; implicit-def: $vgpr204_vgpr205_vgpr206_vgpr207
	s_cbranch_execz .LBB95_311
; %bb.310:
	v_div_scale_f64 v[190:191], null, v[202:203], v[202:203], v[200:201]
	v_div_scale_f64 v[204:205], vcc_lo, v[200:201], v[202:203], v[200:201]
	s_delay_alu instid0(VALU_DEP_2) | instskip(SKIP_2) | instid1(VALU_DEP_1)
	v_rcp_f64_e32 v[192:193], v[190:191]
	s_waitcnt_depctr 0xfff
	v_fma_f64 v[194:195], -v[190:191], v[192:193], 1.0
	v_fma_f64 v[192:193], v[192:193], v[194:195], v[192:193]
	s_delay_alu instid0(VALU_DEP_1) | instskip(NEXT) | instid1(VALU_DEP_1)
	v_fma_f64 v[194:195], -v[190:191], v[192:193], 1.0
	v_fma_f64 v[192:193], v[192:193], v[194:195], v[192:193]
	s_delay_alu instid0(VALU_DEP_1) | instskip(NEXT) | instid1(VALU_DEP_1)
	v_mul_f64 v[194:195], v[204:205], v[192:193]
	v_fma_f64 v[190:191], -v[190:191], v[194:195], v[204:205]
	s_delay_alu instid0(VALU_DEP_1) | instskip(NEXT) | instid1(VALU_DEP_1)
	v_div_fmas_f64 v[190:191], v[190:191], v[192:193], v[194:195]
	v_div_fixup_f64 v[190:191], v[190:191], v[202:203], v[200:201]
	s_delay_alu instid0(VALU_DEP_1) | instskip(NEXT) | instid1(VALU_DEP_1)
	v_fma_f64 v[192:193], v[200:201], v[190:191], v[202:203]
	v_div_scale_f64 v[194:195], null, v[192:193], v[192:193], 1.0
	s_delay_alu instid0(VALU_DEP_1) | instskip(SKIP_2) | instid1(VALU_DEP_1)
	v_rcp_f64_e32 v[200:201], v[194:195]
	s_waitcnt_depctr 0xfff
	v_fma_f64 v[202:203], -v[194:195], v[200:201], 1.0
	v_fma_f64 v[200:201], v[200:201], v[202:203], v[200:201]
	s_delay_alu instid0(VALU_DEP_1) | instskip(NEXT) | instid1(VALU_DEP_1)
	v_fma_f64 v[202:203], -v[194:195], v[200:201], 1.0
	v_fma_f64 v[200:201], v[200:201], v[202:203], v[200:201]
	v_div_scale_f64 v[202:203], vcc_lo, 1.0, v[192:193], 1.0
	s_delay_alu instid0(VALU_DEP_1) | instskip(NEXT) | instid1(VALU_DEP_1)
	v_mul_f64 v[204:205], v[202:203], v[200:201]
	v_fma_f64 v[194:195], -v[194:195], v[204:205], v[202:203]
	s_delay_alu instid0(VALU_DEP_1) | instskip(NEXT) | instid1(VALU_DEP_1)
	v_div_fmas_f64 v[194:195], v[194:195], v[200:201], v[204:205]
                                        ; implicit-def: $vgpr200_vgpr201
	v_div_fixup_f64 v[206:207], v[194:195], v[192:193], 1.0
	s_delay_alu instid0(VALU_DEP_1)
	v_mul_f64 v[192:193], v[190:191], v[206:207]
	v_xor_b32_e32 v207, 0x80000000, v207
.LBB95_311:
	s_and_not1_saveexec_b32 s3, s3
	s_cbranch_execz .LBB95_313
; %bb.312:
	v_div_scale_f64 v[190:191], null, v[200:201], v[200:201], v[202:203]
	v_div_scale_f64 v[204:205], vcc_lo, v[202:203], v[200:201], v[202:203]
	s_delay_alu instid0(VALU_DEP_2) | instskip(SKIP_2) | instid1(VALU_DEP_1)
	v_rcp_f64_e32 v[192:193], v[190:191]
	s_waitcnt_depctr 0xfff
	v_fma_f64 v[194:195], -v[190:191], v[192:193], 1.0
	v_fma_f64 v[192:193], v[192:193], v[194:195], v[192:193]
	s_delay_alu instid0(VALU_DEP_1) | instskip(NEXT) | instid1(VALU_DEP_1)
	v_fma_f64 v[194:195], -v[190:191], v[192:193], 1.0
	v_fma_f64 v[192:193], v[192:193], v[194:195], v[192:193]
	s_delay_alu instid0(VALU_DEP_1) | instskip(NEXT) | instid1(VALU_DEP_1)
	v_mul_f64 v[194:195], v[204:205], v[192:193]
	v_fma_f64 v[190:191], -v[190:191], v[194:195], v[204:205]
	s_delay_alu instid0(VALU_DEP_1) | instskip(NEXT) | instid1(VALU_DEP_1)
	v_div_fmas_f64 v[190:191], v[190:191], v[192:193], v[194:195]
	v_div_fixup_f64 v[190:191], v[190:191], v[200:201], v[202:203]
	s_delay_alu instid0(VALU_DEP_1) | instskip(NEXT) | instid1(VALU_DEP_1)
	v_fma_f64 v[192:193], v[202:203], v[190:191], v[200:201]
	v_div_scale_f64 v[194:195], null, v[192:193], v[192:193], 1.0
	s_delay_alu instid0(VALU_DEP_1) | instskip(SKIP_2) | instid1(VALU_DEP_1)
	v_rcp_f64_e32 v[200:201], v[194:195]
	s_waitcnt_depctr 0xfff
	v_fma_f64 v[202:203], -v[194:195], v[200:201], 1.0
	v_fma_f64 v[200:201], v[200:201], v[202:203], v[200:201]
	s_delay_alu instid0(VALU_DEP_1) | instskip(NEXT) | instid1(VALU_DEP_1)
	v_fma_f64 v[202:203], -v[194:195], v[200:201], 1.0
	v_fma_f64 v[200:201], v[200:201], v[202:203], v[200:201]
	v_div_scale_f64 v[202:203], vcc_lo, 1.0, v[192:193], 1.0
	s_delay_alu instid0(VALU_DEP_1) | instskip(NEXT) | instid1(VALU_DEP_1)
	v_mul_f64 v[204:205], v[202:203], v[200:201]
	v_fma_f64 v[194:195], -v[194:195], v[204:205], v[202:203]
	s_delay_alu instid0(VALU_DEP_1) | instskip(NEXT) | instid1(VALU_DEP_1)
	v_div_fmas_f64 v[194:195], v[194:195], v[200:201], v[204:205]
	v_div_fixup_f64 v[192:193], v[194:195], v[192:193], 1.0
	s_delay_alu instid0(VALU_DEP_1)
	v_mul_f64 v[206:207], v[190:191], -v[192:193]
.LBB95_313:
	s_or_b32 exec_lo, exec_lo, s3
	ds_store_2addr_b64 v188, v[192:193], v[206:207] offset1:1
.LBB95_314:
	s_or_b32 exec_lo, exec_lo, s4
	s_waitcnt lgkmcnt(0)
	s_barrier
	buffer_gl0_inv
	ds_load_2addr_b64 v[200:203], v188 offset1:1
	s_mov_b32 s3, exec_lo
	v_cmpx_lt_u32_e32 34, v252
	s_cbranch_execz .LBB95_316
; %bb.315:
	s_waitcnt lgkmcnt(0)
	v_mul_f64 v[190:191], v[200:201], v[54:55]
	v_mul_f64 v[54:55], v[202:203], v[54:55]
	ds_load_2addr_b64 v[204:207], v189 offset0:70 offset1:71
	v_fma_f64 v[192:193], v[202:203], v[52:53], v[190:191]
	v_fma_f64 v[52:53], v[200:201], v[52:53], -v[54:55]
	s_waitcnt lgkmcnt(0)
	s_delay_alu instid0(VALU_DEP_2) | instskip(SKIP_1) | instid1(VALU_DEP_2)
	v_mul_f64 v[54:55], v[206:207], v[192:193]
	v_mul_f64 v[190:191], v[204:205], v[192:193]
	v_fma_f64 v[54:55], v[204:205], v[52:53], -v[54:55]
	s_delay_alu instid0(VALU_DEP_2)
	v_fma_f64 v[190:191], v[206:207], v[52:53], v[190:191]
	ds_load_2addr_b64 v[204:207], v189 offset0:72 offset1:73
	v_add_f64 v[48:49], v[48:49], -v[54:55]
	v_add_f64 v[50:51], v[50:51], -v[190:191]
	s_waitcnt lgkmcnt(0)
	v_mul_f64 v[54:55], v[206:207], v[192:193]
	v_mul_f64 v[190:191], v[204:205], v[192:193]
	s_delay_alu instid0(VALU_DEP_2) | instskip(NEXT) | instid1(VALU_DEP_2)
	v_fma_f64 v[54:55], v[204:205], v[52:53], -v[54:55]
	v_fma_f64 v[190:191], v[206:207], v[52:53], v[190:191]
	ds_load_2addr_b64 v[204:207], v189 offset0:74 offset1:75
	v_add_f64 v[44:45], v[44:45], -v[54:55]
	v_add_f64 v[46:47], v[46:47], -v[190:191]
	s_waitcnt lgkmcnt(0)
	v_mul_f64 v[54:55], v[206:207], v[192:193]
	v_mul_f64 v[190:191], v[204:205], v[192:193]
	s_delay_alu instid0(VALU_DEP_2) | instskip(NEXT) | instid1(VALU_DEP_2)
	v_fma_f64 v[54:55], v[204:205], v[52:53], -v[54:55]
	;; [unrolled: 9-line block ×12, first 2 shown]
	v_fma_f64 v[190:191], v[206:207], v[52:53], v[190:191]
	s_delay_alu instid0(VALU_DEP_2) | instskip(NEXT) | instid1(VALU_DEP_2)
	v_add_f64 v[0:1], v[0:1], -v[54:55]
	v_add_f64 v[2:3], v[2:3], -v[190:191]
	v_dual_mov_b32 v54, v192 :: v_dual_mov_b32 v55, v193
.LBB95_316:
	s_or_b32 exec_lo, exec_lo, s3
	s_delay_alu instid0(SALU_CYCLE_1)
	s_mov_b32 s4, exec_lo
	s_waitcnt lgkmcnt(0)
	s_barrier
	buffer_gl0_inv
	v_cmpx_eq_u32_e32 35, v252
	s_cbranch_execz .LBB95_323
; %bb.317:
	ds_store_2addr_b64 v188, v[48:49], v[50:51] offset1:1
	ds_store_2addr_b64 v189, v[44:45], v[46:47] offset0:72 offset1:73
	ds_store_2addr_b64 v189, v[40:41], v[42:43] offset0:74 offset1:75
	;; [unrolled: 1-line block ×12, first 2 shown]
	ds_load_2addr_b64 v[204:207], v188 offset1:1
	s_waitcnt lgkmcnt(0)
	v_cmp_neq_f64_e32 vcc_lo, 0, v[204:205]
	v_cmp_neq_f64_e64 s3, 0, v[206:207]
	s_delay_alu instid0(VALU_DEP_1) | instskip(NEXT) | instid1(SALU_CYCLE_1)
	s_or_b32 s3, vcc_lo, s3
	s_and_b32 exec_lo, exec_lo, s3
	s_cbranch_execz .LBB95_323
; %bb.318:
	v_cmp_gt_f64_e32 vcc_lo, 0, v[204:205]
	v_xor_b32_e32 v190, 0x80000000, v205
	v_xor_b32_e32 v192, 0x80000000, v207
	s_delay_alu instid0(VALU_DEP_2) | instskip(SKIP_1) | instid1(VALU_DEP_3)
	v_dual_cndmask_b32 v191, v205, v190 :: v_dual_cndmask_b32 v190, v204, v204
	v_cmp_gt_f64_e32 vcc_lo, 0, v[206:207]
	v_dual_cndmask_b32 v193, v207, v192 :: v_dual_cndmask_b32 v192, v206, v206
	s_delay_alu instid0(VALU_DEP_1) | instskip(SKIP_1) | instid1(SALU_CYCLE_1)
	v_cmp_ngt_f64_e32 vcc_lo, v[190:191], v[192:193]
                                        ; implicit-def: $vgpr192_vgpr193
	s_and_saveexec_b32 s3, vcc_lo
	s_xor_b32 s3, exec_lo, s3
                                        ; implicit-def: $vgpr208_vgpr209_vgpr210_vgpr211
	s_cbranch_execz .LBB95_320
; %bb.319:
	v_div_scale_f64 v[190:191], null, v[206:207], v[206:207], v[204:205]
	v_div_scale_f64 v[208:209], vcc_lo, v[204:205], v[206:207], v[204:205]
	s_delay_alu instid0(VALU_DEP_2) | instskip(SKIP_2) | instid1(VALU_DEP_1)
	v_rcp_f64_e32 v[192:193], v[190:191]
	s_waitcnt_depctr 0xfff
	v_fma_f64 v[194:195], -v[190:191], v[192:193], 1.0
	v_fma_f64 v[192:193], v[192:193], v[194:195], v[192:193]
	s_delay_alu instid0(VALU_DEP_1) | instskip(NEXT) | instid1(VALU_DEP_1)
	v_fma_f64 v[194:195], -v[190:191], v[192:193], 1.0
	v_fma_f64 v[192:193], v[192:193], v[194:195], v[192:193]
	s_delay_alu instid0(VALU_DEP_1) | instskip(NEXT) | instid1(VALU_DEP_1)
	v_mul_f64 v[194:195], v[208:209], v[192:193]
	v_fma_f64 v[190:191], -v[190:191], v[194:195], v[208:209]
	s_delay_alu instid0(VALU_DEP_1) | instskip(NEXT) | instid1(VALU_DEP_1)
	v_div_fmas_f64 v[190:191], v[190:191], v[192:193], v[194:195]
	v_div_fixup_f64 v[190:191], v[190:191], v[206:207], v[204:205]
	s_delay_alu instid0(VALU_DEP_1) | instskip(NEXT) | instid1(VALU_DEP_1)
	v_fma_f64 v[192:193], v[204:205], v[190:191], v[206:207]
	v_div_scale_f64 v[194:195], null, v[192:193], v[192:193], 1.0
	s_delay_alu instid0(VALU_DEP_1) | instskip(SKIP_2) | instid1(VALU_DEP_1)
	v_rcp_f64_e32 v[204:205], v[194:195]
	s_waitcnt_depctr 0xfff
	v_fma_f64 v[206:207], -v[194:195], v[204:205], 1.0
	v_fma_f64 v[204:205], v[204:205], v[206:207], v[204:205]
	s_delay_alu instid0(VALU_DEP_1) | instskip(NEXT) | instid1(VALU_DEP_1)
	v_fma_f64 v[206:207], -v[194:195], v[204:205], 1.0
	v_fma_f64 v[204:205], v[204:205], v[206:207], v[204:205]
	v_div_scale_f64 v[206:207], vcc_lo, 1.0, v[192:193], 1.0
	s_delay_alu instid0(VALU_DEP_1) | instskip(NEXT) | instid1(VALU_DEP_1)
	v_mul_f64 v[208:209], v[206:207], v[204:205]
	v_fma_f64 v[194:195], -v[194:195], v[208:209], v[206:207]
	s_delay_alu instid0(VALU_DEP_1) | instskip(NEXT) | instid1(VALU_DEP_1)
	v_div_fmas_f64 v[194:195], v[194:195], v[204:205], v[208:209]
                                        ; implicit-def: $vgpr204_vgpr205
	v_div_fixup_f64 v[210:211], v[194:195], v[192:193], 1.0
	s_delay_alu instid0(VALU_DEP_1)
	v_mul_f64 v[192:193], v[190:191], v[210:211]
	v_xor_b32_e32 v211, 0x80000000, v211
.LBB95_320:
	s_and_not1_saveexec_b32 s3, s3
	s_cbranch_execz .LBB95_322
; %bb.321:
	v_div_scale_f64 v[190:191], null, v[204:205], v[204:205], v[206:207]
	v_div_scale_f64 v[208:209], vcc_lo, v[206:207], v[204:205], v[206:207]
	s_delay_alu instid0(VALU_DEP_2) | instskip(SKIP_2) | instid1(VALU_DEP_1)
	v_rcp_f64_e32 v[192:193], v[190:191]
	s_waitcnt_depctr 0xfff
	v_fma_f64 v[194:195], -v[190:191], v[192:193], 1.0
	v_fma_f64 v[192:193], v[192:193], v[194:195], v[192:193]
	s_delay_alu instid0(VALU_DEP_1) | instskip(NEXT) | instid1(VALU_DEP_1)
	v_fma_f64 v[194:195], -v[190:191], v[192:193], 1.0
	v_fma_f64 v[192:193], v[192:193], v[194:195], v[192:193]
	s_delay_alu instid0(VALU_DEP_1) | instskip(NEXT) | instid1(VALU_DEP_1)
	v_mul_f64 v[194:195], v[208:209], v[192:193]
	v_fma_f64 v[190:191], -v[190:191], v[194:195], v[208:209]
	s_delay_alu instid0(VALU_DEP_1) | instskip(NEXT) | instid1(VALU_DEP_1)
	v_div_fmas_f64 v[190:191], v[190:191], v[192:193], v[194:195]
	v_div_fixup_f64 v[190:191], v[190:191], v[204:205], v[206:207]
	s_delay_alu instid0(VALU_DEP_1) | instskip(NEXT) | instid1(VALU_DEP_1)
	v_fma_f64 v[192:193], v[206:207], v[190:191], v[204:205]
	v_div_scale_f64 v[194:195], null, v[192:193], v[192:193], 1.0
	s_delay_alu instid0(VALU_DEP_1) | instskip(SKIP_2) | instid1(VALU_DEP_1)
	v_rcp_f64_e32 v[204:205], v[194:195]
	s_waitcnt_depctr 0xfff
	v_fma_f64 v[206:207], -v[194:195], v[204:205], 1.0
	v_fma_f64 v[204:205], v[204:205], v[206:207], v[204:205]
	s_delay_alu instid0(VALU_DEP_1) | instskip(NEXT) | instid1(VALU_DEP_1)
	v_fma_f64 v[206:207], -v[194:195], v[204:205], 1.0
	v_fma_f64 v[204:205], v[204:205], v[206:207], v[204:205]
	v_div_scale_f64 v[206:207], vcc_lo, 1.0, v[192:193], 1.0
	s_delay_alu instid0(VALU_DEP_1) | instskip(NEXT) | instid1(VALU_DEP_1)
	v_mul_f64 v[208:209], v[206:207], v[204:205]
	v_fma_f64 v[194:195], -v[194:195], v[208:209], v[206:207]
	s_delay_alu instid0(VALU_DEP_1) | instskip(NEXT) | instid1(VALU_DEP_1)
	v_div_fmas_f64 v[194:195], v[194:195], v[204:205], v[208:209]
	v_div_fixup_f64 v[192:193], v[194:195], v[192:193], 1.0
	s_delay_alu instid0(VALU_DEP_1)
	v_mul_f64 v[210:211], v[190:191], -v[192:193]
.LBB95_322:
	s_or_b32 exec_lo, exec_lo, s3
	ds_store_2addr_b64 v188, v[192:193], v[210:211] offset1:1
.LBB95_323:
	s_or_b32 exec_lo, exec_lo, s4
	s_waitcnt lgkmcnt(0)
	s_barrier
	buffer_gl0_inv
	ds_load_2addr_b64 v[204:207], v188 offset1:1
	s_mov_b32 s3, exec_lo
	v_cmpx_lt_u32_e32 35, v252
	s_cbranch_execz .LBB95_325
; %bb.324:
	s_waitcnt lgkmcnt(0)
	v_mul_f64 v[190:191], v[204:205], v[50:51]
	v_mul_f64 v[50:51], v[206:207], v[50:51]
	s_delay_alu instid0(VALU_DEP_2) | instskip(SKIP_4) | instid1(VALU_DEP_1)
	v_fma_f64 v[194:195], v[206:207], v[48:49], v[190:191]
	ds_load_2addr_b64 v[190:193], v189 offset0:72 offset1:73
	v_fma_f64 v[48:49], v[204:205], v[48:49], -v[50:51]
	s_waitcnt lgkmcnt(0)
	v_mul_f64 v[50:51], v[192:193], v[194:195]
	v_fma_f64 v[50:51], v[190:191], v[48:49], -v[50:51]
	v_mul_f64 v[190:191], v[190:191], v[194:195]
	s_delay_alu instid0(VALU_DEP_2) | instskip(NEXT) | instid1(VALU_DEP_2)
	v_add_f64 v[44:45], v[44:45], -v[50:51]
	v_fma_f64 v[190:191], v[192:193], v[48:49], v[190:191]
	s_delay_alu instid0(VALU_DEP_1) | instskip(SKIP_3) | instid1(VALU_DEP_1)
	v_add_f64 v[46:47], v[46:47], -v[190:191]
	ds_load_2addr_b64 v[190:193], v189 offset0:74 offset1:75
	s_waitcnt lgkmcnt(0)
	v_mul_f64 v[50:51], v[192:193], v[194:195]
	v_fma_f64 v[50:51], v[190:191], v[48:49], -v[50:51]
	v_mul_f64 v[190:191], v[190:191], v[194:195]
	s_delay_alu instid0(VALU_DEP_2) | instskip(NEXT) | instid1(VALU_DEP_2)
	v_add_f64 v[40:41], v[40:41], -v[50:51]
	v_fma_f64 v[190:191], v[192:193], v[48:49], v[190:191]
	s_delay_alu instid0(VALU_DEP_1) | instskip(SKIP_3) | instid1(VALU_DEP_1)
	v_add_f64 v[42:43], v[42:43], -v[190:191]
	ds_load_2addr_b64 v[190:193], v189 offset0:76 offset1:77
	;; [unrolled: 10-line block ×11, first 2 shown]
	s_waitcnt lgkmcnt(0)
	v_mul_f64 v[50:51], v[192:193], v[194:195]
	v_fma_f64 v[50:51], v[190:191], v[48:49], -v[50:51]
	v_mul_f64 v[190:191], v[190:191], v[194:195]
	s_delay_alu instid0(VALU_DEP_2) | instskip(NEXT) | instid1(VALU_DEP_2)
	v_add_f64 v[0:1], v[0:1], -v[50:51]
	v_fma_f64 v[190:191], v[192:193], v[48:49], v[190:191]
	v_dual_mov_b32 v50, v194 :: v_dual_mov_b32 v51, v195
	s_delay_alu instid0(VALU_DEP_2)
	v_add_f64 v[2:3], v[2:3], -v[190:191]
.LBB95_325:
	s_or_b32 exec_lo, exec_lo, s3
	s_delay_alu instid0(SALU_CYCLE_1)
	s_mov_b32 s4, exec_lo
	s_waitcnt lgkmcnt(0)
	s_barrier
	buffer_gl0_inv
	v_cmpx_eq_u32_e32 36, v252
	s_cbranch_execz .LBB95_332
; %bb.326:
	ds_store_2addr_b64 v188, v[44:45], v[46:47] offset1:1
	ds_store_2addr_b64 v189, v[40:41], v[42:43] offset0:74 offset1:75
	ds_store_2addr_b64 v189, v[36:37], v[38:39] offset0:76 offset1:77
	;; [unrolled: 1-line block ×11, first 2 shown]
	ds_load_2addr_b64 v[208:211], v188 offset1:1
	s_waitcnt lgkmcnt(0)
	v_cmp_neq_f64_e32 vcc_lo, 0, v[208:209]
	v_cmp_neq_f64_e64 s3, 0, v[210:211]
	s_delay_alu instid0(VALU_DEP_1) | instskip(NEXT) | instid1(SALU_CYCLE_1)
	s_or_b32 s3, vcc_lo, s3
	s_and_b32 exec_lo, exec_lo, s3
	s_cbranch_execz .LBB95_332
; %bb.327:
	v_cmp_gt_f64_e32 vcc_lo, 0, v[208:209]
	v_xor_b32_e32 v190, 0x80000000, v209
	v_xor_b32_e32 v192, 0x80000000, v211
	s_delay_alu instid0(VALU_DEP_2) | instskip(SKIP_1) | instid1(VALU_DEP_3)
	v_dual_cndmask_b32 v191, v209, v190 :: v_dual_cndmask_b32 v190, v208, v208
	v_cmp_gt_f64_e32 vcc_lo, 0, v[210:211]
	v_dual_cndmask_b32 v193, v211, v192 :: v_dual_cndmask_b32 v192, v210, v210
	s_delay_alu instid0(VALU_DEP_1) | instskip(SKIP_1) | instid1(SALU_CYCLE_1)
	v_cmp_ngt_f64_e32 vcc_lo, v[190:191], v[192:193]
                                        ; implicit-def: $vgpr192_vgpr193
	s_and_saveexec_b32 s3, vcc_lo
	s_xor_b32 s3, exec_lo, s3
                                        ; implicit-def: $vgpr212_vgpr213_vgpr214_vgpr215
	s_cbranch_execz .LBB95_329
; %bb.328:
	v_div_scale_f64 v[190:191], null, v[210:211], v[210:211], v[208:209]
	v_div_scale_f64 v[212:213], vcc_lo, v[208:209], v[210:211], v[208:209]
	s_delay_alu instid0(VALU_DEP_2) | instskip(SKIP_2) | instid1(VALU_DEP_1)
	v_rcp_f64_e32 v[192:193], v[190:191]
	s_waitcnt_depctr 0xfff
	v_fma_f64 v[194:195], -v[190:191], v[192:193], 1.0
	v_fma_f64 v[192:193], v[192:193], v[194:195], v[192:193]
	s_delay_alu instid0(VALU_DEP_1) | instskip(NEXT) | instid1(VALU_DEP_1)
	v_fma_f64 v[194:195], -v[190:191], v[192:193], 1.0
	v_fma_f64 v[192:193], v[192:193], v[194:195], v[192:193]
	s_delay_alu instid0(VALU_DEP_1) | instskip(NEXT) | instid1(VALU_DEP_1)
	v_mul_f64 v[194:195], v[212:213], v[192:193]
	v_fma_f64 v[190:191], -v[190:191], v[194:195], v[212:213]
	s_delay_alu instid0(VALU_DEP_1) | instskip(NEXT) | instid1(VALU_DEP_1)
	v_div_fmas_f64 v[190:191], v[190:191], v[192:193], v[194:195]
	v_div_fixup_f64 v[190:191], v[190:191], v[210:211], v[208:209]
	s_delay_alu instid0(VALU_DEP_1) | instskip(NEXT) | instid1(VALU_DEP_1)
	v_fma_f64 v[192:193], v[208:209], v[190:191], v[210:211]
	v_div_scale_f64 v[194:195], null, v[192:193], v[192:193], 1.0
	s_delay_alu instid0(VALU_DEP_1) | instskip(SKIP_2) | instid1(VALU_DEP_1)
	v_rcp_f64_e32 v[208:209], v[194:195]
	s_waitcnt_depctr 0xfff
	v_fma_f64 v[210:211], -v[194:195], v[208:209], 1.0
	v_fma_f64 v[208:209], v[208:209], v[210:211], v[208:209]
	s_delay_alu instid0(VALU_DEP_1) | instskip(NEXT) | instid1(VALU_DEP_1)
	v_fma_f64 v[210:211], -v[194:195], v[208:209], 1.0
	v_fma_f64 v[208:209], v[208:209], v[210:211], v[208:209]
	v_div_scale_f64 v[210:211], vcc_lo, 1.0, v[192:193], 1.0
	s_delay_alu instid0(VALU_DEP_1) | instskip(NEXT) | instid1(VALU_DEP_1)
	v_mul_f64 v[212:213], v[210:211], v[208:209]
	v_fma_f64 v[194:195], -v[194:195], v[212:213], v[210:211]
	s_delay_alu instid0(VALU_DEP_1) | instskip(NEXT) | instid1(VALU_DEP_1)
	v_div_fmas_f64 v[194:195], v[194:195], v[208:209], v[212:213]
                                        ; implicit-def: $vgpr208_vgpr209
	v_div_fixup_f64 v[214:215], v[194:195], v[192:193], 1.0
	s_delay_alu instid0(VALU_DEP_1)
	v_mul_f64 v[192:193], v[190:191], v[214:215]
	v_xor_b32_e32 v215, 0x80000000, v215
.LBB95_329:
	s_and_not1_saveexec_b32 s3, s3
	s_cbranch_execz .LBB95_331
; %bb.330:
	v_div_scale_f64 v[190:191], null, v[208:209], v[208:209], v[210:211]
	v_div_scale_f64 v[212:213], vcc_lo, v[210:211], v[208:209], v[210:211]
	s_delay_alu instid0(VALU_DEP_2) | instskip(SKIP_2) | instid1(VALU_DEP_1)
	v_rcp_f64_e32 v[192:193], v[190:191]
	s_waitcnt_depctr 0xfff
	v_fma_f64 v[194:195], -v[190:191], v[192:193], 1.0
	v_fma_f64 v[192:193], v[192:193], v[194:195], v[192:193]
	s_delay_alu instid0(VALU_DEP_1) | instskip(NEXT) | instid1(VALU_DEP_1)
	v_fma_f64 v[194:195], -v[190:191], v[192:193], 1.0
	v_fma_f64 v[192:193], v[192:193], v[194:195], v[192:193]
	s_delay_alu instid0(VALU_DEP_1) | instskip(NEXT) | instid1(VALU_DEP_1)
	v_mul_f64 v[194:195], v[212:213], v[192:193]
	v_fma_f64 v[190:191], -v[190:191], v[194:195], v[212:213]
	s_delay_alu instid0(VALU_DEP_1) | instskip(NEXT) | instid1(VALU_DEP_1)
	v_div_fmas_f64 v[190:191], v[190:191], v[192:193], v[194:195]
	v_div_fixup_f64 v[190:191], v[190:191], v[208:209], v[210:211]
	s_delay_alu instid0(VALU_DEP_1) | instskip(NEXT) | instid1(VALU_DEP_1)
	v_fma_f64 v[192:193], v[210:211], v[190:191], v[208:209]
	v_div_scale_f64 v[194:195], null, v[192:193], v[192:193], 1.0
	s_delay_alu instid0(VALU_DEP_1) | instskip(SKIP_2) | instid1(VALU_DEP_1)
	v_rcp_f64_e32 v[208:209], v[194:195]
	s_waitcnt_depctr 0xfff
	v_fma_f64 v[210:211], -v[194:195], v[208:209], 1.0
	v_fma_f64 v[208:209], v[208:209], v[210:211], v[208:209]
	s_delay_alu instid0(VALU_DEP_1) | instskip(NEXT) | instid1(VALU_DEP_1)
	v_fma_f64 v[210:211], -v[194:195], v[208:209], 1.0
	v_fma_f64 v[208:209], v[208:209], v[210:211], v[208:209]
	v_div_scale_f64 v[210:211], vcc_lo, 1.0, v[192:193], 1.0
	s_delay_alu instid0(VALU_DEP_1) | instskip(NEXT) | instid1(VALU_DEP_1)
	v_mul_f64 v[212:213], v[210:211], v[208:209]
	v_fma_f64 v[194:195], -v[194:195], v[212:213], v[210:211]
	s_delay_alu instid0(VALU_DEP_1) | instskip(NEXT) | instid1(VALU_DEP_1)
	v_div_fmas_f64 v[194:195], v[194:195], v[208:209], v[212:213]
	v_div_fixup_f64 v[192:193], v[194:195], v[192:193], 1.0
	s_delay_alu instid0(VALU_DEP_1)
	v_mul_f64 v[214:215], v[190:191], -v[192:193]
.LBB95_331:
	s_or_b32 exec_lo, exec_lo, s3
	ds_store_2addr_b64 v188, v[192:193], v[214:215] offset1:1
.LBB95_332:
	s_or_b32 exec_lo, exec_lo, s4
	s_waitcnt lgkmcnt(0)
	s_barrier
	buffer_gl0_inv
	ds_load_2addr_b64 v[208:211], v188 offset1:1
	s_mov_b32 s3, exec_lo
	v_cmpx_lt_u32_e32 36, v252
	s_cbranch_execz .LBB95_334
; %bb.333:
	s_waitcnt lgkmcnt(0)
	v_mul_f64 v[190:191], v[208:209], v[46:47]
	v_mul_f64 v[46:47], v[210:211], v[46:47]
	s_delay_alu instid0(VALU_DEP_2) | instskip(SKIP_4) | instid1(VALU_DEP_1)
	v_fma_f64 v[194:195], v[210:211], v[44:45], v[190:191]
	ds_load_2addr_b64 v[190:193], v189 offset0:74 offset1:75
	v_fma_f64 v[44:45], v[208:209], v[44:45], -v[46:47]
	s_waitcnt lgkmcnt(0)
	v_mul_f64 v[46:47], v[192:193], v[194:195]
	v_fma_f64 v[46:47], v[190:191], v[44:45], -v[46:47]
	v_mul_f64 v[190:191], v[190:191], v[194:195]
	s_delay_alu instid0(VALU_DEP_2) | instskip(NEXT) | instid1(VALU_DEP_2)
	v_add_f64 v[40:41], v[40:41], -v[46:47]
	v_fma_f64 v[190:191], v[192:193], v[44:45], v[190:191]
	s_delay_alu instid0(VALU_DEP_1) | instskip(SKIP_3) | instid1(VALU_DEP_1)
	v_add_f64 v[42:43], v[42:43], -v[190:191]
	ds_load_2addr_b64 v[190:193], v189 offset0:76 offset1:77
	s_waitcnt lgkmcnt(0)
	v_mul_f64 v[46:47], v[192:193], v[194:195]
	v_fma_f64 v[46:47], v[190:191], v[44:45], -v[46:47]
	v_mul_f64 v[190:191], v[190:191], v[194:195]
	s_delay_alu instid0(VALU_DEP_2) | instskip(NEXT) | instid1(VALU_DEP_2)
	v_add_f64 v[36:37], v[36:37], -v[46:47]
	v_fma_f64 v[190:191], v[192:193], v[44:45], v[190:191]
	s_delay_alu instid0(VALU_DEP_1) | instskip(SKIP_3) | instid1(VALU_DEP_1)
	v_add_f64 v[38:39], v[38:39], -v[190:191]
	ds_load_2addr_b64 v[190:193], v189 offset0:78 offset1:79
	;; [unrolled: 10-line block ×10, first 2 shown]
	s_waitcnt lgkmcnt(0)
	v_mul_f64 v[46:47], v[192:193], v[194:195]
	v_fma_f64 v[46:47], v[190:191], v[44:45], -v[46:47]
	v_mul_f64 v[190:191], v[190:191], v[194:195]
	s_delay_alu instid0(VALU_DEP_2) | instskip(NEXT) | instid1(VALU_DEP_2)
	v_add_f64 v[0:1], v[0:1], -v[46:47]
	v_fma_f64 v[190:191], v[192:193], v[44:45], v[190:191]
	v_dual_mov_b32 v46, v194 :: v_dual_mov_b32 v47, v195
	s_delay_alu instid0(VALU_DEP_2)
	v_add_f64 v[2:3], v[2:3], -v[190:191]
.LBB95_334:
	s_or_b32 exec_lo, exec_lo, s3
	s_delay_alu instid0(SALU_CYCLE_1)
	s_mov_b32 s4, exec_lo
	s_waitcnt lgkmcnt(0)
	s_barrier
	buffer_gl0_inv
	v_cmpx_eq_u32_e32 37, v252
	s_cbranch_execz .LBB95_341
; %bb.335:
	ds_store_2addr_b64 v188, v[40:41], v[42:43] offset1:1
	ds_store_2addr_b64 v189, v[36:37], v[38:39] offset0:76 offset1:77
	ds_store_2addr_b64 v189, v[32:33], v[34:35] offset0:78 offset1:79
	;; [unrolled: 1-line block ×10, first 2 shown]
	ds_load_2addr_b64 v[212:215], v188 offset1:1
	s_waitcnt lgkmcnt(0)
	v_cmp_neq_f64_e32 vcc_lo, 0, v[212:213]
	v_cmp_neq_f64_e64 s3, 0, v[214:215]
	s_delay_alu instid0(VALU_DEP_1) | instskip(NEXT) | instid1(SALU_CYCLE_1)
	s_or_b32 s3, vcc_lo, s3
	s_and_b32 exec_lo, exec_lo, s3
	s_cbranch_execz .LBB95_341
; %bb.336:
	v_cmp_gt_f64_e32 vcc_lo, 0, v[212:213]
	v_xor_b32_e32 v190, 0x80000000, v213
	v_xor_b32_e32 v192, 0x80000000, v215
	s_delay_alu instid0(VALU_DEP_2) | instskip(SKIP_1) | instid1(VALU_DEP_3)
	v_dual_cndmask_b32 v191, v213, v190 :: v_dual_cndmask_b32 v190, v212, v212
	v_cmp_gt_f64_e32 vcc_lo, 0, v[214:215]
	v_dual_cndmask_b32 v193, v215, v192 :: v_dual_cndmask_b32 v192, v214, v214
	s_delay_alu instid0(VALU_DEP_1) | instskip(SKIP_1) | instid1(SALU_CYCLE_1)
	v_cmp_ngt_f64_e32 vcc_lo, v[190:191], v[192:193]
                                        ; implicit-def: $vgpr192_vgpr193
	s_and_saveexec_b32 s3, vcc_lo
	s_xor_b32 s3, exec_lo, s3
                                        ; implicit-def: $vgpr216_vgpr217_vgpr218_vgpr219
	s_cbranch_execz .LBB95_338
; %bb.337:
	v_div_scale_f64 v[190:191], null, v[214:215], v[214:215], v[212:213]
	v_div_scale_f64 v[216:217], vcc_lo, v[212:213], v[214:215], v[212:213]
	s_delay_alu instid0(VALU_DEP_2) | instskip(SKIP_2) | instid1(VALU_DEP_1)
	v_rcp_f64_e32 v[192:193], v[190:191]
	s_waitcnt_depctr 0xfff
	v_fma_f64 v[194:195], -v[190:191], v[192:193], 1.0
	v_fma_f64 v[192:193], v[192:193], v[194:195], v[192:193]
	s_delay_alu instid0(VALU_DEP_1) | instskip(NEXT) | instid1(VALU_DEP_1)
	v_fma_f64 v[194:195], -v[190:191], v[192:193], 1.0
	v_fma_f64 v[192:193], v[192:193], v[194:195], v[192:193]
	s_delay_alu instid0(VALU_DEP_1) | instskip(NEXT) | instid1(VALU_DEP_1)
	v_mul_f64 v[194:195], v[216:217], v[192:193]
	v_fma_f64 v[190:191], -v[190:191], v[194:195], v[216:217]
	s_delay_alu instid0(VALU_DEP_1) | instskip(NEXT) | instid1(VALU_DEP_1)
	v_div_fmas_f64 v[190:191], v[190:191], v[192:193], v[194:195]
	v_div_fixup_f64 v[190:191], v[190:191], v[214:215], v[212:213]
	s_delay_alu instid0(VALU_DEP_1) | instskip(NEXT) | instid1(VALU_DEP_1)
	v_fma_f64 v[192:193], v[212:213], v[190:191], v[214:215]
	v_div_scale_f64 v[194:195], null, v[192:193], v[192:193], 1.0
	s_delay_alu instid0(VALU_DEP_1) | instskip(SKIP_2) | instid1(VALU_DEP_1)
	v_rcp_f64_e32 v[212:213], v[194:195]
	s_waitcnt_depctr 0xfff
	v_fma_f64 v[214:215], -v[194:195], v[212:213], 1.0
	v_fma_f64 v[212:213], v[212:213], v[214:215], v[212:213]
	s_delay_alu instid0(VALU_DEP_1) | instskip(NEXT) | instid1(VALU_DEP_1)
	v_fma_f64 v[214:215], -v[194:195], v[212:213], 1.0
	v_fma_f64 v[212:213], v[212:213], v[214:215], v[212:213]
	v_div_scale_f64 v[214:215], vcc_lo, 1.0, v[192:193], 1.0
	s_delay_alu instid0(VALU_DEP_1) | instskip(NEXT) | instid1(VALU_DEP_1)
	v_mul_f64 v[216:217], v[214:215], v[212:213]
	v_fma_f64 v[194:195], -v[194:195], v[216:217], v[214:215]
	s_delay_alu instid0(VALU_DEP_1) | instskip(NEXT) | instid1(VALU_DEP_1)
	v_div_fmas_f64 v[194:195], v[194:195], v[212:213], v[216:217]
                                        ; implicit-def: $vgpr212_vgpr213
	v_div_fixup_f64 v[218:219], v[194:195], v[192:193], 1.0
	s_delay_alu instid0(VALU_DEP_1)
	v_mul_f64 v[192:193], v[190:191], v[218:219]
	v_xor_b32_e32 v219, 0x80000000, v219
.LBB95_338:
	s_and_not1_saveexec_b32 s3, s3
	s_cbranch_execz .LBB95_340
; %bb.339:
	v_div_scale_f64 v[190:191], null, v[212:213], v[212:213], v[214:215]
	v_div_scale_f64 v[216:217], vcc_lo, v[214:215], v[212:213], v[214:215]
	s_delay_alu instid0(VALU_DEP_2) | instskip(SKIP_2) | instid1(VALU_DEP_1)
	v_rcp_f64_e32 v[192:193], v[190:191]
	s_waitcnt_depctr 0xfff
	v_fma_f64 v[194:195], -v[190:191], v[192:193], 1.0
	v_fma_f64 v[192:193], v[192:193], v[194:195], v[192:193]
	s_delay_alu instid0(VALU_DEP_1) | instskip(NEXT) | instid1(VALU_DEP_1)
	v_fma_f64 v[194:195], -v[190:191], v[192:193], 1.0
	v_fma_f64 v[192:193], v[192:193], v[194:195], v[192:193]
	s_delay_alu instid0(VALU_DEP_1) | instskip(NEXT) | instid1(VALU_DEP_1)
	v_mul_f64 v[194:195], v[216:217], v[192:193]
	v_fma_f64 v[190:191], -v[190:191], v[194:195], v[216:217]
	s_delay_alu instid0(VALU_DEP_1) | instskip(NEXT) | instid1(VALU_DEP_1)
	v_div_fmas_f64 v[190:191], v[190:191], v[192:193], v[194:195]
	v_div_fixup_f64 v[190:191], v[190:191], v[212:213], v[214:215]
	s_delay_alu instid0(VALU_DEP_1) | instskip(NEXT) | instid1(VALU_DEP_1)
	v_fma_f64 v[192:193], v[214:215], v[190:191], v[212:213]
	v_div_scale_f64 v[194:195], null, v[192:193], v[192:193], 1.0
	s_delay_alu instid0(VALU_DEP_1) | instskip(SKIP_2) | instid1(VALU_DEP_1)
	v_rcp_f64_e32 v[212:213], v[194:195]
	s_waitcnt_depctr 0xfff
	v_fma_f64 v[214:215], -v[194:195], v[212:213], 1.0
	v_fma_f64 v[212:213], v[212:213], v[214:215], v[212:213]
	s_delay_alu instid0(VALU_DEP_1) | instskip(NEXT) | instid1(VALU_DEP_1)
	v_fma_f64 v[214:215], -v[194:195], v[212:213], 1.0
	v_fma_f64 v[212:213], v[212:213], v[214:215], v[212:213]
	v_div_scale_f64 v[214:215], vcc_lo, 1.0, v[192:193], 1.0
	s_delay_alu instid0(VALU_DEP_1) | instskip(NEXT) | instid1(VALU_DEP_1)
	v_mul_f64 v[216:217], v[214:215], v[212:213]
	v_fma_f64 v[194:195], -v[194:195], v[216:217], v[214:215]
	s_delay_alu instid0(VALU_DEP_1) | instskip(NEXT) | instid1(VALU_DEP_1)
	v_div_fmas_f64 v[194:195], v[194:195], v[212:213], v[216:217]
	v_div_fixup_f64 v[192:193], v[194:195], v[192:193], 1.0
	s_delay_alu instid0(VALU_DEP_1)
	v_mul_f64 v[218:219], v[190:191], -v[192:193]
.LBB95_340:
	s_or_b32 exec_lo, exec_lo, s3
	ds_store_2addr_b64 v188, v[192:193], v[218:219] offset1:1
.LBB95_341:
	s_or_b32 exec_lo, exec_lo, s4
	s_waitcnt lgkmcnt(0)
	s_barrier
	buffer_gl0_inv
	ds_load_2addr_b64 v[212:215], v188 offset1:1
	s_mov_b32 s3, exec_lo
	v_cmpx_lt_u32_e32 37, v252
	s_cbranch_execz .LBB95_343
; %bb.342:
	s_waitcnt lgkmcnt(0)
	v_mul_f64 v[190:191], v[212:213], v[42:43]
	v_mul_f64 v[42:43], v[214:215], v[42:43]
	s_delay_alu instid0(VALU_DEP_2) | instskip(SKIP_4) | instid1(VALU_DEP_1)
	v_fma_f64 v[194:195], v[214:215], v[40:41], v[190:191]
	ds_load_2addr_b64 v[190:193], v189 offset0:76 offset1:77
	v_fma_f64 v[40:41], v[212:213], v[40:41], -v[42:43]
	s_waitcnt lgkmcnt(0)
	v_mul_f64 v[42:43], v[192:193], v[194:195]
	v_fma_f64 v[42:43], v[190:191], v[40:41], -v[42:43]
	v_mul_f64 v[190:191], v[190:191], v[194:195]
	s_delay_alu instid0(VALU_DEP_2) | instskip(NEXT) | instid1(VALU_DEP_2)
	v_add_f64 v[36:37], v[36:37], -v[42:43]
	v_fma_f64 v[190:191], v[192:193], v[40:41], v[190:191]
	s_delay_alu instid0(VALU_DEP_1) | instskip(SKIP_3) | instid1(VALU_DEP_1)
	v_add_f64 v[38:39], v[38:39], -v[190:191]
	ds_load_2addr_b64 v[190:193], v189 offset0:78 offset1:79
	s_waitcnt lgkmcnt(0)
	v_mul_f64 v[42:43], v[192:193], v[194:195]
	v_fma_f64 v[42:43], v[190:191], v[40:41], -v[42:43]
	v_mul_f64 v[190:191], v[190:191], v[194:195]
	s_delay_alu instid0(VALU_DEP_2) | instskip(NEXT) | instid1(VALU_DEP_2)
	v_add_f64 v[32:33], v[32:33], -v[42:43]
	v_fma_f64 v[190:191], v[192:193], v[40:41], v[190:191]
	s_delay_alu instid0(VALU_DEP_1) | instskip(SKIP_3) | instid1(VALU_DEP_1)
	v_add_f64 v[34:35], v[34:35], -v[190:191]
	ds_load_2addr_b64 v[190:193], v189 offset0:80 offset1:81
	;; [unrolled: 10-line block ×9, first 2 shown]
	s_waitcnt lgkmcnt(0)
	v_mul_f64 v[42:43], v[192:193], v[194:195]
	v_fma_f64 v[42:43], v[190:191], v[40:41], -v[42:43]
	v_mul_f64 v[190:191], v[190:191], v[194:195]
	s_delay_alu instid0(VALU_DEP_2) | instskip(NEXT) | instid1(VALU_DEP_2)
	v_add_f64 v[0:1], v[0:1], -v[42:43]
	v_fma_f64 v[190:191], v[192:193], v[40:41], v[190:191]
	v_dual_mov_b32 v42, v194 :: v_dual_mov_b32 v43, v195
	s_delay_alu instid0(VALU_DEP_2)
	v_add_f64 v[2:3], v[2:3], -v[190:191]
.LBB95_343:
	s_or_b32 exec_lo, exec_lo, s3
	s_delay_alu instid0(SALU_CYCLE_1)
	s_mov_b32 s4, exec_lo
	s_waitcnt lgkmcnt(0)
	s_barrier
	buffer_gl0_inv
	v_cmpx_eq_u32_e32 38, v252
	s_cbranch_execz .LBB95_350
; %bb.344:
	ds_store_2addr_b64 v188, v[36:37], v[38:39] offset1:1
	ds_store_2addr_b64 v189, v[32:33], v[34:35] offset0:78 offset1:79
	ds_store_2addr_b64 v189, v[28:29], v[30:31] offset0:80 offset1:81
	;; [unrolled: 1-line block ×9, first 2 shown]
	ds_load_2addr_b64 v[216:219], v188 offset1:1
	s_waitcnt lgkmcnt(0)
	v_cmp_neq_f64_e32 vcc_lo, 0, v[216:217]
	v_cmp_neq_f64_e64 s3, 0, v[218:219]
	s_delay_alu instid0(VALU_DEP_1) | instskip(NEXT) | instid1(SALU_CYCLE_1)
	s_or_b32 s3, vcc_lo, s3
	s_and_b32 exec_lo, exec_lo, s3
	s_cbranch_execz .LBB95_350
; %bb.345:
	v_cmp_gt_f64_e32 vcc_lo, 0, v[216:217]
	v_xor_b32_e32 v190, 0x80000000, v217
	v_xor_b32_e32 v192, 0x80000000, v219
	s_delay_alu instid0(VALU_DEP_2) | instskip(SKIP_1) | instid1(VALU_DEP_3)
	v_dual_cndmask_b32 v191, v217, v190 :: v_dual_cndmask_b32 v190, v216, v216
	v_cmp_gt_f64_e32 vcc_lo, 0, v[218:219]
	v_dual_cndmask_b32 v193, v219, v192 :: v_dual_cndmask_b32 v192, v218, v218
	s_delay_alu instid0(VALU_DEP_1) | instskip(SKIP_1) | instid1(SALU_CYCLE_1)
	v_cmp_ngt_f64_e32 vcc_lo, v[190:191], v[192:193]
                                        ; implicit-def: $vgpr192_vgpr193
	s_and_saveexec_b32 s3, vcc_lo
	s_xor_b32 s3, exec_lo, s3
                                        ; implicit-def: $vgpr220_vgpr221_vgpr222_vgpr223
	s_cbranch_execz .LBB95_347
; %bb.346:
	v_div_scale_f64 v[190:191], null, v[218:219], v[218:219], v[216:217]
	v_div_scale_f64 v[220:221], vcc_lo, v[216:217], v[218:219], v[216:217]
	s_delay_alu instid0(VALU_DEP_2) | instskip(SKIP_2) | instid1(VALU_DEP_1)
	v_rcp_f64_e32 v[192:193], v[190:191]
	s_waitcnt_depctr 0xfff
	v_fma_f64 v[194:195], -v[190:191], v[192:193], 1.0
	v_fma_f64 v[192:193], v[192:193], v[194:195], v[192:193]
	s_delay_alu instid0(VALU_DEP_1) | instskip(NEXT) | instid1(VALU_DEP_1)
	v_fma_f64 v[194:195], -v[190:191], v[192:193], 1.0
	v_fma_f64 v[192:193], v[192:193], v[194:195], v[192:193]
	s_delay_alu instid0(VALU_DEP_1) | instskip(NEXT) | instid1(VALU_DEP_1)
	v_mul_f64 v[194:195], v[220:221], v[192:193]
	v_fma_f64 v[190:191], -v[190:191], v[194:195], v[220:221]
	s_delay_alu instid0(VALU_DEP_1) | instskip(NEXT) | instid1(VALU_DEP_1)
	v_div_fmas_f64 v[190:191], v[190:191], v[192:193], v[194:195]
	v_div_fixup_f64 v[190:191], v[190:191], v[218:219], v[216:217]
	s_delay_alu instid0(VALU_DEP_1) | instskip(NEXT) | instid1(VALU_DEP_1)
	v_fma_f64 v[192:193], v[216:217], v[190:191], v[218:219]
	v_div_scale_f64 v[194:195], null, v[192:193], v[192:193], 1.0
	s_delay_alu instid0(VALU_DEP_1) | instskip(SKIP_2) | instid1(VALU_DEP_1)
	v_rcp_f64_e32 v[216:217], v[194:195]
	s_waitcnt_depctr 0xfff
	v_fma_f64 v[218:219], -v[194:195], v[216:217], 1.0
	v_fma_f64 v[216:217], v[216:217], v[218:219], v[216:217]
	s_delay_alu instid0(VALU_DEP_1) | instskip(NEXT) | instid1(VALU_DEP_1)
	v_fma_f64 v[218:219], -v[194:195], v[216:217], 1.0
	v_fma_f64 v[216:217], v[216:217], v[218:219], v[216:217]
	v_div_scale_f64 v[218:219], vcc_lo, 1.0, v[192:193], 1.0
	s_delay_alu instid0(VALU_DEP_1) | instskip(NEXT) | instid1(VALU_DEP_1)
	v_mul_f64 v[220:221], v[218:219], v[216:217]
	v_fma_f64 v[194:195], -v[194:195], v[220:221], v[218:219]
	s_delay_alu instid0(VALU_DEP_1) | instskip(NEXT) | instid1(VALU_DEP_1)
	v_div_fmas_f64 v[194:195], v[194:195], v[216:217], v[220:221]
                                        ; implicit-def: $vgpr216_vgpr217
	v_div_fixup_f64 v[222:223], v[194:195], v[192:193], 1.0
	s_delay_alu instid0(VALU_DEP_1)
	v_mul_f64 v[192:193], v[190:191], v[222:223]
	v_xor_b32_e32 v223, 0x80000000, v223
.LBB95_347:
	s_and_not1_saveexec_b32 s3, s3
	s_cbranch_execz .LBB95_349
; %bb.348:
	v_div_scale_f64 v[190:191], null, v[216:217], v[216:217], v[218:219]
	v_div_scale_f64 v[220:221], vcc_lo, v[218:219], v[216:217], v[218:219]
	s_delay_alu instid0(VALU_DEP_2) | instskip(SKIP_2) | instid1(VALU_DEP_1)
	v_rcp_f64_e32 v[192:193], v[190:191]
	s_waitcnt_depctr 0xfff
	v_fma_f64 v[194:195], -v[190:191], v[192:193], 1.0
	v_fma_f64 v[192:193], v[192:193], v[194:195], v[192:193]
	s_delay_alu instid0(VALU_DEP_1) | instskip(NEXT) | instid1(VALU_DEP_1)
	v_fma_f64 v[194:195], -v[190:191], v[192:193], 1.0
	v_fma_f64 v[192:193], v[192:193], v[194:195], v[192:193]
	s_delay_alu instid0(VALU_DEP_1) | instskip(NEXT) | instid1(VALU_DEP_1)
	v_mul_f64 v[194:195], v[220:221], v[192:193]
	v_fma_f64 v[190:191], -v[190:191], v[194:195], v[220:221]
	s_delay_alu instid0(VALU_DEP_1) | instskip(NEXT) | instid1(VALU_DEP_1)
	v_div_fmas_f64 v[190:191], v[190:191], v[192:193], v[194:195]
	v_div_fixup_f64 v[190:191], v[190:191], v[216:217], v[218:219]
	s_delay_alu instid0(VALU_DEP_1) | instskip(NEXT) | instid1(VALU_DEP_1)
	v_fma_f64 v[192:193], v[218:219], v[190:191], v[216:217]
	v_div_scale_f64 v[194:195], null, v[192:193], v[192:193], 1.0
	s_delay_alu instid0(VALU_DEP_1) | instskip(SKIP_2) | instid1(VALU_DEP_1)
	v_rcp_f64_e32 v[216:217], v[194:195]
	s_waitcnt_depctr 0xfff
	v_fma_f64 v[218:219], -v[194:195], v[216:217], 1.0
	v_fma_f64 v[216:217], v[216:217], v[218:219], v[216:217]
	s_delay_alu instid0(VALU_DEP_1) | instskip(NEXT) | instid1(VALU_DEP_1)
	v_fma_f64 v[218:219], -v[194:195], v[216:217], 1.0
	v_fma_f64 v[216:217], v[216:217], v[218:219], v[216:217]
	v_div_scale_f64 v[218:219], vcc_lo, 1.0, v[192:193], 1.0
	s_delay_alu instid0(VALU_DEP_1) | instskip(NEXT) | instid1(VALU_DEP_1)
	v_mul_f64 v[220:221], v[218:219], v[216:217]
	v_fma_f64 v[194:195], -v[194:195], v[220:221], v[218:219]
	s_delay_alu instid0(VALU_DEP_1) | instskip(NEXT) | instid1(VALU_DEP_1)
	v_div_fmas_f64 v[194:195], v[194:195], v[216:217], v[220:221]
	v_div_fixup_f64 v[192:193], v[194:195], v[192:193], 1.0
	s_delay_alu instid0(VALU_DEP_1)
	v_mul_f64 v[222:223], v[190:191], -v[192:193]
.LBB95_349:
	s_or_b32 exec_lo, exec_lo, s3
	ds_store_2addr_b64 v188, v[192:193], v[222:223] offset1:1
.LBB95_350:
	s_or_b32 exec_lo, exec_lo, s4
	s_waitcnt lgkmcnt(0)
	s_barrier
	buffer_gl0_inv
	ds_load_2addr_b64 v[216:219], v188 offset1:1
	s_mov_b32 s3, exec_lo
	v_cmpx_lt_u32_e32 38, v252
	s_cbranch_execz .LBB95_352
; %bb.351:
	s_waitcnt lgkmcnt(0)
	v_mul_f64 v[190:191], v[216:217], v[38:39]
	v_mul_f64 v[38:39], v[218:219], v[38:39]
	s_delay_alu instid0(VALU_DEP_2) | instskip(SKIP_4) | instid1(VALU_DEP_1)
	v_fma_f64 v[194:195], v[218:219], v[36:37], v[190:191]
	ds_load_2addr_b64 v[190:193], v189 offset0:78 offset1:79
	v_fma_f64 v[36:37], v[216:217], v[36:37], -v[38:39]
	s_waitcnt lgkmcnt(0)
	v_mul_f64 v[38:39], v[192:193], v[194:195]
	v_fma_f64 v[38:39], v[190:191], v[36:37], -v[38:39]
	v_mul_f64 v[190:191], v[190:191], v[194:195]
	s_delay_alu instid0(VALU_DEP_2) | instskip(NEXT) | instid1(VALU_DEP_2)
	v_add_f64 v[32:33], v[32:33], -v[38:39]
	v_fma_f64 v[190:191], v[192:193], v[36:37], v[190:191]
	s_delay_alu instid0(VALU_DEP_1) | instskip(SKIP_3) | instid1(VALU_DEP_1)
	v_add_f64 v[34:35], v[34:35], -v[190:191]
	ds_load_2addr_b64 v[190:193], v189 offset0:80 offset1:81
	s_waitcnt lgkmcnt(0)
	v_mul_f64 v[38:39], v[192:193], v[194:195]
	v_fma_f64 v[38:39], v[190:191], v[36:37], -v[38:39]
	v_mul_f64 v[190:191], v[190:191], v[194:195]
	s_delay_alu instid0(VALU_DEP_2) | instskip(NEXT) | instid1(VALU_DEP_2)
	v_add_f64 v[28:29], v[28:29], -v[38:39]
	v_fma_f64 v[190:191], v[192:193], v[36:37], v[190:191]
	s_delay_alu instid0(VALU_DEP_1) | instskip(SKIP_3) | instid1(VALU_DEP_1)
	v_add_f64 v[30:31], v[30:31], -v[190:191]
	ds_load_2addr_b64 v[190:193], v189 offset0:82 offset1:83
	;; [unrolled: 10-line block ×8, first 2 shown]
	s_waitcnt lgkmcnt(0)
	v_mul_f64 v[38:39], v[192:193], v[194:195]
	v_fma_f64 v[38:39], v[190:191], v[36:37], -v[38:39]
	v_mul_f64 v[190:191], v[190:191], v[194:195]
	s_delay_alu instid0(VALU_DEP_2) | instskip(NEXT) | instid1(VALU_DEP_2)
	v_add_f64 v[0:1], v[0:1], -v[38:39]
	v_fma_f64 v[190:191], v[192:193], v[36:37], v[190:191]
	v_dual_mov_b32 v38, v194 :: v_dual_mov_b32 v39, v195
	s_delay_alu instid0(VALU_DEP_2)
	v_add_f64 v[2:3], v[2:3], -v[190:191]
.LBB95_352:
	s_or_b32 exec_lo, exec_lo, s3
	s_delay_alu instid0(SALU_CYCLE_1)
	s_mov_b32 s4, exec_lo
	s_waitcnt lgkmcnt(0)
	s_barrier
	buffer_gl0_inv
	v_cmpx_eq_u32_e32 39, v252
	s_cbranch_execz .LBB95_359
; %bb.353:
	ds_store_2addr_b64 v188, v[32:33], v[34:35] offset1:1
	ds_store_2addr_b64 v189, v[28:29], v[30:31] offset0:80 offset1:81
	ds_store_2addr_b64 v189, v[24:25], v[26:27] offset0:82 offset1:83
	;; [unrolled: 1-line block ×8, first 2 shown]
	ds_load_2addr_b64 v[220:223], v188 offset1:1
	s_waitcnt lgkmcnt(0)
	v_cmp_neq_f64_e32 vcc_lo, 0, v[220:221]
	v_cmp_neq_f64_e64 s3, 0, v[222:223]
	s_delay_alu instid0(VALU_DEP_1) | instskip(NEXT) | instid1(SALU_CYCLE_1)
	s_or_b32 s3, vcc_lo, s3
	s_and_b32 exec_lo, exec_lo, s3
	s_cbranch_execz .LBB95_359
; %bb.354:
	v_cmp_gt_f64_e32 vcc_lo, 0, v[220:221]
	v_xor_b32_e32 v190, 0x80000000, v221
	v_xor_b32_e32 v192, 0x80000000, v223
	s_delay_alu instid0(VALU_DEP_2) | instskip(SKIP_1) | instid1(VALU_DEP_3)
	v_dual_cndmask_b32 v191, v221, v190 :: v_dual_cndmask_b32 v190, v220, v220
	v_cmp_gt_f64_e32 vcc_lo, 0, v[222:223]
	v_dual_cndmask_b32 v193, v223, v192 :: v_dual_cndmask_b32 v192, v222, v222
	s_delay_alu instid0(VALU_DEP_1) | instskip(SKIP_1) | instid1(SALU_CYCLE_1)
	v_cmp_ngt_f64_e32 vcc_lo, v[190:191], v[192:193]
                                        ; implicit-def: $vgpr192_vgpr193
	s_and_saveexec_b32 s3, vcc_lo
	s_xor_b32 s3, exec_lo, s3
                                        ; implicit-def: $vgpr224_vgpr225_vgpr226_vgpr227
	s_cbranch_execz .LBB95_356
; %bb.355:
	v_div_scale_f64 v[190:191], null, v[222:223], v[222:223], v[220:221]
	v_div_scale_f64 v[224:225], vcc_lo, v[220:221], v[222:223], v[220:221]
	s_delay_alu instid0(VALU_DEP_2) | instskip(SKIP_2) | instid1(VALU_DEP_1)
	v_rcp_f64_e32 v[192:193], v[190:191]
	s_waitcnt_depctr 0xfff
	v_fma_f64 v[194:195], -v[190:191], v[192:193], 1.0
	v_fma_f64 v[192:193], v[192:193], v[194:195], v[192:193]
	s_delay_alu instid0(VALU_DEP_1) | instskip(NEXT) | instid1(VALU_DEP_1)
	v_fma_f64 v[194:195], -v[190:191], v[192:193], 1.0
	v_fma_f64 v[192:193], v[192:193], v[194:195], v[192:193]
	s_delay_alu instid0(VALU_DEP_1) | instskip(NEXT) | instid1(VALU_DEP_1)
	v_mul_f64 v[194:195], v[224:225], v[192:193]
	v_fma_f64 v[190:191], -v[190:191], v[194:195], v[224:225]
	s_delay_alu instid0(VALU_DEP_1) | instskip(NEXT) | instid1(VALU_DEP_1)
	v_div_fmas_f64 v[190:191], v[190:191], v[192:193], v[194:195]
	v_div_fixup_f64 v[190:191], v[190:191], v[222:223], v[220:221]
	s_delay_alu instid0(VALU_DEP_1) | instskip(NEXT) | instid1(VALU_DEP_1)
	v_fma_f64 v[192:193], v[220:221], v[190:191], v[222:223]
	v_div_scale_f64 v[194:195], null, v[192:193], v[192:193], 1.0
	s_delay_alu instid0(VALU_DEP_1) | instskip(SKIP_2) | instid1(VALU_DEP_1)
	v_rcp_f64_e32 v[220:221], v[194:195]
	s_waitcnt_depctr 0xfff
	v_fma_f64 v[222:223], -v[194:195], v[220:221], 1.0
	v_fma_f64 v[220:221], v[220:221], v[222:223], v[220:221]
	s_delay_alu instid0(VALU_DEP_1) | instskip(NEXT) | instid1(VALU_DEP_1)
	v_fma_f64 v[222:223], -v[194:195], v[220:221], 1.0
	v_fma_f64 v[220:221], v[220:221], v[222:223], v[220:221]
	v_div_scale_f64 v[222:223], vcc_lo, 1.0, v[192:193], 1.0
	s_delay_alu instid0(VALU_DEP_1) | instskip(NEXT) | instid1(VALU_DEP_1)
	v_mul_f64 v[224:225], v[222:223], v[220:221]
	v_fma_f64 v[194:195], -v[194:195], v[224:225], v[222:223]
	s_delay_alu instid0(VALU_DEP_1) | instskip(NEXT) | instid1(VALU_DEP_1)
	v_div_fmas_f64 v[194:195], v[194:195], v[220:221], v[224:225]
                                        ; implicit-def: $vgpr220_vgpr221
	v_div_fixup_f64 v[226:227], v[194:195], v[192:193], 1.0
	s_delay_alu instid0(VALU_DEP_1)
	v_mul_f64 v[192:193], v[190:191], v[226:227]
	v_xor_b32_e32 v227, 0x80000000, v227
.LBB95_356:
	s_and_not1_saveexec_b32 s3, s3
	s_cbranch_execz .LBB95_358
; %bb.357:
	v_div_scale_f64 v[190:191], null, v[220:221], v[220:221], v[222:223]
	v_div_scale_f64 v[224:225], vcc_lo, v[222:223], v[220:221], v[222:223]
	s_delay_alu instid0(VALU_DEP_2) | instskip(SKIP_2) | instid1(VALU_DEP_1)
	v_rcp_f64_e32 v[192:193], v[190:191]
	s_waitcnt_depctr 0xfff
	v_fma_f64 v[194:195], -v[190:191], v[192:193], 1.0
	v_fma_f64 v[192:193], v[192:193], v[194:195], v[192:193]
	s_delay_alu instid0(VALU_DEP_1) | instskip(NEXT) | instid1(VALU_DEP_1)
	v_fma_f64 v[194:195], -v[190:191], v[192:193], 1.0
	v_fma_f64 v[192:193], v[192:193], v[194:195], v[192:193]
	s_delay_alu instid0(VALU_DEP_1) | instskip(NEXT) | instid1(VALU_DEP_1)
	v_mul_f64 v[194:195], v[224:225], v[192:193]
	v_fma_f64 v[190:191], -v[190:191], v[194:195], v[224:225]
	s_delay_alu instid0(VALU_DEP_1) | instskip(NEXT) | instid1(VALU_DEP_1)
	v_div_fmas_f64 v[190:191], v[190:191], v[192:193], v[194:195]
	v_div_fixup_f64 v[190:191], v[190:191], v[220:221], v[222:223]
	s_delay_alu instid0(VALU_DEP_1) | instskip(NEXT) | instid1(VALU_DEP_1)
	v_fma_f64 v[192:193], v[222:223], v[190:191], v[220:221]
	v_div_scale_f64 v[194:195], null, v[192:193], v[192:193], 1.0
	s_delay_alu instid0(VALU_DEP_1) | instskip(SKIP_2) | instid1(VALU_DEP_1)
	v_rcp_f64_e32 v[220:221], v[194:195]
	s_waitcnt_depctr 0xfff
	v_fma_f64 v[222:223], -v[194:195], v[220:221], 1.0
	v_fma_f64 v[220:221], v[220:221], v[222:223], v[220:221]
	s_delay_alu instid0(VALU_DEP_1) | instskip(NEXT) | instid1(VALU_DEP_1)
	v_fma_f64 v[222:223], -v[194:195], v[220:221], 1.0
	v_fma_f64 v[220:221], v[220:221], v[222:223], v[220:221]
	v_div_scale_f64 v[222:223], vcc_lo, 1.0, v[192:193], 1.0
	s_delay_alu instid0(VALU_DEP_1) | instskip(NEXT) | instid1(VALU_DEP_1)
	v_mul_f64 v[224:225], v[222:223], v[220:221]
	v_fma_f64 v[194:195], -v[194:195], v[224:225], v[222:223]
	s_delay_alu instid0(VALU_DEP_1) | instskip(NEXT) | instid1(VALU_DEP_1)
	v_div_fmas_f64 v[194:195], v[194:195], v[220:221], v[224:225]
	v_div_fixup_f64 v[192:193], v[194:195], v[192:193], 1.0
	s_delay_alu instid0(VALU_DEP_1)
	v_mul_f64 v[226:227], v[190:191], -v[192:193]
.LBB95_358:
	s_or_b32 exec_lo, exec_lo, s3
	ds_store_2addr_b64 v188, v[192:193], v[226:227] offset1:1
.LBB95_359:
	s_or_b32 exec_lo, exec_lo, s4
	s_waitcnt lgkmcnt(0)
	s_barrier
	buffer_gl0_inv
	ds_load_2addr_b64 v[220:223], v188 offset1:1
	s_mov_b32 s3, exec_lo
	v_cmpx_lt_u32_e32 39, v252
	s_cbranch_execz .LBB95_361
; %bb.360:
	s_waitcnt lgkmcnt(0)
	v_mul_f64 v[190:191], v[220:221], v[34:35]
	v_mul_f64 v[34:35], v[222:223], v[34:35]
	s_delay_alu instid0(VALU_DEP_2) | instskip(SKIP_4) | instid1(VALU_DEP_1)
	v_fma_f64 v[194:195], v[222:223], v[32:33], v[190:191]
	ds_load_2addr_b64 v[190:193], v189 offset0:80 offset1:81
	v_fma_f64 v[32:33], v[220:221], v[32:33], -v[34:35]
	s_waitcnt lgkmcnt(0)
	v_mul_f64 v[34:35], v[192:193], v[194:195]
	v_fma_f64 v[34:35], v[190:191], v[32:33], -v[34:35]
	v_mul_f64 v[190:191], v[190:191], v[194:195]
	s_delay_alu instid0(VALU_DEP_2) | instskip(NEXT) | instid1(VALU_DEP_2)
	v_add_f64 v[28:29], v[28:29], -v[34:35]
	v_fma_f64 v[190:191], v[192:193], v[32:33], v[190:191]
	s_delay_alu instid0(VALU_DEP_1) | instskip(SKIP_3) | instid1(VALU_DEP_1)
	v_add_f64 v[30:31], v[30:31], -v[190:191]
	ds_load_2addr_b64 v[190:193], v189 offset0:82 offset1:83
	s_waitcnt lgkmcnt(0)
	v_mul_f64 v[34:35], v[192:193], v[194:195]
	v_fma_f64 v[34:35], v[190:191], v[32:33], -v[34:35]
	v_mul_f64 v[190:191], v[190:191], v[194:195]
	s_delay_alu instid0(VALU_DEP_2) | instskip(NEXT) | instid1(VALU_DEP_2)
	v_add_f64 v[24:25], v[24:25], -v[34:35]
	v_fma_f64 v[190:191], v[192:193], v[32:33], v[190:191]
	s_delay_alu instid0(VALU_DEP_1) | instskip(SKIP_3) | instid1(VALU_DEP_1)
	v_add_f64 v[26:27], v[26:27], -v[190:191]
	ds_load_2addr_b64 v[190:193], v189 offset0:84 offset1:85
	;; [unrolled: 10-line block ×7, first 2 shown]
	s_waitcnt lgkmcnt(0)
	v_mul_f64 v[34:35], v[192:193], v[194:195]
	v_fma_f64 v[34:35], v[190:191], v[32:33], -v[34:35]
	v_mul_f64 v[190:191], v[190:191], v[194:195]
	s_delay_alu instid0(VALU_DEP_2) | instskip(NEXT) | instid1(VALU_DEP_2)
	v_add_f64 v[0:1], v[0:1], -v[34:35]
	v_fma_f64 v[190:191], v[192:193], v[32:33], v[190:191]
	v_dual_mov_b32 v34, v194 :: v_dual_mov_b32 v35, v195
	s_delay_alu instid0(VALU_DEP_2)
	v_add_f64 v[2:3], v[2:3], -v[190:191]
.LBB95_361:
	s_or_b32 exec_lo, exec_lo, s3
	s_delay_alu instid0(SALU_CYCLE_1)
	s_mov_b32 s4, exec_lo
	s_waitcnt lgkmcnt(0)
	s_barrier
	buffer_gl0_inv
	v_cmpx_eq_u32_e32 40, v252
	s_cbranch_execz .LBB95_368
; %bb.362:
	ds_store_2addr_b64 v188, v[28:29], v[30:31] offset1:1
	ds_store_2addr_b64 v189, v[24:25], v[26:27] offset0:82 offset1:83
	ds_store_2addr_b64 v189, v[20:21], v[22:23] offset0:84 offset1:85
	;; [unrolled: 1-line block ×7, first 2 shown]
	ds_load_2addr_b64 v[224:227], v188 offset1:1
	s_waitcnt lgkmcnt(0)
	v_cmp_neq_f64_e32 vcc_lo, 0, v[224:225]
	v_cmp_neq_f64_e64 s3, 0, v[226:227]
	s_delay_alu instid0(VALU_DEP_1) | instskip(NEXT) | instid1(SALU_CYCLE_1)
	s_or_b32 s3, vcc_lo, s3
	s_and_b32 exec_lo, exec_lo, s3
	s_cbranch_execz .LBB95_368
; %bb.363:
	v_cmp_gt_f64_e32 vcc_lo, 0, v[224:225]
	v_xor_b32_e32 v190, 0x80000000, v225
	v_xor_b32_e32 v192, 0x80000000, v227
	s_delay_alu instid0(VALU_DEP_2) | instskip(SKIP_1) | instid1(VALU_DEP_3)
	v_dual_cndmask_b32 v191, v225, v190 :: v_dual_cndmask_b32 v190, v224, v224
	v_cmp_gt_f64_e32 vcc_lo, 0, v[226:227]
	v_dual_cndmask_b32 v193, v227, v192 :: v_dual_cndmask_b32 v192, v226, v226
	s_delay_alu instid0(VALU_DEP_1) | instskip(SKIP_1) | instid1(SALU_CYCLE_1)
	v_cmp_ngt_f64_e32 vcc_lo, v[190:191], v[192:193]
                                        ; implicit-def: $vgpr192_vgpr193
	s_and_saveexec_b32 s3, vcc_lo
	s_xor_b32 s3, exec_lo, s3
                                        ; implicit-def: $vgpr228_vgpr229_vgpr230_vgpr231
	s_cbranch_execz .LBB95_365
; %bb.364:
	v_div_scale_f64 v[190:191], null, v[226:227], v[226:227], v[224:225]
	v_div_scale_f64 v[228:229], vcc_lo, v[224:225], v[226:227], v[224:225]
	s_delay_alu instid0(VALU_DEP_2) | instskip(SKIP_2) | instid1(VALU_DEP_1)
	v_rcp_f64_e32 v[192:193], v[190:191]
	s_waitcnt_depctr 0xfff
	v_fma_f64 v[194:195], -v[190:191], v[192:193], 1.0
	v_fma_f64 v[192:193], v[192:193], v[194:195], v[192:193]
	s_delay_alu instid0(VALU_DEP_1) | instskip(NEXT) | instid1(VALU_DEP_1)
	v_fma_f64 v[194:195], -v[190:191], v[192:193], 1.0
	v_fma_f64 v[192:193], v[192:193], v[194:195], v[192:193]
	s_delay_alu instid0(VALU_DEP_1) | instskip(NEXT) | instid1(VALU_DEP_1)
	v_mul_f64 v[194:195], v[228:229], v[192:193]
	v_fma_f64 v[190:191], -v[190:191], v[194:195], v[228:229]
	s_delay_alu instid0(VALU_DEP_1) | instskip(NEXT) | instid1(VALU_DEP_1)
	v_div_fmas_f64 v[190:191], v[190:191], v[192:193], v[194:195]
	v_div_fixup_f64 v[190:191], v[190:191], v[226:227], v[224:225]
	s_delay_alu instid0(VALU_DEP_1) | instskip(NEXT) | instid1(VALU_DEP_1)
	v_fma_f64 v[192:193], v[224:225], v[190:191], v[226:227]
	v_div_scale_f64 v[194:195], null, v[192:193], v[192:193], 1.0
	s_delay_alu instid0(VALU_DEP_1) | instskip(SKIP_2) | instid1(VALU_DEP_1)
	v_rcp_f64_e32 v[224:225], v[194:195]
	s_waitcnt_depctr 0xfff
	v_fma_f64 v[226:227], -v[194:195], v[224:225], 1.0
	v_fma_f64 v[224:225], v[224:225], v[226:227], v[224:225]
	s_delay_alu instid0(VALU_DEP_1) | instskip(NEXT) | instid1(VALU_DEP_1)
	v_fma_f64 v[226:227], -v[194:195], v[224:225], 1.0
	v_fma_f64 v[224:225], v[224:225], v[226:227], v[224:225]
	v_div_scale_f64 v[226:227], vcc_lo, 1.0, v[192:193], 1.0
	s_delay_alu instid0(VALU_DEP_1) | instskip(NEXT) | instid1(VALU_DEP_1)
	v_mul_f64 v[228:229], v[226:227], v[224:225]
	v_fma_f64 v[194:195], -v[194:195], v[228:229], v[226:227]
	s_delay_alu instid0(VALU_DEP_1) | instskip(NEXT) | instid1(VALU_DEP_1)
	v_div_fmas_f64 v[194:195], v[194:195], v[224:225], v[228:229]
                                        ; implicit-def: $vgpr224_vgpr225
	v_div_fixup_f64 v[230:231], v[194:195], v[192:193], 1.0
	s_delay_alu instid0(VALU_DEP_1)
	v_mul_f64 v[192:193], v[190:191], v[230:231]
	v_xor_b32_e32 v231, 0x80000000, v231
.LBB95_365:
	s_and_not1_saveexec_b32 s3, s3
	s_cbranch_execz .LBB95_367
; %bb.366:
	v_div_scale_f64 v[190:191], null, v[224:225], v[224:225], v[226:227]
	v_div_scale_f64 v[228:229], vcc_lo, v[226:227], v[224:225], v[226:227]
	s_delay_alu instid0(VALU_DEP_2) | instskip(SKIP_2) | instid1(VALU_DEP_1)
	v_rcp_f64_e32 v[192:193], v[190:191]
	s_waitcnt_depctr 0xfff
	v_fma_f64 v[194:195], -v[190:191], v[192:193], 1.0
	v_fma_f64 v[192:193], v[192:193], v[194:195], v[192:193]
	s_delay_alu instid0(VALU_DEP_1) | instskip(NEXT) | instid1(VALU_DEP_1)
	v_fma_f64 v[194:195], -v[190:191], v[192:193], 1.0
	v_fma_f64 v[192:193], v[192:193], v[194:195], v[192:193]
	s_delay_alu instid0(VALU_DEP_1) | instskip(NEXT) | instid1(VALU_DEP_1)
	v_mul_f64 v[194:195], v[228:229], v[192:193]
	v_fma_f64 v[190:191], -v[190:191], v[194:195], v[228:229]
	s_delay_alu instid0(VALU_DEP_1) | instskip(NEXT) | instid1(VALU_DEP_1)
	v_div_fmas_f64 v[190:191], v[190:191], v[192:193], v[194:195]
	v_div_fixup_f64 v[190:191], v[190:191], v[224:225], v[226:227]
	s_delay_alu instid0(VALU_DEP_1) | instskip(NEXT) | instid1(VALU_DEP_1)
	v_fma_f64 v[192:193], v[226:227], v[190:191], v[224:225]
	v_div_scale_f64 v[194:195], null, v[192:193], v[192:193], 1.0
	s_delay_alu instid0(VALU_DEP_1) | instskip(SKIP_2) | instid1(VALU_DEP_1)
	v_rcp_f64_e32 v[224:225], v[194:195]
	s_waitcnt_depctr 0xfff
	v_fma_f64 v[226:227], -v[194:195], v[224:225], 1.0
	v_fma_f64 v[224:225], v[224:225], v[226:227], v[224:225]
	s_delay_alu instid0(VALU_DEP_1) | instskip(NEXT) | instid1(VALU_DEP_1)
	v_fma_f64 v[226:227], -v[194:195], v[224:225], 1.0
	v_fma_f64 v[224:225], v[224:225], v[226:227], v[224:225]
	v_div_scale_f64 v[226:227], vcc_lo, 1.0, v[192:193], 1.0
	s_delay_alu instid0(VALU_DEP_1) | instskip(NEXT) | instid1(VALU_DEP_1)
	v_mul_f64 v[228:229], v[226:227], v[224:225]
	v_fma_f64 v[194:195], -v[194:195], v[228:229], v[226:227]
	s_delay_alu instid0(VALU_DEP_1) | instskip(NEXT) | instid1(VALU_DEP_1)
	v_div_fmas_f64 v[194:195], v[194:195], v[224:225], v[228:229]
	v_div_fixup_f64 v[192:193], v[194:195], v[192:193], 1.0
	s_delay_alu instid0(VALU_DEP_1)
	v_mul_f64 v[230:231], v[190:191], -v[192:193]
.LBB95_367:
	s_or_b32 exec_lo, exec_lo, s3
	ds_store_2addr_b64 v188, v[192:193], v[230:231] offset1:1
.LBB95_368:
	s_or_b32 exec_lo, exec_lo, s4
	s_waitcnt lgkmcnt(0)
	s_barrier
	buffer_gl0_inv
	ds_load_2addr_b64 v[224:227], v188 offset1:1
	s_mov_b32 s3, exec_lo
	v_cmpx_lt_u32_e32 40, v252
	s_cbranch_execz .LBB95_370
; %bb.369:
	s_waitcnt lgkmcnt(0)
	v_mul_f64 v[190:191], v[224:225], v[30:31]
	v_mul_f64 v[30:31], v[226:227], v[30:31]
	s_delay_alu instid0(VALU_DEP_2) | instskip(SKIP_4) | instid1(VALU_DEP_1)
	v_fma_f64 v[194:195], v[226:227], v[28:29], v[190:191]
	ds_load_2addr_b64 v[190:193], v189 offset0:82 offset1:83
	v_fma_f64 v[28:29], v[224:225], v[28:29], -v[30:31]
	s_waitcnt lgkmcnt(0)
	v_mul_f64 v[30:31], v[192:193], v[194:195]
	v_fma_f64 v[30:31], v[190:191], v[28:29], -v[30:31]
	v_mul_f64 v[190:191], v[190:191], v[194:195]
	s_delay_alu instid0(VALU_DEP_2) | instskip(NEXT) | instid1(VALU_DEP_2)
	v_add_f64 v[24:25], v[24:25], -v[30:31]
	v_fma_f64 v[190:191], v[192:193], v[28:29], v[190:191]
	s_delay_alu instid0(VALU_DEP_1) | instskip(SKIP_3) | instid1(VALU_DEP_1)
	v_add_f64 v[26:27], v[26:27], -v[190:191]
	ds_load_2addr_b64 v[190:193], v189 offset0:84 offset1:85
	s_waitcnt lgkmcnt(0)
	v_mul_f64 v[30:31], v[192:193], v[194:195]
	v_fma_f64 v[30:31], v[190:191], v[28:29], -v[30:31]
	v_mul_f64 v[190:191], v[190:191], v[194:195]
	s_delay_alu instid0(VALU_DEP_2) | instskip(NEXT) | instid1(VALU_DEP_2)
	v_add_f64 v[20:21], v[20:21], -v[30:31]
	v_fma_f64 v[190:191], v[192:193], v[28:29], v[190:191]
	s_delay_alu instid0(VALU_DEP_1) | instskip(SKIP_3) | instid1(VALU_DEP_1)
	v_add_f64 v[22:23], v[22:23], -v[190:191]
	ds_load_2addr_b64 v[190:193], v189 offset0:86 offset1:87
	;; [unrolled: 10-line block ×6, first 2 shown]
	s_waitcnt lgkmcnt(0)
	v_mul_f64 v[30:31], v[192:193], v[194:195]
	v_fma_f64 v[30:31], v[190:191], v[28:29], -v[30:31]
	v_mul_f64 v[190:191], v[190:191], v[194:195]
	s_delay_alu instid0(VALU_DEP_2) | instskip(NEXT) | instid1(VALU_DEP_2)
	v_add_f64 v[0:1], v[0:1], -v[30:31]
	v_fma_f64 v[190:191], v[192:193], v[28:29], v[190:191]
	v_dual_mov_b32 v30, v194 :: v_dual_mov_b32 v31, v195
	s_delay_alu instid0(VALU_DEP_2)
	v_add_f64 v[2:3], v[2:3], -v[190:191]
.LBB95_370:
	s_or_b32 exec_lo, exec_lo, s3
	s_delay_alu instid0(SALU_CYCLE_1)
	s_mov_b32 s4, exec_lo
	s_waitcnt lgkmcnt(0)
	s_barrier
	buffer_gl0_inv
	v_cmpx_eq_u32_e32 41, v252
	s_cbranch_execz .LBB95_377
; %bb.371:
	ds_store_2addr_b64 v188, v[24:25], v[26:27] offset1:1
	ds_store_2addr_b64 v189, v[20:21], v[22:23] offset0:84 offset1:85
	ds_store_2addr_b64 v189, v[16:17], v[18:19] offset0:86 offset1:87
	;; [unrolled: 1-line block ×6, first 2 shown]
	ds_load_2addr_b64 v[228:231], v188 offset1:1
	s_waitcnt lgkmcnt(0)
	v_cmp_neq_f64_e32 vcc_lo, 0, v[228:229]
	v_cmp_neq_f64_e64 s3, 0, v[230:231]
	s_delay_alu instid0(VALU_DEP_1) | instskip(NEXT) | instid1(SALU_CYCLE_1)
	s_or_b32 s3, vcc_lo, s3
	s_and_b32 exec_lo, exec_lo, s3
	s_cbranch_execz .LBB95_377
; %bb.372:
	v_cmp_gt_f64_e32 vcc_lo, 0, v[228:229]
	v_xor_b32_e32 v190, 0x80000000, v229
	v_xor_b32_e32 v192, 0x80000000, v231
	s_delay_alu instid0(VALU_DEP_2) | instskip(SKIP_1) | instid1(VALU_DEP_3)
	v_dual_cndmask_b32 v191, v229, v190 :: v_dual_cndmask_b32 v190, v228, v228
	v_cmp_gt_f64_e32 vcc_lo, 0, v[230:231]
	v_dual_cndmask_b32 v193, v231, v192 :: v_dual_cndmask_b32 v192, v230, v230
	s_delay_alu instid0(VALU_DEP_1) | instskip(SKIP_1) | instid1(SALU_CYCLE_1)
	v_cmp_ngt_f64_e32 vcc_lo, v[190:191], v[192:193]
                                        ; implicit-def: $vgpr192_vgpr193
	s_and_saveexec_b32 s3, vcc_lo
	s_xor_b32 s3, exec_lo, s3
                                        ; implicit-def: $vgpr232_vgpr233_vgpr234_vgpr235
	s_cbranch_execz .LBB95_374
; %bb.373:
	v_div_scale_f64 v[190:191], null, v[230:231], v[230:231], v[228:229]
	v_div_scale_f64 v[232:233], vcc_lo, v[228:229], v[230:231], v[228:229]
	s_delay_alu instid0(VALU_DEP_2) | instskip(SKIP_2) | instid1(VALU_DEP_1)
	v_rcp_f64_e32 v[192:193], v[190:191]
	s_waitcnt_depctr 0xfff
	v_fma_f64 v[194:195], -v[190:191], v[192:193], 1.0
	v_fma_f64 v[192:193], v[192:193], v[194:195], v[192:193]
	s_delay_alu instid0(VALU_DEP_1) | instskip(NEXT) | instid1(VALU_DEP_1)
	v_fma_f64 v[194:195], -v[190:191], v[192:193], 1.0
	v_fma_f64 v[192:193], v[192:193], v[194:195], v[192:193]
	s_delay_alu instid0(VALU_DEP_1) | instskip(NEXT) | instid1(VALU_DEP_1)
	v_mul_f64 v[194:195], v[232:233], v[192:193]
	v_fma_f64 v[190:191], -v[190:191], v[194:195], v[232:233]
	s_delay_alu instid0(VALU_DEP_1) | instskip(NEXT) | instid1(VALU_DEP_1)
	v_div_fmas_f64 v[190:191], v[190:191], v[192:193], v[194:195]
	v_div_fixup_f64 v[190:191], v[190:191], v[230:231], v[228:229]
	s_delay_alu instid0(VALU_DEP_1) | instskip(NEXT) | instid1(VALU_DEP_1)
	v_fma_f64 v[192:193], v[228:229], v[190:191], v[230:231]
	v_div_scale_f64 v[194:195], null, v[192:193], v[192:193], 1.0
	s_delay_alu instid0(VALU_DEP_1) | instskip(SKIP_2) | instid1(VALU_DEP_1)
	v_rcp_f64_e32 v[228:229], v[194:195]
	s_waitcnt_depctr 0xfff
	v_fma_f64 v[230:231], -v[194:195], v[228:229], 1.0
	v_fma_f64 v[228:229], v[228:229], v[230:231], v[228:229]
	s_delay_alu instid0(VALU_DEP_1) | instskip(NEXT) | instid1(VALU_DEP_1)
	v_fma_f64 v[230:231], -v[194:195], v[228:229], 1.0
	v_fma_f64 v[228:229], v[228:229], v[230:231], v[228:229]
	v_div_scale_f64 v[230:231], vcc_lo, 1.0, v[192:193], 1.0
	s_delay_alu instid0(VALU_DEP_1) | instskip(NEXT) | instid1(VALU_DEP_1)
	v_mul_f64 v[232:233], v[230:231], v[228:229]
	v_fma_f64 v[194:195], -v[194:195], v[232:233], v[230:231]
	s_delay_alu instid0(VALU_DEP_1) | instskip(NEXT) | instid1(VALU_DEP_1)
	v_div_fmas_f64 v[194:195], v[194:195], v[228:229], v[232:233]
                                        ; implicit-def: $vgpr228_vgpr229
	v_div_fixup_f64 v[234:235], v[194:195], v[192:193], 1.0
	s_delay_alu instid0(VALU_DEP_1)
	v_mul_f64 v[192:193], v[190:191], v[234:235]
	v_xor_b32_e32 v235, 0x80000000, v235
.LBB95_374:
	s_and_not1_saveexec_b32 s3, s3
	s_cbranch_execz .LBB95_376
; %bb.375:
	v_div_scale_f64 v[190:191], null, v[228:229], v[228:229], v[230:231]
	v_div_scale_f64 v[232:233], vcc_lo, v[230:231], v[228:229], v[230:231]
	s_delay_alu instid0(VALU_DEP_2) | instskip(SKIP_2) | instid1(VALU_DEP_1)
	v_rcp_f64_e32 v[192:193], v[190:191]
	s_waitcnt_depctr 0xfff
	v_fma_f64 v[194:195], -v[190:191], v[192:193], 1.0
	v_fma_f64 v[192:193], v[192:193], v[194:195], v[192:193]
	s_delay_alu instid0(VALU_DEP_1) | instskip(NEXT) | instid1(VALU_DEP_1)
	v_fma_f64 v[194:195], -v[190:191], v[192:193], 1.0
	v_fma_f64 v[192:193], v[192:193], v[194:195], v[192:193]
	s_delay_alu instid0(VALU_DEP_1) | instskip(NEXT) | instid1(VALU_DEP_1)
	v_mul_f64 v[194:195], v[232:233], v[192:193]
	v_fma_f64 v[190:191], -v[190:191], v[194:195], v[232:233]
	s_delay_alu instid0(VALU_DEP_1) | instskip(NEXT) | instid1(VALU_DEP_1)
	v_div_fmas_f64 v[190:191], v[190:191], v[192:193], v[194:195]
	v_div_fixup_f64 v[190:191], v[190:191], v[228:229], v[230:231]
	s_delay_alu instid0(VALU_DEP_1) | instskip(NEXT) | instid1(VALU_DEP_1)
	v_fma_f64 v[192:193], v[230:231], v[190:191], v[228:229]
	v_div_scale_f64 v[194:195], null, v[192:193], v[192:193], 1.0
	s_delay_alu instid0(VALU_DEP_1) | instskip(SKIP_2) | instid1(VALU_DEP_1)
	v_rcp_f64_e32 v[228:229], v[194:195]
	s_waitcnt_depctr 0xfff
	v_fma_f64 v[230:231], -v[194:195], v[228:229], 1.0
	v_fma_f64 v[228:229], v[228:229], v[230:231], v[228:229]
	s_delay_alu instid0(VALU_DEP_1) | instskip(NEXT) | instid1(VALU_DEP_1)
	v_fma_f64 v[230:231], -v[194:195], v[228:229], 1.0
	v_fma_f64 v[228:229], v[228:229], v[230:231], v[228:229]
	v_div_scale_f64 v[230:231], vcc_lo, 1.0, v[192:193], 1.0
	s_delay_alu instid0(VALU_DEP_1) | instskip(NEXT) | instid1(VALU_DEP_1)
	v_mul_f64 v[232:233], v[230:231], v[228:229]
	v_fma_f64 v[194:195], -v[194:195], v[232:233], v[230:231]
	s_delay_alu instid0(VALU_DEP_1) | instskip(NEXT) | instid1(VALU_DEP_1)
	v_div_fmas_f64 v[194:195], v[194:195], v[228:229], v[232:233]
	v_div_fixup_f64 v[192:193], v[194:195], v[192:193], 1.0
	s_delay_alu instid0(VALU_DEP_1)
	v_mul_f64 v[234:235], v[190:191], -v[192:193]
.LBB95_376:
	s_or_b32 exec_lo, exec_lo, s3
	ds_store_2addr_b64 v188, v[192:193], v[234:235] offset1:1
.LBB95_377:
	s_or_b32 exec_lo, exec_lo, s4
	s_waitcnt lgkmcnt(0)
	s_barrier
	buffer_gl0_inv
	ds_load_2addr_b64 v[228:231], v188 offset1:1
	s_mov_b32 s3, exec_lo
	v_cmpx_lt_u32_e32 41, v252
	s_cbranch_execz .LBB95_379
; %bb.378:
	s_waitcnt lgkmcnt(0)
	v_mul_f64 v[190:191], v[228:229], v[26:27]
	v_mul_f64 v[26:27], v[230:231], v[26:27]
	s_delay_alu instid0(VALU_DEP_2) | instskip(SKIP_4) | instid1(VALU_DEP_1)
	v_fma_f64 v[194:195], v[230:231], v[24:25], v[190:191]
	ds_load_2addr_b64 v[190:193], v189 offset0:84 offset1:85
	v_fma_f64 v[24:25], v[228:229], v[24:25], -v[26:27]
	s_waitcnt lgkmcnt(0)
	v_mul_f64 v[26:27], v[192:193], v[194:195]
	v_fma_f64 v[26:27], v[190:191], v[24:25], -v[26:27]
	v_mul_f64 v[190:191], v[190:191], v[194:195]
	s_delay_alu instid0(VALU_DEP_2) | instskip(NEXT) | instid1(VALU_DEP_2)
	v_add_f64 v[20:21], v[20:21], -v[26:27]
	v_fma_f64 v[190:191], v[192:193], v[24:25], v[190:191]
	s_delay_alu instid0(VALU_DEP_1) | instskip(SKIP_3) | instid1(VALU_DEP_1)
	v_add_f64 v[22:23], v[22:23], -v[190:191]
	ds_load_2addr_b64 v[190:193], v189 offset0:86 offset1:87
	s_waitcnt lgkmcnt(0)
	v_mul_f64 v[26:27], v[192:193], v[194:195]
	v_fma_f64 v[26:27], v[190:191], v[24:25], -v[26:27]
	v_mul_f64 v[190:191], v[190:191], v[194:195]
	s_delay_alu instid0(VALU_DEP_2) | instskip(NEXT) | instid1(VALU_DEP_2)
	v_add_f64 v[16:17], v[16:17], -v[26:27]
	v_fma_f64 v[190:191], v[192:193], v[24:25], v[190:191]
	s_delay_alu instid0(VALU_DEP_1) | instskip(SKIP_3) | instid1(VALU_DEP_1)
	v_add_f64 v[18:19], v[18:19], -v[190:191]
	ds_load_2addr_b64 v[190:193], v189 offset0:88 offset1:89
	;; [unrolled: 10-line block ×5, first 2 shown]
	s_waitcnt lgkmcnt(0)
	v_mul_f64 v[26:27], v[192:193], v[194:195]
	v_fma_f64 v[26:27], v[190:191], v[24:25], -v[26:27]
	v_mul_f64 v[190:191], v[190:191], v[194:195]
	s_delay_alu instid0(VALU_DEP_2) | instskip(NEXT) | instid1(VALU_DEP_2)
	v_add_f64 v[0:1], v[0:1], -v[26:27]
	v_fma_f64 v[190:191], v[192:193], v[24:25], v[190:191]
	v_dual_mov_b32 v26, v194 :: v_dual_mov_b32 v27, v195
	s_delay_alu instid0(VALU_DEP_2)
	v_add_f64 v[2:3], v[2:3], -v[190:191]
.LBB95_379:
	s_or_b32 exec_lo, exec_lo, s3
	s_delay_alu instid0(SALU_CYCLE_1)
	s_mov_b32 s4, exec_lo
	s_waitcnt lgkmcnt(0)
	s_barrier
	buffer_gl0_inv
	v_cmpx_eq_u32_e32 42, v252
	s_cbranch_execz .LBB95_386
; %bb.380:
	ds_store_2addr_b64 v188, v[20:21], v[22:23] offset1:1
	ds_store_2addr_b64 v189, v[16:17], v[18:19] offset0:86 offset1:87
	ds_store_2addr_b64 v189, v[12:13], v[14:15] offset0:88 offset1:89
	;; [unrolled: 1-line block ×5, first 2 shown]
	ds_load_2addr_b64 v[232:235], v188 offset1:1
	s_waitcnt lgkmcnt(0)
	v_cmp_neq_f64_e32 vcc_lo, 0, v[232:233]
	v_cmp_neq_f64_e64 s3, 0, v[234:235]
	s_delay_alu instid0(VALU_DEP_1) | instskip(NEXT) | instid1(SALU_CYCLE_1)
	s_or_b32 s3, vcc_lo, s3
	s_and_b32 exec_lo, exec_lo, s3
	s_cbranch_execz .LBB95_386
; %bb.381:
	v_cmp_gt_f64_e32 vcc_lo, 0, v[232:233]
	v_xor_b32_e32 v190, 0x80000000, v233
	v_xor_b32_e32 v192, 0x80000000, v235
	s_delay_alu instid0(VALU_DEP_2) | instskip(SKIP_1) | instid1(VALU_DEP_3)
	v_dual_cndmask_b32 v191, v233, v190 :: v_dual_cndmask_b32 v190, v232, v232
	v_cmp_gt_f64_e32 vcc_lo, 0, v[234:235]
	v_dual_cndmask_b32 v193, v235, v192 :: v_dual_cndmask_b32 v192, v234, v234
	s_delay_alu instid0(VALU_DEP_1) | instskip(SKIP_1) | instid1(SALU_CYCLE_1)
	v_cmp_ngt_f64_e32 vcc_lo, v[190:191], v[192:193]
                                        ; implicit-def: $vgpr192_vgpr193
	s_and_saveexec_b32 s3, vcc_lo
	s_xor_b32 s3, exec_lo, s3
                                        ; implicit-def: $vgpr236_vgpr237_vgpr238_vgpr239
	s_cbranch_execz .LBB95_383
; %bb.382:
	v_div_scale_f64 v[190:191], null, v[234:235], v[234:235], v[232:233]
	v_div_scale_f64 v[236:237], vcc_lo, v[232:233], v[234:235], v[232:233]
	s_delay_alu instid0(VALU_DEP_2) | instskip(SKIP_2) | instid1(VALU_DEP_1)
	v_rcp_f64_e32 v[192:193], v[190:191]
	s_waitcnt_depctr 0xfff
	v_fma_f64 v[194:195], -v[190:191], v[192:193], 1.0
	v_fma_f64 v[192:193], v[192:193], v[194:195], v[192:193]
	s_delay_alu instid0(VALU_DEP_1) | instskip(NEXT) | instid1(VALU_DEP_1)
	v_fma_f64 v[194:195], -v[190:191], v[192:193], 1.0
	v_fma_f64 v[192:193], v[192:193], v[194:195], v[192:193]
	s_delay_alu instid0(VALU_DEP_1) | instskip(NEXT) | instid1(VALU_DEP_1)
	v_mul_f64 v[194:195], v[236:237], v[192:193]
	v_fma_f64 v[190:191], -v[190:191], v[194:195], v[236:237]
	s_delay_alu instid0(VALU_DEP_1) | instskip(NEXT) | instid1(VALU_DEP_1)
	v_div_fmas_f64 v[190:191], v[190:191], v[192:193], v[194:195]
	v_div_fixup_f64 v[190:191], v[190:191], v[234:235], v[232:233]
	s_delay_alu instid0(VALU_DEP_1) | instskip(NEXT) | instid1(VALU_DEP_1)
	v_fma_f64 v[192:193], v[232:233], v[190:191], v[234:235]
	v_div_scale_f64 v[194:195], null, v[192:193], v[192:193], 1.0
	s_delay_alu instid0(VALU_DEP_1) | instskip(SKIP_2) | instid1(VALU_DEP_1)
	v_rcp_f64_e32 v[232:233], v[194:195]
	s_waitcnt_depctr 0xfff
	v_fma_f64 v[234:235], -v[194:195], v[232:233], 1.0
	v_fma_f64 v[232:233], v[232:233], v[234:235], v[232:233]
	s_delay_alu instid0(VALU_DEP_1) | instskip(NEXT) | instid1(VALU_DEP_1)
	v_fma_f64 v[234:235], -v[194:195], v[232:233], 1.0
	v_fma_f64 v[232:233], v[232:233], v[234:235], v[232:233]
	v_div_scale_f64 v[234:235], vcc_lo, 1.0, v[192:193], 1.0
	s_delay_alu instid0(VALU_DEP_1) | instskip(NEXT) | instid1(VALU_DEP_1)
	v_mul_f64 v[236:237], v[234:235], v[232:233]
	v_fma_f64 v[194:195], -v[194:195], v[236:237], v[234:235]
	s_delay_alu instid0(VALU_DEP_1) | instskip(NEXT) | instid1(VALU_DEP_1)
	v_div_fmas_f64 v[194:195], v[194:195], v[232:233], v[236:237]
                                        ; implicit-def: $vgpr232_vgpr233
	v_div_fixup_f64 v[238:239], v[194:195], v[192:193], 1.0
	s_delay_alu instid0(VALU_DEP_1)
	v_mul_f64 v[192:193], v[190:191], v[238:239]
	v_xor_b32_e32 v239, 0x80000000, v239
.LBB95_383:
	s_and_not1_saveexec_b32 s3, s3
	s_cbranch_execz .LBB95_385
; %bb.384:
	v_div_scale_f64 v[190:191], null, v[232:233], v[232:233], v[234:235]
	v_div_scale_f64 v[236:237], vcc_lo, v[234:235], v[232:233], v[234:235]
	s_delay_alu instid0(VALU_DEP_2) | instskip(SKIP_2) | instid1(VALU_DEP_1)
	v_rcp_f64_e32 v[192:193], v[190:191]
	s_waitcnt_depctr 0xfff
	v_fma_f64 v[194:195], -v[190:191], v[192:193], 1.0
	v_fma_f64 v[192:193], v[192:193], v[194:195], v[192:193]
	s_delay_alu instid0(VALU_DEP_1) | instskip(NEXT) | instid1(VALU_DEP_1)
	v_fma_f64 v[194:195], -v[190:191], v[192:193], 1.0
	v_fma_f64 v[192:193], v[192:193], v[194:195], v[192:193]
	s_delay_alu instid0(VALU_DEP_1) | instskip(NEXT) | instid1(VALU_DEP_1)
	v_mul_f64 v[194:195], v[236:237], v[192:193]
	v_fma_f64 v[190:191], -v[190:191], v[194:195], v[236:237]
	s_delay_alu instid0(VALU_DEP_1) | instskip(NEXT) | instid1(VALU_DEP_1)
	v_div_fmas_f64 v[190:191], v[190:191], v[192:193], v[194:195]
	v_div_fixup_f64 v[190:191], v[190:191], v[232:233], v[234:235]
	s_delay_alu instid0(VALU_DEP_1) | instskip(NEXT) | instid1(VALU_DEP_1)
	v_fma_f64 v[192:193], v[234:235], v[190:191], v[232:233]
	v_div_scale_f64 v[194:195], null, v[192:193], v[192:193], 1.0
	s_delay_alu instid0(VALU_DEP_1) | instskip(SKIP_2) | instid1(VALU_DEP_1)
	v_rcp_f64_e32 v[232:233], v[194:195]
	s_waitcnt_depctr 0xfff
	v_fma_f64 v[234:235], -v[194:195], v[232:233], 1.0
	v_fma_f64 v[232:233], v[232:233], v[234:235], v[232:233]
	s_delay_alu instid0(VALU_DEP_1) | instskip(NEXT) | instid1(VALU_DEP_1)
	v_fma_f64 v[234:235], -v[194:195], v[232:233], 1.0
	v_fma_f64 v[232:233], v[232:233], v[234:235], v[232:233]
	v_div_scale_f64 v[234:235], vcc_lo, 1.0, v[192:193], 1.0
	s_delay_alu instid0(VALU_DEP_1) | instskip(NEXT) | instid1(VALU_DEP_1)
	v_mul_f64 v[236:237], v[234:235], v[232:233]
	v_fma_f64 v[194:195], -v[194:195], v[236:237], v[234:235]
	s_delay_alu instid0(VALU_DEP_1) | instskip(NEXT) | instid1(VALU_DEP_1)
	v_div_fmas_f64 v[194:195], v[194:195], v[232:233], v[236:237]
	v_div_fixup_f64 v[192:193], v[194:195], v[192:193], 1.0
	s_delay_alu instid0(VALU_DEP_1)
	v_mul_f64 v[238:239], v[190:191], -v[192:193]
.LBB95_385:
	s_or_b32 exec_lo, exec_lo, s3
	ds_store_2addr_b64 v188, v[192:193], v[238:239] offset1:1
.LBB95_386:
	s_or_b32 exec_lo, exec_lo, s4
	s_waitcnt lgkmcnt(0)
	s_barrier
	buffer_gl0_inv
	ds_load_2addr_b64 v[232:235], v188 offset1:1
	s_mov_b32 s3, exec_lo
	v_cmpx_lt_u32_e32 42, v252
	s_cbranch_execz .LBB95_388
; %bb.387:
	s_waitcnt lgkmcnt(0)
	v_mul_f64 v[190:191], v[232:233], v[22:23]
	v_mul_f64 v[22:23], v[234:235], v[22:23]
	s_delay_alu instid0(VALU_DEP_2) | instskip(SKIP_4) | instid1(VALU_DEP_1)
	v_fma_f64 v[194:195], v[234:235], v[20:21], v[190:191]
	ds_load_2addr_b64 v[190:193], v189 offset0:86 offset1:87
	v_fma_f64 v[20:21], v[232:233], v[20:21], -v[22:23]
	s_waitcnt lgkmcnt(0)
	v_mul_f64 v[22:23], v[192:193], v[194:195]
	v_fma_f64 v[22:23], v[190:191], v[20:21], -v[22:23]
	v_mul_f64 v[190:191], v[190:191], v[194:195]
	s_delay_alu instid0(VALU_DEP_2) | instskip(NEXT) | instid1(VALU_DEP_2)
	v_add_f64 v[16:17], v[16:17], -v[22:23]
	v_fma_f64 v[190:191], v[192:193], v[20:21], v[190:191]
	s_delay_alu instid0(VALU_DEP_1) | instskip(SKIP_3) | instid1(VALU_DEP_1)
	v_add_f64 v[18:19], v[18:19], -v[190:191]
	ds_load_2addr_b64 v[190:193], v189 offset0:88 offset1:89
	s_waitcnt lgkmcnt(0)
	v_mul_f64 v[22:23], v[192:193], v[194:195]
	v_fma_f64 v[22:23], v[190:191], v[20:21], -v[22:23]
	v_mul_f64 v[190:191], v[190:191], v[194:195]
	s_delay_alu instid0(VALU_DEP_2) | instskip(NEXT) | instid1(VALU_DEP_2)
	v_add_f64 v[12:13], v[12:13], -v[22:23]
	v_fma_f64 v[190:191], v[192:193], v[20:21], v[190:191]
	s_delay_alu instid0(VALU_DEP_1) | instskip(SKIP_3) | instid1(VALU_DEP_1)
	v_add_f64 v[14:15], v[14:15], -v[190:191]
	ds_load_2addr_b64 v[190:193], v189 offset0:90 offset1:91
	;; [unrolled: 10-line block ×4, first 2 shown]
	s_waitcnt lgkmcnt(0)
	v_mul_f64 v[22:23], v[192:193], v[194:195]
	v_fma_f64 v[22:23], v[190:191], v[20:21], -v[22:23]
	v_mul_f64 v[190:191], v[190:191], v[194:195]
	s_delay_alu instid0(VALU_DEP_2) | instskip(NEXT) | instid1(VALU_DEP_2)
	v_add_f64 v[0:1], v[0:1], -v[22:23]
	v_fma_f64 v[190:191], v[192:193], v[20:21], v[190:191]
	v_dual_mov_b32 v22, v194 :: v_dual_mov_b32 v23, v195
	s_delay_alu instid0(VALU_DEP_2)
	v_add_f64 v[2:3], v[2:3], -v[190:191]
.LBB95_388:
	s_or_b32 exec_lo, exec_lo, s3
	s_delay_alu instid0(SALU_CYCLE_1)
	s_mov_b32 s4, exec_lo
	s_waitcnt lgkmcnt(0)
	s_barrier
	buffer_gl0_inv
	v_cmpx_eq_u32_e32 43, v252
	s_cbranch_execz .LBB95_395
; %bb.389:
	ds_store_2addr_b64 v188, v[16:17], v[18:19] offset1:1
	ds_store_2addr_b64 v189, v[12:13], v[14:15] offset0:88 offset1:89
	ds_store_2addr_b64 v189, v[8:9], v[10:11] offset0:90 offset1:91
	;; [unrolled: 1-line block ×4, first 2 shown]
	ds_load_2addr_b64 v[236:239], v188 offset1:1
	s_waitcnt lgkmcnt(0)
	v_cmp_neq_f64_e32 vcc_lo, 0, v[236:237]
	v_cmp_neq_f64_e64 s3, 0, v[238:239]
	s_delay_alu instid0(VALU_DEP_1) | instskip(NEXT) | instid1(SALU_CYCLE_1)
	s_or_b32 s3, vcc_lo, s3
	s_and_b32 exec_lo, exec_lo, s3
	s_cbranch_execz .LBB95_395
; %bb.390:
	v_cmp_gt_f64_e32 vcc_lo, 0, v[236:237]
	v_xor_b32_e32 v190, 0x80000000, v237
	v_xor_b32_e32 v192, 0x80000000, v239
	s_delay_alu instid0(VALU_DEP_2) | instskip(SKIP_1) | instid1(VALU_DEP_3)
	v_dual_cndmask_b32 v191, v237, v190 :: v_dual_cndmask_b32 v190, v236, v236
	v_cmp_gt_f64_e32 vcc_lo, 0, v[238:239]
	v_dual_cndmask_b32 v193, v239, v192 :: v_dual_cndmask_b32 v192, v238, v238
	s_delay_alu instid0(VALU_DEP_1) | instskip(SKIP_1) | instid1(SALU_CYCLE_1)
	v_cmp_ngt_f64_e32 vcc_lo, v[190:191], v[192:193]
                                        ; implicit-def: $vgpr192_vgpr193
	s_and_saveexec_b32 s3, vcc_lo
	s_xor_b32 s3, exec_lo, s3
                                        ; implicit-def: $vgpr240_vgpr241_vgpr242_vgpr243
	s_cbranch_execz .LBB95_392
; %bb.391:
	v_div_scale_f64 v[190:191], null, v[238:239], v[238:239], v[236:237]
	v_div_scale_f64 v[240:241], vcc_lo, v[236:237], v[238:239], v[236:237]
	s_delay_alu instid0(VALU_DEP_2) | instskip(SKIP_2) | instid1(VALU_DEP_1)
	v_rcp_f64_e32 v[192:193], v[190:191]
	s_waitcnt_depctr 0xfff
	v_fma_f64 v[194:195], -v[190:191], v[192:193], 1.0
	v_fma_f64 v[192:193], v[192:193], v[194:195], v[192:193]
	s_delay_alu instid0(VALU_DEP_1) | instskip(NEXT) | instid1(VALU_DEP_1)
	v_fma_f64 v[194:195], -v[190:191], v[192:193], 1.0
	v_fma_f64 v[192:193], v[192:193], v[194:195], v[192:193]
	s_delay_alu instid0(VALU_DEP_1) | instskip(NEXT) | instid1(VALU_DEP_1)
	v_mul_f64 v[194:195], v[240:241], v[192:193]
	v_fma_f64 v[190:191], -v[190:191], v[194:195], v[240:241]
	s_delay_alu instid0(VALU_DEP_1) | instskip(NEXT) | instid1(VALU_DEP_1)
	v_div_fmas_f64 v[190:191], v[190:191], v[192:193], v[194:195]
	v_div_fixup_f64 v[190:191], v[190:191], v[238:239], v[236:237]
	s_delay_alu instid0(VALU_DEP_1) | instskip(NEXT) | instid1(VALU_DEP_1)
	v_fma_f64 v[192:193], v[236:237], v[190:191], v[238:239]
	v_div_scale_f64 v[194:195], null, v[192:193], v[192:193], 1.0
	s_delay_alu instid0(VALU_DEP_1) | instskip(SKIP_2) | instid1(VALU_DEP_1)
	v_rcp_f64_e32 v[236:237], v[194:195]
	s_waitcnt_depctr 0xfff
	v_fma_f64 v[238:239], -v[194:195], v[236:237], 1.0
	v_fma_f64 v[236:237], v[236:237], v[238:239], v[236:237]
	s_delay_alu instid0(VALU_DEP_1) | instskip(NEXT) | instid1(VALU_DEP_1)
	v_fma_f64 v[238:239], -v[194:195], v[236:237], 1.0
	v_fma_f64 v[236:237], v[236:237], v[238:239], v[236:237]
	v_div_scale_f64 v[238:239], vcc_lo, 1.0, v[192:193], 1.0
	s_delay_alu instid0(VALU_DEP_1) | instskip(NEXT) | instid1(VALU_DEP_1)
	v_mul_f64 v[240:241], v[238:239], v[236:237]
	v_fma_f64 v[194:195], -v[194:195], v[240:241], v[238:239]
	s_delay_alu instid0(VALU_DEP_1) | instskip(NEXT) | instid1(VALU_DEP_1)
	v_div_fmas_f64 v[194:195], v[194:195], v[236:237], v[240:241]
                                        ; implicit-def: $vgpr236_vgpr237
	v_div_fixup_f64 v[242:243], v[194:195], v[192:193], 1.0
	s_delay_alu instid0(VALU_DEP_1)
	v_mul_f64 v[192:193], v[190:191], v[242:243]
	v_xor_b32_e32 v243, 0x80000000, v243
.LBB95_392:
	s_and_not1_saveexec_b32 s3, s3
	s_cbranch_execz .LBB95_394
; %bb.393:
	v_div_scale_f64 v[190:191], null, v[236:237], v[236:237], v[238:239]
	v_div_scale_f64 v[240:241], vcc_lo, v[238:239], v[236:237], v[238:239]
	s_delay_alu instid0(VALU_DEP_2) | instskip(SKIP_2) | instid1(VALU_DEP_1)
	v_rcp_f64_e32 v[192:193], v[190:191]
	s_waitcnt_depctr 0xfff
	v_fma_f64 v[194:195], -v[190:191], v[192:193], 1.0
	v_fma_f64 v[192:193], v[192:193], v[194:195], v[192:193]
	s_delay_alu instid0(VALU_DEP_1) | instskip(NEXT) | instid1(VALU_DEP_1)
	v_fma_f64 v[194:195], -v[190:191], v[192:193], 1.0
	v_fma_f64 v[192:193], v[192:193], v[194:195], v[192:193]
	s_delay_alu instid0(VALU_DEP_1) | instskip(NEXT) | instid1(VALU_DEP_1)
	v_mul_f64 v[194:195], v[240:241], v[192:193]
	v_fma_f64 v[190:191], -v[190:191], v[194:195], v[240:241]
	s_delay_alu instid0(VALU_DEP_1) | instskip(NEXT) | instid1(VALU_DEP_1)
	v_div_fmas_f64 v[190:191], v[190:191], v[192:193], v[194:195]
	v_div_fixup_f64 v[190:191], v[190:191], v[236:237], v[238:239]
	s_delay_alu instid0(VALU_DEP_1) | instskip(NEXT) | instid1(VALU_DEP_1)
	v_fma_f64 v[192:193], v[238:239], v[190:191], v[236:237]
	v_div_scale_f64 v[194:195], null, v[192:193], v[192:193], 1.0
	s_delay_alu instid0(VALU_DEP_1) | instskip(SKIP_2) | instid1(VALU_DEP_1)
	v_rcp_f64_e32 v[236:237], v[194:195]
	s_waitcnt_depctr 0xfff
	v_fma_f64 v[238:239], -v[194:195], v[236:237], 1.0
	v_fma_f64 v[236:237], v[236:237], v[238:239], v[236:237]
	s_delay_alu instid0(VALU_DEP_1) | instskip(NEXT) | instid1(VALU_DEP_1)
	v_fma_f64 v[238:239], -v[194:195], v[236:237], 1.0
	v_fma_f64 v[236:237], v[236:237], v[238:239], v[236:237]
	v_div_scale_f64 v[238:239], vcc_lo, 1.0, v[192:193], 1.0
	s_delay_alu instid0(VALU_DEP_1) | instskip(NEXT) | instid1(VALU_DEP_1)
	v_mul_f64 v[240:241], v[238:239], v[236:237]
	v_fma_f64 v[194:195], -v[194:195], v[240:241], v[238:239]
	s_delay_alu instid0(VALU_DEP_1) | instskip(NEXT) | instid1(VALU_DEP_1)
	v_div_fmas_f64 v[194:195], v[194:195], v[236:237], v[240:241]
	v_div_fixup_f64 v[192:193], v[194:195], v[192:193], 1.0
	s_delay_alu instid0(VALU_DEP_1)
	v_mul_f64 v[242:243], v[190:191], -v[192:193]
.LBB95_394:
	s_or_b32 exec_lo, exec_lo, s3
	ds_store_2addr_b64 v188, v[192:193], v[242:243] offset1:1
.LBB95_395:
	s_or_b32 exec_lo, exec_lo, s4
	s_waitcnt lgkmcnt(0)
	s_barrier
	buffer_gl0_inv
	ds_load_2addr_b64 v[236:239], v188 offset1:1
	s_mov_b32 s3, exec_lo
	v_cmpx_lt_u32_e32 43, v252
	s_cbranch_execz .LBB95_397
; %bb.396:
	s_waitcnt lgkmcnt(0)
	v_mul_f64 v[190:191], v[236:237], v[18:19]
	v_mul_f64 v[18:19], v[238:239], v[18:19]
	s_delay_alu instid0(VALU_DEP_2) | instskip(SKIP_4) | instid1(VALU_DEP_1)
	v_fma_f64 v[194:195], v[238:239], v[16:17], v[190:191]
	ds_load_2addr_b64 v[190:193], v189 offset0:88 offset1:89
	v_fma_f64 v[16:17], v[236:237], v[16:17], -v[18:19]
	s_waitcnt lgkmcnt(0)
	v_mul_f64 v[18:19], v[192:193], v[194:195]
	v_fma_f64 v[18:19], v[190:191], v[16:17], -v[18:19]
	v_mul_f64 v[190:191], v[190:191], v[194:195]
	s_delay_alu instid0(VALU_DEP_2) | instskip(NEXT) | instid1(VALU_DEP_2)
	v_add_f64 v[12:13], v[12:13], -v[18:19]
	v_fma_f64 v[190:191], v[192:193], v[16:17], v[190:191]
	s_delay_alu instid0(VALU_DEP_1) | instskip(SKIP_3) | instid1(VALU_DEP_1)
	v_add_f64 v[14:15], v[14:15], -v[190:191]
	ds_load_2addr_b64 v[190:193], v189 offset0:90 offset1:91
	s_waitcnt lgkmcnt(0)
	v_mul_f64 v[18:19], v[192:193], v[194:195]
	v_fma_f64 v[18:19], v[190:191], v[16:17], -v[18:19]
	v_mul_f64 v[190:191], v[190:191], v[194:195]
	s_delay_alu instid0(VALU_DEP_2) | instskip(NEXT) | instid1(VALU_DEP_2)
	v_add_f64 v[8:9], v[8:9], -v[18:19]
	v_fma_f64 v[190:191], v[192:193], v[16:17], v[190:191]
	s_delay_alu instid0(VALU_DEP_1) | instskip(SKIP_3) | instid1(VALU_DEP_1)
	v_add_f64 v[10:11], v[10:11], -v[190:191]
	ds_load_2addr_b64 v[190:193], v189 offset0:92 offset1:93
	;; [unrolled: 10-line block ×3, first 2 shown]
	s_waitcnt lgkmcnt(0)
	v_mul_f64 v[18:19], v[192:193], v[194:195]
	v_fma_f64 v[18:19], v[190:191], v[16:17], -v[18:19]
	v_mul_f64 v[190:191], v[190:191], v[194:195]
	s_delay_alu instid0(VALU_DEP_2) | instskip(NEXT) | instid1(VALU_DEP_2)
	v_add_f64 v[0:1], v[0:1], -v[18:19]
	v_fma_f64 v[190:191], v[192:193], v[16:17], v[190:191]
	v_dual_mov_b32 v18, v194 :: v_dual_mov_b32 v19, v195
	s_delay_alu instid0(VALU_DEP_2)
	v_add_f64 v[2:3], v[2:3], -v[190:191]
.LBB95_397:
	s_or_b32 exec_lo, exec_lo, s3
	s_delay_alu instid0(SALU_CYCLE_1)
	s_mov_b32 s4, exec_lo
	s_waitcnt lgkmcnt(0)
	s_barrier
	buffer_gl0_inv
	v_cmpx_eq_u32_e32 44, v252
	s_cbranch_execz .LBB95_404
; %bb.398:
	ds_store_2addr_b64 v188, v[12:13], v[14:15] offset1:1
	ds_store_2addr_b64 v189, v[8:9], v[10:11] offset0:90 offset1:91
	ds_store_2addr_b64 v189, v[4:5], v[6:7] offset0:92 offset1:93
	;; [unrolled: 1-line block ×3, first 2 shown]
	ds_load_2addr_b64 v[240:243], v188 offset1:1
	s_waitcnt lgkmcnt(0)
	v_cmp_neq_f64_e32 vcc_lo, 0, v[240:241]
	v_cmp_neq_f64_e64 s3, 0, v[242:243]
	s_delay_alu instid0(VALU_DEP_1) | instskip(NEXT) | instid1(SALU_CYCLE_1)
	s_or_b32 s3, vcc_lo, s3
	s_and_b32 exec_lo, exec_lo, s3
	s_cbranch_execz .LBB95_404
; %bb.399:
	v_cmp_gt_f64_e32 vcc_lo, 0, v[240:241]
	v_xor_b32_e32 v190, 0x80000000, v241
	v_xor_b32_e32 v192, 0x80000000, v243
	s_delay_alu instid0(VALU_DEP_2) | instskip(SKIP_1) | instid1(VALU_DEP_3)
	v_dual_cndmask_b32 v191, v241, v190 :: v_dual_cndmask_b32 v190, v240, v240
	v_cmp_gt_f64_e32 vcc_lo, 0, v[242:243]
	v_dual_cndmask_b32 v193, v243, v192 :: v_dual_cndmask_b32 v192, v242, v242
	s_delay_alu instid0(VALU_DEP_1) | instskip(SKIP_1) | instid1(SALU_CYCLE_1)
	v_cmp_ngt_f64_e32 vcc_lo, v[190:191], v[192:193]
                                        ; implicit-def: $vgpr192_vgpr193
	s_and_saveexec_b32 s3, vcc_lo
	s_xor_b32 s3, exec_lo, s3
                                        ; implicit-def: $vgpr244_vgpr245_vgpr246_vgpr247
	s_cbranch_execz .LBB95_401
; %bb.400:
	v_div_scale_f64 v[190:191], null, v[242:243], v[242:243], v[240:241]
	v_div_scale_f64 v[244:245], vcc_lo, v[240:241], v[242:243], v[240:241]
	s_delay_alu instid0(VALU_DEP_2) | instskip(SKIP_2) | instid1(VALU_DEP_1)
	v_rcp_f64_e32 v[192:193], v[190:191]
	s_waitcnt_depctr 0xfff
	v_fma_f64 v[194:195], -v[190:191], v[192:193], 1.0
	v_fma_f64 v[192:193], v[192:193], v[194:195], v[192:193]
	s_delay_alu instid0(VALU_DEP_1) | instskip(NEXT) | instid1(VALU_DEP_1)
	v_fma_f64 v[194:195], -v[190:191], v[192:193], 1.0
	v_fma_f64 v[192:193], v[192:193], v[194:195], v[192:193]
	s_delay_alu instid0(VALU_DEP_1) | instskip(NEXT) | instid1(VALU_DEP_1)
	v_mul_f64 v[194:195], v[244:245], v[192:193]
	v_fma_f64 v[190:191], -v[190:191], v[194:195], v[244:245]
	s_delay_alu instid0(VALU_DEP_1) | instskip(NEXT) | instid1(VALU_DEP_1)
	v_div_fmas_f64 v[190:191], v[190:191], v[192:193], v[194:195]
	v_div_fixup_f64 v[190:191], v[190:191], v[242:243], v[240:241]
	s_delay_alu instid0(VALU_DEP_1) | instskip(NEXT) | instid1(VALU_DEP_1)
	v_fma_f64 v[192:193], v[240:241], v[190:191], v[242:243]
	v_div_scale_f64 v[194:195], null, v[192:193], v[192:193], 1.0
	s_delay_alu instid0(VALU_DEP_1) | instskip(SKIP_2) | instid1(VALU_DEP_1)
	v_rcp_f64_e32 v[240:241], v[194:195]
	s_waitcnt_depctr 0xfff
	v_fma_f64 v[242:243], -v[194:195], v[240:241], 1.0
	v_fma_f64 v[240:241], v[240:241], v[242:243], v[240:241]
	s_delay_alu instid0(VALU_DEP_1) | instskip(NEXT) | instid1(VALU_DEP_1)
	v_fma_f64 v[242:243], -v[194:195], v[240:241], 1.0
	v_fma_f64 v[240:241], v[240:241], v[242:243], v[240:241]
	v_div_scale_f64 v[242:243], vcc_lo, 1.0, v[192:193], 1.0
	s_delay_alu instid0(VALU_DEP_1) | instskip(NEXT) | instid1(VALU_DEP_1)
	v_mul_f64 v[244:245], v[242:243], v[240:241]
	v_fma_f64 v[194:195], -v[194:195], v[244:245], v[242:243]
	s_delay_alu instid0(VALU_DEP_1) | instskip(NEXT) | instid1(VALU_DEP_1)
	v_div_fmas_f64 v[194:195], v[194:195], v[240:241], v[244:245]
                                        ; implicit-def: $vgpr240_vgpr241
	v_div_fixup_f64 v[246:247], v[194:195], v[192:193], 1.0
	s_delay_alu instid0(VALU_DEP_1)
	v_mul_f64 v[192:193], v[190:191], v[246:247]
	v_xor_b32_e32 v247, 0x80000000, v247
.LBB95_401:
	s_and_not1_saveexec_b32 s3, s3
	s_cbranch_execz .LBB95_403
; %bb.402:
	v_div_scale_f64 v[190:191], null, v[240:241], v[240:241], v[242:243]
	v_div_scale_f64 v[244:245], vcc_lo, v[242:243], v[240:241], v[242:243]
	s_delay_alu instid0(VALU_DEP_2) | instskip(SKIP_2) | instid1(VALU_DEP_1)
	v_rcp_f64_e32 v[192:193], v[190:191]
	s_waitcnt_depctr 0xfff
	v_fma_f64 v[194:195], -v[190:191], v[192:193], 1.0
	v_fma_f64 v[192:193], v[192:193], v[194:195], v[192:193]
	s_delay_alu instid0(VALU_DEP_1) | instskip(NEXT) | instid1(VALU_DEP_1)
	v_fma_f64 v[194:195], -v[190:191], v[192:193], 1.0
	v_fma_f64 v[192:193], v[192:193], v[194:195], v[192:193]
	s_delay_alu instid0(VALU_DEP_1) | instskip(NEXT) | instid1(VALU_DEP_1)
	v_mul_f64 v[194:195], v[244:245], v[192:193]
	v_fma_f64 v[190:191], -v[190:191], v[194:195], v[244:245]
	s_delay_alu instid0(VALU_DEP_1) | instskip(NEXT) | instid1(VALU_DEP_1)
	v_div_fmas_f64 v[190:191], v[190:191], v[192:193], v[194:195]
	v_div_fixup_f64 v[190:191], v[190:191], v[240:241], v[242:243]
	s_delay_alu instid0(VALU_DEP_1) | instskip(NEXT) | instid1(VALU_DEP_1)
	v_fma_f64 v[192:193], v[242:243], v[190:191], v[240:241]
	v_div_scale_f64 v[194:195], null, v[192:193], v[192:193], 1.0
	s_delay_alu instid0(VALU_DEP_1) | instskip(SKIP_2) | instid1(VALU_DEP_1)
	v_rcp_f64_e32 v[240:241], v[194:195]
	s_waitcnt_depctr 0xfff
	v_fma_f64 v[242:243], -v[194:195], v[240:241], 1.0
	v_fma_f64 v[240:241], v[240:241], v[242:243], v[240:241]
	s_delay_alu instid0(VALU_DEP_1) | instskip(NEXT) | instid1(VALU_DEP_1)
	v_fma_f64 v[242:243], -v[194:195], v[240:241], 1.0
	v_fma_f64 v[240:241], v[240:241], v[242:243], v[240:241]
	v_div_scale_f64 v[242:243], vcc_lo, 1.0, v[192:193], 1.0
	s_delay_alu instid0(VALU_DEP_1) | instskip(NEXT) | instid1(VALU_DEP_1)
	v_mul_f64 v[244:245], v[242:243], v[240:241]
	v_fma_f64 v[194:195], -v[194:195], v[244:245], v[242:243]
	s_delay_alu instid0(VALU_DEP_1) | instskip(NEXT) | instid1(VALU_DEP_1)
	v_div_fmas_f64 v[194:195], v[194:195], v[240:241], v[244:245]
	v_div_fixup_f64 v[192:193], v[194:195], v[192:193], 1.0
	s_delay_alu instid0(VALU_DEP_1)
	v_mul_f64 v[246:247], v[190:191], -v[192:193]
.LBB95_403:
	s_or_b32 exec_lo, exec_lo, s3
	ds_store_2addr_b64 v188, v[192:193], v[246:247] offset1:1
.LBB95_404:
	s_or_b32 exec_lo, exec_lo, s4
	s_waitcnt lgkmcnt(0)
	s_barrier
	buffer_gl0_inv
	ds_load_2addr_b64 v[240:243], v188 offset1:1
	s_mov_b32 s3, exec_lo
	v_cmpx_lt_u32_e32 44, v252
	s_cbranch_execz .LBB95_406
; %bb.405:
	s_waitcnt lgkmcnt(0)
	v_mul_f64 v[190:191], v[240:241], v[14:15]
	v_mul_f64 v[14:15], v[242:243], v[14:15]
	s_delay_alu instid0(VALU_DEP_2) | instskip(SKIP_4) | instid1(VALU_DEP_1)
	v_fma_f64 v[194:195], v[242:243], v[12:13], v[190:191]
	ds_load_2addr_b64 v[190:193], v189 offset0:90 offset1:91
	v_fma_f64 v[12:13], v[240:241], v[12:13], -v[14:15]
	s_waitcnt lgkmcnt(0)
	v_mul_f64 v[14:15], v[192:193], v[194:195]
	v_fma_f64 v[14:15], v[190:191], v[12:13], -v[14:15]
	v_mul_f64 v[190:191], v[190:191], v[194:195]
	s_delay_alu instid0(VALU_DEP_2) | instskip(NEXT) | instid1(VALU_DEP_2)
	v_add_f64 v[8:9], v[8:9], -v[14:15]
	v_fma_f64 v[190:191], v[192:193], v[12:13], v[190:191]
	s_delay_alu instid0(VALU_DEP_1) | instskip(SKIP_3) | instid1(VALU_DEP_1)
	v_add_f64 v[10:11], v[10:11], -v[190:191]
	ds_load_2addr_b64 v[190:193], v189 offset0:92 offset1:93
	s_waitcnt lgkmcnt(0)
	v_mul_f64 v[14:15], v[192:193], v[194:195]
	v_fma_f64 v[14:15], v[190:191], v[12:13], -v[14:15]
	v_mul_f64 v[190:191], v[190:191], v[194:195]
	s_delay_alu instid0(VALU_DEP_2) | instskip(NEXT) | instid1(VALU_DEP_2)
	v_add_f64 v[4:5], v[4:5], -v[14:15]
	v_fma_f64 v[190:191], v[192:193], v[12:13], v[190:191]
	s_delay_alu instid0(VALU_DEP_1) | instskip(SKIP_3) | instid1(VALU_DEP_1)
	v_add_f64 v[6:7], v[6:7], -v[190:191]
	ds_load_2addr_b64 v[190:193], v189 offset0:94 offset1:95
	s_waitcnt lgkmcnt(0)
	v_mul_f64 v[14:15], v[192:193], v[194:195]
	v_fma_f64 v[14:15], v[190:191], v[12:13], -v[14:15]
	v_mul_f64 v[190:191], v[190:191], v[194:195]
	s_delay_alu instid0(VALU_DEP_2) | instskip(NEXT) | instid1(VALU_DEP_2)
	v_add_f64 v[0:1], v[0:1], -v[14:15]
	v_fma_f64 v[190:191], v[192:193], v[12:13], v[190:191]
	v_dual_mov_b32 v14, v194 :: v_dual_mov_b32 v15, v195
	s_delay_alu instid0(VALU_DEP_2)
	v_add_f64 v[2:3], v[2:3], -v[190:191]
.LBB95_406:
	s_or_b32 exec_lo, exec_lo, s3
	s_delay_alu instid0(SALU_CYCLE_1)
	s_mov_b32 s4, exec_lo
	s_waitcnt lgkmcnt(0)
	s_barrier
	buffer_gl0_inv
	v_cmpx_eq_u32_e32 45, v252
	s_cbranch_execz .LBB95_413
; %bb.407:
	ds_store_2addr_b64 v188, v[8:9], v[10:11] offset1:1
	ds_store_2addr_b64 v189, v[4:5], v[6:7] offset0:92 offset1:93
	ds_store_2addr_b64 v189, v[0:1], v[2:3] offset0:94 offset1:95
	ds_load_2addr_b64 v[244:247], v188 offset1:1
	s_waitcnt lgkmcnt(0)
	v_cmp_neq_f64_e32 vcc_lo, 0, v[244:245]
	v_cmp_neq_f64_e64 s3, 0, v[246:247]
	s_delay_alu instid0(VALU_DEP_1) | instskip(NEXT) | instid1(SALU_CYCLE_1)
	s_or_b32 s3, vcc_lo, s3
	s_and_b32 exec_lo, exec_lo, s3
	s_cbranch_execz .LBB95_413
; %bb.408:
	v_cmp_gt_f64_e32 vcc_lo, 0, v[244:245]
	v_xor_b32_e32 v190, 0x80000000, v245
	v_xor_b32_e32 v192, 0x80000000, v247
	s_delay_alu instid0(VALU_DEP_2) | instskip(SKIP_1) | instid1(VALU_DEP_3)
	v_dual_cndmask_b32 v191, v245, v190 :: v_dual_cndmask_b32 v190, v244, v244
	v_cmp_gt_f64_e32 vcc_lo, 0, v[246:247]
	v_dual_cndmask_b32 v193, v247, v192 :: v_dual_cndmask_b32 v192, v246, v246
	s_delay_alu instid0(VALU_DEP_1) | instskip(SKIP_1) | instid1(SALU_CYCLE_1)
	v_cmp_ngt_f64_e32 vcc_lo, v[190:191], v[192:193]
                                        ; implicit-def: $vgpr192_vgpr193
	s_and_saveexec_b32 s3, vcc_lo
	s_xor_b32 s3, exec_lo, s3
                                        ; implicit-def: $vgpr248_vgpr249_vgpr250_vgpr251
	s_cbranch_execz .LBB95_410
; %bb.409:
	v_div_scale_f64 v[190:191], null, v[246:247], v[246:247], v[244:245]
	v_div_scale_f64 v[248:249], vcc_lo, v[244:245], v[246:247], v[244:245]
	s_delay_alu instid0(VALU_DEP_2) | instskip(SKIP_2) | instid1(VALU_DEP_1)
	v_rcp_f64_e32 v[192:193], v[190:191]
	s_waitcnt_depctr 0xfff
	v_fma_f64 v[194:195], -v[190:191], v[192:193], 1.0
	v_fma_f64 v[192:193], v[192:193], v[194:195], v[192:193]
	s_delay_alu instid0(VALU_DEP_1) | instskip(NEXT) | instid1(VALU_DEP_1)
	v_fma_f64 v[194:195], -v[190:191], v[192:193], 1.0
	v_fma_f64 v[192:193], v[192:193], v[194:195], v[192:193]
	s_delay_alu instid0(VALU_DEP_1) | instskip(NEXT) | instid1(VALU_DEP_1)
	v_mul_f64 v[194:195], v[248:249], v[192:193]
	v_fma_f64 v[190:191], -v[190:191], v[194:195], v[248:249]
	s_delay_alu instid0(VALU_DEP_1) | instskip(NEXT) | instid1(VALU_DEP_1)
	v_div_fmas_f64 v[190:191], v[190:191], v[192:193], v[194:195]
	v_div_fixup_f64 v[190:191], v[190:191], v[246:247], v[244:245]
	s_delay_alu instid0(VALU_DEP_1) | instskip(NEXT) | instid1(VALU_DEP_1)
	v_fma_f64 v[192:193], v[244:245], v[190:191], v[246:247]
	v_div_scale_f64 v[194:195], null, v[192:193], v[192:193], 1.0
	s_delay_alu instid0(VALU_DEP_1) | instskip(SKIP_2) | instid1(VALU_DEP_1)
	v_rcp_f64_e32 v[244:245], v[194:195]
	s_waitcnt_depctr 0xfff
	v_fma_f64 v[246:247], -v[194:195], v[244:245], 1.0
	v_fma_f64 v[244:245], v[244:245], v[246:247], v[244:245]
	s_delay_alu instid0(VALU_DEP_1) | instskip(NEXT) | instid1(VALU_DEP_1)
	v_fma_f64 v[246:247], -v[194:195], v[244:245], 1.0
	v_fma_f64 v[244:245], v[244:245], v[246:247], v[244:245]
	v_div_scale_f64 v[246:247], vcc_lo, 1.0, v[192:193], 1.0
	s_delay_alu instid0(VALU_DEP_1) | instskip(NEXT) | instid1(VALU_DEP_1)
	v_mul_f64 v[248:249], v[246:247], v[244:245]
	v_fma_f64 v[194:195], -v[194:195], v[248:249], v[246:247]
	s_delay_alu instid0(VALU_DEP_1) | instskip(NEXT) | instid1(VALU_DEP_1)
	v_div_fmas_f64 v[194:195], v[194:195], v[244:245], v[248:249]
                                        ; implicit-def: $vgpr244_vgpr245
	v_div_fixup_f64 v[250:251], v[194:195], v[192:193], 1.0
	s_delay_alu instid0(VALU_DEP_1)
	v_mul_f64 v[192:193], v[190:191], v[250:251]
	v_xor_b32_e32 v251, 0x80000000, v251
.LBB95_410:
	s_and_not1_saveexec_b32 s3, s3
	s_cbranch_execz .LBB95_412
; %bb.411:
	v_div_scale_f64 v[190:191], null, v[244:245], v[244:245], v[246:247]
	v_div_scale_f64 v[248:249], vcc_lo, v[246:247], v[244:245], v[246:247]
	s_delay_alu instid0(VALU_DEP_2) | instskip(SKIP_2) | instid1(VALU_DEP_1)
	v_rcp_f64_e32 v[192:193], v[190:191]
	s_waitcnt_depctr 0xfff
	v_fma_f64 v[194:195], -v[190:191], v[192:193], 1.0
	v_fma_f64 v[192:193], v[192:193], v[194:195], v[192:193]
	s_delay_alu instid0(VALU_DEP_1) | instskip(NEXT) | instid1(VALU_DEP_1)
	v_fma_f64 v[194:195], -v[190:191], v[192:193], 1.0
	v_fma_f64 v[192:193], v[192:193], v[194:195], v[192:193]
	s_delay_alu instid0(VALU_DEP_1) | instskip(NEXT) | instid1(VALU_DEP_1)
	v_mul_f64 v[194:195], v[248:249], v[192:193]
	v_fma_f64 v[190:191], -v[190:191], v[194:195], v[248:249]
	s_delay_alu instid0(VALU_DEP_1) | instskip(NEXT) | instid1(VALU_DEP_1)
	v_div_fmas_f64 v[190:191], v[190:191], v[192:193], v[194:195]
	v_div_fixup_f64 v[190:191], v[190:191], v[244:245], v[246:247]
	s_delay_alu instid0(VALU_DEP_1) | instskip(NEXT) | instid1(VALU_DEP_1)
	v_fma_f64 v[192:193], v[246:247], v[190:191], v[244:245]
	v_div_scale_f64 v[194:195], null, v[192:193], v[192:193], 1.0
	s_delay_alu instid0(VALU_DEP_1) | instskip(SKIP_2) | instid1(VALU_DEP_1)
	v_rcp_f64_e32 v[244:245], v[194:195]
	s_waitcnt_depctr 0xfff
	v_fma_f64 v[246:247], -v[194:195], v[244:245], 1.0
	v_fma_f64 v[244:245], v[244:245], v[246:247], v[244:245]
	s_delay_alu instid0(VALU_DEP_1) | instskip(NEXT) | instid1(VALU_DEP_1)
	v_fma_f64 v[246:247], -v[194:195], v[244:245], 1.0
	v_fma_f64 v[244:245], v[244:245], v[246:247], v[244:245]
	v_div_scale_f64 v[246:247], vcc_lo, 1.0, v[192:193], 1.0
	s_delay_alu instid0(VALU_DEP_1) | instskip(NEXT) | instid1(VALU_DEP_1)
	v_mul_f64 v[248:249], v[246:247], v[244:245]
	v_fma_f64 v[194:195], -v[194:195], v[248:249], v[246:247]
	s_delay_alu instid0(VALU_DEP_1) | instskip(NEXT) | instid1(VALU_DEP_1)
	v_div_fmas_f64 v[194:195], v[194:195], v[244:245], v[248:249]
	v_div_fixup_f64 v[192:193], v[194:195], v[192:193], 1.0
	s_delay_alu instid0(VALU_DEP_1)
	v_mul_f64 v[250:251], v[190:191], -v[192:193]
.LBB95_412:
	s_or_b32 exec_lo, exec_lo, s3
	ds_store_2addr_b64 v188, v[192:193], v[250:251] offset1:1
.LBB95_413:
	s_or_b32 exec_lo, exec_lo, s4
	s_waitcnt lgkmcnt(0)
	s_barrier
	buffer_gl0_inv
	ds_load_2addr_b64 v[244:247], v188 offset1:1
	s_mov_b32 s3, exec_lo
	v_cmpx_lt_u32_e32 45, v252
	s_cbranch_execz .LBB95_415
; %bb.414:
	s_waitcnt lgkmcnt(0)
	v_mul_f64 v[190:191], v[244:245], v[10:11]
	v_mul_f64 v[10:11], v[246:247], v[10:11]
	s_delay_alu instid0(VALU_DEP_2) | instskip(SKIP_4) | instid1(VALU_DEP_1)
	v_fma_f64 v[194:195], v[246:247], v[8:9], v[190:191]
	ds_load_2addr_b64 v[190:193], v189 offset0:92 offset1:93
	v_fma_f64 v[8:9], v[244:245], v[8:9], -v[10:11]
	s_waitcnt lgkmcnt(0)
	v_mul_f64 v[10:11], v[192:193], v[194:195]
	v_fma_f64 v[10:11], v[190:191], v[8:9], -v[10:11]
	v_mul_f64 v[190:191], v[190:191], v[194:195]
	s_delay_alu instid0(VALU_DEP_2) | instskip(NEXT) | instid1(VALU_DEP_2)
	v_add_f64 v[4:5], v[4:5], -v[10:11]
	v_fma_f64 v[190:191], v[192:193], v[8:9], v[190:191]
	s_delay_alu instid0(VALU_DEP_1) | instskip(SKIP_3) | instid1(VALU_DEP_1)
	v_add_f64 v[6:7], v[6:7], -v[190:191]
	ds_load_2addr_b64 v[190:193], v189 offset0:94 offset1:95
	s_waitcnt lgkmcnt(0)
	v_mul_f64 v[10:11], v[192:193], v[194:195]
	v_fma_f64 v[10:11], v[190:191], v[8:9], -v[10:11]
	v_mul_f64 v[190:191], v[190:191], v[194:195]
	s_delay_alu instid0(VALU_DEP_2) | instskip(NEXT) | instid1(VALU_DEP_2)
	v_add_f64 v[0:1], v[0:1], -v[10:11]
	v_fma_f64 v[190:191], v[192:193], v[8:9], v[190:191]
	v_dual_mov_b32 v10, v194 :: v_dual_mov_b32 v11, v195
	s_delay_alu instid0(VALU_DEP_2)
	v_add_f64 v[2:3], v[2:3], -v[190:191]
.LBB95_415:
	s_or_b32 exec_lo, exec_lo, s3
	s_delay_alu instid0(SALU_CYCLE_1)
	s_mov_b32 s4, exec_lo
	s_waitcnt lgkmcnt(0)
	s_barrier
	buffer_gl0_inv
	v_cmpx_eq_u32_e32 46, v252
	s_cbranch_execz .LBB95_422
; %bb.416:
	ds_store_2addr_b64 v188, v[4:5], v[6:7] offset1:1
	ds_store_2addr_b64 v189, v[0:1], v[2:3] offset0:94 offset1:95
	ds_load_2addr_b64 v[248:251], v188 offset1:1
	s_waitcnt lgkmcnt(0)
	v_cmp_neq_f64_e32 vcc_lo, 0, v[248:249]
	v_cmp_neq_f64_e64 s3, 0, v[250:251]
	s_delay_alu instid0(VALU_DEP_1) | instskip(NEXT) | instid1(SALU_CYCLE_1)
	s_or_b32 s3, vcc_lo, s3
	s_and_b32 exec_lo, exec_lo, s3
	s_cbranch_execz .LBB95_422
; %bb.417:
	v_cmp_gt_f64_e32 vcc_lo, 0, v[248:249]
	v_xor_b32_e32 v190, 0x80000000, v249
	v_mov_b32_e32 v196, v252
	v_xor_b32_e32 v192, 0x80000000, v251
	s_delay_alu instid0(VALU_DEP_3) | instskip(SKIP_1) | instid1(VALU_DEP_3)
	v_dual_cndmask_b32 v191, v249, v190 :: v_dual_cndmask_b32 v190, v248, v248
	v_cmp_gt_f64_e32 vcc_lo, 0, v[250:251]
	v_dual_cndmask_b32 v193, v251, v192 :: v_dual_cndmask_b32 v192, v250, v250
	s_delay_alu instid0(VALU_DEP_1) | instskip(SKIP_1) | instid1(SALU_CYCLE_1)
	v_cmp_ngt_f64_e32 vcc_lo, v[190:191], v[192:193]
                                        ; implicit-def: $vgpr192_vgpr193
	s_and_saveexec_b32 s3, vcc_lo
	s_xor_b32 s3, exec_lo, s3
                                        ; implicit-def: $vgpr252_vgpr253_vgpr254_vgpr255
	s_cbranch_execz .LBB95_419
; %bb.418:
	v_div_scale_f64 v[190:191], null, v[250:251], v[250:251], v[248:249]
	v_div_scale_f64 v[252:253], vcc_lo, v[248:249], v[250:251], v[248:249]
	s_delay_alu instid0(VALU_DEP_2) | instskip(SKIP_2) | instid1(VALU_DEP_1)
	v_rcp_f64_e32 v[192:193], v[190:191]
	s_waitcnt_depctr 0xfff
	v_fma_f64 v[194:195], -v[190:191], v[192:193], 1.0
	v_fma_f64 v[192:193], v[192:193], v[194:195], v[192:193]
	s_delay_alu instid0(VALU_DEP_1) | instskip(NEXT) | instid1(VALU_DEP_1)
	v_fma_f64 v[194:195], -v[190:191], v[192:193], 1.0
	v_fma_f64 v[192:193], v[192:193], v[194:195], v[192:193]
	s_delay_alu instid0(VALU_DEP_1) | instskip(NEXT) | instid1(VALU_DEP_1)
	v_mul_f64 v[194:195], v[252:253], v[192:193]
	v_fma_f64 v[190:191], -v[190:191], v[194:195], v[252:253]
	s_delay_alu instid0(VALU_DEP_1) | instskip(NEXT) | instid1(VALU_DEP_1)
	v_div_fmas_f64 v[190:191], v[190:191], v[192:193], v[194:195]
	v_div_fixup_f64 v[190:191], v[190:191], v[250:251], v[248:249]
	s_delay_alu instid0(VALU_DEP_1) | instskip(NEXT) | instid1(VALU_DEP_1)
	v_fma_f64 v[192:193], v[248:249], v[190:191], v[250:251]
	v_div_scale_f64 v[194:195], null, v[192:193], v[192:193], 1.0
	s_delay_alu instid0(VALU_DEP_1) | instskip(SKIP_2) | instid1(VALU_DEP_1)
	v_rcp_f64_e32 v[248:249], v[194:195]
	s_waitcnt_depctr 0xfff
	v_fma_f64 v[250:251], -v[194:195], v[248:249], 1.0
	v_fma_f64 v[248:249], v[248:249], v[250:251], v[248:249]
	s_delay_alu instid0(VALU_DEP_1) | instskip(NEXT) | instid1(VALU_DEP_1)
	v_fma_f64 v[250:251], -v[194:195], v[248:249], 1.0
	v_fma_f64 v[248:249], v[248:249], v[250:251], v[248:249]
	v_div_scale_f64 v[250:251], vcc_lo, 1.0, v[192:193], 1.0
	s_delay_alu instid0(VALU_DEP_1) | instskip(NEXT) | instid1(VALU_DEP_1)
	v_mul_f64 v[252:253], v[250:251], v[248:249]
	v_fma_f64 v[194:195], -v[194:195], v[252:253], v[250:251]
	s_delay_alu instid0(VALU_DEP_1) | instskip(NEXT) | instid1(VALU_DEP_1)
	v_div_fmas_f64 v[194:195], v[194:195], v[248:249], v[252:253]
                                        ; implicit-def: $vgpr248_vgpr249
	v_div_fixup_f64 v[254:255], v[194:195], v[192:193], 1.0
	s_delay_alu instid0(VALU_DEP_1)
	v_mul_f64 v[192:193], v[190:191], v[254:255]
	v_xor_b32_e32 v255, 0x80000000, v255
.LBB95_419:
	s_and_not1_saveexec_b32 s3, s3
	s_cbranch_execz .LBB95_421
; %bb.420:
	v_div_scale_f64 v[190:191], null, v[248:249], v[248:249], v[250:251]
	v_div_scale_f64 v[252:253], vcc_lo, v[250:251], v[248:249], v[250:251]
	s_delay_alu instid0(VALU_DEP_2) | instskip(SKIP_2) | instid1(VALU_DEP_1)
	v_rcp_f64_e32 v[192:193], v[190:191]
	s_waitcnt_depctr 0xfff
	v_fma_f64 v[194:195], -v[190:191], v[192:193], 1.0
	v_fma_f64 v[192:193], v[192:193], v[194:195], v[192:193]
	s_delay_alu instid0(VALU_DEP_1) | instskip(NEXT) | instid1(VALU_DEP_1)
	v_fma_f64 v[194:195], -v[190:191], v[192:193], 1.0
	v_fma_f64 v[192:193], v[192:193], v[194:195], v[192:193]
	s_delay_alu instid0(VALU_DEP_1) | instskip(NEXT) | instid1(VALU_DEP_1)
	v_mul_f64 v[194:195], v[252:253], v[192:193]
	v_fma_f64 v[190:191], -v[190:191], v[194:195], v[252:253]
	s_delay_alu instid0(VALU_DEP_1) | instskip(NEXT) | instid1(VALU_DEP_1)
	v_div_fmas_f64 v[190:191], v[190:191], v[192:193], v[194:195]
	v_div_fixup_f64 v[190:191], v[190:191], v[248:249], v[250:251]
	s_delay_alu instid0(VALU_DEP_1) | instskip(NEXT) | instid1(VALU_DEP_1)
	v_fma_f64 v[192:193], v[250:251], v[190:191], v[248:249]
	v_div_scale_f64 v[194:195], null, v[192:193], v[192:193], 1.0
	s_delay_alu instid0(VALU_DEP_1) | instskip(SKIP_2) | instid1(VALU_DEP_1)
	v_rcp_f64_e32 v[248:249], v[194:195]
	s_waitcnt_depctr 0xfff
	v_fma_f64 v[250:251], -v[194:195], v[248:249], 1.0
	v_fma_f64 v[248:249], v[248:249], v[250:251], v[248:249]
	s_delay_alu instid0(VALU_DEP_1) | instskip(NEXT) | instid1(VALU_DEP_1)
	v_fma_f64 v[250:251], -v[194:195], v[248:249], 1.0
	v_fma_f64 v[248:249], v[248:249], v[250:251], v[248:249]
	v_div_scale_f64 v[250:251], vcc_lo, 1.0, v[192:193], 1.0
	s_delay_alu instid0(VALU_DEP_1) | instskip(NEXT) | instid1(VALU_DEP_1)
	v_mul_f64 v[252:253], v[250:251], v[248:249]
	v_fma_f64 v[194:195], -v[194:195], v[252:253], v[250:251]
	s_delay_alu instid0(VALU_DEP_1) | instskip(NEXT) | instid1(VALU_DEP_1)
	v_div_fmas_f64 v[194:195], v[194:195], v[248:249], v[252:253]
	v_div_fixup_f64 v[192:193], v[194:195], v[192:193], 1.0
	s_delay_alu instid0(VALU_DEP_1)
	v_mul_f64 v[254:255], v[190:191], -v[192:193]
.LBB95_421:
	s_or_b32 exec_lo, exec_lo, s3
	v_mov_b32_e32 v252, v196
	ds_store_2addr_b64 v188, v[192:193], v[254:255] offset1:1
.LBB95_422:
	s_or_b32 exec_lo, exec_lo, s4
	s_waitcnt lgkmcnt(0)
	s_barrier
	buffer_gl0_inv
	ds_load_2addr_b64 v[248:251], v188 offset1:1
	s_mov_b32 s3, exec_lo
	v_cmpx_lt_u32_e32 46, v252
	s_cbranch_execz .LBB95_424
; %bb.423:
	s_waitcnt lgkmcnt(0)
	v_mul_f64 v[190:191], v[248:249], v[6:7]
	v_mul_f64 v[6:7], v[250:251], v[6:7]
	s_delay_alu instid0(VALU_DEP_2) | instskip(SKIP_4) | instid1(VALU_DEP_1)
	v_fma_f64 v[193:194], v[250:251], v[4:5], v[190:191]
	ds_load_2addr_b64 v[189:192], v189 offset0:94 offset1:95
	v_fma_f64 v[4:5], v[248:249], v[4:5], -v[6:7]
	s_waitcnt lgkmcnt(0)
	v_mul_f64 v[6:7], v[191:192], v[193:194]
	v_fma_f64 v[6:7], v[189:190], v[4:5], -v[6:7]
	v_mul_f64 v[189:190], v[189:190], v[193:194]
	s_delay_alu instid0(VALU_DEP_2) | instskip(NEXT) | instid1(VALU_DEP_2)
	v_add_f64 v[0:1], v[0:1], -v[6:7]
	v_fma_f64 v[189:190], v[191:192], v[4:5], v[189:190]
	v_dual_mov_b32 v6, v193 :: v_dual_mov_b32 v7, v194
	s_delay_alu instid0(VALU_DEP_2)
	v_add_f64 v[2:3], v[2:3], -v[189:190]
.LBB95_424:
	s_or_b32 exec_lo, exec_lo, s3
	v_mov_b32_e32 v199, v252
	s_mov_b32 s4, exec_lo
	s_waitcnt lgkmcnt(0)
	s_barrier
	buffer_gl0_inv
	v_cmpx_eq_u32_e32 47, v252
	s_cbranch_execz .LBB95_431
; %bb.425:
	v_cmp_neq_f64_e32 vcc_lo, 0, v[0:1]
	v_cmp_neq_f64_e64 s3, 0, v[2:3]
	ds_store_2addr_b64 v188, v[0:1], v[2:3] offset1:1
	s_or_b32 s3, vcc_lo, s3
	s_delay_alu instid0(SALU_CYCLE_1)
	s_and_b32 exec_lo, exec_lo, s3
	s_cbranch_execz .LBB95_431
; %bb.426:
	v_cmp_gt_f64_e32 vcc_lo, 0, v[0:1]
	v_xor_b32_e32 v189, 0x80000000, v1
	v_xor_b32_e32 v191, 0x80000000, v3
	s_delay_alu instid0(VALU_DEP_2) | instskip(SKIP_1) | instid1(VALU_DEP_3)
	v_dual_cndmask_b32 v190, v1, v189 :: v_dual_cndmask_b32 v189, v0, v0
	v_cmp_gt_f64_e32 vcc_lo, 0, v[2:3]
	v_dual_cndmask_b32 v192, v3, v191 :: v_dual_cndmask_b32 v191, v2, v2
	s_delay_alu instid0(VALU_DEP_1) | instskip(SKIP_1) | instid1(SALU_CYCLE_1)
	v_cmp_ngt_f64_e32 vcc_lo, v[189:190], v[191:192]
                                        ; implicit-def: $vgpr192_vgpr193
	s_and_saveexec_b32 s3, vcc_lo
	s_xor_b32 s3, exec_lo, s3
                                        ; implicit-def: $vgpr252_vgpr253_vgpr254_vgpr255
	s_cbranch_execz .LBB95_428
; %bb.427:
	v_div_scale_f64 v[189:190], null, v[2:3], v[2:3], v[0:1]
	v_div_scale_f64 v[252:253], vcc_lo, v[0:1], v[2:3], v[0:1]
	s_delay_alu instid0(VALU_DEP_2) | instskip(SKIP_2) | instid1(VALU_DEP_1)
	v_rcp_f64_e32 v[191:192], v[189:190]
	s_waitcnt_depctr 0xfff
	v_fma_f64 v[193:194], -v[189:190], v[191:192], 1.0
	v_fma_f64 v[191:192], v[191:192], v[193:194], v[191:192]
	s_delay_alu instid0(VALU_DEP_1) | instskip(NEXT) | instid1(VALU_DEP_1)
	v_fma_f64 v[193:194], -v[189:190], v[191:192], 1.0
	v_fma_f64 v[191:192], v[191:192], v[193:194], v[191:192]
	s_delay_alu instid0(VALU_DEP_1) | instskip(NEXT) | instid1(VALU_DEP_1)
	v_mul_f64 v[193:194], v[252:253], v[191:192]
	v_fma_f64 v[189:190], -v[189:190], v[193:194], v[252:253]
	s_delay_alu instid0(VALU_DEP_1) | instskip(NEXT) | instid1(VALU_DEP_1)
	v_div_fmas_f64 v[189:190], v[189:190], v[191:192], v[193:194]
	v_div_fixup_f64 v[189:190], v[189:190], v[2:3], v[0:1]
	s_delay_alu instid0(VALU_DEP_1) | instskip(NEXT) | instid1(VALU_DEP_1)
	v_fma_f64 v[191:192], v[0:1], v[189:190], v[2:3]
	v_div_scale_f64 v[193:194], null, v[191:192], v[191:192], 1.0
	s_delay_alu instid0(VALU_DEP_1) | instskip(SKIP_2) | instid1(VALU_DEP_1)
	v_rcp_f64_e32 v[252:253], v[193:194]
	s_waitcnt_depctr 0xfff
	v_fma_f64 v[254:255], -v[193:194], v[252:253], 1.0
	v_fma_f64 v[252:253], v[252:253], v[254:255], v[252:253]
	s_delay_alu instid0(VALU_DEP_1) | instskip(NEXT) | instid1(VALU_DEP_1)
	v_fma_f64 v[254:255], -v[193:194], v[252:253], 1.0
	v_fma_f64 v[252:253], v[252:253], v[254:255], v[252:253]
	v_div_scale_f64 v[254:255], vcc_lo, 1.0, v[191:192], 1.0
	s_delay_alu instid0(VALU_DEP_1) | instskip(NEXT) | instid1(VALU_DEP_1)
	v_mul_f64 v[195:196], v[254:255], v[252:253]
	v_fma_f64 v[193:194], -v[193:194], v[195:196], v[254:255]
	s_delay_alu instid0(VALU_DEP_1) | instskip(NEXT) | instid1(VALU_DEP_1)
	v_div_fmas_f64 v[193:194], v[193:194], v[252:253], v[195:196]
	v_div_fixup_f64 v[254:255], v[193:194], v[191:192], 1.0
	s_delay_alu instid0(VALU_DEP_1)
	v_mul_f64 v[192:193], v[189:190], v[254:255]
	v_xor_b32_e32 v255, 0x80000000, v255
.LBB95_428:
	s_and_not1_saveexec_b32 s3, s3
	s_cbranch_execz .LBB95_430
; %bb.429:
	v_div_scale_f64 v[189:190], null, v[0:1], v[0:1], v[2:3]
	v_div_scale_f64 v[195:196], vcc_lo, v[2:3], v[0:1], v[2:3]
	s_delay_alu instid0(VALU_DEP_2) | instskip(SKIP_2) | instid1(VALU_DEP_1)
	v_rcp_f64_e32 v[191:192], v[189:190]
	s_waitcnt_depctr 0xfff
	v_fma_f64 v[193:194], -v[189:190], v[191:192], 1.0
	v_fma_f64 v[191:192], v[191:192], v[193:194], v[191:192]
	s_delay_alu instid0(VALU_DEP_1) | instskip(NEXT) | instid1(VALU_DEP_1)
	v_fma_f64 v[193:194], -v[189:190], v[191:192], 1.0
	v_fma_f64 v[191:192], v[191:192], v[193:194], v[191:192]
	s_delay_alu instid0(VALU_DEP_1) | instskip(NEXT) | instid1(VALU_DEP_1)
	v_mul_f64 v[193:194], v[195:196], v[191:192]
	v_fma_f64 v[189:190], -v[189:190], v[193:194], v[195:196]
	s_delay_alu instid0(VALU_DEP_1) | instskip(NEXT) | instid1(VALU_DEP_1)
	v_div_fmas_f64 v[189:190], v[189:190], v[191:192], v[193:194]
	v_div_fixup_f64 v[189:190], v[189:190], v[0:1], v[2:3]
	s_delay_alu instid0(VALU_DEP_1) | instskip(NEXT) | instid1(VALU_DEP_1)
	v_fma_f64 v[191:192], v[2:3], v[189:190], v[0:1]
	v_div_scale_f64 v[193:194], null, v[191:192], v[191:192], 1.0
	s_delay_alu instid0(VALU_DEP_1) | instskip(SKIP_2) | instid1(VALU_DEP_1)
	v_rcp_f64_e32 v[195:196], v[193:194]
	s_waitcnt_depctr 0xfff
	v_fma_f64 v[197:198], -v[193:194], v[195:196], 1.0
	v_fma_f64 v[195:196], v[195:196], v[197:198], v[195:196]
	s_delay_alu instid0(VALU_DEP_1) | instskip(NEXT) | instid1(VALU_DEP_1)
	v_fma_f64 v[197:198], -v[193:194], v[195:196], 1.0
	v_fma_f64 v[195:196], v[195:196], v[197:198], v[195:196]
	v_div_scale_f64 v[197:198], vcc_lo, 1.0, v[191:192], 1.0
	s_delay_alu instid0(VALU_DEP_1) | instskip(NEXT) | instid1(VALU_DEP_1)
	v_mul_f64 v[252:253], v[197:198], v[195:196]
	v_fma_f64 v[193:194], -v[193:194], v[252:253], v[197:198]
	s_delay_alu instid0(VALU_DEP_1) | instskip(NEXT) | instid1(VALU_DEP_1)
	v_div_fmas_f64 v[193:194], v[193:194], v[195:196], v[252:253]
	v_div_fixup_f64 v[192:193], v[193:194], v[191:192], 1.0
	s_delay_alu instid0(VALU_DEP_1)
	v_mul_f64 v[254:255], v[189:190], -v[192:193]
.LBB95_430:
	s_or_b32 exec_lo, exec_lo, s3
	ds_store_2addr_b64 v188, v[192:193], v[254:255] offset1:1
.LBB95_431:
	s_or_b32 exec_lo, exec_lo, s4
	s_waitcnt lgkmcnt(0)
	s_barrier
	buffer_gl0_inv
	ds_load_2addr_b64 v[252:255], v188 offset1:1
	s_mov_b32 s3, exec_lo
	v_cmpx_lt_u32_e32 47, v199
	s_cbranch_execz .LBB95_433
; %bb.432:
	s_waitcnt lgkmcnt(0)
	v_mul_f64 v[188:189], v[254:255], v[2:3]
	v_mul_f64 v[2:3], v[252:253], v[2:3]
	s_delay_alu instid0(VALU_DEP_2) | instskip(NEXT) | instid1(VALU_DEP_2)
	v_fma_f64 v[188:189], v[252:253], v[0:1], -v[188:189]
	v_fma_f64 v[2:3], v[254:255], v[0:1], v[2:3]
	s_delay_alu instid0(VALU_DEP_2)
	v_dual_mov_b32 v0, v188 :: v_dual_mov_b32 v1, v189
.LBB95_433:
	s_or_b32 exec_lo, exec_lo, s3
	s_waitcnt lgkmcnt(0)
	s_barrier
	buffer_gl0_inv
	s_and_saveexec_b32 s12, s2
	s_cbranch_execz .LBB95_436
; %bb.434:
	scratch_load_b128 v[188:191], off, off offset:400 ; 16-byte Folded Reload
	s_waitcnt vmcnt(0)
	v_cmp_eq_f64_e32 vcc_lo, 0, v[188:189]
	v_cmp_eq_f64_e64 s2, 0, v[190:191]
	scratch_load_b128 v[188:191], off, off offset:416 ; 16-byte Folded Reload
	s_and_b32 s2, vcc_lo, s2
	s_waitcnt vmcnt(0)
	v_cmp_neq_f64_e64 s3, 0, v[188:189]
	v_cmp_neq_f64_e64 s4, 0, v[190:191]
	scratch_load_b128 v[188:191], off, off offset:432 ; 16-byte Folded Reload
	s_or_b32 s3, s3, s4
	s_delay_alu instid0(SALU_CYCLE_1)
	s_or_b32 vcc_lo, s3, s2
	s_waitcnt vmcnt(0)
	v_cmp_eq_f64_e64 s5, 0, v[188:189]
	v_cmp_eq_f64_e64 s6, 0, v[190:191]
	scratch_load_b128 v[188:191], off, off offset:448 ; 16-byte Folded Reload
	s_and_b32 s4, s5, s6
	s_waitcnt vmcnt(0)
	v_cmp_eq_f64_e64 s7, 0, v[188:189]
	v_cmp_eq_f64_e64 s8, 0, v[190:191]
	scratch_load_b128 v[188:191], off, off offset:464 ; 16-byte Folded Reload
	s_and_b32 s6, s7, s8
	s_waitcnt vmcnt(0)
	v_cmp_eq_f64_e64 s9, 0, v[188:189]
	v_cmp_eq_f64_e64 s10, 0, v[190:191]
	scratch_load_b128 v[189:192], off, off offset:480 ; 16-byte Folded Reload
	v_cndmask_b32_e64 v188, 0, 1, s2
	s_delay_alu instid0(VALU_DEP_1) | instskip(NEXT) | instid1(VALU_DEP_1)
	v_cndmask_b32_e32 v188, 2, v188, vcc_lo
	v_cmp_eq_u32_e64 s3, 0, v188
	s_delay_alu instid0(VALU_DEP_1) | instskip(NEXT) | instid1(SALU_CYCLE_1)
	s_and_b32 s3, s4, s3
	v_cndmask_b32_e64 v188, v188, 3, s3
	s_delay_alu instid0(VALU_DEP_1) | instskip(NEXT) | instid1(VALU_DEP_1)
	v_cmp_eq_u32_e64 s5, 0, v188
	s_and_b32 s5, s6, s5
	s_delay_alu instid0(SALU_CYCLE_1) | instskip(NEXT) | instid1(VALU_DEP_1)
	v_cndmask_b32_e64 v188, v188, 4, s5
	v_cmp_eq_u32_e64 s7, 0, v188
	s_and_b32 s8, s9, s10
	s_delay_alu instid0(VALU_DEP_1) | instid1(SALU_CYCLE_1)
	s_and_b32 s7, s8, s7
	s_delay_alu instid0(SALU_CYCLE_1) | instskip(NEXT) | instid1(VALU_DEP_1)
	v_cndmask_b32_e64 v188, v188, 5, s7
	v_cmp_eq_u32_e64 s9, 0, v188
	s_waitcnt vmcnt(0)
	v_cmp_eq_f64_e32 vcc_lo, 0, v[189:190]
	v_cmp_eq_f64_e64 s2, 0, v[191:192]
	scratch_load_b128 v[189:192], off, off offset:496 ; 16-byte Folded Reload
	s_and_b32 s2, vcc_lo, s2
	s_delay_alu instid0(SALU_CYCLE_1) | instskip(NEXT) | instid1(SALU_CYCLE_1)
	s_and_b32 s2, s2, s9
	v_cndmask_b32_e64 v188, v188, 6, s2
	s_delay_alu instid0(VALU_DEP_1)
	v_cmp_eq_u32_e64 s9, 0, v188
	s_waitcnt vmcnt(0)
	v_cmp_eq_f64_e64 s3, 0, v[189:190]
	v_cmp_eq_f64_e64 s4, 0, v[191:192]
	scratch_load_b128 v[189:192], off, off offset:512 ; 16-byte Folded Reload
	s_and_b32 s3, s3, s4
	s_delay_alu instid0(SALU_CYCLE_1) | instskip(NEXT) | instid1(SALU_CYCLE_1)
	s_and_b32 s3, s3, s9
	v_cndmask_b32_e64 v188, v188, 7, s3
	s_delay_alu instid0(VALU_DEP_1)
	v_cmp_eq_u32_e64 s9, 0, v188
	s_waitcnt vmcnt(0)
	v_cmp_eq_f64_e64 s5, 0, v[189:190]
	v_cmp_eq_f64_e64 s6, 0, v[191:192]
	scratch_load_b128 v[189:192], off, off offset:528 ; 16-byte Folded Reload
	s_and_b32 s5, s5, s6
	;; [unrolled: 10-line block ×3, first 2 shown]
	s_delay_alu instid0(SALU_CYCLE_1) | instskip(NEXT) | instid1(SALU_CYCLE_1)
	s_and_b32 s7, s7, s9
	v_cndmask_b32_e64 v188, v188, 9, s7
	s_delay_alu instid0(VALU_DEP_1)
	v_cmp_eq_u32_e64 s9, 0, v188
	s_waitcnt vmcnt(0)
	v_cmp_eq_f64_e32 vcc_lo, 0, v[189:190]
	v_cmp_eq_f64_e64 s2, 0, v[191:192]
	scratch_load_b128 v[189:192], off, off offset:560 ; 16-byte Folded Reload
	s_and_b32 s2, vcc_lo, s2
	s_delay_alu instid0(SALU_CYCLE_1) | instskip(NEXT) | instid1(SALU_CYCLE_1)
	s_and_b32 s2, s2, s9
	v_cndmask_b32_e64 v188, v188, 10, s2
	s_delay_alu instid0(VALU_DEP_1)
	v_cmp_eq_u32_e64 s9, 0, v188
	s_waitcnt vmcnt(0)
	v_cmp_eq_f64_e64 s3, 0, v[189:190]
	v_cmp_eq_f64_e64 s4, 0, v[191:192]
	scratch_load_b128 v[189:192], off, off offset:576 ; 16-byte Folded Reload
	s_and_b32 s3, s3, s4
	s_delay_alu instid0(SALU_CYCLE_1) | instskip(NEXT) | instid1(SALU_CYCLE_1)
	s_and_b32 s3, s3, s9
	v_cndmask_b32_e64 v188, v188, 11, s3
	s_delay_alu instid0(VALU_DEP_1)
	v_cmp_eq_u32_e64 s9, 0, v188
	s_waitcnt vmcnt(0)
	v_cmp_eq_f64_e64 s5, 0, v[189:190]
	v_cmp_eq_f64_e64 s6, 0, v[191:192]
	scratch_load_b128 v[189:192], off, off offset:592 ; 16-byte Folded Reload
	s_and_b32 s5, s5, s6
	s_delay_alu instid0(SALU_CYCLE_1) | instskip(NEXT) | instid1(SALU_CYCLE_1)
	s_and_b32 s5, s5, s9
	v_cndmask_b32_e64 v188, v188, 12, s5
	s_delay_alu instid0(VALU_DEP_1)
	v_cmp_eq_u32_e64 s9, 0, v188
	s_waitcnt vmcnt(0)
	v_cmp_eq_f64_e64 s7, 0, v[189:190]
	v_cmp_eq_f64_e64 s8, 0, v[191:192]
	scratch_load_b128 v[189:192], off, off offset:608 ; 16-byte Folded Reload
	s_and_b32 s7, s7, s8
	s_delay_alu instid0(SALU_CYCLE_1) | instskip(NEXT) | instid1(SALU_CYCLE_1)
	s_and_b32 s7, s7, s9
	v_cndmask_b32_e64 v188, v188, 13, s7
	s_delay_alu instid0(VALU_DEP_1)
	v_cmp_eq_u32_e64 s9, 0, v188
	s_waitcnt vmcnt(0)
	v_cmp_eq_f64_e32 vcc_lo, 0, v[189:190]
	v_cmp_eq_f64_e64 s2, 0, v[191:192]
	scratch_load_b128 v[189:192], off, off offset:624 ; 16-byte Folded Reload
	s_and_b32 s2, vcc_lo, s2
	s_delay_alu instid0(SALU_CYCLE_1) | instskip(NEXT) | instid1(SALU_CYCLE_1)
	s_and_b32 s2, s2, s9
	v_cndmask_b32_e64 v188, v188, 14, s2
	s_delay_alu instid0(VALU_DEP_1)
	v_cmp_eq_u32_e32 vcc_lo, 0, v188
	s_waitcnt vmcnt(0)
	v_cmp_eq_f64_e64 s3, 0, v[189:190]
	v_cmp_eq_f64_e64 s4, 0, v[191:192]
	scratch_load_b128 v[189:192], off, off offset:640 ; 16-byte Folded Reload
	s_and_b32 s4, s3, s4
	s_delay_alu instid0(SALU_CYCLE_1) | instskip(NEXT) | instid1(SALU_CYCLE_1)
	s_and_b32 s4, s4, vcc_lo
	v_cndmask_b32_e64 v188, v188, 15, s4
	s_delay_alu instid0(VALU_DEP_1)
	v_cmp_eq_u32_e32 vcc_lo, 0, v188
	s_waitcnt vmcnt(0)
	v_cmp_eq_f64_e64 s5, 0, v[189:190]
	v_cmp_eq_f64_e64 s6, 0, v[191:192]
	scratch_load_b128 v[189:192], off, off offset:656 ; 16-byte Folded Reload
	s_and_b32 s4, s5, s6
	s_delay_alu instid0(SALU_CYCLE_1) | instskip(NEXT) | instid1(SALU_CYCLE_1)
	s_and_b32 s4, s4, vcc_lo
	v_cndmask_b32_e64 v188, v188, 16, s4
	s_delay_alu instid0(VALU_DEP_1)
	v_cmp_eq_u32_e32 vcc_lo, 0, v188
	s_waitcnt vmcnt(0)
	v_cmp_eq_f64_e64 s7, 0, v[189:190]
	v_cmp_eq_f64_e64 s8, 0, v[191:192]
	scratch_load_b128 v[189:192], off, off offset:672 ; 16-byte Folded Reload
	s_and_b32 s8, s7, s8
	s_load_b64 s[6:7], s[0:1], 0x28
	s_and_b32 s0, s8, vcc_lo
	s_delay_alu instid0(SALU_CYCLE_1) | instskip(NEXT) | instid1(VALU_DEP_1)
	v_cndmask_b32_e64 v188, v188, 17, s0
	v_cmp_eq_u32_e64 s1, 0, v188
	s_waitcnt vmcnt(0)
	v_cmp_eq_f64_e64 s2, 0, v[189:190]
	v_cmp_eq_f64_e64 s9, 0, v[191:192]
	scratch_load_b128 v[189:192], off, off offset:688 ; 16-byte Folded Reload
	s_and_b32 s2, s2, s9
	s_delay_alu instid0(SALU_CYCLE_1)
	s_and_b32 s1, s2, s1
	s_waitcnt vmcnt(0)
	v_cmp_eq_f64_e64 s10, 0, v[189:190]
	v_cmp_eq_f64_e64 s3, 0, v[191:192]
	scratch_load_b128 v[189:192], off, off offset:704 ; 16-byte Folded Reload
	s_and_b32 s8, s10, s3
	s_waitcnt vmcnt(0)
	v_cmp_eq_f64_e64 s4, 0, v[189:190]
	v_cmp_eq_f64_e64 s5, 0, v[191:192]
	scratch_load_b128 v[189:192], off, off offset:720 ; 16-byte Folded Reload
	s_and_b32 s4, s4, s5
	s_waitcnt vmcnt(0)
	v_cmp_eq_f64_e32 vcc_lo, 0, v[189:190]
	v_cmp_eq_f64_e64 s0, 0, v[191:192]
	v_cndmask_b32_e64 v190, v188, 18, s1
	s_clause 0x1
	scratch_load_b64 v[188:189], off, off offset:944
	scratch_load_b128 v[191:194], off, off offset:736
	v_cmp_eq_u32_e64 s3, 0, v190
	s_delay_alu instid0(VALU_DEP_1)
	s_and_b32 s3, s8, s3
	s_and_b32 s0, vcc_lo, s0
	s_waitcnt vmcnt(1)
	v_lshlrev_b64 v[188:189], 2, v[188:189]
	s_waitcnt vmcnt(0)
	v_cmp_eq_f64_e64 s2, 0, v[193:194]
	scratch_load_b128 v[194:197], off, off offset:752 ; 16-byte Folded Reload
	v_cmp_eq_f64_e64 s1, 0, v[191:192]
	s_waitcnt lgkmcnt(0)
	v_add_co_u32 v192, s6, s6, v188
	s_delay_alu instid0(VALU_DEP_1) | instskip(SKIP_3) | instid1(VALU_DEP_1)
	v_add_co_ci_u32_e64 v193, s6, s7, v189, s6
	v_cndmask_b32_e64 v189, v190, 19, s3
	global_load_b32 v188, v[192:193], off
	v_cmp_eq_u32_e64 s7, 0, v189
	s_and_b32 s4, s4, s7
	s_delay_alu instid0(SALU_CYCLE_1) | instskip(NEXT) | instid1(VALU_DEP_1)
	v_cndmask_b32_e64 v189, v189, 20, s4
	v_cmp_eq_u32_e64 s7, 0, v189
	s_delay_alu instid0(VALU_DEP_1) | instskip(NEXT) | instid1(SALU_CYCLE_1)
	s_and_b32 s0, s0, s7
	v_cndmask_b32_e64 v189, v189, 21, s0
	s_delay_alu instid0(VALU_DEP_1)
	v_cmp_eq_u32_e64 s7, 0, v189
	s_and_b32 s1, s1, s2
	s_delay_alu instid0(VALU_DEP_1) | instid1(SALU_CYCLE_1)
	s_and_b32 s1, s1, s7
	s_delay_alu instid0(SALU_CYCLE_1) | instskip(NEXT) | instid1(VALU_DEP_1)
	v_cndmask_b32_e64 v189, v189, 22, s1
	v_cmp_eq_u32_e64 s7, 0, v189
	s_waitcnt vmcnt(1)
	v_cmp_eq_f64_e64 s3, 0, v[194:195]
	v_cmp_eq_f64_e64 s6, 0, v[196:197]
	scratch_load_b128 v[194:197], off, off offset:768 ; 16-byte Folded Reload
	s_and_b32 s3, s3, s6
	s_delay_alu instid0(SALU_CYCLE_1) | instskip(NEXT) | instid1(SALU_CYCLE_1)
	s_and_b32 s3, s3, s7
	v_cndmask_b32_e64 v189, v189, 23, s3
	s_delay_alu instid0(VALU_DEP_1)
	v_cmp_eq_u32_e64 s7, 0, v189
	s_waitcnt vmcnt(0)
	v_cmp_eq_f64_e64 s4, 0, v[194:195]
	v_cmp_eq_f64_e64 s5, 0, v[196:197]
	scratch_load_b128 v[194:197], off, off offset:784 ; 16-byte Folded Reload
	s_and_b32 s4, s4, s5
	s_delay_alu instid0(SALU_CYCLE_1) | instskip(NEXT) | instid1(SALU_CYCLE_1)
	s_and_b32 s4, s4, s7
	v_cndmask_b32_e64 v189, v189, 24, s4
	s_delay_alu instid0(VALU_DEP_1)
	v_cmp_eq_u32_e64 s7, 0, v189
	s_waitcnt vmcnt(0)
	v_cmp_eq_f64_e32 vcc_lo, 0, v[194:195]
	v_cmp_eq_f64_e64 s0, 0, v[196:197]
	scratch_load_b128 v[194:197], off, off offset:800 ; 16-byte Folded Reload
	s_and_b32 s0, vcc_lo, s0
	s_delay_alu instid0(SALU_CYCLE_1) | instskip(NEXT) | instid1(SALU_CYCLE_1)
	s_and_b32 s0, s0, s7
	v_cndmask_b32_e64 v189, v189, 25, s0
	s_delay_alu instid0(VALU_DEP_1)
	v_cmp_eq_u32_e32 vcc_lo, 0, v189
	s_waitcnt vmcnt(0)
	v_cmp_eq_f64_e64 s1, 0, v[194:195]
	v_cmp_eq_f64_e64 s2, 0, v[196:197]
	scratch_load_b128 v[194:197], off, off offset:816 ; 16-byte Folded Reload
	s_and_b32 s0, s1, s2
	s_delay_alu instid0(SALU_CYCLE_1) | instskip(NEXT) | instid1(SALU_CYCLE_1)
	s_and_b32 s0, s0, vcc_lo
	v_cndmask_b32_e64 v189, v189, 26, s0
	s_delay_alu instid0(VALU_DEP_1)
	v_cmp_eq_u32_e32 vcc_lo, 0, v189
	s_waitcnt vmcnt(0)
	v_cmp_eq_f64_e64 s3, 0, v[194:195]
	v_cmp_eq_f64_e64 s6, 0, v[196:197]
	scratch_load_b128 v[194:197], off, off offset:832 ; 16-byte Folded Reload
	s_and_b32 s0, s3, s6
	s_delay_alu instid0(SALU_CYCLE_1) | instskip(NEXT) | instid1(SALU_CYCLE_1)
	s_and_b32 s0, s0, vcc_lo
	v_cndmask_b32_e64 v189, v189, 27, s0
	s_delay_alu instid0(VALU_DEP_1)
	v_cmp_eq_u32_e64 s1, 0, v189
	s_waitcnt vmcnt(0)
	v_cmp_eq_f64_e64 s4, 0, v[194:195]
	v_cmp_eq_f64_e64 s5, 0, v[196:197]
	scratch_load_b128 v[194:197], off, off offset:848 ; 16-byte Folded Reload
	s_and_b32 s2, s4, s5
	s_delay_alu instid0(SALU_CYCLE_1) | instskip(NEXT) | instid1(SALU_CYCLE_1)
	s_and_b32 s1, s2, s1
	v_cndmask_b32_e64 v189, v189, 28, s1
	s_delay_alu instid0(VALU_DEP_1)
	v_cmp_eq_u32_e64 s3, 0, v189
	s_waitcnt vmcnt(0)
	v_cmp_eq_f64_e64 s7, 0, v[194:195]
	v_cmp_eq_f64_e64 s8, 0, v[196:197]
	scratch_load_b128 v[194:197], off, off offset:864 ; 16-byte Folded Reload
	s_and_b32 s4, s7, s8
	s_delay_alu instid0(SALU_CYCLE_1) | instskip(NEXT) | instid1(SALU_CYCLE_1)
	s_and_b32 s3, s4, s3
	;; [unrolled: 10-line block ×3, first 2 shown]
	v_cndmask_b32_e64 v189, v189, 30, s5
	s_delay_alu instid0(VALU_DEP_1)
	v_cmp_eq_u32_e64 s7, 0, v189
	s_waitcnt vmcnt(0)
	v_cmp_eq_f64_e32 vcc_lo, 0, v[194:195]
	v_cmp_eq_f64_e64 s0, 0, v[196:197]
	scratch_load_b128 v[194:197], off, off offset:896 ; 16-byte Folded Reload
	s_and_b32 s0, vcc_lo, s0
	v_cmp_eq_f64_e32 vcc_lo, 0, v[200:201]
	s_and_b32 s0, s0, s7
	s_delay_alu instid0(SALU_CYCLE_1) | instskip(SKIP_1) | instid1(VALU_DEP_2)
	v_cndmask_b32_e64 v189, v189, 31, s0
	v_cmp_eq_f64_e64 s0, 0, v[202:203]
	v_cmp_eq_u32_e64 s7, 0, v189
	s_delay_alu instid0(VALU_DEP_2)
	s_and_b32 s0, vcc_lo, s0
	v_cmp_eq_f64_e32 vcc_lo, 0, v[216:217]
	s_waitcnt vmcnt(0)
	v_cmp_eq_f64_e64 s1, 0, v[194:195]
	v_cmp_eq_f64_e64 s2, 0, v[196:197]
	scratch_load_b128 v[194:197], off, off offset:912 ; 16-byte Folded Reload
	s_and_b32 s1, s1, s2
	v_cmp_eq_f64_e64 s2, 0, v[206:207]
	s_and_b32 s1, s1, s7
	s_delay_alu instid0(SALU_CYCLE_1) | instskip(SKIP_1) | instid1(VALU_DEP_2)
	v_cndmask_b32_e64 v189, v189, 32, s1
	v_cmp_eq_f64_e64 s1, 0, v[204:205]
	v_cmp_eq_u32_e64 s7, 0, v189
	s_delay_alu instid0(VALU_DEP_2)
	s_and_b32 s1, s1, s2
	v_cmp_eq_f64_e64 s2, 0, v[222:223]
	s_waitcnt vmcnt(0)
	v_cmp_eq_f64_e64 s3, 0, v[194:195]
	v_cmp_eq_f64_e64 s4, 0, v[196:197]
	scratch_load_b128 v[194:197], off, off offset:928 ; 16-byte Folded Reload
	s_and_b32 s3, s3, s4
	v_cmp_eq_f64_e64 s4, 0, v[210:211]
	s_and_b32 s3, s3, s7
	s_delay_alu instid0(SALU_CYCLE_1) | instskip(SKIP_1) | instid1(VALU_DEP_2)
	v_cndmask_b32_e64 v189, v189, 33, s3
	v_cmp_eq_f64_e64 s3, 0, v[208:209]
	v_cmp_eq_u32_e64 s7, 0, v189
	s_delay_alu instid0(VALU_DEP_2) | instskip(SKIP_4) | instid1(VALU_DEP_1)
	s_and_b32 s3, s3, s4
	v_cmp_eq_f64_e64 s4, 0, v[226:227]
	s_waitcnt vmcnt(0)
	v_cmp_eq_f64_e64 s5, 0, v[194:195]
	v_cmp_eq_f64_e64 s6, 0, v[196:197]
	s_and_b32 s5, s5, s6
	v_cmp_eq_f64_e64 s6, 0, v[214:215]
	s_and_b32 s5, s5, s7
	s_delay_alu instid0(SALU_CYCLE_1) | instskip(SKIP_1) | instid1(VALU_DEP_2)
	v_cndmask_b32_e64 v189, v189, 34, s5
	v_cmp_eq_f64_e64 s5, 0, v[212:213]
	v_cmp_eq_u32_e64 s7, 0, v189
	s_delay_alu instid0(VALU_DEP_1) | instskip(NEXT) | instid1(SALU_CYCLE_1)
	s_and_b32 s0, s0, s7
	v_cndmask_b32_e64 v189, v189, 35, s0
	v_cmp_eq_f64_e64 s0, 0, v[218:219]
	s_delay_alu instid0(VALU_DEP_2) | instskip(NEXT) | instid1(VALU_DEP_1)
	v_cmp_eq_u32_e64 s7, 0, v189
	s_and_b32 s1, s1, s7
	s_delay_alu instid0(SALU_CYCLE_1) | instskip(SKIP_1) | instid1(VALU_DEP_2)
	v_cndmask_b32_e64 v189, v189, 36, s1
	v_cmp_eq_f64_e64 s1, 0, v[220:221]
	v_cmp_eq_u32_e64 s7, 0, v189
	s_delay_alu instid0(VALU_DEP_1) | instskip(NEXT) | instid1(SALU_CYCLE_1)
	s_and_b32 s3, s3, s7
	v_cndmask_b32_e64 v189, v189, 37, s3
	v_cmp_eq_f64_e64 s3, 0, v[224:225]
	s_and_b32 s5, s5, s6
	v_cmp_eq_f64_e64 s6, 0, v[230:231]
	s_delay_alu instid0(VALU_DEP_3) | instskip(NEXT) | instid1(VALU_DEP_1)
	v_cmp_eq_u32_e64 s7, 0, v189
	s_and_b32 s5, s5, s7
	s_delay_alu instid0(SALU_CYCLE_1) | instskip(SKIP_3) | instid1(VALU_DEP_3)
	v_cndmask_b32_e64 v189, v189, 38, s5
	v_cmp_eq_f64_e64 s5, 0, v[228:229]
	s_and_b32 s0, vcc_lo, s0
	v_cmp_eq_f64_e32 vcc_lo, 0, v[232:233]
	v_cmp_eq_u32_e64 s7, 0, v189
	s_delay_alu instid0(VALU_DEP_1) | instskip(NEXT) | instid1(SALU_CYCLE_1)
	s_and_b32 s0, s0, s7
	v_cndmask_b32_e64 v189, v189, 39, s0
	v_cmp_eq_f64_e64 s0, 0, v[234:235]
	s_and_b32 s1, s1, s2
	v_cmp_eq_f64_e64 s2, 0, v[238:239]
	s_delay_alu instid0(VALU_DEP_3) | instskip(NEXT) | instid1(VALU_DEP_1)
	v_cmp_eq_u32_e64 s7, 0, v189
	s_and_b32 s1, s1, s7
	s_delay_alu instid0(SALU_CYCLE_1) | instskip(SKIP_3) | instid1(VALU_DEP_3)
	v_cndmask_b32_e64 v189, v189, 40, s1
	v_cmp_eq_f64_e64 s1, 0, v[236:237]
	s_and_b32 s3, s3, s4
	v_cmp_eq_f64_e64 s4, 0, v[242:243]
	v_cmp_eq_u32_e64 s7, 0, v189
	s_delay_alu instid0(VALU_DEP_1) | instskip(NEXT) | instid1(SALU_CYCLE_1)
	s_and_b32 s3, s3, s7
	v_cndmask_b32_e64 v189, v189, 41, s3
	v_cmp_eq_f64_e64 s3, 0, v[240:241]
	s_and_b32 s5, s5, s6
	v_cmp_eq_f64_e64 s6, 0, v[246:247]
	s_delay_alu instid0(VALU_DEP_3) | instskip(NEXT) | instid1(VALU_DEP_1)
	v_cmp_eq_u32_e64 s7, 0, v189
	s_and_b32 s5, s5, s7
	s_delay_alu instid0(SALU_CYCLE_1) | instskip(SKIP_3) | instid1(VALU_DEP_3)
	v_cndmask_b32_e64 v189, v189, 42, s5
	v_cmp_eq_f64_e64 s5, 0, v[244:245]
	s_and_b32 s0, vcc_lo, s0
	v_cmp_eq_f64_e32 vcc_lo, 0, v[248:249]
	v_cmp_eq_u32_e64 s7, 0, v189
	s_delay_alu instid0(VALU_DEP_1) | instskip(NEXT) | instid1(SALU_CYCLE_1)
	s_and_b32 s0, s0, s7
	v_cndmask_b32_e64 v189, v189, 43, s0
	v_cmp_eq_f64_e64 s0, 0, v[250:251]
	s_and_b32 s1, s1, s2
	v_cmp_eq_f64_e64 s2, 0, v[254:255]
	s_delay_alu instid0(VALU_DEP_3) | instskip(NEXT) | instid1(VALU_DEP_1)
	v_cmp_eq_u32_e64 s7, 0, v189
	s_and_b32 s1, s1, s7
	s_delay_alu instid0(SALU_CYCLE_1) | instskip(SKIP_2) | instid1(VALU_DEP_2)
	v_cndmask_b32_e64 v189, v189, 44, s1
	v_cmp_eq_f64_e64 s1, 0, v[252:253]
	s_and_b32 s3, s3, s4
	v_cmp_eq_u32_e64 s7, 0, v189
	s_delay_alu instid0(VALU_DEP_1) | instskip(NEXT) | instid1(SALU_CYCLE_1)
	s_and_b32 s3, s3, s7
	v_cndmask_b32_e64 v189, v189, 45, s3
	s_and_b32 s4, s5, s6
	s_delay_alu instid0(VALU_DEP_1) | instskip(NEXT) | instid1(VALU_DEP_1)
	v_cmp_eq_u32_e64 s3, 0, v189
	s_and_b32 s3, s4, s3
	s_delay_alu instid0(SALU_CYCLE_1) | instskip(SKIP_1) | instid1(VALU_DEP_1)
	v_cndmask_b32_e64 v189, v189, 46, s3
	s_and_b32 s0, vcc_lo, s0
	v_cmp_eq_u32_e64 s3, 0, v189
	s_delay_alu instid0(VALU_DEP_1) | instskip(NEXT) | instid1(SALU_CYCLE_1)
	s_and_b32 s0, s0, s3
	v_cndmask_b32_e64 v189, v189, 47, s0
	s_and_b32 s0, s1, s2
	s_delay_alu instid0(VALU_DEP_1) | instskip(SKIP_3) | instid1(VALU_DEP_1)
	v_cmp_eq_u32_e32 vcc_lo, 0, v189
	s_and_b32 s0, s0, vcc_lo
	v_cmp_eq_u32_e32 vcc_lo, 0, v188
	v_cndmask_b32_e64 v189, v189, 48, s0
	v_cmp_ne_u32_e64 s0, 0, v189
	s_delay_alu instid0(VALU_DEP_1) | instskip(NEXT) | instid1(SALU_CYCLE_1)
	s_and_b32 s0, vcc_lo, s0
	s_and_b32 exec_lo, exec_lo, s0
	s_cbranch_execz .LBB95_436
; %bb.435:
	v_add_nc_u32_e32 v188, s11, v189
	global_store_b32 v[192:193], v188, off
.LBB95_436:
	s_or_b32 exec_lo, exec_lo, s12
	s_clause 0x1
	scratch_load_b64 v[188:189], off, off offset:392
	scratch_load_b128 v[190:193], off, off
	s_waitcnt vmcnt(0)
	global_store_b128 v[188:189], v[190:193], off
	scratch_load_b64 v[188:189], off, off offset:384 ; 8-byte Folded Reload
	s_waitcnt vmcnt(0)
	global_store_b128 v[188:189], v[184:187], off
	scratch_load_b64 v[184:185], off, off offset:376 ; 8-byte Folded Reload
	;; [unrolled: 3-line block ×47, first 2 shown]
	s_waitcnt vmcnt(0)
	global_store_b128 v[4:5], v[0:3], off
.LBB95_437:
	s_nop 0
	s_sendmsg sendmsg(MSG_DEALLOC_VGPRS)
	s_endpgm
	.section	.rodata,"a",@progbits
	.p2align	6, 0x0
	.amdhsa_kernel _ZN9rocsolver6v33100L23getf2_npvt_small_kernelILi48E19rocblas_complex_numIdEiiPKPS3_EEvT1_T3_lS7_lPT2_S7_S7_
		.amdhsa_group_segment_fixed_size 0
		.amdhsa_private_segment_fixed_size 956
		.amdhsa_kernarg_size 312
		.amdhsa_user_sgpr_count 14
		.amdhsa_user_sgpr_dispatch_ptr 0
		.amdhsa_user_sgpr_queue_ptr 0
		.amdhsa_user_sgpr_kernarg_segment_ptr 1
		.amdhsa_user_sgpr_dispatch_id 0
		.amdhsa_user_sgpr_private_segment_size 0
		.amdhsa_wavefront_size32 1
		.amdhsa_uses_dynamic_stack 0
		.amdhsa_enable_private_segment 1
		.amdhsa_system_sgpr_workgroup_id_x 1
		.amdhsa_system_sgpr_workgroup_id_y 1
		.amdhsa_system_sgpr_workgroup_id_z 0
		.amdhsa_system_sgpr_workgroup_info 0
		.amdhsa_system_vgpr_workitem_id 1
		.amdhsa_next_free_vgpr 256
		.amdhsa_next_free_sgpr 16
		.amdhsa_reserve_vcc 1
		.amdhsa_float_round_mode_32 0
		.amdhsa_float_round_mode_16_64 0
		.amdhsa_float_denorm_mode_32 3
		.amdhsa_float_denorm_mode_16_64 3
		.amdhsa_dx10_clamp 1
		.amdhsa_ieee_mode 1
		.amdhsa_fp16_overflow 0
		.amdhsa_workgroup_processor_mode 1
		.amdhsa_memory_ordered 1
		.amdhsa_forward_progress 0
		.amdhsa_shared_vgpr_count 0
		.amdhsa_exception_fp_ieee_invalid_op 0
		.amdhsa_exception_fp_denorm_src 0
		.amdhsa_exception_fp_ieee_div_zero 0
		.amdhsa_exception_fp_ieee_overflow 0
		.amdhsa_exception_fp_ieee_underflow 0
		.amdhsa_exception_fp_ieee_inexact 0
		.amdhsa_exception_int_div_zero 0
	.end_amdhsa_kernel
	.section	.text._ZN9rocsolver6v33100L23getf2_npvt_small_kernelILi48E19rocblas_complex_numIdEiiPKPS3_EEvT1_T3_lS7_lPT2_S7_S7_,"axG",@progbits,_ZN9rocsolver6v33100L23getf2_npvt_small_kernelILi48E19rocblas_complex_numIdEiiPKPS3_EEvT1_T3_lS7_lPT2_S7_S7_,comdat
.Lfunc_end95:
	.size	_ZN9rocsolver6v33100L23getf2_npvt_small_kernelILi48E19rocblas_complex_numIdEiiPKPS3_EEvT1_T3_lS7_lPT2_S7_S7_, .Lfunc_end95-_ZN9rocsolver6v33100L23getf2_npvt_small_kernelILi48E19rocblas_complex_numIdEiiPKPS3_EEvT1_T3_lS7_lPT2_S7_S7_
                                        ; -- End function
	.section	.AMDGPU.csdata,"",@progbits
; Kernel info:
; codeLenInByte = 123828
; NumSgprs: 18
; NumVgprs: 256
; ScratchSize: 956
; MemoryBound: 1
; FloatMode: 240
; IeeeMode: 1
; LDSByteSize: 0 bytes/workgroup (compile time only)
; SGPRBlocks: 2
; VGPRBlocks: 31
; NumSGPRsForWavesPerEU: 18
; NumVGPRsForWavesPerEU: 256
; Occupancy: 5
; WaveLimiterHint : 1
; COMPUTE_PGM_RSRC2:SCRATCH_EN: 1
; COMPUTE_PGM_RSRC2:USER_SGPR: 14
; COMPUTE_PGM_RSRC2:TRAP_HANDLER: 0
; COMPUTE_PGM_RSRC2:TGID_X_EN: 1
; COMPUTE_PGM_RSRC2:TGID_Y_EN: 1
; COMPUTE_PGM_RSRC2:TGID_Z_EN: 0
; COMPUTE_PGM_RSRC2:TIDIG_COMP_CNT: 1
	.section	.text._ZN9rocsolver6v33100L18getf2_small_kernelILi49E19rocblas_complex_numIdEiiPKPS3_EEvT1_T3_lS7_lPS7_llPT2_S7_S7_S9_l,"axG",@progbits,_ZN9rocsolver6v33100L18getf2_small_kernelILi49E19rocblas_complex_numIdEiiPKPS3_EEvT1_T3_lS7_lPS7_llPT2_S7_S7_S9_l,comdat
	.globl	_ZN9rocsolver6v33100L18getf2_small_kernelILi49E19rocblas_complex_numIdEiiPKPS3_EEvT1_T3_lS7_lPS7_llPT2_S7_S7_S9_l ; -- Begin function _ZN9rocsolver6v33100L18getf2_small_kernelILi49E19rocblas_complex_numIdEiiPKPS3_EEvT1_T3_lS7_lPS7_llPT2_S7_S7_S9_l
	.p2align	8
	.type	_ZN9rocsolver6v33100L18getf2_small_kernelILi49E19rocblas_complex_numIdEiiPKPS3_EEvT1_T3_lS7_lPS7_llPT2_S7_S7_S9_l,@function
_ZN9rocsolver6v33100L18getf2_small_kernelILi49E19rocblas_complex_numIdEiiPKPS3_EEvT1_T3_lS7_lPS7_llPT2_S7_S7_S9_l: ; @_ZN9rocsolver6v33100L18getf2_small_kernelILi49E19rocblas_complex_numIdEiiPKPS3_EEvT1_T3_lS7_lPS7_llPT2_S7_S7_S9_l
; %bb.0:
	s_clause 0x1
	s_load_b32 s2, s[0:1], 0x6c
	s_load_b64 s[12:13], s[0:1], 0x48
	v_bfe_u32 v196, v0, 10, 10
	s_waitcnt lgkmcnt(0)
	s_lshr_b32 s2, s2, 16
	s_delay_alu instid0(VALU_DEP_1) | instid1(SALU_CYCLE_1)
	v_mad_u64_u32 v[200:201], null, s15, s2, v[196:197]
	s_mov_b32 s2, exec_lo
	s_delay_alu instid0(VALU_DEP_1)
	v_cmpx_gt_i32_e64 s12, v200
	s_cbranch_execnz .LBB96_1
; %bb.1033:
	s_getpc_b64 s[16:17]
.Lpost_getpc4:
	s_add_u32 s16, s16, (.LBB96_1032-.Lpost_getpc4)&4294967295
	s_addc_u32 s17, s17, (.LBB96_1032-.Lpost_getpc4)>>32
	s_setpc_b64 s[16:17]
.LBB96_1:
	s_clause 0x1
	s_load_b128 s[4:7], s[0:1], 0x8
	s_load_b128 s[8:11], s[0:1], 0x50
	v_ashrrev_i32_e32 v201, 31, v200
	v_mov_b32_e32 v202, 0
	v_mov_b32_e32 v203, 0
	s_delay_alu instid0(VALU_DEP_3) | instskip(SKIP_1) | instid1(VALU_DEP_1)
	v_lshlrev_b64 v[1:2], 3, v[200:201]
	s_waitcnt lgkmcnt(0)
	v_add_co_u32 v1, vcc_lo, s4, v1
	s_delay_alu instid0(VALU_DEP_2)
	v_add_co_ci_u32_e32 v2, vcc_lo, s5, v2, vcc_lo
	s_cmp_eq_u64 s[8:9], 0
	s_cselect_b32 s4, -1, 0
	global_load_b64 v[1:2], v[1:2], off
	s_and_b32 vcc_lo, exec_lo, s4
	s_cbranch_vccnz .LBB96_3
; %bb.2:
	v_mul_lo_u32 v5, v201, s10
	v_mul_lo_u32 v6, v200, s11
	v_mad_u64_u32 v[3:4], null, v200, s10, 0
	s_delay_alu instid0(VALU_DEP_1) | instskip(NEXT) | instid1(VALU_DEP_1)
	v_add3_u32 v4, v4, v6, v5
	v_lshlrev_b64 v[3:4], 2, v[3:4]
	s_delay_alu instid0(VALU_DEP_1) | instskip(NEXT) | instid1(VALU_DEP_2)
	v_add_co_u32 v202, vcc_lo, s8, v3
	v_add_co_ci_u32_e32 v203, vcc_lo, s9, v4, vcc_lo
.LBB96_3:
	s_clause 0x1
	s_load_b32 s8, s[0:1], 0x18
	s_load_b32 s5, s[0:1], 0x0
	v_and_b32_e32 v210, 0x3ff, v0
	s_lshl_b64 s[2:3], s[6:7], 4
	s_waitcnt vmcnt(0)
	v_add_co_u32 v207, vcc_lo, v1, s2
	v_add_co_ci_u32_e32 v208, vcc_lo, s3, v2, vcc_lo
	v_lshlrev_b32_e32 v199, 4, v210
	s_waitcnt lgkmcnt(0)
	v_add3_u32 v3, s8, s8, v210
	s_ashr_i32 s9, s8, 31
	s_max_i32 s2, s5, 49
	s_lshl_b64 s[10:11], s[8:9], 4
	s_cmp_lt_i32 s5, 2
	v_add_nc_u32_e32 v5, s8, v3
	v_ashrrev_i32_e32 v4, 31, v3
	s_delay_alu instid0(VALU_DEP_2) | instskip(NEXT) | instid1(VALU_DEP_2)
	v_add_nc_u32_e32 v0, s8, v5
	v_lshlrev_b64 v[3:4], 4, v[3:4]
	v_ashrrev_i32_e32 v6, 31, v5
	s_delay_alu instid0(VALU_DEP_3) | instskip(SKIP_1) | instid1(VALU_DEP_4)
	v_add_nc_u32_e32 v2, s8, v0
	v_ashrrev_i32_e32 v1, 31, v0
	v_add_co_u32 v7, vcc_lo, v207, v3
	v_add_co_ci_u32_e32 v8, vcc_lo, v208, v4, vcc_lo
	s_delay_alu instid0(VALU_DEP_4) | instskip(SKIP_3) | instid1(VALU_DEP_4)
	v_add_nc_u32_e32 v4, s8, v2
	v_lshlrev_b64 v[5:6], 4, v[5:6]
	v_ashrrev_i32_e32 v3, 31, v2
	v_lshlrev_b64 v[0:1], 4, v[0:1]
	v_add_nc_u32_e32 v11, s8, v4
	s_delay_alu instid0(VALU_DEP_4) | instskip(SKIP_1) | instid1(VALU_DEP_3)
	v_add_co_u32 v9, vcc_lo, v207, v5
	v_ashrrev_i32_e32 v5, 31, v4
	v_add_nc_u32_e32 v13, s8, v11
	v_lshlrev_b64 v[2:3], 4, v[2:3]
	v_ashrrev_i32_e32 v12, 31, v11
	v_add_co_ci_u32_e32 v10, vcc_lo, v208, v6, vcc_lo
	s_delay_alu instid0(VALU_DEP_4) | instskip(SKIP_3) | instid1(VALU_DEP_4)
	v_add_nc_u32_e32 v15, s8, v13
	v_add_co_u32 v0, vcc_lo, v207, v0
	v_lshlrev_b64 v[4:5], 4, v[4:5]
	v_ashrrev_i32_e32 v14, 31, v13
	v_add_nc_u32_e32 v17, s8, v15
	v_add_co_ci_u32_e32 v1, vcc_lo, v208, v1, vcc_lo
	v_add_co_u32 v2, vcc_lo, v207, v2
	s_delay_alu instid0(VALU_DEP_3) | instskip(SKIP_3) | instid1(VALU_DEP_4)
	v_add_nc_u32_e32 v19, s8, v17
	v_lshlrev_b64 v[11:12], 4, v[11:12]
	v_ashrrev_i32_e32 v16, 31, v15
	v_add_co_ci_u32_e32 v3, vcc_lo, v208, v3, vcc_lo
	v_add_nc_u32_e32 v21, s8, v19
	v_add_co_u32 v4, vcc_lo, v207, v4
	v_lshlrev_b64 v[13:14], 4, v[13:14]
	v_ashrrev_i32_e32 v18, 31, v17
	s_delay_alu instid0(VALU_DEP_4) | instskip(SKIP_2) | instid1(VALU_DEP_3)
	v_add_nc_u32_e32 v23, s8, v21
	v_add_co_ci_u32_e32 v5, vcc_lo, v208, v5, vcc_lo
	v_add_co_u32 v11, vcc_lo, v207, v11
	v_add_nc_u32_e32 v25, s8, v23
	v_lshlrev_b64 v[15:16], 4, v[15:16]
	v_ashrrev_i32_e32 v20, 31, v19
	v_add_co_ci_u32_e32 v12, vcc_lo, v208, v12, vcc_lo
	s_delay_alu instid0(VALU_DEP_4) | instskip(SKIP_3) | instid1(VALU_DEP_4)
	v_add_nc_u32_e32 v27, s8, v25
	v_add_co_u32 v13, vcc_lo, v207, v13
	v_lshlrev_b64 v[17:18], 4, v[17:18]
	v_ashrrev_i32_e32 v22, 31, v21
	v_add_nc_u32_e32 v29, s8, v27
	v_add_co_ci_u32_e32 v14, vcc_lo, v208, v14, vcc_lo
	v_add_co_u32 v15, vcc_lo, v207, v15
	s_delay_alu instid0(VALU_DEP_3) | instskip(SKIP_3) | instid1(VALU_DEP_4)
	v_add_nc_u32_e32 v31, s8, v29
	v_lshlrev_b64 v[19:20], 4, v[19:20]
	v_ashrrev_i32_e32 v24, 31, v23
	v_add_co_ci_u32_e32 v16, vcc_lo, v208, v16, vcc_lo
	v_add_nc_u32_e32 v33, s8, v31
	v_add_co_u32 v17, vcc_lo, v207, v17
	v_lshlrev_b64 v[21:22], 4, v[21:22]
	v_ashrrev_i32_e32 v26, 31, v25
	s_delay_alu instid0(VALU_DEP_4) | instskip(SKIP_2) | instid1(VALU_DEP_3)
	v_add_nc_u32_e32 v35, s8, v33
	v_add_co_ci_u32_e32 v18, vcc_lo, v208, v18, vcc_lo
	v_add_co_u32 v19, vcc_lo, v207, v19
	v_add_nc_u32_e32 v37, s8, v35
	v_lshlrev_b64 v[23:24], 4, v[23:24]
	v_ashrrev_i32_e32 v28, 31, v27
	v_add_co_ci_u32_e32 v20, vcc_lo, v208, v20, vcc_lo
	s_delay_alu instid0(VALU_DEP_4) | instskip(SKIP_3) | instid1(VALU_DEP_4)
	v_add_nc_u32_e32 v39, s8, v37
	v_add_co_u32 v21, vcc_lo, v207, v21
	v_lshlrev_b64 v[25:26], 4, v[25:26]
	v_ashrrev_i32_e32 v30, 31, v29
	v_add_nc_u32_e32 v41, s8, v39
	v_add_co_ci_u32_e32 v22, vcc_lo, v208, v22, vcc_lo
	v_add_co_u32 v23, vcc_lo, v207, v23
	s_delay_alu instid0(VALU_DEP_3) | instskip(SKIP_3) | instid1(VALU_DEP_4)
	v_add_nc_u32_e32 v43, s8, v41
	v_lshlrev_b64 v[27:28], 4, v[27:28]
	v_ashrrev_i32_e32 v32, 31, v31
	v_add_co_ci_u32_e32 v24, vcc_lo, v208, v24, vcc_lo
	v_add_nc_u32_e32 v45, s8, v43
	v_add_co_u32 v25, vcc_lo, v207, v25
	v_lshlrev_b64 v[29:30], 4, v[29:30]
	v_ashrrev_i32_e32 v34, 31, v33
	s_delay_alu instid0(VALU_DEP_4)
	v_add_nc_u32_e32 v47, s8, v45
	v_add_co_ci_u32_e32 v26, vcc_lo, v208, v26, vcc_lo
	v_add_co_u32 v27, vcc_lo, v207, v27
	v_lshlrev_b64 v[31:32], 4, v[31:32]
	v_ashrrev_i32_e32 v36, 31, v35
	v_add_nc_u32_e32 v49, s8, v47
	v_add_co_ci_u32_e32 v28, vcc_lo, v208, v28, vcc_lo
	v_add_co_u32 v29, vcc_lo, v207, v29
	v_lshlrev_b64 v[33:34], 4, v[33:34]
	v_ashrrev_i32_e32 v38, 31, v37
	v_add_co_ci_u32_e32 v30, vcc_lo, v208, v30, vcc_lo
	v_add_co_u32 v31, vcc_lo, v207, v31
	v_lshlrev_b64 v[35:36], 4, v[35:36]
	v_add_nc_u32_e32 v51, s8, v49
	v_ashrrev_i32_e32 v40, 31, v39
	v_add_co_ci_u32_e32 v32, vcc_lo, v208, v32, vcc_lo
	v_add_co_u32 v33, vcc_lo, v207, v33
	v_lshlrev_b64 v[37:38], 4, v[37:38]
	v_ashrrev_i32_e32 v42, 31, v41
	v_add_co_ci_u32_e32 v34, vcc_lo, v208, v34, vcc_lo
	v_add_nc_u32_e32 v53, s8, v51
	v_add_co_u32 v35, vcc_lo, v207, v35
	v_lshlrev_b64 v[39:40], 4, v[39:40]
	v_ashrrev_i32_e32 v44, 31, v43
	v_add_co_ci_u32_e32 v36, vcc_lo, v208, v36, vcc_lo
	v_add_co_u32 v37, vcc_lo, v207, v37
	v_lshlrev_b64 v[41:42], 4, v[41:42]
	v_ashrrev_i32_e32 v46, 31, v45
	v_add_nc_u32_e32 v55, s8, v53
	v_add_co_ci_u32_e32 v38, vcc_lo, v208, v38, vcc_lo
	v_add_co_u32 v39, vcc_lo, v207, v39
	v_lshlrev_b64 v[43:44], 4, v[43:44]
	v_ashrrev_i32_e32 v48, 31, v47
	v_add_co_ci_u32_e32 v40, vcc_lo, v208, v40, vcc_lo
	v_add_co_u32 v41, vcc_lo, v207, v41
	v_lshlrev_b64 v[45:46], 4, v[45:46]
	v_add_nc_u32_e32 v57, s8, v55
	v_ashrrev_i32_e32 v50, 31, v49
	v_add_co_ci_u32_e32 v42, vcc_lo, v208, v42, vcc_lo
	v_add_co_u32 v43, vcc_lo, v207, v43
	v_lshlrev_b64 v[47:48], 4, v[47:48]
	v_ashrrev_i32_e32 v52, 31, v51
	v_add_co_ci_u32_e32 v44, vcc_lo, v208, v44, vcc_lo
	v_add_nc_u32_e32 v59, s8, v57
	v_add_co_u32 v45, vcc_lo, v207, v45
	v_lshlrev_b64 v[49:50], 4, v[49:50]
	v_ashrrev_i32_e32 v54, 31, v53
	;; [unrolled: 23-line block ×3, first 2 shown]
	v_add_co_ci_u32_e32 v56, vcc_lo, v208, v56, vcc_lo
	v_add_co_u32 v57, vcc_lo, v207, v57
	v_lshlrev_b64 v[61:62], 4, v[61:62]
	v_add_nc_u32_e32 v67, s8, v65
	v_add_co_ci_u32_e32 v58, vcc_lo, v208, v58, vcc_lo
	v_add_co_u32 v59, vcc_lo, v207, v59
	v_lshlrev_b64 v[63:64], 4, v[63:64]
	v_ashrrev_i32_e32 v66, 31, v65
	v_add_co_ci_u32_e32 v60, vcc_lo, v208, v60, vcc_lo
	v_add_co_u32 v61, vcc_lo, v207, v61
	v_ashrrev_i32_e32 v68, 31, v67
	v_add_nc_u32_e32 v69, s8, v67
	v_add_co_ci_u32_e32 v62, vcc_lo, v208, v62, vcc_lo
	v_lshlrev_b64 v[65:66], 4, v[65:66]
	v_add_co_u32 v197, vcc_lo, v207, v63
	v_add_co_ci_u32_e32 v198, vcc_lo, v208, v64, vcc_lo
	v_lshlrev_b64 v[63:64], 4, v[67:68]
	v_ashrrev_i32_e32 v70, 31, v69
	v_add_nc_u32_e32 v67, s8, v69
	v_add_co_u32 v204, vcc_lo, v207, v65
	v_add_co_ci_u32_e32 v205, vcc_lo, v208, v66, vcc_lo
	s_delay_alu instid0(VALU_DEP_4) | instskip(NEXT) | instid1(VALU_DEP_4)
	v_lshlrev_b64 v[65:66], 4, v[69:70]
	v_ashrrev_i32_e32 v68, 31, v67
	v_add_nc_u32_e32 v69, s8, v67
	v_add_co_u32 v211, vcc_lo, v207, v63
	v_add_co_ci_u32_e32 v212, vcc_lo, v208, v64, vcc_lo
	s_delay_alu instid0(VALU_DEP_4) | instskip(NEXT) | instid1(VALU_DEP_4)
	;; [unrolled: 6-line block ×10, first 2 shown]
	v_lshlrev_b64 v[63:64], 4, v[67:68]
	v_add_nc_u32_e32 v67, s8, v69
	v_ashrrev_i32_e32 v70, 31, v69
	v_add_co_u32 v229, vcc_lo, v207, v65
	v_add_co_ci_u32_e32 v230, vcc_lo, v208, v66, vcc_lo
	s_delay_alu instid0(VALU_DEP_4) | instskip(NEXT) | instid1(VALU_DEP_4)
	v_ashrrev_i32_e32 v68, 31, v67
	v_lshlrev_b64 v[65:66], 4, v[69:70]
	v_add_co_u32 v231, vcc_lo, v207, v63
	v_add_co_ci_u32_e32 v232, vcc_lo, v208, v64, vcc_lo
	s_delay_alu instid0(VALU_DEP_4) | instskip(SKIP_3) | instid1(VALU_DEP_4)
	v_lshlrev_b64 v[63:64], 4, v[67:68]
	v_add_nc_u32_e32 v67, s8, v67
	v_add_co_u32 v233, vcc_lo, v207, v65
	v_add_co_ci_u32_e32 v234, vcc_lo, v208, v66, vcc_lo
	v_add_co_u32 v235, vcc_lo, v207, v63
	s_delay_alu instid0(VALU_DEP_4) | instskip(SKIP_3) | instid1(VALU_DEP_4)
	v_ashrrev_i32_e32 v68, 31, v67
	v_add_co_ci_u32_e32 v236, vcc_lo, v208, v64, vcc_lo
	v_add_co_u32 v65, vcc_lo, v207, v199
	v_add_co_ci_u32_e32 v66, vcc_lo, 0, v208, vcc_lo
	v_lshlrev_b64 v[63:64], 4, v[67:68]
	s_delay_alu instid0(VALU_DEP_3) | instskip(NEXT) | instid1(VALU_DEP_3)
	v_add_co_u32 v67, vcc_lo, v65, s10
	v_add_co_ci_u32_e32 v68, vcc_lo, s11, v66, vcc_lo
	s_delay_alu instid0(VALU_DEP_3) | instskip(NEXT) | instid1(VALU_DEP_4)
	v_add_co_u32 v237, vcc_lo, v207, v63
	v_add_co_ci_u32_e32 v238, vcc_lo, v208, v64, vcc_lo
	s_clause 0x1f
	global_load_b128 v[192:195], v[65:66], off
	global_load_b128 v[188:191], v[67:68], off
	;; [unrolled: 1-line block ×32, first 2 shown]
	s_clause 0x10
	global_load_b128 v[64:67], v[61:62], off
	global_load_b128 v[60:63], v[197:198], off
	;; [unrolled: 1-line block ×17, first 2 shown]
	v_mul_lo_u32 v204, s2, v196
	s_delay_alu instid0(VALU_DEP_1) | instskip(SKIP_1) | instid1(VALU_DEP_2)
	v_lshl_add_u32 v206, v204, 4, 0
	v_dual_mov_b32 v204, 0 :: v_dual_lshlrev_b32 v211, 4, v204
	v_add_nc_u32_e32 v196, v206, v199
	s_waitcnt vmcnt(48)
	ds_store_2addr_b64 v196, v[192:193], v[194:195] offset1:1
	s_waitcnt vmcnt(0) lgkmcnt(0)
	s_barrier
	buffer_gl0_inv
	ds_load_2addr_b64 v[196:199], v206 offset1:1
	s_cbranch_scc1 .LBB96_6
; %bb.4:
	v_add3_u32 v205, v211, 0, 16
	v_mov_b32_e32 v204, 0
	s_mov_b32 s6, 1
	s_set_inst_prefetch_distance 0x1
	.p2align	6
.LBB96_5:                               ; =>This Inner Loop Header: Depth=1
	ds_load_2addr_b64 v[212:215], v205 offset1:1
	s_waitcnt lgkmcnt(1)
	v_cmp_gt_f64_e32 vcc_lo, 0, v[196:197]
	v_xor_b32_e32 v209, 0x80000000, v197
	v_cmp_gt_f64_e64 s2, 0, v[198:199]
	v_xor_b32_e32 v216, 0x80000000, v199
	v_add_nc_u32_e32 v205, 16, v205
	s_waitcnt lgkmcnt(0)
	v_cmp_gt_f64_e64 s3, 0, v[212:213]
	v_mov_b32_e32 v220, v212
	v_dual_mov_b32 v222, v214 :: v_dual_cndmask_b32 v217, v197, v209
	v_xor_b32_e32 v209, 0x80000000, v213
	v_cndmask_b32_e64 v219, v199, v216, s2
	v_xor_b32_e32 v216, 0x80000000, v215
	v_cndmask_b32_e64 v218, v198, v198, s2
	s_delay_alu instid0(VALU_DEP_4) | instskip(SKIP_1) | instid1(VALU_DEP_1)
	v_cndmask_b32_e64 v221, v213, v209, s3
	v_cmp_gt_f64_e64 s3, 0, v[214:215]
	v_cndmask_b32_e64 v223, v215, v216, s3
	v_cndmask_b32_e32 v216, v196, v196, vcc_lo
	s_delay_alu instid0(VALU_DEP_2) | instskip(NEXT) | instid1(VALU_DEP_2)
	v_add_f64 v[220:221], v[220:221], v[222:223]
	v_add_f64 v[216:217], v[216:217], v[218:219]
	s_delay_alu instid0(VALU_DEP_1)
	v_cmp_lt_f64_e32 vcc_lo, v[216:217], v[220:221]
	v_cndmask_b32_e32 v199, v199, v215, vcc_lo
	v_dual_cndmask_b32 v197, v197, v213 :: v_dual_cndmask_b32 v196, v196, v212
	v_cndmask_b32_e32 v198, v198, v214, vcc_lo
	v_cndmask_b32_e64 v204, v204, s6, vcc_lo
	s_add_i32 s6, s6, 1
	s_delay_alu instid0(SALU_CYCLE_1)
	s_cmp_eq_u32 s5, s6
	s_cbranch_scc0 .LBB96_5
.LBB96_6:
	s_set_inst_prefetch_distance 0x2
	s_waitcnt lgkmcnt(0)
	v_cmp_neq_f64_e32 vcc_lo, 0, v[196:197]
	v_cmp_neq_f64_e64 s2, 0, v[198:199]
	v_mov_b32_e32 v209, 1
	v_mov_b32_e32 v213, 1
	s_delay_alu instid0(VALU_DEP_3) | instskip(NEXT) | instid1(SALU_CYCLE_1)
	s_or_b32 s2, vcc_lo, s2
	s_and_saveexec_b32 s3, s2
	s_cbranch_execz .LBB96_12
; %bb.7:
	v_cmp_gt_f64_e32 vcc_lo, 0, v[196:197]
	v_cmp_gt_f64_e64 s2, 0, v[198:199]
	v_xor_b32_e32 v205, 0x80000000, v197
	v_xor_b32_e32 v209, 0x80000000, v199
                                        ; implicit-def: $sgpr6
                                        ; implicit-def: $sgpr7
	s_delay_alu instid0(VALU_DEP_2) | instskip(NEXT) | instid1(VALU_DEP_2)
	v_dual_cndmask_b32 v213, v197, v205 :: v_dual_cndmask_b32 v212, v196, v196
	v_cndmask_b32_e64 v215, v199, v209, s2
	v_cndmask_b32_e64 v214, v198, v198, s2
	s_mov_b32 s2, exec_lo
	s_delay_alu instid0(VALU_DEP_1)
	v_cmpx_ngt_f64_e32 v[212:213], v[214:215]
	s_xor_b32 s2, exec_lo, s2
	s_cbranch_execz .LBB96_9
; %bb.8:
	v_div_scale_f64 v[212:213], null, v[198:199], v[198:199], v[196:197]
	v_div_scale_f64 v[218:219], vcc_lo, v[196:197], v[198:199], v[196:197]
	s_mov_b32 s7, 2
	s_mov_b32 s6, 0
	s_delay_alu instid0(VALU_DEP_2) | instskip(SKIP_2) | instid1(VALU_DEP_1)
	v_rcp_f64_e32 v[214:215], v[212:213]
	s_waitcnt_depctr 0xfff
	v_fma_f64 v[216:217], -v[212:213], v[214:215], 1.0
	v_fma_f64 v[214:215], v[214:215], v[216:217], v[214:215]
	s_delay_alu instid0(VALU_DEP_1) | instskip(NEXT) | instid1(VALU_DEP_1)
	v_fma_f64 v[216:217], -v[212:213], v[214:215], 1.0
	v_fma_f64 v[214:215], v[214:215], v[216:217], v[214:215]
	s_delay_alu instid0(VALU_DEP_1) | instskip(NEXT) | instid1(VALU_DEP_1)
	v_mul_f64 v[216:217], v[218:219], v[214:215]
	v_fma_f64 v[212:213], -v[212:213], v[216:217], v[218:219]
	s_delay_alu instid0(VALU_DEP_1) | instskip(NEXT) | instid1(VALU_DEP_1)
	v_div_fmas_f64 v[212:213], v[212:213], v[214:215], v[216:217]
	v_div_fixup_f64 v[212:213], v[212:213], v[198:199], v[196:197]
	s_delay_alu instid0(VALU_DEP_1) | instskip(NEXT) | instid1(VALU_DEP_1)
	v_fma_f64 v[196:197], v[196:197], v[212:213], v[198:199]
	v_div_scale_f64 v[198:199], null, v[196:197], v[196:197], 1.0
	s_delay_alu instid0(VALU_DEP_1) | instskip(SKIP_2) | instid1(VALU_DEP_1)
	v_rcp_f64_e32 v[214:215], v[198:199]
	s_waitcnt_depctr 0xfff
	v_fma_f64 v[216:217], -v[198:199], v[214:215], 1.0
	v_fma_f64 v[214:215], v[214:215], v[216:217], v[214:215]
	s_delay_alu instid0(VALU_DEP_1) | instskip(NEXT) | instid1(VALU_DEP_1)
	v_fma_f64 v[216:217], -v[198:199], v[214:215], 1.0
	v_fma_f64 v[214:215], v[214:215], v[216:217], v[214:215]
	v_div_scale_f64 v[216:217], vcc_lo, 1.0, v[196:197], 1.0
	s_delay_alu instid0(VALU_DEP_1) | instskip(NEXT) | instid1(VALU_DEP_1)
	v_mul_f64 v[218:219], v[216:217], v[214:215]
	v_fma_f64 v[198:199], -v[198:199], v[218:219], v[216:217]
	s_delay_alu instid0(VALU_DEP_1) | instskip(NEXT) | instid1(VALU_DEP_1)
	v_div_fmas_f64 v[198:199], v[198:199], v[214:215], v[218:219]
	v_div_fixup_f64 v[198:199], v[198:199], v[196:197], 1.0
	s_delay_alu instid0(VALU_DEP_1)
	v_mul_f64 v[196:197], v[212:213], v[198:199]
	v_xor_b32_e32 v199, 0x80000000, v199
.LBB96_9:
	s_or_saveexec_b32 s2, s2
	v_mov_b32_e32 v213, s6
	v_mov_b32_e32 v209, s7
	s_xor_b32 exec_lo, exec_lo, s2
	s_cbranch_execz .LBB96_11
; %bb.10:
	s_delay_alu instid0(VALU_DEP_4) | instskip(SKIP_2) | instid1(VALU_DEP_3)
	v_div_scale_f64 v[212:213], null, v[196:197], v[196:197], v[198:199]
	v_div_scale_f64 v[218:219], vcc_lo, v[198:199], v[196:197], v[198:199]
	v_mov_b32_e32 v209, 2
	v_rcp_f64_e32 v[214:215], v[212:213]
	s_waitcnt_depctr 0xfff
	v_fma_f64 v[216:217], -v[212:213], v[214:215], 1.0
	s_delay_alu instid0(VALU_DEP_1) | instskip(NEXT) | instid1(VALU_DEP_1)
	v_fma_f64 v[214:215], v[214:215], v[216:217], v[214:215]
	v_fma_f64 v[216:217], -v[212:213], v[214:215], 1.0
	s_delay_alu instid0(VALU_DEP_1) | instskip(NEXT) | instid1(VALU_DEP_1)
	v_fma_f64 v[214:215], v[214:215], v[216:217], v[214:215]
	v_mul_f64 v[216:217], v[218:219], v[214:215]
	s_delay_alu instid0(VALU_DEP_1) | instskip(NEXT) | instid1(VALU_DEP_1)
	v_fma_f64 v[212:213], -v[212:213], v[216:217], v[218:219]
	v_div_fmas_f64 v[212:213], v[212:213], v[214:215], v[216:217]
	s_delay_alu instid0(VALU_DEP_1) | instskip(NEXT) | instid1(VALU_DEP_1)
	v_div_fixup_f64 v[212:213], v[212:213], v[196:197], v[198:199]
	v_fma_f64 v[196:197], v[198:199], v[212:213], v[196:197]
	s_delay_alu instid0(VALU_DEP_1) | instskip(NEXT) | instid1(VALU_DEP_1)
	v_div_scale_f64 v[198:199], null, v[196:197], v[196:197], 1.0
	v_rcp_f64_e32 v[214:215], v[198:199]
	s_waitcnt_depctr 0xfff
	v_fma_f64 v[216:217], -v[198:199], v[214:215], 1.0
	s_delay_alu instid0(VALU_DEP_1) | instskip(NEXT) | instid1(VALU_DEP_1)
	v_fma_f64 v[214:215], v[214:215], v[216:217], v[214:215]
	v_fma_f64 v[216:217], -v[198:199], v[214:215], 1.0
	s_delay_alu instid0(VALU_DEP_1) | instskip(SKIP_1) | instid1(VALU_DEP_1)
	v_fma_f64 v[214:215], v[214:215], v[216:217], v[214:215]
	v_div_scale_f64 v[216:217], vcc_lo, 1.0, v[196:197], 1.0
	v_mul_f64 v[218:219], v[216:217], v[214:215]
	s_delay_alu instid0(VALU_DEP_1) | instskip(NEXT) | instid1(VALU_DEP_1)
	v_fma_f64 v[198:199], -v[198:199], v[218:219], v[216:217]
	v_div_fmas_f64 v[198:199], v[198:199], v[214:215], v[218:219]
	s_delay_alu instid0(VALU_DEP_1) | instskip(NEXT) | instid1(VALU_DEP_1)
	v_div_fixup_f64 v[196:197], v[198:199], v[196:197], 1.0
	v_mul_f64 v[198:199], v[212:213], -v[196:197]
	v_mov_b32_e32 v213, 0
.LBB96_11:
	s_or_b32 exec_lo, exec_lo, s2
.LBB96_12:
	s_delay_alu instid0(SALU_CYCLE_1) | instskip(NEXT) | instid1(SALU_CYCLE_1)
	s_or_b32 exec_lo, exec_lo, s3
	s_mov_b32 s2, exec_lo
	v_cmpx_ne_u32_e64 v210, v204
	s_xor_b32 s2, exec_lo, s2
	s_cbranch_execz .LBB96_18
; %bb.13:
	s_mov_b32 s3, exec_lo
	v_cmpx_eq_u32_e32 0, v210
	s_cbranch_execz .LBB96_17
; %bb.14:
	v_cmp_ne_u32_e32 vcc_lo, 0, v204
	s_xor_b32 s6, s4, -1
	s_delay_alu instid0(SALU_CYCLE_1) | instskip(NEXT) | instid1(SALU_CYCLE_1)
	s_and_b32 s7, s6, vcc_lo
	s_and_saveexec_b32 s6, s7
	s_cbranch_execz .LBB96_16
; %bb.15:
	v_ashrrev_i32_e32 v205, 31, v204
	s_delay_alu instid0(VALU_DEP_1) | instskip(NEXT) | instid1(VALU_DEP_1)
	v_lshlrev_b64 v[214:215], 2, v[204:205]
	v_add_co_u32 v214, vcc_lo, v202, v214
	s_delay_alu instid0(VALU_DEP_2)
	v_add_co_ci_u32_e32 v215, vcc_lo, v203, v215, vcc_lo
	s_clause 0x1
	flat_load_b32 v205, v[214:215]
	flat_load_b32 v210, v[202:203]
	s_waitcnt vmcnt(1) lgkmcnt(1)
	flat_store_b32 v[202:203], v205
	s_waitcnt vmcnt(0) lgkmcnt(1)
	flat_store_b32 v[214:215], v210
.LBB96_16:
	s_or_b32 exec_lo, exec_lo, s6
	v_mov_b32_e32 v210, v204
.LBB96_17:
	s_or_b32 exec_lo, exec_lo, s3
.LBB96_18:
	s_or_saveexec_b32 s2, s2
	s_delay_alu instid0(VALU_DEP_1)
	v_mov_b32_e32 v212, v210
	s_xor_b32 exec_lo, exec_lo, s2
	s_cbranch_execz .LBB96_20
; %bb.19:
	v_mov_b32_e32 v212, 0
	ds_store_2addr_b64 v206, v[188:189], v[190:191] offset0:2 offset1:3
	ds_store_2addr_b64 v206, v[184:185], v[186:187] offset0:4 offset1:5
	;; [unrolled: 1-line block ×48, first 2 shown]
.LBB96_20:
	s_or_b32 exec_lo, exec_lo, s2
	s_delay_alu instid0(SALU_CYCLE_1)
	s_mov_b32 s2, exec_lo
	s_waitcnt lgkmcnt(0)
	s_waitcnt_vscnt null, 0x0
	s_barrier
	buffer_gl0_inv
	v_cmpx_lt_i32_e32 0, v212
	s_cbranch_execz .LBB96_22
; %bb.21:
	v_mul_f64 v[204:205], v[198:199], v[194:195]
	v_mul_f64 v[194:195], v[196:197], v[194:195]
	s_delay_alu instid0(VALU_DEP_2) | instskip(NEXT) | instid1(VALU_DEP_2)
	v_fma_f64 v[204:205], v[196:197], v[192:193], -v[204:205]
	v_fma_f64 v[194:195], v[198:199], v[192:193], v[194:195]
	ds_load_2addr_b64 v[196:199], v206 offset0:2 offset1:3
	s_waitcnt lgkmcnt(0)
	v_mul_f64 v[192:193], v[198:199], v[194:195]
	s_delay_alu instid0(VALU_DEP_1) | instskip(SKIP_1) | instid1(VALU_DEP_2)
	v_fma_f64 v[192:193], v[196:197], v[204:205], -v[192:193]
	v_mul_f64 v[196:197], v[196:197], v[194:195]
	v_add_f64 v[188:189], v[188:189], -v[192:193]
	s_delay_alu instid0(VALU_DEP_2) | instskip(NEXT) | instid1(VALU_DEP_1)
	v_fma_f64 v[196:197], v[198:199], v[204:205], v[196:197]
	v_add_f64 v[190:191], v[190:191], -v[196:197]
	ds_load_2addr_b64 v[196:199], v206 offset0:4 offset1:5
	s_waitcnt lgkmcnt(0)
	v_mul_f64 v[192:193], v[198:199], v[194:195]
	s_delay_alu instid0(VALU_DEP_1) | instskip(SKIP_1) | instid1(VALU_DEP_2)
	v_fma_f64 v[192:193], v[196:197], v[204:205], -v[192:193]
	v_mul_f64 v[196:197], v[196:197], v[194:195]
	v_add_f64 v[184:185], v[184:185], -v[192:193]
	s_delay_alu instid0(VALU_DEP_2) | instskip(NEXT) | instid1(VALU_DEP_1)
	v_fma_f64 v[196:197], v[198:199], v[204:205], v[196:197]
	v_add_f64 v[186:187], v[186:187], -v[196:197]
	;; [unrolled: 10-line block ×47, first 2 shown]
	ds_load_2addr_b64 v[196:199], v206 offset0:96 offset1:97
	s_waitcnt lgkmcnt(0)
	v_mul_f64 v[192:193], v[198:199], v[194:195]
	s_delay_alu instid0(VALU_DEP_1) | instskip(SKIP_1) | instid1(VALU_DEP_2)
	v_fma_f64 v[192:193], v[196:197], v[204:205], -v[192:193]
	v_mul_f64 v[196:197], v[196:197], v[194:195]
	v_add_f64 v[0:1], v[0:1], -v[192:193]
	s_delay_alu instid0(VALU_DEP_2) | instskip(SKIP_1) | instid1(VALU_DEP_2)
	v_fma_f64 v[196:197], v[198:199], v[204:205], v[196:197]
	v_dual_mov_b32 v192, v204 :: v_dual_mov_b32 v193, v205
	v_add_f64 v[2:3], v[2:3], -v[196:197]
.LBB96_22:
	s_or_b32 exec_lo, exec_lo, s2
	v_lshl_add_u32 v196, v212, 4, v206
	s_barrier
	buffer_gl0_inv
	v_mov_b32_e32 v204, 1
	ds_store_2addr_b64 v196, v[188:189], v[190:191] offset1:1
	s_waitcnt lgkmcnt(0)
	s_barrier
	buffer_gl0_inv
	ds_load_2addr_b64 v[196:199], v206 offset0:2 offset1:3
	s_cmp_lt_i32 s5, 3
	s_cbranch_scc1 .LBB96_25
; %bb.23:
	v_add3_u32 v205, v211, 0, 32
	v_mov_b32_e32 v204, 1
	s_mov_b32 s6, 2
	s_set_inst_prefetch_distance 0x1
	.p2align	6
.LBB96_24:                              ; =>This Inner Loop Header: Depth=1
	ds_load_2addr_b64 v[214:217], v205 offset1:1
	s_waitcnt lgkmcnt(1)
	v_cmp_gt_f64_e32 vcc_lo, 0, v[196:197]
	v_xor_b32_e32 v218, 0x80000000, v197
	v_cmp_gt_f64_e64 s2, 0, v[198:199]
	v_xor_b32_e32 v220, 0x80000000, v199
	v_add_nc_u32_e32 v205, 16, v205
	s_waitcnt lgkmcnt(0)
	v_cmp_gt_f64_e64 s3, 0, v[214:215]
	v_mov_b32_e32 v222, v214
	v_dual_mov_b32 v224, v216 :: v_dual_cndmask_b32 v219, v197, v218
	v_xor_b32_e32 v218, 0x80000000, v215
	v_cndmask_b32_e64 v221, v199, v220, s2
	v_xor_b32_e32 v220, 0x80000000, v217
	s_delay_alu instid0(VALU_DEP_3) | instskip(SKIP_2) | instid1(VALU_DEP_2)
	v_cndmask_b32_e64 v223, v215, v218, s3
	v_cmp_gt_f64_e64 s3, 0, v[216:217]
	v_cndmask_b32_e32 v218, v196, v196, vcc_lo
	v_cndmask_b32_e64 v225, v217, v220, s3
	v_cndmask_b32_e64 v220, v198, v198, s2
	s_delay_alu instid0(VALU_DEP_2) | instskip(NEXT) | instid1(VALU_DEP_2)
	v_add_f64 v[222:223], v[222:223], v[224:225]
	v_add_f64 v[218:219], v[218:219], v[220:221]
	s_delay_alu instid0(VALU_DEP_1)
	v_cmp_lt_f64_e32 vcc_lo, v[218:219], v[222:223]
	v_cndmask_b32_e32 v199, v199, v217, vcc_lo
	v_dual_cndmask_b32 v197, v197, v215 :: v_dual_cndmask_b32 v196, v196, v214
	v_cndmask_b32_e32 v198, v198, v216, vcc_lo
	v_cndmask_b32_e64 v204, v204, s6, vcc_lo
	s_add_i32 s6, s6, 1
	s_delay_alu instid0(SALU_CYCLE_1)
	s_cmp_lg_u32 s5, s6
	s_cbranch_scc1 .LBB96_24
.LBB96_25:
	s_set_inst_prefetch_distance 0x2
	s_waitcnt lgkmcnt(0)
	v_cmp_neq_f64_e32 vcc_lo, 0, v[196:197]
	v_cmp_neq_f64_e64 s2, 0, v[198:199]
	s_delay_alu instid0(VALU_DEP_1) | instskip(NEXT) | instid1(SALU_CYCLE_1)
	s_or_b32 s2, vcc_lo, s2
	s_and_saveexec_b32 s3, s2
	s_cbranch_execz .LBB96_31
; %bb.26:
	v_cmp_gt_f64_e32 vcc_lo, 0, v[196:197]
	v_cmp_gt_f64_e64 s2, 0, v[198:199]
	v_xor_b32_e32 v205, 0x80000000, v197
	v_xor_b32_e32 v209, 0x80000000, v199
	s_delay_alu instid0(VALU_DEP_2) | instskip(NEXT) | instid1(VALU_DEP_2)
	v_dual_cndmask_b32 v215, v197, v205 :: v_dual_cndmask_b32 v214, v196, v196
	v_cndmask_b32_e64 v217, v199, v209, s2
	v_cndmask_b32_e64 v216, v198, v198, s2
	s_mov_b32 s2, exec_lo
	s_delay_alu instid0(VALU_DEP_1)
	v_cmpx_ngt_f64_e32 v[214:215], v[216:217]
	s_xor_b32 s2, exec_lo, s2
	s_cbranch_execz .LBB96_28
; %bb.27:
	v_div_scale_f64 v[214:215], null, v[198:199], v[198:199], v[196:197]
	v_div_scale_f64 v[220:221], vcc_lo, v[196:197], v[198:199], v[196:197]
	s_delay_alu instid0(VALU_DEP_2) | instskip(SKIP_2) | instid1(VALU_DEP_1)
	v_rcp_f64_e32 v[216:217], v[214:215]
	s_waitcnt_depctr 0xfff
	v_fma_f64 v[218:219], -v[214:215], v[216:217], 1.0
	v_fma_f64 v[216:217], v[216:217], v[218:219], v[216:217]
	s_delay_alu instid0(VALU_DEP_1) | instskip(NEXT) | instid1(VALU_DEP_1)
	v_fma_f64 v[218:219], -v[214:215], v[216:217], 1.0
	v_fma_f64 v[216:217], v[216:217], v[218:219], v[216:217]
	s_delay_alu instid0(VALU_DEP_1) | instskip(NEXT) | instid1(VALU_DEP_1)
	v_mul_f64 v[218:219], v[220:221], v[216:217]
	v_fma_f64 v[214:215], -v[214:215], v[218:219], v[220:221]
	s_delay_alu instid0(VALU_DEP_1) | instskip(NEXT) | instid1(VALU_DEP_1)
	v_div_fmas_f64 v[214:215], v[214:215], v[216:217], v[218:219]
	v_div_fixup_f64 v[214:215], v[214:215], v[198:199], v[196:197]
	s_delay_alu instid0(VALU_DEP_1) | instskip(NEXT) | instid1(VALU_DEP_1)
	v_fma_f64 v[196:197], v[196:197], v[214:215], v[198:199]
	v_div_scale_f64 v[198:199], null, v[196:197], v[196:197], 1.0
	s_delay_alu instid0(VALU_DEP_1) | instskip(SKIP_2) | instid1(VALU_DEP_1)
	v_rcp_f64_e32 v[216:217], v[198:199]
	s_waitcnt_depctr 0xfff
	v_fma_f64 v[218:219], -v[198:199], v[216:217], 1.0
	v_fma_f64 v[216:217], v[216:217], v[218:219], v[216:217]
	s_delay_alu instid0(VALU_DEP_1) | instskip(NEXT) | instid1(VALU_DEP_1)
	v_fma_f64 v[218:219], -v[198:199], v[216:217], 1.0
	v_fma_f64 v[216:217], v[216:217], v[218:219], v[216:217]
	v_div_scale_f64 v[218:219], vcc_lo, 1.0, v[196:197], 1.0
	s_delay_alu instid0(VALU_DEP_1) | instskip(NEXT) | instid1(VALU_DEP_1)
	v_mul_f64 v[220:221], v[218:219], v[216:217]
	v_fma_f64 v[198:199], -v[198:199], v[220:221], v[218:219]
	s_delay_alu instid0(VALU_DEP_1) | instskip(NEXT) | instid1(VALU_DEP_1)
	v_div_fmas_f64 v[198:199], v[198:199], v[216:217], v[220:221]
	v_div_fixup_f64 v[198:199], v[198:199], v[196:197], 1.0
	s_delay_alu instid0(VALU_DEP_1)
	v_mul_f64 v[196:197], v[214:215], v[198:199]
	v_xor_b32_e32 v199, 0x80000000, v199
.LBB96_28:
	s_and_not1_saveexec_b32 s2, s2
	s_cbranch_execz .LBB96_30
; %bb.29:
	s_delay_alu instid0(VALU_DEP_1) | instskip(SKIP_1) | instid1(VALU_DEP_2)
	v_div_scale_f64 v[214:215], null, v[196:197], v[196:197], v[198:199]
	v_div_scale_f64 v[220:221], vcc_lo, v[198:199], v[196:197], v[198:199]
	v_rcp_f64_e32 v[216:217], v[214:215]
	s_waitcnt_depctr 0xfff
	v_fma_f64 v[218:219], -v[214:215], v[216:217], 1.0
	s_delay_alu instid0(VALU_DEP_1) | instskip(NEXT) | instid1(VALU_DEP_1)
	v_fma_f64 v[216:217], v[216:217], v[218:219], v[216:217]
	v_fma_f64 v[218:219], -v[214:215], v[216:217], 1.0
	s_delay_alu instid0(VALU_DEP_1) | instskip(NEXT) | instid1(VALU_DEP_1)
	v_fma_f64 v[216:217], v[216:217], v[218:219], v[216:217]
	v_mul_f64 v[218:219], v[220:221], v[216:217]
	s_delay_alu instid0(VALU_DEP_1) | instskip(NEXT) | instid1(VALU_DEP_1)
	v_fma_f64 v[214:215], -v[214:215], v[218:219], v[220:221]
	v_div_fmas_f64 v[214:215], v[214:215], v[216:217], v[218:219]
	s_delay_alu instid0(VALU_DEP_1) | instskip(NEXT) | instid1(VALU_DEP_1)
	v_div_fixup_f64 v[214:215], v[214:215], v[196:197], v[198:199]
	v_fma_f64 v[196:197], v[198:199], v[214:215], v[196:197]
	s_delay_alu instid0(VALU_DEP_1) | instskip(NEXT) | instid1(VALU_DEP_1)
	v_div_scale_f64 v[198:199], null, v[196:197], v[196:197], 1.0
	v_rcp_f64_e32 v[216:217], v[198:199]
	s_waitcnt_depctr 0xfff
	v_fma_f64 v[218:219], -v[198:199], v[216:217], 1.0
	s_delay_alu instid0(VALU_DEP_1) | instskip(NEXT) | instid1(VALU_DEP_1)
	v_fma_f64 v[216:217], v[216:217], v[218:219], v[216:217]
	v_fma_f64 v[218:219], -v[198:199], v[216:217], 1.0
	s_delay_alu instid0(VALU_DEP_1) | instskip(SKIP_1) | instid1(VALU_DEP_1)
	v_fma_f64 v[216:217], v[216:217], v[218:219], v[216:217]
	v_div_scale_f64 v[218:219], vcc_lo, 1.0, v[196:197], 1.0
	v_mul_f64 v[220:221], v[218:219], v[216:217]
	s_delay_alu instid0(VALU_DEP_1) | instskip(NEXT) | instid1(VALU_DEP_1)
	v_fma_f64 v[198:199], -v[198:199], v[220:221], v[218:219]
	v_div_fmas_f64 v[198:199], v[198:199], v[216:217], v[220:221]
	s_delay_alu instid0(VALU_DEP_1) | instskip(NEXT) | instid1(VALU_DEP_1)
	v_div_fixup_f64 v[196:197], v[198:199], v[196:197], 1.0
	v_mul_f64 v[198:199], v[214:215], -v[196:197]
.LBB96_30:
	s_or_b32 exec_lo, exec_lo, s2
	v_mov_b32_e32 v209, v213
.LBB96_31:
	s_or_b32 exec_lo, exec_lo, s3
	s_delay_alu instid0(SALU_CYCLE_1)
	s_mov_b32 s2, exec_lo
	v_cmpx_ne_u32_e64 v212, v204
	s_xor_b32 s2, exec_lo, s2
	s_cbranch_execz .LBB96_37
; %bb.32:
	s_mov_b32 s3, exec_lo
	v_cmpx_eq_u32_e32 1, v212
	s_cbranch_execz .LBB96_36
; %bb.33:
	v_cmp_ne_u32_e32 vcc_lo, 1, v204
	s_xor_b32 s6, s4, -1
	s_delay_alu instid0(SALU_CYCLE_1) | instskip(NEXT) | instid1(SALU_CYCLE_1)
	s_and_b32 s7, s6, vcc_lo
	s_and_saveexec_b32 s6, s7
	s_cbranch_execz .LBB96_35
; %bb.34:
	v_ashrrev_i32_e32 v205, 31, v204
	s_delay_alu instid0(VALU_DEP_1) | instskip(NEXT) | instid1(VALU_DEP_1)
	v_lshlrev_b64 v[212:213], 2, v[204:205]
	v_add_co_u32 v212, vcc_lo, v202, v212
	s_delay_alu instid0(VALU_DEP_2)
	v_add_co_ci_u32_e32 v213, vcc_lo, v203, v213, vcc_lo
	s_clause 0x1
	flat_load_b32 v205, v[212:213]
	flat_load_b32 v210, v[202:203] offset:4
	s_waitcnt vmcnt(1) lgkmcnt(1)
	flat_store_b32 v[202:203], v205 offset:4
	s_waitcnt vmcnt(0) lgkmcnt(1)
	flat_store_b32 v[212:213], v210
.LBB96_35:
	s_or_b32 exec_lo, exec_lo, s6
	v_mov_b32_e32 v212, v204
	v_mov_b32_e32 v210, v204
.LBB96_36:
	s_or_b32 exec_lo, exec_lo, s3
.LBB96_37:
	s_and_not1_saveexec_b32 s2, s2
	s_cbranch_execz .LBB96_39
; %bb.38:
	v_mov_b32_e32 v212, 1
	ds_store_2addr_b64 v206, v[184:185], v[186:187] offset0:4 offset1:5
	ds_store_2addr_b64 v206, v[180:181], v[182:183] offset0:6 offset1:7
	;; [unrolled: 1-line block ×47, first 2 shown]
.LBB96_39:
	s_or_b32 exec_lo, exec_lo, s2
	s_delay_alu instid0(SALU_CYCLE_1)
	s_mov_b32 s2, exec_lo
	s_waitcnt lgkmcnt(0)
	s_waitcnt_vscnt null, 0x0
	s_barrier
	buffer_gl0_inv
	v_cmpx_lt_i32_e32 1, v212
	s_cbranch_execz .LBB96_41
; %bb.40:
	v_mul_f64 v[204:205], v[198:199], v[190:191]
	v_mul_f64 v[190:191], v[196:197], v[190:191]
	s_delay_alu instid0(VALU_DEP_2) | instskip(NEXT) | instid1(VALU_DEP_2)
	v_fma_f64 v[204:205], v[196:197], v[188:189], -v[204:205]
	v_fma_f64 v[190:191], v[198:199], v[188:189], v[190:191]
	ds_load_2addr_b64 v[196:199], v206 offset0:4 offset1:5
	s_waitcnt lgkmcnt(0)
	v_mul_f64 v[188:189], v[198:199], v[190:191]
	s_delay_alu instid0(VALU_DEP_1) | instskip(SKIP_1) | instid1(VALU_DEP_2)
	v_fma_f64 v[188:189], v[196:197], v[204:205], -v[188:189]
	v_mul_f64 v[196:197], v[196:197], v[190:191]
	v_add_f64 v[184:185], v[184:185], -v[188:189]
	s_delay_alu instid0(VALU_DEP_2) | instskip(NEXT) | instid1(VALU_DEP_1)
	v_fma_f64 v[196:197], v[198:199], v[204:205], v[196:197]
	v_add_f64 v[186:187], v[186:187], -v[196:197]
	ds_load_2addr_b64 v[196:199], v206 offset0:6 offset1:7
	s_waitcnt lgkmcnt(0)
	v_mul_f64 v[188:189], v[198:199], v[190:191]
	s_delay_alu instid0(VALU_DEP_1) | instskip(SKIP_1) | instid1(VALU_DEP_2)
	v_fma_f64 v[188:189], v[196:197], v[204:205], -v[188:189]
	v_mul_f64 v[196:197], v[196:197], v[190:191]
	v_add_f64 v[180:181], v[180:181], -v[188:189]
	s_delay_alu instid0(VALU_DEP_2) | instskip(NEXT) | instid1(VALU_DEP_1)
	v_fma_f64 v[196:197], v[198:199], v[204:205], v[196:197]
	v_add_f64 v[182:183], v[182:183], -v[196:197]
	;; [unrolled: 10-line block ×46, first 2 shown]
	ds_load_2addr_b64 v[196:199], v206 offset0:96 offset1:97
	s_waitcnt lgkmcnt(0)
	v_mul_f64 v[188:189], v[198:199], v[190:191]
	s_delay_alu instid0(VALU_DEP_1) | instskip(SKIP_1) | instid1(VALU_DEP_2)
	v_fma_f64 v[188:189], v[196:197], v[204:205], -v[188:189]
	v_mul_f64 v[196:197], v[196:197], v[190:191]
	v_add_f64 v[0:1], v[0:1], -v[188:189]
	s_delay_alu instid0(VALU_DEP_2) | instskip(SKIP_1) | instid1(VALU_DEP_2)
	v_fma_f64 v[196:197], v[198:199], v[204:205], v[196:197]
	v_dual_mov_b32 v188, v204 :: v_dual_mov_b32 v189, v205
	v_add_f64 v[2:3], v[2:3], -v[196:197]
.LBB96_41:
	s_or_b32 exec_lo, exec_lo, s2
	v_lshl_add_u32 v196, v212, 4, v206
	s_barrier
	buffer_gl0_inv
	v_mov_b32_e32 v204, 2
	ds_store_2addr_b64 v196, v[184:185], v[186:187] offset1:1
	s_waitcnt lgkmcnt(0)
	s_barrier
	buffer_gl0_inv
	ds_load_2addr_b64 v[196:199], v206 offset0:4 offset1:5
	s_cmp_lt_i32 s5, 4
	s_cbranch_scc1 .LBB96_44
; %bb.42:
	v_add3_u32 v205, v211, 0, 48
	v_mov_b32_e32 v204, 2
	s_mov_b32 s6, 3
	s_set_inst_prefetch_distance 0x1
	.p2align	6
.LBB96_43:                              ; =>This Inner Loop Header: Depth=1
	ds_load_2addr_b64 v[213:216], v205 offset1:1
	s_waitcnt lgkmcnt(1)
	v_cmp_gt_f64_e32 vcc_lo, 0, v[196:197]
	v_xor_b32_e32 v217, 0x80000000, v197
	v_cmp_gt_f64_e64 s2, 0, v[198:199]
	v_xor_b32_e32 v219, 0x80000000, v199
	v_add_nc_u32_e32 v205, 16, v205
	s_waitcnt lgkmcnt(0)
	v_cmp_gt_f64_e64 s3, 0, v[213:214]
	v_mov_b32_e32 v221, v213
	v_dual_mov_b32 v223, v215 :: v_dual_cndmask_b32 v218, v197, v217
	v_xor_b32_e32 v217, 0x80000000, v214
	v_cndmask_b32_e64 v220, v199, v219, s2
	v_xor_b32_e32 v219, 0x80000000, v216
	s_delay_alu instid0(VALU_DEP_3) | instskip(SKIP_2) | instid1(VALU_DEP_2)
	v_cndmask_b32_e64 v222, v214, v217, s3
	v_cmp_gt_f64_e64 s3, 0, v[215:216]
	v_cndmask_b32_e32 v217, v196, v196, vcc_lo
	v_cndmask_b32_e64 v224, v216, v219, s3
	v_cndmask_b32_e64 v219, v198, v198, s2
	s_delay_alu instid0(VALU_DEP_2) | instskip(NEXT) | instid1(VALU_DEP_2)
	v_add_f64 v[221:222], v[221:222], v[223:224]
	v_add_f64 v[217:218], v[217:218], v[219:220]
	s_delay_alu instid0(VALU_DEP_1) | instskip(SKIP_4) | instid1(SALU_CYCLE_1)
	v_cmp_lt_f64_e32 vcc_lo, v[217:218], v[221:222]
	v_dual_cndmask_b32 v198, v198, v215 :: v_dual_cndmask_b32 v197, v197, v214
	v_dual_cndmask_b32 v196, v196, v213 :: v_dual_cndmask_b32 v199, v199, v216
	v_cndmask_b32_e64 v204, v204, s6, vcc_lo
	s_add_i32 s6, s6, 1
	s_cmp_lg_u32 s5, s6
	s_cbranch_scc1 .LBB96_43
.LBB96_44:
	s_set_inst_prefetch_distance 0x2
	s_waitcnt lgkmcnt(0)
	v_cmp_eq_f64_e32 vcc_lo, 0, v[196:197]
	v_cmp_eq_f64_e64 s2, 0, v[198:199]
	s_delay_alu instid0(VALU_DEP_1) | instskip(NEXT) | instid1(SALU_CYCLE_1)
	s_and_b32 s2, vcc_lo, s2
	s_and_saveexec_b32 s3, s2
	s_delay_alu instid0(SALU_CYCLE_1)
	s_xor_b32 s2, exec_lo, s3
; %bb.45:
	v_cmp_ne_u32_e32 vcc_lo, 0, v209
	v_cndmask_b32_e32 v209, 3, v209, vcc_lo
; %bb.46:
	s_and_not1_saveexec_b32 s3, s2
	s_cbranch_execz .LBB96_52
; %bb.47:
	v_cmp_gt_f64_e32 vcc_lo, 0, v[196:197]
	v_cmp_gt_f64_e64 s2, 0, v[198:199]
	v_xor_b32_e32 v205, 0x80000000, v197
	v_xor_b32_e32 v213, 0x80000000, v199
	s_delay_alu instid0(VALU_DEP_2) | instskip(NEXT) | instid1(VALU_DEP_2)
	v_cndmask_b32_e32 v214, v197, v205, vcc_lo
	v_cndmask_b32_e64 v216, v199, v213, s2
	v_cndmask_b32_e32 v213, v196, v196, vcc_lo
	v_cndmask_b32_e64 v215, v198, v198, s2
	s_mov_b32 s2, exec_lo
	s_delay_alu instid0(VALU_DEP_1)
	v_cmpx_ngt_f64_e32 v[213:214], v[215:216]
	s_xor_b32 s2, exec_lo, s2
	s_cbranch_execz .LBB96_49
; %bb.48:
	v_div_scale_f64 v[213:214], null, v[198:199], v[198:199], v[196:197]
	v_div_scale_f64 v[219:220], vcc_lo, v[196:197], v[198:199], v[196:197]
	s_delay_alu instid0(VALU_DEP_2) | instskip(SKIP_2) | instid1(VALU_DEP_1)
	v_rcp_f64_e32 v[215:216], v[213:214]
	s_waitcnt_depctr 0xfff
	v_fma_f64 v[217:218], -v[213:214], v[215:216], 1.0
	v_fma_f64 v[215:216], v[215:216], v[217:218], v[215:216]
	s_delay_alu instid0(VALU_DEP_1) | instskip(NEXT) | instid1(VALU_DEP_1)
	v_fma_f64 v[217:218], -v[213:214], v[215:216], 1.0
	v_fma_f64 v[215:216], v[215:216], v[217:218], v[215:216]
	s_delay_alu instid0(VALU_DEP_1) | instskip(NEXT) | instid1(VALU_DEP_1)
	v_mul_f64 v[217:218], v[219:220], v[215:216]
	v_fma_f64 v[213:214], -v[213:214], v[217:218], v[219:220]
	s_delay_alu instid0(VALU_DEP_1) | instskip(NEXT) | instid1(VALU_DEP_1)
	v_div_fmas_f64 v[213:214], v[213:214], v[215:216], v[217:218]
	v_div_fixup_f64 v[213:214], v[213:214], v[198:199], v[196:197]
	s_delay_alu instid0(VALU_DEP_1) | instskip(NEXT) | instid1(VALU_DEP_1)
	v_fma_f64 v[196:197], v[196:197], v[213:214], v[198:199]
	v_div_scale_f64 v[198:199], null, v[196:197], v[196:197], 1.0
	s_delay_alu instid0(VALU_DEP_1) | instskip(SKIP_2) | instid1(VALU_DEP_1)
	v_rcp_f64_e32 v[215:216], v[198:199]
	s_waitcnt_depctr 0xfff
	v_fma_f64 v[217:218], -v[198:199], v[215:216], 1.0
	v_fma_f64 v[215:216], v[215:216], v[217:218], v[215:216]
	s_delay_alu instid0(VALU_DEP_1) | instskip(NEXT) | instid1(VALU_DEP_1)
	v_fma_f64 v[217:218], -v[198:199], v[215:216], 1.0
	v_fma_f64 v[215:216], v[215:216], v[217:218], v[215:216]
	v_div_scale_f64 v[217:218], vcc_lo, 1.0, v[196:197], 1.0
	s_delay_alu instid0(VALU_DEP_1) | instskip(NEXT) | instid1(VALU_DEP_1)
	v_mul_f64 v[219:220], v[217:218], v[215:216]
	v_fma_f64 v[198:199], -v[198:199], v[219:220], v[217:218]
	s_delay_alu instid0(VALU_DEP_1) | instskip(NEXT) | instid1(VALU_DEP_1)
	v_div_fmas_f64 v[198:199], v[198:199], v[215:216], v[219:220]
	v_div_fixup_f64 v[198:199], v[198:199], v[196:197], 1.0
	s_delay_alu instid0(VALU_DEP_1)
	v_mul_f64 v[196:197], v[213:214], v[198:199]
	v_xor_b32_e32 v199, 0x80000000, v199
.LBB96_49:
	s_and_not1_saveexec_b32 s2, s2
	s_cbranch_execz .LBB96_51
; %bb.50:
	s_delay_alu instid0(VALU_DEP_1) | instskip(SKIP_1) | instid1(VALU_DEP_2)
	v_div_scale_f64 v[213:214], null, v[196:197], v[196:197], v[198:199]
	v_div_scale_f64 v[219:220], vcc_lo, v[198:199], v[196:197], v[198:199]
	v_rcp_f64_e32 v[215:216], v[213:214]
	s_waitcnt_depctr 0xfff
	v_fma_f64 v[217:218], -v[213:214], v[215:216], 1.0
	s_delay_alu instid0(VALU_DEP_1) | instskip(NEXT) | instid1(VALU_DEP_1)
	v_fma_f64 v[215:216], v[215:216], v[217:218], v[215:216]
	v_fma_f64 v[217:218], -v[213:214], v[215:216], 1.0
	s_delay_alu instid0(VALU_DEP_1) | instskip(NEXT) | instid1(VALU_DEP_1)
	v_fma_f64 v[215:216], v[215:216], v[217:218], v[215:216]
	v_mul_f64 v[217:218], v[219:220], v[215:216]
	s_delay_alu instid0(VALU_DEP_1) | instskip(NEXT) | instid1(VALU_DEP_1)
	v_fma_f64 v[213:214], -v[213:214], v[217:218], v[219:220]
	v_div_fmas_f64 v[213:214], v[213:214], v[215:216], v[217:218]
	s_delay_alu instid0(VALU_DEP_1) | instskip(NEXT) | instid1(VALU_DEP_1)
	v_div_fixup_f64 v[213:214], v[213:214], v[196:197], v[198:199]
	v_fma_f64 v[196:197], v[198:199], v[213:214], v[196:197]
	s_delay_alu instid0(VALU_DEP_1) | instskip(NEXT) | instid1(VALU_DEP_1)
	v_div_scale_f64 v[198:199], null, v[196:197], v[196:197], 1.0
	v_rcp_f64_e32 v[215:216], v[198:199]
	s_waitcnt_depctr 0xfff
	v_fma_f64 v[217:218], -v[198:199], v[215:216], 1.0
	s_delay_alu instid0(VALU_DEP_1) | instskip(NEXT) | instid1(VALU_DEP_1)
	v_fma_f64 v[215:216], v[215:216], v[217:218], v[215:216]
	v_fma_f64 v[217:218], -v[198:199], v[215:216], 1.0
	s_delay_alu instid0(VALU_DEP_1) | instskip(SKIP_1) | instid1(VALU_DEP_1)
	v_fma_f64 v[215:216], v[215:216], v[217:218], v[215:216]
	v_div_scale_f64 v[217:218], vcc_lo, 1.0, v[196:197], 1.0
	v_mul_f64 v[219:220], v[217:218], v[215:216]
	s_delay_alu instid0(VALU_DEP_1) | instskip(NEXT) | instid1(VALU_DEP_1)
	v_fma_f64 v[198:199], -v[198:199], v[219:220], v[217:218]
	v_div_fmas_f64 v[198:199], v[198:199], v[215:216], v[219:220]
	s_delay_alu instid0(VALU_DEP_1) | instskip(NEXT) | instid1(VALU_DEP_1)
	v_div_fixup_f64 v[196:197], v[198:199], v[196:197], 1.0
	v_mul_f64 v[198:199], v[213:214], -v[196:197]
.LBB96_51:
	s_or_b32 exec_lo, exec_lo, s2
.LBB96_52:
	s_delay_alu instid0(SALU_CYCLE_1) | instskip(NEXT) | instid1(SALU_CYCLE_1)
	s_or_b32 exec_lo, exec_lo, s3
	s_mov_b32 s2, exec_lo
	v_cmpx_ne_u32_e64 v212, v204
	s_xor_b32 s2, exec_lo, s2
	s_cbranch_execz .LBB96_58
; %bb.53:
	s_mov_b32 s3, exec_lo
	v_cmpx_eq_u32_e32 2, v212
	s_cbranch_execz .LBB96_57
; %bb.54:
	v_cmp_ne_u32_e32 vcc_lo, 2, v204
	s_xor_b32 s6, s4, -1
	s_delay_alu instid0(SALU_CYCLE_1) | instskip(NEXT) | instid1(SALU_CYCLE_1)
	s_and_b32 s7, s6, vcc_lo
	s_and_saveexec_b32 s6, s7
	s_cbranch_execz .LBB96_56
; %bb.55:
	v_ashrrev_i32_e32 v205, 31, v204
	s_delay_alu instid0(VALU_DEP_1) | instskip(NEXT) | instid1(VALU_DEP_1)
	v_lshlrev_b64 v[212:213], 2, v[204:205]
	v_add_co_u32 v212, vcc_lo, v202, v212
	s_delay_alu instid0(VALU_DEP_2)
	v_add_co_ci_u32_e32 v213, vcc_lo, v203, v213, vcc_lo
	s_clause 0x1
	flat_load_b32 v205, v[212:213]
	flat_load_b32 v210, v[202:203] offset:8
	s_waitcnt vmcnt(1) lgkmcnt(1)
	flat_store_b32 v[202:203], v205 offset:8
	s_waitcnt vmcnt(0) lgkmcnt(1)
	flat_store_b32 v[212:213], v210
.LBB96_56:
	s_or_b32 exec_lo, exec_lo, s6
	v_mov_b32_e32 v212, v204
	v_mov_b32_e32 v210, v204
.LBB96_57:
	s_or_b32 exec_lo, exec_lo, s3
.LBB96_58:
	s_and_not1_saveexec_b32 s2, s2
	s_cbranch_execz .LBB96_60
; %bb.59:
	v_mov_b32_e32 v212, 2
	ds_store_2addr_b64 v206, v[180:181], v[182:183] offset0:6 offset1:7
	ds_store_2addr_b64 v206, v[176:177], v[178:179] offset0:8 offset1:9
	;; [unrolled: 1-line block ×46, first 2 shown]
.LBB96_60:
	s_or_b32 exec_lo, exec_lo, s2
	s_delay_alu instid0(SALU_CYCLE_1)
	s_mov_b32 s2, exec_lo
	s_waitcnt lgkmcnt(0)
	s_waitcnt_vscnt null, 0x0
	s_barrier
	buffer_gl0_inv
	v_cmpx_lt_i32_e32 2, v212
	s_cbranch_execz .LBB96_62
; %bb.61:
	v_mul_f64 v[204:205], v[198:199], v[186:187]
	v_mul_f64 v[186:187], v[196:197], v[186:187]
	s_delay_alu instid0(VALU_DEP_2) | instskip(NEXT) | instid1(VALU_DEP_2)
	v_fma_f64 v[204:205], v[196:197], v[184:185], -v[204:205]
	v_fma_f64 v[186:187], v[198:199], v[184:185], v[186:187]
	ds_load_2addr_b64 v[196:199], v206 offset0:6 offset1:7
	s_waitcnt lgkmcnt(0)
	v_mul_f64 v[184:185], v[198:199], v[186:187]
	s_delay_alu instid0(VALU_DEP_1) | instskip(SKIP_1) | instid1(VALU_DEP_2)
	v_fma_f64 v[184:185], v[196:197], v[204:205], -v[184:185]
	v_mul_f64 v[196:197], v[196:197], v[186:187]
	v_add_f64 v[180:181], v[180:181], -v[184:185]
	s_delay_alu instid0(VALU_DEP_2) | instskip(NEXT) | instid1(VALU_DEP_1)
	v_fma_f64 v[196:197], v[198:199], v[204:205], v[196:197]
	v_add_f64 v[182:183], v[182:183], -v[196:197]
	ds_load_2addr_b64 v[196:199], v206 offset0:8 offset1:9
	s_waitcnt lgkmcnt(0)
	v_mul_f64 v[184:185], v[198:199], v[186:187]
	s_delay_alu instid0(VALU_DEP_1) | instskip(SKIP_1) | instid1(VALU_DEP_2)
	v_fma_f64 v[184:185], v[196:197], v[204:205], -v[184:185]
	v_mul_f64 v[196:197], v[196:197], v[186:187]
	v_add_f64 v[176:177], v[176:177], -v[184:185]
	s_delay_alu instid0(VALU_DEP_2) | instskip(NEXT) | instid1(VALU_DEP_1)
	v_fma_f64 v[196:197], v[198:199], v[204:205], v[196:197]
	v_add_f64 v[178:179], v[178:179], -v[196:197]
	;; [unrolled: 10-line block ×45, first 2 shown]
	ds_load_2addr_b64 v[196:199], v206 offset0:96 offset1:97
	s_waitcnt lgkmcnt(0)
	v_mul_f64 v[184:185], v[198:199], v[186:187]
	s_delay_alu instid0(VALU_DEP_1) | instskip(SKIP_1) | instid1(VALU_DEP_2)
	v_fma_f64 v[184:185], v[196:197], v[204:205], -v[184:185]
	v_mul_f64 v[196:197], v[196:197], v[186:187]
	v_add_f64 v[0:1], v[0:1], -v[184:185]
	s_delay_alu instid0(VALU_DEP_2) | instskip(SKIP_1) | instid1(VALU_DEP_2)
	v_fma_f64 v[196:197], v[198:199], v[204:205], v[196:197]
	v_dual_mov_b32 v184, v204 :: v_dual_mov_b32 v185, v205
	v_add_f64 v[2:3], v[2:3], -v[196:197]
.LBB96_62:
	s_or_b32 exec_lo, exec_lo, s2
	v_lshl_add_u32 v196, v212, 4, v206
	s_barrier
	buffer_gl0_inv
	v_mov_b32_e32 v204, 3
	ds_store_2addr_b64 v196, v[180:181], v[182:183] offset1:1
	s_waitcnt lgkmcnt(0)
	s_barrier
	buffer_gl0_inv
	ds_load_2addr_b64 v[196:199], v206 offset0:6 offset1:7
	s_cmp_lt_i32 s5, 5
	s_mov_b32 s6, 4
	s_cbranch_scc1 .LBB96_65
; %bb.63:
	v_add3_u32 v205, v211, 0, 64
	v_mov_b32_e32 v204, 3
	s_set_inst_prefetch_distance 0x1
	.p2align	6
.LBB96_64:                              ; =>This Inner Loop Header: Depth=1
	ds_load_2addr_b64 v[213:216], v205 offset1:1
	s_waitcnt lgkmcnt(1)
	v_cmp_gt_f64_e32 vcc_lo, 0, v[196:197]
	v_xor_b32_e32 v217, 0x80000000, v197
	v_cmp_gt_f64_e64 s2, 0, v[198:199]
	v_xor_b32_e32 v219, 0x80000000, v199
	v_add_nc_u32_e32 v205, 16, v205
	s_waitcnt lgkmcnt(0)
	v_cmp_gt_f64_e64 s3, 0, v[213:214]
	v_mov_b32_e32 v221, v213
	v_dual_mov_b32 v223, v215 :: v_dual_cndmask_b32 v218, v197, v217
	v_xor_b32_e32 v217, 0x80000000, v214
	v_cndmask_b32_e64 v220, v199, v219, s2
	v_xor_b32_e32 v219, 0x80000000, v216
	s_delay_alu instid0(VALU_DEP_3) | instskip(SKIP_2) | instid1(VALU_DEP_2)
	v_cndmask_b32_e64 v222, v214, v217, s3
	v_cmp_gt_f64_e64 s3, 0, v[215:216]
	v_cndmask_b32_e32 v217, v196, v196, vcc_lo
	v_cndmask_b32_e64 v224, v216, v219, s3
	v_cndmask_b32_e64 v219, v198, v198, s2
	s_delay_alu instid0(VALU_DEP_2) | instskip(NEXT) | instid1(VALU_DEP_2)
	v_add_f64 v[221:222], v[221:222], v[223:224]
	v_add_f64 v[217:218], v[217:218], v[219:220]
	s_delay_alu instid0(VALU_DEP_1) | instskip(SKIP_4) | instid1(SALU_CYCLE_1)
	v_cmp_lt_f64_e32 vcc_lo, v[217:218], v[221:222]
	v_dual_cndmask_b32 v198, v198, v215 :: v_dual_cndmask_b32 v197, v197, v214
	v_dual_cndmask_b32 v196, v196, v213 :: v_dual_cndmask_b32 v199, v199, v216
	v_cndmask_b32_e64 v204, v204, s6, vcc_lo
	s_add_i32 s6, s6, 1
	s_cmp_lg_u32 s5, s6
	s_cbranch_scc1 .LBB96_64
.LBB96_65:
	s_set_inst_prefetch_distance 0x2
	s_waitcnt lgkmcnt(0)
	v_cmp_eq_f64_e32 vcc_lo, 0, v[196:197]
	v_cmp_eq_f64_e64 s2, 0, v[198:199]
	s_delay_alu instid0(VALU_DEP_1) | instskip(NEXT) | instid1(SALU_CYCLE_1)
	s_and_b32 s2, vcc_lo, s2
	s_and_saveexec_b32 s3, s2
	s_delay_alu instid0(SALU_CYCLE_1)
	s_xor_b32 s2, exec_lo, s3
; %bb.66:
	v_cmp_ne_u32_e32 vcc_lo, 0, v209
	v_cndmask_b32_e32 v209, 4, v209, vcc_lo
; %bb.67:
	s_and_not1_saveexec_b32 s3, s2
	s_cbranch_execz .LBB96_73
; %bb.68:
	v_cmp_gt_f64_e32 vcc_lo, 0, v[196:197]
	v_cmp_gt_f64_e64 s2, 0, v[198:199]
	v_xor_b32_e32 v205, 0x80000000, v197
	v_xor_b32_e32 v213, 0x80000000, v199
	s_delay_alu instid0(VALU_DEP_2) | instskip(NEXT) | instid1(VALU_DEP_2)
	v_cndmask_b32_e32 v214, v197, v205, vcc_lo
	v_cndmask_b32_e64 v216, v199, v213, s2
	v_cndmask_b32_e32 v213, v196, v196, vcc_lo
	v_cndmask_b32_e64 v215, v198, v198, s2
	s_mov_b32 s2, exec_lo
	s_delay_alu instid0(VALU_DEP_1)
	v_cmpx_ngt_f64_e32 v[213:214], v[215:216]
	s_xor_b32 s2, exec_lo, s2
	s_cbranch_execz .LBB96_70
; %bb.69:
	v_div_scale_f64 v[213:214], null, v[198:199], v[198:199], v[196:197]
	v_div_scale_f64 v[219:220], vcc_lo, v[196:197], v[198:199], v[196:197]
	s_delay_alu instid0(VALU_DEP_2) | instskip(SKIP_2) | instid1(VALU_DEP_1)
	v_rcp_f64_e32 v[215:216], v[213:214]
	s_waitcnt_depctr 0xfff
	v_fma_f64 v[217:218], -v[213:214], v[215:216], 1.0
	v_fma_f64 v[215:216], v[215:216], v[217:218], v[215:216]
	s_delay_alu instid0(VALU_DEP_1) | instskip(NEXT) | instid1(VALU_DEP_1)
	v_fma_f64 v[217:218], -v[213:214], v[215:216], 1.0
	v_fma_f64 v[215:216], v[215:216], v[217:218], v[215:216]
	s_delay_alu instid0(VALU_DEP_1) | instskip(NEXT) | instid1(VALU_DEP_1)
	v_mul_f64 v[217:218], v[219:220], v[215:216]
	v_fma_f64 v[213:214], -v[213:214], v[217:218], v[219:220]
	s_delay_alu instid0(VALU_DEP_1) | instskip(NEXT) | instid1(VALU_DEP_1)
	v_div_fmas_f64 v[213:214], v[213:214], v[215:216], v[217:218]
	v_div_fixup_f64 v[213:214], v[213:214], v[198:199], v[196:197]
	s_delay_alu instid0(VALU_DEP_1) | instskip(NEXT) | instid1(VALU_DEP_1)
	v_fma_f64 v[196:197], v[196:197], v[213:214], v[198:199]
	v_div_scale_f64 v[198:199], null, v[196:197], v[196:197], 1.0
	s_delay_alu instid0(VALU_DEP_1) | instskip(SKIP_2) | instid1(VALU_DEP_1)
	v_rcp_f64_e32 v[215:216], v[198:199]
	s_waitcnt_depctr 0xfff
	v_fma_f64 v[217:218], -v[198:199], v[215:216], 1.0
	v_fma_f64 v[215:216], v[215:216], v[217:218], v[215:216]
	s_delay_alu instid0(VALU_DEP_1) | instskip(NEXT) | instid1(VALU_DEP_1)
	v_fma_f64 v[217:218], -v[198:199], v[215:216], 1.0
	v_fma_f64 v[215:216], v[215:216], v[217:218], v[215:216]
	v_div_scale_f64 v[217:218], vcc_lo, 1.0, v[196:197], 1.0
	s_delay_alu instid0(VALU_DEP_1) | instskip(NEXT) | instid1(VALU_DEP_1)
	v_mul_f64 v[219:220], v[217:218], v[215:216]
	v_fma_f64 v[198:199], -v[198:199], v[219:220], v[217:218]
	s_delay_alu instid0(VALU_DEP_1) | instskip(NEXT) | instid1(VALU_DEP_1)
	v_div_fmas_f64 v[198:199], v[198:199], v[215:216], v[219:220]
	v_div_fixup_f64 v[198:199], v[198:199], v[196:197], 1.0
	s_delay_alu instid0(VALU_DEP_1)
	v_mul_f64 v[196:197], v[213:214], v[198:199]
	v_xor_b32_e32 v199, 0x80000000, v199
.LBB96_70:
	s_and_not1_saveexec_b32 s2, s2
	s_cbranch_execz .LBB96_72
; %bb.71:
	s_delay_alu instid0(VALU_DEP_1) | instskip(SKIP_1) | instid1(VALU_DEP_2)
	v_div_scale_f64 v[213:214], null, v[196:197], v[196:197], v[198:199]
	v_div_scale_f64 v[219:220], vcc_lo, v[198:199], v[196:197], v[198:199]
	v_rcp_f64_e32 v[215:216], v[213:214]
	s_waitcnt_depctr 0xfff
	v_fma_f64 v[217:218], -v[213:214], v[215:216], 1.0
	s_delay_alu instid0(VALU_DEP_1) | instskip(NEXT) | instid1(VALU_DEP_1)
	v_fma_f64 v[215:216], v[215:216], v[217:218], v[215:216]
	v_fma_f64 v[217:218], -v[213:214], v[215:216], 1.0
	s_delay_alu instid0(VALU_DEP_1) | instskip(NEXT) | instid1(VALU_DEP_1)
	v_fma_f64 v[215:216], v[215:216], v[217:218], v[215:216]
	v_mul_f64 v[217:218], v[219:220], v[215:216]
	s_delay_alu instid0(VALU_DEP_1) | instskip(NEXT) | instid1(VALU_DEP_1)
	v_fma_f64 v[213:214], -v[213:214], v[217:218], v[219:220]
	v_div_fmas_f64 v[213:214], v[213:214], v[215:216], v[217:218]
	s_delay_alu instid0(VALU_DEP_1) | instskip(NEXT) | instid1(VALU_DEP_1)
	v_div_fixup_f64 v[213:214], v[213:214], v[196:197], v[198:199]
	v_fma_f64 v[196:197], v[198:199], v[213:214], v[196:197]
	s_delay_alu instid0(VALU_DEP_1) | instskip(NEXT) | instid1(VALU_DEP_1)
	v_div_scale_f64 v[198:199], null, v[196:197], v[196:197], 1.0
	v_rcp_f64_e32 v[215:216], v[198:199]
	s_waitcnt_depctr 0xfff
	v_fma_f64 v[217:218], -v[198:199], v[215:216], 1.0
	s_delay_alu instid0(VALU_DEP_1) | instskip(NEXT) | instid1(VALU_DEP_1)
	v_fma_f64 v[215:216], v[215:216], v[217:218], v[215:216]
	v_fma_f64 v[217:218], -v[198:199], v[215:216], 1.0
	s_delay_alu instid0(VALU_DEP_1) | instskip(SKIP_1) | instid1(VALU_DEP_1)
	v_fma_f64 v[215:216], v[215:216], v[217:218], v[215:216]
	v_div_scale_f64 v[217:218], vcc_lo, 1.0, v[196:197], 1.0
	v_mul_f64 v[219:220], v[217:218], v[215:216]
	s_delay_alu instid0(VALU_DEP_1) | instskip(NEXT) | instid1(VALU_DEP_1)
	v_fma_f64 v[198:199], -v[198:199], v[219:220], v[217:218]
	v_div_fmas_f64 v[198:199], v[198:199], v[215:216], v[219:220]
	s_delay_alu instid0(VALU_DEP_1) | instskip(NEXT) | instid1(VALU_DEP_1)
	v_div_fixup_f64 v[196:197], v[198:199], v[196:197], 1.0
	v_mul_f64 v[198:199], v[213:214], -v[196:197]
.LBB96_72:
	s_or_b32 exec_lo, exec_lo, s2
.LBB96_73:
	s_delay_alu instid0(SALU_CYCLE_1) | instskip(NEXT) | instid1(SALU_CYCLE_1)
	s_or_b32 exec_lo, exec_lo, s3
	s_mov_b32 s2, exec_lo
	v_cmpx_ne_u32_e64 v212, v204
	s_xor_b32 s2, exec_lo, s2
	s_cbranch_execz .LBB96_79
; %bb.74:
	s_mov_b32 s3, exec_lo
	v_cmpx_eq_u32_e32 3, v212
	s_cbranch_execz .LBB96_78
; %bb.75:
	v_cmp_ne_u32_e32 vcc_lo, 3, v204
	s_xor_b32 s6, s4, -1
	s_delay_alu instid0(SALU_CYCLE_1) | instskip(NEXT) | instid1(SALU_CYCLE_1)
	s_and_b32 s7, s6, vcc_lo
	s_and_saveexec_b32 s6, s7
	s_cbranch_execz .LBB96_77
; %bb.76:
	v_ashrrev_i32_e32 v205, 31, v204
	s_delay_alu instid0(VALU_DEP_1) | instskip(NEXT) | instid1(VALU_DEP_1)
	v_lshlrev_b64 v[212:213], 2, v[204:205]
	v_add_co_u32 v212, vcc_lo, v202, v212
	s_delay_alu instid0(VALU_DEP_2)
	v_add_co_ci_u32_e32 v213, vcc_lo, v203, v213, vcc_lo
	s_clause 0x1
	flat_load_b32 v205, v[212:213]
	flat_load_b32 v210, v[202:203] offset:12
	s_waitcnt vmcnt(1) lgkmcnt(1)
	flat_store_b32 v[202:203], v205 offset:12
	s_waitcnt vmcnt(0) lgkmcnt(1)
	flat_store_b32 v[212:213], v210
.LBB96_77:
	s_or_b32 exec_lo, exec_lo, s6
	v_mov_b32_e32 v212, v204
	v_mov_b32_e32 v210, v204
.LBB96_78:
	s_or_b32 exec_lo, exec_lo, s3
.LBB96_79:
	s_and_not1_saveexec_b32 s2, s2
	s_cbranch_execz .LBB96_81
; %bb.80:
	v_mov_b32_e32 v212, 3
	ds_store_2addr_b64 v206, v[176:177], v[178:179] offset0:8 offset1:9
	ds_store_2addr_b64 v206, v[172:173], v[174:175] offset0:10 offset1:11
	;; [unrolled: 1-line block ×45, first 2 shown]
.LBB96_81:
	s_or_b32 exec_lo, exec_lo, s2
	s_delay_alu instid0(SALU_CYCLE_1)
	s_mov_b32 s2, exec_lo
	s_waitcnt lgkmcnt(0)
	s_waitcnt_vscnt null, 0x0
	s_barrier
	buffer_gl0_inv
	v_cmpx_lt_i32_e32 3, v212
	s_cbranch_execz .LBB96_83
; %bb.82:
	v_mul_f64 v[204:205], v[198:199], v[182:183]
	v_mul_f64 v[182:183], v[196:197], v[182:183]
	s_delay_alu instid0(VALU_DEP_2) | instskip(NEXT) | instid1(VALU_DEP_2)
	v_fma_f64 v[204:205], v[196:197], v[180:181], -v[204:205]
	v_fma_f64 v[182:183], v[198:199], v[180:181], v[182:183]
	ds_load_2addr_b64 v[196:199], v206 offset0:8 offset1:9
	s_waitcnt lgkmcnt(0)
	v_mul_f64 v[180:181], v[198:199], v[182:183]
	s_delay_alu instid0(VALU_DEP_1) | instskip(SKIP_1) | instid1(VALU_DEP_2)
	v_fma_f64 v[180:181], v[196:197], v[204:205], -v[180:181]
	v_mul_f64 v[196:197], v[196:197], v[182:183]
	v_add_f64 v[176:177], v[176:177], -v[180:181]
	s_delay_alu instid0(VALU_DEP_2) | instskip(NEXT) | instid1(VALU_DEP_1)
	v_fma_f64 v[196:197], v[198:199], v[204:205], v[196:197]
	v_add_f64 v[178:179], v[178:179], -v[196:197]
	ds_load_2addr_b64 v[196:199], v206 offset0:10 offset1:11
	s_waitcnt lgkmcnt(0)
	v_mul_f64 v[180:181], v[198:199], v[182:183]
	s_delay_alu instid0(VALU_DEP_1) | instskip(SKIP_1) | instid1(VALU_DEP_2)
	v_fma_f64 v[180:181], v[196:197], v[204:205], -v[180:181]
	v_mul_f64 v[196:197], v[196:197], v[182:183]
	v_add_f64 v[172:173], v[172:173], -v[180:181]
	s_delay_alu instid0(VALU_DEP_2) | instskip(NEXT) | instid1(VALU_DEP_1)
	v_fma_f64 v[196:197], v[198:199], v[204:205], v[196:197]
	v_add_f64 v[174:175], v[174:175], -v[196:197]
	;; [unrolled: 10-line block ×44, first 2 shown]
	ds_load_2addr_b64 v[196:199], v206 offset0:96 offset1:97
	s_waitcnt lgkmcnt(0)
	v_mul_f64 v[180:181], v[198:199], v[182:183]
	s_delay_alu instid0(VALU_DEP_1) | instskip(SKIP_1) | instid1(VALU_DEP_2)
	v_fma_f64 v[180:181], v[196:197], v[204:205], -v[180:181]
	v_mul_f64 v[196:197], v[196:197], v[182:183]
	v_add_f64 v[0:1], v[0:1], -v[180:181]
	s_delay_alu instid0(VALU_DEP_2) | instskip(SKIP_1) | instid1(VALU_DEP_2)
	v_fma_f64 v[196:197], v[198:199], v[204:205], v[196:197]
	v_dual_mov_b32 v180, v204 :: v_dual_mov_b32 v181, v205
	v_add_f64 v[2:3], v[2:3], -v[196:197]
.LBB96_83:
	s_or_b32 exec_lo, exec_lo, s2
	v_lshl_add_u32 v196, v212, 4, v206
	s_barrier
	buffer_gl0_inv
	v_mov_b32_e32 v204, 4
	ds_store_2addr_b64 v196, v[176:177], v[178:179] offset1:1
	s_waitcnt lgkmcnt(0)
	s_barrier
	buffer_gl0_inv
	ds_load_2addr_b64 v[196:199], v206 offset0:8 offset1:9
	s_cmp_lt_i32 s5, 6
	s_cbranch_scc1 .LBB96_86
; %bb.84:
	v_add3_u32 v205, v211, 0, 0x50
	v_mov_b32_e32 v204, 4
	s_mov_b32 s6, 5
	s_set_inst_prefetch_distance 0x1
	.p2align	6
.LBB96_85:                              ; =>This Inner Loop Header: Depth=1
	ds_load_2addr_b64 v[213:216], v205 offset1:1
	s_waitcnt lgkmcnt(1)
	v_cmp_gt_f64_e32 vcc_lo, 0, v[196:197]
	v_xor_b32_e32 v217, 0x80000000, v197
	v_cmp_gt_f64_e64 s2, 0, v[198:199]
	v_xor_b32_e32 v219, 0x80000000, v199
	v_add_nc_u32_e32 v205, 16, v205
	s_waitcnt lgkmcnt(0)
	v_cmp_gt_f64_e64 s3, 0, v[213:214]
	v_mov_b32_e32 v221, v213
	v_dual_mov_b32 v223, v215 :: v_dual_cndmask_b32 v218, v197, v217
	v_xor_b32_e32 v217, 0x80000000, v214
	v_cndmask_b32_e64 v220, v199, v219, s2
	v_xor_b32_e32 v219, 0x80000000, v216
	s_delay_alu instid0(VALU_DEP_3) | instskip(SKIP_2) | instid1(VALU_DEP_2)
	v_cndmask_b32_e64 v222, v214, v217, s3
	v_cmp_gt_f64_e64 s3, 0, v[215:216]
	v_cndmask_b32_e32 v217, v196, v196, vcc_lo
	v_cndmask_b32_e64 v224, v216, v219, s3
	v_cndmask_b32_e64 v219, v198, v198, s2
	s_delay_alu instid0(VALU_DEP_2) | instskip(NEXT) | instid1(VALU_DEP_2)
	v_add_f64 v[221:222], v[221:222], v[223:224]
	v_add_f64 v[217:218], v[217:218], v[219:220]
	s_delay_alu instid0(VALU_DEP_1) | instskip(SKIP_4) | instid1(SALU_CYCLE_1)
	v_cmp_lt_f64_e32 vcc_lo, v[217:218], v[221:222]
	v_dual_cndmask_b32 v198, v198, v215 :: v_dual_cndmask_b32 v197, v197, v214
	v_dual_cndmask_b32 v196, v196, v213 :: v_dual_cndmask_b32 v199, v199, v216
	v_cndmask_b32_e64 v204, v204, s6, vcc_lo
	s_add_i32 s6, s6, 1
	s_cmp_lg_u32 s5, s6
	s_cbranch_scc1 .LBB96_85
.LBB96_86:
	s_set_inst_prefetch_distance 0x2
	s_waitcnt lgkmcnt(0)
	v_cmp_eq_f64_e32 vcc_lo, 0, v[196:197]
	v_cmp_eq_f64_e64 s2, 0, v[198:199]
	s_delay_alu instid0(VALU_DEP_1) | instskip(NEXT) | instid1(SALU_CYCLE_1)
	s_and_b32 s2, vcc_lo, s2
	s_and_saveexec_b32 s3, s2
	s_delay_alu instid0(SALU_CYCLE_1)
	s_xor_b32 s2, exec_lo, s3
; %bb.87:
	v_cmp_ne_u32_e32 vcc_lo, 0, v209
	v_cndmask_b32_e32 v209, 5, v209, vcc_lo
; %bb.88:
	s_and_not1_saveexec_b32 s3, s2
	s_cbranch_execz .LBB96_94
; %bb.89:
	v_cmp_gt_f64_e32 vcc_lo, 0, v[196:197]
	v_cmp_gt_f64_e64 s2, 0, v[198:199]
	v_xor_b32_e32 v205, 0x80000000, v197
	v_xor_b32_e32 v213, 0x80000000, v199
	s_delay_alu instid0(VALU_DEP_2) | instskip(NEXT) | instid1(VALU_DEP_2)
	v_cndmask_b32_e32 v214, v197, v205, vcc_lo
	v_cndmask_b32_e64 v216, v199, v213, s2
	v_cndmask_b32_e32 v213, v196, v196, vcc_lo
	v_cndmask_b32_e64 v215, v198, v198, s2
	s_mov_b32 s2, exec_lo
	s_delay_alu instid0(VALU_DEP_1)
	v_cmpx_ngt_f64_e32 v[213:214], v[215:216]
	s_xor_b32 s2, exec_lo, s2
	s_cbranch_execz .LBB96_91
; %bb.90:
	v_div_scale_f64 v[213:214], null, v[198:199], v[198:199], v[196:197]
	v_div_scale_f64 v[219:220], vcc_lo, v[196:197], v[198:199], v[196:197]
	s_delay_alu instid0(VALU_DEP_2) | instskip(SKIP_2) | instid1(VALU_DEP_1)
	v_rcp_f64_e32 v[215:216], v[213:214]
	s_waitcnt_depctr 0xfff
	v_fma_f64 v[217:218], -v[213:214], v[215:216], 1.0
	v_fma_f64 v[215:216], v[215:216], v[217:218], v[215:216]
	s_delay_alu instid0(VALU_DEP_1) | instskip(NEXT) | instid1(VALU_DEP_1)
	v_fma_f64 v[217:218], -v[213:214], v[215:216], 1.0
	v_fma_f64 v[215:216], v[215:216], v[217:218], v[215:216]
	s_delay_alu instid0(VALU_DEP_1) | instskip(NEXT) | instid1(VALU_DEP_1)
	v_mul_f64 v[217:218], v[219:220], v[215:216]
	v_fma_f64 v[213:214], -v[213:214], v[217:218], v[219:220]
	s_delay_alu instid0(VALU_DEP_1) | instskip(NEXT) | instid1(VALU_DEP_1)
	v_div_fmas_f64 v[213:214], v[213:214], v[215:216], v[217:218]
	v_div_fixup_f64 v[213:214], v[213:214], v[198:199], v[196:197]
	s_delay_alu instid0(VALU_DEP_1) | instskip(NEXT) | instid1(VALU_DEP_1)
	v_fma_f64 v[196:197], v[196:197], v[213:214], v[198:199]
	v_div_scale_f64 v[198:199], null, v[196:197], v[196:197], 1.0
	s_delay_alu instid0(VALU_DEP_1) | instskip(SKIP_2) | instid1(VALU_DEP_1)
	v_rcp_f64_e32 v[215:216], v[198:199]
	s_waitcnt_depctr 0xfff
	v_fma_f64 v[217:218], -v[198:199], v[215:216], 1.0
	v_fma_f64 v[215:216], v[215:216], v[217:218], v[215:216]
	s_delay_alu instid0(VALU_DEP_1) | instskip(NEXT) | instid1(VALU_DEP_1)
	v_fma_f64 v[217:218], -v[198:199], v[215:216], 1.0
	v_fma_f64 v[215:216], v[215:216], v[217:218], v[215:216]
	v_div_scale_f64 v[217:218], vcc_lo, 1.0, v[196:197], 1.0
	s_delay_alu instid0(VALU_DEP_1) | instskip(NEXT) | instid1(VALU_DEP_1)
	v_mul_f64 v[219:220], v[217:218], v[215:216]
	v_fma_f64 v[198:199], -v[198:199], v[219:220], v[217:218]
	s_delay_alu instid0(VALU_DEP_1) | instskip(NEXT) | instid1(VALU_DEP_1)
	v_div_fmas_f64 v[198:199], v[198:199], v[215:216], v[219:220]
	v_div_fixup_f64 v[198:199], v[198:199], v[196:197], 1.0
	s_delay_alu instid0(VALU_DEP_1)
	v_mul_f64 v[196:197], v[213:214], v[198:199]
	v_xor_b32_e32 v199, 0x80000000, v199
.LBB96_91:
	s_and_not1_saveexec_b32 s2, s2
	s_cbranch_execz .LBB96_93
; %bb.92:
	s_delay_alu instid0(VALU_DEP_1) | instskip(SKIP_1) | instid1(VALU_DEP_2)
	v_div_scale_f64 v[213:214], null, v[196:197], v[196:197], v[198:199]
	v_div_scale_f64 v[219:220], vcc_lo, v[198:199], v[196:197], v[198:199]
	v_rcp_f64_e32 v[215:216], v[213:214]
	s_waitcnt_depctr 0xfff
	v_fma_f64 v[217:218], -v[213:214], v[215:216], 1.0
	s_delay_alu instid0(VALU_DEP_1) | instskip(NEXT) | instid1(VALU_DEP_1)
	v_fma_f64 v[215:216], v[215:216], v[217:218], v[215:216]
	v_fma_f64 v[217:218], -v[213:214], v[215:216], 1.0
	s_delay_alu instid0(VALU_DEP_1) | instskip(NEXT) | instid1(VALU_DEP_1)
	v_fma_f64 v[215:216], v[215:216], v[217:218], v[215:216]
	v_mul_f64 v[217:218], v[219:220], v[215:216]
	s_delay_alu instid0(VALU_DEP_1) | instskip(NEXT) | instid1(VALU_DEP_1)
	v_fma_f64 v[213:214], -v[213:214], v[217:218], v[219:220]
	v_div_fmas_f64 v[213:214], v[213:214], v[215:216], v[217:218]
	s_delay_alu instid0(VALU_DEP_1) | instskip(NEXT) | instid1(VALU_DEP_1)
	v_div_fixup_f64 v[213:214], v[213:214], v[196:197], v[198:199]
	v_fma_f64 v[196:197], v[198:199], v[213:214], v[196:197]
	s_delay_alu instid0(VALU_DEP_1) | instskip(NEXT) | instid1(VALU_DEP_1)
	v_div_scale_f64 v[198:199], null, v[196:197], v[196:197], 1.0
	v_rcp_f64_e32 v[215:216], v[198:199]
	s_waitcnt_depctr 0xfff
	v_fma_f64 v[217:218], -v[198:199], v[215:216], 1.0
	s_delay_alu instid0(VALU_DEP_1) | instskip(NEXT) | instid1(VALU_DEP_1)
	v_fma_f64 v[215:216], v[215:216], v[217:218], v[215:216]
	v_fma_f64 v[217:218], -v[198:199], v[215:216], 1.0
	s_delay_alu instid0(VALU_DEP_1) | instskip(SKIP_1) | instid1(VALU_DEP_1)
	v_fma_f64 v[215:216], v[215:216], v[217:218], v[215:216]
	v_div_scale_f64 v[217:218], vcc_lo, 1.0, v[196:197], 1.0
	v_mul_f64 v[219:220], v[217:218], v[215:216]
	s_delay_alu instid0(VALU_DEP_1) | instskip(NEXT) | instid1(VALU_DEP_1)
	v_fma_f64 v[198:199], -v[198:199], v[219:220], v[217:218]
	v_div_fmas_f64 v[198:199], v[198:199], v[215:216], v[219:220]
	s_delay_alu instid0(VALU_DEP_1) | instskip(NEXT) | instid1(VALU_DEP_1)
	v_div_fixup_f64 v[196:197], v[198:199], v[196:197], 1.0
	v_mul_f64 v[198:199], v[213:214], -v[196:197]
.LBB96_93:
	s_or_b32 exec_lo, exec_lo, s2
.LBB96_94:
	s_delay_alu instid0(SALU_CYCLE_1) | instskip(NEXT) | instid1(SALU_CYCLE_1)
	s_or_b32 exec_lo, exec_lo, s3
	s_mov_b32 s2, exec_lo
	v_cmpx_ne_u32_e64 v212, v204
	s_xor_b32 s2, exec_lo, s2
	s_cbranch_execz .LBB96_100
; %bb.95:
	s_mov_b32 s3, exec_lo
	v_cmpx_eq_u32_e32 4, v212
	s_cbranch_execz .LBB96_99
; %bb.96:
	v_cmp_ne_u32_e32 vcc_lo, 4, v204
	s_xor_b32 s6, s4, -1
	s_delay_alu instid0(SALU_CYCLE_1) | instskip(NEXT) | instid1(SALU_CYCLE_1)
	s_and_b32 s7, s6, vcc_lo
	s_and_saveexec_b32 s6, s7
	s_cbranch_execz .LBB96_98
; %bb.97:
	v_ashrrev_i32_e32 v205, 31, v204
	s_delay_alu instid0(VALU_DEP_1) | instskip(NEXT) | instid1(VALU_DEP_1)
	v_lshlrev_b64 v[212:213], 2, v[204:205]
	v_add_co_u32 v212, vcc_lo, v202, v212
	s_delay_alu instid0(VALU_DEP_2)
	v_add_co_ci_u32_e32 v213, vcc_lo, v203, v213, vcc_lo
	s_clause 0x1
	flat_load_b32 v205, v[212:213]
	flat_load_b32 v210, v[202:203] offset:16
	s_waitcnt vmcnt(1) lgkmcnt(1)
	flat_store_b32 v[202:203], v205 offset:16
	s_waitcnt vmcnt(0) lgkmcnt(1)
	flat_store_b32 v[212:213], v210
.LBB96_98:
	s_or_b32 exec_lo, exec_lo, s6
	v_mov_b32_e32 v212, v204
	v_mov_b32_e32 v210, v204
.LBB96_99:
	s_or_b32 exec_lo, exec_lo, s3
.LBB96_100:
	s_and_not1_saveexec_b32 s2, s2
	s_cbranch_execz .LBB96_102
; %bb.101:
	v_mov_b32_e32 v212, 4
	ds_store_2addr_b64 v206, v[172:173], v[174:175] offset0:10 offset1:11
	ds_store_2addr_b64 v206, v[168:169], v[170:171] offset0:12 offset1:13
	;; [unrolled: 1-line block ×44, first 2 shown]
.LBB96_102:
	s_or_b32 exec_lo, exec_lo, s2
	s_delay_alu instid0(SALU_CYCLE_1)
	s_mov_b32 s2, exec_lo
	s_waitcnt lgkmcnt(0)
	s_waitcnt_vscnt null, 0x0
	s_barrier
	buffer_gl0_inv
	v_cmpx_lt_i32_e32 4, v212
	s_cbranch_execz .LBB96_104
; %bb.103:
	v_mul_f64 v[204:205], v[198:199], v[178:179]
	v_mul_f64 v[178:179], v[196:197], v[178:179]
	s_delay_alu instid0(VALU_DEP_2) | instskip(NEXT) | instid1(VALU_DEP_2)
	v_fma_f64 v[204:205], v[196:197], v[176:177], -v[204:205]
	v_fma_f64 v[178:179], v[198:199], v[176:177], v[178:179]
	ds_load_2addr_b64 v[196:199], v206 offset0:10 offset1:11
	s_waitcnt lgkmcnt(0)
	v_mul_f64 v[176:177], v[198:199], v[178:179]
	s_delay_alu instid0(VALU_DEP_1) | instskip(SKIP_1) | instid1(VALU_DEP_2)
	v_fma_f64 v[176:177], v[196:197], v[204:205], -v[176:177]
	v_mul_f64 v[196:197], v[196:197], v[178:179]
	v_add_f64 v[172:173], v[172:173], -v[176:177]
	s_delay_alu instid0(VALU_DEP_2) | instskip(NEXT) | instid1(VALU_DEP_1)
	v_fma_f64 v[196:197], v[198:199], v[204:205], v[196:197]
	v_add_f64 v[174:175], v[174:175], -v[196:197]
	ds_load_2addr_b64 v[196:199], v206 offset0:12 offset1:13
	s_waitcnt lgkmcnt(0)
	v_mul_f64 v[176:177], v[198:199], v[178:179]
	s_delay_alu instid0(VALU_DEP_1) | instskip(SKIP_1) | instid1(VALU_DEP_2)
	v_fma_f64 v[176:177], v[196:197], v[204:205], -v[176:177]
	v_mul_f64 v[196:197], v[196:197], v[178:179]
	v_add_f64 v[168:169], v[168:169], -v[176:177]
	s_delay_alu instid0(VALU_DEP_2) | instskip(NEXT) | instid1(VALU_DEP_1)
	v_fma_f64 v[196:197], v[198:199], v[204:205], v[196:197]
	v_add_f64 v[170:171], v[170:171], -v[196:197]
	;; [unrolled: 10-line block ×43, first 2 shown]
	ds_load_2addr_b64 v[196:199], v206 offset0:96 offset1:97
	s_waitcnt lgkmcnt(0)
	v_mul_f64 v[176:177], v[198:199], v[178:179]
	s_delay_alu instid0(VALU_DEP_1) | instskip(SKIP_1) | instid1(VALU_DEP_2)
	v_fma_f64 v[176:177], v[196:197], v[204:205], -v[176:177]
	v_mul_f64 v[196:197], v[196:197], v[178:179]
	v_add_f64 v[0:1], v[0:1], -v[176:177]
	s_delay_alu instid0(VALU_DEP_2) | instskip(SKIP_1) | instid1(VALU_DEP_2)
	v_fma_f64 v[196:197], v[198:199], v[204:205], v[196:197]
	v_dual_mov_b32 v176, v204 :: v_dual_mov_b32 v177, v205
	v_add_f64 v[2:3], v[2:3], -v[196:197]
.LBB96_104:
	s_or_b32 exec_lo, exec_lo, s2
	v_lshl_add_u32 v196, v212, 4, v206
	s_barrier
	buffer_gl0_inv
	v_mov_b32_e32 v204, 5
	ds_store_2addr_b64 v196, v[172:173], v[174:175] offset1:1
	s_waitcnt lgkmcnt(0)
	s_barrier
	buffer_gl0_inv
	ds_load_2addr_b64 v[196:199], v206 offset0:10 offset1:11
	s_cmp_lt_i32 s5, 7
	s_cbranch_scc1 .LBB96_107
; %bb.105:
	v_add3_u32 v205, v211, 0, 0x60
	v_mov_b32_e32 v204, 5
	s_mov_b32 s6, 6
	s_set_inst_prefetch_distance 0x1
	.p2align	6
.LBB96_106:                             ; =>This Inner Loop Header: Depth=1
	ds_load_2addr_b64 v[213:216], v205 offset1:1
	s_waitcnt lgkmcnt(1)
	v_cmp_gt_f64_e32 vcc_lo, 0, v[196:197]
	v_xor_b32_e32 v217, 0x80000000, v197
	v_cmp_gt_f64_e64 s2, 0, v[198:199]
	v_xor_b32_e32 v219, 0x80000000, v199
	v_add_nc_u32_e32 v205, 16, v205
	s_waitcnt lgkmcnt(0)
	v_cmp_gt_f64_e64 s3, 0, v[213:214]
	v_mov_b32_e32 v221, v213
	v_dual_mov_b32 v223, v215 :: v_dual_cndmask_b32 v218, v197, v217
	v_xor_b32_e32 v217, 0x80000000, v214
	v_cndmask_b32_e64 v220, v199, v219, s2
	v_xor_b32_e32 v219, 0x80000000, v216
	s_delay_alu instid0(VALU_DEP_3) | instskip(SKIP_2) | instid1(VALU_DEP_2)
	v_cndmask_b32_e64 v222, v214, v217, s3
	v_cmp_gt_f64_e64 s3, 0, v[215:216]
	v_cndmask_b32_e32 v217, v196, v196, vcc_lo
	v_cndmask_b32_e64 v224, v216, v219, s3
	v_cndmask_b32_e64 v219, v198, v198, s2
	s_delay_alu instid0(VALU_DEP_2) | instskip(NEXT) | instid1(VALU_DEP_2)
	v_add_f64 v[221:222], v[221:222], v[223:224]
	v_add_f64 v[217:218], v[217:218], v[219:220]
	s_delay_alu instid0(VALU_DEP_1) | instskip(SKIP_4) | instid1(SALU_CYCLE_1)
	v_cmp_lt_f64_e32 vcc_lo, v[217:218], v[221:222]
	v_dual_cndmask_b32 v198, v198, v215 :: v_dual_cndmask_b32 v197, v197, v214
	v_dual_cndmask_b32 v196, v196, v213 :: v_dual_cndmask_b32 v199, v199, v216
	v_cndmask_b32_e64 v204, v204, s6, vcc_lo
	s_add_i32 s6, s6, 1
	s_cmp_lg_u32 s5, s6
	s_cbranch_scc1 .LBB96_106
.LBB96_107:
	s_set_inst_prefetch_distance 0x2
	s_waitcnt lgkmcnt(0)
	v_cmp_eq_f64_e32 vcc_lo, 0, v[196:197]
	v_cmp_eq_f64_e64 s2, 0, v[198:199]
	s_delay_alu instid0(VALU_DEP_1) | instskip(NEXT) | instid1(SALU_CYCLE_1)
	s_and_b32 s2, vcc_lo, s2
	s_and_saveexec_b32 s3, s2
	s_delay_alu instid0(SALU_CYCLE_1)
	s_xor_b32 s2, exec_lo, s3
; %bb.108:
	v_cmp_ne_u32_e32 vcc_lo, 0, v209
	v_cndmask_b32_e32 v209, 6, v209, vcc_lo
; %bb.109:
	s_and_not1_saveexec_b32 s3, s2
	s_cbranch_execz .LBB96_115
; %bb.110:
	v_cmp_gt_f64_e32 vcc_lo, 0, v[196:197]
	v_cmp_gt_f64_e64 s2, 0, v[198:199]
	v_xor_b32_e32 v205, 0x80000000, v197
	v_xor_b32_e32 v213, 0x80000000, v199
	s_delay_alu instid0(VALU_DEP_2) | instskip(NEXT) | instid1(VALU_DEP_2)
	v_cndmask_b32_e32 v214, v197, v205, vcc_lo
	v_cndmask_b32_e64 v216, v199, v213, s2
	v_cndmask_b32_e32 v213, v196, v196, vcc_lo
	v_cndmask_b32_e64 v215, v198, v198, s2
	s_mov_b32 s2, exec_lo
	s_delay_alu instid0(VALU_DEP_1)
	v_cmpx_ngt_f64_e32 v[213:214], v[215:216]
	s_xor_b32 s2, exec_lo, s2
	s_cbranch_execz .LBB96_112
; %bb.111:
	v_div_scale_f64 v[213:214], null, v[198:199], v[198:199], v[196:197]
	v_div_scale_f64 v[219:220], vcc_lo, v[196:197], v[198:199], v[196:197]
	s_delay_alu instid0(VALU_DEP_2) | instskip(SKIP_2) | instid1(VALU_DEP_1)
	v_rcp_f64_e32 v[215:216], v[213:214]
	s_waitcnt_depctr 0xfff
	v_fma_f64 v[217:218], -v[213:214], v[215:216], 1.0
	v_fma_f64 v[215:216], v[215:216], v[217:218], v[215:216]
	s_delay_alu instid0(VALU_DEP_1) | instskip(NEXT) | instid1(VALU_DEP_1)
	v_fma_f64 v[217:218], -v[213:214], v[215:216], 1.0
	v_fma_f64 v[215:216], v[215:216], v[217:218], v[215:216]
	s_delay_alu instid0(VALU_DEP_1) | instskip(NEXT) | instid1(VALU_DEP_1)
	v_mul_f64 v[217:218], v[219:220], v[215:216]
	v_fma_f64 v[213:214], -v[213:214], v[217:218], v[219:220]
	s_delay_alu instid0(VALU_DEP_1) | instskip(NEXT) | instid1(VALU_DEP_1)
	v_div_fmas_f64 v[213:214], v[213:214], v[215:216], v[217:218]
	v_div_fixup_f64 v[213:214], v[213:214], v[198:199], v[196:197]
	s_delay_alu instid0(VALU_DEP_1) | instskip(NEXT) | instid1(VALU_DEP_1)
	v_fma_f64 v[196:197], v[196:197], v[213:214], v[198:199]
	v_div_scale_f64 v[198:199], null, v[196:197], v[196:197], 1.0
	s_delay_alu instid0(VALU_DEP_1) | instskip(SKIP_2) | instid1(VALU_DEP_1)
	v_rcp_f64_e32 v[215:216], v[198:199]
	s_waitcnt_depctr 0xfff
	v_fma_f64 v[217:218], -v[198:199], v[215:216], 1.0
	v_fma_f64 v[215:216], v[215:216], v[217:218], v[215:216]
	s_delay_alu instid0(VALU_DEP_1) | instskip(NEXT) | instid1(VALU_DEP_1)
	v_fma_f64 v[217:218], -v[198:199], v[215:216], 1.0
	v_fma_f64 v[215:216], v[215:216], v[217:218], v[215:216]
	v_div_scale_f64 v[217:218], vcc_lo, 1.0, v[196:197], 1.0
	s_delay_alu instid0(VALU_DEP_1) | instskip(NEXT) | instid1(VALU_DEP_1)
	v_mul_f64 v[219:220], v[217:218], v[215:216]
	v_fma_f64 v[198:199], -v[198:199], v[219:220], v[217:218]
	s_delay_alu instid0(VALU_DEP_1) | instskip(NEXT) | instid1(VALU_DEP_1)
	v_div_fmas_f64 v[198:199], v[198:199], v[215:216], v[219:220]
	v_div_fixup_f64 v[198:199], v[198:199], v[196:197], 1.0
	s_delay_alu instid0(VALU_DEP_1)
	v_mul_f64 v[196:197], v[213:214], v[198:199]
	v_xor_b32_e32 v199, 0x80000000, v199
.LBB96_112:
	s_and_not1_saveexec_b32 s2, s2
	s_cbranch_execz .LBB96_114
; %bb.113:
	s_delay_alu instid0(VALU_DEP_1) | instskip(SKIP_1) | instid1(VALU_DEP_2)
	v_div_scale_f64 v[213:214], null, v[196:197], v[196:197], v[198:199]
	v_div_scale_f64 v[219:220], vcc_lo, v[198:199], v[196:197], v[198:199]
	v_rcp_f64_e32 v[215:216], v[213:214]
	s_waitcnt_depctr 0xfff
	v_fma_f64 v[217:218], -v[213:214], v[215:216], 1.0
	s_delay_alu instid0(VALU_DEP_1) | instskip(NEXT) | instid1(VALU_DEP_1)
	v_fma_f64 v[215:216], v[215:216], v[217:218], v[215:216]
	v_fma_f64 v[217:218], -v[213:214], v[215:216], 1.0
	s_delay_alu instid0(VALU_DEP_1) | instskip(NEXT) | instid1(VALU_DEP_1)
	v_fma_f64 v[215:216], v[215:216], v[217:218], v[215:216]
	v_mul_f64 v[217:218], v[219:220], v[215:216]
	s_delay_alu instid0(VALU_DEP_1) | instskip(NEXT) | instid1(VALU_DEP_1)
	v_fma_f64 v[213:214], -v[213:214], v[217:218], v[219:220]
	v_div_fmas_f64 v[213:214], v[213:214], v[215:216], v[217:218]
	s_delay_alu instid0(VALU_DEP_1) | instskip(NEXT) | instid1(VALU_DEP_1)
	v_div_fixup_f64 v[213:214], v[213:214], v[196:197], v[198:199]
	v_fma_f64 v[196:197], v[198:199], v[213:214], v[196:197]
	s_delay_alu instid0(VALU_DEP_1) | instskip(NEXT) | instid1(VALU_DEP_1)
	v_div_scale_f64 v[198:199], null, v[196:197], v[196:197], 1.0
	v_rcp_f64_e32 v[215:216], v[198:199]
	s_waitcnt_depctr 0xfff
	v_fma_f64 v[217:218], -v[198:199], v[215:216], 1.0
	s_delay_alu instid0(VALU_DEP_1) | instskip(NEXT) | instid1(VALU_DEP_1)
	v_fma_f64 v[215:216], v[215:216], v[217:218], v[215:216]
	v_fma_f64 v[217:218], -v[198:199], v[215:216], 1.0
	s_delay_alu instid0(VALU_DEP_1) | instskip(SKIP_1) | instid1(VALU_DEP_1)
	v_fma_f64 v[215:216], v[215:216], v[217:218], v[215:216]
	v_div_scale_f64 v[217:218], vcc_lo, 1.0, v[196:197], 1.0
	v_mul_f64 v[219:220], v[217:218], v[215:216]
	s_delay_alu instid0(VALU_DEP_1) | instskip(NEXT) | instid1(VALU_DEP_1)
	v_fma_f64 v[198:199], -v[198:199], v[219:220], v[217:218]
	v_div_fmas_f64 v[198:199], v[198:199], v[215:216], v[219:220]
	s_delay_alu instid0(VALU_DEP_1) | instskip(NEXT) | instid1(VALU_DEP_1)
	v_div_fixup_f64 v[196:197], v[198:199], v[196:197], 1.0
	v_mul_f64 v[198:199], v[213:214], -v[196:197]
.LBB96_114:
	s_or_b32 exec_lo, exec_lo, s2
.LBB96_115:
	s_delay_alu instid0(SALU_CYCLE_1) | instskip(NEXT) | instid1(SALU_CYCLE_1)
	s_or_b32 exec_lo, exec_lo, s3
	s_mov_b32 s2, exec_lo
	v_cmpx_ne_u32_e64 v212, v204
	s_xor_b32 s2, exec_lo, s2
	s_cbranch_execz .LBB96_121
; %bb.116:
	s_mov_b32 s3, exec_lo
	v_cmpx_eq_u32_e32 5, v212
	s_cbranch_execz .LBB96_120
; %bb.117:
	v_cmp_ne_u32_e32 vcc_lo, 5, v204
	s_xor_b32 s6, s4, -1
	s_delay_alu instid0(SALU_CYCLE_1) | instskip(NEXT) | instid1(SALU_CYCLE_1)
	s_and_b32 s7, s6, vcc_lo
	s_and_saveexec_b32 s6, s7
	s_cbranch_execz .LBB96_119
; %bb.118:
	v_ashrrev_i32_e32 v205, 31, v204
	s_delay_alu instid0(VALU_DEP_1) | instskip(NEXT) | instid1(VALU_DEP_1)
	v_lshlrev_b64 v[212:213], 2, v[204:205]
	v_add_co_u32 v212, vcc_lo, v202, v212
	s_delay_alu instid0(VALU_DEP_2)
	v_add_co_ci_u32_e32 v213, vcc_lo, v203, v213, vcc_lo
	s_clause 0x1
	flat_load_b32 v205, v[212:213]
	flat_load_b32 v210, v[202:203] offset:20
	s_waitcnt vmcnt(1) lgkmcnt(1)
	flat_store_b32 v[202:203], v205 offset:20
	s_waitcnt vmcnt(0) lgkmcnt(1)
	flat_store_b32 v[212:213], v210
.LBB96_119:
	s_or_b32 exec_lo, exec_lo, s6
	v_mov_b32_e32 v212, v204
	v_mov_b32_e32 v210, v204
.LBB96_120:
	s_or_b32 exec_lo, exec_lo, s3
.LBB96_121:
	s_and_not1_saveexec_b32 s2, s2
	s_cbranch_execz .LBB96_123
; %bb.122:
	v_mov_b32_e32 v212, 5
	ds_store_2addr_b64 v206, v[168:169], v[170:171] offset0:12 offset1:13
	ds_store_2addr_b64 v206, v[164:165], v[166:167] offset0:14 offset1:15
	ds_store_2addr_b64 v206, v[160:161], v[162:163] offset0:16 offset1:17
	ds_store_2addr_b64 v206, v[156:157], v[158:159] offset0:18 offset1:19
	ds_store_2addr_b64 v206, v[152:153], v[154:155] offset0:20 offset1:21
	ds_store_2addr_b64 v206, v[148:149], v[150:151] offset0:22 offset1:23
	ds_store_2addr_b64 v206, v[144:145], v[146:147] offset0:24 offset1:25
	ds_store_2addr_b64 v206, v[140:141], v[142:143] offset0:26 offset1:27
	ds_store_2addr_b64 v206, v[136:137], v[138:139] offset0:28 offset1:29
	ds_store_2addr_b64 v206, v[132:133], v[134:135] offset0:30 offset1:31
	ds_store_2addr_b64 v206, v[128:129], v[130:131] offset0:32 offset1:33
	ds_store_2addr_b64 v206, v[124:125], v[126:127] offset0:34 offset1:35
	ds_store_2addr_b64 v206, v[120:121], v[122:123] offset0:36 offset1:37
	ds_store_2addr_b64 v206, v[116:117], v[118:119] offset0:38 offset1:39
	ds_store_2addr_b64 v206, v[112:113], v[114:115] offset0:40 offset1:41
	ds_store_2addr_b64 v206, v[108:109], v[110:111] offset0:42 offset1:43
	ds_store_2addr_b64 v206, v[104:105], v[106:107] offset0:44 offset1:45
	ds_store_2addr_b64 v206, v[100:101], v[102:103] offset0:46 offset1:47
	ds_store_2addr_b64 v206, v[96:97], v[98:99] offset0:48 offset1:49
	ds_store_2addr_b64 v206, v[92:93], v[94:95] offset0:50 offset1:51
	ds_store_2addr_b64 v206, v[88:89], v[90:91] offset0:52 offset1:53
	ds_store_2addr_b64 v206, v[84:85], v[86:87] offset0:54 offset1:55
	ds_store_2addr_b64 v206, v[80:81], v[82:83] offset0:56 offset1:57
	ds_store_2addr_b64 v206, v[76:77], v[78:79] offset0:58 offset1:59
	ds_store_2addr_b64 v206, v[72:73], v[74:75] offset0:60 offset1:61
	ds_store_2addr_b64 v206, v[68:69], v[70:71] offset0:62 offset1:63
	ds_store_2addr_b64 v206, v[64:65], v[66:67] offset0:64 offset1:65
	ds_store_2addr_b64 v206, v[60:61], v[62:63] offset0:66 offset1:67
	ds_store_2addr_b64 v206, v[56:57], v[58:59] offset0:68 offset1:69
	ds_store_2addr_b64 v206, v[52:53], v[54:55] offset0:70 offset1:71
	ds_store_2addr_b64 v206, v[48:49], v[50:51] offset0:72 offset1:73
	ds_store_2addr_b64 v206, v[44:45], v[46:47] offset0:74 offset1:75
	ds_store_2addr_b64 v206, v[40:41], v[42:43] offset0:76 offset1:77
	ds_store_2addr_b64 v206, v[36:37], v[38:39] offset0:78 offset1:79
	ds_store_2addr_b64 v206, v[32:33], v[34:35] offset0:80 offset1:81
	ds_store_2addr_b64 v206, v[28:29], v[30:31] offset0:82 offset1:83
	ds_store_2addr_b64 v206, v[24:25], v[26:27] offset0:84 offset1:85
	ds_store_2addr_b64 v206, v[20:21], v[22:23] offset0:86 offset1:87
	ds_store_2addr_b64 v206, v[16:17], v[18:19] offset0:88 offset1:89
	ds_store_2addr_b64 v206, v[12:13], v[14:15] offset0:90 offset1:91
	ds_store_2addr_b64 v206, v[8:9], v[10:11] offset0:92 offset1:93
	ds_store_2addr_b64 v206, v[4:5], v[6:7] offset0:94 offset1:95
	ds_store_2addr_b64 v206, v[0:1], v[2:3] offset0:96 offset1:97
.LBB96_123:
	s_or_b32 exec_lo, exec_lo, s2
	s_delay_alu instid0(SALU_CYCLE_1)
	s_mov_b32 s2, exec_lo
	s_waitcnt lgkmcnt(0)
	s_waitcnt_vscnt null, 0x0
	s_barrier
	buffer_gl0_inv
	v_cmpx_lt_i32_e32 5, v212
	s_cbranch_execz .LBB96_125
; %bb.124:
	v_mul_f64 v[204:205], v[198:199], v[174:175]
	v_mul_f64 v[174:175], v[196:197], v[174:175]
	s_delay_alu instid0(VALU_DEP_2) | instskip(NEXT) | instid1(VALU_DEP_2)
	v_fma_f64 v[204:205], v[196:197], v[172:173], -v[204:205]
	v_fma_f64 v[174:175], v[198:199], v[172:173], v[174:175]
	ds_load_2addr_b64 v[196:199], v206 offset0:12 offset1:13
	s_waitcnt lgkmcnt(0)
	v_mul_f64 v[172:173], v[198:199], v[174:175]
	s_delay_alu instid0(VALU_DEP_1) | instskip(SKIP_1) | instid1(VALU_DEP_2)
	v_fma_f64 v[172:173], v[196:197], v[204:205], -v[172:173]
	v_mul_f64 v[196:197], v[196:197], v[174:175]
	v_add_f64 v[168:169], v[168:169], -v[172:173]
	s_delay_alu instid0(VALU_DEP_2) | instskip(NEXT) | instid1(VALU_DEP_1)
	v_fma_f64 v[196:197], v[198:199], v[204:205], v[196:197]
	v_add_f64 v[170:171], v[170:171], -v[196:197]
	ds_load_2addr_b64 v[196:199], v206 offset0:14 offset1:15
	s_waitcnt lgkmcnt(0)
	v_mul_f64 v[172:173], v[198:199], v[174:175]
	s_delay_alu instid0(VALU_DEP_1) | instskip(SKIP_1) | instid1(VALU_DEP_2)
	v_fma_f64 v[172:173], v[196:197], v[204:205], -v[172:173]
	v_mul_f64 v[196:197], v[196:197], v[174:175]
	v_add_f64 v[164:165], v[164:165], -v[172:173]
	s_delay_alu instid0(VALU_DEP_2) | instskip(NEXT) | instid1(VALU_DEP_1)
	v_fma_f64 v[196:197], v[198:199], v[204:205], v[196:197]
	v_add_f64 v[166:167], v[166:167], -v[196:197]
	ds_load_2addr_b64 v[196:199], v206 offset0:16 offset1:17
	s_waitcnt lgkmcnt(0)
	v_mul_f64 v[172:173], v[198:199], v[174:175]
	s_delay_alu instid0(VALU_DEP_1) | instskip(SKIP_1) | instid1(VALU_DEP_2)
	v_fma_f64 v[172:173], v[196:197], v[204:205], -v[172:173]
	v_mul_f64 v[196:197], v[196:197], v[174:175]
	v_add_f64 v[160:161], v[160:161], -v[172:173]
	s_delay_alu instid0(VALU_DEP_2) | instskip(NEXT) | instid1(VALU_DEP_1)
	v_fma_f64 v[196:197], v[198:199], v[204:205], v[196:197]
	v_add_f64 v[162:163], v[162:163], -v[196:197]
	ds_load_2addr_b64 v[196:199], v206 offset0:18 offset1:19
	s_waitcnt lgkmcnt(0)
	v_mul_f64 v[172:173], v[198:199], v[174:175]
	s_delay_alu instid0(VALU_DEP_1) | instskip(SKIP_1) | instid1(VALU_DEP_2)
	v_fma_f64 v[172:173], v[196:197], v[204:205], -v[172:173]
	v_mul_f64 v[196:197], v[196:197], v[174:175]
	v_add_f64 v[156:157], v[156:157], -v[172:173]
	s_delay_alu instid0(VALU_DEP_2) | instskip(NEXT) | instid1(VALU_DEP_1)
	v_fma_f64 v[196:197], v[198:199], v[204:205], v[196:197]
	v_add_f64 v[158:159], v[158:159], -v[196:197]
	ds_load_2addr_b64 v[196:199], v206 offset0:20 offset1:21
	s_waitcnt lgkmcnt(0)
	v_mul_f64 v[172:173], v[198:199], v[174:175]
	s_delay_alu instid0(VALU_DEP_1) | instskip(SKIP_1) | instid1(VALU_DEP_2)
	v_fma_f64 v[172:173], v[196:197], v[204:205], -v[172:173]
	v_mul_f64 v[196:197], v[196:197], v[174:175]
	v_add_f64 v[152:153], v[152:153], -v[172:173]
	s_delay_alu instid0(VALU_DEP_2) | instskip(NEXT) | instid1(VALU_DEP_1)
	v_fma_f64 v[196:197], v[198:199], v[204:205], v[196:197]
	v_add_f64 v[154:155], v[154:155], -v[196:197]
	ds_load_2addr_b64 v[196:199], v206 offset0:22 offset1:23
	s_waitcnt lgkmcnt(0)
	v_mul_f64 v[172:173], v[198:199], v[174:175]
	s_delay_alu instid0(VALU_DEP_1) | instskip(SKIP_1) | instid1(VALU_DEP_2)
	v_fma_f64 v[172:173], v[196:197], v[204:205], -v[172:173]
	v_mul_f64 v[196:197], v[196:197], v[174:175]
	v_add_f64 v[148:149], v[148:149], -v[172:173]
	s_delay_alu instid0(VALU_DEP_2) | instskip(NEXT) | instid1(VALU_DEP_1)
	v_fma_f64 v[196:197], v[198:199], v[204:205], v[196:197]
	v_add_f64 v[150:151], v[150:151], -v[196:197]
	ds_load_2addr_b64 v[196:199], v206 offset0:24 offset1:25
	s_waitcnt lgkmcnt(0)
	v_mul_f64 v[172:173], v[198:199], v[174:175]
	s_delay_alu instid0(VALU_DEP_1) | instskip(SKIP_1) | instid1(VALU_DEP_2)
	v_fma_f64 v[172:173], v[196:197], v[204:205], -v[172:173]
	v_mul_f64 v[196:197], v[196:197], v[174:175]
	v_add_f64 v[144:145], v[144:145], -v[172:173]
	s_delay_alu instid0(VALU_DEP_2) | instskip(NEXT) | instid1(VALU_DEP_1)
	v_fma_f64 v[196:197], v[198:199], v[204:205], v[196:197]
	v_add_f64 v[146:147], v[146:147], -v[196:197]
	ds_load_2addr_b64 v[196:199], v206 offset0:26 offset1:27
	s_waitcnt lgkmcnt(0)
	v_mul_f64 v[172:173], v[198:199], v[174:175]
	s_delay_alu instid0(VALU_DEP_1) | instskip(SKIP_1) | instid1(VALU_DEP_2)
	v_fma_f64 v[172:173], v[196:197], v[204:205], -v[172:173]
	v_mul_f64 v[196:197], v[196:197], v[174:175]
	v_add_f64 v[140:141], v[140:141], -v[172:173]
	s_delay_alu instid0(VALU_DEP_2) | instskip(NEXT) | instid1(VALU_DEP_1)
	v_fma_f64 v[196:197], v[198:199], v[204:205], v[196:197]
	v_add_f64 v[142:143], v[142:143], -v[196:197]
	ds_load_2addr_b64 v[196:199], v206 offset0:28 offset1:29
	s_waitcnt lgkmcnt(0)
	v_mul_f64 v[172:173], v[198:199], v[174:175]
	s_delay_alu instid0(VALU_DEP_1) | instskip(SKIP_1) | instid1(VALU_DEP_2)
	v_fma_f64 v[172:173], v[196:197], v[204:205], -v[172:173]
	v_mul_f64 v[196:197], v[196:197], v[174:175]
	v_add_f64 v[136:137], v[136:137], -v[172:173]
	s_delay_alu instid0(VALU_DEP_2) | instskip(NEXT) | instid1(VALU_DEP_1)
	v_fma_f64 v[196:197], v[198:199], v[204:205], v[196:197]
	v_add_f64 v[138:139], v[138:139], -v[196:197]
	ds_load_2addr_b64 v[196:199], v206 offset0:30 offset1:31
	s_waitcnt lgkmcnt(0)
	v_mul_f64 v[172:173], v[198:199], v[174:175]
	s_delay_alu instid0(VALU_DEP_1) | instskip(SKIP_1) | instid1(VALU_DEP_2)
	v_fma_f64 v[172:173], v[196:197], v[204:205], -v[172:173]
	v_mul_f64 v[196:197], v[196:197], v[174:175]
	v_add_f64 v[132:133], v[132:133], -v[172:173]
	s_delay_alu instid0(VALU_DEP_2) | instskip(NEXT) | instid1(VALU_DEP_1)
	v_fma_f64 v[196:197], v[198:199], v[204:205], v[196:197]
	v_add_f64 v[134:135], v[134:135], -v[196:197]
	ds_load_2addr_b64 v[196:199], v206 offset0:32 offset1:33
	s_waitcnt lgkmcnt(0)
	v_mul_f64 v[172:173], v[198:199], v[174:175]
	s_delay_alu instid0(VALU_DEP_1) | instskip(SKIP_1) | instid1(VALU_DEP_2)
	v_fma_f64 v[172:173], v[196:197], v[204:205], -v[172:173]
	v_mul_f64 v[196:197], v[196:197], v[174:175]
	v_add_f64 v[128:129], v[128:129], -v[172:173]
	s_delay_alu instid0(VALU_DEP_2) | instskip(NEXT) | instid1(VALU_DEP_1)
	v_fma_f64 v[196:197], v[198:199], v[204:205], v[196:197]
	v_add_f64 v[130:131], v[130:131], -v[196:197]
	ds_load_2addr_b64 v[196:199], v206 offset0:34 offset1:35
	s_waitcnt lgkmcnt(0)
	v_mul_f64 v[172:173], v[198:199], v[174:175]
	s_delay_alu instid0(VALU_DEP_1) | instskip(SKIP_1) | instid1(VALU_DEP_2)
	v_fma_f64 v[172:173], v[196:197], v[204:205], -v[172:173]
	v_mul_f64 v[196:197], v[196:197], v[174:175]
	v_add_f64 v[124:125], v[124:125], -v[172:173]
	s_delay_alu instid0(VALU_DEP_2) | instskip(NEXT) | instid1(VALU_DEP_1)
	v_fma_f64 v[196:197], v[198:199], v[204:205], v[196:197]
	v_add_f64 v[126:127], v[126:127], -v[196:197]
	ds_load_2addr_b64 v[196:199], v206 offset0:36 offset1:37
	s_waitcnt lgkmcnt(0)
	v_mul_f64 v[172:173], v[198:199], v[174:175]
	s_delay_alu instid0(VALU_DEP_1) | instskip(SKIP_1) | instid1(VALU_DEP_2)
	v_fma_f64 v[172:173], v[196:197], v[204:205], -v[172:173]
	v_mul_f64 v[196:197], v[196:197], v[174:175]
	v_add_f64 v[120:121], v[120:121], -v[172:173]
	s_delay_alu instid0(VALU_DEP_2) | instskip(NEXT) | instid1(VALU_DEP_1)
	v_fma_f64 v[196:197], v[198:199], v[204:205], v[196:197]
	v_add_f64 v[122:123], v[122:123], -v[196:197]
	ds_load_2addr_b64 v[196:199], v206 offset0:38 offset1:39
	s_waitcnt lgkmcnt(0)
	v_mul_f64 v[172:173], v[198:199], v[174:175]
	s_delay_alu instid0(VALU_DEP_1) | instskip(SKIP_1) | instid1(VALU_DEP_2)
	v_fma_f64 v[172:173], v[196:197], v[204:205], -v[172:173]
	v_mul_f64 v[196:197], v[196:197], v[174:175]
	v_add_f64 v[116:117], v[116:117], -v[172:173]
	s_delay_alu instid0(VALU_DEP_2) | instskip(NEXT) | instid1(VALU_DEP_1)
	v_fma_f64 v[196:197], v[198:199], v[204:205], v[196:197]
	v_add_f64 v[118:119], v[118:119], -v[196:197]
	ds_load_2addr_b64 v[196:199], v206 offset0:40 offset1:41
	s_waitcnt lgkmcnt(0)
	v_mul_f64 v[172:173], v[198:199], v[174:175]
	s_delay_alu instid0(VALU_DEP_1) | instskip(SKIP_1) | instid1(VALU_DEP_2)
	v_fma_f64 v[172:173], v[196:197], v[204:205], -v[172:173]
	v_mul_f64 v[196:197], v[196:197], v[174:175]
	v_add_f64 v[112:113], v[112:113], -v[172:173]
	s_delay_alu instid0(VALU_DEP_2) | instskip(NEXT) | instid1(VALU_DEP_1)
	v_fma_f64 v[196:197], v[198:199], v[204:205], v[196:197]
	v_add_f64 v[114:115], v[114:115], -v[196:197]
	ds_load_2addr_b64 v[196:199], v206 offset0:42 offset1:43
	s_waitcnt lgkmcnt(0)
	v_mul_f64 v[172:173], v[198:199], v[174:175]
	s_delay_alu instid0(VALU_DEP_1) | instskip(SKIP_1) | instid1(VALU_DEP_2)
	v_fma_f64 v[172:173], v[196:197], v[204:205], -v[172:173]
	v_mul_f64 v[196:197], v[196:197], v[174:175]
	v_add_f64 v[108:109], v[108:109], -v[172:173]
	s_delay_alu instid0(VALU_DEP_2) | instskip(NEXT) | instid1(VALU_DEP_1)
	v_fma_f64 v[196:197], v[198:199], v[204:205], v[196:197]
	v_add_f64 v[110:111], v[110:111], -v[196:197]
	ds_load_2addr_b64 v[196:199], v206 offset0:44 offset1:45
	s_waitcnt lgkmcnt(0)
	v_mul_f64 v[172:173], v[198:199], v[174:175]
	s_delay_alu instid0(VALU_DEP_1) | instskip(SKIP_1) | instid1(VALU_DEP_2)
	v_fma_f64 v[172:173], v[196:197], v[204:205], -v[172:173]
	v_mul_f64 v[196:197], v[196:197], v[174:175]
	v_add_f64 v[104:105], v[104:105], -v[172:173]
	s_delay_alu instid0(VALU_DEP_2) | instskip(NEXT) | instid1(VALU_DEP_1)
	v_fma_f64 v[196:197], v[198:199], v[204:205], v[196:197]
	v_add_f64 v[106:107], v[106:107], -v[196:197]
	ds_load_2addr_b64 v[196:199], v206 offset0:46 offset1:47
	s_waitcnt lgkmcnt(0)
	v_mul_f64 v[172:173], v[198:199], v[174:175]
	s_delay_alu instid0(VALU_DEP_1) | instskip(SKIP_1) | instid1(VALU_DEP_2)
	v_fma_f64 v[172:173], v[196:197], v[204:205], -v[172:173]
	v_mul_f64 v[196:197], v[196:197], v[174:175]
	v_add_f64 v[100:101], v[100:101], -v[172:173]
	s_delay_alu instid0(VALU_DEP_2) | instskip(NEXT) | instid1(VALU_DEP_1)
	v_fma_f64 v[196:197], v[198:199], v[204:205], v[196:197]
	v_add_f64 v[102:103], v[102:103], -v[196:197]
	ds_load_2addr_b64 v[196:199], v206 offset0:48 offset1:49
	s_waitcnt lgkmcnt(0)
	v_mul_f64 v[172:173], v[198:199], v[174:175]
	s_delay_alu instid0(VALU_DEP_1) | instskip(SKIP_1) | instid1(VALU_DEP_2)
	v_fma_f64 v[172:173], v[196:197], v[204:205], -v[172:173]
	v_mul_f64 v[196:197], v[196:197], v[174:175]
	v_add_f64 v[96:97], v[96:97], -v[172:173]
	s_delay_alu instid0(VALU_DEP_2) | instskip(NEXT) | instid1(VALU_DEP_1)
	v_fma_f64 v[196:197], v[198:199], v[204:205], v[196:197]
	v_add_f64 v[98:99], v[98:99], -v[196:197]
	ds_load_2addr_b64 v[196:199], v206 offset0:50 offset1:51
	s_waitcnt lgkmcnt(0)
	v_mul_f64 v[172:173], v[198:199], v[174:175]
	s_delay_alu instid0(VALU_DEP_1) | instskip(SKIP_1) | instid1(VALU_DEP_2)
	v_fma_f64 v[172:173], v[196:197], v[204:205], -v[172:173]
	v_mul_f64 v[196:197], v[196:197], v[174:175]
	v_add_f64 v[92:93], v[92:93], -v[172:173]
	s_delay_alu instid0(VALU_DEP_2) | instskip(NEXT) | instid1(VALU_DEP_1)
	v_fma_f64 v[196:197], v[198:199], v[204:205], v[196:197]
	v_add_f64 v[94:95], v[94:95], -v[196:197]
	ds_load_2addr_b64 v[196:199], v206 offset0:52 offset1:53
	s_waitcnt lgkmcnt(0)
	v_mul_f64 v[172:173], v[198:199], v[174:175]
	s_delay_alu instid0(VALU_DEP_1) | instskip(SKIP_1) | instid1(VALU_DEP_2)
	v_fma_f64 v[172:173], v[196:197], v[204:205], -v[172:173]
	v_mul_f64 v[196:197], v[196:197], v[174:175]
	v_add_f64 v[88:89], v[88:89], -v[172:173]
	s_delay_alu instid0(VALU_DEP_2) | instskip(NEXT) | instid1(VALU_DEP_1)
	v_fma_f64 v[196:197], v[198:199], v[204:205], v[196:197]
	v_add_f64 v[90:91], v[90:91], -v[196:197]
	ds_load_2addr_b64 v[196:199], v206 offset0:54 offset1:55
	s_waitcnt lgkmcnt(0)
	v_mul_f64 v[172:173], v[198:199], v[174:175]
	s_delay_alu instid0(VALU_DEP_1) | instskip(SKIP_1) | instid1(VALU_DEP_2)
	v_fma_f64 v[172:173], v[196:197], v[204:205], -v[172:173]
	v_mul_f64 v[196:197], v[196:197], v[174:175]
	v_add_f64 v[84:85], v[84:85], -v[172:173]
	s_delay_alu instid0(VALU_DEP_2) | instskip(NEXT) | instid1(VALU_DEP_1)
	v_fma_f64 v[196:197], v[198:199], v[204:205], v[196:197]
	v_add_f64 v[86:87], v[86:87], -v[196:197]
	ds_load_2addr_b64 v[196:199], v206 offset0:56 offset1:57
	s_waitcnt lgkmcnt(0)
	v_mul_f64 v[172:173], v[198:199], v[174:175]
	s_delay_alu instid0(VALU_DEP_1) | instskip(SKIP_1) | instid1(VALU_DEP_2)
	v_fma_f64 v[172:173], v[196:197], v[204:205], -v[172:173]
	v_mul_f64 v[196:197], v[196:197], v[174:175]
	v_add_f64 v[80:81], v[80:81], -v[172:173]
	s_delay_alu instid0(VALU_DEP_2) | instskip(NEXT) | instid1(VALU_DEP_1)
	v_fma_f64 v[196:197], v[198:199], v[204:205], v[196:197]
	v_add_f64 v[82:83], v[82:83], -v[196:197]
	ds_load_2addr_b64 v[196:199], v206 offset0:58 offset1:59
	s_waitcnt lgkmcnt(0)
	v_mul_f64 v[172:173], v[198:199], v[174:175]
	s_delay_alu instid0(VALU_DEP_1) | instskip(SKIP_1) | instid1(VALU_DEP_2)
	v_fma_f64 v[172:173], v[196:197], v[204:205], -v[172:173]
	v_mul_f64 v[196:197], v[196:197], v[174:175]
	v_add_f64 v[76:77], v[76:77], -v[172:173]
	s_delay_alu instid0(VALU_DEP_2) | instskip(NEXT) | instid1(VALU_DEP_1)
	v_fma_f64 v[196:197], v[198:199], v[204:205], v[196:197]
	v_add_f64 v[78:79], v[78:79], -v[196:197]
	ds_load_2addr_b64 v[196:199], v206 offset0:60 offset1:61
	s_waitcnt lgkmcnt(0)
	v_mul_f64 v[172:173], v[198:199], v[174:175]
	s_delay_alu instid0(VALU_DEP_1) | instskip(SKIP_1) | instid1(VALU_DEP_2)
	v_fma_f64 v[172:173], v[196:197], v[204:205], -v[172:173]
	v_mul_f64 v[196:197], v[196:197], v[174:175]
	v_add_f64 v[72:73], v[72:73], -v[172:173]
	s_delay_alu instid0(VALU_DEP_2) | instskip(NEXT) | instid1(VALU_DEP_1)
	v_fma_f64 v[196:197], v[198:199], v[204:205], v[196:197]
	v_add_f64 v[74:75], v[74:75], -v[196:197]
	ds_load_2addr_b64 v[196:199], v206 offset0:62 offset1:63
	s_waitcnt lgkmcnt(0)
	v_mul_f64 v[172:173], v[198:199], v[174:175]
	s_delay_alu instid0(VALU_DEP_1) | instskip(SKIP_1) | instid1(VALU_DEP_2)
	v_fma_f64 v[172:173], v[196:197], v[204:205], -v[172:173]
	v_mul_f64 v[196:197], v[196:197], v[174:175]
	v_add_f64 v[68:69], v[68:69], -v[172:173]
	s_delay_alu instid0(VALU_DEP_2) | instskip(NEXT) | instid1(VALU_DEP_1)
	v_fma_f64 v[196:197], v[198:199], v[204:205], v[196:197]
	v_add_f64 v[70:71], v[70:71], -v[196:197]
	ds_load_2addr_b64 v[196:199], v206 offset0:64 offset1:65
	s_waitcnt lgkmcnt(0)
	v_mul_f64 v[172:173], v[198:199], v[174:175]
	s_delay_alu instid0(VALU_DEP_1) | instskip(SKIP_1) | instid1(VALU_DEP_2)
	v_fma_f64 v[172:173], v[196:197], v[204:205], -v[172:173]
	v_mul_f64 v[196:197], v[196:197], v[174:175]
	v_add_f64 v[64:65], v[64:65], -v[172:173]
	s_delay_alu instid0(VALU_DEP_2) | instskip(NEXT) | instid1(VALU_DEP_1)
	v_fma_f64 v[196:197], v[198:199], v[204:205], v[196:197]
	v_add_f64 v[66:67], v[66:67], -v[196:197]
	ds_load_2addr_b64 v[196:199], v206 offset0:66 offset1:67
	s_waitcnt lgkmcnt(0)
	v_mul_f64 v[172:173], v[198:199], v[174:175]
	s_delay_alu instid0(VALU_DEP_1) | instskip(SKIP_1) | instid1(VALU_DEP_2)
	v_fma_f64 v[172:173], v[196:197], v[204:205], -v[172:173]
	v_mul_f64 v[196:197], v[196:197], v[174:175]
	v_add_f64 v[60:61], v[60:61], -v[172:173]
	s_delay_alu instid0(VALU_DEP_2) | instskip(NEXT) | instid1(VALU_DEP_1)
	v_fma_f64 v[196:197], v[198:199], v[204:205], v[196:197]
	v_add_f64 v[62:63], v[62:63], -v[196:197]
	ds_load_2addr_b64 v[196:199], v206 offset0:68 offset1:69
	s_waitcnt lgkmcnt(0)
	v_mul_f64 v[172:173], v[198:199], v[174:175]
	s_delay_alu instid0(VALU_DEP_1) | instskip(SKIP_1) | instid1(VALU_DEP_2)
	v_fma_f64 v[172:173], v[196:197], v[204:205], -v[172:173]
	v_mul_f64 v[196:197], v[196:197], v[174:175]
	v_add_f64 v[56:57], v[56:57], -v[172:173]
	s_delay_alu instid0(VALU_DEP_2) | instskip(NEXT) | instid1(VALU_DEP_1)
	v_fma_f64 v[196:197], v[198:199], v[204:205], v[196:197]
	v_add_f64 v[58:59], v[58:59], -v[196:197]
	ds_load_2addr_b64 v[196:199], v206 offset0:70 offset1:71
	s_waitcnt lgkmcnt(0)
	v_mul_f64 v[172:173], v[198:199], v[174:175]
	s_delay_alu instid0(VALU_DEP_1) | instskip(SKIP_1) | instid1(VALU_DEP_2)
	v_fma_f64 v[172:173], v[196:197], v[204:205], -v[172:173]
	v_mul_f64 v[196:197], v[196:197], v[174:175]
	v_add_f64 v[52:53], v[52:53], -v[172:173]
	s_delay_alu instid0(VALU_DEP_2) | instskip(NEXT) | instid1(VALU_DEP_1)
	v_fma_f64 v[196:197], v[198:199], v[204:205], v[196:197]
	v_add_f64 v[54:55], v[54:55], -v[196:197]
	ds_load_2addr_b64 v[196:199], v206 offset0:72 offset1:73
	s_waitcnt lgkmcnt(0)
	v_mul_f64 v[172:173], v[198:199], v[174:175]
	s_delay_alu instid0(VALU_DEP_1) | instskip(SKIP_1) | instid1(VALU_DEP_2)
	v_fma_f64 v[172:173], v[196:197], v[204:205], -v[172:173]
	v_mul_f64 v[196:197], v[196:197], v[174:175]
	v_add_f64 v[48:49], v[48:49], -v[172:173]
	s_delay_alu instid0(VALU_DEP_2) | instskip(NEXT) | instid1(VALU_DEP_1)
	v_fma_f64 v[196:197], v[198:199], v[204:205], v[196:197]
	v_add_f64 v[50:51], v[50:51], -v[196:197]
	ds_load_2addr_b64 v[196:199], v206 offset0:74 offset1:75
	s_waitcnt lgkmcnt(0)
	v_mul_f64 v[172:173], v[198:199], v[174:175]
	s_delay_alu instid0(VALU_DEP_1) | instskip(SKIP_1) | instid1(VALU_DEP_2)
	v_fma_f64 v[172:173], v[196:197], v[204:205], -v[172:173]
	v_mul_f64 v[196:197], v[196:197], v[174:175]
	v_add_f64 v[44:45], v[44:45], -v[172:173]
	s_delay_alu instid0(VALU_DEP_2) | instskip(NEXT) | instid1(VALU_DEP_1)
	v_fma_f64 v[196:197], v[198:199], v[204:205], v[196:197]
	v_add_f64 v[46:47], v[46:47], -v[196:197]
	ds_load_2addr_b64 v[196:199], v206 offset0:76 offset1:77
	s_waitcnt lgkmcnt(0)
	v_mul_f64 v[172:173], v[198:199], v[174:175]
	s_delay_alu instid0(VALU_DEP_1) | instskip(SKIP_1) | instid1(VALU_DEP_2)
	v_fma_f64 v[172:173], v[196:197], v[204:205], -v[172:173]
	v_mul_f64 v[196:197], v[196:197], v[174:175]
	v_add_f64 v[40:41], v[40:41], -v[172:173]
	s_delay_alu instid0(VALU_DEP_2) | instskip(NEXT) | instid1(VALU_DEP_1)
	v_fma_f64 v[196:197], v[198:199], v[204:205], v[196:197]
	v_add_f64 v[42:43], v[42:43], -v[196:197]
	ds_load_2addr_b64 v[196:199], v206 offset0:78 offset1:79
	s_waitcnt lgkmcnt(0)
	v_mul_f64 v[172:173], v[198:199], v[174:175]
	s_delay_alu instid0(VALU_DEP_1) | instskip(SKIP_1) | instid1(VALU_DEP_2)
	v_fma_f64 v[172:173], v[196:197], v[204:205], -v[172:173]
	v_mul_f64 v[196:197], v[196:197], v[174:175]
	v_add_f64 v[36:37], v[36:37], -v[172:173]
	s_delay_alu instid0(VALU_DEP_2) | instskip(NEXT) | instid1(VALU_DEP_1)
	v_fma_f64 v[196:197], v[198:199], v[204:205], v[196:197]
	v_add_f64 v[38:39], v[38:39], -v[196:197]
	ds_load_2addr_b64 v[196:199], v206 offset0:80 offset1:81
	s_waitcnt lgkmcnt(0)
	v_mul_f64 v[172:173], v[198:199], v[174:175]
	s_delay_alu instid0(VALU_DEP_1) | instskip(SKIP_1) | instid1(VALU_DEP_2)
	v_fma_f64 v[172:173], v[196:197], v[204:205], -v[172:173]
	v_mul_f64 v[196:197], v[196:197], v[174:175]
	v_add_f64 v[32:33], v[32:33], -v[172:173]
	s_delay_alu instid0(VALU_DEP_2) | instskip(NEXT) | instid1(VALU_DEP_1)
	v_fma_f64 v[196:197], v[198:199], v[204:205], v[196:197]
	v_add_f64 v[34:35], v[34:35], -v[196:197]
	ds_load_2addr_b64 v[196:199], v206 offset0:82 offset1:83
	s_waitcnt lgkmcnt(0)
	v_mul_f64 v[172:173], v[198:199], v[174:175]
	s_delay_alu instid0(VALU_DEP_1) | instskip(SKIP_1) | instid1(VALU_DEP_2)
	v_fma_f64 v[172:173], v[196:197], v[204:205], -v[172:173]
	v_mul_f64 v[196:197], v[196:197], v[174:175]
	v_add_f64 v[28:29], v[28:29], -v[172:173]
	s_delay_alu instid0(VALU_DEP_2) | instskip(NEXT) | instid1(VALU_DEP_1)
	v_fma_f64 v[196:197], v[198:199], v[204:205], v[196:197]
	v_add_f64 v[30:31], v[30:31], -v[196:197]
	ds_load_2addr_b64 v[196:199], v206 offset0:84 offset1:85
	s_waitcnt lgkmcnt(0)
	v_mul_f64 v[172:173], v[198:199], v[174:175]
	s_delay_alu instid0(VALU_DEP_1) | instskip(SKIP_1) | instid1(VALU_DEP_2)
	v_fma_f64 v[172:173], v[196:197], v[204:205], -v[172:173]
	v_mul_f64 v[196:197], v[196:197], v[174:175]
	v_add_f64 v[24:25], v[24:25], -v[172:173]
	s_delay_alu instid0(VALU_DEP_2) | instskip(NEXT) | instid1(VALU_DEP_1)
	v_fma_f64 v[196:197], v[198:199], v[204:205], v[196:197]
	v_add_f64 v[26:27], v[26:27], -v[196:197]
	ds_load_2addr_b64 v[196:199], v206 offset0:86 offset1:87
	s_waitcnt lgkmcnt(0)
	v_mul_f64 v[172:173], v[198:199], v[174:175]
	s_delay_alu instid0(VALU_DEP_1) | instskip(SKIP_1) | instid1(VALU_DEP_2)
	v_fma_f64 v[172:173], v[196:197], v[204:205], -v[172:173]
	v_mul_f64 v[196:197], v[196:197], v[174:175]
	v_add_f64 v[20:21], v[20:21], -v[172:173]
	s_delay_alu instid0(VALU_DEP_2) | instskip(NEXT) | instid1(VALU_DEP_1)
	v_fma_f64 v[196:197], v[198:199], v[204:205], v[196:197]
	v_add_f64 v[22:23], v[22:23], -v[196:197]
	ds_load_2addr_b64 v[196:199], v206 offset0:88 offset1:89
	s_waitcnt lgkmcnt(0)
	v_mul_f64 v[172:173], v[198:199], v[174:175]
	s_delay_alu instid0(VALU_DEP_1) | instskip(SKIP_1) | instid1(VALU_DEP_2)
	v_fma_f64 v[172:173], v[196:197], v[204:205], -v[172:173]
	v_mul_f64 v[196:197], v[196:197], v[174:175]
	v_add_f64 v[16:17], v[16:17], -v[172:173]
	s_delay_alu instid0(VALU_DEP_2) | instskip(NEXT) | instid1(VALU_DEP_1)
	v_fma_f64 v[196:197], v[198:199], v[204:205], v[196:197]
	v_add_f64 v[18:19], v[18:19], -v[196:197]
	ds_load_2addr_b64 v[196:199], v206 offset0:90 offset1:91
	s_waitcnt lgkmcnt(0)
	v_mul_f64 v[172:173], v[198:199], v[174:175]
	s_delay_alu instid0(VALU_DEP_1) | instskip(SKIP_1) | instid1(VALU_DEP_2)
	v_fma_f64 v[172:173], v[196:197], v[204:205], -v[172:173]
	v_mul_f64 v[196:197], v[196:197], v[174:175]
	v_add_f64 v[12:13], v[12:13], -v[172:173]
	s_delay_alu instid0(VALU_DEP_2) | instskip(NEXT) | instid1(VALU_DEP_1)
	v_fma_f64 v[196:197], v[198:199], v[204:205], v[196:197]
	v_add_f64 v[14:15], v[14:15], -v[196:197]
	ds_load_2addr_b64 v[196:199], v206 offset0:92 offset1:93
	s_waitcnt lgkmcnt(0)
	v_mul_f64 v[172:173], v[198:199], v[174:175]
	s_delay_alu instid0(VALU_DEP_1) | instskip(SKIP_1) | instid1(VALU_DEP_2)
	v_fma_f64 v[172:173], v[196:197], v[204:205], -v[172:173]
	v_mul_f64 v[196:197], v[196:197], v[174:175]
	v_add_f64 v[8:9], v[8:9], -v[172:173]
	s_delay_alu instid0(VALU_DEP_2) | instskip(NEXT) | instid1(VALU_DEP_1)
	v_fma_f64 v[196:197], v[198:199], v[204:205], v[196:197]
	v_add_f64 v[10:11], v[10:11], -v[196:197]
	ds_load_2addr_b64 v[196:199], v206 offset0:94 offset1:95
	s_waitcnt lgkmcnt(0)
	v_mul_f64 v[172:173], v[198:199], v[174:175]
	s_delay_alu instid0(VALU_DEP_1) | instskip(SKIP_1) | instid1(VALU_DEP_2)
	v_fma_f64 v[172:173], v[196:197], v[204:205], -v[172:173]
	v_mul_f64 v[196:197], v[196:197], v[174:175]
	v_add_f64 v[4:5], v[4:5], -v[172:173]
	s_delay_alu instid0(VALU_DEP_2) | instskip(NEXT) | instid1(VALU_DEP_1)
	v_fma_f64 v[196:197], v[198:199], v[204:205], v[196:197]
	v_add_f64 v[6:7], v[6:7], -v[196:197]
	ds_load_2addr_b64 v[196:199], v206 offset0:96 offset1:97
	s_waitcnt lgkmcnt(0)
	v_mul_f64 v[172:173], v[198:199], v[174:175]
	s_delay_alu instid0(VALU_DEP_1) | instskip(SKIP_1) | instid1(VALU_DEP_2)
	v_fma_f64 v[172:173], v[196:197], v[204:205], -v[172:173]
	v_mul_f64 v[196:197], v[196:197], v[174:175]
	v_add_f64 v[0:1], v[0:1], -v[172:173]
	s_delay_alu instid0(VALU_DEP_2) | instskip(SKIP_1) | instid1(VALU_DEP_2)
	v_fma_f64 v[196:197], v[198:199], v[204:205], v[196:197]
	v_dual_mov_b32 v172, v204 :: v_dual_mov_b32 v173, v205
	v_add_f64 v[2:3], v[2:3], -v[196:197]
.LBB96_125:
	s_or_b32 exec_lo, exec_lo, s2
	v_lshl_add_u32 v196, v212, 4, v206
	s_barrier
	buffer_gl0_inv
	v_mov_b32_e32 v204, 6
	ds_store_2addr_b64 v196, v[168:169], v[170:171] offset1:1
	s_waitcnt lgkmcnt(0)
	s_barrier
	buffer_gl0_inv
	ds_load_2addr_b64 v[196:199], v206 offset0:12 offset1:13
	s_cmp_lt_i32 s5, 8
	s_cbranch_scc1 .LBB96_128
; %bb.126:
	v_add3_u32 v205, v211, 0, 0x70
	v_mov_b32_e32 v204, 6
	s_mov_b32 s6, 7
	s_set_inst_prefetch_distance 0x1
	.p2align	6
.LBB96_127:                             ; =>This Inner Loop Header: Depth=1
	ds_load_2addr_b64 v[213:216], v205 offset1:1
	s_waitcnt lgkmcnt(1)
	v_cmp_gt_f64_e32 vcc_lo, 0, v[196:197]
	v_xor_b32_e32 v217, 0x80000000, v197
	v_cmp_gt_f64_e64 s2, 0, v[198:199]
	v_xor_b32_e32 v219, 0x80000000, v199
	v_add_nc_u32_e32 v205, 16, v205
	s_waitcnt lgkmcnt(0)
	v_cmp_gt_f64_e64 s3, 0, v[213:214]
	v_mov_b32_e32 v221, v213
	v_dual_mov_b32 v223, v215 :: v_dual_cndmask_b32 v218, v197, v217
	v_xor_b32_e32 v217, 0x80000000, v214
	v_cndmask_b32_e64 v220, v199, v219, s2
	v_xor_b32_e32 v219, 0x80000000, v216
	s_delay_alu instid0(VALU_DEP_3) | instskip(SKIP_2) | instid1(VALU_DEP_2)
	v_cndmask_b32_e64 v222, v214, v217, s3
	v_cmp_gt_f64_e64 s3, 0, v[215:216]
	v_cndmask_b32_e32 v217, v196, v196, vcc_lo
	v_cndmask_b32_e64 v224, v216, v219, s3
	v_cndmask_b32_e64 v219, v198, v198, s2
	s_delay_alu instid0(VALU_DEP_2) | instskip(NEXT) | instid1(VALU_DEP_2)
	v_add_f64 v[221:222], v[221:222], v[223:224]
	v_add_f64 v[217:218], v[217:218], v[219:220]
	s_delay_alu instid0(VALU_DEP_1) | instskip(SKIP_4) | instid1(SALU_CYCLE_1)
	v_cmp_lt_f64_e32 vcc_lo, v[217:218], v[221:222]
	v_dual_cndmask_b32 v198, v198, v215 :: v_dual_cndmask_b32 v197, v197, v214
	v_dual_cndmask_b32 v196, v196, v213 :: v_dual_cndmask_b32 v199, v199, v216
	v_cndmask_b32_e64 v204, v204, s6, vcc_lo
	s_add_i32 s6, s6, 1
	s_cmp_lg_u32 s5, s6
	s_cbranch_scc1 .LBB96_127
.LBB96_128:
	s_set_inst_prefetch_distance 0x2
	s_waitcnt lgkmcnt(0)
	v_cmp_eq_f64_e32 vcc_lo, 0, v[196:197]
	v_cmp_eq_f64_e64 s2, 0, v[198:199]
	s_delay_alu instid0(VALU_DEP_1) | instskip(NEXT) | instid1(SALU_CYCLE_1)
	s_and_b32 s2, vcc_lo, s2
	s_and_saveexec_b32 s3, s2
	s_delay_alu instid0(SALU_CYCLE_1)
	s_xor_b32 s2, exec_lo, s3
; %bb.129:
	v_cmp_ne_u32_e32 vcc_lo, 0, v209
	v_cndmask_b32_e32 v209, 7, v209, vcc_lo
; %bb.130:
	s_and_not1_saveexec_b32 s3, s2
	s_cbranch_execz .LBB96_136
; %bb.131:
	v_cmp_gt_f64_e32 vcc_lo, 0, v[196:197]
	v_cmp_gt_f64_e64 s2, 0, v[198:199]
	v_xor_b32_e32 v205, 0x80000000, v197
	v_xor_b32_e32 v213, 0x80000000, v199
	s_delay_alu instid0(VALU_DEP_2) | instskip(NEXT) | instid1(VALU_DEP_2)
	v_cndmask_b32_e32 v214, v197, v205, vcc_lo
	v_cndmask_b32_e64 v216, v199, v213, s2
	v_cndmask_b32_e32 v213, v196, v196, vcc_lo
	v_cndmask_b32_e64 v215, v198, v198, s2
	s_mov_b32 s2, exec_lo
	s_delay_alu instid0(VALU_DEP_1)
	v_cmpx_ngt_f64_e32 v[213:214], v[215:216]
	s_xor_b32 s2, exec_lo, s2
	s_cbranch_execz .LBB96_133
; %bb.132:
	v_div_scale_f64 v[213:214], null, v[198:199], v[198:199], v[196:197]
	v_div_scale_f64 v[219:220], vcc_lo, v[196:197], v[198:199], v[196:197]
	s_delay_alu instid0(VALU_DEP_2) | instskip(SKIP_2) | instid1(VALU_DEP_1)
	v_rcp_f64_e32 v[215:216], v[213:214]
	s_waitcnt_depctr 0xfff
	v_fma_f64 v[217:218], -v[213:214], v[215:216], 1.0
	v_fma_f64 v[215:216], v[215:216], v[217:218], v[215:216]
	s_delay_alu instid0(VALU_DEP_1) | instskip(NEXT) | instid1(VALU_DEP_1)
	v_fma_f64 v[217:218], -v[213:214], v[215:216], 1.0
	v_fma_f64 v[215:216], v[215:216], v[217:218], v[215:216]
	s_delay_alu instid0(VALU_DEP_1) | instskip(NEXT) | instid1(VALU_DEP_1)
	v_mul_f64 v[217:218], v[219:220], v[215:216]
	v_fma_f64 v[213:214], -v[213:214], v[217:218], v[219:220]
	s_delay_alu instid0(VALU_DEP_1) | instskip(NEXT) | instid1(VALU_DEP_1)
	v_div_fmas_f64 v[213:214], v[213:214], v[215:216], v[217:218]
	v_div_fixup_f64 v[213:214], v[213:214], v[198:199], v[196:197]
	s_delay_alu instid0(VALU_DEP_1) | instskip(NEXT) | instid1(VALU_DEP_1)
	v_fma_f64 v[196:197], v[196:197], v[213:214], v[198:199]
	v_div_scale_f64 v[198:199], null, v[196:197], v[196:197], 1.0
	s_delay_alu instid0(VALU_DEP_1) | instskip(SKIP_2) | instid1(VALU_DEP_1)
	v_rcp_f64_e32 v[215:216], v[198:199]
	s_waitcnt_depctr 0xfff
	v_fma_f64 v[217:218], -v[198:199], v[215:216], 1.0
	v_fma_f64 v[215:216], v[215:216], v[217:218], v[215:216]
	s_delay_alu instid0(VALU_DEP_1) | instskip(NEXT) | instid1(VALU_DEP_1)
	v_fma_f64 v[217:218], -v[198:199], v[215:216], 1.0
	v_fma_f64 v[215:216], v[215:216], v[217:218], v[215:216]
	v_div_scale_f64 v[217:218], vcc_lo, 1.0, v[196:197], 1.0
	s_delay_alu instid0(VALU_DEP_1) | instskip(NEXT) | instid1(VALU_DEP_1)
	v_mul_f64 v[219:220], v[217:218], v[215:216]
	v_fma_f64 v[198:199], -v[198:199], v[219:220], v[217:218]
	s_delay_alu instid0(VALU_DEP_1) | instskip(NEXT) | instid1(VALU_DEP_1)
	v_div_fmas_f64 v[198:199], v[198:199], v[215:216], v[219:220]
	v_div_fixup_f64 v[198:199], v[198:199], v[196:197], 1.0
	s_delay_alu instid0(VALU_DEP_1)
	v_mul_f64 v[196:197], v[213:214], v[198:199]
	v_xor_b32_e32 v199, 0x80000000, v199
.LBB96_133:
	s_and_not1_saveexec_b32 s2, s2
	s_cbranch_execz .LBB96_135
; %bb.134:
	s_delay_alu instid0(VALU_DEP_1) | instskip(SKIP_1) | instid1(VALU_DEP_2)
	v_div_scale_f64 v[213:214], null, v[196:197], v[196:197], v[198:199]
	v_div_scale_f64 v[219:220], vcc_lo, v[198:199], v[196:197], v[198:199]
	v_rcp_f64_e32 v[215:216], v[213:214]
	s_waitcnt_depctr 0xfff
	v_fma_f64 v[217:218], -v[213:214], v[215:216], 1.0
	s_delay_alu instid0(VALU_DEP_1) | instskip(NEXT) | instid1(VALU_DEP_1)
	v_fma_f64 v[215:216], v[215:216], v[217:218], v[215:216]
	v_fma_f64 v[217:218], -v[213:214], v[215:216], 1.0
	s_delay_alu instid0(VALU_DEP_1) | instskip(NEXT) | instid1(VALU_DEP_1)
	v_fma_f64 v[215:216], v[215:216], v[217:218], v[215:216]
	v_mul_f64 v[217:218], v[219:220], v[215:216]
	s_delay_alu instid0(VALU_DEP_1) | instskip(NEXT) | instid1(VALU_DEP_1)
	v_fma_f64 v[213:214], -v[213:214], v[217:218], v[219:220]
	v_div_fmas_f64 v[213:214], v[213:214], v[215:216], v[217:218]
	s_delay_alu instid0(VALU_DEP_1) | instskip(NEXT) | instid1(VALU_DEP_1)
	v_div_fixup_f64 v[213:214], v[213:214], v[196:197], v[198:199]
	v_fma_f64 v[196:197], v[198:199], v[213:214], v[196:197]
	s_delay_alu instid0(VALU_DEP_1) | instskip(NEXT) | instid1(VALU_DEP_1)
	v_div_scale_f64 v[198:199], null, v[196:197], v[196:197], 1.0
	v_rcp_f64_e32 v[215:216], v[198:199]
	s_waitcnt_depctr 0xfff
	v_fma_f64 v[217:218], -v[198:199], v[215:216], 1.0
	s_delay_alu instid0(VALU_DEP_1) | instskip(NEXT) | instid1(VALU_DEP_1)
	v_fma_f64 v[215:216], v[215:216], v[217:218], v[215:216]
	v_fma_f64 v[217:218], -v[198:199], v[215:216], 1.0
	s_delay_alu instid0(VALU_DEP_1) | instskip(SKIP_1) | instid1(VALU_DEP_1)
	v_fma_f64 v[215:216], v[215:216], v[217:218], v[215:216]
	v_div_scale_f64 v[217:218], vcc_lo, 1.0, v[196:197], 1.0
	v_mul_f64 v[219:220], v[217:218], v[215:216]
	s_delay_alu instid0(VALU_DEP_1) | instskip(NEXT) | instid1(VALU_DEP_1)
	v_fma_f64 v[198:199], -v[198:199], v[219:220], v[217:218]
	v_div_fmas_f64 v[198:199], v[198:199], v[215:216], v[219:220]
	s_delay_alu instid0(VALU_DEP_1) | instskip(NEXT) | instid1(VALU_DEP_1)
	v_div_fixup_f64 v[196:197], v[198:199], v[196:197], 1.0
	v_mul_f64 v[198:199], v[213:214], -v[196:197]
.LBB96_135:
	s_or_b32 exec_lo, exec_lo, s2
.LBB96_136:
	s_delay_alu instid0(SALU_CYCLE_1) | instskip(NEXT) | instid1(SALU_CYCLE_1)
	s_or_b32 exec_lo, exec_lo, s3
	s_mov_b32 s2, exec_lo
	v_cmpx_ne_u32_e64 v212, v204
	s_xor_b32 s2, exec_lo, s2
	s_cbranch_execz .LBB96_142
; %bb.137:
	s_mov_b32 s3, exec_lo
	v_cmpx_eq_u32_e32 6, v212
	s_cbranch_execz .LBB96_141
; %bb.138:
	v_cmp_ne_u32_e32 vcc_lo, 6, v204
	s_xor_b32 s6, s4, -1
	s_delay_alu instid0(SALU_CYCLE_1) | instskip(NEXT) | instid1(SALU_CYCLE_1)
	s_and_b32 s7, s6, vcc_lo
	s_and_saveexec_b32 s6, s7
	s_cbranch_execz .LBB96_140
; %bb.139:
	v_ashrrev_i32_e32 v205, 31, v204
	s_delay_alu instid0(VALU_DEP_1) | instskip(NEXT) | instid1(VALU_DEP_1)
	v_lshlrev_b64 v[212:213], 2, v[204:205]
	v_add_co_u32 v212, vcc_lo, v202, v212
	s_delay_alu instid0(VALU_DEP_2)
	v_add_co_ci_u32_e32 v213, vcc_lo, v203, v213, vcc_lo
	s_clause 0x1
	flat_load_b32 v205, v[212:213]
	flat_load_b32 v210, v[202:203] offset:24
	s_waitcnt vmcnt(1) lgkmcnt(1)
	flat_store_b32 v[202:203], v205 offset:24
	s_waitcnt vmcnt(0) lgkmcnt(1)
	flat_store_b32 v[212:213], v210
.LBB96_140:
	s_or_b32 exec_lo, exec_lo, s6
	v_mov_b32_e32 v212, v204
	v_mov_b32_e32 v210, v204
.LBB96_141:
	s_or_b32 exec_lo, exec_lo, s3
.LBB96_142:
	s_and_not1_saveexec_b32 s2, s2
	s_cbranch_execz .LBB96_144
; %bb.143:
	v_mov_b32_e32 v212, 6
	ds_store_2addr_b64 v206, v[164:165], v[166:167] offset0:14 offset1:15
	ds_store_2addr_b64 v206, v[160:161], v[162:163] offset0:16 offset1:17
	;; [unrolled: 1-line block ×42, first 2 shown]
.LBB96_144:
	s_or_b32 exec_lo, exec_lo, s2
	s_delay_alu instid0(SALU_CYCLE_1)
	s_mov_b32 s2, exec_lo
	s_waitcnt lgkmcnt(0)
	s_waitcnt_vscnt null, 0x0
	s_barrier
	buffer_gl0_inv
	v_cmpx_lt_i32_e32 6, v212
	s_cbranch_execz .LBB96_146
; %bb.145:
	v_mul_f64 v[204:205], v[198:199], v[170:171]
	v_mul_f64 v[170:171], v[196:197], v[170:171]
	s_delay_alu instid0(VALU_DEP_2) | instskip(NEXT) | instid1(VALU_DEP_2)
	v_fma_f64 v[204:205], v[196:197], v[168:169], -v[204:205]
	v_fma_f64 v[170:171], v[198:199], v[168:169], v[170:171]
	ds_load_2addr_b64 v[196:199], v206 offset0:14 offset1:15
	s_waitcnt lgkmcnt(0)
	v_mul_f64 v[168:169], v[198:199], v[170:171]
	s_delay_alu instid0(VALU_DEP_1) | instskip(SKIP_1) | instid1(VALU_DEP_2)
	v_fma_f64 v[168:169], v[196:197], v[204:205], -v[168:169]
	v_mul_f64 v[196:197], v[196:197], v[170:171]
	v_add_f64 v[164:165], v[164:165], -v[168:169]
	s_delay_alu instid0(VALU_DEP_2) | instskip(NEXT) | instid1(VALU_DEP_1)
	v_fma_f64 v[196:197], v[198:199], v[204:205], v[196:197]
	v_add_f64 v[166:167], v[166:167], -v[196:197]
	ds_load_2addr_b64 v[196:199], v206 offset0:16 offset1:17
	s_waitcnt lgkmcnt(0)
	v_mul_f64 v[168:169], v[198:199], v[170:171]
	s_delay_alu instid0(VALU_DEP_1) | instskip(SKIP_1) | instid1(VALU_DEP_2)
	v_fma_f64 v[168:169], v[196:197], v[204:205], -v[168:169]
	v_mul_f64 v[196:197], v[196:197], v[170:171]
	v_add_f64 v[160:161], v[160:161], -v[168:169]
	s_delay_alu instid0(VALU_DEP_2) | instskip(NEXT) | instid1(VALU_DEP_1)
	v_fma_f64 v[196:197], v[198:199], v[204:205], v[196:197]
	v_add_f64 v[162:163], v[162:163], -v[196:197]
	;; [unrolled: 10-line block ×41, first 2 shown]
	ds_load_2addr_b64 v[196:199], v206 offset0:96 offset1:97
	s_waitcnt lgkmcnt(0)
	v_mul_f64 v[168:169], v[198:199], v[170:171]
	s_delay_alu instid0(VALU_DEP_1) | instskip(SKIP_1) | instid1(VALU_DEP_2)
	v_fma_f64 v[168:169], v[196:197], v[204:205], -v[168:169]
	v_mul_f64 v[196:197], v[196:197], v[170:171]
	v_add_f64 v[0:1], v[0:1], -v[168:169]
	s_delay_alu instid0(VALU_DEP_2) | instskip(SKIP_1) | instid1(VALU_DEP_2)
	v_fma_f64 v[196:197], v[198:199], v[204:205], v[196:197]
	v_dual_mov_b32 v168, v204 :: v_dual_mov_b32 v169, v205
	v_add_f64 v[2:3], v[2:3], -v[196:197]
.LBB96_146:
	s_or_b32 exec_lo, exec_lo, s2
	v_lshl_add_u32 v196, v212, 4, v206
	s_barrier
	buffer_gl0_inv
	v_mov_b32_e32 v204, 7
	ds_store_2addr_b64 v196, v[164:165], v[166:167] offset1:1
	s_waitcnt lgkmcnt(0)
	s_barrier
	buffer_gl0_inv
	ds_load_2addr_b64 v[196:199], v206 offset0:14 offset1:15
	s_cmp_lt_i32 s5, 9
	s_cbranch_scc1 .LBB96_149
; %bb.147:
	v_add3_u32 v205, v211, 0, 0x80
	v_mov_b32_e32 v204, 7
	s_mov_b32 s6, 8
	s_set_inst_prefetch_distance 0x1
	.p2align	6
.LBB96_148:                             ; =>This Inner Loop Header: Depth=1
	ds_load_2addr_b64 v[213:216], v205 offset1:1
	s_waitcnt lgkmcnt(1)
	v_cmp_gt_f64_e32 vcc_lo, 0, v[196:197]
	v_xor_b32_e32 v217, 0x80000000, v197
	v_cmp_gt_f64_e64 s2, 0, v[198:199]
	v_xor_b32_e32 v219, 0x80000000, v199
	v_add_nc_u32_e32 v205, 16, v205
	s_waitcnt lgkmcnt(0)
	v_cmp_gt_f64_e64 s3, 0, v[213:214]
	v_mov_b32_e32 v221, v213
	v_dual_mov_b32 v223, v215 :: v_dual_cndmask_b32 v218, v197, v217
	v_xor_b32_e32 v217, 0x80000000, v214
	v_cndmask_b32_e64 v220, v199, v219, s2
	v_xor_b32_e32 v219, 0x80000000, v216
	s_delay_alu instid0(VALU_DEP_3) | instskip(SKIP_2) | instid1(VALU_DEP_2)
	v_cndmask_b32_e64 v222, v214, v217, s3
	v_cmp_gt_f64_e64 s3, 0, v[215:216]
	v_cndmask_b32_e32 v217, v196, v196, vcc_lo
	v_cndmask_b32_e64 v224, v216, v219, s3
	v_cndmask_b32_e64 v219, v198, v198, s2
	s_delay_alu instid0(VALU_DEP_2) | instskip(NEXT) | instid1(VALU_DEP_2)
	v_add_f64 v[221:222], v[221:222], v[223:224]
	v_add_f64 v[217:218], v[217:218], v[219:220]
	s_delay_alu instid0(VALU_DEP_1) | instskip(SKIP_4) | instid1(SALU_CYCLE_1)
	v_cmp_lt_f64_e32 vcc_lo, v[217:218], v[221:222]
	v_dual_cndmask_b32 v198, v198, v215 :: v_dual_cndmask_b32 v197, v197, v214
	v_dual_cndmask_b32 v196, v196, v213 :: v_dual_cndmask_b32 v199, v199, v216
	v_cndmask_b32_e64 v204, v204, s6, vcc_lo
	s_add_i32 s6, s6, 1
	s_cmp_lg_u32 s5, s6
	s_cbranch_scc1 .LBB96_148
.LBB96_149:
	s_set_inst_prefetch_distance 0x2
	s_waitcnt lgkmcnt(0)
	v_cmp_eq_f64_e32 vcc_lo, 0, v[196:197]
	v_cmp_eq_f64_e64 s2, 0, v[198:199]
	s_delay_alu instid0(VALU_DEP_1) | instskip(NEXT) | instid1(SALU_CYCLE_1)
	s_and_b32 s2, vcc_lo, s2
	s_and_saveexec_b32 s3, s2
	s_delay_alu instid0(SALU_CYCLE_1)
	s_xor_b32 s2, exec_lo, s3
; %bb.150:
	v_cmp_ne_u32_e32 vcc_lo, 0, v209
	v_cndmask_b32_e32 v209, 8, v209, vcc_lo
; %bb.151:
	s_and_not1_saveexec_b32 s3, s2
	s_cbranch_execz .LBB96_157
; %bb.152:
	v_cmp_gt_f64_e32 vcc_lo, 0, v[196:197]
	v_cmp_gt_f64_e64 s2, 0, v[198:199]
	v_xor_b32_e32 v205, 0x80000000, v197
	v_xor_b32_e32 v213, 0x80000000, v199
	s_delay_alu instid0(VALU_DEP_2) | instskip(NEXT) | instid1(VALU_DEP_2)
	v_cndmask_b32_e32 v214, v197, v205, vcc_lo
	v_cndmask_b32_e64 v216, v199, v213, s2
	v_cndmask_b32_e32 v213, v196, v196, vcc_lo
	v_cndmask_b32_e64 v215, v198, v198, s2
	s_mov_b32 s2, exec_lo
	s_delay_alu instid0(VALU_DEP_1)
	v_cmpx_ngt_f64_e32 v[213:214], v[215:216]
	s_xor_b32 s2, exec_lo, s2
	s_cbranch_execz .LBB96_154
; %bb.153:
	v_div_scale_f64 v[213:214], null, v[198:199], v[198:199], v[196:197]
	v_div_scale_f64 v[219:220], vcc_lo, v[196:197], v[198:199], v[196:197]
	s_delay_alu instid0(VALU_DEP_2) | instskip(SKIP_2) | instid1(VALU_DEP_1)
	v_rcp_f64_e32 v[215:216], v[213:214]
	s_waitcnt_depctr 0xfff
	v_fma_f64 v[217:218], -v[213:214], v[215:216], 1.0
	v_fma_f64 v[215:216], v[215:216], v[217:218], v[215:216]
	s_delay_alu instid0(VALU_DEP_1) | instskip(NEXT) | instid1(VALU_DEP_1)
	v_fma_f64 v[217:218], -v[213:214], v[215:216], 1.0
	v_fma_f64 v[215:216], v[215:216], v[217:218], v[215:216]
	s_delay_alu instid0(VALU_DEP_1) | instskip(NEXT) | instid1(VALU_DEP_1)
	v_mul_f64 v[217:218], v[219:220], v[215:216]
	v_fma_f64 v[213:214], -v[213:214], v[217:218], v[219:220]
	s_delay_alu instid0(VALU_DEP_1) | instskip(NEXT) | instid1(VALU_DEP_1)
	v_div_fmas_f64 v[213:214], v[213:214], v[215:216], v[217:218]
	v_div_fixup_f64 v[213:214], v[213:214], v[198:199], v[196:197]
	s_delay_alu instid0(VALU_DEP_1) | instskip(NEXT) | instid1(VALU_DEP_1)
	v_fma_f64 v[196:197], v[196:197], v[213:214], v[198:199]
	v_div_scale_f64 v[198:199], null, v[196:197], v[196:197], 1.0
	s_delay_alu instid0(VALU_DEP_1) | instskip(SKIP_2) | instid1(VALU_DEP_1)
	v_rcp_f64_e32 v[215:216], v[198:199]
	s_waitcnt_depctr 0xfff
	v_fma_f64 v[217:218], -v[198:199], v[215:216], 1.0
	v_fma_f64 v[215:216], v[215:216], v[217:218], v[215:216]
	s_delay_alu instid0(VALU_DEP_1) | instskip(NEXT) | instid1(VALU_DEP_1)
	v_fma_f64 v[217:218], -v[198:199], v[215:216], 1.0
	v_fma_f64 v[215:216], v[215:216], v[217:218], v[215:216]
	v_div_scale_f64 v[217:218], vcc_lo, 1.0, v[196:197], 1.0
	s_delay_alu instid0(VALU_DEP_1) | instskip(NEXT) | instid1(VALU_DEP_1)
	v_mul_f64 v[219:220], v[217:218], v[215:216]
	v_fma_f64 v[198:199], -v[198:199], v[219:220], v[217:218]
	s_delay_alu instid0(VALU_DEP_1) | instskip(NEXT) | instid1(VALU_DEP_1)
	v_div_fmas_f64 v[198:199], v[198:199], v[215:216], v[219:220]
	v_div_fixup_f64 v[198:199], v[198:199], v[196:197], 1.0
	s_delay_alu instid0(VALU_DEP_1)
	v_mul_f64 v[196:197], v[213:214], v[198:199]
	v_xor_b32_e32 v199, 0x80000000, v199
.LBB96_154:
	s_and_not1_saveexec_b32 s2, s2
	s_cbranch_execz .LBB96_156
; %bb.155:
	s_delay_alu instid0(VALU_DEP_1) | instskip(SKIP_1) | instid1(VALU_DEP_2)
	v_div_scale_f64 v[213:214], null, v[196:197], v[196:197], v[198:199]
	v_div_scale_f64 v[219:220], vcc_lo, v[198:199], v[196:197], v[198:199]
	v_rcp_f64_e32 v[215:216], v[213:214]
	s_waitcnt_depctr 0xfff
	v_fma_f64 v[217:218], -v[213:214], v[215:216], 1.0
	s_delay_alu instid0(VALU_DEP_1) | instskip(NEXT) | instid1(VALU_DEP_1)
	v_fma_f64 v[215:216], v[215:216], v[217:218], v[215:216]
	v_fma_f64 v[217:218], -v[213:214], v[215:216], 1.0
	s_delay_alu instid0(VALU_DEP_1) | instskip(NEXT) | instid1(VALU_DEP_1)
	v_fma_f64 v[215:216], v[215:216], v[217:218], v[215:216]
	v_mul_f64 v[217:218], v[219:220], v[215:216]
	s_delay_alu instid0(VALU_DEP_1) | instskip(NEXT) | instid1(VALU_DEP_1)
	v_fma_f64 v[213:214], -v[213:214], v[217:218], v[219:220]
	v_div_fmas_f64 v[213:214], v[213:214], v[215:216], v[217:218]
	s_delay_alu instid0(VALU_DEP_1) | instskip(NEXT) | instid1(VALU_DEP_1)
	v_div_fixup_f64 v[213:214], v[213:214], v[196:197], v[198:199]
	v_fma_f64 v[196:197], v[198:199], v[213:214], v[196:197]
	s_delay_alu instid0(VALU_DEP_1) | instskip(NEXT) | instid1(VALU_DEP_1)
	v_div_scale_f64 v[198:199], null, v[196:197], v[196:197], 1.0
	v_rcp_f64_e32 v[215:216], v[198:199]
	s_waitcnt_depctr 0xfff
	v_fma_f64 v[217:218], -v[198:199], v[215:216], 1.0
	s_delay_alu instid0(VALU_DEP_1) | instskip(NEXT) | instid1(VALU_DEP_1)
	v_fma_f64 v[215:216], v[215:216], v[217:218], v[215:216]
	v_fma_f64 v[217:218], -v[198:199], v[215:216], 1.0
	s_delay_alu instid0(VALU_DEP_1) | instskip(SKIP_1) | instid1(VALU_DEP_1)
	v_fma_f64 v[215:216], v[215:216], v[217:218], v[215:216]
	v_div_scale_f64 v[217:218], vcc_lo, 1.0, v[196:197], 1.0
	v_mul_f64 v[219:220], v[217:218], v[215:216]
	s_delay_alu instid0(VALU_DEP_1) | instskip(NEXT) | instid1(VALU_DEP_1)
	v_fma_f64 v[198:199], -v[198:199], v[219:220], v[217:218]
	v_div_fmas_f64 v[198:199], v[198:199], v[215:216], v[219:220]
	s_delay_alu instid0(VALU_DEP_1) | instskip(NEXT) | instid1(VALU_DEP_1)
	v_div_fixup_f64 v[196:197], v[198:199], v[196:197], 1.0
	v_mul_f64 v[198:199], v[213:214], -v[196:197]
.LBB96_156:
	s_or_b32 exec_lo, exec_lo, s2
.LBB96_157:
	s_delay_alu instid0(SALU_CYCLE_1) | instskip(NEXT) | instid1(SALU_CYCLE_1)
	s_or_b32 exec_lo, exec_lo, s3
	s_mov_b32 s2, exec_lo
	v_cmpx_ne_u32_e64 v212, v204
	s_xor_b32 s2, exec_lo, s2
	s_cbranch_execz .LBB96_163
; %bb.158:
	s_mov_b32 s3, exec_lo
	v_cmpx_eq_u32_e32 7, v212
	s_cbranch_execz .LBB96_162
; %bb.159:
	v_cmp_ne_u32_e32 vcc_lo, 7, v204
	s_xor_b32 s6, s4, -1
	s_delay_alu instid0(SALU_CYCLE_1) | instskip(NEXT) | instid1(SALU_CYCLE_1)
	s_and_b32 s7, s6, vcc_lo
	s_and_saveexec_b32 s6, s7
	s_cbranch_execz .LBB96_161
; %bb.160:
	v_ashrrev_i32_e32 v205, 31, v204
	s_delay_alu instid0(VALU_DEP_1) | instskip(NEXT) | instid1(VALU_DEP_1)
	v_lshlrev_b64 v[212:213], 2, v[204:205]
	v_add_co_u32 v212, vcc_lo, v202, v212
	s_delay_alu instid0(VALU_DEP_2)
	v_add_co_ci_u32_e32 v213, vcc_lo, v203, v213, vcc_lo
	s_clause 0x1
	flat_load_b32 v205, v[212:213]
	flat_load_b32 v210, v[202:203] offset:28
	s_waitcnt vmcnt(1) lgkmcnt(1)
	flat_store_b32 v[202:203], v205 offset:28
	s_waitcnt vmcnt(0) lgkmcnt(1)
	flat_store_b32 v[212:213], v210
.LBB96_161:
	s_or_b32 exec_lo, exec_lo, s6
	v_mov_b32_e32 v212, v204
	v_mov_b32_e32 v210, v204
.LBB96_162:
	s_or_b32 exec_lo, exec_lo, s3
.LBB96_163:
	s_and_not1_saveexec_b32 s2, s2
	s_cbranch_execz .LBB96_165
; %bb.164:
	v_mov_b32_e32 v212, 7
	ds_store_2addr_b64 v206, v[160:161], v[162:163] offset0:16 offset1:17
	ds_store_2addr_b64 v206, v[156:157], v[158:159] offset0:18 offset1:19
	;; [unrolled: 1-line block ×41, first 2 shown]
.LBB96_165:
	s_or_b32 exec_lo, exec_lo, s2
	s_delay_alu instid0(SALU_CYCLE_1)
	s_mov_b32 s2, exec_lo
	s_waitcnt lgkmcnt(0)
	s_waitcnt_vscnt null, 0x0
	s_barrier
	buffer_gl0_inv
	v_cmpx_lt_i32_e32 7, v212
	s_cbranch_execz .LBB96_167
; %bb.166:
	v_mul_f64 v[204:205], v[198:199], v[166:167]
	v_mul_f64 v[166:167], v[196:197], v[166:167]
	s_delay_alu instid0(VALU_DEP_2) | instskip(NEXT) | instid1(VALU_DEP_2)
	v_fma_f64 v[204:205], v[196:197], v[164:165], -v[204:205]
	v_fma_f64 v[166:167], v[198:199], v[164:165], v[166:167]
	ds_load_2addr_b64 v[196:199], v206 offset0:16 offset1:17
	s_waitcnt lgkmcnt(0)
	v_mul_f64 v[164:165], v[198:199], v[166:167]
	s_delay_alu instid0(VALU_DEP_1) | instskip(SKIP_1) | instid1(VALU_DEP_2)
	v_fma_f64 v[164:165], v[196:197], v[204:205], -v[164:165]
	v_mul_f64 v[196:197], v[196:197], v[166:167]
	v_add_f64 v[160:161], v[160:161], -v[164:165]
	s_delay_alu instid0(VALU_DEP_2) | instskip(NEXT) | instid1(VALU_DEP_1)
	v_fma_f64 v[196:197], v[198:199], v[204:205], v[196:197]
	v_add_f64 v[162:163], v[162:163], -v[196:197]
	ds_load_2addr_b64 v[196:199], v206 offset0:18 offset1:19
	s_waitcnt lgkmcnt(0)
	v_mul_f64 v[164:165], v[198:199], v[166:167]
	s_delay_alu instid0(VALU_DEP_1) | instskip(SKIP_1) | instid1(VALU_DEP_2)
	v_fma_f64 v[164:165], v[196:197], v[204:205], -v[164:165]
	v_mul_f64 v[196:197], v[196:197], v[166:167]
	v_add_f64 v[156:157], v[156:157], -v[164:165]
	s_delay_alu instid0(VALU_DEP_2) | instskip(NEXT) | instid1(VALU_DEP_1)
	v_fma_f64 v[196:197], v[198:199], v[204:205], v[196:197]
	v_add_f64 v[158:159], v[158:159], -v[196:197]
	;; [unrolled: 10-line block ×40, first 2 shown]
	ds_load_2addr_b64 v[196:199], v206 offset0:96 offset1:97
	s_waitcnt lgkmcnt(0)
	v_mul_f64 v[164:165], v[198:199], v[166:167]
	s_delay_alu instid0(VALU_DEP_1) | instskip(SKIP_1) | instid1(VALU_DEP_2)
	v_fma_f64 v[164:165], v[196:197], v[204:205], -v[164:165]
	v_mul_f64 v[196:197], v[196:197], v[166:167]
	v_add_f64 v[0:1], v[0:1], -v[164:165]
	s_delay_alu instid0(VALU_DEP_2) | instskip(SKIP_1) | instid1(VALU_DEP_2)
	v_fma_f64 v[196:197], v[198:199], v[204:205], v[196:197]
	v_dual_mov_b32 v164, v204 :: v_dual_mov_b32 v165, v205
	v_add_f64 v[2:3], v[2:3], -v[196:197]
.LBB96_167:
	s_or_b32 exec_lo, exec_lo, s2
	v_lshl_add_u32 v196, v212, 4, v206
	s_barrier
	buffer_gl0_inv
	v_mov_b32_e32 v204, 8
	ds_store_2addr_b64 v196, v[160:161], v[162:163] offset1:1
	s_waitcnt lgkmcnt(0)
	s_barrier
	buffer_gl0_inv
	ds_load_2addr_b64 v[196:199], v206 offset0:16 offset1:17
	s_cmp_lt_i32 s5, 10
	s_cbranch_scc1 .LBB96_170
; %bb.168:
	v_add3_u32 v205, v211, 0, 0x90
	v_mov_b32_e32 v204, 8
	s_mov_b32 s6, 9
	s_set_inst_prefetch_distance 0x1
	.p2align	6
.LBB96_169:                             ; =>This Inner Loop Header: Depth=1
	ds_load_2addr_b64 v[213:216], v205 offset1:1
	s_waitcnt lgkmcnt(1)
	v_cmp_gt_f64_e32 vcc_lo, 0, v[196:197]
	v_xor_b32_e32 v217, 0x80000000, v197
	v_cmp_gt_f64_e64 s2, 0, v[198:199]
	v_xor_b32_e32 v219, 0x80000000, v199
	v_add_nc_u32_e32 v205, 16, v205
	s_waitcnt lgkmcnt(0)
	v_cmp_gt_f64_e64 s3, 0, v[213:214]
	v_mov_b32_e32 v221, v213
	v_dual_mov_b32 v223, v215 :: v_dual_cndmask_b32 v218, v197, v217
	v_xor_b32_e32 v217, 0x80000000, v214
	v_cndmask_b32_e64 v220, v199, v219, s2
	v_xor_b32_e32 v219, 0x80000000, v216
	s_delay_alu instid0(VALU_DEP_3) | instskip(SKIP_2) | instid1(VALU_DEP_2)
	v_cndmask_b32_e64 v222, v214, v217, s3
	v_cmp_gt_f64_e64 s3, 0, v[215:216]
	v_cndmask_b32_e32 v217, v196, v196, vcc_lo
	v_cndmask_b32_e64 v224, v216, v219, s3
	v_cndmask_b32_e64 v219, v198, v198, s2
	s_delay_alu instid0(VALU_DEP_2) | instskip(NEXT) | instid1(VALU_DEP_2)
	v_add_f64 v[221:222], v[221:222], v[223:224]
	v_add_f64 v[217:218], v[217:218], v[219:220]
	s_delay_alu instid0(VALU_DEP_1) | instskip(SKIP_4) | instid1(SALU_CYCLE_1)
	v_cmp_lt_f64_e32 vcc_lo, v[217:218], v[221:222]
	v_dual_cndmask_b32 v198, v198, v215 :: v_dual_cndmask_b32 v197, v197, v214
	v_dual_cndmask_b32 v196, v196, v213 :: v_dual_cndmask_b32 v199, v199, v216
	v_cndmask_b32_e64 v204, v204, s6, vcc_lo
	s_add_i32 s6, s6, 1
	s_cmp_lg_u32 s5, s6
	s_cbranch_scc1 .LBB96_169
.LBB96_170:
	s_set_inst_prefetch_distance 0x2
	s_waitcnt lgkmcnt(0)
	v_cmp_eq_f64_e32 vcc_lo, 0, v[196:197]
	v_cmp_eq_f64_e64 s2, 0, v[198:199]
	s_delay_alu instid0(VALU_DEP_1) | instskip(NEXT) | instid1(SALU_CYCLE_1)
	s_and_b32 s2, vcc_lo, s2
	s_and_saveexec_b32 s3, s2
	s_delay_alu instid0(SALU_CYCLE_1)
	s_xor_b32 s2, exec_lo, s3
; %bb.171:
	v_cmp_ne_u32_e32 vcc_lo, 0, v209
	v_cndmask_b32_e32 v209, 9, v209, vcc_lo
; %bb.172:
	s_and_not1_saveexec_b32 s3, s2
	s_cbranch_execz .LBB96_178
; %bb.173:
	v_cmp_gt_f64_e32 vcc_lo, 0, v[196:197]
	v_cmp_gt_f64_e64 s2, 0, v[198:199]
	v_xor_b32_e32 v205, 0x80000000, v197
	v_xor_b32_e32 v213, 0x80000000, v199
	s_delay_alu instid0(VALU_DEP_2) | instskip(NEXT) | instid1(VALU_DEP_2)
	v_cndmask_b32_e32 v214, v197, v205, vcc_lo
	v_cndmask_b32_e64 v216, v199, v213, s2
	v_cndmask_b32_e32 v213, v196, v196, vcc_lo
	v_cndmask_b32_e64 v215, v198, v198, s2
	s_mov_b32 s2, exec_lo
	s_delay_alu instid0(VALU_DEP_1)
	v_cmpx_ngt_f64_e32 v[213:214], v[215:216]
	s_xor_b32 s2, exec_lo, s2
	s_cbranch_execz .LBB96_175
; %bb.174:
	v_div_scale_f64 v[213:214], null, v[198:199], v[198:199], v[196:197]
	v_div_scale_f64 v[219:220], vcc_lo, v[196:197], v[198:199], v[196:197]
	s_delay_alu instid0(VALU_DEP_2) | instskip(SKIP_2) | instid1(VALU_DEP_1)
	v_rcp_f64_e32 v[215:216], v[213:214]
	s_waitcnt_depctr 0xfff
	v_fma_f64 v[217:218], -v[213:214], v[215:216], 1.0
	v_fma_f64 v[215:216], v[215:216], v[217:218], v[215:216]
	s_delay_alu instid0(VALU_DEP_1) | instskip(NEXT) | instid1(VALU_DEP_1)
	v_fma_f64 v[217:218], -v[213:214], v[215:216], 1.0
	v_fma_f64 v[215:216], v[215:216], v[217:218], v[215:216]
	s_delay_alu instid0(VALU_DEP_1) | instskip(NEXT) | instid1(VALU_DEP_1)
	v_mul_f64 v[217:218], v[219:220], v[215:216]
	v_fma_f64 v[213:214], -v[213:214], v[217:218], v[219:220]
	s_delay_alu instid0(VALU_DEP_1) | instskip(NEXT) | instid1(VALU_DEP_1)
	v_div_fmas_f64 v[213:214], v[213:214], v[215:216], v[217:218]
	v_div_fixup_f64 v[213:214], v[213:214], v[198:199], v[196:197]
	s_delay_alu instid0(VALU_DEP_1) | instskip(NEXT) | instid1(VALU_DEP_1)
	v_fma_f64 v[196:197], v[196:197], v[213:214], v[198:199]
	v_div_scale_f64 v[198:199], null, v[196:197], v[196:197], 1.0
	s_delay_alu instid0(VALU_DEP_1) | instskip(SKIP_2) | instid1(VALU_DEP_1)
	v_rcp_f64_e32 v[215:216], v[198:199]
	s_waitcnt_depctr 0xfff
	v_fma_f64 v[217:218], -v[198:199], v[215:216], 1.0
	v_fma_f64 v[215:216], v[215:216], v[217:218], v[215:216]
	s_delay_alu instid0(VALU_DEP_1) | instskip(NEXT) | instid1(VALU_DEP_1)
	v_fma_f64 v[217:218], -v[198:199], v[215:216], 1.0
	v_fma_f64 v[215:216], v[215:216], v[217:218], v[215:216]
	v_div_scale_f64 v[217:218], vcc_lo, 1.0, v[196:197], 1.0
	s_delay_alu instid0(VALU_DEP_1) | instskip(NEXT) | instid1(VALU_DEP_1)
	v_mul_f64 v[219:220], v[217:218], v[215:216]
	v_fma_f64 v[198:199], -v[198:199], v[219:220], v[217:218]
	s_delay_alu instid0(VALU_DEP_1) | instskip(NEXT) | instid1(VALU_DEP_1)
	v_div_fmas_f64 v[198:199], v[198:199], v[215:216], v[219:220]
	v_div_fixup_f64 v[198:199], v[198:199], v[196:197], 1.0
	s_delay_alu instid0(VALU_DEP_1)
	v_mul_f64 v[196:197], v[213:214], v[198:199]
	v_xor_b32_e32 v199, 0x80000000, v199
.LBB96_175:
	s_and_not1_saveexec_b32 s2, s2
	s_cbranch_execz .LBB96_177
; %bb.176:
	s_delay_alu instid0(VALU_DEP_1) | instskip(SKIP_1) | instid1(VALU_DEP_2)
	v_div_scale_f64 v[213:214], null, v[196:197], v[196:197], v[198:199]
	v_div_scale_f64 v[219:220], vcc_lo, v[198:199], v[196:197], v[198:199]
	v_rcp_f64_e32 v[215:216], v[213:214]
	s_waitcnt_depctr 0xfff
	v_fma_f64 v[217:218], -v[213:214], v[215:216], 1.0
	s_delay_alu instid0(VALU_DEP_1) | instskip(NEXT) | instid1(VALU_DEP_1)
	v_fma_f64 v[215:216], v[215:216], v[217:218], v[215:216]
	v_fma_f64 v[217:218], -v[213:214], v[215:216], 1.0
	s_delay_alu instid0(VALU_DEP_1) | instskip(NEXT) | instid1(VALU_DEP_1)
	v_fma_f64 v[215:216], v[215:216], v[217:218], v[215:216]
	v_mul_f64 v[217:218], v[219:220], v[215:216]
	s_delay_alu instid0(VALU_DEP_1) | instskip(NEXT) | instid1(VALU_DEP_1)
	v_fma_f64 v[213:214], -v[213:214], v[217:218], v[219:220]
	v_div_fmas_f64 v[213:214], v[213:214], v[215:216], v[217:218]
	s_delay_alu instid0(VALU_DEP_1) | instskip(NEXT) | instid1(VALU_DEP_1)
	v_div_fixup_f64 v[213:214], v[213:214], v[196:197], v[198:199]
	v_fma_f64 v[196:197], v[198:199], v[213:214], v[196:197]
	s_delay_alu instid0(VALU_DEP_1) | instskip(NEXT) | instid1(VALU_DEP_1)
	v_div_scale_f64 v[198:199], null, v[196:197], v[196:197], 1.0
	v_rcp_f64_e32 v[215:216], v[198:199]
	s_waitcnt_depctr 0xfff
	v_fma_f64 v[217:218], -v[198:199], v[215:216], 1.0
	s_delay_alu instid0(VALU_DEP_1) | instskip(NEXT) | instid1(VALU_DEP_1)
	v_fma_f64 v[215:216], v[215:216], v[217:218], v[215:216]
	v_fma_f64 v[217:218], -v[198:199], v[215:216], 1.0
	s_delay_alu instid0(VALU_DEP_1) | instskip(SKIP_1) | instid1(VALU_DEP_1)
	v_fma_f64 v[215:216], v[215:216], v[217:218], v[215:216]
	v_div_scale_f64 v[217:218], vcc_lo, 1.0, v[196:197], 1.0
	v_mul_f64 v[219:220], v[217:218], v[215:216]
	s_delay_alu instid0(VALU_DEP_1) | instskip(NEXT) | instid1(VALU_DEP_1)
	v_fma_f64 v[198:199], -v[198:199], v[219:220], v[217:218]
	v_div_fmas_f64 v[198:199], v[198:199], v[215:216], v[219:220]
	s_delay_alu instid0(VALU_DEP_1) | instskip(NEXT) | instid1(VALU_DEP_1)
	v_div_fixup_f64 v[196:197], v[198:199], v[196:197], 1.0
	v_mul_f64 v[198:199], v[213:214], -v[196:197]
.LBB96_177:
	s_or_b32 exec_lo, exec_lo, s2
.LBB96_178:
	s_delay_alu instid0(SALU_CYCLE_1) | instskip(NEXT) | instid1(SALU_CYCLE_1)
	s_or_b32 exec_lo, exec_lo, s3
	s_mov_b32 s2, exec_lo
	v_cmpx_ne_u32_e64 v212, v204
	s_xor_b32 s2, exec_lo, s2
	s_cbranch_execz .LBB96_184
; %bb.179:
	s_mov_b32 s3, exec_lo
	v_cmpx_eq_u32_e32 8, v212
	s_cbranch_execz .LBB96_183
; %bb.180:
	v_cmp_ne_u32_e32 vcc_lo, 8, v204
	s_xor_b32 s6, s4, -1
	s_delay_alu instid0(SALU_CYCLE_1) | instskip(NEXT) | instid1(SALU_CYCLE_1)
	s_and_b32 s7, s6, vcc_lo
	s_and_saveexec_b32 s6, s7
	s_cbranch_execz .LBB96_182
; %bb.181:
	v_ashrrev_i32_e32 v205, 31, v204
	s_delay_alu instid0(VALU_DEP_1) | instskip(NEXT) | instid1(VALU_DEP_1)
	v_lshlrev_b64 v[212:213], 2, v[204:205]
	v_add_co_u32 v212, vcc_lo, v202, v212
	s_delay_alu instid0(VALU_DEP_2)
	v_add_co_ci_u32_e32 v213, vcc_lo, v203, v213, vcc_lo
	s_clause 0x1
	flat_load_b32 v205, v[212:213]
	flat_load_b32 v210, v[202:203] offset:32
	s_waitcnt vmcnt(1) lgkmcnt(1)
	flat_store_b32 v[202:203], v205 offset:32
	s_waitcnt vmcnt(0) lgkmcnt(1)
	flat_store_b32 v[212:213], v210
.LBB96_182:
	s_or_b32 exec_lo, exec_lo, s6
	v_mov_b32_e32 v212, v204
	v_mov_b32_e32 v210, v204
.LBB96_183:
	s_or_b32 exec_lo, exec_lo, s3
.LBB96_184:
	s_and_not1_saveexec_b32 s2, s2
	s_cbranch_execz .LBB96_186
; %bb.185:
	v_mov_b32_e32 v212, 8
	ds_store_2addr_b64 v206, v[156:157], v[158:159] offset0:18 offset1:19
	ds_store_2addr_b64 v206, v[152:153], v[154:155] offset0:20 offset1:21
	;; [unrolled: 1-line block ×40, first 2 shown]
.LBB96_186:
	s_or_b32 exec_lo, exec_lo, s2
	s_delay_alu instid0(SALU_CYCLE_1)
	s_mov_b32 s2, exec_lo
	s_waitcnt lgkmcnt(0)
	s_waitcnt_vscnt null, 0x0
	s_barrier
	buffer_gl0_inv
	v_cmpx_lt_i32_e32 8, v212
	s_cbranch_execz .LBB96_188
; %bb.187:
	v_mul_f64 v[204:205], v[198:199], v[162:163]
	v_mul_f64 v[162:163], v[196:197], v[162:163]
	s_delay_alu instid0(VALU_DEP_2) | instskip(NEXT) | instid1(VALU_DEP_2)
	v_fma_f64 v[204:205], v[196:197], v[160:161], -v[204:205]
	v_fma_f64 v[162:163], v[198:199], v[160:161], v[162:163]
	ds_load_2addr_b64 v[196:199], v206 offset0:18 offset1:19
	s_waitcnt lgkmcnt(0)
	v_mul_f64 v[160:161], v[198:199], v[162:163]
	s_delay_alu instid0(VALU_DEP_1) | instskip(SKIP_1) | instid1(VALU_DEP_2)
	v_fma_f64 v[160:161], v[196:197], v[204:205], -v[160:161]
	v_mul_f64 v[196:197], v[196:197], v[162:163]
	v_add_f64 v[156:157], v[156:157], -v[160:161]
	s_delay_alu instid0(VALU_DEP_2) | instskip(NEXT) | instid1(VALU_DEP_1)
	v_fma_f64 v[196:197], v[198:199], v[204:205], v[196:197]
	v_add_f64 v[158:159], v[158:159], -v[196:197]
	ds_load_2addr_b64 v[196:199], v206 offset0:20 offset1:21
	s_waitcnt lgkmcnt(0)
	v_mul_f64 v[160:161], v[198:199], v[162:163]
	s_delay_alu instid0(VALU_DEP_1) | instskip(SKIP_1) | instid1(VALU_DEP_2)
	v_fma_f64 v[160:161], v[196:197], v[204:205], -v[160:161]
	v_mul_f64 v[196:197], v[196:197], v[162:163]
	v_add_f64 v[152:153], v[152:153], -v[160:161]
	s_delay_alu instid0(VALU_DEP_2) | instskip(NEXT) | instid1(VALU_DEP_1)
	v_fma_f64 v[196:197], v[198:199], v[204:205], v[196:197]
	v_add_f64 v[154:155], v[154:155], -v[196:197]
	ds_load_2addr_b64 v[196:199], v206 offset0:22 offset1:23
	s_waitcnt lgkmcnt(0)
	v_mul_f64 v[160:161], v[198:199], v[162:163]
	s_delay_alu instid0(VALU_DEP_1) | instskip(SKIP_1) | instid1(VALU_DEP_2)
	v_fma_f64 v[160:161], v[196:197], v[204:205], -v[160:161]
	v_mul_f64 v[196:197], v[196:197], v[162:163]
	v_add_f64 v[148:149], v[148:149], -v[160:161]
	s_delay_alu instid0(VALU_DEP_2) | instskip(NEXT) | instid1(VALU_DEP_1)
	v_fma_f64 v[196:197], v[198:199], v[204:205], v[196:197]
	v_add_f64 v[150:151], v[150:151], -v[196:197]
	ds_load_2addr_b64 v[196:199], v206 offset0:24 offset1:25
	s_waitcnt lgkmcnt(0)
	v_mul_f64 v[160:161], v[198:199], v[162:163]
	s_delay_alu instid0(VALU_DEP_1) | instskip(SKIP_1) | instid1(VALU_DEP_2)
	v_fma_f64 v[160:161], v[196:197], v[204:205], -v[160:161]
	v_mul_f64 v[196:197], v[196:197], v[162:163]
	v_add_f64 v[144:145], v[144:145], -v[160:161]
	s_delay_alu instid0(VALU_DEP_2) | instskip(NEXT) | instid1(VALU_DEP_1)
	v_fma_f64 v[196:197], v[198:199], v[204:205], v[196:197]
	v_add_f64 v[146:147], v[146:147], -v[196:197]
	ds_load_2addr_b64 v[196:199], v206 offset0:26 offset1:27
	s_waitcnt lgkmcnt(0)
	v_mul_f64 v[160:161], v[198:199], v[162:163]
	s_delay_alu instid0(VALU_DEP_1) | instskip(SKIP_1) | instid1(VALU_DEP_2)
	v_fma_f64 v[160:161], v[196:197], v[204:205], -v[160:161]
	v_mul_f64 v[196:197], v[196:197], v[162:163]
	v_add_f64 v[140:141], v[140:141], -v[160:161]
	s_delay_alu instid0(VALU_DEP_2) | instskip(NEXT) | instid1(VALU_DEP_1)
	v_fma_f64 v[196:197], v[198:199], v[204:205], v[196:197]
	v_add_f64 v[142:143], v[142:143], -v[196:197]
	ds_load_2addr_b64 v[196:199], v206 offset0:28 offset1:29
	s_waitcnt lgkmcnt(0)
	v_mul_f64 v[160:161], v[198:199], v[162:163]
	s_delay_alu instid0(VALU_DEP_1) | instskip(SKIP_1) | instid1(VALU_DEP_2)
	v_fma_f64 v[160:161], v[196:197], v[204:205], -v[160:161]
	v_mul_f64 v[196:197], v[196:197], v[162:163]
	v_add_f64 v[136:137], v[136:137], -v[160:161]
	s_delay_alu instid0(VALU_DEP_2) | instskip(NEXT) | instid1(VALU_DEP_1)
	v_fma_f64 v[196:197], v[198:199], v[204:205], v[196:197]
	v_add_f64 v[138:139], v[138:139], -v[196:197]
	ds_load_2addr_b64 v[196:199], v206 offset0:30 offset1:31
	s_waitcnt lgkmcnt(0)
	v_mul_f64 v[160:161], v[198:199], v[162:163]
	s_delay_alu instid0(VALU_DEP_1) | instskip(SKIP_1) | instid1(VALU_DEP_2)
	v_fma_f64 v[160:161], v[196:197], v[204:205], -v[160:161]
	v_mul_f64 v[196:197], v[196:197], v[162:163]
	v_add_f64 v[132:133], v[132:133], -v[160:161]
	s_delay_alu instid0(VALU_DEP_2) | instskip(NEXT) | instid1(VALU_DEP_1)
	v_fma_f64 v[196:197], v[198:199], v[204:205], v[196:197]
	v_add_f64 v[134:135], v[134:135], -v[196:197]
	ds_load_2addr_b64 v[196:199], v206 offset0:32 offset1:33
	s_waitcnt lgkmcnt(0)
	v_mul_f64 v[160:161], v[198:199], v[162:163]
	s_delay_alu instid0(VALU_DEP_1) | instskip(SKIP_1) | instid1(VALU_DEP_2)
	v_fma_f64 v[160:161], v[196:197], v[204:205], -v[160:161]
	v_mul_f64 v[196:197], v[196:197], v[162:163]
	v_add_f64 v[128:129], v[128:129], -v[160:161]
	s_delay_alu instid0(VALU_DEP_2) | instskip(NEXT) | instid1(VALU_DEP_1)
	v_fma_f64 v[196:197], v[198:199], v[204:205], v[196:197]
	v_add_f64 v[130:131], v[130:131], -v[196:197]
	ds_load_2addr_b64 v[196:199], v206 offset0:34 offset1:35
	s_waitcnt lgkmcnt(0)
	v_mul_f64 v[160:161], v[198:199], v[162:163]
	s_delay_alu instid0(VALU_DEP_1) | instskip(SKIP_1) | instid1(VALU_DEP_2)
	v_fma_f64 v[160:161], v[196:197], v[204:205], -v[160:161]
	v_mul_f64 v[196:197], v[196:197], v[162:163]
	v_add_f64 v[124:125], v[124:125], -v[160:161]
	s_delay_alu instid0(VALU_DEP_2) | instskip(NEXT) | instid1(VALU_DEP_1)
	v_fma_f64 v[196:197], v[198:199], v[204:205], v[196:197]
	v_add_f64 v[126:127], v[126:127], -v[196:197]
	ds_load_2addr_b64 v[196:199], v206 offset0:36 offset1:37
	s_waitcnt lgkmcnt(0)
	v_mul_f64 v[160:161], v[198:199], v[162:163]
	s_delay_alu instid0(VALU_DEP_1) | instskip(SKIP_1) | instid1(VALU_DEP_2)
	v_fma_f64 v[160:161], v[196:197], v[204:205], -v[160:161]
	v_mul_f64 v[196:197], v[196:197], v[162:163]
	v_add_f64 v[120:121], v[120:121], -v[160:161]
	s_delay_alu instid0(VALU_DEP_2) | instskip(NEXT) | instid1(VALU_DEP_1)
	v_fma_f64 v[196:197], v[198:199], v[204:205], v[196:197]
	v_add_f64 v[122:123], v[122:123], -v[196:197]
	ds_load_2addr_b64 v[196:199], v206 offset0:38 offset1:39
	s_waitcnt lgkmcnt(0)
	v_mul_f64 v[160:161], v[198:199], v[162:163]
	s_delay_alu instid0(VALU_DEP_1) | instskip(SKIP_1) | instid1(VALU_DEP_2)
	v_fma_f64 v[160:161], v[196:197], v[204:205], -v[160:161]
	v_mul_f64 v[196:197], v[196:197], v[162:163]
	v_add_f64 v[116:117], v[116:117], -v[160:161]
	s_delay_alu instid0(VALU_DEP_2) | instskip(NEXT) | instid1(VALU_DEP_1)
	v_fma_f64 v[196:197], v[198:199], v[204:205], v[196:197]
	v_add_f64 v[118:119], v[118:119], -v[196:197]
	ds_load_2addr_b64 v[196:199], v206 offset0:40 offset1:41
	s_waitcnt lgkmcnt(0)
	v_mul_f64 v[160:161], v[198:199], v[162:163]
	s_delay_alu instid0(VALU_DEP_1) | instskip(SKIP_1) | instid1(VALU_DEP_2)
	v_fma_f64 v[160:161], v[196:197], v[204:205], -v[160:161]
	v_mul_f64 v[196:197], v[196:197], v[162:163]
	v_add_f64 v[112:113], v[112:113], -v[160:161]
	s_delay_alu instid0(VALU_DEP_2) | instskip(NEXT) | instid1(VALU_DEP_1)
	v_fma_f64 v[196:197], v[198:199], v[204:205], v[196:197]
	v_add_f64 v[114:115], v[114:115], -v[196:197]
	ds_load_2addr_b64 v[196:199], v206 offset0:42 offset1:43
	s_waitcnt lgkmcnt(0)
	v_mul_f64 v[160:161], v[198:199], v[162:163]
	s_delay_alu instid0(VALU_DEP_1) | instskip(SKIP_1) | instid1(VALU_DEP_2)
	v_fma_f64 v[160:161], v[196:197], v[204:205], -v[160:161]
	v_mul_f64 v[196:197], v[196:197], v[162:163]
	v_add_f64 v[108:109], v[108:109], -v[160:161]
	s_delay_alu instid0(VALU_DEP_2) | instskip(NEXT) | instid1(VALU_DEP_1)
	v_fma_f64 v[196:197], v[198:199], v[204:205], v[196:197]
	v_add_f64 v[110:111], v[110:111], -v[196:197]
	ds_load_2addr_b64 v[196:199], v206 offset0:44 offset1:45
	s_waitcnt lgkmcnt(0)
	v_mul_f64 v[160:161], v[198:199], v[162:163]
	s_delay_alu instid0(VALU_DEP_1) | instskip(SKIP_1) | instid1(VALU_DEP_2)
	v_fma_f64 v[160:161], v[196:197], v[204:205], -v[160:161]
	v_mul_f64 v[196:197], v[196:197], v[162:163]
	v_add_f64 v[104:105], v[104:105], -v[160:161]
	s_delay_alu instid0(VALU_DEP_2) | instskip(NEXT) | instid1(VALU_DEP_1)
	v_fma_f64 v[196:197], v[198:199], v[204:205], v[196:197]
	v_add_f64 v[106:107], v[106:107], -v[196:197]
	ds_load_2addr_b64 v[196:199], v206 offset0:46 offset1:47
	s_waitcnt lgkmcnt(0)
	v_mul_f64 v[160:161], v[198:199], v[162:163]
	s_delay_alu instid0(VALU_DEP_1) | instskip(SKIP_1) | instid1(VALU_DEP_2)
	v_fma_f64 v[160:161], v[196:197], v[204:205], -v[160:161]
	v_mul_f64 v[196:197], v[196:197], v[162:163]
	v_add_f64 v[100:101], v[100:101], -v[160:161]
	s_delay_alu instid0(VALU_DEP_2) | instskip(NEXT) | instid1(VALU_DEP_1)
	v_fma_f64 v[196:197], v[198:199], v[204:205], v[196:197]
	v_add_f64 v[102:103], v[102:103], -v[196:197]
	ds_load_2addr_b64 v[196:199], v206 offset0:48 offset1:49
	s_waitcnt lgkmcnt(0)
	v_mul_f64 v[160:161], v[198:199], v[162:163]
	s_delay_alu instid0(VALU_DEP_1) | instskip(SKIP_1) | instid1(VALU_DEP_2)
	v_fma_f64 v[160:161], v[196:197], v[204:205], -v[160:161]
	v_mul_f64 v[196:197], v[196:197], v[162:163]
	v_add_f64 v[96:97], v[96:97], -v[160:161]
	s_delay_alu instid0(VALU_DEP_2) | instskip(NEXT) | instid1(VALU_DEP_1)
	v_fma_f64 v[196:197], v[198:199], v[204:205], v[196:197]
	v_add_f64 v[98:99], v[98:99], -v[196:197]
	ds_load_2addr_b64 v[196:199], v206 offset0:50 offset1:51
	s_waitcnt lgkmcnt(0)
	v_mul_f64 v[160:161], v[198:199], v[162:163]
	s_delay_alu instid0(VALU_DEP_1) | instskip(SKIP_1) | instid1(VALU_DEP_2)
	v_fma_f64 v[160:161], v[196:197], v[204:205], -v[160:161]
	v_mul_f64 v[196:197], v[196:197], v[162:163]
	v_add_f64 v[92:93], v[92:93], -v[160:161]
	s_delay_alu instid0(VALU_DEP_2) | instskip(NEXT) | instid1(VALU_DEP_1)
	v_fma_f64 v[196:197], v[198:199], v[204:205], v[196:197]
	v_add_f64 v[94:95], v[94:95], -v[196:197]
	ds_load_2addr_b64 v[196:199], v206 offset0:52 offset1:53
	s_waitcnt lgkmcnt(0)
	v_mul_f64 v[160:161], v[198:199], v[162:163]
	s_delay_alu instid0(VALU_DEP_1) | instskip(SKIP_1) | instid1(VALU_DEP_2)
	v_fma_f64 v[160:161], v[196:197], v[204:205], -v[160:161]
	v_mul_f64 v[196:197], v[196:197], v[162:163]
	v_add_f64 v[88:89], v[88:89], -v[160:161]
	s_delay_alu instid0(VALU_DEP_2) | instskip(NEXT) | instid1(VALU_DEP_1)
	v_fma_f64 v[196:197], v[198:199], v[204:205], v[196:197]
	v_add_f64 v[90:91], v[90:91], -v[196:197]
	ds_load_2addr_b64 v[196:199], v206 offset0:54 offset1:55
	s_waitcnt lgkmcnt(0)
	v_mul_f64 v[160:161], v[198:199], v[162:163]
	s_delay_alu instid0(VALU_DEP_1) | instskip(SKIP_1) | instid1(VALU_DEP_2)
	v_fma_f64 v[160:161], v[196:197], v[204:205], -v[160:161]
	v_mul_f64 v[196:197], v[196:197], v[162:163]
	v_add_f64 v[84:85], v[84:85], -v[160:161]
	s_delay_alu instid0(VALU_DEP_2) | instskip(NEXT) | instid1(VALU_DEP_1)
	v_fma_f64 v[196:197], v[198:199], v[204:205], v[196:197]
	v_add_f64 v[86:87], v[86:87], -v[196:197]
	ds_load_2addr_b64 v[196:199], v206 offset0:56 offset1:57
	s_waitcnt lgkmcnt(0)
	v_mul_f64 v[160:161], v[198:199], v[162:163]
	s_delay_alu instid0(VALU_DEP_1) | instskip(SKIP_1) | instid1(VALU_DEP_2)
	v_fma_f64 v[160:161], v[196:197], v[204:205], -v[160:161]
	v_mul_f64 v[196:197], v[196:197], v[162:163]
	v_add_f64 v[80:81], v[80:81], -v[160:161]
	s_delay_alu instid0(VALU_DEP_2) | instskip(NEXT) | instid1(VALU_DEP_1)
	v_fma_f64 v[196:197], v[198:199], v[204:205], v[196:197]
	v_add_f64 v[82:83], v[82:83], -v[196:197]
	ds_load_2addr_b64 v[196:199], v206 offset0:58 offset1:59
	s_waitcnt lgkmcnt(0)
	v_mul_f64 v[160:161], v[198:199], v[162:163]
	s_delay_alu instid0(VALU_DEP_1) | instskip(SKIP_1) | instid1(VALU_DEP_2)
	v_fma_f64 v[160:161], v[196:197], v[204:205], -v[160:161]
	v_mul_f64 v[196:197], v[196:197], v[162:163]
	v_add_f64 v[76:77], v[76:77], -v[160:161]
	s_delay_alu instid0(VALU_DEP_2) | instskip(NEXT) | instid1(VALU_DEP_1)
	v_fma_f64 v[196:197], v[198:199], v[204:205], v[196:197]
	v_add_f64 v[78:79], v[78:79], -v[196:197]
	ds_load_2addr_b64 v[196:199], v206 offset0:60 offset1:61
	s_waitcnt lgkmcnt(0)
	v_mul_f64 v[160:161], v[198:199], v[162:163]
	s_delay_alu instid0(VALU_DEP_1) | instskip(SKIP_1) | instid1(VALU_DEP_2)
	v_fma_f64 v[160:161], v[196:197], v[204:205], -v[160:161]
	v_mul_f64 v[196:197], v[196:197], v[162:163]
	v_add_f64 v[72:73], v[72:73], -v[160:161]
	s_delay_alu instid0(VALU_DEP_2) | instskip(NEXT) | instid1(VALU_DEP_1)
	v_fma_f64 v[196:197], v[198:199], v[204:205], v[196:197]
	v_add_f64 v[74:75], v[74:75], -v[196:197]
	ds_load_2addr_b64 v[196:199], v206 offset0:62 offset1:63
	s_waitcnt lgkmcnt(0)
	v_mul_f64 v[160:161], v[198:199], v[162:163]
	s_delay_alu instid0(VALU_DEP_1) | instskip(SKIP_1) | instid1(VALU_DEP_2)
	v_fma_f64 v[160:161], v[196:197], v[204:205], -v[160:161]
	v_mul_f64 v[196:197], v[196:197], v[162:163]
	v_add_f64 v[68:69], v[68:69], -v[160:161]
	s_delay_alu instid0(VALU_DEP_2) | instskip(NEXT) | instid1(VALU_DEP_1)
	v_fma_f64 v[196:197], v[198:199], v[204:205], v[196:197]
	v_add_f64 v[70:71], v[70:71], -v[196:197]
	ds_load_2addr_b64 v[196:199], v206 offset0:64 offset1:65
	s_waitcnt lgkmcnt(0)
	v_mul_f64 v[160:161], v[198:199], v[162:163]
	s_delay_alu instid0(VALU_DEP_1) | instskip(SKIP_1) | instid1(VALU_DEP_2)
	v_fma_f64 v[160:161], v[196:197], v[204:205], -v[160:161]
	v_mul_f64 v[196:197], v[196:197], v[162:163]
	v_add_f64 v[64:65], v[64:65], -v[160:161]
	s_delay_alu instid0(VALU_DEP_2) | instskip(NEXT) | instid1(VALU_DEP_1)
	v_fma_f64 v[196:197], v[198:199], v[204:205], v[196:197]
	v_add_f64 v[66:67], v[66:67], -v[196:197]
	ds_load_2addr_b64 v[196:199], v206 offset0:66 offset1:67
	s_waitcnt lgkmcnt(0)
	v_mul_f64 v[160:161], v[198:199], v[162:163]
	s_delay_alu instid0(VALU_DEP_1) | instskip(SKIP_1) | instid1(VALU_DEP_2)
	v_fma_f64 v[160:161], v[196:197], v[204:205], -v[160:161]
	v_mul_f64 v[196:197], v[196:197], v[162:163]
	v_add_f64 v[60:61], v[60:61], -v[160:161]
	s_delay_alu instid0(VALU_DEP_2) | instskip(NEXT) | instid1(VALU_DEP_1)
	v_fma_f64 v[196:197], v[198:199], v[204:205], v[196:197]
	v_add_f64 v[62:63], v[62:63], -v[196:197]
	ds_load_2addr_b64 v[196:199], v206 offset0:68 offset1:69
	s_waitcnt lgkmcnt(0)
	v_mul_f64 v[160:161], v[198:199], v[162:163]
	s_delay_alu instid0(VALU_DEP_1) | instskip(SKIP_1) | instid1(VALU_DEP_2)
	v_fma_f64 v[160:161], v[196:197], v[204:205], -v[160:161]
	v_mul_f64 v[196:197], v[196:197], v[162:163]
	v_add_f64 v[56:57], v[56:57], -v[160:161]
	s_delay_alu instid0(VALU_DEP_2) | instskip(NEXT) | instid1(VALU_DEP_1)
	v_fma_f64 v[196:197], v[198:199], v[204:205], v[196:197]
	v_add_f64 v[58:59], v[58:59], -v[196:197]
	ds_load_2addr_b64 v[196:199], v206 offset0:70 offset1:71
	s_waitcnt lgkmcnt(0)
	v_mul_f64 v[160:161], v[198:199], v[162:163]
	s_delay_alu instid0(VALU_DEP_1) | instskip(SKIP_1) | instid1(VALU_DEP_2)
	v_fma_f64 v[160:161], v[196:197], v[204:205], -v[160:161]
	v_mul_f64 v[196:197], v[196:197], v[162:163]
	v_add_f64 v[52:53], v[52:53], -v[160:161]
	s_delay_alu instid0(VALU_DEP_2) | instskip(NEXT) | instid1(VALU_DEP_1)
	v_fma_f64 v[196:197], v[198:199], v[204:205], v[196:197]
	v_add_f64 v[54:55], v[54:55], -v[196:197]
	ds_load_2addr_b64 v[196:199], v206 offset0:72 offset1:73
	s_waitcnt lgkmcnt(0)
	v_mul_f64 v[160:161], v[198:199], v[162:163]
	s_delay_alu instid0(VALU_DEP_1) | instskip(SKIP_1) | instid1(VALU_DEP_2)
	v_fma_f64 v[160:161], v[196:197], v[204:205], -v[160:161]
	v_mul_f64 v[196:197], v[196:197], v[162:163]
	v_add_f64 v[48:49], v[48:49], -v[160:161]
	s_delay_alu instid0(VALU_DEP_2) | instskip(NEXT) | instid1(VALU_DEP_1)
	v_fma_f64 v[196:197], v[198:199], v[204:205], v[196:197]
	v_add_f64 v[50:51], v[50:51], -v[196:197]
	ds_load_2addr_b64 v[196:199], v206 offset0:74 offset1:75
	s_waitcnt lgkmcnt(0)
	v_mul_f64 v[160:161], v[198:199], v[162:163]
	s_delay_alu instid0(VALU_DEP_1) | instskip(SKIP_1) | instid1(VALU_DEP_2)
	v_fma_f64 v[160:161], v[196:197], v[204:205], -v[160:161]
	v_mul_f64 v[196:197], v[196:197], v[162:163]
	v_add_f64 v[44:45], v[44:45], -v[160:161]
	s_delay_alu instid0(VALU_DEP_2) | instskip(NEXT) | instid1(VALU_DEP_1)
	v_fma_f64 v[196:197], v[198:199], v[204:205], v[196:197]
	v_add_f64 v[46:47], v[46:47], -v[196:197]
	ds_load_2addr_b64 v[196:199], v206 offset0:76 offset1:77
	s_waitcnt lgkmcnt(0)
	v_mul_f64 v[160:161], v[198:199], v[162:163]
	s_delay_alu instid0(VALU_DEP_1) | instskip(SKIP_1) | instid1(VALU_DEP_2)
	v_fma_f64 v[160:161], v[196:197], v[204:205], -v[160:161]
	v_mul_f64 v[196:197], v[196:197], v[162:163]
	v_add_f64 v[40:41], v[40:41], -v[160:161]
	s_delay_alu instid0(VALU_DEP_2) | instskip(NEXT) | instid1(VALU_DEP_1)
	v_fma_f64 v[196:197], v[198:199], v[204:205], v[196:197]
	v_add_f64 v[42:43], v[42:43], -v[196:197]
	ds_load_2addr_b64 v[196:199], v206 offset0:78 offset1:79
	s_waitcnt lgkmcnt(0)
	v_mul_f64 v[160:161], v[198:199], v[162:163]
	s_delay_alu instid0(VALU_DEP_1) | instskip(SKIP_1) | instid1(VALU_DEP_2)
	v_fma_f64 v[160:161], v[196:197], v[204:205], -v[160:161]
	v_mul_f64 v[196:197], v[196:197], v[162:163]
	v_add_f64 v[36:37], v[36:37], -v[160:161]
	s_delay_alu instid0(VALU_DEP_2) | instskip(NEXT) | instid1(VALU_DEP_1)
	v_fma_f64 v[196:197], v[198:199], v[204:205], v[196:197]
	v_add_f64 v[38:39], v[38:39], -v[196:197]
	ds_load_2addr_b64 v[196:199], v206 offset0:80 offset1:81
	s_waitcnt lgkmcnt(0)
	v_mul_f64 v[160:161], v[198:199], v[162:163]
	s_delay_alu instid0(VALU_DEP_1) | instskip(SKIP_1) | instid1(VALU_DEP_2)
	v_fma_f64 v[160:161], v[196:197], v[204:205], -v[160:161]
	v_mul_f64 v[196:197], v[196:197], v[162:163]
	v_add_f64 v[32:33], v[32:33], -v[160:161]
	s_delay_alu instid0(VALU_DEP_2) | instskip(NEXT) | instid1(VALU_DEP_1)
	v_fma_f64 v[196:197], v[198:199], v[204:205], v[196:197]
	v_add_f64 v[34:35], v[34:35], -v[196:197]
	ds_load_2addr_b64 v[196:199], v206 offset0:82 offset1:83
	s_waitcnt lgkmcnt(0)
	v_mul_f64 v[160:161], v[198:199], v[162:163]
	s_delay_alu instid0(VALU_DEP_1) | instskip(SKIP_1) | instid1(VALU_DEP_2)
	v_fma_f64 v[160:161], v[196:197], v[204:205], -v[160:161]
	v_mul_f64 v[196:197], v[196:197], v[162:163]
	v_add_f64 v[28:29], v[28:29], -v[160:161]
	s_delay_alu instid0(VALU_DEP_2) | instskip(NEXT) | instid1(VALU_DEP_1)
	v_fma_f64 v[196:197], v[198:199], v[204:205], v[196:197]
	v_add_f64 v[30:31], v[30:31], -v[196:197]
	ds_load_2addr_b64 v[196:199], v206 offset0:84 offset1:85
	s_waitcnt lgkmcnt(0)
	v_mul_f64 v[160:161], v[198:199], v[162:163]
	s_delay_alu instid0(VALU_DEP_1) | instskip(SKIP_1) | instid1(VALU_DEP_2)
	v_fma_f64 v[160:161], v[196:197], v[204:205], -v[160:161]
	v_mul_f64 v[196:197], v[196:197], v[162:163]
	v_add_f64 v[24:25], v[24:25], -v[160:161]
	s_delay_alu instid0(VALU_DEP_2) | instskip(NEXT) | instid1(VALU_DEP_1)
	v_fma_f64 v[196:197], v[198:199], v[204:205], v[196:197]
	v_add_f64 v[26:27], v[26:27], -v[196:197]
	ds_load_2addr_b64 v[196:199], v206 offset0:86 offset1:87
	s_waitcnt lgkmcnt(0)
	v_mul_f64 v[160:161], v[198:199], v[162:163]
	s_delay_alu instid0(VALU_DEP_1) | instskip(SKIP_1) | instid1(VALU_DEP_2)
	v_fma_f64 v[160:161], v[196:197], v[204:205], -v[160:161]
	v_mul_f64 v[196:197], v[196:197], v[162:163]
	v_add_f64 v[20:21], v[20:21], -v[160:161]
	s_delay_alu instid0(VALU_DEP_2) | instskip(NEXT) | instid1(VALU_DEP_1)
	v_fma_f64 v[196:197], v[198:199], v[204:205], v[196:197]
	v_add_f64 v[22:23], v[22:23], -v[196:197]
	ds_load_2addr_b64 v[196:199], v206 offset0:88 offset1:89
	s_waitcnt lgkmcnt(0)
	v_mul_f64 v[160:161], v[198:199], v[162:163]
	s_delay_alu instid0(VALU_DEP_1) | instskip(SKIP_1) | instid1(VALU_DEP_2)
	v_fma_f64 v[160:161], v[196:197], v[204:205], -v[160:161]
	v_mul_f64 v[196:197], v[196:197], v[162:163]
	v_add_f64 v[16:17], v[16:17], -v[160:161]
	s_delay_alu instid0(VALU_DEP_2) | instskip(NEXT) | instid1(VALU_DEP_1)
	v_fma_f64 v[196:197], v[198:199], v[204:205], v[196:197]
	v_add_f64 v[18:19], v[18:19], -v[196:197]
	ds_load_2addr_b64 v[196:199], v206 offset0:90 offset1:91
	s_waitcnt lgkmcnt(0)
	v_mul_f64 v[160:161], v[198:199], v[162:163]
	s_delay_alu instid0(VALU_DEP_1) | instskip(SKIP_1) | instid1(VALU_DEP_2)
	v_fma_f64 v[160:161], v[196:197], v[204:205], -v[160:161]
	v_mul_f64 v[196:197], v[196:197], v[162:163]
	v_add_f64 v[12:13], v[12:13], -v[160:161]
	s_delay_alu instid0(VALU_DEP_2) | instskip(NEXT) | instid1(VALU_DEP_1)
	v_fma_f64 v[196:197], v[198:199], v[204:205], v[196:197]
	v_add_f64 v[14:15], v[14:15], -v[196:197]
	ds_load_2addr_b64 v[196:199], v206 offset0:92 offset1:93
	s_waitcnt lgkmcnt(0)
	v_mul_f64 v[160:161], v[198:199], v[162:163]
	s_delay_alu instid0(VALU_DEP_1) | instskip(SKIP_1) | instid1(VALU_DEP_2)
	v_fma_f64 v[160:161], v[196:197], v[204:205], -v[160:161]
	v_mul_f64 v[196:197], v[196:197], v[162:163]
	v_add_f64 v[8:9], v[8:9], -v[160:161]
	s_delay_alu instid0(VALU_DEP_2) | instskip(NEXT) | instid1(VALU_DEP_1)
	v_fma_f64 v[196:197], v[198:199], v[204:205], v[196:197]
	v_add_f64 v[10:11], v[10:11], -v[196:197]
	ds_load_2addr_b64 v[196:199], v206 offset0:94 offset1:95
	s_waitcnt lgkmcnt(0)
	v_mul_f64 v[160:161], v[198:199], v[162:163]
	s_delay_alu instid0(VALU_DEP_1) | instskip(SKIP_1) | instid1(VALU_DEP_2)
	v_fma_f64 v[160:161], v[196:197], v[204:205], -v[160:161]
	v_mul_f64 v[196:197], v[196:197], v[162:163]
	v_add_f64 v[4:5], v[4:5], -v[160:161]
	s_delay_alu instid0(VALU_DEP_2) | instskip(NEXT) | instid1(VALU_DEP_1)
	v_fma_f64 v[196:197], v[198:199], v[204:205], v[196:197]
	v_add_f64 v[6:7], v[6:7], -v[196:197]
	ds_load_2addr_b64 v[196:199], v206 offset0:96 offset1:97
	s_waitcnt lgkmcnt(0)
	v_mul_f64 v[160:161], v[198:199], v[162:163]
	s_delay_alu instid0(VALU_DEP_1) | instskip(SKIP_1) | instid1(VALU_DEP_2)
	v_fma_f64 v[160:161], v[196:197], v[204:205], -v[160:161]
	v_mul_f64 v[196:197], v[196:197], v[162:163]
	v_add_f64 v[0:1], v[0:1], -v[160:161]
	s_delay_alu instid0(VALU_DEP_2) | instskip(SKIP_1) | instid1(VALU_DEP_2)
	v_fma_f64 v[196:197], v[198:199], v[204:205], v[196:197]
	v_dual_mov_b32 v160, v204 :: v_dual_mov_b32 v161, v205
	v_add_f64 v[2:3], v[2:3], -v[196:197]
.LBB96_188:
	s_or_b32 exec_lo, exec_lo, s2
	v_lshl_add_u32 v196, v212, 4, v206
	s_barrier
	buffer_gl0_inv
	v_mov_b32_e32 v204, 9
	ds_store_2addr_b64 v196, v[156:157], v[158:159] offset1:1
	s_waitcnt lgkmcnt(0)
	s_barrier
	buffer_gl0_inv
	ds_load_2addr_b64 v[196:199], v206 offset0:18 offset1:19
	s_cmp_lt_i32 s5, 11
	s_cbranch_scc1 .LBB96_191
; %bb.189:
	v_add3_u32 v205, v211, 0, 0xa0
	v_mov_b32_e32 v204, 9
	s_mov_b32 s6, 10
	s_set_inst_prefetch_distance 0x1
	.p2align	6
.LBB96_190:                             ; =>This Inner Loop Header: Depth=1
	ds_load_2addr_b64 v[213:216], v205 offset1:1
	s_waitcnt lgkmcnt(1)
	v_cmp_gt_f64_e32 vcc_lo, 0, v[196:197]
	v_xor_b32_e32 v217, 0x80000000, v197
	v_cmp_gt_f64_e64 s2, 0, v[198:199]
	v_xor_b32_e32 v219, 0x80000000, v199
	v_add_nc_u32_e32 v205, 16, v205
	s_waitcnt lgkmcnt(0)
	v_cmp_gt_f64_e64 s3, 0, v[213:214]
	v_mov_b32_e32 v221, v213
	v_dual_mov_b32 v223, v215 :: v_dual_cndmask_b32 v218, v197, v217
	v_xor_b32_e32 v217, 0x80000000, v214
	v_cndmask_b32_e64 v220, v199, v219, s2
	v_xor_b32_e32 v219, 0x80000000, v216
	s_delay_alu instid0(VALU_DEP_3) | instskip(SKIP_2) | instid1(VALU_DEP_2)
	v_cndmask_b32_e64 v222, v214, v217, s3
	v_cmp_gt_f64_e64 s3, 0, v[215:216]
	v_cndmask_b32_e32 v217, v196, v196, vcc_lo
	v_cndmask_b32_e64 v224, v216, v219, s3
	v_cndmask_b32_e64 v219, v198, v198, s2
	s_delay_alu instid0(VALU_DEP_2) | instskip(NEXT) | instid1(VALU_DEP_2)
	v_add_f64 v[221:222], v[221:222], v[223:224]
	v_add_f64 v[217:218], v[217:218], v[219:220]
	s_delay_alu instid0(VALU_DEP_1) | instskip(SKIP_4) | instid1(SALU_CYCLE_1)
	v_cmp_lt_f64_e32 vcc_lo, v[217:218], v[221:222]
	v_dual_cndmask_b32 v198, v198, v215 :: v_dual_cndmask_b32 v197, v197, v214
	v_dual_cndmask_b32 v196, v196, v213 :: v_dual_cndmask_b32 v199, v199, v216
	v_cndmask_b32_e64 v204, v204, s6, vcc_lo
	s_add_i32 s6, s6, 1
	s_cmp_lg_u32 s5, s6
	s_cbranch_scc1 .LBB96_190
.LBB96_191:
	s_set_inst_prefetch_distance 0x2
	s_waitcnt lgkmcnt(0)
	v_cmp_eq_f64_e32 vcc_lo, 0, v[196:197]
	v_cmp_eq_f64_e64 s2, 0, v[198:199]
	s_delay_alu instid0(VALU_DEP_1) | instskip(NEXT) | instid1(SALU_CYCLE_1)
	s_and_b32 s2, vcc_lo, s2
	s_and_saveexec_b32 s3, s2
	s_delay_alu instid0(SALU_CYCLE_1)
	s_xor_b32 s2, exec_lo, s3
; %bb.192:
	v_cmp_ne_u32_e32 vcc_lo, 0, v209
	v_cndmask_b32_e32 v209, 10, v209, vcc_lo
; %bb.193:
	s_and_not1_saveexec_b32 s3, s2
	s_cbranch_execz .LBB96_199
; %bb.194:
	v_cmp_gt_f64_e32 vcc_lo, 0, v[196:197]
	v_cmp_gt_f64_e64 s2, 0, v[198:199]
	v_xor_b32_e32 v205, 0x80000000, v197
	v_xor_b32_e32 v213, 0x80000000, v199
	s_delay_alu instid0(VALU_DEP_2) | instskip(NEXT) | instid1(VALU_DEP_2)
	v_cndmask_b32_e32 v214, v197, v205, vcc_lo
	v_cndmask_b32_e64 v216, v199, v213, s2
	v_cndmask_b32_e32 v213, v196, v196, vcc_lo
	v_cndmask_b32_e64 v215, v198, v198, s2
	s_mov_b32 s2, exec_lo
	s_delay_alu instid0(VALU_DEP_1)
	v_cmpx_ngt_f64_e32 v[213:214], v[215:216]
	s_xor_b32 s2, exec_lo, s2
	s_cbranch_execz .LBB96_196
; %bb.195:
	v_div_scale_f64 v[213:214], null, v[198:199], v[198:199], v[196:197]
	v_div_scale_f64 v[219:220], vcc_lo, v[196:197], v[198:199], v[196:197]
	s_delay_alu instid0(VALU_DEP_2) | instskip(SKIP_2) | instid1(VALU_DEP_1)
	v_rcp_f64_e32 v[215:216], v[213:214]
	s_waitcnt_depctr 0xfff
	v_fma_f64 v[217:218], -v[213:214], v[215:216], 1.0
	v_fma_f64 v[215:216], v[215:216], v[217:218], v[215:216]
	s_delay_alu instid0(VALU_DEP_1) | instskip(NEXT) | instid1(VALU_DEP_1)
	v_fma_f64 v[217:218], -v[213:214], v[215:216], 1.0
	v_fma_f64 v[215:216], v[215:216], v[217:218], v[215:216]
	s_delay_alu instid0(VALU_DEP_1) | instskip(NEXT) | instid1(VALU_DEP_1)
	v_mul_f64 v[217:218], v[219:220], v[215:216]
	v_fma_f64 v[213:214], -v[213:214], v[217:218], v[219:220]
	s_delay_alu instid0(VALU_DEP_1) | instskip(NEXT) | instid1(VALU_DEP_1)
	v_div_fmas_f64 v[213:214], v[213:214], v[215:216], v[217:218]
	v_div_fixup_f64 v[213:214], v[213:214], v[198:199], v[196:197]
	s_delay_alu instid0(VALU_DEP_1) | instskip(NEXT) | instid1(VALU_DEP_1)
	v_fma_f64 v[196:197], v[196:197], v[213:214], v[198:199]
	v_div_scale_f64 v[198:199], null, v[196:197], v[196:197], 1.0
	s_delay_alu instid0(VALU_DEP_1) | instskip(SKIP_2) | instid1(VALU_DEP_1)
	v_rcp_f64_e32 v[215:216], v[198:199]
	s_waitcnt_depctr 0xfff
	v_fma_f64 v[217:218], -v[198:199], v[215:216], 1.0
	v_fma_f64 v[215:216], v[215:216], v[217:218], v[215:216]
	s_delay_alu instid0(VALU_DEP_1) | instskip(NEXT) | instid1(VALU_DEP_1)
	v_fma_f64 v[217:218], -v[198:199], v[215:216], 1.0
	v_fma_f64 v[215:216], v[215:216], v[217:218], v[215:216]
	v_div_scale_f64 v[217:218], vcc_lo, 1.0, v[196:197], 1.0
	s_delay_alu instid0(VALU_DEP_1) | instskip(NEXT) | instid1(VALU_DEP_1)
	v_mul_f64 v[219:220], v[217:218], v[215:216]
	v_fma_f64 v[198:199], -v[198:199], v[219:220], v[217:218]
	s_delay_alu instid0(VALU_DEP_1) | instskip(NEXT) | instid1(VALU_DEP_1)
	v_div_fmas_f64 v[198:199], v[198:199], v[215:216], v[219:220]
	v_div_fixup_f64 v[198:199], v[198:199], v[196:197], 1.0
	s_delay_alu instid0(VALU_DEP_1)
	v_mul_f64 v[196:197], v[213:214], v[198:199]
	v_xor_b32_e32 v199, 0x80000000, v199
.LBB96_196:
	s_and_not1_saveexec_b32 s2, s2
	s_cbranch_execz .LBB96_198
; %bb.197:
	s_delay_alu instid0(VALU_DEP_1) | instskip(SKIP_1) | instid1(VALU_DEP_2)
	v_div_scale_f64 v[213:214], null, v[196:197], v[196:197], v[198:199]
	v_div_scale_f64 v[219:220], vcc_lo, v[198:199], v[196:197], v[198:199]
	v_rcp_f64_e32 v[215:216], v[213:214]
	s_waitcnt_depctr 0xfff
	v_fma_f64 v[217:218], -v[213:214], v[215:216], 1.0
	s_delay_alu instid0(VALU_DEP_1) | instskip(NEXT) | instid1(VALU_DEP_1)
	v_fma_f64 v[215:216], v[215:216], v[217:218], v[215:216]
	v_fma_f64 v[217:218], -v[213:214], v[215:216], 1.0
	s_delay_alu instid0(VALU_DEP_1) | instskip(NEXT) | instid1(VALU_DEP_1)
	v_fma_f64 v[215:216], v[215:216], v[217:218], v[215:216]
	v_mul_f64 v[217:218], v[219:220], v[215:216]
	s_delay_alu instid0(VALU_DEP_1) | instskip(NEXT) | instid1(VALU_DEP_1)
	v_fma_f64 v[213:214], -v[213:214], v[217:218], v[219:220]
	v_div_fmas_f64 v[213:214], v[213:214], v[215:216], v[217:218]
	s_delay_alu instid0(VALU_DEP_1) | instskip(NEXT) | instid1(VALU_DEP_1)
	v_div_fixup_f64 v[213:214], v[213:214], v[196:197], v[198:199]
	v_fma_f64 v[196:197], v[198:199], v[213:214], v[196:197]
	s_delay_alu instid0(VALU_DEP_1) | instskip(NEXT) | instid1(VALU_DEP_1)
	v_div_scale_f64 v[198:199], null, v[196:197], v[196:197], 1.0
	v_rcp_f64_e32 v[215:216], v[198:199]
	s_waitcnt_depctr 0xfff
	v_fma_f64 v[217:218], -v[198:199], v[215:216], 1.0
	s_delay_alu instid0(VALU_DEP_1) | instskip(NEXT) | instid1(VALU_DEP_1)
	v_fma_f64 v[215:216], v[215:216], v[217:218], v[215:216]
	v_fma_f64 v[217:218], -v[198:199], v[215:216], 1.0
	s_delay_alu instid0(VALU_DEP_1) | instskip(SKIP_1) | instid1(VALU_DEP_1)
	v_fma_f64 v[215:216], v[215:216], v[217:218], v[215:216]
	v_div_scale_f64 v[217:218], vcc_lo, 1.0, v[196:197], 1.0
	v_mul_f64 v[219:220], v[217:218], v[215:216]
	s_delay_alu instid0(VALU_DEP_1) | instskip(NEXT) | instid1(VALU_DEP_1)
	v_fma_f64 v[198:199], -v[198:199], v[219:220], v[217:218]
	v_div_fmas_f64 v[198:199], v[198:199], v[215:216], v[219:220]
	s_delay_alu instid0(VALU_DEP_1) | instskip(NEXT) | instid1(VALU_DEP_1)
	v_div_fixup_f64 v[196:197], v[198:199], v[196:197], 1.0
	v_mul_f64 v[198:199], v[213:214], -v[196:197]
.LBB96_198:
	s_or_b32 exec_lo, exec_lo, s2
.LBB96_199:
	s_delay_alu instid0(SALU_CYCLE_1) | instskip(NEXT) | instid1(SALU_CYCLE_1)
	s_or_b32 exec_lo, exec_lo, s3
	s_mov_b32 s2, exec_lo
	v_cmpx_ne_u32_e64 v212, v204
	s_xor_b32 s2, exec_lo, s2
	s_cbranch_execz .LBB96_205
; %bb.200:
	s_mov_b32 s3, exec_lo
	v_cmpx_eq_u32_e32 9, v212
	s_cbranch_execz .LBB96_204
; %bb.201:
	v_cmp_ne_u32_e32 vcc_lo, 9, v204
	s_xor_b32 s6, s4, -1
	s_delay_alu instid0(SALU_CYCLE_1) | instskip(NEXT) | instid1(SALU_CYCLE_1)
	s_and_b32 s7, s6, vcc_lo
	s_and_saveexec_b32 s6, s7
	s_cbranch_execz .LBB96_203
; %bb.202:
	v_ashrrev_i32_e32 v205, 31, v204
	s_delay_alu instid0(VALU_DEP_1) | instskip(NEXT) | instid1(VALU_DEP_1)
	v_lshlrev_b64 v[212:213], 2, v[204:205]
	v_add_co_u32 v212, vcc_lo, v202, v212
	s_delay_alu instid0(VALU_DEP_2)
	v_add_co_ci_u32_e32 v213, vcc_lo, v203, v213, vcc_lo
	s_clause 0x1
	flat_load_b32 v205, v[212:213]
	flat_load_b32 v210, v[202:203] offset:36
	s_waitcnt vmcnt(1) lgkmcnt(1)
	flat_store_b32 v[202:203], v205 offset:36
	s_waitcnt vmcnt(0) lgkmcnt(1)
	flat_store_b32 v[212:213], v210
.LBB96_203:
	s_or_b32 exec_lo, exec_lo, s6
	v_mov_b32_e32 v212, v204
	v_mov_b32_e32 v210, v204
.LBB96_204:
	s_or_b32 exec_lo, exec_lo, s3
.LBB96_205:
	s_and_not1_saveexec_b32 s2, s2
	s_cbranch_execz .LBB96_207
; %bb.206:
	v_mov_b32_e32 v212, 9
	ds_store_2addr_b64 v206, v[152:153], v[154:155] offset0:20 offset1:21
	ds_store_2addr_b64 v206, v[148:149], v[150:151] offset0:22 offset1:23
	;; [unrolled: 1-line block ×39, first 2 shown]
.LBB96_207:
	s_or_b32 exec_lo, exec_lo, s2
	s_delay_alu instid0(SALU_CYCLE_1)
	s_mov_b32 s2, exec_lo
	s_waitcnt lgkmcnt(0)
	s_waitcnt_vscnt null, 0x0
	s_barrier
	buffer_gl0_inv
	v_cmpx_lt_i32_e32 9, v212
	s_cbranch_execz .LBB96_209
; %bb.208:
	v_mul_f64 v[204:205], v[198:199], v[158:159]
	v_mul_f64 v[158:159], v[196:197], v[158:159]
	s_delay_alu instid0(VALU_DEP_2) | instskip(NEXT) | instid1(VALU_DEP_2)
	v_fma_f64 v[204:205], v[196:197], v[156:157], -v[204:205]
	v_fma_f64 v[158:159], v[198:199], v[156:157], v[158:159]
	ds_load_2addr_b64 v[196:199], v206 offset0:20 offset1:21
	s_waitcnt lgkmcnt(0)
	v_mul_f64 v[156:157], v[198:199], v[158:159]
	s_delay_alu instid0(VALU_DEP_1) | instskip(SKIP_1) | instid1(VALU_DEP_2)
	v_fma_f64 v[156:157], v[196:197], v[204:205], -v[156:157]
	v_mul_f64 v[196:197], v[196:197], v[158:159]
	v_add_f64 v[152:153], v[152:153], -v[156:157]
	s_delay_alu instid0(VALU_DEP_2) | instskip(NEXT) | instid1(VALU_DEP_1)
	v_fma_f64 v[196:197], v[198:199], v[204:205], v[196:197]
	v_add_f64 v[154:155], v[154:155], -v[196:197]
	ds_load_2addr_b64 v[196:199], v206 offset0:22 offset1:23
	s_waitcnt lgkmcnt(0)
	v_mul_f64 v[156:157], v[198:199], v[158:159]
	s_delay_alu instid0(VALU_DEP_1) | instskip(SKIP_1) | instid1(VALU_DEP_2)
	v_fma_f64 v[156:157], v[196:197], v[204:205], -v[156:157]
	v_mul_f64 v[196:197], v[196:197], v[158:159]
	v_add_f64 v[148:149], v[148:149], -v[156:157]
	s_delay_alu instid0(VALU_DEP_2) | instskip(NEXT) | instid1(VALU_DEP_1)
	v_fma_f64 v[196:197], v[198:199], v[204:205], v[196:197]
	v_add_f64 v[150:151], v[150:151], -v[196:197]
	;; [unrolled: 10-line block ×38, first 2 shown]
	ds_load_2addr_b64 v[196:199], v206 offset0:96 offset1:97
	s_waitcnt lgkmcnt(0)
	v_mul_f64 v[156:157], v[198:199], v[158:159]
	s_delay_alu instid0(VALU_DEP_1) | instskip(SKIP_1) | instid1(VALU_DEP_2)
	v_fma_f64 v[156:157], v[196:197], v[204:205], -v[156:157]
	v_mul_f64 v[196:197], v[196:197], v[158:159]
	v_add_f64 v[0:1], v[0:1], -v[156:157]
	s_delay_alu instid0(VALU_DEP_2) | instskip(SKIP_1) | instid1(VALU_DEP_2)
	v_fma_f64 v[196:197], v[198:199], v[204:205], v[196:197]
	v_dual_mov_b32 v156, v204 :: v_dual_mov_b32 v157, v205
	v_add_f64 v[2:3], v[2:3], -v[196:197]
.LBB96_209:
	s_or_b32 exec_lo, exec_lo, s2
	v_lshl_add_u32 v196, v212, 4, v206
	s_barrier
	buffer_gl0_inv
	v_mov_b32_e32 v204, 10
	ds_store_2addr_b64 v196, v[152:153], v[154:155] offset1:1
	s_waitcnt lgkmcnt(0)
	s_barrier
	buffer_gl0_inv
	ds_load_2addr_b64 v[196:199], v206 offset0:20 offset1:21
	s_cmp_lt_i32 s5, 12
	s_cbranch_scc1 .LBB96_212
; %bb.210:
	v_add3_u32 v205, v211, 0, 0xb0
	v_mov_b32_e32 v204, 10
	s_mov_b32 s6, 11
	s_set_inst_prefetch_distance 0x1
	.p2align	6
.LBB96_211:                             ; =>This Inner Loop Header: Depth=1
	ds_load_2addr_b64 v[213:216], v205 offset1:1
	s_waitcnt lgkmcnt(1)
	v_cmp_gt_f64_e32 vcc_lo, 0, v[196:197]
	v_xor_b32_e32 v217, 0x80000000, v197
	v_cmp_gt_f64_e64 s2, 0, v[198:199]
	v_xor_b32_e32 v219, 0x80000000, v199
	v_add_nc_u32_e32 v205, 16, v205
	s_waitcnt lgkmcnt(0)
	v_cmp_gt_f64_e64 s3, 0, v[213:214]
	v_mov_b32_e32 v221, v213
	v_dual_mov_b32 v223, v215 :: v_dual_cndmask_b32 v218, v197, v217
	v_xor_b32_e32 v217, 0x80000000, v214
	v_cndmask_b32_e64 v220, v199, v219, s2
	v_xor_b32_e32 v219, 0x80000000, v216
	s_delay_alu instid0(VALU_DEP_3) | instskip(SKIP_2) | instid1(VALU_DEP_2)
	v_cndmask_b32_e64 v222, v214, v217, s3
	v_cmp_gt_f64_e64 s3, 0, v[215:216]
	v_cndmask_b32_e32 v217, v196, v196, vcc_lo
	v_cndmask_b32_e64 v224, v216, v219, s3
	v_cndmask_b32_e64 v219, v198, v198, s2
	s_delay_alu instid0(VALU_DEP_2) | instskip(NEXT) | instid1(VALU_DEP_2)
	v_add_f64 v[221:222], v[221:222], v[223:224]
	v_add_f64 v[217:218], v[217:218], v[219:220]
	s_delay_alu instid0(VALU_DEP_1) | instskip(SKIP_4) | instid1(SALU_CYCLE_1)
	v_cmp_lt_f64_e32 vcc_lo, v[217:218], v[221:222]
	v_dual_cndmask_b32 v198, v198, v215 :: v_dual_cndmask_b32 v197, v197, v214
	v_dual_cndmask_b32 v196, v196, v213 :: v_dual_cndmask_b32 v199, v199, v216
	v_cndmask_b32_e64 v204, v204, s6, vcc_lo
	s_add_i32 s6, s6, 1
	s_cmp_lg_u32 s5, s6
	s_cbranch_scc1 .LBB96_211
.LBB96_212:
	s_set_inst_prefetch_distance 0x2
	s_waitcnt lgkmcnt(0)
	v_cmp_eq_f64_e32 vcc_lo, 0, v[196:197]
	v_cmp_eq_f64_e64 s2, 0, v[198:199]
	s_delay_alu instid0(VALU_DEP_1) | instskip(NEXT) | instid1(SALU_CYCLE_1)
	s_and_b32 s2, vcc_lo, s2
	s_and_saveexec_b32 s3, s2
	s_delay_alu instid0(SALU_CYCLE_1)
	s_xor_b32 s2, exec_lo, s3
; %bb.213:
	v_cmp_ne_u32_e32 vcc_lo, 0, v209
	v_cndmask_b32_e32 v209, 11, v209, vcc_lo
; %bb.214:
	s_and_not1_saveexec_b32 s3, s2
	s_cbranch_execz .LBB96_220
; %bb.215:
	v_cmp_gt_f64_e32 vcc_lo, 0, v[196:197]
	v_cmp_gt_f64_e64 s2, 0, v[198:199]
	v_xor_b32_e32 v205, 0x80000000, v197
	v_xor_b32_e32 v213, 0x80000000, v199
	s_delay_alu instid0(VALU_DEP_2) | instskip(NEXT) | instid1(VALU_DEP_2)
	v_cndmask_b32_e32 v214, v197, v205, vcc_lo
	v_cndmask_b32_e64 v216, v199, v213, s2
	v_cndmask_b32_e32 v213, v196, v196, vcc_lo
	v_cndmask_b32_e64 v215, v198, v198, s2
	s_mov_b32 s2, exec_lo
	s_delay_alu instid0(VALU_DEP_1)
	v_cmpx_ngt_f64_e32 v[213:214], v[215:216]
	s_xor_b32 s2, exec_lo, s2
	s_cbranch_execz .LBB96_217
; %bb.216:
	v_div_scale_f64 v[213:214], null, v[198:199], v[198:199], v[196:197]
	v_div_scale_f64 v[219:220], vcc_lo, v[196:197], v[198:199], v[196:197]
	s_delay_alu instid0(VALU_DEP_2) | instskip(SKIP_2) | instid1(VALU_DEP_1)
	v_rcp_f64_e32 v[215:216], v[213:214]
	s_waitcnt_depctr 0xfff
	v_fma_f64 v[217:218], -v[213:214], v[215:216], 1.0
	v_fma_f64 v[215:216], v[215:216], v[217:218], v[215:216]
	s_delay_alu instid0(VALU_DEP_1) | instskip(NEXT) | instid1(VALU_DEP_1)
	v_fma_f64 v[217:218], -v[213:214], v[215:216], 1.0
	v_fma_f64 v[215:216], v[215:216], v[217:218], v[215:216]
	s_delay_alu instid0(VALU_DEP_1) | instskip(NEXT) | instid1(VALU_DEP_1)
	v_mul_f64 v[217:218], v[219:220], v[215:216]
	v_fma_f64 v[213:214], -v[213:214], v[217:218], v[219:220]
	s_delay_alu instid0(VALU_DEP_1) | instskip(NEXT) | instid1(VALU_DEP_1)
	v_div_fmas_f64 v[213:214], v[213:214], v[215:216], v[217:218]
	v_div_fixup_f64 v[213:214], v[213:214], v[198:199], v[196:197]
	s_delay_alu instid0(VALU_DEP_1) | instskip(NEXT) | instid1(VALU_DEP_1)
	v_fma_f64 v[196:197], v[196:197], v[213:214], v[198:199]
	v_div_scale_f64 v[198:199], null, v[196:197], v[196:197], 1.0
	s_delay_alu instid0(VALU_DEP_1) | instskip(SKIP_2) | instid1(VALU_DEP_1)
	v_rcp_f64_e32 v[215:216], v[198:199]
	s_waitcnt_depctr 0xfff
	v_fma_f64 v[217:218], -v[198:199], v[215:216], 1.0
	v_fma_f64 v[215:216], v[215:216], v[217:218], v[215:216]
	s_delay_alu instid0(VALU_DEP_1) | instskip(NEXT) | instid1(VALU_DEP_1)
	v_fma_f64 v[217:218], -v[198:199], v[215:216], 1.0
	v_fma_f64 v[215:216], v[215:216], v[217:218], v[215:216]
	v_div_scale_f64 v[217:218], vcc_lo, 1.0, v[196:197], 1.0
	s_delay_alu instid0(VALU_DEP_1) | instskip(NEXT) | instid1(VALU_DEP_1)
	v_mul_f64 v[219:220], v[217:218], v[215:216]
	v_fma_f64 v[198:199], -v[198:199], v[219:220], v[217:218]
	s_delay_alu instid0(VALU_DEP_1) | instskip(NEXT) | instid1(VALU_DEP_1)
	v_div_fmas_f64 v[198:199], v[198:199], v[215:216], v[219:220]
	v_div_fixup_f64 v[198:199], v[198:199], v[196:197], 1.0
	s_delay_alu instid0(VALU_DEP_1)
	v_mul_f64 v[196:197], v[213:214], v[198:199]
	v_xor_b32_e32 v199, 0x80000000, v199
.LBB96_217:
	s_and_not1_saveexec_b32 s2, s2
	s_cbranch_execz .LBB96_219
; %bb.218:
	s_delay_alu instid0(VALU_DEP_1) | instskip(SKIP_1) | instid1(VALU_DEP_2)
	v_div_scale_f64 v[213:214], null, v[196:197], v[196:197], v[198:199]
	v_div_scale_f64 v[219:220], vcc_lo, v[198:199], v[196:197], v[198:199]
	v_rcp_f64_e32 v[215:216], v[213:214]
	s_waitcnt_depctr 0xfff
	v_fma_f64 v[217:218], -v[213:214], v[215:216], 1.0
	s_delay_alu instid0(VALU_DEP_1) | instskip(NEXT) | instid1(VALU_DEP_1)
	v_fma_f64 v[215:216], v[215:216], v[217:218], v[215:216]
	v_fma_f64 v[217:218], -v[213:214], v[215:216], 1.0
	s_delay_alu instid0(VALU_DEP_1) | instskip(NEXT) | instid1(VALU_DEP_1)
	v_fma_f64 v[215:216], v[215:216], v[217:218], v[215:216]
	v_mul_f64 v[217:218], v[219:220], v[215:216]
	s_delay_alu instid0(VALU_DEP_1) | instskip(NEXT) | instid1(VALU_DEP_1)
	v_fma_f64 v[213:214], -v[213:214], v[217:218], v[219:220]
	v_div_fmas_f64 v[213:214], v[213:214], v[215:216], v[217:218]
	s_delay_alu instid0(VALU_DEP_1) | instskip(NEXT) | instid1(VALU_DEP_1)
	v_div_fixup_f64 v[213:214], v[213:214], v[196:197], v[198:199]
	v_fma_f64 v[196:197], v[198:199], v[213:214], v[196:197]
	s_delay_alu instid0(VALU_DEP_1) | instskip(NEXT) | instid1(VALU_DEP_1)
	v_div_scale_f64 v[198:199], null, v[196:197], v[196:197], 1.0
	v_rcp_f64_e32 v[215:216], v[198:199]
	s_waitcnt_depctr 0xfff
	v_fma_f64 v[217:218], -v[198:199], v[215:216], 1.0
	s_delay_alu instid0(VALU_DEP_1) | instskip(NEXT) | instid1(VALU_DEP_1)
	v_fma_f64 v[215:216], v[215:216], v[217:218], v[215:216]
	v_fma_f64 v[217:218], -v[198:199], v[215:216], 1.0
	s_delay_alu instid0(VALU_DEP_1) | instskip(SKIP_1) | instid1(VALU_DEP_1)
	v_fma_f64 v[215:216], v[215:216], v[217:218], v[215:216]
	v_div_scale_f64 v[217:218], vcc_lo, 1.0, v[196:197], 1.0
	v_mul_f64 v[219:220], v[217:218], v[215:216]
	s_delay_alu instid0(VALU_DEP_1) | instskip(NEXT) | instid1(VALU_DEP_1)
	v_fma_f64 v[198:199], -v[198:199], v[219:220], v[217:218]
	v_div_fmas_f64 v[198:199], v[198:199], v[215:216], v[219:220]
	s_delay_alu instid0(VALU_DEP_1) | instskip(NEXT) | instid1(VALU_DEP_1)
	v_div_fixup_f64 v[196:197], v[198:199], v[196:197], 1.0
	v_mul_f64 v[198:199], v[213:214], -v[196:197]
.LBB96_219:
	s_or_b32 exec_lo, exec_lo, s2
.LBB96_220:
	s_delay_alu instid0(SALU_CYCLE_1) | instskip(NEXT) | instid1(SALU_CYCLE_1)
	s_or_b32 exec_lo, exec_lo, s3
	s_mov_b32 s2, exec_lo
	v_cmpx_ne_u32_e64 v212, v204
	s_xor_b32 s2, exec_lo, s2
	s_cbranch_execz .LBB96_226
; %bb.221:
	s_mov_b32 s3, exec_lo
	v_cmpx_eq_u32_e32 10, v212
	s_cbranch_execz .LBB96_225
; %bb.222:
	v_cmp_ne_u32_e32 vcc_lo, 10, v204
	s_xor_b32 s6, s4, -1
	s_delay_alu instid0(SALU_CYCLE_1) | instskip(NEXT) | instid1(SALU_CYCLE_1)
	s_and_b32 s7, s6, vcc_lo
	s_and_saveexec_b32 s6, s7
	s_cbranch_execz .LBB96_224
; %bb.223:
	v_ashrrev_i32_e32 v205, 31, v204
	s_delay_alu instid0(VALU_DEP_1) | instskip(NEXT) | instid1(VALU_DEP_1)
	v_lshlrev_b64 v[212:213], 2, v[204:205]
	v_add_co_u32 v212, vcc_lo, v202, v212
	s_delay_alu instid0(VALU_DEP_2)
	v_add_co_ci_u32_e32 v213, vcc_lo, v203, v213, vcc_lo
	s_clause 0x1
	flat_load_b32 v205, v[212:213]
	flat_load_b32 v210, v[202:203] offset:40
	s_waitcnt vmcnt(1) lgkmcnt(1)
	flat_store_b32 v[202:203], v205 offset:40
	s_waitcnt vmcnt(0) lgkmcnt(1)
	flat_store_b32 v[212:213], v210
.LBB96_224:
	s_or_b32 exec_lo, exec_lo, s6
	v_mov_b32_e32 v212, v204
	v_mov_b32_e32 v210, v204
.LBB96_225:
	s_or_b32 exec_lo, exec_lo, s3
.LBB96_226:
	s_and_not1_saveexec_b32 s2, s2
	s_cbranch_execz .LBB96_228
; %bb.227:
	v_mov_b32_e32 v212, 10
	ds_store_2addr_b64 v206, v[148:149], v[150:151] offset0:22 offset1:23
	ds_store_2addr_b64 v206, v[144:145], v[146:147] offset0:24 offset1:25
	ds_store_2addr_b64 v206, v[140:141], v[142:143] offset0:26 offset1:27
	ds_store_2addr_b64 v206, v[136:137], v[138:139] offset0:28 offset1:29
	ds_store_2addr_b64 v206, v[132:133], v[134:135] offset0:30 offset1:31
	ds_store_2addr_b64 v206, v[128:129], v[130:131] offset0:32 offset1:33
	ds_store_2addr_b64 v206, v[124:125], v[126:127] offset0:34 offset1:35
	ds_store_2addr_b64 v206, v[120:121], v[122:123] offset0:36 offset1:37
	ds_store_2addr_b64 v206, v[116:117], v[118:119] offset0:38 offset1:39
	ds_store_2addr_b64 v206, v[112:113], v[114:115] offset0:40 offset1:41
	ds_store_2addr_b64 v206, v[108:109], v[110:111] offset0:42 offset1:43
	ds_store_2addr_b64 v206, v[104:105], v[106:107] offset0:44 offset1:45
	ds_store_2addr_b64 v206, v[100:101], v[102:103] offset0:46 offset1:47
	ds_store_2addr_b64 v206, v[96:97], v[98:99] offset0:48 offset1:49
	ds_store_2addr_b64 v206, v[92:93], v[94:95] offset0:50 offset1:51
	ds_store_2addr_b64 v206, v[88:89], v[90:91] offset0:52 offset1:53
	ds_store_2addr_b64 v206, v[84:85], v[86:87] offset0:54 offset1:55
	ds_store_2addr_b64 v206, v[80:81], v[82:83] offset0:56 offset1:57
	ds_store_2addr_b64 v206, v[76:77], v[78:79] offset0:58 offset1:59
	ds_store_2addr_b64 v206, v[72:73], v[74:75] offset0:60 offset1:61
	ds_store_2addr_b64 v206, v[68:69], v[70:71] offset0:62 offset1:63
	ds_store_2addr_b64 v206, v[64:65], v[66:67] offset0:64 offset1:65
	ds_store_2addr_b64 v206, v[60:61], v[62:63] offset0:66 offset1:67
	ds_store_2addr_b64 v206, v[56:57], v[58:59] offset0:68 offset1:69
	ds_store_2addr_b64 v206, v[52:53], v[54:55] offset0:70 offset1:71
	ds_store_2addr_b64 v206, v[48:49], v[50:51] offset0:72 offset1:73
	ds_store_2addr_b64 v206, v[44:45], v[46:47] offset0:74 offset1:75
	ds_store_2addr_b64 v206, v[40:41], v[42:43] offset0:76 offset1:77
	ds_store_2addr_b64 v206, v[36:37], v[38:39] offset0:78 offset1:79
	ds_store_2addr_b64 v206, v[32:33], v[34:35] offset0:80 offset1:81
	ds_store_2addr_b64 v206, v[28:29], v[30:31] offset0:82 offset1:83
	ds_store_2addr_b64 v206, v[24:25], v[26:27] offset0:84 offset1:85
	ds_store_2addr_b64 v206, v[20:21], v[22:23] offset0:86 offset1:87
	ds_store_2addr_b64 v206, v[16:17], v[18:19] offset0:88 offset1:89
	ds_store_2addr_b64 v206, v[12:13], v[14:15] offset0:90 offset1:91
	ds_store_2addr_b64 v206, v[8:9], v[10:11] offset0:92 offset1:93
	ds_store_2addr_b64 v206, v[4:5], v[6:7] offset0:94 offset1:95
	ds_store_2addr_b64 v206, v[0:1], v[2:3] offset0:96 offset1:97
.LBB96_228:
	s_or_b32 exec_lo, exec_lo, s2
	s_delay_alu instid0(SALU_CYCLE_1)
	s_mov_b32 s2, exec_lo
	s_waitcnt lgkmcnt(0)
	s_waitcnt_vscnt null, 0x0
	s_barrier
	buffer_gl0_inv
	v_cmpx_lt_i32_e32 10, v212
	s_cbranch_execz .LBB96_230
; %bb.229:
	v_mul_f64 v[204:205], v[198:199], v[154:155]
	v_mul_f64 v[154:155], v[196:197], v[154:155]
	s_delay_alu instid0(VALU_DEP_2) | instskip(NEXT) | instid1(VALU_DEP_2)
	v_fma_f64 v[204:205], v[196:197], v[152:153], -v[204:205]
	v_fma_f64 v[154:155], v[198:199], v[152:153], v[154:155]
	ds_load_2addr_b64 v[196:199], v206 offset0:22 offset1:23
	s_waitcnt lgkmcnt(0)
	v_mul_f64 v[152:153], v[198:199], v[154:155]
	s_delay_alu instid0(VALU_DEP_1) | instskip(SKIP_1) | instid1(VALU_DEP_2)
	v_fma_f64 v[152:153], v[196:197], v[204:205], -v[152:153]
	v_mul_f64 v[196:197], v[196:197], v[154:155]
	v_add_f64 v[148:149], v[148:149], -v[152:153]
	s_delay_alu instid0(VALU_DEP_2) | instskip(NEXT) | instid1(VALU_DEP_1)
	v_fma_f64 v[196:197], v[198:199], v[204:205], v[196:197]
	v_add_f64 v[150:151], v[150:151], -v[196:197]
	ds_load_2addr_b64 v[196:199], v206 offset0:24 offset1:25
	s_waitcnt lgkmcnt(0)
	v_mul_f64 v[152:153], v[198:199], v[154:155]
	s_delay_alu instid0(VALU_DEP_1) | instskip(SKIP_1) | instid1(VALU_DEP_2)
	v_fma_f64 v[152:153], v[196:197], v[204:205], -v[152:153]
	v_mul_f64 v[196:197], v[196:197], v[154:155]
	v_add_f64 v[144:145], v[144:145], -v[152:153]
	s_delay_alu instid0(VALU_DEP_2) | instskip(NEXT) | instid1(VALU_DEP_1)
	v_fma_f64 v[196:197], v[198:199], v[204:205], v[196:197]
	v_add_f64 v[146:147], v[146:147], -v[196:197]
	;; [unrolled: 10-line block ×37, first 2 shown]
	ds_load_2addr_b64 v[196:199], v206 offset0:96 offset1:97
	s_waitcnt lgkmcnt(0)
	v_mul_f64 v[152:153], v[198:199], v[154:155]
	s_delay_alu instid0(VALU_DEP_1) | instskip(SKIP_1) | instid1(VALU_DEP_2)
	v_fma_f64 v[152:153], v[196:197], v[204:205], -v[152:153]
	v_mul_f64 v[196:197], v[196:197], v[154:155]
	v_add_f64 v[0:1], v[0:1], -v[152:153]
	s_delay_alu instid0(VALU_DEP_2) | instskip(SKIP_1) | instid1(VALU_DEP_2)
	v_fma_f64 v[196:197], v[198:199], v[204:205], v[196:197]
	v_dual_mov_b32 v152, v204 :: v_dual_mov_b32 v153, v205
	v_add_f64 v[2:3], v[2:3], -v[196:197]
.LBB96_230:
	s_or_b32 exec_lo, exec_lo, s2
	v_lshl_add_u32 v196, v212, 4, v206
	s_barrier
	buffer_gl0_inv
	v_mov_b32_e32 v204, 11
	ds_store_2addr_b64 v196, v[148:149], v[150:151] offset1:1
	s_waitcnt lgkmcnt(0)
	s_barrier
	buffer_gl0_inv
	ds_load_2addr_b64 v[196:199], v206 offset0:22 offset1:23
	s_cmp_lt_i32 s5, 13
	s_cbranch_scc1 .LBB96_233
; %bb.231:
	v_add3_u32 v205, v211, 0, 0xc0
	v_mov_b32_e32 v204, 11
	s_mov_b32 s6, 12
	s_set_inst_prefetch_distance 0x1
	.p2align	6
.LBB96_232:                             ; =>This Inner Loop Header: Depth=1
	ds_load_2addr_b64 v[213:216], v205 offset1:1
	s_waitcnt lgkmcnt(1)
	v_cmp_gt_f64_e32 vcc_lo, 0, v[196:197]
	v_xor_b32_e32 v217, 0x80000000, v197
	v_cmp_gt_f64_e64 s2, 0, v[198:199]
	v_xor_b32_e32 v219, 0x80000000, v199
	v_add_nc_u32_e32 v205, 16, v205
	s_waitcnt lgkmcnt(0)
	v_cmp_gt_f64_e64 s3, 0, v[213:214]
	v_mov_b32_e32 v221, v213
	v_dual_mov_b32 v223, v215 :: v_dual_cndmask_b32 v218, v197, v217
	v_xor_b32_e32 v217, 0x80000000, v214
	v_cndmask_b32_e64 v220, v199, v219, s2
	v_xor_b32_e32 v219, 0x80000000, v216
	s_delay_alu instid0(VALU_DEP_3) | instskip(SKIP_2) | instid1(VALU_DEP_2)
	v_cndmask_b32_e64 v222, v214, v217, s3
	v_cmp_gt_f64_e64 s3, 0, v[215:216]
	v_cndmask_b32_e32 v217, v196, v196, vcc_lo
	v_cndmask_b32_e64 v224, v216, v219, s3
	v_cndmask_b32_e64 v219, v198, v198, s2
	s_delay_alu instid0(VALU_DEP_2) | instskip(NEXT) | instid1(VALU_DEP_2)
	v_add_f64 v[221:222], v[221:222], v[223:224]
	v_add_f64 v[217:218], v[217:218], v[219:220]
	s_delay_alu instid0(VALU_DEP_1) | instskip(SKIP_4) | instid1(SALU_CYCLE_1)
	v_cmp_lt_f64_e32 vcc_lo, v[217:218], v[221:222]
	v_dual_cndmask_b32 v198, v198, v215 :: v_dual_cndmask_b32 v197, v197, v214
	v_dual_cndmask_b32 v196, v196, v213 :: v_dual_cndmask_b32 v199, v199, v216
	v_cndmask_b32_e64 v204, v204, s6, vcc_lo
	s_add_i32 s6, s6, 1
	s_cmp_lg_u32 s5, s6
	s_cbranch_scc1 .LBB96_232
.LBB96_233:
	s_set_inst_prefetch_distance 0x2
	s_waitcnt lgkmcnt(0)
	v_cmp_eq_f64_e32 vcc_lo, 0, v[196:197]
	v_cmp_eq_f64_e64 s2, 0, v[198:199]
	s_delay_alu instid0(VALU_DEP_1) | instskip(NEXT) | instid1(SALU_CYCLE_1)
	s_and_b32 s2, vcc_lo, s2
	s_and_saveexec_b32 s3, s2
	s_delay_alu instid0(SALU_CYCLE_1)
	s_xor_b32 s2, exec_lo, s3
; %bb.234:
	v_cmp_ne_u32_e32 vcc_lo, 0, v209
	v_cndmask_b32_e32 v209, 12, v209, vcc_lo
; %bb.235:
	s_and_not1_saveexec_b32 s3, s2
	s_cbranch_execz .LBB96_241
; %bb.236:
	v_cmp_gt_f64_e32 vcc_lo, 0, v[196:197]
	v_cmp_gt_f64_e64 s2, 0, v[198:199]
	v_xor_b32_e32 v205, 0x80000000, v197
	v_xor_b32_e32 v213, 0x80000000, v199
	s_delay_alu instid0(VALU_DEP_2) | instskip(NEXT) | instid1(VALU_DEP_2)
	v_cndmask_b32_e32 v214, v197, v205, vcc_lo
	v_cndmask_b32_e64 v216, v199, v213, s2
	v_cndmask_b32_e32 v213, v196, v196, vcc_lo
	v_cndmask_b32_e64 v215, v198, v198, s2
	s_mov_b32 s2, exec_lo
	s_delay_alu instid0(VALU_DEP_1)
	v_cmpx_ngt_f64_e32 v[213:214], v[215:216]
	s_xor_b32 s2, exec_lo, s2
	s_cbranch_execz .LBB96_238
; %bb.237:
	v_div_scale_f64 v[213:214], null, v[198:199], v[198:199], v[196:197]
	v_div_scale_f64 v[219:220], vcc_lo, v[196:197], v[198:199], v[196:197]
	s_delay_alu instid0(VALU_DEP_2) | instskip(SKIP_2) | instid1(VALU_DEP_1)
	v_rcp_f64_e32 v[215:216], v[213:214]
	s_waitcnt_depctr 0xfff
	v_fma_f64 v[217:218], -v[213:214], v[215:216], 1.0
	v_fma_f64 v[215:216], v[215:216], v[217:218], v[215:216]
	s_delay_alu instid0(VALU_DEP_1) | instskip(NEXT) | instid1(VALU_DEP_1)
	v_fma_f64 v[217:218], -v[213:214], v[215:216], 1.0
	v_fma_f64 v[215:216], v[215:216], v[217:218], v[215:216]
	s_delay_alu instid0(VALU_DEP_1) | instskip(NEXT) | instid1(VALU_DEP_1)
	v_mul_f64 v[217:218], v[219:220], v[215:216]
	v_fma_f64 v[213:214], -v[213:214], v[217:218], v[219:220]
	s_delay_alu instid0(VALU_DEP_1) | instskip(NEXT) | instid1(VALU_DEP_1)
	v_div_fmas_f64 v[213:214], v[213:214], v[215:216], v[217:218]
	v_div_fixup_f64 v[213:214], v[213:214], v[198:199], v[196:197]
	s_delay_alu instid0(VALU_DEP_1) | instskip(NEXT) | instid1(VALU_DEP_1)
	v_fma_f64 v[196:197], v[196:197], v[213:214], v[198:199]
	v_div_scale_f64 v[198:199], null, v[196:197], v[196:197], 1.0
	s_delay_alu instid0(VALU_DEP_1) | instskip(SKIP_2) | instid1(VALU_DEP_1)
	v_rcp_f64_e32 v[215:216], v[198:199]
	s_waitcnt_depctr 0xfff
	v_fma_f64 v[217:218], -v[198:199], v[215:216], 1.0
	v_fma_f64 v[215:216], v[215:216], v[217:218], v[215:216]
	s_delay_alu instid0(VALU_DEP_1) | instskip(NEXT) | instid1(VALU_DEP_1)
	v_fma_f64 v[217:218], -v[198:199], v[215:216], 1.0
	v_fma_f64 v[215:216], v[215:216], v[217:218], v[215:216]
	v_div_scale_f64 v[217:218], vcc_lo, 1.0, v[196:197], 1.0
	s_delay_alu instid0(VALU_DEP_1) | instskip(NEXT) | instid1(VALU_DEP_1)
	v_mul_f64 v[219:220], v[217:218], v[215:216]
	v_fma_f64 v[198:199], -v[198:199], v[219:220], v[217:218]
	s_delay_alu instid0(VALU_DEP_1) | instskip(NEXT) | instid1(VALU_DEP_1)
	v_div_fmas_f64 v[198:199], v[198:199], v[215:216], v[219:220]
	v_div_fixup_f64 v[198:199], v[198:199], v[196:197], 1.0
	s_delay_alu instid0(VALU_DEP_1)
	v_mul_f64 v[196:197], v[213:214], v[198:199]
	v_xor_b32_e32 v199, 0x80000000, v199
.LBB96_238:
	s_and_not1_saveexec_b32 s2, s2
	s_cbranch_execz .LBB96_240
; %bb.239:
	s_delay_alu instid0(VALU_DEP_1) | instskip(SKIP_1) | instid1(VALU_DEP_2)
	v_div_scale_f64 v[213:214], null, v[196:197], v[196:197], v[198:199]
	v_div_scale_f64 v[219:220], vcc_lo, v[198:199], v[196:197], v[198:199]
	v_rcp_f64_e32 v[215:216], v[213:214]
	s_waitcnt_depctr 0xfff
	v_fma_f64 v[217:218], -v[213:214], v[215:216], 1.0
	s_delay_alu instid0(VALU_DEP_1) | instskip(NEXT) | instid1(VALU_DEP_1)
	v_fma_f64 v[215:216], v[215:216], v[217:218], v[215:216]
	v_fma_f64 v[217:218], -v[213:214], v[215:216], 1.0
	s_delay_alu instid0(VALU_DEP_1) | instskip(NEXT) | instid1(VALU_DEP_1)
	v_fma_f64 v[215:216], v[215:216], v[217:218], v[215:216]
	v_mul_f64 v[217:218], v[219:220], v[215:216]
	s_delay_alu instid0(VALU_DEP_1) | instskip(NEXT) | instid1(VALU_DEP_1)
	v_fma_f64 v[213:214], -v[213:214], v[217:218], v[219:220]
	v_div_fmas_f64 v[213:214], v[213:214], v[215:216], v[217:218]
	s_delay_alu instid0(VALU_DEP_1) | instskip(NEXT) | instid1(VALU_DEP_1)
	v_div_fixup_f64 v[213:214], v[213:214], v[196:197], v[198:199]
	v_fma_f64 v[196:197], v[198:199], v[213:214], v[196:197]
	s_delay_alu instid0(VALU_DEP_1) | instskip(NEXT) | instid1(VALU_DEP_1)
	v_div_scale_f64 v[198:199], null, v[196:197], v[196:197], 1.0
	v_rcp_f64_e32 v[215:216], v[198:199]
	s_waitcnt_depctr 0xfff
	v_fma_f64 v[217:218], -v[198:199], v[215:216], 1.0
	s_delay_alu instid0(VALU_DEP_1) | instskip(NEXT) | instid1(VALU_DEP_1)
	v_fma_f64 v[215:216], v[215:216], v[217:218], v[215:216]
	v_fma_f64 v[217:218], -v[198:199], v[215:216], 1.0
	s_delay_alu instid0(VALU_DEP_1) | instskip(SKIP_1) | instid1(VALU_DEP_1)
	v_fma_f64 v[215:216], v[215:216], v[217:218], v[215:216]
	v_div_scale_f64 v[217:218], vcc_lo, 1.0, v[196:197], 1.0
	v_mul_f64 v[219:220], v[217:218], v[215:216]
	s_delay_alu instid0(VALU_DEP_1) | instskip(NEXT) | instid1(VALU_DEP_1)
	v_fma_f64 v[198:199], -v[198:199], v[219:220], v[217:218]
	v_div_fmas_f64 v[198:199], v[198:199], v[215:216], v[219:220]
	s_delay_alu instid0(VALU_DEP_1) | instskip(NEXT) | instid1(VALU_DEP_1)
	v_div_fixup_f64 v[196:197], v[198:199], v[196:197], 1.0
	v_mul_f64 v[198:199], v[213:214], -v[196:197]
.LBB96_240:
	s_or_b32 exec_lo, exec_lo, s2
.LBB96_241:
	s_delay_alu instid0(SALU_CYCLE_1) | instskip(NEXT) | instid1(SALU_CYCLE_1)
	s_or_b32 exec_lo, exec_lo, s3
	s_mov_b32 s2, exec_lo
	v_cmpx_ne_u32_e64 v212, v204
	s_xor_b32 s2, exec_lo, s2
	s_cbranch_execz .LBB96_247
; %bb.242:
	s_mov_b32 s3, exec_lo
	v_cmpx_eq_u32_e32 11, v212
	s_cbranch_execz .LBB96_246
; %bb.243:
	v_cmp_ne_u32_e32 vcc_lo, 11, v204
	s_xor_b32 s6, s4, -1
	s_delay_alu instid0(SALU_CYCLE_1) | instskip(NEXT) | instid1(SALU_CYCLE_1)
	s_and_b32 s7, s6, vcc_lo
	s_and_saveexec_b32 s6, s7
	s_cbranch_execz .LBB96_245
; %bb.244:
	v_ashrrev_i32_e32 v205, 31, v204
	s_delay_alu instid0(VALU_DEP_1) | instskip(NEXT) | instid1(VALU_DEP_1)
	v_lshlrev_b64 v[212:213], 2, v[204:205]
	v_add_co_u32 v212, vcc_lo, v202, v212
	s_delay_alu instid0(VALU_DEP_2)
	v_add_co_ci_u32_e32 v213, vcc_lo, v203, v213, vcc_lo
	s_clause 0x1
	flat_load_b32 v205, v[212:213]
	flat_load_b32 v210, v[202:203] offset:44
	s_waitcnt vmcnt(1) lgkmcnt(1)
	flat_store_b32 v[202:203], v205 offset:44
	s_waitcnt vmcnt(0) lgkmcnt(1)
	flat_store_b32 v[212:213], v210
.LBB96_245:
	s_or_b32 exec_lo, exec_lo, s6
	v_mov_b32_e32 v212, v204
	v_mov_b32_e32 v210, v204
.LBB96_246:
	s_or_b32 exec_lo, exec_lo, s3
.LBB96_247:
	s_and_not1_saveexec_b32 s2, s2
	s_cbranch_execz .LBB96_249
; %bb.248:
	v_mov_b32_e32 v212, 11
	ds_store_2addr_b64 v206, v[144:145], v[146:147] offset0:24 offset1:25
	ds_store_2addr_b64 v206, v[140:141], v[142:143] offset0:26 offset1:27
	ds_store_2addr_b64 v206, v[136:137], v[138:139] offset0:28 offset1:29
	ds_store_2addr_b64 v206, v[132:133], v[134:135] offset0:30 offset1:31
	ds_store_2addr_b64 v206, v[128:129], v[130:131] offset0:32 offset1:33
	ds_store_2addr_b64 v206, v[124:125], v[126:127] offset0:34 offset1:35
	ds_store_2addr_b64 v206, v[120:121], v[122:123] offset0:36 offset1:37
	ds_store_2addr_b64 v206, v[116:117], v[118:119] offset0:38 offset1:39
	ds_store_2addr_b64 v206, v[112:113], v[114:115] offset0:40 offset1:41
	ds_store_2addr_b64 v206, v[108:109], v[110:111] offset0:42 offset1:43
	ds_store_2addr_b64 v206, v[104:105], v[106:107] offset0:44 offset1:45
	ds_store_2addr_b64 v206, v[100:101], v[102:103] offset0:46 offset1:47
	ds_store_2addr_b64 v206, v[96:97], v[98:99] offset0:48 offset1:49
	ds_store_2addr_b64 v206, v[92:93], v[94:95] offset0:50 offset1:51
	ds_store_2addr_b64 v206, v[88:89], v[90:91] offset0:52 offset1:53
	ds_store_2addr_b64 v206, v[84:85], v[86:87] offset0:54 offset1:55
	ds_store_2addr_b64 v206, v[80:81], v[82:83] offset0:56 offset1:57
	ds_store_2addr_b64 v206, v[76:77], v[78:79] offset0:58 offset1:59
	ds_store_2addr_b64 v206, v[72:73], v[74:75] offset0:60 offset1:61
	ds_store_2addr_b64 v206, v[68:69], v[70:71] offset0:62 offset1:63
	ds_store_2addr_b64 v206, v[64:65], v[66:67] offset0:64 offset1:65
	ds_store_2addr_b64 v206, v[60:61], v[62:63] offset0:66 offset1:67
	ds_store_2addr_b64 v206, v[56:57], v[58:59] offset0:68 offset1:69
	ds_store_2addr_b64 v206, v[52:53], v[54:55] offset0:70 offset1:71
	ds_store_2addr_b64 v206, v[48:49], v[50:51] offset0:72 offset1:73
	ds_store_2addr_b64 v206, v[44:45], v[46:47] offset0:74 offset1:75
	ds_store_2addr_b64 v206, v[40:41], v[42:43] offset0:76 offset1:77
	ds_store_2addr_b64 v206, v[36:37], v[38:39] offset0:78 offset1:79
	ds_store_2addr_b64 v206, v[32:33], v[34:35] offset0:80 offset1:81
	ds_store_2addr_b64 v206, v[28:29], v[30:31] offset0:82 offset1:83
	ds_store_2addr_b64 v206, v[24:25], v[26:27] offset0:84 offset1:85
	ds_store_2addr_b64 v206, v[20:21], v[22:23] offset0:86 offset1:87
	ds_store_2addr_b64 v206, v[16:17], v[18:19] offset0:88 offset1:89
	ds_store_2addr_b64 v206, v[12:13], v[14:15] offset0:90 offset1:91
	ds_store_2addr_b64 v206, v[8:9], v[10:11] offset0:92 offset1:93
	ds_store_2addr_b64 v206, v[4:5], v[6:7] offset0:94 offset1:95
	ds_store_2addr_b64 v206, v[0:1], v[2:3] offset0:96 offset1:97
.LBB96_249:
	s_or_b32 exec_lo, exec_lo, s2
	s_delay_alu instid0(SALU_CYCLE_1)
	s_mov_b32 s2, exec_lo
	s_waitcnt lgkmcnt(0)
	s_waitcnt_vscnt null, 0x0
	s_barrier
	buffer_gl0_inv
	v_cmpx_lt_i32_e32 11, v212
	s_cbranch_execz .LBB96_251
; %bb.250:
	v_mul_f64 v[204:205], v[198:199], v[150:151]
	v_mul_f64 v[150:151], v[196:197], v[150:151]
	s_delay_alu instid0(VALU_DEP_2) | instskip(NEXT) | instid1(VALU_DEP_2)
	v_fma_f64 v[204:205], v[196:197], v[148:149], -v[204:205]
	v_fma_f64 v[150:151], v[198:199], v[148:149], v[150:151]
	ds_load_2addr_b64 v[196:199], v206 offset0:24 offset1:25
	s_waitcnt lgkmcnt(0)
	v_mul_f64 v[148:149], v[198:199], v[150:151]
	s_delay_alu instid0(VALU_DEP_1) | instskip(SKIP_1) | instid1(VALU_DEP_2)
	v_fma_f64 v[148:149], v[196:197], v[204:205], -v[148:149]
	v_mul_f64 v[196:197], v[196:197], v[150:151]
	v_add_f64 v[144:145], v[144:145], -v[148:149]
	s_delay_alu instid0(VALU_DEP_2) | instskip(NEXT) | instid1(VALU_DEP_1)
	v_fma_f64 v[196:197], v[198:199], v[204:205], v[196:197]
	v_add_f64 v[146:147], v[146:147], -v[196:197]
	ds_load_2addr_b64 v[196:199], v206 offset0:26 offset1:27
	s_waitcnt lgkmcnt(0)
	v_mul_f64 v[148:149], v[198:199], v[150:151]
	s_delay_alu instid0(VALU_DEP_1) | instskip(SKIP_1) | instid1(VALU_DEP_2)
	v_fma_f64 v[148:149], v[196:197], v[204:205], -v[148:149]
	v_mul_f64 v[196:197], v[196:197], v[150:151]
	v_add_f64 v[140:141], v[140:141], -v[148:149]
	s_delay_alu instid0(VALU_DEP_2) | instskip(NEXT) | instid1(VALU_DEP_1)
	v_fma_f64 v[196:197], v[198:199], v[204:205], v[196:197]
	v_add_f64 v[142:143], v[142:143], -v[196:197]
	;; [unrolled: 10-line block ×36, first 2 shown]
	ds_load_2addr_b64 v[196:199], v206 offset0:96 offset1:97
	s_waitcnt lgkmcnt(0)
	v_mul_f64 v[148:149], v[198:199], v[150:151]
	s_delay_alu instid0(VALU_DEP_1) | instskip(SKIP_1) | instid1(VALU_DEP_2)
	v_fma_f64 v[148:149], v[196:197], v[204:205], -v[148:149]
	v_mul_f64 v[196:197], v[196:197], v[150:151]
	v_add_f64 v[0:1], v[0:1], -v[148:149]
	s_delay_alu instid0(VALU_DEP_2) | instskip(SKIP_1) | instid1(VALU_DEP_2)
	v_fma_f64 v[196:197], v[198:199], v[204:205], v[196:197]
	v_dual_mov_b32 v148, v204 :: v_dual_mov_b32 v149, v205
	v_add_f64 v[2:3], v[2:3], -v[196:197]
.LBB96_251:
	s_or_b32 exec_lo, exec_lo, s2
	v_lshl_add_u32 v196, v212, 4, v206
	s_barrier
	buffer_gl0_inv
	v_mov_b32_e32 v204, 12
	ds_store_2addr_b64 v196, v[144:145], v[146:147] offset1:1
	s_waitcnt lgkmcnt(0)
	s_barrier
	buffer_gl0_inv
	ds_load_2addr_b64 v[196:199], v206 offset0:24 offset1:25
	s_cmp_lt_i32 s5, 14
	s_cbranch_scc1 .LBB96_254
; %bb.252:
	v_add3_u32 v205, v211, 0, 0xd0
	v_mov_b32_e32 v204, 12
	s_mov_b32 s6, 13
	s_set_inst_prefetch_distance 0x1
	.p2align	6
.LBB96_253:                             ; =>This Inner Loop Header: Depth=1
	ds_load_2addr_b64 v[213:216], v205 offset1:1
	s_waitcnt lgkmcnt(1)
	v_cmp_gt_f64_e32 vcc_lo, 0, v[196:197]
	v_xor_b32_e32 v217, 0x80000000, v197
	v_cmp_gt_f64_e64 s2, 0, v[198:199]
	v_xor_b32_e32 v219, 0x80000000, v199
	v_add_nc_u32_e32 v205, 16, v205
	s_waitcnt lgkmcnt(0)
	v_cmp_gt_f64_e64 s3, 0, v[213:214]
	v_mov_b32_e32 v221, v213
	v_dual_mov_b32 v223, v215 :: v_dual_cndmask_b32 v218, v197, v217
	v_xor_b32_e32 v217, 0x80000000, v214
	v_cndmask_b32_e64 v220, v199, v219, s2
	v_xor_b32_e32 v219, 0x80000000, v216
	s_delay_alu instid0(VALU_DEP_3) | instskip(SKIP_2) | instid1(VALU_DEP_2)
	v_cndmask_b32_e64 v222, v214, v217, s3
	v_cmp_gt_f64_e64 s3, 0, v[215:216]
	v_cndmask_b32_e32 v217, v196, v196, vcc_lo
	v_cndmask_b32_e64 v224, v216, v219, s3
	v_cndmask_b32_e64 v219, v198, v198, s2
	s_delay_alu instid0(VALU_DEP_2) | instskip(NEXT) | instid1(VALU_DEP_2)
	v_add_f64 v[221:222], v[221:222], v[223:224]
	v_add_f64 v[217:218], v[217:218], v[219:220]
	s_delay_alu instid0(VALU_DEP_1) | instskip(SKIP_4) | instid1(SALU_CYCLE_1)
	v_cmp_lt_f64_e32 vcc_lo, v[217:218], v[221:222]
	v_dual_cndmask_b32 v198, v198, v215 :: v_dual_cndmask_b32 v197, v197, v214
	v_dual_cndmask_b32 v196, v196, v213 :: v_dual_cndmask_b32 v199, v199, v216
	v_cndmask_b32_e64 v204, v204, s6, vcc_lo
	s_add_i32 s6, s6, 1
	s_cmp_lg_u32 s5, s6
	s_cbranch_scc1 .LBB96_253
.LBB96_254:
	s_set_inst_prefetch_distance 0x2
	s_waitcnt lgkmcnt(0)
	v_cmp_eq_f64_e32 vcc_lo, 0, v[196:197]
	v_cmp_eq_f64_e64 s2, 0, v[198:199]
	s_delay_alu instid0(VALU_DEP_1) | instskip(NEXT) | instid1(SALU_CYCLE_1)
	s_and_b32 s2, vcc_lo, s2
	s_and_saveexec_b32 s3, s2
	s_delay_alu instid0(SALU_CYCLE_1)
	s_xor_b32 s2, exec_lo, s3
; %bb.255:
	v_cmp_ne_u32_e32 vcc_lo, 0, v209
	v_cndmask_b32_e32 v209, 13, v209, vcc_lo
; %bb.256:
	s_and_not1_saveexec_b32 s3, s2
	s_cbranch_execz .LBB96_262
; %bb.257:
	v_cmp_gt_f64_e32 vcc_lo, 0, v[196:197]
	v_cmp_gt_f64_e64 s2, 0, v[198:199]
	v_xor_b32_e32 v205, 0x80000000, v197
	v_xor_b32_e32 v213, 0x80000000, v199
	s_delay_alu instid0(VALU_DEP_2) | instskip(NEXT) | instid1(VALU_DEP_2)
	v_cndmask_b32_e32 v214, v197, v205, vcc_lo
	v_cndmask_b32_e64 v216, v199, v213, s2
	v_cndmask_b32_e32 v213, v196, v196, vcc_lo
	v_cndmask_b32_e64 v215, v198, v198, s2
	s_mov_b32 s2, exec_lo
	s_delay_alu instid0(VALU_DEP_1)
	v_cmpx_ngt_f64_e32 v[213:214], v[215:216]
	s_xor_b32 s2, exec_lo, s2
	s_cbranch_execz .LBB96_259
; %bb.258:
	v_div_scale_f64 v[213:214], null, v[198:199], v[198:199], v[196:197]
	v_div_scale_f64 v[219:220], vcc_lo, v[196:197], v[198:199], v[196:197]
	s_delay_alu instid0(VALU_DEP_2) | instskip(SKIP_2) | instid1(VALU_DEP_1)
	v_rcp_f64_e32 v[215:216], v[213:214]
	s_waitcnt_depctr 0xfff
	v_fma_f64 v[217:218], -v[213:214], v[215:216], 1.0
	v_fma_f64 v[215:216], v[215:216], v[217:218], v[215:216]
	s_delay_alu instid0(VALU_DEP_1) | instskip(NEXT) | instid1(VALU_DEP_1)
	v_fma_f64 v[217:218], -v[213:214], v[215:216], 1.0
	v_fma_f64 v[215:216], v[215:216], v[217:218], v[215:216]
	s_delay_alu instid0(VALU_DEP_1) | instskip(NEXT) | instid1(VALU_DEP_1)
	v_mul_f64 v[217:218], v[219:220], v[215:216]
	v_fma_f64 v[213:214], -v[213:214], v[217:218], v[219:220]
	s_delay_alu instid0(VALU_DEP_1) | instskip(NEXT) | instid1(VALU_DEP_1)
	v_div_fmas_f64 v[213:214], v[213:214], v[215:216], v[217:218]
	v_div_fixup_f64 v[213:214], v[213:214], v[198:199], v[196:197]
	s_delay_alu instid0(VALU_DEP_1) | instskip(NEXT) | instid1(VALU_DEP_1)
	v_fma_f64 v[196:197], v[196:197], v[213:214], v[198:199]
	v_div_scale_f64 v[198:199], null, v[196:197], v[196:197], 1.0
	s_delay_alu instid0(VALU_DEP_1) | instskip(SKIP_2) | instid1(VALU_DEP_1)
	v_rcp_f64_e32 v[215:216], v[198:199]
	s_waitcnt_depctr 0xfff
	v_fma_f64 v[217:218], -v[198:199], v[215:216], 1.0
	v_fma_f64 v[215:216], v[215:216], v[217:218], v[215:216]
	s_delay_alu instid0(VALU_DEP_1) | instskip(NEXT) | instid1(VALU_DEP_1)
	v_fma_f64 v[217:218], -v[198:199], v[215:216], 1.0
	v_fma_f64 v[215:216], v[215:216], v[217:218], v[215:216]
	v_div_scale_f64 v[217:218], vcc_lo, 1.0, v[196:197], 1.0
	s_delay_alu instid0(VALU_DEP_1) | instskip(NEXT) | instid1(VALU_DEP_1)
	v_mul_f64 v[219:220], v[217:218], v[215:216]
	v_fma_f64 v[198:199], -v[198:199], v[219:220], v[217:218]
	s_delay_alu instid0(VALU_DEP_1) | instskip(NEXT) | instid1(VALU_DEP_1)
	v_div_fmas_f64 v[198:199], v[198:199], v[215:216], v[219:220]
	v_div_fixup_f64 v[198:199], v[198:199], v[196:197], 1.0
	s_delay_alu instid0(VALU_DEP_1)
	v_mul_f64 v[196:197], v[213:214], v[198:199]
	v_xor_b32_e32 v199, 0x80000000, v199
.LBB96_259:
	s_and_not1_saveexec_b32 s2, s2
	s_cbranch_execz .LBB96_261
; %bb.260:
	s_delay_alu instid0(VALU_DEP_1) | instskip(SKIP_1) | instid1(VALU_DEP_2)
	v_div_scale_f64 v[213:214], null, v[196:197], v[196:197], v[198:199]
	v_div_scale_f64 v[219:220], vcc_lo, v[198:199], v[196:197], v[198:199]
	v_rcp_f64_e32 v[215:216], v[213:214]
	s_waitcnt_depctr 0xfff
	v_fma_f64 v[217:218], -v[213:214], v[215:216], 1.0
	s_delay_alu instid0(VALU_DEP_1) | instskip(NEXT) | instid1(VALU_DEP_1)
	v_fma_f64 v[215:216], v[215:216], v[217:218], v[215:216]
	v_fma_f64 v[217:218], -v[213:214], v[215:216], 1.0
	s_delay_alu instid0(VALU_DEP_1) | instskip(NEXT) | instid1(VALU_DEP_1)
	v_fma_f64 v[215:216], v[215:216], v[217:218], v[215:216]
	v_mul_f64 v[217:218], v[219:220], v[215:216]
	s_delay_alu instid0(VALU_DEP_1) | instskip(NEXT) | instid1(VALU_DEP_1)
	v_fma_f64 v[213:214], -v[213:214], v[217:218], v[219:220]
	v_div_fmas_f64 v[213:214], v[213:214], v[215:216], v[217:218]
	s_delay_alu instid0(VALU_DEP_1) | instskip(NEXT) | instid1(VALU_DEP_1)
	v_div_fixup_f64 v[213:214], v[213:214], v[196:197], v[198:199]
	v_fma_f64 v[196:197], v[198:199], v[213:214], v[196:197]
	s_delay_alu instid0(VALU_DEP_1) | instskip(NEXT) | instid1(VALU_DEP_1)
	v_div_scale_f64 v[198:199], null, v[196:197], v[196:197], 1.0
	v_rcp_f64_e32 v[215:216], v[198:199]
	s_waitcnt_depctr 0xfff
	v_fma_f64 v[217:218], -v[198:199], v[215:216], 1.0
	s_delay_alu instid0(VALU_DEP_1) | instskip(NEXT) | instid1(VALU_DEP_1)
	v_fma_f64 v[215:216], v[215:216], v[217:218], v[215:216]
	v_fma_f64 v[217:218], -v[198:199], v[215:216], 1.0
	s_delay_alu instid0(VALU_DEP_1) | instskip(SKIP_1) | instid1(VALU_DEP_1)
	v_fma_f64 v[215:216], v[215:216], v[217:218], v[215:216]
	v_div_scale_f64 v[217:218], vcc_lo, 1.0, v[196:197], 1.0
	v_mul_f64 v[219:220], v[217:218], v[215:216]
	s_delay_alu instid0(VALU_DEP_1) | instskip(NEXT) | instid1(VALU_DEP_1)
	v_fma_f64 v[198:199], -v[198:199], v[219:220], v[217:218]
	v_div_fmas_f64 v[198:199], v[198:199], v[215:216], v[219:220]
	s_delay_alu instid0(VALU_DEP_1) | instskip(NEXT) | instid1(VALU_DEP_1)
	v_div_fixup_f64 v[196:197], v[198:199], v[196:197], 1.0
	v_mul_f64 v[198:199], v[213:214], -v[196:197]
.LBB96_261:
	s_or_b32 exec_lo, exec_lo, s2
.LBB96_262:
	s_delay_alu instid0(SALU_CYCLE_1) | instskip(NEXT) | instid1(SALU_CYCLE_1)
	s_or_b32 exec_lo, exec_lo, s3
	s_mov_b32 s2, exec_lo
	v_cmpx_ne_u32_e64 v212, v204
	s_xor_b32 s2, exec_lo, s2
	s_cbranch_execz .LBB96_268
; %bb.263:
	s_mov_b32 s3, exec_lo
	v_cmpx_eq_u32_e32 12, v212
	s_cbranch_execz .LBB96_267
; %bb.264:
	v_cmp_ne_u32_e32 vcc_lo, 12, v204
	s_xor_b32 s6, s4, -1
	s_delay_alu instid0(SALU_CYCLE_1) | instskip(NEXT) | instid1(SALU_CYCLE_1)
	s_and_b32 s7, s6, vcc_lo
	s_and_saveexec_b32 s6, s7
	s_cbranch_execz .LBB96_266
; %bb.265:
	v_ashrrev_i32_e32 v205, 31, v204
	s_delay_alu instid0(VALU_DEP_1) | instskip(NEXT) | instid1(VALU_DEP_1)
	v_lshlrev_b64 v[212:213], 2, v[204:205]
	v_add_co_u32 v212, vcc_lo, v202, v212
	s_delay_alu instid0(VALU_DEP_2)
	v_add_co_ci_u32_e32 v213, vcc_lo, v203, v213, vcc_lo
	s_clause 0x1
	flat_load_b32 v205, v[212:213]
	flat_load_b32 v210, v[202:203] offset:48
	s_waitcnt vmcnt(1) lgkmcnt(1)
	flat_store_b32 v[202:203], v205 offset:48
	s_waitcnt vmcnt(0) lgkmcnt(1)
	flat_store_b32 v[212:213], v210
.LBB96_266:
	s_or_b32 exec_lo, exec_lo, s6
	v_mov_b32_e32 v212, v204
	v_mov_b32_e32 v210, v204
.LBB96_267:
	s_or_b32 exec_lo, exec_lo, s3
.LBB96_268:
	s_and_not1_saveexec_b32 s2, s2
	s_cbranch_execz .LBB96_270
; %bb.269:
	v_mov_b32_e32 v212, 12
	ds_store_2addr_b64 v206, v[140:141], v[142:143] offset0:26 offset1:27
	ds_store_2addr_b64 v206, v[136:137], v[138:139] offset0:28 offset1:29
	;; [unrolled: 1-line block ×36, first 2 shown]
.LBB96_270:
	s_or_b32 exec_lo, exec_lo, s2
	s_delay_alu instid0(SALU_CYCLE_1)
	s_mov_b32 s2, exec_lo
	s_waitcnt lgkmcnt(0)
	s_waitcnt_vscnt null, 0x0
	s_barrier
	buffer_gl0_inv
	v_cmpx_lt_i32_e32 12, v212
	s_cbranch_execz .LBB96_272
; %bb.271:
	v_mul_f64 v[204:205], v[198:199], v[146:147]
	v_mul_f64 v[146:147], v[196:197], v[146:147]
	s_delay_alu instid0(VALU_DEP_2) | instskip(NEXT) | instid1(VALU_DEP_2)
	v_fma_f64 v[204:205], v[196:197], v[144:145], -v[204:205]
	v_fma_f64 v[146:147], v[198:199], v[144:145], v[146:147]
	ds_load_2addr_b64 v[196:199], v206 offset0:26 offset1:27
	s_waitcnt lgkmcnt(0)
	v_mul_f64 v[144:145], v[198:199], v[146:147]
	s_delay_alu instid0(VALU_DEP_1) | instskip(SKIP_1) | instid1(VALU_DEP_2)
	v_fma_f64 v[144:145], v[196:197], v[204:205], -v[144:145]
	v_mul_f64 v[196:197], v[196:197], v[146:147]
	v_add_f64 v[140:141], v[140:141], -v[144:145]
	s_delay_alu instid0(VALU_DEP_2) | instskip(NEXT) | instid1(VALU_DEP_1)
	v_fma_f64 v[196:197], v[198:199], v[204:205], v[196:197]
	v_add_f64 v[142:143], v[142:143], -v[196:197]
	ds_load_2addr_b64 v[196:199], v206 offset0:28 offset1:29
	s_waitcnt lgkmcnt(0)
	v_mul_f64 v[144:145], v[198:199], v[146:147]
	s_delay_alu instid0(VALU_DEP_1) | instskip(SKIP_1) | instid1(VALU_DEP_2)
	v_fma_f64 v[144:145], v[196:197], v[204:205], -v[144:145]
	v_mul_f64 v[196:197], v[196:197], v[146:147]
	v_add_f64 v[136:137], v[136:137], -v[144:145]
	s_delay_alu instid0(VALU_DEP_2) | instskip(NEXT) | instid1(VALU_DEP_1)
	v_fma_f64 v[196:197], v[198:199], v[204:205], v[196:197]
	v_add_f64 v[138:139], v[138:139], -v[196:197]
	;; [unrolled: 10-line block ×35, first 2 shown]
	ds_load_2addr_b64 v[196:199], v206 offset0:96 offset1:97
	s_waitcnt lgkmcnt(0)
	v_mul_f64 v[144:145], v[198:199], v[146:147]
	s_delay_alu instid0(VALU_DEP_1) | instskip(SKIP_1) | instid1(VALU_DEP_2)
	v_fma_f64 v[144:145], v[196:197], v[204:205], -v[144:145]
	v_mul_f64 v[196:197], v[196:197], v[146:147]
	v_add_f64 v[0:1], v[0:1], -v[144:145]
	s_delay_alu instid0(VALU_DEP_2) | instskip(SKIP_1) | instid1(VALU_DEP_2)
	v_fma_f64 v[196:197], v[198:199], v[204:205], v[196:197]
	v_dual_mov_b32 v144, v204 :: v_dual_mov_b32 v145, v205
	v_add_f64 v[2:3], v[2:3], -v[196:197]
.LBB96_272:
	s_or_b32 exec_lo, exec_lo, s2
	v_lshl_add_u32 v196, v212, 4, v206
	s_barrier
	buffer_gl0_inv
	v_mov_b32_e32 v204, 13
	ds_store_2addr_b64 v196, v[140:141], v[142:143] offset1:1
	s_waitcnt lgkmcnt(0)
	s_barrier
	buffer_gl0_inv
	ds_load_2addr_b64 v[196:199], v206 offset0:26 offset1:27
	s_cmp_lt_i32 s5, 15
	s_cbranch_scc1 .LBB96_275
; %bb.273:
	v_add3_u32 v205, v211, 0, 0xe0
	v_mov_b32_e32 v204, 13
	s_mov_b32 s6, 14
	s_set_inst_prefetch_distance 0x1
	.p2align	6
.LBB96_274:                             ; =>This Inner Loop Header: Depth=1
	ds_load_2addr_b64 v[213:216], v205 offset1:1
	s_waitcnt lgkmcnt(1)
	v_cmp_gt_f64_e32 vcc_lo, 0, v[196:197]
	v_xor_b32_e32 v217, 0x80000000, v197
	v_cmp_gt_f64_e64 s2, 0, v[198:199]
	v_xor_b32_e32 v219, 0x80000000, v199
	v_add_nc_u32_e32 v205, 16, v205
	s_waitcnt lgkmcnt(0)
	v_cmp_gt_f64_e64 s3, 0, v[213:214]
	v_mov_b32_e32 v221, v213
	v_dual_mov_b32 v223, v215 :: v_dual_cndmask_b32 v218, v197, v217
	v_xor_b32_e32 v217, 0x80000000, v214
	v_cndmask_b32_e64 v220, v199, v219, s2
	v_xor_b32_e32 v219, 0x80000000, v216
	s_delay_alu instid0(VALU_DEP_3) | instskip(SKIP_2) | instid1(VALU_DEP_2)
	v_cndmask_b32_e64 v222, v214, v217, s3
	v_cmp_gt_f64_e64 s3, 0, v[215:216]
	v_cndmask_b32_e32 v217, v196, v196, vcc_lo
	v_cndmask_b32_e64 v224, v216, v219, s3
	v_cndmask_b32_e64 v219, v198, v198, s2
	s_delay_alu instid0(VALU_DEP_2) | instskip(NEXT) | instid1(VALU_DEP_2)
	v_add_f64 v[221:222], v[221:222], v[223:224]
	v_add_f64 v[217:218], v[217:218], v[219:220]
	s_delay_alu instid0(VALU_DEP_1) | instskip(SKIP_4) | instid1(SALU_CYCLE_1)
	v_cmp_lt_f64_e32 vcc_lo, v[217:218], v[221:222]
	v_dual_cndmask_b32 v198, v198, v215 :: v_dual_cndmask_b32 v197, v197, v214
	v_dual_cndmask_b32 v196, v196, v213 :: v_dual_cndmask_b32 v199, v199, v216
	v_cndmask_b32_e64 v204, v204, s6, vcc_lo
	s_add_i32 s6, s6, 1
	s_cmp_lg_u32 s5, s6
	s_cbranch_scc1 .LBB96_274
.LBB96_275:
	s_set_inst_prefetch_distance 0x2
	s_waitcnt lgkmcnt(0)
	v_cmp_eq_f64_e32 vcc_lo, 0, v[196:197]
	v_cmp_eq_f64_e64 s2, 0, v[198:199]
	s_delay_alu instid0(VALU_DEP_1) | instskip(NEXT) | instid1(SALU_CYCLE_1)
	s_and_b32 s2, vcc_lo, s2
	s_and_saveexec_b32 s3, s2
	s_delay_alu instid0(SALU_CYCLE_1)
	s_xor_b32 s2, exec_lo, s3
; %bb.276:
	v_cmp_ne_u32_e32 vcc_lo, 0, v209
	v_cndmask_b32_e32 v209, 14, v209, vcc_lo
; %bb.277:
	s_and_not1_saveexec_b32 s3, s2
	s_cbranch_execz .LBB96_283
; %bb.278:
	v_cmp_gt_f64_e32 vcc_lo, 0, v[196:197]
	v_cmp_gt_f64_e64 s2, 0, v[198:199]
	v_xor_b32_e32 v205, 0x80000000, v197
	v_xor_b32_e32 v213, 0x80000000, v199
	s_delay_alu instid0(VALU_DEP_2) | instskip(NEXT) | instid1(VALU_DEP_2)
	v_cndmask_b32_e32 v214, v197, v205, vcc_lo
	v_cndmask_b32_e64 v216, v199, v213, s2
	v_cndmask_b32_e32 v213, v196, v196, vcc_lo
	v_cndmask_b32_e64 v215, v198, v198, s2
	s_mov_b32 s2, exec_lo
	s_delay_alu instid0(VALU_DEP_1)
	v_cmpx_ngt_f64_e32 v[213:214], v[215:216]
	s_xor_b32 s2, exec_lo, s2
	s_cbranch_execz .LBB96_280
; %bb.279:
	v_div_scale_f64 v[213:214], null, v[198:199], v[198:199], v[196:197]
	v_div_scale_f64 v[219:220], vcc_lo, v[196:197], v[198:199], v[196:197]
	s_delay_alu instid0(VALU_DEP_2) | instskip(SKIP_2) | instid1(VALU_DEP_1)
	v_rcp_f64_e32 v[215:216], v[213:214]
	s_waitcnt_depctr 0xfff
	v_fma_f64 v[217:218], -v[213:214], v[215:216], 1.0
	v_fma_f64 v[215:216], v[215:216], v[217:218], v[215:216]
	s_delay_alu instid0(VALU_DEP_1) | instskip(NEXT) | instid1(VALU_DEP_1)
	v_fma_f64 v[217:218], -v[213:214], v[215:216], 1.0
	v_fma_f64 v[215:216], v[215:216], v[217:218], v[215:216]
	s_delay_alu instid0(VALU_DEP_1) | instskip(NEXT) | instid1(VALU_DEP_1)
	v_mul_f64 v[217:218], v[219:220], v[215:216]
	v_fma_f64 v[213:214], -v[213:214], v[217:218], v[219:220]
	s_delay_alu instid0(VALU_DEP_1) | instskip(NEXT) | instid1(VALU_DEP_1)
	v_div_fmas_f64 v[213:214], v[213:214], v[215:216], v[217:218]
	v_div_fixup_f64 v[213:214], v[213:214], v[198:199], v[196:197]
	s_delay_alu instid0(VALU_DEP_1) | instskip(NEXT) | instid1(VALU_DEP_1)
	v_fma_f64 v[196:197], v[196:197], v[213:214], v[198:199]
	v_div_scale_f64 v[198:199], null, v[196:197], v[196:197], 1.0
	s_delay_alu instid0(VALU_DEP_1) | instskip(SKIP_2) | instid1(VALU_DEP_1)
	v_rcp_f64_e32 v[215:216], v[198:199]
	s_waitcnt_depctr 0xfff
	v_fma_f64 v[217:218], -v[198:199], v[215:216], 1.0
	v_fma_f64 v[215:216], v[215:216], v[217:218], v[215:216]
	s_delay_alu instid0(VALU_DEP_1) | instskip(NEXT) | instid1(VALU_DEP_1)
	v_fma_f64 v[217:218], -v[198:199], v[215:216], 1.0
	v_fma_f64 v[215:216], v[215:216], v[217:218], v[215:216]
	v_div_scale_f64 v[217:218], vcc_lo, 1.0, v[196:197], 1.0
	s_delay_alu instid0(VALU_DEP_1) | instskip(NEXT) | instid1(VALU_DEP_1)
	v_mul_f64 v[219:220], v[217:218], v[215:216]
	v_fma_f64 v[198:199], -v[198:199], v[219:220], v[217:218]
	s_delay_alu instid0(VALU_DEP_1) | instskip(NEXT) | instid1(VALU_DEP_1)
	v_div_fmas_f64 v[198:199], v[198:199], v[215:216], v[219:220]
	v_div_fixup_f64 v[198:199], v[198:199], v[196:197], 1.0
	s_delay_alu instid0(VALU_DEP_1)
	v_mul_f64 v[196:197], v[213:214], v[198:199]
	v_xor_b32_e32 v199, 0x80000000, v199
.LBB96_280:
	s_and_not1_saveexec_b32 s2, s2
	s_cbranch_execz .LBB96_282
; %bb.281:
	s_delay_alu instid0(VALU_DEP_1) | instskip(SKIP_1) | instid1(VALU_DEP_2)
	v_div_scale_f64 v[213:214], null, v[196:197], v[196:197], v[198:199]
	v_div_scale_f64 v[219:220], vcc_lo, v[198:199], v[196:197], v[198:199]
	v_rcp_f64_e32 v[215:216], v[213:214]
	s_waitcnt_depctr 0xfff
	v_fma_f64 v[217:218], -v[213:214], v[215:216], 1.0
	s_delay_alu instid0(VALU_DEP_1) | instskip(NEXT) | instid1(VALU_DEP_1)
	v_fma_f64 v[215:216], v[215:216], v[217:218], v[215:216]
	v_fma_f64 v[217:218], -v[213:214], v[215:216], 1.0
	s_delay_alu instid0(VALU_DEP_1) | instskip(NEXT) | instid1(VALU_DEP_1)
	v_fma_f64 v[215:216], v[215:216], v[217:218], v[215:216]
	v_mul_f64 v[217:218], v[219:220], v[215:216]
	s_delay_alu instid0(VALU_DEP_1) | instskip(NEXT) | instid1(VALU_DEP_1)
	v_fma_f64 v[213:214], -v[213:214], v[217:218], v[219:220]
	v_div_fmas_f64 v[213:214], v[213:214], v[215:216], v[217:218]
	s_delay_alu instid0(VALU_DEP_1) | instskip(NEXT) | instid1(VALU_DEP_1)
	v_div_fixup_f64 v[213:214], v[213:214], v[196:197], v[198:199]
	v_fma_f64 v[196:197], v[198:199], v[213:214], v[196:197]
	s_delay_alu instid0(VALU_DEP_1) | instskip(NEXT) | instid1(VALU_DEP_1)
	v_div_scale_f64 v[198:199], null, v[196:197], v[196:197], 1.0
	v_rcp_f64_e32 v[215:216], v[198:199]
	s_waitcnt_depctr 0xfff
	v_fma_f64 v[217:218], -v[198:199], v[215:216], 1.0
	s_delay_alu instid0(VALU_DEP_1) | instskip(NEXT) | instid1(VALU_DEP_1)
	v_fma_f64 v[215:216], v[215:216], v[217:218], v[215:216]
	v_fma_f64 v[217:218], -v[198:199], v[215:216], 1.0
	s_delay_alu instid0(VALU_DEP_1) | instskip(SKIP_1) | instid1(VALU_DEP_1)
	v_fma_f64 v[215:216], v[215:216], v[217:218], v[215:216]
	v_div_scale_f64 v[217:218], vcc_lo, 1.0, v[196:197], 1.0
	v_mul_f64 v[219:220], v[217:218], v[215:216]
	s_delay_alu instid0(VALU_DEP_1) | instskip(NEXT) | instid1(VALU_DEP_1)
	v_fma_f64 v[198:199], -v[198:199], v[219:220], v[217:218]
	v_div_fmas_f64 v[198:199], v[198:199], v[215:216], v[219:220]
	s_delay_alu instid0(VALU_DEP_1) | instskip(NEXT) | instid1(VALU_DEP_1)
	v_div_fixup_f64 v[196:197], v[198:199], v[196:197], 1.0
	v_mul_f64 v[198:199], v[213:214], -v[196:197]
.LBB96_282:
	s_or_b32 exec_lo, exec_lo, s2
.LBB96_283:
	s_delay_alu instid0(SALU_CYCLE_1) | instskip(NEXT) | instid1(SALU_CYCLE_1)
	s_or_b32 exec_lo, exec_lo, s3
	s_mov_b32 s2, exec_lo
	v_cmpx_ne_u32_e64 v212, v204
	s_xor_b32 s2, exec_lo, s2
	s_cbranch_execz .LBB96_289
; %bb.284:
	s_mov_b32 s3, exec_lo
	v_cmpx_eq_u32_e32 13, v212
	s_cbranch_execz .LBB96_288
; %bb.285:
	v_cmp_ne_u32_e32 vcc_lo, 13, v204
	s_xor_b32 s6, s4, -1
	s_delay_alu instid0(SALU_CYCLE_1) | instskip(NEXT) | instid1(SALU_CYCLE_1)
	s_and_b32 s7, s6, vcc_lo
	s_and_saveexec_b32 s6, s7
	s_cbranch_execz .LBB96_287
; %bb.286:
	v_ashrrev_i32_e32 v205, 31, v204
	s_delay_alu instid0(VALU_DEP_1) | instskip(NEXT) | instid1(VALU_DEP_1)
	v_lshlrev_b64 v[212:213], 2, v[204:205]
	v_add_co_u32 v212, vcc_lo, v202, v212
	s_delay_alu instid0(VALU_DEP_2)
	v_add_co_ci_u32_e32 v213, vcc_lo, v203, v213, vcc_lo
	s_clause 0x1
	flat_load_b32 v205, v[212:213]
	flat_load_b32 v210, v[202:203] offset:52
	s_waitcnt vmcnt(1) lgkmcnt(1)
	flat_store_b32 v[202:203], v205 offset:52
	s_waitcnt vmcnt(0) lgkmcnt(1)
	flat_store_b32 v[212:213], v210
.LBB96_287:
	s_or_b32 exec_lo, exec_lo, s6
	v_mov_b32_e32 v212, v204
	v_mov_b32_e32 v210, v204
.LBB96_288:
	s_or_b32 exec_lo, exec_lo, s3
.LBB96_289:
	s_and_not1_saveexec_b32 s2, s2
	s_cbranch_execz .LBB96_291
; %bb.290:
	v_mov_b32_e32 v212, 13
	ds_store_2addr_b64 v206, v[136:137], v[138:139] offset0:28 offset1:29
	ds_store_2addr_b64 v206, v[132:133], v[134:135] offset0:30 offset1:31
	ds_store_2addr_b64 v206, v[128:129], v[130:131] offset0:32 offset1:33
	ds_store_2addr_b64 v206, v[124:125], v[126:127] offset0:34 offset1:35
	ds_store_2addr_b64 v206, v[120:121], v[122:123] offset0:36 offset1:37
	ds_store_2addr_b64 v206, v[116:117], v[118:119] offset0:38 offset1:39
	ds_store_2addr_b64 v206, v[112:113], v[114:115] offset0:40 offset1:41
	ds_store_2addr_b64 v206, v[108:109], v[110:111] offset0:42 offset1:43
	ds_store_2addr_b64 v206, v[104:105], v[106:107] offset0:44 offset1:45
	ds_store_2addr_b64 v206, v[100:101], v[102:103] offset0:46 offset1:47
	ds_store_2addr_b64 v206, v[96:97], v[98:99] offset0:48 offset1:49
	ds_store_2addr_b64 v206, v[92:93], v[94:95] offset0:50 offset1:51
	ds_store_2addr_b64 v206, v[88:89], v[90:91] offset0:52 offset1:53
	ds_store_2addr_b64 v206, v[84:85], v[86:87] offset0:54 offset1:55
	ds_store_2addr_b64 v206, v[80:81], v[82:83] offset0:56 offset1:57
	ds_store_2addr_b64 v206, v[76:77], v[78:79] offset0:58 offset1:59
	ds_store_2addr_b64 v206, v[72:73], v[74:75] offset0:60 offset1:61
	ds_store_2addr_b64 v206, v[68:69], v[70:71] offset0:62 offset1:63
	ds_store_2addr_b64 v206, v[64:65], v[66:67] offset0:64 offset1:65
	ds_store_2addr_b64 v206, v[60:61], v[62:63] offset0:66 offset1:67
	ds_store_2addr_b64 v206, v[56:57], v[58:59] offset0:68 offset1:69
	ds_store_2addr_b64 v206, v[52:53], v[54:55] offset0:70 offset1:71
	ds_store_2addr_b64 v206, v[48:49], v[50:51] offset0:72 offset1:73
	ds_store_2addr_b64 v206, v[44:45], v[46:47] offset0:74 offset1:75
	ds_store_2addr_b64 v206, v[40:41], v[42:43] offset0:76 offset1:77
	ds_store_2addr_b64 v206, v[36:37], v[38:39] offset0:78 offset1:79
	ds_store_2addr_b64 v206, v[32:33], v[34:35] offset0:80 offset1:81
	ds_store_2addr_b64 v206, v[28:29], v[30:31] offset0:82 offset1:83
	ds_store_2addr_b64 v206, v[24:25], v[26:27] offset0:84 offset1:85
	ds_store_2addr_b64 v206, v[20:21], v[22:23] offset0:86 offset1:87
	ds_store_2addr_b64 v206, v[16:17], v[18:19] offset0:88 offset1:89
	ds_store_2addr_b64 v206, v[12:13], v[14:15] offset0:90 offset1:91
	ds_store_2addr_b64 v206, v[8:9], v[10:11] offset0:92 offset1:93
	ds_store_2addr_b64 v206, v[4:5], v[6:7] offset0:94 offset1:95
	ds_store_2addr_b64 v206, v[0:1], v[2:3] offset0:96 offset1:97
.LBB96_291:
	s_or_b32 exec_lo, exec_lo, s2
	s_delay_alu instid0(SALU_CYCLE_1)
	s_mov_b32 s2, exec_lo
	s_waitcnt lgkmcnt(0)
	s_waitcnt_vscnt null, 0x0
	s_barrier
	buffer_gl0_inv
	v_cmpx_lt_i32_e32 13, v212
	s_cbranch_execz .LBB96_293
; %bb.292:
	v_mul_f64 v[204:205], v[198:199], v[142:143]
	v_mul_f64 v[142:143], v[196:197], v[142:143]
	s_delay_alu instid0(VALU_DEP_2) | instskip(NEXT) | instid1(VALU_DEP_2)
	v_fma_f64 v[204:205], v[196:197], v[140:141], -v[204:205]
	v_fma_f64 v[142:143], v[198:199], v[140:141], v[142:143]
	ds_load_2addr_b64 v[196:199], v206 offset0:28 offset1:29
	s_waitcnt lgkmcnt(0)
	v_mul_f64 v[140:141], v[198:199], v[142:143]
	s_delay_alu instid0(VALU_DEP_1) | instskip(SKIP_1) | instid1(VALU_DEP_2)
	v_fma_f64 v[140:141], v[196:197], v[204:205], -v[140:141]
	v_mul_f64 v[196:197], v[196:197], v[142:143]
	v_add_f64 v[136:137], v[136:137], -v[140:141]
	s_delay_alu instid0(VALU_DEP_2) | instskip(NEXT) | instid1(VALU_DEP_1)
	v_fma_f64 v[196:197], v[198:199], v[204:205], v[196:197]
	v_add_f64 v[138:139], v[138:139], -v[196:197]
	ds_load_2addr_b64 v[196:199], v206 offset0:30 offset1:31
	s_waitcnt lgkmcnt(0)
	v_mul_f64 v[140:141], v[198:199], v[142:143]
	s_delay_alu instid0(VALU_DEP_1) | instskip(SKIP_1) | instid1(VALU_DEP_2)
	v_fma_f64 v[140:141], v[196:197], v[204:205], -v[140:141]
	v_mul_f64 v[196:197], v[196:197], v[142:143]
	v_add_f64 v[132:133], v[132:133], -v[140:141]
	s_delay_alu instid0(VALU_DEP_2) | instskip(NEXT) | instid1(VALU_DEP_1)
	v_fma_f64 v[196:197], v[198:199], v[204:205], v[196:197]
	v_add_f64 v[134:135], v[134:135], -v[196:197]
	;; [unrolled: 10-line block ×34, first 2 shown]
	ds_load_2addr_b64 v[196:199], v206 offset0:96 offset1:97
	s_waitcnt lgkmcnt(0)
	v_mul_f64 v[140:141], v[198:199], v[142:143]
	s_delay_alu instid0(VALU_DEP_1) | instskip(SKIP_1) | instid1(VALU_DEP_2)
	v_fma_f64 v[140:141], v[196:197], v[204:205], -v[140:141]
	v_mul_f64 v[196:197], v[196:197], v[142:143]
	v_add_f64 v[0:1], v[0:1], -v[140:141]
	s_delay_alu instid0(VALU_DEP_2) | instskip(SKIP_1) | instid1(VALU_DEP_2)
	v_fma_f64 v[196:197], v[198:199], v[204:205], v[196:197]
	v_dual_mov_b32 v140, v204 :: v_dual_mov_b32 v141, v205
	v_add_f64 v[2:3], v[2:3], -v[196:197]
.LBB96_293:
	s_or_b32 exec_lo, exec_lo, s2
	v_lshl_add_u32 v196, v212, 4, v206
	s_barrier
	buffer_gl0_inv
	v_mov_b32_e32 v204, 14
	ds_store_2addr_b64 v196, v[136:137], v[138:139] offset1:1
	s_waitcnt lgkmcnt(0)
	s_barrier
	buffer_gl0_inv
	ds_load_2addr_b64 v[196:199], v206 offset0:28 offset1:29
	s_cmp_lt_i32 s5, 16
	s_cbranch_scc1 .LBB96_296
; %bb.294:
	v_add3_u32 v205, v211, 0, 0xf0
	v_mov_b32_e32 v204, 14
	s_mov_b32 s6, 15
	s_set_inst_prefetch_distance 0x1
	.p2align	6
.LBB96_295:                             ; =>This Inner Loop Header: Depth=1
	ds_load_2addr_b64 v[213:216], v205 offset1:1
	s_waitcnt lgkmcnt(1)
	v_cmp_gt_f64_e32 vcc_lo, 0, v[196:197]
	v_xor_b32_e32 v217, 0x80000000, v197
	v_cmp_gt_f64_e64 s2, 0, v[198:199]
	v_xor_b32_e32 v219, 0x80000000, v199
	v_add_nc_u32_e32 v205, 16, v205
	s_waitcnt lgkmcnt(0)
	v_cmp_gt_f64_e64 s3, 0, v[213:214]
	v_mov_b32_e32 v221, v213
	v_dual_mov_b32 v223, v215 :: v_dual_cndmask_b32 v218, v197, v217
	v_xor_b32_e32 v217, 0x80000000, v214
	v_cndmask_b32_e64 v220, v199, v219, s2
	v_xor_b32_e32 v219, 0x80000000, v216
	s_delay_alu instid0(VALU_DEP_3) | instskip(SKIP_2) | instid1(VALU_DEP_2)
	v_cndmask_b32_e64 v222, v214, v217, s3
	v_cmp_gt_f64_e64 s3, 0, v[215:216]
	v_cndmask_b32_e32 v217, v196, v196, vcc_lo
	v_cndmask_b32_e64 v224, v216, v219, s3
	v_cndmask_b32_e64 v219, v198, v198, s2
	s_delay_alu instid0(VALU_DEP_2) | instskip(NEXT) | instid1(VALU_DEP_2)
	v_add_f64 v[221:222], v[221:222], v[223:224]
	v_add_f64 v[217:218], v[217:218], v[219:220]
	s_delay_alu instid0(VALU_DEP_1) | instskip(SKIP_4) | instid1(SALU_CYCLE_1)
	v_cmp_lt_f64_e32 vcc_lo, v[217:218], v[221:222]
	v_dual_cndmask_b32 v198, v198, v215 :: v_dual_cndmask_b32 v197, v197, v214
	v_dual_cndmask_b32 v196, v196, v213 :: v_dual_cndmask_b32 v199, v199, v216
	v_cndmask_b32_e64 v204, v204, s6, vcc_lo
	s_add_i32 s6, s6, 1
	s_cmp_lg_u32 s5, s6
	s_cbranch_scc1 .LBB96_295
.LBB96_296:
	s_set_inst_prefetch_distance 0x2
	s_waitcnt lgkmcnt(0)
	v_cmp_eq_f64_e32 vcc_lo, 0, v[196:197]
	v_cmp_eq_f64_e64 s2, 0, v[198:199]
	s_delay_alu instid0(VALU_DEP_1) | instskip(NEXT) | instid1(SALU_CYCLE_1)
	s_and_b32 s2, vcc_lo, s2
	s_and_saveexec_b32 s3, s2
	s_delay_alu instid0(SALU_CYCLE_1)
	s_xor_b32 s2, exec_lo, s3
; %bb.297:
	v_cmp_ne_u32_e32 vcc_lo, 0, v209
	v_cndmask_b32_e32 v209, 15, v209, vcc_lo
; %bb.298:
	s_and_not1_saveexec_b32 s3, s2
	s_cbranch_execz .LBB96_304
; %bb.299:
	v_cmp_gt_f64_e32 vcc_lo, 0, v[196:197]
	v_cmp_gt_f64_e64 s2, 0, v[198:199]
	v_xor_b32_e32 v205, 0x80000000, v197
	v_xor_b32_e32 v213, 0x80000000, v199
	s_delay_alu instid0(VALU_DEP_2) | instskip(NEXT) | instid1(VALU_DEP_2)
	v_cndmask_b32_e32 v214, v197, v205, vcc_lo
	v_cndmask_b32_e64 v216, v199, v213, s2
	v_cndmask_b32_e32 v213, v196, v196, vcc_lo
	v_cndmask_b32_e64 v215, v198, v198, s2
	s_mov_b32 s2, exec_lo
	s_delay_alu instid0(VALU_DEP_1)
	v_cmpx_ngt_f64_e32 v[213:214], v[215:216]
	s_xor_b32 s2, exec_lo, s2
	s_cbranch_execz .LBB96_301
; %bb.300:
	v_div_scale_f64 v[213:214], null, v[198:199], v[198:199], v[196:197]
	v_div_scale_f64 v[219:220], vcc_lo, v[196:197], v[198:199], v[196:197]
	s_delay_alu instid0(VALU_DEP_2) | instskip(SKIP_2) | instid1(VALU_DEP_1)
	v_rcp_f64_e32 v[215:216], v[213:214]
	s_waitcnt_depctr 0xfff
	v_fma_f64 v[217:218], -v[213:214], v[215:216], 1.0
	v_fma_f64 v[215:216], v[215:216], v[217:218], v[215:216]
	s_delay_alu instid0(VALU_DEP_1) | instskip(NEXT) | instid1(VALU_DEP_1)
	v_fma_f64 v[217:218], -v[213:214], v[215:216], 1.0
	v_fma_f64 v[215:216], v[215:216], v[217:218], v[215:216]
	s_delay_alu instid0(VALU_DEP_1) | instskip(NEXT) | instid1(VALU_DEP_1)
	v_mul_f64 v[217:218], v[219:220], v[215:216]
	v_fma_f64 v[213:214], -v[213:214], v[217:218], v[219:220]
	s_delay_alu instid0(VALU_DEP_1) | instskip(NEXT) | instid1(VALU_DEP_1)
	v_div_fmas_f64 v[213:214], v[213:214], v[215:216], v[217:218]
	v_div_fixup_f64 v[213:214], v[213:214], v[198:199], v[196:197]
	s_delay_alu instid0(VALU_DEP_1) | instskip(NEXT) | instid1(VALU_DEP_1)
	v_fma_f64 v[196:197], v[196:197], v[213:214], v[198:199]
	v_div_scale_f64 v[198:199], null, v[196:197], v[196:197], 1.0
	s_delay_alu instid0(VALU_DEP_1) | instskip(SKIP_2) | instid1(VALU_DEP_1)
	v_rcp_f64_e32 v[215:216], v[198:199]
	s_waitcnt_depctr 0xfff
	v_fma_f64 v[217:218], -v[198:199], v[215:216], 1.0
	v_fma_f64 v[215:216], v[215:216], v[217:218], v[215:216]
	s_delay_alu instid0(VALU_DEP_1) | instskip(NEXT) | instid1(VALU_DEP_1)
	v_fma_f64 v[217:218], -v[198:199], v[215:216], 1.0
	v_fma_f64 v[215:216], v[215:216], v[217:218], v[215:216]
	v_div_scale_f64 v[217:218], vcc_lo, 1.0, v[196:197], 1.0
	s_delay_alu instid0(VALU_DEP_1) | instskip(NEXT) | instid1(VALU_DEP_1)
	v_mul_f64 v[219:220], v[217:218], v[215:216]
	v_fma_f64 v[198:199], -v[198:199], v[219:220], v[217:218]
	s_delay_alu instid0(VALU_DEP_1) | instskip(NEXT) | instid1(VALU_DEP_1)
	v_div_fmas_f64 v[198:199], v[198:199], v[215:216], v[219:220]
	v_div_fixup_f64 v[198:199], v[198:199], v[196:197], 1.0
	s_delay_alu instid0(VALU_DEP_1)
	v_mul_f64 v[196:197], v[213:214], v[198:199]
	v_xor_b32_e32 v199, 0x80000000, v199
.LBB96_301:
	s_and_not1_saveexec_b32 s2, s2
	s_cbranch_execz .LBB96_303
; %bb.302:
	s_delay_alu instid0(VALU_DEP_1) | instskip(SKIP_1) | instid1(VALU_DEP_2)
	v_div_scale_f64 v[213:214], null, v[196:197], v[196:197], v[198:199]
	v_div_scale_f64 v[219:220], vcc_lo, v[198:199], v[196:197], v[198:199]
	v_rcp_f64_e32 v[215:216], v[213:214]
	s_waitcnt_depctr 0xfff
	v_fma_f64 v[217:218], -v[213:214], v[215:216], 1.0
	s_delay_alu instid0(VALU_DEP_1) | instskip(NEXT) | instid1(VALU_DEP_1)
	v_fma_f64 v[215:216], v[215:216], v[217:218], v[215:216]
	v_fma_f64 v[217:218], -v[213:214], v[215:216], 1.0
	s_delay_alu instid0(VALU_DEP_1) | instskip(NEXT) | instid1(VALU_DEP_1)
	v_fma_f64 v[215:216], v[215:216], v[217:218], v[215:216]
	v_mul_f64 v[217:218], v[219:220], v[215:216]
	s_delay_alu instid0(VALU_DEP_1) | instskip(NEXT) | instid1(VALU_DEP_1)
	v_fma_f64 v[213:214], -v[213:214], v[217:218], v[219:220]
	v_div_fmas_f64 v[213:214], v[213:214], v[215:216], v[217:218]
	s_delay_alu instid0(VALU_DEP_1) | instskip(NEXT) | instid1(VALU_DEP_1)
	v_div_fixup_f64 v[213:214], v[213:214], v[196:197], v[198:199]
	v_fma_f64 v[196:197], v[198:199], v[213:214], v[196:197]
	s_delay_alu instid0(VALU_DEP_1) | instskip(NEXT) | instid1(VALU_DEP_1)
	v_div_scale_f64 v[198:199], null, v[196:197], v[196:197], 1.0
	v_rcp_f64_e32 v[215:216], v[198:199]
	s_waitcnt_depctr 0xfff
	v_fma_f64 v[217:218], -v[198:199], v[215:216], 1.0
	s_delay_alu instid0(VALU_DEP_1) | instskip(NEXT) | instid1(VALU_DEP_1)
	v_fma_f64 v[215:216], v[215:216], v[217:218], v[215:216]
	v_fma_f64 v[217:218], -v[198:199], v[215:216], 1.0
	s_delay_alu instid0(VALU_DEP_1) | instskip(SKIP_1) | instid1(VALU_DEP_1)
	v_fma_f64 v[215:216], v[215:216], v[217:218], v[215:216]
	v_div_scale_f64 v[217:218], vcc_lo, 1.0, v[196:197], 1.0
	v_mul_f64 v[219:220], v[217:218], v[215:216]
	s_delay_alu instid0(VALU_DEP_1) | instskip(NEXT) | instid1(VALU_DEP_1)
	v_fma_f64 v[198:199], -v[198:199], v[219:220], v[217:218]
	v_div_fmas_f64 v[198:199], v[198:199], v[215:216], v[219:220]
	s_delay_alu instid0(VALU_DEP_1) | instskip(NEXT) | instid1(VALU_DEP_1)
	v_div_fixup_f64 v[196:197], v[198:199], v[196:197], 1.0
	v_mul_f64 v[198:199], v[213:214], -v[196:197]
.LBB96_303:
	s_or_b32 exec_lo, exec_lo, s2
.LBB96_304:
	s_delay_alu instid0(SALU_CYCLE_1) | instskip(NEXT) | instid1(SALU_CYCLE_1)
	s_or_b32 exec_lo, exec_lo, s3
	s_mov_b32 s2, exec_lo
	v_cmpx_ne_u32_e64 v212, v204
	s_xor_b32 s2, exec_lo, s2
	s_cbranch_execz .LBB96_310
; %bb.305:
	s_mov_b32 s3, exec_lo
	v_cmpx_eq_u32_e32 14, v212
	s_cbranch_execz .LBB96_309
; %bb.306:
	v_cmp_ne_u32_e32 vcc_lo, 14, v204
	s_xor_b32 s6, s4, -1
	s_delay_alu instid0(SALU_CYCLE_1) | instskip(NEXT) | instid1(SALU_CYCLE_1)
	s_and_b32 s7, s6, vcc_lo
	s_and_saveexec_b32 s6, s7
	s_cbranch_execz .LBB96_308
; %bb.307:
	v_ashrrev_i32_e32 v205, 31, v204
	s_delay_alu instid0(VALU_DEP_1) | instskip(NEXT) | instid1(VALU_DEP_1)
	v_lshlrev_b64 v[212:213], 2, v[204:205]
	v_add_co_u32 v212, vcc_lo, v202, v212
	s_delay_alu instid0(VALU_DEP_2)
	v_add_co_ci_u32_e32 v213, vcc_lo, v203, v213, vcc_lo
	s_clause 0x1
	flat_load_b32 v205, v[212:213]
	flat_load_b32 v210, v[202:203] offset:56
	s_waitcnt vmcnt(1) lgkmcnt(1)
	flat_store_b32 v[202:203], v205 offset:56
	s_waitcnt vmcnt(0) lgkmcnt(1)
	flat_store_b32 v[212:213], v210
.LBB96_308:
	s_or_b32 exec_lo, exec_lo, s6
	v_mov_b32_e32 v212, v204
	v_mov_b32_e32 v210, v204
.LBB96_309:
	s_or_b32 exec_lo, exec_lo, s3
.LBB96_310:
	s_and_not1_saveexec_b32 s2, s2
	s_cbranch_execz .LBB96_312
; %bb.311:
	v_mov_b32_e32 v212, 14
	ds_store_2addr_b64 v206, v[132:133], v[134:135] offset0:30 offset1:31
	ds_store_2addr_b64 v206, v[128:129], v[130:131] offset0:32 offset1:33
	;; [unrolled: 1-line block ×34, first 2 shown]
.LBB96_312:
	s_or_b32 exec_lo, exec_lo, s2
	s_delay_alu instid0(SALU_CYCLE_1)
	s_mov_b32 s2, exec_lo
	s_waitcnt lgkmcnt(0)
	s_waitcnt_vscnt null, 0x0
	s_barrier
	buffer_gl0_inv
	v_cmpx_lt_i32_e32 14, v212
	s_cbranch_execz .LBB96_314
; %bb.313:
	v_mul_f64 v[204:205], v[198:199], v[138:139]
	v_mul_f64 v[138:139], v[196:197], v[138:139]
	s_delay_alu instid0(VALU_DEP_2) | instskip(NEXT) | instid1(VALU_DEP_2)
	v_fma_f64 v[204:205], v[196:197], v[136:137], -v[204:205]
	v_fma_f64 v[138:139], v[198:199], v[136:137], v[138:139]
	ds_load_2addr_b64 v[196:199], v206 offset0:30 offset1:31
	s_waitcnt lgkmcnt(0)
	v_mul_f64 v[136:137], v[198:199], v[138:139]
	s_delay_alu instid0(VALU_DEP_1) | instskip(SKIP_1) | instid1(VALU_DEP_2)
	v_fma_f64 v[136:137], v[196:197], v[204:205], -v[136:137]
	v_mul_f64 v[196:197], v[196:197], v[138:139]
	v_add_f64 v[132:133], v[132:133], -v[136:137]
	s_delay_alu instid0(VALU_DEP_2) | instskip(NEXT) | instid1(VALU_DEP_1)
	v_fma_f64 v[196:197], v[198:199], v[204:205], v[196:197]
	v_add_f64 v[134:135], v[134:135], -v[196:197]
	ds_load_2addr_b64 v[196:199], v206 offset0:32 offset1:33
	s_waitcnt lgkmcnt(0)
	v_mul_f64 v[136:137], v[198:199], v[138:139]
	s_delay_alu instid0(VALU_DEP_1) | instskip(SKIP_1) | instid1(VALU_DEP_2)
	v_fma_f64 v[136:137], v[196:197], v[204:205], -v[136:137]
	v_mul_f64 v[196:197], v[196:197], v[138:139]
	v_add_f64 v[128:129], v[128:129], -v[136:137]
	s_delay_alu instid0(VALU_DEP_2) | instskip(NEXT) | instid1(VALU_DEP_1)
	v_fma_f64 v[196:197], v[198:199], v[204:205], v[196:197]
	v_add_f64 v[130:131], v[130:131], -v[196:197]
	;; [unrolled: 10-line block ×33, first 2 shown]
	ds_load_2addr_b64 v[196:199], v206 offset0:96 offset1:97
	s_waitcnt lgkmcnt(0)
	v_mul_f64 v[136:137], v[198:199], v[138:139]
	s_delay_alu instid0(VALU_DEP_1) | instskip(SKIP_1) | instid1(VALU_DEP_2)
	v_fma_f64 v[136:137], v[196:197], v[204:205], -v[136:137]
	v_mul_f64 v[196:197], v[196:197], v[138:139]
	v_add_f64 v[0:1], v[0:1], -v[136:137]
	s_delay_alu instid0(VALU_DEP_2) | instskip(SKIP_1) | instid1(VALU_DEP_2)
	v_fma_f64 v[196:197], v[198:199], v[204:205], v[196:197]
	v_dual_mov_b32 v136, v204 :: v_dual_mov_b32 v137, v205
	v_add_f64 v[2:3], v[2:3], -v[196:197]
.LBB96_314:
	s_or_b32 exec_lo, exec_lo, s2
	v_lshl_add_u32 v196, v212, 4, v206
	s_barrier
	buffer_gl0_inv
	v_mov_b32_e32 v204, 15
	ds_store_2addr_b64 v196, v[132:133], v[134:135] offset1:1
	s_waitcnt lgkmcnt(0)
	s_barrier
	buffer_gl0_inv
	ds_load_2addr_b64 v[196:199], v206 offset0:30 offset1:31
	s_cmp_lt_i32 s5, 17
	s_cbranch_scc1 .LBB96_317
; %bb.315:
	v_add3_u32 v205, v211, 0, 0x100
	v_mov_b32_e32 v204, 15
	s_mov_b32 s6, 16
	s_set_inst_prefetch_distance 0x1
	.p2align	6
.LBB96_316:                             ; =>This Inner Loop Header: Depth=1
	ds_load_2addr_b64 v[213:216], v205 offset1:1
	s_waitcnt lgkmcnt(1)
	v_cmp_gt_f64_e32 vcc_lo, 0, v[196:197]
	v_xor_b32_e32 v217, 0x80000000, v197
	v_cmp_gt_f64_e64 s2, 0, v[198:199]
	v_xor_b32_e32 v219, 0x80000000, v199
	v_add_nc_u32_e32 v205, 16, v205
	s_waitcnt lgkmcnt(0)
	v_cmp_gt_f64_e64 s3, 0, v[213:214]
	v_mov_b32_e32 v221, v213
	v_dual_mov_b32 v223, v215 :: v_dual_cndmask_b32 v218, v197, v217
	v_xor_b32_e32 v217, 0x80000000, v214
	v_cndmask_b32_e64 v220, v199, v219, s2
	v_xor_b32_e32 v219, 0x80000000, v216
	s_delay_alu instid0(VALU_DEP_3) | instskip(SKIP_2) | instid1(VALU_DEP_2)
	v_cndmask_b32_e64 v222, v214, v217, s3
	v_cmp_gt_f64_e64 s3, 0, v[215:216]
	v_cndmask_b32_e32 v217, v196, v196, vcc_lo
	v_cndmask_b32_e64 v224, v216, v219, s3
	v_cndmask_b32_e64 v219, v198, v198, s2
	s_delay_alu instid0(VALU_DEP_2) | instskip(NEXT) | instid1(VALU_DEP_2)
	v_add_f64 v[221:222], v[221:222], v[223:224]
	v_add_f64 v[217:218], v[217:218], v[219:220]
	s_delay_alu instid0(VALU_DEP_1) | instskip(SKIP_4) | instid1(SALU_CYCLE_1)
	v_cmp_lt_f64_e32 vcc_lo, v[217:218], v[221:222]
	v_dual_cndmask_b32 v198, v198, v215 :: v_dual_cndmask_b32 v197, v197, v214
	v_dual_cndmask_b32 v196, v196, v213 :: v_dual_cndmask_b32 v199, v199, v216
	v_cndmask_b32_e64 v204, v204, s6, vcc_lo
	s_add_i32 s6, s6, 1
	s_cmp_lg_u32 s5, s6
	s_cbranch_scc1 .LBB96_316
.LBB96_317:
	s_set_inst_prefetch_distance 0x2
	s_waitcnt lgkmcnt(0)
	v_cmp_eq_f64_e32 vcc_lo, 0, v[196:197]
	v_cmp_eq_f64_e64 s2, 0, v[198:199]
	s_delay_alu instid0(VALU_DEP_1) | instskip(NEXT) | instid1(SALU_CYCLE_1)
	s_and_b32 s2, vcc_lo, s2
	s_and_saveexec_b32 s3, s2
	s_delay_alu instid0(SALU_CYCLE_1)
	s_xor_b32 s2, exec_lo, s3
; %bb.318:
	v_cmp_ne_u32_e32 vcc_lo, 0, v209
	v_cndmask_b32_e32 v209, 16, v209, vcc_lo
; %bb.319:
	s_and_not1_saveexec_b32 s3, s2
	s_cbranch_execz .LBB96_325
; %bb.320:
	v_cmp_gt_f64_e32 vcc_lo, 0, v[196:197]
	v_cmp_gt_f64_e64 s2, 0, v[198:199]
	v_xor_b32_e32 v205, 0x80000000, v197
	v_xor_b32_e32 v213, 0x80000000, v199
	s_delay_alu instid0(VALU_DEP_2) | instskip(NEXT) | instid1(VALU_DEP_2)
	v_cndmask_b32_e32 v214, v197, v205, vcc_lo
	v_cndmask_b32_e64 v216, v199, v213, s2
	v_cndmask_b32_e32 v213, v196, v196, vcc_lo
	v_cndmask_b32_e64 v215, v198, v198, s2
	s_mov_b32 s2, exec_lo
	s_delay_alu instid0(VALU_DEP_1)
	v_cmpx_ngt_f64_e32 v[213:214], v[215:216]
	s_xor_b32 s2, exec_lo, s2
	s_cbranch_execz .LBB96_322
; %bb.321:
	v_div_scale_f64 v[213:214], null, v[198:199], v[198:199], v[196:197]
	v_div_scale_f64 v[219:220], vcc_lo, v[196:197], v[198:199], v[196:197]
	s_delay_alu instid0(VALU_DEP_2) | instskip(SKIP_2) | instid1(VALU_DEP_1)
	v_rcp_f64_e32 v[215:216], v[213:214]
	s_waitcnt_depctr 0xfff
	v_fma_f64 v[217:218], -v[213:214], v[215:216], 1.0
	v_fma_f64 v[215:216], v[215:216], v[217:218], v[215:216]
	s_delay_alu instid0(VALU_DEP_1) | instskip(NEXT) | instid1(VALU_DEP_1)
	v_fma_f64 v[217:218], -v[213:214], v[215:216], 1.0
	v_fma_f64 v[215:216], v[215:216], v[217:218], v[215:216]
	s_delay_alu instid0(VALU_DEP_1) | instskip(NEXT) | instid1(VALU_DEP_1)
	v_mul_f64 v[217:218], v[219:220], v[215:216]
	v_fma_f64 v[213:214], -v[213:214], v[217:218], v[219:220]
	s_delay_alu instid0(VALU_DEP_1) | instskip(NEXT) | instid1(VALU_DEP_1)
	v_div_fmas_f64 v[213:214], v[213:214], v[215:216], v[217:218]
	v_div_fixup_f64 v[213:214], v[213:214], v[198:199], v[196:197]
	s_delay_alu instid0(VALU_DEP_1) | instskip(NEXT) | instid1(VALU_DEP_1)
	v_fma_f64 v[196:197], v[196:197], v[213:214], v[198:199]
	v_div_scale_f64 v[198:199], null, v[196:197], v[196:197], 1.0
	s_delay_alu instid0(VALU_DEP_1) | instskip(SKIP_2) | instid1(VALU_DEP_1)
	v_rcp_f64_e32 v[215:216], v[198:199]
	s_waitcnt_depctr 0xfff
	v_fma_f64 v[217:218], -v[198:199], v[215:216], 1.0
	v_fma_f64 v[215:216], v[215:216], v[217:218], v[215:216]
	s_delay_alu instid0(VALU_DEP_1) | instskip(NEXT) | instid1(VALU_DEP_1)
	v_fma_f64 v[217:218], -v[198:199], v[215:216], 1.0
	v_fma_f64 v[215:216], v[215:216], v[217:218], v[215:216]
	v_div_scale_f64 v[217:218], vcc_lo, 1.0, v[196:197], 1.0
	s_delay_alu instid0(VALU_DEP_1) | instskip(NEXT) | instid1(VALU_DEP_1)
	v_mul_f64 v[219:220], v[217:218], v[215:216]
	v_fma_f64 v[198:199], -v[198:199], v[219:220], v[217:218]
	s_delay_alu instid0(VALU_DEP_1) | instskip(NEXT) | instid1(VALU_DEP_1)
	v_div_fmas_f64 v[198:199], v[198:199], v[215:216], v[219:220]
	v_div_fixup_f64 v[198:199], v[198:199], v[196:197], 1.0
	s_delay_alu instid0(VALU_DEP_1)
	v_mul_f64 v[196:197], v[213:214], v[198:199]
	v_xor_b32_e32 v199, 0x80000000, v199
.LBB96_322:
	s_and_not1_saveexec_b32 s2, s2
	s_cbranch_execz .LBB96_324
; %bb.323:
	s_delay_alu instid0(VALU_DEP_1) | instskip(SKIP_1) | instid1(VALU_DEP_2)
	v_div_scale_f64 v[213:214], null, v[196:197], v[196:197], v[198:199]
	v_div_scale_f64 v[219:220], vcc_lo, v[198:199], v[196:197], v[198:199]
	v_rcp_f64_e32 v[215:216], v[213:214]
	s_waitcnt_depctr 0xfff
	v_fma_f64 v[217:218], -v[213:214], v[215:216], 1.0
	s_delay_alu instid0(VALU_DEP_1) | instskip(NEXT) | instid1(VALU_DEP_1)
	v_fma_f64 v[215:216], v[215:216], v[217:218], v[215:216]
	v_fma_f64 v[217:218], -v[213:214], v[215:216], 1.0
	s_delay_alu instid0(VALU_DEP_1) | instskip(NEXT) | instid1(VALU_DEP_1)
	v_fma_f64 v[215:216], v[215:216], v[217:218], v[215:216]
	v_mul_f64 v[217:218], v[219:220], v[215:216]
	s_delay_alu instid0(VALU_DEP_1) | instskip(NEXT) | instid1(VALU_DEP_1)
	v_fma_f64 v[213:214], -v[213:214], v[217:218], v[219:220]
	v_div_fmas_f64 v[213:214], v[213:214], v[215:216], v[217:218]
	s_delay_alu instid0(VALU_DEP_1) | instskip(NEXT) | instid1(VALU_DEP_1)
	v_div_fixup_f64 v[213:214], v[213:214], v[196:197], v[198:199]
	v_fma_f64 v[196:197], v[198:199], v[213:214], v[196:197]
	s_delay_alu instid0(VALU_DEP_1) | instskip(NEXT) | instid1(VALU_DEP_1)
	v_div_scale_f64 v[198:199], null, v[196:197], v[196:197], 1.0
	v_rcp_f64_e32 v[215:216], v[198:199]
	s_waitcnt_depctr 0xfff
	v_fma_f64 v[217:218], -v[198:199], v[215:216], 1.0
	s_delay_alu instid0(VALU_DEP_1) | instskip(NEXT) | instid1(VALU_DEP_1)
	v_fma_f64 v[215:216], v[215:216], v[217:218], v[215:216]
	v_fma_f64 v[217:218], -v[198:199], v[215:216], 1.0
	s_delay_alu instid0(VALU_DEP_1) | instskip(SKIP_1) | instid1(VALU_DEP_1)
	v_fma_f64 v[215:216], v[215:216], v[217:218], v[215:216]
	v_div_scale_f64 v[217:218], vcc_lo, 1.0, v[196:197], 1.0
	v_mul_f64 v[219:220], v[217:218], v[215:216]
	s_delay_alu instid0(VALU_DEP_1) | instskip(NEXT) | instid1(VALU_DEP_1)
	v_fma_f64 v[198:199], -v[198:199], v[219:220], v[217:218]
	v_div_fmas_f64 v[198:199], v[198:199], v[215:216], v[219:220]
	s_delay_alu instid0(VALU_DEP_1) | instskip(NEXT) | instid1(VALU_DEP_1)
	v_div_fixup_f64 v[196:197], v[198:199], v[196:197], 1.0
	v_mul_f64 v[198:199], v[213:214], -v[196:197]
.LBB96_324:
	s_or_b32 exec_lo, exec_lo, s2
.LBB96_325:
	s_delay_alu instid0(SALU_CYCLE_1) | instskip(NEXT) | instid1(SALU_CYCLE_1)
	s_or_b32 exec_lo, exec_lo, s3
	s_mov_b32 s2, exec_lo
	v_cmpx_ne_u32_e64 v212, v204
	s_xor_b32 s2, exec_lo, s2
	s_cbranch_execz .LBB96_331
; %bb.326:
	s_mov_b32 s3, exec_lo
	v_cmpx_eq_u32_e32 15, v212
	s_cbranch_execz .LBB96_330
; %bb.327:
	v_cmp_ne_u32_e32 vcc_lo, 15, v204
	s_xor_b32 s6, s4, -1
	s_delay_alu instid0(SALU_CYCLE_1) | instskip(NEXT) | instid1(SALU_CYCLE_1)
	s_and_b32 s7, s6, vcc_lo
	s_and_saveexec_b32 s6, s7
	s_cbranch_execz .LBB96_329
; %bb.328:
	v_ashrrev_i32_e32 v205, 31, v204
	s_delay_alu instid0(VALU_DEP_1) | instskip(NEXT) | instid1(VALU_DEP_1)
	v_lshlrev_b64 v[212:213], 2, v[204:205]
	v_add_co_u32 v212, vcc_lo, v202, v212
	s_delay_alu instid0(VALU_DEP_2)
	v_add_co_ci_u32_e32 v213, vcc_lo, v203, v213, vcc_lo
	s_clause 0x1
	flat_load_b32 v205, v[212:213]
	flat_load_b32 v210, v[202:203] offset:60
	s_waitcnt vmcnt(1) lgkmcnt(1)
	flat_store_b32 v[202:203], v205 offset:60
	s_waitcnt vmcnt(0) lgkmcnt(1)
	flat_store_b32 v[212:213], v210
.LBB96_329:
	s_or_b32 exec_lo, exec_lo, s6
	v_mov_b32_e32 v212, v204
	v_mov_b32_e32 v210, v204
.LBB96_330:
	s_or_b32 exec_lo, exec_lo, s3
.LBB96_331:
	s_and_not1_saveexec_b32 s2, s2
	s_cbranch_execz .LBB96_333
; %bb.332:
	v_mov_b32_e32 v212, 15
	ds_store_2addr_b64 v206, v[128:129], v[130:131] offset0:32 offset1:33
	ds_store_2addr_b64 v206, v[124:125], v[126:127] offset0:34 offset1:35
	;; [unrolled: 1-line block ×33, first 2 shown]
.LBB96_333:
	s_or_b32 exec_lo, exec_lo, s2
	s_delay_alu instid0(SALU_CYCLE_1)
	s_mov_b32 s2, exec_lo
	s_waitcnt lgkmcnt(0)
	s_waitcnt_vscnt null, 0x0
	s_barrier
	buffer_gl0_inv
	v_cmpx_lt_i32_e32 15, v212
	s_cbranch_execz .LBB96_335
; %bb.334:
	v_mul_f64 v[204:205], v[198:199], v[134:135]
	v_mul_f64 v[134:135], v[196:197], v[134:135]
	s_delay_alu instid0(VALU_DEP_2) | instskip(NEXT) | instid1(VALU_DEP_2)
	v_fma_f64 v[204:205], v[196:197], v[132:133], -v[204:205]
	v_fma_f64 v[134:135], v[198:199], v[132:133], v[134:135]
	ds_load_2addr_b64 v[196:199], v206 offset0:32 offset1:33
	s_waitcnt lgkmcnt(0)
	v_mul_f64 v[132:133], v[198:199], v[134:135]
	s_delay_alu instid0(VALU_DEP_1) | instskip(SKIP_1) | instid1(VALU_DEP_2)
	v_fma_f64 v[132:133], v[196:197], v[204:205], -v[132:133]
	v_mul_f64 v[196:197], v[196:197], v[134:135]
	v_add_f64 v[128:129], v[128:129], -v[132:133]
	s_delay_alu instid0(VALU_DEP_2) | instskip(NEXT) | instid1(VALU_DEP_1)
	v_fma_f64 v[196:197], v[198:199], v[204:205], v[196:197]
	v_add_f64 v[130:131], v[130:131], -v[196:197]
	ds_load_2addr_b64 v[196:199], v206 offset0:34 offset1:35
	s_waitcnt lgkmcnt(0)
	v_mul_f64 v[132:133], v[198:199], v[134:135]
	s_delay_alu instid0(VALU_DEP_1) | instskip(SKIP_1) | instid1(VALU_DEP_2)
	v_fma_f64 v[132:133], v[196:197], v[204:205], -v[132:133]
	v_mul_f64 v[196:197], v[196:197], v[134:135]
	v_add_f64 v[124:125], v[124:125], -v[132:133]
	s_delay_alu instid0(VALU_DEP_2) | instskip(NEXT) | instid1(VALU_DEP_1)
	v_fma_f64 v[196:197], v[198:199], v[204:205], v[196:197]
	v_add_f64 v[126:127], v[126:127], -v[196:197]
	;; [unrolled: 10-line block ×32, first 2 shown]
	ds_load_2addr_b64 v[196:199], v206 offset0:96 offset1:97
	s_waitcnt lgkmcnt(0)
	v_mul_f64 v[132:133], v[198:199], v[134:135]
	s_delay_alu instid0(VALU_DEP_1) | instskip(SKIP_1) | instid1(VALU_DEP_2)
	v_fma_f64 v[132:133], v[196:197], v[204:205], -v[132:133]
	v_mul_f64 v[196:197], v[196:197], v[134:135]
	v_add_f64 v[0:1], v[0:1], -v[132:133]
	s_delay_alu instid0(VALU_DEP_2) | instskip(SKIP_1) | instid1(VALU_DEP_2)
	v_fma_f64 v[196:197], v[198:199], v[204:205], v[196:197]
	v_dual_mov_b32 v132, v204 :: v_dual_mov_b32 v133, v205
	v_add_f64 v[2:3], v[2:3], -v[196:197]
.LBB96_335:
	s_or_b32 exec_lo, exec_lo, s2
	v_lshl_add_u32 v196, v212, 4, v206
	s_barrier
	buffer_gl0_inv
	v_mov_b32_e32 v204, 16
	ds_store_2addr_b64 v196, v[128:129], v[130:131] offset1:1
	s_waitcnt lgkmcnt(0)
	s_barrier
	buffer_gl0_inv
	ds_load_2addr_b64 v[196:199], v206 offset0:32 offset1:33
	s_cmp_lt_i32 s5, 18
	s_cbranch_scc1 .LBB96_338
; %bb.336:
	v_add3_u32 v205, v211, 0, 0x110
	v_mov_b32_e32 v204, 16
	s_mov_b32 s6, 17
	s_set_inst_prefetch_distance 0x1
	.p2align	6
.LBB96_337:                             ; =>This Inner Loop Header: Depth=1
	ds_load_2addr_b64 v[213:216], v205 offset1:1
	s_waitcnt lgkmcnt(1)
	v_cmp_gt_f64_e32 vcc_lo, 0, v[196:197]
	v_xor_b32_e32 v217, 0x80000000, v197
	v_cmp_gt_f64_e64 s2, 0, v[198:199]
	v_xor_b32_e32 v219, 0x80000000, v199
	v_add_nc_u32_e32 v205, 16, v205
	s_waitcnt lgkmcnt(0)
	v_cmp_gt_f64_e64 s3, 0, v[213:214]
	v_mov_b32_e32 v221, v213
	v_dual_mov_b32 v223, v215 :: v_dual_cndmask_b32 v218, v197, v217
	v_xor_b32_e32 v217, 0x80000000, v214
	v_cndmask_b32_e64 v220, v199, v219, s2
	v_xor_b32_e32 v219, 0x80000000, v216
	s_delay_alu instid0(VALU_DEP_3) | instskip(SKIP_2) | instid1(VALU_DEP_2)
	v_cndmask_b32_e64 v222, v214, v217, s3
	v_cmp_gt_f64_e64 s3, 0, v[215:216]
	v_cndmask_b32_e32 v217, v196, v196, vcc_lo
	v_cndmask_b32_e64 v224, v216, v219, s3
	v_cndmask_b32_e64 v219, v198, v198, s2
	s_delay_alu instid0(VALU_DEP_2) | instskip(NEXT) | instid1(VALU_DEP_2)
	v_add_f64 v[221:222], v[221:222], v[223:224]
	v_add_f64 v[217:218], v[217:218], v[219:220]
	s_delay_alu instid0(VALU_DEP_1) | instskip(SKIP_4) | instid1(SALU_CYCLE_1)
	v_cmp_lt_f64_e32 vcc_lo, v[217:218], v[221:222]
	v_dual_cndmask_b32 v198, v198, v215 :: v_dual_cndmask_b32 v197, v197, v214
	v_dual_cndmask_b32 v196, v196, v213 :: v_dual_cndmask_b32 v199, v199, v216
	v_cndmask_b32_e64 v204, v204, s6, vcc_lo
	s_add_i32 s6, s6, 1
	s_cmp_lg_u32 s5, s6
	s_cbranch_scc1 .LBB96_337
.LBB96_338:
	s_set_inst_prefetch_distance 0x2
	s_waitcnt lgkmcnt(0)
	v_cmp_eq_f64_e32 vcc_lo, 0, v[196:197]
	v_cmp_eq_f64_e64 s2, 0, v[198:199]
	s_delay_alu instid0(VALU_DEP_1) | instskip(NEXT) | instid1(SALU_CYCLE_1)
	s_and_b32 s2, vcc_lo, s2
	s_and_saveexec_b32 s3, s2
	s_delay_alu instid0(SALU_CYCLE_1)
	s_xor_b32 s2, exec_lo, s3
; %bb.339:
	v_cmp_ne_u32_e32 vcc_lo, 0, v209
	v_cndmask_b32_e32 v209, 17, v209, vcc_lo
; %bb.340:
	s_and_not1_saveexec_b32 s3, s2
	s_cbranch_execz .LBB96_346
; %bb.341:
	v_cmp_gt_f64_e32 vcc_lo, 0, v[196:197]
	v_cmp_gt_f64_e64 s2, 0, v[198:199]
	v_xor_b32_e32 v205, 0x80000000, v197
	v_xor_b32_e32 v213, 0x80000000, v199
	s_delay_alu instid0(VALU_DEP_2) | instskip(NEXT) | instid1(VALU_DEP_2)
	v_cndmask_b32_e32 v214, v197, v205, vcc_lo
	v_cndmask_b32_e64 v216, v199, v213, s2
	v_cndmask_b32_e32 v213, v196, v196, vcc_lo
	v_cndmask_b32_e64 v215, v198, v198, s2
	s_mov_b32 s2, exec_lo
	s_delay_alu instid0(VALU_DEP_1)
	v_cmpx_ngt_f64_e32 v[213:214], v[215:216]
	s_xor_b32 s2, exec_lo, s2
	s_cbranch_execz .LBB96_343
; %bb.342:
	v_div_scale_f64 v[213:214], null, v[198:199], v[198:199], v[196:197]
	v_div_scale_f64 v[219:220], vcc_lo, v[196:197], v[198:199], v[196:197]
	s_delay_alu instid0(VALU_DEP_2) | instskip(SKIP_2) | instid1(VALU_DEP_1)
	v_rcp_f64_e32 v[215:216], v[213:214]
	s_waitcnt_depctr 0xfff
	v_fma_f64 v[217:218], -v[213:214], v[215:216], 1.0
	v_fma_f64 v[215:216], v[215:216], v[217:218], v[215:216]
	s_delay_alu instid0(VALU_DEP_1) | instskip(NEXT) | instid1(VALU_DEP_1)
	v_fma_f64 v[217:218], -v[213:214], v[215:216], 1.0
	v_fma_f64 v[215:216], v[215:216], v[217:218], v[215:216]
	s_delay_alu instid0(VALU_DEP_1) | instskip(NEXT) | instid1(VALU_DEP_1)
	v_mul_f64 v[217:218], v[219:220], v[215:216]
	v_fma_f64 v[213:214], -v[213:214], v[217:218], v[219:220]
	s_delay_alu instid0(VALU_DEP_1) | instskip(NEXT) | instid1(VALU_DEP_1)
	v_div_fmas_f64 v[213:214], v[213:214], v[215:216], v[217:218]
	v_div_fixup_f64 v[213:214], v[213:214], v[198:199], v[196:197]
	s_delay_alu instid0(VALU_DEP_1) | instskip(NEXT) | instid1(VALU_DEP_1)
	v_fma_f64 v[196:197], v[196:197], v[213:214], v[198:199]
	v_div_scale_f64 v[198:199], null, v[196:197], v[196:197], 1.0
	s_delay_alu instid0(VALU_DEP_1) | instskip(SKIP_2) | instid1(VALU_DEP_1)
	v_rcp_f64_e32 v[215:216], v[198:199]
	s_waitcnt_depctr 0xfff
	v_fma_f64 v[217:218], -v[198:199], v[215:216], 1.0
	v_fma_f64 v[215:216], v[215:216], v[217:218], v[215:216]
	s_delay_alu instid0(VALU_DEP_1) | instskip(NEXT) | instid1(VALU_DEP_1)
	v_fma_f64 v[217:218], -v[198:199], v[215:216], 1.0
	v_fma_f64 v[215:216], v[215:216], v[217:218], v[215:216]
	v_div_scale_f64 v[217:218], vcc_lo, 1.0, v[196:197], 1.0
	s_delay_alu instid0(VALU_DEP_1) | instskip(NEXT) | instid1(VALU_DEP_1)
	v_mul_f64 v[219:220], v[217:218], v[215:216]
	v_fma_f64 v[198:199], -v[198:199], v[219:220], v[217:218]
	s_delay_alu instid0(VALU_DEP_1) | instskip(NEXT) | instid1(VALU_DEP_1)
	v_div_fmas_f64 v[198:199], v[198:199], v[215:216], v[219:220]
	v_div_fixup_f64 v[198:199], v[198:199], v[196:197], 1.0
	s_delay_alu instid0(VALU_DEP_1)
	v_mul_f64 v[196:197], v[213:214], v[198:199]
	v_xor_b32_e32 v199, 0x80000000, v199
.LBB96_343:
	s_and_not1_saveexec_b32 s2, s2
	s_cbranch_execz .LBB96_345
; %bb.344:
	s_delay_alu instid0(VALU_DEP_1) | instskip(SKIP_1) | instid1(VALU_DEP_2)
	v_div_scale_f64 v[213:214], null, v[196:197], v[196:197], v[198:199]
	v_div_scale_f64 v[219:220], vcc_lo, v[198:199], v[196:197], v[198:199]
	v_rcp_f64_e32 v[215:216], v[213:214]
	s_waitcnt_depctr 0xfff
	v_fma_f64 v[217:218], -v[213:214], v[215:216], 1.0
	s_delay_alu instid0(VALU_DEP_1) | instskip(NEXT) | instid1(VALU_DEP_1)
	v_fma_f64 v[215:216], v[215:216], v[217:218], v[215:216]
	v_fma_f64 v[217:218], -v[213:214], v[215:216], 1.0
	s_delay_alu instid0(VALU_DEP_1) | instskip(NEXT) | instid1(VALU_DEP_1)
	v_fma_f64 v[215:216], v[215:216], v[217:218], v[215:216]
	v_mul_f64 v[217:218], v[219:220], v[215:216]
	s_delay_alu instid0(VALU_DEP_1) | instskip(NEXT) | instid1(VALU_DEP_1)
	v_fma_f64 v[213:214], -v[213:214], v[217:218], v[219:220]
	v_div_fmas_f64 v[213:214], v[213:214], v[215:216], v[217:218]
	s_delay_alu instid0(VALU_DEP_1) | instskip(NEXT) | instid1(VALU_DEP_1)
	v_div_fixup_f64 v[213:214], v[213:214], v[196:197], v[198:199]
	v_fma_f64 v[196:197], v[198:199], v[213:214], v[196:197]
	s_delay_alu instid0(VALU_DEP_1) | instskip(NEXT) | instid1(VALU_DEP_1)
	v_div_scale_f64 v[198:199], null, v[196:197], v[196:197], 1.0
	v_rcp_f64_e32 v[215:216], v[198:199]
	s_waitcnt_depctr 0xfff
	v_fma_f64 v[217:218], -v[198:199], v[215:216], 1.0
	s_delay_alu instid0(VALU_DEP_1) | instskip(NEXT) | instid1(VALU_DEP_1)
	v_fma_f64 v[215:216], v[215:216], v[217:218], v[215:216]
	v_fma_f64 v[217:218], -v[198:199], v[215:216], 1.0
	s_delay_alu instid0(VALU_DEP_1) | instskip(SKIP_1) | instid1(VALU_DEP_1)
	v_fma_f64 v[215:216], v[215:216], v[217:218], v[215:216]
	v_div_scale_f64 v[217:218], vcc_lo, 1.0, v[196:197], 1.0
	v_mul_f64 v[219:220], v[217:218], v[215:216]
	s_delay_alu instid0(VALU_DEP_1) | instskip(NEXT) | instid1(VALU_DEP_1)
	v_fma_f64 v[198:199], -v[198:199], v[219:220], v[217:218]
	v_div_fmas_f64 v[198:199], v[198:199], v[215:216], v[219:220]
	s_delay_alu instid0(VALU_DEP_1) | instskip(NEXT) | instid1(VALU_DEP_1)
	v_div_fixup_f64 v[196:197], v[198:199], v[196:197], 1.0
	v_mul_f64 v[198:199], v[213:214], -v[196:197]
.LBB96_345:
	s_or_b32 exec_lo, exec_lo, s2
.LBB96_346:
	s_delay_alu instid0(SALU_CYCLE_1) | instskip(NEXT) | instid1(SALU_CYCLE_1)
	s_or_b32 exec_lo, exec_lo, s3
	s_mov_b32 s2, exec_lo
	v_cmpx_ne_u32_e64 v212, v204
	s_xor_b32 s2, exec_lo, s2
	s_cbranch_execz .LBB96_352
; %bb.347:
	s_mov_b32 s3, exec_lo
	v_cmpx_eq_u32_e32 16, v212
	s_cbranch_execz .LBB96_351
; %bb.348:
	v_cmp_ne_u32_e32 vcc_lo, 16, v204
	s_xor_b32 s6, s4, -1
	s_delay_alu instid0(SALU_CYCLE_1) | instskip(NEXT) | instid1(SALU_CYCLE_1)
	s_and_b32 s7, s6, vcc_lo
	s_and_saveexec_b32 s6, s7
	s_cbranch_execz .LBB96_350
; %bb.349:
	v_ashrrev_i32_e32 v205, 31, v204
	s_delay_alu instid0(VALU_DEP_1) | instskip(NEXT) | instid1(VALU_DEP_1)
	v_lshlrev_b64 v[212:213], 2, v[204:205]
	v_add_co_u32 v212, vcc_lo, v202, v212
	s_delay_alu instid0(VALU_DEP_2)
	v_add_co_ci_u32_e32 v213, vcc_lo, v203, v213, vcc_lo
	s_clause 0x1
	flat_load_b32 v205, v[212:213]
	flat_load_b32 v210, v[202:203] offset:64
	s_waitcnt vmcnt(1) lgkmcnt(1)
	flat_store_b32 v[202:203], v205 offset:64
	s_waitcnt vmcnt(0) lgkmcnt(1)
	flat_store_b32 v[212:213], v210
.LBB96_350:
	s_or_b32 exec_lo, exec_lo, s6
	v_mov_b32_e32 v212, v204
	v_mov_b32_e32 v210, v204
.LBB96_351:
	s_or_b32 exec_lo, exec_lo, s3
.LBB96_352:
	s_and_not1_saveexec_b32 s2, s2
	s_cbranch_execz .LBB96_354
; %bb.353:
	v_mov_b32_e32 v212, 16
	ds_store_2addr_b64 v206, v[124:125], v[126:127] offset0:34 offset1:35
	ds_store_2addr_b64 v206, v[120:121], v[122:123] offset0:36 offset1:37
	;; [unrolled: 1-line block ×32, first 2 shown]
.LBB96_354:
	s_or_b32 exec_lo, exec_lo, s2
	s_delay_alu instid0(SALU_CYCLE_1)
	s_mov_b32 s2, exec_lo
	s_waitcnt lgkmcnt(0)
	s_waitcnt_vscnt null, 0x0
	s_barrier
	buffer_gl0_inv
	v_cmpx_lt_i32_e32 16, v212
	s_cbranch_execz .LBB96_356
; %bb.355:
	v_mul_f64 v[204:205], v[198:199], v[130:131]
	v_mul_f64 v[130:131], v[196:197], v[130:131]
	s_delay_alu instid0(VALU_DEP_2) | instskip(NEXT) | instid1(VALU_DEP_2)
	v_fma_f64 v[204:205], v[196:197], v[128:129], -v[204:205]
	v_fma_f64 v[130:131], v[198:199], v[128:129], v[130:131]
	ds_load_2addr_b64 v[196:199], v206 offset0:34 offset1:35
	s_waitcnt lgkmcnt(0)
	v_mul_f64 v[128:129], v[198:199], v[130:131]
	s_delay_alu instid0(VALU_DEP_1) | instskip(SKIP_1) | instid1(VALU_DEP_2)
	v_fma_f64 v[128:129], v[196:197], v[204:205], -v[128:129]
	v_mul_f64 v[196:197], v[196:197], v[130:131]
	v_add_f64 v[124:125], v[124:125], -v[128:129]
	s_delay_alu instid0(VALU_DEP_2) | instskip(NEXT) | instid1(VALU_DEP_1)
	v_fma_f64 v[196:197], v[198:199], v[204:205], v[196:197]
	v_add_f64 v[126:127], v[126:127], -v[196:197]
	ds_load_2addr_b64 v[196:199], v206 offset0:36 offset1:37
	s_waitcnt lgkmcnt(0)
	v_mul_f64 v[128:129], v[198:199], v[130:131]
	s_delay_alu instid0(VALU_DEP_1) | instskip(SKIP_1) | instid1(VALU_DEP_2)
	v_fma_f64 v[128:129], v[196:197], v[204:205], -v[128:129]
	v_mul_f64 v[196:197], v[196:197], v[130:131]
	v_add_f64 v[120:121], v[120:121], -v[128:129]
	s_delay_alu instid0(VALU_DEP_2) | instskip(NEXT) | instid1(VALU_DEP_1)
	v_fma_f64 v[196:197], v[198:199], v[204:205], v[196:197]
	v_add_f64 v[122:123], v[122:123], -v[196:197]
	;; [unrolled: 10-line block ×31, first 2 shown]
	ds_load_2addr_b64 v[196:199], v206 offset0:96 offset1:97
	s_waitcnt lgkmcnt(0)
	v_mul_f64 v[128:129], v[198:199], v[130:131]
	s_delay_alu instid0(VALU_DEP_1) | instskip(SKIP_1) | instid1(VALU_DEP_2)
	v_fma_f64 v[128:129], v[196:197], v[204:205], -v[128:129]
	v_mul_f64 v[196:197], v[196:197], v[130:131]
	v_add_f64 v[0:1], v[0:1], -v[128:129]
	s_delay_alu instid0(VALU_DEP_2) | instskip(SKIP_1) | instid1(VALU_DEP_2)
	v_fma_f64 v[196:197], v[198:199], v[204:205], v[196:197]
	v_dual_mov_b32 v128, v204 :: v_dual_mov_b32 v129, v205
	v_add_f64 v[2:3], v[2:3], -v[196:197]
.LBB96_356:
	s_or_b32 exec_lo, exec_lo, s2
	v_lshl_add_u32 v196, v212, 4, v206
	s_barrier
	buffer_gl0_inv
	v_mov_b32_e32 v204, 17
	ds_store_2addr_b64 v196, v[124:125], v[126:127] offset1:1
	s_waitcnt lgkmcnt(0)
	s_barrier
	buffer_gl0_inv
	ds_load_2addr_b64 v[196:199], v206 offset0:34 offset1:35
	s_cmp_lt_i32 s5, 19
	s_cbranch_scc1 .LBB96_359
; %bb.357:
	v_add3_u32 v205, v211, 0, 0x120
	v_mov_b32_e32 v204, 17
	s_mov_b32 s6, 18
	s_set_inst_prefetch_distance 0x1
	.p2align	6
.LBB96_358:                             ; =>This Inner Loop Header: Depth=1
	ds_load_2addr_b64 v[213:216], v205 offset1:1
	s_waitcnt lgkmcnt(1)
	v_cmp_gt_f64_e32 vcc_lo, 0, v[196:197]
	v_xor_b32_e32 v217, 0x80000000, v197
	v_cmp_gt_f64_e64 s2, 0, v[198:199]
	v_xor_b32_e32 v219, 0x80000000, v199
	v_add_nc_u32_e32 v205, 16, v205
	s_waitcnt lgkmcnt(0)
	v_cmp_gt_f64_e64 s3, 0, v[213:214]
	v_mov_b32_e32 v221, v213
	v_dual_mov_b32 v223, v215 :: v_dual_cndmask_b32 v218, v197, v217
	v_xor_b32_e32 v217, 0x80000000, v214
	v_cndmask_b32_e64 v220, v199, v219, s2
	v_xor_b32_e32 v219, 0x80000000, v216
	s_delay_alu instid0(VALU_DEP_3) | instskip(SKIP_2) | instid1(VALU_DEP_2)
	v_cndmask_b32_e64 v222, v214, v217, s3
	v_cmp_gt_f64_e64 s3, 0, v[215:216]
	v_cndmask_b32_e32 v217, v196, v196, vcc_lo
	v_cndmask_b32_e64 v224, v216, v219, s3
	v_cndmask_b32_e64 v219, v198, v198, s2
	s_delay_alu instid0(VALU_DEP_2) | instskip(NEXT) | instid1(VALU_DEP_2)
	v_add_f64 v[221:222], v[221:222], v[223:224]
	v_add_f64 v[217:218], v[217:218], v[219:220]
	s_delay_alu instid0(VALU_DEP_1) | instskip(SKIP_4) | instid1(SALU_CYCLE_1)
	v_cmp_lt_f64_e32 vcc_lo, v[217:218], v[221:222]
	v_dual_cndmask_b32 v198, v198, v215 :: v_dual_cndmask_b32 v197, v197, v214
	v_dual_cndmask_b32 v196, v196, v213 :: v_dual_cndmask_b32 v199, v199, v216
	v_cndmask_b32_e64 v204, v204, s6, vcc_lo
	s_add_i32 s6, s6, 1
	s_cmp_lg_u32 s5, s6
	s_cbranch_scc1 .LBB96_358
.LBB96_359:
	s_set_inst_prefetch_distance 0x2
	s_waitcnt lgkmcnt(0)
	v_cmp_eq_f64_e32 vcc_lo, 0, v[196:197]
	v_cmp_eq_f64_e64 s2, 0, v[198:199]
	s_delay_alu instid0(VALU_DEP_1) | instskip(NEXT) | instid1(SALU_CYCLE_1)
	s_and_b32 s2, vcc_lo, s2
	s_and_saveexec_b32 s3, s2
	s_delay_alu instid0(SALU_CYCLE_1)
	s_xor_b32 s2, exec_lo, s3
; %bb.360:
	v_cmp_ne_u32_e32 vcc_lo, 0, v209
	v_cndmask_b32_e32 v209, 18, v209, vcc_lo
; %bb.361:
	s_and_not1_saveexec_b32 s3, s2
	s_cbranch_execz .LBB96_367
; %bb.362:
	v_cmp_gt_f64_e32 vcc_lo, 0, v[196:197]
	v_cmp_gt_f64_e64 s2, 0, v[198:199]
	v_xor_b32_e32 v205, 0x80000000, v197
	v_xor_b32_e32 v213, 0x80000000, v199
	s_delay_alu instid0(VALU_DEP_2) | instskip(NEXT) | instid1(VALU_DEP_2)
	v_cndmask_b32_e32 v214, v197, v205, vcc_lo
	v_cndmask_b32_e64 v216, v199, v213, s2
	v_cndmask_b32_e32 v213, v196, v196, vcc_lo
	v_cndmask_b32_e64 v215, v198, v198, s2
	s_mov_b32 s2, exec_lo
	s_delay_alu instid0(VALU_DEP_1)
	v_cmpx_ngt_f64_e32 v[213:214], v[215:216]
	s_xor_b32 s2, exec_lo, s2
	s_cbranch_execz .LBB96_364
; %bb.363:
	v_div_scale_f64 v[213:214], null, v[198:199], v[198:199], v[196:197]
	v_div_scale_f64 v[219:220], vcc_lo, v[196:197], v[198:199], v[196:197]
	s_delay_alu instid0(VALU_DEP_2) | instskip(SKIP_2) | instid1(VALU_DEP_1)
	v_rcp_f64_e32 v[215:216], v[213:214]
	s_waitcnt_depctr 0xfff
	v_fma_f64 v[217:218], -v[213:214], v[215:216], 1.0
	v_fma_f64 v[215:216], v[215:216], v[217:218], v[215:216]
	s_delay_alu instid0(VALU_DEP_1) | instskip(NEXT) | instid1(VALU_DEP_1)
	v_fma_f64 v[217:218], -v[213:214], v[215:216], 1.0
	v_fma_f64 v[215:216], v[215:216], v[217:218], v[215:216]
	s_delay_alu instid0(VALU_DEP_1) | instskip(NEXT) | instid1(VALU_DEP_1)
	v_mul_f64 v[217:218], v[219:220], v[215:216]
	v_fma_f64 v[213:214], -v[213:214], v[217:218], v[219:220]
	s_delay_alu instid0(VALU_DEP_1) | instskip(NEXT) | instid1(VALU_DEP_1)
	v_div_fmas_f64 v[213:214], v[213:214], v[215:216], v[217:218]
	v_div_fixup_f64 v[213:214], v[213:214], v[198:199], v[196:197]
	s_delay_alu instid0(VALU_DEP_1) | instskip(NEXT) | instid1(VALU_DEP_1)
	v_fma_f64 v[196:197], v[196:197], v[213:214], v[198:199]
	v_div_scale_f64 v[198:199], null, v[196:197], v[196:197], 1.0
	s_delay_alu instid0(VALU_DEP_1) | instskip(SKIP_2) | instid1(VALU_DEP_1)
	v_rcp_f64_e32 v[215:216], v[198:199]
	s_waitcnt_depctr 0xfff
	v_fma_f64 v[217:218], -v[198:199], v[215:216], 1.0
	v_fma_f64 v[215:216], v[215:216], v[217:218], v[215:216]
	s_delay_alu instid0(VALU_DEP_1) | instskip(NEXT) | instid1(VALU_DEP_1)
	v_fma_f64 v[217:218], -v[198:199], v[215:216], 1.0
	v_fma_f64 v[215:216], v[215:216], v[217:218], v[215:216]
	v_div_scale_f64 v[217:218], vcc_lo, 1.0, v[196:197], 1.0
	s_delay_alu instid0(VALU_DEP_1) | instskip(NEXT) | instid1(VALU_DEP_1)
	v_mul_f64 v[219:220], v[217:218], v[215:216]
	v_fma_f64 v[198:199], -v[198:199], v[219:220], v[217:218]
	s_delay_alu instid0(VALU_DEP_1) | instskip(NEXT) | instid1(VALU_DEP_1)
	v_div_fmas_f64 v[198:199], v[198:199], v[215:216], v[219:220]
	v_div_fixup_f64 v[198:199], v[198:199], v[196:197], 1.0
	s_delay_alu instid0(VALU_DEP_1)
	v_mul_f64 v[196:197], v[213:214], v[198:199]
	v_xor_b32_e32 v199, 0x80000000, v199
.LBB96_364:
	s_and_not1_saveexec_b32 s2, s2
	s_cbranch_execz .LBB96_366
; %bb.365:
	s_delay_alu instid0(VALU_DEP_1) | instskip(SKIP_1) | instid1(VALU_DEP_2)
	v_div_scale_f64 v[213:214], null, v[196:197], v[196:197], v[198:199]
	v_div_scale_f64 v[219:220], vcc_lo, v[198:199], v[196:197], v[198:199]
	v_rcp_f64_e32 v[215:216], v[213:214]
	s_waitcnt_depctr 0xfff
	v_fma_f64 v[217:218], -v[213:214], v[215:216], 1.0
	s_delay_alu instid0(VALU_DEP_1) | instskip(NEXT) | instid1(VALU_DEP_1)
	v_fma_f64 v[215:216], v[215:216], v[217:218], v[215:216]
	v_fma_f64 v[217:218], -v[213:214], v[215:216], 1.0
	s_delay_alu instid0(VALU_DEP_1) | instskip(NEXT) | instid1(VALU_DEP_1)
	v_fma_f64 v[215:216], v[215:216], v[217:218], v[215:216]
	v_mul_f64 v[217:218], v[219:220], v[215:216]
	s_delay_alu instid0(VALU_DEP_1) | instskip(NEXT) | instid1(VALU_DEP_1)
	v_fma_f64 v[213:214], -v[213:214], v[217:218], v[219:220]
	v_div_fmas_f64 v[213:214], v[213:214], v[215:216], v[217:218]
	s_delay_alu instid0(VALU_DEP_1) | instskip(NEXT) | instid1(VALU_DEP_1)
	v_div_fixup_f64 v[213:214], v[213:214], v[196:197], v[198:199]
	v_fma_f64 v[196:197], v[198:199], v[213:214], v[196:197]
	s_delay_alu instid0(VALU_DEP_1) | instskip(NEXT) | instid1(VALU_DEP_1)
	v_div_scale_f64 v[198:199], null, v[196:197], v[196:197], 1.0
	v_rcp_f64_e32 v[215:216], v[198:199]
	s_waitcnt_depctr 0xfff
	v_fma_f64 v[217:218], -v[198:199], v[215:216], 1.0
	s_delay_alu instid0(VALU_DEP_1) | instskip(NEXT) | instid1(VALU_DEP_1)
	v_fma_f64 v[215:216], v[215:216], v[217:218], v[215:216]
	v_fma_f64 v[217:218], -v[198:199], v[215:216], 1.0
	s_delay_alu instid0(VALU_DEP_1) | instskip(SKIP_1) | instid1(VALU_DEP_1)
	v_fma_f64 v[215:216], v[215:216], v[217:218], v[215:216]
	v_div_scale_f64 v[217:218], vcc_lo, 1.0, v[196:197], 1.0
	v_mul_f64 v[219:220], v[217:218], v[215:216]
	s_delay_alu instid0(VALU_DEP_1) | instskip(NEXT) | instid1(VALU_DEP_1)
	v_fma_f64 v[198:199], -v[198:199], v[219:220], v[217:218]
	v_div_fmas_f64 v[198:199], v[198:199], v[215:216], v[219:220]
	s_delay_alu instid0(VALU_DEP_1) | instskip(NEXT) | instid1(VALU_DEP_1)
	v_div_fixup_f64 v[196:197], v[198:199], v[196:197], 1.0
	v_mul_f64 v[198:199], v[213:214], -v[196:197]
.LBB96_366:
	s_or_b32 exec_lo, exec_lo, s2
.LBB96_367:
	s_delay_alu instid0(SALU_CYCLE_1) | instskip(NEXT) | instid1(SALU_CYCLE_1)
	s_or_b32 exec_lo, exec_lo, s3
	s_mov_b32 s2, exec_lo
	v_cmpx_ne_u32_e64 v212, v204
	s_xor_b32 s2, exec_lo, s2
	s_cbranch_execz .LBB96_373
; %bb.368:
	s_mov_b32 s3, exec_lo
	v_cmpx_eq_u32_e32 17, v212
	s_cbranch_execz .LBB96_372
; %bb.369:
	v_cmp_ne_u32_e32 vcc_lo, 17, v204
	s_xor_b32 s6, s4, -1
	s_delay_alu instid0(SALU_CYCLE_1) | instskip(NEXT) | instid1(SALU_CYCLE_1)
	s_and_b32 s7, s6, vcc_lo
	s_and_saveexec_b32 s6, s7
	s_cbranch_execz .LBB96_371
; %bb.370:
	v_ashrrev_i32_e32 v205, 31, v204
	s_delay_alu instid0(VALU_DEP_1) | instskip(NEXT) | instid1(VALU_DEP_1)
	v_lshlrev_b64 v[212:213], 2, v[204:205]
	v_add_co_u32 v212, vcc_lo, v202, v212
	s_delay_alu instid0(VALU_DEP_2)
	v_add_co_ci_u32_e32 v213, vcc_lo, v203, v213, vcc_lo
	s_clause 0x1
	flat_load_b32 v205, v[212:213]
	flat_load_b32 v210, v[202:203] offset:68
	s_waitcnt vmcnt(1) lgkmcnt(1)
	flat_store_b32 v[202:203], v205 offset:68
	s_waitcnt vmcnt(0) lgkmcnt(1)
	flat_store_b32 v[212:213], v210
.LBB96_371:
	s_or_b32 exec_lo, exec_lo, s6
	v_mov_b32_e32 v212, v204
	v_mov_b32_e32 v210, v204
.LBB96_372:
	s_or_b32 exec_lo, exec_lo, s3
.LBB96_373:
	s_and_not1_saveexec_b32 s2, s2
	s_cbranch_execz .LBB96_375
; %bb.374:
	v_mov_b32_e32 v212, 17
	ds_store_2addr_b64 v206, v[120:121], v[122:123] offset0:36 offset1:37
	ds_store_2addr_b64 v206, v[116:117], v[118:119] offset0:38 offset1:39
	;; [unrolled: 1-line block ×31, first 2 shown]
.LBB96_375:
	s_or_b32 exec_lo, exec_lo, s2
	s_delay_alu instid0(SALU_CYCLE_1)
	s_mov_b32 s2, exec_lo
	s_waitcnt lgkmcnt(0)
	s_waitcnt_vscnt null, 0x0
	s_barrier
	buffer_gl0_inv
	v_cmpx_lt_i32_e32 17, v212
	s_cbranch_execz .LBB96_377
; %bb.376:
	v_mul_f64 v[204:205], v[198:199], v[126:127]
	v_mul_f64 v[126:127], v[196:197], v[126:127]
	s_delay_alu instid0(VALU_DEP_2) | instskip(NEXT) | instid1(VALU_DEP_2)
	v_fma_f64 v[204:205], v[196:197], v[124:125], -v[204:205]
	v_fma_f64 v[126:127], v[198:199], v[124:125], v[126:127]
	ds_load_2addr_b64 v[196:199], v206 offset0:36 offset1:37
	s_waitcnt lgkmcnt(0)
	v_mul_f64 v[124:125], v[198:199], v[126:127]
	s_delay_alu instid0(VALU_DEP_1) | instskip(SKIP_1) | instid1(VALU_DEP_2)
	v_fma_f64 v[124:125], v[196:197], v[204:205], -v[124:125]
	v_mul_f64 v[196:197], v[196:197], v[126:127]
	v_add_f64 v[120:121], v[120:121], -v[124:125]
	s_delay_alu instid0(VALU_DEP_2) | instskip(NEXT) | instid1(VALU_DEP_1)
	v_fma_f64 v[196:197], v[198:199], v[204:205], v[196:197]
	v_add_f64 v[122:123], v[122:123], -v[196:197]
	ds_load_2addr_b64 v[196:199], v206 offset0:38 offset1:39
	s_waitcnt lgkmcnt(0)
	v_mul_f64 v[124:125], v[198:199], v[126:127]
	s_delay_alu instid0(VALU_DEP_1) | instskip(SKIP_1) | instid1(VALU_DEP_2)
	v_fma_f64 v[124:125], v[196:197], v[204:205], -v[124:125]
	v_mul_f64 v[196:197], v[196:197], v[126:127]
	v_add_f64 v[116:117], v[116:117], -v[124:125]
	s_delay_alu instid0(VALU_DEP_2) | instskip(NEXT) | instid1(VALU_DEP_1)
	v_fma_f64 v[196:197], v[198:199], v[204:205], v[196:197]
	v_add_f64 v[118:119], v[118:119], -v[196:197]
	;; [unrolled: 10-line block ×30, first 2 shown]
	ds_load_2addr_b64 v[196:199], v206 offset0:96 offset1:97
	s_waitcnt lgkmcnt(0)
	v_mul_f64 v[124:125], v[198:199], v[126:127]
	s_delay_alu instid0(VALU_DEP_1) | instskip(SKIP_1) | instid1(VALU_DEP_2)
	v_fma_f64 v[124:125], v[196:197], v[204:205], -v[124:125]
	v_mul_f64 v[196:197], v[196:197], v[126:127]
	v_add_f64 v[0:1], v[0:1], -v[124:125]
	s_delay_alu instid0(VALU_DEP_2) | instskip(SKIP_1) | instid1(VALU_DEP_2)
	v_fma_f64 v[196:197], v[198:199], v[204:205], v[196:197]
	v_dual_mov_b32 v124, v204 :: v_dual_mov_b32 v125, v205
	v_add_f64 v[2:3], v[2:3], -v[196:197]
.LBB96_377:
	s_or_b32 exec_lo, exec_lo, s2
	v_lshl_add_u32 v196, v212, 4, v206
	s_barrier
	buffer_gl0_inv
	v_mov_b32_e32 v204, 18
	ds_store_2addr_b64 v196, v[120:121], v[122:123] offset1:1
	s_waitcnt lgkmcnt(0)
	s_barrier
	buffer_gl0_inv
	ds_load_2addr_b64 v[196:199], v206 offset0:36 offset1:37
	s_cmp_lt_i32 s5, 20
	s_cbranch_scc1 .LBB96_380
; %bb.378:
	v_add3_u32 v205, v211, 0, 0x130
	v_mov_b32_e32 v204, 18
	s_mov_b32 s6, 19
	s_set_inst_prefetch_distance 0x1
	.p2align	6
.LBB96_379:                             ; =>This Inner Loop Header: Depth=1
	ds_load_2addr_b64 v[213:216], v205 offset1:1
	s_waitcnt lgkmcnt(1)
	v_cmp_gt_f64_e32 vcc_lo, 0, v[196:197]
	v_xor_b32_e32 v217, 0x80000000, v197
	v_cmp_gt_f64_e64 s2, 0, v[198:199]
	v_xor_b32_e32 v219, 0x80000000, v199
	v_add_nc_u32_e32 v205, 16, v205
	s_waitcnt lgkmcnt(0)
	v_cmp_gt_f64_e64 s3, 0, v[213:214]
	v_mov_b32_e32 v221, v213
	v_dual_mov_b32 v223, v215 :: v_dual_cndmask_b32 v218, v197, v217
	v_xor_b32_e32 v217, 0x80000000, v214
	v_cndmask_b32_e64 v220, v199, v219, s2
	v_xor_b32_e32 v219, 0x80000000, v216
	s_delay_alu instid0(VALU_DEP_3) | instskip(SKIP_2) | instid1(VALU_DEP_2)
	v_cndmask_b32_e64 v222, v214, v217, s3
	v_cmp_gt_f64_e64 s3, 0, v[215:216]
	v_cndmask_b32_e32 v217, v196, v196, vcc_lo
	v_cndmask_b32_e64 v224, v216, v219, s3
	v_cndmask_b32_e64 v219, v198, v198, s2
	s_delay_alu instid0(VALU_DEP_2) | instskip(NEXT) | instid1(VALU_DEP_2)
	v_add_f64 v[221:222], v[221:222], v[223:224]
	v_add_f64 v[217:218], v[217:218], v[219:220]
	s_delay_alu instid0(VALU_DEP_1) | instskip(SKIP_4) | instid1(SALU_CYCLE_1)
	v_cmp_lt_f64_e32 vcc_lo, v[217:218], v[221:222]
	v_dual_cndmask_b32 v198, v198, v215 :: v_dual_cndmask_b32 v197, v197, v214
	v_dual_cndmask_b32 v196, v196, v213 :: v_dual_cndmask_b32 v199, v199, v216
	v_cndmask_b32_e64 v204, v204, s6, vcc_lo
	s_add_i32 s6, s6, 1
	s_cmp_lg_u32 s5, s6
	s_cbranch_scc1 .LBB96_379
.LBB96_380:
	s_set_inst_prefetch_distance 0x2
	s_waitcnt lgkmcnt(0)
	v_cmp_eq_f64_e32 vcc_lo, 0, v[196:197]
	v_cmp_eq_f64_e64 s2, 0, v[198:199]
	s_delay_alu instid0(VALU_DEP_1) | instskip(NEXT) | instid1(SALU_CYCLE_1)
	s_and_b32 s2, vcc_lo, s2
	s_and_saveexec_b32 s3, s2
	s_delay_alu instid0(SALU_CYCLE_1)
	s_xor_b32 s2, exec_lo, s3
; %bb.381:
	v_cmp_ne_u32_e32 vcc_lo, 0, v209
	v_cndmask_b32_e32 v209, 19, v209, vcc_lo
; %bb.382:
	s_and_not1_saveexec_b32 s3, s2
	s_cbranch_execz .LBB96_388
; %bb.383:
	v_cmp_gt_f64_e32 vcc_lo, 0, v[196:197]
	v_cmp_gt_f64_e64 s2, 0, v[198:199]
	v_xor_b32_e32 v205, 0x80000000, v197
	v_xor_b32_e32 v213, 0x80000000, v199
	s_delay_alu instid0(VALU_DEP_2) | instskip(NEXT) | instid1(VALU_DEP_2)
	v_cndmask_b32_e32 v214, v197, v205, vcc_lo
	v_cndmask_b32_e64 v216, v199, v213, s2
	v_cndmask_b32_e32 v213, v196, v196, vcc_lo
	v_cndmask_b32_e64 v215, v198, v198, s2
	s_mov_b32 s2, exec_lo
	s_delay_alu instid0(VALU_DEP_1)
	v_cmpx_ngt_f64_e32 v[213:214], v[215:216]
	s_xor_b32 s2, exec_lo, s2
	s_cbranch_execz .LBB96_385
; %bb.384:
	v_div_scale_f64 v[213:214], null, v[198:199], v[198:199], v[196:197]
	v_div_scale_f64 v[219:220], vcc_lo, v[196:197], v[198:199], v[196:197]
	s_delay_alu instid0(VALU_DEP_2) | instskip(SKIP_2) | instid1(VALU_DEP_1)
	v_rcp_f64_e32 v[215:216], v[213:214]
	s_waitcnt_depctr 0xfff
	v_fma_f64 v[217:218], -v[213:214], v[215:216], 1.0
	v_fma_f64 v[215:216], v[215:216], v[217:218], v[215:216]
	s_delay_alu instid0(VALU_DEP_1) | instskip(NEXT) | instid1(VALU_DEP_1)
	v_fma_f64 v[217:218], -v[213:214], v[215:216], 1.0
	v_fma_f64 v[215:216], v[215:216], v[217:218], v[215:216]
	s_delay_alu instid0(VALU_DEP_1) | instskip(NEXT) | instid1(VALU_DEP_1)
	v_mul_f64 v[217:218], v[219:220], v[215:216]
	v_fma_f64 v[213:214], -v[213:214], v[217:218], v[219:220]
	s_delay_alu instid0(VALU_DEP_1) | instskip(NEXT) | instid1(VALU_DEP_1)
	v_div_fmas_f64 v[213:214], v[213:214], v[215:216], v[217:218]
	v_div_fixup_f64 v[213:214], v[213:214], v[198:199], v[196:197]
	s_delay_alu instid0(VALU_DEP_1) | instskip(NEXT) | instid1(VALU_DEP_1)
	v_fma_f64 v[196:197], v[196:197], v[213:214], v[198:199]
	v_div_scale_f64 v[198:199], null, v[196:197], v[196:197], 1.0
	s_delay_alu instid0(VALU_DEP_1) | instskip(SKIP_2) | instid1(VALU_DEP_1)
	v_rcp_f64_e32 v[215:216], v[198:199]
	s_waitcnt_depctr 0xfff
	v_fma_f64 v[217:218], -v[198:199], v[215:216], 1.0
	v_fma_f64 v[215:216], v[215:216], v[217:218], v[215:216]
	s_delay_alu instid0(VALU_DEP_1) | instskip(NEXT) | instid1(VALU_DEP_1)
	v_fma_f64 v[217:218], -v[198:199], v[215:216], 1.0
	v_fma_f64 v[215:216], v[215:216], v[217:218], v[215:216]
	v_div_scale_f64 v[217:218], vcc_lo, 1.0, v[196:197], 1.0
	s_delay_alu instid0(VALU_DEP_1) | instskip(NEXT) | instid1(VALU_DEP_1)
	v_mul_f64 v[219:220], v[217:218], v[215:216]
	v_fma_f64 v[198:199], -v[198:199], v[219:220], v[217:218]
	s_delay_alu instid0(VALU_DEP_1) | instskip(NEXT) | instid1(VALU_DEP_1)
	v_div_fmas_f64 v[198:199], v[198:199], v[215:216], v[219:220]
	v_div_fixup_f64 v[198:199], v[198:199], v[196:197], 1.0
	s_delay_alu instid0(VALU_DEP_1)
	v_mul_f64 v[196:197], v[213:214], v[198:199]
	v_xor_b32_e32 v199, 0x80000000, v199
.LBB96_385:
	s_and_not1_saveexec_b32 s2, s2
	s_cbranch_execz .LBB96_387
; %bb.386:
	s_delay_alu instid0(VALU_DEP_1) | instskip(SKIP_1) | instid1(VALU_DEP_2)
	v_div_scale_f64 v[213:214], null, v[196:197], v[196:197], v[198:199]
	v_div_scale_f64 v[219:220], vcc_lo, v[198:199], v[196:197], v[198:199]
	v_rcp_f64_e32 v[215:216], v[213:214]
	s_waitcnt_depctr 0xfff
	v_fma_f64 v[217:218], -v[213:214], v[215:216], 1.0
	s_delay_alu instid0(VALU_DEP_1) | instskip(NEXT) | instid1(VALU_DEP_1)
	v_fma_f64 v[215:216], v[215:216], v[217:218], v[215:216]
	v_fma_f64 v[217:218], -v[213:214], v[215:216], 1.0
	s_delay_alu instid0(VALU_DEP_1) | instskip(NEXT) | instid1(VALU_DEP_1)
	v_fma_f64 v[215:216], v[215:216], v[217:218], v[215:216]
	v_mul_f64 v[217:218], v[219:220], v[215:216]
	s_delay_alu instid0(VALU_DEP_1) | instskip(NEXT) | instid1(VALU_DEP_1)
	v_fma_f64 v[213:214], -v[213:214], v[217:218], v[219:220]
	v_div_fmas_f64 v[213:214], v[213:214], v[215:216], v[217:218]
	s_delay_alu instid0(VALU_DEP_1) | instskip(NEXT) | instid1(VALU_DEP_1)
	v_div_fixup_f64 v[213:214], v[213:214], v[196:197], v[198:199]
	v_fma_f64 v[196:197], v[198:199], v[213:214], v[196:197]
	s_delay_alu instid0(VALU_DEP_1) | instskip(NEXT) | instid1(VALU_DEP_1)
	v_div_scale_f64 v[198:199], null, v[196:197], v[196:197], 1.0
	v_rcp_f64_e32 v[215:216], v[198:199]
	s_waitcnt_depctr 0xfff
	v_fma_f64 v[217:218], -v[198:199], v[215:216], 1.0
	s_delay_alu instid0(VALU_DEP_1) | instskip(NEXT) | instid1(VALU_DEP_1)
	v_fma_f64 v[215:216], v[215:216], v[217:218], v[215:216]
	v_fma_f64 v[217:218], -v[198:199], v[215:216], 1.0
	s_delay_alu instid0(VALU_DEP_1) | instskip(SKIP_1) | instid1(VALU_DEP_1)
	v_fma_f64 v[215:216], v[215:216], v[217:218], v[215:216]
	v_div_scale_f64 v[217:218], vcc_lo, 1.0, v[196:197], 1.0
	v_mul_f64 v[219:220], v[217:218], v[215:216]
	s_delay_alu instid0(VALU_DEP_1) | instskip(NEXT) | instid1(VALU_DEP_1)
	v_fma_f64 v[198:199], -v[198:199], v[219:220], v[217:218]
	v_div_fmas_f64 v[198:199], v[198:199], v[215:216], v[219:220]
	s_delay_alu instid0(VALU_DEP_1) | instskip(NEXT) | instid1(VALU_DEP_1)
	v_div_fixup_f64 v[196:197], v[198:199], v[196:197], 1.0
	v_mul_f64 v[198:199], v[213:214], -v[196:197]
.LBB96_387:
	s_or_b32 exec_lo, exec_lo, s2
.LBB96_388:
	s_delay_alu instid0(SALU_CYCLE_1) | instskip(NEXT) | instid1(SALU_CYCLE_1)
	s_or_b32 exec_lo, exec_lo, s3
	s_mov_b32 s2, exec_lo
	v_cmpx_ne_u32_e64 v212, v204
	s_xor_b32 s2, exec_lo, s2
	s_cbranch_execz .LBB96_394
; %bb.389:
	s_mov_b32 s3, exec_lo
	v_cmpx_eq_u32_e32 18, v212
	s_cbranch_execz .LBB96_393
; %bb.390:
	v_cmp_ne_u32_e32 vcc_lo, 18, v204
	s_xor_b32 s6, s4, -1
	s_delay_alu instid0(SALU_CYCLE_1) | instskip(NEXT) | instid1(SALU_CYCLE_1)
	s_and_b32 s7, s6, vcc_lo
	s_and_saveexec_b32 s6, s7
	s_cbranch_execz .LBB96_392
; %bb.391:
	v_ashrrev_i32_e32 v205, 31, v204
	s_delay_alu instid0(VALU_DEP_1) | instskip(NEXT) | instid1(VALU_DEP_1)
	v_lshlrev_b64 v[212:213], 2, v[204:205]
	v_add_co_u32 v212, vcc_lo, v202, v212
	s_delay_alu instid0(VALU_DEP_2)
	v_add_co_ci_u32_e32 v213, vcc_lo, v203, v213, vcc_lo
	s_clause 0x1
	flat_load_b32 v205, v[212:213]
	flat_load_b32 v210, v[202:203] offset:72
	s_waitcnt vmcnt(1) lgkmcnt(1)
	flat_store_b32 v[202:203], v205 offset:72
	s_waitcnt vmcnt(0) lgkmcnt(1)
	flat_store_b32 v[212:213], v210
.LBB96_392:
	s_or_b32 exec_lo, exec_lo, s6
	v_mov_b32_e32 v212, v204
	v_mov_b32_e32 v210, v204
.LBB96_393:
	s_or_b32 exec_lo, exec_lo, s3
.LBB96_394:
	s_and_not1_saveexec_b32 s2, s2
	s_cbranch_execz .LBB96_396
; %bb.395:
	v_mov_b32_e32 v212, 18
	ds_store_2addr_b64 v206, v[116:117], v[118:119] offset0:38 offset1:39
	ds_store_2addr_b64 v206, v[112:113], v[114:115] offset0:40 offset1:41
	ds_store_2addr_b64 v206, v[108:109], v[110:111] offset0:42 offset1:43
	ds_store_2addr_b64 v206, v[104:105], v[106:107] offset0:44 offset1:45
	ds_store_2addr_b64 v206, v[100:101], v[102:103] offset0:46 offset1:47
	ds_store_2addr_b64 v206, v[96:97], v[98:99] offset0:48 offset1:49
	ds_store_2addr_b64 v206, v[92:93], v[94:95] offset0:50 offset1:51
	ds_store_2addr_b64 v206, v[88:89], v[90:91] offset0:52 offset1:53
	ds_store_2addr_b64 v206, v[84:85], v[86:87] offset0:54 offset1:55
	ds_store_2addr_b64 v206, v[80:81], v[82:83] offset0:56 offset1:57
	ds_store_2addr_b64 v206, v[76:77], v[78:79] offset0:58 offset1:59
	ds_store_2addr_b64 v206, v[72:73], v[74:75] offset0:60 offset1:61
	ds_store_2addr_b64 v206, v[68:69], v[70:71] offset0:62 offset1:63
	ds_store_2addr_b64 v206, v[64:65], v[66:67] offset0:64 offset1:65
	ds_store_2addr_b64 v206, v[60:61], v[62:63] offset0:66 offset1:67
	ds_store_2addr_b64 v206, v[56:57], v[58:59] offset0:68 offset1:69
	ds_store_2addr_b64 v206, v[52:53], v[54:55] offset0:70 offset1:71
	ds_store_2addr_b64 v206, v[48:49], v[50:51] offset0:72 offset1:73
	ds_store_2addr_b64 v206, v[44:45], v[46:47] offset0:74 offset1:75
	ds_store_2addr_b64 v206, v[40:41], v[42:43] offset0:76 offset1:77
	ds_store_2addr_b64 v206, v[36:37], v[38:39] offset0:78 offset1:79
	ds_store_2addr_b64 v206, v[32:33], v[34:35] offset0:80 offset1:81
	ds_store_2addr_b64 v206, v[28:29], v[30:31] offset0:82 offset1:83
	ds_store_2addr_b64 v206, v[24:25], v[26:27] offset0:84 offset1:85
	ds_store_2addr_b64 v206, v[20:21], v[22:23] offset0:86 offset1:87
	ds_store_2addr_b64 v206, v[16:17], v[18:19] offset0:88 offset1:89
	ds_store_2addr_b64 v206, v[12:13], v[14:15] offset0:90 offset1:91
	ds_store_2addr_b64 v206, v[8:9], v[10:11] offset0:92 offset1:93
	ds_store_2addr_b64 v206, v[4:5], v[6:7] offset0:94 offset1:95
	ds_store_2addr_b64 v206, v[0:1], v[2:3] offset0:96 offset1:97
.LBB96_396:
	s_or_b32 exec_lo, exec_lo, s2
	s_delay_alu instid0(SALU_CYCLE_1)
	s_mov_b32 s2, exec_lo
	s_waitcnt lgkmcnt(0)
	s_waitcnt_vscnt null, 0x0
	s_barrier
	buffer_gl0_inv
	v_cmpx_lt_i32_e32 18, v212
	s_cbranch_execz .LBB96_398
; %bb.397:
	v_mul_f64 v[204:205], v[198:199], v[122:123]
	v_mul_f64 v[122:123], v[196:197], v[122:123]
	s_delay_alu instid0(VALU_DEP_2) | instskip(NEXT) | instid1(VALU_DEP_2)
	v_fma_f64 v[204:205], v[196:197], v[120:121], -v[204:205]
	v_fma_f64 v[122:123], v[198:199], v[120:121], v[122:123]
	ds_load_2addr_b64 v[196:199], v206 offset0:38 offset1:39
	s_waitcnt lgkmcnt(0)
	v_mul_f64 v[120:121], v[198:199], v[122:123]
	s_delay_alu instid0(VALU_DEP_1) | instskip(SKIP_1) | instid1(VALU_DEP_2)
	v_fma_f64 v[120:121], v[196:197], v[204:205], -v[120:121]
	v_mul_f64 v[196:197], v[196:197], v[122:123]
	v_add_f64 v[116:117], v[116:117], -v[120:121]
	s_delay_alu instid0(VALU_DEP_2) | instskip(NEXT) | instid1(VALU_DEP_1)
	v_fma_f64 v[196:197], v[198:199], v[204:205], v[196:197]
	v_add_f64 v[118:119], v[118:119], -v[196:197]
	ds_load_2addr_b64 v[196:199], v206 offset0:40 offset1:41
	s_waitcnt lgkmcnt(0)
	v_mul_f64 v[120:121], v[198:199], v[122:123]
	s_delay_alu instid0(VALU_DEP_1) | instskip(SKIP_1) | instid1(VALU_DEP_2)
	v_fma_f64 v[120:121], v[196:197], v[204:205], -v[120:121]
	v_mul_f64 v[196:197], v[196:197], v[122:123]
	v_add_f64 v[112:113], v[112:113], -v[120:121]
	s_delay_alu instid0(VALU_DEP_2) | instskip(NEXT) | instid1(VALU_DEP_1)
	v_fma_f64 v[196:197], v[198:199], v[204:205], v[196:197]
	v_add_f64 v[114:115], v[114:115], -v[196:197]
	ds_load_2addr_b64 v[196:199], v206 offset0:42 offset1:43
	s_waitcnt lgkmcnt(0)
	v_mul_f64 v[120:121], v[198:199], v[122:123]
	s_delay_alu instid0(VALU_DEP_1) | instskip(SKIP_1) | instid1(VALU_DEP_2)
	v_fma_f64 v[120:121], v[196:197], v[204:205], -v[120:121]
	v_mul_f64 v[196:197], v[196:197], v[122:123]
	v_add_f64 v[108:109], v[108:109], -v[120:121]
	s_delay_alu instid0(VALU_DEP_2) | instskip(NEXT) | instid1(VALU_DEP_1)
	v_fma_f64 v[196:197], v[198:199], v[204:205], v[196:197]
	v_add_f64 v[110:111], v[110:111], -v[196:197]
	ds_load_2addr_b64 v[196:199], v206 offset0:44 offset1:45
	s_waitcnt lgkmcnt(0)
	v_mul_f64 v[120:121], v[198:199], v[122:123]
	s_delay_alu instid0(VALU_DEP_1) | instskip(SKIP_1) | instid1(VALU_DEP_2)
	v_fma_f64 v[120:121], v[196:197], v[204:205], -v[120:121]
	v_mul_f64 v[196:197], v[196:197], v[122:123]
	v_add_f64 v[104:105], v[104:105], -v[120:121]
	s_delay_alu instid0(VALU_DEP_2) | instskip(NEXT) | instid1(VALU_DEP_1)
	v_fma_f64 v[196:197], v[198:199], v[204:205], v[196:197]
	v_add_f64 v[106:107], v[106:107], -v[196:197]
	ds_load_2addr_b64 v[196:199], v206 offset0:46 offset1:47
	s_waitcnt lgkmcnt(0)
	v_mul_f64 v[120:121], v[198:199], v[122:123]
	s_delay_alu instid0(VALU_DEP_1) | instskip(SKIP_1) | instid1(VALU_DEP_2)
	v_fma_f64 v[120:121], v[196:197], v[204:205], -v[120:121]
	v_mul_f64 v[196:197], v[196:197], v[122:123]
	v_add_f64 v[100:101], v[100:101], -v[120:121]
	s_delay_alu instid0(VALU_DEP_2) | instskip(NEXT) | instid1(VALU_DEP_1)
	v_fma_f64 v[196:197], v[198:199], v[204:205], v[196:197]
	v_add_f64 v[102:103], v[102:103], -v[196:197]
	ds_load_2addr_b64 v[196:199], v206 offset0:48 offset1:49
	s_waitcnt lgkmcnt(0)
	v_mul_f64 v[120:121], v[198:199], v[122:123]
	s_delay_alu instid0(VALU_DEP_1) | instskip(SKIP_1) | instid1(VALU_DEP_2)
	v_fma_f64 v[120:121], v[196:197], v[204:205], -v[120:121]
	v_mul_f64 v[196:197], v[196:197], v[122:123]
	v_add_f64 v[96:97], v[96:97], -v[120:121]
	s_delay_alu instid0(VALU_DEP_2) | instskip(NEXT) | instid1(VALU_DEP_1)
	v_fma_f64 v[196:197], v[198:199], v[204:205], v[196:197]
	v_add_f64 v[98:99], v[98:99], -v[196:197]
	ds_load_2addr_b64 v[196:199], v206 offset0:50 offset1:51
	s_waitcnt lgkmcnt(0)
	v_mul_f64 v[120:121], v[198:199], v[122:123]
	s_delay_alu instid0(VALU_DEP_1) | instskip(SKIP_1) | instid1(VALU_DEP_2)
	v_fma_f64 v[120:121], v[196:197], v[204:205], -v[120:121]
	v_mul_f64 v[196:197], v[196:197], v[122:123]
	v_add_f64 v[92:93], v[92:93], -v[120:121]
	s_delay_alu instid0(VALU_DEP_2) | instskip(NEXT) | instid1(VALU_DEP_1)
	v_fma_f64 v[196:197], v[198:199], v[204:205], v[196:197]
	v_add_f64 v[94:95], v[94:95], -v[196:197]
	ds_load_2addr_b64 v[196:199], v206 offset0:52 offset1:53
	s_waitcnt lgkmcnt(0)
	v_mul_f64 v[120:121], v[198:199], v[122:123]
	s_delay_alu instid0(VALU_DEP_1) | instskip(SKIP_1) | instid1(VALU_DEP_2)
	v_fma_f64 v[120:121], v[196:197], v[204:205], -v[120:121]
	v_mul_f64 v[196:197], v[196:197], v[122:123]
	v_add_f64 v[88:89], v[88:89], -v[120:121]
	s_delay_alu instid0(VALU_DEP_2) | instskip(NEXT) | instid1(VALU_DEP_1)
	v_fma_f64 v[196:197], v[198:199], v[204:205], v[196:197]
	v_add_f64 v[90:91], v[90:91], -v[196:197]
	ds_load_2addr_b64 v[196:199], v206 offset0:54 offset1:55
	s_waitcnt lgkmcnt(0)
	v_mul_f64 v[120:121], v[198:199], v[122:123]
	s_delay_alu instid0(VALU_DEP_1) | instskip(SKIP_1) | instid1(VALU_DEP_2)
	v_fma_f64 v[120:121], v[196:197], v[204:205], -v[120:121]
	v_mul_f64 v[196:197], v[196:197], v[122:123]
	v_add_f64 v[84:85], v[84:85], -v[120:121]
	s_delay_alu instid0(VALU_DEP_2) | instskip(NEXT) | instid1(VALU_DEP_1)
	v_fma_f64 v[196:197], v[198:199], v[204:205], v[196:197]
	v_add_f64 v[86:87], v[86:87], -v[196:197]
	ds_load_2addr_b64 v[196:199], v206 offset0:56 offset1:57
	s_waitcnt lgkmcnt(0)
	v_mul_f64 v[120:121], v[198:199], v[122:123]
	s_delay_alu instid0(VALU_DEP_1) | instskip(SKIP_1) | instid1(VALU_DEP_2)
	v_fma_f64 v[120:121], v[196:197], v[204:205], -v[120:121]
	v_mul_f64 v[196:197], v[196:197], v[122:123]
	v_add_f64 v[80:81], v[80:81], -v[120:121]
	s_delay_alu instid0(VALU_DEP_2) | instskip(NEXT) | instid1(VALU_DEP_1)
	v_fma_f64 v[196:197], v[198:199], v[204:205], v[196:197]
	v_add_f64 v[82:83], v[82:83], -v[196:197]
	ds_load_2addr_b64 v[196:199], v206 offset0:58 offset1:59
	s_waitcnt lgkmcnt(0)
	v_mul_f64 v[120:121], v[198:199], v[122:123]
	s_delay_alu instid0(VALU_DEP_1) | instskip(SKIP_1) | instid1(VALU_DEP_2)
	v_fma_f64 v[120:121], v[196:197], v[204:205], -v[120:121]
	v_mul_f64 v[196:197], v[196:197], v[122:123]
	v_add_f64 v[76:77], v[76:77], -v[120:121]
	s_delay_alu instid0(VALU_DEP_2) | instskip(NEXT) | instid1(VALU_DEP_1)
	v_fma_f64 v[196:197], v[198:199], v[204:205], v[196:197]
	v_add_f64 v[78:79], v[78:79], -v[196:197]
	ds_load_2addr_b64 v[196:199], v206 offset0:60 offset1:61
	s_waitcnt lgkmcnt(0)
	v_mul_f64 v[120:121], v[198:199], v[122:123]
	s_delay_alu instid0(VALU_DEP_1) | instskip(SKIP_1) | instid1(VALU_DEP_2)
	v_fma_f64 v[120:121], v[196:197], v[204:205], -v[120:121]
	v_mul_f64 v[196:197], v[196:197], v[122:123]
	v_add_f64 v[72:73], v[72:73], -v[120:121]
	s_delay_alu instid0(VALU_DEP_2) | instskip(NEXT) | instid1(VALU_DEP_1)
	v_fma_f64 v[196:197], v[198:199], v[204:205], v[196:197]
	v_add_f64 v[74:75], v[74:75], -v[196:197]
	ds_load_2addr_b64 v[196:199], v206 offset0:62 offset1:63
	s_waitcnt lgkmcnt(0)
	v_mul_f64 v[120:121], v[198:199], v[122:123]
	s_delay_alu instid0(VALU_DEP_1) | instskip(SKIP_1) | instid1(VALU_DEP_2)
	v_fma_f64 v[120:121], v[196:197], v[204:205], -v[120:121]
	v_mul_f64 v[196:197], v[196:197], v[122:123]
	v_add_f64 v[68:69], v[68:69], -v[120:121]
	s_delay_alu instid0(VALU_DEP_2) | instskip(NEXT) | instid1(VALU_DEP_1)
	v_fma_f64 v[196:197], v[198:199], v[204:205], v[196:197]
	v_add_f64 v[70:71], v[70:71], -v[196:197]
	ds_load_2addr_b64 v[196:199], v206 offset0:64 offset1:65
	s_waitcnt lgkmcnt(0)
	v_mul_f64 v[120:121], v[198:199], v[122:123]
	s_delay_alu instid0(VALU_DEP_1) | instskip(SKIP_1) | instid1(VALU_DEP_2)
	v_fma_f64 v[120:121], v[196:197], v[204:205], -v[120:121]
	v_mul_f64 v[196:197], v[196:197], v[122:123]
	v_add_f64 v[64:65], v[64:65], -v[120:121]
	s_delay_alu instid0(VALU_DEP_2) | instskip(NEXT) | instid1(VALU_DEP_1)
	v_fma_f64 v[196:197], v[198:199], v[204:205], v[196:197]
	v_add_f64 v[66:67], v[66:67], -v[196:197]
	ds_load_2addr_b64 v[196:199], v206 offset0:66 offset1:67
	s_waitcnt lgkmcnt(0)
	v_mul_f64 v[120:121], v[198:199], v[122:123]
	s_delay_alu instid0(VALU_DEP_1) | instskip(SKIP_1) | instid1(VALU_DEP_2)
	v_fma_f64 v[120:121], v[196:197], v[204:205], -v[120:121]
	v_mul_f64 v[196:197], v[196:197], v[122:123]
	v_add_f64 v[60:61], v[60:61], -v[120:121]
	s_delay_alu instid0(VALU_DEP_2) | instskip(NEXT) | instid1(VALU_DEP_1)
	v_fma_f64 v[196:197], v[198:199], v[204:205], v[196:197]
	v_add_f64 v[62:63], v[62:63], -v[196:197]
	ds_load_2addr_b64 v[196:199], v206 offset0:68 offset1:69
	s_waitcnt lgkmcnt(0)
	v_mul_f64 v[120:121], v[198:199], v[122:123]
	s_delay_alu instid0(VALU_DEP_1) | instskip(SKIP_1) | instid1(VALU_DEP_2)
	v_fma_f64 v[120:121], v[196:197], v[204:205], -v[120:121]
	v_mul_f64 v[196:197], v[196:197], v[122:123]
	v_add_f64 v[56:57], v[56:57], -v[120:121]
	s_delay_alu instid0(VALU_DEP_2) | instskip(NEXT) | instid1(VALU_DEP_1)
	v_fma_f64 v[196:197], v[198:199], v[204:205], v[196:197]
	v_add_f64 v[58:59], v[58:59], -v[196:197]
	ds_load_2addr_b64 v[196:199], v206 offset0:70 offset1:71
	s_waitcnt lgkmcnt(0)
	v_mul_f64 v[120:121], v[198:199], v[122:123]
	s_delay_alu instid0(VALU_DEP_1) | instskip(SKIP_1) | instid1(VALU_DEP_2)
	v_fma_f64 v[120:121], v[196:197], v[204:205], -v[120:121]
	v_mul_f64 v[196:197], v[196:197], v[122:123]
	v_add_f64 v[52:53], v[52:53], -v[120:121]
	s_delay_alu instid0(VALU_DEP_2) | instskip(NEXT) | instid1(VALU_DEP_1)
	v_fma_f64 v[196:197], v[198:199], v[204:205], v[196:197]
	v_add_f64 v[54:55], v[54:55], -v[196:197]
	ds_load_2addr_b64 v[196:199], v206 offset0:72 offset1:73
	s_waitcnt lgkmcnt(0)
	v_mul_f64 v[120:121], v[198:199], v[122:123]
	s_delay_alu instid0(VALU_DEP_1) | instskip(SKIP_1) | instid1(VALU_DEP_2)
	v_fma_f64 v[120:121], v[196:197], v[204:205], -v[120:121]
	v_mul_f64 v[196:197], v[196:197], v[122:123]
	v_add_f64 v[48:49], v[48:49], -v[120:121]
	s_delay_alu instid0(VALU_DEP_2) | instskip(NEXT) | instid1(VALU_DEP_1)
	v_fma_f64 v[196:197], v[198:199], v[204:205], v[196:197]
	v_add_f64 v[50:51], v[50:51], -v[196:197]
	ds_load_2addr_b64 v[196:199], v206 offset0:74 offset1:75
	s_waitcnt lgkmcnt(0)
	v_mul_f64 v[120:121], v[198:199], v[122:123]
	s_delay_alu instid0(VALU_DEP_1) | instskip(SKIP_1) | instid1(VALU_DEP_2)
	v_fma_f64 v[120:121], v[196:197], v[204:205], -v[120:121]
	v_mul_f64 v[196:197], v[196:197], v[122:123]
	v_add_f64 v[44:45], v[44:45], -v[120:121]
	s_delay_alu instid0(VALU_DEP_2) | instskip(NEXT) | instid1(VALU_DEP_1)
	v_fma_f64 v[196:197], v[198:199], v[204:205], v[196:197]
	v_add_f64 v[46:47], v[46:47], -v[196:197]
	ds_load_2addr_b64 v[196:199], v206 offset0:76 offset1:77
	s_waitcnt lgkmcnt(0)
	v_mul_f64 v[120:121], v[198:199], v[122:123]
	s_delay_alu instid0(VALU_DEP_1) | instskip(SKIP_1) | instid1(VALU_DEP_2)
	v_fma_f64 v[120:121], v[196:197], v[204:205], -v[120:121]
	v_mul_f64 v[196:197], v[196:197], v[122:123]
	v_add_f64 v[40:41], v[40:41], -v[120:121]
	s_delay_alu instid0(VALU_DEP_2) | instskip(NEXT) | instid1(VALU_DEP_1)
	v_fma_f64 v[196:197], v[198:199], v[204:205], v[196:197]
	v_add_f64 v[42:43], v[42:43], -v[196:197]
	ds_load_2addr_b64 v[196:199], v206 offset0:78 offset1:79
	s_waitcnt lgkmcnt(0)
	v_mul_f64 v[120:121], v[198:199], v[122:123]
	s_delay_alu instid0(VALU_DEP_1) | instskip(SKIP_1) | instid1(VALU_DEP_2)
	v_fma_f64 v[120:121], v[196:197], v[204:205], -v[120:121]
	v_mul_f64 v[196:197], v[196:197], v[122:123]
	v_add_f64 v[36:37], v[36:37], -v[120:121]
	s_delay_alu instid0(VALU_DEP_2) | instskip(NEXT) | instid1(VALU_DEP_1)
	v_fma_f64 v[196:197], v[198:199], v[204:205], v[196:197]
	v_add_f64 v[38:39], v[38:39], -v[196:197]
	ds_load_2addr_b64 v[196:199], v206 offset0:80 offset1:81
	s_waitcnt lgkmcnt(0)
	v_mul_f64 v[120:121], v[198:199], v[122:123]
	s_delay_alu instid0(VALU_DEP_1) | instskip(SKIP_1) | instid1(VALU_DEP_2)
	v_fma_f64 v[120:121], v[196:197], v[204:205], -v[120:121]
	v_mul_f64 v[196:197], v[196:197], v[122:123]
	v_add_f64 v[32:33], v[32:33], -v[120:121]
	s_delay_alu instid0(VALU_DEP_2) | instskip(NEXT) | instid1(VALU_DEP_1)
	v_fma_f64 v[196:197], v[198:199], v[204:205], v[196:197]
	v_add_f64 v[34:35], v[34:35], -v[196:197]
	ds_load_2addr_b64 v[196:199], v206 offset0:82 offset1:83
	s_waitcnt lgkmcnt(0)
	v_mul_f64 v[120:121], v[198:199], v[122:123]
	s_delay_alu instid0(VALU_DEP_1) | instskip(SKIP_1) | instid1(VALU_DEP_2)
	v_fma_f64 v[120:121], v[196:197], v[204:205], -v[120:121]
	v_mul_f64 v[196:197], v[196:197], v[122:123]
	v_add_f64 v[28:29], v[28:29], -v[120:121]
	s_delay_alu instid0(VALU_DEP_2) | instskip(NEXT) | instid1(VALU_DEP_1)
	v_fma_f64 v[196:197], v[198:199], v[204:205], v[196:197]
	v_add_f64 v[30:31], v[30:31], -v[196:197]
	ds_load_2addr_b64 v[196:199], v206 offset0:84 offset1:85
	s_waitcnt lgkmcnt(0)
	v_mul_f64 v[120:121], v[198:199], v[122:123]
	s_delay_alu instid0(VALU_DEP_1) | instskip(SKIP_1) | instid1(VALU_DEP_2)
	v_fma_f64 v[120:121], v[196:197], v[204:205], -v[120:121]
	v_mul_f64 v[196:197], v[196:197], v[122:123]
	v_add_f64 v[24:25], v[24:25], -v[120:121]
	s_delay_alu instid0(VALU_DEP_2) | instskip(NEXT) | instid1(VALU_DEP_1)
	v_fma_f64 v[196:197], v[198:199], v[204:205], v[196:197]
	v_add_f64 v[26:27], v[26:27], -v[196:197]
	ds_load_2addr_b64 v[196:199], v206 offset0:86 offset1:87
	s_waitcnt lgkmcnt(0)
	v_mul_f64 v[120:121], v[198:199], v[122:123]
	s_delay_alu instid0(VALU_DEP_1) | instskip(SKIP_1) | instid1(VALU_DEP_2)
	v_fma_f64 v[120:121], v[196:197], v[204:205], -v[120:121]
	v_mul_f64 v[196:197], v[196:197], v[122:123]
	v_add_f64 v[20:21], v[20:21], -v[120:121]
	s_delay_alu instid0(VALU_DEP_2) | instskip(NEXT) | instid1(VALU_DEP_1)
	v_fma_f64 v[196:197], v[198:199], v[204:205], v[196:197]
	v_add_f64 v[22:23], v[22:23], -v[196:197]
	ds_load_2addr_b64 v[196:199], v206 offset0:88 offset1:89
	s_waitcnt lgkmcnt(0)
	v_mul_f64 v[120:121], v[198:199], v[122:123]
	s_delay_alu instid0(VALU_DEP_1) | instskip(SKIP_1) | instid1(VALU_DEP_2)
	v_fma_f64 v[120:121], v[196:197], v[204:205], -v[120:121]
	v_mul_f64 v[196:197], v[196:197], v[122:123]
	v_add_f64 v[16:17], v[16:17], -v[120:121]
	s_delay_alu instid0(VALU_DEP_2) | instskip(NEXT) | instid1(VALU_DEP_1)
	v_fma_f64 v[196:197], v[198:199], v[204:205], v[196:197]
	v_add_f64 v[18:19], v[18:19], -v[196:197]
	ds_load_2addr_b64 v[196:199], v206 offset0:90 offset1:91
	s_waitcnt lgkmcnt(0)
	v_mul_f64 v[120:121], v[198:199], v[122:123]
	s_delay_alu instid0(VALU_DEP_1) | instskip(SKIP_1) | instid1(VALU_DEP_2)
	v_fma_f64 v[120:121], v[196:197], v[204:205], -v[120:121]
	v_mul_f64 v[196:197], v[196:197], v[122:123]
	v_add_f64 v[12:13], v[12:13], -v[120:121]
	s_delay_alu instid0(VALU_DEP_2) | instskip(NEXT) | instid1(VALU_DEP_1)
	v_fma_f64 v[196:197], v[198:199], v[204:205], v[196:197]
	v_add_f64 v[14:15], v[14:15], -v[196:197]
	ds_load_2addr_b64 v[196:199], v206 offset0:92 offset1:93
	s_waitcnt lgkmcnt(0)
	v_mul_f64 v[120:121], v[198:199], v[122:123]
	s_delay_alu instid0(VALU_DEP_1) | instskip(SKIP_1) | instid1(VALU_DEP_2)
	v_fma_f64 v[120:121], v[196:197], v[204:205], -v[120:121]
	v_mul_f64 v[196:197], v[196:197], v[122:123]
	v_add_f64 v[8:9], v[8:9], -v[120:121]
	s_delay_alu instid0(VALU_DEP_2) | instskip(NEXT) | instid1(VALU_DEP_1)
	v_fma_f64 v[196:197], v[198:199], v[204:205], v[196:197]
	v_add_f64 v[10:11], v[10:11], -v[196:197]
	ds_load_2addr_b64 v[196:199], v206 offset0:94 offset1:95
	s_waitcnt lgkmcnt(0)
	v_mul_f64 v[120:121], v[198:199], v[122:123]
	s_delay_alu instid0(VALU_DEP_1) | instskip(SKIP_1) | instid1(VALU_DEP_2)
	v_fma_f64 v[120:121], v[196:197], v[204:205], -v[120:121]
	v_mul_f64 v[196:197], v[196:197], v[122:123]
	v_add_f64 v[4:5], v[4:5], -v[120:121]
	s_delay_alu instid0(VALU_DEP_2) | instskip(NEXT) | instid1(VALU_DEP_1)
	v_fma_f64 v[196:197], v[198:199], v[204:205], v[196:197]
	v_add_f64 v[6:7], v[6:7], -v[196:197]
	ds_load_2addr_b64 v[196:199], v206 offset0:96 offset1:97
	s_waitcnt lgkmcnt(0)
	v_mul_f64 v[120:121], v[198:199], v[122:123]
	s_delay_alu instid0(VALU_DEP_1) | instskip(SKIP_1) | instid1(VALU_DEP_2)
	v_fma_f64 v[120:121], v[196:197], v[204:205], -v[120:121]
	v_mul_f64 v[196:197], v[196:197], v[122:123]
	v_add_f64 v[0:1], v[0:1], -v[120:121]
	s_delay_alu instid0(VALU_DEP_2) | instskip(SKIP_1) | instid1(VALU_DEP_2)
	v_fma_f64 v[196:197], v[198:199], v[204:205], v[196:197]
	v_dual_mov_b32 v120, v204 :: v_dual_mov_b32 v121, v205
	v_add_f64 v[2:3], v[2:3], -v[196:197]
.LBB96_398:
	s_or_b32 exec_lo, exec_lo, s2
	v_lshl_add_u32 v196, v212, 4, v206
	s_barrier
	buffer_gl0_inv
	v_mov_b32_e32 v204, 19
	ds_store_2addr_b64 v196, v[116:117], v[118:119] offset1:1
	s_waitcnt lgkmcnt(0)
	s_barrier
	buffer_gl0_inv
	ds_load_2addr_b64 v[196:199], v206 offset0:38 offset1:39
	s_cmp_lt_i32 s5, 21
	s_cbranch_scc1 .LBB96_401
; %bb.399:
	v_add3_u32 v205, v211, 0, 0x140
	v_mov_b32_e32 v204, 19
	s_mov_b32 s6, 20
	s_set_inst_prefetch_distance 0x1
	.p2align	6
.LBB96_400:                             ; =>This Inner Loop Header: Depth=1
	ds_load_2addr_b64 v[213:216], v205 offset1:1
	s_waitcnt lgkmcnt(1)
	v_cmp_gt_f64_e32 vcc_lo, 0, v[196:197]
	v_xor_b32_e32 v217, 0x80000000, v197
	v_cmp_gt_f64_e64 s2, 0, v[198:199]
	v_xor_b32_e32 v219, 0x80000000, v199
	v_add_nc_u32_e32 v205, 16, v205
	s_waitcnt lgkmcnt(0)
	v_cmp_gt_f64_e64 s3, 0, v[213:214]
	v_mov_b32_e32 v221, v213
	v_dual_mov_b32 v223, v215 :: v_dual_cndmask_b32 v218, v197, v217
	v_xor_b32_e32 v217, 0x80000000, v214
	v_cndmask_b32_e64 v220, v199, v219, s2
	v_xor_b32_e32 v219, 0x80000000, v216
	s_delay_alu instid0(VALU_DEP_3) | instskip(SKIP_2) | instid1(VALU_DEP_2)
	v_cndmask_b32_e64 v222, v214, v217, s3
	v_cmp_gt_f64_e64 s3, 0, v[215:216]
	v_cndmask_b32_e32 v217, v196, v196, vcc_lo
	v_cndmask_b32_e64 v224, v216, v219, s3
	v_cndmask_b32_e64 v219, v198, v198, s2
	s_delay_alu instid0(VALU_DEP_2) | instskip(NEXT) | instid1(VALU_DEP_2)
	v_add_f64 v[221:222], v[221:222], v[223:224]
	v_add_f64 v[217:218], v[217:218], v[219:220]
	s_delay_alu instid0(VALU_DEP_1) | instskip(SKIP_4) | instid1(SALU_CYCLE_1)
	v_cmp_lt_f64_e32 vcc_lo, v[217:218], v[221:222]
	v_dual_cndmask_b32 v198, v198, v215 :: v_dual_cndmask_b32 v197, v197, v214
	v_dual_cndmask_b32 v196, v196, v213 :: v_dual_cndmask_b32 v199, v199, v216
	v_cndmask_b32_e64 v204, v204, s6, vcc_lo
	s_add_i32 s6, s6, 1
	s_cmp_lg_u32 s5, s6
	s_cbranch_scc1 .LBB96_400
.LBB96_401:
	s_set_inst_prefetch_distance 0x2
	s_waitcnt lgkmcnt(0)
	v_cmp_eq_f64_e32 vcc_lo, 0, v[196:197]
	v_cmp_eq_f64_e64 s2, 0, v[198:199]
	s_delay_alu instid0(VALU_DEP_1) | instskip(NEXT) | instid1(SALU_CYCLE_1)
	s_and_b32 s2, vcc_lo, s2
	s_and_saveexec_b32 s3, s2
	s_delay_alu instid0(SALU_CYCLE_1)
	s_xor_b32 s2, exec_lo, s3
; %bb.402:
	v_cmp_ne_u32_e32 vcc_lo, 0, v209
	v_cndmask_b32_e32 v209, 20, v209, vcc_lo
; %bb.403:
	s_and_not1_saveexec_b32 s3, s2
	s_cbranch_execz .LBB96_409
; %bb.404:
	v_cmp_gt_f64_e32 vcc_lo, 0, v[196:197]
	v_cmp_gt_f64_e64 s2, 0, v[198:199]
	v_xor_b32_e32 v205, 0x80000000, v197
	v_xor_b32_e32 v213, 0x80000000, v199
	s_delay_alu instid0(VALU_DEP_2) | instskip(NEXT) | instid1(VALU_DEP_2)
	v_cndmask_b32_e32 v214, v197, v205, vcc_lo
	v_cndmask_b32_e64 v216, v199, v213, s2
	v_cndmask_b32_e32 v213, v196, v196, vcc_lo
	v_cndmask_b32_e64 v215, v198, v198, s2
	s_mov_b32 s2, exec_lo
	s_delay_alu instid0(VALU_DEP_1)
	v_cmpx_ngt_f64_e32 v[213:214], v[215:216]
	s_xor_b32 s2, exec_lo, s2
	s_cbranch_execz .LBB96_406
; %bb.405:
	v_div_scale_f64 v[213:214], null, v[198:199], v[198:199], v[196:197]
	v_div_scale_f64 v[219:220], vcc_lo, v[196:197], v[198:199], v[196:197]
	s_delay_alu instid0(VALU_DEP_2) | instskip(SKIP_2) | instid1(VALU_DEP_1)
	v_rcp_f64_e32 v[215:216], v[213:214]
	s_waitcnt_depctr 0xfff
	v_fma_f64 v[217:218], -v[213:214], v[215:216], 1.0
	v_fma_f64 v[215:216], v[215:216], v[217:218], v[215:216]
	s_delay_alu instid0(VALU_DEP_1) | instskip(NEXT) | instid1(VALU_DEP_1)
	v_fma_f64 v[217:218], -v[213:214], v[215:216], 1.0
	v_fma_f64 v[215:216], v[215:216], v[217:218], v[215:216]
	s_delay_alu instid0(VALU_DEP_1) | instskip(NEXT) | instid1(VALU_DEP_1)
	v_mul_f64 v[217:218], v[219:220], v[215:216]
	v_fma_f64 v[213:214], -v[213:214], v[217:218], v[219:220]
	s_delay_alu instid0(VALU_DEP_1) | instskip(NEXT) | instid1(VALU_DEP_1)
	v_div_fmas_f64 v[213:214], v[213:214], v[215:216], v[217:218]
	v_div_fixup_f64 v[213:214], v[213:214], v[198:199], v[196:197]
	s_delay_alu instid0(VALU_DEP_1) | instskip(NEXT) | instid1(VALU_DEP_1)
	v_fma_f64 v[196:197], v[196:197], v[213:214], v[198:199]
	v_div_scale_f64 v[198:199], null, v[196:197], v[196:197], 1.0
	s_delay_alu instid0(VALU_DEP_1) | instskip(SKIP_2) | instid1(VALU_DEP_1)
	v_rcp_f64_e32 v[215:216], v[198:199]
	s_waitcnt_depctr 0xfff
	v_fma_f64 v[217:218], -v[198:199], v[215:216], 1.0
	v_fma_f64 v[215:216], v[215:216], v[217:218], v[215:216]
	s_delay_alu instid0(VALU_DEP_1) | instskip(NEXT) | instid1(VALU_DEP_1)
	v_fma_f64 v[217:218], -v[198:199], v[215:216], 1.0
	v_fma_f64 v[215:216], v[215:216], v[217:218], v[215:216]
	v_div_scale_f64 v[217:218], vcc_lo, 1.0, v[196:197], 1.0
	s_delay_alu instid0(VALU_DEP_1) | instskip(NEXT) | instid1(VALU_DEP_1)
	v_mul_f64 v[219:220], v[217:218], v[215:216]
	v_fma_f64 v[198:199], -v[198:199], v[219:220], v[217:218]
	s_delay_alu instid0(VALU_DEP_1) | instskip(NEXT) | instid1(VALU_DEP_1)
	v_div_fmas_f64 v[198:199], v[198:199], v[215:216], v[219:220]
	v_div_fixup_f64 v[198:199], v[198:199], v[196:197], 1.0
	s_delay_alu instid0(VALU_DEP_1)
	v_mul_f64 v[196:197], v[213:214], v[198:199]
	v_xor_b32_e32 v199, 0x80000000, v199
.LBB96_406:
	s_and_not1_saveexec_b32 s2, s2
	s_cbranch_execz .LBB96_408
; %bb.407:
	s_delay_alu instid0(VALU_DEP_1) | instskip(SKIP_1) | instid1(VALU_DEP_2)
	v_div_scale_f64 v[213:214], null, v[196:197], v[196:197], v[198:199]
	v_div_scale_f64 v[219:220], vcc_lo, v[198:199], v[196:197], v[198:199]
	v_rcp_f64_e32 v[215:216], v[213:214]
	s_waitcnt_depctr 0xfff
	v_fma_f64 v[217:218], -v[213:214], v[215:216], 1.0
	s_delay_alu instid0(VALU_DEP_1) | instskip(NEXT) | instid1(VALU_DEP_1)
	v_fma_f64 v[215:216], v[215:216], v[217:218], v[215:216]
	v_fma_f64 v[217:218], -v[213:214], v[215:216], 1.0
	s_delay_alu instid0(VALU_DEP_1) | instskip(NEXT) | instid1(VALU_DEP_1)
	v_fma_f64 v[215:216], v[215:216], v[217:218], v[215:216]
	v_mul_f64 v[217:218], v[219:220], v[215:216]
	s_delay_alu instid0(VALU_DEP_1) | instskip(NEXT) | instid1(VALU_DEP_1)
	v_fma_f64 v[213:214], -v[213:214], v[217:218], v[219:220]
	v_div_fmas_f64 v[213:214], v[213:214], v[215:216], v[217:218]
	s_delay_alu instid0(VALU_DEP_1) | instskip(NEXT) | instid1(VALU_DEP_1)
	v_div_fixup_f64 v[213:214], v[213:214], v[196:197], v[198:199]
	v_fma_f64 v[196:197], v[198:199], v[213:214], v[196:197]
	s_delay_alu instid0(VALU_DEP_1) | instskip(NEXT) | instid1(VALU_DEP_1)
	v_div_scale_f64 v[198:199], null, v[196:197], v[196:197], 1.0
	v_rcp_f64_e32 v[215:216], v[198:199]
	s_waitcnt_depctr 0xfff
	v_fma_f64 v[217:218], -v[198:199], v[215:216], 1.0
	s_delay_alu instid0(VALU_DEP_1) | instskip(NEXT) | instid1(VALU_DEP_1)
	v_fma_f64 v[215:216], v[215:216], v[217:218], v[215:216]
	v_fma_f64 v[217:218], -v[198:199], v[215:216], 1.0
	s_delay_alu instid0(VALU_DEP_1) | instskip(SKIP_1) | instid1(VALU_DEP_1)
	v_fma_f64 v[215:216], v[215:216], v[217:218], v[215:216]
	v_div_scale_f64 v[217:218], vcc_lo, 1.0, v[196:197], 1.0
	v_mul_f64 v[219:220], v[217:218], v[215:216]
	s_delay_alu instid0(VALU_DEP_1) | instskip(NEXT) | instid1(VALU_DEP_1)
	v_fma_f64 v[198:199], -v[198:199], v[219:220], v[217:218]
	v_div_fmas_f64 v[198:199], v[198:199], v[215:216], v[219:220]
	s_delay_alu instid0(VALU_DEP_1) | instskip(NEXT) | instid1(VALU_DEP_1)
	v_div_fixup_f64 v[196:197], v[198:199], v[196:197], 1.0
	v_mul_f64 v[198:199], v[213:214], -v[196:197]
.LBB96_408:
	s_or_b32 exec_lo, exec_lo, s2
.LBB96_409:
	s_delay_alu instid0(SALU_CYCLE_1) | instskip(NEXT) | instid1(SALU_CYCLE_1)
	s_or_b32 exec_lo, exec_lo, s3
	s_mov_b32 s2, exec_lo
	v_cmpx_ne_u32_e64 v212, v204
	s_xor_b32 s2, exec_lo, s2
	s_cbranch_execz .LBB96_415
; %bb.410:
	s_mov_b32 s3, exec_lo
	v_cmpx_eq_u32_e32 19, v212
	s_cbranch_execz .LBB96_414
; %bb.411:
	v_cmp_ne_u32_e32 vcc_lo, 19, v204
	s_xor_b32 s6, s4, -1
	s_delay_alu instid0(SALU_CYCLE_1) | instskip(NEXT) | instid1(SALU_CYCLE_1)
	s_and_b32 s7, s6, vcc_lo
	s_and_saveexec_b32 s6, s7
	s_cbranch_execz .LBB96_413
; %bb.412:
	v_ashrrev_i32_e32 v205, 31, v204
	s_delay_alu instid0(VALU_DEP_1) | instskip(NEXT) | instid1(VALU_DEP_1)
	v_lshlrev_b64 v[212:213], 2, v[204:205]
	v_add_co_u32 v212, vcc_lo, v202, v212
	s_delay_alu instid0(VALU_DEP_2)
	v_add_co_ci_u32_e32 v213, vcc_lo, v203, v213, vcc_lo
	s_clause 0x1
	flat_load_b32 v205, v[212:213]
	flat_load_b32 v210, v[202:203] offset:76
	s_waitcnt vmcnt(1) lgkmcnt(1)
	flat_store_b32 v[202:203], v205 offset:76
	s_waitcnt vmcnt(0) lgkmcnt(1)
	flat_store_b32 v[212:213], v210
.LBB96_413:
	s_or_b32 exec_lo, exec_lo, s6
	v_mov_b32_e32 v212, v204
	v_mov_b32_e32 v210, v204
.LBB96_414:
	s_or_b32 exec_lo, exec_lo, s3
.LBB96_415:
	s_and_not1_saveexec_b32 s2, s2
	s_cbranch_execz .LBB96_417
; %bb.416:
	v_mov_b32_e32 v212, 19
	ds_store_2addr_b64 v206, v[112:113], v[114:115] offset0:40 offset1:41
	ds_store_2addr_b64 v206, v[108:109], v[110:111] offset0:42 offset1:43
	;; [unrolled: 1-line block ×29, first 2 shown]
.LBB96_417:
	s_or_b32 exec_lo, exec_lo, s2
	s_delay_alu instid0(SALU_CYCLE_1)
	s_mov_b32 s2, exec_lo
	s_waitcnt lgkmcnt(0)
	s_waitcnt_vscnt null, 0x0
	s_barrier
	buffer_gl0_inv
	v_cmpx_lt_i32_e32 19, v212
	s_cbranch_execz .LBB96_419
; %bb.418:
	v_mul_f64 v[204:205], v[198:199], v[118:119]
	v_mul_f64 v[118:119], v[196:197], v[118:119]
	s_delay_alu instid0(VALU_DEP_2) | instskip(NEXT) | instid1(VALU_DEP_2)
	v_fma_f64 v[204:205], v[196:197], v[116:117], -v[204:205]
	v_fma_f64 v[118:119], v[198:199], v[116:117], v[118:119]
	ds_load_2addr_b64 v[196:199], v206 offset0:40 offset1:41
	s_waitcnt lgkmcnt(0)
	v_mul_f64 v[116:117], v[198:199], v[118:119]
	s_delay_alu instid0(VALU_DEP_1) | instskip(SKIP_1) | instid1(VALU_DEP_2)
	v_fma_f64 v[116:117], v[196:197], v[204:205], -v[116:117]
	v_mul_f64 v[196:197], v[196:197], v[118:119]
	v_add_f64 v[112:113], v[112:113], -v[116:117]
	s_delay_alu instid0(VALU_DEP_2) | instskip(NEXT) | instid1(VALU_DEP_1)
	v_fma_f64 v[196:197], v[198:199], v[204:205], v[196:197]
	v_add_f64 v[114:115], v[114:115], -v[196:197]
	ds_load_2addr_b64 v[196:199], v206 offset0:42 offset1:43
	s_waitcnt lgkmcnt(0)
	v_mul_f64 v[116:117], v[198:199], v[118:119]
	s_delay_alu instid0(VALU_DEP_1) | instskip(SKIP_1) | instid1(VALU_DEP_2)
	v_fma_f64 v[116:117], v[196:197], v[204:205], -v[116:117]
	v_mul_f64 v[196:197], v[196:197], v[118:119]
	v_add_f64 v[108:109], v[108:109], -v[116:117]
	s_delay_alu instid0(VALU_DEP_2) | instskip(NEXT) | instid1(VALU_DEP_1)
	v_fma_f64 v[196:197], v[198:199], v[204:205], v[196:197]
	v_add_f64 v[110:111], v[110:111], -v[196:197]
	;; [unrolled: 10-line block ×28, first 2 shown]
	ds_load_2addr_b64 v[196:199], v206 offset0:96 offset1:97
	s_waitcnt lgkmcnt(0)
	v_mul_f64 v[116:117], v[198:199], v[118:119]
	s_delay_alu instid0(VALU_DEP_1) | instskip(SKIP_1) | instid1(VALU_DEP_2)
	v_fma_f64 v[116:117], v[196:197], v[204:205], -v[116:117]
	v_mul_f64 v[196:197], v[196:197], v[118:119]
	v_add_f64 v[0:1], v[0:1], -v[116:117]
	s_delay_alu instid0(VALU_DEP_2) | instskip(SKIP_1) | instid1(VALU_DEP_2)
	v_fma_f64 v[196:197], v[198:199], v[204:205], v[196:197]
	v_dual_mov_b32 v116, v204 :: v_dual_mov_b32 v117, v205
	v_add_f64 v[2:3], v[2:3], -v[196:197]
.LBB96_419:
	s_or_b32 exec_lo, exec_lo, s2
	v_lshl_add_u32 v196, v212, 4, v206
	s_barrier
	buffer_gl0_inv
	v_mov_b32_e32 v204, 20
	ds_store_2addr_b64 v196, v[112:113], v[114:115] offset1:1
	s_waitcnt lgkmcnt(0)
	s_barrier
	buffer_gl0_inv
	ds_load_2addr_b64 v[196:199], v206 offset0:40 offset1:41
	s_cmp_lt_i32 s5, 22
	s_cbranch_scc1 .LBB96_422
; %bb.420:
	v_add3_u32 v205, v211, 0, 0x150
	v_mov_b32_e32 v204, 20
	s_mov_b32 s6, 21
	s_set_inst_prefetch_distance 0x1
	.p2align	6
.LBB96_421:                             ; =>This Inner Loop Header: Depth=1
	ds_load_2addr_b64 v[213:216], v205 offset1:1
	s_waitcnt lgkmcnt(1)
	v_cmp_gt_f64_e32 vcc_lo, 0, v[196:197]
	v_xor_b32_e32 v217, 0x80000000, v197
	v_cmp_gt_f64_e64 s2, 0, v[198:199]
	v_xor_b32_e32 v219, 0x80000000, v199
	v_add_nc_u32_e32 v205, 16, v205
	s_waitcnt lgkmcnt(0)
	v_cmp_gt_f64_e64 s3, 0, v[213:214]
	v_mov_b32_e32 v221, v213
	v_dual_mov_b32 v223, v215 :: v_dual_cndmask_b32 v218, v197, v217
	v_xor_b32_e32 v217, 0x80000000, v214
	v_cndmask_b32_e64 v220, v199, v219, s2
	v_xor_b32_e32 v219, 0x80000000, v216
	s_delay_alu instid0(VALU_DEP_3) | instskip(SKIP_2) | instid1(VALU_DEP_2)
	v_cndmask_b32_e64 v222, v214, v217, s3
	v_cmp_gt_f64_e64 s3, 0, v[215:216]
	v_cndmask_b32_e32 v217, v196, v196, vcc_lo
	v_cndmask_b32_e64 v224, v216, v219, s3
	v_cndmask_b32_e64 v219, v198, v198, s2
	s_delay_alu instid0(VALU_DEP_2) | instskip(NEXT) | instid1(VALU_DEP_2)
	v_add_f64 v[221:222], v[221:222], v[223:224]
	v_add_f64 v[217:218], v[217:218], v[219:220]
	s_delay_alu instid0(VALU_DEP_1) | instskip(SKIP_4) | instid1(SALU_CYCLE_1)
	v_cmp_lt_f64_e32 vcc_lo, v[217:218], v[221:222]
	v_dual_cndmask_b32 v198, v198, v215 :: v_dual_cndmask_b32 v197, v197, v214
	v_dual_cndmask_b32 v196, v196, v213 :: v_dual_cndmask_b32 v199, v199, v216
	v_cndmask_b32_e64 v204, v204, s6, vcc_lo
	s_add_i32 s6, s6, 1
	s_cmp_lg_u32 s5, s6
	s_cbranch_scc1 .LBB96_421
.LBB96_422:
	s_set_inst_prefetch_distance 0x2
	s_waitcnt lgkmcnt(0)
	v_cmp_eq_f64_e32 vcc_lo, 0, v[196:197]
	v_cmp_eq_f64_e64 s2, 0, v[198:199]
	s_delay_alu instid0(VALU_DEP_1) | instskip(NEXT) | instid1(SALU_CYCLE_1)
	s_and_b32 s2, vcc_lo, s2
	s_and_saveexec_b32 s3, s2
	s_delay_alu instid0(SALU_CYCLE_1)
	s_xor_b32 s2, exec_lo, s3
; %bb.423:
	v_cmp_ne_u32_e32 vcc_lo, 0, v209
	v_cndmask_b32_e32 v209, 21, v209, vcc_lo
; %bb.424:
	s_and_not1_saveexec_b32 s3, s2
	s_cbranch_execz .LBB96_430
; %bb.425:
	v_cmp_gt_f64_e32 vcc_lo, 0, v[196:197]
	v_cmp_gt_f64_e64 s2, 0, v[198:199]
	v_xor_b32_e32 v205, 0x80000000, v197
	v_xor_b32_e32 v213, 0x80000000, v199
	s_delay_alu instid0(VALU_DEP_2) | instskip(NEXT) | instid1(VALU_DEP_2)
	v_cndmask_b32_e32 v214, v197, v205, vcc_lo
	v_cndmask_b32_e64 v216, v199, v213, s2
	v_cndmask_b32_e32 v213, v196, v196, vcc_lo
	v_cndmask_b32_e64 v215, v198, v198, s2
	s_mov_b32 s2, exec_lo
	s_delay_alu instid0(VALU_DEP_1)
	v_cmpx_ngt_f64_e32 v[213:214], v[215:216]
	s_xor_b32 s2, exec_lo, s2
	s_cbranch_execz .LBB96_427
; %bb.426:
	v_div_scale_f64 v[213:214], null, v[198:199], v[198:199], v[196:197]
	v_div_scale_f64 v[219:220], vcc_lo, v[196:197], v[198:199], v[196:197]
	s_delay_alu instid0(VALU_DEP_2) | instskip(SKIP_2) | instid1(VALU_DEP_1)
	v_rcp_f64_e32 v[215:216], v[213:214]
	s_waitcnt_depctr 0xfff
	v_fma_f64 v[217:218], -v[213:214], v[215:216], 1.0
	v_fma_f64 v[215:216], v[215:216], v[217:218], v[215:216]
	s_delay_alu instid0(VALU_DEP_1) | instskip(NEXT) | instid1(VALU_DEP_1)
	v_fma_f64 v[217:218], -v[213:214], v[215:216], 1.0
	v_fma_f64 v[215:216], v[215:216], v[217:218], v[215:216]
	s_delay_alu instid0(VALU_DEP_1) | instskip(NEXT) | instid1(VALU_DEP_1)
	v_mul_f64 v[217:218], v[219:220], v[215:216]
	v_fma_f64 v[213:214], -v[213:214], v[217:218], v[219:220]
	s_delay_alu instid0(VALU_DEP_1) | instskip(NEXT) | instid1(VALU_DEP_1)
	v_div_fmas_f64 v[213:214], v[213:214], v[215:216], v[217:218]
	v_div_fixup_f64 v[213:214], v[213:214], v[198:199], v[196:197]
	s_delay_alu instid0(VALU_DEP_1) | instskip(NEXT) | instid1(VALU_DEP_1)
	v_fma_f64 v[196:197], v[196:197], v[213:214], v[198:199]
	v_div_scale_f64 v[198:199], null, v[196:197], v[196:197], 1.0
	s_delay_alu instid0(VALU_DEP_1) | instskip(SKIP_2) | instid1(VALU_DEP_1)
	v_rcp_f64_e32 v[215:216], v[198:199]
	s_waitcnt_depctr 0xfff
	v_fma_f64 v[217:218], -v[198:199], v[215:216], 1.0
	v_fma_f64 v[215:216], v[215:216], v[217:218], v[215:216]
	s_delay_alu instid0(VALU_DEP_1) | instskip(NEXT) | instid1(VALU_DEP_1)
	v_fma_f64 v[217:218], -v[198:199], v[215:216], 1.0
	v_fma_f64 v[215:216], v[215:216], v[217:218], v[215:216]
	v_div_scale_f64 v[217:218], vcc_lo, 1.0, v[196:197], 1.0
	s_delay_alu instid0(VALU_DEP_1) | instskip(NEXT) | instid1(VALU_DEP_1)
	v_mul_f64 v[219:220], v[217:218], v[215:216]
	v_fma_f64 v[198:199], -v[198:199], v[219:220], v[217:218]
	s_delay_alu instid0(VALU_DEP_1) | instskip(NEXT) | instid1(VALU_DEP_1)
	v_div_fmas_f64 v[198:199], v[198:199], v[215:216], v[219:220]
	v_div_fixup_f64 v[198:199], v[198:199], v[196:197], 1.0
	s_delay_alu instid0(VALU_DEP_1)
	v_mul_f64 v[196:197], v[213:214], v[198:199]
	v_xor_b32_e32 v199, 0x80000000, v199
.LBB96_427:
	s_and_not1_saveexec_b32 s2, s2
	s_cbranch_execz .LBB96_429
; %bb.428:
	s_delay_alu instid0(VALU_DEP_1) | instskip(SKIP_1) | instid1(VALU_DEP_2)
	v_div_scale_f64 v[213:214], null, v[196:197], v[196:197], v[198:199]
	v_div_scale_f64 v[219:220], vcc_lo, v[198:199], v[196:197], v[198:199]
	v_rcp_f64_e32 v[215:216], v[213:214]
	s_waitcnt_depctr 0xfff
	v_fma_f64 v[217:218], -v[213:214], v[215:216], 1.0
	s_delay_alu instid0(VALU_DEP_1) | instskip(NEXT) | instid1(VALU_DEP_1)
	v_fma_f64 v[215:216], v[215:216], v[217:218], v[215:216]
	v_fma_f64 v[217:218], -v[213:214], v[215:216], 1.0
	s_delay_alu instid0(VALU_DEP_1) | instskip(NEXT) | instid1(VALU_DEP_1)
	v_fma_f64 v[215:216], v[215:216], v[217:218], v[215:216]
	v_mul_f64 v[217:218], v[219:220], v[215:216]
	s_delay_alu instid0(VALU_DEP_1) | instskip(NEXT) | instid1(VALU_DEP_1)
	v_fma_f64 v[213:214], -v[213:214], v[217:218], v[219:220]
	v_div_fmas_f64 v[213:214], v[213:214], v[215:216], v[217:218]
	s_delay_alu instid0(VALU_DEP_1) | instskip(NEXT) | instid1(VALU_DEP_1)
	v_div_fixup_f64 v[213:214], v[213:214], v[196:197], v[198:199]
	v_fma_f64 v[196:197], v[198:199], v[213:214], v[196:197]
	s_delay_alu instid0(VALU_DEP_1) | instskip(NEXT) | instid1(VALU_DEP_1)
	v_div_scale_f64 v[198:199], null, v[196:197], v[196:197], 1.0
	v_rcp_f64_e32 v[215:216], v[198:199]
	s_waitcnt_depctr 0xfff
	v_fma_f64 v[217:218], -v[198:199], v[215:216], 1.0
	s_delay_alu instid0(VALU_DEP_1) | instskip(NEXT) | instid1(VALU_DEP_1)
	v_fma_f64 v[215:216], v[215:216], v[217:218], v[215:216]
	v_fma_f64 v[217:218], -v[198:199], v[215:216], 1.0
	s_delay_alu instid0(VALU_DEP_1) | instskip(SKIP_1) | instid1(VALU_DEP_1)
	v_fma_f64 v[215:216], v[215:216], v[217:218], v[215:216]
	v_div_scale_f64 v[217:218], vcc_lo, 1.0, v[196:197], 1.0
	v_mul_f64 v[219:220], v[217:218], v[215:216]
	s_delay_alu instid0(VALU_DEP_1) | instskip(NEXT) | instid1(VALU_DEP_1)
	v_fma_f64 v[198:199], -v[198:199], v[219:220], v[217:218]
	v_div_fmas_f64 v[198:199], v[198:199], v[215:216], v[219:220]
	s_delay_alu instid0(VALU_DEP_1) | instskip(NEXT) | instid1(VALU_DEP_1)
	v_div_fixup_f64 v[196:197], v[198:199], v[196:197], 1.0
	v_mul_f64 v[198:199], v[213:214], -v[196:197]
.LBB96_429:
	s_or_b32 exec_lo, exec_lo, s2
.LBB96_430:
	s_delay_alu instid0(SALU_CYCLE_1) | instskip(NEXT) | instid1(SALU_CYCLE_1)
	s_or_b32 exec_lo, exec_lo, s3
	s_mov_b32 s2, exec_lo
	v_cmpx_ne_u32_e64 v212, v204
	s_xor_b32 s2, exec_lo, s2
	s_cbranch_execz .LBB96_436
; %bb.431:
	s_mov_b32 s3, exec_lo
	v_cmpx_eq_u32_e32 20, v212
	s_cbranch_execz .LBB96_435
; %bb.432:
	v_cmp_ne_u32_e32 vcc_lo, 20, v204
	s_xor_b32 s6, s4, -1
	s_delay_alu instid0(SALU_CYCLE_1) | instskip(NEXT) | instid1(SALU_CYCLE_1)
	s_and_b32 s7, s6, vcc_lo
	s_and_saveexec_b32 s6, s7
	s_cbranch_execz .LBB96_434
; %bb.433:
	v_ashrrev_i32_e32 v205, 31, v204
	s_delay_alu instid0(VALU_DEP_1) | instskip(NEXT) | instid1(VALU_DEP_1)
	v_lshlrev_b64 v[212:213], 2, v[204:205]
	v_add_co_u32 v212, vcc_lo, v202, v212
	s_delay_alu instid0(VALU_DEP_2)
	v_add_co_ci_u32_e32 v213, vcc_lo, v203, v213, vcc_lo
	s_clause 0x1
	flat_load_b32 v205, v[212:213]
	flat_load_b32 v210, v[202:203] offset:80
	s_waitcnt vmcnt(1) lgkmcnt(1)
	flat_store_b32 v[202:203], v205 offset:80
	s_waitcnt vmcnt(0) lgkmcnt(1)
	flat_store_b32 v[212:213], v210
.LBB96_434:
	s_or_b32 exec_lo, exec_lo, s6
	v_mov_b32_e32 v212, v204
	v_mov_b32_e32 v210, v204
.LBB96_435:
	s_or_b32 exec_lo, exec_lo, s3
.LBB96_436:
	s_and_not1_saveexec_b32 s2, s2
	s_cbranch_execz .LBB96_438
; %bb.437:
	v_mov_b32_e32 v212, 20
	ds_store_2addr_b64 v206, v[108:109], v[110:111] offset0:42 offset1:43
	ds_store_2addr_b64 v206, v[104:105], v[106:107] offset0:44 offset1:45
	ds_store_2addr_b64 v206, v[100:101], v[102:103] offset0:46 offset1:47
	ds_store_2addr_b64 v206, v[96:97], v[98:99] offset0:48 offset1:49
	ds_store_2addr_b64 v206, v[92:93], v[94:95] offset0:50 offset1:51
	ds_store_2addr_b64 v206, v[88:89], v[90:91] offset0:52 offset1:53
	ds_store_2addr_b64 v206, v[84:85], v[86:87] offset0:54 offset1:55
	ds_store_2addr_b64 v206, v[80:81], v[82:83] offset0:56 offset1:57
	ds_store_2addr_b64 v206, v[76:77], v[78:79] offset0:58 offset1:59
	ds_store_2addr_b64 v206, v[72:73], v[74:75] offset0:60 offset1:61
	ds_store_2addr_b64 v206, v[68:69], v[70:71] offset0:62 offset1:63
	ds_store_2addr_b64 v206, v[64:65], v[66:67] offset0:64 offset1:65
	ds_store_2addr_b64 v206, v[60:61], v[62:63] offset0:66 offset1:67
	ds_store_2addr_b64 v206, v[56:57], v[58:59] offset0:68 offset1:69
	ds_store_2addr_b64 v206, v[52:53], v[54:55] offset0:70 offset1:71
	ds_store_2addr_b64 v206, v[48:49], v[50:51] offset0:72 offset1:73
	ds_store_2addr_b64 v206, v[44:45], v[46:47] offset0:74 offset1:75
	ds_store_2addr_b64 v206, v[40:41], v[42:43] offset0:76 offset1:77
	ds_store_2addr_b64 v206, v[36:37], v[38:39] offset0:78 offset1:79
	ds_store_2addr_b64 v206, v[32:33], v[34:35] offset0:80 offset1:81
	ds_store_2addr_b64 v206, v[28:29], v[30:31] offset0:82 offset1:83
	ds_store_2addr_b64 v206, v[24:25], v[26:27] offset0:84 offset1:85
	ds_store_2addr_b64 v206, v[20:21], v[22:23] offset0:86 offset1:87
	ds_store_2addr_b64 v206, v[16:17], v[18:19] offset0:88 offset1:89
	ds_store_2addr_b64 v206, v[12:13], v[14:15] offset0:90 offset1:91
	ds_store_2addr_b64 v206, v[8:9], v[10:11] offset0:92 offset1:93
	ds_store_2addr_b64 v206, v[4:5], v[6:7] offset0:94 offset1:95
	ds_store_2addr_b64 v206, v[0:1], v[2:3] offset0:96 offset1:97
.LBB96_438:
	s_or_b32 exec_lo, exec_lo, s2
	s_delay_alu instid0(SALU_CYCLE_1)
	s_mov_b32 s2, exec_lo
	s_waitcnt lgkmcnt(0)
	s_waitcnt_vscnt null, 0x0
	s_barrier
	buffer_gl0_inv
	v_cmpx_lt_i32_e32 20, v212
	s_cbranch_execz .LBB96_440
; %bb.439:
	v_mul_f64 v[204:205], v[198:199], v[114:115]
	v_mul_f64 v[114:115], v[196:197], v[114:115]
	s_delay_alu instid0(VALU_DEP_2) | instskip(NEXT) | instid1(VALU_DEP_2)
	v_fma_f64 v[204:205], v[196:197], v[112:113], -v[204:205]
	v_fma_f64 v[114:115], v[198:199], v[112:113], v[114:115]
	ds_load_2addr_b64 v[196:199], v206 offset0:42 offset1:43
	s_waitcnt lgkmcnt(0)
	v_mul_f64 v[112:113], v[198:199], v[114:115]
	s_delay_alu instid0(VALU_DEP_1) | instskip(SKIP_1) | instid1(VALU_DEP_2)
	v_fma_f64 v[112:113], v[196:197], v[204:205], -v[112:113]
	v_mul_f64 v[196:197], v[196:197], v[114:115]
	v_add_f64 v[108:109], v[108:109], -v[112:113]
	s_delay_alu instid0(VALU_DEP_2) | instskip(NEXT) | instid1(VALU_DEP_1)
	v_fma_f64 v[196:197], v[198:199], v[204:205], v[196:197]
	v_add_f64 v[110:111], v[110:111], -v[196:197]
	ds_load_2addr_b64 v[196:199], v206 offset0:44 offset1:45
	s_waitcnt lgkmcnt(0)
	v_mul_f64 v[112:113], v[198:199], v[114:115]
	s_delay_alu instid0(VALU_DEP_1) | instskip(SKIP_1) | instid1(VALU_DEP_2)
	v_fma_f64 v[112:113], v[196:197], v[204:205], -v[112:113]
	v_mul_f64 v[196:197], v[196:197], v[114:115]
	v_add_f64 v[104:105], v[104:105], -v[112:113]
	s_delay_alu instid0(VALU_DEP_2) | instskip(NEXT) | instid1(VALU_DEP_1)
	v_fma_f64 v[196:197], v[198:199], v[204:205], v[196:197]
	v_add_f64 v[106:107], v[106:107], -v[196:197]
	;; [unrolled: 10-line block ×27, first 2 shown]
	ds_load_2addr_b64 v[196:199], v206 offset0:96 offset1:97
	s_waitcnt lgkmcnt(0)
	v_mul_f64 v[112:113], v[198:199], v[114:115]
	s_delay_alu instid0(VALU_DEP_1) | instskip(SKIP_1) | instid1(VALU_DEP_2)
	v_fma_f64 v[112:113], v[196:197], v[204:205], -v[112:113]
	v_mul_f64 v[196:197], v[196:197], v[114:115]
	v_add_f64 v[0:1], v[0:1], -v[112:113]
	s_delay_alu instid0(VALU_DEP_2) | instskip(SKIP_1) | instid1(VALU_DEP_2)
	v_fma_f64 v[196:197], v[198:199], v[204:205], v[196:197]
	v_dual_mov_b32 v112, v204 :: v_dual_mov_b32 v113, v205
	v_add_f64 v[2:3], v[2:3], -v[196:197]
.LBB96_440:
	s_or_b32 exec_lo, exec_lo, s2
	v_lshl_add_u32 v196, v212, 4, v206
	s_barrier
	buffer_gl0_inv
	v_mov_b32_e32 v204, 21
	ds_store_2addr_b64 v196, v[108:109], v[110:111] offset1:1
	s_waitcnt lgkmcnt(0)
	s_barrier
	buffer_gl0_inv
	ds_load_2addr_b64 v[196:199], v206 offset0:42 offset1:43
	s_cmp_lt_i32 s5, 23
	s_cbranch_scc1 .LBB96_443
; %bb.441:
	v_add3_u32 v205, v211, 0, 0x160
	v_mov_b32_e32 v204, 21
	s_mov_b32 s6, 22
	s_set_inst_prefetch_distance 0x1
	.p2align	6
.LBB96_442:                             ; =>This Inner Loop Header: Depth=1
	ds_load_2addr_b64 v[213:216], v205 offset1:1
	s_waitcnt lgkmcnt(1)
	v_cmp_gt_f64_e32 vcc_lo, 0, v[196:197]
	v_xor_b32_e32 v217, 0x80000000, v197
	v_cmp_gt_f64_e64 s2, 0, v[198:199]
	v_xor_b32_e32 v219, 0x80000000, v199
	v_add_nc_u32_e32 v205, 16, v205
	s_waitcnt lgkmcnt(0)
	v_cmp_gt_f64_e64 s3, 0, v[213:214]
	v_mov_b32_e32 v221, v213
	v_dual_mov_b32 v223, v215 :: v_dual_cndmask_b32 v218, v197, v217
	v_xor_b32_e32 v217, 0x80000000, v214
	v_cndmask_b32_e64 v220, v199, v219, s2
	v_xor_b32_e32 v219, 0x80000000, v216
	s_delay_alu instid0(VALU_DEP_3) | instskip(SKIP_2) | instid1(VALU_DEP_2)
	v_cndmask_b32_e64 v222, v214, v217, s3
	v_cmp_gt_f64_e64 s3, 0, v[215:216]
	v_cndmask_b32_e32 v217, v196, v196, vcc_lo
	v_cndmask_b32_e64 v224, v216, v219, s3
	v_cndmask_b32_e64 v219, v198, v198, s2
	s_delay_alu instid0(VALU_DEP_2) | instskip(NEXT) | instid1(VALU_DEP_2)
	v_add_f64 v[221:222], v[221:222], v[223:224]
	v_add_f64 v[217:218], v[217:218], v[219:220]
	s_delay_alu instid0(VALU_DEP_1) | instskip(SKIP_4) | instid1(SALU_CYCLE_1)
	v_cmp_lt_f64_e32 vcc_lo, v[217:218], v[221:222]
	v_dual_cndmask_b32 v198, v198, v215 :: v_dual_cndmask_b32 v197, v197, v214
	v_dual_cndmask_b32 v196, v196, v213 :: v_dual_cndmask_b32 v199, v199, v216
	v_cndmask_b32_e64 v204, v204, s6, vcc_lo
	s_add_i32 s6, s6, 1
	s_cmp_lg_u32 s5, s6
	s_cbranch_scc1 .LBB96_442
.LBB96_443:
	s_set_inst_prefetch_distance 0x2
	s_waitcnt lgkmcnt(0)
	v_cmp_eq_f64_e32 vcc_lo, 0, v[196:197]
	v_cmp_eq_f64_e64 s2, 0, v[198:199]
	s_delay_alu instid0(VALU_DEP_1) | instskip(NEXT) | instid1(SALU_CYCLE_1)
	s_and_b32 s2, vcc_lo, s2
	s_and_saveexec_b32 s3, s2
	s_delay_alu instid0(SALU_CYCLE_1)
	s_xor_b32 s2, exec_lo, s3
; %bb.444:
	v_cmp_ne_u32_e32 vcc_lo, 0, v209
	v_cndmask_b32_e32 v209, 22, v209, vcc_lo
; %bb.445:
	s_and_not1_saveexec_b32 s3, s2
	s_cbranch_execz .LBB96_451
; %bb.446:
	v_cmp_gt_f64_e32 vcc_lo, 0, v[196:197]
	v_cmp_gt_f64_e64 s2, 0, v[198:199]
	v_xor_b32_e32 v205, 0x80000000, v197
	v_xor_b32_e32 v213, 0x80000000, v199
	s_delay_alu instid0(VALU_DEP_2) | instskip(NEXT) | instid1(VALU_DEP_2)
	v_cndmask_b32_e32 v214, v197, v205, vcc_lo
	v_cndmask_b32_e64 v216, v199, v213, s2
	v_cndmask_b32_e32 v213, v196, v196, vcc_lo
	v_cndmask_b32_e64 v215, v198, v198, s2
	s_mov_b32 s2, exec_lo
	s_delay_alu instid0(VALU_DEP_1)
	v_cmpx_ngt_f64_e32 v[213:214], v[215:216]
	s_xor_b32 s2, exec_lo, s2
	s_cbranch_execz .LBB96_448
; %bb.447:
	v_div_scale_f64 v[213:214], null, v[198:199], v[198:199], v[196:197]
	v_div_scale_f64 v[219:220], vcc_lo, v[196:197], v[198:199], v[196:197]
	s_delay_alu instid0(VALU_DEP_2) | instskip(SKIP_2) | instid1(VALU_DEP_1)
	v_rcp_f64_e32 v[215:216], v[213:214]
	s_waitcnt_depctr 0xfff
	v_fma_f64 v[217:218], -v[213:214], v[215:216], 1.0
	v_fma_f64 v[215:216], v[215:216], v[217:218], v[215:216]
	s_delay_alu instid0(VALU_DEP_1) | instskip(NEXT) | instid1(VALU_DEP_1)
	v_fma_f64 v[217:218], -v[213:214], v[215:216], 1.0
	v_fma_f64 v[215:216], v[215:216], v[217:218], v[215:216]
	s_delay_alu instid0(VALU_DEP_1) | instskip(NEXT) | instid1(VALU_DEP_1)
	v_mul_f64 v[217:218], v[219:220], v[215:216]
	v_fma_f64 v[213:214], -v[213:214], v[217:218], v[219:220]
	s_delay_alu instid0(VALU_DEP_1) | instskip(NEXT) | instid1(VALU_DEP_1)
	v_div_fmas_f64 v[213:214], v[213:214], v[215:216], v[217:218]
	v_div_fixup_f64 v[213:214], v[213:214], v[198:199], v[196:197]
	s_delay_alu instid0(VALU_DEP_1) | instskip(NEXT) | instid1(VALU_DEP_1)
	v_fma_f64 v[196:197], v[196:197], v[213:214], v[198:199]
	v_div_scale_f64 v[198:199], null, v[196:197], v[196:197], 1.0
	s_delay_alu instid0(VALU_DEP_1) | instskip(SKIP_2) | instid1(VALU_DEP_1)
	v_rcp_f64_e32 v[215:216], v[198:199]
	s_waitcnt_depctr 0xfff
	v_fma_f64 v[217:218], -v[198:199], v[215:216], 1.0
	v_fma_f64 v[215:216], v[215:216], v[217:218], v[215:216]
	s_delay_alu instid0(VALU_DEP_1) | instskip(NEXT) | instid1(VALU_DEP_1)
	v_fma_f64 v[217:218], -v[198:199], v[215:216], 1.0
	v_fma_f64 v[215:216], v[215:216], v[217:218], v[215:216]
	v_div_scale_f64 v[217:218], vcc_lo, 1.0, v[196:197], 1.0
	s_delay_alu instid0(VALU_DEP_1) | instskip(NEXT) | instid1(VALU_DEP_1)
	v_mul_f64 v[219:220], v[217:218], v[215:216]
	v_fma_f64 v[198:199], -v[198:199], v[219:220], v[217:218]
	s_delay_alu instid0(VALU_DEP_1) | instskip(NEXT) | instid1(VALU_DEP_1)
	v_div_fmas_f64 v[198:199], v[198:199], v[215:216], v[219:220]
	v_div_fixup_f64 v[198:199], v[198:199], v[196:197], 1.0
	s_delay_alu instid0(VALU_DEP_1)
	v_mul_f64 v[196:197], v[213:214], v[198:199]
	v_xor_b32_e32 v199, 0x80000000, v199
.LBB96_448:
	s_and_not1_saveexec_b32 s2, s2
	s_cbranch_execz .LBB96_450
; %bb.449:
	s_delay_alu instid0(VALU_DEP_1) | instskip(SKIP_1) | instid1(VALU_DEP_2)
	v_div_scale_f64 v[213:214], null, v[196:197], v[196:197], v[198:199]
	v_div_scale_f64 v[219:220], vcc_lo, v[198:199], v[196:197], v[198:199]
	v_rcp_f64_e32 v[215:216], v[213:214]
	s_waitcnt_depctr 0xfff
	v_fma_f64 v[217:218], -v[213:214], v[215:216], 1.0
	s_delay_alu instid0(VALU_DEP_1) | instskip(NEXT) | instid1(VALU_DEP_1)
	v_fma_f64 v[215:216], v[215:216], v[217:218], v[215:216]
	v_fma_f64 v[217:218], -v[213:214], v[215:216], 1.0
	s_delay_alu instid0(VALU_DEP_1) | instskip(NEXT) | instid1(VALU_DEP_1)
	v_fma_f64 v[215:216], v[215:216], v[217:218], v[215:216]
	v_mul_f64 v[217:218], v[219:220], v[215:216]
	s_delay_alu instid0(VALU_DEP_1) | instskip(NEXT) | instid1(VALU_DEP_1)
	v_fma_f64 v[213:214], -v[213:214], v[217:218], v[219:220]
	v_div_fmas_f64 v[213:214], v[213:214], v[215:216], v[217:218]
	s_delay_alu instid0(VALU_DEP_1) | instskip(NEXT) | instid1(VALU_DEP_1)
	v_div_fixup_f64 v[213:214], v[213:214], v[196:197], v[198:199]
	v_fma_f64 v[196:197], v[198:199], v[213:214], v[196:197]
	s_delay_alu instid0(VALU_DEP_1) | instskip(NEXT) | instid1(VALU_DEP_1)
	v_div_scale_f64 v[198:199], null, v[196:197], v[196:197], 1.0
	v_rcp_f64_e32 v[215:216], v[198:199]
	s_waitcnt_depctr 0xfff
	v_fma_f64 v[217:218], -v[198:199], v[215:216], 1.0
	s_delay_alu instid0(VALU_DEP_1) | instskip(NEXT) | instid1(VALU_DEP_1)
	v_fma_f64 v[215:216], v[215:216], v[217:218], v[215:216]
	v_fma_f64 v[217:218], -v[198:199], v[215:216], 1.0
	s_delay_alu instid0(VALU_DEP_1) | instskip(SKIP_1) | instid1(VALU_DEP_1)
	v_fma_f64 v[215:216], v[215:216], v[217:218], v[215:216]
	v_div_scale_f64 v[217:218], vcc_lo, 1.0, v[196:197], 1.0
	v_mul_f64 v[219:220], v[217:218], v[215:216]
	s_delay_alu instid0(VALU_DEP_1) | instskip(NEXT) | instid1(VALU_DEP_1)
	v_fma_f64 v[198:199], -v[198:199], v[219:220], v[217:218]
	v_div_fmas_f64 v[198:199], v[198:199], v[215:216], v[219:220]
	s_delay_alu instid0(VALU_DEP_1) | instskip(NEXT) | instid1(VALU_DEP_1)
	v_div_fixup_f64 v[196:197], v[198:199], v[196:197], 1.0
	v_mul_f64 v[198:199], v[213:214], -v[196:197]
.LBB96_450:
	s_or_b32 exec_lo, exec_lo, s2
.LBB96_451:
	s_delay_alu instid0(SALU_CYCLE_1) | instskip(NEXT) | instid1(SALU_CYCLE_1)
	s_or_b32 exec_lo, exec_lo, s3
	s_mov_b32 s2, exec_lo
	v_cmpx_ne_u32_e64 v212, v204
	s_xor_b32 s2, exec_lo, s2
	s_cbranch_execz .LBB96_457
; %bb.452:
	s_mov_b32 s3, exec_lo
	v_cmpx_eq_u32_e32 21, v212
	s_cbranch_execz .LBB96_456
; %bb.453:
	v_cmp_ne_u32_e32 vcc_lo, 21, v204
	s_xor_b32 s6, s4, -1
	s_delay_alu instid0(SALU_CYCLE_1) | instskip(NEXT) | instid1(SALU_CYCLE_1)
	s_and_b32 s7, s6, vcc_lo
	s_and_saveexec_b32 s6, s7
	s_cbranch_execz .LBB96_455
; %bb.454:
	v_ashrrev_i32_e32 v205, 31, v204
	s_delay_alu instid0(VALU_DEP_1) | instskip(NEXT) | instid1(VALU_DEP_1)
	v_lshlrev_b64 v[212:213], 2, v[204:205]
	v_add_co_u32 v212, vcc_lo, v202, v212
	s_delay_alu instid0(VALU_DEP_2)
	v_add_co_ci_u32_e32 v213, vcc_lo, v203, v213, vcc_lo
	s_clause 0x1
	flat_load_b32 v205, v[212:213]
	flat_load_b32 v210, v[202:203] offset:84
	s_waitcnt vmcnt(1) lgkmcnt(1)
	flat_store_b32 v[202:203], v205 offset:84
	s_waitcnt vmcnt(0) lgkmcnt(1)
	flat_store_b32 v[212:213], v210
.LBB96_455:
	s_or_b32 exec_lo, exec_lo, s6
	v_mov_b32_e32 v212, v204
	v_mov_b32_e32 v210, v204
.LBB96_456:
	s_or_b32 exec_lo, exec_lo, s3
.LBB96_457:
	s_and_not1_saveexec_b32 s2, s2
	s_cbranch_execz .LBB96_459
; %bb.458:
	v_mov_b32_e32 v212, 21
	ds_store_2addr_b64 v206, v[104:105], v[106:107] offset0:44 offset1:45
	ds_store_2addr_b64 v206, v[100:101], v[102:103] offset0:46 offset1:47
	;; [unrolled: 1-line block ×27, first 2 shown]
.LBB96_459:
	s_or_b32 exec_lo, exec_lo, s2
	s_delay_alu instid0(SALU_CYCLE_1)
	s_mov_b32 s2, exec_lo
	s_waitcnt lgkmcnt(0)
	s_waitcnt_vscnt null, 0x0
	s_barrier
	buffer_gl0_inv
	v_cmpx_lt_i32_e32 21, v212
	s_cbranch_execz .LBB96_461
; %bb.460:
	v_mul_f64 v[204:205], v[198:199], v[110:111]
	v_mul_f64 v[110:111], v[196:197], v[110:111]
	s_delay_alu instid0(VALU_DEP_2) | instskip(NEXT) | instid1(VALU_DEP_2)
	v_fma_f64 v[204:205], v[196:197], v[108:109], -v[204:205]
	v_fma_f64 v[110:111], v[198:199], v[108:109], v[110:111]
	ds_load_2addr_b64 v[196:199], v206 offset0:44 offset1:45
	s_waitcnt lgkmcnt(0)
	v_mul_f64 v[108:109], v[198:199], v[110:111]
	s_delay_alu instid0(VALU_DEP_1) | instskip(SKIP_1) | instid1(VALU_DEP_2)
	v_fma_f64 v[108:109], v[196:197], v[204:205], -v[108:109]
	v_mul_f64 v[196:197], v[196:197], v[110:111]
	v_add_f64 v[104:105], v[104:105], -v[108:109]
	s_delay_alu instid0(VALU_DEP_2) | instskip(NEXT) | instid1(VALU_DEP_1)
	v_fma_f64 v[196:197], v[198:199], v[204:205], v[196:197]
	v_add_f64 v[106:107], v[106:107], -v[196:197]
	ds_load_2addr_b64 v[196:199], v206 offset0:46 offset1:47
	s_waitcnt lgkmcnt(0)
	v_mul_f64 v[108:109], v[198:199], v[110:111]
	s_delay_alu instid0(VALU_DEP_1) | instskip(SKIP_1) | instid1(VALU_DEP_2)
	v_fma_f64 v[108:109], v[196:197], v[204:205], -v[108:109]
	v_mul_f64 v[196:197], v[196:197], v[110:111]
	v_add_f64 v[100:101], v[100:101], -v[108:109]
	s_delay_alu instid0(VALU_DEP_2) | instskip(NEXT) | instid1(VALU_DEP_1)
	v_fma_f64 v[196:197], v[198:199], v[204:205], v[196:197]
	v_add_f64 v[102:103], v[102:103], -v[196:197]
	;; [unrolled: 10-line block ×26, first 2 shown]
	ds_load_2addr_b64 v[196:199], v206 offset0:96 offset1:97
	s_waitcnt lgkmcnt(0)
	v_mul_f64 v[108:109], v[198:199], v[110:111]
	s_delay_alu instid0(VALU_DEP_1) | instskip(SKIP_1) | instid1(VALU_DEP_2)
	v_fma_f64 v[108:109], v[196:197], v[204:205], -v[108:109]
	v_mul_f64 v[196:197], v[196:197], v[110:111]
	v_add_f64 v[0:1], v[0:1], -v[108:109]
	s_delay_alu instid0(VALU_DEP_2) | instskip(SKIP_1) | instid1(VALU_DEP_2)
	v_fma_f64 v[196:197], v[198:199], v[204:205], v[196:197]
	v_dual_mov_b32 v108, v204 :: v_dual_mov_b32 v109, v205
	v_add_f64 v[2:3], v[2:3], -v[196:197]
.LBB96_461:
	s_or_b32 exec_lo, exec_lo, s2
	v_lshl_add_u32 v196, v212, 4, v206
	s_barrier
	buffer_gl0_inv
	v_mov_b32_e32 v204, 22
	ds_store_2addr_b64 v196, v[104:105], v[106:107] offset1:1
	s_waitcnt lgkmcnt(0)
	s_barrier
	buffer_gl0_inv
	ds_load_2addr_b64 v[196:199], v206 offset0:44 offset1:45
	s_cmp_lt_i32 s5, 24
	s_cbranch_scc1 .LBB96_464
; %bb.462:
	v_add3_u32 v205, v211, 0, 0x170
	v_mov_b32_e32 v204, 22
	s_mov_b32 s6, 23
	s_set_inst_prefetch_distance 0x1
	.p2align	6
.LBB96_463:                             ; =>This Inner Loop Header: Depth=1
	ds_load_2addr_b64 v[213:216], v205 offset1:1
	s_waitcnt lgkmcnt(1)
	v_cmp_gt_f64_e32 vcc_lo, 0, v[196:197]
	v_xor_b32_e32 v217, 0x80000000, v197
	v_cmp_gt_f64_e64 s2, 0, v[198:199]
	v_xor_b32_e32 v219, 0x80000000, v199
	v_add_nc_u32_e32 v205, 16, v205
	s_waitcnt lgkmcnt(0)
	v_cmp_gt_f64_e64 s3, 0, v[213:214]
	v_mov_b32_e32 v221, v213
	v_dual_mov_b32 v223, v215 :: v_dual_cndmask_b32 v218, v197, v217
	v_xor_b32_e32 v217, 0x80000000, v214
	v_cndmask_b32_e64 v220, v199, v219, s2
	v_xor_b32_e32 v219, 0x80000000, v216
	s_delay_alu instid0(VALU_DEP_3) | instskip(SKIP_2) | instid1(VALU_DEP_2)
	v_cndmask_b32_e64 v222, v214, v217, s3
	v_cmp_gt_f64_e64 s3, 0, v[215:216]
	v_cndmask_b32_e32 v217, v196, v196, vcc_lo
	v_cndmask_b32_e64 v224, v216, v219, s3
	v_cndmask_b32_e64 v219, v198, v198, s2
	s_delay_alu instid0(VALU_DEP_2) | instskip(NEXT) | instid1(VALU_DEP_2)
	v_add_f64 v[221:222], v[221:222], v[223:224]
	v_add_f64 v[217:218], v[217:218], v[219:220]
	s_delay_alu instid0(VALU_DEP_1) | instskip(SKIP_4) | instid1(SALU_CYCLE_1)
	v_cmp_lt_f64_e32 vcc_lo, v[217:218], v[221:222]
	v_dual_cndmask_b32 v198, v198, v215 :: v_dual_cndmask_b32 v197, v197, v214
	v_dual_cndmask_b32 v196, v196, v213 :: v_dual_cndmask_b32 v199, v199, v216
	v_cndmask_b32_e64 v204, v204, s6, vcc_lo
	s_add_i32 s6, s6, 1
	s_cmp_lg_u32 s5, s6
	s_cbranch_scc1 .LBB96_463
.LBB96_464:
	s_set_inst_prefetch_distance 0x2
	s_waitcnt lgkmcnt(0)
	v_cmp_eq_f64_e32 vcc_lo, 0, v[196:197]
	v_cmp_eq_f64_e64 s2, 0, v[198:199]
	s_delay_alu instid0(VALU_DEP_1) | instskip(NEXT) | instid1(SALU_CYCLE_1)
	s_and_b32 s2, vcc_lo, s2
	s_and_saveexec_b32 s3, s2
	s_delay_alu instid0(SALU_CYCLE_1)
	s_xor_b32 s2, exec_lo, s3
; %bb.465:
	v_cmp_ne_u32_e32 vcc_lo, 0, v209
	v_cndmask_b32_e32 v209, 23, v209, vcc_lo
; %bb.466:
	s_and_not1_saveexec_b32 s3, s2
	s_cbranch_execz .LBB96_472
; %bb.467:
	v_cmp_gt_f64_e32 vcc_lo, 0, v[196:197]
	v_cmp_gt_f64_e64 s2, 0, v[198:199]
	v_xor_b32_e32 v205, 0x80000000, v197
	v_xor_b32_e32 v213, 0x80000000, v199
	s_delay_alu instid0(VALU_DEP_2) | instskip(NEXT) | instid1(VALU_DEP_2)
	v_cndmask_b32_e32 v214, v197, v205, vcc_lo
	v_cndmask_b32_e64 v216, v199, v213, s2
	v_cndmask_b32_e32 v213, v196, v196, vcc_lo
	v_cndmask_b32_e64 v215, v198, v198, s2
	s_mov_b32 s2, exec_lo
	s_delay_alu instid0(VALU_DEP_1)
	v_cmpx_ngt_f64_e32 v[213:214], v[215:216]
	s_xor_b32 s2, exec_lo, s2
	s_cbranch_execz .LBB96_469
; %bb.468:
	v_div_scale_f64 v[213:214], null, v[198:199], v[198:199], v[196:197]
	v_div_scale_f64 v[219:220], vcc_lo, v[196:197], v[198:199], v[196:197]
	s_delay_alu instid0(VALU_DEP_2) | instskip(SKIP_2) | instid1(VALU_DEP_1)
	v_rcp_f64_e32 v[215:216], v[213:214]
	s_waitcnt_depctr 0xfff
	v_fma_f64 v[217:218], -v[213:214], v[215:216], 1.0
	v_fma_f64 v[215:216], v[215:216], v[217:218], v[215:216]
	s_delay_alu instid0(VALU_DEP_1) | instskip(NEXT) | instid1(VALU_DEP_1)
	v_fma_f64 v[217:218], -v[213:214], v[215:216], 1.0
	v_fma_f64 v[215:216], v[215:216], v[217:218], v[215:216]
	s_delay_alu instid0(VALU_DEP_1) | instskip(NEXT) | instid1(VALU_DEP_1)
	v_mul_f64 v[217:218], v[219:220], v[215:216]
	v_fma_f64 v[213:214], -v[213:214], v[217:218], v[219:220]
	s_delay_alu instid0(VALU_DEP_1) | instskip(NEXT) | instid1(VALU_DEP_1)
	v_div_fmas_f64 v[213:214], v[213:214], v[215:216], v[217:218]
	v_div_fixup_f64 v[213:214], v[213:214], v[198:199], v[196:197]
	s_delay_alu instid0(VALU_DEP_1) | instskip(NEXT) | instid1(VALU_DEP_1)
	v_fma_f64 v[196:197], v[196:197], v[213:214], v[198:199]
	v_div_scale_f64 v[198:199], null, v[196:197], v[196:197], 1.0
	s_delay_alu instid0(VALU_DEP_1) | instskip(SKIP_2) | instid1(VALU_DEP_1)
	v_rcp_f64_e32 v[215:216], v[198:199]
	s_waitcnt_depctr 0xfff
	v_fma_f64 v[217:218], -v[198:199], v[215:216], 1.0
	v_fma_f64 v[215:216], v[215:216], v[217:218], v[215:216]
	s_delay_alu instid0(VALU_DEP_1) | instskip(NEXT) | instid1(VALU_DEP_1)
	v_fma_f64 v[217:218], -v[198:199], v[215:216], 1.0
	v_fma_f64 v[215:216], v[215:216], v[217:218], v[215:216]
	v_div_scale_f64 v[217:218], vcc_lo, 1.0, v[196:197], 1.0
	s_delay_alu instid0(VALU_DEP_1) | instskip(NEXT) | instid1(VALU_DEP_1)
	v_mul_f64 v[219:220], v[217:218], v[215:216]
	v_fma_f64 v[198:199], -v[198:199], v[219:220], v[217:218]
	s_delay_alu instid0(VALU_DEP_1) | instskip(NEXT) | instid1(VALU_DEP_1)
	v_div_fmas_f64 v[198:199], v[198:199], v[215:216], v[219:220]
	v_div_fixup_f64 v[198:199], v[198:199], v[196:197], 1.0
	s_delay_alu instid0(VALU_DEP_1)
	v_mul_f64 v[196:197], v[213:214], v[198:199]
	v_xor_b32_e32 v199, 0x80000000, v199
.LBB96_469:
	s_and_not1_saveexec_b32 s2, s2
	s_cbranch_execz .LBB96_471
; %bb.470:
	s_delay_alu instid0(VALU_DEP_1) | instskip(SKIP_1) | instid1(VALU_DEP_2)
	v_div_scale_f64 v[213:214], null, v[196:197], v[196:197], v[198:199]
	v_div_scale_f64 v[219:220], vcc_lo, v[198:199], v[196:197], v[198:199]
	v_rcp_f64_e32 v[215:216], v[213:214]
	s_waitcnt_depctr 0xfff
	v_fma_f64 v[217:218], -v[213:214], v[215:216], 1.0
	s_delay_alu instid0(VALU_DEP_1) | instskip(NEXT) | instid1(VALU_DEP_1)
	v_fma_f64 v[215:216], v[215:216], v[217:218], v[215:216]
	v_fma_f64 v[217:218], -v[213:214], v[215:216], 1.0
	s_delay_alu instid0(VALU_DEP_1) | instskip(NEXT) | instid1(VALU_DEP_1)
	v_fma_f64 v[215:216], v[215:216], v[217:218], v[215:216]
	v_mul_f64 v[217:218], v[219:220], v[215:216]
	s_delay_alu instid0(VALU_DEP_1) | instskip(NEXT) | instid1(VALU_DEP_1)
	v_fma_f64 v[213:214], -v[213:214], v[217:218], v[219:220]
	v_div_fmas_f64 v[213:214], v[213:214], v[215:216], v[217:218]
	s_delay_alu instid0(VALU_DEP_1) | instskip(NEXT) | instid1(VALU_DEP_1)
	v_div_fixup_f64 v[213:214], v[213:214], v[196:197], v[198:199]
	v_fma_f64 v[196:197], v[198:199], v[213:214], v[196:197]
	s_delay_alu instid0(VALU_DEP_1) | instskip(NEXT) | instid1(VALU_DEP_1)
	v_div_scale_f64 v[198:199], null, v[196:197], v[196:197], 1.0
	v_rcp_f64_e32 v[215:216], v[198:199]
	s_waitcnt_depctr 0xfff
	v_fma_f64 v[217:218], -v[198:199], v[215:216], 1.0
	s_delay_alu instid0(VALU_DEP_1) | instskip(NEXT) | instid1(VALU_DEP_1)
	v_fma_f64 v[215:216], v[215:216], v[217:218], v[215:216]
	v_fma_f64 v[217:218], -v[198:199], v[215:216], 1.0
	s_delay_alu instid0(VALU_DEP_1) | instskip(SKIP_1) | instid1(VALU_DEP_1)
	v_fma_f64 v[215:216], v[215:216], v[217:218], v[215:216]
	v_div_scale_f64 v[217:218], vcc_lo, 1.0, v[196:197], 1.0
	v_mul_f64 v[219:220], v[217:218], v[215:216]
	s_delay_alu instid0(VALU_DEP_1) | instskip(NEXT) | instid1(VALU_DEP_1)
	v_fma_f64 v[198:199], -v[198:199], v[219:220], v[217:218]
	v_div_fmas_f64 v[198:199], v[198:199], v[215:216], v[219:220]
	s_delay_alu instid0(VALU_DEP_1) | instskip(NEXT) | instid1(VALU_DEP_1)
	v_div_fixup_f64 v[196:197], v[198:199], v[196:197], 1.0
	v_mul_f64 v[198:199], v[213:214], -v[196:197]
.LBB96_471:
	s_or_b32 exec_lo, exec_lo, s2
.LBB96_472:
	s_delay_alu instid0(SALU_CYCLE_1) | instskip(NEXT) | instid1(SALU_CYCLE_1)
	s_or_b32 exec_lo, exec_lo, s3
	s_mov_b32 s2, exec_lo
	v_cmpx_ne_u32_e64 v212, v204
	s_xor_b32 s2, exec_lo, s2
	s_cbranch_execz .LBB96_478
; %bb.473:
	s_mov_b32 s3, exec_lo
	v_cmpx_eq_u32_e32 22, v212
	s_cbranch_execz .LBB96_477
; %bb.474:
	v_cmp_ne_u32_e32 vcc_lo, 22, v204
	s_xor_b32 s6, s4, -1
	s_delay_alu instid0(SALU_CYCLE_1) | instskip(NEXT) | instid1(SALU_CYCLE_1)
	s_and_b32 s7, s6, vcc_lo
	s_and_saveexec_b32 s6, s7
	s_cbranch_execz .LBB96_476
; %bb.475:
	v_ashrrev_i32_e32 v205, 31, v204
	s_delay_alu instid0(VALU_DEP_1) | instskip(NEXT) | instid1(VALU_DEP_1)
	v_lshlrev_b64 v[212:213], 2, v[204:205]
	v_add_co_u32 v212, vcc_lo, v202, v212
	s_delay_alu instid0(VALU_DEP_2)
	v_add_co_ci_u32_e32 v213, vcc_lo, v203, v213, vcc_lo
	s_clause 0x1
	flat_load_b32 v205, v[212:213]
	flat_load_b32 v210, v[202:203] offset:88
	s_waitcnt vmcnt(1) lgkmcnt(1)
	flat_store_b32 v[202:203], v205 offset:88
	s_waitcnt vmcnt(0) lgkmcnt(1)
	flat_store_b32 v[212:213], v210
.LBB96_476:
	s_or_b32 exec_lo, exec_lo, s6
	v_mov_b32_e32 v212, v204
	v_mov_b32_e32 v210, v204
.LBB96_477:
	s_or_b32 exec_lo, exec_lo, s3
.LBB96_478:
	s_and_not1_saveexec_b32 s2, s2
	s_cbranch_execz .LBB96_480
; %bb.479:
	v_mov_b32_e32 v212, 22
	ds_store_2addr_b64 v206, v[100:101], v[102:103] offset0:46 offset1:47
	ds_store_2addr_b64 v206, v[96:97], v[98:99] offset0:48 offset1:49
	;; [unrolled: 1-line block ×26, first 2 shown]
.LBB96_480:
	s_or_b32 exec_lo, exec_lo, s2
	s_delay_alu instid0(SALU_CYCLE_1)
	s_mov_b32 s2, exec_lo
	s_waitcnt lgkmcnt(0)
	s_waitcnt_vscnt null, 0x0
	s_barrier
	buffer_gl0_inv
	v_cmpx_lt_i32_e32 22, v212
	s_cbranch_execz .LBB96_482
; %bb.481:
	v_mul_f64 v[204:205], v[198:199], v[106:107]
	v_mul_f64 v[106:107], v[196:197], v[106:107]
	s_delay_alu instid0(VALU_DEP_2) | instskip(NEXT) | instid1(VALU_DEP_2)
	v_fma_f64 v[204:205], v[196:197], v[104:105], -v[204:205]
	v_fma_f64 v[106:107], v[198:199], v[104:105], v[106:107]
	ds_load_2addr_b64 v[196:199], v206 offset0:46 offset1:47
	s_waitcnt lgkmcnt(0)
	v_mul_f64 v[104:105], v[198:199], v[106:107]
	s_delay_alu instid0(VALU_DEP_1) | instskip(SKIP_1) | instid1(VALU_DEP_2)
	v_fma_f64 v[104:105], v[196:197], v[204:205], -v[104:105]
	v_mul_f64 v[196:197], v[196:197], v[106:107]
	v_add_f64 v[100:101], v[100:101], -v[104:105]
	s_delay_alu instid0(VALU_DEP_2) | instskip(NEXT) | instid1(VALU_DEP_1)
	v_fma_f64 v[196:197], v[198:199], v[204:205], v[196:197]
	v_add_f64 v[102:103], v[102:103], -v[196:197]
	ds_load_2addr_b64 v[196:199], v206 offset0:48 offset1:49
	s_waitcnt lgkmcnt(0)
	v_mul_f64 v[104:105], v[198:199], v[106:107]
	s_delay_alu instid0(VALU_DEP_1) | instskip(SKIP_1) | instid1(VALU_DEP_2)
	v_fma_f64 v[104:105], v[196:197], v[204:205], -v[104:105]
	v_mul_f64 v[196:197], v[196:197], v[106:107]
	v_add_f64 v[96:97], v[96:97], -v[104:105]
	s_delay_alu instid0(VALU_DEP_2) | instskip(NEXT) | instid1(VALU_DEP_1)
	v_fma_f64 v[196:197], v[198:199], v[204:205], v[196:197]
	v_add_f64 v[98:99], v[98:99], -v[196:197]
	ds_load_2addr_b64 v[196:199], v206 offset0:50 offset1:51
	s_waitcnt lgkmcnt(0)
	v_mul_f64 v[104:105], v[198:199], v[106:107]
	s_delay_alu instid0(VALU_DEP_1) | instskip(SKIP_1) | instid1(VALU_DEP_2)
	v_fma_f64 v[104:105], v[196:197], v[204:205], -v[104:105]
	v_mul_f64 v[196:197], v[196:197], v[106:107]
	v_add_f64 v[92:93], v[92:93], -v[104:105]
	s_delay_alu instid0(VALU_DEP_2) | instskip(NEXT) | instid1(VALU_DEP_1)
	v_fma_f64 v[196:197], v[198:199], v[204:205], v[196:197]
	v_add_f64 v[94:95], v[94:95], -v[196:197]
	ds_load_2addr_b64 v[196:199], v206 offset0:52 offset1:53
	s_waitcnt lgkmcnt(0)
	v_mul_f64 v[104:105], v[198:199], v[106:107]
	s_delay_alu instid0(VALU_DEP_1) | instskip(SKIP_1) | instid1(VALU_DEP_2)
	v_fma_f64 v[104:105], v[196:197], v[204:205], -v[104:105]
	v_mul_f64 v[196:197], v[196:197], v[106:107]
	v_add_f64 v[88:89], v[88:89], -v[104:105]
	s_delay_alu instid0(VALU_DEP_2) | instskip(NEXT) | instid1(VALU_DEP_1)
	v_fma_f64 v[196:197], v[198:199], v[204:205], v[196:197]
	v_add_f64 v[90:91], v[90:91], -v[196:197]
	ds_load_2addr_b64 v[196:199], v206 offset0:54 offset1:55
	s_waitcnt lgkmcnt(0)
	v_mul_f64 v[104:105], v[198:199], v[106:107]
	s_delay_alu instid0(VALU_DEP_1) | instskip(SKIP_1) | instid1(VALU_DEP_2)
	v_fma_f64 v[104:105], v[196:197], v[204:205], -v[104:105]
	v_mul_f64 v[196:197], v[196:197], v[106:107]
	v_add_f64 v[84:85], v[84:85], -v[104:105]
	s_delay_alu instid0(VALU_DEP_2) | instskip(NEXT) | instid1(VALU_DEP_1)
	v_fma_f64 v[196:197], v[198:199], v[204:205], v[196:197]
	v_add_f64 v[86:87], v[86:87], -v[196:197]
	ds_load_2addr_b64 v[196:199], v206 offset0:56 offset1:57
	s_waitcnt lgkmcnt(0)
	v_mul_f64 v[104:105], v[198:199], v[106:107]
	s_delay_alu instid0(VALU_DEP_1) | instskip(SKIP_1) | instid1(VALU_DEP_2)
	v_fma_f64 v[104:105], v[196:197], v[204:205], -v[104:105]
	v_mul_f64 v[196:197], v[196:197], v[106:107]
	v_add_f64 v[80:81], v[80:81], -v[104:105]
	s_delay_alu instid0(VALU_DEP_2) | instskip(NEXT) | instid1(VALU_DEP_1)
	v_fma_f64 v[196:197], v[198:199], v[204:205], v[196:197]
	v_add_f64 v[82:83], v[82:83], -v[196:197]
	ds_load_2addr_b64 v[196:199], v206 offset0:58 offset1:59
	s_waitcnt lgkmcnt(0)
	v_mul_f64 v[104:105], v[198:199], v[106:107]
	s_delay_alu instid0(VALU_DEP_1) | instskip(SKIP_1) | instid1(VALU_DEP_2)
	v_fma_f64 v[104:105], v[196:197], v[204:205], -v[104:105]
	v_mul_f64 v[196:197], v[196:197], v[106:107]
	v_add_f64 v[76:77], v[76:77], -v[104:105]
	s_delay_alu instid0(VALU_DEP_2) | instskip(NEXT) | instid1(VALU_DEP_1)
	v_fma_f64 v[196:197], v[198:199], v[204:205], v[196:197]
	v_add_f64 v[78:79], v[78:79], -v[196:197]
	ds_load_2addr_b64 v[196:199], v206 offset0:60 offset1:61
	s_waitcnt lgkmcnt(0)
	v_mul_f64 v[104:105], v[198:199], v[106:107]
	s_delay_alu instid0(VALU_DEP_1) | instskip(SKIP_1) | instid1(VALU_DEP_2)
	v_fma_f64 v[104:105], v[196:197], v[204:205], -v[104:105]
	v_mul_f64 v[196:197], v[196:197], v[106:107]
	v_add_f64 v[72:73], v[72:73], -v[104:105]
	s_delay_alu instid0(VALU_DEP_2) | instskip(NEXT) | instid1(VALU_DEP_1)
	v_fma_f64 v[196:197], v[198:199], v[204:205], v[196:197]
	v_add_f64 v[74:75], v[74:75], -v[196:197]
	ds_load_2addr_b64 v[196:199], v206 offset0:62 offset1:63
	s_waitcnt lgkmcnt(0)
	v_mul_f64 v[104:105], v[198:199], v[106:107]
	s_delay_alu instid0(VALU_DEP_1) | instskip(SKIP_1) | instid1(VALU_DEP_2)
	v_fma_f64 v[104:105], v[196:197], v[204:205], -v[104:105]
	v_mul_f64 v[196:197], v[196:197], v[106:107]
	v_add_f64 v[68:69], v[68:69], -v[104:105]
	s_delay_alu instid0(VALU_DEP_2) | instskip(NEXT) | instid1(VALU_DEP_1)
	v_fma_f64 v[196:197], v[198:199], v[204:205], v[196:197]
	v_add_f64 v[70:71], v[70:71], -v[196:197]
	ds_load_2addr_b64 v[196:199], v206 offset0:64 offset1:65
	s_waitcnt lgkmcnt(0)
	v_mul_f64 v[104:105], v[198:199], v[106:107]
	s_delay_alu instid0(VALU_DEP_1) | instskip(SKIP_1) | instid1(VALU_DEP_2)
	v_fma_f64 v[104:105], v[196:197], v[204:205], -v[104:105]
	v_mul_f64 v[196:197], v[196:197], v[106:107]
	v_add_f64 v[64:65], v[64:65], -v[104:105]
	s_delay_alu instid0(VALU_DEP_2) | instskip(NEXT) | instid1(VALU_DEP_1)
	v_fma_f64 v[196:197], v[198:199], v[204:205], v[196:197]
	v_add_f64 v[66:67], v[66:67], -v[196:197]
	ds_load_2addr_b64 v[196:199], v206 offset0:66 offset1:67
	s_waitcnt lgkmcnt(0)
	v_mul_f64 v[104:105], v[198:199], v[106:107]
	s_delay_alu instid0(VALU_DEP_1) | instskip(SKIP_1) | instid1(VALU_DEP_2)
	v_fma_f64 v[104:105], v[196:197], v[204:205], -v[104:105]
	v_mul_f64 v[196:197], v[196:197], v[106:107]
	v_add_f64 v[60:61], v[60:61], -v[104:105]
	s_delay_alu instid0(VALU_DEP_2) | instskip(NEXT) | instid1(VALU_DEP_1)
	v_fma_f64 v[196:197], v[198:199], v[204:205], v[196:197]
	v_add_f64 v[62:63], v[62:63], -v[196:197]
	ds_load_2addr_b64 v[196:199], v206 offset0:68 offset1:69
	s_waitcnt lgkmcnt(0)
	v_mul_f64 v[104:105], v[198:199], v[106:107]
	s_delay_alu instid0(VALU_DEP_1) | instskip(SKIP_1) | instid1(VALU_DEP_2)
	v_fma_f64 v[104:105], v[196:197], v[204:205], -v[104:105]
	v_mul_f64 v[196:197], v[196:197], v[106:107]
	v_add_f64 v[56:57], v[56:57], -v[104:105]
	s_delay_alu instid0(VALU_DEP_2) | instskip(NEXT) | instid1(VALU_DEP_1)
	v_fma_f64 v[196:197], v[198:199], v[204:205], v[196:197]
	v_add_f64 v[58:59], v[58:59], -v[196:197]
	ds_load_2addr_b64 v[196:199], v206 offset0:70 offset1:71
	s_waitcnt lgkmcnt(0)
	v_mul_f64 v[104:105], v[198:199], v[106:107]
	s_delay_alu instid0(VALU_DEP_1) | instskip(SKIP_1) | instid1(VALU_DEP_2)
	v_fma_f64 v[104:105], v[196:197], v[204:205], -v[104:105]
	v_mul_f64 v[196:197], v[196:197], v[106:107]
	v_add_f64 v[52:53], v[52:53], -v[104:105]
	s_delay_alu instid0(VALU_DEP_2) | instskip(NEXT) | instid1(VALU_DEP_1)
	v_fma_f64 v[196:197], v[198:199], v[204:205], v[196:197]
	v_add_f64 v[54:55], v[54:55], -v[196:197]
	ds_load_2addr_b64 v[196:199], v206 offset0:72 offset1:73
	s_waitcnt lgkmcnt(0)
	v_mul_f64 v[104:105], v[198:199], v[106:107]
	s_delay_alu instid0(VALU_DEP_1) | instskip(SKIP_1) | instid1(VALU_DEP_2)
	v_fma_f64 v[104:105], v[196:197], v[204:205], -v[104:105]
	v_mul_f64 v[196:197], v[196:197], v[106:107]
	v_add_f64 v[48:49], v[48:49], -v[104:105]
	s_delay_alu instid0(VALU_DEP_2) | instskip(NEXT) | instid1(VALU_DEP_1)
	v_fma_f64 v[196:197], v[198:199], v[204:205], v[196:197]
	v_add_f64 v[50:51], v[50:51], -v[196:197]
	ds_load_2addr_b64 v[196:199], v206 offset0:74 offset1:75
	s_waitcnt lgkmcnt(0)
	v_mul_f64 v[104:105], v[198:199], v[106:107]
	s_delay_alu instid0(VALU_DEP_1) | instskip(SKIP_1) | instid1(VALU_DEP_2)
	v_fma_f64 v[104:105], v[196:197], v[204:205], -v[104:105]
	v_mul_f64 v[196:197], v[196:197], v[106:107]
	v_add_f64 v[44:45], v[44:45], -v[104:105]
	s_delay_alu instid0(VALU_DEP_2) | instskip(NEXT) | instid1(VALU_DEP_1)
	v_fma_f64 v[196:197], v[198:199], v[204:205], v[196:197]
	v_add_f64 v[46:47], v[46:47], -v[196:197]
	ds_load_2addr_b64 v[196:199], v206 offset0:76 offset1:77
	s_waitcnt lgkmcnt(0)
	v_mul_f64 v[104:105], v[198:199], v[106:107]
	s_delay_alu instid0(VALU_DEP_1) | instskip(SKIP_1) | instid1(VALU_DEP_2)
	v_fma_f64 v[104:105], v[196:197], v[204:205], -v[104:105]
	v_mul_f64 v[196:197], v[196:197], v[106:107]
	v_add_f64 v[40:41], v[40:41], -v[104:105]
	s_delay_alu instid0(VALU_DEP_2) | instskip(NEXT) | instid1(VALU_DEP_1)
	v_fma_f64 v[196:197], v[198:199], v[204:205], v[196:197]
	v_add_f64 v[42:43], v[42:43], -v[196:197]
	ds_load_2addr_b64 v[196:199], v206 offset0:78 offset1:79
	s_waitcnt lgkmcnt(0)
	v_mul_f64 v[104:105], v[198:199], v[106:107]
	s_delay_alu instid0(VALU_DEP_1) | instskip(SKIP_1) | instid1(VALU_DEP_2)
	v_fma_f64 v[104:105], v[196:197], v[204:205], -v[104:105]
	v_mul_f64 v[196:197], v[196:197], v[106:107]
	v_add_f64 v[36:37], v[36:37], -v[104:105]
	s_delay_alu instid0(VALU_DEP_2) | instskip(NEXT) | instid1(VALU_DEP_1)
	v_fma_f64 v[196:197], v[198:199], v[204:205], v[196:197]
	v_add_f64 v[38:39], v[38:39], -v[196:197]
	ds_load_2addr_b64 v[196:199], v206 offset0:80 offset1:81
	s_waitcnt lgkmcnt(0)
	v_mul_f64 v[104:105], v[198:199], v[106:107]
	s_delay_alu instid0(VALU_DEP_1) | instskip(SKIP_1) | instid1(VALU_DEP_2)
	v_fma_f64 v[104:105], v[196:197], v[204:205], -v[104:105]
	v_mul_f64 v[196:197], v[196:197], v[106:107]
	v_add_f64 v[32:33], v[32:33], -v[104:105]
	s_delay_alu instid0(VALU_DEP_2) | instskip(NEXT) | instid1(VALU_DEP_1)
	v_fma_f64 v[196:197], v[198:199], v[204:205], v[196:197]
	v_add_f64 v[34:35], v[34:35], -v[196:197]
	ds_load_2addr_b64 v[196:199], v206 offset0:82 offset1:83
	s_waitcnt lgkmcnt(0)
	v_mul_f64 v[104:105], v[198:199], v[106:107]
	s_delay_alu instid0(VALU_DEP_1) | instskip(SKIP_1) | instid1(VALU_DEP_2)
	v_fma_f64 v[104:105], v[196:197], v[204:205], -v[104:105]
	v_mul_f64 v[196:197], v[196:197], v[106:107]
	v_add_f64 v[28:29], v[28:29], -v[104:105]
	s_delay_alu instid0(VALU_DEP_2) | instskip(NEXT) | instid1(VALU_DEP_1)
	v_fma_f64 v[196:197], v[198:199], v[204:205], v[196:197]
	v_add_f64 v[30:31], v[30:31], -v[196:197]
	ds_load_2addr_b64 v[196:199], v206 offset0:84 offset1:85
	s_waitcnt lgkmcnt(0)
	v_mul_f64 v[104:105], v[198:199], v[106:107]
	s_delay_alu instid0(VALU_DEP_1) | instskip(SKIP_1) | instid1(VALU_DEP_2)
	v_fma_f64 v[104:105], v[196:197], v[204:205], -v[104:105]
	v_mul_f64 v[196:197], v[196:197], v[106:107]
	v_add_f64 v[24:25], v[24:25], -v[104:105]
	s_delay_alu instid0(VALU_DEP_2) | instskip(NEXT) | instid1(VALU_DEP_1)
	v_fma_f64 v[196:197], v[198:199], v[204:205], v[196:197]
	v_add_f64 v[26:27], v[26:27], -v[196:197]
	ds_load_2addr_b64 v[196:199], v206 offset0:86 offset1:87
	s_waitcnt lgkmcnt(0)
	v_mul_f64 v[104:105], v[198:199], v[106:107]
	s_delay_alu instid0(VALU_DEP_1) | instskip(SKIP_1) | instid1(VALU_DEP_2)
	v_fma_f64 v[104:105], v[196:197], v[204:205], -v[104:105]
	v_mul_f64 v[196:197], v[196:197], v[106:107]
	v_add_f64 v[20:21], v[20:21], -v[104:105]
	s_delay_alu instid0(VALU_DEP_2) | instskip(NEXT) | instid1(VALU_DEP_1)
	v_fma_f64 v[196:197], v[198:199], v[204:205], v[196:197]
	v_add_f64 v[22:23], v[22:23], -v[196:197]
	ds_load_2addr_b64 v[196:199], v206 offset0:88 offset1:89
	s_waitcnt lgkmcnt(0)
	v_mul_f64 v[104:105], v[198:199], v[106:107]
	s_delay_alu instid0(VALU_DEP_1) | instskip(SKIP_1) | instid1(VALU_DEP_2)
	v_fma_f64 v[104:105], v[196:197], v[204:205], -v[104:105]
	v_mul_f64 v[196:197], v[196:197], v[106:107]
	v_add_f64 v[16:17], v[16:17], -v[104:105]
	s_delay_alu instid0(VALU_DEP_2) | instskip(NEXT) | instid1(VALU_DEP_1)
	v_fma_f64 v[196:197], v[198:199], v[204:205], v[196:197]
	v_add_f64 v[18:19], v[18:19], -v[196:197]
	ds_load_2addr_b64 v[196:199], v206 offset0:90 offset1:91
	s_waitcnt lgkmcnt(0)
	v_mul_f64 v[104:105], v[198:199], v[106:107]
	s_delay_alu instid0(VALU_DEP_1) | instskip(SKIP_1) | instid1(VALU_DEP_2)
	v_fma_f64 v[104:105], v[196:197], v[204:205], -v[104:105]
	v_mul_f64 v[196:197], v[196:197], v[106:107]
	v_add_f64 v[12:13], v[12:13], -v[104:105]
	s_delay_alu instid0(VALU_DEP_2) | instskip(NEXT) | instid1(VALU_DEP_1)
	v_fma_f64 v[196:197], v[198:199], v[204:205], v[196:197]
	v_add_f64 v[14:15], v[14:15], -v[196:197]
	ds_load_2addr_b64 v[196:199], v206 offset0:92 offset1:93
	s_waitcnt lgkmcnt(0)
	v_mul_f64 v[104:105], v[198:199], v[106:107]
	s_delay_alu instid0(VALU_DEP_1) | instskip(SKIP_1) | instid1(VALU_DEP_2)
	v_fma_f64 v[104:105], v[196:197], v[204:205], -v[104:105]
	v_mul_f64 v[196:197], v[196:197], v[106:107]
	v_add_f64 v[8:9], v[8:9], -v[104:105]
	s_delay_alu instid0(VALU_DEP_2) | instskip(NEXT) | instid1(VALU_DEP_1)
	v_fma_f64 v[196:197], v[198:199], v[204:205], v[196:197]
	v_add_f64 v[10:11], v[10:11], -v[196:197]
	ds_load_2addr_b64 v[196:199], v206 offset0:94 offset1:95
	s_waitcnt lgkmcnt(0)
	v_mul_f64 v[104:105], v[198:199], v[106:107]
	s_delay_alu instid0(VALU_DEP_1) | instskip(SKIP_1) | instid1(VALU_DEP_2)
	v_fma_f64 v[104:105], v[196:197], v[204:205], -v[104:105]
	v_mul_f64 v[196:197], v[196:197], v[106:107]
	v_add_f64 v[4:5], v[4:5], -v[104:105]
	s_delay_alu instid0(VALU_DEP_2) | instskip(NEXT) | instid1(VALU_DEP_1)
	v_fma_f64 v[196:197], v[198:199], v[204:205], v[196:197]
	v_add_f64 v[6:7], v[6:7], -v[196:197]
	ds_load_2addr_b64 v[196:199], v206 offset0:96 offset1:97
	s_waitcnt lgkmcnt(0)
	v_mul_f64 v[104:105], v[198:199], v[106:107]
	s_delay_alu instid0(VALU_DEP_1) | instskip(SKIP_1) | instid1(VALU_DEP_2)
	v_fma_f64 v[104:105], v[196:197], v[204:205], -v[104:105]
	v_mul_f64 v[196:197], v[196:197], v[106:107]
	v_add_f64 v[0:1], v[0:1], -v[104:105]
	s_delay_alu instid0(VALU_DEP_2) | instskip(SKIP_1) | instid1(VALU_DEP_2)
	v_fma_f64 v[196:197], v[198:199], v[204:205], v[196:197]
	v_dual_mov_b32 v104, v204 :: v_dual_mov_b32 v105, v205
	v_add_f64 v[2:3], v[2:3], -v[196:197]
.LBB96_482:
	s_or_b32 exec_lo, exec_lo, s2
	v_lshl_add_u32 v196, v212, 4, v206
	s_barrier
	buffer_gl0_inv
	v_mov_b32_e32 v204, 23
	ds_store_2addr_b64 v196, v[100:101], v[102:103] offset1:1
	s_waitcnt lgkmcnt(0)
	s_barrier
	buffer_gl0_inv
	ds_load_2addr_b64 v[196:199], v206 offset0:46 offset1:47
	s_cmp_lt_i32 s5, 25
	s_cbranch_scc1 .LBB96_485
; %bb.483:
	v_add3_u32 v205, v211, 0, 0x180
	v_mov_b32_e32 v204, 23
	s_mov_b32 s6, 24
	s_set_inst_prefetch_distance 0x1
	.p2align	6
.LBB96_484:                             ; =>This Inner Loop Header: Depth=1
	ds_load_2addr_b64 v[213:216], v205 offset1:1
	s_waitcnt lgkmcnt(1)
	v_cmp_gt_f64_e32 vcc_lo, 0, v[196:197]
	v_xor_b32_e32 v217, 0x80000000, v197
	v_cmp_gt_f64_e64 s2, 0, v[198:199]
	v_xor_b32_e32 v219, 0x80000000, v199
	v_add_nc_u32_e32 v205, 16, v205
	s_waitcnt lgkmcnt(0)
	v_cmp_gt_f64_e64 s3, 0, v[213:214]
	v_mov_b32_e32 v221, v213
	v_dual_mov_b32 v223, v215 :: v_dual_cndmask_b32 v218, v197, v217
	v_xor_b32_e32 v217, 0x80000000, v214
	v_cndmask_b32_e64 v220, v199, v219, s2
	v_xor_b32_e32 v219, 0x80000000, v216
	s_delay_alu instid0(VALU_DEP_3) | instskip(SKIP_2) | instid1(VALU_DEP_2)
	v_cndmask_b32_e64 v222, v214, v217, s3
	v_cmp_gt_f64_e64 s3, 0, v[215:216]
	v_cndmask_b32_e32 v217, v196, v196, vcc_lo
	v_cndmask_b32_e64 v224, v216, v219, s3
	v_cndmask_b32_e64 v219, v198, v198, s2
	s_delay_alu instid0(VALU_DEP_2) | instskip(NEXT) | instid1(VALU_DEP_2)
	v_add_f64 v[221:222], v[221:222], v[223:224]
	v_add_f64 v[217:218], v[217:218], v[219:220]
	s_delay_alu instid0(VALU_DEP_1) | instskip(SKIP_4) | instid1(SALU_CYCLE_1)
	v_cmp_lt_f64_e32 vcc_lo, v[217:218], v[221:222]
	v_dual_cndmask_b32 v198, v198, v215 :: v_dual_cndmask_b32 v197, v197, v214
	v_dual_cndmask_b32 v196, v196, v213 :: v_dual_cndmask_b32 v199, v199, v216
	v_cndmask_b32_e64 v204, v204, s6, vcc_lo
	s_add_i32 s6, s6, 1
	s_cmp_lg_u32 s5, s6
	s_cbranch_scc1 .LBB96_484
.LBB96_485:
	s_set_inst_prefetch_distance 0x2
	s_waitcnt lgkmcnt(0)
	v_cmp_eq_f64_e32 vcc_lo, 0, v[196:197]
	v_cmp_eq_f64_e64 s2, 0, v[198:199]
	s_delay_alu instid0(VALU_DEP_1) | instskip(NEXT) | instid1(SALU_CYCLE_1)
	s_and_b32 s2, vcc_lo, s2
	s_and_saveexec_b32 s3, s2
	s_delay_alu instid0(SALU_CYCLE_1)
	s_xor_b32 s2, exec_lo, s3
; %bb.486:
	v_cmp_ne_u32_e32 vcc_lo, 0, v209
	v_cndmask_b32_e32 v209, 24, v209, vcc_lo
; %bb.487:
	s_and_not1_saveexec_b32 s3, s2
	s_cbranch_execz .LBB96_493
; %bb.488:
	v_cmp_gt_f64_e32 vcc_lo, 0, v[196:197]
	v_cmp_gt_f64_e64 s2, 0, v[198:199]
	v_xor_b32_e32 v205, 0x80000000, v197
	v_xor_b32_e32 v213, 0x80000000, v199
	s_delay_alu instid0(VALU_DEP_2) | instskip(NEXT) | instid1(VALU_DEP_2)
	v_cndmask_b32_e32 v214, v197, v205, vcc_lo
	v_cndmask_b32_e64 v216, v199, v213, s2
	v_cndmask_b32_e32 v213, v196, v196, vcc_lo
	v_cndmask_b32_e64 v215, v198, v198, s2
	s_mov_b32 s2, exec_lo
	s_delay_alu instid0(VALU_DEP_1)
	v_cmpx_ngt_f64_e32 v[213:214], v[215:216]
	s_xor_b32 s2, exec_lo, s2
	s_cbranch_execz .LBB96_490
; %bb.489:
	v_div_scale_f64 v[213:214], null, v[198:199], v[198:199], v[196:197]
	v_div_scale_f64 v[219:220], vcc_lo, v[196:197], v[198:199], v[196:197]
	s_delay_alu instid0(VALU_DEP_2) | instskip(SKIP_2) | instid1(VALU_DEP_1)
	v_rcp_f64_e32 v[215:216], v[213:214]
	s_waitcnt_depctr 0xfff
	v_fma_f64 v[217:218], -v[213:214], v[215:216], 1.0
	v_fma_f64 v[215:216], v[215:216], v[217:218], v[215:216]
	s_delay_alu instid0(VALU_DEP_1) | instskip(NEXT) | instid1(VALU_DEP_1)
	v_fma_f64 v[217:218], -v[213:214], v[215:216], 1.0
	v_fma_f64 v[215:216], v[215:216], v[217:218], v[215:216]
	s_delay_alu instid0(VALU_DEP_1) | instskip(NEXT) | instid1(VALU_DEP_1)
	v_mul_f64 v[217:218], v[219:220], v[215:216]
	v_fma_f64 v[213:214], -v[213:214], v[217:218], v[219:220]
	s_delay_alu instid0(VALU_DEP_1) | instskip(NEXT) | instid1(VALU_DEP_1)
	v_div_fmas_f64 v[213:214], v[213:214], v[215:216], v[217:218]
	v_div_fixup_f64 v[213:214], v[213:214], v[198:199], v[196:197]
	s_delay_alu instid0(VALU_DEP_1) | instskip(NEXT) | instid1(VALU_DEP_1)
	v_fma_f64 v[196:197], v[196:197], v[213:214], v[198:199]
	v_div_scale_f64 v[198:199], null, v[196:197], v[196:197], 1.0
	s_delay_alu instid0(VALU_DEP_1) | instskip(SKIP_2) | instid1(VALU_DEP_1)
	v_rcp_f64_e32 v[215:216], v[198:199]
	s_waitcnt_depctr 0xfff
	v_fma_f64 v[217:218], -v[198:199], v[215:216], 1.0
	v_fma_f64 v[215:216], v[215:216], v[217:218], v[215:216]
	s_delay_alu instid0(VALU_DEP_1) | instskip(NEXT) | instid1(VALU_DEP_1)
	v_fma_f64 v[217:218], -v[198:199], v[215:216], 1.0
	v_fma_f64 v[215:216], v[215:216], v[217:218], v[215:216]
	v_div_scale_f64 v[217:218], vcc_lo, 1.0, v[196:197], 1.0
	s_delay_alu instid0(VALU_DEP_1) | instskip(NEXT) | instid1(VALU_DEP_1)
	v_mul_f64 v[219:220], v[217:218], v[215:216]
	v_fma_f64 v[198:199], -v[198:199], v[219:220], v[217:218]
	s_delay_alu instid0(VALU_DEP_1) | instskip(NEXT) | instid1(VALU_DEP_1)
	v_div_fmas_f64 v[198:199], v[198:199], v[215:216], v[219:220]
	v_div_fixup_f64 v[198:199], v[198:199], v[196:197], 1.0
	s_delay_alu instid0(VALU_DEP_1)
	v_mul_f64 v[196:197], v[213:214], v[198:199]
	v_xor_b32_e32 v199, 0x80000000, v199
.LBB96_490:
	s_and_not1_saveexec_b32 s2, s2
	s_cbranch_execz .LBB96_492
; %bb.491:
	s_delay_alu instid0(VALU_DEP_1) | instskip(SKIP_1) | instid1(VALU_DEP_2)
	v_div_scale_f64 v[213:214], null, v[196:197], v[196:197], v[198:199]
	v_div_scale_f64 v[219:220], vcc_lo, v[198:199], v[196:197], v[198:199]
	v_rcp_f64_e32 v[215:216], v[213:214]
	s_waitcnt_depctr 0xfff
	v_fma_f64 v[217:218], -v[213:214], v[215:216], 1.0
	s_delay_alu instid0(VALU_DEP_1) | instskip(NEXT) | instid1(VALU_DEP_1)
	v_fma_f64 v[215:216], v[215:216], v[217:218], v[215:216]
	v_fma_f64 v[217:218], -v[213:214], v[215:216], 1.0
	s_delay_alu instid0(VALU_DEP_1) | instskip(NEXT) | instid1(VALU_DEP_1)
	v_fma_f64 v[215:216], v[215:216], v[217:218], v[215:216]
	v_mul_f64 v[217:218], v[219:220], v[215:216]
	s_delay_alu instid0(VALU_DEP_1) | instskip(NEXT) | instid1(VALU_DEP_1)
	v_fma_f64 v[213:214], -v[213:214], v[217:218], v[219:220]
	v_div_fmas_f64 v[213:214], v[213:214], v[215:216], v[217:218]
	s_delay_alu instid0(VALU_DEP_1) | instskip(NEXT) | instid1(VALU_DEP_1)
	v_div_fixup_f64 v[213:214], v[213:214], v[196:197], v[198:199]
	v_fma_f64 v[196:197], v[198:199], v[213:214], v[196:197]
	s_delay_alu instid0(VALU_DEP_1) | instskip(NEXT) | instid1(VALU_DEP_1)
	v_div_scale_f64 v[198:199], null, v[196:197], v[196:197], 1.0
	v_rcp_f64_e32 v[215:216], v[198:199]
	s_waitcnt_depctr 0xfff
	v_fma_f64 v[217:218], -v[198:199], v[215:216], 1.0
	s_delay_alu instid0(VALU_DEP_1) | instskip(NEXT) | instid1(VALU_DEP_1)
	v_fma_f64 v[215:216], v[215:216], v[217:218], v[215:216]
	v_fma_f64 v[217:218], -v[198:199], v[215:216], 1.0
	s_delay_alu instid0(VALU_DEP_1) | instskip(SKIP_1) | instid1(VALU_DEP_1)
	v_fma_f64 v[215:216], v[215:216], v[217:218], v[215:216]
	v_div_scale_f64 v[217:218], vcc_lo, 1.0, v[196:197], 1.0
	v_mul_f64 v[219:220], v[217:218], v[215:216]
	s_delay_alu instid0(VALU_DEP_1) | instskip(NEXT) | instid1(VALU_DEP_1)
	v_fma_f64 v[198:199], -v[198:199], v[219:220], v[217:218]
	v_div_fmas_f64 v[198:199], v[198:199], v[215:216], v[219:220]
	s_delay_alu instid0(VALU_DEP_1) | instskip(NEXT) | instid1(VALU_DEP_1)
	v_div_fixup_f64 v[196:197], v[198:199], v[196:197], 1.0
	v_mul_f64 v[198:199], v[213:214], -v[196:197]
.LBB96_492:
	s_or_b32 exec_lo, exec_lo, s2
.LBB96_493:
	s_delay_alu instid0(SALU_CYCLE_1) | instskip(NEXT) | instid1(SALU_CYCLE_1)
	s_or_b32 exec_lo, exec_lo, s3
	s_mov_b32 s2, exec_lo
	v_cmpx_ne_u32_e64 v212, v204
	s_xor_b32 s2, exec_lo, s2
	s_cbranch_execz .LBB96_499
; %bb.494:
	s_mov_b32 s3, exec_lo
	v_cmpx_eq_u32_e32 23, v212
	s_cbranch_execz .LBB96_498
; %bb.495:
	v_cmp_ne_u32_e32 vcc_lo, 23, v204
	s_xor_b32 s6, s4, -1
	s_delay_alu instid0(SALU_CYCLE_1) | instskip(NEXT) | instid1(SALU_CYCLE_1)
	s_and_b32 s7, s6, vcc_lo
	s_and_saveexec_b32 s6, s7
	s_cbranch_execz .LBB96_497
; %bb.496:
	v_ashrrev_i32_e32 v205, 31, v204
	s_delay_alu instid0(VALU_DEP_1) | instskip(NEXT) | instid1(VALU_DEP_1)
	v_lshlrev_b64 v[212:213], 2, v[204:205]
	v_add_co_u32 v212, vcc_lo, v202, v212
	s_delay_alu instid0(VALU_DEP_2)
	v_add_co_ci_u32_e32 v213, vcc_lo, v203, v213, vcc_lo
	s_clause 0x1
	flat_load_b32 v205, v[212:213]
	flat_load_b32 v210, v[202:203] offset:92
	s_waitcnt vmcnt(1) lgkmcnt(1)
	flat_store_b32 v[202:203], v205 offset:92
	s_waitcnt vmcnt(0) lgkmcnt(1)
	flat_store_b32 v[212:213], v210
.LBB96_497:
	s_or_b32 exec_lo, exec_lo, s6
	v_mov_b32_e32 v212, v204
	v_mov_b32_e32 v210, v204
.LBB96_498:
	s_or_b32 exec_lo, exec_lo, s3
.LBB96_499:
	s_and_not1_saveexec_b32 s2, s2
	s_cbranch_execz .LBB96_501
; %bb.500:
	v_mov_b32_e32 v212, 23
	ds_store_2addr_b64 v206, v[96:97], v[98:99] offset0:48 offset1:49
	ds_store_2addr_b64 v206, v[92:93], v[94:95] offset0:50 offset1:51
	;; [unrolled: 1-line block ×25, first 2 shown]
.LBB96_501:
	s_or_b32 exec_lo, exec_lo, s2
	s_delay_alu instid0(SALU_CYCLE_1)
	s_mov_b32 s2, exec_lo
	s_waitcnt lgkmcnt(0)
	s_waitcnt_vscnt null, 0x0
	s_barrier
	buffer_gl0_inv
	v_cmpx_lt_i32_e32 23, v212
	s_cbranch_execz .LBB96_503
; %bb.502:
	v_mul_f64 v[204:205], v[198:199], v[102:103]
	v_mul_f64 v[102:103], v[196:197], v[102:103]
	s_delay_alu instid0(VALU_DEP_2) | instskip(NEXT) | instid1(VALU_DEP_2)
	v_fma_f64 v[204:205], v[196:197], v[100:101], -v[204:205]
	v_fma_f64 v[102:103], v[198:199], v[100:101], v[102:103]
	ds_load_2addr_b64 v[196:199], v206 offset0:48 offset1:49
	s_waitcnt lgkmcnt(0)
	v_mul_f64 v[100:101], v[198:199], v[102:103]
	s_delay_alu instid0(VALU_DEP_1) | instskip(SKIP_1) | instid1(VALU_DEP_2)
	v_fma_f64 v[100:101], v[196:197], v[204:205], -v[100:101]
	v_mul_f64 v[196:197], v[196:197], v[102:103]
	v_add_f64 v[96:97], v[96:97], -v[100:101]
	s_delay_alu instid0(VALU_DEP_2) | instskip(NEXT) | instid1(VALU_DEP_1)
	v_fma_f64 v[196:197], v[198:199], v[204:205], v[196:197]
	v_add_f64 v[98:99], v[98:99], -v[196:197]
	ds_load_2addr_b64 v[196:199], v206 offset0:50 offset1:51
	s_waitcnt lgkmcnt(0)
	v_mul_f64 v[100:101], v[198:199], v[102:103]
	s_delay_alu instid0(VALU_DEP_1) | instskip(SKIP_1) | instid1(VALU_DEP_2)
	v_fma_f64 v[100:101], v[196:197], v[204:205], -v[100:101]
	v_mul_f64 v[196:197], v[196:197], v[102:103]
	v_add_f64 v[92:93], v[92:93], -v[100:101]
	s_delay_alu instid0(VALU_DEP_2) | instskip(NEXT) | instid1(VALU_DEP_1)
	v_fma_f64 v[196:197], v[198:199], v[204:205], v[196:197]
	v_add_f64 v[94:95], v[94:95], -v[196:197]
	;; [unrolled: 10-line block ×24, first 2 shown]
	ds_load_2addr_b64 v[196:199], v206 offset0:96 offset1:97
	s_waitcnt lgkmcnt(0)
	v_mul_f64 v[100:101], v[198:199], v[102:103]
	s_delay_alu instid0(VALU_DEP_1) | instskip(SKIP_1) | instid1(VALU_DEP_2)
	v_fma_f64 v[100:101], v[196:197], v[204:205], -v[100:101]
	v_mul_f64 v[196:197], v[196:197], v[102:103]
	v_add_f64 v[0:1], v[0:1], -v[100:101]
	s_delay_alu instid0(VALU_DEP_2) | instskip(SKIP_1) | instid1(VALU_DEP_2)
	v_fma_f64 v[196:197], v[198:199], v[204:205], v[196:197]
	v_dual_mov_b32 v100, v204 :: v_dual_mov_b32 v101, v205
	v_add_f64 v[2:3], v[2:3], -v[196:197]
.LBB96_503:
	s_or_b32 exec_lo, exec_lo, s2
	v_lshl_add_u32 v196, v212, 4, v206
	s_barrier
	buffer_gl0_inv
	v_mov_b32_e32 v204, 24
	ds_store_2addr_b64 v196, v[96:97], v[98:99] offset1:1
	s_waitcnt lgkmcnt(0)
	s_barrier
	buffer_gl0_inv
	ds_load_2addr_b64 v[196:199], v206 offset0:48 offset1:49
	s_cmp_lt_i32 s5, 26
	s_cbranch_scc1 .LBB96_506
; %bb.504:
	v_add3_u32 v205, v211, 0, 0x190
	v_mov_b32_e32 v204, 24
	s_mov_b32 s6, 25
	s_set_inst_prefetch_distance 0x1
	.p2align	6
.LBB96_505:                             ; =>This Inner Loop Header: Depth=1
	ds_load_2addr_b64 v[213:216], v205 offset1:1
	s_waitcnt lgkmcnt(1)
	v_cmp_gt_f64_e32 vcc_lo, 0, v[196:197]
	v_xor_b32_e32 v217, 0x80000000, v197
	v_cmp_gt_f64_e64 s2, 0, v[198:199]
	v_xor_b32_e32 v219, 0x80000000, v199
	v_add_nc_u32_e32 v205, 16, v205
	s_waitcnt lgkmcnt(0)
	v_cmp_gt_f64_e64 s3, 0, v[213:214]
	v_mov_b32_e32 v221, v213
	v_dual_mov_b32 v223, v215 :: v_dual_cndmask_b32 v218, v197, v217
	v_xor_b32_e32 v217, 0x80000000, v214
	v_cndmask_b32_e64 v220, v199, v219, s2
	v_xor_b32_e32 v219, 0x80000000, v216
	s_delay_alu instid0(VALU_DEP_3) | instskip(SKIP_2) | instid1(VALU_DEP_2)
	v_cndmask_b32_e64 v222, v214, v217, s3
	v_cmp_gt_f64_e64 s3, 0, v[215:216]
	v_cndmask_b32_e32 v217, v196, v196, vcc_lo
	v_cndmask_b32_e64 v224, v216, v219, s3
	v_cndmask_b32_e64 v219, v198, v198, s2
	s_delay_alu instid0(VALU_DEP_2) | instskip(NEXT) | instid1(VALU_DEP_2)
	v_add_f64 v[221:222], v[221:222], v[223:224]
	v_add_f64 v[217:218], v[217:218], v[219:220]
	s_delay_alu instid0(VALU_DEP_1) | instskip(SKIP_4) | instid1(SALU_CYCLE_1)
	v_cmp_lt_f64_e32 vcc_lo, v[217:218], v[221:222]
	v_dual_cndmask_b32 v198, v198, v215 :: v_dual_cndmask_b32 v197, v197, v214
	v_dual_cndmask_b32 v196, v196, v213 :: v_dual_cndmask_b32 v199, v199, v216
	v_cndmask_b32_e64 v204, v204, s6, vcc_lo
	s_add_i32 s6, s6, 1
	s_cmp_lg_u32 s5, s6
	s_cbranch_scc1 .LBB96_505
.LBB96_506:
	s_set_inst_prefetch_distance 0x2
	s_waitcnt lgkmcnt(0)
	v_cmp_eq_f64_e32 vcc_lo, 0, v[196:197]
	v_cmp_eq_f64_e64 s2, 0, v[198:199]
	s_delay_alu instid0(VALU_DEP_1) | instskip(NEXT) | instid1(SALU_CYCLE_1)
	s_and_b32 s2, vcc_lo, s2
	s_and_saveexec_b32 s3, s2
	s_delay_alu instid0(SALU_CYCLE_1)
	s_xor_b32 s2, exec_lo, s3
; %bb.507:
	v_cmp_ne_u32_e32 vcc_lo, 0, v209
	v_cndmask_b32_e32 v209, 25, v209, vcc_lo
; %bb.508:
	s_and_not1_saveexec_b32 s3, s2
	s_cbranch_execz .LBB96_514
; %bb.509:
	v_cmp_gt_f64_e32 vcc_lo, 0, v[196:197]
	v_cmp_gt_f64_e64 s2, 0, v[198:199]
	v_xor_b32_e32 v205, 0x80000000, v197
	v_xor_b32_e32 v213, 0x80000000, v199
	s_delay_alu instid0(VALU_DEP_2) | instskip(NEXT) | instid1(VALU_DEP_2)
	v_cndmask_b32_e32 v214, v197, v205, vcc_lo
	v_cndmask_b32_e64 v216, v199, v213, s2
	v_cndmask_b32_e32 v213, v196, v196, vcc_lo
	v_cndmask_b32_e64 v215, v198, v198, s2
	s_mov_b32 s2, exec_lo
	s_delay_alu instid0(VALU_DEP_1)
	v_cmpx_ngt_f64_e32 v[213:214], v[215:216]
	s_xor_b32 s2, exec_lo, s2
	s_cbranch_execz .LBB96_511
; %bb.510:
	v_div_scale_f64 v[213:214], null, v[198:199], v[198:199], v[196:197]
	v_div_scale_f64 v[219:220], vcc_lo, v[196:197], v[198:199], v[196:197]
	s_delay_alu instid0(VALU_DEP_2) | instskip(SKIP_2) | instid1(VALU_DEP_1)
	v_rcp_f64_e32 v[215:216], v[213:214]
	s_waitcnt_depctr 0xfff
	v_fma_f64 v[217:218], -v[213:214], v[215:216], 1.0
	v_fma_f64 v[215:216], v[215:216], v[217:218], v[215:216]
	s_delay_alu instid0(VALU_DEP_1) | instskip(NEXT) | instid1(VALU_DEP_1)
	v_fma_f64 v[217:218], -v[213:214], v[215:216], 1.0
	v_fma_f64 v[215:216], v[215:216], v[217:218], v[215:216]
	s_delay_alu instid0(VALU_DEP_1) | instskip(NEXT) | instid1(VALU_DEP_1)
	v_mul_f64 v[217:218], v[219:220], v[215:216]
	v_fma_f64 v[213:214], -v[213:214], v[217:218], v[219:220]
	s_delay_alu instid0(VALU_DEP_1) | instskip(NEXT) | instid1(VALU_DEP_1)
	v_div_fmas_f64 v[213:214], v[213:214], v[215:216], v[217:218]
	v_div_fixup_f64 v[213:214], v[213:214], v[198:199], v[196:197]
	s_delay_alu instid0(VALU_DEP_1) | instskip(NEXT) | instid1(VALU_DEP_1)
	v_fma_f64 v[196:197], v[196:197], v[213:214], v[198:199]
	v_div_scale_f64 v[198:199], null, v[196:197], v[196:197], 1.0
	s_delay_alu instid0(VALU_DEP_1) | instskip(SKIP_2) | instid1(VALU_DEP_1)
	v_rcp_f64_e32 v[215:216], v[198:199]
	s_waitcnt_depctr 0xfff
	v_fma_f64 v[217:218], -v[198:199], v[215:216], 1.0
	v_fma_f64 v[215:216], v[215:216], v[217:218], v[215:216]
	s_delay_alu instid0(VALU_DEP_1) | instskip(NEXT) | instid1(VALU_DEP_1)
	v_fma_f64 v[217:218], -v[198:199], v[215:216], 1.0
	v_fma_f64 v[215:216], v[215:216], v[217:218], v[215:216]
	v_div_scale_f64 v[217:218], vcc_lo, 1.0, v[196:197], 1.0
	s_delay_alu instid0(VALU_DEP_1) | instskip(NEXT) | instid1(VALU_DEP_1)
	v_mul_f64 v[219:220], v[217:218], v[215:216]
	v_fma_f64 v[198:199], -v[198:199], v[219:220], v[217:218]
	s_delay_alu instid0(VALU_DEP_1) | instskip(NEXT) | instid1(VALU_DEP_1)
	v_div_fmas_f64 v[198:199], v[198:199], v[215:216], v[219:220]
	v_div_fixup_f64 v[198:199], v[198:199], v[196:197], 1.0
	s_delay_alu instid0(VALU_DEP_1)
	v_mul_f64 v[196:197], v[213:214], v[198:199]
	v_xor_b32_e32 v199, 0x80000000, v199
.LBB96_511:
	s_and_not1_saveexec_b32 s2, s2
	s_cbranch_execz .LBB96_513
; %bb.512:
	s_delay_alu instid0(VALU_DEP_1) | instskip(SKIP_1) | instid1(VALU_DEP_2)
	v_div_scale_f64 v[213:214], null, v[196:197], v[196:197], v[198:199]
	v_div_scale_f64 v[219:220], vcc_lo, v[198:199], v[196:197], v[198:199]
	v_rcp_f64_e32 v[215:216], v[213:214]
	s_waitcnt_depctr 0xfff
	v_fma_f64 v[217:218], -v[213:214], v[215:216], 1.0
	s_delay_alu instid0(VALU_DEP_1) | instskip(NEXT) | instid1(VALU_DEP_1)
	v_fma_f64 v[215:216], v[215:216], v[217:218], v[215:216]
	v_fma_f64 v[217:218], -v[213:214], v[215:216], 1.0
	s_delay_alu instid0(VALU_DEP_1) | instskip(NEXT) | instid1(VALU_DEP_1)
	v_fma_f64 v[215:216], v[215:216], v[217:218], v[215:216]
	v_mul_f64 v[217:218], v[219:220], v[215:216]
	s_delay_alu instid0(VALU_DEP_1) | instskip(NEXT) | instid1(VALU_DEP_1)
	v_fma_f64 v[213:214], -v[213:214], v[217:218], v[219:220]
	v_div_fmas_f64 v[213:214], v[213:214], v[215:216], v[217:218]
	s_delay_alu instid0(VALU_DEP_1) | instskip(NEXT) | instid1(VALU_DEP_1)
	v_div_fixup_f64 v[213:214], v[213:214], v[196:197], v[198:199]
	v_fma_f64 v[196:197], v[198:199], v[213:214], v[196:197]
	s_delay_alu instid0(VALU_DEP_1) | instskip(NEXT) | instid1(VALU_DEP_1)
	v_div_scale_f64 v[198:199], null, v[196:197], v[196:197], 1.0
	v_rcp_f64_e32 v[215:216], v[198:199]
	s_waitcnt_depctr 0xfff
	v_fma_f64 v[217:218], -v[198:199], v[215:216], 1.0
	s_delay_alu instid0(VALU_DEP_1) | instskip(NEXT) | instid1(VALU_DEP_1)
	v_fma_f64 v[215:216], v[215:216], v[217:218], v[215:216]
	v_fma_f64 v[217:218], -v[198:199], v[215:216], 1.0
	s_delay_alu instid0(VALU_DEP_1) | instskip(SKIP_1) | instid1(VALU_DEP_1)
	v_fma_f64 v[215:216], v[215:216], v[217:218], v[215:216]
	v_div_scale_f64 v[217:218], vcc_lo, 1.0, v[196:197], 1.0
	v_mul_f64 v[219:220], v[217:218], v[215:216]
	s_delay_alu instid0(VALU_DEP_1) | instskip(NEXT) | instid1(VALU_DEP_1)
	v_fma_f64 v[198:199], -v[198:199], v[219:220], v[217:218]
	v_div_fmas_f64 v[198:199], v[198:199], v[215:216], v[219:220]
	s_delay_alu instid0(VALU_DEP_1) | instskip(NEXT) | instid1(VALU_DEP_1)
	v_div_fixup_f64 v[196:197], v[198:199], v[196:197], 1.0
	v_mul_f64 v[198:199], v[213:214], -v[196:197]
.LBB96_513:
	s_or_b32 exec_lo, exec_lo, s2
.LBB96_514:
	s_delay_alu instid0(SALU_CYCLE_1) | instskip(NEXT) | instid1(SALU_CYCLE_1)
	s_or_b32 exec_lo, exec_lo, s3
	s_mov_b32 s2, exec_lo
	v_cmpx_ne_u32_e64 v212, v204
	s_xor_b32 s2, exec_lo, s2
	s_cbranch_execz .LBB96_520
; %bb.515:
	s_mov_b32 s3, exec_lo
	v_cmpx_eq_u32_e32 24, v212
	s_cbranch_execz .LBB96_519
; %bb.516:
	v_cmp_ne_u32_e32 vcc_lo, 24, v204
	s_xor_b32 s6, s4, -1
	s_delay_alu instid0(SALU_CYCLE_1) | instskip(NEXT) | instid1(SALU_CYCLE_1)
	s_and_b32 s7, s6, vcc_lo
	s_and_saveexec_b32 s6, s7
	s_cbranch_execz .LBB96_518
; %bb.517:
	v_ashrrev_i32_e32 v205, 31, v204
	s_delay_alu instid0(VALU_DEP_1) | instskip(NEXT) | instid1(VALU_DEP_1)
	v_lshlrev_b64 v[212:213], 2, v[204:205]
	v_add_co_u32 v212, vcc_lo, v202, v212
	s_delay_alu instid0(VALU_DEP_2)
	v_add_co_ci_u32_e32 v213, vcc_lo, v203, v213, vcc_lo
	s_clause 0x1
	flat_load_b32 v205, v[212:213]
	flat_load_b32 v210, v[202:203] offset:96
	s_waitcnt vmcnt(1) lgkmcnt(1)
	flat_store_b32 v[202:203], v205 offset:96
	s_waitcnt vmcnt(0) lgkmcnt(1)
	flat_store_b32 v[212:213], v210
.LBB96_518:
	s_or_b32 exec_lo, exec_lo, s6
	v_mov_b32_e32 v212, v204
	v_mov_b32_e32 v210, v204
.LBB96_519:
	s_or_b32 exec_lo, exec_lo, s3
.LBB96_520:
	s_and_not1_saveexec_b32 s2, s2
	s_cbranch_execz .LBB96_522
; %bb.521:
	v_mov_b32_e32 v212, 24
	ds_store_2addr_b64 v206, v[92:93], v[94:95] offset0:50 offset1:51
	ds_store_2addr_b64 v206, v[88:89], v[90:91] offset0:52 offset1:53
	;; [unrolled: 1-line block ×24, first 2 shown]
.LBB96_522:
	s_or_b32 exec_lo, exec_lo, s2
	s_delay_alu instid0(SALU_CYCLE_1)
	s_mov_b32 s2, exec_lo
	s_waitcnt lgkmcnt(0)
	s_waitcnt_vscnt null, 0x0
	s_barrier
	buffer_gl0_inv
	v_cmpx_lt_i32_e32 24, v212
	s_cbranch_execz .LBB96_524
; %bb.523:
	v_mul_f64 v[204:205], v[198:199], v[98:99]
	v_mul_f64 v[98:99], v[196:197], v[98:99]
	s_delay_alu instid0(VALU_DEP_2) | instskip(NEXT) | instid1(VALU_DEP_2)
	v_fma_f64 v[204:205], v[196:197], v[96:97], -v[204:205]
	v_fma_f64 v[98:99], v[198:199], v[96:97], v[98:99]
	ds_load_2addr_b64 v[196:199], v206 offset0:50 offset1:51
	s_waitcnt lgkmcnt(0)
	v_mul_f64 v[96:97], v[198:199], v[98:99]
	s_delay_alu instid0(VALU_DEP_1) | instskip(SKIP_1) | instid1(VALU_DEP_2)
	v_fma_f64 v[96:97], v[196:197], v[204:205], -v[96:97]
	v_mul_f64 v[196:197], v[196:197], v[98:99]
	v_add_f64 v[92:93], v[92:93], -v[96:97]
	s_delay_alu instid0(VALU_DEP_2) | instskip(NEXT) | instid1(VALU_DEP_1)
	v_fma_f64 v[196:197], v[198:199], v[204:205], v[196:197]
	v_add_f64 v[94:95], v[94:95], -v[196:197]
	ds_load_2addr_b64 v[196:199], v206 offset0:52 offset1:53
	s_waitcnt lgkmcnt(0)
	v_mul_f64 v[96:97], v[198:199], v[98:99]
	s_delay_alu instid0(VALU_DEP_1) | instskip(SKIP_1) | instid1(VALU_DEP_2)
	v_fma_f64 v[96:97], v[196:197], v[204:205], -v[96:97]
	v_mul_f64 v[196:197], v[196:197], v[98:99]
	v_add_f64 v[88:89], v[88:89], -v[96:97]
	s_delay_alu instid0(VALU_DEP_2) | instskip(NEXT) | instid1(VALU_DEP_1)
	v_fma_f64 v[196:197], v[198:199], v[204:205], v[196:197]
	v_add_f64 v[90:91], v[90:91], -v[196:197]
	;; [unrolled: 10-line block ×23, first 2 shown]
	ds_load_2addr_b64 v[196:199], v206 offset0:96 offset1:97
	s_waitcnt lgkmcnt(0)
	v_mul_f64 v[96:97], v[198:199], v[98:99]
	s_delay_alu instid0(VALU_DEP_1) | instskip(SKIP_1) | instid1(VALU_DEP_2)
	v_fma_f64 v[96:97], v[196:197], v[204:205], -v[96:97]
	v_mul_f64 v[196:197], v[196:197], v[98:99]
	v_add_f64 v[0:1], v[0:1], -v[96:97]
	s_delay_alu instid0(VALU_DEP_2) | instskip(SKIP_1) | instid1(VALU_DEP_2)
	v_fma_f64 v[196:197], v[198:199], v[204:205], v[196:197]
	v_dual_mov_b32 v96, v204 :: v_dual_mov_b32 v97, v205
	v_add_f64 v[2:3], v[2:3], -v[196:197]
.LBB96_524:
	s_or_b32 exec_lo, exec_lo, s2
	v_lshl_add_u32 v196, v212, 4, v206
	s_barrier
	buffer_gl0_inv
	v_mov_b32_e32 v204, 25
	ds_store_2addr_b64 v196, v[92:93], v[94:95] offset1:1
	s_waitcnt lgkmcnt(0)
	s_barrier
	buffer_gl0_inv
	ds_load_2addr_b64 v[196:199], v206 offset0:50 offset1:51
	s_cmp_lt_i32 s5, 27
	s_cbranch_scc1 .LBB96_527
; %bb.525:
	v_add3_u32 v205, v211, 0, 0x1a0
	v_mov_b32_e32 v204, 25
	s_mov_b32 s6, 26
	s_set_inst_prefetch_distance 0x1
	.p2align	6
.LBB96_526:                             ; =>This Inner Loop Header: Depth=1
	ds_load_2addr_b64 v[213:216], v205 offset1:1
	s_waitcnt lgkmcnt(1)
	v_cmp_gt_f64_e32 vcc_lo, 0, v[196:197]
	v_xor_b32_e32 v217, 0x80000000, v197
	v_cmp_gt_f64_e64 s2, 0, v[198:199]
	v_xor_b32_e32 v219, 0x80000000, v199
	v_add_nc_u32_e32 v205, 16, v205
	s_waitcnt lgkmcnt(0)
	v_cmp_gt_f64_e64 s3, 0, v[213:214]
	v_mov_b32_e32 v221, v213
	v_dual_mov_b32 v223, v215 :: v_dual_cndmask_b32 v218, v197, v217
	v_xor_b32_e32 v217, 0x80000000, v214
	v_cndmask_b32_e64 v220, v199, v219, s2
	v_xor_b32_e32 v219, 0x80000000, v216
	s_delay_alu instid0(VALU_DEP_3) | instskip(SKIP_2) | instid1(VALU_DEP_2)
	v_cndmask_b32_e64 v222, v214, v217, s3
	v_cmp_gt_f64_e64 s3, 0, v[215:216]
	v_cndmask_b32_e32 v217, v196, v196, vcc_lo
	v_cndmask_b32_e64 v224, v216, v219, s3
	v_cndmask_b32_e64 v219, v198, v198, s2
	s_delay_alu instid0(VALU_DEP_2) | instskip(NEXT) | instid1(VALU_DEP_2)
	v_add_f64 v[221:222], v[221:222], v[223:224]
	v_add_f64 v[217:218], v[217:218], v[219:220]
	s_delay_alu instid0(VALU_DEP_1) | instskip(SKIP_4) | instid1(SALU_CYCLE_1)
	v_cmp_lt_f64_e32 vcc_lo, v[217:218], v[221:222]
	v_dual_cndmask_b32 v198, v198, v215 :: v_dual_cndmask_b32 v197, v197, v214
	v_dual_cndmask_b32 v196, v196, v213 :: v_dual_cndmask_b32 v199, v199, v216
	v_cndmask_b32_e64 v204, v204, s6, vcc_lo
	s_add_i32 s6, s6, 1
	s_cmp_lg_u32 s5, s6
	s_cbranch_scc1 .LBB96_526
.LBB96_527:
	s_set_inst_prefetch_distance 0x2
	s_waitcnt lgkmcnt(0)
	v_cmp_eq_f64_e32 vcc_lo, 0, v[196:197]
	v_cmp_eq_f64_e64 s2, 0, v[198:199]
	s_delay_alu instid0(VALU_DEP_1) | instskip(NEXT) | instid1(SALU_CYCLE_1)
	s_and_b32 s2, vcc_lo, s2
	s_and_saveexec_b32 s3, s2
	s_delay_alu instid0(SALU_CYCLE_1)
	s_xor_b32 s2, exec_lo, s3
; %bb.528:
	v_cmp_ne_u32_e32 vcc_lo, 0, v209
	v_cndmask_b32_e32 v209, 26, v209, vcc_lo
; %bb.529:
	s_and_not1_saveexec_b32 s3, s2
	s_cbranch_execz .LBB96_535
; %bb.530:
	v_cmp_gt_f64_e32 vcc_lo, 0, v[196:197]
	v_cmp_gt_f64_e64 s2, 0, v[198:199]
	v_xor_b32_e32 v205, 0x80000000, v197
	v_xor_b32_e32 v213, 0x80000000, v199
	s_delay_alu instid0(VALU_DEP_2) | instskip(NEXT) | instid1(VALU_DEP_2)
	v_cndmask_b32_e32 v214, v197, v205, vcc_lo
	v_cndmask_b32_e64 v216, v199, v213, s2
	v_cndmask_b32_e32 v213, v196, v196, vcc_lo
	v_cndmask_b32_e64 v215, v198, v198, s2
	s_mov_b32 s2, exec_lo
	s_delay_alu instid0(VALU_DEP_1)
	v_cmpx_ngt_f64_e32 v[213:214], v[215:216]
	s_xor_b32 s2, exec_lo, s2
	s_cbranch_execz .LBB96_532
; %bb.531:
	v_div_scale_f64 v[213:214], null, v[198:199], v[198:199], v[196:197]
	v_div_scale_f64 v[219:220], vcc_lo, v[196:197], v[198:199], v[196:197]
	s_delay_alu instid0(VALU_DEP_2) | instskip(SKIP_2) | instid1(VALU_DEP_1)
	v_rcp_f64_e32 v[215:216], v[213:214]
	s_waitcnt_depctr 0xfff
	v_fma_f64 v[217:218], -v[213:214], v[215:216], 1.0
	v_fma_f64 v[215:216], v[215:216], v[217:218], v[215:216]
	s_delay_alu instid0(VALU_DEP_1) | instskip(NEXT) | instid1(VALU_DEP_1)
	v_fma_f64 v[217:218], -v[213:214], v[215:216], 1.0
	v_fma_f64 v[215:216], v[215:216], v[217:218], v[215:216]
	s_delay_alu instid0(VALU_DEP_1) | instskip(NEXT) | instid1(VALU_DEP_1)
	v_mul_f64 v[217:218], v[219:220], v[215:216]
	v_fma_f64 v[213:214], -v[213:214], v[217:218], v[219:220]
	s_delay_alu instid0(VALU_DEP_1) | instskip(NEXT) | instid1(VALU_DEP_1)
	v_div_fmas_f64 v[213:214], v[213:214], v[215:216], v[217:218]
	v_div_fixup_f64 v[213:214], v[213:214], v[198:199], v[196:197]
	s_delay_alu instid0(VALU_DEP_1) | instskip(NEXT) | instid1(VALU_DEP_1)
	v_fma_f64 v[196:197], v[196:197], v[213:214], v[198:199]
	v_div_scale_f64 v[198:199], null, v[196:197], v[196:197], 1.0
	s_delay_alu instid0(VALU_DEP_1) | instskip(SKIP_2) | instid1(VALU_DEP_1)
	v_rcp_f64_e32 v[215:216], v[198:199]
	s_waitcnt_depctr 0xfff
	v_fma_f64 v[217:218], -v[198:199], v[215:216], 1.0
	v_fma_f64 v[215:216], v[215:216], v[217:218], v[215:216]
	s_delay_alu instid0(VALU_DEP_1) | instskip(NEXT) | instid1(VALU_DEP_1)
	v_fma_f64 v[217:218], -v[198:199], v[215:216], 1.0
	v_fma_f64 v[215:216], v[215:216], v[217:218], v[215:216]
	v_div_scale_f64 v[217:218], vcc_lo, 1.0, v[196:197], 1.0
	s_delay_alu instid0(VALU_DEP_1) | instskip(NEXT) | instid1(VALU_DEP_1)
	v_mul_f64 v[219:220], v[217:218], v[215:216]
	v_fma_f64 v[198:199], -v[198:199], v[219:220], v[217:218]
	s_delay_alu instid0(VALU_DEP_1) | instskip(NEXT) | instid1(VALU_DEP_1)
	v_div_fmas_f64 v[198:199], v[198:199], v[215:216], v[219:220]
	v_div_fixup_f64 v[198:199], v[198:199], v[196:197], 1.0
	s_delay_alu instid0(VALU_DEP_1)
	v_mul_f64 v[196:197], v[213:214], v[198:199]
	v_xor_b32_e32 v199, 0x80000000, v199
.LBB96_532:
	s_and_not1_saveexec_b32 s2, s2
	s_cbranch_execz .LBB96_534
; %bb.533:
	s_delay_alu instid0(VALU_DEP_1) | instskip(SKIP_1) | instid1(VALU_DEP_2)
	v_div_scale_f64 v[213:214], null, v[196:197], v[196:197], v[198:199]
	v_div_scale_f64 v[219:220], vcc_lo, v[198:199], v[196:197], v[198:199]
	v_rcp_f64_e32 v[215:216], v[213:214]
	s_waitcnt_depctr 0xfff
	v_fma_f64 v[217:218], -v[213:214], v[215:216], 1.0
	s_delay_alu instid0(VALU_DEP_1) | instskip(NEXT) | instid1(VALU_DEP_1)
	v_fma_f64 v[215:216], v[215:216], v[217:218], v[215:216]
	v_fma_f64 v[217:218], -v[213:214], v[215:216], 1.0
	s_delay_alu instid0(VALU_DEP_1) | instskip(NEXT) | instid1(VALU_DEP_1)
	v_fma_f64 v[215:216], v[215:216], v[217:218], v[215:216]
	v_mul_f64 v[217:218], v[219:220], v[215:216]
	s_delay_alu instid0(VALU_DEP_1) | instskip(NEXT) | instid1(VALU_DEP_1)
	v_fma_f64 v[213:214], -v[213:214], v[217:218], v[219:220]
	v_div_fmas_f64 v[213:214], v[213:214], v[215:216], v[217:218]
	s_delay_alu instid0(VALU_DEP_1) | instskip(NEXT) | instid1(VALU_DEP_1)
	v_div_fixup_f64 v[213:214], v[213:214], v[196:197], v[198:199]
	v_fma_f64 v[196:197], v[198:199], v[213:214], v[196:197]
	s_delay_alu instid0(VALU_DEP_1) | instskip(NEXT) | instid1(VALU_DEP_1)
	v_div_scale_f64 v[198:199], null, v[196:197], v[196:197], 1.0
	v_rcp_f64_e32 v[215:216], v[198:199]
	s_waitcnt_depctr 0xfff
	v_fma_f64 v[217:218], -v[198:199], v[215:216], 1.0
	s_delay_alu instid0(VALU_DEP_1) | instskip(NEXT) | instid1(VALU_DEP_1)
	v_fma_f64 v[215:216], v[215:216], v[217:218], v[215:216]
	v_fma_f64 v[217:218], -v[198:199], v[215:216], 1.0
	s_delay_alu instid0(VALU_DEP_1) | instskip(SKIP_1) | instid1(VALU_DEP_1)
	v_fma_f64 v[215:216], v[215:216], v[217:218], v[215:216]
	v_div_scale_f64 v[217:218], vcc_lo, 1.0, v[196:197], 1.0
	v_mul_f64 v[219:220], v[217:218], v[215:216]
	s_delay_alu instid0(VALU_DEP_1) | instskip(NEXT) | instid1(VALU_DEP_1)
	v_fma_f64 v[198:199], -v[198:199], v[219:220], v[217:218]
	v_div_fmas_f64 v[198:199], v[198:199], v[215:216], v[219:220]
	s_delay_alu instid0(VALU_DEP_1) | instskip(NEXT) | instid1(VALU_DEP_1)
	v_div_fixup_f64 v[196:197], v[198:199], v[196:197], 1.0
	v_mul_f64 v[198:199], v[213:214], -v[196:197]
.LBB96_534:
	s_or_b32 exec_lo, exec_lo, s2
.LBB96_535:
	s_delay_alu instid0(SALU_CYCLE_1) | instskip(NEXT) | instid1(SALU_CYCLE_1)
	s_or_b32 exec_lo, exec_lo, s3
	s_mov_b32 s2, exec_lo
	v_cmpx_ne_u32_e64 v212, v204
	s_xor_b32 s2, exec_lo, s2
	s_cbranch_execz .LBB96_541
; %bb.536:
	s_mov_b32 s3, exec_lo
	v_cmpx_eq_u32_e32 25, v212
	s_cbranch_execz .LBB96_540
; %bb.537:
	v_cmp_ne_u32_e32 vcc_lo, 25, v204
	s_xor_b32 s6, s4, -1
	s_delay_alu instid0(SALU_CYCLE_1) | instskip(NEXT) | instid1(SALU_CYCLE_1)
	s_and_b32 s7, s6, vcc_lo
	s_and_saveexec_b32 s6, s7
	s_cbranch_execz .LBB96_539
; %bb.538:
	v_ashrrev_i32_e32 v205, 31, v204
	s_delay_alu instid0(VALU_DEP_1) | instskip(NEXT) | instid1(VALU_DEP_1)
	v_lshlrev_b64 v[212:213], 2, v[204:205]
	v_add_co_u32 v212, vcc_lo, v202, v212
	s_delay_alu instid0(VALU_DEP_2)
	v_add_co_ci_u32_e32 v213, vcc_lo, v203, v213, vcc_lo
	s_clause 0x1
	flat_load_b32 v205, v[212:213]
	flat_load_b32 v210, v[202:203] offset:100
	s_waitcnt vmcnt(1) lgkmcnt(1)
	flat_store_b32 v[202:203], v205 offset:100
	s_waitcnt vmcnt(0) lgkmcnt(1)
	flat_store_b32 v[212:213], v210
.LBB96_539:
	s_or_b32 exec_lo, exec_lo, s6
	v_mov_b32_e32 v212, v204
	v_mov_b32_e32 v210, v204
.LBB96_540:
	s_or_b32 exec_lo, exec_lo, s3
.LBB96_541:
	s_and_not1_saveexec_b32 s2, s2
	s_cbranch_execz .LBB96_543
; %bb.542:
	v_mov_b32_e32 v212, 25
	ds_store_2addr_b64 v206, v[88:89], v[90:91] offset0:52 offset1:53
	ds_store_2addr_b64 v206, v[84:85], v[86:87] offset0:54 offset1:55
	;; [unrolled: 1-line block ×23, first 2 shown]
.LBB96_543:
	s_or_b32 exec_lo, exec_lo, s2
	s_delay_alu instid0(SALU_CYCLE_1)
	s_mov_b32 s2, exec_lo
	s_waitcnt lgkmcnt(0)
	s_waitcnt_vscnt null, 0x0
	s_barrier
	buffer_gl0_inv
	v_cmpx_lt_i32_e32 25, v212
	s_cbranch_execz .LBB96_545
; %bb.544:
	v_mul_f64 v[204:205], v[198:199], v[94:95]
	v_mul_f64 v[94:95], v[196:197], v[94:95]
	s_delay_alu instid0(VALU_DEP_2) | instskip(NEXT) | instid1(VALU_DEP_2)
	v_fma_f64 v[204:205], v[196:197], v[92:93], -v[204:205]
	v_fma_f64 v[94:95], v[198:199], v[92:93], v[94:95]
	ds_load_2addr_b64 v[196:199], v206 offset0:52 offset1:53
	s_waitcnt lgkmcnt(0)
	v_mul_f64 v[92:93], v[198:199], v[94:95]
	s_delay_alu instid0(VALU_DEP_1) | instskip(SKIP_1) | instid1(VALU_DEP_2)
	v_fma_f64 v[92:93], v[196:197], v[204:205], -v[92:93]
	v_mul_f64 v[196:197], v[196:197], v[94:95]
	v_add_f64 v[88:89], v[88:89], -v[92:93]
	s_delay_alu instid0(VALU_DEP_2) | instskip(NEXT) | instid1(VALU_DEP_1)
	v_fma_f64 v[196:197], v[198:199], v[204:205], v[196:197]
	v_add_f64 v[90:91], v[90:91], -v[196:197]
	ds_load_2addr_b64 v[196:199], v206 offset0:54 offset1:55
	s_waitcnt lgkmcnt(0)
	v_mul_f64 v[92:93], v[198:199], v[94:95]
	s_delay_alu instid0(VALU_DEP_1) | instskip(SKIP_1) | instid1(VALU_DEP_2)
	v_fma_f64 v[92:93], v[196:197], v[204:205], -v[92:93]
	v_mul_f64 v[196:197], v[196:197], v[94:95]
	v_add_f64 v[84:85], v[84:85], -v[92:93]
	s_delay_alu instid0(VALU_DEP_2) | instskip(NEXT) | instid1(VALU_DEP_1)
	v_fma_f64 v[196:197], v[198:199], v[204:205], v[196:197]
	v_add_f64 v[86:87], v[86:87], -v[196:197]
	;; [unrolled: 10-line block ×22, first 2 shown]
	ds_load_2addr_b64 v[196:199], v206 offset0:96 offset1:97
	s_waitcnt lgkmcnt(0)
	v_mul_f64 v[92:93], v[198:199], v[94:95]
	s_delay_alu instid0(VALU_DEP_1) | instskip(SKIP_1) | instid1(VALU_DEP_2)
	v_fma_f64 v[92:93], v[196:197], v[204:205], -v[92:93]
	v_mul_f64 v[196:197], v[196:197], v[94:95]
	v_add_f64 v[0:1], v[0:1], -v[92:93]
	s_delay_alu instid0(VALU_DEP_2) | instskip(SKIP_1) | instid1(VALU_DEP_2)
	v_fma_f64 v[196:197], v[198:199], v[204:205], v[196:197]
	v_dual_mov_b32 v92, v204 :: v_dual_mov_b32 v93, v205
	v_add_f64 v[2:3], v[2:3], -v[196:197]
.LBB96_545:
	s_or_b32 exec_lo, exec_lo, s2
	v_lshl_add_u32 v196, v212, 4, v206
	s_barrier
	buffer_gl0_inv
	v_mov_b32_e32 v204, 26
	ds_store_2addr_b64 v196, v[88:89], v[90:91] offset1:1
	s_waitcnt lgkmcnt(0)
	s_barrier
	buffer_gl0_inv
	ds_load_2addr_b64 v[196:199], v206 offset0:52 offset1:53
	s_cmp_lt_i32 s5, 28
	s_cbranch_scc1 .LBB96_548
; %bb.546:
	v_add3_u32 v205, v211, 0, 0x1b0
	v_mov_b32_e32 v204, 26
	s_mov_b32 s6, 27
	s_set_inst_prefetch_distance 0x1
	.p2align	6
.LBB96_547:                             ; =>This Inner Loop Header: Depth=1
	ds_load_2addr_b64 v[213:216], v205 offset1:1
	s_waitcnt lgkmcnt(1)
	v_cmp_gt_f64_e32 vcc_lo, 0, v[196:197]
	v_xor_b32_e32 v217, 0x80000000, v197
	v_cmp_gt_f64_e64 s2, 0, v[198:199]
	v_xor_b32_e32 v219, 0x80000000, v199
	v_add_nc_u32_e32 v205, 16, v205
	s_waitcnt lgkmcnt(0)
	v_cmp_gt_f64_e64 s3, 0, v[213:214]
	v_mov_b32_e32 v221, v213
	v_dual_mov_b32 v223, v215 :: v_dual_cndmask_b32 v218, v197, v217
	v_xor_b32_e32 v217, 0x80000000, v214
	v_cndmask_b32_e64 v220, v199, v219, s2
	v_xor_b32_e32 v219, 0x80000000, v216
	s_delay_alu instid0(VALU_DEP_3) | instskip(SKIP_2) | instid1(VALU_DEP_2)
	v_cndmask_b32_e64 v222, v214, v217, s3
	v_cmp_gt_f64_e64 s3, 0, v[215:216]
	v_cndmask_b32_e32 v217, v196, v196, vcc_lo
	v_cndmask_b32_e64 v224, v216, v219, s3
	v_cndmask_b32_e64 v219, v198, v198, s2
	s_delay_alu instid0(VALU_DEP_2) | instskip(NEXT) | instid1(VALU_DEP_2)
	v_add_f64 v[221:222], v[221:222], v[223:224]
	v_add_f64 v[217:218], v[217:218], v[219:220]
	s_delay_alu instid0(VALU_DEP_1) | instskip(SKIP_4) | instid1(SALU_CYCLE_1)
	v_cmp_lt_f64_e32 vcc_lo, v[217:218], v[221:222]
	v_dual_cndmask_b32 v198, v198, v215 :: v_dual_cndmask_b32 v197, v197, v214
	v_dual_cndmask_b32 v196, v196, v213 :: v_dual_cndmask_b32 v199, v199, v216
	v_cndmask_b32_e64 v204, v204, s6, vcc_lo
	s_add_i32 s6, s6, 1
	s_cmp_lg_u32 s5, s6
	s_cbranch_scc1 .LBB96_547
.LBB96_548:
	s_set_inst_prefetch_distance 0x2
	s_waitcnt lgkmcnt(0)
	v_cmp_eq_f64_e32 vcc_lo, 0, v[196:197]
	v_cmp_eq_f64_e64 s2, 0, v[198:199]
	s_delay_alu instid0(VALU_DEP_1) | instskip(NEXT) | instid1(SALU_CYCLE_1)
	s_and_b32 s2, vcc_lo, s2
	s_and_saveexec_b32 s3, s2
	s_delay_alu instid0(SALU_CYCLE_1)
	s_xor_b32 s2, exec_lo, s3
; %bb.549:
	v_cmp_ne_u32_e32 vcc_lo, 0, v209
	v_cndmask_b32_e32 v209, 27, v209, vcc_lo
; %bb.550:
	s_and_not1_saveexec_b32 s3, s2
	s_cbranch_execz .LBB96_556
; %bb.551:
	v_cmp_gt_f64_e32 vcc_lo, 0, v[196:197]
	v_cmp_gt_f64_e64 s2, 0, v[198:199]
	v_xor_b32_e32 v205, 0x80000000, v197
	v_xor_b32_e32 v213, 0x80000000, v199
	s_delay_alu instid0(VALU_DEP_2) | instskip(NEXT) | instid1(VALU_DEP_2)
	v_cndmask_b32_e32 v214, v197, v205, vcc_lo
	v_cndmask_b32_e64 v216, v199, v213, s2
	v_cndmask_b32_e32 v213, v196, v196, vcc_lo
	v_cndmask_b32_e64 v215, v198, v198, s2
	s_mov_b32 s2, exec_lo
	s_delay_alu instid0(VALU_DEP_1)
	v_cmpx_ngt_f64_e32 v[213:214], v[215:216]
	s_xor_b32 s2, exec_lo, s2
	s_cbranch_execz .LBB96_553
; %bb.552:
	v_div_scale_f64 v[213:214], null, v[198:199], v[198:199], v[196:197]
	v_div_scale_f64 v[219:220], vcc_lo, v[196:197], v[198:199], v[196:197]
	s_delay_alu instid0(VALU_DEP_2) | instskip(SKIP_2) | instid1(VALU_DEP_1)
	v_rcp_f64_e32 v[215:216], v[213:214]
	s_waitcnt_depctr 0xfff
	v_fma_f64 v[217:218], -v[213:214], v[215:216], 1.0
	v_fma_f64 v[215:216], v[215:216], v[217:218], v[215:216]
	s_delay_alu instid0(VALU_DEP_1) | instskip(NEXT) | instid1(VALU_DEP_1)
	v_fma_f64 v[217:218], -v[213:214], v[215:216], 1.0
	v_fma_f64 v[215:216], v[215:216], v[217:218], v[215:216]
	s_delay_alu instid0(VALU_DEP_1) | instskip(NEXT) | instid1(VALU_DEP_1)
	v_mul_f64 v[217:218], v[219:220], v[215:216]
	v_fma_f64 v[213:214], -v[213:214], v[217:218], v[219:220]
	s_delay_alu instid0(VALU_DEP_1) | instskip(NEXT) | instid1(VALU_DEP_1)
	v_div_fmas_f64 v[213:214], v[213:214], v[215:216], v[217:218]
	v_div_fixup_f64 v[213:214], v[213:214], v[198:199], v[196:197]
	s_delay_alu instid0(VALU_DEP_1) | instskip(NEXT) | instid1(VALU_DEP_1)
	v_fma_f64 v[196:197], v[196:197], v[213:214], v[198:199]
	v_div_scale_f64 v[198:199], null, v[196:197], v[196:197], 1.0
	s_delay_alu instid0(VALU_DEP_1) | instskip(SKIP_2) | instid1(VALU_DEP_1)
	v_rcp_f64_e32 v[215:216], v[198:199]
	s_waitcnt_depctr 0xfff
	v_fma_f64 v[217:218], -v[198:199], v[215:216], 1.0
	v_fma_f64 v[215:216], v[215:216], v[217:218], v[215:216]
	s_delay_alu instid0(VALU_DEP_1) | instskip(NEXT) | instid1(VALU_DEP_1)
	v_fma_f64 v[217:218], -v[198:199], v[215:216], 1.0
	v_fma_f64 v[215:216], v[215:216], v[217:218], v[215:216]
	v_div_scale_f64 v[217:218], vcc_lo, 1.0, v[196:197], 1.0
	s_delay_alu instid0(VALU_DEP_1) | instskip(NEXT) | instid1(VALU_DEP_1)
	v_mul_f64 v[219:220], v[217:218], v[215:216]
	v_fma_f64 v[198:199], -v[198:199], v[219:220], v[217:218]
	s_delay_alu instid0(VALU_DEP_1) | instskip(NEXT) | instid1(VALU_DEP_1)
	v_div_fmas_f64 v[198:199], v[198:199], v[215:216], v[219:220]
	v_div_fixup_f64 v[198:199], v[198:199], v[196:197], 1.0
	s_delay_alu instid0(VALU_DEP_1)
	v_mul_f64 v[196:197], v[213:214], v[198:199]
	v_xor_b32_e32 v199, 0x80000000, v199
.LBB96_553:
	s_and_not1_saveexec_b32 s2, s2
	s_cbranch_execz .LBB96_555
; %bb.554:
	s_delay_alu instid0(VALU_DEP_1) | instskip(SKIP_1) | instid1(VALU_DEP_2)
	v_div_scale_f64 v[213:214], null, v[196:197], v[196:197], v[198:199]
	v_div_scale_f64 v[219:220], vcc_lo, v[198:199], v[196:197], v[198:199]
	v_rcp_f64_e32 v[215:216], v[213:214]
	s_waitcnt_depctr 0xfff
	v_fma_f64 v[217:218], -v[213:214], v[215:216], 1.0
	s_delay_alu instid0(VALU_DEP_1) | instskip(NEXT) | instid1(VALU_DEP_1)
	v_fma_f64 v[215:216], v[215:216], v[217:218], v[215:216]
	v_fma_f64 v[217:218], -v[213:214], v[215:216], 1.0
	s_delay_alu instid0(VALU_DEP_1) | instskip(NEXT) | instid1(VALU_DEP_1)
	v_fma_f64 v[215:216], v[215:216], v[217:218], v[215:216]
	v_mul_f64 v[217:218], v[219:220], v[215:216]
	s_delay_alu instid0(VALU_DEP_1) | instskip(NEXT) | instid1(VALU_DEP_1)
	v_fma_f64 v[213:214], -v[213:214], v[217:218], v[219:220]
	v_div_fmas_f64 v[213:214], v[213:214], v[215:216], v[217:218]
	s_delay_alu instid0(VALU_DEP_1) | instskip(NEXT) | instid1(VALU_DEP_1)
	v_div_fixup_f64 v[213:214], v[213:214], v[196:197], v[198:199]
	v_fma_f64 v[196:197], v[198:199], v[213:214], v[196:197]
	s_delay_alu instid0(VALU_DEP_1) | instskip(NEXT) | instid1(VALU_DEP_1)
	v_div_scale_f64 v[198:199], null, v[196:197], v[196:197], 1.0
	v_rcp_f64_e32 v[215:216], v[198:199]
	s_waitcnt_depctr 0xfff
	v_fma_f64 v[217:218], -v[198:199], v[215:216], 1.0
	s_delay_alu instid0(VALU_DEP_1) | instskip(NEXT) | instid1(VALU_DEP_1)
	v_fma_f64 v[215:216], v[215:216], v[217:218], v[215:216]
	v_fma_f64 v[217:218], -v[198:199], v[215:216], 1.0
	s_delay_alu instid0(VALU_DEP_1) | instskip(SKIP_1) | instid1(VALU_DEP_1)
	v_fma_f64 v[215:216], v[215:216], v[217:218], v[215:216]
	v_div_scale_f64 v[217:218], vcc_lo, 1.0, v[196:197], 1.0
	v_mul_f64 v[219:220], v[217:218], v[215:216]
	s_delay_alu instid0(VALU_DEP_1) | instskip(NEXT) | instid1(VALU_DEP_1)
	v_fma_f64 v[198:199], -v[198:199], v[219:220], v[217:218]
	v_div_fmas_f64 v[198:199], v[198:199], v[215:216], v[219:220]
	s_delay_alu instid0(VALU_DEP_1) | instskip(NEXT) | instid1(VALU_DEP_1)
	v_div_fixup_f64 v[196:197], v[198:199], v[196:197], 1.0
	v_mul_f64 v[198:199], v[213:214], -v[196:197]
.LBB96_555:
	s_or_b32 exec_lo, exec_lo, s2
.LBB96_556:
	s_delay_alu instid0(SALU_CYCLE_1) | instskip(NEXT) | instid1(SALU_CYCLE_1)
	s_or_b32 exec_lo, exec_lo, s3
	s_mov_b32 s2, exec_lo
	v_cmpx_ne_u32_e64 v212, v204
	s_xor_b32 s2, exec_lo, s2
	s_cbranch_execz .LBB96_562
; %bb.557:
	s_mov_b32 s3, exec_lo
	v_cmpx_eq_u32_e32 26, v212
	s_cbranch_execz .LBB96_561
; %bb.558:
	v_cmp_ne_u32_e32 vcc_lo, 26, v204
	s_xor_b32 s6, s4, -1
	s_delay_alu instid0(SALU_CYCLE_1) | instskip(NEXT) | instid1(SALU_CYCLE_1)
	s_and_b32 s7, s6, vcc_lo
	s_and_saveexec_b32 s6, s7
	s_cbranch_execz .LBB96_560
; %bb.559:
	v_ashrrev_i32_e32 v205, 31, v204
	s_delay_alu instid0(VALU_DEP_1) | instskip(NEXT) | instid1(VALU_DEP_1)
	v_lshlrev_b64 v[212:213], 2, v[204:205]
	v_add_co_u32 v212, vcc_lo, v202, v212
	s_delay_alu instid0(VALU_DEP_2)
	v_add_co_ci_u32_e32 v213, vcc_lo, v203, v213, vcc_lo
	s_clause 0x1
	flat_load_b32 v205, v[212:213]
	flat_load_b32 v210, v[202:203] offset:104
	s_waitcnt vmcnt(1) lgkmcnt(1)
	flat_store_b32 v[202:203], v205 offset:104
	s_waitcnt vmcnt(0) lgkmcnt(1)
	flat_store_b32 v[212:213], v210
.LBB96_560:
	s_or_b32 exec_lo, exec_lo, s6
	v_mov_b32_e32 v212, v204
	v_mov_b32_e32 v210, v204
.LBB96_561:
	s_or_b32 exec_lo, exec_lo, s3
.LBB96_562:
	s_and_not1_saveexec_b32 s2, s2
	s_cbranch_execz .LBB96_564
; %bb.563:
	v_mov_b32_e32 v212, 26
	ds_store_2addr_b64 v206, v[84:85], v[86:87] offset0:54 offset1:55
	ds_store_2addr_b64 v206, v[80:81], v[82:83] offset0:56 offset1:57
	;; [unrolled: 1-line block ×22, first 2 shown]
.LBB96_564:
	s_or_b32 exec_lo, exec_lo, s2
	s_delay_alu instid0(SALU_CYCLE_1)
	s_mov_b32 s2, exec_lo
	s_waitcnt lgkmcnt(0)
	s_waitcnt_vscnt null, 0x0
	s_barrier
	buffer_gl0_inv
	v_cmpx_lt_i32_e32 26, v212
	s_cbranch_execz .LBB96_566
; %bb.565:
	v_mul_f64 v[204:205], v[198:199], v[90:91]
	v_mul_f64 v[90:91], v[196:197], v[90:91]
	s_delay_alu instid0(VALU_DEP_2) | instskip(NEXT) | instid1(VALU_DEP_2)
	v_fma_f64 v[204:205], v[196:197], v[88:89], -v[204:205]
	v_fma_f64 v[90:91], v[198:199], v[88:89], v[90:91]
	ds_load_2addr_b64 v[196:199], v206 offset0:54 offset1:55
	s_waitcnt lgkmcnt(0)
	v_mul_f64 v[88:89], v[198:199], v[90:91]
	s_delay_alu instid0(VALU_DEP_1) | instskip(SKIP_1) | instid1(VALU_DEP_2)
	v_fma_f64 v[88:89], v[196:197], v[204:205], -v[88:89]
	v_mul_f64 v[196:197], v[196:197], v[90:91]
	v_add_f64 v[84:85], v[84:85], -v[88:89]
	s_delay_alu instid0(VALU_DEP_2) | instskip(NEXT) | instid1(VALU_DEP_1)
	v_fma_f64 v[196:197], v[198:199], v[204:205], v[196:197]
	v_add_f64 v[86:87], v[86:87], -v[196:197]
	ds_load_2addr_b64 v[196:199], v206 offset0:56 offset1:57
	s_waitcnt lgkmcnt(0)
	v_mul_f64 v[88:89], v[198:199], v[90:91]
	s_delay_alu instid0(VALU_DEP_1) | instskip(SKIP_1) | instid1(VALU_DEP_2)
	v_fma_f64 v[88:89], v[196:197], v[204:205], -v[88:89]
	v_mul_f64 v[196:197], v[196:197], v[90:91]
	v_add_f64 v[80:81], v[80:81], -v[88:89]
	s_delay_alu instid0(VALU_DEP_2) | instskip(NEXT) | instid1(VALU_DEP_1)
	v_fma_f64 v[196:197], v[198:199], v[204:205], v[196:197]
	v_add_f64 v[82:83], v[82:83], -v[196:197]
	;; [unrolled: 10-line block ×21, first 2 shown]
	ds_load_2addr_b64 v[196:199], v206 offset0:96 offset1:97
	s_waitcnt lgkmcnt(0)
	v_mul_f64 v[88:89], v[198:199], v[90:91]
	s_delay_alu instid0(VALU_DEP_1) | instskip(SKIP_1) | instid1(VALU_DEP_2)
	v_fma_f64 v[88:89], v[196:197], v[204:205], -v[88:89]
	v_mul_f64 v[196:197], v[196:197], v[90:91]
	v_add_f64 v[0:1], v[0:1], -v[88:89]
	s_delay_alu instid0(VALU_DEP_2) | instskip(SKIP_1) | instid1(VALU_DEP_2)
	v_fma_f64 v[196:197], v[198:199], v[204:205], v[196:197]
	v_dual_mov_b32 v88, v204 :: v_dual_mov_b32 v89, v205
	v_add_f64 v[2:3], v[2:3], -v[196:197]
.LBB96_566:
	s_or_b32 exec_lo, exec_lo, s2
	v_lshl_add_u32 v196, v212, 4, v206
	s_barrier
	buffer_gl0_inv
	v_mov_b32_e32 v204, 27
	ds_store_2addr_b64 v196, v[84:85], v[86:87] offset1:1
	s_waitcnt lgkmcnt(0)
	s_barrier
	buffer_gl0_inv
	ds_load_2addr_b64 v[196:199], v206 offset0:54 offset1:55
	s_cmp_lt_i32 s5, 29
	s_cbranch_scc1 .LBB96_569
; %bb.567:
	v_add3_u32 v205, v211, 0, 0x1c0
	v_mov_b32_e32 v204, 27
	s_mov_b32 s6, 28
	s_set_inst_prefetch_distance 0x1
	.p2align	6
.LBB96_568:                             ; =>This Inner Loop Header: Depth=1
	ds_load_2addr_b64 v[213:216], v205 offset1:1
	s_waitcnt lgkmcnt(1)
	v_cmp_gt_f64_e32 vcc_lo, 0, v[196:197]
	v_xor_b32_e32 v217, 0x80000000, v197
	v_cmp_gt_f64_e64 s2, 0, v[198:199]
	v_xor_b32_e32 v219, 0x80000000, v199
	v_add_nc_u32_e32 v205, 16, v205
	s_waitcnt lgkmcnt(0)
	v_cmp_gt_f64_e64 s3, 0, v[213:214]
	v_mov_b32_e32 v221, v213
	v_dual_mov_b32 v223, v215 :: v_dual_cndmask_b32 v218, v197, v217
	v_xor_b32_e32 v217, 0x80000000, v214
	v_cndmask_b32_e64 v220, v199, v219, s2
	v_xor_b32_e32 v219, 0x80000000, v216
	s_delay_alu instid0(VALU_DEP_3) | instskip(SKIP_2) | instid1(VALU_DEP_2)
	v_cndmask_b32_e64 v222, v214, v217, s3
	v_cmp_gt_f64_e64 s3, 0, v[215:216]
	v_cndmask_b32_e32 v217, v196, v196, vcc_lo
	v_cndmask_b32_e64 v224, v216, v219, s3
	v_cndmask_b32_e64 v219, v198, v198, s2
	s_delay_alu instid0(VALU_DEP_2) | instskip(NEXT) | instid1(VALU_DEP_2)
	v_add_f64 v[221:222], v[221:222], v[223:224]
	v_add_f64 v[217:218], v[217:218], v[219:220]
	s_delay_alu instid0(VALU_DEP_1) | instskip(SKIP_4) | instid1(SALU_CYCLE_1)
	v_cmp_lt_f64_e32 vcc_lo, v[217:218], v[221:222]
	v_dual_cndmask_b32 v198, v198, v215 :: v_dual_cndmask_b32 v197, v197, v214
	v_dual_cndmask_b32 v196, v196, v213 :: v_dual_cndmask_b32 v199, v199, v216
	v_cndmask_b32_e64 v204, v204, s6, vcc_lo
	s_add_i32 s6, s6, 1
	s_cmp_lg_u32 s5, s6
	s_cbranch_scc1 .LBB96_568
.LBB96_569:
	s_set_inst_prefetch_distance 0x2
	s_waitcnt lgkmcnt(0)
	v_cmp_eq_f64_e32 vcc_lo, 0, v[196:197]
	v_cmp_eq_f64_e64 s2, 0, v[198:199]
	s_delay_alu instid0(VALU_DEP_1) | instskip(NEXT) | instid1(SALU_CYCLE_1)
	s_and_b32 s2, vcc_lo, s2
	s_and_saveexec_b32 s3, s2
	s_delay_alu instid0(SALU_CYCLE_1)
	s_xor_b32 s2, exec_lo, s3
; %bb.570:
	v_cmp_ne_u32_e32 vcc_lo, 0, v209
	v_cndmask_b32_e32 v209, 28, v209, vcc_lo
; %bb.571:
	s_and_not1_saveexec_b32 s3, s2
	s_cbranch_execz .LBB96_577
; %bb.572:
	v_cmp_gt_f64_e32 vcc_lo, 0, v[196:197]
	v_cmp_gt_f64_e64 s2, 0, v[198:199]
	v_xor_b32_e32 v205, 0x80000000, v197
	v_xor_b32_e32 v213, 0x80000000, v199
	s_delay_alu instid0(VALU_DEP_2) | instskip(NEXT) | instid1(VALU_DEP_2)
	v_cndmask_b32_e32 v214, v197, v205, vcc_lo
	v_cndmask_b32_e64 v216, v199, v213, s2
	v_cndmask_b32_e32 v213, v196, v196, vcc_lo
	v_cndmask_b32_e64 v215, v198, v198, s2
	s_mov_b32 s2, exec_lo
	s_delay_alu instid0(VALU_DEP_1)
	v_cmpx_ngt_f64_e32 v[213:214], v[215:216]
	s_xor_b32 s2, exec_lo, s2
	s_cbranch_execz .LBB96_574
; %bb.573:
	v_div_scale_f64 v[213:214], null, v[198:199], v[198:199], v[196:197]
	v_div_scale_f64 v[219:220], vcc_lo, v[196:197], v[198:199], v[196:197]
	s_delay_alu instid0(VALU_DEP_2) | instskip(SKIP_2) | instid1(VALU_DEP_1)
	v_rcp_f64_e32 v[215:216], v[213:214]
	s_waitcnt_depctr 0xfff
	v_fma_f64 v[217:218], -v[213:214], v[215:216], 1.0
	v_fma_f64 v[215:216], v[215:216], v[217:218], v[215:216]
	s_delay_alu instid0(VALU_DEP_1) | instskip(NEXT) | instid1(VALU_DEP_1)
	v_fma_f64 v[217:218], -v[213:214], v[215:216], 1.0
	v_fma_f64 v[215:216], v[215:216], v[217:218], v[215:216]
	s_delay_alu instid0(VALU_DEP_1) | instskip(NEXT) | instid1(VALU_DEP_1)
	v_mul_f64 v[217:218], v[219:220], v[215:216]
	v_fma_f64 v[213:214], -v[213:214], v[217:218], v[219:220]
	s_delay_alu instid0(VALU_DEP_1) | instskip(NEXT) | instid1(VALU_DEP_1)
	v_div_fmas_f64 v[213:214], v[213:214], v[215:216], v[217:218]
	v_div_fixup_f64 v[213:214], v[213:214], v[198:199], v[196:197]
	s_delay_alu instid0(VALU_DEP_1) | instskip(NEXT) | instid1(VALU_DEP_1)
	v_fma_f64 v[196:197], v[196:197], v[213:214], v[198:199]
	v_div_scale_f64 v[198:199], null, v[196:197], v[196:197], 1.0
	s_delay_alu instid0(VALU_DEP_1) | instskip(SKIP_2) | instid1(VALU_DEP_1)
	v_rcp_f64_e32 v[215:216], v[198:199]
	s_waitcnt_depctr 0xfff
	v_fma_f64 v[217:218], -v[198:199], v[215:216], 1.0
	v_fma_f64 v[215:216], v[215:216], v[217:218], v[215:216]
	s_delay_alu instid0(VALU_DEP_1) | instskip(NEXT) | instid1(VALU_DEP_1)
	v_fma_f64 v[217:218], -v[198:199], v[215:216], 1.0
	v_fma_f64 v[215:216], v[215:216], v[217:218], v[215:216]
	v_div_scale_f64 v[217:218], vcc_lo, 1.0, v[196:197], 1.0
	s_delay_alu instid0(VALU_DEP_1) | instskip(NEXT) | instid1(VALU_DEP_1)
	v_mul_f64 v[219:220], v[217:218], v[215:216]
	v_fma_f64 v[198:199], -v[198:199], v[219:220], v[217:218]
	s_delay_alu instid0(VALU_DEP_1) | instskip(NEXT) | instid1(VALU_DEP_1)
	v_div_fmas_f64 v[198:199], v[198:199], v[215:216], v[219:220]
	v_div_fixup_f64 v[198:199], v[198:199], v[196:197], 1.0
	s_delay_alu instid0(VALU_DEP_1)
	v_mul_f64 v[196:197], v[213:214], v[198:199]
	v_xor_b32_e32 v199, 0x80000000, v199
.LBB96_574:
	s_and_not1_saveexec_b32 s2, s2
	s_cbranch_execz .LBB96_576
; %bb.575:
	s_delay_alu instid0(VALU_DEP_1) | instskip(SKIP_1) | instid1(VALU_DEP_2)
	v_div_scale_f64 v[213:214], null, v[196:197], v[196:197], v[198:199]
	v_div_scale_f64 v[219:220], vcc_lo, v[198:199], v[196:197], v[198:199]
	v_rcp_f64_e32 v[215:216], v[213:214]
	s_waitcnt_depctr 0xfff
	v_fma_f64 v[217:218], -v[213:214], v[215:216], 1.0
	s_delay_alu instid0(VALU_DEP_1) | instskip(NEXT) | instid1(VALU_DEP_1)
	v_fma_f64 v[215:216], v[215:216], v[217:218], v[215:216]
	v_fma_f64 v[217:218], -v[213:214], v[215:216], 1.0
	s_delay_alu instid0(VALU_DEP_1) | instskip(NEXT) | instid1(VALU_DEP_1)
	v_fma_f64 v[215:216], v[215:216], v[217:218], v[215:216]
	v_mul_f64 v[217:218], v[219:220], v[215:216]
	s_delay_alu instid0(VALU_DEP_1) | instskip(NEXT) | instid1(VALU_DEP_1)
	v_fma_f64 v[213:214], -v[213:214], v[217:218], v[219:220]
	v_div_fmas_f64 v[213:214], v[213:214], v[215:216], v[217:218]
	s_delay_alu instid0(VALU_DEP_1) | instskip(NEXT) | instid1(VALU_DEP_1)
	v_div_fixup_f64 v[213:214], v[213:214], v[196:197], v[198:199]
	v_fma_f64 v[196:197], v[198:199], v[213:214], v[196:197]
	s_delay_alu instid0(VALU_DEP_1) | instskip(NEXT) | instid1(VALU_DEP_1)
	v_div_scale_f64 v[198:199], null, v[196:197], v[196:197], 1.0
	v_rcp_f64_e32 v[215:216], v[198:199]
	s_waitcnt_depctr 0xfff
	v_fma_f64 v[217:218], -v[198:199], v[215:216], 1.0
	s_delay_alu instid0(VALU_DEP_1) | instskip(NEXT) | instid1(VALU_DEP_1)
	v_fma_f64 v[215:216], v[215:216], v[217:218], v[215:216]
	v_fma_f64 v[217:218], -v[198:199], v[215:216], 1.0
	s_delay_alu instid0(VALU_DEP_1) | instskip(SKIP_1) | instid1(VALU_DEP_1)
	v_fma_f64 v[215:216], v[215:216], v[217:218], v[215:216]
	v_div_scale_f64 v[217:218], vcc_lo, 1.0, v[196:197], 1.0
	v_mul_f64 v[219:220], v[217:218], v[215:216]
	s_delay_alu instid0(VALU_DEP_1) | instskip(NEXT) | instid1(VALU_DEP_1)
	v_fma_f64 v[198:199], -v[198:199], v[219:220], v[217:218]
	v_div_fmas_f64 v[198:199], v[198:199], v[215:216], v[219:220]
	s_delay_alu instid0(VALU_DEP_1) | instskip(NEXT) | instid1(VALU_DEP_1)
	v_div_fixup_f64 v[196:197], v[198:199], v[196:197], 1.0
	v_mul_f64 v[198:199], v[213:214], -v[196:197]
.LBB96_576:
	s_or_b32 exec_lo, exec_lo, s2
.LBB96_577:
	s_delay_alu instid0(SALU_CYCLE_1) | instskip(NEXT) | instid1(SALU_CYCLE_1)
	s_or_b32 exec_lo, exec_lo, s3
	s_mov_b32 s2, exec_lo
	v_cmpx_ne_u32_e64 v212, v204
	s_xor_b32 s2, exec_lo, s2
	s_cbranch_execz .LBB96_583
; %bb.578:
	s_mov_b32 s3, exec_lo
	v_cmpx_eq_u32_e32 27, v212
	s_cbranch_execz .LBB96_582
; %bb.579:
	v_cmp_ne_u32_e32 vcc_lo, 27, v204
	s_xor_b32 s6, s4, -1
	s_delay_alu instid0(SALU_CYCLE_1) | instskip(NEXT) | instid1(SALU_CYCLE_1)
	s_and_b32 s7, s6, vcc_lo
	s_and_saveexec_b32 s6, s7
	s_cbranch_execz .LBB96_581
; %bb.580:
	v_ashrrev_i32_e32 v205, 31, v204
	s_delay_alu instid0(VALU_DEP_1) | instskip(NEXT) | instid1(VALU_DEP_1)
	v_lshlrev_b64 v[212:213], 2, v[204:205]
	v_add_co_u32 v212, vcc_lo, v202, v212
	s_delay_alu instid0(VALU_DEP_2)
	v_add_co_ci_u32_e32 v213, vcc_lo, v203, v213, vcc_lo
	s_clause 0x1
	flat_load_b32 v205, v[212:213]
	flat_load_b32 v210, v[202:203] offset:108
	s_waitcnt vmcnt(1) lgkmcnt(1)
	flat_store_b32 v[202:203], v205 offset:108
	s_waitcnt vmcnt(0) lgkmcnt(1)
	flat_store_b32 v[212:213], v210
.LBB96_581:
	s_or_b32 exec_lo, exec_lo, s6
	v_mov_b32_e32 v212, v204
	v_mov_b32_e32 v210, v204
.LBB96_582:
	s_or_b32 exec_lo, exec_lo, s3
.LBB96_583:
	s_and_not1_saveexec_b32 s2, s2
	s_cbranch_execz .LBB96_585
; %bb.584:
	v_mov_b32_e32 v212, 27
	ds_store_2addr_b64 v206, v[80:81], v[82:83] offset0:56 offset1:57
	ds_store_2addr_b64 v206, v[76:77], v[78:79] offset0:58 offset1:59
	;; [unrolled: 1-line block ×21, first 2 shown]
.LBB96_585:
	s_or_b32 exec_lo, exec_lo, s2
	s_delay_alu instid0(SALU_CYCLE_1)
	s_mov_b32 s2, exec_lo
	s_waitcnt lgkmcnt(0)
	s_waitcnt_vscnt null, 0x0
	s_barrier
	buffer_gl0_inv
	v_cmpx_lt_i32_e32 27, v212
	s_cbranch_execz .LBB96_587
; %bb.586:
	v_mul_f64 v[204:205], v[198:199], v[86:87]
	v_mul_f64 v[86:87], v[196:197], v[86:87]
	s_delay_alu instid0(VALU_DEP_2) | instskip(NEXT) | instid1(VALU_DEP_2)
	v_fma_f64 v[204:205], v[196:197], v[84:85], -v[204:205]
	v_fma_f64 v[86:87], v[198:199], v[84:85], v[86:87]
	ds_load_2addr_b64 v[196:199], v206 offset0:56 offset1:57
	s_waitcnt lgkmcnt(0)
	v_mul_f64 v[84:85], v[198:199], v[86:87]
	s_delay_alu instid0(VALU_DEP_1) | instskip(SKIP_1) | instid1(VALU_DEP_2)
	v_fma_f64 v[84:85], v[196:197], v[204:205], -v[84:85]
	v_mul_f64 v[196:197], v[196:197], v[86:87]
	v_add_f64 v[80:81], v[80:81], -v[84:85]
	s_delay_alu instid0(VALU_DEP_2) | instskip(NEXT) | instid1(VALU_DEP_1)
	v_fma_f64 v[196:197], v[198:199], v[204:205], v[196:197]
	v_add_f64 v[82:83], v[82:83], -v[196:197]
	ds_load_2addr_b64 v[196:199], v206 offset0:58 offset1:59
	s_waitcnt lgkmcnt(0)
	v_mul_f64 v[84:85], v[198:199], v[86:87]
	s_delay_alu instid0(VALU_DEP_1) | instskip(SKIP_1) | instid1(VALU_DEP_2)
	v_fma_f64 v[84:85], v[196:197], v[204:205], -v[84:85]
	v_mul_f64 v[196:197], v[196:197], v[86:87]
	v_add_f64 v[76:77], v[76:77], -v[84:85]
	s_delay_alu instid0(VALU_DEP_2) | instskip(NEXT) | instid1(VALU_DEP_1)
	v_fma_f64 v[196:197], v[198:199], v[204:205], v[196:197]
	v_add_f64 v[78:79], v[78:79], -v[196:197]
	;; [unrolled: 10-line block ×20, first 2 shown]
	ds_load_2addr_b64 v[196:199], v206 offset0:96 offset1:97
	s_waitcnt lgkmcnt(0)
	v_mul_f64 v[84:85], v[198:199], v[86:87]
	s_delay_alu instid0(VALU_DEP_1) | instskip(SKIP_1) | instid1(VALU_DEP_2)
	v_fma_f64 v[84:85], v[196:197], v[204:205], -v[84:85]
	v_mul_f64 v[196:197], v[196:197], v[86:87]
	v_add_f64 v[0:1], v[0:1], -v[84:85]
	s_delay_alu instid0(VALU_DEP_2) | instskip(SKIP_1) | instid1(VALU_DEP_2)
	v_fma_f64 v[196:197], v[198:199], v[204:205], v[196:197]
	v_dual_mov_b32 v84, v204 :: v_dual_mov_b32 v85, v205
	v_add_f64 v[2:3], v[2:3], -v[196:197]
.LBB96_587:
	s_or_b32 exec_lo, exec_lo, s2
	v_lshl_add_u32 v196, v212, 4, v206
	s_barrier
	buffer_gl0_inv
	v_mov_b32_e32 v204, 28
	ds_store_2addr_b64 v196, v[80:81], v[82:83] offset1:1
	s_waitcnt lgkmcnt(0)
	s_barrier
	buffer_gl0_inv
	ds_load_2addr_b64 v[196:199], v206 offset0:56 offset1:57
	s_cmp_lt_i32 s5, 30
	s_cbranch_scc1 .LBB96_590
; %bb.588:
	v_add3_u32 v205, v211, 0, 0x1d0
	v_mov_b32_e32 v204, 28
	s_mov_b32 s6, 29
	s_set_inst_prefetch_distance 0x1
	.p2align	6
.LBB96_589:                             ; =>This Inner Loop Header: Depth=1
	ds_load_2addr_b64 v[213:216], v205 offset1:1
	s_waitcnt lgkmcnt(1)
	v_cmp_gt_f64_e32 vcc_lo, 0, v[196:197]
	v_xor_b32_e32 v217, 0x80000000, v197
	v_cmp_gt_f64_e64 s2, 0, v[198:199]
	v_xor_b32_e32 v219, 0x80000000, v199
	v_add_nc_u32_e32 v205, 16, v205
	s_waitcnt lgkmcnt(0)
	v_cmp_gt_f64_e64 s3, 0, v[213:214]
	v_mov_b32_e32 v221, v213
	v_dual_mov_b32 v223, v215 :: v_dual_cndmask_b32 v218, v197, v217
	v_xor_b32_e32 v217, 0x80000000, v214
	v_cndmask_b32_e64 v220, v199, v219, s2
	v_xor_b32_e32 v219, 0x80000000, v216
	s_delay_alu instid0(VALU_DEP_3) | instskip(SKIP_2) | instid1(VALU_DEP_2)
	v_cndmask_b32_e64 v222, v214, v217, s3
	v_cmp_gt_f64_e64 s3, 0, v[215:216]
	v_cndmask_b32_e32 v217, v196, v196, vcc_lo
	v_cndmask_b32_e64 v224, v216, v219, s3
	v_cndmask_b32_e64 v219, v198, v198, s2
	s_delay_alu instid0(VALU_DEP_2) | instskip(NEXT) | instid1(VALU_DEP_2)
	v_add_f64 v[221:222], v[221:222], v[223:224]
	v_add_f64 v[217:218], v[217:218], v[219:220]
	s_delay_alu instid0(VALU_DEP_1) | instskip(SKIP_4) | instid1(SALU_CYCLE_1)
	v_cmp_lt_f64_e32 vcc_lo, v[217:218], v[221:222]
	v_dual_cndmask_b32 v198, v198, v215 :: v_dual_cndmask_b32 v197, v197, v214
	v_dual_cndmask_b32 v196, v196, v213 :: v_dual_cndmask_b32 v199, v199, v216
	v_cndmask_b32_e64 v204, v204, s6, vcc_lo
	s_add_i32 s6, s6, 1
	s_cmp_lg_u32 s5, s6
	s_cbranch_scc1 .LBB96_589
.LBB96_590:
	s_set_inst_prefetch_distance 0x2
	s_waitcnt lgkmcnt(0)
	v_cmp_eq_f64_e32 vcc_lo, 0, v[196:197]
	v_cmp_eq_f64_e64 s2, 0, v[198:199]
	s_delay_alu instid0(VALU_DEP_1) | instskip(NEXT) | instid1(SALU_CYCLE_1)
	s_and_b32 s2, vcc_lo, s2
	s_and_saveexec_b32 s3, s2
	s_delay_alu instid0(SALU_CYCLE_1)
	s_xor_b32 s2, exec_lo, s3
; %bb.591:
	v_cmp_ne_u32_e32 vcc_lo, 0, v209
	v_cndmask_b32_e32 v209, 29, v209, vcc_lo
; %bb.592:
	s_and_not1_saveexec_b32 s3, s2
	s_cbranch_execz .LBB96_598
; %bb.593:
	v_cmp_gt_f64_e32 vcc_lo, 0, v[196:197]
	v_cmp_gt_f64_e64 s2, 0, v[198:199]
	v_xor_b32_e32 v205, 0x80000000, v197
	v_xor_b32_e32 v213, 0x80000000, v199
	s_delay_alu instid0(VALU_DEP_2) | instskip(NEXT) | instid1(VALU_DEP_2)
	v_cndmask_b32_e32 v214, v197, v205, vcc_lo
	v_cndmask_b32_e64 v216, v199, v213, s2
	v_cndmask_b32_e32 v213, v196, v196, vcc_lo
	v_cndmask_b32_e64 v215, v198, v198, s2
	s_mov_b32 s2, exec_lo
	s_delay_alu instid0(VALU_DEP_1)
	v_cmpx_ngt_f64_e32 v[213:214], v[215:216]
	s_xor_b32 s2, exec_lo, s2
	s_cbranch_execz .LBB96_595
; %bb.594:
	v_div_scale_f64 v[213:214], null, v[198:199], v[198:199], v[196:197]
	v_div_scale_f64 v[219:220], vcc_lo, v[196:197], v[198:199], v[196:197]
	s_delay_alu instid0(VALU_DEP_2) | instskip(SKIP_2) | instid1(VALU_DEP_1)
	v_rcp_f64_e32 v[215:216], v[213:214]
	s_waitcnt_depctr 0xfff
	v_fma_f64 v[217:218], -v[213:214], v[215:216], 1.0
	v_fma_f64 v[215:216], v[215:216], v[217:218], v[215:216]
	s_delay_alu instid0(VALU_DEP_1) | instskip(NEXT) | instid1(VALU_DEP_1)
	v_fma_f64 v[217:218], -v[213:214], v[215:216], 1.0
	v_fma_f64 v[215:216], v[215:216], v[217:218], v[215:216]
	s_delay_alu instid0(VALU_DEP_1) | instskip(NEXT) | instid1(VALU_DEP_1)
	v_mul_f64 v[217:218], v[219:220], v[215:216]
	v_fma_f64 v[213:214], -v[213:214], v[217:218], v[219:220]
	s_delay_alu instid0(VALU_DEP_1) | instskip(NEXT) | instid1(VALU_DEP_1)
	v_div_fmas_f64 v[213:214], v[213:214], v[215:216], v[217:218]
	v_div_fixup_f64 v[213:214], v[213:214], v[198:199], v[196:197]
	s_delay_alu instid0(VALU_DEP_1) | instskip(NEXT) | instid1(VALU_DEP_1)
	v_fma_f64 v[196:197], v[196:197], v[213:214], v[198:199]
	v_div_scale_f64 v[198:199], null, v[196:197], v[196:197], 1.0
	s_delay_alu instid0(VALU_DEP_1) | instskip(SKIP_2) | instid1(VALU_DEP_1)
	v_rcp_f64_e32 v[215:216], v[198:199]
	s_waitcnt_depctr 0xfff
	v_fma_f64 v[217:218], -v[198:199], v[215:216], 1.0
	v_fma_f64 v[215:216], v[215:216], v[217:218], v[215:216]
	s_delay_alu instid0(VALU_DEP_1) | instskip(NEXT) | instid1(VALU_DEP_1)
	v_fma_f64 v[217:218], -v[198:199], v[215:216], 1.0
	v_fma_f64 v[215:216], v[215:216], v[217:218], v[215:216]
	v_div_scale_f64 v[217:218], vcc_lo, 1.0, v[196:197], 1.0
	s_delay_alu instid0(VALU_DEP_1) | instskip(NEXT) | instid1(VALU_DEP_1)
	v_mul_f64 v[219:220], v[217:218], v[215:216]
	v_fma_f64 v[198:199], -v[198:199], v[219:220], v[217:218]
	s_delay_alu instid0(VALU_DEP_1) | instskip(NEXT) | instid1(VALU_DEP_1)
	v_div_fmas_f64 v[198:199], v[198:199], v[215:216], v[219:220]
	v_div_fixup_f64 v[198:199], v[198:199], v[196:197], 1.0
	s_delay_alu instid0(VALU_DEP_1)
	v_mul_f64 v[196:197], v[213:214], v[198:199]
	v_xor_b32_e32 v199, 0x80000000, v199
.LBB96_595:
	s_and_not1_saveexec_b32 s2, s2
	s_cbranch_execz .LBB96_597
; %bb.596:
	s_delay_alu instid0(VALU_DEP_1) | instskip(SKIP_1) | instid1(VALU_DEP_2)
	v_div_scale_f64 v[213:214], null, v[196:197], v[196:197], v[198:199]
	v_div_scale_f64 v[219:220], vcc_lo, v[198:199], v[196:197], v[198:199]
	v_rcp_f64_e32 v[215:216], v[213:214]
	s_waitcnt_depctr 0xfff
	v_fma_f64 v[217:218], -v[213:214], v[215:216], 1.0
	s_delay_alu instid0(VALU_DEP_1) | instskip(NEXT) | instid1(VALU_DEP_1)
	v_fma_f64 v[215:216], v[215:216], v[217:218], v[215:216]
	v_fma_f64 v[217:218], -v[213:214], v[215:216], 1.0
	s_delay_alu instid0(VALU_DEP_1) | instskip(NEXT) | instid1(VALU_DEP_1)
	v_fma_f64 v[215:216], v[215:216], v[217:218], v[215:216]
	v_mul_f64 v[217:218], v[219:220], v[215:216]
	s_delay_alu instid0(VALU_DEP_1) | instskip(NEXT) | instid1(VALU_DEP_1)
	v_fma_f64 v[213:214], -v[213:214], v[217:218], v[219:220]
	v_div_fmas_f64 v[213:214], v[213:214], v[215:216], v[217:218]
	s_delay_alu instid0(VALU_DEP_1) | instskip(NEXT) | instid1(VALU_DEP_1)
	v_div_fixup_f64 v[213:214], v[213:214], v[196:197], v[198:199]
	v_fma_f64 v[196:197], v[198:199], v[213:214], v[196:197]
	s_delay_alu instid0(VALU_DEP_1) | instskip(NEXT) | instid1(VALU_DEP_1)
	v_div_scale_f64 v[198:199], null, v[196:197], v[196:197], 1.0
	v_rcp_f64_e32 v[215:216], v[198:199]
	s_waitcnt_depctr 0xfff
	v_fma_f64 v[217:218], -v[198:199], v[215:216], 1.0
	s_delay_alu instid0(VALU_DEP_1) | instskip(NEXT) | instid1(VALU_DEP_1)
	v_fma_f64 v[215:216], v[215:216], v[217:218], v[215:216]
	v_fma_f64 v[217:218], -v[198:199], v[215:216], 1.0
	s_delay_alu instid0(VALU_DEP_1) | instskip(SKIP_1) | instid1(VALU_DEP_1)
	v_fma_f64 v[215:216], v[215:216], v[217:218], v[215:216]
	v_div_scale_f64 v[217:218], vcc_lo, 1.0, v[196:197], 1.0
	v_mul_f64 v[219:220], v[217:218], v[215:216]
	s_delay_alu instid0(VALU_DEP_1) | instskip(NEXT) | instid1(VALU_DEP_1)
	v_fma_f64 v[198:199], -v[198:199], v[219:220], v[217:218]
	v_div_fmas_f64 v[198:199], v[198:199], v[215:216], v[219:220]
	s_delay_alu instid0(VALU_DEP_1) | instskip(NEXT) | instid1(VALU_DEP_1)
	v_div_fixup_f64 v[196:197], v[198:199], v[196:197], 1.0
	v_mul_f64 v[198:199], v[213:214], -v[196:197]
.LBB96_597:
	s_or_b32 exec_lo, exec_lo, s2
.LBB96_598:
	s_delay_alu instid0(SALU_CYCLE_1) | instskip(NEXT) | instid1(SALU_CYCLE_1)
	s_or_b32 exec_lo, exec_lo, s3
	s_mov_b32 s2, exec_lo
	v_cmpx_ne_u32_e64 v212, v204
	s_xor_b32 s2, exec_lo, s2
	s_cbranch_execz .LBB96_604
; %bb.599:
	s_mov_b32 s3, exec_lo
	v_cmpx_eq_u32_e32 28, v212
	s_cbranch_execz .LBB96_603
; %bb.600:
	v_cmp_ne_u32_e32 vcc_lo, 28, v204
	s_xor_b32 s6, s4, -1
	s_delay_alu instid0(SALU_CYCLE_1) | instskip(NEXT) | instid1(SALU_CYCLE_1)
	s_and_b32 s7, s6, vcc_lo
	s_and_saveexec_b32 s6, s7
	s_cbranch_execz .LBB96_602
; %bb.601:
	v_ashrrev_i32_e32 v205, 31, v204
	s_delay_alu instid0(VALU_DEP_1) | instskip(NEXT) | instid1(VALU_DEP_1)
	v_lshlrev_b64 v[212:213], 2, v[204:205]
	v_add_co_u32 v212, vcc_lo, v202, v212
	s_delay_alu instid0(VALU_DEP_2)
	v_add_co_ci_u32_e32 v213, vcc_lo, v203, v213, vcc_lo
	s_clause 0x1
	flat_load_b32 v205, v[212:213]
	flat_load_b32 v210, v[202:203] offset:112
	s_waitcnt vmcnt(1) lgkmcnt(1)
	flat_store_b32 v[202:203], v205 offset:112
	s_waitcnt vmcnt(0) lgkmcnt(1)
	flat_store_b32 v[212:213], v210
.LBB96_602:
	s_or_b32 exec_lo, exec_lo, s6
	v_mov_b32_e32 v212, v204
	v_mov_b32_e32 v210, v204
.LBB96_603:
	s_or_b32 exec_lo, exec_lo, s3
.LBB96_604:
	s_and_not1_saveexec_b32 s2, s2
	s_cbranch_execz .LBB96_606
; %bb.605:
	v_mov_b32_e32 v212, 28
	ds_store_2addr_b64 v206, v[76:77], v[78:79] offset0:58 offset1:59
	ds_store_2addr_b64 v206, v[72:73], v[74:75] offset0:60 offset1:61
	;; [unrolled: 1-line block ×20, first 2 shown]
.LBB96_606:
	s_or_b32 exec_lo, exec_lo, s2
	s_delay_alu instid0(SALU_CYCLE_1)
	s_mov_b32 s2, exec_lo
	s_waitcnt lgkmcnt(0)
	s_waitcnt_vscnt null, 0x0
	s_barrier
	buffer_gl0_inv
	v_cmpx_lt_i32_e32 28, v212
	s_cbranch_execz .LBB96_608
; %bb.607:
	v_mul_f64 v[204:205], v[198:199], v[82:83]
	v_mul_f64 v[82:83], v[196:197], v[82:83]
	s_delay_alu instid0(VALU_DEP_2) | instskip(NEXT) | instid1(VALU_DEP_2)
	v_fma_f64 v[204:205], v[196:197], v[80:81], -v[204:205]
	v_fma_f64 v[82:83], v[198:199], v[80:81], v[82:83]
	ds_load_2addr_b64 v[196:199], v206 offset0:58 offset1:59
	s_waitcnt lgkmcnt(0)
	v_mul_f64 v[80:81], v[198:199], v[82:83]
	s_delay_alu instid0(VALU_DEP_1) | instskip(SKIP_1) | instid1(VALU_DEP_2)
	v_fma_f64 v[80:81], v[196:197], v[204:205], -v[80:81]
	v_mul_f64 v[196:197], v[196:197], v[82:83]
	v_add_f64 v[76:77], v[76:77], -v[80:81]
	s_delay_alu instid0(VALU_DEP_2) | instskip(NEXT) | instid1(VALU_DEP_1)
	v_fma_f64 v[196:197], v[198:199], v[204:205], v[196:197]
	v_add_f64 v[78:79], v[78:79], -v[196:197]
	ds_load_2addr_b64 v[196:199], v206 offset0:60 offset1:61
	s_waitcnt lgkmcnt(0)
	v_mul_f64 v[80:81], v[198:199], v[82:83]
	s_delay_alu instid0(VALU_DEP_1) | instskip(SKIP_1) | instid1(VALU_DEP_2)
	v_fma_f64 v[80:81], v[196:197], v[204:205], -v[80:81]
	v_mul_f64 v[196:197], v[196:197], v[82:83]
	v_add_f64 v[72:73], v[72:73], -v[80:81]
	s_delay_alu instid0(VALU_DEP_2) | instskip(NEXT) | instid1(VALU_DEP_1)
	v_fma_f64 v[196:197], v[198:199], v[204:205], v[196:197]
	v_add_f64 v[74:75], v[74:75], -v[196:197]
	;; [unrolled: 10-line block ×19, first 2 shown]
	ds_load_2addr_b64 v[196:199], v206 offset0:96 offset1:97
	s_waitcnt lgkmcnt(0)
	v_mul_f64 v[80:81], v[198:199], v[82:83]
	s_delay_alu instid0(VALU_DEP_1) | instskip(SKIP_1) | instid1(VALU_DEP_2)
	v_fma_f64 v[80:81], v[196:197], v[204:205], -v[80:81]
	v_mul_f64 v[196:197], v[196:197], v[82:83]
	v_add_f64 v[0:1], v[0:1], -v[80:81]
	s_delay_alu instid0(VALU_DEP_2) | instskip(SKIP_1) | instid1(VALU_DEP_2)
	v_fma_f64 v[196:197], v[198:199], v[204:205], v[196:197]
	v_dual_mov_b32 v80, v204 :: v_dual_mov_b32 v81, v205
	v_add_f64 v[2:3], v[2:3], -v[196:197]
.LBB96_608:
	s_or_b32 exec_lo, exec_lo, s2
	v_lshl_add_u32 v196, v212, 4, v206
	s_barrier
	buffer_gl0_inv
	v_mov_b32_e32 v204, 29
	ds_store_2addr_b64 v196, v[76:77], v[78:79] offset1:1
	s_waitcnt lgkmcnt(0)
	s_barrier
	buffer_gl0_inv
	ds_load_2addr_b64 v[196:199], v206 offset0:58 offset1:59
	s_cmp_lt_i32 s5, 31
	s_cbranch_scc1 .LBB96_611
; %bb.609:
	v_add3_u32 v205, v211, 0, 0x1e0
	v_mov_b32_e32 v204, 29
	s_mov_b32 s6, 30
	s_set_inst_prefetch_distance 0x1
	.p2align	6
.LBB96_610:                             ; =>This Inner Loop Header: Depth=1
	ds_load_2addr_b64 v[213:216], v205 offset1:1
	s_waitcnt lgkmcnt(1)
	v_cmp_gt_f64_e32 vcc_lo, 0, v[196:197]
	v_xor_b32_e32 v217, 0x80000000, v197
	v_cmp_gt_f64_e64 s2, 0, v[198:199]
	v_xor_b32_e32 v219, 0x80000000, v199
	v_add_nc_u32_e32 v205, 16, v205
	s_waitcnt lgkmcnt(0)
	v_cmp_gt_f64_e64 s3, 0, v[213:214]
	v_mov_b32_e32 v221, v213
	v_dual_mov_b32 v223, v215 :: v_dual_cndmask_b32 v218, v197, v217
	v_xor_b32_e32 v217, 0x80000000, v214
	v_cndmask_b32_e64 v220, v199, v219, s2
	v_xor_b32_e32 v219, 0x80000000, v216
	s_delay_alu instid0(VALU_DEP_3) | instskip(SKIP_2) | instid1(VALU_DEP_2)
	v_cndmask_b32_e64 v222, v214, v217, s3
	v_cmp_gt_f64_e64 s3, 0, v[215:216]
	v_cndmask_b32_e32 v217, v196, v196, vcc_lo
	v_cndmask_b32_e64 v224, v216, v219, s3
	v_cndmask_b32_e64 v219, v198, v198, s2
	s_delay_alu instid0(VALU_DEP_2) | instskip(NEXT) | instid1(VALU_DEP_2)
	v_add_f64 v[221:222], v[221:222], v[223:224]
	v_add_f64 v[217:218], v[217:218], v[219:220]
	s_delay_alu instid0(VALU_DEP_1) | instskip(SKIP_4) | instid1(SALU_CYCLE_1)
	v_cmp_lt_f64_e32 vcc_lo, v[217:218], v[221:222]
	v_dual_cndmask_b32 v198, v198, v215 :: v_dual_cndmask_b32 v197, v197, v214
	v_dual_cndmask_b32 v196, v196, v213 :: v_dual_cndmask_b32 v199, v199, v216
	v_cndmask_b32_e64 v204, v204, s6, vcc_lo
	s_add_i32 s6, s6, 1
	s_cmp_lg_u32 s5, s6
	s_cbranch_scc1 .LBB96_610
.LBB96_611:
	s_set_inst_prefetch_distance 0x2
	s_waitcnt lgkmcnt(0)
	v_cmp_eq_f64_e32 vcc_lo, 0, v[196:197]
	v_cmp_eq_f64_e64 s2, 0, v[198:199]
	s_delay_alu instid0(VALU_DEP_1) | instskip(NEXT) | instid1(SALU_CYCLE_1)
	s_and_b32 s2, vcc_lo, s2
	s_and_saveexec_b32 s3, s2
	s_delay_alu instid0(SALU_CYCLE_1)
	s_xor_b32 s2, exec_lo, s3
; %bb.612:
	v_cmp_ne_u32_e32 vcc_lo, 0, v209
	v_cndmask_b32_e32 v209, 30, v209, vcc_lo
; %bb.613:
	s_and_not1_saveexec_b32 s3, s2
	s_cbranch_execz .LBB96_619
; %bb.614:
	v_cmp_gt_f64_e32 vcc_lo, 0, v[196:197]
	v_cmp_gt_f64_e64 s2, 0, v[198:199]
	v_xor_b32_e32 v205, 0x80000000, v197
	v_xor_b32_e32 v213, 0x80000000, v199
	s_delay_alu instid0(VALU_DEP_2) | instskip(NEXT) | instid1(VALU_DEP_2)
	v_cndmask_b32_e32 v214, v197, v205, vcc_lo
	v_cndmask_b32_e64 v216, v199, v213, s2
	v_cndmask_b32_e32 v213, v196, v196, vcc_lo
	v_cndmask_b32_e64 v215, v198, v198, s2
	s_mov_b32 s2, exec_lo
	s_delay_alu instid0(VALU_DEP_1)
	v_cmpx_ngt_f64_e32 v[213:214], v[215:216]
	s_xor_b32 s2, exec_lo, s2
	s_cbranch_execz .LBB96_616
; %bb.615:
	v_div_scale_f64 v[213:214], null, v[198:199], v[198:199], v[196:197]
	v_div_scale_f64 v[219:220], vcc_lo, v[196:197], v[198:199], v[196:197]
	s_delay_alu instid0(VALU_DEP_2) | instskip(SKIP_2) | instid1(VALU_DEP_1)
	v_rcp_f64_e32 v[215:216], v[213:214]
	s_waitcnt_depctr 0xfff
	v_fma_f64 v[217:218], -v[213:214], v[215:216], 1.0
	v_fma_f64 v[215:216], v[215:216], v[217:218], v[215:216]
	s_delay_alu instid0(VALU_DEP_1) | instskip(NEXT) | instid1(VALU_DEP_1)
	v_fma_f64 v[217:218], -v[213:214], v[215:216], 1.0
	v_fma_f64 v[215:216], v[215:216], v[217:218], v[215:216]
	s_delay_alu instid0(VALU_DEP_1) | instskip(NEXT) | instid1(VALU_DEP_1)
	v_mul_f64 v[217:218], v[219:220], v[215:216]
	v_fma_f64 v[213:214], -v[213:214], v[217:218], v[219:220]
	s_delay_alu instid0(VALU_DEP_1) | instskip(NEXT) | instid1(VALU_DEP_1)
	v_div_fmas_f64 v[213:214], v[213:214], v[215:216], v[217:218]
	v_div_fixup_f64 v[213:214], v[213:214], v[198:199], v[196:197]
	s_delay_alu instid0(VALU_DEP_1) | instskip(NEXT) | instid1(VALU_DEP_1)
	v_fma_f64 v[196:197], v[196:197], v[213:214], v[198:199]
	v_div_scale_f64 v[198:199], null, v[196:197], v[196:197], 1.0
	s_delay_alu instid0(VALU_DEP_1) | instskip(SKIP_2) | instid1(VALU_DEP_1)
	v_rcp_f64_e32 v[215:216], v[198:199]
	s_waitcnt_depctr 0xfff
	v_fma_f64 v[217:218], -v[198:199], v[215:216], 1.0
	v_fma_f64 v[215:216], v[215:216], v[217:218], v[215:216]
	s_delay_alu instid0(VALU_DEP_1) | instskip(NEXT) | instid1(VALU_DEP_1)
	v_fma_f64 v[217:218], -v[198:199], v[215:216], 1.0
	v_fma_f64 v[215:216], v[215:216], v[217:218], v[215:216]
	v_div_scale_f64 v[217:218], vcc_lo, 1.0, v[196:197], 1.0
	s_delay_alu instid0(VALU_DEP_1) | instskip(NEXT) | instid1(VALU_DEP_1)
	v_mul_f64 v[219:220], v[217:218], v[215:216]
	v_fma_f64 v[198:199], -v[198:199], v[219:220], v[217:218]
	s_delay_alu instid0(VALU_DEP_1) | instskip(NEXT) | instid1(VALU_DEP_1)
	v_div_fmas_f64 v[198:199], v[198:199], v[215:216], v[219:220]
	v_div_fixup_f64 v[198:199], v[198:199], v[196:197], 1.0
	s_delay_alu instid0(VALU_DEP_1)
	v_mul_f64 v[196:197], v[213:214], v[198:199]
	v_xor_b32_e32 v199, 0x80000000, v199
.LBB96_616:
	s_and_not1_saveexec_b32 s2, s2
	s_cbranch_execz .LBB96_618
; %bb.617:
	s_delay_alu instid0(VALU_DEP_1) | instskip(SKIP_1) | instid1(VALU_DEP_2)
	v_div_scale_f64 v[213:214], null, v[196:197], v[196:197], v[198:199]
	v_div_scale_f64 v[219:220], vcc_lo, v[198:199], v[196:197], v[198:199]
	v_rcp_f64_e32 v[215:216], v[213:214]
	s_waitcnt_depctr 0xfff
	v_fma_f64 v[217:218], -v[213:214], v[215:216], 1.0
	s_delay_alu instid0(VALU_DEP_1) | instskip(NEXT) | instid1(VALU_DEP_1)
	v_fma_f64 v[215:216], v[215:216], v[217:218], v[215:216]
	v_fma_f64 v[217:218], -v[213:214], v[215:216], 1.0
	s_delay_alu instid0(VALU_DEP_1) | instskip(NEXT) | instid1(VALU_DEP_1)
	v_fma_f64 v[215:216], v[215:216], v[217:218], v[215:216]
	v_mul_f64 v[217:218], v[219:220], v[215:216]
	s_delay_alu instid0(VALU_DEP_1) | instskip(NEXT) | instid1(VALU_DEP_1)
	v_fma_f64 v[213:214], -v[213:214], v[217:218], v[219:220]
	v_div_fmas_f64 v[213:214], v[213:214], v[215:216], v[217:218]
	s_delay_alu instid0(VALU_DEP_1) | instskip(NEXT) | instid1(VALU_DEP_1)
	v_div_fixup_f64 v[213:214], v[213:214], v[196:197], v[198:199]
	v_fma_f64 v[196:197], v[198:199], v[213:214], v[196:197]
	s_delay_alu instid0(VALU_DEP_1) | instskip(NEXT) | instid1(VALU_DEP_1)
	v_div_scale_f64 v[198:199], null, v[196:197], v[196:197], 1.0
	v_rcp_f64_e32 v[215:216], v[198:199]
	s_waitcnt_depctr 0xfff
	v_fma_f64 v[217:218], -v[198:199], v[215:216], 1.0
	s_delay_alu instid0(VALU_DEP_1) | instskip(NEXT) | instid1(VALU_DEP_1)
	v_fma_f64 v[215:216], v[215:216], v[217:218], v[215:216]
	v_fma_f64 v[217:218], -v[198:199], v[215:216], 1.0
	s_delay_alu instid0(VALU_DEP_1) | instskip(SKIP_1) | instid1(VALU_DEP_1)
	v_fma_f64 v[215:216], v[215:216], v[217:218], v[215:216]
	v_div_scale_f64 v[217:218], vcc_lo, 1.0, v[196:197], 1.0
	v_mul_f64 v[219:220], v[217:218], v[215:216]
	s_delay_alu instid0(VALU_DEP_1) | instskip(NEXT) | instid1(VALU_DEP_1)
	v_fma_f64 v[198:199], -v[198:199], v[219:220], v[217:218]
	v_div_fmas_f64 v[198:199], v[198:199], v[215:216], v[219:220]
	s_delay_alu instid0(VALU_DEP_1) | instskip(NEXT) | instid1(VALU_DEP_1)
	v_div_fixup_f64 v[196:197], v[198:199], v[196:197], 1.0
	v_mul_f64 v[198:199], v[213:214], -v[196:197]
.LBB96_618:
	s_or_b32 exec_lo, exec_lo, s2
.LBB96_619:
	s_delay_alu instid0(SALU_CYCLE_1) | instskip(NEXT) | instid1(SALU_CYCLE_1)
	s_or_b32 exec_lo, exec_lo, s3
	s_mov_b32 s2, exec_lo
	v_cmpx_ne_u32_e64 v212, v204
	s_xor_b32 s2, exec_lo, s2
	s_cbranch_execz .LBB96_625
; %bb.620:
	s_mov_b32 s3, exec_lo
	v_cmpx_eq_u32_e32 29, v212
	s_cbranch_execz .LBB96_624
; %bb.621:
	v_cmp_ne_u32_e32 vcc_lo, 29, v204
	s_xor_b32 s6, s4, -1
	s_delay_alu instid0(SALU_CYCLE_1) | instskip(NEXT) | instid1(SALU_CYCLE_1)
	s_and_b32 s7, s6, vcc_lo
	s_and_saveexec_b32 s6, s7
	s_cbranch_execz .LBB96_623
; %bb.622:
	v_ashrrev_i32_e32 v205, 31, v204
	s_delay_alu instid0(VALU_DEP_1) | instskip(NEXT) | instid1(VALU_DEP_1)
	v_lshlrev_b64 v[212:213], 2, v[204:205]
	v_add_co_u32 v212, vcc_lo, v202, v212
	s_delay_alu instid0(VALU_DEP_2)
	v_add_co_ci_u32_e32 v213, vcc_lo, v203, v213, vcc_lo
	s_clause 0x1
	flat_load_b32 v205, v[212:213]
	flat_load_b32 v210, v[202:203] offset:116
	s_waitcnt vmcnt(1) lgkmcnt(1)
	flat_store_b32 v[202:203], v205 offset:116
	s_waitcnt vmcnt(0) lgkmcnt(1)
	flat_store_b32 v[212:213], v210
.LBB96_623:
	s_or_b32 exec_lo, exec_lo, s6
	v_mov_b32_e32 v212, v204
	v_mov_b32_e32 v210, v204
.LBB96_624:
	s_or_b32 exec_lo, exec_lo, s3
.LBB96_625:
	s_and_not1_saveexec_b32 s2, s2
	s_cbranch_execz .LBB96_627
; %bb.626:
	v_mov_b32_e32 v212, 29
	ds_store_2addr_b64 v206, v[72:73], v[74:75] offset0:60 offset1:61
	ds_store_2addr_b64 v206, v[68:69], v[70:71] offset0:62 offset1:63
	;; [unrolled: 1-line block ×19, first 2 shown]
.LBB96_627:
	s_or_b32 exec_lo, exec_lo, s2
	s_delay_alu instid0(SALU_CYCLE_1)
	s_mov_b32 s2, exec_lo
	s_waitcnt lgkmcnt(0)
	s_waitcnt_vscnt null, 0x0
	s_barrier
	buffer_gl0_inv
	v_cmpx_lt_i32_e32 29, v212
	s_cbranch_execz .LBB96_629
; %bb.628:
	v_mul_f64 v[204:205], v[198:199], v[78:79]
	v_mul_f64 v[78:79], v[196:197], v[78:79]
	s_delay_alu instid0(VALU_DEP_2) | instskip(NEXT) | instid1(VALU_DEP_2)
	v_fma_f64 v[204:205], v[196:197], v[76:77], -v[204:205]
	v_fma_f64 v[78:79], v[198:199], v[76:77], v[78:79]
	ds_load_2addr_b64 v[196:199], v206 offset0:60 offset1:61
	s_waitcnt lgkmcnt(0)
	v_mul_f64 v[76:77], v[198:199], v[78:79]
	s_delay_alu instid0(VALU_DEP_1) | instskip(SKIP_1) | instid1(VALU_DEP_2)
	v_fma_f64 v[76:77], v[196:197], v[204:205], -v[76:77]
	v_mul_f64 v[196:197], v[196:197], v[78:79]
	v_add_f64 v[72:73], v[72:73], -v[76:77]
	s_delay_alu instid0(VALU_DEP_2) | instskip(NEXT) | instid1(VALU_DEP_1)
	v_fma_f64 v[196:197], v[198:199], v[204:205], v[196:197]
	v_add_f64 v[74:75], v[74:75], -v[196:197]
	ds_load_2addr_b64 v[196:199], v206 offset0:62 offset1:63
	s_waitcnt lgkmcnt(0)
	v_mul_f64 v[76:77], v[198:199], v[78:79]
	s_delay_alu instid0(VALU_DEP_1) | instskip(SKIP_1) | instid1(VALU_DEP_2)
	v_fma_f64 v[76:77], v[196:197], v[204:205], -v[76:77]
	v_mul_f64 v[196:197], v[196:197], v[78:79]
	v_add_f64 v[68:69], v[68:69], -v[76:77]
	s_delay_alu instid0(VALU_DEP_2) | instskip(NEXT) | instid1(VALU_DEP_1)
	v_fma_f64 v[196:197], v[198:199], v[204:205], v[196:197]
	v_add_f64 v[70:71], v[70:71], -v[196:197]
	ds_load_2addr_b64 v[196:199], v206 offset0:64 offset1:65
	s_waitcnt lgkmcnt(0)
	v_mul_f64 v[76:77], v[198:199], v[78:79]
	s_delay_alu instid0(VALU_DEP_1) | instskip(SKIP_1) | instid1(VALU_DEP_2)
	v_fma_f64 v[76:77], v[196:197], v[204:205], -v[76:77]
	v_mul_f64 v[196:197], v[196:197], v[78:79]
	v_add_f64 v[64:65], v[64:65], -v[76:77]
	s_delay_alu instid0(VALU_DEP_2) | instskip(NEXT) | instid1(VALU_DEP_1)
	v_fma_f64 v[196:197], v[198:199], v[204:205], v[196:197]
	v_add_f64 v[66:67], v[66:67], -v[196:197]
	ds_load_2addr_b64 v[196:199], v206 offset0:66 offset1:67
	s_waitcnt lgkmcnt(0)
	v_mul_f64 v[76:77], v[198:199], v[78:79]
	s_delay_alu instid0(VALU_DEP_1) | instskip(SKIP_1) | instid1(VALU_DEP_2)
	v_fma_f64 v[76:77], v[196:197], v[204:205], -v[76:77]
	v_mul_f64 v[196:197], v[196:197], v[78:79]
	v_add_f64 v[60:61], v[60:61], -v[76:77]
	s_delay_alu instid0(VALU_DEP_2) | instskip(NEXT) | instid1(VALU_DEP_1)
	v_fma_f64 v[196:197], v[198:199], v[204:205], v[196:197]
	v_add_f64 v[62:63], v[62:63], -v[196:197]
	ds_load_2addr_b64 v[196:199], v206 offset0:68 offset1:69
	s_waitcnt lgkmcnt(0)
	v_mul_f64 v[76:77], v[198:199], v[78:79]
	s_delay_alu instid0(VALU_DEP_1) | instskip(SKIP_1) | instid1(VALU_DEP_2)
	v_fma_f64 v[76:77], v[196:197], v[204:205], -v[76:77]
	v_mul_f64 v[196:197], v[196:197], v[78:79]
	v_add_f64 v[56:57], v[56:57], -v[76:77]
	s_delay_alu instid0(VALU_DEP_2) | instskip(NEXT) | instid1(VALU_DEP_1)
	v_fma_f64 v[196:197], v[198:199], v[204:205], v[196:197]
	v_add_f64 v[58:59], v[58:59], -v[196:197]
	ds_load_2addr_b64 v[196:199], v206 offset0:70 offset1:71
	s_waitcnt lgkmcnt(0)
	v_mul_f64 v[76:77], v[198:199], v[78:79]
	s_delay_alu instid0(VALU_DEP_1) | instskip(SKIP_1) | instid1(VALU_DEP_2)
	v_fma_f64 v[76:77], v[196:197], v[204:205], -v[76:77]
	v_mul_f64 v[196:197], v[196:197], v[78:79]
	v_add_f64 v[52:53], v[52:53], -v[76:77]
	s_delay_alu instid0(VALU_DEP_2) | instskip(NEXT) | instid1(VALU_DEP_1)
	v_fma_f64 v[196:197], v[198:199], v[204:205], v[196:197]
	v_add_f64 v[54:55], v[54:55], -v[196:197]
	ds_load_2addr_b64 v[196:199], v206 offset0:72 offset1:73
	s_waitcnt lgkmcnt(0)
	v_mul_f64 v[76:77], v[198:199], v[78:79]
	s_delay_alu instid0(VALU_DEP_1) | instskip(SKIP_1) | instid1(VALU_DEP_2)
	v_fma_f64 v[76:77], v[196:197], v[204:205], -v[76:77]
	v_mul_f64 v[196:197], v[196:197], v[78:79]
	v_add_f64 v[48:49], v[48:49], -v[76:77]
	s_delay_alu instid0(VALU_DEP_2) | instskip(NEXT) | instid1(VALU_DEP_1)
	v_fma_f64 v[196:197], v[198:199], v[204:205], v[196:197]
	v_add_f64 v[50:51], v[50:51], -v[196:197]
	ds_load_2addr_b64 v[196:199], v206 offset0:74 offset1:75
	s_waitcnt lgkmcnt(0)
	v_mul_f64 v[76:77], v[198:199], v[78:79]
	s_delay_alu instid0(VALU_DEP_1) | instskip(SKIP_1) | instid1(VALU_DEP_2)
	v_fma_f64 v[76:77], v[196:197], v[204:205], -v[76:77]
	v_mul_f64 v[196:197], v[196:197], v[78:79]
	v_add_f64 v[44:45], v[44:45], -v[76:77]
	s_delay_alu instid0(VALU_DEP_2) | instskip(NEXT) | instid1(VALU_DEP_1)
	v_fma_f64 v[196:197], v[198:199], v[204:205], v[196:197]
	v_add_f64 v[46:47], v[46:47], -v[196:197]
	ds_load_2addr_b64 v[196:199], v206 offset0:76 offset1:77
	s_waitcnt lgkmcnt(0)
	v_mul_f64 v[76:77], v[198:199], v[78:79]
	s_delay_alu instid0(VALU_DEP_1) | instskip(SKIP_1) | instid1(VALU_DEP_2)
	v_fma_f64 v[76:77], v[196:197], v[204:205], -v[76:77]
	v_mul_f64 v[196:197], v[196:197], v[78:79]
	v_add_f64 v[40:41], v[40:41], -v[76:77]
	s_delay_alu instid0(VALU_DEP_2) | instskip(NEXT) | instid1(VALU_DEP_1)
	v_fma_f64 v[196:197], v[198:199], v[204:205], v[196:197]
	v_add_f64 v[42:43], v[42:43], -v[196:197]
	ds_load_2addr_b64 v[196:199], v206 offset0:78 offset1:79
	s_waitcnt lgkmcnt(0)
	v_mul_f64 v[76:77], v[198:199], v[78:79]
	s_delay_alu instid0(VALU_DEP_1) | instskip(SKIP_1) | instid1(VALU_DEP_2)
	v_fma_f64 v[76:77], v[196:197], v[204:205], -v[76:77]
	v_mul_f64 v[196:197], v[196:197], v[78:79]
	v_add_f64 v[36:37], v[36:37], -v[76:77]
	s_delay_alu instid0(VALU_DEP_2) | instskip(NEXT) | instid1(VALU_DEP_1)
	v_fma_f64 v[196:197], v[198:199], v[204:205], v[196:197]
	v_add_f64 v[38:39], v[38:39], -v[196:197]
	ds_load_2addr_b64 v[196:199], v206 offset0:80 offset1:81
	s_waitcnt lgkmcnt(0)
	v_mul_f64 v[76:77], v[198:199], v[78:79]
	s_delay_alu instid0(VALU_DEP_1) | instskip(SKIP_1) | instid1(VALU_DEP_2)
	v_fma_f64 v[76:77], v[196:197], v[204:205], -v[76:77]
	v_mul_f64 v[196:197], v[196:197], v[78:79]
	v_add_f64 v[32:33], v[32:33], -v[76:77]
	s_delay_alu instid0(VALU_DEP_2) | instskip(NEXT) | instid1(VALU_DEP_1)
	v_fma_f64 v[196:197], v[198:199], v[204:205], v[196:197]
	v_add_f64 v[34:35], v[34:35], -v[196:197]
	ds_load_2addr_b64 v[196:199], v206 offset0:82 offset1:83
	s_waitcnt lgkmcnt(0)
	v_mul_f64 v[76:77], v[198:199], v[78:79]
	s_delay_alu instid0(VALU_DEP_1) | instskip(SKIP_1) | instid1(VALU_DEP_2)
	v_fma_f64 v[76:77], v[196:197], v[204:205], -v[76:77]
	v_mul_f64 v[196:197], v[196:197], v[78:79]
	v_add_f64 v[28:29], v[28:29], -v[76:77]
	s_delay_alu instid0(VALU_DEP_2) | instskip(NEXT) | instid1(VALU_DEP_1)
	v_fma_f64 v[196:197], v[198:199], v[204:205], v[196:197]
	v_add_f64 v[30:31], v[30:31], -v[196:197]
	ds_load_2addr_b64 v[196:199], v206 offset0:84 offset1:85
	s_waitcnt lgkmcnt(0)
	v_mul_f64 v[76:77], v[198:199], v[78:79]
	s_delay_alu instid0(VALU_DEP_1) | instskip(SKIP_1) | instid1(VALU_DEP_2)
	v_fma_f64 v[76:77], v[196:197], v[204:205], -v[76:77]
	v_mul_f64 v[196:197], v[196:197], v[78:79]
	v_add_f64 v[24:25], v[24:25], -v[76:77]
	s_delay_alu instid0(VALU_DEP_2) | instskip(NEXT) | instid1(VALU_DEP_1)
	v_fma_f64 v[196:197], v[198:199], v[204:205], v[196:197]
	v_add_f64 v[26:27], v[26:27], -v[196:197]
	ds_load_2addr_b64 v[196:199], v206 offset0:86 offset1:87
	s_waitcnt lgkmcnt(0)
	v_mul_f64 v[76:77], v[198:199], v[78:79]
	s_delay_alu instid0(VALU_DEP_1) | instskip(SKIP_1) | instid1(VALU_DEP_2)
	v_fma_f64 v[76:77], v[196:197], v[204:205], -v[76:77]
	v_mul_f64 v[196:197], v[196:197], v[78:79]
	v_add_f64 v[20:21], v[20:21], -v[76:77]
	s_delay_alu instid0(VALU_DEP_2) | instskip(NEXT) | instid1(VALU_DEP_1)
	v_fma_f64 v[196:197], v[198:199], v[204:205], v[196:197]
	v_add_f64 v[22:23], v[22:23], -v[196:197]
	ds_load_2addr_b64 v[196:199], v206 offset0:88 offset1:89
	s_waitcnt lgkmcnt(0)
	v_mul_f64 v[76:77], v[198:199], v[78:79]
	s_delay_alu instid0(VALU_DEP_1) | instskip(SKIP_1) | instid1(VALU_DEP_2)
	v_fma_f64 v[76:77], v[196:197], v[204:205], -v[76:77]
	v_mul_f64 v[196:197], v[196:197], v[78:79]
	v_add_f64 v[16:17], v[16:17], -v[76:77]
	s_delay_alu instid0(VALU_DEP_2) | instskip(NEXT) | instid1(VALU_DEP_1)
	v_fma_f64 v[196:197], v[198:199], v[204:205], v[196:197]
	v_add_f64 v[18:19], v[18:19], -v[196:197]
	ds_load_2addr_b64 v[196:199], v206 offset0:90 offset1:91
	s_waitcnt lgkmcnt(0)
	v_mul_f64 v[76:77], v[198:199], v[78:79]
	s_delay_alu instid0(VALU_DEP_1) | instskip(SKIP_1) | instid1(VALU_DEP_2)
	v_fma_f64 v[76:77], v[196:197], v[204:205], -v[76:77]
	v_mul_f64 v[196:197], v[196:197], v[78:79]
	v_add_f64 v[12:13], v[12:13], -v[76:77]
	s_delay_alu instid0(VALU_DEP_2) | instskip(NEXT) | instid1(VALU_DEP_1)
	v_fma_f64 v[196:197], v[198:199], v[204:205], v[196:197]
	v_add_f64 v[14:15], v[14:15], -v[196:197]
	ds_load_2addr_b64 v[196:199], v206 offset0:92 offset1:93
	s_waitcnt lgkmcnt(0)
	v_mul_f64 v[76:77], v[198:199], v[78:79]
	s_delay_alu instid0(VALU_DEP_1) | instskip(SKIP_1) | instid1(VALU_DEP_2)
	v_fma_f64 v[76:77], v[196:197], v[204:205], -v[76:77]
	v_mul_f64 v[196:197], v[196:197], v[78:79]
	v_add_f64 v[8:9], v[8:9], -v[76:77]
	s_delay_alu instid0(VALU_DEP_2) | instskip(NEXT) | instid1(VALU_DEP_1)
	v_fma_f64 v[196:197], v[198:199], v[204:205], v[196:197]
	v_add_f64 v[10:11], v[10:11], -v[196:197]
	ds_load_2addr_b64 v[196:199], v206 offset0:94 offset1:95
	s_waitcnt lgkmcnt(0)
	v_mul_f64 v[76:77], v[198:199], v[78:79]
	s_delay_alu instid0(VALU_DEP_1) | instskip(SKIP_1) | instid1(VALU_DEP_2)
	v_fma_f64 v[76:77], v[196:197], v[204:205], -v[76:77]
	v_mul_f64 v[196:197], v[196:197], v[78:79]
	v_add_f64 v[4:5], v[4:5], -v[76:77]
	s_delay_alu instid0(VALU_DEP_2) | instskip(NEXT) | instid1(VALU_DEP_1)
	v_fma_f64 v[196:197], v[198:199], v[204:205], v[196:197]
	v_add_f64 v[6:7], v[6:7], -v[196:197]
	ds_load_2addr_b64 v[196:199], v206 offset0:96 offset1:97
	s_waitcnt lgkmcnt(0)
	v_mul_f64 v[76:77], v[198:199], v[78:79]
	s_delay_alu instid0(VALU_DEP_1) | instskip(SKIP_1) | instid1(VALU_DEP_2)
	v_fma_f64 v[76:77], v[196:197], v[204:205], -v[76:77]
	v_mul_f64 v[196:197], v[196:197], v[78:79]
	v_add_f64 v[0:1], v[0:1], -v[76:77]
	s_delay_alu instid0(VALU_DEP_2) | instskip(SKIP_1) | instid1(VALU_DEP_2)
	v_fma_f64 v[196:197], v[198:199], v[204:205], v[196:197]
	v_dual_mov_b32 v76, v204 :: v_dual_mov_b32 v77, v205
	v_add_f64 v[2:3], v[2:3], -v[196:197]
.LBB96_629:
	s_or_b32 exec_lo, exec_lo, s2
	v_lshl_add_u32 v196, v212, 4, v206
	s_barrier
	buffer_gl0_inv
	v_mov_b32_e32 v204, 30
	ds_store_2addr_b64 v196, v[72:73], v[74:75] offset1:1
	s_waitcnt lgkmcnt(0)
	s_barrier
	buffer_gl0_inv
	ds_load_2addr_b64 v[196:199], v206 offset0:60 offset1:61
	s_cmp_lt_i32 s5, 32
	s_cbranch_scc1 .LBB96_632
; %bb.630:
	v_add3_u32 v205, v211, 0, 0x1f0
	v_mov_b32_e32 v204, 30
	s_mov_b32 s6, 31
	s_set_inst_prefetch_distance 0x1
	.p2align	6
.LBB96_631:                             ; =>This Inner Loop Header: Depth=1
	ds_load_2addr_b64 v[213:216], v205 offset1:1
	s_waitcnt lgkmcnt(1)
	v_cmp_gt_f64_e32 vcc_lo, 0, v[196:197]
	v_xor_b32_e32 v217, 0x80000000, v197
	v_cmp_gt_f64_e64 s2, 0, v[198:199]
	v_xor_b32_e32 v219, 0x80000000, v199
	v_add_nc_u32_e32 v205, 16, v205
	s_waitcnt lgkmcnt(0)
	v_cmp_gt_f64_e64 s3, 0, v[213:214]
	v_mov_b32_e32 v221, v213
	v_dual_mov_b32 v223, v215 :: v_dual_cndmask_b32 v218, v197, v217
	v_xor_b32_e32 v217, 0x80000000, v214
	v_cndmask_b32_e64 v220, v199, v219, s2
	v_xor_b32_e32 v219, 0x80000000, v216
	s_delay_alu instid0(VALU_DEP_3) | instskip(SKIP_2) | instid1(VALU_DEP_2)
	v_cndmask_b32_e64 v222, v214, v217, s3
	v_cmp_gt_f64_e64 s3, 0, v[215:216]
	v_cndmask_b32_e32 v217, v196, v196, vcc_lo
	v_cndmask_b32_e64 v224, v216, v219, s3
	v_cndmask_b32_e64 v219, v198, v198, s2
	s_delay_alu instid0(VALU_DEP_2) | instskip(NEXT) | instid1(VALU_DEP_2)
	v_add_f64 v[221:222], v[221:222], v[223:224]
	v_add_f64 v[217:218], v[217:218], v[219:220]
	s_delay_alu instid0(VALU_DEP_1) | instskip(SKIP_4) | instid1(SALU_CYCLE_1)
	v_cmp_lt_f64_e32 vcc_lo, v[217:218], v[221:222]
	v_dual_cndmask_b32 v198, v198, v215 :: v_dual_cndmask_b32 v197, v197, v214
	v_dual_cndmask_b32 v196, v196, v213 :: v_dual_cndmask_b32 v199, v199, v216
	v_cndmask_b32_e64 v204, v204, s6, vcc_lo
	s_add_i32 s6, s6, 1
	s_cmp_lg_u32 s5, s6
	s_cbranch_scc1 .LBB96_631
.LBB96_632:
	s_set_inst_prefetch_distance 0x2
	s_waitcnt lgkmcnt(0)
	v_cmp_eq_f64_e32 vcc_lo, 0, v[196:197]
	v_cmp_eq_f64_e64 s2, 0, v[198:199]
	s_delay_alu instid0(VALU_DEP_1) | instskip(NEXT) | instid1(SALU_CYCLE_1)
	s_and_b32 s2, vcc_lo, s2
	s_and_saveexec_b32 s3, s2
	s_delay_alu instid0(SALU_CYCLE_1)
	s_xor_b32 s2, exec_lo, s3
; %bb.633:
	v_cmp_ne_u32_e32 vcc_lo, 0, v209
	v_cndmask_b32_e32 v209, 31, v209, vcc_lo
; %bb.634:
	s_and_not1_saveexec_b32 s3, s2
	s_cbranch_execz .LBB96_640
; %bb.635:
	v_cmp_gt_f64_e32 vcc_lo, 0, v[196:197]
	v_cmp_gt_f64_e64 s2, 0, v[198:199]
	v_xor_b32_e32 v205, 0x80000000, v197
	v_xor_b32_e32 v213, 0x80000000, v199
	s_delay_alu instid0(VALU_DEP_2) | instskip(NEXT) | instid1(VALU_DEP_2)
	v_cndmask_b32_e32 v214, v197, v205, vcc_lo
	v_cndmask_b32_e64 v216, v199, v213, s2
	v_cndmask_b32_e32 v213, v196, v196, vcc_lo
	v_cndmask_b32_e64 v215, v198, v198, s2
	s_mov_b32 s2, exec_lo
	s_delay_alu instid0(VALU_DEP_1)
	v_cmpx_ngt_f64_e32 v[213:214], v[215:216]
	s_xor_b32 s2, exec_lo, s2
	s_cbranch_execz .LBB96_637
; %bb.636:
	v_div_scale_f64 v[213:214], null, v[198:199], v[198:199], v[196:197]
	v_div_scale_f64 v[219:220], vcc_lo, v[196:197], v[198:199], v[196:197]
	s_delay_alu instid0(VALU_DEP_2) | instskip(SKIP_2) | instid1(VALU_DEP_1)
	v_rcp_f64_e32 v[215:216], v[213:214]
	s_waitcnt_depctr 0xfff
	v_fma_f64 v[217:218], -v[213:214], v[215:216], 1.0
	v_fma_f64 v[215:216], v[215:216], v[217:218], v[215:216]
	s_delay_alu instid0(VALU_DEP_1) | instskip(NEXT) | instid1(VALU_DEP_1)
	v_fma_f64 v[217:218], -v[213:214], v[215:216], 1.0
	v_fma_f64 v[215:216], v[215:216], v[217:218], v[215:216]
	s_delay_alu instid0(VALU_DEP_1) | instskip(NEXT) | instid1(VALU_DEP_1)
	v_mul_f64 v[217:218], v[219:220], v[215:216]
	v_fma_f64 v[213:214], -v[213:214], v[217:218], v[219:220]
	s_delay_alu instid0(VALU_DEP_1) | instskip(NEXT) | instid1(VALU_DEP_1)
	v_div_fmas_f64 v[213:214], v[213:214], v[215:216], v[217:218]
	v_div_fixup_f64 v[213:214], v[213:214], v[198:199], v[196:197]
	s_delay_alu instid0(VALU_DEP_1) | instskip(NEXT) | instid1(VALU_DEP_1)
	v_fma_f64 v[196:197], v[196:197], v[213:214], v[198:199]
	v_div_scale_f64 v[198:199], null, v[196:197], v[196:197], 1.0
	s_delay_alu instid0(VALU_DEP_1) | instskip(SKIP_2) | instid1(VALU_DEP_1)
	v_rcp_f64_e32 v[215:216], v[198:199]
	s_waitcnt_depctr 0xfff
	v_fma_f64 v[217:218], -v[198:199], v[215:216], 1.0
	v_fma_f64 v[215:216], v[215:216], v[217:218], v[215:216]
	s_delay_alu instid0(VALU_DEP_1) | instskip(NEXT) | instid1(VALU_DEP_1)
	v_fma_f64 v[217:218], -v[198:199], v[215:216], 1.0
	v_fma_f64 v[215:216], v[215:216], v[217:218], v[215:216]
	v_div_scale_f64 v[217:218], vcc_lo, 1.0, v[196:197], 1.0
	s_delay_alu instid0(VALU_DEP_1) | instskip(NEXT) | instid1(VALU_DEP_1)
	v_mul_f64 v[219:220], v[217:218], v[215:216]
	v_fma_f64 v[198:199], -v[198:199], v[219:220], v[217:218]
	s_delay_alu instid0(VALU_DEP_1) | instskip(NEXT) | instid1(VALU_DEP_1)
	v_div_fmas_f64 v[198:199], v[198:199], v[215:216], v[219:220]
	v_div_fixup_f64 v[198:199], v[198:199], v[196:197], 1.0
	s_delay_alu instid0(VALU_DEP_1)
	v_mul_f64 v[196:197], v[213:214], v[198:199]
	v_xor_b32_e32 v199, 0x80000000, v199
.LBB96_637:
	s_and_not1_saveexec_b32 s2, s2
	s_cbranch_execz .LBB96_639
; %bb.638:
	s_delay_alu instid0(VALU_DEP_1) | instskip(SKIP_1) | instid1(VALU_DEP_2)
	v_div_scale_f64 v[213:214], null, v[196:197], v[196:197], v[198:199]
	v_div_scale_f64 v[219:220], vcc_lo, v[198:199], v[196:197], v[198:199]
	v_rcp_f64_e32 v[215:216], v[213:214]
	s_waitcnt_depctr 0xfff
	v_fma_f64 v[217:218], -v[213:214], v[215:216], 1.0
	s_delay_alu instid0(VALU_DEP_1) | instskip(NEXT) | instid1(VALU_DEP_1)
	v_fma_f64 v[215:216], v[215:216], v[217:218], v[215:216]
	v_fma_f64 v[217:218], -v[213:214], v[215:216], 1.0
	s_delay_alu instid0(VALU_DEP_1) | instskip(NEXT) | instid1(VALU_DEP_1)
	v_fma_f64 v[215:216], v[215:216], v[217:218], v[215:216]
	v_mul_f64 v[217:218], v[219:220], v[215:216]
	s_delay_alu instid0(VALU_DEP_1) | instskip(NEXT) | instid1(VALU_DEP_1)
	v_fma_f64 v[213:214], -v[213:214], v[217:218], v[219:220]
	v_div_fmas_f64 v[213:214], v[213:214], v[215:216], v[217:218]
	s_delay_alu instid0(VALU_DEP_1) | instskip(NEXT) | instid1(VALU_DEP_1)
	v_div_fixup_f64 v[213:214], v[213:214], v[196:197], v[198:199]
	v_fma_f64 v[196:197], v[198:199], v[213:214], v[196:197]
	s_delay_alu instid0(VALU_DEP_1) | instskip(NEXT) | instid1(VALU_DEP_1)
	v_div_scale_f64 v[198:199], null, v[196:197], v[196:197], 1.0
	v_rcp_f64_e32 v[215:216], v[198:199]
	s_waitcnt_depctr 0xfff
	v_fma_f64 v[217:218], -v[198:199], v[215:216], 1.0
	s_delay_alu instid0(VALU_DEP_1) | instskip(NEXT) | instid1(VALU_DEP_1)
	v_fma_f64 v[215:216], v[215:216], v[217:218], v[215:216]
	v_fma_f64 v[217:218], -v[198:199], v[215:216], 1.0
	s_delay_alu instid0(VALU_DEP_1) | instskip(SKIP_1) | instid1(VALU_DEP_1)
	v_fma_f64 v[215:216], v[215:216], v[217:218], v[215:216]
	v_div_scale_f64 v[217:218], vcc_lo, 1.0, v[196:197], 1.0
	v_mul_f64 v[219:220], v[217:218], v[215:216]
	s_delay_alu instid0(VALU_DEP_1) | instskip(NEXT) | instid1(VALU_DEP_1)
	v_fma_f64 v[198:199], -v[198:199], v[219:220], v[217:218]
	v_div_fmas_f64 v[198:199], v[198:199], v[215:216], v[219:220]
	s_delay_alu instid0(VALU_DEP_1) | instskip(NEXT) | instid1(VALU_DEP_1)
	v_div_fixup_f64 v[196:197], v[198:199], v[196:197], 1.0
	v_mul_f64 v[198:199], v[213:214], -v[196:197]
.LBB96_639:
	s_or_b32 exec_lo, exec_lo, s2
.LBB96_640:
	s_delay_alu instid0(SALU_CYCLE_1) | instskip(NEXT) | instid1(SALU_CYCLE_1)
	s_or_b32 exec_lo, exec_lo, s3
	s_mov_b32 s2, exec_lo
	v_cmpx_ne_u32_e64 v212, v204
	s_xor_b32 s2, exec_lo, s2
	s_cbranch_execz .LBB96_646
; %bb.641:
	s_mov_b32 s3, exec_lo
	v_cmpx_eq_u32_e32 30, v212
	s_cbranch_execz .LBB96_645
; %bb.642:
	v_cmp_ne_u32_e32 vcc_lo, 30, v204
	s_xor_b32 s6, s4, -1
	s_delay_alu instid0(SALU_CYCLE_1) | instskip(NEXT) | instid1(SALU_CYCLE_1)
	s_and_b32 s7, s6, vcc_lo
	s_and_saveexec_b32 s6, s7
	s_cbranch_execz .LBB96_644
; %bb.643:
	v_ashrrev_i32_e32 v205, 31, v204
	s_delay_alu instid0(VALU_DEP_1) | instskip(NEXT) | instid1(VALU_DEP_1)
	v_lshlrev_b64 v[212:213], 2, v[204:205]
	v_add_co_u32 v212, vcc_lo, v202, v212
	s_delay_alu instid0(VALU_DEP_2)
	v_add_co_ci_u32_e32 v213, vcc_lo, v203, v213, vcc_lo
	s_clause 0x1
	flat_load_b32 v205, v[212:213]
	flat_load_b32 v210, v[202:203] offset:120
	s_waitcnt vmcnt(1) lgkmcnt(1)
	flat_store_b32 v[202:203], v205 offset:120
	s_waitcnt vmcnt(0) lgkmcnt(1)
	flat_store_b32 v[212:213], v210
.LBB96_644:
	s_or_b32 exec_lo, exec_lo, s6
	v_mov_b32_e32 v212, v204
	v_mov_b32_e32 v210, v204
.LBB96_645:
	s_or_b32 exec_lo, exec_lo, s3
.LBB96_646:
	s_and_not1_saveexec_b32 s2, s2
	s_cbranch_execz .LBB96_648
; %bb.647:
	v_mov_b32_e32 v212, 30
	ds_store_2addr_b64 v206, v[68:69], v[70:71] offset0:62 offset1:63
	ds_store_2addr_b64 v206, v[64:65], v[66:67] offset0:64 offset1:65
	;; [unrolled: 1-line block ×18, first 2 shown]
.LBB96_648:
	s_or_b32 exec_lo, exec_lo, s2
	s_delay_alu instid0(SALU_CYCLE_1)
	s_mov_b32 s2, exec_lo
	s_waitcnt lgkmcnt(0)
	s_waitcnt_vscnt null, 0x0
	s_barrier
	buffer_gl0_inv
	v_cmpx_lt_i32_e32 30, v212
	s_cbranch_execz .LBB96_650
; %bb.649:
	v_mul_f64 v[204:205], v[198:199], v[74:75]
	v_mul_f64 v[74:75], v[196:197], v[74:75]
	s_delay_alu instid0(VALU_DEP_2) | instskip(NEXT) | instid1(VALU_DEP_2)
	v_fma_f64 v[204:205], v[196:197], v[72:73], -v[204:205]
	v_fma_f64 v[74:75], v[198:199], v[72:73], v[74:75]
	ds_load_2addr_b64 v[196:199], v206 offset0:62 offset1:63
	s_waitcnt lgkmcnt(0)
	v_mul_f64 v[72:73], v[198:199], v[74:75]
	s_delay_alu instid0(VALU_DEP_1) | instskip(SKIP_1) | instid1(VALU_DEP_2)
	v_fma_f64 v[72:73], v[196:197], v[204:205], -v[72:73]
	v_mul_f64 v[196:197], v[196:197], v[74:75]
	v_add_f64 v[68:69], v[68:69], -v[72:73]
	s_delay_alu instid0(VALU_DEP_2) | instskip(NEXT) | instid1(VALU_DEP_1)
	v_fma_f64 v[196:197], v[198:199], v[204:205], v[196:197]
	v_add_f64 v[70:71], v[70:71], -v[196:197]
	ds_load_2addr_b64 v[196:199], v206 offset0:64 offset1:65
	s_waitcnt lgkmcnt(0)
	v_mul_f64 v[72:73], v[198:199], v[74:75]
	s_delay_alu instid0(VALU_DEP_1) | instskip(SKIP_1) | instid1(VALU_DEP_2)
	v_fma_f64 v[72:73], v[196:197], v[204:205], -v[72:73]
	v_mul_f64 v[196:197], v[196:197], v[74:75]
	v_add_f64 v[64:65], v[64:65], -v[72:73]
	s_delay_alu instid0(VALU_DEP_2) | instskip(NEXT) | instid1(VALU_DEP_1)
	v_fma_f64 v[196:197], v[198:199], v[204:205], v[196:197]
	v_add_f64 v[66:67], v[66:67], -v[196:197]
	;; [unrolled: 10-line block ×17, first 2 shown]
	ds_load_2addr_b64 v[196:199], v206 offset0:96 offset1:97
	s_waitcnt lgkmcnt(0)
	v_mul_f64 v[72:73], v[198:199], v[74:75]
	s_delay_alu instid0(VALU_DEP_1) | instskip(SKIP_1) | instid1(VALU_DEP_2)
	v_fma_f64 v[72:73], v[196:197], v[204:205], -v[72:73]
	v_mul_f64 v[196:197], v[196:197], v[74:75]
	v_add_f64 v[0:1], v[0:1], -v[72:73]
	s_delay_alu instid0(VALU_DEP_2) | instskip(SKIP_1) | instid1(VALU_DEP_2)
	v_fma_f64 v[196:197], v[198:199], v[204:205], v[196:197]
	v_dual_mov_b32 v72, v204 :: v_dual_mov_b32 v73, v205
	v_add_f64 v[2:3], v[2:3], -v[196:197]
.LBB96_650:
	s_or_b32 exec_lo, exec_lo, s2
	v_lshl_add_u32 v196, v212, 4, v206
	s_barrier
	buffer_gl0_inv
	v_mov_b32_e32 v204, 31
	ds_store_2addr_b64 v196, v[68:69], v[70:71] offset1:1
	s_waitcnt lgkmcnt(0)
	s_barrier
	buffer_gl0_inv
	ds_load_2addr_b64 v[196:199], v206 offset0:62 offset1:63
	s_cmp_lt_i32 s5, 33
	s_cbranch_scc1 .LBB96_653
; %bb.651:
	v_add3_u32 v205, v211, 0, 0x200
	v_mov_b32_e32 v204, 31
	s_mov_b32 s6, 32
	s_set_inst_prefetch_distance 0x1
	.p2align	6
.LBB96_652:                             ; =>This Inner Loop Header: Depth=1
	ds_load_2addr_b64 v[213:216], v205 offset1:1
	s_waitcnt lgkmcnt(1)
	v_cmp_gt_f64_e32 vcc_lo, 0, v[196:197]
	v_xor_b32_e32 v217, 0x80000000, v197
	v_cmp_gt_f64_e64 s2, 0, v[198:199]
	v_xor_b32_e32 v219, 0x80000000, v199
	v_add_nc_u32_e32 v205, 16, v205
	s_waitcnt lgkmcnt(0)
	v_cmp_gt_f64_e64 s3, 0, v[213:214]
	v_mov_b32_e32 v221, v213
	v_dual_mov_b32 v223, v215 :: v_dual_cndmask_b32 v218, v197, v217
	v_xor_b32_e32 v217, 0x80000000, v214
	v_cndmask_b32_e64 v220, v199, v219, s2
	v_xor_b32_e32 v219, 0x80000000, v216
	s_delay_alu instid0(VALU_DEP_3) | instskip(SKIP_2) | instid1(VALU_DEP_2)
	v_cndmask_b32_e64 v222, v214, v217, s3
	v_cmp_gt_f64_e64 s3, 0, v[215:216]
	v_cndmask_b32_e32 v217, v196, v196, vcc_lo
	v_cndmask_b32_e64 v224, v216, v219, s3
	v_cndmask_b32_e64 v219, v198, v198, s2
	s_delay_alu instid0(VALU_DEP_2) | instskip(NEXT) | instid1(VALU_DEP_2)
	v_add_f64 v[221:222], v[221:222], v[223:224]
	v_add_f64 v[217:218], v[217:218], v[219:220]
	s_delay_alu instid0(VALU_DEP_1) | instskip(SKIP_4) | instid1(SALU_CYCLE_1)
	v_cmp_lt_f64_e32 vcc_lo, v[217:218], v[221:222]
	v_dual_cndmask_b32 v198, v198, v215 :: v_dual_cndmask_b32 v197, v197, v214
	v_dual_cndmask_b32 v196, v196, v213 :: v_dual_cndmask_b32 v199, v199, v216
	v_cndmask_b32_e64 v204, v204, s6, vcc_lo
	s_add_i32 s6, s6, 1
	s_cmp_lg_u32 s5, s6
	s_cbranch_scc1 .LBB96_652
.LBB96_653:
	s_set_inst_prefetch_distance 0x2
	s_waitcnt lgkmcnt(0)
	v_cmp_eq_f64_e32 vcc_lo, 0, v[196:197]
	v_cmp_eq_f64_e64 s2, 0, v[198:199]
	s_delay_alu instid0(VALU_DEP_1) | instskip(NEXT) | instid1(SALU_CYCLE_1)
	s_and_b32 s2, vcc_lo, s2
	s_and_saveexec_b32 s3, s2
	s_delay_alu instid0(SALU_CYCLE_1)
	s_xor_b32 s2, exec_lo, s3
; %bb.654:
	v_cmp_ne_u32_e32 vcc_lo, 0, v209
	v_cndmask_b32_e32 v209, 32, v209, vcc_lo
; %bb.655:
	s_and_not1_saveexec_b32 s3, s2
	s_cbranch_execz .LBB96_661
; %bb.656:
	v_cmp_gt_f64_e32 vcc_lo, 0, v[196:197]
	v_cmp_gt_f64_e64 s2, 0, v[198:199]
	v_xor_b32_e32 v205, 0x80000000, v197
	v_xor_b32_e32 v213, 0x80000000, v199
	s_delay_alu instid0(VALU_DEP_2) | instskip(NEXT) | instid1(VALU_DEP_2)
	v_cndmask_b32_e32 v214, v197, v205, vcc_lo
	v_cndmask_b32_e64 v216, v199, v213, s2
	v_cndmask_b32_e32 v213, v196, v196, vcc_lo
	v_cndmask_b32_e64 v215, v198, v198, s2
	s_mov_b32 s2, exec_lo
	s_delay_alu instid0(VALU_DEP_1)
	v_cmpx_ngt_f64_e32 v[213:214], v[215:216]
	s_xor_b32 s2, exec_lo, s2
	s_cbranch_execz .LBB96_658
; %bb.657:
	v_div_scale_f64 v[213:214], null, v[198:199], v[198:199], v[196:197]
	v_div_scale_f64 v[219:220], vcc_lo, v[196:197], v[198:199], v[196:197]
	s_delay_alu instid0(VALU_DEP_2) | instskip(SKIP_2) | instid1(VALU_DEP_1)
	v_rcp_f64_e32 v[215:216], v[213:214]
	s_waitcnt_depctr 0xfff
	v_fma_f64 v[217:218], -v[213:214], v[215:216], 1.0
	v_fma_f64 v[215:216], v[215:216], v[217:218], v[215:216]
	s_delay_alu instid0(VALU_DEP_1) | instskip(NEXT) | instid1(VALU_DEP_1)
	v_fma_f64 v[217:218], -v[213:214], v[215:216], 1.0
	v_fma_f64 v[215:216], v[215:216], v[217:218], v[215:216]
	s_delay_alu instid0(VALU_DEP_1) | instskip(NEXT) | instid1(VALU_DEP_1)
	v_mul_f64 v[217:218], v[219:220], v[215:216]
	v_fma_f64 v[213:214], -v[213:214], v[217:218], v[219:220]
	s_delay_alu instid0(VALU_DEP_1) | instskip(NEXT) | instid1(VALU_DEP_1)
	v_div_fmas_f64 v[213:214], v[213:214], v[215:216], v[217:218]
	v_div_fixup_f64 v[213:214], v[213:214], v[198:199], v[196:197]
	s_delay_alu instid0(VALU_DEP_1) | instskip(NEXT) | instid1(VALU_DEP_1)
	v_fma_f64 v[196:197], v[196:197], v[213:214], v[198:199]
	v_div_scale_f64 v[198:199], null, v[196:197], v[196:197], 1.0
	s_delay_alu instid0(VALU_DEP_1) | instskip(SKIP_2) | instid1(VALU_DEP_1)
	v_rcp_f64_e32 v[215:216], v[198:199]
	s_waitcnt_depctr 0xfff
	v_fma_f64 v[217:218], -v[198:199], v[215:216], 1.0
	v_fma_f64 v[215:216], v[215:216], v[217:218], v[215:216]
	s_delay_alu instid0(VALU_DEP_1) | instskip(NEXT) | instid1(VALU_DEP_1)
	v_fma_f64 v[217:218], -v[198:199], v[215:216], 1.0
	v_fma_f64 v[215:216], v[215:216], v[217:218], v[215:216]
	v_div_scale_f64 v[217:218], vcc_lo, 1.0, v[196:197], 1.0
	s_delay_alu instid0(VALU_DEP_1) | instskip(NEXT) | instid1(VALU_DEP_1)
	v_mul_f64 v[219:220], v[217:218], v[215:216]
	v_fma_f64 v[198:199], -v[198:199], v[219:220], v[217:218]
	s_delay_alu instid0(VALU_DEP_1) | instskip(NEXT) | instid1(VALU_DEP_1)
	v_div_fmas_f64 v[198:199], v[198:199], v[215:216], v[219:220]
	v_div_fixup_f64 v[198:199], v[198:199], v[196:197], 1.0
	s_delay_alu instid0(VALU_DEP_1)
	v_mul_f64 v[196:197], v[213:214], v[198:199]
	v_xor_b32_e32 v199, 0x80000000, v199
.LBB96_658:
	s_and_not1_saveexec_b32 s2, s2
	s_cbranch_execz .LBB96_660
; %bb.659:
	s_delay_alu instid0(VALU_DEP_1) | instskip(SKIP_1) | instid1(VALU_DEP_2)
	v_div_scale_f64 v[213:214], null, v[196:197], v[196:197], v[198:199]
	v_div_scale_f64 v[219:220], vcc_lo, v[198:199], v[196:197], v[198:199]
	v_rcp_f64_e32 v[215:216], v[213:214]
	s_waitcnt_depctr 0xfff
	v_fma_f64 v[217:218], -v[213:214], v[215:216], 1.0
	s_delay_alu instid0(VALU_DEP_1) | instskip(NEXT) | instid1(VALU_DEP_1)
	v_fma_f64 v[215:216], v[215:216], v[217:218], v[215:216]
	v_fma_f64 v[217:218], -v[213:214], v[215:216], 1.0
	s_delay_alu instid0(VALU_DEP_1) | instskip(NEXT) | instid1(VALU_DEP_1)
	v_fma_f64 v[215:216], v[215:216], v[217:218], v[215:216]
	v_mul_f64 v[217:218], v[219:220], v[215:216]
	s_delay_alu instid0(VALU_DEP_1) | instskip(NEXT) | instid1(VALU_DEP_1)
	v_fma_f64 v[213:214], -v[213:214], v[217:218], v[219:220]
	v_div_fmas_f64 v[213:214], v[213:214], v[215:216], v[217:218]
	s_delay_alu instid0(VALU_DEP_1) | instskip(NEXT) | instid1(VALU_DEP_1)
	v_div_fixup_f64 v[213:214], v[213:214], v[196:197], v[198:199]
	v_fma_f64 v[196:197], v[198:199], v[213:214], v[196:197]
	s_delay_alu instid0(VALU_DEP_1) | instskip(NEXT) | instid1(VALU_DEP_1)
	v_div_scale_f64 v[198:199], null, v[196:197], v[196:197], 1.0
	v_rcp_f64_e32 v[215:216], v[198:199]
	s_waitcnt_depctr 0xfff
	v_fma_f64 v[217:218], -v[198:199], v[215:216], 1.0
	s_delay_alu instid0(VALU_DEP_1) | instskip(NEXT) | instid1(VALU_DEP_1)
	v_fma_f64 v[215:216], v[215:216], v[217:218], v[215:216]
	v_fma_f64 v[217:218], -v[198:199], v[215:216], 1.0
	s_delay_alu instid0(VALU_DEP_1) | instskip(SKIP_1) | instid1(VALU_DEP_1)
	v_fma_f64 v[215:216], v[215:216], v[217:218], v[215:216]
	v_div_scale_f64 v[217:218], vcc_lo, 1.0, v[196:197], 1.0
	v_mul_f64 v[219:220], v[217:218], v[215:216]
	s_delay_alu instid0(VALU_DEP_1) | instskip(NEXT) | instid1(VALU_DEP_1)
	v_fma_f64 v[198:199], -v[198:199], v[219:220], v[217:218]
	v_div_fmas_f64 v[198:199], v[198:199], v[215:216], v[219:220]
	s_delay_alu instid0(VALU_DEP_1) | instskip(NEXT) | instid1(VALU_DEP_1)
	v_div_fixup_f64 v[196:197], v[198:199], v[196:197], 1.0
	v_mul_f64 v[198:199], v[213:214], -v[196:197]
.LBB96_660:
	s_or_b32 exec_lo, exec_lo, s2
.LBB96_661:
	s_delay_alu instid0(SALU_CYCLE_1) | instskip(NEXT) | instid1(SALU_CYCLE_1)
	s_or_b32 exec_lo, exec_lo, s3
	s_mov_b32 s2, exec_lo
	v_cmpx_ne_u32_e64 v212, v204
	s_xor_b32 s2, exec_lo, s2
	s_cbranch_execz .LBB96_667
; %bb.662:
	s_mov_b32 s3, exec_lo
	v_cmpx_eq_u32_e32 31, v212
	s_cbranch_execz .LBB96_666
; %bb.663:
	v_cmp_ne_u32_e32 vcc_lo, 31, v204
	s_xor_b32 s6, s4, -1
	s_delay_alu instid0(SALU_CYCLE_1) | instskip(NEXT) | instid1(SALU_CYCLE_1)
	s_and_b32 s7, s6, vcc_lo
	s_and_saveexec_b32 s6, s7
	s_cbranch_execz .LBB96_665
; %bb.664:
	v_ashrrev_i32_e32 v205, 31, v204
	s_delay_alu instid0(VALU_DEP_1) | instskip(NEXT) | instid1(VALU_DEP_1)
	v_lshlrev_b64 v[212:213], 2, v[204:205]
	v_add_co_u32 v212, vcc_lo, v202, v212
	s_delay_alu instid0(VALU_DEP_2)
	v_add_co_ci_u32_e32 v213, vcc_lo, v203, v213, vcc_lo
	s_clause 0x1
	flat_load_b32 v205, v[212:213]
	flat_load_b32 v210, v[202:203] offset:124
	s_waitcnt vmcnt(1) lgkmcnt(1)
	flat_store_b32 v[202:203], v205 offset:124
	s_waitcnt vmcnt(0) lgkmcnt(1)
	flat_store_b32 v[212:213], v210
.LBB96_665:
	s_or_b32 exec_lo, exec_lo, s6
	v_mov_b32_e32 v212, v204
	v_mov_b32_e32 v210, v204
.LBB96_666:
	s_or_b32 exec_lo, exec_lo, s3
.LBB96_667:
	s_and_not1_saveexec_b32 s2, s2
	s_cbranch_execz .LBB96_669
; %bb.668:
	v_mov_b32_e32 v212, 31
	ds_store_2addr_b64 v206, v[64:65], v[66:67] offset0:64 offset1:65
	ds_store_2addr_b64 v206, v[60:61], v[62:63] offset0:66 offset1:67
	;; [unrolled: 1-line block ×17, first 2 shown]
.LBB96_669:
	s_or_b32 exec_lo, exec_lo, s2
	s_delay_alu instid0(SALU_CYCLE_1)
	s_mov_b32 s2, exec_lo
	s_waitcnt lgkmcnt(0)
	s_waitcnt_vscnt null, 0x0
	s_barrier
	buffer_gl0_inv
	v_cmpx_lt_i32_e32 31, v212
	s_cbranch_execz .LBB96_671
; %bb.670:
	v_mul_f64 v[204:205], v[198:199], v[70:71]
	v_mul_f64 v[70:71], v[196:197], v[70:71]
	s_delay_alu instid0(VALU_DEP_2) | instskip(NEXT) | instid1(VALU_DEP_2)
	v_fma_f64 v[204:205], v[196:197], v[68:69], -v[204:205]
	v_fma_f64 v[70:71], v[198:199], v[68:69], v[70:71]
	ds_load_2addr_b64 v[196:199], v206 offset0:64 offset1:65
	s_waitcnt lgkmcnt(0)
	v_mul_f64 v[68:69], v[198:199], v[70:71]
	s_delay_alu instid0(VALU_DEP_1) | instskip(SKIP_1) | instid1(VALU_DEP_2)
	v_fma_f64 v[68:69], v[196:197], v[204:205], -v[68:69]
	v_mul_f64 v[196:197], v[196:197], v[70:71]
	v_add_f64 v[64:65], v[64:65], -v[68:69]
	s_delay_alu instid0(VALU_DEP_2) | instskip(NEXT) | instid1(VALU_DEP_1)
	v_fma_f64 v[196:197], v[198:199], v[204:205], v[196:197]
	v_add_f64 v[66:67], v[66:67], -v[196:197]
	ds_load_2addr_b64 v[196:199], v206 offset0:66 offset1:67
	s_waitcnt lgkmcnt(0)
	v_mul_f64 v[68:69], v[198:199], v[70:71]
	s_delay_alu instid0(VALU_DEP_1) | instskip(SKIP_1) | instid1(VALU_DEP_2)
	v_fma_f64 v[68:69], v[196:197], v[204:205], -v[68:69]
	v_mul_f64 v[196:197], v[196:197], v[70:71]
	v_add_f64 v[60:61], v[60:61], -v[68:69]
	s_delay_alu instid0(VALU_DEP_2) | instskip(NEXT) | instid1(VALU_DEP_1)
	v_fma_f64 v[196:197], v[198:199], v[204:205], v[196:197]
	v_add_f64 v[62:63], v[62:63], -v[196:197]
	;; [unrolled: 10-line block ×16, first 2 shown]
	ds_load_2addr_b64 v[196:199], v206 offset0:96 offset1:97
	s_waitcnt lgkmcnt(0)
	v_mul_f64 v[68:69], v[198:199], v[70:71]
	s_delay_alu instid0(VALU_DEP_1) | instskip(SKIP_1) | instid1(VALU_DEP_2)
	v_fma_f64 v[68:69], v[196:197], v[204:205], -v[68:69]
	v_mul_f64 v[196:197], v[196:197], v[70:71]
	v_add_f64 v[0:1], v[0:1], -v[68:69]
	s_delay_alu instid0(VALU_DEP_2) | instskip(SKIP_1) | instid1(VALU_DEP_2)
	v_fma_f64 v[196:197], v[198:199], v[204:205], v[196:197]
	v_dual_mov_b32 v68, v204 :: v_dual_mov_b32 v69, v205
	v_add_f64 v[2:3], v[2:3], -v[196:197]
.LBB96_671:
	s_or_b32 exec_lo, exec_lo, s2
	v_lshl_add_u32 v196, v212, 4, v206
	s_barrier
	buffer_gl0_inv
	v_mov_b32_e32 v204, 32
	ds_store_2addr_b64 v196, v[64:65], v[66:67] offset1:1
	s_waitcnt lgkmcnt(0)
	s_barrier
	buffer_gl0_inv
	ds_load_2addr_b64 v[196:199], v206 offset0:64 offset1:65
	s_cmp_lt_i32 s5, 34
	s_cbranch_scc1 .LBB96_674
; %bb.672:
	v_add3_u32 v205, v211, 0, 0x210
	v_mov_b32_e32 v204, 32
	s_mov_b32 s6, 33
	s_set_inst_prefetch_distance 0x1
	.p2align	6
.LBB96_673:                             ; =>This Inner Loop Header: Depth=1
	ds_load_2addr_b64 v[213:216], v205 offset1:1
	s_waitcnt lgkmcnt(1)
	v_cmp_gt_f64_e32 vcc_lo, 0, v[196:197]
	v_xor_b32_e32 v217, 0x80000000, v197
	v_cmp_gt_f64_e64 s2, 0, v[198:199]
	v_xor_b32_e32 v219, 0x80000000, v199
	v_add_nc_u32_e32 v205, 16, v205
	s_waitcnt lgkmcnt(0)
	v_cmp_gt_f64_e64 s3, 0, v[213:214]
	v_mov_b32_e32 v221, v213
	v_dual_mov_b32 v223, v215 :: v_dual_cndmask_b32 v218, v197, v217
	v_xor_b32_e32 v217, 0x80000000, v214
	v_cndmask_b32_e64 v220, v199, v219, s2
	v_xor_b32_e32 v219, 0x80000000, v216
	s_delay_alu instid0(VALU_DEP_3) | instskip(SKIP_2) | instid1(VALU_DEP_2)
	v_cndmask_b32_e64 v222, v214, v217, s3
	v_cmp_gt_f64_e64 s3, 0, v[215:216]
	v_cndmask_b32_e32 v217, v196, v196, vcc_lo
	v_cndmask_b32_e64 v224, v216, v219, s3
	v_cndmask_b32_e64 v219, v198, v198, s2
	s_delay_alu instid0(VALU_DEP_2) | instskip(NEXT) | instid1(VALU_DEP_2)
	v_add_f64 v[221:222], v[221:222], v[223:224]
	v_add_f64 v[217:218], v[217:218], v[219:220]
	s_delay_alu instid0(VALU_DEP_1) | instskip(SKIP_4) | instid1(SALU_CYCLE_1)
	v_cmp_lt_f64_e32 vcc_lo, v[217:218], v[221:222]
	v_dual_cndmask_b32 v198, v198, v215 :: v_dual_cndmask_b32 v197, v197, v214
	v_dual_cndmask_b32 v196, v196, v213 :: v_dual_cndmask_b32 v199, v199, v216
	v_cndmask_b32_e64 v204, v204, s6, vcc_lo
	s_add_i32 s6, s6, 1
	s_cmp_lg_u32 s5, s6
	s_cbranch_scc1 .LBB96_673
.LBB96_674:
	s_set_inst_prefetch_distance 0x2
	s_waitcnt lgkmcnt(0)
	v_cmp_eq_f64_e32 vcc_lo, 0, v[196:197]
	v_cmp_eq_f64_e64 s2, 0, v[198:199]
	s_delay_alu instid0(VALU_DEP_1) | instskip(NEXT) | instid1(SALU_CYCLE_1)
	s_and_b32 s2, vcc_lo, s2
	s_and_saveexec_b32 s3, s2
	s_delay_alu instid0(SALU_CYCLE_1)
	s_xor_b32 s2, exec_lo, s3
; %bb.675:
	v_cmp_ne_u32_e32 vcc_lo, 0, v209
	v_cndmask_b32_e32 v209, 33, v209, vcc_lo
; %bb.676:
	s_and_not1_saveexec_b32 s3, s2
	s_cbranch_execz .LBB96_682
; %bb.677:
	v_cmp_gt_f64_e32 vcc_lo, 0, v[196:197]
	v_cmp_gt_f64_e64 s2, 0, v[198:199]
	v_xor_b32_e32 v205, 0x80000000, v197
	v_xor_b32_e32 v213, 0x80000000, v199
	s_delay_alu instid0(VALU_DEP_2) | instskip(NEXT) | instid1(VALU_DEP_2)
	v_cndmask_b32_e32 v214, v197, v205, vcc_lo
	v_cndmask_b32_e64 v216, v199, v213, s2
	v_cndmask_b32_e32 v213, v196, v196, vcc_lo
	v_cndmask_b32_e64 v215, v198, v198, s2
	s_mov_b32 s2, exec_lo
	s_delay_alu instid0(VALU_DEP_1)
	v_cmpx_ngt_f64_e32 v[213:214], v[215:216]
	s_xor_b32 s2, exec_lo, s2
	s_cbranch_execz .LBB96_679
; %bb.678:
	v_div_scale_f64 v[213:214], null, v[198:199], v[198:199], v[196:197]
	v_div_scale_f64 v[219:220], vcc_lo, v[196:197], v[198:199], v[196:197]
	s_delay_alu instid0(VALU_DEP_2) | instskip(SKIP_2) | instid1(VALU_DEP_1)
	v_rcp_f64_e32 v[215:216], v[213:214]
	s_waitcnt_depctr 0xfff
	v_fma_f64 v[217:218], -v[213:214], v[215:216], 1.0
	v_fma_f64 v[215:216], v[215:216], v[217:218], v[215:216]
	s_delay_alu instid0(VALU_DEP_1) | instskip(NEXT) | instid1(VALU_DEP_1)
	v_fma_f64 v[217:218], -v[213:214], v[215:216], 1.0
	v_fma_f64 v[215:216], v[215:216], v[217:218], v[215:216]
	s_delay_alu instid0(VALU_DEP_1) | instskip(NEXT) | instid1(VALU_DEP_1)
	v_mul_f64 v[217:218], v[219:220], v[215:216]
	v_fma_f64 v[213:214], -v[213:214], v[217:218], v[219:220]
	s_delay_alu instid0(VALU_DEP_1) | instskip(NEXT) | instid1(VALU_DEP_1)
	v_div_fmas_f64 v[213:214], v[213:214], v[215:216], v[217:218]
	v_div_fixup_f64 v[213:214], v[213:214], v[198:199], v[196:197]
	s_delay_alu instid0(VALU_DEP_1) | instskip(NEXT) | instid1(VALU_DEP_1)
	v_fma_f64 v[196:197], v[196:197], v[213:214], v[198:199]
	v_div_scale_f64 v[198:199], null, v[196:197], v[196:197], 1.0
	s_delay_alu instid0(VALU_DEP_1) | instskip(SKIP_2) | instid1(VALU_DEP_1)
	v_rcp_f64_e32 v[215:216], v[198:199]
	s_waitcnt_depctr 0xfff
	v_fma_f64 v[217:218], -v[198:199], v[215:216], 1.0
	v_fma_f64 v[215:216], v[215:216], v[217:218], v[215:216]
	s_delay_alu instid0(VALU_DEP_1) | instskip(NEXT) | instid1(VALU_DEP_1)
	v_fma_f64 v[217:218], -v[198:199], v[215:216], 1.0
	v_fma_f64 v[215:216], v[215:216], v[217:218], v[215:216]
	v_div_scale_f64 v[217:218], vcc_lo, 1.0, v[196:197], 1.0
	s_delay_alu instid0(VALU_DEP_1) | instskip(NEXT) | instid1(VALU_DEP_1)
	v_mul_f64 v[219:220], v[217:218], v[215:216]
	v_fma_f64 v[198:199], -v[198:199], v[219:220], v[217:218]
	s_delay_alu instid0(VALU_DEP_1) | instskip(NEXT) | instid1(VALU_DEP_1)
	v_div_fmas_f64 v[198:199], v[198:199], v[215:216], v[219:220]
	v_div_fixup_f64 v[198:199], v[198:199], v[196:197], 1.0
	s_delay_alu instid0(VALU_DEP_1)
	v_mul_f64 v[196:197], v[213:214], v[198:199]
	v_xor_b32_e32 v199, 0x80000000, v199
.LBB96_679:
	s_and_not1_saveexec_b32 s2, s2
	s_cbranch_execz .LBB96_681
; %bb.680:
	s_delay_alu instid0(VALU_DEP_1) | instskip(SKIP_1) | instid1(VALU_DEP_2)
	v_div_scale_f64 v[213:214], null, v[196:197], v[196:197], v[198:199]
	v_div_scale_f64 v[219:220], vcc_lo, v[198:199], v[196:197], v[198:199]
	v_rcp_f64_e32 v[215:216], v[213:214]
	s_waitcnt_depctr 0xfff
	v_fma_f64 v[217:218], -v[213:214], v[215:216], 1.0
	s_delay_alu instid0(VALU_DEP_1) | instskip(NEXT) | instid1(VALU_DEP_1)
	v_fma_f64 v[215:216], v[215:216], v[217:218], v[215:216]
	v_fma_f64 v[217:218], -v[213:214], v[215:216], 1.0
	s_delay_alu instid0(VALU_DEP_1) | instskip(NEXT) | instid1(VALU_DEP_1)
	v_fma_f64 v[215:216], v[215:216], v[217:218], v[215:216]
	v_mul_f64 v[217:218], v[219:220], v[215:216]
	s_delay_alu instid0(VALU_DEP_1) | instskip(NEXT) | instid1(VALU_DEP_1)
	v_fma_f64 v[213:214], -v[213:214], v[217:218], v[219:220]
	v_div_fmas_f64 v[213:214], v[213:214], v[215:216], v[217:218]
	s_delay_alu instid0(VALU_DEP_1) | instskip(NEXT) | instid1(VALU_DEP_1)
	v_div_fixup_f64 v[213:214], v[213:214], v[196:197], v[198:199]
	v_fma_f64 v[196:197], v[198:199], v[213:214], v[196:197]
	s_delay_alu instid0(VALU_DEP_1) | instskip(NEXT) | instid1(VALU_DEP_1)
	v_div_scale_f64 v[198:199], null, v[196:197], v[196:197], 1.0
	v_rcp_f64_e32 v[215:216], v[198:199]
	s_waitcnt_depctr 0xfff
	v_fma_f64 v[217:218], -v[198:199], v[215:216], 1.0
	s_delay_alu instid0(VALU_DEP_1) | instskip(NEXT) | instid1(VALU_DEP_1)
	v_fma_f64 v[215:216], v[215:216], v[217:218], v[215:216]
	v_fma_f64 v[217:218], -v[198:199], v[215:216], 1.0
	s_delay_alu instid0(VALU_DEP_1) | instskip(SKIP_1) | instid1(VALU_DEP_1)
	v_fma_f64 v[215:216], v[215:216], v[217:218], v[215:216]
	v_div_scale_f64 v[217:218], vcc_lo, 1.0, v[196:197], 1.0
	v_mul_f64 v[219:220], v[217:218], v[215:216]
	s_delay_alu instid0(VALU_DEP_1) | instskip(NEXT) | instid1(VALU_DEP_1)
	v_fma_f64 v[198:199], -v[198:199], v[219:220], v[217:218]
	v_div_fmas_f64 v[198:199], v[198:199], v[215:216], v[219:220]
	s_delay_alu instid0(VALU_DEP_1) | instskip(NEXT) | instid1(VALU_DEP_1)
	v_div_fixup_f64 v[196:197], v[198:199], v[196:197], 1.0
	v_mul_f64 v[198:199], v[213:214], -v[196:197]
.LBB96_681:
	s_or_b32 exec_lo, exec_lo, s2
.LBB96_682:
	s_delay_alu instid0(SALU_CYCLE_1) | instskip(NEXT) | instid1(SALU_CYCLE_1)
	s_or_b32 exec_lo, exec_lo, s3
	s_mov_b32 s2, exec_lo
	v_cmpx_ne_u32_e64 v212, v204
	s_xor_b32 s2, exec_lo, s2
	s_cbranch_execz .LBB96_688
; %bb.683:
	s_mov_b32 s3, exec_lo
	v_cmpx_eq_u32_e32 32, v212
	s_cbranch_execz .LBB96_687
; %bb.684:
	v_cmp_ne_u32_e32 vcc_lo, 32, v204
	s_xor_b32 s6, s4, -1
	s_delay_alu instid0(SALU_CYCLE_1) | instskip(NEXT) | instid1(SALU_CYCLE_1)
	s_and_b32 s7, s6, vcc_lo
	s_and_saveexec_b32 s6, s7
	s_cbranch_execz .LBB96_686
; %bb.685:
	v_ashrrev_i32_e32 v205, 31, v204
	s_delay_alu instid0(VALU_DEP_1) | instskip(NEXT) | instid1(VALU_DEP_1)
	v_lshlrev_b64 v[212:213], 2, v[204:205]
	v_add_co_u32 v212, vcc_lo, v202, v212
	s_delay_alu instid0(VALU_DEP_2)
	v_add_co_ci_u32_e32 v213, vcc_lo, v203, v213, vcc_lo
	s_clause 0x1
	flat_load_b32 v205, v[212:213]
	flat_load_b32 v210, v[202:203] offset:128
	s_waitcnt vmcnt(1) lgkmcnt(1)
	flat_store_b32 v[202:203], v205 offset:128
	s_waitcnt vmcnt(0) lgkmcnt(1)
	flat_store_b32 v[212:213], v210
.LBB96_686:
	s_or_b32 exec_lo, exec_lo, s6
	v_mov_b32_e32 v212, v204
	v_mov_b32_e32 v210, v204
.LBB96_687:
	s_or_b32 exec_lo, exec_lo, s3
.LBB96_688:
	s_and_not1_saveexec_b32 s2, s2
	s_cbranch_execz .LBB96_690
; %bb.689:
	v_mov_b32_e32 v212, 32
	ds_store_2addr_b64 v206, v[60:61], v[62:63] offset0:66 offset1:67
	ds_store_2addr_b64 v206, v[56:57], v[58:59] offset0:68 offset1:69
	;; [unrolled: 1-line block ×16, first 2 shown]
.LBB96_690:
	s_or_b32 exec_lo, exec_lo, s2
	s_delay_alu instid0(SALU_CYCLE_1)
	s_mov_b32 s2, exec_lo
	s_waitcnt lgkmcnt(0)
	s_waitcnt_vscnt null, 0x0
	s_barrier
	buffer_gl0_inv
	v_cmpx_lt_i32_e32 32, v212
	s_cbranch_execz .LBB96_692
; %bb.691:
	v_mul_f64 v[204:205], v[196:197], v[66:67]
	v_mul_f64 v[66:67], v[198:199], v[66:67]
	s_delay_alu instid0(VALU_DEP_2) | instskip(NEXT) | instid1(VALU_DEP_2)
	v_fma_f64 v[204:205], v[198:199], v[64:65], v[204:205]
	v_fma_f64 v[64:65], v[196:197], v[64:65], -v[66:67]
	ds_load_2addr_b64 v[196:199], v206 offset0:66 offset1:67
	s_waitcnt lgkmcnt(0)
	v_mul_f64 v[66:67], v[198:199], v[204:205]
	s_delay_alu instid0(VALU_DEP_1) | instskip(SKIP_1) | instid1(VALU_DEP_2)
	v_fma_f64 v[66:67], v[196:197], v[64:65], -v[66:67]
	v_mul_f64 v[196:197], v[196:197], v[204:205]
	v_add_f64 v[60:61], v[60:61], -v[66:67]
	s_delay_alu instid0(VALU_DEP_2) | instskip(NEXT) | instid1(VALU_DEP_1)
	v_fma_f64 v[196:197], v[198:199], v[64:65], v[196:197]
	v_add_f64 v[62:63], v[62:63], -v[196:197]
	ds_load_2addr_b64 v[196:199], v206 offset0:68 offset1:69
	s_waitcnt lgkmcnt(0)
	v_mul_f64 v[66:67], v[198:199], v[204:205]
	s_delay_alu instid0(VALU_DEP_1) | instskip(SKIP_1) | instid1(VALU_DEP_2)
	v_fma_f64 v[66:67], v[196:197], v[64:65], -v[66:67]
	v_mul_f64 v[196:197], v[196:197], v[204:205]
	v_add_f64 v[56:57], v[56:57], -v[66:67]
	s_delay_alu instid0(VALU_DEP_2) | instskip(NEXT) | instid1(VALU_DEP_1)
	v_fma_f64 v[196:197], v[198:199], v[64:65], v[196:197]
	v_add_f64 v[58:59], v[58:59], -v[196:197]
	ds_load_2addr_b64 v[196:199], v206 offset0:70 offset1:71
	s_waitcnt lgkmcnt(0)
	v_mul_f64 v[66:67], v[198:199], v[204:205]
	s_delay_alu instid0(VALU_DEP_1) | instskip(SKIP_1) | instid1(VALU_DEP_2)
	v_fma_f64 v[66:67], v[196:197], v[64:65], -v[66:67]
	v_mul_f64 v[196:197], v[196:197], v[204:205]
	v_add_f64 v[52:53], v[52:53], -v[66:67]
	s_delay_alu instid0(VALU_DEP_2) | instskip(NEXT) | instid1(VALU_DEP_1)
	v_fma_f64 v[196:197], v[198:199], v[64:65], v[196:197]
	v_add_f64 v[54:55], v[54:55], -v[196:197]
	ds_load_2addr_b64 v[196:199], v206 offset0:72 offset1:73
	s_waitcnt lgkmcnt(0)
	v_mul_f64 v[66:67], v[198:199], v[204:205]
	s_delay_alu instid0(VALU_DEP_1) | instskip(SKIP_1) | instid1(VALU_DEP_2)
	v_fma_f64 v[66:67], v[196:197], v[64:65], -v[66:67]
	v_mul_f64 v[196:197], v[196:197], v[204:205]
	v_add_f64 v[48:49], v[48:49], -v[66:67]
	s_delay_alu instid0(VALU_DEP_2) | instskip(NEXT) | instid1(VALU_DEP_1)
	v_fma_f64 v[196:197], v[198:199], v[64:65], v[196:197]
	v_add_f64 v[50:51], v[50:51], -v[196:197]
	ds_load_2addr_b64 v[196:199], v206 offset0:74 offset1:75
	s_waitcnt lgkmcnt(0)
	v_mul_f64 v[66:67], v[198:199], v[204:205]
	s_delay_alu instid0(VALU_DEP_1) | instskip(SKIP_1) | instid1(VALU_DEP_2)
	v_fma_f64 v[66:67], v[196:197], v[64:65], -v[66:67]
	v_mul_f64 v[196:197], v[196:197], v[204:205]
	v_add_f64 v[44:45], v[44:45], -v[66:67]
	s_delay_alu instid0(VALU_DEP_2) | instskip(NEXT) | instid1(VALU_DEP_1)
	v_fma_f64 v[196:197], v[198:199], v[64:65], v[196:197]
	v_add_f64 v[46:47], v[46:47], -v[196:197]
	ds_load_2addr_b64 v[196:199], v206 offset0:76 offset1:77
	s_waitcnt lgkmcnt(0)
	v_mul_f64 v[66:67], v[198:199], v[204:205]
	s_delay_alu instid0(VALU_DEP_1) | instskip(SKIP_1) | instid1(VALU_DEP_2)
	v_fma_f64 v[66:67], v[196:197], v[64:65], -v[66:67]
	v_mul_f64 v[196:197], v[196:197], v[204:205]
	v_add_f64 v[40:41], v[40:41], -v[66:67]
	s_delay_alu instid0(VALU_DEP_2) | instskip(NEXT) | instid1(VALU_DEP_1)
	v_fma_f64 v[196:197], v[198:199], v[64:65], v[196:197]
	v_add_f64 v[42:43], v[42:43], -v[196:197]
	ds_load_2addr_b64 v[196:199], v206 offset0:78 offset1:79
	s_waitcnt lgkmcnt(0)
	v_mul_f64 v[66:67], v[198:199], v[204:205]
	s_delay_alu instid0(VALU_DEP_1) | instskip(SKIP_1) | instid1(VALU_DEP_2)
	v_fma_f64 v[66:67], v[196:197], v[64:65], -v[66:67]
	v_mul_f64 v[196:197], v[196:197], v[204:205]
	v_add_f64 v[36:37], v[36:37], -v[66:67]
	s_delay_alu instid0(VALU_DEP_2) | instskip(NEXT) | instid1(VALU_DEP_1)
	v_fma_f64 v[196:197], v[198:199], v[64:65], v[196:197]
	v_add_f64 v[38:39], v[38:39], -v[196:197]
	ds_load_2addr_b64 v[196:199], v206 offset0:80 offset1:81
	s_waitcnt lgkmcnt(0)
	v_mul_f64 v[66:67], v[198:199], v[204:205]
	s_delay_alu instid0(VALU_DEP_1) | instskip(SKIP_1) | instid1(VALU_DEP_2)
	v_fma_f64 v[66:67], v[196:197], v[64:65], -v[66:67]
	v_mul_f64 v[196:197], v[196:197], v[204:205]
	v_add_f64 v[32:33], v[32:33], -v[66:67]
	s_delay_alu instid0(VALU_DEP_2) | instskip(NEXT) | instid1(VALU_DEP_1)
	v_fma_f64 v[196:197], v[198:199], v[64:65], v[196:197]
	v_add_f64 v[34:35], v[34:35], -v[196:197]
	ds_load_2addr_b64 v[196:199], v206 offset0:82 offset1:83
	s_waitcnt lgkmcnt(0)
	v_mul_f64 v[66:67], v[198:199], v[204:205]
	s_delay_alu instid0(VALU_DEP_1) | instskip(SKIP_1) | instid1(VALU_DEP_2)
	v_fma_f64 v[66:67], v[196:197], v[64:65], -v[66:67]
	v_mul_f64 v[196:197], v[196:197], v[204:205]
	v_add_f64 v[28:29], v[28:29], -v[66:67]
	s_delay_alu instid0(VALU_DEP_2) | instskip(NEXT) | instid1(VALU_DEP_1)
	v_fma_f64 v[196:197], v[198:199], v[64:65], v[196:197]
	v_add_f64 v[30:31], v[30:31], -v[196:197]
	ds_load_2addr_b64 v[196:199], v206 offset0:84 offset1:85
	s_waitcnt lgkmcnt(0)
	v_mul_f64 v[66:67], v[198:199], v[204:205]
	s_delay_alu instid0(VALU_DEP_1) | instskip(SKIP_1) | instid1(VALU_DEP_2)
	v_fma_f64 v[66:67], v[196:197], v[64:65], -v[66:67]
	v_mul_f64 v[196:197], v[196:197], v[204:205]
	v_add_f64 v[24:25], v[24:25], -v[66:67]
	s_delay_alu instid0(VALU_DEP_2) | instskip(NEXT) | instid1(VALU_DEP_1)
	v_fma_f64 v[196:197], v[198:199], v[64:65], v[196:197]
	v_add_f64 v[26:27], v[26:27], -v[196:197]
	ds_load_2addr_b64 v[196:199], v206 offset0:86 offset1:87
	s_waitcnt lgkmcnt(0)
	v_mul_f64 v[66:67], v[198:199], v[204:205]
	s_delay_alu instid0(VALU_DEP_1) | instskip(SKIP_1) | instid1(VALU_DEP_2)
	v_fma_f64 v[66:67], v[196:197], v[64:65], -v[66:67]
	v_mul_f64 v[196:197], v[196:197], v[204:205]
	v_add_f64 v[20:21], v[20:21], -v[66:67]
	s_delay_alu instid0(VALU_DEP_2) | instskip(NEXT) | instid1(VALU_DEP_1)
	v_fma_f64 v[196:197], v[198:199], v[64:65], v[196:197]
	v_add_f64 v[22:23], v[22:23], -v[196:197]
	ds_load_2addr_b64 v[196:199], v206 offset0:88 offset1:89
	s_waitcnt lgkmcnt(0)
	v_mul_f64 v[66:67], v[198:199], v[204:205]
	s_delay_alu instid0(VALU_DEP_1) | instskip(SKIP_1) | instid1(VALU_DEP_2)
	v_fma_f64 v[66:67], v[196:197], v[64:65], -v[66:67]
	v_mul_f64 v[196:197], v[196:197], v[204:205]
	v_add_f64 v[16:17], v[16:17], -v[66:67]
	s_delay_alu instid0(VALU_DEP_2) | instskip(NEXT) | instid1(VALU_DEP_1)
	v_fma_f64 v[196:197], v[198:199], v[64:65], v[196:197]
	v_add_f64 v[18:19], v[18:19], -v[196:197]
	ds_load_2addr_b64 v[196:199], v206 offset0:90 offset1:91
	s_waitcnt lgkmcnt(0)
	v_mul_f64 v[66:67], v[198:199], v[204:205]
	s_delay_alu instid0(VALU_DEP_1) | instskip(SKIP_1) | instid1(VALU_DEP_2)
	v_fma_f64 v[66:67], v[196:197], v[64:65], -v[66:67]
	v_mul_f64 v[196:197], v[196:197], v[204:205]
	v_add_f64 v[12:13], v[12:13], -v[66:67]
	s_delay_alu instid0(VALU_DEP_2) | instskip(NEXT) | instid1(VALU_DEP_1)
	v_fma_f64 v[196:197], v[198:199], v[64:65], v[196:197]
	v_add_f64 v[14:15], v[14:15], -v[196:197]
	ds_load_2addr_b64 v[196:199], v206 offset0:92 offset1:93
	s_waitcnt lgkmcnt(0)
	v_mul_f64 v[66:67], v[198:199], v[204:205]
	s_delay_alu instid0(VALU_DEP_1) | instskip(SKIP_1) | instid1(VALU_DEP_2)
	v_fma_f64 v[66:67], v[196:197], v[64:65], -v[66:67]
	v_mul_f64 v[196:197], v[196:197], v[204:205]
	v_add_f64 v[8:9], v[8:9], -v[66:67]
	s_delay_alu instid0(VALU_DEP_2) | instskip(NEXT) | instid1(VALU_DEP_1)
	v_fma_f64 v[196:197], v[198:199], v[64:65], v[196:197]
	v_add_f64 v[10:11], v[10:11], -v[196:197]
	ds_load_2addr_b64 v[196:199], v206 offset0:94 offset1:95
	s_waitcnt lgkmcnt(0)
	v_mul_f64 v[66:67], v[198:199], v[204:205]
	s_delay_alu instid0(VALU_DEP_1) | instskip(SKIP_1) | instid1(VALU_DEP_2)
	v_fma_f64 v[66:67], v[196:197], v[64:65], -v[66:67]
	v_mul_f64 v[196:197], v[196:197], v[204:205]
	v_add_f64 v[4:5], v[4:5], -v[66:67]
	s_delay_alu instid0(VALU_DEP_2) | instskip(NEXT) | instid1(VALU_DEP_1)
	v_fma_f64 v[196:197], v[198:199], v[64:65], v[196:197]
	v_add_f64 v[6:7], v[6:7], -v[196:197]
	ds_load_2addr_b64 v[196:199], v206 offset0:96 offset1:97
	s_waitcnt lgkmcnt(0)
	v_mul_f64 v[66:67], v[198:199], v[204:205]
	s_delay_alu instid0(VALU_DEP_1) | instskip(SKIP_1) | instid1(VALU_DEP_2)
	v_fma_f64 v[66:67], v[196:197], v[64:65], -v[66:67]
	v_mul_f64 v[196:197], v[196:197], v[204:205]
	v_add_f64 v[0:1], v[0:1], -v[66:67]
	s_delay_alu instid0(VALU_DEP_2) | instskip(SKIP_1) | instid1(VALU_DEP_2)
	v_fma_f64 v[196:197], v[198:199], v[64:65], v[196:197]
	v_dual_mov_b32 v66, v204 :: v_dual_mov_b32 v67, v205
	v_add_f64 v[2:3], v[2:3], -v[196:197]
.LBB96_692:
	s_or_b32 exec_lo, exec_lo, s2
	v_lshl_add_u32 v196, v212, 4, v206
	s_barrier
	buffer_gl0_inv
	v_mov_b32_e32 v204, 33
	ds_store_2addr_b64 v196, v[60:61], v[62:63] offset1:1
	s_waitcnt lgkmcnt(0)
	s_barrier
	buffer_gl0_inv
	ds_load_2addr_b64 v[196:199], v206 offset0:66 offset1:67
	s_cmp_lt_i32 s5, 35
	s_cbranch_scc1 .LBB96_695
; %bb.693:
	v_add3_u32 v205, v211, 0, 0x220
	v_mov_b32_e32 v204, 33
	s_mov_b32 s6, 34
	s_set_inst_prefetch_distance 0x1
	.p2align	6
.LBB96_694:                             ; =>This Inner Loop Header: Depth=1
	ds_load_2addr_b64 v[213:216], v205 offset1:1
	s_waitcnt lgkmcnt(1)
	v_cmp_gt_f64_e32 vcc_lo, 0, v[196:197]
	v_xor_b32_e32 v217, 0x80000000, v197
	v_cmp_gt_f64_e64 s2, 0, v[198:199]
	v_xor_b32_e32 v219, 0x80000000, v199
	v_add_nc_u32_e32 v205, 16, v205
	s_waitcnt lgkmcnt(0)
	v_cmp_gt_f64_e64 s3, 0, v[213:214]
	v_mov_b32_e32 v221, v213
	v_dual_mov_b32 v223, v215 :: v_dual_cndmask_b32 v218, v197, v217
	v_xor_b32_e32 v217, 0x80000000, v214
	v_cndmask_b32_e64 v220, v199, v219, s2
	v_xor_b32_e32 v219, 0x80000000, v216
	s_delay_alu instid0(VALU_DEP_3) | instskip(SKIP_2) | instid1(VALU_DEP_2)
	v_cndmask_b32_e64 v222, v214, v217, s3
	v_cmp_gt_f64_e64 s3, 0, v[215:216]
	v_cndmask_b32_e32 v217, v196, v196, vcc_lo
	v_cndmask_b32_e64 v224, v216, v219, s3
	v_cndmask_b32_e64 v219, v198, v198, s2
	s_delay_alu instid0(VALU_DEP_2) | instskip(NEXT) | instid1(VALU_DEP_2)
	v_add_f64 v[221:222], v[221:222], v[223:224]
	v_add_f64 v[217:218], v[217:218], v[219:220]
	s_delay_alu instid0(VALU_DEP_1) | instskip(SKIP_4) | instid1(SALU_CYCLE_1)
	v_cmp_lt_f64_e32 vcc_lo, v[217:218], v[221:222]
	v_dual_cndmask_b32 v198, v198, v215 :: v_dual_cndmask_b32 v197, v197, v214
	v_dual_cndmask_b32 v196, v196, v213 :: v_dual_cndmask_b32 v199, v199, v216
	v_cndmask_b32_e64 v204, v204, s6, vcc_lo
	s_add_i32 s6, s6, 1
	s_cmp_lg_u32 s5, s6
	s_cbranch_scc1 .LBB96_694
.LBB96_695:
	s_set_inst_prefetch_distance 0x2
	s_waitcnt lgkmcnt(0)
	v_cmp_eq_f64_e32 vcc_lo, 0, v[196:197]
	v_cmp_eq_f64_e64 s2, 0, v[198:199]
	s_delay_alu instid0(VALU_DEP_1) | instskip(NEXT) | instid1(SALU_CYCLE_1)
	s_and_b32 s2, vcc_lo, s2
	s_and_saveexec_b32 s3, s2
	s_delay_alu instid0(SALU_CYCLE_1)
	s_xor_b32 s2, exec_lo, s3
; %bb.696:
	v_cmp_ne_u32_e32 vcc_lo, 0, v209
	v_cndmask_b32_e32 v209, 34, v209, vcc_lo
; %bb.697:
	s_and_not1_saveexec_b32 s3, s2
	s_cbranch_execz .LBB96_703
; %bb.698:
	v_cmp_gt_f64_e32 vcc_lo, 0, v[196:197]
	v_cmp_gt_f64_e64 s2, 0, v[198:199]
	v_xor_b32_e32 v205, 0x80000000, v197
	v_xor_b32_e32 v213, 0x80000000, v199
	s_delay_alu instid0(VALU_DEP_2) | instskip(NEXT) | instid1(VALU_DEP_2)
	v_cndmask_b32_e32 v214, v197, v205, vcc_lo
	v_cndmask_b32_e64 v216, v199, v213, s2
	v_cndmask_b32_e32 v213, v196, v196, vcc_lo
	v_cndmask_b32_e64 v215, v198, v198, s2
	s_mov_b32 s2, exec_lo
	s_delay_alu instid0(VALU_DEP_1)
	v_cmpx_ngt_f64_e32 v[213:214], v[215:216]
	s_xor_b32 s2, exec_lo, s2
	s_cbranch_execz .LBB96_700
; %bb.699:
	v_div_scale_f64 v[213:214], null, v[198:199], v[198:199], v[196:197]
	v_div_scale_f64 v[219:220], vcc_lo, v[196:197], v[198:199], v[196:197]
	s_delay_alu instid0(VALU_DEP_2) | instskip(SKIP_2) | instid1(VALU_DEP_1)
	v_rcp_f64_e32 v[215:216], v[213:214]
	s_waitcnt_depctr 0xfff
	v_fma_f64 v[217:218], -v[213:214], v[215:216], 1.0
	v_fma_f64 v[215:216], v[215:216], v[217:218], v[215:216]
	s_delay_alu instid0(VALU_DEP_1) | instskip(NEXT) | instid1(VALU_DEP_1)
	v_fma_f64 v[217:218], -v[213:214], v[215:216], 1.0
	v_fma_f64 v[215:216], v[215:216], v[217:218], v[215:216]
	s_delay_alu instid0(VALU_DEP_1) | instskip(NEXT) | instid1(VALU_DEP_1)
	v_mul_f64 v[217:218], v[219:220], v[215:216]
	v_fma_f64 v[213:214], -v[213:214], v[217:218], v[219:220]
	s_delay_alu instid0(VALU_DEP_1) | instskip(NEXT) | instid1(VALU_DEP_1)
	v_div_fmas_f64 v[213:214], v[213:214], v[215:216], v[217:218]
	v_div_fixup_f64 v[213:214], v[213:214], v[198:199], v[196:197]
	s_delay_alu instid0(VALU_DEP_1) | instskip(NEXT) | instid1(VALU_DEP_1)
	v_fma_f64 v[196:197], v[196:197], v[213:214], v[198:199]
	v_div_scale_f64 v[198:199], null, v[196:197], v[196:197], 1.0
	s_delay_alu instid0(VALU_DEP_1) | instskip(SKIP_2) | instid1(VALU_DEP_1)
	v_rcp_f64_e32 v[215:216], v[198:199]
	s_waitcnt_depctr 0xfff
	v_fma_f64 v[217:218], -v[198:199], v[215:216], 1.0
	v_fma_f64 v[215:216], v[215:216], v[217:218], v[215:216]
	s_delay_alu instid0(VALU_DEP_1) | instskip(NEXT) | instid1(VALU_DEP_1)
	v_fma_f64 v[217:218], -v[198:199], v[215:216], 1.0
	v_fma_f64 v[215:216], v[215:216], v[217:218], v[215:216]
	v_div_scale_f64 v[217:218], vcc_lo, 1.0, v[196:197], 1.0
	s_delay_alu instid0(VALU_DEP_1) | instskip(NEXT) | instid1(VALU_DEP_1)
	v_mul_f64 v[219:220], v[217:218], v[215:216]
	v_fma_f64 v[198:199], -v[198:199], v[219:220], v[217:218]
	s_delay_alu instid0(VALU_DEP_1) | instskip(NEXT) | instid1(VALU_DEP_1)
	v_div_fmas_f64 v[198:199], v[198:199], v[215:216], v[219:220]
	v_div_fixup_f64 v[198:199], v[198:199], v[196:197], 1.0
	s_delay_alu instid0(VALU_DEP_1)
	v_mul_f64 v[196:197], v[213:214], v[198:199]
	v_xor_b32_e32 v199, 0x80000000, v199
.LBB96_700:
	s_and_not1_saveexec_b32 s2, s2
	s_cbranch_execz .LBB96_702
; %bb.701:
	s_delay_alu instid0(VALU_DEP_1) | instskip(SKIP_1) | instid1(VALU_DEP_2)
	v_div_scale_f64 v[213:214], null, v[196:197], v[196:197], v[198:199]
	v_div_scale_f64 v[219:220], vcc_lo, v[198:199], v[196:197], v[198:199]
	v_rcp_f64_e32 v[215:216], v[213:214]
	s_waitcnt_depctr 0xfff
	v_fma_f64 v[217:218], -v[213:214], v[215:216], 1.0
	s_delay_alu instid0(VALU_DEP_1) | instskip(NEXT) | instid1(VALU_DEP_1)
	v_fma_f64 v[215:216], v[215:216], v[217:218], v[215:216]
	v_fma_f64 v[217:218], -v[213:214], v[215:216], 1.0
	s_delay_alu instid0(VALU_DEP_1) | instskip(NEXT) | instid1(VALU_DEP_1)
	v_fma_f64 v[215:216], v[215:216], v[217:218], v[215:216]
	v_mul_f64 v[217:218], v[219:220], v[215:216]
	s_delay_alu instid0(VALU_DEP_1) | instskip(NEXT) | instid1(VALU_DEP_1)
	v_fma_f64 v[213:214], -v[213:214], v[217:218], v[219:220]
	v_div_fmas_f64 v[213:214], v[213:214], v[215:216], v[217:218]
	s_delay_alu instid0(VALU_DEP_1) | instskip(NEXT) | instid1(VALU_DEP_1)
	v_div_fixup_f64 v[213:214], v[213:214], v[196:197], v[198:199]
	v_fma_f64 v[196:197], v[198:199], v[213:214], v[196:197]
	s_delay_alu instid0(VALU_DEP_1) | instskip(NEXT) | instid1(VALU_DEP_1)
	v_div_scale_f64 v[198:199], null, v[196:197], v[196:197], 1.0
	v_rcp_f64_e32 v[215:216], v[198:199]
	s_waitcnt_depctr 0xfff
	v_fma_f64 v[217:218], -v[198:199], v[215:216], 1.0
	s_delay_alu instid0(VALU_DEP_1) | instskip(NEXT) | instid1(VALU_DEP_1)
	v_fma_f64 v[215:216], v[215:216], v[217:218], v[215:216]
	v_fma_f64 v[217:218], -v[198:199], v[215:216], 1.0
	s_delay_alu instid0(VALU_DEP_1) | instskip(SKIP_1) | instid1(VALU_DEP_1)
	v_fma_f64 v[215:216], v[215:216], v[217:218], v[215:216]
	v_div_scale_f64 v[217:218], vcc_lo, 1.0, v[196:197], 1.0
	v_mul_f64 v[219:220], v[217:218], v[215:216]
	s_delay_alu instid0(VALU_DEP_1) | instskip(NEXT) | instid1(VALU_DEP_1)
	v_fma_f64 v[198:199], -v[198:199], v[219:220], v[217:218]
	v_div_fmas_f64 v[198:199], v[198:199], v[215:216], v[219:220]
	s_delay_alu instid0(VALU_DEP_1) | instskip(NEXT) | instid1(VALU_DEP_1)
	v_div_fixup_f64 v[196:197], v[198:199], v[196:197], 1.0
	v_mul_f64 v[198:199], v[213:214], -v[196:197]
.LBB96_702:
	s_or_b32 exec_lo, exec_lo, s2
.LBB96_703:
	s_delay_alu instid0(SALU_CYCLE_1) | instskip(NEXT) | instid1(SALU_CYCLE_1)
	s_or_b32 exec_lo, exec_lo, s3
	s_mov_b32 s2, exec_lo
	v_cmpx_ne_u32_e64 v212, v204
	s_xor_b32 s2, exec_lo, s2
	s_cbranch_execz .LBB96_709
; %bb.704:
	s_mov_b32 s3, exec_lo
	v_cmpx_eq_u32_e32 33, v212
	s_cbranch_execz .LBB96_708
; %bb.705:
	v_cmp_ne_u32_e32 vcc_lo, 33, v204
	s_xor_b32 s6, s4, -1
	s_delay_alu instid0(SALU_CYCLE_1) | instskip(NEXT) | instid1(SALU_CYCLE_1)
	s_and_b32 s7, s6, vcc_lo
	s_and_saveexec_b32 s6, s7
	s_cbranch_execz .LBB96_707
; %bb.706:
	v_ashrrev_i32_e32 v205, 31, v204
	s_delay_alu instid0(VALU_DEP_1) | instskip(NEXT) | instid1(VALU_DEP_1)
	v_lshlrev_b64 v[212:213], 2, v[204:205]
	v_add_co_u32 v212, vcc_lo, v202, v212
	s_delay_alu instid0(VALU_DEP_2)
	v_add_co_ci_u32_e32 v213, vcc_lo, v203, v213, vcc_lo
	s_clause 0x1
	flat_load_b32 v205, v[212:213]
	flat_load_b32 v210, v[202:203] offset:132
	s_waitcnt vmcnt(1) lgkmcnt(1)
	flat_store_b32 v[202:203], v205 offset:132
	s_waitcnt vmcnt(0) lgkmcnt(1)
	flat_store_b32 v[212:213], v210
.LBB96_707:
	s_or_b32 exec_lo, exec_lo, s6
	v_mov_b32_e32 v212, v204
	v_mov_b32_e32 v210, v204
.LBB96_708:
	s_or_b32 exec_lo, exec_lo, s3
.LBB96_709:
	s_and_not1_saveexec_b32 s2, s2
	s_cbranch_execz .LBB96_711
; %bb.710:
	v_mov_b32_e32 v212, 33
	ds_store_2addr_b64 v206, v[56:57], v[58:59] offset0:68 offset1:69
	ds_store_2addr_b64 v206, v[52:53], v[54:55] offset0:70 offset1:71
	;; [unrolled: 1-line block ×15, first 2 shown]
.LBB96_711:
	s_or_b32 exec_lo, exec_lo, s2
	s_delay_alu instid0(SALU_CYCLE_1)
	s_mov_b32 s2, exec_lo
	s_waitcnt lgkmcnt(0)
	s_waitcnt_vscnt null, 0x0
	s_barrier
	buffer_gl0_inv
	v_cmpx_lt_i32_e32 33, v212
	s_cbranch_execz .LBB96_713
; %bb.712:
	v_mul_f64 v[204:205], v[196:197], v[62:63]
	v_mul_f64 v[62:63], v[198:199], v[62:63]
	s_delay_alu instid0(VALU_DEP_2) | instskip(NEXT) | instid1(VALU_DEP_2)
	v_fma_f64 v[204:205], v[198:199], v[60:61], v[204:205]
	v_fma_f64 v[60:61], v[196:197], v[60:61], -v[62:63]
	ds_load_2addr_b64 v[196:199], v206 offset0:68 offset1:69
	s_waitcnt lgkmcnt(0)
	v_mul_f64 v[62:63], v[198:199], v[204:205]
	s_delay_alu instid0(VALU_DEP_1) | instskip(SKIP_1) | instid1(VALU_DEP_2)
	v_fma_f64 v[62:63], v[196:197], v[60:61], -v[62:63]
	v_mul_f64 v[196:197], v[196:197], v[204:205]
	v_add_f64 v[56:57], v[56:57], -v[62:63]
	s_delay_alu instid0(VALU_DEP_2) | instskip(NEXT) | instid1(VALU_DEP_1)
	v_fma_f64 v[196:197], v[198:199], v[60:61], v[196:197]
	v_add_f64 v[58:59], v[58:59], -v[196:197]
	ds_load_2addr_b64 v[196:199], v206 offset0:70 offset1:71
	s_waitcnt lgkmcnt(0)
	v_mul_f64 v[62:63], v[198:199], v[204:205]
	s_delay_alu instid0(VALU_DEP_1) | instskip(SKIP_1) | instid1(VALU_DEP_2)
	v_fma_f64 v[62:63], v[196:197], v[60:61], -v[62:63]
	v_mul_f64 v[196:197], v[196:197], v[204:205]
	v_add_f64 v[52:53], v[52:53], -v[62:63]
	s_delay_alu instid0(VALU_DEP_2) | instskip(NEXT) | instid1(VALU_DEP_1)
	v_fma_f64 v[196:197], v[198:199], v[60:61], v[196:197]
	v_add_f64 v[54:55], v[54:55], -v[196:197]
	ds_load_2addr_b64 v[196:199], v206 offset0:72 offset1:73
	s_waitcnt lgkmcnt(0)
	v_mul_f64 v[62:63], v[198:199], v[204:205]
	s_delay_alu instid0(VALU_DEP_1) | instskip(SKIP_1) | instid1(VALU_DEP_2)
	v_fma_f64 v[62:63], v[196:197], v[60:61], -v[62:63]
	v_mul_f64 v[196:197], v[196:197], v[204:205]
	v_add_f64 v[48:49], v[48:49], -v[62:63]
	s_delay_alu instid0(VALU_DEP_2) | instskip(NEXT) | instid1(VALU_DEP_1)
	v_fma_f64 v[196:197], v[198:199], v[60:61], v[196:197]
	v_add_f64 v[50:51], v[50:51], -v[196:197]
	ds_load_2addr_b64 v[196:199], v206 offset0:74 offset1:75
	s_waitcnt lgkmcnt(0)
	v_mul_f64 v[62:63], v[198:199], v[204:205]
	s_delay_alu instid0(VALU_DEP_1) | instskip(SKIP_1) | instid1(VALU_DEP_2)
	v_fma_f64 v[62:63], v[196:197], v[60:61], -v[62:63]
	v_mul_f64 v[196:197], v[196:197], v[204:205]
	v_add_f64 v[44:45], v[44:45], -v[62:63]
	s_delay_alu instid0(VALU_DEP_2) | instskip(NEXT) | instid1(VALU_DEP_1)
	v_fma_f64 v[196:197], v[198:199], v[60:61], v[196:197]
	v_add_f64 v[46:47], v[46:47], -v[196:197]
	ds_load_2addr_b64 v[196:199], v206 offset0:76 offset1:77
	s_waitcnt lgkmcnt(0)
	v_mul_f64 v[62:63], v[198:199], v[204:205]
	s_delay_alu instid0(VALU_DEP_1) | instskip(SKIP_1) | instid1(VALU_DEP_2)
	v_fma_f64 v[62:63], v[196:197], v[60:61], -v[62:63]
	v_mul_f64 v[196:197], v[196:197], v[204:205]
	v_add_f64 v[40:41], v[40:41], -v[62:63]
	s_delay_alu instid0(VALU_DEP_2) | instskip(NEXT) | instid1(VALU_DEP_1)
	v_fma_f64 v[196:197], v[198:199], v[60:61], v[196:197]
	v_add_f64 v[42:43], v[42:43], -v[196:197]
	ds_load_2addr_b64 v[196:199], v206 offset0:78 offset1:79
	s_waitcnt lgkmcnt(0)
	v_mul_f64 v[62:63], v[198:199], v[204:205]
	s_delay_alu instid0(VALU_DEP_1) | instskip(SKIP_1) | instid1(VALU_DEP_2)
	v_fma_f64 v[62:63], v[196:197], v[60:61], -v[62:63]
	v_mul_f64 v[196:197], v[196:197], v[204:205]
	v_add_f64 v[36:37], v[36:37], -v[62:63]
	s_delay_alu instid0(VALU_DEP_2) | instskip(NEXT) | instid1(VALU_DEP_1)
	v_fma_f64 v[196:197], v[198:199], v[60:61], v[196:197]
	v_add_f64 v[38:39], v[38:39], -v[196:197]
	ds_load_2addr_b64 v[196:199], v206 offset0:80 offset1:81
	s_waitcnt lgkmcnt(0)
	v_mul_f64 v[62:63], v[198:199], v[204:205]
	s_delay_alu instid0(VALU_DEP_1) | instskip(SKIP_1) | instid1(VALU_DEP_2)
	v_fma_f64 v[62:63], v[196:197], v[60:61], -v[62:63]
	v_mul_f64 v[196:197], v[196:197], v[204:205]
	v_add_f64 v[32:33], v[32:33], -v[62:63]
	s_delay_alu instid0(VALU_DEP_2) | instskip(NEXT) | instid1(VALU_DEP_1)
	v_fma_f64 v[196:197], v[198:199], v[60:61], v[196:197]
	v_add_f64 v[34:35], v[34:35], -v[196:197]
	ds_load_2addr_b64 v[196:199], v206 offset0:82 offset1:83
	s_waitcnt lgkmcnt(0)
	v_mul_f64 v[62:63], v[198:199], v[204:205]
	s_delay_alu instid0(VALU_DEP_1) | instskip(SKIP_1) | instid1(VALU_DEP_2)
	v_fma_f64 v[62:63], v[196:197], v[60:61], -v[62:63]
	v_mul_f64 v[196:197], v[196:197], v[204:205]
	v_add_f64 v[28:29], v[28:29], -v[62:63]
	s_delay_alu instid0(VALU_DEP_2) | instskip(NEXT) | instid1(VALU_DEP_1)
	v_fma_f64 v[196:197], v[198:199], v[60:61], v[196:197]
	v_add_f64 v[30:31], v[30:31], -v[196:197]
	ds_load_2addr_b64 v[196:199], v206 offset0:84 offset1:85
	s_waitcnt lgkmcnt(0)
	v_mul_f64 v[62:63], v[198:199], v[204:205]
	s_delay_alu instid0(VALU_DEP_1) | instskip(SKIP_1) | instid1(VALU_DEP_2)
	v_fma_f64 v[62:63], v[196:197], v[60:61], -v[62:63]
	v_mul_f64 v[196:197], v[196:197], v[204:205]
	v_add_f64 v[24:25], v[24:25], -v[62:63]
	s_delay_alu instid0(VALU_DEP_2) | instskip(NEXT) | instid1(VALU_DEP_1)
	v_fma_f64 v[196:197], v[198:199], v[60:61], v[196:197]
	v_add_f64 v[26:27], v[26:27], -v[196:197]
	ds_load_2addr_b64 v[196:199], v206 offset0:86 offset1:87
	s_waitcnt lgkmcnt(0)
	v_mul_f64 v[62:63], v[198:199], v[204:205]
	s_delay_alu instid0(VALU_DEP_1) | instskip(SKIP_1) | instid1(VALU_DEP_2)
	v_fma_f64 v[62:63], v[196:197], v[60:61], -v[62:63]
	v_mul_f64 v[196:197], v[196:197], v[204:205]
	v_add_f64 v[20:21], v[20:21], -v[62:63]
	s_delay_alu instid0(VALU_DEP_2) | instskip(NEXT) | instid1(VALU_DEP_1)
	v_fma_f64 v[196:197], v[198:199], v[60:61], v[196:197]
	v_add_f64 v[22:23], v[22:23], -v[196:197]
	ds_load_2addr_b64 v[196:199], v206 offset0:88 offset1:89
	s_waitcnt lgkmcnt(0)
	v_mul_f64 v[62:63], v[198:199], v[204:205]
	s_delay_alu instid0(VALU_DEP_1) | instskip(SKIP_1) | instid1(VALU_DEP_2)
	v_fma_f64 v[62:63], v[196:197], v[60:61], -v[62:63]
	v_mul_f64 v[196:197], v[196:197], v[204:205]
	v_add_f64 v[16:17], v[16:17], -v[62:63]
	s_delay_alu instid0(VALU_DEP_2) | instskip(NEXT) | instid1(VALU_DEP_1)
	v_fma_f64 v[196:197], v[198:199], v[60:61], v[196:197]
	v_add_f64 v[18:19], v[18:19], -v[196:197]
	ds_load_2addr_b64 v[196:199], v206 offset0:90 offset1:91
	s_waitcnt lgkmcnt(0)
	v_mul_f64 v[62:63], v[198:199], v[204:205]
	s_delay_alu instid0(VALU_DEP_1) | instskip(SKIP_1) | instid1(VALU_DEP_2)
	v_fma_f64 v[62:63], v[196:197], v[60:61], -v[62:63]
	v_mul_f64 v[196:197], v[196:197], v[204:205]
	v_add_f64 v[12:13], v[12:13], -v[62:63]
	s_delay_alu instid0(VALU_DEP_2) | instskip(NEXT) | instid1(VALU_DEP_1)
	v_fma_f64 v[196:197], v[198:199], v[60:61], v[196:197]
	v_add_f64 v[14:15], v[14:15], -v[196:197]
	ds_load_2addr_b64 v[196:199], v206 offset0:92 offset1:93
	s_waitcnt lgkmcnt(0)
	v_mul_f64 v[62:63], v[198:199], v[204:205]
	s_delay_alu instid0(VALU_DEP_1) | instskip(SKIP_1) | instid1(VALU_DEP_2)
	v_fma_f64 v[62:63], v[196:197], v[60:61], -v[62:63]
	v_mul_f64 v[196:197], v[196:197], v[204:205]
	v_add_f64 v[8:9], v[8:9], -v[62:63]
	s_delay_alu instid0(VALU_DEP_2) | instskip(NEXT) | instid1(VALU_DEP_1)
	v_fma_f64 v[196:197], v[198:199], v[60:61], v[196:197]
	v_add_f64 v[10:11], v[10:11], -v[196:197]
	ds_load_2addr_b64 v[196:199], v206 offset0:94 offset1:95
	s_waitcnt lgkmcnt(0)
	v_mul_f64 v[62:63], v[198:199], v[204:205]
	s_delay_alu instid0(VALU_DEP_1) | instskip(SKIP_1) | instid1(VALU_DEP_2)
	v_fma_f64 v[62:63], v[196:197], v[60:61], -v[62:63]
	v_mul_f64 v[196:197], v[196:197], v[204:205]
	v_add_f64 v[4:5], v[4:5], -v[62:63]
	s_delay_alu instid0(VALU_DEP_2) | instskip(NEXT) | instid1(VALU_DEP_1)
	v_fma_f64 v[196:197], v[198:199], v[60:61], v[196:197]
	v_add_f64 v[6:7], v[6:7], -v[196:197]
	ds_load_2addr_b64 v[196:199], v206 offset0:96 offset1:97
	s_waitcnt lgkmcnt(0)
	v_mul_f64 v[62:63], v[198:199], v[204:205]
	s_delay_alu instid0(VALU_DEP_1) | instskip(SKIP_1) | instid1(VALU_DEP_2)
	v_fma_f64 v[62:63], v[196:197], v[60:61], -v[62:63]
	v_mul_f64 v[196:197], v[196:197], v[204:205]
	v_add_f64 v[0:1], v[0:1], -v[62:63]
	s_delay_alu instid0(VALU_DEP_2) | instskip(SKIP_1) | instid1(VALU_DEP_2)
	v_fma_f64 v[196:197], v[198:199], v[60:61], v[196:197]
	v_dual_mov_b32 v62, v204 :: v_dual_mov_b32 v63, v205
	v_add_f64 v[2:3], v[2:3], -v[196:197]
.LBB96_713:
	s_or_b32 exec_lo, exec_lo, s2
	v_lshl_add_u32 v196, v212, 4, v206
	s_barrier
	buffer_gl0_inv
	v_mov_b32_e32 v204, 34
	ds_store_2addr_b64 v196, v[56:57], v[58:59] offset1:1
	s_waitcnt lgkmcnt(0)
	s_barrier
	buffer_gl0_inv
	ds_load_2addr_b64 v[196:199], v206 offset0:68 offset1:69
	s_cmp_lt_i32 s5, 36
	s_cbranch_scc1 .LBB96_716
; %bb.714:
	v_add3_u32 v205, v211, 0, 0x230
	v_mov_b32_e32 v204, 34
	s_mov_b32 s6, 35
	s_set_inst_prefetch_distance 0x1
	.p2align	6
.LBB96_715:                             ; =>This Inner Loop Header: Depth=1
	ds_load_2addr_b64 v[213:216], v205 offset1:1
	s_waitcnt lgkmcnt(1)
	v_cmp_gt_f64_e32 vcc_lo, 0, v[196:197]
	v_xor_b32_e32 v217, 0x80000000, v197
	v_cmp_gt_f64_e64 s2, 0, v[198:199]
	v_xor_b32_e32 v219, 0x80000000, v199
	v_add_nc_u32_e32 v205, 16, v205
	s_waitcnt lgkmcnt(0)
	v_cmp_gt_f64_e64 s3, 0, v[213:214]
	v_mov_b32_e32 v221, v213
	v_dual_mov_b32 v223, v215 :: v_dual_cndmask_b32 v218, v197, v217
	v_xor_b32_e32 v217, 0x80000000, v214
	v_cndmask_b32_e64 v220, v199, v219, s2
	v_xor_b32_e32 v219, 0x80000000, v216
	s_delay_alu instid0(VALU_DEP_3) | instskip(SKIP_2) | instid1(VALU_DEP_2)
	v_cndmask_b32_e64 v222, v214, v217, s3
	v_cmp_gt_f64_e64 s3, 0, v[215:216]
	v_cndmask_b32_e32 v217, v196, v196, vcc_lo
	v_cndmask_b32_e64 v224, v216, v219, s3
	v_cndmask_b32_e64 v219, v198, v198, s2
	s_delay_alu instid0(VALU_DEP_2) | instskip(NEXT) | instid1(VALU_DEP_2)
	v_add_f64 v[221:222], v[221:222], v[223:224]
	v_add_f64 v[217:218], v[217:218], v[219:220]
	s_delay_alu instid0(VALU_DEP_1) | instskip(SKIP_4) | instid1(SALU_CYCLE_1)
	v_cmp_lt_f64_e32 vcc_lo, v[217:218], v[221:222]
	v_dual_cndmask_b32 v198, v198, v215 :: v_dual_cndmask_b32 v197, v197, v214
	v_dual_cndmask_b32 v196, v196, v213 :: v_dual_cndmask_b32 v199, v199, v216
	v_cndmask_b32_e64 v204, v204, s6, vcc_lo
	s_add_i32 s6, s6, 1
	s_cmp_lg_u32 s5, s6
	s_cbranch_scc1 .LBB96_715
.LBB96_716:
	s_set_inst_prefetch_distance 0x2
	s_waitcnt lgkmcnt(0)
	v_cmp_eq_f64_e32 vcc_lo, 0, v[196:197]
	v_cmp_eq_f64_e64 s2, 0, v[198:199]
	s_delay_alu instid0(VALU_DEP_1) | instskip(NEXT) | instid1(SALU_CYCLE_1)
	s_and_b32 s2, vcc_lo, s2
	s_and_saveexec_b32 s3, s2
	s_delay_alu instid0(SALU_CYCLE_1)
	s_xor_b32 s2, exec_lo, s3
; %bb.717:
	v_cmp_ne_u32_e32 vcc_lo, 0, v209
	v_cndmask_b32_e32 v209, 35, v209, vcc_lo
; %bb.718:
	s_and_not1_saveexec_b32 s3, s2
	s_cbranch_execz .LBB96_724
; %bb.719:
	v_cmp_gt_f64_e32 vcc_lo, 0, v[196:197]
	v_cmp_gt_f64_e64 s2, 0, v[198:199]
	v_xor_b32_e32 v205, 0x80000000, v197
	v_xor_b32_e32 v213, 0x80000000, v199
	s_delay_alu instid0(VALU_DEP_2) | instskip(NEXT) | instid1(VALU_DEP_2)
	v_cndmask_b32_e32 v214, v197, v205, vcc_lo
	v_cndmask_b32_e64 v216, v199, v213, s2
	v_cndmask_b32_e32 v213, v196, v196, vcc_lo
	v_cndmask_b32_e64 v215, v198, v198, s2
	s_mov_b32 s2, exec_lo
	s_delay_alu instid0(VALU_DEP_1)
	v_cmpx_ngt_f64_e32 v[213:214], v[215:216]
	s_xor_b32 s2, exec_lo, s2
	s_cbranch_execz .LBB96_721
; %bb.720:
	v_div_scale_f64 v[213:214], null, v[198:199], v[198:199], v[196:197]
	v_div_scale_f64 v[219:220], vcc_lo, v[196:197], v[198:199], v[196:197]
	s_delay_alu instid0(VALU_DEP_2) | instskip(SKIP_2) | instid1(VALU_DEP_1)
	v_rcp_f64_e32 v[215:216], v[213:214]
	s_waitcnt_depctr 0xfff
	v_fma_f64 v[217:218], -v[213:214], v[215:216], 1.0
	v_fma_f64 v[215:216], v[215:216], v[217:218], v[215:216]
	s_delay_alu instid0(VALU_DEP_1) | instskip(NEXT) | instid1(VALU_DEP_1)
	v_fma_f64 v[217:218], -v[213:214], v[215:216], 1.0
	v_fma_f64 v[215:216], v[215:216], v[217:218], v[215:216]
	s_delay_alu instid0(VALU_DEP_1) | instskip(NEXT) | instid1(VALU_DEP_1)
	v_mul_f64 v[217:218], v[219:220], v[215:216]
	v_fma_f64 v[213:214], -v[213:214], v[217:218], v[219:220]
	s_delay_alu instid0(VALU_DEP_1) | instskip(NEXT) | instid1(VALU_DEP_1)
	v_div_fmas_f64 v[213:214], v[213:214], v[215:216], v[217:218]
	v_div_fixup_f64 v[213:214], v[213:214], v[198:199], v[196:197]
	s_delay_alu instid0(VALU_DEP_1) | instskip(NEXT) | instid1(VALU_DEP_1)
	v_fma_f64 v[196:197], v[196:197], v[213:214], v[198:199]
	v_div_scale_f64 v[198:199], null, v[196:197], v[196:197], 1.0
	s_delay_alu instid0(VALU_DEP_1) | instskip(SKIP_2) | instid1(VALU_DEP_1)
	v_rcp_f64_e32 v[215:216], v[198:199]
	s_waitcnt_depctr 0xfff
	v_fma_f64 v[217:218], -v[198:199], v[215:216], 1.0
	v_fma_f64 v[215:216], v[215:216], v[217:218], v[215:216]
	s_delay_alu instid0(VALU_DEP_1) | instskip(NEXT) | instid1(VALU_DEP_1)
	v_fma_f64 v[217:218], -v[198:199], v[215:216], 1.0
	v_fma_f64 v[215:216], v[215:216], v[217:218], v[215:216]
	v_div_scale_f64 v[217:218], vcc_lo, 1.0, v[196:197], 1.0
	s_delay_alu instid0(VALU_DEP_1) | instskip(NEXT) | instid1(VALU_DEP_1)
	v_mul_f64 v[219:220], v[217:218], v[215:216]
	v_fma_f64 v[198:199], -v[198:199], v[219:220], v[217:218]
	s_delay_alu instid0(VALU_DEP_1) | instskip(NEXT) | instid1(VALU_DEP_1)
	v_div_fmas_f64 v[198:199], v[198:199], v[215:216], v[219:220]
	v_div_fixup_f64 v[198:199], v[198:199], v[196:197], 1.0
	s_delay_alu instid0(VALU_DEP_1)
	v_mul_f64 v[196:197], v[213:214], v[198:199]
	v_xor_b32_e32 v199, 0x80000000, v199
.LBB96_721:
	s_and_not1_saveexec_b32 s2, s2
	s_cbranch_execz .LBB96_723
; %bb.722:
	s_delay_alu instid0(VALU_DEP_1) | instskip(SKIP_1) | instid1(VALU_DEP_2)
	v_div_scale_f64 v[213:214], null, v[196:197], v[196:197], v[198:199]
	v_div_scale_f64 v[219:220], vcc_lo, v[198:199], v[196:197], v[198:199]
	v_rcp_f64_e32 v[215:216], v[213:214]
	s_waitcnt_depctr 0xfff
	v_fma_f64 v[217:218], -v[213:214], v[215:216], 1.0
	s_delay_alu instid0(VALU_DEP_1) | instskip(NEXT) | instid1(VALU_DEP_1)
	v_fma_f64 v[215:216], v[215:216], v[217:218], v[215:216]
	v_fma_f64 v[217:218], -v[213:214], v[215:216], 1.0
	s_delay_alu instid0(VALU_DEP_1) | instskip(NEXT) | instid1(VALU_DEP_1)
	v_fma_f64 v[215:216], v[215:216], v[217:218], v[215:216]
	v_mul_f64 v[217:218], v[219:220], v[215:216]
	s_delay_alu instid0(VALU_DEP_1) | instskip(NEXT) | instid1(VALU_DEP_1)
	v_fma_f64 v[213:214], -v[213:214], v[217:218], v[219:220]
	v_div_fmas_f64 v[213:214], v[213:214], v[215:216], v[217:218]
	s_delay_alu instid0(VALU_DEP_1) | instskip(NEXT) | instid1(VALU_DEP_1)
	v_div_fixup_f64 v[213:214], v[213:214], v[196:197], v[198:199]
	v_fma_f64 v[196:197], v[198:199], v[213:214], v[196:197]
	s_delay_alu instid0(VALU_DEP_1) | instskip(NEXT) | instid1(VALU_DEP_1)
	v_div_scale_f64 v[198:199], null, v[196:197], v[196:197], 1.0
	v_rcp_f64_e32 v[215:216], v[198:199]
	s_waitcnt_depctr 0xfff
	v_fma_f64 v[217:218], -v[198:199], v[215:216], 1.0
	s_delay_alu instid0(VALU_DEP_1) | instskip(NEXT) | instid1(VALU_DEP_1)
	v_fma_f64 v[215:216], v[215:216], v[217:218], v[215:216]
	v_fma_f64 v[217:218], -v[198:199], v[215:216], 1.0
	s_delay_alu instid0(VALU_DEP_1) | instskip(SKIP_1) | instid1(VALU_DEP_1)
	v_fma_f64 v[215:216], v[215:216], v[217:218], v[215:216]
	v_div_scale_f64 v[217:218], vcc_lo, 1.0, v[196:197], 1.0
	v_mul_f64 v[219:220], v[217:218], v[215:216]
	s_delay_alu instid0(VALU_DEP_1) | instskip(NEXT) | instid1(VALU_DEP_1)
	v_fma_f64 v[198:199], -v[198:199], v[219:220], v[217:218]
	v_div_fmas_f64 v[198:199], v[198:199], v[215:216], v[219:220]
	s_delay_alu instid0(VALU_DEP_1) | instskip(NEXT) | instid1(VALU_DEP_1)
	v_div_fixup_f64 v[196:197], v[198:199], v[196:197], 1.0
	v_mul_f64 v[198:199], v[213:214], -v[196:197]
.LBB96_723:
	s_or_b32 exec_lo, exec_lo, s2
.LBB96_724:
	s_delay_alu instid0(SALU_CYCLE_1) | instskip(NEXT) | instid1(SALU_CYCLE_1)
	s_or_b32 exec_lo, exec_lo, s3
	s_mov_b32 s2, exec_lo
	v_cmpx_ne_u32_e64 v212, v204
	s_xor_b32 s2, exec_lo, s2
	s_cbranch_execz .LBB96_730
; %bb.725:
	s_mov_b32 s3, exec_lo
	v_cmpx_eq_u32_e32 34, v212
	s_cbranch_execz .LBB96_729
; %bb.726:
	v_cmp_ne_u32_e32 vcc_lo, 34, v204
	s_xor_b32 s6, s4, -1
	s_delay_alu instid0(SALU_CYCLE_1) | instskip(NEXT) | instid1(SALU_CYCLE_1)
	s_and_b32 s7, s6, vcc_lo
	s_and_saveexec_b32 s6, s7
	s_cbranch_execz .LBB96_728
; %bb.727:
	v_ashrrev_i32_e32 v205, 31, v204
	s_delay_alu instid0(VALU_DEP_1) | instskip(NEXT) | instid1(VALU_DEP_1)
	v_lshlrev_b64 v[212:213], 2, v[204:205]
	v_add_co_u32 v212, vcc_lo, v202, v212
	s_delay_alu instid0(VALU_DEP_2)
	v_add_co_ci_u32_e32 v213, vcc_lo, v203, v213, vcc_lo
	s_clause 0x1
	flat_load_b32 v205, v[212:213]
	flat_load_b32 v210, v[202:203] offset:136
	s_waitcnt vmcnt(1) lgkmcnt(1)
	flat_store_b32 v[202:203], v205 offset:136
	s_waitcnt vmcnt(0) lgkmcnt(1)
	flat_store_b32 v[212:213], v210
.LBB96_728:
	s_or_b32 exec_lo, exec_lo, s6
	v_mov_b32_e32 v212, v204
	v_mov_b32_e32 v210, v204
.LBB96_729:
	s_or_b32 exec_lo, exec_lo, s3
.LBB96_730:
	s_and_not1_saveexec_b32 s2, s2
	s_cbranch_execz .LBB96_732
; %bb.731:
	v_mov_b32_e32 v212, 34
	ds_store_2addr_b64 v206, v[52:53], v[54:55] offset0:70 offset1:71
	ds_store_2addr_b64 v206, v[48:49], v[50:51] offset0:72 offset1:73
	;; [unrolled: 1-line block ×14, first 2 shown]
.LBB96_732:
	s_or_b32 exec_lo, exec_lo, s2
	s_delay_alu instid0(SALU_CYCLE_1)
	s_mov_b32 s2, exec_lo
	s_waitcnt lgkmcnt(0)
	s_waitcnt_vscnt null, 0x0
	s_barrier
	buffer_gl0_inv
	v_cmpx_lt_i32_e32 34, v212
	s_cbranch_execz .LBB96_734
; %bb.733:
	v_mul_f64 v[204:205], v[196:197], v[58:59]
	v_mul_f64 v[58:59], v[198:199], v[58:59]
	s_delay_alu instid0(VALU_DEP_2) | instskip(NEXT) | instid1(VALU_DEP_2)
	v_fma_f64 v[204:205], v[198:199], v[56:57], v[204:205]
	v_fma_f64 v[56:57], v[196:197], v[56:57], -v[58:59]
	ds_load_2addr_b64 v[196:199], v206 offset0:70 offset1:71
	s_waitcnt lgkmcnt(0)
	v_mul_f64 v[58:59], v[198:199], v[204:205]
	s_delay_alu instid0(VALU_DEP_1) | instskip(SKIP_1) | instid1(VALU_DEP_2)
	v_fma_f64 v[58:59], v[196:197], v[56:57], -v[58:59]
	v_mul_f64 v[196:197], v[196:197], v[204:205]
	v_add_f64 v[52:53], v[52:53], -v[58:59]
	s_delay_alu instid0(VALU_DEP_2) | instskip(NEXT) | instid1(VALU_DEP_1)
	v_fma_f64 v[196:197], v[198:199], v[56:57], v[196:197]
	v_add_f64 v[54:55], v[54:55], -v[196:197]
	ds_load_2addr_b64 v[196:199], v206 offset0:72 offset1:73
	s_waitcnt lgkmcnt(0)
	v_mul_f64 v[58:59], v[198:199], v[204:205]
	s_delay_alu instid0(VALU_DEP_1) | instskip(SKIP_1) | instid1(VALU_DEP_2)
	v_fma_f64 v[58:59], v[196:197], v[56:57], -v[58:59]
	v_mul_f64 v[196:197], v[196:197], v[204:205]
	v_add_f64 v[48:49], v[48:49], -v[58:59]
	s_delay_alu instid0(VALU_DEP_2) | instskip(NEXT) | instid1(VALU_DEP_1)
	v_fma_f64 v[196:197], v[198:199], v[56:57], v[196:197]
	v_add_f64 v[50:51], v[50:51], -v[196:197]
	;; [unrolled: 10-line block ×13, first 2 shown]
	ds_load_2addr_b64 v[196:199], v206 offset0:96 offset1:97
	s_waitcnt lgkmcnt(0)
	v_mul_f64 v[58:59], v[198:199], v[204:205]
	s_delay_alu instid0(VALU_DEP_1) | instskip(SKIP_1) | instid1(VALU_DEP_2)
	v_fma_f64 v[58:59], v[196:197], v[56:57], -v[58:59]
	v_mul_f64 v[196:197], v[196:197], v[204:205]
	v_add_f64 v[0:1], v[0:1], -v[58:59]
	s_delay_alu instid0(VALU_DEP_2) | instskip(SKIP_1) | instid1(VALU_DEP_2)
	v_fma_f64 v[196:197], v[198:199], v[56:57], v[196:197]
	v_dual_mov_b32 v58, v204 :: v_dual_mov_b32 v59, v205
	v_add_f64 v[2:3], v[2:3], -v[196:197]
.LBB96_734:
	s_or_b32 exec_lo, exec_lo, s2
	v_lshl_add_u32 v196, v212, 4, v206
	s_barrier
	buffer_gl0_inv
	v_mov_b32_e32 v204, 35
	ds_store_2addr_b64 v196, v[52:53], v[54:55] offset1:1
	s_waitcnt lgkmcnt(0)
	s_barrier
	buffer_gl0_inv
	ds_load_2addr_b64 v[196:199], v206 offset0:70 offset1:71
	s_cmp_lt_i32 s5, 37
	s_cbranch_scc1 .LBB96_737
; %bb.735:
	v_add3_u32 v205, v211, 0, 0x240
	v_mov_b32_e32 v204, 35
	s_mov_b32 s6, 36
	s_set_inst_prefetch_distance 0x1
	.p2align	6
.LBB96_736:                             ; =>This Inner Loop Header: Depth=1
	ds_load_2addr_b64 v[213:216], v205 offset1:1
	s_waitcnt lgkmcnt(1)
	v_cmp_gt_f64_e32 vcc_lo, 0, v[196:197]
	v_xor_b32_e32 v217, 0x80000000, v197
	v_cmp_gt_f64_e64 s2, 0, v[198:199]
	v_xor_b32_e32 v219, 0x80000000, v199
	v_add_nc_u32_e32 v205, 16, v205
	s_waitcnt lgkmcnt(0)
	v_cmp_gt_f64_e64 s3, 0, v[213:214]
	v_mov_b32_e32 v221, v213
	v_dual_mov_b32 v223, v215 :: v_dual_cndmask_b32 v218, v197, v217
	v_xor_b32_e32 v217, 0x80000000, v214
	v_cndmask_b32_e64 v220, v199, v219, s2
	v_xor_b32_e32 v219, 0x80000000, v216
	s_delay_alu instid0(VALU_DEP_3) | instskip(SKIP_2) | instid1(VALU_DEP_2)
	v_cndmask_b32_e64 v222, v214, v217, s3
	v_cmp_gt_f64_e64 s3, 0, v[215:216]
	v_cndmask_b32_e32 v217, v196, v196, vcc_lo
	v_cndmask_b32_e64 v224, v216, v219, s3
	v_cndmask_b32_e64 v219, v198, v198, s2
	s_delay_alu instid0(VALU_DEP_2) | instskip(NEXT) | instid1(VALU_DEP_2)
	v_add_f64 v[221:222], v[221:222], v[223:224]
	v_add_f64 v[217:218], v[217:218], v[219:220]
	s_delay_alu instid0(VALU_DEP_1) | instskip(SKIP_4) | instid1(SALU_CYCLE_1)
	v_cmp_lt_f64_e32 vcc_lo, v[217:218], v[221:222]
	v_dual_cndmask_b32 v198, v198, v215 :: v_dual_cndmask_b32 v197, v197, v214
	v_dual_cndmask_b32 v196, v196, v213 :: v_dual_cndmask_b32 v199, v199, v216
	v_cndmask_b32_e64 v204, v204, s6, vcc_lo
	s_add_i32 s6, s6, 1
	s_cmp_lg_u32 s5, s6
	s_cbranch_scc1 .LBB96_736
.LBB96_737:
	s_set_inst_prefetch_distance 0x2
	s_waitcnt lgkmcnt(0)
	v_cmp_eq_f64_e32 vcc_lo, 0, v[196:197]
	v_cmp_eq_f64_e64 s2, 0, v[198:199]
	s_delay_alu instid0(VALU_DEP_1) | instskip(NEXT) | instid1(SALU_CYCLE_1)
	s_and_b32 s2, vcc_lo, s2
	s_and_saveexec_b32 s3, s2
	s_delay_alu instid0(SALU_CYCLE_1)
	s_xor_b32 s2, exec_lo, s3
; %bb.738:
	v_cmp_ne_u32_e32 vcc_lo, 0, v209
	v_cndmask_b32_e32 v209, 36, v209, vcc_lo
; %bb.739:
	s_and_not1_saveexec_b32 s3, s2
	s_cbranch_execz .LBB96_745
; %bb.740:
	v_cmp_gt_f64_e32 vcc_lo, 0, v[196:197]
	v_cmp_gt_f64_e64 s2, 0, v[198:199]
	v_xor_b32_e32 v205, 0x80000000, v197
	v_xor_b32_e32 v213, 0x80000000, v199
	s_delay_alu instid0(VALU_DEP_2) | instskip(NEXT) | instid1(VALU_DEP_2)
	v_cndmask_b32_e32 v214, v197, v205, vcc_lo
	v_cndmask_b32_e64 v216, v199, v213, s2
	v_cndmask_b32_e32 v213, v196, v196, vcc_lo
	v_cndmask_b32_e64 v215, v198, v198, s2
	s_mov_b32 s2, exec_lo
	s_delay_alu instid0(VALU_DEP_1)
	v_cmpx_ngt_f64_e32 v[213:214], v[215:216]
	s_xor_b32 s2, exec_lo, s2
	s_cbranch_execz .LBB96_742
; %bb.741:
	v_div_scale_f64 v[213:214], null, v[198:199], v[198:199], v[196:197]
	v_div_scale_f64 v[219:220], vcc_lo, v[196:197], v[198:199], v[196:197]
	s_delay_alu instid0(VALU_DEP_2) | instskip(SKIP_2) | instid1(VALU_DEP_1)
	v_rcp_f64_e32 v[215:216], v[213:214]
	s_waitcnt_depctr 0xfff
	v_fma_f64 v[217:218], -v[213:214], v[215:216], 1.0
	v_fma_f64 v[215:216], v[215:216], v[217:218], v[215:216]
	s_delay_alu instid0(VALU_DEP_1) | instskip(NEXT) | instid1(VALU_DEP_1)
	v_fma_f64 v[217:218], -v[213:214], v[215:216], 1.0
	v_fma_f64 v[215:216], v[215:216], v[217:218], v[215:216]
	s_delay_alu instid0(VALU_DEP_1) | instskip(NEXT) | instid1(VALU_DEP_1)
	v_mul_f64 v[217:218], v[219:220], v[215:216]
	v_fma_f64 v[213:214], -v[213:214], v[217:218], v[219:220]
	s_delay_alu instid0(VALU_DEP_1) | instskip(NEXT) | instid1(VALU_DEP_1)
	v_div_fmas_f64 v[213:214], v[213:214], v[215:216], v[217:218]
	v_div_fixup_f64 v[213:214], v[213:214], v[198:199], v[196:197]
	s_delay_alu instid0(VALU_DEP_1) | instskip(NEXT) | instid1(VALU_DEP_1)
	v_fma_f64 v[196:197], v[196:197], v[213:214], v[198:199]
	v_div_scale_f64 v[198:199], null, v[196:197], v[196:197], 1.0
	s_delay_alu instid0(VALU_DEP_1) | instskip(SKIP_2) | instid1(VALU_DEP_1)
	v_rcp_f64_e32 v[215:216], v[198:199]
	s_waitcnt_depctr 0xfff
	v_fma_f64 v[217:218], -v[198:199], v[215:216], 1.0
	v_fma_f64 v[215:216], v[215:216], v[217:218], v[215:216]
	s_delay_alu instid0(VALU_DEP_1) | instskip(NEXT) | instid1(VALU_DEP_1)
	v_fma_f64 v[217:218], -v[198:199], v[215:216], 1.0
	v_fma_f64 v[215:216], v[215:216], v[217:218], v[215:216]
	v_div_scale_f64 v[217:218], vcc_lo, 1.0, v[196:197], 1.0
	s_delay_alu instid0(VALU_DEP_1) | instskip(NEXT) | instid1(VALU_DEP_1)
	v_mul_f64 v[219:220], v[217:218], v[215:216]
	v_fma_f64 v[198:199], -v[198:199], v[219:220], v[217:218]
	s_delay_alu instid0(VALU_DEP_1) | instskip(NEXT) | instid1(VALU_DEP_1)
	v_div_fmas_f64 v[198:199], v[198:199], v[215:216], v[219:220]
	v_div_fixup_f64 v[198:199], v[198:199], v[196:197], 1.0
	s_delay_alu instid0(VALU_DEP_1)
	v_mul_f64 v[196:197], v[213:214], v[198:199]
	v_xor_b32_e32 v199, 0x80000000, v199
.LBB96_742:
	s_and_not1_saveexec_b32 s2, s2
	s_cbranch_execz .LBB96_744
; %bb.743:
	s_delay_alu instid0(VALU_DEP_1) | instskip(SKIP_1) | instid1(VALU_DEP_2)
	v_div_scale_f64 v[213:214], null, v[196:197], v[196:197], v[198:199]
	v_div_scale_f64 v[219:220], vcc_lo, v[198:199], v[196:197], v[198:199]
	v_rcp_f64_e32 v[215:216], v[213:214]
	s_waitcnt_depctr 0xfff
	v_fma_f64 v[217:218], -v[213:214], v[215:216], 1.0
	s_delay_alu instid0(VALU_DEP_1) | instskip(NEXT) | instid1(VALU_DEP_1)
	v_fma_f64 v[215:216], v[215:216], v[217:218], v[215:216]
	v_fma_f64 v[217:218], -v[213:214], v[215:216], 1.0
	s_delay_alu instid0(VALU_DEP_1) | instskip(NEXT) | instid1(VALU_DEP_1)
	v_fma_f64 v[215:216], v[215:216], v[217:218], v[215:216]
	v_mul_f64 v[217:218], v[219:220], v[215:216]
	s_delay_alu instid0(VALU_DEP_1) | instskip(NEXT) | instid1(VALU_DEP_1)
	v_fma_f64 v[213:214], -v[213:214], v[217:218], v[219:220]
	v_div_fmas_f64 v[213:214], v[213:214], v[215:216], v[217:218]
	s_delay_alu instid0(VALU_DEP_1) | instskip(NEXT) | instid1(VALU_DEP_1)
	v_div_fixup_f64 v[213:214], v[213:214], v[196:197], v[198:199]
	v_fma_f64 v[196:197], v[198:199], v[213:214], v[196:197]
	s_delay_alu instid0(VALU_DEP_1) | instskip(NEXT) | instid1(VALU_DEP_1)
	v_div_scale_f64 v[198:199], null, v[196:197], v[196:197], 1.0
	v_rcp_f64_e32 v[215:216], v[198:199]
	s_waitcnt_depctr 0xfff
	v_fma_f64 v[217:218], -v[198:199], v[215:216], 1.0
	s_delay_alu instid0(VALU_DEP_1) | instskip(NEXT) | instid1(VALU_DEP_1)
	v_fma_f64 v[215:216], v[215:216], v[217:218], v[215:216]
	v_fma_f64 v[217:218], -v[198:199], v[215:216], 1.0
	s_delay_alu instid0(VALU_DEP_1) | instskip(SKIP_1) | instid1(VALU_DEP_1)
	v_fma_f64 v[215:216], v[215:216], v[217:218], v[215:216]
	v_div_scale_f64 v[217:218], vcc_lo, 1.0, v[196:197], 1.0
	v_mul_f64 v[219:220], v[217:218], v[215:216]
	s_delay_alu instid0(VALU_DEP_1) | instskip(NEXT) | instid1(VALU_DEP_1)
	v_fma_f64 v[198:199], -v[198:199], v[219:220], v[217:218]
	v_div_fmas_f64 v[198:199], v[198:199], v[215:216], v[219:220]
	s_delay_alu instid0(VALU_DEP_1) | instskip(NEXT) | instid1(VALU_DEP_1)
	v_div_fixup_f64 v[196:197], v[198:199], v[196:197], 1.0
	v_mul_f64 v[198:199], v[213:214], -v[196:197]
.LBB96_744:
	s_or_b32 exec_lo, exec_lo, s2
.LBB96_745:
	s_delay_alu instid0(SALU_CYCLE_1) | instskip(NEXT) | instid1(SALU_CYCLE_1)
	s_or_b32 exec_lo, exec_lo, s3
	s_mov_b32 s2, exec_lo
	v_cmpx_ne_u32_e64 v212, v204
	s_xor_b32 s2, exec_lo, s2
	s_cbranch_execz .LBB96_751
; %bb.746:
	s_mov_b32 s3, exec_lo
	v_cmpx_eq_u32_e32 35, v212
	s_cbranch_execz .LBB96_750
; %bb.747:
	v_cmp_ne_u32_e32 vcc_lo, 35, v204
	s_xor_b32 s6, s4, -1
	s_delay_alu instid0(SALU_CYCLE_1) | instskip(NEXT) | instid1(SALU_CYCLE_1)
	s_and_b32 s7, s6, vcc_lo
	s_and_saveexec_b32 s6, s7
	s_cbranch_execz .LBB96_749
; %bb.748:
	v_ashrrev_i32_e32 v205, 31, v204
	s_delay_alu instid0(VALU_DEP_1) | instskip(NEXT) | instid1(VALU_DEP_1)
	v_lshlrev_b64 v[212:213], 2, v[204:205]
	v_add_co_u32 v212, vcc_lo, v202, v212
	s_delay_alu instid0(VALU_DEP_2)
	v_add_co_ci_u32_e32 v213, vcc_lo, v203, v213, vcc_lo
	s_clause 0x1
	flat_load_b32 v205, v[212:213]
	flat_load_b32 v210, v[202:203] offset:140
	s_waitcnt vmcnt(1) lgkmcnt(1)
	flat_store_b32 v[202:203], v205 offset:140
	s_waitcnt vmcnt(0) lgkmcnt(1)
	flat_store_b32 v[212:213], v210
.LBB96_749:
	s_or_b32 exec_lo, exec_lo, s6
	v_mov_b32_e32 v212, v204
	v_mov_b32_e32 v210, v204
.LBB96_750:
	s_or_b32 exec_lo, exec_lo, s3
.LBB96_751:
	s_and_not1_saveexec_b32 s2, s2
	s_cbranch_execz .LBB96_753
; %bb.752:
	v_mov_b32_e32 v212, 35
	ds_store_2addr_b64 v206, v[48:49], v[50:51] offset0:72 offset1:73
	ds_store_2addr_b64 v206, v[44:45], v[46:47] offset0:74 offset1:75
	ds_store_2addr_b64 v206, v[40:41], v[42:43] offset0:76 offset1:77
	ds_store_2addr_b64 v206, v[36:37], v[38:39] offset0:78 offset1:79
	ds_store_2addr_b64 v206, v[32:33], v[34:35] offset0:80 offset1:81
	ds_store_2addr_b64 v206, v[28:29], v[30:31] offset0:82 offset1:83
	ds_store_2addr_b64 v206, v[24:25], v[26:27] offset0:84 offset1:85
	ds_store_2addr_b64 v206, v[20:21], v[22:23] offset0:86 offset1:87
	ds_store_2addr_b64 v206, v[16:17], v[18:19] offset0:88 offset1:89
	ds_store_2addr_b64 v206, v[12:13], v[14:15] offset0:90 offset1:91
	ds_store_2addr_b64 v206, v[8:9], v[10:11] offset0:92 offset1:93
	ds_store_2addr_b64 v206, v[4:5], v[6:7] offset0:94 offset1:95
	ds_store_2addr_b64 v206, v[0:1], v[2:3] offset0:96 offset1:97
.LBB96_753:
	s_or_b32 exec_lo, exec_lo, s2
	s_delay_alu instid0(SALU_CYCLE_1)
	s_mov_b32 s2, exec_lo
	s_waitcnt lgkmcnt(0)
	s_waitcnt_vscnt null, 0x0
	s_barrier
	buffer_gl0_inv
	v_cmpx_lt_i32_e32 35, v212
	s_cbranch_execz .LBB96_755
; %bb.754:
	v_mul_f64 v[204:205], v[196:197], v[54:55]
	v_mul_f64 v[54:55], v[198:199], v[54:55]
	s_delay_alu instid0(VALU_DEP_2) | instskip(NEXT) | instid1(VALU_DEP_2)
	v_fma_f64 v[204:205], v[198:199], v[52:53], v[204:205]
	v_fma_f64 v[52:53], v[196:197], v[52:53], -v[54:55]
	ds_load_2addr_b64 v[196:199], v206 offset0:72 offset1:73
	s_waitcnt lgkmcnt(0)
	v_mul_f64 v[54:55], v[198:199], v[204:205]
	s_delay_alu instid0(VALU_DEP_1) | instskip(SKIP_1) | instid1(VALU_DEP_2)
	v_fma_f64 v[54:55], v[196:197], v[52:53], -v[54:55]
	v_mul_f64 v[196:197], v[196:197], v[204:205]
	v_add_f64 v[48:49], v[48:49], -v[54:55]
	s_delay_alu instid0(VALU_DEP_2) | instskip(NEXT) | instid1(VALU_DEP_1)
	v_fma_f64 v[196:197], v[198:199], v[52:53], v[196:197]
	v_add_f64 v[50:51], v[50:51], -v[196:197]
	ds_load_2addr_b64 v[196:199], v206 offset0:74 offset1:75
	s_waitcnt lgkmcnt(0)
	v_mul_f64 v[54:55], v[198:199], v[204:205]
	s_delay_alu instid0(VALU_DEP_1) | instskip(SKIP_1) | instid1(VALU_DEP_2)
	v_fma_f64 v[54:55], v[196:197], v[52:53], -v[54:55]
	v_mul_f64 v[196:197], v[196:197], v[204:205]
	v_add_f64 v[44:45], v[44:45], -v[54:55]
	s_delay_alu instid0(VALU_DEP_2) | instskip(NEXT) | instid1(VALU_DEP_1)
	v_fma_f64 v[196:197], v[198:199], v[52:53], v[196:197]
	v_add_f64 v[46:47], v[46:47], -v[196:197]
	;; [unrolled: 10-line block ×12, first 2 shown]
	ds_load_2addr_b64 v[196:199], v206 offset0:96 offset1:97
	s_waitcnt lgkmcnt(0)
	v_mul_f64 v[54:55], v[198:199], v[204:205]
	s_delay_alu instid0(VALU_DEP_1) | instskip(SKIP_1) | instid1(VALU_DEP_2)
	v_fma_f64 v[54:55], v[196:197], v[52:53], -v[54:55]
	v_mul_f64 v[196:197], v[196:197], v[204:205]
	v_add_f64 v[0:1], v[0:1], -v[54:55]
	s_delay_alu instid0(VALU_DEP_2) | instskip(SKIP_1) | instid1(VALU_DEP_2)
	v_fma_f64 v[196:197], v[198:199], v[52:53], v[196:197]
	v_dual_mov_b32 v54, v204 :: v_dual_mov_b32 v55, v205
	v_add_f64 v[2:3], v[2:3], -v[196:197]
.LBB96_755:
	s_or_b32 exec_lo, exec_lo, s2
	v_lshl_add_u32 v196, v212, 4, v206
	s_barrier
	buffer_gl0_inv
	v_mov_b32_e32 v204, 36
	ds_store_2addr_b64 v196, v[48:49], v[50:51] offset1:1
	s_waitcnt lgkmcnt(0)
	s_barrier
	buffer_gl0_inv
	ds_load_2addr_b64 v[196:199], v206 offset0:72 offset1:73
	s_cmp_lt_i32 s5, 38
	s_cbranch_scc1 .LBB96_758
; %bb.756:
	v_add3_u32 v205, v211, 0, 0x250
	v_mov_b32_e32 v204, 36
	s_mov_b32 s6, 37
	s_set_inst_prefetch_distance 0x1
	.p2align	6
.LBB96_757:                             ; =>This Inner Loop Header: Depth=1
	ds_load_2addr_b64 v[213:216], v205 offset1:1
	s_waitcnt lgkmcnt(1)
	v_cmp_gt_f64_e32 vcc_lo, 0, v[196:197]
	v_xor_b32_e32 v217, 0x80000000, v197
	v_cmp_gt_f64_e64 s2, 0, v[198:199]
	v_xor_b32_e32 v219, 0x80000000, v199
	v_add_nc_u32_e32 v205, 16, v205
	s_waitcnt lgkmcnt(0)
	v_cmp_gt_f64_e64 s3, 0, v[213:214]
	v_mov_b32_e32 v221, v213
	v_dual_mov_b32 v223, v215 :: v_dual_cndmask_b32 v218, v197, v217
	v_xor_b32_e32 v217, 0x80000000, v214
	v_cndmask_b32_e64 v220, v199, v219, s2
	v_xor_b32_e32 v219, 0x80000000, v216
	s_delay_alu instid0(VALU_DEP_3) | instskip(SKIP_2) | instid1(VALU_DEP_2)
	v_cndmask_b32_e64 v222, v214, v217, s3
	v_cmp_gt_f64_e64 s3, 0, v[215:216]
	v_cndmask_b32_e32 v217, v196, v196, vcc_lo
	v_cndmask_b32_e64 v224, v216, v219, s3
	v_cndmask_b32_e64 v219, v198, v198, s2
	s_delay_alu instid0(VALU_DEP_2) | instskip(NEXT) | instid1(VALU_DEP_2)
	v_add_f64 v[221:222], v[221:222], v[223:224]
	v_add_f64 v[217:218], v[217:218], v[219:220]
	s_delay_alu instid0(VALU_DEP_1) | instskip(SKIP_4) | instid1(SALU_CYCLE_1)
	v_cmp_lt_f64_e32 vcc_lo, v[217:218], v[221:222]
	v_dual_cndmask_b32 v198, v198, v215 :: v_dual_cndmask_b32 v197, v197, v214
	v_dual_cndmask_b32 v196, v196, v213 :: v_dual_cndmask_b32 v199, v199, v216
	v_cndmask_b32_e64 v204, v204, s6, vcc_lo
	s_add_i32 s6, s6, 1
	s_cmp_lg_u32 s5, s6
	s_cbranch_scc1 .LBB96_757
.LBB96_758:
	s_set_inst_prefetch_distance 0x2
	s_waitcnt lgkmcnt(0)
	v_cmp_eq_f64_e32 vcc_lo, 0, v[196:197]
	v_cmp_eq_f64_e64 s2, 0, v[198:199]
	s_delay_alu instid0(VALU_DEP_1) | instskip(NEXT) | instid1(SALU_CYCLE_1)
	s_and_b32 s2, vcc_lo, s2
	s_and_saveexec_b32 s3, s2
	s_delay_alu instid0(SALU_CYCLE_1)
	s_xor_b32 s2, exec_lo, s3
; %bb.759:
	v_cmp_ne_u32_e32 vcc_lo, 0, v209
	v_cndmask_b32_e32 v209, 37, v209, vcc_lo
; %bb.760:
	s_and_not1_saveexec_b32 s3, s2
	s_cbranch_execz .LBB96_766
; %bb.761:
	v_cmp_gt_f64_e32 vcc_lo, 0, v[196:197]
	v_cmp_gt_f64_e64 s2, 0, v[198:199]
	v_xor_b32_e32 v205, 0x80000000, v197
	v_xor_b32_e32 v213, 0x80000000, v199
	s_delay_alu instid0(VALU_DEP_2) | instskip(NEXT) | instid1(VALU_DEP_2)
	v_cndmask_b32_e32 v214, v197, v205, vcc_lo
	v_cndmask_b32_e64 v216, v199, v213, s2
	v_cndmask_b32_e32 v213, v196, v196, vcc_lo
	v_cndmask_b32_e64 v215, v198, v198, s2
	s_mov_b32 s2, exec_lo
	s_delay_alu instid0(VALU_DEP_1)
	v_cmpx_ngt_f64_e32 v[213:214], v[215:216]
	s_xor_b32 s2, exec_lo, s2
	s_cbranch_execz .LBB96_763
; %bb.762:
	v_div_scale_f64 v[213:214], null, v[198:199], v[198:199], v[196:197]
	v_div_scale_f64 v[219:220], vcc_lo, v[196:197], v[198:199], v[196:197]
	s_delay_alu instid0(VALU_DEP_2) | instskip(SKIP_2) | instid1(VALU_DEP_1)
	v_rcp_f64_e32 v[215:216], v[213:214]
	s_waitcnt_depctr 0xfff
	v_fma_f64 v[217:218], -v[213:214], v[215:216], 1.0
	v_fma_f64 v[215:216], v[215:216], v[217:218], v[215:216]
	s_delay_alu instid0(VALU_DEP_1) | instskip(NEXT) | instid1(VALU_DEP_1)
	v_fma_f64 v[217:218], -v[213:214], v[215:216], 1.0
	v_fma_f64 v[215:216], v[215:216], v[217:218], v[215:216]
	s_delay_alu instid0(VALU_DEP_1) | instskip(NEXT) | instid1(VALU_DEP_1)
	v_mul_f64 v[217:218], v[219:220], v[215:216]
	v_fma_f64 v[213:214], -v[213:214], v[217:218], v[219:220]
	s_delay_alu instid0(VALU_DEP_1) | instskip(NEXT) | instid1(VALU_DEP_1)
	v_div_fmas_f64 v[213:214], v[213:214], v[215:216], v[217:218]
	v_div_fixup_f64 v[213:214], v[213:214], v[198:199], v[196:197]
	s_delay_alu instid0(VALU_DEP_1) | instskip(NEXT) | instid1(VALU_DEP_1)
	v_fma_f64 v[196:197], v[196:197], v[213:214], v[198:199]
	v_div_scale_f64 v[198:199], null, v[196:197], v[196:197], 1.0
	s_delay_alu instid0(VALU_DEP_1) | instskip(SKIP_2) | instid1(VALU_DEP_1)
	v_rcp_f64_e32 v[215:216], v[198:199]
	s_waitcnt_depctr 0xfff
	v_fma_f64 v[217:218], -v[198:199], v[215:216], 1.0
	v_fma_f64 v[215:216], v[215:216], v[217:218], v[215:216]
	s_delay_alu instid0(VALU_DEP_1) | instskip(NEXT) | instid1(VALU_DEP_1)
	v_fma_f64 v[217:218], -v[198:199], v[215:216], 1.0
	v_fma_f64 v[215:216], v[215:216], v[217:218], v[215:216]
	v_div_scale_f64 v[217:218], vcc_lo, 1.0, v[196:197], 1.0
	s_delay_alu instid0(VALU_DEP_1) | instskip(NEXT) | instid1(VALU_DEP_1)
	v_mul_f64 v[219:220], v[217:218], v[215:216]
	v_fma_f64 v[198:199], -v[198:199], v[219:220], v[217:218]
	s_delay_alu instid0(VALU_DEP_1) | instskip(NEXT) | instid1(VALU_DEP_1)
	v_div_fmas_f64 v[198:199], v[198:199], v[215:216], v[219:220]
	v_div_fixup_f64 v[198:199], v[198:199], v[196:197], 1.0
	s_delay_alu instid0(VALU_DEP_1)
	v_mul_f64 v[196:197], v[213:214], v[198:199]
	v_xor_b32_e32 v199, 0x80000000, v199
.LBB96_763:
	s_and_not1_saveexec_b32 s2, s2
	s_cbranch_execz .LBB96_765
; %bb.764:
	s_delay_alu instid0(VALU_DEP_1) | instskip(SKIP_1) | instid1(VALU_DEP_2)
	v_div_scale_f64 v[213:214], null, v[196:197], v[196:197], v[198:199]
	v_div_scale_f64 v[219:220], vcc_lo, v[198:199], v[196:197], v[198:199]
	v_rcp_f64_e32 v[215:216], v[213:214]
	s_waitcnt_depctr 0xfff
	v_fma_f64 v[217:218], -v[213:214], v[215:216], 1.0
	s_delay_alu instid0(VALU_DEP_1) | instskip(NEXT) | instid1(VALU_DEP_1)
	v_fma_f64 v[215:216], v[215:216], v[217:218], v[215:216]
	v_fma_f64 v[217:218], -v[213:214], v[215:216], 1.0
	s_delay_alu instid0(VALU_DEP_1) | instskip(NEXT) | instid1(VALU_DEP_1)
	v_fma_f64 v[215:216], v[215:216], v[217:218], v[215:216]
	v_mul_f64 v[217:218], v[219:220], v[215:216]
	s_delay_alu instid0(VALU_DEP_1) | instskip(NEXT) | instid1(VALU_DEP_1)
	v_fma_f64 v[213:214], -v[213:214], v[217:218], v[219:220]
	v_div_fmas_f64 v[213:214], v[213:214], v[215:216], v[217:218]
	s_delay_alu instid0(VALU_DEP_1) | instskip(NEXT) | instid1(VALU_DEP_1)
	v_div_fixup_f64 v[213:214], v[213:214], v[196:197], v[198:199]
	v_fma_f64 v[196:197], v[198:199], v[213:214], v[196:197]
	s_delay_alu instid0(VALU_DEP_1) | instskip(NEXT) | instid1(VALU_DEP_1)
	v_div_scale_f64 v[198:199], null, v[196:197], v[196:197], 1.0
	v_rcp_f64_e32 v[215:216], v[198:199]
	s_waitcnt_depctr 0xfff
	v_fma_f64 v[217:218], -v[198:199], v[215:216], 1.0
	s_delay_alu instid0(VALU_DEP_1) | instskip(NEXT) | instid1(VALU_DEP_1)
	v_fma_f64 v[215:216], v[215:216], v[217:218], v[215:216]
	v_fma_f64 v[217:218], -v[198:199], v[215:216], 1.0
	s_delay_alu instid0(VALU_DEP_1) | instskip(SKIP_1) | instid1(VALU_DEP_1)
	v_fma_f64 v[215:216], v[215:216], v[217:218], v[215:216]
	v_div_scale_f64 v[217:218], vcc_lo, 1.0, v[196:197], 1.0
	v_mul_f64 v[219:220], v[217:218], v[215:216]
	s_delay_alu instid0(VALU_DEP_1) | instskip(NEXT) | instid1(VALU_DEP_1)
	v_fma_f64 v[198:199], -v[198:199], v[219:220], v[217:218]
	v_div_fmas_f64 v[198:199], v[198:199], v[215:216], v[219:220]
	s_delay_alu instid0(VALU_DEP_1) | instskip(NEXT) | instid1(VALU_DEP_1)
	v_div_fixup_f64 v[196:197], v[198:199], v[196:197], 1.0
	v_mul_f64 v[198:199], v[213:214], -v[196:197]
.LBB96_765:
	s_or_b32 exec_lo, exec_lo, s2
.LBB96_766:
	s_delay_alu instid0(SALU_CYCLE_1) | instskip(NEXT) | instid1(SALU_CYCLE_1)
	s_or_b32 exec_lo, exec_lo, s3
	s_mov_b32 s2, exec_lo
	v_cmpx_ne_u32_e64 v212, v204
	s_xor_b32 s2, exec_lo, s2
	s_cbranch_execz .LBB96_772
; %bb.767:
	s_mov_b32 s3, exec_lo
	v_cmpx_eq_u32_e32 36, v212
	s_cbranch_execz .LBB96_771
; %bb.768:
	v_cmp_ne_u32_e32 vcc_lo, 36, v204
	s_xor_b32 s6, s4, -1
	s_delay_alu instid0(SALU_CYCLE_1) | instskip(NEXT) | instid1(SALU_CYCLE_1)
	s_and_b32 s7, s6, vcc_lo
	s_and_saveexec_b32 s6, s7
	s_cbranch_execz .LBB96_770
; %bb.769:
	v_ashrrev_i32_e32 v205, 31, v204
	s_delay_alu instid0(VALU_DEP_1) | instskip(NEXT) | instid1(VALU_DEP_1)
	v_lshlrev_b64 v[212:213], 2, v[204:205]
	v_add_co_u32 v212, vcc_lo, v202, v212
	s_delay_alu instid0(VALU_DEP_2)
	v_add_co_ci_u32_e32 v213, vcc_lo, v203, v213, vcc_lo
	s_clause 0x1
	flat_load_b32 v205, v[212:213]
	flat_load_b32 v210, v[202:203] offset:144
	s_waitcnt vmcnt(1) lgkmcnt(1)
	flat_store_b32 v[202:203], v205 offset:144
	s_waitcnt vmcnt(0) lgkmcnt(1)
	flat_store_b32 v[212:213], v210
.LBB96_770:
	s_or_b32 exec_lo, exec_lo, s6
	v_mov_b32_e32 v212, v204
	v_mov_b32_e32 v210, v204
.LBB96_771:
	s_or_b32 exec_lo, exec_lo, s3
.LBB96_772:
	s_and_not1_saveexec_b32 s2, s2
	s_cbranch_execz .LBB96_774
; %bb.773:
	v_mov_b32_e32 v212, 36
	ds_store_2addr_b64 v206, v[44:45], v[46:47] offset0:74 offset1:75
	ds_store_2addr_b64 v206, v[40:41], v[42:43] offset0:76 offset1:77
	;; [unrolled: 1-line block ×12, first 2 shown]
.LBB96_774:
	s_or_b32 exec_lo, exec_lo, s2
	s_delay_alu instid0(SALU_CYCLE_1)
	s_mov_b32 s2, exec_lo
	s_waitcnt lgkmcnt(0)
	s_waitcnt_vscnt null, 0x0
	s_barrier
	buffer_gl0_inv
	v_cmpx_lt_i32_e32 36, v212
	s_cbranch_execz .LBB96_776
; %bb.775:
	v_mul_f64 v[204:205], v[196:197], v[50:51]
	v_mul_f64 v[50:51], v[198:199], v[50:51]
	s_delay_alu instid0(VALU_DEP_2) | instskip(NEXT) | instid1(VALU_DEP_2)
	v_fma_f64 v[204:205], v[198:199], v[48:49], v[204:205]
	v_fma_f64 v[48:49], v[196:197], v[48:49], -v[50:51]
	ds_load_2addr_b64 v[196:199], v206 offset0:74 offset1:75
	s_waitcnt lgkmcnt(0)
	v_mul_f64 v[50:51], v[198:199], v[204:205]
	s_delay_alu instid0(VALU_DEP_1) | instskip(SKIP_1) | instid1(VALU_DEP_2)
	v_fma_f64 v[50:51], v[196:197], v[48:49], -v[50:51]
	v_mul_f64 v[196:197], v[196:197], v[204:205]
	v_add_f64 v[44:45], v[44:45], -v[50:51]
	s_delay_alu instid0(VALU_DEP_2) | instskip(NEXT) | instid1(VALU_DEP_1)
	v_fma_f64 v[196:197], v[198:199], v[48:49], v[196:197]
	v_add_f64 v[46:47], v[46:47], -v[196:197]
	ds_load_2addr_b64 v[196:199], v206 offset0:76 offset1:77
	s_waitcnt lgkmcnt(0)
	v_mul_f64 v[50:51], v[198:199], v[204:205]
	s_delay_alu instid0(VALU_DEP_1) | instskip(SKIP_1) | instid1(VALU_DEP_2)
	v_fma_f64 v[50:51], v[196:197], v[48:49], -v[50:51]
	v_mul_f64 v[196:197], v[196:197], v[204:205]
	v_add_f64 v[40:41], v[40:41], -v[50:51]
	s_delay_alu instid0(VALU_DEP_2) | instskip(NEXT) | instid1(VALU_DEP_1)
	v_fma_f64 v[196:197], v[198:199], v[48:49], v[196:197]
	v_add_f64 v[42:43], v[42:43], -v[196:197]
	;; [unrolled: 10-line block ×11, first 2 shown]
	ds_load_2addr_b64 v[196:199], v206 offset0:96 offset1:97
	s_waitcnt lgkmcnt(0)
	v_mul_f64 v[50:51], v[198:199], v[204:205]
	s_delay_alu instid0(VALU_DEP_1) | instskip(SKIP_1) | instid1(VALU_DEP_2)
	v_fma_f64 v[50:51], v[196:197], v[48:49], -v[50:51]
	v_mul_f64 v[196:197], v[196:197], v[204:205]
	v_add_f64 v[0:1], v[0:1], -v[50:51]
	s_delay_alu instid0(VALU_DEP_2) | instskip(SKIP_1) | instid1(VALU_DEP_2)
	v_fma_f64 v[196:197], v[198:199], v[48:49], v[196:197]
	v_dual_mov_b32 v50, v204 :: v_dual_mov_b32 v51, v205
	v_add_f64 v[2:3], v[2:3], -v[196:197]
.LBB96_776:
	s_or_b32 exec_lo, exec_lo, s2
	v_lshl_add_u32 v196, v212, 4, v206
	s_barrier
	buffer_gl0_inv
	v_mov_b32_e32 v204, 37
	ds_store_2addr_b64 v196, v[44:45], v[46:47] offset1:1
	s_waitcnt lgkmcnt(0)
	s_barrier
	buffer_gl0_inv
	ds_load_2addr_b64 v[196:199], v206 offset0:74 offset1:75
	s_cmp_lt_i32 s5, 39
	s_cbranch_scc1 .LBB96_779
; %bb.777:
	v_add3_u32 v205, v211, 0, 0x260
	v_mov_b32_e32 v204, 37
	s_mov_b32 s6, 38
	s_set_inst_prefetch_distance 0x1
	.p2align	6
.LBB96_778:                             ; =>This Inner Loop Header: Depth=1
	ds_load_2addr_b64 v[213:216], v205 offset1:1
	s_waitcnt lgkmcnt(1)
	v_cmp_gt_f64_e32 vcc_lo, 0, v[196:197]
	v_xor_b32_e32 v217, 0x80000000, v197
	v_cmp_gt_f64_e64 s2, 0, v[198:199]
	v_xor_b32_e32 v219, 0x80000000, v199
	v_add_nc_u32_e32 v205, 16, v205
	s_waitcnt lgkmcnt(0)
	v_cmp_gt_f64_e64 s3, 0, v[213:214]
	v_mov_b32_e32 v221, v213
	v_dual_mov_b32 v223, v215 :: v_dual_cndmask_b32 v218, v197, v217
	v_xor_b32_e32 v217, 0x80000000, v214
	v_cndmask_b32_e64 v220, v199, v219, s2
	v_xor_b32_e32 v219, 0x80000000, v216
	s_delay_alu instid0(VALU_DEP_3) | instskip(SKIP_2) | instid1(VALU_DEP_2)
	v_cndmask_b32_e64 v222, v214, v217, s3
	v_cmp_gt_f64_e64 s3, 0, v[215:216]
	v_cndmask_b32_e32 v217, v196, v196, vcc_lo
	v_cndmask_b32_e64 v224, v216, v219, s3
	v_cndmask_b32_e64 v219, v198, v198, s2
	s_delay_alu instid0(VALU_DEP_2) | instskip(NEXT) | instid1(VALU_DEP_2)
	v_add_f64 v[221:222], v[221:222], v[223:224]
	v_add_f64 v[217:218], v[217:218], v[219:220]
	s_delay_alu instid0(VALU_DEP_1) | instskip(SKIP_4) | instid1(SALU_CYCLE_1)
	v_cmp_lt_f64_e32 vcc_lo, v[217:218], v[221:222]
	v_dual_cndmask_b32 v198, v198, v215 :: v_dual_cndmask_b32 v197, v197, v214
	v_dual_cndmask_b32 v196, v196, v213 :: v_dual_cndmask_b32 v199, v199, v216
	v_cndmask_b32_e64 v204, v204, s6, vcc_lo
	s_add_i32 s6, s6, 1
	s_cmp_lg_u32 s5, s6
	s_cbranch_scc1 .LBB96_778
.LBB96_779:
	s_set_inst_prefetch_distance 0x2
	s_waitcnt lgkmcnt(0)
	v_cmp_eq_f64_e32 vcc_lo, 0, v[196:197]
	v_cmp_eq_f64_e64 s2, 0, v[198:199]
	s_delay_alu instid0(VALU_DEP_1) | instskip(NEXT) | instid1(SALU_CYCLE_1)
	s_and_b32 s2, vcc_lo, s2
	s_and_saveexec_b32 s3, s2
	s_delay_alu instid0(SALU_CYCLE_1)
	s_xor_b32 s2, exec_lo, s3
; %bb.780:
	v_cmp_ne_u32_e32 vcc_lo, 0, v209
	v_cndmask_b32_e32 v209, 38, v209, vcc_lo
; %bb.781:
	s_and_not1_saveexec_b32 s3, s2
	s_cbranch_execz .LBB96_787
; %bb.782:
	v_cmp_gt_f64_e32 vcc_lo, 0, v[196:197]
	v_cmp_gt_f64_e64 s2, 0, v[198:199]
	v_xor_b32_e32 v205, 0x80000000, v197
	v_xor_b32_e32 v213, 0x80000000, v199
	s_delay_alu instid0(VALU_DEP_2) | instskip(NEXT) | instid1(VALU_DEP_2)
	v_cndmask_b32_e32 v214, v197, v205, vcc_lo
	v_cndmask_b32_e64 v216, v199, v213, s2
	v_cndmask_b32_e32 v213, v196, v196, vcc_lo
	v_cndmask_b32_e64 v215, v198, v198, s2
	s_mov_b32 s2, exec_lo
	s_delay_alu instid0(VALU_DEP_1)
	v_cmpx_ngt_f64_e32 v[213:214], v[215:216]
	s_xor_b32 s2, exec_lo, s2
	s_cbranch_execz .LBB96_784
; %bb.783:
	v_div_scale_f64 v[213:214], null, v[198:199], v[198:199], v[196:197]
	v_div_scale_f64 v[219:220], vcc_lo, v[196:197], v[198:199], v[196:197]
	s_delay_alu instid0(VALU_DEP_2) | instskip(SKIP_2) | instid1(VALU_DEP_1)
	v_rcp_f64_e32 v[215:216], v[213:214]
	s_waitcnt_depctr 0xfff
	v_fma_f64 v[217:218], -v[213:214], v[215:216], 1.0
	v_fma_f64 v[215:216], v[215:216], v[217:218], v[215:216]
	s_delay_alu instid0(VALU_DEP_1) | instskip(NEXT) | instid1(VALU_DEP_1)
	v_fma_f64 v[217:218], -v[213:214], v[215:216], 1.0
	v_fma_f64 v[215:216], v[215:216], v[217:218], v[215:216]
	s_delay_alu instid0(VALU_DEP_1) | instskip(NEXT) | instid1(VALU_DEP_1)
	v_mul_f64 v[217:218], v[219:220], v[215:216]
	v_fma_f64 v[213:214], -v[213:214], v[217:218], v[219:220]
	s_delay_alu instid0(VALU_DEP_1) | instskip(NEXT) | instid1(VALU_DEP_1)
	v_div_fmas_f64 v[213:214], v[213:214], v[215:216], v[217:218]
	v_div_fixup_f64 v[213:214], v[213:214], v[198:199], v[196:197]
	s_delay_alu instid0(VALU_DEP_1) | instskip(NEXT) | instid1(VALU_DEP_1)
	v_fma_f64 v[196:197], v[196:197], v[213:214], v[198:199]
	v_div_scale_f64 v[198:199], null, v[196:197], v[196:197], 1.0
	s_delay_alu instid0(VALU_DEP_1) | instskip(SKIP_2) | instid1(VALU_DEP_1)
	v_rcp_f64_e32 v[215:216], v[198:199]
	s_waitcnt_depctr 0xfff
	v_fma_f64 v[217:218], -v[198:199], v[215:216], 1.0
	v_fma_f64 v[215:216], v[215:216], v[217:218], v[215:216]
	s_delay_alu instid0(VALU_DEP_1) | instskip(NEXT) | instid1(VALU_DEP_1)
	v_fma_f64 v[217:218], -v[198:199], v[215:216], 1.0
	v_fma_f64 v[215:216], v[215:216], v[217:218], v[215:216]
	v_div_scale_f64 v[217:218], vcc_lo, 1.0, v[196:197], 1.0
	s_delay_alu instid0(VALU_DEP_1) | instskip(NEXT) | instid1(VALU_DEP_1)
	v_mul_f64 v[219:220], v[217:218], v[215:216]
	v_fma_f64 v[198:199], -v[198:199], v[219:220], v[217:218]
	s_delay_alu instid0(VALU_DEP_1) | instskip(NEXT) | instid1(VALU_DEP_1)
	v_div_fmas_f64 v[198:199], v[198:199], v[215:216], v[219:220]
	v_div_fixup_f64 v[198:199], v[198:199], v[196:197], 1.0
	s_delay_alu instid0(VALU_DEP_1)
	v_mul_f64 v[196:197], v[213:214], v[198:199]
	v_xor_b32_e32 v199, 0x80000000, v199
.LBB96_784:
	s_and_not1_saveexec_b32 s2, s2
	s_cbranch_execz .LBB96_786
; %bb.785:
	s_delay_alu instid0(VALU_DEP_1) | instskip(SKIP_1) | instid1(VALU_DEP_2)
	v_div_scale_f64 v[213:214], null, v[196:197], v[196:197], v[198:199]
	v_div_scale_f64 v[219:220], vcc_lo, v[198:199], v[196:197], v[198:199]
	v_rcp_f64_e32 v[215:216], v[213:214]
	s_waitcnt_depctr 0xfff
	v_fma_f64 v[217:218], -v[213:214], v[215:216], 1.0
	s_delay_alu instid0(VALU_DEP_1) | instskip(NEXT) | instid1(VALU_DEP_1)
	v_fma_f64 v[215:216], v[215:216], v[217:218], v[215:216]
	v_fma_f64 v[217:218], -v[213:214], v[215:216], 1.0
	s_delay_alu instid0(VALU_DEP_1) | instskip(NEXT) | instid1(VALU_DEP_1)
	v_fma_f64 v[215:216], v[215:216], v[217:218], v[215:216]
	v_mul_f64 v[217:218], v[219:220], v[215:216]
	s_delay_alu instid0(VALU_DEP_1) | instskip(NEXT) | instid1(VALU_DEP_1)
	v_fma_f64 v[213:214], -v[213:214], v[217:218], v[219:220]
	v_div_fmas_f64 v[213:214], v[213:214], v[215:216], v[217:218]
	s_delay_alu instid0(VALU_DEP_1) | instskip(NEXT) | instid1(VALU_DEP_1)
	v_div_fixup_f64 v[213:214], v[213:214], v[196:197], v[198:199]
	v_fma_f64 v[196:197], v[198:199], v[213:214], v[196:197]
	s_delay_alu instid0(VALU_DEP_1) | instskip(NEXT) | instid1(VALU_DEP_1)
	v_div_scale_f64 v[198:199], null, v[196:197], v[196:197], 1.0
	v_rcp_f64_e32 v[215:216], v[198:199]
	s_waitcnt_depctr 0xfff
	v_fma_f64 v[217:218], -v[198:199], v[215:216], 1.0
	s_delay_alu instid0(VALU_DEP_1) | instskip(NEXT) | instid1(VALU_DEP_1)
	v_fma_f64 v[215:216], v[215:216], v[217:218], v[215:216]
	v_fma_f64 v[217:218], -v[198:199], v[215:216], 1.0
	s_delay_alu instid0(VALU_DEP_1) | instskip(SKIP_1) | instid1(VALU_DEP_1)
	v_fma_f64 v[215:216], v[215:216], v[217:218], v[215:216]
	v_div_scale_f64 v[217:218], vcc_lo, 1.0, v[196:197], 1.0
	v_mul_f64 v[219:220], v[217:218], v[215:216]
	s_delay_alu instid0(VALU_DEP_1) | instskip(NEXT) | instid1(VALU_DEP_1)
	v_fma_f64 v[198:199], -v[198:199], v[219:220], v[217:218]
	v_div_fmas_f64 v[198:199], v[198:199], v[215:216], v[219:220]
	s_delay_alu instid0(VALU_DEP_1) | instskip(NEXT) | instid1(VALU_DEP_1)
	v_div_fixup_f64 v[196:197], v[198:199], v[196:197], 1.0
	v_mul_f64 v[198:199], v[213:214], -v[196:197]
.LBB96_786:
	s_or_b32 exec_lo, exec_lo, s2
.LBB96_787:
	s_delay_alu instid0(SALU_CYCLE_1) | instskip(NEXT) | instid1(SALU_CYCLE_1)
	s_or_b32 exec_lo, exec_lo, s3
	s_mov_b32 s2, exec_lo
	v_cmpx_ne_u32_e64 v212, v204
	s_xor_b32 s2, exec_lo, s2
	s_cbranch_execz .LBB96_793
; %bb.788:
	s_mov_b32 s3, exec_lo
	v_cmpx_eq_u32_e32 37, v212
	s_cbranch_execz .LBB96_792
; %bb.789:
	v_cmp_ne_u32_e32 vcc_lo, 37, v204
	s_xor_b32 s6, s4, -1
	s_delay_alu instid0(SALU_CYCLE_1) | instskip(NEXT) | instid1(SALU_CYCLE_1)
	s_and_b32 s7, s6, vcc_lo
	s_and_saveexec_b32 s6, s7
	s_cbranch_execz .LBB96_791
; %bb.790:
	v_ashrrev_i32_e32 v205, 31, v204
	s_delay_alu instid0(VALU_DEP_1) | instskip(NEXT) | instid1(VALU_DEP_1)
	v_lshlrev_b64 v[212:213], 2, v[204:205]
	v_add_co_u32 v212, vcc_lo, v202, v212
	s_delay_alu instid0(VALU_DEP_2)
	v_add_co_ci_u32_e32 v213, vcc_lo, v203, v213, vcc_lo
	s_clause 0x1
	flat_load_b32 v205, v[212:213]
	flat_load_b32 v210, v[202:203] offset:148
	s_waitcnt vmcnt(1) lgkmcnt(1)
	flat_store_b32 v[202:203], v205 offset:148
	s_waitcnt vmcnt(0) lgkmcnt(1)
	flat_store_b32 v[212:213], v210
.LBB96_791:
	s_or_b32 exec_lo, exec_lo, s6
	v_mov_b32_e32 v212, v204
	v_mov_b32_e32 v210, v204
.LBB96_792:
	s_or_b32 exec_lo, exec_lo, s3
.LBB96_793:
	s_and_not1_saveexec_b32 s2, s2
	s_cbranch_execz .LBB96_795
; %bb.794:
	v_mov_b32_e32 v212, 37
	ds_store_2addr_b64 v206, v[40:41], v[42:43] offset0:76 offset1:77
	ds_store_2addr_b64 v206, v[36:37], v[38:39] offset0:78 offset1:79
	;; [unrolled: 1-line block ×11, first 2 shown]
.LBB96_795:
	s_or_b32 exec_lo, exec_lo, s2
	s_delay_alu instid0(SALU_CYCLE_1)
	s_mov_b32 s2, exec_lo
	s_waitcnt lgkmcnt(0)
	s_waitcnt_vscnt null, 0x0
	s_barrier
	buffer_gl0_inv
	v_cmpx_lt_i32_e32 37, v212
	s_cbranch_execz .LBB96_797
; %bb.796:
	v_mul_f64 v[204:205], v[196:197], v[46:47]
	v_mul_f64 v[46:47], v[198:199], v[46:47]
	s_delay_alu instid0(VALU_DEP_2) | instskip(NEXT) | instid1(VALU_DEP_2)
	v_fma_f64 v[204:205], v[198:199], v[44:45], v[204:205]
	v_fma_f64 v[44:45], v[196:197], v[44:45], -v[46:47]
	ds_load_2addr_b64 v[196:199], v206 offset0:76 offset1:77
	s_waitcnt lgkmcnt(0)
	v_mul_f64 v[46:47], v[198:199], v[204:205]
	s_delay_alu instid0(VALU_DEP_1) | instskip(SKIP_1) | instid1(VALU_DEP_2)
	v_fma_f64 v[46:47], v[196:197], v[44:45], -v[46:47]
	v_mul_f64 v[196:197], v[196:197], v[204:205]
	v_add_f64 v[40:41], v[40:41], -v[46:47]
	s_delay_alu instid0(VALU_DEP_2) | instskip(NEXT) | instid1(VALU_DEP_1)
	v_fma_f64 v[196:197], v[198:199], v[44:45], v[196:197]
	v_add_f64 v[42:43], v[42:43], -v[196:197]
	ds_load_2addr_b64 v[196:199], v206 offset0:78 offset1:79
	s_waitcnt lgkmcnt(0)
	v_mul_f64 v[46:47], v[198:199], v[204:205]
	s_delay_alu instid0(VALU_DEP_1) | instskip(SKIP_1) | instid1(VALU_DEP_2)
	v_fma_f64 v[46:47], v[196:197], v[44:45], -v[46:47]
	v_mul_f64 v[196:197], v[196:197], v[204:205]
	v_add_f64 v[36:37], v[36:37], -v[46:47]
	s_delay_alu instid0(VALU_DEP_2) | instskip(NEXT) | instid1(VALU_DEP_1)
	v_fma_f64 v[196:197], v[198:199], v[44:45], v[196:197]
	v_add_f64 v[38:39], v[38:39], -v[196:197]
	;; [unrolled: 10-line block ×10, first 2 shown]
	ds_load_2addr_b64 v[196:199], v206 offset0:96 offset1:97
	s_waitcnt lgkmcnt(0)
	v_mul_f64 v[46:47], v[198:199], v[204:205]
	s_delay_alu instid0(VALU_DEP_1) | instskip(SKIP_1) | instid1(VALU_DEP_2)
	v_fma_f64 v[46:47], v[196:197], v[44:45], -v[46:47]
	v_mul_f64 v[196:197], v[196:197], v[204:205]
	v_add_f64 v[0:1], v[0:1], -v[46:47]
	s_delay_alu instid0(VALU_DEP_2) | instskip(SKIP_1) | instid1(VALU_DEP_2)
	v_fma_f64 v[196:197], v[198:199], v[44:45], v[196:197]
	v_dual_mov_b32 v46, v204 :: v_dual_mov_b32 v47, v205
	v_add_f64 v[2:3], v[2:3], -v[196:197]
.LBB96_797:
	s_or_b32 exec_lo, exec_lo, s2
	v_lshl_add_u32 v196, v212, 4, v206
	s_barrier
	buffer_gl0_inv
	v_mov_b32_e32 v204, 38
	ds_store_2addr_b64 v196, v[40:41], v[42:43] offset1:1
	s_waitcnt lgkmcnt(0)
	s_barrier
	buffer_gl0_inv
	ds_load_2addr_b64 v[196:199], v206 offset0:76 offset1:77
	s_cmp_lt_i32 s5, 40
	s_cbranch_scc1 .LBB96_800
; %bb.798:
	v_add3_u32 v205, v211, 0, 0x270
	v_mov_b32_e32 v204, 38
	s_mov_b32 s6, 39
	s_set_inst_prefetch_distance 0x1
	.p2align	6
.LBB96_799:                             ; =>This Inner Loop Header: Depth=1
	ds_load_2addr_b64 v[213:216], v205 offset1:1
	s_waitcnt lgkmcnt(1)
	v_cmp_gt_f64_e32 vcc_lo, 0, v[196:197]
	v_xor_b32_e32 v217, 0x80000000, v197
	v_cmp_gt_f64_e64 s2, 0, v[198:199]
	v_xor_b32_e32 v219, 0x80000000, v199
	v_add_nc_u32_e32 v205, 16, v205
	s_waitcnt lgkmcnt(0)
	v_cmp_gt_f64_e64 s3, 0, v[213:214]
	v_mov_b32_e32 v221, v213
	v_dual_mov_b32 v223, v215 :: v_dual_cndmask_b32 v218, v197, v217
	v_xor_b32_e32 v217, 0x80000000, v214
	v_cndmask_b32_e64 v220, v199, v219, s2
	v_xor_b32_e32 v219, 0x80000000, v216
	s_delay_alu instid0(VALU_DEP_3) | instskip(SKIP_2) | instid1(VALU_DEP_2)
	v_cndmask_b32_e64 v222, v214, v217, s3
	v_cmp_gt_f64_e64 s3, 0, v[215:216]
	v_cndmask_b32_e32 v217, v196, v196, vcc_lo
	v_cndmask_b32_e64 v224, v216, v219, s3
	v_cndmask_b32_e64 v219, v198, v198, s2
	s_delay_alu instid0(VALU_DEP_2) | instskip(NEXT) | instid1(VALU_DEP_2)
	v_add_f64 v[221:222], v[221:222], v[223:224]
	v_add_f64 v[217:218], v[217:218], v[219:220]
	s_delay_alu instid0(VALU_DEP_1) | instskip(SKIP_4) | instid1(SALU_CYCLE_1)
	v_cmp_lt_f64_e32 vcc_lo, v[217:218], v[221:222]
	v_dual_cndmask_b32 v198, v198, v215 :: v_dual_cndmask_b32 v197, v197, v214
	v_dual_cndmask_b32 v196, v196, v213 :: v_dual_cndmask_b32 v199, v199, v216
	v_cndmask_b32_e64 v204, v204, s6, vcc_lo
	s_add_i32 s6, s6, 1
	s_cmp_lg_u32 s5, s6
	s_cbranch_scc1 .LBB96_799
.LBB96_800:
	s_set_inst_prefetch_distance 0x2
	s_waitcnt lgkmcnt(0)
	v_cmp_eq_f64_e32 vcc_lo, 0, v[196:197]
	v_cmp_eq_f64_e64 s2, 0, v[198:199]
	s_delay_alu instid0(VALU_DEP_1) | instskip(NEXT) | instid1(SALU_CYCLE_1)
	s_and_b32 s2, vcc_lo, s2
	s_and_saveexec_b32 s3, s2
	s_delay_alu instid0(SALU_CYCLE_1)
	s_xor_b32 s2, exec_lo, s3
; %bb.801:
	v_cmp_ne_u32_e32 vcc_lo, 0, v209
	v_cndmask_b32_e32 v209, 39, v209, vcc_lo
; %bb.802:
	s_and_not1_saveexec_b32 s3, s2
	s_cbranch_execz .LBB96_808
; %bb.803:
	v_cmp_gt_f64_e32 vcc_lo, 0, v[196:197]
	v_cmp_gt_f64_e64 s2, 0, v[198:199]
	v_xor_b32_e32 v205, 0x80000000, v197
	v_xor_b32_e32 v213, 0x80000000, v199
	s_delay_alu instid0(VALU_DEP_2) | instskip(NEXT) | instid1(VALU_DEP_2)
	v_cndmask_b32_e32 v214, v197, v205, vcc_lo
	v_cndmask_b32_e64 v216, v199, v213, s2
	v_cndmask_b32_e32 v213, v196, v196, vcc_lo
	v_cndmask_b32_e64 v215, v198, v198, s2
	s_mov_b32 s2, exec_lo
	s_delay_alu instid0(VALU_DEP_1)
	v_cmpx_ngt_f64_e32 v[213:214], v[215:216]
	s_xor_b32 s2, exec_lo, s2
	s_cbranch_execz .LBB96_805
; %bb.804:
	v_div_scale_f64 v[213:214], null, v[198:199], v[198:199], v[196:197]
	v_div_scale_f64 v[219:220], vcc_lo, v[196:197], v[198:199], v[196:197]
	s_delay_alu instid0(VALU_DEP_2) | instskip(SKIP_2) | instid1(VALU_DEP_1)
	v_rcp_f64_e32 v[215:216], v[213:214]
	s_waitcnt_depctr 0xfff
	v_fma_f64 v[217:218], -v[213:214], v[215:216], 1.0
	v_fma_f64 v[215:216], v[215:216], v[217:218], v[215:216]
	s_delay_alu instid0(VALU_DEP_1) | instskip(NEXT) | instid1(VALU_DEP_1)
	v_fma_f64 v[217:218], -v[213:214], v[215:216], 1.0
	v_fma_f64 v[215:216], v[215:216], v[217:218], v[215:216]
	s_delay_alu instid0(VALU_DEP_1) | instskip(NEXT) | instid1(VALU_DEP_1)
	v_mul_f64 v[217:218], v[219:220], v[215:216]
	v_fma_f64 v[213:214], -v[213:214], v[217:218], v[219:220]
	s_delay_alu instid0(VALU_DEP_1) | instskip(NEXT) | instid1(VALU_DEP_1)
	v_div_fmas_f64 v[213:214], v[213:214], v[215:216], v[217:218]
	v_div_fixup_f64 v[213:214], v[213:214], v[198:199], v[196:197]
	s_delay_alu instid0(VALU_DEP_1) | instskip(NEXT) | instid1(VALU_DEP_1)
	v_fma_f64 v[196:197], v[196:197], v[213:214], v[198:199]
	v_div_scale_f64 v[198:199], null, v[196:197], v[196:197], 1.0
	s_delay_alu instid0(VALU_DEP_1) | instskip(SKIP_2) | instid1(VALU_DEP_1)
	v_rcp_f64_e32 v[215:216], v[198:199]
	s_waitcnt_depctr 0xfff
	v_fma_f64 v[217:218], -v[198:199], v[215:216], 1.0
	v_fma_f64 v[215:216], v[215:216], v[217:218], v[215:216]
	s_delay_alu instid0(VALU_DEP_1) | instskip(NEXT) | instid1(VALU_DEP_1)
	v_fma_f64 v[217:218], -v[198:199], v[215:216], 1.0
	v_fma_f64 v[215:216], v[215:216], v[217:218], v[215:216]
	v_div_scale_f64 v[217:218], vcc_lo, 1.0, v[196:197], 1.0
	s_delay_alu instid0(VALU_DEP_1) | instskip(NEXT) | instid1(VALU_DEP_1)
	v_mul_f64 v[219:220], v[217:218], v[215:216]
	v_fma_f64 v[198:199], -v[198:199], v[219:220], v[217:218]
	s_delay_alu instid0(VALU_DEP_1) | instskip(NEXT) | instid1(VALU_DEP_1)
	v_div_fmas_f64 v[198:199], v[198:199], v[215:216], v[219:220]
	v_div_fixup_f64 v[198:199], v[198:199], v[196:197], 1.0
	s_delay_alu instid0(VALU_DEP_1)
	v_mul_f64 v[196:197], v[213:214], v[198:199]
	v_xor_b32_e32 v199, 0x80000000, v199
.LBB96_805:
	s_and_not1_saveexec_b32 s2, s2
	s_cbranch_execz .LBB96_807
; %bb.806:
	s_delay_alu instid0(VALU_DEP_1) | instskip(SKIP_1) | instid1(VALU_DEP_2)
	v_div_scale_f64 v[213:214], null, v[196:197], v[196:197], v[198:199]
	v_div_scale_f64 v[219:220], vcc_lo, v[198:199], v[196:197], v[198:199]
	v_rcp_f64_e32 v[215:216], v[213:214]
	s_waitcnt_depctr 0xfff
	v_fma_f64 v[217:218], -v[213:214], v[215:216], 1.0
	s_delay_alu instid0(VALU_DEP_1) | instskip(NEXT) | instid1(VALU_DEP_1)
	v_fma_f64 v[215:216], v[215:216], v[217:218], v[215:216]
	v_fma_f64 v[217:218], -v[213:214], v[215:216], 1.0
	s_delay_alu instid0(VALU_DEP_1) | instskip(NEXT) | instid1(VALU_DEP_1)
	v_fma_f64 v[215:216], v[215:216], v[217:218], v[215:216]
	v_mul_f64 v[217:218], v[219:220], v[215:216]
	s_delay_alu instid0(VALU_DEP_1) | instskip(NEXT) | instid1(VALU_DEP_1)
	v_fma_f64 v[213:214], -v[213:214], v[217:218], v[219:220]
	v_div_fmas_f64 v[213:214], v[213:214], v[215:216], v[217:218]
	s_delay_alu instid0(VALU_DEP_1) | instskip(NEXT) | instid1(VALU_DEP_1)
	v_div_fixup_f64 v[213:214], v[213:214], v[196:197], v[198:199]
	v_fma_f64 v[196:197], v[198:199], v[213:214], v[196:197]
	s_delay_alu instid0(VALU_DEP_1) | instskip(NEXT) | instid1(VALU_DEP_1)
	v_div_scale_f64 v[198:199], null, v[196:197], v[196:197], 1.0
	v_rcp_f64_e32 v[215:216], v[198:199]
	s_waitcnt_depctr 0xfff
	v_fma_f64 v[217:218], -v[198:199], v[215:216], 1.0
	s_delay_alu instid0(VALU_DEP_1) | instskip(NEXT) | instid1(VALU_DEP_1)
	v_fma_f64 v[215:216], v[215:216], v[217:218], v[215:216]
	v_fma_f64 v[217:218], -v[198:199], v[215:216], 1.0
	s_delay_alu instid0(VALU_DEP_1) | instskip(SKIP_1) | instid1(VALU_DEP_1)
	v_fma_f64 v[215:216], v[215:216], v[217:218], v[215:216]
	v_div_scale_f64 v[217:218], vcc_lo, 1.0, v[196:197], 1.0
	v_mul_f64 v[219:220], v[217:218], v[215:216]
	s_delay_alu instid0(VALU_DEP_1) | instskip(NEXT) | instid1(VALU_DEP_1)
	v_fma_f64 v[198:199], -v[198:199], v[219:220], v[217:218]
	v_div_fmas_f64 v[198:199], v[198:199], v[215:216], v[219:220]
	s_delay_alu instid0(VALU_DEP_1) | instskip(NEXT) | instid1(VALU_DEP_1)
	v_div_fixup_f64 v[196:197], v[198:199], v[196:197], 1.0
	v_mul_f64 v[198:199], v[213:214], -v[196:197]
.LBB96_807:
	s_or_b32 exec_lo, exec_lo, s2
.LBB96_808:
	s_delay_alu instid0(SALU_CYCLE_1) | instskip(NEXT) | instid1(SALU_CYCLE_1)
	s_or_b32 exec_lo, exec_lo, s3
	s_mov_b32 s2, exec_lo
	v_cmpx_ne_u32_e64 v212, v204
	s_xor_b32 s2, exec_lo, s2
	s_cbranch_execz .LBB96_814
; %bb.809:
	s_mov_b32 s3, exec_lo
	v_cmpx_eq_u32_e32 38, v212
	s_cbranch_execz .LBB96_813
; %bb.810:
	v_cmp_ne_u32_e32 vcc_lo, 38, v204
	s_xor_b32 s6, s4, -1
	s_delay_alu instid0(SALU_CYCLE_1) | instskip(NEXT) | instid1(SALU_CYCLE_1)
	s_and_b32 s7, s6, vcc_lo
	s_and_saveexec_b32 s6, s7
	s_cbranch_execz .LBB96_812
; %bb.811:
	v_ashrrev_i32_e32 v205, 31, v204
	s_delay_alu instid0(VALU_DEP_1) | instskip(NEXT) | instid1(VALU_DEP_1)
	v_lshlrev_b64 v[212:213], 2, v[204:205]
	v_add_co_u32 v212, vcc_lo, v202, v212
	s_delay_alu instid0(VALU_DEP_2)
	v_add_co_ci_u32_e32 v213, vcc_lo, v203, v213, vcc_lo
	s_clause 0x1
	flat_load_b32 v205, v[212:213]
	flat_load_b32 v210, v[202:203] offset:152
	s_waitcnt vmcnt(1) lgkmcnt(1)
	flat_store_b32 v[202:203], v205 offset:152
	s_waitcnt vmcnt(0) lgkmcnt(1)
	flat_store_b32 v[212:213], v210
.LBB96_812:
	s_or_b32 exec_lo, exec_lo, s6
	v_mov_b32_e32 v212, v204
	v_mov_b32_e32 v210, v204
.LBB96_813:
	s_or_b32 exec_lo, exec_lo, s3
.LBB96_814:
	s_and_not1_saveexec_b32 s2, s2
	s_cbranch_execz .LBB96_816
; %bb.815:
	v_mov_b32_e32 v212, 38
	ds_store_2addr_b64 v206, v[36:37], v[38:39] offset0:78 offset1:79
	ds_store_2addr_b64 v206, v[32:33], v[34:35] offset0:80 offset1:81
	;; [unrolled: 1-line block ×10, first 2 shown]
.LBB96_816:
	s_or_b32 exec_lo, exec_lo, s2
	s_delay_alu instid0(SALU_CYCLE_1)
	s_mov_b32 s2, exec_lo
	s_waitcnt lgkmcnt(0)
	s_waitcnt_vscnt null, 0x0
	s_barrier
	buffer_gl0_inv
	v_cmpx_lt_i32_e32 38, v212
	s_cbranch_execz .LBB96_818
; %bb.817:
	v_mul_f64 v[204:205], v[196:197], v[42:43]
	v_mul_f64 v[42:43], v[198:199], v[42:43]
	s_delay_alu instid0(VALU_DEP_2) | instskip(NEXT) | instid1(VALU_DEP_2)
	v_fma_f64 v[204:205], v[198:199], v[40:41], v[204:205]
	v_fma_f64 v[40:41], v[196:197], v[40:41], -v[42:43]
	ds_load_2addr_b64 v[196:199], v206 offset0:78 offset1:79
	s_waitcnt lgkmcnt(0)
	v_mul_f64 v[42:43], v[198:199], v[204:205]
	s_delay_alu instid0(VALU_DEP_1) | instskip(SKIP_1) | instid1(VALU_DEP_2)
	v_fma_f64 v[42:43], v[196:197], v[40:41], -v[42:43]
	v_mul_f64 v[196:197], v[196:197], v[204:205]
	v_add_f64 v[36:37], v[36:37], -v[42:43]
	s_delay_alu instid0(VALU_DEP_2) | instskip(NEXT) | instid1(VALU_DEP_1)
	v_fma_f64 v[196:197], v[198:199], v[40:41], v[196:197]
	v_add_f64 v[38:39], v[38:39], -v[196:197]
	ds_load_2addr_b64 v[196:199], v206 offset0:80 offset1:81
	s_waitcnt lgkmcnt(0)
	v_mul_f64 v[42:43], v[198:199], v[204:205]
	s_delay_alu instid0(VALU_DEP_1) | instskip(SKIP_1) | instid1(VALU_DEP_2)
	v_fma_f64 v[42:43], v[196:197], v[40:41], -v[42:43]
	v_mul_f64 v[196:197], v[196:197], v[204:205]
	v_add_f64 v[32:33], v[32:33], -v[42:43]
	s_delay_alu instid0(VALU_DEP_2) | instskip(NEXT) | instid1(VALU_DEP_1)
	v_fma_f64 v[196:197], v[198:199], v[40:41], v[196:197]
	v_add_f64 v[34:35], v[34:35], -v[196:197]
	;; [unrolled: 10-line block ×9, first 2 shown]
	ds_load_2addr_b64 v[196:199], v206 offset0:96 offset1:97
	s_waitcnt lgkmcnt(0)
	v_mul_f64 v[42:43], v[198:199], v[204:205]
	s_delay_alu instid0(VALU_DEP_1) | instskip(SKIP_1) | instid1(VALU_DEP_2)
	v_fma_f64 v[42:43], v[196:197], v[40:41], -v[42:43]
	v_mul_f64 v[196:197], v[196:197], v[204:205]
	v_add_f64 v[0:1], v[0:1], -v[42:43]
	s_delay_alu instid0(VALU_DEP_2) | instskip(SKIP_1) | instid1(VALU_DEP_2)
	v_fma_f64 v[196:197], v[198:199], v[40:41], v[196:197]
	v_dual_mov_b32 v42, v204 :: v_dual_mov_b32 v43, v205
	v_add_f64 v[2:3], v[2:3], -v[196:197]
.LBB96_818:
	s_or_b32 exec_lo, exec_lo, s2
	v_lshl_add_u32 v196, v212, 4, v206
	s_barrier
	buffer_gl0_inv
	v_mov_b32_e32 v204, 39
	ds_store_2addr_b64 v196, v[36:37], v[38:39] offset1:1
	s_waitcnt lgkmcnt(0)
	s_barrier
	buffer_gl0_inv
	ds_load_2addr_b64 v[196:199], v206 offset0:78 offset1:79
	s_cmp_lt_i32 s5, 41
	s_cbranch_scc1 .LBB96_821
; %bb.819:
	v_add3_u32 v205, v211, 0, 0x280
	v_mov_b32_e32 v204, 39
	s_mov_b32 s6, 40
	s_set_inst_prefetch_distance 0x1
	.p2align	6
.LBB96_820:                             ; =>This Inner Loop Header: Depth=1
	ds_load_2addr_b64 v[213:216], v205 offset1:1
	s_waitcnt lgkmcnt(1)
	v_cmp_gt_f64_e32 vcc_lo, 0, v[196:197]
	v_xor_b32_e32 v217, 0x80000000, v197
	v_cmp_gt_f64_e64 s2, 0, v[198:199]
	v_xor_b32_e32 v219, 0x80000000, v199
	v_add_nc_u32_e32 v205, 16, v205
	s_waitcnt lgkmcnt(0)
	v_cmp_gt_f64_e64 s3, 0, v[213:214]
	v_mov_b32_e32 v221, v213
	v_dual_mov_b32 v223, v215 :: v_dual_cndmask_b32 v218, v197, v217
	v_xor_b32_e32 v217, 0x80000000, v214
	v_cndmask_b32_e64 v220, v199, v219, s2
	v_xor_b32_e32 v219, 0x80000000, v216
	s_delay_alu instid0(VALU_DEP_3) | instskip(SKIP_2) | instid1(VALU_DEP_2)
	v_cndmask_b32_e64 v222, v214, v217, s3
	v_cmp_gt_f64_e64 s3, 0, v[215:216]
	v_cndmask_b32_e32 v217, v196, v196, vcc_lo
	v_cndmask_b32_e64 v224, v216, v219, s3
	v_cndmask_b32_e64 v219, v198, v198, s2
	s_delay_alu instid0(VALU_DEP_2) | instskip(NEXT) | instid1(VALU_DEP_2)
	v_add_f64 v[221:222], v[221:222], v[223:224]
	v_add_f64 v[217:218], v[217:218], v[219:220]
	s_delay_alu instid0(VALU_DEP_1) | instskip(SKIP_4) | instid1(SALU_CYCLE_1)
	v_cmp_lt_f64_e32 vcc_lo, v[217:218], v[221:222]
	v_dual_cndmask_b32 v198, v198, v215 :: v_dual_cndmask_b32 v197, v197, v214
	v_dual_cndmask_b32 v196, v196, v213 :: v_dual_cndmask_b32 v199, v199, v216
	v_cndmask_b32_e64 v204, v204, s6, vcc_lo
	s_add_i32 s6, s6, 1
	s_cmp_lg_u32 s5, s6
	s_cbranch_scc1 .LBB96_820
.LBB96_821:
	s_set_inst_prefetch_distance 0x2
	s_waitcnt lgkmcnt(0)
	v_cmp_eq_f64_e32 vcc_lo, 0, v[196:197]
	v_cmp_eq_f64_e64 s2, 0, v[198:199]
	s_delay_alu instid0(VALU_DEP_1) | instskip(NEXT) | instid1(SALU_CYCLE_1)
	s_and_b32 s2, vcc_lo, s2
	s_and_saveexec_b32 s3, s2
	s_delay_alu instid0(SALU_CYCLE_1)
	s_xor_b32 s2, exec_lo, s3
; %bb.822:
	v_cmp_ne_u32_e32 vcc_lo, 0, v209
	v_cndmask_b32_e32 v209, 40, v209, vcc_lo
; %bb.823:
	s_and_not1_saveexec_b32 s3, s2
	s_cbranch_execz .LBB96_829
; %bb.824:
	v_cmp_gt_f64_e32 vcc_lo, 0, v[196:197]
	v_cmp_gt_f64_e64 s2, 0, v[198:199]
	v_xor_b32_e32 v205, 0x80000000, v197
	v_xor_b32_e32 v213, 0x80000000, v199
	s_delay_alu instid0(VALU_DEP_2) | instskip(NEXT) | instid1(VALU_DEP_2)
	v_cndmask_b32_e32 v214, v197, v205, vcc_lo
	v_cndmask_b32_e64 v216, v199, v213, s2
	v_cndmask_b32_e32 v213, v196, v196, vcc_lo
	v_cndmask_b32_e64 v215, v198, v198, s2
	s_mov_b32 s2, exec_lo
	s_delay_alu instid0(VALU_DEP_1)
	v_cmpx_ngt_f64_e32 v[213:214], v[215:216]
	s_xor_b32 s2, exec_lo, s2
	s_cbranch_execz .LBB96_826
; %bb.825:
	v_div_scale_f64 v[213:214], null, v[198:199], v[198:199], v[196:197]
	v_div_scale_f64 v[219:220], vcc_lo, v[196:197], v[198:199], v[196:197]
	s_delay_alu instid0(VALU_DEP_2) | instskip(SKIP_2) | instid1(VALU_DEP_1)
	v_rcp_f64_e32 v[215:216], v[213:214]
	s_waitcnt_depctr 0xfff
	v_fma_f64 v[217:218], -v[213:214], v[215:216], 1.0
	v_fma_f64 v[215:216], v[215:216], v[217:218], v[215:216]
	s_delay_alu instid0(VALU_DEP_1) | instskip(NEXT) | instid1(VALU_DEP_1)
	v_fma_f64 v[217:218], -v[213:214], v[215:216], 1.0
	v_fma_f64 v[215:216], v[215:216], v[217:218], v[215:216]
	s_delay_alu instid0(VALU_DEP_1) | instskip(NEXT) | instid1(VALU_DEP_1)
	v_mul_f64 v[217:218], v[219:220], v[215:216]
	v_fma_f64 v[213:214], -v[213:214], v[217:218], v[219:220]
	s_delay_alu instid0(VALU_DEP_1) | instskip(NEXT) | instid1(VALU_DEP_1)
	v_div_fmas_f64 v[213:214], v[213:214], v[215:216], v[217:218]
	v_div_fixup_f64 v[213:214], v[213:214], v[198:199], v[196:197]
	s_delay_alu instid0(VALU_DEP_1) | instskip(NEXT) | instid1(VALU_DEP_1)
	v_fma_f64 v[196:197], v[196:197], v[213:214], v[198:199]
	v_div_scale_f64 v[198:199], null, v[196:197], v[196:197], 1.0
	s_delay_alu instid0(VALU_DEP_1) | instskip(SKIP_2) | instid1(VALU_DEP_1)
	v_rcp_f64_e32 v[215:216], v[198:199]
	s_waitcnt_depctr 0xfff
	v_fma_f64 v[217:218], -v[198:199], v[215:216], 1.0
	v_fma_f64 v[215:216], v[215:216], v[217:218], v[215:216]
	s_delay_alu instid0(VALU_DEP_1) | instskip(NEXT) | instid1(VALU_DEP_1)
	v_fma_f64 v[217:218], -v[198:199], v[215:216], 1.0
	v_fma_f64 v[215:216], v[215:216], v[217:218], v[215:216]
	v_div_scale_f64 v[217:218], vcc_lo, 1.0, v[196:197], 1.0
	s_delay_alu instid0(VALU_DEP_1) | instskip(NEXT) | instid1(VALU_DEP_1)
	v_mul_f64 v[219:220], v[217:218], v[215:216]
	v_fma_f64 v[198:199], -v[198:199], v[219:220], v[217:218]
	s_delay_alu instid0(VALU_DEP_1) | instskip(NEXT) | instid1(VALU_DEP_1)
	v_div_fmas_f64 v[198:199], v[198:199], v[215:216], v[219:220]
	v_div_fixup_f64 v[198:199], v[198:199], v[196:197], 1.0
	s_delay_alu instid0(VALU_DEP_1)
	v_mul_f64 v[196:197], v[213:214], v[198:199]
	v_xor_b32_e32 v199, 0x80000000, v199
.LBB96_826:
	s_and_not1_saveexec_b32 s2, s2
	s_cbranch_execz .LBB96_828
; %bb.827:
	s_delay_alu instid0(VALU_DEP_1) | instskip(SKIP_1) | instid1(VALU_DEP_2)
	v_div_scale_f64 v[213:214], null, v[196:197], v[196:197], v[198:199]
	v_div_scale_f64 v[219:220], vcc_lo, v[198:199], v[196:197], v[198:199]
	v_rcp_f64_e32 v[215:216], v[213:214]
	s_waitcnt_depctr 0xfff
	v_fma_f64 v[217:218], -v[213:214], v[215:216], 1.0
	s_delay_alu instid0(VALU_DEP_1) | instskip(NEXT) | instid1(VALU_DEP_1)
	v_fma_f64 v[215:216], v[215:216], v[217:218], v[215:216]
	v_fma_f64 v[217:218], -v[213:214], v[215:216], 1.0
	s_delay_alu instid0(VALU_DEP_1) | instskip(NEXT) | instid1(VALU_DEP_1)
	v_fma_f64 v[215:216], v[215:216], v[217:218], v[215:216]
	v_mul_f64 v[217:218], v[219:220], v[215:216]
	s_delay_alu instid0(VALU_DEP_1) | instskip(NEXT) | instid1(VALU_DEP_1)
	v_fma_f64 v[213:214], -v[213:214], v[217:218], v[219:220]
	v_div_fmas_f64 v[213:214], v[213:214], v[215:216], v[217:218]
	s_delay_alu instid0(VALU_DEP_1) | instskip(NEXT) | instid1(VALU_DEP_1)
	v_div_fixup_f64 v[213:214], v[213:214], v[196:197], v[198:199]
	v_fma_f64 v[196:197], v[198:199], v[213:214], v[196:197]
	s_delay_alu instid0(VALU_DEP_1) | instskip(NEXT) | instid1(VALU_DEP_1)
	v_div_scale_f64 v[198:199], null, v[196:197], v[196:197], 1.0
	v_rcp_f64_e32 v[215:216], v[198:199]
	s_waitcnt_depctr 0xfff
	v_fma_f64 v[217:218], -v[198:199], v[215:216], 1.0
	s_delay_alu instid0(VALU_DEP_1) | instskip(NEXT) | instid1(VALU_DEP_1)
	v_fma_f64 v[215:216], v[215:216], v[217:218], v[215:216]
	v_fma_f64 v[217:218], -v[198:199], v[215:216], 1.0
	s_delay_alu instid0(VALU_DEP_1) | instskip(SKIP_1) | instid1(VALU_DEP_1)
	v_fma_f64 v[215:216], v[215:216], v[217:218], v[215:216]
	v_div_scale_f64 v[217:218], vcc_lo, 1.0, v[196:197], 1.0
	v_mul_f64 v[219:220], v[217:218], v[215:216]
	s_delay_alu instid0(VALU_DEP_1) | instskip(NEXT) | instid1(VALU_DEP_1)
	v_fma_f64 v[198:199], -v[198:199], v[219:220], v[217:218]
	v_div_fmas_f64 v[198:199], v[198:199], v[215:216], v[219:220]
	s_delay_alu instid0(VALU_DEP_1) | instskip(NEXT) | instid1(VALU_DEP_1)
	v_div_fixup_f64 v[196:197], v[198:199], v[196:197], 1.0
	v_mul_f64 v[198:199], v[213:214], -v[196:197]
.LBB96_828:
	s_or_b32 exec_lo, exec_lo, s2
.LBB96_829:
	s_delay_alu instid0(SALU_CYCLE_1) | instskip(NEXT) | instid1(SALU_CYCLE_1)
	s_or_b32 exec_lo, exec_lo, s3
	s_mov_b32 s2, exec_lo
	v_cmpx_ne_u32_e64 v212, v204
	s_xor_b32 s2, exec_lo, s2
	s_cbranch_execz .LBB96_835
; %bb.830:
	s_mov_b32 s3, exec_lo
	v_cmpx_eq_u32_e32 39, v212
	s_cbranch_execz .LBB96_834
; %bb.831:
	v_cmp_ne_u32_e32 vcc_lo, 39, v204
	s_xor_b32 s6, s4, -1
	s_delay_alu instid0(SALU_CYCLE_1) | instskip(NEXT) | instid1(SALU_CYCLE_1)
	s_and_b32 s7, s6, vcc_lo
	s_and_saveexec_b32 s6, s7
	s_cbranch_execz .LBB96_833
; %bb.832:
	v_ashrrev_i32_e32 v205, 31, v204
	s_delay_alu instid0(VALU_DEP_1) | instskip(NEXT) | instid1(VALU_DEP_1)
	v_lshlrev_b64 v[212:213], 2, v[204:205]
	v_add_co_u32 v212, vcc_lo, v202, v212
	s_delay_alu instid0(VALU_DEP_2)
	v_add_co_ci_u32_e32 v213, vcc_lo, v203, v213, vcc_lo
	s_clause 0x1
	flat_load_b32 v205, v[212:213]
	flat_load_b32 v210, v[202:203] offset:156
	s_waitcnt vmcnt(1) lgkmcnt(1)
	flat_store_b32 v[202:203], v205 offset:156
	s_waitcnt vmcnt(0) lgkmcnt(1)
	flat_store_b32 v[212:213], v210
.LBB96_833:
	s_or_b32 exec_lo, exec_lo, s6
	v_mov_b32_e32 v212, v204
	v_mov_b32_e32 v210, v204
.LBB96_834:
	s_or_b32 exec_lo, exec_lo, s3
.LBB96_835:
	s_and_not1_saveexec_b32 s2, s2
	s_cbranch_execz .LBB96_837
; %bb.836:
	v_mov_b32_e32 v212, 39
	ds_store_2addr_b64 v206, v[32:33], v[34:35] offset0:80 offset1:81
	ds_store_2addr_b64 v206, v[28:29], v[30:31] offset0:82 offset1:83
	ds_store_2addr_b64 v206, v[24:25], v[26:27] offset0:84 offset1:85
	ds_store_2addr_b64 v206, v[20:21], v[22:23] offset0:86 offset1:87
	ds_store_2addr_b64 v206, v[16:17], v[18:19] offset0:88 offset1:89
	ds_store_2addr_b64 v206, v[12:13], v[14:15] offset0:90 offset1:91
	ds_store_2addr_b64 v206, v[8:9], v[10:11] offset0:92 offset1:93
	ds_store_2addr_b64 v206, v[4:5], v[6:7] offset0:94 offset1:95
	ds_store_2addr_b64 v206, v[0:1], v[2:3] offset0:96 offset1:97
.LBB96_837:
	s_or_b32 exec_lo, exec_lo, s2
	s_delay_alu instid0(SALU_CYCLE_1)
	s_mov_b32 s2, exec_lo
	s_waitcnt lgkmcnt(0)
	s_waitcnt_vscnt null, 0x0
	s_barrier
	buffer_gl0_inv
	v_cmpx_lt_i32_e32 39, v212
	s_cbranch_execz .LBB96_839
; %bb.838:
	v_mul_f64 v[204:205], v[196:197], v[38:39]
	v_mul_f64 v[38:39], v[198:199], v[38:39]
	s_delay_alu instid0(VALU_DEP_2) | instskip(NEXT) | instid1(VALU_DEP_2)
	v_fma_f64 v[204:205], v[198:199], v[36:37], v[204:205]
	v_fma_f64 v[36:37], v[196:197], v[36:37], -v[38:39]
	ds_load_2addr_b64 v[196:199], v206 offset0:80 offset1:81
	s_waitcnt lgkmcnt(0)
	v_mul_f64 v[38:39], v[198:199], v[204:205]
	s_delay_alu instid0(VALU_DEP_1) | instskip(SKIP_1) | instid1(VALU_DEP_2)
	v_fma_f64 v[38:39], v[196:197], v[36:37], -v[38:39]
	v_mul_f64 v[196:197], v[196:197], v[204:205]
	v_add_f64 v[32:33], v[32:33], -v[38:39]
	s_delay_alu instid0(VALU_DEP_2) | instskip(NEXT) | instid1(VALU_DEP_1)
	v_fma_f64 v[196:197], v[198:199], v[36:37], v[196:197]
	v_add_f64 v[34:35], v[34:35], -v[196:197]
	ds_load_2addr_b64 v[196:199], v206 offset0:82 offset1:83
	s_waitcnt lgkmcnt(0)
	v_mul_f64 v[38:39], v[198:199], v[204:205]
	s_delay_alu instid0(VALU_DEP_1) | instskip(SKIP_1) | instid1(VALU_DEP_2)
	v_fma_f64 v[38:39], v[196:197], v[36:37], -v[38:39]
	v_mul_f64 v[196:197], v[196:197], v[204:205]
	v_add_f64 v[28:29], v[28:29], -v[38:39]
	s_delay_alu instid0(VALU_DEP_2) | instskip(NEXT) | instid1(VALU_DEP_1)
	v_fma_f64 v[196:197], v[198:199], v[36:37], v[196:197]
	v_add_f64 v[30:31], v[30:31], -v[196:197]
	;; [unrolled: 10-line block ×8, first 2 shown]
	ds_load_2addr_b64 v[196:199], v206 offset0:96 offset1:97
	s_waitcnt lgkmcnt(0)
	v_mul_f64 v[38:39], v[198:199], v[204:205]
	s_delay_alu instid0(VALU_DEP_1) | instskip(SKIP_1) | instid1(VALU_DEP_2)
	v_fma_f64 v[38:39], v[196:197], v[36:37], -v[38:39]
	v_mul_f64 v[196:197], v[196:197], v[204:205]
	v_add_f64 v[0:1], v[0:1], -v[38:39]
	s_delay_alu instid0(VALU_DEP_2) | instskip(SKIP_1) | instid1(VALU_DEP_2)
	v_fma_f64 v[196:197], v[198:199], v[36:37], v[196:197]
	v_dual_mov_b32 v38, v204 :: v_dual_mov_b32 v39, v205
	v_add_f64 v[2:3], v[2:3], -v[196:197]
.LBB96_839:
	s_or_b32 exec_lo, exec_lo, s2
	v_lshl_add_u32 v196, v212, 4, v206
	s_barrier
	buffer_gl0_inv
	v_mov_b32_e32 v204, 40
	ds_store_2addr_b64 v196, v[32:33], v[34:35] offset1:1
	s_waitcnt lgkmcnt(0)
	s_barrier
	buffer_gl0_inv
	ds_load_2addr_b64 v[196:199], v206 offset0:80 offset1:81
	s_cmp_lt_i32 s5, 42
	s_cbranch_scc1 .LBB96_842
; %bb.840:
	v_add3_u32 v205, v211, 0, 0x290
	v_mov_b32_e32 v204, 40
	s_mov_b32 s6, 41
	s_set_inst_prefetch_distance 0x1
	.p2align	6
.LBB96_841:                             ; =>This Inner Loop Header: Depth=1
	ds_load_2addr_b64 v[213:216], v205 offset1:1
	s_waitcnt lgkmcnt(1)
	v_cmp_gt_f64_e32 vcc_lo, 0, v[196:197]
	v_xor_b32_e32 v217, 0x80000000, v197
	v_cmp_gt_f64_e64 s2, 0, v[198:199]
	v_xor_b32_e32 v219, 0x80000000, v199
	v_add_nc_u32_e32 v205, 16, v205
	s_waitcnt lgkmcnt(0)
	v_cmp_gt_f64_e64 s3, 0, v[213:214]
	v_mov_b32_e32 v221, v213
	v_dual_mov_b32 v223, v215 :: v_dual_cndmask_b32 v218, v197, v217
	v_xor_b32_e32 v217, 0x80000000, v214
	v_cndmask_b32_e64 v220, v199, v219, s2
	v_xor_b32_e32 v219, 0x80000000, v216
	s_delay_alu instid0(VALU_DEP_3) | instskip(SKIP_2) | instid1(VALU_DEP_2)
	v_cndmask_b32_e64 v222, v214, v217, s3
	v_cmp_gt_f64_e64 s3, 0, v[215:216]
	v_cndmask_b32_e32 v217, v196, v196, vcc_lo
	v_cndmask_b32_e64 v224, v216, v219, s3
	v_cndmask_b32_e64 v219, v198, v198, s2
	s_delay_alu instid0(VALU_DEP_2) | instskip(NEXT) | instid1(VALU_DEP_2)
	v_add_f64 v[221:222], v[221:222], v[223:224]
	v_add_f64 v[217:218], v[217:218], v[219:220]
	s_delay_alu instid0(VALU_DEP_1) | instskip(SKIP_4) | instid1(SALU_CYCLE_1)
	v_cmp_lt_f64_e32 vcc_lo, v[217:218], v[221:222]
	v_dual_cndmask_b32 v198, v198, v215 :: v_dual_cndmask_b32 v197, v197, v214
	v_dual_cndmask_b32 v196, v196, v213 :: v_dual_cndmask_b32 v199, v199, v216
	v_cndmask_b32_e64 v204, v204, s6, vcc_lo
	s_add_i32 s6, s6, 1
	s_cmp_lg_u32 s5, s6
	s_cbranch_scc1 .LBB96_841
.LBB96_842:
	s_set_inst_prefetch_distance 0x2
	s_waitcnt lgkmcnt(0)
	v_cmp_eq_f64_e32 vcc_lo, 0, v[196:197]
	v_cmp_eq_f64_e64 s2, 0, v[198:199]
	s_delay_alu instid0(VALU_DEP_1) | instskip(NEXT) | instid1(SALU_CYCLE_1)
	s_and_b32 s2, vcc_lo, s2
	s_and_saveexec_b32 s3, s2
	s_delay_alu instid0(SALU_CYCLE_1)
	s_xor_b32 s2, exec_lo, s3
; %bb.843:
	v_cmp_ne_u32_e32 vcc_lo, 0, v209
	v_cndmask_b32_e32 v209, 41, v209, vcc_lo
; %bb.844:
	s_and_not1_saveexec_b32 s3, s2
	s_cbranch_execz .LBB96_850
; %bb.845:
	v_cmp_gt_f64_e32 vcc_lo, 0, v[196:197]
	v_cmp_gt_f64_e64 s2, 0, v[198:199]
	v_xor_b32_e32 v205, 0x80000000, v197
	v_xor_b32_e32 v213, 0x80000000, v199
	s_delay_alu instid0(VALU_DEP_2) | instskip(NEXT) | instid1(VALU_DEP_2)
	v_cndmask_b32_e32 v214, v197, v205, vcc_lo
	v_cndmask_b32_e64 v216, v199, v213, s2
	v_cndmask_b32_e32 v213, v196, v196, vcc_lo
	v_cndmask_b32_e64 v215, v198, v198, s2
	s_mov_b32 s2, exec_lo
	s_delay_alu instid0(VALU_DEP_1)
	v_cmpx_ngt_f64_e32 v[213:214], v[215:216]
	s_xor_b32 s2, exec_lo, s2
	s_cbranch_execz .LBB96_847
; %bb.846:
	v_div_scale_f64 v[213:214], null, v[198:199], v[198:199], v[196:197]
	v_div_scale_f64 v[219:220], vcc_lo, v[196:197], v[198:199], v[196:197]
	s_delay_alu instid0(VALU_DEP_2) | instskip(SKIP_2) | instid1(VALU_DEP_1)
	v_rcp_f64_e32 v[215:216], v[213:214]
	s_waitcnt_depctr 0xfff
	v_fma_f64 v[217:218], -v[213:214], v[215:216], 1.0
	v_fma_f64 v[215:216], v[215:216], v[217:218], v[215:216]
	s_delay_alu instid0(VALU_DEP_1) | instskip(NEXT) | instid1(VALU_DEP_1)
	v_fma_f64 v[217:218], -v[213:214], v[215:216], 1.0
	v_fma_f64 v[215:216], v[215:216], v[217:218], v[215:216]
	s_delay_alu instid0(VALU_DEP_1) | instskip(NEXT) | instid1(VALU_DEP_1)
	v_mul_f64 v[217:218], v[219:220], v[215:216]
	v_fma_f64 v[213:214], -v[213:214], v[217:218], v[219:220]
	s_delay_alu instid0(VALU_DEP_1) | instskip(NEXT) | instid1(VALU_DEP_1)
	v_div_fmas_f64 v[213:214], v[213:214], v[215:216], v[217:218]
	v_div_fixup_f64 v[213:214], v[213:214], v[198:199], v[196:197]
	s_delay_alu instid0(VALU_DEP_1) | instskip(NEXT) | instid1(VALU_DEP_1)
	v_fma_f64 v[196:197], v[196:197], v[213:214], v[198:199]
	v_div_scale_f64 v[198:199], null, v[196:197], v[196:197], 1.0
	s_delay_alu instid0(VALU_DEP_1) | instskip(SKIP_2) | instid1(VALU_DEP_1)
	v_rcp_f64_e32 v[215:216], v[198:199]
	s_waitcnt_depctr 0xfff
	v_fma_f64 v[217:218], -v[198:199], v[215:216], 1.0
	v_fma_f64 v[215:216], v[215:216], v[217:218], v[215:216]
	s_delay_alu instid0(VALU_DEP_1) | instskip(NEXT) | instid1(VALU_DEP_1)
	v_fma_f64 v[217:218], -v[198:199], v[215:216], 1.0
	v_fma_f64 v[215:216], v[215:216], v[217:218], v[215:216]
	v_div_scale_f64 v[217:218], vcc_lo, 1.0, v[196:197], 1.0
	s_delay_alu instid0(VALU_DEP_1) | instskip(NEXT) | instid1(VALU_DEP_1)
	v_mul_f64 v[219:220], v[217:218], v[215:216]
	v_fma_f64 v[198:199], -v[198:199], v[219:220], v[217:218]
	s_delay_alu instid0(VALU_DEP_1) | instskip(NEXT) | instid1(VALU_DEP_1)
	v_div_fmas_f64 v[198:199], v[198:199], v[215:216], v[219:220]
	v_div_fixup_f64 v[198:199], v[198:199], v[196:197], 1.0
	s_delay_alu instid0(VALU_DEP_1)
	v_mul_f64 v[196:197], v[213:214], v[198:199]
	v_xor_b32_e32 v199, 0x80000000, v199
.LBB96_847:
	s_and_not1_saveexec_b32 s2, s2
	s_cbranch_execz .LBB96_849
; %bb.848:
	s_delay_alu instid0(VALU_DEP_1) | instskip(SKIP_1) | instid1(VALU_DEP_2)
	v_div_scale_f64 v[213:214], null, v[196:197], v[196:197], v[198:199]
	v_div_scale_f64 v[219:220], vcc_lo, v[198:199], v[196:197], v[198:199]
	v_rcp_f64_e32 v[215:216], v[213:214]
	s_waitcnt_depctr 0xfff
	v_fma_f64 v[217:218], -v[213:214], v[215:216], 1.0
	s_delay_alu instid0(VALU_DEP_1) | instskip(NEXT) | instid1(VALU_DEP_1)
	v_fma_f64 v[215:216], v[215:216], v[217:218], v[215:216]
	v_fma_f64 v[217:218], -v[213:214], v[215:216], 1.0
	s_delay_alu instid0(VALU_DEP_1) | instskip(NEXT) | instid1(VALU_DEP_1)
	v_fma_f64 v[215:216], v[215:216], v[217:218], v[215:216]
	v_mul_f64 v[217:218], v[219:220], v[215:216]
	s_delay_alu instid0(VALU_DEP_1) | instskip(NEXT) | instid1(VALU_DEP_1)
	v_fma_f64 v[213:214], -v[213:214], v[217:218], v[219:220]
	v_div_fmas_f64 v[213:214], v[213:214], v[215:216], v[217:218]
	s_delay_alu instid0(VALU_DEP_1) | instskip(NEXT) | instid1(VALU_DEP_1)
	v_div_fixup_f64 v[213:214], v[213:214], v[196:197], v[198:199]
	v_fma_f64 v[196:197], v[198:199], v[213:214], v[196:197]
	s_delay_alu instid0(VALU_DEP_1) | instskip(NEXT) | instid1(VALU_DEP_1)
	v_div_scale_f64 v[198:199], null, v[196:197], v[196:197], 1.0
	v_rcp_f64_e32 v[215:216], v[198:199]
	s_waitcnt_depctr 0xfff
	v_fma_f64 v[217:218], -v[198:199], v[215:216], 1.0
	s_delay_alu instid0(VALU_DEP_1) | instskip(NEXT) | instid1(VALU_DEP_1)
	v_fma_f64 v[215:216], v[215:216], v[217:218], v[215:216]
	v_fma_f64 v[217:218], -v[198:199], v[215:216], 1.0
	s_delay_alu instid0(VALU_DEP_1) | instskip(SKIP_1) | instid1(VALU_DEP_1)
	v_fma_f64 v[215:216], v[215:216], v[217:218], v[215:216]
	v_div_scale_f64 v[217:218], vcc_lo, 1.0, v[196:197], 1.0
	v_mul_f64 v[219:220], v[217:218], v[215:216]
	s_delay_alu instid0(VALU_DEP_1) | instskip(NEXT) | instid1(VALU_DEP_1)
	v_fma_f64 v[198:199], -v[198:199], v[219:220], v[217:218]
	v_div_fmas_f64 v[198:199], v[198:199], v[215:216], v[219:220]
	s_delay_alu instid0(VALU_DEP_1) | instskip(NEXT) | instid1(VALU_DEP_1)
	v_div_fixup_f64 v[196:197], v[198:199], v[196:197], 1.0
	v_mul_f64 v[198:199], v[213:214], -v[196:197]
.LBB96_849:
	s_or_b32 exec_lo, exec_lo, s2
.LBB96_850:
	s_delay_alu instid0(SALU_CYCLE_1) | instskip(NEXT) | instid1(SALU_CYCLE_1)
	s_or_b32 exec_lo, exec_lo, s3
	s_mov_b32 s2, exec_lo
	v_cmpx_ne_u32_e64 v212, v204
	s_xor_b32 s2, exec_lo, s2
	s_cbranch_execz .LBB96_856
; %bb.851:
	s_mov_b32 s3, exec_lo
	v_cmpx_eq_u32_e32 40, v212
	s_cbranch_execz .LBB96_855
; %bb.852:
	v_cmp_ne_u32_e32 vcc_lo, 40, v204
	s_xor_b32 s6, s4, -1
	s_delay_alu instid0(SALU_CYCLE_1) | instskip(NEXT) | instid1(SALU_CYCLE_1)
	s_and_b32 s7, s6, vcc_lo
	s_and_saveexec_b32 s6, s7
	s_cbranch_execz .LBB96_854
; %bb.853:
	v_ashrrev_i32_e32 v205, 31, v204
	s_delay_alu instid0(VALU_DEP_1) | instskip(NEXT) | instid1(VALU_DEP_1)
	v_lshlrev_b64 v[212:213], 2, v[204:205]
	v_add_co_u32 v212, vcc_lo, v202, v212
	s_delay_alu instid0(VALU_DEP_2)
	v_add_co_ci_u32_e32 v213, vcc_lo, v203, v213, vcc_lo
	s_clause 0x1
	flat_load_b32 v205, v[212:213]
	flat_load_b32 v210, v[202:203] offset:160
	s_waitcnt vmcnt(1) lgkmcnt(1)
	flat_store_b32 v[202:203], v205 offset:160
	s_waitcnt vmcnt(0) lgkmcnt(1)
	flat_store_b32 v[212:213], v210
.LBB96_854:
	s_or_b32 exec_lo, exec_lo, s6
	v_mov_b32_e32 v212, v204
	v_mov_b32_e32 v210, v204
.LBB96_855:
	s_or_b32 exec_lo, exec_lo, s3
.LBB96_856:
	s_and_not1_saveexec_b32 s2, s2
	s_cbranch_execz .LBB96_858
; %bb.857:
	v_mov_b32_e32 v212, 40
	ds_store_2addr_b64 v206, v[28:29], v[30:31] offset0:82 offset1:83
	ds_store_2addr_b64 v206, v[24:25], v[26:27] offset0:84 offset1:85
	;; [unrolled: 1-line block ×8, first 2 shown]
.LBB96_858:
	s_or_b32 exec_lo, exec_lo, s2
	s_delay_alu instid0(SALU_CYCLE_1)
	s_mov_b32 s2, exec_lo
	s_waitcnt lgkmcnt(0)
	s_waitcnt_vscnt null, 0x0
	s_barrier
	buffer_gl0_inv
	v_cmpx_lt_i32_e32 40, v212
	s_cbranch_execz .LBB96_860
; %bb.859:
	v_mul_f64 v[204:205], v[196:197], v[34:35]
	v_mul_f64 v[34:35], v[198:199], v[34:35]
	s_delay_alu instid0(VALU_DEP_2) | instskip(NEXT) | instid1(VALU_DEP_2)
	v_fma_f64 v[204:205], v[198:199], v[32:33], v[204:205]
	v_fma_f64 v[32:33], v[196:197], v[32:33], -v[34:35]
	ds_load_2addr_b64 v[196:199], v206 offset0:82 offset1:83
	s_waitcnt lgkmcnt(0)
	v_mul_f64 v[34:35], v[198:199], v[204:205]
	s_delay_alu instid0(VALU_DEP_1) | instskip(SKIP_1) | instid1(VALU_DEP_2)
	v_fma_f64 v[34:35], v[196:197], v[32:33], -v[34:35]
	v_mul_f64 v[196:197], v[196:197], v[204:205]
	v_add_f64 v[28:29], v[28:29], -v[34:35]
	s_delay_alu instid0(VALU_DEP_2) | instskip(NEXT) | instid1(VALU_DEP_1)
	v_fma_f64 v[196:197], v[198:199], v[32:33], v[196:197]
	v_add_f64 v[30:31], v[30:31], -v[196:197]
	ds_load_2addr_b64 v[196:199], v206 offset0:84 offset1:85
	s_waitcnt lgkmcnt(0)
	v_mul_f64 v[34:35], v[198:199], v[204:205]
	s_delay_alu instid0(VALU_DEP_1) | instskip(SKIP_1) | instid1(VALU_DEP_2)
	v_fma_f64 v[34:35], v[196:197], v[32:33], -v[34:35]
	v_mul_f64 v[196:197], v[196:197], v[204:205]
	v_add_f64 v[24:25], v[24:25], -v[34:35]
	s_delay_alu instid0(VALU_DEP_2) | instskip(NEXT) | instid1(VALU_DEP_1)
	v_fma_f64 v[196:197], v[198:199], v[32:33], v[196:197]
	v_add_f64 v[26:27], v[26:27], -v[196:197]
	;; [unrolled: 10-line block ×7, first 2 shown]
	ds_load_2addr_b64 v[196:199], v206 offset0:96 offset1:97
	s_waitcnt lgkmcnt(0)
	v_mul_f64 v[34:35], v[198:199], v[204:205]
	s_delay_alu instid0(VALU_DEP_1) | instskip(SKIP_1) | instid1(VALU_DEP_2)
	v_fma_f64 v[34:35], v[196:197], v[32:33], -v[34:35]
	v_mul_f64 v[196:197], v[196:197], v[204:205]
	v_add_f64 v[0:1], v[0:1], -v[34:35]
	s_delay_alu instid0(VALU_DEP_2) | instskip(SKIP_1) | instid1(VALU_DEP_2)
	v_fma_f64 v[196:197], v[198:199], v[32:33], v[196:197]
	v_dual_mov_b32 v34, v204 :: v_dual_mov_b32 v35, v205
	v_add_f64 v[2:3], v[2:3], -v[196:197]
.LBB96_860:
	s_or_b32 exec_lo, exec_lo, s2
	v_lshl_add_u32 v196, v212, 4, v206
	s_barrier
	buffer_gl0_inv
	v_mov_b32_e32 v204, 41
	ds_store_2addr_b64 v196, v[28:29], v[30:31] offset1:1
	s_waitcnt lgkmcnt(0)
	s_barrier
	buffer_gl0_inv
	ds_load_2addr_b64 v[196:199], v206 offset0:82 offset1:83
	s_cmp_lt_i32 s5, 43
	s_cbranch_scc1 .LBB96_863
; %bb.861:
	v_add3_u32 v205, v211, 0, 0x2a0
	v_mov_b32_e32 v204, 41
	s_mov_b32 s6, 42
	s_set_inst_prefetch_distance 0x1
	.p2align	6
.LBB96_862:                             ; =>This Inner Loop Header: Depth=1
	ds_load_2addr_b64 v[213:216], v205 offset1:1
	s_waitcnt lgkmcnt(1)
	v_cmp_gt_f64_e32 vcc_lo, 0, v[196:197]
	v_xor_b32_e32 v217, 0x80000000, v197
	v_cmp_gt_f64_e64 s2, 0, v[198:199]
	v_xor_b32_e32 v219, 0x80000000, v199
	v_add_nc_u32_e32 v205, 16, v205
	s_waitcnt lgkmcnt(0)
	v_cmp_gt_f64_e64 s3, 0, v[213:214]
	v_mov_b32_e32 v221, v213
	v_dual_mov_b32 v223, v215 :: v_dual_cndmask_b32 v218, v197, v217
	v_xor_b32_e32 v217, 0x80000000, v214
	v_cndmask_b32_e64 v220, v199, v219, s2
	v_xor_b32_e32 v219, 0x80000000, v216
	s_delay_alu instid0(VALU_DEP_3) | instskip(SKIP_2) | instid1(VALU_DEP_2)
	v_cndmask_b32_e64 v222, v214, v217, s3
	v_cmp_gt_f64_e64 s3, 0, v[215:216]
	v_cndmask_b32_e32 v217, v196, v196, vcc_lo
	v_cndmask_b32_e64 v224, v216, v219, s3
	v_cndmask_b32_e64 v219, v198, v198, s2
	s_delay_alu instid0(VALU_DEP_2) | instskip(NEXT) | instid1(VALU_DEP_2)
	v_add_f64 v[221:222], v[221:222], v[223:224]
	v_add_f64 v[217:218], v[217:218], v[219:220]
	s_delay_alu instid0(VALU_DEP_1) | instskip(SKIP_4) | instid1(SALU_CYCLE_1)
	v_cmp_lt_f64_e32 vcc_lo, v[217:218], v[221:222]
	v_dual_cndmask_b32 v198, v198, v215 :: v_dual_cndmask_b32 v197, v197, v214
	v_dual_cndmask_b32 v196, v196, v213 :: v_dual_cndmask_b32 v199, v199, v216
	v_cndmask_b32_e64 v204, v204, s6, vcc_lo
	s_add_i32 s6, s6, 1
	s_cmp_lg_u32 s5, s6
	s_cbranch_scc1 .LBB96_862
.LBB96_863:
	s_set_inst_prefetch_distance 0x2
	s_waitcnt lgkmcnt(0)
	v_cmp_eq_f64_e32 vcc_lo, 0, v[196:197]
	v_cmp_eq_f64_e64 s2, 0, v[198:199]
	s_delay_alu instid0(VALU_DEP_1) | instskip(NEXT) | instid1(SALU_CYCLE_1)
	s_and_b32 s2, vcc_lo, s2
	s_and_saveexec_b32 s3, s2
	s_delay_alu instid0(SALU_CYCLE_1)
	s_xor_b32 s2, exec_lo, s3
; %bb.864:
	v_cmp_ne_u32_e32 vcc_lo, 0, v209
	v_cndmask_b32_e32 v209, 42, v209, vcc_lo
; %bb.865:
	s_and_not1_saveexec_b32 s3, s2
	s_cbranch_execz .LBB96_871
; %bb.866:
	v_cmp_gt_f64_e32 vcc_lo, 0, v[196:197]
	v_cmp_gt_f64_e64 s2, 0, v[198:199]
	v_xor_b32_e32 v205, 0x80000000, v197
	v_xor_b32_e32 v213, 0x80000000, v199
	s_delay_alu instid0(VALU_DEP_2) | instskip(NEXT) | instid1(VALU_DEP_2)
	v_cndmask_b32_e32 v214, v197, v205, vcc_lo
	v_cndmask_b32_e64 v216, v199, v213, s2
	v_cndmask_b32_e32 v213, v196, v196, vcc_lo
	v_cndmask_b32_e64 v215, v198, v198, s2
	s_mov_b32 s2, exec_lo
	s_delay_alu instid0(VALU_DEP_1)
	v_cmpx_ngt_f64_e32 v[213:214], v[215:216]
	s_xor_b32 s2, exec_lo, s2
	s_cbranch_execz .LBB96_868
; %bb.867:
	v_div_scale_f64 v[213:214], null, v[198:199], v[198:199], v[196:197]
	v_div_scale_f64 v[219:220], vcc_lo, v[196:197], v[198:199], v[196:197]
	s_delay_alu instid0(VALU_DEP_2) | instskip(SKIP_2) | instid1(VALU_DEP_1)
	v_rcp_f64_e32 v[215:216], v[213:214]
	s_waitcnt_depctr 0xfff
	v_fma_f64 v[217:218], -v[213:214], v[215:216], 1.0
	v_fma_f64 v[215:216], v[215:216], v[217:218], v[215:216]
	s_delay_alu instid0(VALU_DEP_1) | instskip(NEXT) | instid1(VALU_DEP_1)
	v_fma_f64 v[217:218], -v[213:214], v[215:216], 1.0
	v_fma_f64 v[215:216], v[215:216], v[217:218], v[215:216]
	s_delay_alu instid0(VALU_DEP_1) | instskip(NEXT) | instid1(VALU_DEP_1)
	v_mul_f64 v[217:218], v[219:220], v[215:216]
	v_fma_f64 v[213:214], -v[213:214], v[217:218], v[219:220]
	s_delay_alu instid0(VALU_DEP_1) | instskip(NEXT) | instid1(VALU_DEP_1)
	v_div_fmas_f64 v[213:214], v[213:214], v[215:216], v[217:218]
	v_div_fixup_f64 v[213:214], v[213:214], v[198:199], v[196:197]
	s_delay_alu instid0(VALU_DEP_1) | instskip(NEXT) | instid1(VALU_DEP_1)
	v_fma_f64 v[196:197], v[196:197], v[213:214], v[198:199]
	v_div_scale_f64 v[198:199], null, v[196:197], v[196:197], 1.0
	s_delay_alu instid0(VALU_DEP_1) | instskip(SKIP_2) | instid1(VALU_DEP_1)
	v_rcp_f64_e32 v[215:216], v[198:199]
	s_waitcnt_depctr 0xfff
	v_fma_f64 v[217:218], -v[198:199], v[215:216], 1.0
	v_fma_f64 v[215:216], v[215:216], v[217:218], v[215:216]
	s_delay_alu instid0(VALU_DEP_1) | instskip(NEXT) | instid1(VALU_DEP_1)
	v_fma_f64 v[217:218], -v[198:199], v[215:216], 1.0
	v_fma_f64 v[215:216], v[215:216], v[217:218], v[215:216]
	v_div_scale_f64 v[217:218], vcc_lo, 1.0, v[196:197], 1.0
	s_delay_alu instid0(VALU_DEP_1) | instskip(NEXT) | instid1(VALU_DEP_1)
	v_mul_f64 v[219:220], v[217:218], v[215:216]
	v_fma_f64 v[198:199], -v[198:199], v[219:220], v[217:218]
	s_delay_alu instid0(VALU_DEP_1) | instskip(NEXT) | instid1(VALU_DEP_1)
	v_div_fmas_f64 v[198:199], v[198:199], v[215:216], v[219:220]
	v_div_fixup_f64 v[198:199], v[198:199], v[196:197], 1.0
	s_delay_alu instid0(VALU_DEP_1)
	v_mul_f64 v[196:197], v[213:214], v[198:199]
	v_xor_b32_e32 v199, 0x80000000, v199
.LBB96_868:
	s_and_not1_saveexec_b32 s2, s2
	s_cbranch_execz .LBB96_870
; %bb.869:
	s_delay_alu instid0(VALU_DEP_1) | instskip(SKIP_1) | instid1(VALU_DEP_2)
	v_div_scale_f64 v[213:214], null, v[196:197], v[196:197], v[198:199]
	v_div_scale_f64 v[219:220], vcc_lo, v[198:199], v[196:197], v[198:199]
	v_rcp_f64_e32 v[215:216], v[213:214]
	s_waitcnt_depctr 0xfff
	v_fma_f64 v[217:218], -v[213:214], v[215:216], 1.0
	s_delay_alu instid0(VALU_DEP_1) | instskip(NEXT) | instid1(VALU_DEP_1)
	v_fma_f64 v[215:216], v[215:216], v[217:218], v[215:216]
	v_fma_f64 v[217:218], -v[213:214], v[215:216], 1.0
	s_delay_alu instid0(VALU_DEP_1) | instskip(NEXT) | instid1(VALU_DEP_1)
	v_fma_f64 v[215:216], v[215:216], v[217:218], v[215:216]
	v_mul_f64 v[217:218], v[219:220], v[215:216]
	s_delay_alu instid0(VALU_DEP_1) | instskip(NEXT) | instid1(VALU_DEP_1)
	v_fma_f64 v[213:214], -v[213:214], v[217:218], v[219:220]
	v_div_fmas_f64 v[213:214], v[213:214], v[215:216], v[217:218]
	s_delay_alu instid0(VALU_DEP_1) | instskip(NEXT) | instid1(VALU_DEP_1)
	v_div_fixup_f64 v[213:214], v[213:214], v[196:197], v[198:199]
	v_fma_f64 v[196:197], v[198:199], v[213:214], v[196:197]
	s_delay_alu instid0(VALU_DEP_1) | instskip(NEXT) | instid1(VALU_DEP_1)
	v_div_scale_f64 v[198:199], null, v[196:197], v[196:197], 1.0
	v_rcp_f64_e32 v[215:216], v[198:199]
	s_waitcnt_depctr 0xfff
	v_fma_f64 v[217:218], -v[198:199], v[215:216], 1.0
	s_delay_alu instid0(VALU_DEP_1) | instskip(NEXT) | instid1(VALU_DEP_1)
	v_fma_f64 v[215:216], v[215:216], v[217:218], v[215:216]
	v_fma_f64 v[217:218], -v[198:199], v[215:216], 1.0
	s_delay_alu instid0(VALU_DEP_1) | instskip(SKIP_1) | instid1(VALU_DEP_1)
	v_fma_f64 v[215:216], v[215:216], v[217:218], v[215:216]
	v_div_scale_f64 v[217:218], vcc_lo, 1.0, v[196:197], 1.0
	v_mul_f64 v[219:220], v[217:218], v[215:216]
	s_delay_alu instid0(VALU_DEP_1) | instskip(NEXT) | instid1(VALU_DEP_1)
	v_fma_f64 v[198:199], -v[198:199], v[219:220], v[217:218]
	v_div_fmas_f64 v[198:199], v[198:199], v[215:216], v[219:220]
	s_delay_alu instid0(VALU_DEP_1) | instskip(NEXT) | instid1(VALU_DEP_1)
	v_div_fixup_f64 v[196:197], v[198:199], v[196:197], 1.0
	v_mul_f64 v[198:199], v[213:214], -v[196:197]
.LBB96_870:
	s_or_b32 exec_lo, exec_lo, s2
.LBB96_871:
	s_delay_alu instid0(SALU_CYCLE_1) | instskip(NEXT) | instid1(SALU_CYCLE_1)
	s_or_b32 exec_lo, exec_lo, s3
	s_mov_b32 s2, exec_lo
	v_cmpx_ne_u32_e64 v212, v204
	s_xor_b32 s2, exec_lo, s2
	s_cbranch_execz .LBB96_877
; %bb.872:
	s_mov_b32 s3, exec_lo
	v_cmpx_eq_u32_e32 41, v212
	s_cbranch_execz .LBB96_876
; %bb.873:
	v_cmp_ne_u32_e32 vcc_lo, 41, v204
	s_xor_b32 s6, s4, -1
	s_delay_alu instid0(SALU_CYCLE_1) | instskip(NEXT) | instid1(SALU_CYCLE_1)
	s_and_b32 s7, s6, vcc_lo
	s_and_saveexec_b32 s6, s7
	s_cbranch_execz .LBB96_875
; %bb.874:
	v_ashrrev_i32_e32 v205, 31, v204
	s_delay_alu instid0(VALU_DEP_1) | instskip(NEXT) | instid1(VALU_DEP_1)
	v_lshlrev_b64 v[212:213], 2, v[204:205]
	v_add_co_u32 v212, vcc_lo, v202, v212
	s_delay_alu instid0(VALU_DEP_2)
	v_add_co_ci_u32_e32 v213, vcc_lo, v203, v213, vcc_lo
	s_clause 0x1
	flat_load_b32 v205, v[212:213]
	flat_load_b32 v210, v[202:203] offset:164
	s_waitcnt vmcnt(1) lgkmcnt(1)
	flat_store_b32 v[202:203], v205 offset:164
	s_waitcnt vmcnt(0) lgkmcnt(1)
	flat_store_b32 v[212:213], v210
.LBB96_875:
	s_or_b32 exec_lo, exec_lo, s6
	v_mov_b32_e32 v212, v204
	v_mov_b32_e32 v210, v204
.LBB96_876:
	s_or_b32 exec_lo, exec_lo, s3
.LBB96_877:
	s_and_not1_saveexec_b32 s2, s2
	s_cbranch_execz .LBB96_879
; %bb.878:
	v_mov_b32_e32 v212, 41
	ds_store_2addr_b64 v206, v[24:25], v[26:27] offset0:84 offset1:85
	ds_store_2addr_b64 v206, v[20:21], v[22:23] offset0:86 offset1:87
	;; [unrolled: 1-line block ×7, first 2 shown]
.LBB96_879:
	s_or_b32 exec_lo, exec_lo, s2
	s_delay_alu instid0(SALU_CYCLE_1)
	s_mov_b32 s2, exec_lo
	s_waitcnt lgkmcnt(0)
	s_waitcnt_vscnt null, 0x0
	s_barrier
	buffer_gl0_inv
	v_cmpx_lt_i32_e32 41, v212
	s_cbranch_execz .LBB96_881
; %bb.880:
	v_mul_f64 v[204:205], v[196:197], v[30:31]
	v_mul_f64 v[30:31], v[198:199], v[30:31]
	s_delay_alu instid0(VALU_DEP_2) | instskip(NEXT) | instid1(VALU_DEP_2)
	v_fma_f64 v[204:205], v[198:199], v[28:29], v[204:205]
	v_fma_f64 v[28:29], v[196:197], v[28:29], -v[30:31]
	ds_load_2addr_b64 v[196:199], v206 offset0:84 offset1:85
	s_waitcnt lgkmcnt(0)
	v_mul_f64 v[30:31], v[198:199], v[204:205]
	s_delay_alu instid0(VALU_DEP_1) | instskip(SKIP_1) | instid1(VALU_DEP_2)
	v_fma_f64 v[30:31], v[196:197], v[28:29], -v[30:31]
	v_mul_f64 v[196:197], v[196:197], v[204:205]
	v_add_f64 v[24:25], v[24:25], -v[30:31]
	s_delay_alu instid0(VALU_DEP_2) | instskip(NEXT) | instid1(VALU_DEP_1)
	v_fma_f64 v[196:197], v[198:199], v[28:29], v[196:197]
	v_add_f64 v[26:27], v[26:27], -v[196:197]
	ds_load_2addr_b64 v[196:199], v206 offset0:86 offset1:87
	s_waitcnt lgkmcnt(0)
	v_mul_f64 v[30:31], v[198:199], v[204:205]
	s_delay_alu instid0(VALU_DEP_1) | instskip(SKIP_1) | instid1(VALU_DEP_2)
	v_fma_f64 v[30:31], v[196:197], v[28:29], -v[30:31]
	v_mul_f64 v[196:197], v[196:197], v[204:205]
	v_add_f64 v[20:21], v[20:21], -v[30:31]
	s_delay_alu instid0(VALU_DEP_2) | instskip(NEXT) | instid1(VALU_DEP_1)
	v_fma_f64 v[196:197], v[198:199], v[28:29], v[196:197]
	v_add_f64 v[22:23], v[22:23], -v[196:197]
	;; [unrolled: 10-line block ×6, first 2 shown]
	ds_load_2addr_b64 v[196:199], v206 offset0:96 offset1:97
	s_waitcnt lgkmcnt(0)
	v_mul_f64 v[30:31], v[198:199], v[204:205]
	s_delay_alu instid0(VALU_DEP_1) | instskip(SKIP_1) | instid1(VALU_DEP_2)
	v_fma_f64 v[30:31], v[196:197], v[28:29], -v[30:31]
	v_mul_f64 v[196:197], v[196:197], v[204:205]
	v_add_f64 v[0:1], v[0:1], -v[30:31]
	s_delay_alu instid0(VALU_DEP_2) | instskip(SKIP_1) | instid1(VALU_DEP_2)
	v_fma_f64 v[196:197], v[198:199], v[28:29], v[196:197]
	v_dual_mov_b32 v30, v204 :: v_dual_mov_b32 v31, v205
	v_add_f64 v[2:3], v[2:3], -v[196:197]
.LBB96_881:
	s_or_b32 exec_lo, exec_lo, s2
	v_lshl_add_u32 v196, v212, 4, v206
	s_barrier
	buffer_gl0_inv
	v_mov_b32_e32 v204, 42
	ds_store_2addr_b64 v196, v[24:25], v[26:27] offset1:1
	s_waitcnt lgkmcnt(0)
	s_barrier
	buffer_gl0_inv
	ds_load_2addr_b64 v[196:199], v206 offset0:84 offset1:85
	s_cmp_lt_i32 s5, 44
	s_cbranch_scc1 .LBB96_884
; %bb.882:
	v_add3_u32 v205, v211, 0, 0x2b0
	v_mov_b32_e32 v204, 42
	s_mov_b32 s6, 43
	s_set_inst_prefetch_distance 0x1
	.p2align	6
.LBB96_883:                             ; =>This Inner Loop Header: Depth=1
	ds_load_2addr_b64 v[213:216], v205 offset1:1
	s_waitcnt lgkmcnt(1)
	v_cmp_gt_f64_e32 vcc_lo, 0, v[196:197]
	v_xor_b32_e32 v217, 0x80000000, v197
	v_cmp_gt_f64_e64 s2, 0, v[198:199]
	v_xor_b32_e32 v219, 0x80000000, v199
	v_add_nc_u32_e32 v205, 16, v205
	s_waitcnt lgkmcnt(0)
	v_cmp_gt_f64_e64 s3, 0, v[213:214]
	v_mov_b32_e32 v221, v213
	v_dual_mov_b32 v223, v215 :: v_dual_cndmask_b32 v218, v197, v217
	v_xor_b32_e32 v217, 0x80000000, v214
	v_cndmask_b32_e64 v220, v199, v219, s2
	v_xor_b32_e32 v219, 0x80000000, v216
	s_delay_alu instid0(VALU_DEP_3) | instskip(SKIP_2) | instid1(VALU_DEP_2)
	v_cndmask_b32_e64 v222, v214, v217, s3
	v_cmp_gt_f64_e64 s3, 0, v[215:216]
	v_cndmask_b32_e32 v217, v196, v196, vcc_lo
	v_cndmask_b32_e64 v224, v216, v219, s3
	v_cndmask_b32_e64 v219, v198, v198, s2
	s_delay_alu instid0(VALU_DEP_2) | instskip(NEXT) | instid1(VALU_DEP_2)
	v_add_f64 v[221:222], v[221:222], v[223:224]
	v_add_f64 v[217:218], v[217:218], v[219:220]
	s_delay_alu instid0(VALU_DEP_1) | instskip(SKIP_4) | instid1(SALU_CYCLE_1)
	v_cmp_lt_f64_e32 vcc_lo, v[217:218], v[221:222]
	v_dual_cndmask_b32 v198, v198, v215 :: v_dual_cndmask_b32 v197, v197, v214
	v_dual_cndmask_b32 v196, v196, v213 :: v_dual_cndmask_b32 v199, v199, v216
	v_cndmask_b32_e64 v204, v204, s6, vcc_lo
	s_add_i32 s6, s6, 1
	s_cmp_lg_u32 s5, s6
	s_cbranch_scc1 .LBB96_883
.LBB96_884:
	s_set_inst_prefetch_distance 0x2
	s_waitcnt lgkmcnt(0)
	v_cmp_eq_f64_e32 vcc_lo, 0, v[196:197]
	v_cmp_eq_f64_e64 s2, 0, v[198:199]
	s_delay_alu instid0(VALU_DEP_1) | instskip(NEXT) | instid1(SALU_CYCLE_1)
	s_and_b32 s2, vcc_lo, s2
	s_and_saveexec_b32 s3, s2
	s_delay_alu instid0(SALU_CYCLE_1)
	s_xor_b32 s2, exec_lo, s3
; %bb.885:
	v_cmp_ne_u32_e32 vcc_lo, 0, v209
	v_cndmask_b32_e32 v209, 43, v209, vcc_lo
; %bb.886:
	s_and_not1_saveexec_b32 s3, s2
	s_cbranch_execz .LBB96_892
; %bb.887:
	v_cmp_gt_f64_e32 vcc_lo, 0, v[196:197]
	v_cmp_gt_f64_e64 s2, 0, v[198:199]
	v_xor_b32_e32 v205, 0x80000000, v197
	v_xor_b32_e32 v213, 0x80000000, v199
	s_delay_alu instid0(VALU_DEP_2) | instskip(NEXT) | instid1(VALU_DEP_2)
	v_cndmask_b32_e32 v214, v197, v205, vcc_lo
	v_cndmask_b32_e64 v216, v199, v213, s2
	v_cndmask_b32_e32 v213, v196, v196, vcc_lo
	v_cndmask_b32_e64 v215, v198, v198, s2
	s_mov_b32 s2, exec_lo
	s_delay_alu instid0(VALU_DEP_1)
	v_cmpx_ngt_f64_e32 v[213:214], v[215:216]
	s_xor_b32 s2, exec_lo, s2
	s_cbranch_execz .LBB96_889
; %bb.888:
	v_div_scale_f64 v[213:214], null, v[198:199], v[198:199], v[196:197]
	v_div_scale_f64 v[219:220], vcc_lo, v[196:197], v[198:199], v[196:197]
	s_delay_alu instid0(VALU_DEP_2) | instskip(SKIP_2) | instid1(VALU_DEP_1)
	v_rcp_f64_e32 v[215:216], v[213:214]
	s_waitcnt_depctr 0xfff
	v_fma_f64 v[217:218], -v[213:214], v[215:216], 1.0
	v_fma_f64 v[215:216], v[215:216], v[217:218], v[215:216]
	s_delay_alu instid0(VALU_DEP_1) | instskip(NEXT) | instid1(VALU_DEP_1)
	v_fma_f64 v[217:218], -v[213:214], v[215:216], 1.0
	v_fma_f64 v[215:216], v[215:216], v[217:218], v[215:216]
	s_delay_alu instid0(VALU_DEP_1) | instskip(NEXT) | instid1(VALU_DEP_1)
	v_mul_f64 v[217:218], v[219:220], v[215:216]
	v_fma_f64 v[213:214], -v[213:214], v[217:218], v[219:220]
	s_delay_alu instid0(VALU_DEP_1) | instskip(NEXT) | instid1(VALU_DEP_1)
	v_div_fmas_f64 v[213:214], v[213:214], v[215:216], v[217:218]
	v_div_fixup_f64 v[213:214], v[213:214], v[198:199], v[196:197]
	s_delay_alu instid0(VALU_DEP_1) | instskip(NEXT) | instid1(VALU_DEP_1)
	v_fma_f64 v[196:197], v[196:197], v[213:214], v[198:199]
	v_div_scale_f64 v[198:199], null, v[196:197], v[196:197], 1.0
	s_delay_alu instid0(VALU_DEP_1) | instskip(SKIP_2) | instid1(VALU_DEP_1)
	v_rcp_f64_e32 v[215:216], v[198:199]
	s_waitcnt_depctr 0xfff
	v_fma_f64 v[217:218], -v[198:199], v[215:216], 1.0
	v_fma_f64 v[215:216], v[215:216], v[217:218], v[215:216]
	s_delay_alu instid0(VALU_DEP_1) | instskip(NEXT) | instid1(VALU_DEP_1)
	v_fma_f64 v[217:218], -v[198:199], v[215:216], 1.0
	v_fma_f64 v[215:216], v[215:216], v[217:218], v[215:216]
	v_div_scale_f64 v[217:218], vcc_lo, 1.0, v[196:197], 1.0
	s_delay_alu instid0(VALU_DEP_1) | instskip(NEXT) | instid1(VALU_DEP_1)
	v_mul_f64 v[219:220], v[217:218], v[215:216]
	v_fma_f64 v[198:199], -v[198:199], v[219:220], v[217:218]
	s_delay_alu instid0(VALU_DEP_1) | instskip(NEXT) | instid1(VALU_DEP_1)
	v_div_fmas_f64 v[198:199], v[198:199], v[215:216], v[219:220]
	v_div_fixup_f64 v[198:199], v[198:199], v[196:197], 1.0
	s_delay_alu instid0(VALU_DEP_1)
	v_mul_f64 v[196:197], v[213:214], v[198:199]
	v_xor_b32_e32 v199, 0x80000000, v199
.LBB96_889:
	s_and_not1_saveexec_b32 s2, s2
	s_cbranch_execz .LBB96_891
; %bb.890:
	s_delay_alu instid0(VALU_DEP_1) | instskip(SKIP_1) | instid1(VALU_DEP_2)
	v_div_scale_f64 v[213:214], null, v[196:197], v[196:197], v[198:199]
	v_div_scale_f64 v[219:220], vcc_lo, v[198:199], v[196:197], v[198:199]
	v_rcp_f64_e32 v[215:216], v[213:214]
	s_waitcnt_depctr 0xfff
	v_fma_f64 v[217:218], -v[213:214], v[215:216], 1.0
	s_delay_alu instid0(VALU_DEP_1) | instskip(NEXT) | instid1(VALU_DEP_1)
	v_fma_f64 v[215:216], v[215:216], v[217:218], v[215:216]
	v_fma_f64 v[217:218], -v[213:214], v[215:216], 1.0
	s_delay_alu instid0(VALU_DEP_1) | instskip(NEXT) | instid1(VALU_DEP_1)
	v_fma_f64 v[215:216], v[215:216], v[217:218], v[215:216]
	v_mul_f64 v[217:218], v[219:220], v[215:216]
	s_delay_alu instid0(VALU_DEP_1) | instskip(NEXT) | instid1(VALU_DEP_1)
	v_fma_f64 v[213:214], -v[213:214], v[217:218], v[219:220]
	v_div_fmas_f64 v[213:214], v[213:214], v[215:216], v[217:218]
	s_delay_alu instid0(VALU_DEP_1) | instskip(NEXT) | instid1(VALU_DEP_1)
	v_div_fixup_f64 v[213:214], v[213:214], v[196:197], v[198:199]
	v_fma_f64 v[196:197], v[198:199], v[213:214], v[196:197]
	s_delay_alu instid0(VALU_DEP_1) | instskip(NEXT) | instid1(VALU_DEP_1)
	v_div_scale_f64 v[198:199], null, v[196:197], v[196:197], 1.0
	v_rcp_f64_e32 v[215:216], v[198:199]
	s_waitcnt_depctr 0xfff
	v_fma_f64 v[217:218], -v[198:199], v[215:216], 1.0
	s_delay_alu instid0(VALU_DEP_1) | instskip(NEXT) | instid1(VALU_DEP_1)
	v_fma_f64 v[215:216], v[215:216], v[217:218], v[215:216]
	v_fma_f64 v[217:218], -v[198:199], v[215:216], 1.0
	s_delay_alu instid0(VALU_DEP_1) | instskip(SKIP_1) | instid1(VALU_DEP_1)
	v_fma_f64 v[215:216], v[215:216], v[217:218], v[215:216]
	v_div_scale_f64 v[217:218], vcc_lo, 1.0, v[196:197], 1.0
	v_mul_f64 v[219:220], v[217:218], v[215:216]
	s_delay_alu instid0(VALU_DEP_1) | instskip(NEXT) | instid1(VALU_DEP_1)
	v_fma_f64 v[198:199], -v[198:199], v[219:220], v[217:218]
	v_div_fmas_f64 v[198:199], v[198:199], v[215:216], v[219:220]
	s_delay_alu instid0(VALU_DEP_1) | instskip(NEXT) | instid1(VALU_DEP_1)
	v_div_fixup_f64 v[196:197], v[198:199], v[196:197], 1.0
	v_mul_f64 v[198:199], v[213:214], -v[196:197]
.LBB96_891:
	s_or_b32 exec_lo, exec_lo, s2
.LBB96_892:
	s_delay_alu instid0(SALU_CYCLE_1) | instskip(NEXT) | instid1(SALU_CYCLE_1)
	s_or_b32 exec_lo, exec_lo, s3
	s_mov_b32 s2, exec_lo
	v_cmpx_ne_u32_e64 v212, v204
	s_xor_b32 s2, exec_lo, s2
	s_cbranch_execz .LBB96_898
; %bb.893:
	s_mov_b32 s3, exec_lo
	v_cmpx_eq_u32_e32 42, v212
	s_cbranch_execz .LBB96_897
; %bb.894:
	v_cmp_ne_u32_e32 vcc_lo, 42, v204
	s_xor_b32 s6, s4, -1
	s_delay_alu instid0(SALU_CYCLE_1) | instskip(NEXT) | instid1(SALU_CYCLE_1)
	s_and_b32 s7, s6, vcc_lo
	s_and_saveexec_b32 s6, s7
	s_cbranch_execz .LBB96_896
; %bb.895:
	v_ashrrev_i32_e32 v205, 31, v204
	s_delay_alu instid0(VALU_DEP_1) | instskip(NEXT) | instid1(VALU_DEP_1)
	v_lshlrev_b64 v[212:213], 2, v[204:205]
	v_add_co_u32 v212, vcc_lo, v202, v212
	s_delay_alu instid0(VALU_DEP_2)
	v_add_co_ci_u32_e32 v213, vcc_lo, v203, v213, vcc_lo
	s_clause 0x1
	flat_load_b32 v205, v[212:213]
	flat_load_b32 v210, v[202:203] offset:168
	s_waitcnt vmcnt(1) lgkmcnt(1)
	flat_store_b32 v[202:203], v205 offset:168
	s_waitcnt vmcnt(0) lgkmcnt(1)
	flat_store_b32 v[212:213], v210
.LBB96_896:
	s_or_b32 exec_lo, exec_lo, s6
	v_mov_b32_e32 v212, v204
	v_mov_b32_e32 v210, v204
.LBB96_897:
	s_or_b32 exec_lo, exec_lo, s3
.LBB96_898:
	s_and_not1_saveexec_b32 s2, s2
	s_cbranch_execz .LBB96_900
; %bb.899:
	v_mov_b32_e32 v212, 42
	ds_store_2addr_b64 v206, v[20:21], v[22:23] offset0:86 offset1:87
	ds_store_2addr_b64 v206, v[16:17], v[18:19] offset0:88 offset1:89
	;; [unrolled: 1-line block ×6, first 2 shown]
.LBB96_900:
	s_or_b32 exec_lo, exec_lo, s2
	s_delay_alu instid0(SALU_CYCLE_1)
	s_mov_b32 s2, exec_lo
	s_waitcnt lgkmcnt(0)
	s_waitcnt_vscnt null, 0x0
	s_barrier
	buffer_gl0_inv
	v_cmpx_lt_i32_e32 42, v212
	s_cbranch_execz .LBB96_902
; %bb.901:
	v_mul_f64 v[204:205], v[196:197], v[26:27]
	v_mul_f64 v[26:27], v[198:199], v[26:27]
	s_delay_alu instid0(VALU_DEP_2) | instskip(NEXT) | instid1(VALU_DEP_2)
	v_fma_f64 v[204:205], v[198:199], v[24:25], v[204:205]
	v_fma_f64 v[24:25], v[196:197], v[24:25], -v[26:27]
	ds_load_2addr_b64 v[196:199], v206 offset0:86 offset1:87
	s_waitcnt lgkmcnt(0)
	v_mul_f64 v[26:27], v[198:199], v[204:205]
	s_delay_alu instid0(VALU_DEP_1) | instskip(SKIP_1) | instid1(VALU_DEP_2)
	v_fma_f64 v[26:27], v[196:197], v[24:25], -v[26:27]
	v_mul_f64 v[196:197], v[196:197], v[204:205]
	v_add_f64 v[20:21], v[20:21], -v[26:27]
	s_delay_alu instid0(VALU_DEP_2) | instskip(NEXT) | instid1(VALU_DEP_1)
	v_fma_f64 v[196:197], v[198:199], v[24:25], v[196:197]
	v_add_f64 v[22:23], v[22:23], -v[196:197]
	ds_load_2addr_b64 v[196:199], v206 offset0:88 offset1:89
	s_waitcnt lgkmcnt(0)
	v_mul_f64 v[26:27], v[198:199], v[204:205]
	s_delay_alu instid0(VALU_DEP_1) | instskip(SKIP_1) | instid1(VALU_DEP_2)
	v_fma_f64 v[26:27], v[196:197], v[24:25], -v[26:27]
	v_mul_f64 v[196:197], v[196:197], v[204:205]
	v_add_f64 v[16:17], v[16:17], -v[26:27]
	s_delay_alu instid0(VALU_DEP_2) | instskip(NEXT) | instid1(VALU_DEP_1)
	v_fma_f64 v[196:197], v[198:199], v[24:25], v[196:197]
	v_add_f64 v[18:19], v[18:19], -v[196:197]
	;; [unrolled: 10-line block ×5, first 2 shown]
	ds_load_2addr_b64 v[196:199], v206 offset0:96 offset1:97
	s_waitcnt lgkmcnt(0)
	v_mul_f64 v[26:27], v[198:199], v[204:205]
	s_delay_alu instid0(VALU_DEP_1) | instskip(SKIP_1) | instid1(VALU_DEP_2)
	v_fma_f64 v[26:27], v[196:197], v[24:25], -v[26:27]
	v_mul_f64 v[196:197], v[196:197], v[204:205]
	v_add_f64 v[0:1], v[0:1], -v[26:27]
	s_delay_alu instid0(VALU_DEP_2) | instskip(SKIP_1) | instid1(VALU_DEP_2)
	v_fma_f64 v[196:197], v[198:199], v[24:25], v[196:197]
	v_dual_mov_b32 v26, v204 :: v_dual_mov_b32 v27, v205
	v_add_f64 v[2:3], v[2:3], -v[196:197]
.LBB96_902:
	s_or_b32 exec_lo, exec_lo, s2
	v_lshl_add_u32 v196, v212, 4, v206
	s_barrier
	buffer_gl0_inv
	v_mov_b32_e32 v204, 43
	ds_store_2addr_b64 v196, v[20:21], v[22:23] offset1:1
	s_waitcnt lgkmcnt(0)
	s_barrier
	buffer_gl0_inv
	ds_load_2addr_b64 v[196:199], v206 offset0:86 offset1:87
	s_cmp_lt_i32 s5, 45
	s_cbranch_scc1 .LBB96_905
; %bb.903:
	v_add3_u32 v205, v211, 0, 0x2c0
	v_mov_b32_e32 v204, 43
	s_mov_b32 s6, 44
	s_set_inst_prefetch_distance 0x1
	.p2align	6
.LBB96_904:                             ; =>This Inner Loop Header: Depth=1
	ds_load_2addr_b64 v[213:216], v205 offset1:1
	s_waitcnt lgkmcnt(1)
	v_cmp_gt_f64_e32 vcc_lo, 0, v[196:197]
	v_xor_b32_e32 v217, 0x80000000, v197
	v_cmp_gt_f64_e64 s2, 0, v[198:199]
	v_xor_b32_e32 v219, 0x80000000, v199
	v_add_nc_u32_e32 v205, 16, v205
	s_waitcnt lgkmcnt(0)
	v_cmp_gt_f64_e64 s3, 0, v[213:214]
	v_mov_b32_e32 v221, v213
	v_dual_mov_b32 v223, v215 :: v_dual_cndmask_b32 v218, v197, v217
	v_xor_b32_e32 v217, 0x80000000, v214
	v_cndmask_b32_e64 v220, v199, v219, s2
	v_xor_b32_e32 v219, 0x80000000, v216
	s_delay_alu instid0(VALU_DEP_3) | instskip(SKIP_2) | instid1(VALU_DEP_2)
	v_cndmask_b32_e64 v222, v214, v217, s3
	v_cmp_gt_f64_e64 s3, 0, v[215:216]
	v_cndmask_b32_e32 v217, v196, v196, vcc_lo
	v_cndmask_b32_e64 v224, v216, v219, s3
	v_cndmask_b32_e64 v219, v198, v198, s2
	s_delay_alu instid0(VALU_DEP_2) | instskip(NEXT) | instid1(VALU_DEP_2)
	v_add_f64 v[221:222], v[221:222], v[223:224]
	v_add_f64 v[217:218], v[217:218], v[219:220]
	s_delay_alu instid0(VALU_DEP_1) | instskip(SKIP_4) | instid1(SALU_CYCLE_1)
	v_cmp_lt_f64_e32 vcc_lo, v[217:218], v[221:222]
	v_dual_cndmask_b32 v198, v198, v215 :: v_dual_cndmask_b32 v197, v197, v214
	v_dual_cndmask_b32 v196, v196, v213 :: v_dual_cndmask_b32 v199, v199, v216
	v_cndmask_b32_e64 v204, v204, s6, vcc_lo
	s_add_i32 s6, s6, 1
	s_cmp_lg_u32 s5, s6
	s_cbranch_scc1 .LBB96_904
.LBB96_905:
	s_set_inst_prefetch_distance 0x2
	s_waitcnt lgkmcnt(0)
	v_cmp_eq_f64_e32 vcc_lo, 0, v[196:197]
	v_cmp_eq_f64_e64 s2, 0, v[198:199]
	s_delay_alu instid0(VALU_DEP_1) | instskip(NEXT) | instid1(SALU_CYCLE_1)
	s_and_b32 s2, vcc_lo, s2
	s_and_saveexec_b32 s3, s2
	s_delay_alu instid0(SALU_CYCLE_1)
	s_xor_b32 s2, exec_lo, s3
; %bb.906:
	v_cmp_ne_u32_e32 vcc_lo, 0, v209
	v_cndmask_b32_e32 v209, 44, v209, vcc_lo
; %bb.907:
	s_and_not1_saveexec_b32 s3, s2
	s_cbranch_execz .LBB96_913
; %bb.908:
	v_cmp_gt_f64_e32 vcc_lo, 0, v[196:197]
	v_cmp_gt_f64_e64 s2, 0, v[198:199]
	v_xor_b32_e32 v205, 0x80000000, v197
	v_xor_b32_e32 v213, 0x80000000, v199
	s_delay_alu instid0(VALU_DEP_2) | instskip(NEXT) | instid1(VALU_DEP_2)
	v_cndmask_b32_e32 v214, v197, v205, vcc_lo
	v_cndmask_b32_e64 v216, v199, v213, s2
	v_cndmask_b32_e32 v213, v196, v196, vcc_lo
	v_cndmask_b32_e64 v215, v198, v198, s2
	s_mov_b32 s2, exec_lo
	s_delay_alu instid0(VALU_DEP_1)
	v_cmpx_ngt_f64_e32 v[213:214], v[215:216]
	s_xor_b32 s2, exec_lo, s2
	s_cbranch_execz .LBB96_910
; %bb.909:
	v_div_scale_f64 v[213:214], null, v[198:199], v[198:199], v[196:197]
	v_div_scale_f64 v[219:220], vcc_lo, v[196:197], v[198:199], v[196:197]
	s_delay_alu instid0(VALU_DEP_2) | instskip(SKIP_2) | instid1(VALU_DEP_1)
	v_rcp_f64_e32 v[215:216], v[213:214]
	s_waitcnt_depctr 0xfff
	v_fma_f64 v[217:218], -v[213:214], v[215:216], 1.0
	v_fma_f64 v[215:216], v[215:216], v[217:218], v[215:216]
	s_delay_alu instid0(VALU_DEP_1) | instskip(NEXT) | instid1(VALU_DEP_1)
	v_fma_f64 v[217:218], -v[213:214], v[215:216], 1.0
	v_fma_f64 v[215:216], v[215:216], v[217:218], v[215:216]
	s_delay_alu instid0(VALU_DEP_1) | instskip(NEXT) | instid1(VALU_DEP_1)
	v_mul_f64 v[217:218], v[219:220], v[215:216]
	v_fma_f64 v[213:214], -v[213:214], v[217:218], v[219:220]
	s_delay_alu instid0(VALU_DEP_1) | instskip(NEXT) | instid1(VALU_DEP_1)
	v_div_fmas_f64 v[213:214], v[213:214], v[215:216], v[217:218]
	v_div_fixup_f64 v[213:214], v[213:214], v[198:199], v[196:197]
	s_delay_alu instid0(VALU_DEP_1) | instskip(NEXT) | instid1(VALU_DEP_1)
	v_fma_f64 v[196:197], v[196:197], v[213:214], v[198:199]
	v_div_scale_f64 v[198:199], null, v[196:197], v[196:197], 1.0
	s_delay_alu instid0(VALU_DEP_1) | instskip(SKIP_2) | instid1(VALU_DEP_1)
	v_rcp_f64_e32 v[215:216], v[198:199]
	s_waitcnt_depctr 0xfff
	v_fma_f64 v[217:218], -v[198:199], v[215:216], 1.0
	v_fma_f64 v[215:216], v[215:216], v[217:218], v[215:216]
	s_delay_alu instid0(VALU_DEP_1) | instskip(NEXT) | instid1(VALU_DEP_1)
	v_fma_f64 v[217:218], -v[198:199], v[215:216], 1.0
	v_fma_f64 v[215:216], v[215:216], v[217:218], v[215:216]
	v_div_scale_f64 v[217:218], vcc_lo, 1.0, v[196:197], 1.0
	s_delay_alu instid0(VALU_DEP_1) | instskip(NEXT) | instid1(VALU_DEP_1)
	v_mul_f64 v[219:220], v[217:218], v[215:216]
	v_fma_f64 v[198:199], -v[198:199], v[219:220], v[217:218]
	s_delay_alu instid0(VALU_DEP_1) | instskip(NEXT) | instid1(VALU_DEP_1)
	v_div_fmas_f64 v[198:199], v[198:199], v[215:216], v[219:220]
	v_div_fixup_f64 v[198:199], v[198:199], v[196:197], 1.0
	s_delay_alu instid0(VALU_DEP_1)
	v_mul_f64 v[196:197], v[213:214], v[198:199]
	v_xor_b32_e32 v199, 0x80000000, v199
.LBB96_910:
	s_and_not1_saveexec_b32 s2, s2
	s_cbranch_execz .LBB96_912
; %bb.911:
	s_delay_alu instid0(VALU_DEP_1) | instskip(SKIP_1) | instid1(VALU_DEP_2)
	v_div_scale_f64 v[213:214], null, v[196:197], v[196:197], v[198:199]
	v_div_scale_f64 v[219:220], vcc_lo, v[198:199], v[196:197], v[198:199]
	v_rcp_f64_e32 v[215:216], v[213:214]
	s_waitcnt_depctr 0xfff
	v_fma_f64 v[217:218], -v[213:214], v[215:216], 1.0
	s_delay_alu instid0(VALU_DEP_1) | instskip(NEXT) | instid1(VALU_DEP_1)
	v_fma_f64 v[215:216], v[215:216], v[217:218], v[215:216]
	v_fma_f64 v[217:218], -v[213:214], v[215:216], 1.0
	s_delay_alu instid0(VALU_DEP_1) | instskip(NEXT) | instid1(VALU_DEP_1)
	v_fma_f64 v[215:216], v[215:216], v[217:218], v[215:216]
	v_mul_f64 v[217:218], v[219:220], v[215:216]
	s_delay_alu instid0(VALU_DEP_1) | instskip(NEXT) | instid1(VALU_DEP_1)
	v_fma_f64 v[213:214], -v[213:214], v[217:218], v[219:220]
	v_div_fmas_f64 v[213:214], v[213:214], v[215:216], v[217:218]
	s_delay_alu instid0(VALU_DEP_1) | instskip(NEXT) | instid1(VALU_DEP_1)
	v_div_fixup_f64 v[213:214], v[213:214], v[196:197], v[198:199]
	v_fma_f64 v[196:197], v[198:199], v[213:214], v[196:197]
	s_delay_alu instid0(VALU_DEP_1) | instskip(NEXT) | instid1(VALU_DEP_1)
	v_div_scale_f64 v[198:199], null, v[196:197], v[196:197], 1.0
	v_rcp_f64_e32 v[215:216], v[198:199]
	s_waitcnt_depctr 0xfff
	v_fma_f64 v[217:218], -v[198:199], v[215:216], 1.0
	s_delay_alu instid0(VALU_DEP_1) | instskip(NEXT) | instid1(VALU_DEP_1)
	v_fma_f64 v[215:216], v[215:216], v[217:218], v[215:216]
	v_fma_f64 v[217:218], -v[198:199], v[215:216], 1.0
	s_delay_alu instid0(VALU_DEP_1) | instskip(SKIP_1) | instid1(VALU_DEP_1)
	v_fma_f64 v[215:216], v[215:216], v[217:218], v[215:216]
	v_div_scale_f64 v[217:218], vcc_lo, 1.0, v[196:197], 1.0
	v_mul_f64 v[219:220], v[217:218], v[215:216]
	s_delay_alu instid0(VALU_DEP_1) | instskip(NEXT) | instid1(VALU_DEP_1)
	v_fma_f64 v[198:199], -v[198:199], v[219:220], v[217:218]
	v_div_fmas_f64 v[198:199], v[198:199], v[215:216], v[219:220]
	s_delay_alu instid0(VALU_DEP_1) | instskip(NEXT) | instid1(VALU_DEP_1)
	v_div_fixup_f64 v[196:197], v[198:199], v[196:197], 1.0
	v_mul_f64 v[198:199], v[213:214], -v[196:197]
.LBB96_912:
	s_or_b32 exec_lo, exec_lo, s2
.LBB96_913:
	s_delay_alu instid0(SALU_CYCLE_1) | instskip(NEXT) | instid1(SALU_CYCLE_1)
	s_or_b32 exec_lo, exec_lo, s3
	s_mov_b32 s2, exec_lo
	v_cmpx_ne_u32_e64 v212, v204
	s_xor_b32 s2, exec_lo, s2
	s_cbranch_execz .LBB96_919
; %bb.914:
	s_mov_b32 s3, exec_lo
	v_cmpx_eq_u32_e32 43, v212
	s_cbranch_execz .LBB96_918
; %bb.915:
	v_cmp_ne_u32_e32 vcc_lo, 43, v204
	s_xor_b32 s6, s4, -1
	s_delay_alu instid0(SALU_CYCLE_1) | instskip(NEXT) | instid1(SALU_CYCLE_1)
	s_and_b32 s7, s6, vcc_lo
	s_and_saveexec_b32 s6, s7
	s_cbranch_execz .LBB96_917
; %bb.916:
	v_ashrrev_i32_e32 v205, 31, v204
	s_delay_alu instid0(VALU_DEP_1) | instskip(NEXT) | instid1(VALU_DEP_1)
	v_lshlrev_b64 v[212:213], 2, v[204:205]
	v_add_co_u32 v212, vcc_lo, v202, v212
	s_delay_alu instid0(VALU_DEP_2)
	v_add_co_ci_u32_e32 v213, vcc_lo, v203, v213, vcc_lo
	s_clause 0x1
	flat_load_b32 v205, v[212:213]
	flat_load_b32 v210, v[202:203] offset:172
	s_waitcnt vmcnt(1) lgkmcnt(1)
	flat_store_b32 v[202:203], v205 offset:172
	s_waitcnt vmcnt(0) lgkmcnt(1)
	flat_store_b32 v[212:213], v210
.LBB96_917:
	s_or_b32 exec_lo, exec_lo, s6
	v_mov_b32_e32 v212, v204
	v_mov_b32_e32 v210, v204
.LBB96_918:
	s_or_b32 exec_lo, exec_lo, s3
.LBB96_919:
	s_and_not1_saveexec_b32 s2, s2
	s_cbranch_execz .LBB96_921
; %bb.920:
	v_mov_b32_e32 v212, 43
	ds_store_2addr_b64 v206, v[16:17], v[18:19] offset0:88 offset1:89
	ds_store_2addr_b64 v206, v[12:13], v[14:15] offset0:90 offset1:91
	;; [unrolled: 1-line block ×5, first 2 shown]
.LBB96_921:
	s_or_b32 exec_lo, exec_lo, s2
	s_delay_alu instid0(SALU_CYCLE_1)
	s_mov_b32 s2, exec_lo
	s_waitcnt lgkmcnt(0)
	s_waitcnt_vscnt null, 0x0
	s_barrier
	buffer_gl0_inv
	v_cmpx_lt_i32_e32 43, v212
	s_cbranch_execz .LBB96_923
; %bb.922:
	v_mul_f64 v[204:205], v[196:197], v[22:23]
	v_mul_f64 v[22:23], v[198:199], v[22:23]
	ds_load_2addr_b64 v[213:216], v206 offset0:88 offset1:89
	ds_load_2addr_b64 v[217:220], v206 offset0:90 offset1:91
	;; [unrolled: 1-line block ×5, first 2 shown]
	v_fma_f64 v[198:199], v[198:199], v[20:21], v[204:205]
	v_fma_f64 v[20:21], v[196:197], v[20:21], -v[22:23]
	s_waitcnt lgkmcnt(4)
	s_delay_alu instid0(VALU_DEP_2)
	v_mul_f64 v[22:23], v[215:216], v[198:199]
	v_mul_f64 v[196:197], v[213:214], v[198:199]
	s_waitcnt lgkmcnt(3)
	v_mul_f64 v[204:205], v[219:220], v[198:199]
	v_mul_f64 v[233:234], v[217:218], v[198:199]
	s_waitcnt lgkmcnt(2)
	;; [unrolled: 3-line block ×4, first 2 shown]
	v_mul_f64 v[243:244], v[231:232], v[198:199]
	v_mul_f64 v[245:246], v[229:230], v[198:199]
	v_fma_f64 v[22:23], v[213:214], v[20:21], -v[22:23]
	v_fma_f64 v[196:197], v[215:216], v[20:21], v[196:197]
	v_fma_f64 v[204:205], v[217:218], v[20:21], -v[204:205]
	v_fma_f64 v[213:214], v[219:220], v[20:21], v[233:234]
	;; [unrolled: 2-line block ×5, first 2 shown]
	v_add_f64 v[16:17], v[16:17], -v[22:23]
	v_add_f64 v[18:19], v[18:19], -v[196:197]
	;; [unrolled: 1-line block ×10, first 2 shown]
	v_dual_mov_b32 v22, v198 :: v_dual_mov_b32 v23, v199
.LBB96_923:
	s_or_b32 exec_lo, exec_lo, s2
	v_lshl_add_u32 v196, v212, 4, v206
	s_barrier
	buffer_gl0_inv
	v_mov_b32_e32 v204, 44
	ds_store_2addr_b64 v196, v[16:17], v[18:19] offset1:1
	s_waitcnt lgkmcnt(0)
	s_barrier
	buffer_gl0_inv
	ds_load_2addr_b64 v[196:199], v206 offset0:88 offset1:89
	s_cmp_lt_i32 s5, 46
	s_cbranch_scc1 .LBB96_926
; %bb.924:
	v_add3_u32 v205, v211, 0, 0x2d0
	v_mov_b32_e32 v204, 44
	s_mov_b32 s6, 45
	s_set_inst_prefetch_distance 0x1
	.p2align	6
.LBB96_925:                             ; =>This Inner Loop Header: Depth=1
	ds_load_2addr_b64 v[213:216], v205 offset1:1
	s_waitcnt lgkmcnt(1)
	v_cmp_gt_f64_e32 vcc_lo, 0, v[196:197]
	v_xor_b32_e32 v217, 0x80000000, v197
	v_cmp_gt_f64_e64 s2, 0, v[198:199]
	v_xor_b32_e32 v219, 0x80000000, v199
	v_add_nc_u32_e32 v205, 16, v205
	s_waitcnt lgkmcnt(0)
	v_cmp_gt_f64_e64 s3, 0, v[213:214]
	v_mov_b32_e32 v221, v213
	v_dual_mov_b32 v223, v215 :: v_dual_cndmask_b32 v218, v197, v217
	v_xor_b32_e32 v217, 0x80000000, v214
	v_cndmask_b32_e64 v220, v199, v219, s2
	v_xor_b32_e32 v219, 0x80000000, v216
	s_delay_alu instid0(VALU_DEP_3) | instskip(SKIP_2) | instid1(VALU_DEP_2)
	v_cndmask_b32_e64 v222, v214, v217, s3
	v_cmp_gt_f64_e64 s3, 0, v[215:216]
	v_cndmask_b32_e32 v217, v196, v196, vcc_lo
	v_cndmask_b32_e64 v224, v216, v219, s3
	v_cndmask_b32_e64 v219, v198, v198, s2
	s_delay_alu instid0(VALU_DEP_2) | instskip(NEXT) | instid1(VALU_DEP_2)
	v_add_f64 v[221:222], v[221:222], v[223:224]
	v_add_f64 v[217:218], v[217:218], v[219:220]
	s_delay_alu instid0(VALU_DEP_1) | instskip(SKIP_4) | instid1(SALU_CYCLE_1)
	v_cmp_lt_f64_e32 vcc_lo, v[217:218], v[221:222]
	v_dual_cndmask_b32 v198, v198, v215 :: v_dual_cndmask_b32 v197, v197, v214
	v_dual_cndmask_b32 v196, v196, v213 :: v_dual_cndmask_b32 v199, v199, v216
	v_cndmask_b32_e64 v204, v204, s6, vcc_lo
	s_add_i32 s6, s6, 1
	s_cmp_lg_u32 s5, s6
	s_cbranch_scc1 .LBB96_925
.LBB96_926:
	s_set_inst_prefetch_distance 0x2
	s_waitcnt lgkmcnt(0)
	v_cmp_eq_f64_e32 vcc_lo, 0, v[196:197]
	v_cmp_eq_f64_e64 s2, 0, v[198:199]
	s_delay_alu instid0(VALU_DEP_1) | instskip(NEXT) | instid1(SALU_CYCLE_1)
	s_and_b32 s2, vcc_lo, s2
	s_and_saveexec_b32 s3, s2
	s_delay_alu instid0(SALU_CYCLE_1)
	s_xor_b32 s2, exec_lo, s3
; %bb.927:
	v_cmp_ne_u32_e32 vcc_lo, 0, v209
	v_cndmask_b32_e32 v209, 45, v209, vcc_lo
; %bb.928:
	s_and_not1_saveexec_b32 s3, s2
	s_cbranch_execz .LBB96_934
; %bb.929:
	v_cmp_gt_f64_e32 vcc_lo, 0, v[196:197]
	v_cmp_gt_f64_e64 s2, 0, v[198:199]
	v_xor_b32_e32 v205, 0x80000000, v197
	v_xor_b32_e32 v213, 0x80000000, v199
	s_delay_alu instid0(VALU_DEP_2) | instskip(NEXT) | instid1(VALU_DEP_2)
	v_cndmask_b32_e32 v214, v197, v205, vcc_lo
	v_cndmask_b32_e64 v216, v199, v213, s2
	v_cndmask_b32_e32 v213, v196, v196, vcc_lo
	v_cndmask_b32_e64 v215, v198, v198, s2
	s_mov_b32 s2, exec_lo
	s_delay_alu instid0(VALU_DEP_1)
	v_cmpx_ngt_f64_e32 v[213:214], v[215:216]
	s_xor_b32 s2, exec_lo, s2
	s_cbranch_execz .LBB96_931
; %bb.930:
	v_div_scale_f64 v[213:214], null, v[198:199], v[198:199], v[196:197]
	v_div_scale_f64 v[219:220], vcc_lo, v[196:197], v[198:199], v[196:197]
	s_delay_alu instid0(VALU_DEP_2) | instskip(SKIP_2) | instid1(VALU_DEP_1)
	v_rcp_f64_e32 v[215:216], v[213:214]
	s_waitcnt_depctr 0xfff
	v_fma_f64 v[217:218], -v[213:214], v[215:216], 1.0
	v_fma_f64 v[215:216], v[215:216], v[217:218], v[215:216]
	s_delay_alu instid0(VALU_DEP_1) | instskip(NEXT) | instid1(VALU_DEP_1)
	v_fma_f64 v[217:218], -v[213:214], v[215:216], 1.0
	v_fma_f64 v[215:216], v[215:216], v[217:218], v[215:216]
	s_delay_alu instid0(VALU_DEP_1) | instskip(NEXT) | instid1(VALU_DEP_1)
	v_mul_f64 v[217:218], v[219:220], v[215:216]
	v_fma_f64 v[213:214], -v[213:214], v[217:218], v[219:220]
	s_delay_alu instid0(VALU_DEP_1) | instskip(NEXT) | instid1(VALU_DEP_1)
	v_div_fmas_f64 v[213:214], v[213:214], v[215:216], v[217:218]
	v_div_fixup_f64 v[213:214], v[213:214], v[198:199], v[196:197]
	s_delay_alu instid0(VALU_DEP_1) | instskip(NEXT) | instid1(VALU_DEP_1)
	v_fma_f64 v[196:197], v[196:197], v[213:214], v[198:199]
	v_div_scale_f64 v[198:199], null, v[196:197], v[196:197], 1.0
	s_delay_alu instid0(VALU_DEP_1) | instskip(SKIP_2) | instid1(VALU_DEP_1)
	v_rcp_f64_e32 v[215:216], v[198:199]
	s_waitcnt_depctr 0xfff
	v_fma_f64 v[217:218], -v[198:199], v[215:216], 1.0
	v_fma_f64 v[215:216], v[215:216], v[217:218], v[215:216]
	s_delay_alu instid0(VALU_DEP_1) | instskip(NEXT) | instid1(VALU_DEP_1)
	v_fma_f64 v[217:218], -v[198:199], v[215:216], 1.0
	v_fma_f64 v[215:216], v[215:216], v[217:218], v[215:216]
	v_div_scale_f64 v[217:218], vcc_lo, 1.0, v[196:197], 1.0
	s_delay_alu instid0(VALU_DEP_1) | instskip(NEXT) | instid1(VALU_DEP_1)
	v_mul_f64 v[219:220], v[217:218], v[215:216]
	v_fma_f64 v[198:199], -v[198:199], v[219:220], v[217:218]
	s_delay_alu instid0(VALU_DEP_1) | instskip(NEXT) | instid1(VALU_DEP_1)
	v_div_fmas_f64 v[198:199], v[198:199], v[215:216], v[219:220]
	v_div_fixup_f64 v[198:199], v[198:199], v[196:197], 1.0
	s_delay_alu instid0(VALU_DEP_1)
	v_mul_f64 v[196:197], v[213:214], v[198:199]
	v_xor_b32_e32 v199, 0x80000000, v199
.LBB96_931:
	s_and_not1_saveexec_b32 s2, s2
	s_cbranch_execz .LBB96_933
; %bb.932:
	s_delay_alu instid0(VALU_DEP_1) | instskip(SKIP_1) | instid1(VALU_DEP_2)
	v_div_scale_f64 v[213:214], null, v[196:197], v[196:197], v[198:199]
	v_div_scale_f64 v[219:220], vcc_lo, v[198:199], v[196:197], v[198:199]
	v_rcp_f64_e32 v[215:216], v[213:214]
	s_waitcnt_depctr 0xfff
	v_fma_f64 v[217:218], -v[213:214], v[215:216], 1.0
	s_delay_alu instid0(VALU_DEP_1) | instskip(NEXT) | instid1(VALU_DEP_1)
	v_fma_f64 v[215:216], v[215:216], v[217:218], v[215:216]
	v_fma_f64 v[217:218], -v[213:214], v[215:216], 1.0
	s_delay_alu instid0(VALU_DEP_1) | instskip(NEXT) | instid1(VALU_DEP_1)
	v_fma_f64 v[215:216], v[215:216], v[217:218], v[215:216]
	v_mul_f64 v[217:218], v[219:220], v[215:216]
	s_delay_alu instid0(VALU_DEP_1) | instskip(NEXT) | instid1(VALU_DEP_1)
	v_fma_f64 v[213:214], -v[213:214], v[217:218], v[219:220]
	v_div_fmas_f64 v[213:214], v[213:214], v[215:216], v[217:218]
	s_delay_alu instid0(VALU_DEP_1) | instskip(NEXT) | instid1(VALU_DEP_1)
	v_div_fixup_f64 v[213:214], v[213:214], v[196:197], v[198:199]
	v_fma_f64 v[196:197], v[198:199], v[213:214], v[196:197]
	s_delay_alu instid0(VALU_DEP_1) | instskip(NEXT) | instid1(VALU_DEP_1)
	v_div_scale_f64 v[198:199], null, v[196:197], v[196:197], 1.0
	v_rcp_f64_e32 v[215:216], v[198:199]
	s_waitcnt_depctr 0xfff
	v_fma_f64 v[217:218], -v[198:199], v[215:216], 1.0
	s_delay_alu instid0(VALU_DEP_1) | instskip(NEXT) | instid1(VALU_DEP_1)
	v_fma_f64 v[215:216], v[215:216], v[217:218], v[215:216]
	v_fma_f64 v[217:218], -v[198:199], v[215:216], 1.0
	s_delay_alu instid0(VALU_DEP_1) | instskip(SKIP_1) | instid1(VALU_DEP_1)
	v_fma_f64 v[215:216], v[215:216], v[217:218], v[215:216]
	v_div_scale_f64 v[217:218], vcc_lo, 1.0, v[196:197], 1.0
	v_mul_f64 v[219:220], v[217:218], v[215:216]
	s_delay_alu instid0(VALU_DEP_1) | instskip(NEXT) | instid1(VALU_DEP_1)
	v_fma_f64 v[198:199], -v[198:199], v[219:220], v[217:218]
	v_div_fmas_f64 v[198:199], v[198:199], v[215:216], v[219:220]
	s_delay_alu instid0(VALU_DEP_1) | instskip(NEXT) | instid1(VALU_DEP_1)
	v_div_fixup_f64 v[196:197], v[198:199], v[196:197], 1.0
	v_mul_f64 v[198:199], v[213:214], -v[196:197]
.LBB96_933:
	s_or_b32 exec_lo, exec_lo, s2
.LBB96_934:
	s_delay_alu instid0(SALU_CYCLE_1) | instskip(NEXT) | instid1(SALU_CYCLE_1)
	s_or_b32 exec_lo, exec_lo, s3
	s_mov_b32 s2, exec_lo
	v_cmpx_ne_u32_e64 v212, v204
	s_xor_b32 s2, exec_lo, s2
	s_cbranch_execz .LBB96_940
; %bb.935:
	s_mov_b32 s3, exec_lo
	v_cmpx_eq_u32_e32 44, v212
	s_cbranch_execz .LBB96_939
; %bb.936:
	v_cmp_ne_u32_e32 vcc_lo, 44, v204
	s_xor_b32 s6, s4, -1
	s_delay_alu instid0(SALU_CYCLE_1) | instskip(NEXT) | instid1(SALU_CYCLE_1)
	s_and_b32 s7, s6, vcc_lo
	s_and_saveexec_b32 s6, s7
	s_cbranch_execz .LBB96_938
; %bb.937:
	v_ashrrev_i32_e32 v205, 31, v204
	s_delay_alu instid0(VALU_DEP_1) | instskip(NEXT) | instid1(VALU_DEP_1)
	v_lshlrev_b64 v[212:213], 2, v[204:205]
	v_add_co_u32 v212, vcc_lo, v202, v212
	s_delay_alu instid0(VALU_DEP_2)
	v_add_co_ci_u32_e32 v213, vcc_lo, v203, v213, vcc_lo
	s_clause 0x1
	flat_load_b32 v205, v[212:213]
	flat_load_b32 v210, v[202:203] offset:176
	s_waitcnt vmcnt(1) lgkmcnt(1)
	flat_store_b32 v[202:203], v205 offset:176
	s_waitcnt vmcnt(0) lgkmcnt(1)
	flat_store_b32 v[212:213], v210
.LBB96_938:
	s_or_b32 exec_lo, exec_lo, s6
	v_mov_b32_e32 v212, v204
	v_mov_b32_e32 v210, v204
.LBB96_939:
	s_or_b32 exec_lo, exec_lo, s3
.LBB96_940:
	s_and_not1_saveexec_b32 s2, s2
	s_cbranch_execz .LBB96_942
; %bb.941:
	v_mov_b32_e32 v212, 44
	ds_store_2addr_b64 v206, v[12:13], v[14:15] offset0:90 offset1:91
	ds_store_2addr_b64 v206, v[8:9], v[10:11] offset0:92 offset1:93
	;; [unrolled: 1-line block ×4, first 2 shown]
.LBB96_942:
	s_or_b32 exec_lo, exec_lo, s2
	s_delay_alu instid0(SALU_CYCLE_1)
	s_mov_b32 s2, exec_lo
	s_waitcnt lgkmcnt(0)
	s_waitcnt_vscnt null, 0x0
	s_barrier
	buffer_gl0_inv
	v_cmpx_lt_i32_e32 44, v212
	s_cbranch_execz .LBB96_944
; %bb.943:
	v_mul_f64 v[204:205], v[196:197], v[18:19]
	v_mul_f64 v[18:19], v[198:199], v[18:19]
	ds_load_2addr_b64 v[213:216], v206 offset0:90 offset1:91
	ds_load_2addr_b64 v[217:220], v206 offset0:92 offset1:93
	;; [unrolled: 1-line block ×4, first 2 shown]
	v_fma_f64 v[198:199], v[198:199], v[16:17], v[204:205]
	v_fma_f64 v[16:17], v[196:197], v[16:17], -v[18:19]
	s_waitcnt lgkmcnt(3)
	s_delay_alu instid0(VALU_DEP_2)
	v_mul_f64 v[18:19], v[215:216], v[198:199]
	v_mul_f64 v[196:197], v[213:214], v[198:199]
	s_waitcnt lgkmcnt(2)
	v_mul_f64 v[204:205], v[219:220], v[198:199]
	v_mul_f64 v[229:230], v[217:218], v[198:199]
	s_waitcnt lgkmcnt(1)
	;; [unrolled: 3-line block ×3, first 2 shown]
	v_mul_f64 v[235:236], v[227:228], v[198:199]
	v_mul_f64 v[237:238], v[225:226], v[198:199]
	v_fma_f64 v[18:19], v[213:214], v[16:17], -v[18:19]
	v_fma_f64 v[196:197], v[215:216], v[16:17], v[196:197]
	v_fma_f64 v[204:205], v[217:218], v[16:17], -v[204:205]
	v_fma_f64 v[213:214], v[219:220], v[16:17], v[229:230]
	;; [unrolled: 2-line block ×4, first 2 shown]
	v_add_f64 v[12:13], v[12:13], -v[18:19]
	v_add_f64 v[14:15], v[14:15], -v[196:197]
	;; [unrolled: 1-line block ×8, first 2 shown]
	v_dual_mov_b32 v18, v198 :: v_dual_mov_b32 v19, v199
.LBB96_944:
	s_or_b32 exec_lo, exec_lo, s2
	v_lshl_add_u32 v196, v212, 4, v206
	s_barrier
	buffer_gl0_inv
	v_mov_b32_e32 v204, 45
	ds_store_2addr_b64 v196, v[12:13], v[14:15] offset1:1
	s_waitcnt lgkmcnt(0)
	s_barrier
	buffer_gl0_inv
	ds_load_2addr_b64 v[196:199], v206 offset0:90 offset1:91
	s_cmp_lt_i32 s5, 47
	s_cbranch_scc1 .LBB96_947
; %bb.945:
	v_add3_u32 v205, v211, 0, 0x2e0
	v_mov_b32_e32 v204, 45
	s_mov_b32 s6, 46
	s_set_inst_prefetch_distance 0x1
	.p2align	6
.LBB96_946:                             ; =>This Inner Loop Header: Depth=1
	ds_load_2addr_b64 v[213:216], v205 offset1:1
	s_waitcnt lgkmcnt(1)
	v_cmp_gt_f64_e32 vcc_lo, 0, v[196:197]
	v_xor_b32_e32 v217, 0x80000000, v197
	v_cmp_gt_f64_e64 s2, 0, v[198:199]
	v_xor_b32_e32 v219, 0x80000000, v199
	v_add_nc_u32_e32 v205, 16, v205
	s_waitcnt lgkmcnt(0)
	v_cmp_gt_f64_e64 s3, 0, v[213:214]
	v_mov_b32_e32 v221, v213
	v_dual_mov_b32 v223, v215 :: v_dual_cndmask_b32 v218, v197, v217
	v_xor_b32_e32 v217, 0x80000000, v214
	v_cndmask_b32_e64 v220, v199, v219, s2
	v_xor_b32_e32 v219, 0x80000000, v216
	s_delay_alu instid0(VALU_DEP_3) | instskip(SKIP_2) | instid1(VALU_DEP_2)
	v_cndmask_b32_e64 v222, v214, v217, s3
	v_cmp_gt_f64_e64 s3, 0, v[215:216]
	v_cndmask_b32_e32 v217, v196, v196, vcc_lo
	v_cndmask_b32_e64 v224, v216, v219, s3
	v_cndmask_b32_e64 v219, v198, v198, s2
	s_delay_alu instid0(VALU_DEP_2) | instskip(NEXT) | instid1(VALU_DEP_2)
	v_add_f64 v[221:222], v[221:222], v[223:224]
	v_add_f64 v[217:218], v[217:218], v[219:220]
	s_delay_alu instid0(VALU_DEP_1) | instskip(SKIP_4) | instid1(SALU_CYCLE_1)
	v_cmp_lt_f64_e32 vcc_lo, v[217:218], v[221:222]
	v_dual_cndmask_b32 v198, v198, v215 :: v_dual_cndmask_b32 v197, v197, v214
	v_dual_cndmask_b32 v196, v196, v213 :: v_dual_cndmask_b32 v199, v199, v216
	v_cndmask_b32_e64 v204, v204, s6, vcc_lo
	s_add_i32 s6, s6, 1
	s_cmp_lg_u32 s5, s6
	s_cbranch_scc1 .LBB96_946
.LBB96_947:
	s_set_inst_prefetch_distance 0x2
	s_waitcnt lgkmcnt(0)
	v_cmp_eq_f64_e32 vcc_lo, 0, v[196:197]
	v_cmp_eq_f64_e64 s2, 0, v[198:199]
	s_delay_alu instid0(VALU_DEP_1) | instskip(NEXT) | instid1(SALU_CYCLE_1)
	s_and_b32 s2, vcc_lo, s2
	s_and_saveexec_b32 s3, s2
	s_delay_alu instid0(SALU_CYCLE_1)
	s_xor_b32 s2, exec_lo, s3
; %bb.948:
	v_cmp_ne_u32_e32 vcc_lo, 0, v209
	v_cndmask_b32_e32 v209, 46, v209, vcc_lo
; %bb.949:
	s_and_not1_saveexec_b32 s3, s2
	s_cbranch_execz .LBB96_955
; %bb.950:
	v_cmp_gt_f64_e32 vcc_lo, 0, v[196:197]
	v_cmp_gt_f64_e64 s2, 0, v[198:199]
	v_xor_b32_e32 v205, 0x80000000, v197
	v_xor_b32_e32 v213, 0x80000000, v199
	s_delay_alu instid0(VALU_DEP_2) | instskip(NEXT) | instid1(VALU_DEP_2)
	v_cndmask_b32_e32 v214, v197, v205, vcc_lo
	v_cndmask_b32_e64 v216, v199, v213, s2
	v_cndmask_b32_e32 v213, v196, v196, vcc_lo
	v_cndmask_b32_e64 v215, v198, v198, s2
	s_mov_b32 s2, exec_lo
	s_delay_alu instid0(VALU_DEP_1)
	v_cmpx_ngt_f64_e32 v[213:214], v[215:216]
	s_xor_b32 s2, exec_lo, s2
	s_cbranch_execz .LBB96_952
; %bb.951:
	v_div_scale_f64 v[213:214], null, v[198:199], v[198:199], v[196:197]
	v_div_scale_f64 v[219:220], vcc_lo, v[196:197], v[198:199], v[196:197]
	s_delay_alu instid0(VALU_DEP_2) | instskip(SKIP_2) | instid1(VALU_DEP_1)
	v_rcp_f64_e32 v[215:216], v[213:214]
	s_waitcnt_depctr 0xfff
	v_fma_f64 v[217:218], -v[213:214], v[215:216], 1.0
	v_fma_f64 v[215:216], v[215:216], v[217:218], v[215:216]
	s_delay_alu instid0(VALU_DEP_1) | instskip(NEXT) | instid1(VALU_DEP_1)
	v_fma_f64 v[217:218], -v[213:214], v[215:216], 1.0
	v_fma_f64 v[215:216], v[215:216], v[217:218], v[215:216]
	s_delay_alu instid0(VALU_DEP_1) | instskip(NEXT) | instid1(VALU_DEP_1)
	v_mul_f64 v[217:218], v[219:220], v[215:216]
	v_fma_f64 v[213:214], -v[213:214], v[217:218], v[219:220]
	s_delay_alu instid0(VALU_DEP_1) | instskip(NEXT) | instid1(VALU_DEP_1)
	v_div_fmas_f64 v[213:214], v[213:214], v[215:216], v[217:218]
	v_div_fixup_f64 v[213:214], v[213:214], v[198:199], v[196:197]
	s_delay_alu instid0(VALU_DEP_1) | instskip(NEXT) | instid1(VALU_DEP_1)
	v_fma_f64 v[196:197], v[196:197], v[213:214], v[198:199]
	v_div_scale_f64 v[198:199], null, v[196:197], v[196:197], 1.0
	s_delay_alu instid0(VALU_DEP_1) | instskip(SKIP_2) | instid1(VALU_DEP_1)
	v_rcp_f64_e32 v[215:216], v[198:199]
	s_waitcnt_depctr 0xfff
	v_fma_f64 v[217:218], -v[198:199], v[215:216], 1.0
	v_fma_f64 v[215:216], v[215:216], v[217:218], v[215:216]
	s_delay_alu instid0(VALU_DEP_1) | instskip(NEXT) | instid1(VALU_DEP_1)
	v_fma_f64 v[217:218], -v[198:199], v[215:216], 1.0
	v_fma_f64 v[215:216], v[215:216], v[217:218], v[215:216]
	v_div_scale_f64 v[217:218], vcc_lo, 1.0, v[196:197], 1.0
	s_delay_alu instid0(VALU_DEP_1) | instskip(NEXT) | instid1(VALU_DEP_1)
	v_mul_f64 v[219:220], v[217:218], v[215:216]
	v_fma_f64 v[198:199], -v[198:199], v[219:220], v[217:218]
	s_delay_alu instid0(VALU_DEP_1) | instskip(NEXT) | instid1(VALU_DEP_1)
	v_div_fmas_f64 v[198:199], v[198:199], v[215:216], v[219:220]
	v_div_fixup_f64 v[198:199], v[198:199], v[196:197], 1.0
	s_delay_alu instid0(VALU_DEP_1)
	v_mul_f64 v[196:197], v[213:214], v[198:199]
	v_xor_b32_e32 v199, 0x80000000, v199
.LBB96_952:
	s_and_not1_saveexec_b32 s2, s2
	s_cbranch_execz .LBB96_954
; %bb.953:
	s_delay_alu instid0(VALU_DEP_1) | instskip(SKIP_1) | instid1(VALU_DEP_2)
	v_div_scale_f64 v[213:214], null, v[196:197], v[196:197], v[198:199]
	v_div_scale_f64 v[219:220], vcc_lo, v[198:199], v[196:197], v[198:199]
	v_rcp_f64_e32 v[215:216], v[213:214]
	s_waitcnt_depctr 0xfff
	v_fma_f64 v[217:218], -v[213:214], v[215:216], 1.0
	s_delay_alu instid0(VALU_DEP_1) | instskip(NEXT) | instid1(VALU_DEP_1)
	v_fma_f64 v[215:216], v[215:216], v[217:218], v[215:216]
	v_fma_f64 v[217:218], -v[213:214], v[215:216], 1.0
	s_delay_alu instid0(VALU_DEP_1) | instskip(NEXT) | instid1(VALU_DEP_1)
	v_fma_f64 v[215:216], v[215:216], v[217:218], v[215:216]
	v_mul_f64 v[217:218], v[219:220], v[215:216]
	s_delay_alu instid0(VALU_DEP_1) | instskip(NEXT) | instid1(VALU_DEP_1)
	v_fma_f64 v[213:214], -v[213:214], v[217:218], v[219:220]
	v_div_fmas_f64 v[213:214], v[213:214], v[215:216], v[217:218]
	s_delay_alu instid0(VALU_DEP_1) | instskip(NEXT) | instid1(VALU_DEP_1)
	v_div_fixup_f64 v[213:214], v[213:214], v[196:197], v[198:199]
	v_fma_f64 v[196:197], v[198:199], v[213:214], v[196:197]
	s_delay_alu instid0(VALU_DEP_1) | instskip(NEXT) | instid1(VALU_DEP_1)
	v_div_scale_f64 v[198:199], null, v[196:197], v[196:197], 1.0
	v_rcp_f64_e32 v[215:216], v[198:199]
	s_waitcnt_depctr 0xfff
	v_fma_f64 v[217:218], -v[198:199], v[215:216], 1.0
	s_delay_alu instid0(VALU_DEP_1) | instskip(NEXT) | instid1(VALU_DEP_1)
	v_fma_f64 v[215:216], v[215:216], v[217:218], v[215:216]
	v_fma_f64 v[217:218], -v[198:199], v[215:216], 1.0
	s_delay_alu instid0(VALU_DEP_1) | instskip(SKIP_1) | instid1(VALU_DEP_1)
	v_fma_f64 v[215:216], v[215:216], v[217:218], v[215:216]
	v_div_scale_f64 v[217:218], vcc_lo, 1.0, v[196:197], 1.0
	v_mul_f64 v[219:220], v[217:218], v[215:216]
	s_delay_alu instid0(VALU_DEP_1) | instskip(NEXT) | instid1(VALU_DEP_1)
	v_fma_f64 v[198:199], -v[198:199], v[219:220], v[217:218]
	v_div_fmas_f64 v[198:199], v[198:199], v[215:216], v[219:220]
	s_delay_alu instid0(VALU_DEP_1) | instskip(NEXT) | instid1(VALU_DEP_1)
	v_div_fixup_f64 v[196:197], v[198:199], v[196:197], 1.0
	v_mul_f64 v[198:199], v[213:214], -v[196:197]
.LBB96_954:
	s_or_b32 exec_lo, exec_lo, s2
.LBB96_955:
	s_delay_alu instid0(SALU_CYCLE_1) | instskip(NEXT) | instid1(SALU_CYCLE_1)
	s_or_b32 exec_lo, exec_lo, s3
	s_mov_b32 s2, exec_lo
	v_cmpx_ne_u32_e64 v212, v204
	s_xor_b32 s2, exec_lo, s2
	s_cbranch_execz .LBB96_961
; %bb.956:
	s_mov_b32 s3, exec_lo
	v_cmpx_eq_u32_e32 45, v212
	s_cbranch_execz .LBB96_960
; %bb.957:
	v_cmp_ne_u32_e32 vcc_lo, 45, v204
	s_xor_b32 s6, s4, -1
	s_delay_alu instid0(SALU_CYCLE_1) | instskip(NEXT) | instid1(SALU_CYCLE_1)
	s_and_b32 s7, s6, vcc_lo
	s_and_saveexec_b32 s6, s7
	s_cbranch_execz .LBB96_959
; %bb.958:
	v_ashrrev_i32_e32 v205, 31, v204
	s_delay_alu instid0(VALU_DEP_1) | instskip(NEXT) | instid1(VALU_DEP_1)
	v_lshlrev_b64 v[212:213], 2, v[204:205]
	v_add_co_u32 v212, vcc_lo, v202, v212
	s_delay_alu instid0(VALU_DEP_2)
	v_add_co_ci_u32_e32 v213, vcc_lo, v203, v213, vcc_lo
	s_clause 0x1
	flat_load_b32 v205, v[212:213]
	flat_load_b32 v210, v[202:203] offset:180
	s_waitcnt vmcnt(1) lgkmcnt(1)
	flat_store_b32 v[202:203], v205 offset:180
	s_waitcnt vmcnt(0) lgkmcnt(1)
	flat_store_b32 v[212:213], v210
.LBB96_959:
	s_or_b32 exec_lo, exec_lo, s6
	v_mov_b32_e32 v212, v204
	v_mov_b32_e32 v210, v204
.LBB96_960:
	s_or_b32 exec_lo, exec_lo, s3
.LBB96_961:
	s_and_not1_saveexec_b32 s2, s2
	s_cbranch_execz .LBB96_963
; %bb.962:
	v_mov_b32_e32 v212, 45
	ds_store_2addr_b64 v206, v[8:9], v[10:11] offset0:92 offset1:93
	ds_store_2addr_b64 v206, v[4:5], v[6:7] offset0:94 offset1:95
	;; [unrolled: 1-line block ×3, first 2 shown]
.LBB96_963:
	s_or_b32 exec_lo, exec_lo, s2
	s_delay_alu instid0(SALU_CYCLE_1)
	s_mov_b32 s2, exec_lo
	s_waitcnt lgkmcnt(0)
	s_waitcnt_vscnt null, 0x0
	s_barrier
	buffer_gl0_inv
	v_cmpx_lt_i32_e32 45, v212
	s_cbranch_execz .LBB96_965
; %bb.964:
	v_mul_f64 v[204:205], v[196:197], v[14:15]
	v_mul_f64 v[14:15], v[198:199], v[14:15]
	ds_load_2addr_b64 v[213:216], v206 offset0:92 offset1:93
	ds_load_2addr_b64 v[217:220], v206 offset0:94 offset1:95
	;; [unrolled: 1-line block ×3, first 2 shown]
	v_fma_f64 v[198:199], v[198:199], v[12:13], v[204:205]
	v_fma_f64 v[12:13], v[196:197], v[12:13], -v[14:15]
	s_waitcnt lgkmcnt(2)
	s_delay_alu instid0(VALU_DEP_2)
	v_mul_f64 v[14:15], v[215:216], v[198:199]
	v_mul_f64 v[196:197], v[213:214], v[198:199]
	s_waitcnt lgkmcnt(1)
	v_mul_f64 v[204:205], v[219:220], v[198:199]
	v_mul_f64 v[225:226], v[217:218], v[198:199]
	s_waitcnt lgkmcnt(0)
	v_mul_f64 v[227:228], v[223:224], v[198:199]
	v_mul_f64 v[229:230], v[221:222], v[198:199]
	v_fma_f64 v[14:15], v[213:214], v[12:13], -v[14:15]
	v_fma_f64 v[196:197], v[215:216], v[12:13], v[196:197]
	v_fma_f64 v[204:205], v[217:218], v[12:13], -v[204:205]
	v_fma_f64 v[213:214], v[219:220], v[12:13], v[225:226]
	;; [unrolled: 2-line block ×3, first 2 shown]
	v_add_f64 v[8:9], v[8:9], -v[14:15]
	v_add_f64 v[10:11], v[10:11], -v[196:197]
	;; [unrolled: 1-line block ×6, first 2 shown]
	v_dual_mov_b32 v14, v198 :: v_dual_mov_b32 v15, v199
.LBB96_965:
	s_or_b32 exec_lo, exec_lo, s2
	v_lshl_add_u32 v196, v212, 4, v206
	s_barrier
	buffer_gl0_inv
	v_mov_b32_e32 v204, 46
	ds_store_2addr_b64 v196, v[8:9], v[10:11] offset1:1
	s_waitcnt lgkmcnt(0)
	s_barrier
	buffer_gl0_inv
	ds_load_2addr_b64 v[196:199], v206 offset0:92 offset1:93
	s_cmp_lt_i32 s5, 48
	s_cbranch_scc1 .LBB96_968
; %bb.966:
	v_add3_u32 v205, v211, 0, 0x2f0
	v_mov_b32_e32 v204, 46
	s_mov_b32 s6, 47
	s_set_inst_prefetch_distance 0x1
	.p2align	6
.LBB96_967:                             ; =>This Inner Loop Header: Depth=1
	ds_load_2addr_b64 v[213:216], v205 offset1:1
	s_waitcnt lgkmcnt(1)
	v_cmp_gt_f64_e32 vcc_lo, 0, v[196:197]
	v_xor_b32_e32 v217, 0x80000000, v197
	v_cmp_gt_f64_e64 s2, 0, v[198:199]
	v_xor_b32_e32 v219, 0x80000000, v199
	v_add_nc_u32_e32 v205, 16, v205
	s_waitcnt lgkmcnt(0)
	v_cmp_gt_f64_e64 s3, 0, v[213:214]
	v_mov_b32_e32 v221, v213
	v_dual_mov_b32 v223, v215 :: v_dual_cndmask_b32 v218, v197, v217
	v_xor_b32_e32 v217, 0x80000000, v214
	v_cndmask_b32_e64 v220, v199, v219, s2
	v_xor_b32_e32 v219, 0x80000000, v216
	s_delay_alu instid0(VALU_DEP_3) | instskip(SKIP_2) | instid1(VALU_DEP_2)
	v_cndmask_b32_e64 v222, v214, v217, s3
	v_cmp_gt_f64_e64 s3, 0, v[215:216]
	v_cndmask_b32_e32 v217, v196, v196, vcc_lo
	v_cndmask_b32_e64 v224, v216, v219, s3
	v_cndmask_b32_e64 v219, v198, v198, s2
	s_delay_alu instid0(VALU_DEP_2) | instskip(NEXT) | instid1(VALU_DEP_2)
	v_add_f64 v[221:222], v[221:222], v[223:224]
	v_add_f64 v[217:218], v[217:218], v[219:220]
	s_delay_alu instid0(VALU_DEP_1) | instskip(SKIP_4) | instid1(SALU_CYCLE_1)
	v_cmp_lt_f64_e32 vcc_lo, v[217:218], v[221:222]
	v_dual_cndmask_b32 v198, v198, v215 :: v_dual_cndmask_b32 v197, v197, v214
	v_dual_cndmask_b32 v196, v196, v213 :: v_dual_cndmask_b32 v199, v199, v216
	v_cndmask_b32_e64 v204, v204, s6, vcc_lo
	s_add_i32 s6, s6, 1
	s_cmp_lg_u32 s5, s6
	s_cbranch_scc1 .LBB96_967
.LBB96_968:
	s_set_inst_prefetch_distance 0x2
	s_waitcnt lgkmcnt(0)
	v_cmp_eq_f64_e32 vcc_lo, 0, v[196:197]
	v_cmp_eq_f64_e64 s2, 0, v[198:199]
	s_delay_alu instid0(VALU_DEP_1) | instskip(NEXT) | instid1(SALU_CYCLE_1)
	s_and_b32 s2, vcc_lo, s2
	s_and_saveexec_b32 s3, s2
	s_delay_alu instid0(SALU_CYCLE_1)
	s_xor_b32 s2, exec_lo, s3
; %bb.969:
	v_cmp_ne_u32_e32 vcc_lo, 0, v209
	v_cndmask_b32_e32 v209, 47, v209, vcc_lo
; %bb.970:
	s_and_not1_saveexec_b32 s3, s2
	s_cbranch_execz .LBB96_976
; %bb.971:
	v_cmp_gt_f64_e32 vcc_lo, 0, v[196:197]
	v_cmp_gt_f64_e64 s2, 0, v[198:199]
	v_xor_b32_e32 v205, 0x80000000, v197
	v_xor_b32_e32 v213, 0x80000000, v199
	s_delay_alu instid0(VALU_DEP_2) | instskip(NEXT) | instid1(VALU_DEP_2)
	v_cndmask_b32_e32 v214, v197, v205, vcc_lo
	v_cndmask_b32_e64 v216, v199, v213, s2
	v_cndmask_b32_e32 v213, v196, v196, vcc_lo
	v_cndmask_b32_e64 v215, v198, v198, s2
	s_mov_b32 s2, exec_lo
	s_delay_alu instid0(VALU_DEP_1)
	v_cmpx_ngt_f64_e32 v[213:214], v[215:216]
	s_xor_b32 s2, exec_lo, s2
	s_cbranch_execz .LBB96_973
; %bb.972:
	v_div_scale_f64 v[213:214], null, v[198:199], v[198:199], v[196:197]
	v_div_scale_f64 v[219:220], vcc_lo, v[196:197], v[198:199], v[196:197]
	s_delay_alu instid0(VALU_DEP_2) | instskip(SKIP_2) | instid1(VALU_DEP_1)
	v_rcp_f64_e32 v[215:216], v[213:214]
	s_waitcnt_depctr 0xfff
	v_fma_f64 v[217:218], -v[213:214], v[215:216], 1.0
	v_fma_f64 v[215:216], v[215:216], v[217:218], v[215:216]
	s_delay_alu instid0(VALU_DEP_1) | instskip(NEXT) | instid1(VALU_DEP_1)
	v_fma_f64 v[217:218], -v[213:214], v[215:216], 1.0
	v_fma_f64 v[215:216], v[215:216], v[217:218], v[215:216]
	s_delay_alu instid0(VALU_DEP_1) | instskip(NEXT) | instid1(VALU_DEP_1)
	v_mul_f64 v[217:218], v[219:220], v[215:216]
	v_fma_f64 v[213:214], -v[213:214], v[217:218], v[219:220]
	s_delay_alu instid0(VALU_DEP_1) | instskip(NEXT) | instid1(VALU_DEP_1)
	v_div_fmas_f64 v[213:214], v[213:214], v[215:216], v[217:218]
	v_div_fixup_f64 v[213:214], v[213:214], v[198:199], v[196:197]
	s_delay_alu instid0(VALU_DEP_1) | instskip(NEXT) | instid1(VALU_DEP_1)
	v_fma_f64 v[196:197], v[196:197], v[213:214], v[198:199]
	v_div_scale_f64 v[198:199], null, v[196:197], v[196:197], 1.0
	s_delay_alu instid0(VALU_DEP_1) | instskip(SKIP_2) | instid1(VALU_DEP_1)
	v_rcp_f64_e32 v[215:216], v[198:199]
	s_waitcnt_depctr 0xfff
	v_fma_f64 v[217:218], -v[198:199], v[215:216], 1.0
	v_fma_f64 v[215:216], v[215:216], v[217:218], v[215:216]
	s_delay_alu instid0(VALU_DEP_1) | instskip(NEXT) | instid1(VALU_DEP_1)
	v_fma_f64 v[217:218], -v[198:199], v[215:216], 1.0
	v_fma_f64 v[215:216], v[215:216], v[217:218], v[215:216]
	v_div_scale_f64 v[217:218], vcc_lo, 1.0, v[196:197], 1.0
	s_delay_alu instid0(VALU_DEP_1) | instskip(NEXT) | instid1(VALU_DEP_1)
	v_mul_f64 v[219:220], v[217:218], v[215:216]
	v_fma_f64 v[198:199], -v[198:199], v[219:220], v[217:218]
	s_delay_alu instid0(VALU_DEP_1) | instskip(NEXT) | instid1(VALU_DEP_1)
	v_div_fmas_f64 v[198:199], v[198:199], v[215:216], v[219:220]
	v_div_fixup_f64 v[198:199], v[198:199], v[196:197], 1.0
	s_delay_alu instid0(VALU_DEP_1)
	v_mul_f64 v[196:197], v[213:214], v[198:199]
	v_xor_b32_e32 v199, 0x80000000, v199
.LBB96_973:
	s_and_not1_saveexec_b32 s2, s2
	s_cbranch_execz .LBB96_975
; %bb.974:
	s_delay_alu instid0(VALU_DEP_1) | instskip(SKIP_1) | instid1(VALU_DEP_2)
	v_div_scale_f64 v[213:214], null, v[196:197], v[196:197], v[198:199]
	v_div_scale_f64 v[219:220], vcc_lo, v[198:199], v[196:197], v[198:199]
	v_rcp_f64_e32 v[215:216], v[213:214]
	s_waitcnt_depctr 0xfff
	v_fma_f64 v[217:218], -v[213:214], v[215:216], 1.0
	s_delay_alu instid0(VALU_DEP_1) | instskip(NEXT) | instid1(VALU_DEP_1)
	v_fma_f64 v[215:216], v[215:216], v[217:218], v[215:216]
	v_fma_f64 v[217:218], -v[213:214], v[215:216], 1.0
	s_delay_alu instid0(VALU_DEP_1) | instskip(NEXT) | instid1(VALU_DEP_1)
	v_fma_f64 v[215:216], v[215:216], v[217:218], v[215:216]
	v_mul_f64 v[217:218], v[219:220], v[215:216]
	s_delay_alu instid0(VALU_DEP_1) | instskip(NEXT) | instid1(VALU_DEP_1)
	v_fma_f64 v[213:214], -v[213:214], v[217:218], v[219:220]
	v_div_fmas_f64 v[213:214], v[213:214], v[215:216], v[217:218]
	s_delay_alu instid0(VALU_DEP_1) | instskip(NEXT) | instid1(VALU_DEP_1)
	v_div_fixup_f64 v[213:214], v[213:214], v[196:197], v[198:199]
	v_fma_f64 v[196:197], v[198:199], v[213:214], v[196:197]
	s_delay_alu instid0(VALU_DEP_1) | instskip(NEXT) | instid1(VALU_DEP_1)
	v_div_scale_f64 v[198:199], null, v[196:197], v[196:197], 1.0
	v_rcp_f64_e32 v[215:216], v[198:199]
	s_waitcnt_depctr 0xfff
	v_fma_f64 v[217:218], -v[198:199], v[215:216], 1.0
	s_delay_alu instid0(VALU_DEP_1) | instskip(NEXT) | instid1(VALU_DEP_1)
	v_fma_f64 v[215:216], v[215:216], v[217:218], v[215:216]
	v_fma_f64 v[217:218], -v[198:199], v[215:216], 1.0
	s_delay_alu instid0(VALU_DEP_1) | instskip(SKIP_1) | instid1(VALU_DEP_1)
	v_fma_f64 v[215:216], v[215:216], v[217:218], v[215:216]
	v_div_scale_f64 v[217:218], vcc_lo, 1.0, v[196:197], 1.0
	v_mul_f64 v[219:220], v[217:218], v[215:216]
	s_delay_alu instid0(VALU_DEP_1) | instskip(NEXT) | instid1(VALU_DEP_1)
	v_fma_f64 v[198:199], -v[198:199], v[219:220], v[217:218]
	v_div_fmas_f64 v[198:199], v[198:199], v[215:216], v[219:220]
	s_delay_alu instid0(VALU_DEP_1) | instskip(NEXT) | instid1(VALU_DEP_1)
	v_div_fixup_f64 v[196:197], v[198:199], v[196:197], 1.0
	v_mul_f64 v[198:199], v[213:214], -v[196:197]
.LBB96_975:
	s_or_b32 exec_lo, exec_lo, s2
.LBB96_976:
	s_delay_alu instid0(SALU_CYCLE_1) | instskip(NEXT) | instid1(SALU_CYCLE_1)
	s_or_b32 exec_lo, exec_lo, s3
	s_mov_b32 s2, exec_lo
	v_cmpx_ne_u32_e64 v212, v204
	s_xor_b32 s2, exec_lo, s2
	s_cbranch_execz .LBB96_982
; %bb.977:
	s_mov_b32 s3, exec_lo
	v_cmpx_eq_u32_e32 46, v212
	s_cbranch_execz .LBB96_981
; %bb.978:
	v_cmp_ne_u32_e32 vcc_lo, 46, v204
	s_xor_b32 s6, s4, -1
	s_delay_alu instid0(SALU_CYCLE_1) | instskip(NEXT) | instid1(SALU_CYCLE_1)
	s_and_b32 s7, s6, vcc_lo
	s_and_saveexec_b32 s6, s7
	s_cbranch_execz .LBB96_980
; %bb.979:
	v_ashrrev_i32_e32 v205, 31, v204
	s_delay_alu instid0(VALU_DEP_1) | instskip(NEXT) | instid1(VALU_DEP_1)
	v_lshlrev_b64 v[212:213], 2, v[204:205]
	v_add_co_u32 v212, vcc_lo, v202, v212
	s_delay_alu instid0(VALU_DEP_2)
	v_add_co_ci_u32_e32 v213, vcc_lo, v203, v213, vcc_lo
	s_clause 0x1
	flat_load_b32 v205, v[212:213]
	flat_load_b32 v210, v[202:203] offset:184
	s_waitcnt vmcnt(1) lgkmcnt(1)
	flat_store_b32 v[202:203], v205 offset:184
	s_waitcnt vmcnt(0) lgkmcnt(1)
	flat_store_b32 v[212:213], v210
.LBB96_980:
	s_or_b32 exec_lo, exec_lo, s6
	v_mov_b32_e32 v212, v204
	v_mov_b32_e32 v210, v204
.LBB96_981:
	s_or_b32 exec_lo, exec_lo, s3
.LBB96_982:
	s_and_not1_saveexec_b32 s2, s2
	s_cbranch_execz .LBB96_984
; %bb.983:
	v_mov_b32_e32 v212, 46
	ds_store_2addr_b64 v206, v[4:5], v[6:7] offset0:94 offset1:95
	ds_store_2addr_b64 v206, v[0:1], v[2:3] offset0:96 offset1:97
.LBB96_984:
	s_or_b32 exec_lo, exec_lo, s2
	s_delay_alu instid0(SALU_CYCLE_1)
	s_mov_b32 s2, exec_lo
	s_waitcnt lgkmcnt(0)
	s_waitcnt_vscnt null, 0x0
	s_barrier
	buffer_gl0_inv
	v_cmpx_lt_i32_e32 46, v212
	s_cbranch_execz .LBB96_986
; %bb.985:
	v_mul_f64 v[204:205], v[196:197], v[10:11]
	v_mul_f64 v[10:11], v[198:199], v[10:11]
	ds_load_2addr_b64 v[213:216], v206 offset0:94 offset1:95
	ds_load_2addr_b64 v[217:220], v206 offset0:96 offset1:97
	v_fma_f64 v[198:199], v[198:199], v[8:9], v[204:205]
	v_fma_f64 v[8:9], v[196:197], v[8:9], -v[10:11]
	s_waitcnt lgkmcnt(1)
	s_delay_alu instid0(VALU_DEP_2) | instskip(SKIP_4) | instid1(VALU_DEP_4)
	v_mul_f64 v[10:11], v[215:216], v[198:199]
	v_mul_f64 v[196:197], v[213:214], v[198:199]
	s_waitcnt lgkmcnt(0)
	v_mul_f64 v[204:205], v[219:220], v[198:199]
	v_mul_f64 v[221:222], v[217:218], v[198:199]
	v_fma_f64 v[10:11], v[213:214], v[8:9], -v[10:11]
	s_delay_alu instid0(VALU_DEP_4) | instskip(NEXT) | instid1(VALU_DEP_4)
	v_fma_f64 v[196:197], v[215:216], v[8:9], v[196:197]
	v_fma_f64 v[204:205], v[217:218], v[8:9], -v[204:205]
	s_delay_alu instid0(VALU_DEP_4) | instskip(NEXT) | instid1(VALU_DEP_4)
	v_fma_f64 v[213:214], v[219:220], v[8:9], v[221:222]
	v_add_f64 v[4:5], v[4:5], -v[10:11]
	s_delay_alu instid0(VALU_DEP_4) | instskip(NEXT) | instid1(VALU_DEP_4)
	v_add_f64 v[6:7], v[6:7], -v[196:197]
	v_add_f64 v[0:1], v[0:1], -v[204:205]
	s_delay_alu instid0(VALU_DEP_4)
	v_add_f64 v[2:3], v[2:3], -v[213:214]
	v_dual_mov_b32 v10, v198 :: v_dual_mov_b32 v11, v199
.LBB96_986:
	s_or_b32 exec_lo, exec_lo, s2
	v_lshl_add_u32 v196, v212, 4, v206
	s_barrier
	buffer_gl0_inv
	v_mov_b32_e32 v204, 47
	ds_store_2addr_b64 v196, v[4:5], v[6:7] offset1:1
	s_waitcnt lgkmcnt(0)
	s_barrier
	buffer_gl0_inv
	ds_load_2addr_b64 v[196:199], v206 offset0:94 offset1:95
	s_cmp_lt_i32 s5, 49
	s_cbranch_scc1 .LBB96_989
; %bb.987:
	v_add3_u32 v205, v211, 0, 0x300
	v_mov_b32_e32 v204, 47
	s_mov_b32 s6, 48
	s_set_inst_prefetch_distance 0x1
	.p2align	6
.LBB96_988:                             ; =>This Inner Loop Header: Depth=1
	ds_load_2addr_b64 v[213:216], v205 offset1:1
	s_waitcnt lgkmcnt(1)
	v_cmp_gt_f64_e32 vcc_lo, 0, v[196:197]
	v_xor_b32_e32 v217, 0x80000000, v197
	v_cmp_gt_f64_e64 s2, 0, v[198:199]
	v_xor_b32_e32 v219, 0x80000000, v199
	v_add_nc_u32_e32 v205, 16, v205
	s_waitcnt lgkmcnt(0)
	v_cmp_gt_f64_e64 s3, 0, v[213:214]
	v_mov_b32_e32 v221, v213
	v_dual_mov_b32 v223, v215 :: v_dual_cndmask_b32 v218, v197, v217
	v_xor_b32_e32 v217, 0x80000000, v214
	v_cndmask_b32_e64 v220, v199, v219, s2
	v_xor_b32_e32 v219, 0x80000000, v216
	s_delay_alu instid0(VALU_DEP_3) | instskip(SKIP_2) | instid1(VALU_DEP_2)
	v_cndmask_b32_e64 v222, v214, v217, s3
	v_cmp_gt_f64_e64 s3, 0, v[215:216]
	v_cndmask_b32_e32 v217, v196, v196, vcc_lo
	v_cndmask_b32_e64 v224, v216, v219, s3
	v_cndmask_b32_e64 v219, v198, v198, s2
	s_delay_alu instid0(VALU_DEP_2) | instskip(NEXT) | instid1(VALU_DEP_2)
	v_add_f64 v[221:222], v[221:222], v[223:224]
	v_add_f64 v[217:218], v[217:218], v[219:220]
	s_delay_alu instid0(VALU_DEP_1) | instskip(SKIP_4) | instid1(SALU_CYCLE_1)
	v_cmp_lt_f64_e32 vcc_lo, v[217:218], v[221:222]
	v_dual_cndmask_b32 v198, v198, v215 :: v_dual_cndmask_b32 v197, v197, v214
	v_dual_cndmask_b32 v196, v196, v213 :: v_dual_cndmask_b32 v199, v199, v216
	v_cndmask_b32_e64 v204, v204, s6, vcc_lo
	s_add_i32 s6, s6, 1
	s_cmp_lg_u32 s5, s6
	s_cbranch_scc1 .LBB96_988
.LBB96_989:
	s_set_inst_prefetch_distance 0x2
	s_waitcnt lgkmcnt(0)
	v_cmp_eq_f64_e32 vcc_lo, 0, v[196:197]
	v_cmp_eq_f64_e64 s2, 0, v[198:199]
	s_delay_alu instid0(VALU_DEP_1) | instskip(NEXT) | instid1(SALU_CYCLE_1)
	s_and_b32 s2, vcc_lo, s2
	s_and_saveexec_b32 s3, s2
	s_delay_alu instid0(SALU_CYCLE_1)
	s_xor_b32 s2, exec_lo, s3
; %bb.990:
	v_cmp_ne_u32_e32 vcc_lo, 0, v209
	v_cndmask_b32_e32 v209, 48, v209, vcc_lo
; %bb.991:
	s_and_not1_saveexec_b32 s3, s2
	s_cbranch_execz .LBB96_997
; %bb.992:
	v_cmp_gt_f64_e32 vcc_lo, 0, v[196:197]
	v_cmp_gt_f64_e64 s2, 0, v[198:199]
	v_xor_b32_e32 v205, 0x80000000, v197
	v_xor_b32_e32 v213, 0x80000000, v199
	s_delay_alu instid0(VALU_DEP_2) | instskip(NEXT) | instid1(VALU_DEP_2)
	v_cndmask_b32_e32 v214, v197, v205, vcc_lo
	v_cndmask_b32_e64 v216, v199, v213, s2
	v_cndmask_b32_e32 v213, v196, v196, vcc_lo
	v_cndmask_b32_e64 v215, v198, v198, s2
	s_mov_b32 s2, exec_lo
	s_delay_alu instid0(VALU_DEP_1)
	v_cmpx_ngt_f64_e32 v[213:214], v[215:216]
	s_xor_b32 s2, exec_lo, s2
	s_cbranch_execz .LBB96_994
; %bb.993:
	v_div_scale_f64 v[213:214], null, v[198:199], v[198:199], v[196:197]
	v_div_scale_f64 v[219:220], vcc_lo, v[196:197], v[198:199], v[196:197]
	s_delay_alu instid0(VALU_DEP_2) | instskip(SKIP_2) | instid1(VALU_DEP_1)
	v_rcp_f64_e32 v[215:216], v[213:214]
	s_waitcnt_depctr 0xfff
	v_fma_f64 v[217:218], -v[213:214], v[215:216], 1.0
	v_fma_f64 v[215:216], v[215:216], v[217:218], v[215:216]
	s_delay_alu instid0(VALU_DEP_1) | instskip(NEXT) | instid1(VALU_DEP_1)
	v_fma_f64 v[217:218], -v[213:214], v[215:216], 1.0
	v_fma_f64 v[215:216], v[215:216], v[217:218], v[215:216]
	s_delay_alu instid0(VALU_DEP_1) | instskip(NEXT) | instid1(VALU_DEP_1)
	v_mul_f64 v[217:218], v[219:220], v[215:216]
	v_fma_f64 v[213:214], -v[213:214], v[217:218], v[219:220]
	s_delay_alu instid0(VALU_DEP_1) | instskip(NEXT) | instid1(VALU_DEP_1)
	v_div_fmas_f64 v[213:214], v[213:214], v[215:216], v[217:218]
	v_div_fixup_f64 v[213:214], v[213:214], v[198:199], v[196:197]
	s_delay_alu instid0(VALU_DEP_1) | instskip(NEXT) | instid1(VALU_DEP_1)
	v_fma_f64 v[196:197], v[196:197], v[213:214], v[198:199]
	v_div_scale_f64 v[198:199], null, v[196:197], v[196:197], 1.0
	s_delay_alu instid0(VALU_DEP_1) | instskip(SKIP_2) | instid1(VALU_DEP_1)
	v_rcp_f64_e32 v[215:216], v[198:199]
	s_waitcnt_depctr 0xfff
	v_fma_f64 v[217:218], -v[198:199], v[215:216], 1.0
	v_fma_f64 v[215:216], v[215:216], v[217:218], v[215:216]
	s_delay_alu instid0(VALU_DEP_1) | instskip(NEXT) | instid1(VALU_DEP_1)
	v_fma_f64 v[217:218], -v[198:199], v[215:216], 1.0
	v_fma_f64 v[215:216], v[215:216], v[217:218], v[215:216]
	v_div_scale_f64 v[217:218], vcc_lo, 1.0, v[196:197], 1.0
	s_delay_alu instid0(VALU_DEP_1) | instskip(NEXT) | instid1(VALU_DEP_1)
	v_mul_f64 v[219:220], v[217:218], v[215:216]
	v_fma_f64 v[198:199], -v[198:199], v[219:220], v[217:218]
	s_delay_alu instid0(VALU_DEP_1) | instskip(NEXT) | instid1(VALU_DEP_1)
	v_div_fmas_f64 v[198:199], v[198:199], v[215:216], v[219:220]
	v_div_fixup_f64 v[198:199], v[198:199], v[196:197], 1.0
	s_delay_alu instid0(VALU_DEP_1)
	v_mul_f64 v[196:197], v[213:214], v[198:199]
	v_xor_b32_e32 v199, 0x80000000, v199
.LBB96_994:
	s_and_not1_saveexec_b32 s2, s2
	s_cbranch_execz .LBB96_996
; %bb.995:
	s_delay_alu instid0(VALU_DEP_1) | instskip(SKIP_1) | instid1(VALU_DEP_2)
	v_div_scale_f64 v[213:214], null, v[196:197], v[196:197], v[198:199]
	v_div_scale_f64 v[219:220], vcc_lo, v[198:199], v[196:197], v[198:199]
	v_rcp_f64_e32 v[215:216], v[213:214]
	s_waitcnt_depctr 0xfff
	v_fma_f64 v[217:218], -v[213:214], v[215:216], 1.0
	s_delay_alu instid0(VALU_DEP_1) | instskip(NEXT) | instid1(VALU_DEP_1)
	v_fma_f64 v[215:216], v[215:216], v[217:218], v[215:216]
	v_fma_f64 v[217:218], -v[213:214], v[215:216], 1.0
	s_delay_alu instid0(VALU_DEP_1) | instskip(NEXT) | instid1(VALU_DEP_1)
	v_fma_f64 v[215:216], v[215:216], v[217:218], v[215:216]
	v_mul_f64 v[217:218], v[219:220], v[215:216]
	s_delay_alu instid0(VALU_DEP_1) | instskip(NEXT) | instid1(VALU_DEP_1)
	v_fma_f64 v[213:214], -v[213:214], v[217:218], v[219:220]
	v_div_fmas_f64 v[213:214], v[213:214], v[215:216], v[217:218]
	s_delay_alu instid0(VALU_DEP_1) | instskip(NEXT) | instid1(VALU_DEP_1)
	v_div_fixup_f64 v[213:214], v[213:214], v[196:197], v[198:199]
	v_fma_f64 v[196:197], v[198:199], v[213:214], v[196:197]
	s_delay_alu instid0(VALU_DEP_1) | instskip(NEXT) | instid1(VALU_DEP_1)
	v_div_scale_f64 v[198:199], null, v[196:197], v[196:197], 1.0
	v_rcp_f64_e32 v[215:216], v[198:199]
	s_waitcnt_depctr 0xfff
	v_fma_f64 v[217:218], -v[198:199], v[215:216], 1.0
	s_delay_alu instid0(VALU_DEP_1) | instskip(NEXT) | instid1(VALU_DEP_1)
	v_fma_f64 v[215:216], v[215:216], v[217:218], v[215:216]
	v_fma_f64 v[217:218], -v[198:199], v[215:216], 1.0
	s_delay_alu instid0(VALU_DEP_1) | instskip(SKIP_1) | instid1(VALU_DEP_1)
	v_fma_f64 v[215:216], v[215:216], v[217:218], v[215:216]
	v_div_scale_f64 v[217:218], vcc_lo, 1.0, v[196:197], 1.0
	v_mul_f64 v[219:220], v[217:218], v[215:216]
	s_delay_alu instid0(VALU_DEP_1) | instskip(NEXT) | instid1(VALU_DEP_1)
	v_fma_f64 v[198:199], -v[198:199], v[219:220], v[217:218]
	v_div_fmas_f64 v[198:199], v[198:199], v[215:216], v[219:220]
	s_delay_alu instid0(VALU_DEP_1) | instskip(NEXT) | instid1(VALU_DEP_1)
	v_div_fixup_f64 v[196:197], v[198:199], v[196:197], 1.0
	v_mul_f64 v[198:199], v[213:214], -v[196:197]
.LBB96_996:
	s_or_b32 exec_lo, exec_lo, s2
.LBB96_997:
	s_delay_alu instid0(SALU_CYCLE_1) | instskip(NEXT) | instid1(SALU_CYCLE_1)
	s_or_b32 exec_lo, exec_lo, s3
	s_mov_b32 s2, exec_lo
	v_cmpx_ne_u32_e64 v212, v204
	s_xor_b32 s2, exec_lo, s2
	s_cbranch_execz .LBB96_1003
; %bb.998:
	s_mov_b32 s3, exec_lo
	v_cmpx_eq_u32_e32 47, v212
	s_cbranch_execz .LBB96_1002
; %bb.999:
	v_cmp_ne_u32_e32 vcc_lo, 47, v204
	s_xor_b32 s6, s4, -1
	s_delay_alu instid0(SALU_CYCLE_1) | instskip(NEXT) | instid1(SALU_CYCLE_1)
	s_and_b32 s7, s6, vcc_lo
	s_and_saveexec_b32 s6, s7
	s_cbranch_execz .LBB96_1001
; %bb.1000:
	v_ashrrev_i32_e32 v205, 31, v204
	s_delay_alu instid0(VALU_DEP_1) | instskip(NEXT) | instid1(VALU_DEP_1)
	v_lshlrev_b64 v[212:213], 2, v[204:205]
	v_add_co_u32 v212, vcc_lo, v202, v212
	s_delay_alu instid0(VALU_DEP_2)
	v_add_co_ci_u32_e32 v213, vcc_lo, v203, v213, vcc_lo
	s_clause 0x1
	flat_load_b32 v205, v[212:213]
	flat_load_b32 v210, v[202:203] offset:188
	s_waitcnt vmcnt(1) lgkmcnt(1)
	flat_store_b32 v[202:203], v205 offset:188
	s_waitcnt vmcnt(0) lgkmcnt(1)
	flat_store_b32 v[212:213], v210
.LBB96_1001:
	s_or_b32 exec_lo, exec_lo, s6
	v_mov_b32_e32 v212, v204
	v_mov_b32_e32 v210, v204
.LBB96_1002:
	s_or_b32 exec_lo, exec_lo, s3
.LBB96_1003:
	s_and_not1_saveexec_b32 s2, s2
	s_cbranch_execz .LBB96_1005
; %bb.1004:
	v_mov_b32_e32 v212, 47
	ds_store_2addr_b64 v206, v[0:1], v[2:3] offset0:96 offset1:97
.LBB96_1005:
	s_or_b32 exec_lo, exec_lo, s2
	s_delay_alu instid0(SALU_CYCLE_1)
	s_mov_b32 s2, exec_lo
	s_waitcnt lgkmcnt(0)
	s_waitcnt_vscnt null, 0x0
	s_barrier
	buffer_gl0_inv
	v_cmpx_lt_i32_e32 47, v212
	s_cbranch_execz .LBB96_1007
; %bb.1006:
	v_mul_f64 v[204:205], v[196:197], v[6:7]
	v_mul_f64 v[6:7], v[198:199], v[6:7]
	ds_load_2addr_b64 v[213:216], v206 offset0:96 offset1:97
	v_fma_f64 v[198:199], v[198:199], v[4:5], v[204:205]
	v_fma_f64 v[4:5], v[196:197], v[4:5], -v[6:7]
	s_waitcnt lgkmcnt(0)
	s_delay_alu instid0(VALU_DEP_2) | instskip(SKIP_1) | instid1(VALU_DEP_2)
	v_mul_f64 v[6:7], v[215:216], v[198:199]
	v_mul_f64 v[196:197], v[213:214], v[198:199]
	v_fma_f64 v[6:7], v[213:214], v[4:5], -v[6:7]
	s_delay_alu instid0(VALU_DEP_2) | instskip(NEXT) | instid1(VALU_DEP_2)
	v_fma_f64 v[196:197], v[215:216], v[4:5], v[196:197]
	v_add_f64 v[0:1], v[0:1], -v[6:7]
	s_delay_alu instid0(VALU_DEP_2)
	v_add_f64 v[2:3], v[2:3], -v[196:197]
	v_dual_mov_b32 v6, v198 :: v_dual_mov_b32 v7, v199
.LBB96_1007:
	s_or_b32 exec_lo, exec_lo, s2
	v_lshl_add_u32 v196, v212, 4, v206
	s_barrier
	buffer_gl0_inv
	v_mov_b32_e32 v204, 48
	ds_store_2addr_b64 v196, v[0:1], v[2:3] offset1:1
	s_waitcnt lgkmcnt(0)
	s_barrier
	buffer_gl0_inv
	ds_load_2addr_b64 v[196:199], v206 offset0:96 offset1:97
	s_cmp_lt_i32 s5, 50
	s_cbranch_scc1 .LBB96_1010
; %bb.1008:
	v_add3_u32 v205, v211, 0, 0x310
	v_mov_b32_e32 v204, 48
	s_mov_b32 s6, 49
	s_set_inst_prefetch_distance 0x1
	.p2align	6
.LBB96_1009:                            ; =>This Inner Loop Header: Depth=1
	ds_load_2addr_b64 v[213:216], v205 offset1:1
	s_waitcnt lgkmcnt(1)
	v_cmp_gt_f64_e32 vcc_lo, 0, v[196:197]
	v_xor_b32_e32 v206, 0x80000000, v197
	v_cmp_gt_f64_e64 s2, 0, v[198:199]
	v_xor_b32_e32 v211, 0x80000000, v199
	v_add_nc_u32_e32 v205, 16, v205
	s_waitcnt lgkmcnt(0)
	v_cmp_gt_f64_e64 s3, 0, v[213:214]
	v_mov_b32_e32 v221, v213
	v_dual_mov_b32 v223, v215 :: v_dual_cndmask_b32 v218, v197, v206
	v_xor_b32_e32 v206, 0x80000000, v214
	v_cndmask_b32_e64 v220, v199, v211, s2
	v_xor_b32_e32 v211, 0x80000000, v216
	v_cndmask_b32_e32 v217, v196, v196, vcc_lo
	v_cndmask_b32_e64 v219, v198, v198, s2
	s_delay_alu instid0(VALU_DEP_1) | instskip(SKIP_2) | instid1(VALU_DEP_1)
	v_add_f64 v[217:218], v[217:218], v[219:220]
	v_cndmask_b32_e64 v222, v214, v206, s3
	v_cmp_gt_f64_e64 s3, 0, v[215:216]
	v_cndmask_b32_e64 v224, v216, v211, s3
	s_delay_alu instid0(VALU_DEP_1) | instskip(NEXT) | instid1(VALU_DEP_1)
	v_add_f64 v[221:222], v[221:222], v[223:224]
	v_cmp_lt_f64_e32 vcc_lo, v[217:218], v[221:222]
	v_dual_cndmask_b32 v198, v198, v215 :: v_dual_cndmask_b32 v197, v197, v214
	v_dual_cndmask_b32 v196, v196, v213 :: v_dual_cndmask_b32 v199, v199, v216
	v_cndmask_b32_e64 v204, v204, s6, vcc_lo
	s_add_i32 s6, s6, 1
	s_delay_alu instid0(SALU_CYCLE_1)
	s_cmp_lg_u32 s5, s6
	s_cbranch_scc1 .LBB96_1009
.LBB96_1010:
	s_set_inst_prefetch_distance 0x2
	s_waitcnt lgkmcnt(0)
	v_cmp_eq_f64_e32 vcc_lo, 0, v[196:197]
	v_cmp_eq_f64_e64 s2, 0, v[198:199]
	s_delay_alu instid0(VALU_DEP_1) | instskip(NEXT) | instid1(SALU_CYCLE_1)
	s_and_b32 s2, vcc_lo, s2
	s_and_saveexec_b32 s3, s2
	s_delay_alu instid0(SALU_CYCLE_1)
	s_xor_b32 s2, exec_lo, s3
; %bb.1011:
	v_cmp_ne_u32_e32 vcc_lo, 0, v209
	v_cndmask_b32_e32 v209, 49, v209, vcc_lo
; %bb.1012:
	s_and_not1_saveexec_b32 s3, s2
	s_cbranch_execz .LBB96_1018
; %bb.1013:
	v_cmp_gt_f64_e32 vcc_lo, 0, v[196:197]
	v_cmp_gt_f64_e64 s2, 0, v[198:199]
	v_xor_b32_e32 v205, 0x80000000, v197
	v_xor_b32_e32 v211, 0x80000000, v199
	s_delay_alu instid0(VALU_DEP_2) | instskip(NEXT) | instid1(VALU_DEP_2)
	v_dual_cndmask_b32 v206, v197, v205 :: v_dual_cndmask_b32 v205, v196, v196
	v_cndmask_b32_e64 v214, v199, v211, s2
	v_cndmask_b32_e64 v213, v198, v198, s2
	s_mov_b32 s2, exec_lo
	s_delay_alu instid0(VALU_DEP_1)
	v_cmpx_ngt_f64_e32 v[205:206], v[213:214]
	s_xor_b32 s2, exec_lo, s2
	s_cbranch_execz .LBB96_1015
; %bb.1014:
	v_div_scale_f64 v[205:206], null, v[198:199], v[198:199], v[196:197]
	v_div_scale_f64 v[217:218], vcc_lo, v[196:197], v[198:199], v[196:197]
	s_delay_alu instid0(VALU_DEP_2) | instskip(SKIP_2) | instid1(VALU_DEP_1)
	v_rcp_f64_e32 v[213:214], v[205:206]
	s_waitcnt_depctr 0xfff
	v_fma_f64 v[215:216], -v[205:206], v[213:214], 1.0
	v_fma_f64 v[213:214], v[213:214], v[215:216], v[213:214]
	s_delay_alu instid0(VALU_DEP_1) | instskip(NEXT) | instid1(VALU_DEP_1)
	v_fma_f64 v[215:216], -v[205:206], v[213:214], 1.0
	v_fma_f64 v[213:214], v[213:214], v[215:216], v[213:214]
	s_delay_alu instid0(VALU_DEP_1) | instskip(NEXT) | instid1(VALU_DEP_1)
	v_mul_f64 v[215:216], v[217:218], v[213:214]
	v_fma_f64 v[205:206], -v[205:206], v[215:216], v[217:218]
	s_delay_alu instid0(VALU_DEP_1) | instskip(NEXT) | instid1(VALU_DEP_1)
	v_div_fmas_f64 v[205:206], v[205:206], v[213:214], v[215:216]
	v_div_fixup_f64 v[205:206], v[205:206], v[198:199], v[196:197]
	s_delay_alu instid0(VALU_DEP_1) | instskip(NEXT) | instid1(VALU_DEP_1)
	v_fma_f64 v[196:197], v[196:197], v[205:206], v[198:199]
	v_div_scale_f64 v[198:199], null, v[196:197], v[196:197], 1.0
	s_delay_alu instid0(VALU_DEP_1) | instskip(SKIP_2) | instid1(VALU_DEP_1)
	v_rcp_f64_e32 v[213:214], v[198:199]
	s_waitcnt_depctr 0xfff
	v_fma_f64 v[215:216], -v[198:199], v[213:214], 1.0
	v_fma_f64 v[213:214], v[213:214], v[215:216], v[213:214]
	s_delay_alu instid0(VALU_DEP_1) | instskip(NEXT) | instid1(VALU_DEP_1)
	v_fma_f64 v[215:216], -v[198:199], v[213:214], 1.0
	v_fma_f64 v[213:214], v[213:214], v[215:216], v[213:214]
	v_div_scale_f64 v[215:216], vcc_lo, 1.0, v[196:197], 1.0
	s_delay_alu instid0(VALU_DEP_1) | instskip(NEXT) | instid1(VALU_DEP_1)
	v_mul_f64 v[217:218], v[215:216], v[213:214]
	v_fma_f64 v[198:199], -v[198:199], v[217:218], v[215:216]
	s_delay_alu instid0(VALU_DEP_1) | instskip(NEXT) | instid1(VALU_DEP_1)
	v_div_fmas_f64 v[198:199], v[198:199], v[213:214], v[217:218]
	v_div_fixup_f64 v[198:199], v[198:199], v[196:197], 1.0
	s_delay_alu instid0(VALU_DEP_1)
	v_mul_f64 v[196:197], v[205:206], v[198:199]
	v_xor_b32_e32 v199, 0x80000000, v199
.LBB96_1015:
	s_and_not1_saveexec_b32 s2, s2
	s_cbranch_execz .LBB96_1017
; %bb.1016:
	s_delay_alu instid0(VALU_DEP_1) | instskip(SKIP_1) | instid1(VALU_DEP_2)
	v_div_scale_f64 v[205:206], null, v[196:197], v[196:197], v[198:199]
	v_div_scale_f64 v[217:218], vcc_lo, v[198:199], v[196:197], v[198:199]
	v_rcp_f64_e32 v[213:214], v[205:206]
	s_waitcnt_depctr 0xfff
	v_fma_f64 v[215:216], -v[205:206], v[213:214], 1.0
	s_delay_alu instid0(VALU_DEP_1) | instskip(NEXT) | instid1(VALU_DEP_1)
	v_fma_f64 v[213:214], v[213:214], v[215:216], v[213:214]
	v_fma_f64 v[215:216], -v[205:206], v[213:214], 1.0
	s_delay_alu instid0(VALU_DEP_1) | instskip(NEXT) | instid1(VALU_DEP_1)
	v_fma_f64 v[213:214], v[213:214], v[215:216], v[213:214]
	v_mul_f64 v[215:216], v[217:218], v[213:214]
	s_delay_alu instid0(VALU_DEP_1) | instskip(NEXT) | instid1(VALU_DEP_1)
	v_fma_f64 v[205:206], -v[205:206], v[215:216], v[217:218]
	v_div_fmas_f64 v[205:206], v[205:206], v[213:214], v[215:216]
	s_delay_alu instid0(VALU_DEP_1) | instskip(NEXT) | instid1(VALU_DEP_1)
	v_div_fixup_f64 v[205:206], v[205:206], v[196:197], v[198:199]
	v_fma_f64 v[196:197], v[198:199], v[205:206], v[196:197]
	s_delay_alu instid0(VALU_DEP_1) | instskip(NEXT) | instid1(VALU_DEP_1)
	v_div_scale_f64 v[198:199], null, v[196:197], v[196:197], 1.0
	v_rcp_f64_e32 v[213:214], v[198:199]
	s_waitcnt_depctr 0xfff
	v_fma_f64 v[215:216], -v[198:199], v[213:214], 1.0
	s_delay_alu instid0(VALU_DEP_1) | instskip(NEXT) | instid1(VALU_DEP_1)
	v_fma_f64 v[213:214], v[213:214], v[215:216], v[213:214]
	v_fma_f64 v[215:216], -v[198:199], v[213:214], 1.0
	s_delay_alu instid0(VALU_DEP_1) | instskip(SKIP_1) | instid1(VALU_DEP_1)
	v_fma_f64 v[213:214], v[213:214], v[215:216], v[213:214]
	v_div_scale_f64 v[215:216], vcc_lo, 1.0, v[196:197], 1.0
	v_mul_f64 v[217:218], v[215:216], v[213:214]
	s_delay_alu instid0(VALU_DEP_1) | instskip(NEXT) | instid1(VALU_DEP_1)
	v_fma_f64 v[198:199], -v[198:199], v[217:218], v[215:216]
	v_div_fmas_f64 v[198:199], v[198:199], v[213:214], v[217:218]
	s_delay_alu instid0(VALU_DEP_1) | instskip(NEXT) | instid1(VALU_DEP_1)
	v_div_fixup_f64 v[196:197], v[198:199], v[196:197], 1.0
	v_mul_f64 v[198:199], v[205:206], -v[196:197]
.LBB96_1017:
	s_or_b32 exec_lo, exec_lo, s2
.LBB96_1018:
	s_delay_alu instid0(SALU_CYCLE_1)
	s_or_b32 exec_lo, exec_lo, s3
	v_mov_b32_e32 v205, 48
	s_mov_b32 s2, exec_lo
	v_cmpx_ne_u32_e64 v212, v204
	s_cbranch_execz .LBB96_1024
; %bb.1019:
	s_mov_b32 s3, exec_lo
	v_cmpx_eq_u32_e32 48, v212
	s_cbranch_execz .LBB96_1023
; %bb.1020:
	v_cmp_ne_u32_e32 vcc_lo, 48, v204
	s_xor_b32 s4, s4, -1
	s_delay_alu instid0(SALU_CYCLE_1) | instskip(NEXT) | instid1(SALU_CYCLE_1)
	s_and_b32 s5, s4, vcc_lo
	s_and_saveexec_b32 s4, s5
	s_cbranch_execz .LBB96_1022
; %bb.1021:
	v_ashrrev_i32_e32 v205, 31, v204
	s_delay_alu instid0(VALU_DEP_1) | instskip(NEXT) | instid1(VALU_DEP_1)
	v_lshlrev_b64 v[205:206], 2, v[204:205]
	v_add_co_u32 v205, vcc_lo, v202, v205
	s_delay_alu instid0(VALU_DEP_2)
	v_add_co_ci_u32_e32 v206, vcc_lo, v203, v206, vcc_lo
	s_clause 0x1
	flat_load_b32 v210, v[205:206]
	flat_load_b32 v211, v[202:203] offset:192
	s_waitcnt vmcnt(1) lgkmcnt(1)
	flat_store_b32 v[202:203], v210 offset:192
	s_waitcnt vmcnt(0) lgkmcnt(1)
	flat_store_b32 v[205:206], v211
.LBB96_1022:
	s_or_b32 exec_lo, exec_lo, s4
	v_mov_b32_e32 v212, v204
	v_mov_b32_e32 v210, v204
.LBB96_1023:
	s_or_b32 exec_lo, exec_lo, s3
	s_delay_alu instid0(VALU_DEP_2)
	v_mov_b32_e32 v205, v212
.LBB96_1024:
	s_or_b32 exec_lo, exec_lo, s2
	s_delay_alu instid0(SALU_CYCLE_1)
	s_mov_b32 s2, exec_lo
	s_waitcnt lgkmcnt(0)
	s_waitcnt_vscnt null, 0x0
	s_barrier
	buffer_gl0_inv
	v_cmpx_lt_i32_e32 48, v205
; %bb.1025:
	v_mul_f64 v[202:203], v[198:199], v[2:3]
	v_mul_f64 v[2:3], v[196:197], v[2:3]
	s_delay_alu instid0(VALU_DEP_2) | instskip(NEXT) | instid1(VALU_DEP_2)
	v_fma_f64 v[196:197], v[196:197], v[0:1], -v[202:203]
	v_fma_f64 v[2:3], v[198:199], v[0:1], v[2:3]
	s_delay_alu instid0(VALU_DEP_2)
	v_dual_mov_b32 v0, v196 :: v_dual_mov_b32 v1, v197
; %bb.1026:
	s_or_b32 exec_lo, exec_lo, s2
	s_load_b256 s[0:7], s[0:1], 0x28
	v_ashrrev_i32_e32 v206, 31, v205
	s_mov_b32 s9, exec_lo
	s_waitcnt lgkmcnt(0)
	s_barrier
	buffer_gl0_inv
	v_cmpx_gt_i32_e32 49, v205
	s_cbranch_execz .LBB96_1028
; %bb.1027:
	v_mul_lo_u32 v198, v201, s4
	v_mul_lo_u32 v199, v200, s5
	v_mad_u64_u32 v[196:197], null, v200, s4, 0
	s_lshl_b64 s[2:3], s[2:3], 2
	s_delay_alu instid0(SALU_CYCLE_1) | instskip(SKIP_1) | instid1(VALU_DEP_1)
	s_add_u32 s0, s2, s0
	s_addc_u32 s1, s3, s1
	v_add3_u32 v197, v197, v199, v198
	v_lshlrev_b64 v[198:199], 2, v[205:206]
	s_delay_alu instid0(VALU_DEP_2) | instskip(NEXT) | instid1(VALU_DEP_1)
	v_lshlrev_b64 v[196:197], 2, v[196:197]
	v_add_co_u32 v196, vcc_lo, s0, v196
	s_delay_alu instid0(VALU_DEP_2) | instskip(NEXT) | instid1(VALU_DEP_2)
	v_add_co_ci_u32_e32 v197, vcc_lo, s1, v197, vcc_lo
	v_add_co_u32 v196, vcc_lo, v196, v198
	s_delay_alu instid0(VALU_DEP_2)
	v_add_co_ci_u32_e32 v197, vcc_lo, v197, v199, vcc_lo
	v_add3_u32 v198, v210, s13, 1
	global_store_b32 v[196:197], v198, off
.LBB96_1028:
	s_or_b32 exec_lo, exec_lo, s9
	s_delay_alu instid0(SALU_CYCLE_1)
	s_mov_b32 s1, exec_lo
	v_cmpx_eq_u32_e32 0, v205
	s_cbranch_execz .LBB96_1031
; %bb.1029:
	v_lshlrev_b64 v[196:197], 2, v[200:201]
	v_cmp_lt_i32_e64 s0, 0, v209
	s_delay_alu instid0(VALU_DEP_2) | instskip(NEXT) | instid1(VALU_DEP_3)
	v_add_co_u32 v196, vcc_lo, s6, v196
	v_add_co_ci_u32_e32 v197, vcc_lo, s7, v197, vcc_lo
	global_load_b32 v198, v[196:197], off
	s_waitcnt vmcnt(0)
	v_cmp_eq_u32_e32 vcc_lo, 0, v198
	s_and_b32 s0, vcc_lo, s0
	s_delay_alu instid0(SALU_CYCLE_1)
	s_and_b32 exec_lo, exec_lo, s0
	s_cbranch_execz .LBB96_1031
; %bb.1030:
	v_add_nc_u32_e32 v198, s13, v209
	global_store_b32 v[196:197], v198, off
.LBB96_1031:
	s_or_b32 exec_lo, exec_lo, s1
	v_lshlrev_b64 v[198:199], 4, v[205:206]
	v_add3_u32 v196, s8, s8, v205
	s_delay_alu instid0(VALU_DEP_1) | instskip(NEXT) | instid1(VALU_DEP_3)
	v_add_nc_u32_e32 v200, s8, v196
	v_add_co_u32 v198, vcc_lo, v207, v198
	s_delay_alu instid0(VALU_DEP_4) | instskip(SKIP_1) | instid1(VALU_DEP_3)
	v_add_co_ci_u32_e32 v199, vcc_lo, v208, v199, vcc_lo
	v_ashrrev_i32_e32 v197, 31, v196
	v_add_co_u32 v202, vcc_lo, v198, s10
	s_delay_alu instid0(VALU_DEP_3)
	v_add_co_ci_u32_e32 v203, vcc_lo, s11, v199, vcc_lo
	v_ashrrev_i32_e32 v201, 31, v200
	global_store_b128 v[198:199], v[192:195], off
	v_lshlrev_b64 v[196:197], 4, v[196:197]
	global_store_b128 v[202:203], v[188:191], off
	v_add_nc_u32_e32 v188, s8, v200
	v_lshlrev_b64 v[192:193], 4, v[200:201]
	v_add_co_u32 v190, vcc_lo, v207, v196
	s_delay_alu instid0(VALU_DEP_3) | instskip(SKIP_3) | instid1(VALU_DEP_4)
	v_add_nc_u32_e32 v194, s8, v188
	v_ashrrev_i32_e32 v189, 31, v188
	v_add_co_ci_u32_e32 v191, vcc_lo, v208, v197, vcc_lo
	v_add_co_u32 v192, vcc_lo, v207, v192
	v_add_nc_u32_e32 v196, s8, v194
	v_ashrrev_i32_e32 v195, 31, v194
	v_add_co_ci_u32_e32 v193, vcc_lo, v208, v193, vcc_lo
	v_lshlrev_b64 v[188:189], 4, v[188:189]
	s_delay_alu instid0(VALU_DEP_4)
	v_ashrrev_i32_e32 v197, 31, v196
	s_clause 0x1
	global_store_b128 v[190:191], v[184:187], off
	global_store_b128 v[192:193], v[180:183], off
	v_lshlrev_b64 v[180:181], 4, v[194:195]
	v_add_nc_u32_e32 v186, s8, v196
	v_add_co_u32 v182, vcc_lo, v207, v188
	v_lshlrev_b64 v[184:185], 4, v[196:197]
	v_add_co_ci_u32_e32 v183, vcc_lo, v208, v189, vcc_lo
	v_add_co_u32 v180, vcc_lo, v207, v180
	v_add_co_ci_u32_e32 v181, vcc_lo, v208, v181, vcc_lo
	s_delay_alu instid0(VALU_DEP_4)
	v_add_co_u32 v184, vcc_lo, v207, v184
	v_add_nc_u32_e32 v188, s8, v186
	v_add_co_ci_u32_e32 v185, vcc_lo, v208, v185, vcc_lo
	v_ashrrev_i32_e32 v187, 31, v186
	global_store_b128 v[182:183], v[176:179], off
	v_ashrrev_i32_e32 v189, 31, v188
	s_clause 0x1
	global_store_b128 v[180:181], v[172:175], off
	global_store_b128 v[184:185], v[168:171], off
	v_add_nc_u32_e32 v170, s8, v188
	v_lshlrev_b64 v[176:177], 4, v[186:187]
	v_lshlrev_b64 v[168:169], 4, v[188:189]
	s_delay_alu instid0(VALU_DEP_3) | instskip(SKIP_1) | instid1(VALU_DEP_4)
	v_add_nc_u32_e32 v174, s8, v170
	v_ashrrev_i32_e32 v171, 31, v170
	v_add_co_u32 v172, vcc_lo, v207, v176
	v_add_co_ci_u32_e32 v173, vcc_lo, v208, v177, vcc_lo
	s_delay_alu instid0(VALU_DEP_4)
	v_add_nc_u32_e32 v176, s8, v174
	v_add_co_u32 v168, vcc_lo, v207, v168
	v_ashrrev_i32_e32 v175, 31, v174
	v_add_co_ci_u32_e32 v169, vcc_lo, v208, v169, vcc_lo
	v_lshlrev_b64 v[170:171], 4, v[170:171]
	v_ashrrev_i32_e32 v177, 31, v176
	s_clause 0x1
	global_store_b128 v[172:173], v[164:167], off
	global_store_b128 v[168:169], v[160:163], off
	v_lshlrev_b64 v[160:161], 4, v[174:175]
	v_add_nc_u32_e32 v166, s8, v176
	v_add_co_u32 v162, vcc_lo, v207, v170
	v_lshlrev_b64 v[164:165], 4, v[176:177]
	v_add_co_ci_u32_e32 v163, vcc_lo, v208, v171, vcc_lo
	v_add_co_u32 v160, vcc_lo, v207, v160
	v_add_co_ci_u32_e32 v161, vcc_lo, v208, v161, vcc_lo
	s_delay_alu instid0(VALU_DEP_4)
	v_add_co_u32 v164, vcc_lo, v207, v164
	v_add_nc_u32_e32 v168, s8, v166
	v_add_co_ci_u32_e32 v165, vcc_lo, v208, v165, vcc_lo
	v_ashrrev_i32_e32 v167, 31, v166
	global_store_b128 v[162:163], v[156:159], off
	v_ashrrev_i32_e32 v169, 31, v168
	s_clause 0x1
	global_store_b128 v[160:161], v[152:155], off
	global_store_b128 v[164:165], v[148:151], off
	v_add_nc_u32_e32 v150, s8, v168
	v_lshlrev_b64 v[156:157], 4, v[166:167]
	v_lshlrev_b64 v[148:149], 4, v[168:169]
	s_delay_alu instid0(VALU_DEP_3) | instskip(SKIP_1) | instid1(VALU_DEP_4)
	v_add_nc_u32_e32 v154, s8, v150
	v_ashrrev_i32_e32 v151, 31, v150
	v_add_co_u32 v152, vcc_lo, v207, v156
	v_add_co_ci_u32_e32 v153, vcc_lo, v208, v157, vcc_lo
	s_delay_alu instid0(VALU_DEP_4)
	v_add_nc_u32_e32 v156, s8, v154
	v_add_co_u32 v148, vcc_lo, v207, v148
	v_ashrrev_i32_e32 v155, 31, v154
	v_add_co_ci_u32_e32 v149, vcc_lo, v208, v149, vcc_lo
	v_lshlrev_b64 v[150:151], 4, v[150:151]
	;; [unrolled: 35-line block ×7, first 2 shown]
	v_ashrrev_i32_e32 v57, 31, v56
	s_clause 0x1
	global_store_b128 v[52:53], v[44:47], off
	global_store_b128 v[48:49], v[40:43], off
	v_lshlrev_b64 v[40:41], 4, v[54:55]
	v_add_nc_u32_e32 v46, s8, v56
	v_add_co_u32 v42, vcc_lo, v207, v50
	v_lshlrev_b64 v[44:45], 4, v[56:57]
	v_add_co_ci_u32_e32 v43, vcc_lo, v208, v51, vcc_lo
	v_add_co_u32 v40, vcc_lo, v207, v40
	v_add_nc_u32_e32 v48, s8, v46
	v_add_co_ci_u32_e32 v41, vcc_lo, v208, v41, vcc_lo
	v_ashrrev_i32_e32 v47, 31, v46
	v_add_co_u32 v44, vcc_lo, v207, v44
	v_add_co_ci_u32_e32 v45, vcc_lo, v208, v45, vcc_lo
	v_ashrrev_i32_e32 v49, 31, v48
	global_store_b128 v[42:43], v[36:39], off
	v_lshlrev_b64 v[36:37], 4, v[46:47]
	s_clause 0x1
	global_store_b128 v[40:41], v[32:35], off
	global_store_b128 v[44:45], v[28:31], off
	v_add_nc_u32_e32 v30, s8, v48
	v_lshlrev_b64 v[28:29], 4, v[48:49]
	v_add_co_u32 v32, vcc_lo, v207, v36
	s_delay_alu instid0(VALU_DEP_3) | instskip(SKIP_1) | instid1(VALU_DEP_4)
	v_add_nc_u32_e32 v34, s8, v30
	v_add_co_ci_u32_e32 v33, vcc_lo, v208, v37, vcc_lo
	v_add_co_u32 v28, vcc_lo, v207, v28
	v_add_co_ci_u32_e32 v29, vcc_lo, v208, v29, vcc_lo
	s_delay_alu instid0(VALU_DEP_4)
	v_add_nc_u32_e32 v36, s8, v34
	v_ashrrev_i32_e32 v31, 31, v30
	s_clause 0x1
	global_store_b128 v[32:33], v[24:27], off
	global_store_b128 v[28:29], v[20:23], off
	v_ashrrev_i32_e32 v35, 31, v34
	v_add_nc_u32_e32 v22, s8, v36
	v_lshlrev_b64 v[24:25], 4, v[30:31]
	v_ashrrev_i32_e32 v37, 31, v36
	s_delay_alu instid0(VALU_DEP_4) | instskip(NEXT) | instid1(VALU_DEP_4)
	v_lshlrev_b64 v[20:21], 4, v[34:35]
	v_add_nc_u32_e32 v28, s8, v22
	v_ashrrev_i32_e32 v23, 31, v22
	v_add_co_u32 v24, vcc_lo, v207, v24
	v_lshlrev_b64 v[26:27], 4, v[36:37]
	s_delay_alu instid0(VALU_DEP_4)
	v_ashrrev_i32_e32 v29, 31, v28
	v_add_co_ci_u32_e32 v25, vcc_lo, v208, v25, vcc_lo
	v_add_co_u32 v20, vcc_lo, v207, v20
	v_lshlrev_b64 v[22:23], 4, v[22:23]
	v_add_co_ci_u32_e32 v21, vcc_lo, v208, v21, vcc_lo
	v_add_co_u32 v26, vcc_lo, v207, v26
	v_lshlrev_b64 v[28:29], 4, v[28:29]
	v_add_co_ci_u32_e32 v27, vcc_lo, v208, v27, vcc_lo
	v_add_co_u32 v22, vcc_lo, v207, v22
	v_add_co_ci_u32_e32 v23, vcc_lo, v208, v23, vcc_lo
	s_delay_alu instid0(VALU_DEP_4)
	v_add_co_u32 v28, vcc_lo, v207, v28
	v_add_co_ci_u32_e32 v29, vcc_lo, v208, v29, vcc_lo
	s_clause 0x4
	global_store_b128 v[24:25], v[16:19], off
	global_store_b128 v[20:21], v[12:15], off
	;; [unrolled: 1-line block ×5, first 2 shown]
.LBB96_1032:
	s_nop 0
	s_sendmsg sendmsg(MSG_DEALLOC_VGPRS)
	s_endpgm
	.section	.rodata,"a",@progbits
	.p2align	6, 0x0
	.amdhsa_kernel _ZN9rocsolver6v33100L18getf2_small_kernelILi49E19rocblas_complex_numIdEiiPKPS3_EEvT1_T3_lS7_lPS7_llPT2_S7_S7_S9_l
		.amdhsa_group_segment_fixed_size 0
		.amdhsa_private_segment_fixed_size 0
		.amdhsa_kernarg_size 352
		.amdhsa_user_sgpr_count 14
		.amdhsa_user_sgpr_dispatch_ptr 0
		.amdhsa_user_sgpr_queue_ptr 0
		.amdhsa_user_sgpr_kernarg_segment_ptr 1
		.amdhsa_user_sgpr_dispatch_id 0
		.amdhsa_user_sgpr_private_segment_size 0
		.amdhsa_wavefront_size32 1
		.amdhsa_uses_dynamic_stack 0
		.amdhsa_enable_private_segment 0
		.amdhsa_system_sgpr_workgroup_id_x 1
		.amdhsa_system_sgpr_workgroup_id_y 1
		.amdhsa_system_sgpr_workgroup_id_z 0
		.amdhsa_system_sgpr_workgroup_info 0
		.amdhsa_system_vgpr_workitem_id 1
		.amdhsa_next_free_vgpr 247
		.amdhsa_next_free_sgpr 18
		.amdhsa_reserve_vcc 1
		.amdhsa_float_round_mode_32 0
		.amdhsa_float_round_mode_16_64 0
		.amdhsa_float_denorm_mode_32 3
		.amdhsa_float_denorm_mode_16_64 3
		.amdhsa_dx10_clamp 1
		.amdhsa_ieee_mode 1
		.amdhsa_fp16_overflow 0
		.amdhsa_workgroup_processor_mode 1
		.amdhsa_memory_ordered 1
		.amdhsa_forward_progress 0
		.amdhsa_shared_vgpr_count 0
		.amdhsa_exception_fp_ieee_invalid_op 0
		.amdhsa_exception_fp_denorm_src 0
		.amdhsa_exception_fp_ieee_div_zero 0
		.amdhsa_exception_fp_ieee_overflow 0
		.amdhsa_exception_fp_ieee_underflow 0
		.amdhsa_exception_fp_ieee_inexact 0
		.amdhsa_exception_int_div_zero 0
	.end_amdhsa_kernel
	.section	.text._ZN9rocsolver6v33100L18getf2_small_kernelILi49E19rocblas_complex_numIdEiiPKPS3_EEvT1_T3_lS7_lPS7_llPT2_S7_S7_S9_l,"axG",@progbits,_ZN9rocsolver6v33100L18getf2_small_kernelILi49E19rocblas_complex_numIdEiiPKPS3_EEvT1_T3_lS7_lPS7_llPT2_S7_S7_S9_l,comdat
.Lfunc_end96:
	.size	_ZN9rocsolver6v33100L18getf2_small_kernelILi49E19rocblas_complex_numIdEiiPKPS3_EEvT1_T3_lS7_lPS7_llPT2_S7_S7_S9_l, .Lfunc_end96-_ZN9rocsolver6v33100L18getf2_small_kernelILi49E19rocblas_complex_numIdEiiPKPS3_EEvT1_T3_lS7_lPS7_llPT2_S7_S7_S9_l
                                        ; -- End function
	.section	.AMDGPU.csdata,"",@progbits
; Kernel info:
; codeLenInByte = 150304
; NumSgprs: 20
; NumVgprs: 247
; ScratchSize: 0
; MemoryBound: 0
; FloatMode: 240
; IeeeMode: 1
; LDSByteSize: 0 bytes/workgroup (compile time only)
; SGPRBlocks: 2
; VGPRBlocks: 30
; NumSGPRsForWavesPerEU: 20
; NumVGPRsForWavesPerEU: 247
; Occupancy: 5
; WaveLimiterHint : 1
; COMPUTE_PGM_RSRC2:SCRATCH_EN: 0
; COMPUTE_PGM_RSRC2:USER_SGPR: 14
; COMPUTE_PGM_RSRC2:TRAP_HANDLER: 0
; COMPUTE_PGM_RSRC2:TGID_X_EN: 1
; COMPUTE_PGM_RSRC2:TGID_Y_EN: 1
; COMPUTE_PGM_RSRC2:TGID_Z_EN: 0
; COMPUTE_PGM_RSRC2:TIDIG_COMP_CNT: 1
	.section	.text._ZN9rocsolver6v33100L23getf2_npvt_small_kernelILi49E19rocblas_complex_numIdEiiPKPS3_EEvT1_T3_lS7_lPT2_S7_S7_,"axG",@progbits,_ZN9rocsolver6v33100L23getf2_npvt_small_kernelILi49E19rocblas_complex_numIdEiiPKPS3_EEvT1_T3_lS7_lPT2_S7_S7_,comdat
	.globl	_ZN9rocsolver6v33100L23getf2_npvt_small_kernelILi49E19rocblas_complex_numIdEiiPKPS3_EEvT1_T3_lS7_lPT2_S7_S7_ ; -- Begin function _ZN9rocsolver6v33100L23getf2_npvt_small_kernelILi49E19rocblas_complex_numIdEiiPKPS3_EEvT1_T3_lS7_lPT2_S7_S7_
	.p2align	8
	.type	_ZN9rocsolver6v33100L23getf2_npvt_small_kernelILi49E19rocblas_complex_numIdEiiPKPS3_EEvT1_T3_lS7_lPT2_S7_S7_,@function
_ZN9rocsolver6v33100L23getf2_npvt_small_kernelILi49E19rocblas_complex_numIdEiiPKPS3_EEvT1_T3_lS7_lPT2_S7_S7_: ; @_ZN9rocsolver6v33100L23getf2_npvt_small_kernelILi49E19rocblas_complex_numIdEiiPKPS3_EEvT1_T3_lS7_lPT2_S7_S7_
; %bb.0:
	s_clause 0x1
	s_load_b32 s2, s[0:1], 0x44
	s_load_b64 s[10:11], s[0:1], 0x30
	v_bfe_u32 v1, v0, 10, 10
	s_waitcnt lgkmcnt(0)
	s_lshr_b32 s8, s2, 16
	s_mov_b32 s2, exec_lo
	s_delay_alu instid0(VALU_DEP_1) | instskip(NEXT) | instid1(VALU_DEP_1)
	v_mad_u64_u32 v[221:222], null, s15, s8, v[1:2]
	v_cmpx_gt_i32_e64 s10, v221
	s_cbranch_execnz .LBB97_1
; %bb.447:
	s_getpc_b64 s[0:1]
.Lpost_getpc5:
	s_add_u32 s0, s0, (.LBB97_446-.Lpost_getpc5)&4294967295
	s_addc_u32 s1, s1, (.LBB97_446-.Lpost_getpc5)>>32
	s_setpc_b64 s[0:1]
.LBB97_1:
	s_clause 0x1
	s_load_b128 s[4:7], s[0:1], 0x8
	s_load_b32 s2, s[0:1], 0x18
	v_ashrrev_i32_e32 v222, 31, v221
	v_and_b32_e32 v214, 0x3ff, v0
	v_mad_u32_u24 v216, 0x310, v1, 0
	v_lshlrev_b32_e32 v1, 4, v1
	s_mulk_i32 s8, 0x310
	v_lshlrev_b64 v[2:3], 3, v[221:222]
	s_delay_alu instid0(VALU_DEP_2) | instskip(SKIP_1) | instid1(VALU_DEP_2)
	v_add3_u32 v215, 0, s8, v1
	s_waitcnt lgkmcnt(0)
	v_add_co_u32 v2, vcc_lo, s4, v2
	s_delay_alu instid0(VALU_DEP_3)
	v_add_co_ci_u32_e32 v3, vcc_lo, s5, v3, vcc_lo
	v_add3_u32 v4, s2, s2, v214
	s_lshl_b64 s[4:5], s[6:7], 4
	s_ashr_i32 s3, s2, 31
	global_load_b64 v[2:3], v[2:3], off
	v_add_nc_u32_e32 v6, s2, v4
	v_ashrrev_i32_e32 v5, 31, v4
	s_delay_alu instid0(VALU_DEP_2) | instskip(NEXT) | instid1(VALU_DEP_2)
	v_add_nc_u32_e32 v10, s2, v6
	v_lshlrev_b64 v[8:9], 4, v[4:5]
	v_ashrrev_i32_e32 v7, 31, v6
	s_delay_alu instid0(VALU_DEP_3) | instskip(SKIP_1) | instid1(VALU_DEP_3)
	v_add_nc_u32_e32 v12, s2, v10
	v_ashrrev_i32_e32 v11, 31, v10
	v_lshlrev_b64 v[6:7], 4, v[6:7]
	s_delay_alu instid0(VALU_DEP_3) | instskip(SKIP_1) | instid1(VALU_DEP_4)
	v_add_nc_u32_e32 v14, s2, v12
	v_ashrrev_i32_e32 v13, 31, v12
	v_lshlrev_b64 v[4:5], 4, v[10:11]
	s_delay_alu instid0(VALU_DEP_3) | instskip(NEXT) | instid1(VALU_DEP_3)
	v_add_nc_u32_e32 v16, s2, v14
	v_lshlrev_b64 v[10:11], 4, v[12:13]
	v_ashrrev_i32_e32 v15, 31, v14
	s_delay_alu instid0(VALU_DEP_3) | instskip(SKIP_1) | instid1(VALU_DEP_3)
	v_add_nc_u32_e32 v18, s2, v16
	v_ashrrev_i32_e32 v17, 31, v16
	v_lshlrev_b64 v[14:15], 4, v[14:15]
	s_delay_alu instid0(VALU_DEP_3) | instskip(SKIP_1) | instid1(VALU_DEP_4)
	v_add_nc_u32_e32 v20, s2, v18
	v_ashrrev_i32_e32 v19, 31, v18
	v_lshlrev_b64 v[16:17], 4, v[16:17]
	s_delay_alu instid0(VALU_DEP_3) | instskip(SKIP_1) | instid1(VALU_DEP_4)
	;; [unrolled: 4-line block ×22, first 2 shown]
	v_ashrrev_i32_e32 v59, 31, v58
	v_add_nc_u32_e32 v60, s2, v58
	v_lshlrev_b64 v[56:57], 4, v[56:57]
	s_delay_alu instid0(VALU_DEP_2) | instskip(SKIP_4) | instid1(VALU_DEP_3)
	v_ashrrev_i32_e32 v61, 31, v60
	s_waitcnt vmcnt(0)
	v_add_co_u32 v0, vcc_lo, v2, s4
	v_add_co_ci_u32_e32 v62, vcc_lo, s5, v3, vcc_lo
	v_lshlrev_b64 v[2:3], 4, v[58:59]
	v_add_co_u32 v91, vcc_lo, v0, v8
	s_delay_alu instid0(VALU_DEP_3)
	v_add_co_ci_u32_e32 v92, vcc_lo, v62, v9, vcc_lo
	v_add_co_u32 v89, vcc_lo, v0, v6
	v_add_co_ci_u32_e32 v90, vcc_lo, v62, v7, vcc_lo
	v_add_co_u32 v87, vcc_lo, v0, v4
	;; [unrolled: 2-line block ×27, first 2 shown]
	v_add_co_ci_u32_e32 v14, vcc_lo, v62, v3, vcc_lo
	v_lshlrev_b64 v[2:3], 4, v[60:61]
	s_delay_alu instid0(VALU_DEP_1) | instskip(SKIP_1) | instid1(VALU_DEP_3)
	v_add_co_u32 v9, vcc_lo, v0, v2
	v_add_nc_u32_e32 v2, s2, v60
	v_add_co_ci_u32_e32 v10, vcc_lo, v62, v3, vcc_lo
	s_delay_alu instid0(VALU_DEP_2) | instskip(NEXT) | instid1(VALU_DEP_1)
	v_ashrrev_i32_e32 v3, 31, v2
	v_lshlrev_b64 v[3:4], 4, v[2:3]
	v_add_nc_u32_e32 v2, s2, v2
	s_delay_alu instid0(VALU_DEP_2) | instskip(NEXT) | instid1(VALU_DEP_2)
	v_add_co_u32 v7, vcc_lo, v0, v3
	v_ashrrev_i32_e32 v3, 31, v2
	s_delay_alu instid0(VALU_DEP_4) | instskip(NEXT) | instid1(VALU_DEP_2)
	v_add_co_ci_u32_e32 v8, vcc_lo, v62, v4, vcc_lo
	v_lshlrev_b64 v[3:4], 4, v[2:3]
	v_add_nc_u32_e32 v2, s2, v2
	s_delay_alu instid0(VALU_DEP_2) | instskip(NEXT) | instid1(VALU_DEP_2)
	v_add_co_u32 v190, vcc_lo, v0, v3
	v_ashrrev_i32_e32 v3, 31, v2
	s_delay_alu instid0(VALU_DEP_4) | instskip(NEXT) | instid1(VALU_DEP_2)
	v_add_co_ci_u32_e32 v191, vcc_lo, v62, v4, vcc_lo
	;; [unrolled: 7-line block ×16, first 2 shown]
	v_lshlrev_b64 v[3:4], 4, v[2:3]
	v_add_nc_u32_e32 v2, s2, v2
	s_lshl_b64 s[2:3], s[2:3], 4
	s_delay_alu instid0(VALU_DEP_2) | instskip(NEXT) | instid1(VALU_DEP_2)
	v_add_co_u32 v198, vcc_lo, v0, v3
	v_ashrrev_i32_e32 v3, 31, v2
	s_delay_alu instid0(VALU_DEP_4) | instskip(NEXT) | instid1(VALU_DEP_2)
	v_add_co_ci_u32_e32 v199, vcc_lo, v62, v4, vcc_lo
	v_lshlrev_b64 v[2:3], 4, v[2:3]
	s_delay_alu instid0(VALU_DEP_1) | instskip(SKIP_1) | instid1(VALU_DEP_3)
	v_add_co_u32 v200, vcc_lo, v0, v2
	v_lshlrev_b32_e32 v2, 4, v214
	v_add_co_ci_u32_e32 v201, vcc_lo, v62, v3, vcc_lo
	s_delay_alu instid0(VALU_DEP_2) | instskip(SKIP_1) | instid1(VALU_DEP_2)
	v_add_co_u32 v37, vcc_lo, v0, v2
	v_add_co_ci_u32_e32 v38, vcc_lo, 0, v62, vcc_lo
	v_add_co_u32 v2, vcc_lo, v37, s2
	s_delay_alu instid0(VALU_DEP_2)
	v_add_co_ci_u32_e32 v3, vcc_lo, s3, v38, vcc_lo
	scratch_store_b64 off, v[37:38], off offset:336 ; 8-byte Folded Spill
	global_load_b128 v[37:40], v[37:38], off
	v_cmp_ne_u32_e64 s3, 0, v214
	v_cmp_eq_u32_e64 s2, 0, v214
	s_waitcnt vmcnt(0)
	s_clause 0x1
	scratch_store_b128 off, v[37:40], off offset:16
	scratch_store_b64 off, v[2:3], off offset:328
	global_load_b128 v[0:3], v[2:3], off
	s_waitcnt vmcnt(0)
	s_clause 0x1e
	scratch_store_b128 off, v[0:3], off
	scratch_store_b64 off, v[91:92], off offset:320
	scratch_store_b64 off, v[89:90], off offset:312
	;; [unrolled: 1-line block ×30, first 2 shown]
	s_clause 0x1f
	global_load_b128 v[184:187], v[91:92], off
	global_load_b128 v[180:183], v[89:90], off
	;; [unrolled: 1-line block ×33, first 2 shown]
	scratch_store_b64 off, v[5:6], off offset:32 ; 8-byte Folded Spill
	s_clause 0x5
	global_load_b128 v[52:55], v[5:6], off
	global_load_b128 v[48:51], v[231:232], off
	;; [unrolled: 1-line block ×6, first 2 shown]
	scratch_store_b64 off, v[202:203], off offset:712 ; 8-byte Folded Spill
	s_clause 0x1
	global_load_b128 v[28:31], v[202:203], off
	global_load_b128 v[24:27], v[225:226], off
	s_clause 0x3
	scratch_store_b64 off, v[11:12], off offset:56
	scratch_store_b64 off, v[188:189], off offset:88
	;; [unrolled: 1-line block ×4, first 2 shown]
	s_clause 0x5
	global_load_b128 v[20:23], v[11:12], off
	global_load_b128 v[16:19], v[188:189], off
	;; [unrolled: 1-line block ×6, first 2 shown]
	s_clause 0x1
	scratch_store_b64 off, v[198:199], off offset:176
	scratch_store_b64 off, v[200:201], off offset:208
	s_and_saveexec_b32 s5, s2
	s_cbranch_execz .LBB97_8
; %bb.2:
	scratch_load_b128 v[196:199], off, off offset:16 ; 16-byte Folded Reload
	s_waitcnt vmcnt(0)
	ds_store_2addr_b64 v215, v[196:197], v[198:199] offset1:1
	scratch_load_b128 v[196:199], off, off  ; 16-byte Folded Reload
	s_waitcnt vmcnt(0)
	ds_store_2addr_b64 v216, v[196:197], v[198:199] offset0:2 offset1:3
	ds_store_2addr_b64 v216, v[184:185], v[186:187] offset0:4 offset1:5
	;; [unrolled: 1-line block ×48, first 2 shown]
	ds_load_2addr_b64 v[196:199], v215 offset1:1
	s_waitcnt lgkmcnt(0)
	v_cmp_neq_f64_e32 vcc_lo, 0, v[196:197]
	v_cmp_neq_f64_e64 s4, 0, v[198:199]
	s_delay_alu instid0(VALU_DEP_1) | instskip(NEXT) | instid1(SALU_CYCLE_1)
	s_or_b32 s4, vcc_lo, s4
	s_and_b32 exec_lo, exec_lo, s4
	s_cbranch_execz .LBB97_8
; %bb.3:
	v_cmp_gt_f64_e32 vcc_lo, 0, v[196:197]
	v_xor_b32_e32 v200, 0x80000000, v197
	v_xor_b32_e32 v202, 0x80000000, v199
	s_mov_b32 s4, exec_lo
                                        ; implicit-def: $vgpr204_vgpr205
	s_delay_alu instid0(VALU_DEP_2) | instskip(SKIP_4) | instid1(VALU_DEP_1)
	v_cndmask_b32_e32 v201, v197, v200, vcc_lo
	v_cndmask_b32_e32 v200, v196, v196, vcc_lo
	v_cmp_gt_f64_e32 vcc_lo, 0, v[198:199]
	v_cndmask_b32_e32 v203, v199, v202, vcc_lo
	v_cndmask_b32_e32 v202, v198, v198, vcc_lo
	v_cmpx_ngt_f64_e32 v[200:201], v[202:203]
	s_xor_b32 s4, exec_lo, s4
                                        ; implicit-def: $vgpr200_vgpr201_vgpr202_vgpr203
	s_cbranch_execz .LBB97_5
; %bb.4:
	v_div_scale_f64 v[200:201], null, v[198:199], v[198:199], v[196:197]
	v_div_scale_f64 v[206:207], vcc_lo, v[196:197], v[198:199], v[196:197]
	s_delay_alu instid0(VALU_DEP_2) | instskip(SKIP_2) | instid1(VALU_DEP_1)
	v_rcp_f64_e32 v[202:203], v[200:201]
	s_waitcnt_depctr 0xfff
	v_fma_f64 v[204:205], -v[200:201], v[202:203], 1.0
	v_fma_f64 v[202:203], v[202:203], v[204:205], v[202:203]
	s_delay_alu instid0(VALU_DEP_1) | instskip(NEXT) | instid1(VALU_DEP_1)
	v_fma_f64 v[204:205], -v[200:201], v[202:203], 1.0
	v_fma_f64 v[202:203], v[202:203], v[204:205], v[202:203]
	s_delay_alu instid0(VALU_DEP_1) | instskip(NEXT) | instid1(VALU_DEP_1)
	v_mul_f64 v[204:205], v[206:207], v[202:203]
	v_fma_f64 v[200:201], -v[200:201], v[204:205], v[206:207]
	s_delay_alu instid0(VALU_DEP_1) | instskip(NEXT) | instid1(VALU_DEP_1)
	v_div_fmas_f64 v[200:201], v[200:201], v[202:203], v[204:205]
	v_div_fixup_f64 v[200:201], v[200:201], v[198:199], v[196:197]
	s_delay_alu instid0(VALU_DEP_1) | instskip(NEXT) | instid1(VALU_DEP_1)
	v_fma_f64 v[196:197], v[196:197], v[200:201], v[198:199]
	v_div_scale_f64 v[198:199], null, v[196:197], v[196:197], 1.0
	s_delay_alu instid0(VALU_DEP_1) | instskip(SKIP_2) | instid1(VALU_DEP_1)
	v_rcp_f64_e32 v[202:203], v[198:199]
	s_waitcnt_depctr 0xfff
	v_fma_f64 v[204:205], -v[198:199], v[202:203], 1.0
	v_fma_f64 v[202:203], v[202:203], v[204:205], v[202:203]
	s_delay_alu instid0(VALU_DEP_1) | instskip(NEXT) | instid1(VALU_DEP_1)
	v_fma_f64 v[204:205], -v[198:199], v[202:203], 1.0
	v_fma_f64 v[202:203], v[202:203], v[204:205], v[202:203]
	v_div_scale_f64 v[204:205], vcc_lo, 1.0, v[196:197], 1.0
	s_delay_alu instid0(VALU_DEP_1) | instskip(NEXT) | instid1(VALU_DEP_1)
	v_mul_f64 v[206:207], v[204:205], v[202:203]
	v_fma_f64 v[198:199], -v[198:199], v[206:207], v[204:205]
	s_delay_alu instid0(VALU_DEP_1) | instskip(NEXT) | instid1(VALU_DEP_1)
	v_div_fmas_f64 v[198:199], v[198:199], v[202:203], v[206:207]
	v_div_fixup_f64 v[202:203], v[198:199], v[196:197], 1.0
                                        ; implicit-def: $vgpr196_vgpr197
	s_delay_alu instid0(VALU_DEP_1)
	v_mul_f64 v[204:205], v[200:201], v[202:203]
	v_xor_b32_e32 v203, 0x80000000, v203
.LBB97_5:
	s_and_not1_saveexec_b32 s4, s4
	s_cbranch_execz .LBB97_7
; %bb.6:
	v_div_scale_f64 v[200:201], null, v[196:197], v[196:197], v[198:199]
	v_div_scale_f64 v[206:207], vcc_lo, v[198:199], v[196:197], v[198:199]
	s_delay_alu instid0(VALU_DEP_2) | instskip(SKIP_2) | instid1(VALU_DEP_1)
	v_rcp_f64_e32 v[202:203], v[200:201]
	s_waitcnt_depctr 0xfff
	v_fma_f64 v[204:205], -v[200:201], v[202:203], 1.0
	v_fma_f64 v[202:203], v[202:203], v[204:205], v[202:203]
	s_delay_alu instid0(VALU_DEP_1) | instskip(NEXT) | instid1(VALU_DEP_1)
	v_fma_f64 v[204:205], -v[200:201], v[202:203], 1.0
	v_fma_f64 v[202:203], v[202:203], v[204:205], v[202:203]
	s_delay_alu instid0(VALU_DEP_1) | instskip(NEXT) | instid1(VALU_DEP_1)
	v_mul_f64 v[204:205], v[206:207], v[202:203]
	v_fma_f64 v[200:201], -v[200:201], v[204:205], v[206:207]
	s_delay_alu instid0(VALU_DEP_1) | instskip(NEXT) | instid1(VALU_DEP_1)
	v_div_fmas_f64 v[200:201], v[200:201], v[202:203], v[204:205]
	v_div_fixup_f64 v[200:201], v[200:201], v[196:197], v[198:199]
	s_delay_alu instid0(VALU_DEP_1) | instskip(NEXT) | instid1(VALU_DEP_1)
	v_fma_f64 v[196:197], v[198:199], v[200:201], v[196:197]
	v_div_scale_f64 v[198:199], null, v[196:197], v[196:197], 1.0
	s_delay_alu instid0(VALU_DEP_1) | instskip(SKIP_2) | instid1(VALU_DEP_1)
	v_rcp_f64_e32 v[202:203], v[198:199]
	s_waitcnt_depctr 0xfff
	v_fma_f64 v[204:205], -v[198:199], v[202:203], 1.0
	v_fma_f64 v[202:203], v[202:203], v[204:205], v[202:203]
	s_delay_alu instid0(VALU_DEP_1) | instskip(NEXT) | instid1(VALU_DEP_1)
	v_fma_f64 v[204:205], -v[198:199], v[202:203], 1.0
	v_fma_f64 v[202:203], v[202:203], v[204:205], v[202:203]
	v_div_scale_f64 v[204:205], vcc_lo, 1.0, v[196:197], 1.0
	s_delay_alu instid0(VALU_DEP_1) | instskip(NEXT) | instid1(VALU_DEP_1)
	v_mul_f64 v[206:207], v[204:205], v[202:203]
	v_fma_f64 v[198:199], -v[198:199], v[206:207], v[204:205]
	s_delay_alu instid0(VALU_DEP_1) | instskip(NEXT) | instid1(VALU_DEP_1)
	v_div_fmas_f64 v[198:199], v[198:199], v[202:203], v[206:207]
	v_div_fixup_f64 v[204:205], v[198:199], v[196:197], 1.0
	s_delay_alu instid0(VALU_DEP_1)
	v_mul_f64 v[202:203], v[200:201], -v[204:205]
.LBB97_7:
	s_or_b32 exec_lo, exec_lo, s4
	ds_store_2addr_b64 v215, v[204:205], v[202:203] offset1:1
.LBB97_8:
	s_or_b32 exec_lo, exec_lo, s5
	s_waitcnt vmcnt(0) lgkmcnt(0)
	s_waitcnt_vscnt null, 0x0
	s_barrier
	buffer_gl0_inv
	ds_load_2addr_b64 v[196:199], v215 offset1:1
	s_waitcnt lgkmcnt(0)
	scratch_store_b128 off, v[196:199], off offset:344 ; 16-byte Folded Spill
	s_and_saveexec_b32 s4, s3
	s_cbranch_execz .LBB97_10
; %bb.9:
	s_clause 0x1
	scratch_load_b128 v[202:205], off, off offset:16
	scratch_load_b128 v[198:201], off, off offset:344
	v_dual_mov_b32 v188, v194 :: v_dual_mov_b32 v189, v195
	s_waitcnt vmcnt(0)
	v_mul_f64 v[194:195], v[198:199], v[204:205]
	v_mul_f64 v[196:197], v[200:201], v[204:205]
	s_delay_alu instid0(VALU_DEP_2) | instskip(NEXT) | instid1(VALU_DEP_2)
	v_fma_f64 v[204:205], v[200:201], v[202:203], v[194:195]
	v_fma_f64 v[196:197], v[198:199], v[202:203], -v[196:197]
	ds_load_2addr_b64 v[198:201], v216 offset0:2 offset1:3
	v_dual_mov_b32 v195, v189 :: v_dual_mov_b32 v194, v188
	s_waitcnt lgkmcnt(0)
	v_mul_f64 v[192:193], v[200:201], v[204:205]
	s_delay_alu instid0(VALU_DEP_1) | instskip(SKIP_1) | instid1(VALU_DEP_1)
	v_fma_f64 v[192:193], v[198:199], v[196:197], -v[192:193]
	v_mul_f64 v[198:199], v[198:199], v[204:205]
	v_fma_f64 v[198:199], v[200:201], v[196:197], v[198:199]
	scratch_load_b128 v[200:203], off, off  ; 16-byte Folded Reload
	s_waitcnt vmcnt(0)
	v_add_f64 v[200:201], v[200:201], -v[192:193]
	v_add_f64 v[202:203], v[202:203], -v[198:199]
	scratch_store_b128 off, v[200:203], off ; 16-byte Folded Spill
	ds_load_2addr_b64 v[198:201], v216 offset0:4 offset1:5
	v_dual_mov_b32 v203, v197 :: v_dual_mov_b32 v202, v196
	scratch_store_b128 off, v[202:205], off offset:16 ; 16-byte Folded Spill
	s_waitcnt lgkmcnt(0)
	v_mul_f64 v[192:193], v[200:201], v[204:205]
	s_delay_alu instid0(VALU_DEP_1) | instskip(SKIP_1) | instid1(VALU_DEP_2)
	v_fma_f64 v[192:193], v[198:199], v[196:197], -v[192:193]
	v_mul_f64 v[198:199], v[198:199], v[204:205]
	v_add_f64 v[184:185], v[184:185], -v[192:193]
	s_delay_alu instid0(VALU_DEP_2) | instskip(NEXT) | instid1(VALU_DEP_1)
	v_fma_f64 v[198:199], v[200:201], v[196:197], v[198:199]
	v_add_f64 v[186:187], v[186:187], -v[198:199]
	ds_load_2addr_b64 v[198:201], v216 offset0:6 offset1:7
	s_waitcnt lgkmcnt(0)
	v_mul_f64 v[192:193], v[200:201], v[204:205]
	s_delay_alu instid0(VALU_DEP_1) | instskip(SKIP_1) | instid1(VALU_DEP_2)
	v_fma_f64 v[192:193], v[198:199], v[196:197], -v[192:193]
	v_mul_f64 v[198:199], v[198:199], v[204:205]
	v_add_f64 v[180:181], v[180:181], -v[192:193]
	s_delay_alu instid0(VALU_DEP_2) | instskip(NEXT) | instid1(VALU_DEP_1)
	v_fma_f64 v[198:199], v[200:201], v[196:197], v[198:199]
	v_add_f64 v[182:183], v[182:183], -v[198:199]
	ds_load_2addr_b64 v[198:201], v216 offset0:8 offset1:9
	;; [unrolled: 10-line block ×46, first 2 shown]
	s_waitcnt lgkmcnt(0)
	v_mul_f64 v[192:193], v[200:201], v[204:205]
	s_delay_alu instid0(VALU_DEP_1) | instskip(SKIP_1) | instid1(VALU_DEP_2)
	v_fma_f64 v[192:193], v[198:199], v[196:197], -v[192:193]
	v_mul_f64 v[198:199], v[198:199], v[204:205]
	v_add_f64 v[0:1], v[0:1], -v[192:193]
	s_delay_alu instid0(VALU_DEP_2) | instskip(NEXT) | instid1(VALU_DEP_1)
	v_fma_f64 v[198:199], v[200:201], v[196:197], v[198:199]
	v_add_f64 v[2:3], v[2:3], -v[198:199]
.LBB97_10:
	s_or_b32 exec_lo, exec_lo, s4
	s_delay_alu instid0(SALU_CYCLE_1)
	s_mov_b32 s4, exec_lo
	s_waitcnt_vscnt null, 0x0
	s_barrier
	buffer_gl0_inv
	v_cmpx_eq_u32_e32 1, v214
	s_cbranch_execz .LBB97_17
; %bb.11:
	scratch_load_b128 v[196:199], off, off  ; 16-byte Folded Reload
	s_waitcnt vmcnt(0)
	ds_store_2addr_b64 v215, v[196:197], v[198:199] offset1:1
	ds_store_2addr_b64 v216, v[184:185], v[186:187] offset0:4 offset1:5
	ds_store_2addr_b64 v216, v[180:181], v[182:183] offset0:6 offset1:7
	;; [unrolled: 1-line block ×47, first 2 shown]
	ds_load_2addr_b64 v[196:199], v215 offset1:1
	s_waitcnt lgkmcnt(0)
	v_cmp_neq_f64_e32 vcc_lo, 0, v[196:197]
	v_cmp_neq_f64_e64 s3, 0, v[198:199]
	s_delay_alu instid0(VALU_DEP_1) | instskip(NEXT) | instid1(SALU_CYCLE_1)
	s_or_b32 s3, vcc_lo, s3
	s_and_b32 exec_lo, exec_lo, s3
	s_cbranch_execz .LBB97_17
; %bb.12:
	v_cmp_gt_f64_e32 vcc_lo, 0, v[196:197]
	v_xor_b32_e32 v200, 0x80000000, v197
	v_xor_b32_e32 v202, 0x80000000, v199
	s_mov_b32 s3, exec_lo
                                        ; implicit-def: $vgpr204_vgpr205
	s_delay_alu instid0(VALU_DEP_2) | instskip(SKIP_4) | instid1(VALU_DEP_1)
	v_cndmask_b32_e32 v201, v197, v200, vcc_lo
	v_cndmask_b32_e32 v200, v196, v196, vcc_lo
	v_cmp_gt_f64_e32 vcc_lo, 0, v[198:199]
	v_cndmask_b32_e32 v203, v199, v202, vcc_lo
	v_cndmask_b32_e32 v202, v198, v198, vcc_lo
	v_cmpx_ngt_f64_e32 v[200:201], v[202:203]
	s_xor_b32 s3, exec_lo, s3
                                        ; implicit-def: $vgpr200_vgpr201_vgpr202_vgpr203
	s_cbranch_execz .LBB97_14
; %bb.13:
	v_div_scale_f64 v[200:201], null, v[198:199], v[198:199], v[196:197]
	v_div_scale_f64 v[206:207], vcc_lo, v[196:197], v[198:199], v[196:197]
	s_delay_alu instid0(VALU_DEP_2) | instskip(SKIP_2) | instid1(VALU_DEP_1)
	v_rcp_f64_e32 v[202:203], v[200:201]
	s_waitcnt_depctr 0xfff
	v_fma_f64 v[204:205], -v[200:201], v[202:203], 1.0
	v_fma_f64 v[202:203], v[202:203], v[204:205], v[202:203]
	s_delay_alu instid0(VALU_DEP_1) | instskip(NEXT) | instid1(VALU_DEP_1)
	v_fma_f64 v[204:205], -v[200:201], v[202:203], 1.0
	v_fma_f64 v[202:203], v[202:203], v[204:205], v[202:203]
	s_delay_alu instid0(VALU_DEP_1) | instskip(NEXT) | instid1(VALU_DEP_1)
	v_mul_f64 v[204:205], v[206:207], v[202:203]
	v_fma_f64 v[200:201], -v[200:201], v[204:205], v[206:207]
	s_delay_alu instid0(VALU_DEP_1) | instskip(NEXT) | instid1(VALU_DEP_1)
	v_div_fmas_f64 v[200:201], v[200:201], v[202:203], v[204:205]
	v_div_fixup_f64 v[200:201], v[200:201], v[198:199], v[196:197]
	s_delay_alu instid0(VALU_DEP_1) | instskip(NEXT) | instid1(VALU_DEP_1)
	v_fma_f64 v[196:197], v[196:197], v[200:201], v[198:199]
	v_div_scale_f64 v[198:199], null, v[196:197], v[196:197], 1.0
	s_delay_alu instid0(VALU_DEP_1) | instskip(SKIP_2) | instid1(VALU_DEP_1)
	v_rcp_f64_e32 v[202:203], v[198:199]
	s_waitcnt_depctr 0xfff
	v_fma_f64 v[204:205], -v[198:199], v[202:203], 1.0
	v_fma_f64 v[202:203], v[202:203], v[204:205], v[202:203]
	s_delay_alu instid0(VALU_DEP_1) | instskip(NEXT) | instid1(VALU_DEP_1)
	v_fma_f64 v[204:205], -v[198:199], v[202:203], 1.0
	v_fma_f64 v[202:203], v[202:203], v[204:205], v[202:203]
	v_div_scale_f64 v[204:205], vcc_lo, 1.0, v[196:197], 1.0
	s_delay_alu instid0(VALU_DEP_1) | instskip(NEXT) | instid1(VALU_DEP_1)
	v_mul_f64 v[206:207], v[204:205], v[202:203]
	v_fma_f64 v[198:199], -v[198:199], v[206:207], v[204:205]
	s_delay_alu instid0(VALU_DEP_1) | instskip(NEXT) | instid1(VALU_DEP_1)
	v_div_fmas_f64 v[198:199], v[198:199], v[202:203], v[206:207]
	v_div_fixup_f64 v[202:203], v[198:199], v[196:197], 1.0
                                        ; implicit-def: $vgpr196_vgpr197
	s_delay_alu instid0(VALU_DEP_1)
	v_mul_f64 v[204:205], v[200:201], v[202:203]
	v_xor_b32_e32 v203, 0x80000000, v203
.LBB97_14:
	s_and_not1_saveexec_b32 s3, s3
	s_cbranch_execz .LBB97_16
; %bb.15:
	v_div_scale_f64 v[200:201], null, v[196:197], v[196:197], v[198:199]
	v_div_scale_f64 v[206:207], vcc_lo, v[198:199], v[196:197], v[198:199]
	s_delay_alu instid0(VALU_DEP_2) | instskip(SKIP_2) | instid1(VALU_DEP_1)
	v_rcp_f64_e32 v[202:203], v[200:201]
	s_waitcnt_depctr 0xfff
	v_fma_f64 v[204:205], -v[200:201], v[202:203], 1.0
	v_fma_f64 v[202:203], v[202:203], v[204:205], v[202:203]
	s_delay_alu instid0(VALU_DEP_1) | instskip(NEXT) | instid1(VALU_DEP_1)
	v_fma_f64 v[204:205], -v[200:201], v[202:203], 1.0
	v_fma_f64 v[202:203], v[202:203], v[204:205], v[202:203]
	s_delay_alu instid0(VALU_DEP_1) | instskip(NEXT) | instid1(VALU_DEP_1)
	v_mul_f64 v[204:205], v[206:207], v[202:203]
	v_fma_f64 v[200:201], -v[200:201], v[204:205], v[206:207]
	s_delay_alu instid0(VALU_DEP_1) | instskip(NEXT) | instid1(VALU_DEP_1)
	v_div_fmas_f64 v[200:201], v[200:201], v[202:203], v[204:205]
	v_div_fixup_f64 v[200:201], v[200:201], v[196:197], v[198:199]
	s_delay_alu instid0(VALU_DEP_1) | instskip(NEXT) | instid1(VALU_DEP_1)
	v_fma_f64 v[196:197], v[198:199], v[200:201], v[196:197]
	v_div_scale_f64 v[198:199], null, v[196:197], v[196:197], 1.0
	s_delay_alu instid0(VALU_DEP_1) | instskip(SKIP_2) | instid1(VALU_DEP_1)
	v_rcp_f64_e32 v[202:203], v[198:199]
	s_waitcnt_depctr 0xfff
	v_fma_f64 v[204:205], -v[198:199], v[202:203], 1.0
	v_fma_f64 v[202:203], v[202:203], v[204:205], v[202:203]
	s_delay_alu instid0(VALU_DEP_1) | instskip(NEXT) | instid1(VALU_DEP_1)
	v_fma_f64 v[204:205], -v[198:199], v[202:203], 1.0
	v_fma_f64 v[202:203], v[202:203], v[204:205], v[202:203]
	v_div_scale_f64 v[204:205], vcc_lo, 1.0, v[196:197], 1.0
	s_delay_alu instid0(VALU_DEP_1) | instskip(NEXT) | instid1(VALU_DEP_1)
	v_mul_f64 v[206:207], v[204:205], v[202:203]
	v_fma_f64 v[198:199], -v[198:199], v[206:207], v[204:205]
	s_delay_alu instid0(VALU_DEP_1) | instskip(NEXT) | instid1(VALU_DEP_1)
	v_div_fmas_f64 v[198:199], v[198:199], v[202:203], v[206:207]
	v_div_fixup_f64 v[204:205], v[198:199], v[196:197], 1.0
	s_delay_alu instid0(VALU_DEP_1)
	v_mul_f64 v[202:203], v[200:201], -v[204:205]
.LBB97_16:
	s_or_b32 exec_lo, exec_lo, s3
	ds_store_2addr_b64 v215, v[204:205], v[202:203] offset1:1
.LBB97_17:
	s_or_b32 exec_lo, exec_lo, s4
	s_waitcnt lgkmcnt(0)
	s_barrier
	buffer_gl0_inv
	ds_load_2addr_b64 v[196:199], v215 offset1:1
	s_mov_b32 s3, exec_lo
	s_waitcnt lgkmcnt(0)
	scratch_store_b128 off, v[196:199], off offset:360 ; 16-byte Folded Spill
	v_cmpx_lt_u32_e32 1, v214
	s_cbranch_execz .LBB97_19
; %bb.18:
	s_clause 0x1
	scratch_load_b128 v[200:203], off, off
	scratch_load_b128 v[204:207], off, off offset:360
	v_dual_mov_b32 v188, v190 :: v_dual_mov_b32 v189, v191
	s_waitcnt vmcnt(0)
	v_mul_f64 v[190:191], v[204:205], v[202:203]
	v_mul_f64 v[196:197], v[206:207], v[202:203]
	s_delay_alu instid0(VALU_DEP_2) | instskip(NEXT) | instid1(VALU_DEP_2)
	v_fma_f64 v[202:203], v[206:207], v[200:201], v[190:191]
	v_fma_f64 v[196:197], v[204:205], v[200:201], -v[196:197]
	ds_load_2addr_b64 v[198:201], v216 offset0:4 offset1:5
	v_dual_mov_b32 v191, v189 :: v_dual_mov_b32 v190, v188
	s_waitcnt lgkmcnt(0)
	v_mul_f64 v[188:189], v[200:201], v[202:203]
	s_delay_alu instid0(VALU_DEP_1) | instskip(SKIP_1) | instid1(VALU_DEP_2)
	v_fma_f64 v[188:189], v[198:199], v[196:197], -v[188:189]
	v_mul_f64 v[198:199], v[198:199], v[202:203]
	v_add_f64 v[184:185], v[184:185], -v[188:189]
	s_delay_alu instid0(VALU_DEP_2) | instskip(NEXT) | instid1(VALU_DEP_1)
	v_fma_f64 v[198:199], v[200:201], v[196:197], v[198:199]
	v_add_f64 v[186:187], v[186:187], -v[198:199]
	ds_load_2addr_b64 v[198:201], v216 offset0:6 offset1:7
	s_waitcnt lgkmcnt(0)
	v_mul_f64 v[188:189], v[200:201], v[202:203]
	s_delay_alu instid0(VALU_DEP_1) | instskip(SKIP_1) | instid1(VALU_DEP_2)
	v_fma_f64 v[188:189], v[198:199], v[196:197], -v[188:189]
	v_mul_f64 v[198:199], v[198:199], v[202:203]
	v_add_f64 v[180:181], v[180:181], -v[188:189]
	s_delay_alu instid0(VALU_DEP_2) | instskip(NEXT) | instid1(VALU_DEP_1)
	v_fma_f64 v[198:199], v[200:201], v[196:197], v[198:199]
	v_add_f64 v[182:183], v[182:183], -v[198:199]
	ds_load_2addr_b64 v[198:201], v216 offset0:8 offset1:9
	;; [unrolled: 10-line block ×46, first 2 shown]
	s_waitcnt lgkmcnt(0)
	v_mul_f64 v[188:189], v[200:201], v[202:203]
	s_delay_alu instid0(VALU_DEP_1) | instskip(SKIP_1) | instid1(VALU_DEP_2)
	v_fma_f64 v[188:189], v[198:199], v[196:197], -v[188:189]
	v_mul_f64 v[198:199], v[198:199], v[202:203]
	v_add_f64 v[0:1], v[0:1], -v[188:189]
	s_delay_alu instid0(VALU_DEP_2)
	v_fma_f64 v[198:199], v[200:201], v[196:197], v[198:199]
	v_dual_mov_b32 v201, v197 :: v_dual_mov_b32 v200, v196
	scratch_store_b128 off, v[200:203], off ; 16-byte Folded Spill
	v_add_f64 v[2:3], v[2:3], -v[198:199]
.LBB97_19:
	s_or_b32 exec_lo, exec_lo, s3
	s_delay_alu instid0(SALU_CYCLE_1)
	s_mov_b32 s4, exec_lo
	s_waitcnt_vscnt null, 0x0
	s_barrier
	buffer_gl0_inv
	v_cmpx_eq_u32_e32 2, v214
	s_cbranch_execz .LBB97_26
; %bb.20:
	ds_store_2addr_b64 v215, v[184:185], v[186:187] offset1:1
	ds_store_2addr_b64 v216, v[180:181], v[182:183] offset0:6 offset1:7
	ds_store_2addr_b64 v216, v[176:177], v[178:179] offset0:8 offset1:9
	;; [unrolled: 1-line block ×46, first 2 shown]
	ds_load_2addr_b64 v[196:199], v215 offset1:1
	s_waitcnt lgkmcnt(0)
	v_cmp_neq_f64_e32 vcc_lo, 0, v[196:197]
	v_cmp_neq_f64_e64 s3, 0, v[198:199]
	s_delay_alu instid0(VALU_DEP_1) | instskip(NEXT) | instid1(SALU_CYCLE_1)
	s_or_b32 s3, vcc_lo, s3
	s_and_b32 exec_lo, exec_lo, s3
	s_cbranch_execz .LBB97_26
; %bb.21:
	v_cmp_gt_f64_e32 vcc_lo, 0, v[196:197]
	v_xor_b32_e32 v200, 0x80000000, v197
	v_xor_b32_e32 v202, 0x80000000, v199
	s_mov_b32 s3, exec_lo
                                        ; implicit-def: $vgpr204_vgpr205
	s_delay_alu instid0(VALU_DEP_2) | instskip(SKIP_4) | instid1(VALU_DEP_1)
	v_cndmask_b32_e32 v201, v197, v200, vcc_lo
	v_cndmask_b32_e32 v200, v196, v196, vcc_lo
	v_cmp_gt_f64_e32 vcc_lo, 0, v[198:199]
	v_cndmask_b32_e32 v203, v199, v202, vcc_lo
	v_cndmask_b32_e32 v202, v198, v198, vcc_lo
	v_cmpx_ngt_f64_e32 v[200:201], v[202:203]
	s_xor_b32 s3, exec_lo, s3
                                        ; implicit-def: $vgpr200_vgpr201_vgpr202_vgpr203
	s_cbranch_execz .LBB97_23
; %bb.22:
	v_div_scale_f64 v[200:201], null, v[198:199], v[198:199], v[196:197]
	v_div_scale_f64 v[206:207], vcc_lo, v[196:197], v[198:199], v[196:197]
	s_delay_alu instid0(VALU_DEP_2) | instskip(SKIP_2) | instid1(VALU_DEP_1)
	v_rcp_f64_e32 v[202:203], v[200:201]
	s_waitcnt_depctr 0xfff
	v_fma_f64 v[204:205], -v[200:201], v[202:203], 1.0
	v_fma_f64 v[202:203], v[202:203], v[204:205], v[202:203]
	s_delay_alu instid0(VALU_DEP_1) | instskip(NEXT) | instid1(VALU_DEP_1)
	v_fma_f64 v[204:205], -v[200:201], v[202:203], 1.0
	v_fma_f64 v[202:203], v[202:203], v[204:205], v[202:203]
	s_delay_alu instid0(VALU_DEP_1) | instskip(NEXT) | instid1(VALU_DEP_1)
	v_mul_f64 v[204:205], v[206:207], v[202:203]
	v_fma_f64 v[200:201], -v[200:201], v[204:205], v[206:207]
	s_delay_alu instid0(VALU_DEP_1) | instskip(NEXT) | instid1(VALU_DEP_1)
	v_div_fmas_f64 v[200:201], v[200:201], v[202:203], v[204:205]
	v_div_fixup_f64 v[200:201], v[200:201], v[198:199], v[196:197]
	s_delay_alu instid0(VALU_DEP_1) | instskip(NEXT) | instid1(VALU_DEP_1)
	v_fma_f64 v[196:197], v[196:197], v[200:201], v[198:199]
	v_div_scale_f64 v[198:199], null, v[196:197], v[196:197], 1.0
	s_delay_alu instid0(VALU_DEP_1) | instskip(SKIP_2) | instid1(VALU_DEP_1)
	v_rcp_f64_e32 v[202:203], v[198:199]
	s_waitcnt_depctr 0xfff
	v_fma_f64 v[204:205], -v[198:199], v[202:203], 1.0
	v_fma_f64 v[202:203], v[202:203], v[204:205], v[202:203]
	s_delay_alu instid0(VALU_DEP_1) | instskip(NEXT) | instid1(VALU_DEP_1)
	v_fma_f64 v[204:205], -v[198:199], v[202:203], 1.0
	v_fma_f64 v[202:203], v[202:203], v[204:205], v[202:203]
	v_div_scale_f64 v[204:205], vcc_lo, 1.0, v[196:197], 1.0
	s_delay_alu instid0(VALU_DEP_1) | instskip(NEXT) | instid1(VALU_DEP_1)
	v_mul_f64 v[206:207], v[204:205], v[202:203]
	v_fma_f64 v[198:199], -v[198:199], v[206:207], v[204:205]
	s_delay_alu instid0(VALU_DEP_1) | instskip(NEXT) | instid1(VALU_DEP_1)
	v_div_fmas_f64 v[198:199], v[198:199], v[202:203], v[206:207]
	v_div_fixup_f64 v[202:203], v[198:199], v[196:197], 1.0
                                        ; implicit-def: $vgpr196_vgpr197
	s_delay_alu instid0(VALU_DEP_1)
	v_mul_f64 v[204:205], v[200:201], v[202:203]
	v_xor_b32_e32 v203, 0x80000000, v203
.LBB97_23:
	s_and_not1_saveexec_b32 s3, s3
	s_cbranch_execz .LBB97_25
; %bb.24:
	v_div_scale_f64 v[200:201], null, v[196:197], v[196:197], v[198:199]
	v_div_scale_f64 v[206:207], vcc_lo, v[198:199], v[196:197], v[198:199]
	s_delay_alu instid0(VALU_DEP_2) | instskip(SKIP_2) | instid1(VALU_DEP_1)
	v_rcp_f64_e32 v[202:203], v[200:201]
	s_waitcnt_depctr 0xfff
	v_fma_f64 v[204:205], -v[200:201], v[202:203], 1.0
	v_fma_f64 v[202:203], v[202:203], v[204:205], v[202:203]
	s_delay_alu instid0(VALU_DEP_1) | instskip(NEXT) | instid1(VALU_DEP_1)
	v_fma_f64 v[204:205], -v[200:201], v[202:203], 1.0
	v_fma_f64 v[202:203], v[202:203], v[204:205], v[202:203]
	s_delay_alu instid0(VALU_DEP_1) | instskip(NEXT) | instid1(VALU_DEP_1)
	v_mul_f64 v[204:205], v[206:207], v[202:203]
	v_fma_f64 v[200:201], -v[200:201], v[204:205], v[206:207]
	s_delay_alu instid0(VALU_DEP_1) | instskip(NEXT) | instid1(VALU_DEP_1)
	v_div_fmas_f64 v[200:201], v[200:201], v[202:203], v[204:205]
	v_div_fixup_f64 v[200:201], v[200:201], v[196:197], v[198:199]
	s_delay_alu instid0(VALU_DEP_1) | instskip(NEXT) | instid1(VALU_DEP_1)
	v_fma_f64 v[196:197], v[198:199], v[200:201], v[196:197]
	v_div_scale_f64 v[198:199], null, v[196:197], v[196:197], 1.0
	s_delay_alu instid0(VALU_DEP_1) | instskip(SKIP_2) | instid1(VALU_DEP_1)
	v_rcp_f64_e32 v[202:203], v[198:199]
	s_waitcnt_depctr 0xfff
	v_fma_f64 v[204:205], -v[198:199], v[202:203], 1.0
	v_fma_f64 v[202:203], v[202:203], v[204:205], v[202:203]
	s_delay_alu instid0(VALU_DEP_1) | instskip(NEXT) | instid1(VALU_DEP_1)
	v_fma_f64 v[204:205], -v[198:199], v[202:203], 1.0
	v_fma_f64 v[202:203], v[202:203], v[204:205], v[202:203]
	v_div_scale_f64 v[204:205], vcc_lo, 1.0, v[196:197], 1.0
	s_delay_alu instid0(VALU_DEP_1) | instskip(NEXT) | instid1(VALU_DEP_1)
	v_mul_f64 v[206:207], v[204:205], v[202:203]
	v_fma_f64 v[198:199], -v[198:199], v[206:207], v[204:205]
	s_delay_alu instid0(VALU_DEP_1) | instskip(NEXT) | instid1(VALU_DEP_1)
	v_div_fmas_f64 v[198:199], v[198:199], v[202:203], v[206:207]
	v_div_fixup_f64 v[204:205], v[198:199], v[196:197], 1.0
	s_delay_alu instid0(VALU_DEP_1)
	v_mul_f64 v[202:203], v[200:201], -v[204:205]
.LBB97_25:
	s_or_b32 exec_lo, exec_lo, s3
	ds_store_2addr_b64 v215, v[204:205], v[202:203] offset1:1
.LBB97_26:
	s_or_b32 exec_lo, exec_lo, s4
	s_waitcnt lgkmcnt(0)
	s_barrier
	buffer_gl0_inv
	ds_load_2addr_b64 v[196:199], v215 offset1:1
	s_mov_b32 s3, exec_lo
	s_waitcnt lgkmcnt(0)
	scratch_store_b128 off, v[196:199], off offset:376 ; 16-byte Folded Spill
	v_cmpx_lt_u32_e32 2, v214
	s_cbranch_execz .LBB97_28
; %bb.27:
	scratch_load_b128 v[198:201], off, off offset:376 ; 16-byte Folded Reload
	s_waitcnt vmcnt(0)
	v_mul_f64 v[196:197], v[200:201], v[186:187]
	v_mul_f64 v[186:187], v[198:199], v[186:187]
	s_delay_alu instid0(VALU_DEP_2) | instskip(NEXT) | instid1(VALU_DEP_2)
	v_fma_f64 v[196:197], v[198:199], v[184:185], -v[196:197]
	v_fma_f64 v[186:187], v[200:201], v[184:185], v[186:187]
	ds_load_2addr_b64 v[198:201], v216 offset0:6 offset1:7
	s_waitcnt lgkmcnt(0)
	v_mul_f64 v[184:185], v[200:201], v[186:187]
	s_delay_alu instid0(VALU_DEP_1) | instskip(SKIP_1) | instid1(VALU_DEP_2)
	v_fma_f64 v[184:185], v[198:199], v[196:197], -v[184:185]
	v_mul_f64 v[198:199], v[198:199], v[186:187]
	v_add_f64 v[180:181], v[180:181], -v[184:185]
	s_delay_alu instid0(VALU_DEP_2) | instskip(NEXT) | instid1(VALU_DEP_1)
	v_fma_f64 v[198:199], v[200:201], v[196:197], v[198:199]
	v_add_f64 v[182:183], v[182:183], -v[198:199]
	ds_load_2addr_b64 v[198:201], v216 offset0:8 offset1:9
	s_waitcnt lgkmcnt(0)
	v_mul_f64 v[184:185], v[200:201], v[186:187]
	s_delay_alu instid0(VALU_DEP_1) | instskip(SKIP_1) | instid1(VALU_DEP_2)
	v_fma_f64 v[184:185], v[198:199], v[196:197], -v[184:185]
	v_mul_f64 v[198:199], v[198:199], v[186:187]
	v_add_f64 v[176:177], v[176:177], -v[184:185]
	s_delay_alu instid0(VALU_DEP_2) | instskip(NEXT) | instid1(VALU_DEP_1)
	v_fma_f64 v[198:199], v[200:201], v[196:197], v[198:199]
	v_add_f64 v[178:179], v[178:179], -v[198:199]
	;; [unrolled: 10-line block ×45, first 2 shown]
	ds_load_2addr_b64 v[198:201], v216 offset0:96 offset1:97
	s_waitcnt lgkmcnt(0)
	v_mul_f64 v[184:185], v[200:201], v[186:187]
	s_delay_alu instid0(VALU_DEP_1) | instskip(SKIP_1) | instid1(VALU_DEP_2)
	v_fma_f64 v[184:185], v[198:199], v[196:197], -v[184:185]
	v_mul_f64 v[198:199], v[198:199], v[186:187]
	v_add_f64 v[0:1], v[0:1], -v[184:185]
	s_delay_alu instid0(VALU_DEP_2) | instskip(SKIP_1) | instid1(VALU_DEP_2)
	v_fma_f64 v[198:199], v[200:201], v[196:197], v[198:199]
	v_dual_mov_b32 v184, v196 :: v_dual_mov_b32 v185, v197
	v_add_f64 v[2:3], v[2:3], -v[198:199]
.LBB97_28:
	s_or_b32 exec_lo, exec_lo, s3
	s_delay_alu instid0(SALU_CYCLE_1)
	s_mov_b32 s4, exec_lo
	s_waitcnt_vscnt null, 0x0
	s_barrier
	buffer_gl0_inv
	v_cmpx_eq_u32_e32 3, v214
	s_cbranch_execz .LBB97_35
; %bb.29:
	ds_store_2addr_b64 v215, v[180:181], v[182:183] offset1:1
	ds_store_2addr_b64 v216, v[176:177], v[178:179] offset0:8 offset1:9
	ds_store_2addr_b64 v216, v[172:173], v[174:175] offset0:10 offset1:11
	;; [unrolled: 1-line block ×45, first 2 shown]
	ds_load_2addr_b64 v[196:199], v215 offset1:1
	s_waitcnt lgkmcnt(0)
	v_cmp_neq_f64_e32 vcc_lo, 0, v[196:197]
	v_cmp_neq_f64_e64 s3, 0, v[198:199]
	s_delay_alu instid0(VALU_DEP_1) | instskip(NEXT) | instid1(SALU_CYCLE_1)
	s_or_b32 s3, vcc_lo, s3
	s_and_b32 exec_lo, exec_lo, s3
	s_cbranch_execz .LBB97_35
; %bb.30:
	v_cmp_gt_f64_e32 vcc_lo, 0, v[196:197]
	v_xor_b32_e32 v200, 0x80000000, v197
	v_xor_b32_e32 v202, 0x80000000, v199
	s_mov_b32 s3, exec_lo
                                        ; implicit-def: $vgpr204_vgpr205
	s_delay_alu instid0(VALU_DEP_2) | instskip(SKIP_4) | instid1(VALU_DEP_1)
	v_cndmask_b32_e32 v201, v197, v200, vcc_lo
	v_cndmask_b32_e32 v200, v196, v196, vcc_lo
	v_cmp_gt_f64_e32 vcc_lo, 0, v[198:199]
	v_cndmask_b32_e32 v203, v199, v202, vcc_lo
	v_cndmask_b32_e32 v202, v198, v198, vcc_lo
	v_cmpx_ngt_f64_e32 v[200:201], v[202:203]
	s_xor_b32 s3, exec_lo, s3
                                        ; implicit-def: $vgpr200_vgpr201_vgpr202_vgpr203
	s_cbranch_execz .LBB97_32
; %bb.31:
	v_div_scale_f64 v[200:201], null, v[198:199], v[198:199], v[196:197]
	v_div_scale_f64 v[206:207], vcc_lo, v[196:197], v[198:199], v[196:197]
	s_delay_alu instid0(VALU_DEP_2) | instskip(SKIP_2) | instid1(VALU_DEP_1)
	v_rcp_f64_e32 v[202:203], v[200:201]
	s_waitcnt_depctr 0xfff
	v_fma_f64 v[204:205], -v[200:201], v[202:203], 1.0
	v_fma_f64 v[202:203], v[202:203], v[204:205], v[202:203]
	s_delay_alu instid0(VALU_DEP_1) | instskip(NEXT) | instid1(VALU_DEP_1)
	v_fma_f64 v[204:205], -v[200:201], v[202:203], 1.0
	v_fma_f64 v[202:203], v[202:203], v[204:205], v[202:203]
	s_delay_alu instid0(VALU_DEP_1) | instskip(NEXT) | instid1(VALU_DEP_1)
	v_mul_f64 v[204:205], v[206:207], v[202:203]
	v_fma_f64 v[200:201], -v[200:201], v[204:205], v[206:207]
	s_delay_alu instid0(VALU_DEP_1) | instskip(NEXT) | instid1(VALU_DEP_1)
	v_div_fmas_f64 v[200:201], v[200:201], v[202:203], v[204:205]
	v_div_fixup_f64 v[200:201], v[200:201], v[198:199], v[196:197]
	s_delay_alu instid0(VALU_DEP_1) | instskip(NEXT) | instid1(VALU_DEP_1)
	v_fma_f64 v[196:197], v[196:197], v[200:201], v[198:199]
	v_div_scale_f64 v[198:199], null, v[196:197], v[196:197], 1.0
	s_delay_alu instid0(VALU_DEP_1) | instskip(SKIP_2) | instid1(VALU_DEP_1)
	v_rcp_f64_e32 v[202:203], v[198:199]
	s_waitcnt_depctr 0xfff
	v_fma_f64 v[204:205], -v[198:199], v[202:203], 1.0
	v_fma_f64 v[202:203], v[202:203], v[204:205], v[202:203]
	s_delay_alu instid0(VALU_DEP_1) | instskip(NEXT) | instid1(VALU_DEP_1)
	v_fma_f64 v[204:205], -v[198:199], v[202:203], 1.0
	v_fma_f64 v[202:203], v[202:203], v[204:205], v[202:203]
	v_div_scale_f64 v[204:205], vcc_lo, 1.0, v[196:197], 1.0
	s_delay_alu instid0(VALU_DEP_1) | instskip(NEXT) | instid1(VALU_DEP_1)
	v_mul_f64 v[206:207], v[204:205], v[202:203]
	v_fma_f64 v[198:199], -v[198:199], v[206:207], v[204:205]
	s_delay_alu instid0(VALU_DEP_1) | instskip(NEXT) | instid1(VALU_DEP_1)
	v_div_fmas_f64 v[198:199], v[198:199], v[202:203], v[206:207]
	v_div_fixup_f64 v[202:203], v[198:199], v[196:197], 1.0
                                        ; implicit-def: $vgpr196_vgpr197
	s_delay_alu instid0(VALU_DEP_1)
	v_mul_f64 v[204:205], v[200:201], v[202:203]
	v_xor_b32_e32 v203, 0x80000000, v203
.LBB97_32:
	s_and_not1_saveexec_b32 s3, s3
	s_cbranch_execz .LBB97_34
; %bb.33:
	v_div_scale_f64 v[200:201], null, v[196:197], v[196:197], v[198:199]
	v_div_scale_f64 v[206:207], vcc_lo, v[198:199], v[196:197], v[198:199]
	s_delay_alu instid0(VALU_DEP_2) | instskip(SKIP_2) | instid1(VALU_DEP_1)
	v_rcp_f64_e32 v[202:203], v[200:201]
	s_waitcnt_depctr 0xfff
	v_fma_f64 v[204:205], -v[200:201], v[202:203], 1.0
	v_fma_f64 v[202:203], v[202:203], v[204:205], v[202:203]
	s_delay_alu instid0(VALU_DEP_1) | instskip(NEXT) | instid1(VALU_DEP_1)
	v_fma_f64 v[204:205], -v[200:201], v[202:203], 1.0
	v_fma_f64 v[202:203], v[202:203], v[204:205], v[202:203]
	s_delay_alu instid0(VALU_DEP_1) | instskip(NEXT) | instid1(VALU_DEP_1)
	v_mul_f64 v[204:205], v[206:207], v[202:203]
	v_fma_f64 v[200:201], -v[200:201], v[204:205], v[206:207]
	s_delay_alu instid0(VALU_DEP_1) | instskip(NEXT) | instid1(VALU_DEP_1)
	v_div_fmas_f64 v[200:201], v[200:201], v[202:203], v[204:205]
	v_div_fixup_f64 v[200:201], v[200:201], v[196:197], v[198:199]
	s_delay_alu instid0(VALU_DEP_1) | instskip(NEXT) | instid1(VALU_DEP_1)
	v_fma_f64 v[196:197], v[198:199], v[200:201], v[196:197]
	v_div_scale_f64 v[198:199], null, v[196:197], v[196:197], 1.0
	s_delay_alu instid0(VALU_DEP_1) | instskip(SKIP_2) | instid1(VALU_DEP_1)
	v_rcp_f64_e32 v[202:203], v[198:199]
	s_waitcnt_depctr 0xfff
	v_fma_f64 v[204:205], -v[198:199], v[202:203], 1.0
	v_fma_f64 v[202:203], v[202:203], v[204:205], v[202:203]
	s_delay_alu instid0(VALU_DEP_1) | instskip(NEXT) | instid1(VALU_DEP_1)
	v_fma_f64 v[204:205], -v[198:199], v[202:203], 1.0
	v_fma_f64 v[202:203], v[202:203], v[204:205], v[202:203]
	v_div_scale_f64 v[204:205], vcc_lo, 1.0, v[196:197], 1.0
	s_delay_alu instid0(VALU_DEP_1) | instskip(NEXT) | instid1(VALU_DEP_1)
	v_mul_f64 v[206:207], v[204:205], v[202:203]
	v_fma_f64 v[198:199], -v[198:199], v[206:207], v[204:205]
	s_delay_alu instid0(VALU_DEP_1) | instskip(NEXT) | instid1(VALU_DEP_1)
	v_div_fmas_f64 v[198:199], v[198:199], v[202:203], v[206:207]
	v_div_fixup_f64 v[204:205], v[198:199], v[196:197], 1.0
	s_delay_alu instid0(VALU_DEP_1)
	v_mul_f64 v[202:203], v[200:201], -v[204:205]
.LBB97_34:
	s_or_b32 exec_lo, exec_lo, s3
	ds_store_2addr_b64 v215, v[204:205], v[202:203] offset1:1
.LBB97_35:
	s_or_b32 exec_lo, exec_lo, s4
	s_waitcnt lgkmcnt(0)
	s_barrier
	buffer_gl0_inv
	ds_load_2addr_b64 v[196:199], v215 offset1:1
	s_mov_b32 s3, exec_lo
	s_waitcnt lgkmcnt(0)
	scratch_store_b128 off, v[196:199], off offset:392 ; 16-byte Folded Spill
	v_cmpx_lt_u32_e32 3, v214
	s_cbranch_execz .LBB97_37
; %bb.36:
	scratch_load_b128 v[198:201], off, off offset:392 ; 16-byte Folded Reload
	s_waitcnt vmcnt(0)
	v_mul_f64 v[196:197], v[200:201], v[182:183]
	v_mul_f64 v[182:183], v[198:199], v[182:183]
	s_delay_alu instid0(VALU_DEP_2) | instskip(NEXT) | instid1(VALU_DEP_2)
	v_fma_f64 v[196:197], v[198:199], v[180:181], -v[196:197]
	v_fma_f64 v[182:183], v[200:201], v[180:181], v[182:183]
	ds_load_2addr_b64 v[198:201], v216 offset0:8 offset1:9
	s_waitcnt lgkmcnt(0)
	v_mul_f64 v[180:181], v[200:201], v[182:183]
	s_delay_alu instid0(VALU_DEP_1) | instskip(SKIP_1) | instid1(VALU_DEP_2)
	v_fma_f64 v[180:181], v[198:199], v[196:197], -v[180:181]
	v_mul_f64 v[198:199], v[198:199], v[182:183]
	v_add_f64 v[176:177], v[176:177], -v[180:181]
	s_delay_alu instid0(VALU_DEP_2) | instskip(NEXT) | instid1(VALU_DEP_1)
	v_fma_f64 v[198:199], v[200:201], v[196:197], v[198:199]
	v_add_f64 v[178:179], v[178:179], -v[198:199]
	ds_load_2addr_b64 v[198:201], v216 offset0:10 offset1:11
	s_waitcnt lgkmcnt(0)
	v_mul_f64 v[180:181], v[200:201], v[182:183]
	s_delay_alu instid0(VALU_DEP_1) | instskip(SKIP_1) | instid1(VALU_DEP_2)
	v_fma_f64 v[180:181], v[198:199], v[196:197], -v[180:181]
	v_mul_f64 v[198:199], v[198:199], v[182:183]
	v_add_f64 v[172:173], v[172:173], -v[180:181]
	s_delay_alu instid0(VALU_DEP_2) | instskip(NEXT) | instid1(VALU_DEP_1)
	v_fma_f64 v[198:199], v[200:201], v[196:197], v[198:199]
	v_add_f64 v[174:175], v[174:175], -v[198:199]
	;; [unrolled: 10-line block ×44, first 2 shown]
	ds_load_2addr_b64 v[198:201], v216 offset0:96 offset1:97
	s_waitcnt lgkmcnt(0)
	v_mul_f64 v[180:181], v[200:201], v[182:183]
	s_delay_alu instid0(VALU_DEP_1) | instskip(SKIP_1) | instid1(VALU_DEP_2)
	v_fma_f64 v[180:181], v[198:199], v[196:197], -v[180:181]
	v_mul_f64 v[198:199], v[198:199], v[182:183]
	v_add_f64 v[0:1], v[0:1], -v[180:181]
	s_delay_alu instid0(VALU_DEP_2) | instskip(SKIP_1) | instid1(VALU_DEP_2)
	v_fma_f64 v[198:199], v[200:201], v[196:197], v[198:199]
	v_dual_mov_b32 v180, v196 :: v_dual_mov_b32 v181, v197
	v_add_f64 v[2:3], v[2:3], -v[198:199]
.LBB97_37:
	s_or_b32 exec_lo, exec_lo, s3
	s_delay_alu instid0(SALU_CYCLE_1)
	s_mov_b32 s4, exec_lo
	s_waitcnt_vscnt null, 0x0
	s_barrier
	buffer_gl0_inv
	v_cmpx_eq_u32_e32 4, v214
	s_cbranch_execz .LBB97_44
; %bb.38:
	ds_store_2addr_b64 v215, v[176:177], v[178:179] offset1:1
	ds_store_2addr_b64 v216, v[172:173], v[174:175] offset0:10 offset1:11
	ds_store_2addr_b64 v216, v[168:169], v[170:171] offset0:12 offset1:13
	;; [unrolled: 1-line block ×44, first 2 shown]
	ds_load_2addr_b64 v[196:199], v215 offset1:1
	s_waitcnt lgkmcnt(0)
	v_cmp_neq_f64_e32 vcc_lo, 0, v[196:197]
	v_cmp_neq_f64_e64 s3, 0, v[198:199]
	s_delay_alu instid0(VALU_DEP_1) | instskip(NEXT) | instid1(SALU_CYCLE_1)
	s_or_b32 s3, vcc_lo, s3
	s_and_b32 exec_lo, exec_lo, s3
	s_cbranch_execz .LBB97_44
; %bb.39:
	v_cmp_gt_f64_e32 vcc_lo, 0, v[196:197]
	v_xor_b32_e32 v200, 0x80000000, v197
	v_xor_b32_e32 v202, 0x80000000, v199
	s_mov_b32 s3, exec_lo
                                        ; implicit-def: $vgpr204_vgpr205
	s_delay_alu instid0(VALU_DEP_2) | instskip(SKIP_4) | instid1(VALU_DEP_1)
	v_cndmask_b32_e32 v201, v197, v200, vcc_lo
	v_cndmask_b32_e32 v200, v196, v196, vcc_lo
	v_cmp_gt_f64_e32 vcc_lo, 0, v[198:199]
	v_cndmask_b32_e32 v203, v199, v202, vcc_lo
	v_cndmask_b32_e32 v202, v198, v198, vcc_lo
	v_cmpx_ngt_f64_e32 v[200:201], v[202:203]
	s_xor_b32 s3, exec_lo, s3
                                        ; implicit-def: $vgpr200_vgpr201_vgpr202_vgpr203
	s_cbranch_execz .LBB97_41
; %bb.40:
	v_div_scale_f64 v[200:201], null, v[198:199], v[198:199], v[196:197]
	v_div_scale_f64 v[206:207], vcc_lo, v[196:197], v[198:199], v[196:197]
	s_delay_alu instid0(VALU_DEP_2) | instskip(SKIP_2) | instid1(VALU_DEP_1)
	v_rcp_f64_e32 v[202:203], v[200:201]
	s_waitcnt_depctr 0xfff
	v_fma_f64 v[204:205], -v[200:201], v[202:203], 1.0
	v_fma_f64 v[202:203], v[202:203], v[204:205], v[202:203]
	s_delay_alu instid0(VALU_DEP_1) | instskip(NEXT) | instid1(VALU_DEP_1)
	v_fma_f64 v[204:205], -v[200:201], v[202:203], 1.0
	v_fma_f64 v[202:203], v[202:203], v[204:205], v[202:203]
	s_delay_alu instid0(VALU_DEP_1) | instskip(NEXT) | instid1(VALU_DEP_1)
	v_mul_f64 v[204:205], v[206:207], v[202:203]
	v_fma_f64 v[200:201], -v[200:201], v[204:205], v[206:207]
	s_delay_alu instid0(VALU_DEP_1) | instskip(NEXT) | instid1(VALU_DEP_1)
	v_div_fmas_f64 v[200:201], v[200:201], v[202:203], v[204:205]
	v_div_fixup_f64 v[200:201], v[200:201], v[198:199], v[196:197]
	s_delay_alu instid0(VALU_DEP_1) | instskip(NEXT) | instid1(VALU_DEP_1)
	v_fma_f64 v[196:197], v[196:197], v[200:201], v[198:199]
	v_div_scale_f64 v[198:199], null, v[196:197], v[196:197], 1.0
	s_delay_alu instid0(VALU_DEP_1) | instskip(SKIP_2) | instid1(VALU_DEP_1)
	v_rcp_f64_e32 v[202:203], v[198:199]
	s_waitcnt_depctr 0xfff
	v_fma_f64 v[204:205], -v[198:199], v[202:203], 1.0
	v_fma_f64 v[202:203], v[202:203], v[204:205], v[202:203]
	s_delay_alu instid0(VALU_DEP_1) | instskip(NEXT) | instid1(VALU_DEP_1)
	v_fma_f64 v[204:205], -v[198:199], v[202:203], 1.0
	v_fma_f64 v[202:203], v[202:203], v[204:205], v[202:203]
	v_div_scale_f64 v[204:205], vcc_lo, 1.0, v[196:197], 1.0
	s_delay_alu instid0(VALU_DEP_1) | instskip(NEXT) | instid1(VALU_DEP_1)
	v_mul_f64 v[206:207], v[204:205], v[202:203]
	v_fma_f64 v[198:199], -v[198:199], v[206:207], v[204:205]
	s_delay_alu instid0(VALU_DEP_1) | instskip(NEXT) | instid1(VALU_DEP_1)
	v_div_fmas_f64 v[198:199], v[198:199], v[202:203], v[206:207]
	v_div_fixup_f64 v[202:203], v[198:199], v[196:197], 1.0
                                        ; implicit-def: $vgpr196_vgpr197
	s_delay_alu instid0(VALU_DEP_1)
	v_mul_f64 v[204:205], v[200:201], v[202:203]
	v_xor_b32_e32 v203, 0x80000000, v203
.LBB97_41:
	s_and_not1_saveexec_b32 s3, s3
	s_cbranch_execz .LBB97_43
; %bb.42:
	v_div_scale_f64 v[200:201], null, v[196:197], v[196:197], v[198:199]
	v_div_scale_f64 v[206:207], vcc_lo, v[198:199], v[196:197], v[198:199]
	s_delay_alu instid0(VALU_DEP_2) | instskip(SKIP_2) | instid1(VALU_DEP_1)
	v_rcp_f64_e32 v[202:203], v[200:201]
	s_waitcnt_depctr 0xfff
	v_fma_f64 v[204:205], -v[200:201], v[202:203], 1.0
	v_fma_f64 v[202:203], v[202:203], v[204:205], v[202:203]
	s_delay_alu instid0(VALU_DEP_1) | instskip(NEXT) | instid1(VALU_DEP_1)
	v_fma_f64 v[204:205], -v[200:201], v[202:203], 1.0
	v_fma_f64 v[202:203], v[202:203], v[204:205], v[202:203]
	s_delay_alu instid0(VALU_DEP_1) | instskip(NEXT) | instid1(VALU_DEP_1)
	v_mul_f64 v[204:205], v[206:207], v[202:203]
	v_fma_f64 v[200:201], -v[200:201], v[204:205], v[206:207]
	s_delay_alu instid0(VALU_DEP_1) | instskip(NEXT) | instid1(VALU_DEP_1)
	v_div_fmas_f64 v[200:201], v[200:201], v[202:203], v[204:205]
	v_div_fixup_f64 v[200:201], v[200:201], v[196:197], v[198:199]
	s_delay_alu instid0(VALU_DEP_1) | instskip(NEXT) | instid1(VALU_DEP_1)
	v_fma_f64 v[196:197], v[198:199], v[200:201], v[196:197]
	v_div_scale_f64 v[198:199], null, v[196:197], v[196:197], 1.0
	s_delay_alu instid0(VALU_DEP_1) | instskip(SKIP_2) | instid1(VALU_DEP_1)
	v_rcp_f64_e32 v[202:203], v[198:199]
	s_waitcnt_depctr 0xfff
	v_fma_f64 v[204:205], -v[198:199], v[202:203], 1.0
	v_fma_f64 v[202:203], v[202:203], v[204:205], v[202:203]
	s_delay_alu instid0(VALU_DEP_1) | instskip(NEXT) | instid1(VALU_DEP_1)
	v_fma_f64 v[204:205], -v[198:199], v[202:203], 1.0
	v_fma_f64 v[202:203], v[202:203], v[204:205], v[202:203]
	v_div_scale_f64 v[204:205], vcc_lo, 1.0, v[196:197], 1.0
	s_delay_alu instid0(VALU_DEP_1) | instskip(NEXT) | instid1(VALU_DEP_1)
	v_mul_f64 v[206:207], v[204:205], v[202:203]
	v_fma_f64 v[198:199], -v[198:199], v[206:207], v[204:205]
	s_delay_alu instid0(VALU_DEP_1) | instskip(NEXT) | instid1(VALU_DEP_1)
	v_div_fmas_f64 v[198:199], v[198:199], v[202:203], v[206:207]
	v_div_fixup_f64 v[204:205], v[198:199], v[196:197], 1.0
	s_delay_alu instid0(VALU_DEP_1)
	v_mul_f64 v[202:203], v[200:201], -v[204:205]
.LBB97_43:
	s_or_b32 exec_lo, exec_lo, s3
	ds_store_2addr_b64 v215, v[204:205], v[202:203] offset1:1
.LBB97_44:
	s_or_b32 exec_lo, exec_lo, s4
	s_waitcnt lgkmcnt(0)
	s_barrier
	buffer_gl0_inv
	ds_load_2addr_b64 v[196:199], v215 offset1:1
	s_mov_b32 s3, exec_lo
	s_waitcnt lgkmcnt(0)
	scratch_store_b128 off, v[196:199], off offset:408 ; 16-byte Folded Spill
	v_cmpx_lt_u32_e32 4, v214
	s_cbranch_execz .LBB97_46
; %bb.45:
	scratch_load_b128 v[198:201], off, off offset:408 ; 16-byte Folded Reload
	s_waitcnt vmcnt(0)
	v_mul_f64 v[196:197], v[200:201], v[178:179]
	v_mul_f64 v[178:179], v[198:199], v[178:179]
	s_delay_alu instid0(VALU_DEP_2) | instskip(NEXT) | instid1(VALU_DEP_2)
	v_fma_f64 v[196:197], v[198:199], v[176:177], -v[196:197]
	v_fma_f64 v[178:179], v[200:201], v[176:177], v[178:179]
	ds_load_2addr_b64 v[198:201], v216 offset0:10 offset1:11
	s_waitcnt lgkmcnt(0)
	v_mul_f64 v[176:177], v[200:201], v[178:179]
	s_delay_alu instid0(VALU_DEP_1) | instskip(SKIP_1) | instid1(VALU_DEP_2)
	v_fma_f64 v[176:177], v[198:199], v[196:197], -v[176:177]
	v_mul_f64 v[198:199], v[198:199], v[178:179]
	v_add_f64 v[172:173], v[172:173], -v[176:177]
	s_delay_alu instid0(VALU_DEP_2) | instskip(NEXT) | instid1(VALU_DEP_1)
	v_fma_f64 v[198:199], v[200:201], v[196:197], v[198:199]
	v_add_f64 v[174:175], v[174:175], -v[198:199]
	ds_load_2addr_b64 v[198:201], v216 offset0:12 offset1:13
	s_waitcnt lgkmcnt(0)
	v_mul_f64 v[176:177], v[200:201], v[178:179]
	s_delay_alu instid0(VALU_DEP_1) | instskip(SKIP_1) | instid1(VALU_DEP_2)
	v_fma_f64 v[176:177], v[198:199], v[196:197], -v[176:177]
	v_mul_f64 v[198:199], v[198:199], v[178:179]
	v_add_f64 v[168:169], v[168:169], -v[176:177]
	s_delay_alu instid0(VALU_DEP_2) | instskip(NEXT) | instid1(VALU_DEP_1)
	v_fma_f64 v[198:199], v[200:201], v[196:197], v[198:199]
	v_add_f64 v[170:171], v[170:171], -v[198:199]
	;; [unrolled: 10-line block ×43, first 2 shown]
	ds_load_2addr_b64 v[198:201], v216 offset0:96 offset1:97
	s_waitcnt lgkmcnt(0)
	v_mul_f64 v[176:177], v[200:201], v[178:179]
	s_delay_alu instid0(VALU_DEP_1) | instskip(SKIP_1) | instid1(VALU_DEP_2)
	v_fma_f64 v[176:177], v[198:199], v[196:197], -v[176:177]
	v_mul_f64 v[198:199], v[198:199], v[178:179]
	v_add_f64 v[0:1], v[0:1], -v[176:177]
	s_delay_alu instid0(VALU_DEP_2) | instskip(SKIP_1) | instid1(VALU_DEP_2)
	v_fma_f64 v[198:199], v[200:201], v[196:197], v[198:199]
	v_dual_mov_b32 v176, v196 :: v_dual_mov_b32 v177, v197
	v_add_f64 v[2:3], v[2:3], -v[198:199]
.LBB97_46:
	s_or_b32 exec_lo, exec_lo, s3
	s_delay_alu instid0(SALU_CYCLE_1)
	s_mov_b32 s4, exec_lo
	s_waitcnt_vscnt null, 0x0
	s_barrier
	buffer_gl0_inv
	v_cmpx_eq_u32_e32 5, v214
	s_cbranch_execz .LBB97_53
; %bb.47:
	ds_store_2addr_b64 v215, v[172:173], v[174:175] offset1:1
	ds_store_2addr_b64 v216, v[168:169], v[170:171] offset0:12 offset1:13
	ds_store_2addr_b64 v216, v[164:165], v[166:167] offset0:14 offset1:15
	;; [unrolled: 1-line block ×43, first 2 shown]
	ds_load_2addr_b64 v[196:199], v215 offset1:1
	s_waitcnt lgkmcnt(0)
	v_cmp_neq_f64_e32 vcc_lo, 0, v[196:197]
	v_cmp_neq_f64_e64 s3, 0, v[198:199]
	s_delay_alu instid0(VALU_DEP_1) | instskip(NEXT) | instid1(SALU_CYCLE_1)
	s_or_b32 s3, vcc_lo, s3
	s_and_b32 exec_lo, exec_lo, s3
	s_cbranch_execz .LBB97_53
; %bb.48:
	v_cmp_gt_f64_e32 vcc_lo, 0, v[196:197]
	v_xor_b32_e32 v200, 0x80000000, v197
	v_xor_b32_e32 v202, 0x80000000, v199
	s_mov_b32 s3, exec_lo
                                        ; implicit-def: $vgpr204_vgpr205
	s_delay_alu instid0(VALU_DEP_2) | instskip(SKIP_4) | instid1(VALU_DEP_1)
	v_cndmask_b32_e32 v201, v197, v200, vcc_lo
	v_cndmask_b32_e32 v200, v196, v196, vcc_lo
	v_cmp_gt_f64_e32 vcc_lo, 0, v[198:199]
	v_cndmask_b32_e32 v203, v199, v202, vcc_lo
	v_cndmask_b32_e32 v202, v198, v198, vcc_lo
	v_cmpx_ngt_f64_e32 v[200:201], v[202:203]
	s_xor_b32 s3, exec_lo, s3
                                        ; implicit-def: $vgpr200_vgpr201_vgpr202_vgpr203
	s_cbranch_execz .LBB97_50
; %bb.49:
	v_div_scale_f64 v[200:201], null, v[198:199], v[198:199], v[196:197]
	v_div_scale_f64 v[206:207], vcc_lo, v[196:197], v[198:199], v[196:197]
	s_delay_alu instid0(VALU_DEP_2) | instskip(SKIP_2) | instid1(VALU_DEP_1)
	v_rcp_f64_e32 v[202:203], v[200:201]
	s_waitcnt_depctr 0xfff
	v_fma_f64 v[204:205], -v[200:201], v[202:203], 1.0
	v_fma_f64 v[202:203], v[202:203], v[204:205], v[202:203]
	s_delay_alu instid0(VALU_DEP_1) | instskip(NEXT) | instid1(VALU_DEP_1)
	v_fma_f64 v[204:205], -v[200:201], v[202:203], 1.0
	v_fma_f64 v[202:203], v[202:203], v[204:205], v[202:203]
	s_delay_alu instid0(VALU_DEP_1) | instskip(NEXT) | instid1(VALU_DEP_1)
	v_mul_f64 v[204:205], v[206:207], v[202:203]
	v_fma_f64 v[200:201], -v[200:201], v[204:205], v[206:207]
	s_delay_alu instid0(VALU_DEP_1) | instskip(NEXT) | instid1(VALU_DEP_1)
	v_div_fmas_f64 v[200:201], v[200:201], v[202:203], v[204:205]
	v_div_fixup_f64 v[200:201], v[200:201], v[198:199], v[196:197]
	s_delay_alu instid0(VALU_DEP_1) | instskip(NEXT) | instid1(VALU_DEP_1)
	v_fma_f64 v[196:197], v[196:197], v[200:201], v[198:199]
	v_div_scale_f64 v[198:199], null, v[196:197], v[196:197], 1.0
	s_delay_alu instid0(VALU_DEP_1) | instskip(SKIP_2) | instid1(VALU_DEP_1)
	v_rcp_f64_e32 v[202:203], v[198:199]
	s_waitcnt_depctr 0xfff
	v_fma_f64 v[204:205], -v[198:199], v[202:203], 1.0
	v_fma_f64 v[202:203], v[202:203], v[204:205], v[202:203]
	s_delay_alu instid0(VALU_DEP_1) | instskip(NEXT) | instid1(VALU_DEP_1)
	v_fma_f64 v[204:205], -v[198:199], v[202:203], 1.0
	v_fma_f64 v[202:203], v[202:203], v[204:205], v[202:203]
	v_div_scale_f64 v[204:205], vcc_lo, 1.0, v[196:197], 1.0
	s_delay_alu instid0(VALU_DEP_1) | instskip(NEXT) | instid1(VALU_DEP_1)
	v_mul_f64 v[206:207], v[204:205], v[202:203]
	v_fma_f64 v[198:199], -v[198:199], v[206:207], v[204:205]
	s_delay_alu instid0(VALU_DEP_1) | instskip(NEXT) | instid1(VALU_DEP_1)
	v_div_fmas_f64 v[198:199], v[198:199], v[202:203], v[206:207]
	v_div_fixup_f64 v[202:203], v[198:199], v[196:197], 1.0
                                        ; implicit-def: $vgpr196_vgpr197
	s_delay_alu instid0(VALU_DEP_1)
	v_mul_f64 v[204:205], v[200:201], v[202:203]
	v_xor_b32_e32 v203, 0x80000000, v203
.LBB97_50:
	s_and_not1_saveexec_b32 s3, s3
	s_cbranch_execz .LBB97_52
; %bb.51:
	v_div_scale_f64 v[200:201], null, v[196:197], v[196:197], v[198:199]
	v_div_scale_f64 v[206:207], vcc_lo, v[198:199], v[196:197], v[198:199]
	s_delay_alu instid0(VALU_DEP_2) | instskip(SKIP_2) | instid1(VALU_DEP_1)
	v_rcp_f64_e32 v[202:203], v[200:201]
	s_waitcnt_depctr 0xfff
	v_fma_f64 v[204:205], -v[200:201], v[202:203], 1.0
	v_fma_f64 v[202:203], v[202:203], v[204:205], v[202:203]
	s_delay_alu instid0(VALU_DEP_1) | instskip(NEXT) | instid1(VALU_DEP_1)
	v_fma_f64 v[204:205], -v[200:201], v[202:203], 1.0
	v_fma_f64 v[202:203], v[202:203], v[204:205], v[202:203]
	s_delay_alu instid0(VALU_DEP_1) | instskip(NEXT) | instid1(VALU_DEP_1)
	v_mul_f64 v[204:205], v[206:207], v[202:203]
	v_fma_f64 v[200:201], -v[200:201], v[204:205], v[206:207]
	s_delay_alu instid0(VALU_DEP_1) | instskip(NEXT) | instid1(VALU_DEP_1)
	v_div_fmas_f64 v[200:201], v[200:201], v[202:203], v[204:205]
	v_div_fixup_f64 v[200:201], v[200:201], v[196:197], v[198:199]
	s_delay_alu instid0(VALU_DEP_1) | instskip(NEXT) | instid1(VALU_DEP_1)
	v_fma_f64 v[196:197], v[198:199], v[200:201], v[196:197]
	v_div_scale_f64 v[198:199], null, v[196:197], v[196:197], 1.0
	s_delay_alu instid0(VALU_DEP_1) | instskip(SKIP_2) | instid1(VALU_DEP_1)
	v_rcp_f64_e32 v[202:203], v[198:199]
	s_waitcnt_depctr 0xfff
	v_fma_f64 v[204:205], -v[198:199], v[202:203], 1.0
	v_fma_f64 v[202:203], v[202:203], v[204:205], v[202:203]
	s_delay_alu instid0(VALU_DEP_1) | instskip(NEXT) | instid1(VALU_DEP_1)
	v_fma_f64 v[204:205], -v[198:199], v[202:203], 1.0
	v_fma_f64 v[202:203], v[202:203], v[204:205], v[202:203]
	v_div_scale_f64 v[204:205], vcc_lo, 1.0, v[196:197], 1.0
	s_delay_alu instid0(VALU_DEP_1) | instskip(NEXT) | instid1(VALU_DEP_1)
	v_mul_f64 v[206:207], v[204:205], v[202:203]
	v_fma_f64 v[198:199], -v[198:199], v[206:207], v[204:205]
	s_delay_alu instid0(VALU_DEP_1) | instskip(NEXT) | instid1(VALU_DEP_1)
	v_div_fmas_f64 v[198:199], v[198:199], v[202:203], v[206:207]
	v_div_fixup_f64 v[204:205], v[198:199], v[196:197], 1.0
	s_delay_alu instid0(VALU_DEP_1)
	v_mul_f64 v[202:203], v[200:201], -v[204:205]
.LBB97_52:
	s_or_b32 exec_lo, exec_lo, s3
	ds_store_2addr_b64 v215, v[204:205], v[202:203] offset1:1
.LBB97_53:
	s_or_b32 exec_lo, exec_lo, s4
	s_waitcnt lgkmcnt(0)
	s_barrier
	buffer_gl0_inv
	ds_load_2addr_b64 v[196:199], v215 offset1:1
	s_mov_b32 s3, exec_lo
	s_waitcnt lgkmcnt(0)
	scratch_store_b128 off, v[196:199], off offset:424 ; 16-byte Folded Spill
	v_cmpx_lt_u32_e32 5, v214
	s_cbranch_execz .LBB97_55
; %bb.54:
	scratch_load_b128 v[198:201], off, off offset:424 ; 16-byte Folded Reload
	s_waitcnt vmcnt(0)
	v_mul_f64 v[196:197], v[200:201], v[174:175]
	v_mul_f64 v[174:175], v[198:199], v[174:175]
	s_delay_alu instid0(VALU_DEP_2) | instskip(NEXT) | instid1(VALU_DEP_2)
	v_fma_f64 v[196:197], v[198:199], v[172:173], -v[196:197]
	v_fma_f64 v[174:175], v[200:201], v[172:173], v[174:175]
	ds_load_2addr_b64 v[198:201], v216 offset0:12 offset1:13
	s_waitcnt lgkmcnt(0)
	v_mul_f64 v[172:173], v[200:201], v[174:175]
	s_delay_alu instid0(VALU_DEP_1) | instskip(SKIP_1) | instid1(VALU_DEP_2)
	v_fma_f64 v[172:173], v[198:199], v[196:197], -v[172:173]
	v_mul_f64 v[198:199], v[198:199], v[174:175]
	v_add_f64 v[168:169], v[168:169], -v[172:173]
	s_delay_alu instid0(VALU_DEP_2) | instskip(NEXT) | instid1(VALU_DEP_1)
	v_fma_f64 v[198:199], v[200:201], v[196:197], v[198:199]
	v_add_f64 v[170:171], v[170:171], -v[198:199]
	ds_load_2addr_b64 v[198:201], v216 offset0:14 offset1:15
	s_waitcnt lgkmcnt(0)
	v_mul_f64 v[172:173], v[200:201], v[174:175]
	s_delay_alu instid0(VALU_DEP_1) | instskip(SKIP_1) | instid1(VALU_DEP_2)
	v_fma_f64 v[172:173], v[198:199], v[196:197], -v[172:173]
	v_mul_f64 v[198:199], v[198:199], v[174:175]
	v_add_f64 v[164:165], v[164:165], -v[172:173]
	s_delay_alu instid0(VALU_DEP_2) | instskip(NEXT) | instid1(VALU_DEP_1)
	v_fma_f64 v[198:199], v[200:201], v[196:197], v[198:199]
	v_add_f64 v[166:167], v[166:167], -v[198:199]
	;; [unrolled: 10-line block ×42, first 2 shown]
	ds_load_2addr_b64 v[198:201], v216 offset0:96 offset1:97
	s_waitcnt lgkmcnt(0)
	v_mul_f64 v[172:173], v[200:201], v[174:175]
	s_delay_alu instid0(VALU_DEP_1) | instskip(SKIP_1) | instid1(VALU_DEP_2)
	v_fma_f64 v[172:173], v[198:199], v[196:197], -v[172:173]
	v_mul_f64 v[198:199], v[198:199], v[174:175]
	v_add_f64 v[0:1], v[0:1], -v[172:173]
	s_delay_alu instid0(VALU_DEP_2) | instskip(SKIP_1) | instid1(VALU_DEP_2)
	v_fma_f64 v[198:199], v[200:201], v[196:197], v[198:199]
	v_dual_mov_b32 v172, v196 :: v_dual_mov_b32 v173, v197
	v_add_f64 v[2:3], v[2:3], -v[198:199]
.LBB97_55:
	s_or_b32 exec_lo, exec_lo, s3
	s_delay_alu instid0(SALU_CYCLE_1)
	s_mov_b32 s4, exec_lo
	s_waitcnt_vscnt null, 0x0
	s_barrier
	buffer_gl0_inv
	v_cmpx_eq_u32_e32 6, v214
	s_cbranch_execz .LBB97_62
; %bb.56:
	ds_store_2addr_b64 v215, v[168:169], v[170:171] offset1:1
	ds_store_2addr_b64 v216, v[164:165], v[166:167] offset0:14 offset1:15
	ds_store_2addr_b64 v216, v[160:161], v[162:163] offset0:16 offset1:17
	;; [unrolled: 1-line block ×42, first 2 shown]
	ds_load_2addr_b64 v[196:199], v215 offset1:1
	s_waitcnt lgkmcnt(0)
	v_cmp_neq_f64_e32 vcc_lo, 0, v[196:197]
	v_cmp_neq_f64_e64 s3, 0, v[198:199]
	s_delay_alu instid0(VALU_DEP_1) | instskip(NEXT) | instid1(SALU_CYCLE_1)
	s_or_b32 s3, vcc_lo, s3
	s_and_b32 exec_lo, exec_lo, s3
	s_cbranch_execz .LBB97_62
; %bb.57:
	v_cmp_gt_f64_e32 vcc_lo, 0, v[196:197]
	v_xor_b32_e32 v200, 0x80000000, v197
	v_xor_b32_e32 v202, 0x80000000, v199
	s_mov_b32 s3, exec_lo
                                        ; implicit-def: $vgpr204_vgpr205
	s_delay_alu instid0(VALU_DEP_2) | instskip(SKIP_4) | instid1(VALU_DEP_1)
	v_cndmask_b32_e32 v201, v197, v200, vcc_lo
	v_cndmask_b32_e32 v200, v196, v196, vcc_lo
	v_cmp_gt_f64_e32 vcc_lo, 0, v[198:199]
	v_cndmask_b32_e32 v203, v199, v202, vcc_lo
	v_cndmask_b32_e32 v202, v198, v198, vcc_lo
	v_cmpx_ngt_f64_e32 v[200:201], v[202:203]
	s_xor_b32 s3, exec_lo, s3
                                        ; implicit-def: $vgpr200_vgpr201_vgpr202_vgpr203
	s_cbranch_execz .LBB97_59
; %bb.58:
	v_div_scale_f64 v[200:201], null, v[198:199], v[198:199], v[196:197]
	v_div_scale_f64 v[206:207], vcc_lo, v[196:197], v[198:199], v[196:197]
	s_delay_alu instid0(VALU_DEP_2) | instskip(SKIP_2) | instid1(VALU_DEP_1)
	v_rcp_f64_e32 v[202:203], v[200:201]
	s_waitcnt_depctr 0xfff
	v_fma_f64 v[204:205], -v[200:201], v[202:203], 1.0
	v_fma_f64 v[202:203], v[202:203], v[204:205], v[202:203]
	s_delay_alu instid0(VALU_DEP_1) | instskip(NEXT) | instid1(VALU_DEP_1)
	v_fma_f64 v[204:205], -v[200:201], v[202:203], 1.0
	v_fma_f64 v[202:203], v[202:203], v[204:205], v[202:203]
	s_delay_alu instid0(VALU_DEP_1) | instskip(NEXT) | instid1(VALU_DEP_1)
	v_mul_f64 v[204:205], v[206:207], v[202:203]
	v_fma_f64 v[200:201], -v[200:201], v[204:205], v[206:207]
	s_delay_alu instid0(VALU_DEP_1) | instskip(NEXT) | instid1(VALU_DEP_1)
	v_div_fmas_f64 v[200:201], v[200:201], v[202:203], v[204:205]
	v_div_fixup_f64 v[200:201], v[200:201], v[198:199], v[196:197]
	s_delay_alu instid0(VALU_DEP_1) | instskip(NEXT) | instid1(VALU_DEP_1)
	v_fma_f64 v[196:197], v[196:197], v[200:201], v[198:199]
	v_div_scale_f64 v[198:199], null, v[196:197], v[196:197], 1.0
	s_delay_alu instid0(VALU_DEP_1) | instskip(SKIP_2) | instid1(VALU_DEP_1)
	v_rcp_f64_e32 v[202:203], v[198:199]
	s_waitcnt_depctr 0xfff
	v_fma_f64 v[204:205], -v[198:199], v[202:203], 1.0
	v_fma_f64 v[202:203], v[202:203], v[204:205], v[202:203]
	s_delay_alu instid0(VALU_DEP_1) | instskip(NEXT) | instid1(VALU_DEP_1)
	v_fma_f64 v[204:205], -v[198:199], v[202:203], 1.0
	v_fma_f64 v[202:203], v[202:203], v[204:205], v[202:203]
	v_div_scale_f64 v[204:205], vcc_lo, 1.0, v[196:197], 1.0
	s_delay_alu instid0(VALU_DEP_1) | instskip(NEXT) | instid1(VALU_DEP_1)
	v_mul_f64 v[206:207], v[204:205], v[202:203]
	v_fma_f64 v[198:199], -v[198:199], v[206:207], v[204:205]
	s_delay_alu instid0(VALU_DEP_1) | instskip(NEXT) | instid1(VALU_DEP_1)
	v_div_fmas_f64 v[198:199], v[198:199], v[202:203], v[206:207]
	v_div_fixup_f64 v[202:203], v[198:199], v[196:197], 1.0
                                        ; implicit-def: $vgpr196_vgpr197
	s_delay_alu instid0(VALU_DEP_1)
	v_mul_f64 v[204:205], v[200:201], v[202:203]
	v_xor_b32_e32 v203, 0x80000000, v203
.LBB97_59:
	s_and_not1_saveexec_b32 s3, s3
	s_cbranch_execz .LBB97_61
; %bb.60:
	v_div_scale_f64 v[200:201], null, v[196:197], v[196:197], v[198:199]
	v_div_scale_f64 v[206:207], vcc_lo, v[198:199], v[196:197], v[198:199]
	s_delay_alu instid0(VALU_DEP_2) | instskip(SKIP_2) | instid1(VALU_DEP_1)
	v_rcp_f64_e32 v[202:203], v[200:201]
	s_waitcnt_depctr 0xfff
	v_fma_f64 v[204:205], -v[200:201], v[202:203], 1.0
	v_fma_f64 v[202:203], v[202:203], v[204:205], v[202:203]
	s_delay_alu instid0(VALU_DEP_1) | instskip(NEXT) | instid1(VALU_DEP_1)
	v_fma_f64 v[204:205], -v[200:201], v[202:203], 1.0
	v_fma_f64 v[202:203], v[202:203], v[204:205], v[202:203]
	s_delay_alu instid0(VALU_DEP_1) | instskip(NEXT) | instid1(VALU_DEP_1)
	v_mul_f64 v[204:205], v[206:207], v[202:203]
	v_fma_f64 v[200:201], -v[200:201], v[204:205], v[206:207]
	s_delay_alu instid0(VALU_DEP_1) | instskip(NEXT) | instid1(VALU_DEP_1)
	v_div_fmas_f64 v[200:201], v[200:201], v[202:203], v[204:205]
	v_div_fixup_f64 v[200:201], v[200:201], v[196:197], v[198:199]
	s_delay_alu instid0(VALU_DEP_1) | instskip(NEXT) | instid1(VALU_DEP_1)
	v_fma_f64 v[196:197], v[198:199], v[200:201], v[196:197]
	v_div_scale_f64 v[198:199], null, v[196:197], v[196:197], 1.0
	s_delay_alu instid0(VALU_DEP_1) | instskip(SKIP_2) | instid1(VALU_DEP_1)
	v_rcp_f64_e32 v[202:203], v[198:199]
	s_waitcnt_depctr 0xfff
	v_fma_f64 v[204:205], -v[198:199], v[202:203], 1.0
	v_fma_f64 v[202:203], v[202:203], v[204:205], v[202:203]
	s_delay_alu instid0(VALU_DEP_1) | instskip(NEXT) | instid1(VALU_DEP_1)
	v_fma_f64 v[204:205], -v[198:199], v[202:203], 1.0
	v_fma_f64 v[202:203], v[202:203], v[204:205], v[202:203]
	v_div_scale_f64 v[204:205], vcc_lo, 1.0, v[196:197], 1.0
	s_delay_alu instid0(VALU_DEP_1) | instskip(NEXT) | instid1(VALU_DEP_1)
	v_mul_f64 v[206:207], v[204:205], v[202:203]
	v_fma_f64 v[198:199], -v[198:199], v[206:207], v[204:205]
	s_delay_alu instid0(VALU_DEP_1) | instskip(NEXT) | instid1(VALU_DEP_1)
	v_div_fmas_f64 v[198:199], v[198:199], v[202:203], v[206:207]
	v_div_fixup_f64 v[204:205], v[198:199], v[196:197], 1.0
	s_delay_alu instid0(VALU_DEP_1)
	v_mul_f64 v[202:203], v[200:201], -v[204:205]
.LBB97_61:
	s_or_b32 exec_lo, exec_lo, s3
	ds_store_2addr_b64 v215, v[204:205], v[202:203] offset1:1
.LBB97_62:
	s_or_b32 exec_lo, exec_lo, s4
	s_waitcnt lgkmcnt(0)
	s_barrier
	buffer_gl0_inv
	ds_load_2addr_b64 v[196:199], v215 offset1:1
	s_mov_b32 s3, exec_lo
	s_waitcnt lgkmcnt(0)
	scratch_store_b128 off, v[196:199], off offset:440 ; 16-byte Folded Spill
	v_cmpx_lt_u32_e32 6, v214
	s_cbranch_execz .LBB97_64
; %bb.63:
	scratch_load_b128 v[198:201], off, off offset:440 ; 16-byte Folded Reload
	s_waitcnt vmcnt(0)
	v_mul_f64 v[196:197], v[200:201], v[170:171]
	v_mul_f64 v[170:171], v[198:199], v[170:171]
	s_delay_alu instid0(VALU_DEP_2) | instskip(NEXT) | instid1(VALU_DEP_2)
	v_fma_f64 v[196:197], v[198:199], v[168:169], -v[196:197]
	v_fma_f64 v[170:171], v[200:201], v[168:169], v[170:171]
	ds_load_2addr_b64 v[198:201], v216 offset0:14 offset1:15
	s_waitcnt lgkmcnt(0)
	v_mul_f64 v[168:169], v[200:201], v[170:171]
	s_delay_alu instid0(VALU_DEP_1) | instskip(SKIP_1) | instid1(VALU_DEP_2)
	v_fma_f64 v[168:169], v[198:199], v[196:197], -v[168:169]
	v_mul_f64 v[198:199], v[198:199], v[170:171]
	v_add_f64 v[164:165], v[164:165], -v[168:169]
	s_delay_alu instid0(VALU_DEP_2) | instskip(NEXT) | instid1(VALU_DEP_1)
	v_fma_f64 v[198:199], v[200:201], v[196:197], v[198:199]
	v_add_f64 v[166:167], v[166:167], -v[198:199]
	ds_load_2addr_b64 v[198:201], v216 offset0:16 offset1:17
	s_waitcnt lgkmcnt(0)
	v_mul_f64 v[168:169], v[200:201], v[170:171]
	s_delay_alu instid0(VALU_DEP_1) | instskip(SKIP_1) | instid1(VALU_DEP_2)
	v_fma_f64 v[168:169], v[198:199], v[196:197], -v[168:169]
	v_mul_f64 v[198:199], v[198:199], v[170:171]
	v_add_f64 v[160:161], v[160:161], -v[168:169]
	s_delay_alu instid0(VALU_DEP_2) | instskip(NEXT) | instid1(VALU_DEP_1)
	v_fma_f64 v[198:199], v[200:201], v[196:197], v[198:199]
	v_add_f64 v[162:163], v[162:163], -v[198:199]
	;; [unrolled: 10-line block ×41, first 2 shown]
	ds_load_2addr_b64 v[198:201], v216 offset0:96 offset1:97
	s_waitcnt lgkmcnt(0)
	v_mul_f64 v[168:169], v[200:201], v[170:171]
	s_delay_alu instid0(VALU_DEP_1) | instskip(SKIP_1) | instid1(VALU_DEP_2)
	v_fma_f64 v[168:169], v[198:199], v[196:197], -v[168:169]
	v_mul_f64 v[198:199], v[198:199], v[170:171]
	v_add_f64 v[0:1], v[0:1], -v[168:169]
	s_delay_alu instid0(VALU_DEP_2) | instskip(SKIP_1) | instid1(VALU_DEP_2)
	v_fma_f64 v[198:199], v[200:201], v[196:197], v[198:199]
	v_dual_mov_b32 v168, v196 :: v_dual_mov_b32 v169, v197
	v_add_f64 v[2:3], v[2:3], -v[198:199]
.LBB97_64:
	s_or_b32 exec_lo, exec_lo, s3
	s_delay_alu instid0(SALU_CYCLE_1)
	s_mov_b32 s4, exec_lo
	s_waitcnt_vscnt null, 0x0
	s_barrier
	buffer_gl0_inv
	v_cmpx_eq_u32_e32 7, v214
	s_cbranch_execz .LBB97_71
; %bb.65:
	ds_store_2addr_b64 v215, v[164:165], v[166:167] offset1:1
	ds_store_2addr_b64 v216, v[160:161], v[162:163] offset0:16 offset1:17
	ds_store_2addr_b64 v216, v[156:157], v[158:159] offset0:18 offset1:19
	;; [unrolled: 1-line block ×41, first 2 shown]
	ds_load_2addr_b64 v[196:199], v215 offset1:1
	s_waitcnt lgkmcnt(0)
	v_cmp_neq_f64_e32 vcc_lo, 0, v[196:197]
	v_cmp_neq_f64_e64 s3, 0, v[198:199]
	s_delay_alu instid0(VALU_DEP_1) | instskip(NEXT) | instid1(SALU_CYCLE_1)
	s_or_b32 s3, vcc_lo, s3
	s_and_b32 exec_lo, exec_lo, s3
	s_cbranch_execz .LBB97_71
; %bb.66:
	v_cmp_gt_f64_e32 vcc_lo, 0, v[196:197]
	v_xor_b32_e32 v200, 0x80000000, v197
	v_xor_b32_e32 v202, 0x80000000, v199
	s_mov_b32 s3, exec_lo
                                        ; implicit-def: $vgpr204_vgpr205
	s_delay_alu instid0(VALU_DEP_2) | instskip(SKIP_4) | instid1(VALU_DEP_1)
	v_cndmask_b32_e32 v201, v197, v200, vcc_lo
	v_cndmask_b32_e32 v200, v196, v196, vcc_lo
	v_cmp_gt_f64_e32 vcc_lo, 0, v[198:199]
	v_cndmask_b32_e32 v203, v199, v202, vcc_lo
	v_cndmask_b32_e32 v202, v198, v198, vcc_lo
	v_cmpx_ngt_f64_e32 v[200:201], v[202:203]
	s_xor_b32 s3, exec_lo, s3
                                        ; implicit-def: $vgpr200_vgpr201_vgpr202_vgpr203
	s_cbranch_execz .LBB97_68
; %bb.67:
	v_div_scale_f64 v[200:201], null, v[198:199], v[198:199], v[196:197]
	v_div_scale_f64 v[206:207], vcc_lo, v[196:197], v[198:199], v[196:197]
	s_delay_alu instid0(VALU_DEP_2) | instskip(SKIP_2) | instid1(VALU_DEP_1)
	v_rcp_f64_e32 v[202:203], v[200:201]
	s_waitcnt_depctr 0xfff
	v_fma_f64 v[204:205], -v[200:201], v[202:203], 1.0
	v_fma_f64 v[202:203], v[202:203], v[204:205], v[202:203]
	s_delay_alu instid0(VALU_DEP_1) | instskip(NEXT) | instid1(VALU_DEP_1)
	v_fma_f64 v[204:205], -v[200:201], v[202:203], 1.0
	v_fma_f64 v[202:203], v[202:203], v[204:205], v[202:203]
	s_delay_alu instid0(VALU_DEP_1) | instskip(NEXT) | instid1(VALU_DEP_1)
	v_mul_f64 v[204:205], v[206:207], v[202:203]
	v_fma_f64 v[200:201], -v[200:201], v[204:205], v[206:207]
	s_delay_alu instid0(VALU_DEP_1) | instskip(NEXT) | instid1(VALU_DEP_1)
	v_div_fmas_f64 v[200:201], v[200:201], v[202:203], v[204:205]
	v_div_fixup_f64 v[200:201], v[200:201], v[198:199], v[196:197]
	s_delay_alu instid0(VALU_DEP_1) | instskip(NEXT) | instid1(VALU_DEP_1)
	v_fma_f64 v[196:197], v[196:197], v[200:201], v[198:199]
	v_div_scale_f64 v[198:199], null, v[196:197], v[196:197], 1.0
	s_delay_alu instid0(VALU_DEP_1) | instskip(SKIP_2) | instid1(VALU_DEP_1)
	v_rcp_f64_e32 v[202:203], v[198:199]
	s_waitcnt_depctr 0xfff
	v_fma_f64 v[204:205], -v[198:199], v[202:203], 1.0
	v_fma_f64 v[202:203], v[202:203], v[204:205], v[202:203]
	s_delay_alu instid0(VALU_DEP_1) | instskip(NEXT) | instid1(VALU_DEP_1)
	v_fma_f64 v[204:205], -v[198:199], v[202:203], 1.0
	v_fma_f64 v[202:203], v[202:203], v[204:205], v[202:203]
	v_div_scale_f64 v[204:205], vcc_lo, 1.0, v[196:197], 1.0
	s_delay_alu instid0(VALU_DEP_1) | instskip(NEXT) | instid1(VALU_DEP_1)
	v_mul_f64 v[206:207], v[204:205], v[202:203]
	v_fma_f64 v[198:199], -v[198:199], v[206:207], v[204:205]
	s_delay_alu instid0(VALU_DEP_1) | instskip(NEXT) | instid1(VALU_DEP_1)
	v_div_fmas_f64 v[198:199], v[198:199], v[202:203], v[206:207]
	v_div_fixup_f64 v[202:203], v[198:199], v[196:197], 1.0
                                        ; implicit-def: $vgpr196_vgpr197
	s_delay_alu instid0(VALU_DEP_1)
	v_mul_f64 v[204:205], v[200:201], v[202:203]
	v_xor_b32_e32 v203, 0x80000000, v203
.LBB97_68:
	s_and_not1_saveexec_b32 s3, s3
	s_cbranch_execz .LBB97_70
; %bb.69:
	v_div_scale_f64 v[200:201], null, v[196:197], v[196:197], v[198:199]
	v_div_scale_f64 v[206:207], vcc_lo, v[198:199], v[196:197], v[198:199]
	s_delay_alu instid0(VALU_DEP_2) | instskip(SKIP_2) | instid1(VALU_DEP_1)
	v_rcp_f64_e32 v[202:203], v[200:201]
	s_waitcnt_depctr 0xfff
	v_fma_f64 v[204:205], -v[200:201], v[202:203], 1.0
	v_fma_f64 v[202:203], v[202:203], v[204:205], v[202:203]
	s_delay_alu instid0(VALU_DEP_1) | instskip(NEXT) | instid1(VALU_DEP_1)
	v_fma_f64 v[204:205], -v[200:201], v[202:203], 1.0
	v_fma_f64 v[202:203], v[202:203], v[204:205], v[202:203]
	s_delay_alu instid0(VALU_DEP_1) | instskip(NEXT) | instid1(VALU_DEP_1)
	v_mul_f64 v[204:205], v[206:207], v[202:203]
	v_fma_f64 v[200:201], -v[200:201], v[204:205], v[206:207]
	s_delay_alu instid0(VALU_DEP_1) | instskip(NEXT) | instid1(VALU_DEP_1)
	v_div_fmas_f64 v[200:201], v[200:201], v[202:203], v[204:205]
	v_div_fixup_f64 v[200:201], v[200:201], v[196:197], v[198:199]
	s_delay_alu instid0(VALU_DEP_1) | instskip(NEXT) | instid1(VALU_DEP_1)
	v_fma_f64 v[196:197], v[198:199], v[200:201], v[196:197]
	v_div_scale_f64 v[198:199], null, v[196:197], v[196:197], 1.0
	s_delay_alu instid0(VALU_DEP_1) | instskip(SKIP_2) | instid1(VALU_DEP_1)
	v_rcp_f64_e32 v[202:203], v[198:199]
	s_waitcnt_depctr 0xfff
	v_fma_f64 v[204:205], -v[198:199], v[202:203], 1.0
	v_fma_f64 v[202:203], v[202:203], v[204:205], v[202:203]
	s_delay_alu instid0(VALU_DEP_1) | instskip(NEXT) | instid1(VALU_DEP_1)
	v_fma_f64 v[204:205], -v[198:199], v[202:203], 1.0
	v_fma_f64 v[202:203], v[202:203], v[204:205], v[202:203]
	v_div_scale_f64 v[204:205], vcc_lo, 1.0, v[196:197], 1.0
	s_delay_alu instid0(VALU_DEP_1) | instskip(NEXT) | instid1(VALU_DEP_1)
	v_mul_f64 v[206:207], v[204:205], v[202:203]
	v_fma_f64 v[198:199], -v[198:199], v[206:207], v[204:205]
	s_delay_alu instid0(VALU_DEP_1) | instskip(NEXT) | instid1(VALU_DEP_1)
	v_div_fmas_f64 v[198:199], v[198:199], v[202:203], v[206:207]
	v_div_fixup_f64 v[204:205], v[198:199], v[196:197], 1.0
	s_delay_alu instid0(VALU_DEP_1)
	v_mul_f64 v[202:203], v[200:201], -v[204:205]
.LBB97_70:
	s_or_b32 exec_lo, exec_lo, s3
	ds_store_2addr_b64 v215, v[204:205], v[202:203] offset1:1
.LBB97_71:
	s_or_b32 exec_lo, exec_lo, s4
	s_waitcnt lgkmcnt(0)
	s_barrier
	buffer_gl0_inv
	ds_load_2addr_b64 v[196:199], v215 offset1:1
	s_mov_b32 s3, exec_lo
	s_waitcnt lgkmcnt(0)
	scratch_store_b128 off, v[196:199], off offset:456 ; 16-byte Folded Spill
	v_cmpx_lt_u32_e32 7, v214
	s_cbranch_execz .LBB97_73
; %bb.72:
	scratch_load_b128 v[198:201], off, off offset:456 ; 16-byte Folded Reload
	s_waitcnt vmcnt(0)
	v_mul_f64 v[196:197], v[200:201], v[166:167]
	v_mul_f64 v[166:167], v[198:199], v[166:167]
	s_delay_alu instid0(VALU_DEP_2) | instskip(NEXT) | instid1(VALU_DEP_2)
	v_fma_f64 v[196:197], v[198:199], v[164:165], -v[196:197]
	v_fma_f64 v[166:167], v[200:201], v[164:165], v[166:167]
	ds_load_2addr_b64 v[198:201], v216 offset0:16 offset1:17
	s_waitcnt lgkmcnt(0)
	v_mul_f64 v[164:165], v[200:201], v[166:167]
	s_delay_alu instid0(VALU_DEP_1) | instskip(SKIP_1) | instid1(VALU_DEP_2)
	v_fma_f64 v[164:165], v[198:199], v[196:197], -v[164:165]
	v_mul_f64 v[198:199], v[198:199], v[166:167]
	v_add_f64 v[160:161], v[160:161], -v[164:165]
	s_delay_alu instid0(VALU_DEP_2) | instskip(NEXT) | instid1(VALU_DEP_1)
	v_fma_f64 v[198:199], v[200:201], v[196:197], v[198:199]
	v_add_f64 v[162:163], v[162:163], -v[198:199]
	ds_load_2addr_b64 v[198:201], v216 offset0:18 offset1:19
	s_waitcnt lgkmcnt(0)
	v_mul_f64 v[164:165], v[200:201], v[166:167]
	s_delay_alu instid0(VALU_DEP_1) | instskip(SKIP_1) | instid1(VALU_DEP_2)
	v_fma_f64 v[164:165], v[198:199], v[196:197], -v[164:165]
	v_mul_f64 v[198:199], v[198:199], v[166:167]
	v_add_f64 v[156:157], v[156:157], -v[164:165]
	s_delay_alu instid0(VALU_DEP_2) | instskip(NEXT) | instid1(VALU_DEP_1)
	v_fma_f64 v[198:199], v[200:201], v[196:197], v[198:199]
	v_add_f64 v[158:159], v[158:159], -v[198:199]
	;; [unrolled: 10-line block ×40, first 2 shown]
	ds_load_2addr_b64 v[198:201], v216 offset0:96 offset1:97
	s_waitcnt lgkmcnt(0)
	v_mul_f64 v[164:165], v[200:201], v[166:167]
	s_delay_alu instid0(VALU_DEP_1) | instskip(SKIP_1) | instid1(VALU_DEP_2)
	v_fma_f64 v[164:165], v[198:199], v[196:197], -v[164:165]
	v_mul_f64 v[198:199], v[198:199], v[166:167]
	v_add_f64 v[0:1], v[0:1], -v[164:165]
	s_delay_alu instid0(VALU_DEP_2) | instskip(SKIP_1) | instid1(VALU_DEP_2)
	v_fma_f64 v[198:199], v[200:201], v[196:197], v[198:199]
	v_dual_mov_b32 v164, v196 :: v_dual_mov_b32 v165, v197
	v_add_f64 v[2:3], v[2:3], -v[198:199]
.LBB97_73:
	s_or_b32 exec_lo, exec_lo, s3
	s_delay_alu instid0(SALU_CYCLE_1)
	s_mov_b32 s4, exec_lo
	s_waitcnt_vscnt null, 0x0
	s_barrier
	buffer_gl0_inv
	v_cmpx_eq_u32_e32 8, v214
	s_cbranch_execz .LBB97_80
; %bb.74:
	ds_store_2addr_b64 v215, v[160:161], v[162:163] offset1:1
	ds_store_2addr_b64 v216, v[156:157], v[158:159] offset0:18 offset1:19
	ds_store_2addr_b64 v216, v[152:153], v[154:155] offset0:20 offset1:21
	;; [unrolled: 1-line block ×40, first 2 shown]
	ds_load_2addr_b64 v[196:199], v215 offset1:1
	s_waitcnt lgkmcnt(0)
	v_cmp_neq_f64_e32 vcc_lo, 0, v[196:197]
	v_cmp_neq_f64_e64 s3, 0, v[198:199]
	s_delay_alu instid0(VALU_DEP_1) | instskip(NEXT) | instid1(SALU_CYCLE_1)
	s_or_b32 s3, vcc_lo, s3
	s_and_b32 exec_lo, exec_lo, s3
	s_cbranch_execz .LBB97_80
; %bb.75:
	v_cmp_gt_f64_e32 vcc_lo, 0, v[196:197]
	v_xor_b32_e32 v200, 0x80000000, v197
	v_xor_b32_e32 v202, 0x80000000, v199
	s_mov_b32 s3, exec_lo
                                        ; implicit-def: $vgpr204_vgpr205
	s_delay_alu instid0(VALU_DEP_2) | instskip(SKIP_4) | instid1(VALU_DEP_1)
	v_cndmask_b32_e32 v201, v197, v200, vcc_lo
	v_cndmask_b32_e32 v200, v196, v196, vcc_lo
	v_cmp_gt_f64_e32 vcc_lo, 0, v[198:199]
	v_cndmask_b32_e32 v203, v199, v202, vcc_lo
	v_cndmask_b32_e32 v202, v198, v198, vcc_lo
	v_cmpx_ngt_f64_e32 v[200:201], v[202:203]
	s_xor_b32 s3, exec_lo, s3
                                        ; implicit-def: $vgpr200_vgpr201_vgpr202_vgpr203
	s_cbranch_execz .LBB97_77
; %bb.76:
	v_div_scale_f64 v[200:201], null, v[198:199], v[198:199], v[196:197]
	v_div_scale_f64 v[206:207], vcc_lo, v[196:197], v[198:199], v[196:197]
	s_delay_alu instid0(VALU_DEP_2) | instskip(SKIP_2) | instid1(VALU_DEP_1)
	v_rcp_f64_e32 v[202:203], v[200:201]
	s_waitcnt_depctr 0xfff
	v_fma_f64 v[204:205], -v[200:201], v[202:203], 1.0
	v_fma_f64 v[202:203], v[202:203], v[204:205], v[202:203]
	s_delay_alu instid0(VALU_DEP_1) | instskip(NEXT) | instid1(VALU_DEP_1)
	v_fma_f64 v[204:205], -v[200:201], v[202:203], 1.0
	v_fma_f64 v[202:203], v[202:203], v[204:205], v[202:203]
	s_delay_alu instid0(VALU_DEP_1) | instskip(NEXT) | instid1(VALU_DEP_1)
	v_mul_f64 v[204:205], v[206:207], v[202:203]
	v_fma_f64 v[200:201], -v[200:201], v[204:205], v[206:207]
	s_delay_alu instid0(VALU_DEP_1) | instskip(NEXT) | instid1(VALU_DEP_1)
	v_div_fmas_f64 v[200:201], v[200:201], v[202:203], v[204:205]
	v_div_fixup_f64 v[200:201], v[200:201], v[198:199], v[196:197]
	s_delay_alu instid0(VALU_DEP_1) | instskip(NEXT) | instid1(VALU_DEP_1)
	v_fma_f64 v[196:197], v[196:197], v[200:201], v[198:199]
	v_div_scale_f64 v[198:199], null, v[196:197], v[196:197], 1.0
	s_delay_alu instid0(VALU_DEP_1) | instskip(SKIP_2) | instid1(VALU_DEP_1)
	v_rcp_f64_e32 v[202:203], v[198:199]
	s_waitcnt_depctr 0xfff
	v_fma_f64 v[204:205], -v[198:199], v[202:203], 1.0
	v_fma_f64 v[202:203], v[202:203], v[204:205], v[202:203]
	s_delay_alu instid0(VALU_DEP_1) | instskip(NEXT) | instid1(VALU_DEP_1)
	v_fma_f64 v[204:205], -v[198:199], v[202:203], 1.0
	v_fma_f64 v[202:203], v[202:203], v[204:205], v[202:203]
	v_div_scale_f64 v[204:205], vcc_lo, 1.0, v[196:197], 1.0
	s_delay_alu instid0(VALU_DEP_1) | instskip(NEXT) | instid1(VALU_DEP_1)
	v_mul_f64 v[206:207], v[204:205], v[202:203]
	v_fma_f64 v[198:199], -v[198:199], v[206:207], v[204:205]
	s_delay_alu instid0(VALU_DEP_1) | instskip(NEXT) | instid1(VALU_DEP_1)
	v_div_fmas_f64 v[198:199], v[198:199], v[202:203], v[206:207]
	v_div_fixup_f64 v[202:203], v[198:199], v[196:197], 1.0
                                        ; implicit-def: $vgpr196_vgpr197
	s_delay_alu instid0(VALU_DEP_1)
	v_mul_f64 v[204:205], v[200:201], v[202:203]
	v_xor_b32_e32 v203, 0x80000000, v203
.LBB97_77:
	s_and_not1_saveexec_b32 s3, s3
	s_cbranch_execz .LBB97_79
; %bb.78:
	v_div_scale_f64 v[200:201], null, v[196:197], v[196:197], v[198:199]
	v_div_scale_f64 v[206:207], vcc_lo, v[198:199], v[196:197], v[198:199]
	s_delay_alu instid0(VALU_DEP_2) | instskip(SKIP_2) | instid1(VALU_DEP_1)
	v_rcp_f64_e32 v[202:203], v[200:201]
	s_waitcnt_depctr 0xfff
	v_fma_f64 v[204:205], -v[200:201], v[202:203], 1.0
	v_fma_f64 v[202:203], v[202:203], v[204:205], v[202:203]
	s_delay_alu instid0(VALU_DEP_1) | instskip(NEXT) | instid1(VALU_DEP_1)
	v_fma_f64 v[204:205], -v[200:201], v[202:203], 1.0
	v_fma_f64 v[202:203], v[202:203], v[204:205], v[202:203]
	s_delay_alu instid0(VALU_DEP_1) | instskip(NEXT) | instid1(VALU_DEP_1)
	v_mul_f64 v[204:205], v[206:207], v[202:203]
	v_fma_f64 v[200:201], -v[200:201], v[204:205], v[206:207]
	s_delay_alu instid0(VALU_DEP_1) | instskip(NEXT) | instid1(VALU_DEP_1)
	v_div_fmas_f64 v[200:201], v[200:201], v[202:203], v[204:205]
	v_div_fixup_f64 v[200:201], v[200:201], v[196:197], v[198:199]
	s_delay_alu instid0(VALU_DEP_1) | instskip(NEXT) | instid1(VALU_DEP_1)
	v_fma_f64 v[196:197], v[198:199], v[200:201], v[196:197]
	v_div_scale_f64 v[198:199], null, v[196:197], v[196:197], 1.0
	s_delay_alu instid0(VALU_DEP_1) | instskip(SKIP_2) | instid1(VALU_DEP_1)
	v_rcp_f64_e32 v[202:203], v[198:199]
	s_waitcnt_depctr 0xfff
	v_fma_f64 v[204:205], -v[198:199], v[202:203], 1.0
	v_fma_f64 v[202:203], v[202:203], v[204:205], v[202:203]
	s_delay_alu instid0(VALU_DEP_1) | instskip(NEXT) | instid1(VALU_DEP_1)
	v_fma_f64 v[204:205], -v[198:199], v[202:203], 1.0
	v_fma_f64 v[202:203], v[202:203], v[204:205], v[202:203]
	v_div_scale_f64 v[204:205], vcc_lo, 1.0, v[196:197], 1.0
	s_delay_alu instid0(VALU_DEP_1) | instskip(NEXT) | instid1(VALU_DEP_1)
	v_mul_f64 v[206:207], v[204:205], v[202:203]
	v_fma_f64 v[198:199], -v[198:199], v[206:207], v[204:205]
	s_delay_alu instid0(VALU_DEP_1) | instskip(NEXT) | instid1(VALU_DEP_1)
	v_div_fmas_f64 v[198:199], v[198:199], v[202:203], v[206:207]
	v_div_fixup_f64 v[204:205], v[198:199], v[196:197], 1.0
	s_delay_alu instid0(VALU_DEP_1)
	v_mul_f64 v[202:203], v[200:201], -v[204:205]
.LBB97_79:
	s_or_b32 exec_lo, exec_lo, s3
	ds_store_2addr_b64 v215, v[204:205], v[202:203] offset1:1
.LBB97_80:
	s_or_b32 exec_lo, exec_lo, s4
	s_waitcnt lgkmcnt(0)
	s_barrier
	buffer_gl0_inv
	ds_load_2addr_b64 v[196:199], v215 offset1:1
	s_mov_b32 s3, exec_lo
	s_waitcnt lgkmcnt(0)
	scratch_store_b128 off, v[196:199], off offset:472 ; 16-byte Folded Spill
	v_cmpx_lt_u32_e32 8, v214
	s_cbranch_execz .LBB97_82
; %bb.81:
	scratch_load_b128 v[198:201], off, off offset:472 ; 16-byte Folded Reload
	s_waitcnt vmcnt(0)
	v_mul_f64 v[196:197], v[200:201], v[162:163]
	v_mul_f64 v[162:163], v[198:199], v[162:163]
	s_delay_alu instid0(VALU_DEP_2) | instskip(NEXT) | instid1(VALU_DEP_2)
	v_fma_f64 v[196:197], v[198:199], v[160:161], -v[196:197]
	v_fma_f64 v[162:163], v[200:201], v[160:161], v[162:163]
	ds_load_2addr_b64 v[198:201], v216 offset0:18 offset1:19
	s_waitcnt lgkmcnt(0)
	v_mul_f64 v[160:161], v[200:201], v[162:163]
	s_delay_alu instid0(VALU_DEP_1) | instskip(SKIP_1) | instid1(VALU_DEP_2)
	v_fma_f64 v[160:161], v[198:199], v[196:197], -v[160:161]
	v_mul_f64 v[198:199], v[198:199], v[162:163]
	v_add_f64 v[156:157], v[156:157], -v[160:161]
	s_delay_alu instid0(VALU_DEP_2) | instskip(NEXT) | instid1(VALU_DEP_1)
	v_fma_f64 v[198:199], v[200:201], v[196:197], v[198:199]
	v_add_f64 v[158:159], v[158:159], -v[198:199]
	ds_load_2addr_b64 v[198:201], v216 offset0:20 offset1:21
	s_waitcnt lgkmcnt(0)
	v_mul_f64 v[160:161], v[200:201], v[162:163]
	s_delay_alu instid0(VALU_DEP_1) | instskip(SKIP_1) | instid1(VALU_DEP_2)
	v_fma_f64 v[160:161], v[198:199], v[196:197], -v[160:161]
	v_mul_f64 v[198:199], v[198:199], v[162:163]
	v_add_f64 v[152:153], v[152:153], -v[160:161]
	s_delay_alu instid0(VALU_DEP_2) | instskip(NEXT) | instid1(VALU_DEP_1)
	v_fma_f64 v[198:199], v[200:201], v[196:197], v[198:199]
	v_add_f64 v[154:155], v[154:155], -v[198:199]
	;; [unrolled: 10-line block ×39, first 2 shown]
	ds_load_2addr_b64 v[198:201], v216 offset0:96 offset1:97
	s_waitcnt lgkmcnt(0)
	v_mul_f64 v[160:161], v[200:201], v[162:163]
	s_delay_alu instid0(VALU_DEP_1) | instskip(SKIP_1) | instid1(VALU_DEP_2)
	v_fma_f64 v[160:161], v[198:199], v[196:197], -v[160:161]
	v_mul_f64 v[198:199], v[198:199], v[162:163]
	v_add_f64 v[0:1], v[0:1], -v[160:161]
	s_delay_alu instid0(VALU_DEP_2) | instskip(SKIP_1) | instid1(VALU_DEP_2)
	v_fma_f64 v[198:199], v[200:201], v[196:197], v[198:199]
	v_dual_mov_b32 v160, v196 :: v_dual_mov_b32 v161, v197
	v_add_f64 v[2:3], v[2:3], -v[198:199]
.LBB97_82:
	s_or_b32 exec_lo, exec_lo, s3
	s_delay_alu instid0(SALU_CYCLE_1)
	s_mov_b32 s4, exec_lo
	s_waitcnt_vscnt null, 0x0
	s_barrier
	buffer_gl0_inv
	v_cmpx_eq_u32_e32 9, v214
	s_cbranch_execz .LBB97_89
; %bb.83:
	ds_store_2addr_b64 v215, v[156:157], v[158:159] offset1:1
	ds_store_2addr_b64 v216, v[152:153], v[154:155] offset0:20 offset1:21
	ds_store_2addr_b64 v216, v[148:149], v[150:151] offset0:22 offset1:23
	;; [unrolled: 1-line block ×39, first 2 shown]
	ds_load_2addr_b64 v[196:199], v215 offset1:1
	s_waitcnt lgkmcnt(0)
	v_cmp_neq_f64_e32 vcc_lo, 0, v[196:197]
	v_cmp_neq_f64_e64 s3, 0, v[198:199]
	s_delay_alu instid0(VALU_DEP_1) | instskip(NEXT) | instid1(SALU_CYCLE_1)
	s_or_b32 s3, vcc_lo, s3
	s_and_b32 exec_lo, exec_lo, s3
	s_cbranch_execz .LBB97_89
; %bb.84:
	v_cmp_gt_f64_e32 vcc_lo, 0, v[196:197]
	v_xor_b32_e32 v200, 0x80000000, v197
	v_xor_b32_e32 v202, 0x80000000, v199
	s_mov_b32 s3, exec_lo
                                        ; implicit-def: $vgpr204_vgpr205
	s_delay_alu instid0(VALU_DEP_2) | instskip(SKIP_4) | instid1(VALU_DEP_1)
	v_cndmask_b32_e32 v201, v197, v200, vcc_lo
	v_cndmask_b32_e32 v200, v196, v196, vcc_lo
	v_cmp_gt_f64_e32 vcc_lo, 0, v[198:199]
	v_cndmask_b32_e32 v203, v199, v202, vcc_lo
	v_cndmask_b32_e32 v202, v198, v198, vcc_lo
	v_cmpx_ngt_f64_e32 v[200:201], v[202:203]
	s_xor_b32 s3, exec_lo, s3
                                        ; implicit-def: $vgpr200_vgpr201_vgpr202_vgpr203
	s_cbranch_execz .LBB97_86
; %bb.85:
	v_div_scale_f64 v[200:201], null, v[198:199], v[198:199], v[196:197]
	v_div_scale_f64 v[206:207], vcc_lo, v[196:197], v[198:199], v[196:197]
	s_delay_alu instid0(VALU_DEP_2) | instskip(SKIP_2) | instid1(VALU_DEP_1)
	v_rcp_f64_e32 v[202:203], v[200:201]
	s_waitcnt_depctr 0xfff
	v_fma_f64 v[204:205], -v[200:201], v[202:203], 1.0
	v_fma_f64 v[202:203], v[202:203], v[204:205], v[202:203]
	s_delay_alu instid0(VALU_DEP_1) | instskip(NEXT) | instid1(VALU_DEP_1)
	v_fma_f64 v[204:205], -v[200:201], v[202:203], 1.0
	v_fma_f64 v[202:203], v[202:203], v[204:205], v[202:203]
	s_delay_alu instid0(VALU_DEP_1) | instskip(NEXT) | instid1(VALU_DEP_1)
	v_mul_f64 v[204:205], v[206:207], v[202:203]
	v_fma_f64 v[200:201], -v[200:201], v[204:205], v[206:207]
	s_delay_alu instid0(VALU_DEP_1) | instskip(NEXT) | instid1(VALU_DEP_1)
	v_div_fmas_f64 v[200:201], v[200:201], v[202:203], v[204:205]
	v_div_fixup_f64 v[200:201], v[200:201], v[198:199], v[196:197]
	s_delay_alu instid0(VALU_DEP_1) | instskip(NEXT) | instid1(VALU_DEP_1)
	v_fma_f64 v[196:197], v[196:197], v[200:201], v[198:199]
	v_div_scale_f64 v[198:199], null, v[196:197], v[196:197], 1.0
	s_delay_alu instid0(VALU_DEP_1) | instskip(SKIP_2) | instid1(VALU_DEP_1)
	v_rcp_f64_e32 v[202:203], v[198:199]
	s_waitcnt_depctr 0xfff
	v_fma_f64 v[204:205], -v[198:199], v[202:203], 1.0
	v_fma_f64 v[202:203], v[202:203], v[204:205], v[202:203]
	s_delay_alu instid0(VALU_DEP_1) | instskip(NEXT) | instid1(VALU_DEP_1)
	v_fma_f64 v[204:205], -v[198:199], v[202:203], 1.0
	v_fma_f64 v[202:203], v[202:203], v[204:205], v[202:203]
	v_div_scale_f64 v[204:205], vcc_lo, 1.0, v[196:197], 1.0
	s_delay_alu instid0(VALU_DEP_1) | instskip(NEXT) | instid1(VALU_DEP_1)
	v_mul_f64 v[206:207], v[204:205], v[202:203]
	v_fma_f64 v[198:199], -v[198:199], v[206:207], v[204:205]
	s_delay_alu instid0(VALU_DEP_1) | instskip(NEXT) | instid1(VALU_DEP_1)
	v_div_fmas_f64 v[198:199], v[198:199], v[202:203], v[206:207]
	v_div_fixup_f64 v[202:203], v[198:199], v[196:197], 1.0
                                        ; implicit-def: $vgpr196_vgpr197
	s_delay_alu instid0(VALU_DEP_1)
	v_mul_f64 v[204:205], v[200:201], v[202:203]
	v_xor_b32_e32 v203, 0x80000000, v203
.LBB97_86:
	s_and_not1_saveexec_b32 s3, s3
	s_cbranch_execz .LBB97_88
; %bb.87:
	v_div_scale_f64 v[200:201], null, v[196:197], v[196:197], v[198:199]
	v_div_scale_f64 v[206:207], vcc_lo, v[198:199], v[196:197], v[198:199]
	s_delay_alu instid0(VALU_DEP_2) | instskip(SKIP_2) | instid1(VALU_DEP_1)
	v_rcp_f64_e32 v[202:203], v[200:201]
	s_waitcnt_depctr 0xfff
	v_fma_f64 v[204:205], -v[200:201], v[202:203], 1.0
	v_fma_f64 v[202:203], v[202:203], v[204:205], v[202:203]
	s_delay_alu instid0(VALU_DEP_1) | instskip(NEXT) | instid1(VALU_DEP_1)
	v_fma_f64 v[204:205], -v[200:201], v[202:203], 1.0
	v_fma_f64 v[202:203], v[202:203], v[204:205], v[202:203]
	s_delay_alu instid0(VALU_DEP_1) | instskip(NEXT) | instid1(VALU_DEP_1)
	v_mul_f64 v[204:205], v[206:207], v[202:203]
	v_fma_f64 v[200:201], -v[200:201], v[204:205], v[206:207]
	s_delay_alu instid0(VALU_DEP_1) | instskip(NEXT) | instid1(VALU_DEP_1)
	v_div_fmas_f64 v[200:201], v[200:201], v[202:203], v[204:205]
	v_div_fixup_f64 v[200:201], v[200:201], v[196:197], v[198:199]
	s_delay_alu instid0(VALU_DEP_1) | instskip(NEXT) | instid1(VALU_DEP_1)
	v_fma_f64 v[196:197], v[198:199], v[200:201], v[196:197]
	v_div_scale_f64 v[198:199], null, v[196:197], v[196:197], 1.0
	s_delay_alu instid0(VALU_DEP_1) | instskip(SKIP_2) | instid1(VALU_DEP_1)
	v_rcp_f64_e32 v[202:203], v[198:199]
	s_waitcnt_depctr 0xfff
	v_fma_f64 v[204:205], -v[198:199], v[202:203], 1.0
	v_fma_f64 v[202:203], v[202:203], v[204:205], v[202:203]
	s_delay_alu instid0(VALU_DEP_1) | instskip(NEXT) | instid1(VALU_DEP_1)
	v_fma_f64 v[204:205], -v[198:199], v[202:203], 1.0
	v_fma_f64 v[202:203], v[202:203], v[204:205], v[202:203]
	v_div_scale_f64 v[204:205], vcc_lo, 1.0, v[196:197], 1.0
	s_delay_alu instid0(VALU_DEP_1) | instskip(NEXT) | instid1(VALU_DEP_1)
	v_mul_f64 v[206:207], v[204:205], v[202:203]
	v_fma_f64 v[198:199], -v[198:199], v[206:207], v[204:205]
	s_delay_alu instid0(VALU_DEP_1) | instskip(NEXT) | instid1(VALU_DEP_1)
	v_div_fmas_f64 v[198:199], v[198:199], v[202:203], v[206:207]
	v_div_fixup_f64 v[204:205], v[198:199], v[196:197], 1.0
	s_delay_alu instid0(VALU_DEP_1)
	v_mul_f64 v[202:203], v[200:201], -v[204:205]
.LBB97_88:
	s_or_b32 exec_lo, exec_lo, s3
	ds_store_2addr_b64 v215, v[204:205], v[202:203] offset1:1
.LBB97_89:
	s_or_b32 exec_lo, exec_lo, s4
	s_waitcnt lgkmcnt(0)
	s_barrier
	buffer_gl0_inv
	ds_load_2addr_b64 v[196:199], v215 offset1:1
	s_mov_b32 s3, exec_lo
	s_waitcnt lgkmcnt(0)
	scratch_store_b128 off, v[196:199], off offset:488 ; 16-byte Folded Spill
	v_cmpx_lt_u32_e32 9, v214
	s_cbranch_execz .LBB97_91
; %bb.90:
	scratch_load_b128 v[198:201], off, off offset:488 ; 16-byte Folded Reload
	s_waitcnt vmcnt(0)
	v_mul_f64 v[196:197], v[200:201], v[158:159]
	v_mul_f64 v[158:159], v[198:199], v[158:159]
	s_delay_alu instid0(VALU_DEP_2) | instskip(NEXT) | instid1(VALU_DEP_2)
	v_fma_f64 v[196:197], v[198:199], v[156:157], -v[196:197]
	v_fma_f64 v[158:159], v[200:201], v[156:157], v[158:159]
	ds_load_2addr_b64 v[198:201], v216 offset0:20 offset1:21
	s_waitcnt lgkmcnt(0)
	v_mul_f64 v[156:157], v[200:201], v[158:159]
	s_delay_alu instid0(VALU_DEP_1) | instskip(SKIP_1) | instid1(VALU_DEP_2)
	v_fma_f64 v[156:157], v[198:199], v[196:197], -v[156:157]
	v_mul_f64 v[198:199], v[198:199], v[158:159]
	v_add_f64 v[152:153], v[152:153], -v[156:157]
	s_delay_alu instid0(VALU_DEP_2) | instskip(NEXT) | instid1(VALU_DEP_1)
	v_fma_f64 v[198:199], v[200:201], v[196:197], v[198:199]
	v_add_f64 v[154:155], v[154:155], -v[198:199]
	ds_load_2addr_b64 v[198:201], v216 offset0:22 offset1:23
	s_waitcnt lgkmcnt(0)
	v_mul_f64 v[156:157], v[200:201], v[158:159]
	s_delay_alu instid0(VALU_DEP_1) | instskip(SKIP_1) | instid1(VALU_DEP_2)
	v_fma_f64 v[156:157], v[198:199], v[196:197], -v[156:157]
	v_mul_f64 v[198:199], v[198:199], v[158:159]
	v_add_f64 v[148:149], v[148:149], -v[156:157]
	s_delay_alu instid0(VALU_DEP_2) | instskip(NEXT) | instid1(VALU_DEP_1)
	v_fma_f64 v[198:199], v[200:201], v[196:197], v[198:199]
	v_add_f64 v[150:151], v[150:151], -v[198:199]
	;; [unrolled: 10-line block ×38, first 2 shown]
	ds_load_2addr_b64 v[198:201], v216 offset0:96 offset1:97
	s_waitcnt lgkmcnt(0)
	v_mul_f64 v[156:157], v[200:201], v[158:159]
	s_delay_alu instid0(VALU_DEP_1) | instskip(SKIP_1) | instid1(VALU_DEP_2)
	v_fma_f64 v[156:157], v[198:199], v[196:197], -v[156:157]
	v_mul_f64 v[198:199], v[198:199], v[158:159]
	v_add_f64 v[0:1], v[0:1], -v[156:157]
	s_delay_alu instid0(VALU_DEP_2) | instskip(SKIP_1) | instid1(VALU_DEP_2)
	v_fma_f64 v[198:199], v[200:201], v[196:197], v[198:199]
	v_dual_mov_b32 v156, v196 :: v_dual_mov_b32 v157, v197
	v_add_f64 v[2:3], v[2:3], -v[198:199]
.LBB97_91:
	s_or_b32 exec_lo, exec_lo, s3
	s_delay_alu instid0(SALU_CYCLE_1)
	s_mov_b32 s4, exec_lo
	s_waitcnt_vscnt null, 0x0
	s_barrier
	buffer_gl0_inv
	v_cmpx_eq_u32_e32 10, v214
	s_cbranch_execz .LBB97_98
; %bb.92:
	ds_store_2addr_b64 v215, v[152:153], v[154:155] offset1:1
	ds_store_2addr_b64 v216, v[148:149], v[150:151] offset0:22 offset1:23
	ds_store_2addr_b64 v216, v[144:145], v[146:147] offset0:24 offset1:25
	;; [unrolled: 1-line block ×38, first 2 shown]
	ds_load_2addr_b64 v[196:199], v215 offset1:1
	s_waitcnt lgkmcnt(0)
	v_cmp_neq_f64_e32 vcc_lo, 0, v[196:197]
	v_cmp_neq_f64_e64 s3, 0, v[198:199]
	s_delay_alu instid0(VALU_DEP_1) | instskip(NEXT) | instid1(SALU_CYCLE_1)
	s_or_b32 s3, vcc_lo, s3
	s_and_b32 exec_lo, exec_lo, s3
	s_cbranch_execz .LBB97_98
; %bb.93:
	v_cmp_gt_f64_e32 vcc_lo, 0, v[196:197]
	v_xor_b32_e32 v200, 0x80000000, v197
	v_xor_b32_e32 v202, 0x80000000, v199
	s_mov_b32 s3, exec_lo
                                        ; implicit-def: $vgpr204_vgpr205
	s_delay_alu instid0(VALU_DEP_2) | instskip(SKIP_4) | instid1(VALU_DEP_1)
	v_cndmask_b32_e32 v201, v197, v200, vcc_lo
	v_cndmask_b32_e32 v200, v196, v196, vcc_lo
	v_cmp_gt_f64_e32 vcc_lo, 0, v[198:199]
	v_cndmask_b32_e32 v203, v199, v202, vcc_lo
	v_cndmask_b32_e32 v202, v198, v198, vcc_lo
	v_cmpx_ngt_f64_e32 v[200:201], v[202:203]
	s_xor_b32 s3, exec_lo, s3
                                        ; implicit-def: $vgpr200_vgpr201_vgpr202_vgpr203
	s_cbranch_execz .LBB97_95
; %bb.94:
	v_div_scale_f64 v[200:201], null, v[198:199], v[198:199], v[196:197]
	v_div_scale_f64 v[206:207], vcc_lo, v[196:197], v[198:199], v[196:197]
	s_delay_alu instid0(VALU_DEP_2) | instskip(SKIP_2) | instid1(VALU_DEP_1)
	v_rcp_f64_e32 v[202:203], v[200:201]
	s_waitcnt_depctr 0xfff
	v_fma_f64 v[204:205], -v[200:201], v[202:203], 1.0
	v_fma_f64 v[202:203], v[202:203], v[204:205], v[202:203]
	s_delay_alu instid0(VALU_DEP_1) | instskip(NEXT) | instid1(VALU_DEP_1)
	v_fma_f64 v[204:205], -v[200:201], v[202:203], 1.0
	v_fma_f64 v[202:203], v[202:203], v[204:205], v[202:203]
	s_delay_alu instid0(VALU_DEP_1) | instskip(NEXT) | instid1(VALU_DEP_1)
	v_mul_f64 v[204:205], v[206:207], v[202:203]
	v_fma_f64 v[200:201], -v[200:201], v[204:205], v[206:207]
	s_delay_alu instid0(VALU_DEP_1) | instskip(NEXT) | instid1(VALU_DEP_1)
	v_div_fmas_f64 v[200:201], v[200:201], v[202:203], v[204:205]
	v_div_fixup_f64 v[200:201], v[200:201], v[198:199], v[196:197]
	s_delay_alu instid0(VALU_DEP_1) | instskip(NEXT) | instid1(VALU_DEP_1)
	v_fma_f64 v[196:197], v[196:197], v[200:201], v[198:199]
	v_div_scale_f64 v[198:199], null, v[196:197], v[196:197], 1.0
	s_delay_alu instid0(VALU_DEP_1) | instskip(SKIP_2) | instid1(VALU_DEP_1)
	v_rcp_f64_e32 v[202:203], v[198:199]
	s_waitcnt_depctr 0xfff
	v_fma_f64 v[204:205], -v[198:199], v[202:203], 1.0
	v_fma_f64 v[202:203], v[202:203], v[204:205], v[202:203]
	s_delay_alu instid0(VALU_DEP_1) | instskip(NEXT) | instid1(VALU_DEP_1)
	v_fma_f64 v[204:205], -v[198:199], v[202:203], 1.0
	v_fma_f64 v[202:203], v[202:203], v[204:205], v[202:203]
	v_div_scale_f64 v[204:205], vcc_lo, 1.0, v[196:197], 1.0
	s_delay_alu instid0(VALU_DEP_1) | instskip(NEXT) | instid1(VALU_DEP_1)
	v_mul_f64 v[206:207], v[204:205], v[202:203]
	v_fma_f64 v[198:199], -v[198:199], v[206:207], v[204:205]
	s_delay_alu instid0(VALU_DEP_1) | instskip(NEXT) | instid1(VALU_DEP_1)
	v_div_fmas_f64 v[198:199], v[198:199], v[202:203], v[206:207]
	v_div_fixup_f64 v[202:203], v[198:199], v[196:197], 1.0
                                        ; implicit-def: $vgpr196_vgpr197
	s_delay_alu instid0(VALU_DEP_1)
	v_mul_f64 v[204:205], v[200:201], v[202:203]
	v_xor_b32_e32 v203, 0x80000000, v203
.LBB97_95:
	s_and_not1_saveexec_b32 s3, s3
	s_cbranch_execz .LBB97_97
; %bb.96:
	v_div_scale_f64 v[200:201], null, v[196:197], v[196:197], v[198:199]
	v_div_scale_f64 v[206:207], vcc_lo, v[198:199], v[196:197], v[198:199]
	s_delay_alu instid0(VALU_DEP_2) | instskip(SKIP_2) | instid1(VALU_DEP_1)
	v_rcp_f64_e32 v[202:203], v[200:201]
	s_waitcnt_depctr 0xfff
	v_fma_f64 v[204:205], -v[200:201], v[202:203], 1.0
	v_fma_f64 v[202:203], v[202:203], v[204:205], v[202:203]
	s_delay_alu instid0(VALU_DEP_1) | instskip(NEXT) | instid1(VALU_DEP_1)
	v_fma_f64 v[204:205], -v[200:201], v[202:203], 1.0
	v_fma_f64 v[202:203], v[202:203], v[204:205], v[202:203]
	s_delay_alu instid0(VALU_DEP_1) | instskip(NEXT) | instid1(VALU_DEP_1)
	v_mul_f64 v[204:205], v[206:207], v[202:203]
	v_fma_f64 v[200:201], -v[200:201], v[204:205], v[206:207]
	s_delay_alu instid0(VALU_DEP_1) | instskip(NEXT) | instid1(VALU_DEP_1)
	v_div_fmas_f64 v[200:201], v[200:201], v[202:203], v[204:205]
	v_div_fixup_f64 v[200:201], v[200:201], v[196:197], v[198:199]
	s_delay_alu instid0(VALU_DEP_1) | instskip(NEXT) | instid1(VALU_DEP_1)
	v_fma_f64 v[196:197], v[198:199], v[200:201], v[196:197]
	v_div_scale_f64 v[198:199], null, v[196:197], v[196:197], 1.0
	s_delay_alu instid0(VALU_DEP_1) | instskip(SKIP_2) | instid1(VALU_DEP_1)
	v_rcp_f64_e32 v[202:203], v[198:199]
	s_waitcnt_depctr 0xfff
	v_fma_f64 v[204:205], -v[198:199], v[202:203], 1.0
	v_fma_f64 v[202:203], v[202:203], v[204:205], v[202:203]
	s_delay_alu instid0(VALU_DEP_1) | instskip(NEXT) | instid1(VALU_DEP_1)
	v_fma_f64 v[204:205], -v[198:199], v[202:203], 1.0
	v_fma_f64 v[202:203], v[202:203], v[204:205], v[202:203]
	v_div_scale_f64 v[204:205], vcc_lo, 1.0, v[196:197], 1.0
	s_delay_alu instid0(VALU_DEP_1) | instskip(NEXT) | instid1(VALU_DEP_1)
	v_mul_f64 v[206:207], v[204:205], v[202:203]
	v_fma_f64 v[198:199], -v[198:199], v[206:207], v[204:205]
	s_delay_alu instid0(VALU_DEP_1) | instskip(NEXT) | instid1(VALU_DEP_1)
	v_div_fmas_f64 v[198:199], v[198:199], v[202:203], v[206:207]
	v_div_fixup_f64 v[204:205], v[198:199], v[196:197], 1.0
	s_delay_alu instid0(VALU_DEP_1)
	v_mul_f64 v[202:203], v[200:201], -v[204:205]
.LBB97_97:
	s_or_b32 exec_lo, exec_lo, s3
	ds_store_2addr_b64 v215, v[204:205], v[202:203] offset1:1
.LBB97_98:
	s_or_b32 exec_lo, exec_lo, s4
	s_waitcnt lgkmcnt(0)
	s_barrier
	buffer_gl0_inv
	ds_load_2addr_b64 v[196:199], v215 offset1:1
	s_mov_b32 s3, exec_lo
	s_waitcnt lgkmcnt(0)
	scratch_store_b128 off, v[196:199], off offset:504 ; 16-byte Folded Spill
	v_cmpx_lt_u32_e32 10, v214
	s_cbranch_execz .LBB97_100
; %bb.99:
	scratch_load_b128 v[198:201], off, off offset:504 ; 16-byte Folded Reload
	s_waitcnt vmcnt(0)
	v_mul_f64 v[196:197], v[200:201], v[154:155]
	v_mul_f64 v[154:155], v[198:199], v[154:155]
	s_delay_alu instid0(VALU_DEP_2) | instskip(NEXT) | instid1(VALU_DEP_2)
	v_fma_f64 v[196:197], v[198:199], v[152:153], -v[196:197]
	v_fma_f64 v[154:155], v[200:201], v[152:153], v[154:155]
	ds_load_2addr_b64 v[198:201], v216 offset0:22 offset1:23
	s_waitcnt lgkmcnt(0)
	v_mul_f64 v[152:153], v[200:201], v[154:155]
	s_delay_alu instid0(VALU_DEP_1) | instskip(SKIP_1) | instid1(VALU_DEP_2)
	v_fma_f64 v[152:153], v[198:199], v[196:197], -v[152:153]
	v_mul_f64 v[198:199], v[198:199], v[154:155]
	v_add_f64 v[148:149], v[148:149], -v[152:153]
	s_delay_alu instid0(VALU_DEP_2) | instskip(NEXT) | instid1(VALU_DEP_1)
	v_fma_f64 v[198:199], v[200:201], v[196:197], v[198:199]
	v_add_f64 v[150:151], v[150:151], -v[198:199]
	ds_load_2addr_b64 v[198:201], v216 offset0:24 offset1:25
	s_waitcnt lgkmcnt(0)
	v_mul_f64 v[152:153], v[200:201], v[154:155]
	s_delay_alu instid0(VALU_DEP_1) | instskip(SKIP_1) | instid1(VALU_DEP_2)
	v_fma_f64 v[152:153], v[198:199], v[196:197], -v[152:153]
	v_mul_f64 v[198:199], v[198:199], v[154:155]
	v_add_f64 v[144:145], v[144:145], -v[152:153]
	s_delay_alu instid0(VALU_DEP_2) | instskip(NEXT) | instid1(VALU_DEP_1)
	v_fma_f64 v[198:199], v[200:201], v[196:197], v[198:199]
	v_add_f64 v[146:147], v[146:147], -v[198:199]
	;; [unrolled: 10-line block ×37, first 2 shown]
	ds_load_2addr_b64 v[198:201], v216 offset0:96 offset1:97
	s_waitcnt lgkmcnt(0)
	v_mul_f64 v[152:153], v[200:201], v[154:155]
	s_delay_alu instid0(VALU_DEP_1) | instskip(SKIP_1) | instid1(VALU_DEP_2)
	v_fma_f64 v[152:153], v[198:199], v[196:197], -v[152:153]
	v_mul_f64 v[198:199], v[198:199], v[154:155]
	v_add_f64 v[0:1], v[0:1], -v[152:153]
	s_delay_alu instid0(VALU_DEP_2) | instskip(SKIP_1) | instid1(VALU_DEP_2)
	v_fma_f64 v[198:199], v[200:201], v[196:197], v[198:199]
	v_dual_mov_b32 v152, v196 :: v_dual_mov_b32 v153, v197
	v_add_f64 v[2:3], v[2:3], -v[198:199]
.LBB97_100:
	s_or_b32 exec_lo, exec_lo, s3
	s_delay_alu instid0(SALU_CYCLE_1)
	s_mov_b32 s4, exec_lo
	s_waitcnt_vscnt null, 0x0
	s_barrier
	buffer_gl0_inv
	v_cmpx_eq_u32_e32 11, v214
	s_cbranch_execz .LBB97_107
; %bb.101:
	ds_store_2addr_b64 v215, v[148:149], v[150:151] offset1:1
	ds_store_2addr_b64 v216, v[144:145], v[146:147] offset0:24 offset1:25
	ds_store_2addr_b64 v216, v[140:141], v[142:143] offset0:26 offset1:27
	;; [unrolled: 1-line block ×37, first 2 shown]
	ds_load_2addr_b64 v[196:199], v215 offset1:1
	s_waitcnt lgkmcnt(0)
	v_cmp_neq_f64_e32 vcc_lo, 0, v[196:197]
	v_cmp_neq_f64_e64 s3, 0, v[198:199]
	s_delay_alu instid0(VALU_DEP_1) | instskip(NEXT) | instid1(SALU_CYCLE_1)
	s_or_b32 s3, vcc_lo, s3
	s_and_b32 exec_lo, exec_lo, s3
	s_cbranch_execz .LBB97_107
; %bb.102:
	v_cmp_gt_f64_e32 vcc_lo, 0, v[196:197]
	v_xor_b32_e32 v200, 0x80000000, v197
	v_xor_b32_e32 v202, 0x80000000, v199
	s_mov_b32 s3, exec_lo
                                        ; implicit-def: $vgpr204_vgpr205
	s_delay_alu instid0(VALU_DEP_2) | instskip(SKIP_4) | instid1(VALU_DEP_1)
	v_cndmask_b32_e32 v201, v197, v200, vcc_lo
	v_cndmask_b32_e32 v200, v196, v196, vcc_lo
	v_cmp_gt_f64_e32 vcc_lo, 0, v[198:199]
	v_cndmask_b32_e32 v203, v199, v202, vcc_lo
	v_cndmask_b32_e32 v202, v198, v198, vcc_lo
	v_cmpx_ngt_f64_e32 v[200:201], v[202:203]
	s_xor_b32 s3, exec_lo, s3
                                        ; implicit-def: $vgpr200_vgpr201_vgpr202_vgpr203
	s_cbranch_execz .LBB97_104
; %bb.103:
	v_div_scale_f64 v[200:201], null, v[198:199], v[198:199], v[196:197]
	v_div_scale_f64 v[206:207], vcc_lo, v[196:197], v[198:199], v[196:197]
	s_delay_alu instid0(VALU_DEP_2) | instskip(SKIP_2) | instid1(VALU_DEP_1)
	v_rcp_f64_e32 v[202:203], v[200:201]
	s_waitcnt_depctr 0xfff
	v_fma_f64 v[204:205], -v[200:201], v[202:203], 1.0
	v_fma_f64 v[202:203], v[202:203], v[204:205], v[202:203]
	s_delay_alu instid0(VALU_DEP_1) | instskip(NEXT) | instid1(VALU_DEP_1)
	v_fma_f64 v[204:205], -v[200:201], v[202:203], 1.0
	v_fma_f64 v[202:203], v[202:203], v[204:205], v[202:203]
	s_delay_alu instid0(VALU_DEP_1) | instskip(NEXT) | instid1(VALU_DEP_1)
	v_mul_f64 v[204:205], v[206:207], v[202:203]
	v_fma_f64 v[200:201], -v[200:201], v[204:205], v[206:207]
	s_delay_alu instid0(VALU_DEP_1) | instskip(NEXT) | instid1(VALU_DEP_1)
	v_div_fmas_f64 v[200:201], v[200:201], v[202:203], v[204:205]
	v_div_fixup_f64 v[200:201], v[200:201], v[198:199], v[196:197]
	s_delay_alu instid0(VALU_DEP_1) | instskip(NEXT) | instid1(VALU_DEP_1)
	v_fma_f64 v[196:197], v[196:197], v[200:201], v[198:199]
	v_div_scale_f64 v[198:199], null, v[196:197], v[196:197], 1.0
	s_delay_alu instid0(VALU_DEP_1) | instskip(SKIP_2) | instid1(VALU_DEP_1)
	v_rcp_f64_e32 v[202:203], v[198:199]
	s_waitcnt_depctr 0xfff
	v_fma_f64 v[204:205], -v[198:199], v[202:203], 1.0
	v_fma_f64 v[202:203], v[202:203], v[204:205], v[202:203]
	s_delay_alu instid0(VALU_DEP_1) | instskip(NEXT) | instid1(VALU_DEP_1)
	v_fma_f64 v[204:205], -v[198:199], v[202:203], 1.0
	v_fma_f64 v[202:203], v[202:203], v[204:205], v[202:203]
	v_div_scale_f64 v[204:205], vcc_lo, 1.0, v[196:197], 1.0
	s_delay_alu instid0(VALU_DEP_1) | instskip(NEXT) | instid1(VALU_DEP_1)
	v_mul_f64 v[206:207], v[204:205], v[202:203]
	v_fma_f64 v[198:199], -v[198:199], v[206:207], v[204:205]
	s_delay_alu instid0(VALU_DEP_1) | instskip(NEXT) | instid1(VALU_DEP_1)
	v_div_fmas_f64 v[198:199], v[198:199], v[202:203], v[206:207]
	v_div_fixup_f64 v[202:203], v[198:199], v[196:197], 1.0
                                        ; implicit-def: $vgpr196_vgpr197
	s_delay_alu instid0(VALU_DEP_1)
	v_mul_f64 v[204:205], v[200:201], v[202:203]
	v_xor_b32_e32 v203, 0x80000000, v203
.LBB97_104:
	s_and_not1_saveexec_b32 s3, s3
	s_cbranch_execz .LBB97_106
; %bb.105:
	v_div_scale_f64 v[200:201], null, v[196:197], v[196:197], v[198:199]
	v_div_scale_f64 v[206:207], vcc_lo, v[198:199], v[196:197], v[198:199]
	s_delay_alu instid0(VALU_DEP_2) | instskip(SKIP_2) | instid1(VALU_DEP_1)
	v_rcp_f64_e32 v[202:203], v[200:201]
	s_waitcnt_depctr 0xfff
	v_fma_f64 v[204:205], -v[200:201], v[202:203], 1.0
	v_fma_f64 v[202:203], v[202:203], v[204:205], v[202:203]
	s_delay_alu instid0(VALU_DEP_1) | instskip(NEXT) | instid1(VALU_DEP_1)
	v_fma_f64 v[204:205], -v[200:201], v[202:203], 1.0
	v_fma_f64 v[202:203], v[202:203], v[204:205], v[202:203]
	s_delay_alu instid0(VALU_DEP_1) | instskip(NEXT) | instid1(VALU_DEP_1)
	v_mul_f64 v[204:205], v[206:207], v[202:203]
	v_fma_f64 v[200:201], -v[200:201], v[204:205], v[206:207]
	s_delay_alu instid0(VALU_DEP_1) | instskip(NEXT) | instid1(VALU_DEP_1)
	v_div_fmas_f64 v[200:201], v[200:201], v[202:203], v[204:205]
	v_div_fixup_f64 v[200:201], v[200:201], v[196:197], v[198:199]
	s_delay_alu instid0(VALU_DEP_1) | instskip(NEXT) | instid1(VALU_DEP_1)
	v_fma_f64 v[196:197], v[198:199], v[200:201], v[196:197]
	v_div_scale_f64 v[198:199], null, v[196:197], v[196:197], 1.0
	s_delay_alu instid0(VALU_DEP_1) | instskip(SKIP_2) | instid1(VALU_DEP_1)
	v_rcp_f64_e32 v[202:203], v[198:199]
	s_waitcnt_depctr 0xfff
	v_fma_f64 v[204:205], -v[198:199], v[202:203], 1.0
	v_fma_f64 v[202:203], v[202:203], v[204:205], v[202:203]
	s_delay_alu instid0(VALU_DEP_1) | instskip(NEXT) | instid1(VALU_DEP_1)
	v_fma_f64 v[204:205], -v[198:199], v[202:203], 1.0
	v_fma_f64 v[202:203], v[202:203], v[204:205], v[202:203]
	v_div_scale_f64 v[204:205], vcc_lo, 1.0, v[196:197], 1.0
	s_delay_alu instid0(VALU_DEP_1) | instskip(NEXT) | instid1(VALU_DEP_1)
	v_mul_f64 v[206:207], v[204:205], v[202:203]
	v_fma_f64 v[198:199], -v[198:199], v[206:207], v[204:205]
	s_delay_alu instid0(VALU_DEP_1) | instskip(NEXT) | instid1(VALU_DEP_1)
	v_div_fmas_f64 v[198:199], v[198:199], v[202:203], v[206:207]
	v_div_fixup_f64 v[204:205], v[198:199], v[196:197], 1.0
	s_delay_alu instid0(VALU_DEP_1)
	v_mul_f64 v[202:203], v[200:201], -v[204:205]
.LBB97_106:
	s_or_b32 exec_lo, exec_lo, s3
	ds_store_2addr_b64 v215, v[204:205], v[202:203] offset1:1
.LBB97_107:
	s_or_b32 exec_lo, exec_lo, s4
	s_waitcnt lgkmcnt(0)
	s_barrier
	buffer_gl0_inv
	ds_load_2addr_b64 v[196:199], v215 offset1:1
	s_mov_b32 s3, exec_lo
	s_waitcnt lgkmcnt(0)
	scratch_store_b128 off, v[196:199], off offset:520 ; 16-byte Folded Spill
	v_cmpx_lt_u32_e32 11, v214
	s_cbranch_execz .LBB97_109
; %bb.108:
	scratch_load_b128 v[198:201], off, off offset:520 ; 16-byte Folded Reload
	s_waitcnt vmcnt(0)
	v_mul_f64 v[196:197], v[200:201], v[150:151]
	v_mul_f64 v[150:151], v[198:199], v[150:151]
	s_delay_alu instid0(VALU_DEP_2) | instskip(NEXT) | instid1(VALU_DEP_2)
	v_fma_f64 v[196:197], v[198:199], v[148:149], -v[196:197]
	v_fma_f64 v[150:151], v[200:201], v[148:149], v[150:151]
	ds_load_2addr_b64 v[198:201], v216 offset0:24 offset1:25
	s_waitcnt lgkmcnt(0)
	v_mul_f64 v[148:149], v[200:201], v[150:151]
	s_delay_alu instid0(VALU_DEP_1) | instskip(SKIP_1) | instid1(VALU_DEP_2)
	v_fma_f64 v[148:149], v[198:199], v[196:197], -v[148:149]
	v_mul_f64 v[198:199], v[198:199], v[150:151]
	v_add_f64 v[144:145], v[144:145], -v[148:149]
	s_delay_alu instid0(VALU_DEP_2) | instskip(NEXT) | instid1(VALU_DEP_1)
	v_fma_f64 v[198:199], v[200:201], v[196:197], v[198:199]
	v_add_f64 v[146:147], v[146:147], -v[198:199]
	ds_load_2addr_b64 v[198:201], v216 offset0:26 offset1:27
	s_waitcnt lgkmcnt(0)
	v_mul_f64 v[148:149], v[200:201], v[150:151]
	s_delay_alu instid0(VALU_DEP_1) | instskip(SKIP_1) | instid1(VALU_DEP_2)
	v_fma_f64 v[148:149], v[198:199], v[196:197], -v[148:149]
	v_mul_f64 v[198:199], v[198:199], v[150:151]
	v_add_f64 v[140:141], v[140:141], -v[148:149]
	s_delay_alu instid0(VALU_DEP_2) | instskip(NEXT) | instid1(VALU_DEP_1)
	v_fma_f64 v[198:199], v[200:201], v[196:197], v[198:199]
	v_add_f64 v[142:143], v[142:143], -v[198:199]
	;; [unrolled: 10-line block ×36, first 2 shown]
	ds_load_2addr_b64 v[198:201], v216 offset0:96 offset1:97
	s_waitcnt lgkmcnt(0)
	v_mul_f64 v[148:149], v[200:201], v[150:151]
	s_delay_alu instid0(VALU_DEP_1) | instskip(SKIP_1) | instid1(VALU_DEP_2)
	v_fma_f64 v[148:149], v[198:199], v[196:197], -v[148:149]
	v_mul_f64 v[198:199], v[198:199], v[150:151]
	v_add_f64 v[0:1], v[0:1], -v[148:149]
	s_delay_alu instid0(VALU_DEP_2) | instskip(SKIP_1) | instid1(VALU_DEP_2)
	v_fma_f64 v[198:199], v[200:201], v[196:197], v[198:199]
	v_dual_mov_b32 v148, v196 :: v_dual_mov_b32 v149, v197
	v_add_f64 v[2:3], v[2:3], -v[198:199]
.LBB97_109:
	s_or_b32 exec_lo, exec_lo, s3
	s_delay_alu instid0(SALU_CYCLE_1)
	s_mov_b32 s4, exec_lo
	s_waitcnt_vscnt null, 0x0
	s_barrier
	buffer_gl0_inv
	v_cmpx_eq_u32_e32 12, v214
	s_cbranch_execz .LBB97_116
; %bb.110:
	ds_store_2addr_b64 v215, v[144:145], v[146:147] offset1:1
	ds_store_2addr_b64 v216, v[140:141], v[142:143] offset0:26 offset1:27
	ds_store_2addr_b64 v216, v[136:137], v[138:139] offset0:28 offset1:29
	;; [unrolled: 1-line block ×36, first 2 shown]
	ds_load_2addr_b64 v[196:199], v215 offset1:1
	s_waitcnt lgkmcnt(0)
	v_cmp_neq_f64_e32 vcc_lo, 0, v[196:197]
	v_cmp_neq_f64_e64 s3, 0, v[198:199]
	s_delay_alu instid0(VALU_DEP_1) | instskip(NEXT) | instid1(SALU_CYCLE_1)
	s_or_b32 s3, vcc_lo, s3
	s_and_b32 exec_lo, exec_lo, s3
	s_cbranch_execz .LBB97_116
; %bb.111:
	v_cmp_gt_f64_e32 vcc_lo, 0, v[196:197]
	v_xor_b32_e32 v200, 0x80000000, v197
	v_xor_b32_e32 v202, 0x80000000, v199
	s_mov_b32 s3, exec_lo
                                        ; implicit-def: $vgpr204_vgpr205
	s_delay_alu instid0(VALU_DEP_2) | instskip(SKIP_4) | instid1(VALU_DEP_1)
	v_cndmask_b32_e32 v201, v197, v200, vcc_lo
	v_cndmask_b32_e32 v200, v196, v196, vcc_lo
	v_cmp_gt_f64_e32 vcc_lo, 0, v[198:199]
	v_cndmask_b32_e32 v203, v199, v202, vcc_lo
	v_cndmask_b32_e32 v202, v198, v198, vcc_lo
	v_cmpx_ngt_f64_e32 v[200:201], v[202:203]
	s_xor_b32 s3, exec_lo, s3
                                        ; implicit-def: $vgpr200_vgpr201_vgpr202_vgpr203
	s_cbranch_execz .LBB97_113
; %bb.112:
	v_div_scale_f64 v[200:201], null, v[198:199], v[198:199], v[196:197]
	v_div_scale_f64 v[206:207], vcc_lo, v[196:197], v[198:199], v[196:197]
	s_delay_alu instid0(VALU_DEP_2) | instskip(SKIP_2) | instid1(VALU_DEP_1)
	v_rcp_f64_e32 v[202:203], v[200:201]
	s_waitcnt_depctr 0xfff
	v_fma_f64 v[204:205], -v[200:201], v[202:203], 1.0
	v_fma_f64 v[202:203], v[202:203], v[204:205], v[202:203]
	s_delay_alu instid0(VALU_DEP_1) | instskip(NEXT) | instid1(VALU_DEP_1)
	v_fma_f64 v[204:205], -v[200:201], v[202:203], 1.0
	v_fma_f64 v[202:203], v[202:203], v[204:205], v[202:203]
	s_delay_alu instid0(VALU_DEP_1) | instskip(NEXT) | instid1(VALU_DEP_1)
	v_mul_f64 v[204:205], v[206:207], v[202:203]
	v_fma_f64 v[200:201], -v[200:201], v[204:205], v[206:207]
	s_delay_alu instid0(VALU_DEP_1) | instskip(NEXT) | instid1(VALU_DEP_1)
	v_div_fmas_f64 v[200:201], v[200:201], v[202:203], v[204:205]
	v_div_fixup_f64 v[200:201], v[200:201], v[198:199], v[196:197]
	s_delay_alu instid0(VALU_DEP_1) | instskip(NEXT) | instid1(VALU_DEP_1)
	v_fma_f64 v[196:197], v[196:197], v[200:201], v[198:199]
	v_div_scale_f64 v[198:199], null, v[196:197], v[196:197], 1.0
	s_delay_alu instid0(VALU_DEP_1) | instskip(SKIP_2) | instid1(VALU_DEP_1)
	v_rcp_f64_e32 v[202:203], v[198:199]
	s_waitcnt_depctr 0xfff
	v_fma_f64 v[204:205], -v[198:199], v[202:203], 1.0
	v_fma_f64 v[202:203], v[202:203], v[204:205], v[202:203]
	s_delay_alu instid0(VALU_DEP_1) | instskip(NEXT) | instid1(VALU_DEP_1)
	v_fma_f64 v[204:205], -v[198:199], v[202:203], 1.0
	v_fma_f64 v[202:203], v[202:203], v[204:205], v[202:203]
	v_div_scale_f64 v[204:205], vcc_lo, 1.0, v[196:197], 1.0
	s_delay_alu instid0(VALU_DEP_1) | instskip(NEXT) | instid1(VALU_DEP_1)
	v_mul_f64 v[206:207], v[204:205], v[202:203]
	v_fma_f64 v[198:199], -v[198:199], v[206:207], v[204:205]
	s_delay_alu instid0(VALU_DEP_1) | instskip(NEXT) | instid1(VALU_DEP_1)
	v_div_fmas_f64 v[198:199], v[198:199], v[202:203], v[206:207]
	v_div_fixup_f64 v[202:203], v[198:199], v[196:197], 1.0
                                        ; implicit-def: $vgpr196_vgpr197
	s_delay_alu instid0(VALU_DEP_1)
	v_mul_f64 v[204:205], v[200:201], v[202:203]
	v_xor_b32_e32 v203, 0x80000000, v203
.LBB97_113:
	s_and_not1_saveexec_b32 s3, s3
	s_cbranch_execz .LBB97_115
; %bb.114:
	v_div_scale_f64 v[200:201], null, v[196:197], v[196:197], v[198:199]
	v_div_scale_f64 v[206:207], vcc_lo, v[198:199], v[196:197], v[198:199]
	s_delay_alu instid0(VALU_DEP_2) | instskip(SKIP_2) | instid1(VALU_DEP_1)
	v_rcp_f64_e32 v[202:203], v[200:201]
	s_waitcnt_depctr 0xfff
	v_fma_f64 v[204:205], -v[200:201], v[202:203], 1.0
	v_fma_f64 v[202:203], v[202:203], v[204:205], v[202:203]
	s_delay_alu instid0(VALU_DEP_1) | instskip(NEXT) | instid1(VALU_DEP_1)
	v_fma_f64 v[204:205], -v[200:201], v[202:203], 1.0
	v_fma_f64 v[202:203], v[202:203], v[204:205], v[202:203]
	s_delay_alu instid0(VALU_DEP_1) | instskip(NEXT) | instid1(VALU_DEP_1)
	v_mul_f64 v[204:205], v[206:207], v[202:203]
	v_fma_f64 v[200:201], -v[200:201], v[204:205], v[206:207]
	s_delay_alu instid0(VALU_DEP_1) | instskip(NEXT) | instid1(VALU_DEP_1)
	v_div_fmas_f64 v[200:201], v[200:201], v[202:203], v[204:205]
	v_div_fixup_f64 v[200:201], v[200:201], v[196:197], v[198:199]
	s_delay_alu instid0(VALU_DEP_1) | instskip(NEXT) | instid1(VALU_DEP_1)
	v_fma_f64 v[196:197], v[198:199], v[200:201], v[196:197]
	v_div_scale_f64 v[198:199], null, v[196:197], v[196:197], 1.0
	s_delay_alu instid0(VALU_DEP_1) | instskip(SKIP_2) | instid1(VALU_DEP_1)
	v_rcp_f64_e32 v[202:203], v[198:199]
	s_waitcnt_depctr 0xfff
	v_fma_f64 v[204:205], -v[198:199], v[202:203], 1.0
	v_fma_f64 v[202:203], v[202:203], v[204:205], v[202:203]
	s_delay_alu instid0(VALU_DEP_1) | instskip(NEXT) | instid1(VALU_DEP_1)
	v_fma_f64 v[204:205], -v[198:199], v[202:203], 1.0
	v_fma_f64 v[202:203], v[202:203], v[204:205], v[202:203]
	v_div_scale_f64 v[204:205], vcc_lo, 1.0, v[196:197], 1.0
	s_delay_alu instid0(VALU_DEP_1) | instskip(NEXT) | instid1(VALU_DEP_1)
	v_mul_f64 v[206:207], v[204:205], v[202:203]
	v_fma_f64 v[198:199], -v[198:199], v[206:207], v[204:205]
	s_delay_alu instid0(VALU_DEP_1) | instskip(NEXT) | instid1(VALU_DEP_1)
	v_div_fmas_f64 v[198:199], v[198:199], v[202:203], v[206:207]
	v_div_fixup_f64 v[204:205], v[198:199], v[196:197], 1.0
	s_delay_alu instid0(VALU_DEP_1)
	v_mul_f64 v[202:203], v[200:201], -v[204:205]
.LBB97_115:
	s_or_b32 exec_lo, exec_lo, s3
	ds_store_2addr_b64 v215, v[204:205], v[202:203] offset1:1
.LBB97_116:
	s_or_b32 exec_lo, exec_lo, s4
	s_waitcnt lgkmcnt(0)
	s_barrier
	buffer_gl0_inv
	ds_load_2addr_b64 v[196:199], v215 offset1:1
	s_mov_b32 s3, exec_lo
	s_waitcnt lgkmcnt(0)
	scratch_store_b128 off, v[196:199], off offset:536 ; 16-byte Folded Spill
	v_cmpx_lt_u32_e32 12, v214
	s_cbranch_execz .LBB97_118
; %bb.117:
	scratch_load_b128 v[198:201], off, off offset:536 ; 16-byte Folded Reload
	s_waitcnt vmcnt(0)
	v_mul_f64 v[196:197], v[200:201], v[146:147]
	v_mul_f64 v[146:147], v[198:199], v[146:147]
	s_delay_alu instid0(VALU_DEP_2) | instskip(NEXT) | instid1(VALU_DEP_2)
	v_fma_f64 v[196:197], v[198:199], v[144:145], -v[196:197]
	v_fma_f64 v[146:147], v[200:201], v[144:145], v[146:147]
	ds_load_2addr_b64 v[198:201], v216 offset0:26 offset1:27
	s_waitcnt lgkmcnt(0)
	v_mul_f64 v[144:145], v[200:201], v[146:147]
	s_delay_alu instid0(VALU_DEP_1) | instskip(SKIP_1) | instid1(VALU_DEP_2)
	v_fma_f64 v[144:145], v[198:199], v[196:197], -v[144:145]
	v_mul_f64 v[198:199], v[198:199], v[146:147]
	v_add_f64 v[140:141], v[140:141], -v[144:145]
	s_delay_alu instid0(VALU_DEP_2) | instskip(NEXT) | instid1(VALU_DEP_1)
	v_fma_f64 v[198:199], v[200:201], v[196:197], v[198:199]
	v_add_f64 v[142:143], v[142:143], -v[198:199]
	ds_load_2addr_b64 v[198:201], v216 offset0:28 offset1:29
	s_waitcnt lgkmcnt(0)
	v_mul_f64 v[144:145], v[200:201], v[146:147]
	s_delay_alu instid0(VALU_DEP_1) | instskip(SKIP_1) | instid1(VALU_DEP_2)
	v_fma_f64 v[144:145], v[198:199], v[196:197], -v[144:145]
	v_mul_f64 v[198:199], v[198:199], v[146:147]
	v_add_f64 v[136:137], v[136:137], -v[144:145]
	s_delay_alu instid0(VALU_DEP_2) | instskip(NEXT) | instid1(VALU_DEP_1)
	v_fma_f64 v[198:199], v[200:201], v[196:197], v[198:199]
	v_add_f64 v[138:139], v[138:139], -v[198:199]
	;; [unrolled: 10-line block ×35, first 2 shown]
	ds_load_2addr_b64 v[198:201], v216 offset0:96 offset1:97
	s_waitcnt lgkmcnt(0)
	v_mul_f64 v[144:145], v[200:201], v[146:147]
	s_delay_alu instid0(VALU_DEP_1) | instskip(SKIP_1) | instid1(VALU_DEP_2)
	v_fma_f64 v[144:145], v[198:199], v[196:197], -v[144:145]
	v_mul_f64 v[198:199], v[198:199], v[146:147]
	v_add_f64 v[0:1], v[0:1], -v[144:145]
	s_delay_alu instid0(VALU_DEP_2) | instskip(SKIP_1) | instid1(VALU_DEP_2)
	v_fma_f64 v[198:199], v[200:201], v[196:197], v[198:199]
	v_dual_mov_b32 v144, v196 :: v_dual_mov_b32 v145, v197
	v_add_f64 v[2:3], v[2:3], -v[198:199]
.LBB97_118:
	s_or_b32 exec_lo, exec_lo, s3
	s_delay_alu instid0(SALU_CYCLE_1)
	s_mov_b32 s4, exec_lo
	s_waitcnt_vscnt null, 0x0
	s_barrier
	buffer_gl0_inv
	v_cmpx_eq_u32_e32 13, v214
	s_cbranch_execz .LBB97_125
; %bb.119:
	ds_store_2addr_b64 v215, v[140:141], v[142:143] offset1:1
	ds_store_2addr_b64 v216, v[136:137], v[138:139] offset0:28 offset1:29
	ds_store_2addr_b64 v216, v[132:133], v[134:135] offset0:30 offset1:31
	;; [unrolled: 1-line block ×35, first 2 shown]
	ds_load_2addr_b64 v[196:199], v215 offset1:1
	s_waitcnt lgkmcnt(0)
	v_cmp_neq_f64_e32 vcc_lo, 0, v[196:197]
	v_cmp_neq_f64_e64 s3, 0, v[198:199]
	s_delay_alu instid0(VALU_DEP_1) | instskip(NEXT) | instid1(SALU_CYCLE_1)
	s_or_b32 s3, vcc_lo, s3
	s_and_b32 exec_lo, exec_lo, s3
	s_cbranch_execz .LBB97_125
; %bb.120:
	v_cmp_gt_f64_e32 vcc_lo, 0, v[196:197]
	v_xor_b32_e32 v200, 0x80000000, v197
	v_xor_b32_e32 v202, 0x80000000, v199
	s_mov_b32 s3, exec_lo
                                        ; implicit-def: $vgpr204_vgpr205
	s_delay_alu instid0(VALU_DEP_2) | instskip(SKIP_4) | instid1(VALU_DEP_1)
	v_cndmask_b32_e32 v201, v197, v200, vcc_lo
	v_cndmask_b32_e32 v200, v196, v196, vcc_lo
	v_cmp_gt_f64_e32 vcc_lo, 0, v[198:199]
	v_cndmask_b32_e32 v203, v199, v202, vcc_lo
	v_cndmask_b32_e32 v202, v198, v198, vcc_lo
	v_cmpx_ngt_f64_e32 v[200:201], v[202:203]
	s_xor_b32 s3, exec_lo, s3
                                        ; implicit-def: $vgpr200_vgpr201_vgpr202_vgpr203
	s_cbranch_execz .LBB97_122
; %bb.121:
	v_div_scale_f64 v[200:201], null, v[198:199], v[198:199], v[196:197]
	v_div_scale_f64 v[206:207], vcc_lo, v[196:197], v[198:199], v[196:197]
	s_delay_alu instid0(VALU_DEP_2) | instskip(SKIP_2) | instid1(VALU_DEP_1)
	v_rcp_f64_e32 v[202:203], v[200:201]
	s_waitcnt_depctr 0xfff
	v_fma_f64 v[204:205], -v[200:201], v[202:203], 1.0
	v_fma_f64 v[202:203], v[202:203], v[204:205], v[202:203]
	s_delay_alu instid0(VALU_DEP_1) | instskip(NEXT) | instid1(VALU_DEP_1)
	v_fma_f64 v[204:205], -v[200:201], v[202:203], 1.0
	v_fma_f64 v[202:203], v[202:203], v[204:205], v[202:203]
	s_delay_alu instid0(VALU_DEP_1) | instskip(NEXT) | instid1(VALU_DEP_1)
	v_mul_f64 v[204:205], v[206:207], v[202:203]
	v_fma_f64 v[200:201], -v[200:201], v[204:205], v[206:207]
	s_delay_alu instid0(VALU_DEP_1) | instskip(NEXT) | instid1(VALU_DEP_1)
	v_div_fmas_f64 v[200:201], v[200:201], v[202:203], v[204:205]
	v_div_fixup_f64 v[200:201], v[200:201], v[198:199], v[196:197]
	s_delay_alu instid0(VALU_DEP_1) | instskip(NEXT) | instid1(VALU_DEP_1)
	v_fma_f64 v[196:197], v[196:197], v[200:201], v[198:199]
	v_div_scale_f64 v[198:199], null, v[196:197], v[196:197], 1.0
	s_delay_alu instid0(VALU_DEP_1) | instskip(SKIP_2) | instid1(VALU_DEP_1)
	v_rcp_f64_e32 v[202:203], v[198:199]
	s_waitcnt_depctr 0xfff
	v_fma_f64 v[204:205], -v[198:199], v[202:203], 1.0
	v_fma_f64 v[202:203], v[202:203], v[204:205], v[202:203]
	s_delay_alu instid0(VALU_DEP_1) | instskip(NEXT) | instid1(VALU_DEP_1)
	v_fma_f64 v[204:205], -v[198:199], v[202:203], 1.0
	v_fma_f64 v[202:203], v[202:203], v[204:205], v[202:203]
	v_div_scale_f64 v[204:205], vcc_lo, 1.0, v[196:197], 1.0
	s_delay_alu instid0(VALU_DEP_1) | instskip(NEXT) | instid1(VALU_DEP_1)
	v_mul_f64 v[206:207], v[204:205], v[202:203]
	v_fma_f64 v[198:199], -v[198:199], v[206:207], v[204:205]
	s_delay_alu instid0(VALU_DEP_1) | instskip(NEXT) | instid1(VALU_DEP_1)
	v_div_fmas_f64 v[198:199], v[198:199], v[202:203], v[206:207]
	v_div_fixup_f64 v[202:203], v[198:199], v[196:197], 1.0
                                        ; implicit-def: $vgpr196_vgpr197
	s_delay_alu instid0(VALU_DEP_1)
	v_mul_f64 v[204:205], v[200:201], v[202:203]
	v_xor_b32_e32 v203, 0x80000000, v203
.LBB97_122:
	s_and_not1_saveexec_b32 s3, s3
	s_cbranch_execz .LBB97_124
; %bb.123:
	v_div_scale_f64 v[200:201], null, v[196:197], v[196:197], v[198:199]
	v_div_scale_f64 v[206:207], vcc_lo, v[198:199], v[196:197], v[198:199]
	s_delay_alu instid0(VALU_DEP_2) | instskip(SKIP_2) | instid1(VALU_DEP_1)
	v_rcp_f64_e32 v[202:203], v[200:201]
	s_waitcnt_depctr 0xfff
	v_fma_f64 v[204:205], -v[200:201], v[202:203], 1.0
	v_fma_f64 v[202:203], v[202:203], v[204:205], v[202:203]
	s_delay_alu instid0(VALU_DEP_1) | instskip(NEXT) | instid1(VALU_DEP_1)
	v_fma_f64 v[204:205], -v[200:201], v[202:203], 1.0
	v_fma_f64 v[202:203], v[202:203], v[204:205], v[202:203]
	s_delay_alu instid0(VALU_DEP_1) | instskip(NEXT) | instid1(VALU_DEP_1)
	v_mul_f64 v[204:205], v[206:207], v[202:203]
	v_fma_f64 v[200:201], -v[200:201], v[204:205], v[206:207]
	s_delay_alu instid0(VALU_DEP_1) | instskip(NEXT) | instid1(VALU_DEP_1)
	v_div_fmas_f64 v[200:201], v[200:201], v[202:203], v[204:205]
	v_div_fixup_f64 v[200:201], v[200:201], v[196:197], v[198:199]
	s_delay_alu instid0(VALU_DEP_1) | instskip(NEXT) | instid1(VALU_DEP_1)
	v_fma_f64 v[196:197], v[198:199], v[200:201], v[196:197]
	v_div_scale_f64 v[198:199], null, v[196:197], v[196:197], 1.0
	s_delay_alu instid0(VALU_DEP_1) | instskip(SKIP_2) | instid1(VALU_DEP_1)
	v_rcp_f64_e32 v[202:203], v[198:199]
	s_waitcnt_depctr 0xfff
	v_fma_f64 v[204:205], -v[198:199], v[202:203], 1.0
	v_fma_f64 v[202:203], v[202:203], v[204:205], v[202:203]
	s_delay_alu instid0(VALU_DEP_1) | instskip(NEXT) | instid1(VALU_DEP_1)
	v_fma_f64 v[204:205], -v[198:199], v[202:203], 1.0
	v_fma_f64 v[202:203], v[202:203], v[204:205], v[202:203]
	v_div_scale_f64 v[204:205], vcc_lo, 1.0, v[196:197], 1.0
	s_delay_alu instid0(VALU_DEP_1) | instskip(NEXT) | instid1(VALU_DEP_1)
	v_mul_f64 v[206:207], v[204:205], v[202:203]
	v_fma_f64 v[198:199], -v[198:199], v[206:207], v[204:205]
	s_delay_alu instid0(VALU_DEP_1) | instskip(NEXT) | instid1(VALU_DEP_1)
	v_div_fmas_f64 v[198:199], v[198:199], v[202:203], v[206:207]
	v_div_fixup_f64 v[204:205], v[198:199], v[196:197], 1.0
	s_delay_alu instid0(VALU_DEP_1)
	v_mul_f64 v[202:203], v[200:201], -v[204:205]
.LBB97_124:
	s_or_b32 exec_lo, exec_lo, s3
	ds_store_2addr_b64 v215, v[204:205], v[202:203] offset1:1
.LBB97_125:
	s_or_b32 exec_lo, exec_lo, s4
	s_waitcnt lgkmcnt(0)
	s_barrier
	buffer_gl0_inv
	ds_load_2addr_b64 v[196:199], v215 offset1:1
	s_mov_b32 s3, exec_lo
	s_waitcnt lgkmcnt(0)
	scratch_store_b128 off, v[196:199], off offset:552 ; 16-byte Folded Spill
	v_cmpx_lt_u32_e32 13, v214
	s_cbranch_execz .LBB97_127
; %bb.126:
	scratch_load_b128 v[198:201], off, off offset:552 ; 16-byte Folded Reload
	s_waitcnt vmcnt(0)
	v_mul_f64 v[196:197], v[200:201], v[142:143]
	v_mul_f64 v[142:143], v[198:199], v[142:143]
	s_delay_alu instid0(VALU_DEP_2) | instskip(NEXT) | instid1(VALU_DEP_2)
	v_fma_f64 v[196:197], v[198:199], v[140:141], -v[196:197]
	v_fma_f64 v[142:143], v[200:201], v[140:141], v[142:143]
	ds_load_2addr_b64 v[198:201], v216 offset0:28 offset1:29
	s_waitcnt lgkmcnt(0)
	v_mul_f64 v[140:141], v[200:201], v[142:143]
	s_delay_alu instid0(VALU_DEP_1) | instskip(SKIP_1) | instid1(VALU_DEP_2)
	v_fma_f64 v[140:141], v[198:199], v[196:197], -v[140:141]
	v_mul_f64 v[198:199], v[198:199], v[142:143]
	v_add_f64 v[136:137], v[136:137], -v[140:141]
	s_delay_alu instid0(VALU_DEP_2) | instskip(NEXT) | instid1(VALU_DEP_1)
	v_fma_f64 v[198:199], v[200:201], v[196:197], v[198:199]
	v_add_f64 v[138:139], v[138:139], -v[198:199]
	ds_load_2addr_b64 v[198:201], v216 offset0:30 offset1:31
	s_waitcnt lgkmcnt(0)
	v_mul_f64 v[140:141], v[200:201], v[142:143]
	s_delay_alu instid0(VALU_DEP_1) | instskip(SKIP_1) | instid1(VALU_DEP_2)
	v_fma_f64 v[140:141], v[198:199], v[196:197], -v[140:141]
	v_mul_f64 v[198:199], v[198:199], v[142:143]
	v_add_f64 v[132:133], v[132:133], -v[140:141]
	s_delay_alu instid0(VALU_DEP_2) | instskip(NEXT) | instid1(VALU_DEP_1)
	v_fma_f64 v[198:199], v[200:201], v[196:197], v[198:199]
	v_add_f64 v[134:135], v[134:135], -v[198:199]
	;; [unrolled: 10-line block ×34, first 2 shown]
	ds_load_2addr_b64 v[198:201], v216 offset0:96 offset1:97
	s_waitcnt lgkmcnt(0)
	v_mul_f64 v[140:141], v[200:201], v[142:143]
	s_delay_alu instid0(VALU_DEP_1) | instskip(SKIP_1) | instid1(VALU_DEP_2)
	v_fma_f64 v[140:141], v[198:199], v[196:197], -v[140:141]
	v_mul_f64 v[198:199], v[198:199], v[142:143]
	v_add_f64 v[0:1], v[0:1], -v[140:141]
	s_delay_alu instid0(VALU_DEP_2) | instskip(SKIP_1) | instid1(VALU_DEP_2)
	v_fma_f64 v[198:199], v[200:201], v[196:197], v[198:199]
	v_dual_mov_b32 v140, v196 :: v_dual_mov_b32 v141, v197
	v_add_f64 v[2:3], v[2:3], -v[198:199]
.LBB97_127:
	s_or_b32 exec_lo, exec_lo, s3
	s_delay_alu instid0(SALU_CYCLE_1)
	s_mov_b32 s4, exec_lo
	s_waitcnt_vscnt null, 0x0
	s_barrier
	buffer_gl0_inv
	v_cmpx_eq_u32_e32 14, v214
	s_cbranch_execz .LBB97_134
; %bb.128:
	ds_store_2addr_b64 v215, v[136:137], v[138:139] offset1:1
	ds_store_2addr_b64 v216, v[132:133], v[134:135] offset0:30 offset1:31
	ds_store_2addr_b64 v216, v[128:129], v[130:131] offset0:32 offset1:33
	;; [unrolled: 1-line block ×34, first 2 shown]
	ds_load_2addr_b64 v[196:199], v215 offset1:1
	s_waitcnt lgkmcnt(0)
	v_cmp_neq_f64_e32 vcc_lo, 0, v[196:197]
	v_cmp_neq_f64_e64 s3, 0, v[198:199]
	s_delay_alu instid0(VALU_DEP_1) | instskip(NEXT) | instid1(SALU_CYCLE_1)
	s_or_b32 s3, vcc_lo, s3
	s_and_b32 exec_lo, exec_lo, s3
	s_cbranch_execz .LBB97_134
; %bb.129:
	v_cmp_gt_f64_e32 vcc_lo, 0, v[196:197]
	v_xor_b32_e32 v200, 0x80000000, v197
	v_xor_b32_e32 v202, 0x80000000, v199
	s_mov_b32 s3, exec_lo
                                        ; implicit-def: $vgpr204_vgpr205
	s_delay_alu instid0(VALU_DEP_2) | instskip(SKIP_4) | instid1(VALU_DEP_1)
	v_cndmask_b32_e32 v201, v197, v200, vcc_lo
	v_cndmask_b32_e32 v200, v196, v196, vcc_lo
	v_cmp_gt_f64_e32 vcc_lo, 0, v[198:199]
	v_cndmask_b32_e32 v203, v199, v202, vcc_lo
	v_cndmask_b32_e32 v202, v198, v198, vcc_lo
	v_cmpx_ngt_f64_e32 v[200:201], v[202:203]
	s_xor_b32 s3, exec_lo, s3
                                        ; implicit-def: $vgpr200_vgpr201_vgpr202_vgpr203
	s_cbranch_execz .LBB97_131
; %bb.130:
	v_div_scale_f64 v[200:201], null, v[198:199], v[198:199], v[196:197]
	v_div_scale_f64 v[206:207], vcc_lo, v[196:197], v[198:199], v[196:197]
	s_delay_alu instid0(VALU_DEP_2) | instskip(SKIP_2) | instid1(VALU_DEP_1)
	v_rcp_f64_e32 v[202:203], v[200:201]
	s_waitcnt_depctr 0xfff
	v_fma_f64 v[204:205], -v[200:201], v[202:203], 1.0
	v_fma_f64 v[202:203], v[202:203], v[204:205], v[202:203]
	s_delay_alu instid0(VALU_DEP_1) | instskip(NEXT) | instid1(VALU_DEP_1)
	v_fma_f64 v[204:205], -v[200:201], v[202:203], 1.0
	v_fma_f64 v[202:203], v[202:203], v[204:205], v[202:203]
	s_delay_alu instid0(VALU_DEP_1) | instskip(NEXT) | instid1(VALU_DEP_1)
	v_mul_f64 v[204:205], v[206:207], v[202:203]
	v_fma_f64 v[200:201], -v[200:201], v[204:205], v[206:207]
	s_delay_alu instid0(VALU_DEP_1) | instskip(NEXT) | instid1(VALU_DEP_1)
	v_div_fmas_f64 v[200:201], v[200:201], v[202:203], v[204:205]
	v_div_fixup_f64 v[200:201], v[200:201], v[198:199], v[196:197]
	s_delay_alu instid0(VALU_DEP_1) | instskip(NEXT) | instid1(VALU_DEP_1)
	v_fma_f64 v[196:197], v[196:197], v[200:201], v[198:199]
	v_div_scale_f64 v[198:199], null, v[196:197], v[196:197], 1.0
	s_delay_alu instid0(VALU_DEP_1) | instskip(SKIP_2) | instid1(VALU_DEP_1)
	v_rcp_f64_e32 v[202:203], v[198:199]
	s_waitcnt_depctr 0xfff
	v_fma_f64 v[204:205], -v[198:199], v[202:203], 1.0
	v_fma_f64 v[202:203], v[202:203], v[204:205], v[202:203]
	s_delay_alu instid0(VALU_DEP_1) | instskip(NEXT) | instid1(VALU_DEP_1)
	v_fma_f64 v[204:205], -v[198:199], v[202:203], 1.0
	v_fma_f64 v[202:203], v[202:203], v[204:205], v[202:203]
	v_div_scale_f64 v[204:205], vcc_lo, 1.0, v[196:197], 1.0
	s_delay_alu instid0(VALU_DEP_1) | instskip(NEXT) | instid1(VALU_DEP_1)
	v_mul_f64 v[206:207], v[204:205], v[202:203]
	v_fma_f64 v[198:199], -v[198:199], v[206:207], v[204:205]
	s_delay_alu instid0(VALU_DEP_1) | instskip(NEXT) | instid1(VALU_DEP_1)
	v_div_fmas_f64 v[198:199], v[198:199], v[202:203], v[206:207]
	v_div_fixup_f64 v[202:203], v[198:199], v[196:197], 1.0
                                        ; implicit-def: $vgpr196_vgpr197
	s_delay_alu instid0(VALU_DEP_1)
	v_mul_f64 v[204:205], v[200:201], v[202:203]
	v_xor_b32_e32 v203, 0x80000000, v203
.LBB97_131:
	s_and_not1_saveexec_b32 s3, s3
	s_cbranch_execz .LBB97_133
; %bb.132:
	v_div_scale_f64 v[200:201], null, v[196:197], v[196:197], v[198:199]
	v_div_scale_f64 v[206:207], vcc_lo, v[198:199], v[196:197], v[198:199]
	s_delay_alu instid0(VALU_DEP_2) | instskip(SKIP_2) | instid1(VALU_DEP_1)
	v_rcp_f64_e32 v[202:203], v[200:201]
	s_waitcnt_depctr 0xfff
	v_fma_f64 v[204:205], -v[200:201], v[202:203], 1.0
	v_fma_f64 v[202:203], v[202:203], v[204:205], v[202:203]
	s_delay_alu instid0(VALU_DEP_1) | instskip(NEXT) | instid1(VALU_DEP_1)
	v_fma_f64 v[204:205], -v[200:201], v[202:203], 1.0
	v_fma_f64 v[202:203], v[202:203], v[204:205], v[202:203]
	s_delay_alu instid0(VALU_DEP_1) | instskip(NEXT) | instid1(VALU_DEP_1)
	v_mul_f64 v[204:205], v[206:207], v[202:203]
	v_fma_f64 v[200:201], -v[200:201], v[204:205], v[206:207]
	s_delay_alu instid0(VALU_DEP_1) | instskip(NEXT) | instid1(VALU_DEP_1)
	v_div_fmas_f64 v[200:201], v[200:201], v[202:203], v[204:205]
	v_div_fixup_f64 v[200:201], v[200:201], v[196:197], v[198:199]
	s_delay_alu instid0(VALU_DEP_1) | instskip(NEXT) | instid1(VALU_DEP_1)
	v_fma_f64 v[196:197], v[198:199], v[200:201], v[196:197]
	v_div_scale_f64 v[198:199], null, v[196:197], v[196:197], 1.0
	s_delay_alu instid0(VALU_DEP_1) | instskip(SKIP_2) | instid1(VALU_DEP_1)
	v_rcp_f64_e32 v[202:203], v[198:199]
	s_waitcnt_depctr 0xfff
	v_fma_f64 v[204:205], -v[198:199], v[202:203], 1.0
	v_fma_f64 v[202:203], v[202:203], v[204:205], v[202:203]
	s_delay_alu instid0(VALU_DEP_1) | instskip(NEXT) | instid1(VALU_DEP_1)
	v_fma_f64 v[204:205], -v[198:199], v[202:203], 1.0
	v_fma_f64 v[202:203], v[202:203], v[204:205], v[202:203]
	v_div_scale_f64 v[204:205], vcc_lo, 1.0, v[196:197], 1.0
	s_delay_alu instid0(VALU_DEP_1) | instskip(NEXT) | instid1(VALU_DEP_1)
	v_mul_f64 v[206:207], v[204:205], v[202:203]
	v_fma_f64 v[198:199], -v[198:199], v[206:207], v[204:205]
	s_delay_alu instid0(VALU_DEP_1) | instskip(NEXT) | instid1(VALU_DEP_1)
	v_div_fmas_f64 v[198:199], v[198:199], v[202:203], v[206:207]
	v_div_fixup_f64 v[204:205], v[198:199], v[196:197], 1.0
	s_delay_alu instid0(VALU_DEP_1)
	v_mul_f64 v[202:203], v[200:201], -v[204:205]
.LBB97_133:
	s_or_b32 exec_lo, exec_lo, s3
	ds_store_2addr_b64 v215, v[204:205], v[202:203] offset1:1
.LBB97_134:
	s_or_b32 exec_lo, exec_lo, s4
	s_waitcnt lgkmcnt(0)
	s_barrier
	buffer_gl0_inv
	ds_load_2addr_b64 v[196:199], v215 offset1:1
	s_mov_b32 s3, exec_lo
	s_waitcnt lgkmcnt(0)
	scratch_store_b128 off, v[196:199], off offset:568 ; 16-byte Folded Spill
	v_cmpx_lt_u32_e32 14, v214
	s_cbranch_execz .LBB97_136
; %bb.135:
	scratch_load_b128 v[198:201], off, off offset:568 ; 16-byte Folded Reload
	s_waitcnt vmcnt(0)
	v_mul_f64 v[196:197], v[200:201], v[138:139]
	v_mul_f64 v[138:139], v[198:199], v[138:139]
	s_delay_alu instid0(VALU_DEP_2) | instskip(NEXT) | instid1(VALU_DEP_2)
	v_fma_f64 v[196:197], v[198:199], v[136:137], -v[196:197]
	v_fma_f64 v[138:139], v[200:201], v[136:137], v[138:139]
	ds_load_2addr_b64 v[198:201], v216 offset0:30 offset1:31
	s_waitcnt lgkmcnt(0)
	v_mul_f64 v[136:137], v[200:201], v[138:139]
	s_delay_alu instid0(VALU_DEP_1) | instskip(SKIP_1) | instid1(VALU_DEP_2)
	v_fma_f64 v[136:137], v[198:199], v[196:197], -v[136:137]
	v_mul_f64 v[198:199], v[198:199], v[138:139]
	v_add_f64 v[132:133], v[132:133], -v[136:137]
	s_delay_alu instid0(VALU_DEP_2) | instskip(NEXT) | instid1(VALU_DEP_1)
	v_fma_f64 v[198:199], v[200:201], v[196:197], v[198:199]
	v_add_f64 v[134:135], v[134:135], -v[198:199]
	ds_load_2addr_b64 v[198:201], v216 offset0:32 offset1:33
	s_waitcnt lgkmcnt(0)
	v_mul_f64 v[136:137], v[200:201], v[138:139]
	s_delay_alu instid0(VALU_DEP_1) | instskip(SKIP_1) | instid1(VALU_DEP_2)
	v_fma_f64 v[136:137], v[198:199], v[196:197], -v[136:137]
	v_mul_f64 v[198:199], v[198:199], v[138:139]
	v_add_f64 v[128:129], v[128:129], -v[136:137]
	s_delay_alu instid0(VALU_DEP_2) | instskip(NEXT) | instid1(VALU_DEP_1)
	v_fma_f64 v[198:199], v[200:201], v[196:197], v[198:199]
	v_add_f64 v[130:131], v[130:131], -v[198:199]
	;; [unrolled: 10-line block ×33, first 2 shown]
	ds_load_2addr_b64 v[198:201], v216 offset0:96 offset1:97
	s_waitcnt lgkmcnt(0)
	v_mul_f64 v[136:137], v[200:201], v[138:139]
	s_delay_alu instid0(VALU_DEP_1) | instskip(SKIP_1) | instid1(VALU_DEP_2)
	v_fma_f64 v[136:137], v[198:199], v[196:197], -v[136:137]
	v_mul_f64 v[198:199], v[198:199], v[138:139]
	v_add_f64 v[0:1], v[0:1], -v[136:137]
	s_delay_alu instid0(VALU_DEP_2) | instskip(SKIP_1) | instid1(VALU_DEP_2)
	v_fma_f64 v[198:199], v[200:201], v[196:197], v[198:199]
	v_dual_mov_b32 v136, v196 :: v_dual_mov_b32 v137, v197
	v_add_f64 v[2:3], v[2:3], -v[198:199]
.LBB97_136:
	s_or_b32 exec_lo, exec_lo, s3
	s_delay_alu instid0(SALU_CYCLE_1)
	s_mov_b32 s4, exec_lo
	s_waitcnt_vscnt null, 0x0
	s_barrier
	buffer_gl0_inv
	v_cmpx_eq_u32_e32 15, v214
	s_cbranch_execz .LBB97_143
; %bb.137:
	ds_store_2addr_b64 v215, v[132:133], v[134:135] offset1:1
	ds_store_2addr_b64 v216, v[128:129], v[130:131] offset0:32 offset1:33
	ds_store_2addr_b64 v216, v[124:125], v[126:127] offset0:34 offset1:35
	ds_store_2addr_b64 v216, v[120:121], v[122:123] offset0:36 offset1:37
	ds_store_2addr_b64 v216, v[116:117], v[118:119] offset0:38 offset1:39
	ds_store_2addr_b64 v216, v[112:113], v[114:115] offset0:40 offset1:41
	ds_store_2addr_b64 v216, v[108:109], v[110:111] offset0:42 offset1:43
	ds_store_2addr_b64 v216, v[104:105], v[106:107] offset0:44 offset1:45
	ds_store_2addr_b64 v216, v[100:101], v[102:103] offset0:46 offset1:47
	ds_store_2addr_b64 v216, v[96:97], v[98:99] offset0:48 offset1:49
	ds_store_2addr_b64 v216, v[92:93], v[94:95] offset0:50 offset1:51
	ds_store_2addr_b64 v216, v[88:89], v[90:91] offset0:52 offset1:53
	ds_store_2addr_b64 v216, v[84:85], v[86:87] offset0:54 offset1:55
	ds_store_2addr_b64 v216, v[80:81], v[82:83] offset0:56 offset1:57
	ds_store_2addr_b64 v216, v[76:77], v[78:79] offset0:58 offset1:59
	ds_store_2addr_b64 v216, v[72:73], v[74:75] offset0:60 offset1:61
	ds_store_2addr_b64 v216, v[68:69], v[70:71] offset0:62 offset1:63
	ds_store_2addr_b64 v216, v[64:65], v[66:67] offset0:64 offset1:65
	ds_store_2addr_b64 v216, v[60:61], v[62:63] offset0:66 offset1:67
	ds_store_2addr_b64 v216, v[56:57], v[58:59] offset0:68 offset1:69
	ds_store_2addr_b64 v216, v[52:53], v[54:55] offset0:70 offset1:71
	ds_store_2addr_b64 v216, v[48:49], v[50:51] offset0:72 offset1:73
	ds_store_2addr_b64 v216, v[44:45], v[46:47] offset0:74 offset1:75
	ds_store_2addr_b64 v216, v[40:41], v[42:43] offset0:76 offset1:77
	ds_store_2addr_b64 v216, v[36:37], v[38:39] offset0:78 offset1:79
	ds_store_2addr_b64 v216, v[32:33], v[34:35] offset0:80 offset1:81
	ds_store_2addr_b64 v216, v[28:29], v[30:31] offset0:82 offset1:83
	ds_store_2addr_b64 v216, v[24:25], v[26:27] offset0:84 offset1:85
	ds_store_2addr_b64 v216, v[20:21], v[22:23] offset0:86 offset1:87
	ds_store_2addr_b64 v216, v[16:17], v[18:19] offset0:88 offset1:89
	ds_store_2addr_b64 v216, v[12:13], v[14:15] offset0:90 offset1:91
	ds_store_2addr_b64 v216, v[8:9], v[10:11] offset0:92 offset1:93
	ds_store_2addr_b64 v216, v[4:5], v[6:7] offset0:94 offset1:95
	ds_store_2addr_b64 v216, v[0:1], v[2:3] offset0:96 offset1:97
	ds_load_2addr_b64 v[196:199], v215 offset1:1
	s_waitcnt lgkmcnt(0)
	v_cmp_neq_f64_e32 vcc_lo, 0, v[196:197]
	v_cmp_neq_f64_e64 s3, 0, v[198:199]
	s_delay_alu instid0(VALU_DEP_1) | instskip(NEXT) | instid1(SALU_CYCLE_1)
	s_or_b32 s3, vcc_lo, s3
	s_and_b32 exec_lo, exec_lo, s3
	s_cbranch_execz .LBB97_143
; %bb.138:
	v_cmp_gt_f64_e32 vcc_lo, 0, v[196:197]
	v_xor_b32_e32 v200, 0x80000000, v197
	v_xor_b32_e32 v202, 0x80000000, v199
	s_mov_b32 s3, exec_lo
                                        ; implicit-def: $vgpr204_vgpr205
	s_delay_alu instid0(VALU_DEP_2) | instskip(SKIP_4) | instid1(VALU_DEP_1)
	v_cndmask_b32_e32 v201, v197, v200, vcc_lo
	v_cndmask_b32_e32 v200, v196, v196, vcc_lo
	v_cmp_gt_f64_e32 vcc_lo, 0, v[198:199]
	v_cndmask_b32_e32 v203, v199, v202, vcc_lo
	v_cndmask_b32_e32 v202, v198, v198, vcc_lo
	v_cmpx_ngt_f64_e32 v[200:201], v[202:203]
	s_xor_b32 s3, exec_lo, s3
                                        ; implicit-def: $vgpr200_vgpr201_vgpr202_vgpr203
	s_cbranch_execz .LBB97_140
; %bb.139:
	v_div_scale_f64 v[200:201], null, v[198:199], v[198:199], v[196:197]
	v_div_scale_f64 v[206:207], vcc_lo, v[196:197], v[198:199], v[196:197]
	s_delay_alu instid0(VALU_DEP_2) | instskip(SKIP_2) | instid1(VALU_DEP_1)
	v_rcp_f64_e32 v[202:203], v[200:201]
	s_waitcnt_depctr 0xfff
	v_fma_f64 v[204:205], -v[200:201], v[202:203], 1.0
	v_fma_f64 v[202:203], v[202:203], v[204:205], v[202:203]
	s_delay_alu instid0(VALU_DEP_1) | instskip(NEXT) | instid1(VALU_DEP_1)
	v_fma_f64 v[204:205], -v[200:201], v[202:203], 1.0
	v_fma_f64 v[202:203], v[202:203], v[204:205], v[202:203]
	s_delay_alu instid0(VALU_DEP_1) | instskip(NEXT) | instid1(VALU_DEP_1)
	v_mul_f64 v[204:205], v[206:207], v[202:203]
	v_fma_f64 v[200:201], -v[200:201], v[204:205], v[206:207]
	s_delay_alu instid0(VALU_DEP_1) | instskip(NEXT) | instid1(VALU_DEP_1)
	v_div_fmas_f64 v[200:201], v[200:201], v[202:203], v[204:205]
	v_div_fixup_f64 v[200:201], v[200:201], v[198:199], v[196:197]
	s_delay_alu instid0(VALU_DEP_1) | instskip(NEXT) | instid1(VALU_DEP_1)
	v_fma_f64 v[196:197], v[196:197], v[200:201], v[198:199]
	v_div_scale_f64 v[198:199], null, v[196:197], v[196:197], 1.0
	s_delay_alu instid0(VALU_DEP_1) | instskip(SKIP_2) | instid1(VALU_DEP_1)
	v_rcp_f64_e32 v[202:203], v[198:199]
	s_waitcnt_depctr 0xfff
	v_fma_f64 v[204:205], -v[198:199], v[202:203], 1.0
	v_fma_f64 v[202:203], v[202:203], v[204:205], v[202:203]
	s_delay_alu instid0(VALU_DEP_1) | instskip(NEXT) | instid1(VALU_DEP_1)
	v_fma_f64 v[204:205], -v[198:199], v[202:203], 1.0
	v_fma_f64 v[202:203], v[202:203], v[204:205], v[202:203]
	v_div_scale_f64 v[204:205], vcc_lo, 1.0, v[196:197], 1.0
	s_delay_alu instid0(VALU_DEP_1) | instskip(NEXT) | instid1(VALU_DEP_1)
	v_mul_f64 v[206:207], v[204:205], v[202:203]
	v_fma_f64 v[198:199], -v[198:199], v[206:207], v[204:205]
	s_delay_alu instid0(VALU_DEP_1) | instskip(NEXT) | instid1(VALU_DEP_1)
	v_div_fmas_f64 v[198:199], v[198:199], v[202:203], v[206:207]
	v_div_fixup_f64 v[202:203], v[198:199], v[196:197], 1.0
                                        ; implicit-def: $vgpr196_vgpr197
	s_delay_alu instid0(VALU_DEP_1)
	v_mul_f64 v[204:205], v[200:201], v[202:203]
	v_xor_b32_e32 v203, 0x80000000, v203
.LBB97_140:
	s_and_not1_saveexec_b32 s3, s3
	s_cbranch_execz .LBB97_142
; %bb.141:
	v_div_scale_f64 v[200:201], null, v[196:197], v[196:197], v[198:199]
	v_div_scale_f64 v[206:207], vcc_lo, v[198:199], v[196:197], v[198:199]
	s_delay_alu instid0(VALU_DEP_2) | instskip(SKIP_2) | instid1(VALU_DEP_1)
	v_rcp_f64_e32 v[202:203], v[200:201]
	s_waitcnt_depctr 0xfff
	v_fma_f64 v[204:205], -v[200:201], v[202:203], 1.0
	v_fma_f64 v[202:203], v[202:203], v[204:205], v[202:203]
	s_delay_alu instid0(VALU_DEP_1) | instskip(NEXT) | instid1(VALU_DEP_1)
	v_fma_f64 v[204:205], -v[200:201], v[202:203], 1.0
	v_fma_f64 v[202:203], v[202:203], v[204:205], v[202:203]
	s_delay_alu instid0(VALU_DEP_1) | instskip(NEXT) | instid1(VALU_DEP_1)
	v_mul_f64 v[204:205], v[206:207], v[202:203]
	v_fma_f64 v[200:201], -v[200:201], v[204:205], v[206:207]
	s_delay_alu instid0(VALU_DEP_1) | instskip(NEXT) | instid1(VALU_DEP_1)
	v_div_fmas_f64 v[200:201], v[200:201], v[202:203], v[204:205]
	v_div_fixup_f64 v[200:201], v[200:201], v[196:197], v[198:199]
	s_delay_alu instid0(VALU_DEP_1) | instskip(NEXT) | instid1(VALU_DEP_1)
	v_fma_f64 v[196:197], v[198:199], v[200:201], v[196:197]
	v_div_scale_f64 v[198:199], null, v[196:197], v[196:197], 1.0
	s_delay_alu instid0(VALU_DEP_1) | instskip(SKIP_2) | instid1(VALU_DEP_1)
	v_rcp_f64_e32 v[202:203], v[198:199]
	s_waitcnt_depctr 0xfff
	v_fma_f64 v[204:205], -v[198:199], v[202:203], 1.0
	v_fma_f64 v[202:203], v[202:203], v[204:205], v[202:203]
	s_delay_alu instid0(VALU_DEP_1) | instskip(NEXT) | instid1(VALU_DEP_1)
	v_fma_f64 v[204:205], -v[198:199], v[202:203], 1.0
	v_fma_f64 v[202:203], v[202:203], v[204:205], v[202:203]
	v_div_scale_f64 v[204:205], vcc_lo, 1.0, v[196:197], 1.0
	s_delay_alu instid0(VALU_DEP_1) | instskip(NEXT) | instid1(VALU_DEP_1)
	v_mul_f64 v[206:207], v[204:205], v[202:203]
	v_fma_f64 v[198:199], -v[198:199], v[206:207], v[204:205]
	s_delay_alu instid0(VALU_DEP_1) | instskip(NEXT) | instid1(VALU_DEP_1)
	v_div_fmas_f64 v[198:199], v[198:199], v[202:203], v[206:207]
	v_div_fixup_f64 v[204:205], v[198:199], v[196:197], 1.0
	s_delay_alu instid0(VALU_DEP_1)
	v_mul_f64 v[202:203], v[200:201], -v[204:205]
.LBB97_142:
	s_or_b32 exec_lo, exec_lo, s3
	ds_store_2addr_b64 v215, v[204:205], v[202:203] offset1:1
.LBB97_143:
	s_or_b32 exec_lo, exec_lo, s4
	s_waitcnt lgkmcnt(0)
	s_barrier
	buffer_gl0_inv
	ds_load_2addr_b64 v[196:199], v215 offset1:1
	s_mov_b32 s3, exec_lo
	s_waitcnt lgkmcnt(0)
	scratch_store_b128 off, v[196:199], off offset:584 ; 16-byte Folded Spill
	v_cmpx_lt_u32_e32 15, v214
	s_cbranch_execz .LBB97_145
; %bb.144:
	scratch_load_b128 v[198:201], off, off offset:584 ; 16-byte Folded Reload
	s_waitcnt vmcnt(0)
	v_mul_f64 v[196:197], v[200:201], v[134:135]
	v_mul_f64 v[134:135], v[198:199], v[134:135]
	s_delay_alu instid0(VALU_DEP_2) | instskip(NEXT) | instid1(VALU_DEP_2)
	v_fma_f64 v[196:197], v[198:199], v[132:133], -v[196:197]
	v_fma_f64 v[134:135], v[200:201], v[132:133], v[134:135]
	ds_load_2addr_b64 v[198:201], v216 offset0:32 offset1:33
	s_waitcnt lgkmcnt(0)
	v_mul_f64 v[132:133], v[200:201], v[134:135]
	s_delay_alu instid0(VALU_DEP_1) | instskip(SKIP_1) | instid1(VALU_DEP_2)
	v_fma_f64 v[132:133], v[198:199], v[196:197], -v[132:133]
	v_mul_f64 v[198:199], v[198:199], v[134:135]
	v_add_f64 v[128:129], v[128:129], -v[132:133]
	s_delay_alu instid0(VALU_DEP_2) | instskip(NEXT) | instid1(VALU_DEP_1)
	v_fma_f64 v[198:199], v[200:201], v[196:197], v[198:199]
	v_add_f64 v[130:131], v[130:131], -v[198:199]
	ds_load_2addr_b64 v[198:201], v216 offset0:34 offset1:35
	s_waitcnt lgkmcnt(0)
	v_mul_f64 v[132:133], v[200:201], v[134:135]
	s_delay_alu instid0(VALU_DEP_1) | instskip(SKIP_1) | instid1(VALU_DEP_2)
	v_fma_f64 v[132:133], v[198:199], v[196:197], -v[132:133]
	v_mul_f64 v[198:199], v[198:199], v[134:135]
	v_add_f64 v[124:125], v[124:125], -v[132:133]
	s_delay_alu instid0(VALU_DEP_2) | instskip(NEXT) | instid1(VALU_DEP_1)
	v_fma_f64 v[198:199], v[200:201], v[196:197], v[198:199]
	v_add_f64 v[126:127], v[126:127], -v[198:199]
	;; [unrolled: 10-line block ×32, first 2 shown]
	ds_load_2addr_b64 v[198:201], v216 offset0:96 offset1:97
	s_waitcnt lgkmcnt(0)
	v_mul_f64 v[132:133], v[200:201], v[134:135]
	s_delay_alu instid0(VALU_DEP_1) | instskip(SKIP_1) | instid1(VALU_DEP_2)
	v_fma_f64 v[132:133], v[198:199], v[196:197], -v[132:133]
	v_mul_f64 v[198:199], v[198:199], v[134:135]
	v_add_f64 v[0:1], v[0:1], -v[132:133]
	s_delay_alu instid0(VALU_DEP_2) | instskip(SKIP_1) | instid1(VALU_DEP_2)
	v_fma_f64 v[198:199], v[200:201], v[196:197], v[198:199]
	v_dual_mov_b32 v132, v196 :: v_dual_mov_b32 v133, v197
	v_add_f64 v[2:3], v[2:3], -v[198:199]
.LBB97_145:
	s_or_b32 exec_lo, exec_lo, s3
	s_delay_alu instid0(SALU_CYCLE_1)
	s_mov_b32 s4, exec_lo
	s_waitcnt_vscnt null, 0x0
	s_barrier
	buffer_gl0_inv
	v_cmpx_eq_u32_e32 16, v214
	s_cbranch_execz .LBB97_152
; %bb.146:
	ds_store_2addr_b64 v215, v[128:129], v[130:131] offset1:1
	ds_store_2addr_b64 v216, v[124:125], v[126:127] offset0:34 offset1:35
	ds_store_2addr_b64 v216, v[120:121], v[122:123] offset0:36 offset1:37
	;; [unrolled: 1-line block ×32, first 2 shown]
	ds_load_2addr_b64 v[196:199], v215 offset1:1
	s_waitcnt lgkmcnt(0)
	v_cmp_neq_f64_e32 vcc_lo, 0, v[196:197]
	v_cmp_neq_f64_e64 s3, 0, v[198:199]
	s_delay_alu instid0(VALU_DEP_1) | instskip(NEXT) | instid1(SALU_CYCLE_1)
	s_or_b32 s3, vcc_lo, s3
	s_and_b32 exec_lo, exec_lo, s3
	s_cbranch_execz .LBB97_152
; %bb.147:
	v_cmp_gt_f64_e32 vcc_lo, 0, v[196:197]
	v_xor_b32_e32 v200, 0x80000000, v197
	v_xor_b32_e32 v202, 0x80000000, v199
	s_mov_b32 s3, exec_lo
                                        ; implicit-def: $vgpr204_vgpr205
	s_delay_alu instid0(VALU_DEP_2) | instskip(SKIP_4) | instid1(VALU_DEP_1)
	v_cndmask_b32_e32 v201, v197, v200, vcc_lo
	v_cndmask_b32_e32 v200, v196, v196, vcc_lo
	v_cmp_gt_f64_e32 vcc_lo, 0, v[198:199]
	v_cndmask_b32_e32 v203, v199, v202, vcc_lo
	v_cndmask_b32_e32 v202, v198, v198, vcc_lo
	v_cmpx_ngt_f64_e32 v[200:201], v[202:203]
	s_xor_b32 s3, exec_lo, s3
                                        ; implicit-def: $vgpr200_vgpr201_vgpr202_vgpr203
	s_cbranch_execz .LBB97_149
; %bb.148:
	v_div_scale_f64 v[200:201], null, v[198:199], v[198:199], v[196:197]
	v_div_scale_f64 v[206:207], vcc_lo, v[196:197], v[198:199], v[196:197]
	s_delay_alu instid0(VALU_DEP_2) | instskip(SKIP_2) | instid1(VALU_DEP_1)
	v_rcp_f64_e32 v[202:203], v[200:201]
	s_waitcnt_depctr 0xfff
	v_fma_f64 v[204:205], -v[200:201], v[202:203], 1.0
	v_fma_f64 v[202:203], v[202:203], v[204:205], v[202:203]
	s_delay_alu instid0(VALU_DEP_1) | instskip(NEXT) | instid1(VALU_DEP_1)
	v_fma_f64 v[204:205], -v[200:201], v[202:203], 1.0
	v_fma_f64 v[202:203], v[202:203], v[204:205], v[202:203]
	s_delay_alu instid0(VALU_DEP_1) | instskip(NEXT) | instid1(VALU_DEP_1)
	v_mul_f64 v[204:205], v[206:207], v[202:203]
	v_fma_f64 v[200:201], -v[200:201], v[204:205], v[206:207]
	s_delay_alu instid0(VALU_DEP_1) | instskip(NEXT) | instid1(VALU_DEP_1)
	v_div_fmas_f64 v[200:201], v[200:201], v[202:203], v[204:205]
	v_div_fixup_f64 v[200:201], v[200:201], v[198:199], v[196:197]
	s_delay_alu instid0(VALU_DEP_1) | instskip(NEXT) | instid1(VALU_DEP_1)
	v_fma_f64 v[196:197], v[196:197], v[200:201], v[198:199]
	v_div_scale_f64 v[198:199], null, v[196:197], v[196:197], 1.0
	s_delay_alu instid0(VALU_DEP_1) | instskip(SKIP_2) | instid1(VALU_DEP_1)
	v_rcp_f64_e32 v[202:203], v[198:199]
	s_waitcnt_depctr 0xfff
	v_fma_f64 v[204:205], -v[198:199], v[202:203], 1.0
	v_fma_f64 v[202:203], v[202:203], v[204:205], v[202:203]
	s_delay_alu instid0(VALU_DEP_1) | instskip(NEXT) | instid1(VALU_DEP_1)
	v_fma_f64 v[204:205], -v[198:199], v[202:203], 1.0
	v_fma_f64 v[202:203], v[202:203], v[204:205], v[202:203]
	v_div_scale_f64 v[204:205], vcc_lo, 1.0, v[196:197], 1.0
	s_delay_alu instid0(VALU_DEP_1) | instskip(NEXT) | instid1(VALU_DEP_1)
	v_mul_f64 v[206:207], v[204:205], v[202:203]
	v_fma_f64 v[198:199], -v[198:199], v[206:207], v[204:205]
	s_delay_alu instid0(VALU_DEP_1) | instskip(NEXT) | instid1(VALU_DEP_1)
	v_div_fmas_f64 v[198:199], v[198:199], v[202:203], v[206:207]
	v_div_fixup_f64 v[202:203], v[198:199], v[196:197], 1.0
                                        ; implicit-def: $vgpr196_vgpr197
	s_delay_alu instid0(VALU_DEP_1)
	v_mul_f64 v[204:205], v[200:201], v[202:203]
	v_xor_b32_e32 v203, 0x80000000, v203
.LBB97_149:
	s_and_not1_saveexec_b32 s3, s3
	s_cbranch_execz .LBB97_151
; %bb.150:
	v_div_scale_f64 v[200:201], null, v[196:197], v[196:197], v[198:199]
	v_div_scale_f64 v[206:207], vcc_lo, v[198:199], v[196:197], v[198:199]
	s_delay_alu instid0(VALU_DEP_2) | instskip(SKIP_2) | instid1(VALU_DEP_1)
	v_rcp_f64_e32 v[202:203], v[200:201]
	s_waitcnt_depctr 0xfff
	v_fma_f64 v[204:205], -v[200:201], v[202:203], 1.0
	v_fma_f64 v[202:203], v[202:203], v[204:205], v[202:203]
	s_delay_alu instid0(VALU_DEP_1) | instskip(NEXT) | instid1(VALU_DEP_1)
	v_fma_f64 v[204:205], -v[200:201], v[202:203], 1.0
	v_fma_f64 v[202:203], v[202:203], v[204:205], v[202:203]
	s_delay_alu instid0(VALU_DEP_1) | instskip(NEXT) | instid1(VALU_DEP_1)
	v_mul_f64 v[204:205], v[206:207], v[202:203]
	v_fma_f64 v[200:201], -v[200:201], v[204:205], v[206:207]
	s_delay_alu instid0(VALU_DEP_1) | instskip(NEXT) | instid1(VALU_DEP_1)
	v_div_fmas_f64 v[200:201], v[200:201], v[202:203], v[204:205]
	v_div_fixup_f64 v[200:201], v[200:201], v[196:197], v[198:199]
	s_delay_alu instid0(VALU_DEP_1) | instskip(NEXT) | instid1(VALU_DEP_1)
	v_fma_f64 v[196:197], v[198:199], v[200:201], v[196:197]
	v_div_scale_f64 v[198:199], null, v[196:197], v[196:197], 1.0
	s_delay_alu instid0(VALU_DEP_1) | instskip(SKIP_2) | instid1(VALU_DEP_1)
	v_rcp_f64_e32 v[202:203], v[198:199]
	s_waitcnt_depctr 0xfff
	v_fma_f64 v[204:205], -v[198:199], v[202:203], 1.0
	v_fma_f64 v[202:203], v[202:203], v[204:205], v[202:203]
	s_delay_alu instid0(VALU_DEP_1) | instskip(NEXT) | instid1(VALU_DEP_1)
	v_fma_f64 v[204:205], -v[198:199], v[202:203], 1.0
	v_fma_f64 v[202:203], v[202:203], v[204:205], v[202:203]
	v_div_scale_f64 v[204:205], vcc_lo, 1.0, v[196:197], 1.0
	s_delay_alu instid0(VALU_DEP_1) | instskip(NEXT) | instid1(VALU_DEP_1)
	v_mul_f64 v[206:207], v[204:205], v[202:203]
	v_fma_f64 v[198:199], -v[198:199], v[206:207], v[204:205]
	s_delay_alu instid0(VALU_DEP_1) | instskip(NEXT) | instid1(VALU_DEP_1)
	v_div_fmas_f64 v[198:199], v[198:199], v[202:203], v[206:207]
	v_div_fixup_f64 v[204:205], v[198:199], v[196:197], 1.0
	s_delay_alu instid0(VALU_DEP_1)
	v_mul_f64 v[202:203], v[200:201], -v[204:205]
.LBB97_151:
	s_or_b32 exec_lo, exec_lo, s3
	ds_store_2addr_b64 v215, v[204:205], v[202:203] offset1:1
.LBB97_152:
	s_or_b32 exec_lo, exec_lo, s4
	s_waitcnt lgkmcnt(0)
	s_barrier
	buffer_gl0_inv
	ds_load_2addr_b64 v[196:199], v215 offset1:1
	s_mov_b32 s3, exec_lo
	s_waitcnt lgkmcnt(0)
	scratch_store_b128 off, v[196:199], off offset:600 ; 16-byte Folded Spill
	v_cmpx_lt_u32_e32 16, v214
	s_cbranch_execz .LBB97_154
; %bb.153:
	scratch_load_b128 v[198:201], off, off offset:600 ; 16-byte Folded Reload
	s_waitcnt vmcnt(0)
	v_mul_f64 v[196:197], v[200:201], v[130:131]
	v_mul_f64 v[130:131], v[198:199], v[130:131]
	s_delay_alu instid0(VALU_DEP_2) | instskip(NEXT) | instid1(VALU_DEP_2)
	v_fma_f64 v[196:197], v[198:199], v[128:129], -v[196:197]
	v_fma_f64 v[130:131], v[200:201], v[128:129], v[130:131]
	ds_load_2addr_b64 v[198:201], v216 offset0:34 offset1:35
	s_waitcnt lgkmcnt(0)
	v_mul_f64 v[128:129], v[200:201], v[130:131]
	s_delay_alu instid0(VALU_DEP_1) | instskip(SKIP_1) | instid1(VALU_DEP_2)
	v_fma_f64 v[128:129], v[198:199], v[196:197], -v[128:129]
	v_mul_f64 v[198:199], v[198:199], v[130:131]
	v_add_f64 v[124:125], v[124:125], -v[128:129]
	s_delay_alu instid0(VALU_DEP_2) | instskip(NEXT) | instid1(VALU_DEP_1)
	v_fma_f64 v[198:199], v[200:201], v[196:197], v[198:199]
	v_add_f64 v[126:127], v[126:127], -v[198:199]
	ds_load_2addr_b64 v[198:201], v216 offset0:36 offset1:37
	s_waitcnt lgkmcnt(0)
	v_mul_f64 v[128:129], v[200:201], v[130:131]
	s_delay_alu instid0(VALU_DEP_1) | instskip(SKIP_1) | instid1(VALU_DEP_2)
	v_fma_f64 v[128:129], v[198:199], v[196:197], -v[128:129]
	v_mul_f64 v[198:199], v[198:199], v[130:131]
	v_add_f64 v[120:121], v[120:121], -v[128:129]
	s_delay_alu instid0(VALU_DEP_2) | instskip(NEXT) | instid1(VALU_DEP_1)
	v_fma_f64 v[198:199], v[200:201], v[196:197], v[198:199]
	v_add_f64 v[122:123], v[122:123], -v[198:199]
	;; [unrolled: 10-line block ×31, first 2 shown]
	ds_load_2addr_b64 v[198:201], v216 offset0:96 offset1:97
	s_waitcnt lgkmcnt(0)
	v_mul_f64 v[128:129], v[200:201], v[130:131]
	s_delay_alu instid0(VALU_DEP_1) | instskip(SKIP_1) | instid1(VALU_DEP_2)
	v_fma_f64 v[128:129], v[198:199], v[196:197], -v[128:129]
	v_mul_f64 v[198:199], v[198:199], v[130:131]
	v_add_f64 v[0:1], v[0:1], -v[128:129]
	s_delay_alu instid0(VALU_DEP_2) | instskip(SKIP_1) | instid1(VALU_DEP_2)
	v_fma_f64 v[198:199], v[200:201], v[196:197], v[198:199]
	v_dual_mov_b32 v128, v196 :: v_dual_mov_b32 v129, v197
	v_add_f64 v[2:3], v[2:3], -v[198:199]
.LBB97_154:
	s_or_b32 exec_lo, exec_lo, s3
	s_delay_alu instid0(SALU_CYCLE_1)
	s_mov_b32 s4, exec_lo
	s_waitcnt_vscnt null, 0x0
	s_barrier
	buffer_gl0_inv
	v_cmpx_eq_u32_e32 17, v214
	s_cbranch_execz .LBB97_161
; %bb.155:
	ds_store_2addr_b64 v215, v[124:125], v[126:127] offset1:1
	ds_store_2addr_b64 v216, v[120:121], v[122:123] offset0:36 offset1:37
	ds_store_2addr_b64 v216, v[116:117], v[118:119] offset0:38 offset1:39
	;; [unrolled: 1-line block ×31, first 2 shown]
	ds_load_2addr_b64 v[196:199], v215 offset1:1
	s_waitcnt lgkmcnt(0)
	v_cmp_neq_f64_e32 vcc_lo, 0, v[196:197]
	v_cmp_neq_f64_e64 s3, 0, v[198:199]
	s_delay_alu instid0(VALU_DEP_1) | instskip(NEXT) | instid1(SALU_CYCLE_1)
	s_or_b32 s3, vcc_lo, s3
	s_and_b32 exec_lo, exec_lo, s3
	s_cbranch_execz .LBB97_161
; %bb.156:
	v_cmp_gt_f64_e32 vcc_lo, 0, v[196:197]
	v_xor_b32_e32 v200, 0x80000000, v197
	v_xor_b32_e32 v202, 0x80000000, v199
	s_mov_b32 s3, exec_lo
                                        ; implicit-def: $vgpr204_vgpr205
	s_delay_alu instid0(VALU_DEP_2) | instskip(SKIP_4) | instid1(VALU_DEP_1)
	v_cndmask_b32_e32 v201, v197, v200, vcc_lo
	v_cndmask_b32_e32 v200, v196, v196, vcc_lo
	v_cmp_gt_f64_e32 vcc_lo, 0, v[198:199]
	v_cndmask_b32_e32 v203, v199, v202, vcc_lo
	v_cndmask_b32_e32 v202, v198, v198, vcc_lo
	v_cmpx_ngt_f64_e32 v[200:201], v[202:203]
	s_xor_b32 s3, exec_lo, s3
                                        ; implicit-def: $vgpr200_vgpr201_vgpr202_vgpr203
	s_cbranch_execz .LBB97_158
; %bb.157:
	v_div_scale_f64 v[200:201], null, v[198:199], v[198:199], v[196:197]
	v_div_scale_f64 v[206:207], vcc_lo, v[196:197], v[198:199], v[196:197]
	s_delay_alu instid0(VALU_DEP_2) | instskip(SKIP_2) | instid1(VALU_DEP_1)
	v_rcp_f64_e32 v[202:203], v[200:201]
	s_waitcnt_depctr 0xfff
	v_fma_f64 v[204:205], -v[200:201], v[202:203], 1.0
	v_fma_f64 v[202:203], v[202:203], v[204:205], v[202:203]
	s_delay_alu instid0(VALU_DEP_1) | instskip(NEXT) | instid1(VALU_DEP_1)
	v_fma_f64 v[204:205], -v[200:201], v[202:203], 1.0
	v_fma_f64 v[202:203], v[202:203], v[204:205], v[202:203]
	s_delay_alu instid0(VALU_DEP_1) | instskip(NEXT) | instid1(VALU_DEP_1)
	v_mul_f64 v[204:205], v[206:207], v[202:203]
	v_fma_f64 v[200:201], -v[200:201], v[204:205], v[206:207]
	s_delay_alu instid0(VALU_DEP_1) | instskip(NEXT) | instid1(VALU_DEP_1)
	v_div_fmas_f64 v[200:201], v[200:201], v[202:203], v[204:205]
	v_div_fixup_f64 v[200:201], v[200:201], v[198:199], v[196:197]
	s_delay_alu instid0(VALU_DEP_1) | instskip(NEXT) | instid1(VALU_DEP_1)
	v_fma_f64 v[196:197], v[196:197], v[200:201], v[198:199]
	v_div_scale_f64 v[198:199], null, v[196:197], v[196:197], 1.0
	s_delay_alu instid0(VALU_DEP_1) | instskip(SKIP_2) | instid1(VALU_DEP_1)
	v_rcp_f64_e32 v[202:203], v[198:199]
	s_waitcnt_depctr 0xfff
	v_fma_f64 v[204:205], -v[198:199], v[202:203], 1.0
	v_fma_f64 v[202:203], v[202:203], v[204:205], v[202:203]
	s_delay_alu instid0(VALU_DEP_1) | instskip(NEXT) | instid1(VALU_DEP_1)
	v_fma_f64 v[204:205], -v[198:199], v[202:203], 1.0
	v_fma_f64 v[202:203], v[202:203], v[204:205], v[202:203]
	v_div_scale_f64 v[204:205], vcc_lo, 1.0, v[196:197], 1.0
	s_delay_alu instid0(VALU_DEP_1) | instskip(NEXT) | instid1(VALU_DEP_1)
	v_mul_f64 v[206:207], v[204:205], v[202:203]
	v_fma_f64 v[198:199], -v[198:199], v[206:207], v[204:205]
	s_delay_alu instid0(VALU_DEP_1) | instskip(NEXT) | instid1(VALU_DEP_1)
	v_div_fmas_f64 v[198:199], v[198:199], v[202:203], v[206:207]
	v_div_fixup_f64 v[202:203], v[198:199], v[196:197], 1.0
                                        ; implicit-def: $vgpr196_vgpr197
	s_delay_alu instid0(VALU_DEP_1)
	v_mul_f64 v[204:205], v[200:201], v[202:203]
	v_xor_b32_e32 v203, 0x80000000, v203
.LBB97_158:
	s_and_not1_saveexec_b32 s3, s3
	s_cbranch_execz .LBB97_160
; %bb.159:
	v_div_scale_f64 v[200:201], null, v[196:197], v[196:197], v[198:199]
	v_div_scale_f64 v[206:207], vcc_lo, v[198:199], v[196:197], v[198:199]
	s_delay_alu instid0(VALU_DEP_2) | instskip(SKIP_2) | instid1(VALU_DEP_1)
	v_rcp_f64_e32 v[202:203], v[200:201]
	s_waitcnt_depctr 0xfff
	v_fma_f64 v[204:205], -v[200:201], v[202:203], 1.0
	v_fma_f64 v[202:203], v[202:203], v[204:205], v[202:203]
	s_delay_alu instid0(VALU_DEP_1) | instskip(NEXT) | instid1(VALU_DEP_1)
	v_fma_f64 v[204:205], -v[200:201], v[202:203], 1.0
	v_fma_f64 v[202:203], v[202:203], v[204:205], v[202:203]
	s_delay_alu instid0(VALU_DEP_1) | instskip(NEXT) | instid1(VALU_DEP_1)
	v_mul_f64 v[204:205], v[206:207], v[202:203]
	v_fma_f64 v[200:201], -v[200:201], v[204:205], v[206:207]
	s_delay_alu instid0(VALU_DEP_1) | instskip(NEXT) | instid1(VALU_DEP_1)
	v_div_fmas_f64 v[200:201], v[200:201], v[202:203], v[204:205]
	v_div_fixup_f64 v[200:201], v[200:201], v[196:197], v[198:199]
	s_delay_alu instid0(VALU_DEP_1) | instskip(NEXT) | instid1(VALU_DEP_1)
	v_fma_f64 v[196:197], v[198:199], v[200:201], v[196:197]
	v_div_scale_f64 v[198:199], null, v[196:197], v[196:197], 1.0
	s_delay_alu instid0(VALU_DEP_1) | instskip(SKIP_2) | instid1(VALU_DEP_1)
	v_rcp_f64_e32 v[202:203], v[198:199]
	s_waitcnt_depctr 0xfff
	v_fma_f64 v[204:205], -v[198:199], v[202:203], 1.0
	v_fma_f64 v[202:203], v[202:203], v[204:205], v[202:203]
	s_delay_alu instid0(VALU_DEP_1) | instskip(NEXT) | instid1(VALU_DEP_1)
	v_fma_f64 v[204:205], -v[198:199], v[202:203], 1.0
	v_fma_f64 v[202:203], v[202:203], v[204:205], v[202:203]
	v_div_scale_f64 v[204:205], vcc_lo, 1.0, v[196:197], 1.0
	s_delay_alu instid0(VALU_DEP_1) | instskip(NEXT) | instid1(VALU_DEP_1)
	v_mul_f64 v[206:207], v[204:205], v[202:203]
	v_fma_f64 v[198:199], -v[198:199], v[206:207], v[204:205]
	s_delay_alu instid0(VALU_DEP_1) | instskip(NEXT) | instid1(VALU_DEP_1)
	v_div_fmas_f64 v[198:199], v[198:199], v[202:203], v[206:207]
	v_div_fixup_f64 v[204:205], v[198:199], v[196:197], 1.0
	s_delay_alu instid0(VALU_DEP_1)
	v_mul_f64 v[202:203], v[200:201], -v[204:205]
.LBB97_160:
	s_or_b32 exec_lo, exec_lo, s3
	ds_store_2addr_b64 v215, v[204:205], v[202:203] offset1:1
.LBB97_161:
	s_or_b32 exec_lo, exec_lo, s4
	s_waitcnt lgkmcnt(0)
	s_barrier
	buffer_gl0_inv
	ds_load_2addr_b64 v[196:199], v215 offset1:1
	s_mov_b32 s3, exec_lo
	s_waitcnt lgkmcnt(0)
	scratch_store_b128 off, v[196:199], off offset:616 ; 16-byte Folded Spill
	v_cmpx_lt_u32_e32 17, v214
	s_cbranch_execz .LBB97_163
; %bb.162:
	scratch_load_b128 v[198:201], off, off offset:616 ; 16-byte Folded Reload
	s_waitcnt vmcnt(0)
	v_mul_f64 v[196:197], v[200:201], v[126:127]
	v_mul_f64 v[126:127], v[198:199], v[126:127]
	s_delay_alu instid0(VALU_DEP_2) | instskip(NEXT) | instid1(VALU_DEP_2)
	v_fma_f64 v[196:197], v[198:199], v[124:125], -v[196:197]
	v_fma_f64 v[126:127], v[200:201], v[124:125], v[126:127]
	ds_load_2addr_b64 v[198:201], v216 offset0:36 offset1:37
	s_waitcnt lgkmcnt(0)
	v_mul_f64 v[124:125], v[200:201], v[126:127]
	s_delay_alu instid0(VALU_DEP_1) | instskip(SKIP_1) | instid1(VALU_DEP_2)
	v_fma_f64 v[124:125], v[198:199], v[196:197], -v[124:125]
	v_mul_f64 v[198:199], v[198:199], v[126:127]
	v_add_f64 v[120:121], v[120:121], -v[124:125]
	s_delay_alu instid0(VALU_DEP_2) | instskip(NEXT) | instid1(VALU_DEP_1)
	v_fma_f64 v[198:199], v[200:201], v[196:197], v[198:199]
	v_add_f64 v[122:123], v[122:123], -v[198:199]
	ds_load_2addr_b64 v[198:201], v216 offset0:38 offset1:39
	s_waitcnt lgkmcnt(0)
	v_mul_f64 v[124:125], v[200:201], v[126:127]
	s_delay_alu instid0(VALU_DEP_1) | instskip(SKIP_1) | instid1(VALU_DEP_2)
	v_fma_f64 v[124:125], v[198:199], v[196:197], -v[124:125]
	v_mul_f64 v[198:199], v[198:199], v[126:127]
	v_add_f64 v[116:117], v[116:117], -v[124:125]
	s_delay_alu instid0(VALU_DEP_2) | instskip(NEXT) | instid1(VALU_DEP_1)
	v_fma_f64 v[198:199], v[200:201], v[196:197], v[198:199]
	v_add_f64 v[118:119], v[118:119], -v[198:199]
	;; [unrolled: 10-line block ×30, first 2 shown]
	ds_load_2addr_b64 v[198:201], v216 offset0:96 offset1:97
	s_waitcnt lgkmcnt(0)
	v_mul_f64 v[124:125], v[200:201], v[126:127]
	s_delay_alu instid0(VALU_DEP_1) | instskip(SKIP_1) | instid1(VALU_DEP_2)
	v_fma_f64 v[124:125], v[198:199], v[196:197], -v[124:125]
	v_mul_f64 v[198:199], v[198:199], v[126:127]
	v_add_f64 v[0:1], v[0:1], -v[124:125]
	s_delay_alu instid0(VALU_DEP_2) | instskip(SKIP_1) | instid1(VALU_DEP_2)
	v_fma_f64 v[198:199], v[200:201], v[196:197], v[198:199]
	v_dual_mov_b32 v124, v196 :: v_dual_mov_b32 v125, v197
	v_add_f64 v[2:3], v[2:3], -v[198:199]
.LBB97_163:
	s_or_b32 exec_lo, exec_lo, s3
	s_delay_alu instid0(SALU_CYCLE_1)
	s_mov_b32 s4, exec_lo
	s_waitcnt_vscnt null, 0x0
	s_barrier
	buffer_gl0_inv
	v_cmpx_eq_u32_e32 18, v214
	s_cbranch_execz .LBB97_170
; %bb.164:
	ds_store_2addr_b64 v215, v[120:121], v[122:123] offset1:1
	ds_store_2addr_b64 v216, v[116:117], v[118:119] offset0:38 offset1:39
	ds_store_2addr_b64 v216, v[112:113], v[114:115] offset0:40 offset1:41
	;; [unrolled: 1-line block ×30, first 2 shown]
	ds_load_2addr_b64 v[196:199], v215 offset1:1
	s_waitcnt lgkmcnt(0)
	v_cmp_neq_f64_e32 vcc_lo, 0, v[196:197]
	v_cmp_neq_f64_e64 s3, 0, v[198:199]
	s_delay_alu instid0(VALU_DEP_1) | instskip(NEXT) | instid1(SALU_CYCLE_1)
	s_or_b32 s3, vcc_lo, s3
	s_and_b32 exec_lo, exec_lo, s3
	s_cbranch_execz .LBB97_170
; %bb.165:
	v_cmp_gt_f64_e32 vcc_lo, 0, v[196:197]
	v_xor_b32_e32 v200, 0x80000000, v197
	v_xor_b32_e32 v202, 0x80000000, v199
	s_mov_b32 s3, exec_lo
                                        ; implicit-def: $vgpr204_vgpr205
	s_delay_alu instid0(VALU_DEP_2) | instskip(SKIP_4) | instid1(VALU_DEP_1)
	v_cndmask_b32_e32 v201, v197, v200, vcc_lo
	v_cndmask_b32_e32 v200, v196, v196, vcc_lo
	v_cmp_gt_f64_e32 vcc_lo, 0, v[198:199]
	v_cndmask_b32_e32 v203, v199, v202, vcc_lo
	v_cndmask_b32_e32 v202, v198, v198, vcc_lo
	v_cmpx_ngt_f64_e32 v[200:201], v[202:203]
	s_xor_b32 s3, exec_lo, s3
                                        ; implicit-def: $vgpr200_vgpr201_vgpr202_vgpr203
	s_cbranch_execz .LBB97_167
; %bb.166:
	v_div_scale_f64 v[200:201], null, v[198:199], v[198:199], v[196:197]
	v_div_scale_f64 v[206:207], vcc_lo, v[196:197], v[198:199], v[196:197]
	s_delay_alu instid0(VALU_DEP_2) | instskip(SKIP_2) | instid1(VALU_DEP_1)
	v_rcp_f64_e32 v[202:203], v[200:201]
	s_waitcnt_depctr 0xfff
	v_fma_f64 v[204:205], -v[200:201], v[202:203], 1.0
	v_fma_f64 v[202:203], v[202:203], v[204:205], v[202:203]
	s_delay_alu instid0(VALU_DEP_1) | instskip(NEXT) | instid1(VALU_DEP_1)
	v_fma_f64 v[204:205], -v[200:201], v[202:203], 1.0
	v_fma_f64 v[202:203], v[202:203], v[204:205], v[202:203]
	s_delay_alu instid0(VALU_DEP_1) | instskip(NEXT) | instid1(VALU_DEP_1)
	v_mul_f64 v[204:205], v[206:207], v[202:203]
	v_fma_f64 v[200:201], -v[200:201], v[204:205], v[206:207]
	s_delay_alu instid0(VALU_DEP_1) | instskip(NEXT) | instid1(VALU_DEP_1)
	v_div_fmas_f64 v[200:201], v[200:201], v[202:203], v[204:205]
	v_div_fixup_f64 v[200:201], v[200:201], v[198:199], v[196:197]
	s_delay_alu instid0(VALU_DEP_1) | instskip(NEXT) | instid1(VALU_DEP_1)
	v_fma_f64 v[196:197], v[196:197], v[200:201], v[198:199]
	v_div_scale_f64 v[198:199], null, v[196:197], v[196:197], 1.0
	s_delay_alu instid0(VALU_DEP_1) | instskip(SKIP_2) | instid1(VALU_DEP_1)
	v_rcp_f64_e32 v[202:203], v[198:199]
	s_waitcnt_depctr 0xfff
	v_fma_f64 v[204:205], -v[198:199], v[202:203], 1.0
	v_fma_f64 v[202:203], v[202:203], v[204:205], v[202:203]
	s_delay_alu instid0(VALU_DEP_1) | instskip(NEXT) | instid1(VALU_DEP_1)
	v_fma_f64 v[204:205], -v[198:199], v[202:203], 1.0
	v_fma_f64 v[202:203], v[202:203], v[204:205], v[202:203]
	v_div_scale_f64 v[204:205], vcc_lo, 1.0, v[196:197], 1.0
	s_delay_alu instid0(VALU_DEP_1) | instskip(NEXT) | instid1(VALU_DEP_1)
	v_mul_f64 v[206:207], v[204:205], v[202:203]
	v_fma_f64 v[198:199], -v[198:199], v[206:207], v[204:205]
	s_delay_alu instid0(VALU_DEP_1) | instskip(NEXT) | instid1(VALU_DEP_1)
	v_div_fmas_f64 v[198:199], v[198:199], v[202:203], v[206:207]
	v_div_fixup_f64 v[202:203], v[198:199], v[196:197], 1.0
                                        ; implicit-def: $vgpr196_vgpr197
	s_delay_alu instid0(VALU_DEP_1)
	v_mul_f64 v[204:205], v[200:201], v[202:203]
	v_xor_b32_e32 v203, 0x80000000, v203
.LBB97_167:
	s_and_not1_saveexec_b32 s3, s3
	s_cbranch_execz .LBB97_169
; %bb.168:
	v_div_scale_f64 v[200:201], null, v[196:197], v[196:197], v[198:199]
	v_div_scale_f64 v[206:207], vcc_lo, v[198:199], v[196:197], v[198:199]
	s_delay_alu instid0(VALU_DEP_2) | instskip(SKIP_2) | instid1(VALU_DEP_1)
	v_rcp_f64_e32 v[202:203], v[200:201]
	s_waitcnt_depctr 0xfff
	v_fma_f64 v[204:205], -v[200:201], v[202:203], 1.0
	v_fma_f64 v[202:203], v[202:203], v[204:205], v[202:203]
	s_delay_alu instid0(VALU_DEP_1) | instskip(NEXT) | instid1(VALU_DEP_1)
	v_fma_f64 v[204:205], -v[200:201], v[202:203], 1.0
	v_fma_f64 v[202:203], v[202:203], v[204:205], v[202:203]
	s_delay_alu instid0(VALU_DEP_1) | instskip(NEXT) | instid1(VALU_DEP_1)
	v_mul_f64 v[204:205], v[206:207], v[202:203]
	v_fma_f64 v[200:201], -v[200:201], v[204:205], v[206:207]
	s_delay_alu instid0(VALU_DEP_1) | instskip(NEXT) | instid1(VALU_DEP_1)
	v_div_fmas_f64 v[200:201], v[200:201], v[202:203], v[204:205]
	v_div_fixup_f64 v[200:201], v[200:201], v[196:197], v[198:199]
	s_delay_alu instid0(VALU_DEP_1) | instskip(NEXT) | instid1(VALU_DEP_1)
	v_fma_f64 v[196:197], v[198:199], v[200:201], v[196:197]
	v_div_scale_f64 v[198:199], null, v[196:197], v[196:197], 1.0
	s_delay_alu instid0(VALU_DEP_1) | instskip(SKIP_2) | instid1(VALU_DEP_1)
	v_rcp_f64_e32 v[202:203], v[198:199]
	s_waitcnt_depctr 0xfff
	v_fma_f64 v[204:205], -v[198:199], v[202:203], 1.0
	v_fma_f64 v[202:203], v[202:203], v[204:205], v[202:203]
	s_delay_alu instid0(VALU_DEP_1) | instskip(NEXT) | instid1(VALU_DEP_1)
	v_fma_f64 v[204:205], -v[198:199], v[202:203], 1.0
	v_fma_f64 v[202:203], v[202:203], v[204:205], v[202:203]
	v_div_scale_f64 v[204:205], vcc_lo, 1.0, v[196:197], 1.0
	s_delay_alu instid0(VALU_DEP_1) | instskip(NEXT) | instid1(VALU_DEP_1)
	v_mul_f64 v[206:207], v[204:205], v[202:203]
	v_fma_f64 v[198:199], -v[198:199], v[206:207], v[204:205]
	s_delay_alu instid0(VALU_DEP_1) | instskip(NEXT) | instid1(VALU_DEP_1)
	v_div_fmas_f64 v[198:199], v[198:199], v[202:203], v[206:207]
	v_div_fixup_f64 v[204:205], v[198:199], v[196:197], 1.0
	s_delay_alu instid0(VALU_DEP_1)
	v_mul_f64 v[202:203], v[200:201], -v[204:205]
.LBB97_169:
	s_or_b32 exec_lo, exec_lo, s3
	ds_store_2addr_b64 v215, v[204:205], v[202:203] offset1:1
.LBB97_170:
	s_or_b32 exec_lo, exec_lo, s4
	s_waitcnt lgkmcnt(0)
	s_barrier
	buffer_gl0_inv
	ds_load_2addr_b64 v[196:199], v215 offset1:1
	s_mov_b32 s3, exec_lo
	s_waitcnt lgkmcnt(0)
	scratch_store_b128 off, v[196:199], off offset:632 ; 16-byte Folded Spill
	v_cmpx_lt_u32_e32 18, v214
	s_cbranch_execz .LBB97_172
; %bb.171:
	scratch_load_b128 v[198:201], off, off offset:632 ; 16-byte Folded Reload
	s_waitcnt vmcnt(0)
	v_mul_f64 v[196:197], v[200:201], v[122:123]
	v_mul_f64 v[122:123], v[198:199], v[122:123]
	s_delay_alu instid0(VALU_DEP_2) | instskip(NEXT) | instid1(VALU_DEP_2)
	v_fma_f64 v[196:197], v[198:199], v[120:121], -v[196:197]
	v_fma_f64 v[122:123], v[200:201], v[120:121], v[122:123]
	ds_load_2addr_b64 v[198:201], v216 offset0:38 offset1:39
	s_waitcnt lgkmcnt(0)
	v_mul_f64 v[120:121], v[200:201], v[122:123]
	s_delay_alu instid0(VALU_DEP_1) | instskip(SKIP_1) | instid1(VALU_DEP_2)
	v_fma_f64 v[120:121], v[198:199], v[196:197], -v[120:121]
	v_mul_f64 v[198:199], v[198:199], v[122:123]
	v_add_f64 v[116:117], v[116:117], -v[120:121]
	s_delay_alu instid0(VALU_DEP_2) | instskip(NEXT) | instid1(VALU_DEP_1)
	v_fma_f64 v[198:199], v[200:201], v[196:197], v[198:199]
	v_add_f64 v[118:119], v[118:119], -v[198:199]
	ds_load_2addr_b64 v[198:201], v216 offset0:40 offset1:41
	s_waitcnt lgkmcnt(0)
	v_mul_f64 v[120:121], v[200:201], v[122:123]
	s_delay_alu instid0(VALU_DEP_1) | instskip(SKIP_1) | instid1(VALU_DEP_2)
	v_fma_f64 v[120:121], v[198:199], v[196:197], -v[120:121]
	v_mul_f64 v[198:199], v[198:199], v[122:123]
	v_add_f64 v[112:113], v[112:113], -v[120:121]
	s_delay_alu instid0(VALU_DEP_2) | instskip(NEXT) | instid1(VALU_DEP_1)
	v_fma_f64 v[198:199], v[200:201], v[196:197], v[198:199]
	v_add_f64 v[114:115], v[114:115], -v[198:199]
	;; [unrolled: 10-line block ×29, first 2 shown]
	ds_load_2addr_b64 v[198:201], v216 offset0:96 offset1:97
	s_waitcnt lgkmcnt(0)
	v_mul_f64 v[120:121], v[200:201], v[122:123]
	s_delay_alu instid0(VALU_DEP_1) | instskip(SKIP_1) | instid1(VALU_DEP_2)
	v_fma_f64 v[120:121], v[198:199], v[196:197], -v[120:121]
	v_mul_f64 v[198:199], v[198:199], v[122:123]
	v_add_f64 v[0:1], v[0:1], -v[120:121]
	s_delay_alu instid0(VALU_DEP_2) | instskip(SKIP_1) | instid1(VALU_DEP_2)
	v_fma_f64 v[198:199], v[200:201], v[196:197], v[198:199]
	v_dual_mov_b32 v120, v196 :: v_dual_mov_b32 v121, v197
	v_add_f64 v[2:3], v[2:3], -v[198:199]
.LBB97_172:
	s_or_b32 exec_lo, exec_lo, s3
	s_delay_alu instid0(SALU_CYCLE_1)
	s_mov_b32 s4, exec_lo
	s_waitcnt_vscnt null, 0x0
	s_barrier
	buffer_gl0_inv
	v_cmpx_eq_u32_e32 19, v214
	s_cbranch_execz .LBB97_179
; %bb.173:
	ds_store_2addr_b64 v215, v[116:117], v[118:119] offset1:1
	ds_store_2addr_b64 v216, v[112:113], v[114:115] offset0:40 offset1:41
	ds_store_2addr_b64 v216, v[108:109], v[110:111] offset0:42 offset1:43
	;; [unrolled: 1-line block ×29, first 2 shown]
	ds_load_2addr_b64 v[196:199], v215 offset1:1
	s_waitcnt lgkmcnt(0)
	v_cmp_neq_f64_e32 vcc_lo, 0, v[196:197]
	v_cmp_neq_f64_e64 s3, 0, v[198:199]
	s_delay_alu instid0(VALU_DEP_1) | instskip(NEXT) | instid1(SALU_CYCLE_1)
	s_or_b32 s3, vcc_lo, s3
	s_and_b32 exec_lo, exec_lo, s3
	s_cbranch_execz .LBB97_179
; %bb.174:
	v_cmp_gt_f64_e32 vcc_lo, 0, v[196:197]
	v_xor_b32_e32 v200, 0x80000000, v197
	v_xor_b32_e32 v202, 0x80000000, v199
	s_mov_b32 s3, exec_lo
                                        ; implicit-def: $vgpr204_vgpr205
	s_delay_alu instid0(VALU_DEP_2) | instskip(SKIP_4) | instid1(VALU_DEP_1)
	v_cndmask_b32_e32 v201, v197, v200, vcc_lo
	v_cndmask_b32_e32 v200, v196, v196, vcc_lo
	v_cmp_gt_f64_e32 vcc_lo, 0, v[198:199]
	v_cndmask_b32_e32 v203, v199, v202, vcc_lo
	v_cndmask_b32_e32 v202, v198, v198, vcc_lo
	v_cmpx_ngt_f64_e32 v[200:201], v[202:203]
	s_xor_b32 s3, exec_lo, s3
                                        ; implicit-def: $vgpr200_vgpr201_vgpr202_vgpr203
	s_cbranch_execz .LBB97_176
; %bb.175:
	v_div_scale_f64 v[200:201], null, v[198:199], v[198:199], v[196:197]
	v_div_scale_f64 v[206:207], vcc_lo, v[196:197], v[198:199], v[196:197]
	s_delay_alu instid0(VALU_DEP_2) | instskip(SKIP_2) | instid1(VALU_DEP_1)
	v_rcp_f64_e32 v[202:203], v[200:201]
	s_waitcnt_depctr 0xfff
	v_fma_f64 v[204:205], -v[200:201], v[202:203], 1.0
	v_fma_f64 v[202:203], v[202:203], v[204:205], v[202:203]
	s_delay_alu instid0(VALU_DEP_1) | instskip(NEXT) | instid1(VALU_DEP_1)
	v_fma_f64 v[204:205], -v[200:201], v[202:203], 1.0
	v_fma_f64 v[202:203], v[202:203], v[204:205], v[202:203]
	s_delay_alu instid0(VALU_DEP_1) | instskip(NEXT) | instid1(VALU_DEP_1)
	v_mul_f64 v[204:205], v[206:207], v[202:203]
	v_fma_f64 v[200:201], -v[200:201], v[204:205], v[206:207]
	s_delay_alu instid0(VALU_DEP_1) | instskip(NEXT) | instid1(VALU_DEP_1)
	v_div_fmas_f64 v[200:201], v[200:201], v[202:203], v[204:205]
	v_div_fixup_f64 v[200:201], v[200:201], v[198:199], v[196:197]
	s_delay_alu instid0(VALU_DEP_1) | instskip(NEXT) | instid1(VALU_DEP_1)
	v_fma_f64 v[196:197], v[196:197], v[200:201], v[198:199]
	v_div_scale_f64 v[198:199], null, v[196:197], v[196:197], 1.0
	s_delay_alu instid0(VALU_DEP_1) | instskip(SKIP_2) | instid1(VALU_DEP_1)
	v_rcp_f64_e32 v[202:203], v[198:199]
	s_waitcnt_depctr 0xfff
	v_fma_f64 v[204:205], -v[198:199], v[202:203], 1.0
	v_fma_f64 v[202:203], v[202:203], v[204:205], v[202:203]
	s_delay_alu instid0(VALU_DEP_1) | instskip(NEXT) | instid1(VALU_DEP_1)
	v_fma_f64 v[204:205], -v[198:199], v[202:203], 1.0
	v_fma_f64 v[202:203], v[202:203], v[204:205], v[202:203]
	v_div_scale_f64 v[204:205], vcc_lo, 1.0, v[196:197], 1.0
	s_delay_alu instid0(VALU_DEP_1) | instskip(NEXT) | instid1(VALU_DEP_1)
	v_mul_f64 v[206:207], v[204:205], v[202:203]
	v_fma_f64 v[198:199], -v[198:199], v[206:207], v[204:205]
	s_delay_alu instid0(VALU_DEP_1) | instskip(NEXT) | instid1(VALU_DEP_1)
	v_div_fmas_f64 v[198:199], v[198:199], v[202:203], v[206:207]
	v_div_fixup_f64 v[202:203], v[198:199], v[196:197], 1.0
                                        ; implicit-def: $vgpr196_vgpr197
	s_delay_alu instid0(VALU_DEP_1)
	v_mul_f64 v[204:205], v[200:201], v[202:203]
	v_xor_b32_e32 v203, 0x80000000, v203
.LBB97_176:
	s_and_not1_saveexec_b32 s3, s3
	s_cbranch_execz .LBB97_178
; %bb.177:
	v_div_scale_f64 v[200:201], null, v[196:197], v[196:197], v[198:199]
	v_div_scale_f64 v[206:207], vcc_lo, v[198:199], v[196:197], v[198:199]
	s_delay_alu instid0(VALU_DEP_2) | instskip(SKIP_2) | instid1(VALU_DEP_1)
	v_rcp_f64_e32 v[202:203], v[200:201]
	s_waitcnt_depctr 0xfff
	v_fma_f64 v[204:205], -v[200:201], v[202:203], 1.0
	v_fma_f64 v[202:203], v[202:203], v[204:205], v[202:203]
	s_delay_alu instid0(VALU_DEP_1) | instskip(NEXT) | instid1(VALU_DEP_1)
	v_fma_f64 v[204:205], -v[200:201], v[202:203], 1.0
	v_fma_f64 v[202:203], v[202:203], v[204:205], v[202:203]
	s_delay_alu instid0(VALU_DEP_1) | instskip(NEXT) | instid1(VALU_DEP_1)
	v_mul_f64 v[204:205], v[206:207], v[202:203]
	v_fma_f64 v[200:201], -v[200:201], v[204:205], v[206:207]
	s_delay_alu instid0(VALU_DEP_1) | instskip(NEXT) | instid1(VALU_DEP_1)
	v_div_fmas_f64 v[200:201], v[200:201], v[202:203], v[204:205]
	v_div_fixup_f64 v[200:201], v[200:201], v[196:197], v[198:199]
	s_delay_alu instid0(VALU_DEP_1) | instskip(NEXT) | instid1(VALU_DEP_1)
	v_fma_f64 v[196:197], v[198:199], v[200:201], v[196:197]
	v_div_scale_f64 v[198:199], null, v[196:197], v[196:197], 1.0
	s_delay_alu instid0(VALU_DEP_1) | instskip(SKIP_2) | instid1(VALU_DEP_1)
	v_rcp_f64_e32 v[202:203], v[198:199]
	s_waitcnt_depctr 0xfff
	v_fma_f64 v[204:205], -v[198:199], v[202:203], 1.0
	v_fma_f64 v[202:203], v[202:203], v[204:205], v[202:203]
	s_delay_alu instid0(VALU_DEP_1) | instskip(NEXT) | instid1(VALU_DEP_1)
	v_fma_f64 v[204:205], -v[198:199], v[202:203], 1.0
	v_fma_f64 v[202:203], v[202:203], v[204:205], v[202:203]
	v_div_scale_f64 v[204:205], vcc_lo, 1.0, v[196:197], 1.0
	s_delay_alu instid0(VALU_DEP_1) | instskip(NEXT) | instid1(VALU_DEP_1)
	v_mul_f64 v[206:207], v[204:205], v[202:203]
	v_fma_f64 v[198:199], -v[198:199], v[206:207], v[204:205]
	s_delay_alu instid0(VALU_DEP_1) | instskip(NEXT) | instid1(VALU_DEP_1)
	v_div_fmas_f64 v[198:199], v[198:199], v[202:203], v[206:207]
	v_div_fixup_f64 v[204:205], v[198:199], v[196:197], 1.0
	s_delay_alu instid0(VALU_DEP_1)
	v_mul_f64 v[202:203], v[200:201], -v[204:205]
.LBB97_178:
	s_or_b32 exec_lo, exec_lo, s3
	ds_store_2addr_b64 v215, v[204:205], v[202:203] offset1:1
.LBB97_179:
	s_or_b32 exec_lo, exec_lo, s4
	s_waitcnt lgkmcnt(0)
	s_barrier
	buffer_gl0_inv
	ds_load_2addr_b64 v[196:199], v215 offset1:1
	s_mov_b32 s3, exec_lo
	s_waitcnt lgkmcnt(0)
	scratch_store_b128 off, v[196:199], off offset:648 ; 16-byte Folded Spill
	v_cmpx_lt_u32_e32 19, v214
	s_cbranch_execz .LBB97_181
; %bb.180:
	scratch_load_b128 v[198:201], off, off offset:648 ; 16-byte Folded Reload
	s_waitcnt vmcnt(0)
	v_mul_f64 v[196:197], v[200:201], v[118:119]
	v_mul_f64 v[118:119], v[198:199], v[118:119]
	s_delay_alu instid0(VALU_DEP_2) | instskip(NEXT) | instid1(VALU_DEP_2)
	v_fma_f64 v[196:197], v[198:199], v[116:117], -v[196:197]
	v_fma_f64 v[118:119], v[200:201], v[116:117], v[118:119]
	ds_load_2addr_b64 v[198:201], v216 offset0:40 offset1:41
	s_waitcnt lgkmcnt(0)
	v_mul_f64 v[116:117], v[200:201], v[118:119]
	s_delay_alu instid0(VALU_DEP_1) | instskip(SKIP_1) | instid1(VALU_DEP_2)
	v_fma_f64 v[116:117], v[198:199], v[196:197], -v[116:117]
	v_mul_f64 v[198:199], v[198:199], v[118:119]
	v_add_f64 v[112:113], v[112:113], -v[116:117]
	s_delay_alu instid0(VALU_DEP_2) | instskip(NEXT) | instid1(VALU_DEP_1)
	v_fma_f64 v[198:199], v[200:201], v[196:197], v[198:199]
	v_add_f64 v[114:115], v[114:115], -v[198:199]
	ds_load_2addr_b64 v[198:201], v216 offset0:42 offset1:43
	s_waitcnt lgkmcnt(0)
	v_mul_f64 v[116:117], v[200:201], v[118:119]
	s_delay_alu instid0(VALU_DEP_1) | instskip(SKIP_1) | instid1(VALU_DEP_2)
	v_fma_f64 v[116:117], v[198:199], v[196:197], -v[116:117]
	v_mul_f64 v[198:199], v[198:199], v[118:119]
	v_add_f64 v[108:109], v[108:109], -v[116:117]
	s_delay_alu instid0(VALU_DEP_2) | instskip(NEXT) | instid1(VALU_DEP_1)
	v_fma_f64 v[198:199], v[200:201], v[196:197], v[198:199]
	v_add_f64 v[110:111], v[110:111], -v[198:199]
	;; [unrolled: 10-line block ×28, first 2 shown]
	ds_load_2addr_b64 v[198:201], v216 offset0:96 offset1:97
	s_waitcnt lgkmcnt(0)
	v_mul_f64 v[116:117], v[200:201], v[118:119]
	s_delay_alu instid0(VALU_DEP_1) | instskip(SKIP_1) | instid1(VALU_DEP_2)
	v_fma_f64 v[116:117], v[198:199], v[196:197], -v[116:117]
	v_mul_f64 v[198:199], v[198:199], v[118:119]
	v_add_f64 v[0:1], v[0:1], -v[116:117]
	s_delay_alu instid0(VALU_DEP_2) | instskip(SKIP_1) | instid1(VALU_DEP_2)
	v_fma_f64 v[198:199], v[200:201], v[196:197], v[198:199]
	v_dual_mov_b32 v116, v196 :: v_dual_mov_b32 v117, v197
	v_add_f64 v[2:3], v[2:3], -v[198:199]
.LBB97_181:
	s_or_b32 exec_lo, exec_lo, s3
	s_delay_alu instid0(SALU_CYCLE_1)
	s_mov_b32 s4, exec_lo
	s_waitcnt_vscnt null, 0x0
	s_barrier
	buffer_gl0_inv
	v_cmpx_eq_u32_e32 20, v214
	s_cbranch_execz .LBB97_188
; %bb.182:
	ds_store_2addr_b64 v215, v[112:113], v[114:115] offset1:1
	ds_store_2addr_b64 v216, v[108:109], v[110:111] offset0:42 offset1:43
	ds_store_2addr_b64 v216, v[104:105], v[106:107] offset0:44 offset1:45
	;; [unrolled: 1-line block ×28, first 2 shown]
	ds_load_2addr_b64 v[196:199], v215 offset1:1
	s_waitcnt lgkmcnt(0)
	v_cmp_neq_f64_e32 vcc_lo, 0, v[196:197]
	v_cmp_neq_f64_e64 s3, 0, v[198:199]
	s_delay_alu instid0(VALU_DEP_1) | instskip(NEXT) | instid1(SALU_CYCLE_1)
	s_or_b32 s3, vcc_lo, s3
	s_and_b32 exec_lo, exec_lo, s3
	s_cbranch_execz .LBB97_188
; %bb.183:
	v_cmp_gt_f64_e32 vcc_lo, 0, v[196:197]
	v_xor_b32_e32 v200, 0x80000000, v197
	v_xor_b32_e32 v202, 0x80000000, v199
	s_mov_b32 s3, exec_lo
                                        ; implicit-def: $vgpr204_vgpr205
	s_delay_alu instid0(VALU_DEP_2) | instskip(SKIP_4) | instid1(VALU_DEP_1)
	v_cndmask_b32_e32 v201, v197, v200, vcc_lo
	v_cndmask_b32_e32 v200, v196, v196, vcc_lo
	v_cmp_gt_f64_e32 vcc_lo, 0, v[198:199]
	v_cndmask_b32_e32 v203, v199, v202, vcc_lo
	v_cndmask_b32_e32 v202, v198, v198, vcc_lo
	v_cmpx_ngt_f64_e32 v[200:201], v[202:203]
	s_xor_b32 s3, exec_lo, s3
                                        ; implicit-def: $vgpr200_vgpr201_vgpr202_vgpr203
	s_cbranch_execz .LBB97_185
; %bb.184:
	v_div_scale_f64 v[200:201], null, v[198:199], v[198:199], v[196:197]
	v_div_scale_f64 v[206:207], vcc_lo, v[196:197], v[198:199], v[196:197]
	s_delay_alu instid0(VALU_DEP_2) | instskip(SKIP_2) | instid1(VALU_DEP_1)
	v_rcp_f64_e32 v[202:203], v[200:201]
	s_waitcnt_depctr 0xfff
	v_fma_f64 v[204:205], -v[200:201], v[202:203], 1.0
	v_fma_f64 v[202:203], v[202:203], v[204:205], v[202:203]
	s_delay_alu instid0(VALU_DEP_1) | instskip(NEXT) | instid1(VALU_DEP_1)
	v_fma_f64 v[204:205], -v[200:201], v[202:203], 1.0
	v_fma_f64 v[202:203], v[202:203], v[204:205], v[202:203]
	s_delay_alu instid0(VALU_DEP_1) | instskip(NEXT) | instid1(VALU_DEP_1)
	v_mul_f64 v[204:205], v[206:207], v[202:203]
	v_fma_f64 v[200:201], -v[200:201], v[204:205], v[206:207]
	s_delay_alu instid0(VALU_DEP_1) | instskip(NEXT) | instid1(VALU_DEP_1)
	v_div_fmas_f64 v[200:201], v[200:201], v[202:203], v[204:205]
	v_div_fixup_f64 v[200:201], v[200:201], v[198:199], v[196:197]
	s_delay_alu instid0(VALU_DEP_1) | instskip(NEXT) | instid1(VALU_DEP_1)
	v_fma_f64 v[196:197], v[196:197], v[200:201], v[198:199]
	v_div_scale_f64 v[198:199], null, v[196:197], v[196:197], 1.0
	s_delay_alu instid0(VALU_DEP_1) | instskip(SKIP_2) | instid1(VALU_DEP_1)
	v_rcp_f64_e32 v[202:203], v[198:199]
	s_waitcnt_depctr 0xfff
	v_fma_f64 v[204:205], -v[198:199], v[202:203], 1.0
	v_fma_f64 v[202:203], v[202:203], v[204:205], v[202:203]
	s_delay_alu instid0(VALU_DEP_1) | instskip(NEXT) | instid1(VALU_DEP_1)
	v_fma_f64 v[204:205], -v[198:199], v[202:203], 1.0
	v_fma_f64 v[202:203], v[202:203], v[204:205], v[202:203]
	v_div_scale_f64 v[204:205], vcc_lo, 1.0, v[196:197], 1.0
	s_delay_alu instid0(VALU_DEP_1) | instskip(NEXT) | instid1(VALU_DEP_1)
	v_mul_f64 v[206:207], v[204:205], v[202:203]
	v_fma_f64 v[198:199], -v[198:199], v[206:207], v[204:205]
	s_delay_alu instid0(VALU_DEP_1) | instskip(NEXT) | instid1(VALU_DEP_1)
	v_div_fmas_f64 v[198:199], v[198:199], v[202:203], v[206:207]
	v_div_fixup_f64 v[202:203], v[198:199], v[196:197], 1.0
                                        ; implicit-def: $vgpr196_vgpr197
	s_delay_alu instid0(VALU_DEP_1)
	v_mul_f64 v[204:205], v[200:201], v[202:203]
	v_xor_b32_e32 v203, 0x80000000, v203
.LBB97_185:
	s_and_not1_saveexec_b32 s3, s3
	s_cbranch_execz .LBB97_187
; %bb.186:
	v_div_scale_f64 v[200:201], null, v[196:197], v[196:197], v[198:199]
	v_div_scale_f64 v[206:207], vcc_lo, v[198:199], v[196:197], v[198:199]
	s_delay_alu instid0(VALU_DEP_2) | instskip(SKIP_2) | instid1(VALU_DEP_1)
	v_rcp_f64_e32 v[202:203], v[200:201]
	s_waitcnt_depctr 0xfff
	v_fma_f64 v[204:205], -v[200:201], v[202:203], 1.0
	v_fma_f64 v[202:203], v[202:203], v[204:205], v[202:203]
	s_delay_alu instid0(VALU_DEP_1) | instskip(NEXT) | instid1(VALU_DEP_1)
	v_fma_f64 v[204:205], -v[200:201], v[202:203], 1.0
	v_fma_f64 v[202:203], v[202:203], v[204:205], v[202:203]
	s_delay_alu instid0(VALU_DEP_1) | instskip(NEXT) | instid1(VALU_DEP_1)
	v_mul_f64 v[204:205], v[206:207], v[202:203]
	v_fma_f64 v[200:201], -v[200:201], v[204:205], v[206:207]
	s_delay_alu instid0(VALU_DEP_1) | instskip(NEXT) | instid1(VALU_DEP_1)
	v_div_fmas_f64 v[200:201], v[200:201], v[202:203], v[204:205]
	v_div_fixup_f64 v[200:201], v[200:201], v[196:197], v[198:199]
	s_delay_alu instid0(VALU_DEP_1) | instskip(NEXT) | instid1(VALU_DEP_1)
	v_fma_f64 v[196:197], v[198:199], v[200:201], v[196:197]
	v_div_scale_f64 v[198:199], null, v[196:197], v[196:197], 1.0
	s_delay_alu instid0(VALU_DEP_1) | instskip(SKIP_2) | instid1(VALU_DEP_1)
	v_rcp_f64_e32 v[202:203], v[198:199]
	s_waitcnt_depctr 0xfff
	v_fma_f64 v[204:205], -v[198:199], v[202:203], 1.0
	v_fma_f64 v[202:203], v[202:203], v[204:205], v[202:203]
	s_delay_alu instid0(VALU_DEP_1) | instskip(NEXT) | instid1(VALU_DEP_1)
	v_fma_f64 v[204:205], -v[198:199], v[202:203], 1.0
	v_fma_f64 v[202:203], v[202:203], v[204:205], v[202:203]
	v_div_scale_f64 v[204:205], vcc_lo, 1.0, v[196:197], 1.0
	s_delay_alu instid0(VALU_DEP_1) | instskip(NEXT) | instid1(VALU_DEP_1)
	v_mul_f64 v[206:207], v[204:205], v[202:203]
	v_fma_f64 v[198:199], -v[198:199], v[206:207], v[204:205]
	s_delay_alu instid0(VALU_DEP_1) | instskip(NEXT) | instid1(VALU_DEP_1)
	v_div_fmas_f64 v[198:199], v[198:199], v[202:203], v[206:207]
	v_div_fixup_f64 v[204:205], v[198:199], v[196:197], 1.0
	s_delay_alu instid0(VALU_DEP_1)
	v_mul_f64 v[202:203], v[200:201], -v[204:205]
.LBB97_187:
	s_or_b32 exec_lo, exec_lo, s3
	ds_store_2addr_b64 v215, v[204:205], v[202:203] offset1:1
.LBB97_188:
	s_or_b32 exec_lo, exec_lo, s4
	s_waitcnt lgkmcnt(0)
	s_barrier
	buffer_gl0_inv
	ds_load_2addr_b64 v[196:199], v215 offset1:1
	s_mov_b32 s3, exec_lo
	s_waitcnt lgkmcnt(0)
	scratch_store_b128 off, v[196:199], off offset:664 ; 16-byte Folded Spill
	v_cmpx_lt_u32_e32 20, v214
	s_cbranch_execz .LBB97_190
; %bb.189:
	scratch_load_b128 v[198:201], off, off offset:664 ; 16-byte Folded Reload
	s_waitcnt vmcnt(0)
	v_mul_f64 v[196:197], v[200:201], v[114:115]
	v_mul_f64 v[114:115], v[198:199], v[114:115]
	s_delay_alu instid0(VALU_DEP_2) | instskip(NEXT) | instid1(VALU_DEP_2)
	v_fma_f64 v[196:197], v[198:199], v[112:113], -v[196:197]
	v_fma_f64 v[114:115], v[200:201], v[112:113], v[114:115]
	ds_load_2addr_b64 v[198:201], v216 offset0:42 offset1:43
	s_waitcnt lgkmcnt(0)
	v_mul_f64 v[112:113], v[200:201], v[114:115]
	s_delay_alu instid0(VALU_DEP_1) | instskip(SKIP_1) | instid1(VALU_DEP_2)
	v_fma_f64 v[112:113], v[198:199], v[196:197], -v[112:113]
	v_mul_f64 v[198:199], v[198:199], v[114:115]
	v_add_f64 v[108:109], v[108:109], -v[112:113]
	s_delay_alu instid0(VALU_DEP_2) | instskip(NEXT) | instid1(VALU_DEP_1)
	v_fma_f64 v[198:199], v[200:201], v[196:197], v[198:199]
	v_add_f64 v[110:111], v[110:111], -v[198:199]
	ds_load_2addr_b64 v[198:201], v216 offset0:44 offset1:45
	s_waitcnt lgkmcnt(0)
	v_mul_f64 v[112:113], v[200:201], v[114:115]
	s_delay_alu instid0(VALU_DEP_1) | instskip(SKIP_1) | instid1(VALU_DEP_2)
	v_fma_f64 v[112:113], v[198:199], v[196:197], -v[112:113]
	v_mul_f64 v[198:199], v[198:199], v[114:115]
	v_add_f64 v[104:105], v[104:105], -v[112:113]
	s_delay_alu instid0(VALU_DEP_2) | instskip(NEXT) | instid1(VALU_DEP_1)
	v_fma_f64 v[198:199], v[200:201], v[196:197], v[198:199]
	v_add_f64 v[106:107], v[106:107], -v[198:199]
	;; [unrolled: 10-line block ×27, first 2 shown]
	ds_load_2addr_b64 v[198:201], v216 offset0:96 offset1:97
	s_waitcnt lgkmcnt(0)
	v_mul_f64 v[112:113], v[200:201], v[114:115]
	s_delay_alu instid0(VALU_DEP_1) | instskip(SKIP_1) | instid1(VALU_DEP_2)
	v_fma_f64 v[112:113], v[198:199], v[196:197], -v[112:113]
	v_mul_f64 v[198:199], v[198:199], v[114:115]
	v_add_f64 v[0:1], v[0:1], -v[112:113]
	s_delay_alu instid0(VALU_DEP_2) | instskip(SKIP_1) | instid1(VALU_DEP_2)
	v_fma_f64 v[198:199], v[200:201], v[196:197], v[198:199]
	v_dual_mov_b32 v112, v196 :: v_dual_mov_b32 v113, v197
	v_add_f64 v[2:3], v[2:3], -v[198:199]
.LBB97_190:
	s_or_b32 exec_lo, exec_lo, s3
	s_delay_alu instid0(SALU_CYCLE_1)
	s_mov_b32 s4, exec_lo
	s_waitcnt_vscnt null, 0x0
	s_barrier
	buffer_gl0_inv
	v_cmpx_eq_u32_e32 21, v214
	s_cbranch_execz .LBB97_197
; %bb.191:
	ds_store_2addr_b64 v215, v[108:109], v[110:111] offset1:1
	ds_store_2addr_b64 v216, v[104:105], v[106:107] offset0:44 offset1:45
	ds_store_2addr_b64 v216, v[100:101], v[102:103] offset0:46 offset1:47
	;; [unrolled: 1-line block ×27, first 2 shown]
	ds_load_2addr_b64 v[196:199], v215 offset1:1
	s_waitcnt lgkmcnt(0)
	v_cmp_neq_f64_e32 vcc_lo, 0, v[196:197]
	v_cmp_neq_f64_e64 s3, 0, v[198:199]
	s_delay_alu instid0(VALU_DEP_1) | instskip(NEXT) | instid1(SALU_CYCLE_1)
	s_or_b32 s3, vcc_lo, s3
	s_and_b32 exec_lo, exec_lo, s3
	s_cbranch_execz .LBB97_197
; %bb.192:
	v_cmp_gt_f64_e32 vcc_lo, 0, v[196:197]
	v_xor_b32_e32 v200, 0x80000000, v197
	v_xor_b32_e32 v202, 0x80000000, v199
	s_mov_b32 s3, exec_lo
                                        ; implicit-def: $vgpr204_vgpr205
	s_delay_alu instid0(VALU_DEP_2) | instskip(SKIP_4) | instid1(VALU_DEP_1)
	v_cndmask_b32_e32 v201, v197, v200, vcc_lo
	v_cndmask_b32_e32 v200, v196, v196, vcc_lo
	v_cmp_gt_f64_e32 vcc_lo, 0, v[198:199]
	v_cndmask_b32_e32 v203, v199, v202, vcc_lo
	v_cndmask_b32_e32 v202, v198, v198, vcc_lo
	v_cmpx_ngt_f64_e32 v[200:201], v[202:203]
	s_xor_b32 s3, exec_lo, s3
                                        ; implicit-def: $vgpr200_vgpr201_vgpr202_vgpr203
	s_cbranch_execz .LBB97_194
; %bb.193:
	v_div_scale_f64 v[200:201], null, v[198:199], v[198:199], v[196:197]
	v_div_scale_f64 v[206:207], vcc_lo, v[196:197], v[198:199], v[196:197]
	s_delay_alu instid0(VALU_DEP_2) | instskip(SKIP_2) | instid1(VALU_DEP_1)
	v_rcp_f64_e32 v[202:203], v[200:201]
	s_waitcnt_depctr 0xfff
	v_fma_f64 v[204:205], -v[200:201], v[202:203], 1.0
	v_fma_f64 v[202:203], v[202:203], v[204:205], v[202:203]
	s_delay_alu instid0(VALU_DEP_1) | instskip(NEXT) | instid1(VALU_DEP_1)
	v_fma_f64 v[204:205], -v[200:201], v[202:203], 1.0
	v_fma_f64 v[202:203], v[202:203], v[204:205], v[202:203]
	s_delay_alu instid0(VALU_DEP_1) | instskip(NEXT) | instid1(VALU_DEP_1)
	v_mul_f64 v[204:205], v[206:207], v[202:203]
	v_fma_f64 v[200:201], -v[200:201], v[204:205], v[206:207]
	s_delay_alu instid0(VALU_DEP_1) | instskip(NEXT) | instid1(VALU_DEP_1)
	v_div_fmas_f64 v[200:201], v[200:201], v[202:203], v[204:205]
	v_div_fixup_f64 v[200:201], v[200:201], v[198:199], v[196:197]
	s_delay_alu instid0(VALU_DEP_1) | instskip(NEXT) | instid1(VALU_DEP_1)
	v_fma_f64 v[196:197], v[196:197], v[200:201], v[198:199]
	v_div_scale_f64 v[198:199], null, v[196:197], v[196:197], 1.0
	s_delay_alu instid0(VALU_DEP_1) | instskip(SKIP_2) | instid1(VALU_DEP_1)
	v_rcp_f64_e32 v[202:203], v[198:199]
	s_waitcnt_depctr 0xfff
	v_fma_f64 v[204:205], -v[198:199], v[202:203], 1.0
	v_fma_f64 v[202:203], v[202:203], v[204:205], v[202:203]
	s_delay_alu instid0(VALU_DEP_1) | instskip(NEXT) | instid1(VALU_DEP_1)
	v_fma_f64 v[204:205], -v[198:199], v[202:203], 1.0
	v_fma_f64 v[202:203], v[202:203], v[204:205], v[202:203]
	v_div_scale_f64 v[204:205], vcc_lo, 1.0, v[196:197], 1.0
	s_delay_alu instid0(VALU_DEP_1) | instskip(NEXT) | instid1(VALU_DEP_1)
	v_mul_f64 v[206:207], v[204:205], v[202:203]
	v_fma_f64 v[198:199], -v[198:199], v[206:207], v[204:205]
	s_delay_alu instid0(VALU_DEP_1) | instskip(NEXT) | instid1(VALU_DEP_1)
	v_div_fmas_f64 v[198:199], v[198:199], v[202:203], v[206:207]
	v_div_fixup_f64 v[202:203], v[198:199], v[196:197], 1.0
                                        ; implicit-def: $vgpr196_vgpr197
	s_delay_alu instid0(VALU_DEP_1)
	v_mul_f64 v[204:205], v[200:201], v[202:203]
	v_xor_b32_e32 v203, 0x80000000, v203
.LBB97_194:
	s_and_not1_saveexec_b32 s3, s3
	s_cbranch_execz .LBB97_196
; %bb.195:
	v_div_scale_f64 v[200:201], null, v[196:197], v[196:197], v[198:199]
	v_div_scale_f64 v[206:207], vcc_lo, v[198:199], v[196:197], v[198:199]
	s_delay_alu instid0(VALU_DEP_2) | instskip(SKIP_2) | instid1(VALU_DEP_1)
	v_rcp_f64_e32 v[202:203], v[200:201]
	s_waitcnt_depctr 0xfff
	v_fma_f64 v[204:205], -v[200:201], v[202:203], 1.0
	v_fma_f64 v[202:203], v[202:203], v[204:205], v[202:203]
	s_delay_alu instid0(VALU_DEP_1) | instskip(NEXT) | instid1(VALU_DEP_1)
	v_fma_f64 v[204:205], -v[200:201], v[202:203], 1.0
	v_fma_f64 v[202:203], v[202:203], v[204:205], v[202:203]
	s_delay_alu instid0(VALU_DEP_1) | instskip(NEXT) | instid1(VALU_DEP_1)
	v_mul_f64 v[204:205], v[206:207], v[202:203]
	v_fma_f64 v[200:201], -v[200:201], v[204:205], v[206:207]
	s_delay_alu instid0(VALU_DEP_1) | instskip(NEXT) | instid1(VALU_DEP_1)
	v_div_fmas_f64 v[200:201], v[200:201], v[202:203], v[204:205]
	v_div_fixup_f64 v[200:201], v[200:201], v[196:197], v[198:199]
	s_delay_alu instid0(VALU_DEP_1) | instskip(NEXT) | instid1(VALU_DEP_1)
	v_fma_f64 v[196:197], v[198:199], v[200:201], v[196:197]
	v_div_scale_f64 v[198:199], null, v[196:197], v[196:197], 1.0
	s_delay_alu instid0(VALU_DEP_1) | instskip(SKIP_2) | instid1(VALU_DEP_1)
	v_rcp_f64_e32 v[202:203], v[198:199]
	s_waitcnt_depctr 0xfff
	v_fma_f64 v[204:205], -v[198:199], v[202:203], 1.0
	v_fma_f64 v[202:203], v[202:203], v[204:205], v[202:203]
	s_delay_alu instid0(VALU_DEP_1) | instskip(NEXT) | instid1(VALU_DEP_1)
	v_fma_f64 v[204:205], -v[198:199], v[202:203], 1.0
	v_fma_f64 v[202:203], v[202:203], v[204:205], v[202:203]
	v_div_scale_f64 v[204:205], vcc_lo, 1.0, v[196:197], 1.0
	s_delay_alu instid0(VALU_DEP_1) | instskip(NEXT) | instid1(VALU_DEP_1)
	v_mul_f64 v[206:207], v[204:205], v[202:203]
	v_fma_f64 v[198:199], -v[198:199], v[206:207], v[204:205]
	s_delay_alu instid0(VALU_DEP_1) | instskip(NEXT) | instid1(VALU_DEP_1)
	v_div_fmas_f64 v[198:199], v[198:199], v[202:203], v[206:207]
	v_div_fixup_f64 v[204:205], v[198:199], v[196:197], 1.0
	s_delay_alu instid0(VALU_DEP_1)
	v_mul_f64 v[202:203], v[200:201], -v[204:205]
.LBB97_196:
	s_or_b32 exec_lo, exec_lo, s3
	ds_store_2addr_b64 v215, v[204:205], v[202:203] offset1:1
.LBB97_197:
	s_or_b32 exec_lo, exec_lo, s4
	s_waitcnt lgkmcnt(0)
	s_barrier
	buffer_gl0_inv
	ds_load_2addr_b64 v[196:199], v215 offset1:1
	s_mov_b32 s3, exec_lo
	s_waitcnt lgkmcnt(0)
	scratch_store_b128 off, v[196:199], off offset:680 ; 16-byte Folded Spill
	v_cmpx_lt_u32_e32 21, v214
	s_cbranch_execz .LBB97_199
; %bb.198:
	scratch_load_b128 v[198:201], off, off offset:680 ; 16-byte Folded Reload
	s_waitcnt vmcnt(0)
	v_mul_f64 v[196:197], v[200:201], v[110:111]
	v_mul_f64 v[110:111], v[198:199], v[110:111]
	s_delay_alu instid0(VALU_DEP_2) | instskip(NEXT) | instid1(VALU_DEP_2)
	v_fma_f64 v[196:197], v[198:199], v[108:109], -v[196:197]
	v_fma_f64 v[110:111], v[200:201], v[108:109], v[110:111]
	ds_load_2addr_b64 v[198:201], v216 offset0:44 offset1:45
	s_waitcnt lgkmcnt(0)
	v_mul_f64 v[108:109], v[200:201], v[110:111]
	s_delay_alu instid0(VALU_DEP_1) | instskip(SKIP_1) | instid1(VALU_DEP_2)
	v_fma_f64 v[108:109], v[198:199], v[196:197], -v[108:109]
	v_mul_f64 v[198:199], v[198:199], v[110:111]
	v_add_f64 v[104:105], v[104:105], -v[108:109]
	s_delay_alu instid0(VALU_DEP_2) | instskip(NEXT) | instid1(VALU_DEP_1)
	v_fma_f64 v[198:199], v[200:201], v[196:197], v[198:199]
	v_add_f64 v[106:107], v[106:107], -v[198:199]
	ds_load_2addr_b64 v[198:201], v216 offset0:46 offset1:47
	s_waitcnt lgkmcnt(0)
	v_mul_f64 v[108:109], v[200:201], v[110:111]
	s_delay_alu instid0(VALU_DEP_1) | instskip(SKIP_1) | instid1(VALU_DEP_2)
	v_fma_f64 v[108:109], v[198:199], v[196:197], -v[108:109]
	v_mul_f64 v[198:199], v[198:199], v[110:111]
	v_add_f64 v[100:101], v[100:101], -v[108:109]
	s_delay_alu instid0(VALU_DEP_2) | instskip(NEXT) | instid1(VALU_DEP_1)
	v_fma_f64 v[198:199], v[200:201], v[196:197], v[198:199]
	v_add_f64 v[102:103], v[102:103], -v[198:199]
	;; [unrolled: 10-line block ×26, first 2 shown]
	ds_load_2addr_b64 v[198:201], v216 offset0:96 offset1:97
	s_waitcnt lgkmcnt(0)
	v_mul_f64 v[108:109], v[200:201], v[110:111]
	s_delay_alu instid0(VALU_DEP_1) | instskip(SKIP_1) | instid1(VALU_DEP_2)
	v_fma_f64 v[108:109], v[198:199], v[196:197], -v[108:109]
	v_mul_f64 v[198:199], v[198:199], v[110:111]
	v_add_f64 v[0:1], v[0:1], -v[108:109]
	s_delay_alu instid0(VALU_DEP_2) | instskip(SKIP_1) | instid1(VALU_DEP_2)
	v_fma_f64 v[198:199], v[200:201], v[196:197], v[198:199]
	v_dual_mov_b32 v108, v196 :: v_dual_mov_b32 v109, v197
	v_add_f64 v[2:3], v[2:3], -v[198:199]
.LBB97_199:
	s_or_b32 exec_lo, exec_lo, s3
	s_delay_alu instid0(SALU_CYCLE_1)
	s_mov_b32 s4, exec_lo
	s_waitcnt_vscnt null, 0x0
	s_barrier
	buffer_gl0_inv
	v_cmpx_eq_u32_e32 22, v214
	s_cbranch_execz .LBB97_206
; %bb.200:
	ds_store_2addr_b64 v215, v[104:105], v[106:107] offset1:1
	ds_store_2addr_b64 v216, v[100:101], v[102:103] offset0:46 offset1:47
	ds_store_2addr_b64 v216, v[96:97], v[98:99] offset0:48 offset1:49
	;; [unrolled: 1-line block ×26, first 2 shown]
	ds_load_2addr_b64 v[196:199], v215 offset1:1
	s_waitcnt lgkmcnt(0)
	v_cmp_neq_f64_e32 vcc_lo, 0, v[196:197]
	v_cmp_neq_f64_e64 s3, 0, v[198:199]
	s_delay_alu instid0(VALU_DEP_1) | instskip(NEXT) | instid1(SALU_CYCLE_1)
	s_or_b32 s3, vcc_lo, s3
	s_and_b32 exec_lo, exec_lo, s3
	s_cbranch_execz .LBB97_206
; %bb.201:
	v_cmp_gt_f64_e32 vcc_lo, 0, v[196:197]
	v_xor_b32_e32 v200, 0x80000000, v197
	v_xor_b32_e32 v202, 0x80000000, v199
	s_mov_b32 s3, exec_lo
                                        ; implicit-def: $vgpr204_vgpr205
	s_delay_alu instid0(VALU_DEP_2) | instskip(SKIP_4) | instid1(VALU_DEP_1)
	v_cndmask_b32_e32 v201, v197, v200, vcc_lo
	v_cndmask_b32_e32 v200, v196, v196, vcc_lo
	v_cmp_gt_f64_e32 vcc_lo, 0, v[198:199]
	v_cndmask_b32_e32 v203, v199, v202, vcc_lo
	v_cndmask_b32_e32 v202, v198, v198, vcc_lo
	v_cmpx_ngt_f64_e32 v[200:201], v[202:203]
	s_xor_b32 s3, exec_lo, s3
                                        ; implicit-def: $vgpr200_vgpr201_vgpr202_vgpr203
	s_cbranch_execz .LBB97_203
; %bb.202:
	v_div_scale_f64 v[200:201], null, v[198:199], v[198:199], v[196:197]
	v_div_scale_f64 v[206:207], vcc_lo, v[196:197], v[198:199], v[196:197]
	s_delay_alu instid0(VALU_DEP_2) | instskip(SKIP_2) | instid1(VALU_DEP_1)
	v_rcp_f64_e32 v[202:203], v[200:201]
	s_waitcnt_depctr 0xfff
	v_fma_f64 v[204:205], -v[200:201], v[202:203], 1.0
	v_fma_f64 v[202:203], v[202:203], v[204:205], v[202:203]
	s_delay_alu instid0(VALU_DEP_1) | instskip(NEXT) | instid1(VALU_DEP_1)
	v_fma_f64 v[204:205], -v[200:201], v[202:203], 1.0
	v_fma_f64 v[202:203], v[202:203], v[204:205], v[202:203]
	s_delay_alu instid0(VALU_DEP_1) | instskip(NEXT) | instid1(VALU_DEP_1)
	v_mul_f64 v[204:205], v[206:207], v[202:203]
	v_fma_f64 v[200:201], -v[200:201], v[204:205], v[206:207]
	s_delay_alu instid0(VALU_DEP_1) | instskip(NEXT) | instid1(VALU_DEP_1)
	v_div_fmas_f64 v[200:201], v[200:201], v[202:203], v[204:205]
	v_div_fixup_f64 v[200:201], v[200:201], v[198:199], v[196:197]
	s_delay_alu instid0(VALU_DEP_1) | instskip(NEXT) | instid1(VALU_DEP_1)
	v_fma_f64 v[196:197], v[196:197], v[200:201], v[198:199]
	v_div_scale_f64 v[198:199], null, v[196:197], v[196:197], 1.0
	s_delay_alu instid0(VALU_DEP_1) | instskip(SKIP_2) | instid1(VALU_DEP_1)
	v_rcp_f64_e32 v[202:203], v[198:199]
	s_waitcnt_depctr 0xfff
	v_fma_f64 v[204:205], -v[198:199], v[202:203], 1.0
	v_fma_f64 v[202:203], v[202:203], v[204:205], v[202:203]
	s_delay_alu instid0(VALU_DEP_1) | instskip(NEXT) | instid1(VALU_DEP_1)
	v_fma_f64 v[204:205], -v[198:199], v[202:203], 1.0
	v_fma_f64 v[202:203], v[202:203], v[204:205], v[202:203]
	v_div_scale_f64 v[204:205], vcc_lo, 1.0, v[196:197], 1.0
	s_delay_alu instid0(VALU_DEP_1) | instskip(NEXT) | instid1(VALU_DEP_1)
	v_mul_f64 v[206:207], v[204:205], v[202:203]
	v_fma_f64 v[198:199], -v[198:199], v[206:207], v[204:205]
	s_delay_alu instid0(VALU_DEP_1) | instskip(NEXT) | instid1(VALU_DEP_1)
	v_div_fmas_f64 v[198:199], v[198:199], v[202:203], v[206:207]
	v_div_fixup_f64 v[202:203], v[198:199], v[196:197], 1.0
                                        ; implicit-def: $vgpr196_vgpr197
	s_delay_alu instid0(VALU_DEP_1)
	v_mul_f64 v[204:205], v[200:201], v[202:203]
	v_xor_b32_e32 v203, 0x80000000, v203
.LBB97_203:
	s_and_not1_saveexec_b32 s3, s3
	s_cbranch_execz .LBB97_205
; %bb.204:
	v_div_scale_f64 v[200:201], null, v[196:197], v[196:197], v[198:199]
	v_div_scale_f64 v[206:207], vcc_lo, v[198:199], v[196:197], v[198:199]
	s_delay_alu instid0(VALU_DEP_2) | instskip(SKIP_2) | instid1(VALU_DEP_1)
	v_rcp_f64_e32 v[202:203], v[200:201]
	s_waitcnt_depctr 0xfff
	v_fma_f64 v[204:205], -v[200:201], v[202:203], 1.0
	v_fma_f64 v[202:203], v[202:203], v[204:205], v[202:203]
	s_delay_alu instid0(VALU_DEP_1) | instskip(NEXT) | instid1(VALU_DEP_1)
	v_fma_f64 v[204:205], -v[200:201], v[202:203], 1.0
	v_fma_f64 v[202:203], v[202:203], v[204:205], v[202:203]
	s_delay_alu instid0(VALU_DEP_1) | instskip(NEXT) | instid1(VALU_DEP_1)
	v_mul_f64 v[204:205], v[206:207], v[202:203]
	v_fma_f64 v[200:201], -v[200:201], v[204:205], v[206:207]
	s_delay_alu instid0(VALU_DEP_1) | instskip(NEXT) | instid1(VALU_DEP_1)
	v_div_fmas_f64 v[200:201], v[200:201], v[202:203], v[204:205]
	v_div_fixup_f64 v[200:201], v[200:201], v[196:197], v[198:199]
	s_delay_alu instid0(VALU_DEP_1) | instskip(NEXT) | instid1(VALU_DEP_1)
	v_fma_f64 v[196:197], v[198:199], v[200:201], v[196:197]
	v_div_scale_f64 v[198:199], null, v[196:197], v[196:197], 1.0
	s_delay_alu instid0(VALU_DEP_1) | instskip(SKIP_2) | instid1(VALU_DEP_1)
	v_rcp_f64_e32 v[202:203], v[198:199]
	s_waitcnt_depctr 0xfff
	v_fma_f64 v[204:205], -v[198:199], v[202:203], 1.0
	v_fma_f64 v[202:203], v[202:203], v[204:205], v[202:203]
	s_delay_alu instid0(VALU_DEP_1) | instskip(NEXT) | instid1(VALU_DEP_1)
	v_fma_f64 v[204:205], -v[198:199], v[202:203], 1.0
	v_fma_f64 v[202:203], v[202:203], v[204:205], v[202:203]
	v_div_scale_f64 v[204:205], vcc_lo, 1.0, v[196:197], 1.0
	s_delay_alu instid0(VALU_DEP_1) | instskip(NEXT) | instid1(VALU_DEP_1)
	v_mul_f64 v[206:207], v[204:205], v[202:203]
	v_fma_f64 v[198:199], -v[198:199], v[206:207], v[204:205]
	s_delay_alu instid0(VALU_DEP_1) | instskip(NEXT) | instid1(VALU_DEP_1)
	v_div_fmas_f64 v[198:199], v[198:199], v[202:203], v[206:207]
	v_div_fixup_f64 v[204:205], v[198:199], v[196:197], 1.0
	s_delay_alu instid0(VALU_DEP_1)
	v_mul_f64 v[202:203], v[200:201], -v[204:205]
.LBB97_205:
	s_or_b32 exec_lo, exec_lo, s3
	ds_store_2addr_b64 v215, v[204:205], v[202:203] offset1:1
.LBB97_206:
	s_or_b32 exec_lo, exec_lo, s4
	s_waitcnt lgkmcnt(0)
	s_barrier
	buffer_gl0_inv
	ds_load_2addr_b64 v[196:199], v215 offset1:1
	s_mov_b32 s3, exec_lo
	s_waitcnt lgkmcnt(0)
	scratch_store_b128 off, v[196:199], off offset:696 ; 16-byte Folded Spill
	v_cmpx_lt_u32_e32 22, v214
	s_cbranch_execz .LBB97_208
; %bb.207:
	scratch_load_b128 v[198:201], off, off offset:696 ; 16-byte Folded Reload
	s_waitcnt vmcnt(0)
	v_mul_f64 v[196:197], v[200:201], v[106:107]
	v_mul_f64 v[106:107], v[198:199], v[106:107]
	s_delay_alu instid0(VALU_DEP_2) | instskip(NEXT) | instid1(VALU_DEP_2)
	v_fma_f64 v[196:197], v[198:199], v[104:105], -v[196:197]
	v_fma_f64 v[106:107], v[200:201], v[104:105], v[106:107]
	ds_load_2addr_b64 v[198:201], v216 offset0:46 offset1:47
	s_waitcnt lgkmcnt(0)
	v_mul_f64 v[104:105], v[200:201], v[106:107]
	s_delay_alu instid0(VALU_DEP_1) | instskip(SKIP_1) | instid1(VALU_DEP_2)
	v_fma_f64 v[104:105], v[198:199], v[196:197], -v[104:105]
	v_mul_f64 v[198:199], v[198:199], v[106:107]
	v_add_f64 v[100:101], v[100:101], -v[104:105]
	s_delay_alu instid0(VALU_DEP_2) | instskip(NEXT) | instid1(VALU_DEP_1)
	v_fma_f64 v[198:199], v[200:201], v[196:197], v[198:199]
	v_add_f64 v[102:103], v[102:103], -v[198:199]
	ds_load_2addr_b64 v[198:201], v216 offset0:48 offset1:49
	s_waitcnt lgkmcnt(0)
	v_mul_f64 v[104:105], v[200:201], v[106:107]
	s_delay_alu instid0(VALU_DEP_1) | instskip(SKIP_1) | instid1(VALU_DEP_2)
	v_fma_f64 v[104:105], v[198:199], v[196:197], -v[104:105]
	v_mul_f64 v[198:199], v[198:199], v[106:107]
	v_add_f64 v[96:97], v[96:97], -v[104:105]
	s_delay_alu instid0(VALU_DEP_2) | instskip(NEXT) | instid1(VALU_DEP_1)
	v_fma_f64 v[198:199], v[200:201], v[196:197], v[198:199]
	v_add_f64 v[98:99], v[98:99], -v[198:199]
	;; [unrolled: 10-line block ×25, first 2 shown]
	ds_load_2addr_b64 v[198:201], v216 offset0:96 offset1:97
	s_waitcnt lgkmcnt(0)
	v_mul_f64 v[104:105], v[200:201], v[106:107]
	s_delay_alu instid0(VALU_DEP_1) | instskip(SKIP_1) | instid1(VALU_DEP_2)
	v_fma_f64 v[104:105], v[198:199], v[196:197], -v[104:105]
	v_mul_f64 v[198:199], v[198:199], v[106:107]
	v_add_f64 v[0:1], v[0:1], -v[104:105]
	s_delay_alu instid0(VALU_DEP_2) | instskip(SKIP_1) | instid1(VALU_DEP_2)
	v_fma_f64 v[198:199], v[200:201], v[196:197], v[198:199]
	v_dual_mov_b32 v104, v196 :: v_dual_mov_b32 v105, v197
	v_add_f64 v[2:3], v[2:3], -v[198:199]
.LBB97_208:
	s_or_b32 exec_lo, exec_lo, s3
	s_delay_alu instid0(SALU_CYCLE_1)
	s_mov_b32 s4, exec_lo
	s_waitcnt_vscnt null, 0x0
	s_barrier
	buffer_gl0_inv
	v_cmpx_eq_u32_e32 23, v214
	s_cbranch_execz .LBB97_215
; %bb.209:
	ds_store_2addr_b64 v215, v[100:101], v[102:103] offset1:1
	ds_store_2addr_b64 v216, v[96:97], v[98:99] offset0:48 offset1:49
	ds_store_2addr_b64 v216, v[92:93], v[94:95] offset0:50 offset1:51
	;; [unrolled: 1-line block ×25, first 2 shown]
	ds_load_2addr_b64 v[196:199], v215 offset1:1
	s_waitcnt lgkmcnt(0)
	v_cmp_neq_f64_e32 vcc_lo, 0, v[196:197]
	v_cmp_neq_f64_e64 s3, 0, v[198:199]
	s_delay_alu instid0(VALU_DEP_1) | instskip(NEXT) | instid1(SALU_CYCLE_1)
	s_or_b32 s3, vcc_lo, s3
	s_and_b32 exec_lo, exec_lo, s3
	s_cbranch_execz .LBB97_215
; %bb.210:
	v_cmp_gt_f64_e32 vcc_lo, 0, v[196:197]
	v_xor_b32_e32 v200, 0x80000000, v197
	v_xor_b32_e32 v202, 0x80000000, v199
	s_mov_b32 s3, exec_lo
                                        ; implicit-def: $vgpr204_vgpr205
	s_delay_alu instid0(VALU_DEP_2) | instskip(SKIP_4) | instid1(VALU_DEP_1)
	v_cndmask_b32_e32 v201, v197, v200, vcc_lo
	v_cndmask_b32_e32 v200, v196, v196, vcc_lo
	v_cmp_gt_f64_e32 vcc_lo, 0, v[198:199]
	v_cndmask_b32_e32 v203, v199, v202, vcc_lo
	v_cndmask_b32_e32 v202, v198, v198, vcc_lo
	v_cmpx_ngt_f64_e32 v[200:201], v[202:203]
	s_xor_b32 s3, exec_lo, s3
                                        ; implicit-def: $vgpr200_vgpr201_vgpr202_vgpr203
	s_cbranch_execz .LBB97_212
; %bb.211:
	v_div_scale_f64 v[200:201], null, v[198:199], v[198:199], v[196:197]
	v_div_scale_f64 v[206:207], vcc_lo, v[196:197], v[198:199], v[196:197]
	s_delay_alu instid0(VALU_DEP_2) | instskip(SKIP_2) | instid1(VALU_DEP_1)
	v_rcp_f64_e32 v[202:203], v[200:201]
	s_waitcnt_depctr 0xfff
	v_fma_f64 v[204:205], -v[200:201], v[202:203], 1.0
	v_fma_f64 v[202:203], v[202:203], v[204:205], v[202:203]
	s_delay_alu instid0(VALU_DEP_1) | instskip(NEXT) | instid1(VALU_DEP_1)
	v_fma_f64 v[204:205], -v[200:201], v[202:203], 1.0
	v_fma_f64 v[202:203], v[202:203], v[204:205], v[202:203]
	s_delay_alu instid0(VALU_DEP_1) | instskip(NEXT) | instid1(VALU_DEP_1)
	v_mul_f64 v[204:205], v[206:207], v[202:203]
	v_fma_f64 v[200:201], -v[200:201], v[204:205], v[206:207]
	s_delay_alu instid0(VALU_DEP_1) | instskip(NEXT) | instid1(VALU_DEP_1)
	v_div_fmas_f64 v[200:201], v[200:201], v[202:203], v[204:205]
	v_div_fixup_f64 v[200:201], v[200:201], v[198:199], v[196:197]
	s_delay_alu instid0(VALU_DEP_1) | instskip(NEXT) | instid1(VALU_DEP_1)
	v_fma_f64 v[196:197], v[196:197], v[200:201], v[198:199]
	v_div_scale_f64 v[198:199], null, v[196:197], v[196:197], 1.0
	s_delay_alu instid0(VALU_DEP_1) | instskip(SKIP_2) | instid1(VALU_DEP_1)
	v_rcp_f64_e32 v[202:203], v[198:199]
	s_waitcnt_depctr 0xfff
	v_fma_f64 v[204:205], -v[198:199], v[202:203], 1.0
	v_fma_f64 v[202:203], v[202:203], v[204:205], v[202:203]
	s_delay_alu instid0(VALU_DEP_1) | instskip(NEXT) | instid1(VALU_DEP_1)
	v_fma_f64 v[204:205], -v[198:199], v[202:203], 1.0
	v_fma_f64 v[202:203], v[202:203], v[204:205], v[202:203]
	v_div_scale_f64 v[204:205], vcc_lo, 1.0, v[196:197], 1.0
	s_delay_alu instid0(VALU_DEP_1) | instskip(NEXT) | instid1(VALU_DEP_1)
	v_mul_f64 v[206:207], v[204:205], v[202:203]
	v_fma_f64 v[198:199], -v[198:199], v[206:207], v[204:205]
	s_delay_alu instid0(VALU_DEP_1) | instskip(NEXT) | instid1(VALU_DEP_1)
	v_div_fmas_f64 v[198:199], v[198:199], v[202:203], v[206:207]
	v_div_fixup_f64 v[202:203], v[198:199], v[196:197], 1.0
                                        ; implicit-def: $vgpr196_vgpr197
	s_delay_alu instid0(VALU_DEP_1)
	v_mul_f64 v[204:205], v[200:201], v[202:203]
	v_xor_b32_e32 v203, 0x80000000, v203
.LBB97_212:
	s_and_not1_saveexec_b32 s3, s3
	s_cbranch_execz .LBB97_214
; %bb.213:
	v_div_scale_f64 v[200:201], null, v[196:197], v[196:197], v[198:199]
	v_div_scale_f64 v[206:207], vcc_lo, v[198:199], v[196:197], v[198:199]
	s_delay_alu instid0(VALU_DEP_2) | instskip(SKIP_2) | instid1(VALU_DEP_1)
	v_rcp_f64_e32 v[202:203], v[200:201]
	s_waitcnt_depctr 0xfff
	v_fma_f64 v[204:205], -v[200:201], v[202:203], 1.0
	v_fma_f64 v[202:203], v[202:203], v[204:205], v[202:203]
	s_delay_alu instid0(VALU_DEP_1) | instskip(NEXT) | instid1(VALU_DEP_1)
	v_fma_f64 v[204:205], -v[200:201], v[202:203], 1.0
	v_fma_f64 v[202:203], v[202:203], v[204:205], v[202:203]
	s_delay_alu instid0(VALU_DEP_1) | instskip(NEXT) | instid1(VALU_DEP_1)
	v_mul_f64 v[204:205], v[206:207], v[202:203]
	v_fma_f64 v[200:201], -v[200:201], v[204:205], v[206:207]
	s_delay_alu instid0(VALU_DEP_1) | instskip(NEXT) | instid1(VALU_DEP_1)
	v_div_fmas_f64 v[200:201], v[200:201], v[202:203], v[204:205]
	v_div_fixup_f64 v[200:201], v[200:201], v[196:197], v[198:199]
	s_delay_alu instid0(VALU_DEP_1) | instskip(NEXT) | instid1(VALU_DEP_1)
	v_fma_f64 v[196:197], v[198:199], v[200:201], v[196:197]
	v_div_scale_f64 v[198:199], null, v[196:197], v[196:197], 1.0
	s_delay_alu instid0(VALU_DEP_1) | instskip(SKIP_2) | instid1(VALU_DEP_1)
	v_rcp_f64_e32 v[202:203], v[198:199]
	s_waitcnt_depctr 0xfff
	v_fma_f64 v[204:205], -v[198:199], v[202:203], 1.0
	v_fma_f64 v[202:203], v[202:203], v[204:205], v[202:203]
	s_delay_alu instid0(VALU_DEP_1) | instskip(NEXT) | instid1(VALU_DEP_1)
	v_fma_f64 v[204:205], -v[198:199], v[202:203], 1.0
	v_fma_f64 v[202:203], v[202:203], v[204:205], v[202:203]
	v_div_scale_f64 v[204:205], vcc_lo, 1.0, v[196:197], 1.0
	s_delay_alu instid0(VALU_DEP_1) | instskip(NEXT) | instid1(VALU_DEP_1)
	v_mul_f64 v[206:207], v[204:205], v[202:203]
	v_fma_f64 v[198:199], -v[198:199], v[206:207], v[204:205]
	s_delay_alu instid0(VALU_DEP_1) | instskip(NEXT) | instid1(VALU_DEP_1)
	v_div_fmas_f64 v[198:199], v[198:199], v[202:203], v[206:207]
	v_div_fixup_f64 v[204:205], v[198:199], v[196:197], 1.0
	s_delay_alu instid0(VALU_DEP_1)
	v_mul_f64 v[202:203], v[200:201], -v[204:205]
.LBB97_214:
	s_or_b32 exec_lo, exec_lo, s3
	ds_store_2addr_b64 v215, v[204:205], v[202:203] offset1:1
.LBB97_215:
	s_or_b32 exec_lo, exec_lo, s4
	s_waitcnt lgkmcnt(0)
	s_barrier
	buffer_gl0_inv
	ds_load_2addr_b64 v[196:199], v215 offset1:1
	s_mov_b32 s3, exec_lo
	s_waitcnt lgkmcnt(0)
	scratch_store_b128 off, v[196:199], off offset:720 ; 16-byte Folded Spill
	v_cmpx_lt_u32_e32 23, v214
	s_cbranch_execz .LBB97_217
; %bb.216:
	scratch_load_b128 v[198:201], off, off offset:720 ; 16-byte Folded Reload
	s_waitcnt vmcnt(0)
	v_mul_f64 v[196:197], v[200:201], v[102:103]
	v_mul_f64 v[102:103], v[198:199], v[102:103]
	s_delay_alu instid0(VALU_DEP_2) | instskip(NEXT) | instid1(VALU_DEP_2)
	v_fma_f64 v[196:197], v[198:199], v[100:101], -v[196:197]
	v_fma_f64 v[102:103], v[200:201], v[100:101], v[102:103]
	ds_load_2addr_b64 v[198:201], v216 offset0:48 offset1:49
	s_waitcnt lgkmcnt(0)
	v_mul_f64 v[100:101], v[200:201], v[102:103]
	s_delay_alu instid0(VALU_DEP_1) | instskip(SKIP_1) | instid1(VALU_DEP_2)
	v_fma_f64 v[100:101], v[198:199], v[196:197], -v[100:101]
	v_mul_f64 v[198:199], v[198:199], v[102:103]
	v_add_f64 v[96:97], v[96:97], -v[100:101]
	s_delay_alu instid0(VALU_DEP_2) | instskip(NEXT) | instid1(VALU_DEP_1)
	v_fma_f64 v[198:199], v[200:201], v[196:197], v[198:199]
	v_add_f64 v[98:99], v[98:99], -v[198:199]
	ds_load_2addr_b64 v[198:201], v216 offset0:50 offset1:51
	s_waitcnt lgkmcnt(0)
	v_mul_f64 v[100:101], v[200:201], v[102:103]
	s_delay_alu instid0(VALU_DEP_1) | instskip(SKIP_1) | instid1(VALU_DEP_2)
	v_fma_f64 v[100:101], v[198:199], v[196:197], -v[100:101]
	v_mul_f64 v[198:199], v[198:199], v[102:103]
	v_add_f64 v[92:93], v[92:93], -v[100:101]
	s_delay_alu instid0(VALU_DEP_2) | instskip(NEXT) | instid1(VALU_DEP_1)
	v_fma_f64 v[198:199], v[200:201], v[196:197], v[198:199]
	v_add_f64 v[94:95], v[94:95], -v[198:199]
	ds_load_2addr_b64 v[198:201], v216 offset0:52 offset1:53
	s_waitcnt lgkmcnt(0)
	v_mul_f64 v[100:101], v[200:201], v[102:103]
	s_delay_alu instid0(VALU_DEP_1) | instskip(SKIP_1) | instid1(VALU_DEP_2)
	v_fma_f64 v[100:101], v[198:199], v[196:197], -v[100:101]
	v_mul_f64 v[198:199], v[198:199], v[102:103]
	v_add_f64 v[88:89], v[88:89], -v[100:101]
	s_delay_alu instid0(VALU_DEP_2) | instskip(NEXT) | instid1(VALU_DEP_1)
	v_fma_f64 v[198:199], v[200:201], v[196:197], v[198:199]
	v_add_f64 v[90:91], v[90:91], -v[198:199]
	ds_load_2addr_b64 v[198:201], v216 offset0:54 offset1:55
	s_waitcnt lgkmcnt(0)
	v_mul_f64 v[100:101], v[200:201], v[102:103]
	s_delay_alu instid0(VALU_DEP_1) | instskip(SKIP_1) | instid1(VALU_DEP_2)
	v_fma_f64 v[100:101], v[198:199], v[196:197], -v[100:101]
	v_mul_f64 v[198:199], v[198:199], v[102:103]
	v_add_f64 v[84:85], v[84:85], -v[100:101]
	s_delay_alu instid0(VALU_DEP_2) | instskip(NEXT) | instid1(VALU_DEP_1)
	v_fma_f64 v[198:199], v[200:201], v[196:197], v[198:199]
	v_add_f64 v[86:87], v[86:87], -v[198:199]
	ds_load_2addr_b64 v[198:201], v216 offset0:56 offset1:57
	s_waitcnt lgkmcnt(0)
	v_mul_f64 v[100:101], v[200:201], v[102:103]
	s_delay_alu instid0(VALU_DEP_1) | instskip(SKIP_1) | instid1(VALU_DEP_2)
	v_fma_f64 v[100:101], v[198:199], v[196:197], -v[100:101]
	v_mul_f64 v[198:199], v[198:199], v[102:103]
	v_add_f64 v[80:81], v[80:81], -v[100:101]
	s_delay_alu instid0(VALU_DEP_2) | instskip(NEXT) | instid1(VALU_DEP_1)
	v_fma_f64 v[198:199], v[200:201], v[196:197], v[198:199]
	v_add_f64 v[82:83], v[82:83], -v[198:199]
	ds_load_2addr_b64 v[198:201], v216 offset0:58 offset1:59
	s_waitcnt lgkmcnt(0)
	v_mul_f64 v[100:101], v[200:201], v[102:103]
	s_delay_alu instid0(VALU_DEP_1) | instskip(SKIP_1) | instid1(VALU_DEP_2)
	v_fma_f64 v[100:101], v[198:199], v[196:197], -v[100:101]
	v_mul_f64 v[198:199], v[198:199], v[102:103]
	v_add_f64 v[76:77], v[76:77], -v[100:101]
	s_delay_alu instid0(VALU_DEP_2) | instskip(NEXT) | instid1(VALU_DEP_1)
	v_fma_f64 v[198:199], v[200:201], v[196:197], v[198:199]
	v_add_f64 v[78:79], v[78:79], -v[198:199]
	ds_load_2addr_b64 v[198:201], v216 offset0:60 offset1:61
	s_waitcnt lgkmcnt(0)
	v_mul_f64 v[100:101], v[200:201], v[102:103]
	s_delay_alu instid0(VALU_DEP_1) | instskip(SKIP_1) | instid1(VALU_DEP_2)
	v_fma_f64 v[100:101], v[198:199], v[196:197], -v[100:101]
	v_mul_f64 v[198:199], v[198:199], v[102:103]
	v_add_f64 v[72:73], v[72:73], -v[100:101]
	s_delay_alu instid0(VALU_DEP_2) | instskip(NEXT) | instid1(VALU_DEP_1)
	v_fma_f64 v[198:199], v[200:201], v[196:197], v[198:199]
	v_add_f64 v[74:75], v[74:75], -v[198:199]
	ds_load_2addr_b64 v[198:201], v216 offset0:62 offset1:63
	s_waitcnt lgkmcnt(0)
	v_mul_f64 v[100:101], v[200:201], v[102:103]
	s_delay_alu instid0(VALU_DEP_1) | instskip(SKIP_1) | instid1(VALU_DEP_2)
	v_fma_f64 v[100:101], v[198:199], v[196:197], -v[100:101]
	v_mul_f64 v[198:199], v[198:199], v[102:103]
	v_add_f64 v[68:69], v[68:69], -v[100:101]
	s_delay_alu instid0(VALU_DEP_2) | instskip(NEXT) | instid1(VALU_DEP_1)
	v_fma_f64 v[198:199], v[200:201], v[196:197], v[198:199]
	v_add_f64 v[70:71], v[70:71], -v[198:199]
	ds_load_2addr_b64 v[198:201], v216 offset0:64 offset1:65
	s_waitcnt lgkmcnt(0)
	v_mul_f64 v[100:101], v[200:201], v[102:103]
	s_delay_alu instid0(VALU_DEP_1) | instskip(SKIP_1) | instid1(VALU_DEP_2)
	v_fma_f64 v[100:101], v[198:199], v[196:197], -v[100:101]
	v_mul_f64 v[198:199], v[198:199], v[102:103]
	v_add_f64 v[64:65], v[64:65], -v[100:101]
	s_delay_alu instid0(VALU_DEP_2) | instskip(NEXT) | instid1(VALU_DEP_1)
	v_fma_f64 v[198:199], v[200:201], v[196:197], v[198:199]
	v_add_f64 v[66:67], v[66:67], -v[198:199]
	ds_load_2addr_b64 v[198:201], v216 offset0:66 offset1:67
	s_waitcnt lgkmcnt(0)
	v_mul_f64 v[100:101], v[200:201], v[102:103]
	s_delay_alu instid0(VALU_DEP_1) | instskip(SKIP_1) | instid1(VALU_DEP_2)
	v_fma_f64 v[100:101], v[198:199], v[196:197], -v[100:101]
	v_mul_f64 v[198:199], v[198:199], v[102:103]
	v_add_f64 v[60:61], v[60:61], -v[100:101]
	s_delay_alu instid0(VALU_DEP_2) | instskip(NEXT) | instid1(VALU_DEP_1)
	v_fma_f64 v[198:199], v[200:201], v[196:197], v[198:199]
	v_add_f64 v[62:63], v[62:63], -v[198:199]
	ds_load_2addr_b64 v[198:201], v216 offset0:68 offset1:69
	s_waitcnt lgkmcnt(0)
	v_mul_f64 v[100:101], v[200:201], v[102:103]
	s_delay_alu instid0(VALU_DEP_1) | instskip(SKIP_1) | instid1(VALU_DEP_2)
	v_fma_f64 v[100:101], v[198:199], v[196:197], -v[100:101]
	v_mul_f64 v[198:199], v[198:199], v[102:103]
	v_add_f64 v[56:57], v[56:57], -v[100:101]
	s_delay_alu instid0(VALU_DEP_2) | instskip(NEXT) | instid1(VALU_DEP_1)
	v_fma_f64 v[198:199], v[200:201], v[196:197], v[198:199]
	v_add_f64 v[58:59], v[58:59], -v[198:199]
	ds_load_2addr_b64 v[198:201], v216 offset0:70 offset1:71
	s_waitcnt lgkmcnt(0)
	v_mul_f64 v[100:101], v[200:201], v[102:103]
	s_delay_alu instid0(VALU_DEP_1) | instskip(SKIP_1) | instid1(VALU_DEP_2)
	v_fma_f64 v[100:101], v[198:199], v[196:197], -v[100:101]
	v_mul_f64 v[198:199], v[198:199], v[102:103]
	v_add_f64 v[52:53], v[52:53], -v[100:101]
	s_delay_alu instid0(VALU_DEP_2) | instskip(NEXT) | instid1(VALU_DEP_1)
	v_fma_f64 v[198:199], v[200:201], v[196:197], v[198:199]
	v_add_f64 v[54:55], v[54:55], -v[198:199]
	ds_load_2addr_b64 v[198:201], v216 offset0:72 offset1:73
	s_waitcnt lgkmcnt(0)
	v_mul_f64 v[100:101], v[200:201], v[102:103]
	s_delay_alu instid0(VALU_DEP_1) | instskip(SKIP_1) | instid1(VALU_DEP_2)
	v_fma_f64 v[100:101], v[198:199], v[196:197], -v[100:101]
	v_mul_f64 v[198:199], v[198:199], v[102:103]
	v_add_f64 v[48:49], v[48:49], -v[100:101]
	s_delay_alu instid0(VALU_DEP_2) | instskip(NEXT) | instid1(VALU_DEP_1)
	v_fma_f64 v[198:199], v[200:201], v[196:197], v[198:199]
	v_add_f64 v[50:51], v[50:51], -v[198:199]
	ds_load_2addr_b64 v[198:201], v216 offset0:74 offset1:75
	s_waitcnt lgkmcnt(0)
	v_mul_f64 v[100:101], v[200:201], v[102:103]
	s_delay_alu instid0(VALU_DEP_1) | instskip(SKIP_1) | instid1(VALU_DEP_2)
	v_fma_f64 v[100:101], v[198:199], v[196:197], -v[100:101]
	v_mul_f64 v[198:199], v[198:199], v[102:103]
	v_add_f64 v[44:45], v[44:45], -v[100:101]
	s_delay_alu instid0(VALU_DEP_2) | instskip(NEXT) | instid1(VALU_DEP_1)
	v_fma_f64 v[198:199], v[200:201], v[196:197], v[198:199]
	v_add_f64 v[46:47], v[46:47], -v[198:199]
	ds_load_2addr_b64 v[198:201], v216 offset0:76 offset1:77
	s_waitcnt lgkmcnt(0)
	v_mul_f64 v[100:101], v[200:201], v[102:103]
	s_delay_alu instid0(VALU_DEP_1) | instskip(SKIP_1) | instid1(VALU_DEP_2)
	v_fma_f64 v[100:101], v[198:199], v[196:197], -v[100:101]
	v_mul_f64 v[198:199], v[198:199], v[102:103]
	v_add_f64 v[40:41], v[40:41], -v[100:101]
	s_delay_alu instid0(VALU_DEP_2) | instskip(NEXT) | instid1(VALU_DEP_1)
	v_fma_f64 v[198:199], v[200:201], v[196:197], v[198:199]
	v_add_f64 v[42:43], v[42:43], -v[198:199]
	ds_load_2addr_b64 v[198:201], v216 offset0:78 offset1:79
	s_waitcnt lgkmcnt(0)
	v_mul_f64 v[100:101], v[200:201], v[102:103]
	s_delay_alu instid0(VALU_DEP_1) | instskip(SKIP_1) | instid1(VALU_DEP_2)
	v_fma_f64 v[100:101], v[198:199], v[196:197], -v[100:101]
	v_mul_f64 v[198:199], v[198:199], v[102:103]
	v_add_f64 v[36:37], v[36:37], -v[100:101]
	s_delay_alu instid0(VALU_DEP_2) | instskip(NEXT) | instid1(VALU_DEP_1)
	v_fma_f64 v[198:199], v[200:201], v[196:197], v[198:199]
	v_add_f64 v[38:39], v[38:39], -v[198:199]
	ds_load_2addr_b64 v[198:201], v216 offset0:80 offset1:81
	s_waitcnt lgkmcnt(0)
	v_mul_f64 v[100:101], v[200:201], v[102:103]
	s_delay_alu instid0(VALU_DEP_1) | instskip(SKIP_1) | instid1(VALU_DEP_2)
	v_fma_f64 v[100:101], v[198:199], v[196:197], -v[100:101]
	v_mul_f64 v[198:199], v[198:199], v[102:103]
	v_add_f64 v[32:33], v[32:33], -v[100:101]
	s_delay_alu instid0(VALU_DEP_2) | instskip(NEXT) | instid1(VALU_DEP_1)
	v_fma_f64 v[198:199], v[200:201], v[196:197], v[198:199]
	v_add_f64 v[34:35], v[34:35], -v[198:199]
	ds_load_2addr_b64 v[198:201], v216 offset0:82 offset1:83
	s_waitcnt lgkmcnt(0)
	v_mul_f64 v[100:101], v[200:201], v[102:103]
	s_delay_alu instid0(VALU_DEP_1) | instskip(SKIP_1) | instid1(VALU_DEP_2)
	v_fma_f64 v[100:101], v[198:199], v[196:197], -v[100:101]
	v_mul_f64 v[198:199], v[198:199], v[102:103]
	v_add_f64 v[28:29], v[28:29], -v[100:101]
	s_delay_alu instid0(VALU_DEP_2) | instskip(NEXT) | instid1(VALU_DEP_1)
	v_fma_f64 v[198:199], v[200:201], v[196:197], v[198:199]
	v_add_f64 v[30:31], v[30:31], -v[198:199]
	ds_load_2addr_b64 v[198:201], v216 offset0:84 offset1:85
	s_waitcnt lgkmcnt(0)
	v_mul_f64 v[100:101], v[200:201], v[102:103]
	s_delay_alu instid0(VALU_DEP_1) | instskip(SKIP_1) | instid1(VALU_DEP_2)
	v_fma_f64 v[100:101], v[198:199], v[196:197], -v[100:101]
	v_mul_f64 v[198:199], v[198:199], v[102:103]
	v_add_f64 v[24:25], v[24:25], -v[100:101]
	s_delay_alu instid0(VALU_DEP_2) | instskip(NEXT) | instid1(VALU_DEP_1)
	v_fma_f64 v[198:199], v[200:201], v[196:197], v[198:199]
	v_add_f64 v[26:27], v[26:27], -v[198:199]
	ds_load_2addr_b64 v[198:201], v216 offset0:86 offset1:87
	s_waitcnt lgkmcnt(0)
	v_mul_f64 v[100:101], v[200:201], v[102:103]
	s_delay_alu instid0(VALU_DEP_1) | instskip(SKIP_1) | instid1(VALU_DEP_2)
	v_fma_f64 v[100:101], v[198:199], v[196:197], -v[100:101]
	v_mul_f64 v[198:199], v[198:199], v[102:103]
	v_add_f64 v[20:21], v[20:21], -v[100:101]
	s_delay_alu instid0(VALU_DEP_2) | instskip(NEXT) | instid1(VALU_DEP_1)
	v_fma_f64 v[198:199], v[200:201], v[196:197], v[198:199]
	v_add_f64 v[22:23], v[22:23], -v[198:199]
	ds_load_2addr_b64 v[198:201], v216 offset0:88 offset1:89
	s_waitcnt lgkmcnt(0)
	v_mul_f64 v[100:101], v[200:201], v[102:103]
	s_delay_alu instid0(VALU_DEP_1) | instskip(SKIP_1) | instid1(VALU_DEP_2)
	v_fma_f64 v[100:101], v[198:199], v[196:197], -v[100:101]
	v_mul_f64 v[198:199], v[198:199], v[102:103]
	v_add_f64 v[16:17], v[16:17], -v[100:101]
	s_delay_alu instid0(VALU_DEP_2) | instskip(NEXT) | instid1(VALU_DEP_1)
	v_fma_f64 v[198:199], v[200:201], v[196:197], v[198:199]
	v_add_f64 v[18:19], v[18:19], -v[198:199]
	ds_load_2addr_b64 v[198:201], v216 offset0:90 offset1:91
	s_waitcnt lgkmcnt(0)
	v_mul_f64 v[100:101], v[200:201], v[102:103]
	s_delay_alu instid0(VALU_DEP_1) | instskip(SKIP_1) | instid1(VALU_DEP_2)
	v_fma_f64 v[100:101], v[198:199], v[196:197], -v[100:101]
	v_mul_f64 v[198:199], v[198:199], v[102:103]
	v_add_f64 v[12:13], v[12:13], -v[100:101]
	s_delay_alu instid0(VALU_DEP_2) | instskip(NEXT) | instid1(VALU_DEP_1)
	v_fma_f64 v[198:199], v[200:201], v[196:197], v[198:199]
	v_add_f64 v[14:15], v[14:15], -v[198:199]
	ds_load_2addr_b64 v[198:201], v216 offset0:92 offset1:93
	s_waitcnt lgkmcnt(0)
	v_mul_f64 v[100:101], v[200:201], v[102:103]
	s_delay_alu instid0(VALU_DEP_1) | instskip(SKIP_1) | instid1(VALU_DEP_2)
	v_fma_f64 v[100:101], v[198:199], v[196:197], -v[100:101]
	v_mul_f64 v[198:199], v[198:199], v[102:103]
	v_add_f64 v[8:9], v[8:9], -v[100:101]
	s_delay_alu instid0(VALU_DEP_2) | instskip(NEXT) | instid1(VALU_DEP_1)
	v_fma_f64 v[198:199], v[200:201], v[196:197], v[198:199]
	v_add_f64 v[10:11], v[10:11], -v[198:199]
	ds_load_2addr_b64 v[198:201], v216 offset0:94 offset1:95
	s_waitcnt lgkmcnt(0)
	v_mul_f64 v[100:101], v[200:201], v[102:103]
	s_delay_alu instid0(VALU_DEP_1) | instskip(SKIP_1) | instid1(VALU_DEP_2)
	v_fma_f64 v[100:101], v[198:199], v[196:197], -v[100:101]
	v_mul_f64 v[198:199], v[198:199], v[102:103]
	v_add_f64 v[4:5], v[4:5], -v[100:101]
	s_delay_alu instid0(VALU_DEP_2) | instskip(NEXT) | instid1(VALU_DEP_1)
	v_fma_f64 v[198:199], v[200:201], v[196:197], v[198:199]
	v_add_f64 v[6:7], v[6:7], -v[198:199]
	ds_load_2addr_b64 v[198:201], v216 offset0:96 offset1:97
	s_waitcnt lgkmcnt(0)
	v_mul_f64 v[100:101], v[200:201], v[102:103]
	s_delay_alu instid0(VALU_DEP_1) | instskip(SKIP_1) | instid1(VALU_DEP_2)
	v_fma_f64 v[100:101], v[198:199], v[196:197], -v[100:101]
	v_mul_f64 v[198:199], v[198:199], v[102:103]
	v_add_f64 v[0:1], v[0:1], -v[100:101]
	s_delay_alu instid0(VALU_DEP_2) | instskip(SKIP_1) | instid1(VALU_DEP_2)
	v_fma_f64 v[198:199], v[200:201], v[196:197], v[198:199]
	v_dual_mov_b32 v100, v196 :: v_dual_mov_b32 v101, v197
	v_add_f64 v[2:3], v[2:3], -v[198:199]
.LBB97_217:
	s_or_b32 exec_lo, exec_lo, s3
	s_delay_alu instid0(SALU_CYCLE_1)
	s_mov_b32 s4, exec_lo
	s_waitcnt_vscnt null, 0x0
	s_barrier
	buffer_gl0_inv
	v_cmpx_eq_u32_e32 24, v214
	s_cbranch_execz .LBB97_224
; %bb.218:
	ds_store_2addr_b64 v215, v[96:97], v[98:99] offset1:1
	ds_store_2addr_b64 v216, v[92:93], v[94:95] offset0:50 offset1:51
	ds_store_2addr_b64 v216, v[88:89], v[90:91] offset0:52 offset1:53
	;; [unrolled: 1-line block ×24, first 2 shown]
	ds_load_2addr_b64 v[196:199], v215 offset1:1
	s_waitcnt lgkmcnt(0)
	v_cmp_neq_f64_e32 vcc_lo, 0, v[196:197]
	v_cmp_neq_f64_e64 s3, 0, v[198:199]
	s_delay_alu instid0(VALU_DEP_1) | instskip(NEXT) | instid1(SALU_CYCLE_1)
	s_or_b32 s3, vcc_lo, s3
	s_and_b32 exec_lo, exec_lo, s3
	s_cbranch_execz .LBB97_224
; %bb.219:
	v_cmp_gt_f64_e32 vcc_lo, 0, v[196:197]
	v_xor_b32_e32 v200, 0x80000000, v197
	v_xor_b32_e32 v202, 0x80000000, v199
	s_mov_b32 s3, exec_lo
                                        ; implicit-def: $vgpr204_vgpr205
	s_delay_alu instid0(VALU_DEP_2) | instskip(SKIP_4) | instid1(VALU_DEP_1)
	v_cndmask_b32_e32 v201, v197, v200, vcc_lo
	v_cndmask_b32_e32 v200, v196, v196, vcc_lo
	v_cmp_gt_f64_e32 vcc_lo, 0, v[198:199]
	v_cndmask_b32_e32 v203, v199, v202, vcc_lo
	v_cndmask_b32_e32 v202, v198, v198, vcc_lo
	v_cmpx_ngt_f64_e32 v[200:201], v[202:203]
	s_xor_b32 s3, exec_lo, s3
                                        ; implicit-def: $vgpr200_vgpr201_vgpr202_vgpr203
	s_cbranch_execz .LBB97_221
; %bb.220:
	v_div_scale_f64 v[200:201], null, v[198:199], v[198:199], v[196:197]
	v_div_scale_f64 v[206:207], vcc_lo, v[196:197], v[198:199], v[196:197]
	s_delay_alu instid0(VALU_DEP_2) | instskip(SKIP_2) | instid1(VALU_DEP_1)
	v_rcp_f64_e32 v[202:203], v[200:201]
	s_waitcnt_depctr 0xfff
	v_fma_f64 v[204:205], -v[200:201], v[202:203], 1.0
	v_fma_f64 v[202:203], v[202:203], v[204:205], v[202:203]
	s_delay_alu instid0(VALU_DEP_1) | instskip(NEXT) | instid1(VALU_DEP_1)
	v_fma_f64 v[204:205], -v[200:201], v[202:203], 1.0
	v_fma_f64 v[202:203], v[202:203], v[204:205], v[202:203]
	s_delay_alu instid0(VALU_DEP_1) | instskip(NEXT) | instid1(VALU_DEP_1)
	v_mul_f64 v[204:205], v[206:207], v[202:203]
	v_fma_f64 v[200:201], -v[200:201], v[204:205], v[206:207]
	s_delay_alu instid0(VALU_DEP_1) | instskip(NEXT) | instid1(VALU_DEP_1)
	v_div_fmas_f64 v[200:201], v[200:201], v[202:203], v[204:205]
	v_div_fixup_f64 v[200:201], v[200:201], v[198:199], v[196:197]
	s_delay_alu instid0(VALU_DEP_1) | instskip(NEXT) | instid1(VALU_DEP_1)
	v_fma_f64 v[196:197], v[196:197], v[200:201], v[198:199]
	v_div_scale_f64 v[198:199], null, v[196:197], v[196:197], 1.0
	s_delay_alu instid0(VALU_DEP_1) | instskip(SKIP_2) | instid1(VALU_DEP_1)
	v_rcp_f64_e32 v[202:203], v[198:199]
	s_waitcnt_depctr 0xfff
	v_fma_f64 v[204:205], -v[198:199], v[202:203], 1.0
	v_fma_f64 v[202:203], v[202:203], v[204:205], v[202:203]
	s_delay_alu instid0(VALU_DEP_1) | instskip(NEXT) | instid1(VALU_DEP_1)
	v_fma_f64 v[204:205], -v[198:199], v[202:203], 1.0
	v_fma_f64 v[202:203], v[202:203], v[204:205], v[202:203]
	v_div_scale_f64 v[204:205], vcc_lo, 1.0, v[196:197], 1.0
	s_delay_alu instid0(VALU_DEP_1) | instskip(NEXT) | instid1(VALU_DEP_1)
	v_mul_f64 v[206:207], v[204:205], v[202:203]
	v_fma_f64 v[198:199], -v[198:199], v[206:207], v[204:205]
	s_delay_alu instid0(VALU_DEP_1) | instskip(NEXT) | instid1(VALU_DEP_1)
	v_div_fmas_f64 v[198:199], v[198:199], v[202:203], v[206:207]
	v_div_fixup_f64 v[202:203], v[198:199], v[196:197], 1.0
                                        ; implicit-def: $vgpr196_vgpr197
	s_delay_alu instid0(VALU_DEP_1)
	v_mul_f64 v[204:205], v[200:201], v[202:203]
	v_xor_b32_e32 v203, 0x80000000, v203
.LBB97_221:
	s_and_not1_saveexec_b32 s3, s3
	s_cbranch_execz .LBB97_223
; %bb.222:
	v_div_scale_f64 v[200:201], null, v[196:197], v[196:197], v[198:199]
	v_div_scale_f64 v[206:207], vcc_lo, v[198:199], v[196:197], v[198:199]
	s_delay_alu instid0(VALU_DEP_2) | instskip(SKIP_2) | instid1(VALU_DEP_1)
	v_rcp_f64_e32 v[202:203], v[200:201]
	s_waitcnt_depctr 0xfff
	v_fma_f64 v[204:205], -v[200:201], v[202:203], 1.0
	v_fma_f64 v[202:203], v[202:203], v[204:205], v[202:203]
	s_delay_alu instid0(VALU_DEP_1) | instskip(NEXT) | instid1(VALU_DEP_1)
	v_fma_f64 v[204:205], -v[200:201], v[202:203], 1.0
	v_fma_f64 v[202:203], v[202:203], v[204:205], v[202:203]
	s_delay_alu instid0(VALU_DEP_1) | instskip(NEXT) | instid1(VALU_DEP_1)
	v_mul_f64 v[204:205], v[206:207], v[202:203]
	v_fma_f64 v[200:201], -v[200:201], v[204:205], v[206:207]
	s_delay_alu instid0(VALU_DEP_1) | instskip(NEXT) | instid1(VALU_DEP_1)
	v_div_fmas_f64 v[200:201], v[200:201], v[202:203], v[204:205]
	v_div_fixup_f64 v[200:201], v[200:201], v[196:197], v[198:199]
	s_delay_alu instid0(VALU_DEP_1) | instskip(NEXT) | instid1(VALU_DEP_1)
	v_fma_f64 v[196:197], v[198:199], v[200:201], v[196:197]
	v_div_scale_f64 v[198:199], null, v[196:197], v[196:197], 1.0
	s_delay_alu instid0(VALU_DEP_1) | instskip(SKIP_2) | instid1(VALU_DEP_1)
	v_rcp_f64_e32 v[202:203], v[198:199]
	s_waitcnt_depctr 0xfff
	v_fma_f64 v[204:205], -v[198:199], v[202:203], 1.0
	v_fma_f64 v[202:203], v[202:203], v[204:205], v[202:203]
	s_delay_alu instid0(VALU_DEP_1) | instskip(NEXT) | instid1(VALU_DEP_1)
	v_fma_f64 v[204:205], -v[198:199], v[202:203], 1.0
	v_fma_f64 v[202:203], v[202:203], v[204:205], v[202:203]
	v_div_scale_f64 v[204:205], vcc_lo, 1.0, v[196:197], 1.0
	s_delay_alu instid0(VALU_DEP_1) | instskip(NEXT) | instid1(VALU_DEP_1)
	v_mul_f64 v[206:207], v[204:205], v[202:203]
	v_fma_f64 v[198:199], -v[198:199], v[206:207], v[204:205]
	s_delay_alu instid0(VALU_DEP_1) | instskip(NEXT) | instid1(VALU_DEP_1)
	v_div_fmas_f64 v[198:199], v[198:199], v[202:203], v[206:207]
	v_div_fixup_f64 v[204:205], v[198:199], v[196:197], 1.0
	s_delay_alu instid0(VALU_DEP_1)
	v_mul_f64 v[202:203], v[200:201], -v[204:205]
.LBB97_223:
	s_or_b32 exec_lo, exec_lo, s3
	ds_store_2addr_b64 v215, v[204:205], v[202:203] offset1:1
.LBB97_224:
	s_or_b32 exec_lo, exec_lo, s4
	s_waitcnt lgkmcnt(0)
	s_barrier
	buffer_gl0_inv
	ds_load_2addr_b64 v[196:199], v215 offset1:1
	s_mov_b32 s3, exec_lo
	s_waitcnt lgkmcnt(0)
	scratch_store_b128 off, v[196:199], off offset:736 ; 16-byte Folded Spill
	v_cmpx_lt_u32_e32 24, v214
	s_cbranch_execz .LBB97_226
; %bb.225:
	scratch_load_b128 v[198:201], off, off offset:736 ; 16-byte Folded Reload
	s_waitcnt vmcnt(0)
	v_mul_f64 v[196:197], v[200:201], v[98:99]
	v_mul_f64 v[98:99], v[198:199], v[98:99]
	s_delay_alu instid0(VALU_DEP_2) | instskip(NEXT) | instid1(VALU_DEP_2)
	v_fma_f64 v[196:197], v[198:199], v[96:97], -v[196:197]
	v_fma_f64 v[98:99], v[200:201], v[96:97], v[98:99]
	ds_load_2addr_b64 v[198:201], v216 offset0:50 offset1:51
	s_waitcnt lgkmcnt(0)
	v_mul_f64 v[96:97], v[200:201], v[98:99]
	s_delay_alu instid0(VALU_DEP_1) | instskip(SKIP_1) | instid1(VALU_DEP_2)
	v_fma_f64 v[96:97], v[198:199], v[196:197], -v[96:97]
	v_mul_f64 v[198:199], v[198:199], v[98:99]
	v_add_f64 v[92:93], v[92:93], -v[96:97]
	s_delay_alu instid0(VALU_DEP_2) | instskip(NEXT) | instid1(VALU_DEP_1)
	v_fma_f64 v[198:199], v[200:201], v[196:197], v[198:199]
	v_add_f64 v[94:95], v[94:95], -v[198:199]
	ds_load_2addr_b64 v[198:201], v216 offset0:52 offset1:53
	s_waitcnt lgkmcnt(0)
	v_mul_f64 v[96:97], v[200:201], v[98:99]
	s_delay_alu instid0(VALU_DEP_1) | instskip(SKIP_1) | instid1(VALU_DEP_2)
	v_fma_f64 v[96:97], v[198:199], v[196:197], -v[96:97]
	v_mul_f64 v[198:199], v[198:199], v[98:99]
	v_add_f64 v[88:89], v[88:89], -v[96:97]
	s_delay_alu instid0(VALU_DEP_2) | instskip(NEXT) | instid1(VALU_DEP_1)
	v_fma_f64 v[198:199], v[200:201], v[196:197], v[198:199]
	v_add_f64 v[90:91], v[90:91], -v[198:199]
	;; [unrolled: 10-line block ×23, first 2 shown]
	ds_load_2addr_b64 v[198:201], v216 offset0:96 offset1:97
	s_waitcnt lgkmcnt(0)
	v_mul_f64 v[96:97], v[200:201], v[98:99]
	s_delay_alu instid0(VALU_DEP_1) | instskip(SKIP_1) | instid1(VALU_DEP_2)
	v_fma_f64 v[96:97], v[198:199], v[196:197], -v[96:97]
	v_mul_f64 v[198:199], v[198:199], v[98:99]
	v_add_f64 v[0:1], v[0:1], -v[96:97]
	s_delay_alu instid0(VALU_DEP_2) | instskip(SKIP_1) | instid1(VALU_DEP_2)
	v_fma_f64 v[198:199], v[200:201], v[196:197], v[198:199]
	v_dual_mov_b32 v96, v196 :: v_dual_mov_b32 v97, v197
	v_add_f64 v[2:3], v[2:3], -v[198:199]
.LBB97_226:
	s_or_b32 exec_lo, exec_lo, s3
	s_delay_alu instid0(SALU_CYCLE_1)
	s_mov_b32 s4, exec_lo
	s_waitcnt_vscnt null, 0x0
	s_barrier
	buffer_gl0_inv
	v_cmpx_eq_u32_e32 25, v214
	s_cbranch_execz .LBB97_233
; %bb.227:
	ds_store_2addr_b64 v215, v[92:93], v[94:95] offset1:1
	ds_store_2addr_b64 v216, v[88:89], v[90:91] offset0:52 offset1:53
	ds_store_2addr_b64 v216, v[84:85], v[86:87] offset0:54 offset1:55
	;; [unrolled: 1-line block ×23, first 2 shown]
	ds_load_2addr_b64 v[196:199], v215 offset1:1
	s_waitcnt lgkmcnt(0)
	v_cmp_neq_f64_e32 vcc_lo, 0, v[196:197]
	v_cmp_neq_f64_e64 s3, 0, v[198:199]
	s_delay_alu instid0(VALU_DEP_1) | instskip(NEXT) | instid1(SALU_CYCLE_1)
	s_or_b32 s3, vcc_lo, s3
	s_and_b32 exec_lo, exec_lo, s3
	s_cbranch_execz .LBB97_233
; %bb.228:
	v_cmp_gt_f64_e32 vcc_lo, 0, v[196:197]
	v_xor_b32_e32 v200, 0x80000000, v197
	v_xor_b32_e32 v202, 0x80000000, v199
	s_mov_b32 s3, exec_lo
                                        ; implicit-def: $vgpr204_vgpr205
	s_delay_alu instid0(VALU_DEP_2) | instskip(SKIP_4) | instid1(VALU_DEP_1)
	v_cndmask_b32_e32 v201, v197, v200, vcc_lo
	v_cndmask_b32_e32 v200, v196, v196, vcc_lo
	v_cmp_gt_f64_e32 vcc_lo, 0, v[198:199]
	v_cndmask_b32_e32 v203, v199, v202, vcc_lo
	v_cndmask_b32_e32 v202, v198, v198, vcc_lo
	v_cmpx_ngt_f64_e32 v[200:201], v[202:203]
	s_xor_b32 s3, exec_lo, s3
                                        ; implicit-def: $vgpr200_vgpr201_vgpr202_vgpr203
	s_cbranch_execz .LBB97_230
; %bb.229:
	v_div_scale_f64 v[200:201], null, v[198:199], v[198:199], v[196:197]
	v_div_scale_f64 v[206:207], vcc_lo, v[196:197], v[198:199], v[196:197]
	s_delay_alu instid0(VALU_DEP_2) | instskip(SKIP_2) | instid1(VALU_DEP_1)
	v_rcp_f64_e32 v[202:203], v[200:201]
	s_waitcnt_depctr 0xfff
	v_fma_f64 v[204:205], -v[200:201], v[202:203], 1.0
	v_fma_f64 v[202:203], v[202:203], v[204:205], v[202:203]
	s_delay_alu instid0(VALU_DEP_1) | instskip(NEXT) | instid1(VALU_DEP_1)
	v_fma_f64 v[204:205], -v[200:201], v[202:203], 1.0
	v_fma_f64 v[202:203], v[202:203], v[204:205], v[202:203]
	s_delay_alu instid0(VALU_DEP_1) | instskip(NEXT) | instid1(VALU_DEP_1)
	v_mul_f64 v[204:205], v[206:207], v[202:203]
	v_fma_f64 v[200:201], -v[200:201], v[204:205], v[206:207]
	s_delay_alu instid0(VALU_DEP_1) | instskip(NEXT) | instid1(VALU_DEP_1)
	v_div_fmas_f64 v[200:201], v[200:201], v[202:203], v[204:205]
	v_div_fixup_f64 v[200:201], v[200:201], v[198:199], v[196:197]
	s_delay_alu instid0(VALU_DEP_1) | instskip(NEXT) | instid1(VALU_DEP_1)
	v_fma_f64 v[196:197], v[196:197], v[200:201], v[198:199]
	v_div_scale_f64 v[198:199], null, v[196:197], v[196:197], 1.0
	s_delay_alu instid0(VALU_DEP_1) | instskip(SKIP_2) | instid1(VALU_DEP_1)
	v_rcp_f64_e32 v[202:203], v[198:199]
	s_waitcnt_depctr 0xfff
	v_fma_f64 v[204:205], -v[198:199], v[202:203], 1.0
	v_fma_f64 v[202:203], v[202:203], v[204:205], v[202:203]
	s_delay_alu instid0(VALU_DEP_1) | instskip(NEXT) | instid1(VALU_DEP_1)
	v_fma_f64 v[204:205], -v[198:199], v[202:203], 1.0
	v_fma_f64 v[202:203], v[202:203], v[204:205], v[202:203]
	v_div_scale_f64 v[204:205], vcc_lo, 1.0, v[196:197], 1.0
	s_delay_alu instid0(VALU_DEP_1) | instskip(NEXT) | instid1(VALU_DEP_1)
	v_mul_f64 v[206:207], v[204:205], v[202:203]
	v_fma_f64 v[198:199], -v[198:199], v[206:207], v[204:205]
	s_delay_alu instid0(VALU_DEP_1) | instskip(NEXT) | instid1(VALU_DEP_1)
	v_div_fmas_f64 v[198:199], v[198:199], v[202:203], v[206:207]
	v_div_fixup_f64 v[202:203], v[198:199], v[196:197], 1.0
                                        ; implicit-def: $vgpr196_vgpr197
	s_delay_alu instid0(VALU_DEP_1)
	v_mul_f64 v[204:205], v[200:201], v[202:203]
	v_xor_b32_e32 v203, 0x80000000, v203
.LBB97_230:
	s_and_not1_saveexec_b32 s3, s3
	s_cbranch_execz .LBB97_232
; %bb.231:
	v_div_scale_f64 v[200:201], null, v[196:197], v[196:197], v[198:199]
	v_div_scale_f64 v[206:207], vcc_lo, v[198:199], v[196:197], v[198:199]
	s_delay_alu instid0(VALU_DEP_2) | instskip(SKIP_2) | instid1(VALU_DEP_1)
	v_rcp_f64_e32 v[202:203], v[200:201]
	s_waitcnt_depctr 0xfff
	v_fma_f64 v[204:205], -v[200:201], v[202:203], 1.0
	v_fma_f64 v[202:203], v[202:203], v[204:205], v[202:203]
	s_delay_alu instid0(VALU_DEP_1) | instskip(NEXT) | instid1(VALU_DEP_1)
	v_fma_f64 v[204:205], -v[200:201], v[202:203], 1.0
	v_fma_f64 v[202:203], v[202:203], v[204:205], v[202:203]
	s_delay_alu instid0(VALU_DEP_1) | instskip(NEXT) | instid1(VALU_DEP_1)
	v_mul_f64 v[204:205], v[206:207], v[202:203]
	v_fma_f64 v[200:201], -v[200:201], v[204:205], v[206:207]
	s_delay_alu instid0(VALU_DEP_1) | instskip(NEXT) | instid1(VALU_DEP_1)
	v_div_fmas_f64 v[200:201], v[200:201], v[202:203], v[204:205]
	v_div_fixup_f64 v[200:201], v[200:201], v[196:197], v[198:199]
	s_delay_alu instid0(VALU_DEP_1) | instskip(NEXT) | instid1(VALU_DEP_1)
	v_fma_f64 v[196:197], v[198:199], v[200:201], v[196:197]
	v_div_scale_f64 v[198:199], null, v[196:197], v[196:197], 1.0
	s_delay_alu instid0(VALU_DEP_1) | instskip(SKIP_2) | instid1(VALU_DEP_1)
	v_rcp_f64_e32 v[202:203], v[198:199]
	s_waitcnt_depctr 0xfff
	v_fma_f64 v[204:205], -v[198:199], v[202:203], 1.0
	v_fma_f64 v[202:203], v[202:203], v[204:205], v[202:203]
	s_delay_alu instid0(VALU_DEP_1) | instskip(NEXT) | instid1(VALU_DEP_1)
	v_fma_f64 v[204:205], -v[198:199], v[202:203], 1.0
	v_fma_f64 v[202:203], v[202:203], v[204:205], v[202:203]
	v_div_scale_f64 v[204:205], vcc_lo, 1.0, v[196:197], 1.0
	s_delay_alu instid0(VALU_DEP_1) | instskip(NEXT) | instid1(VALU_DEP_1)
	v_mul_f64 v[206:207], v[204:205], v[202:203]
	v_fma_f64 v[198:199], -v[198:199], v[206:207], v[204:205]
	s_delay_alu instid0(VALU_DEP_1) | instskip(NEXT) | instid1(VALU_DEP_1)
	v_div_fmas_f64 v[198:199], v[198:199], v[202:203], v[206:207]
	v_div_fixup_f64 v[204:205], v[198:199], v[196:197], 1.0
	s_delay_alu instid0(VALU_DEP_1)
	v_mul_f64 v[202:203], v[200:201], -v[204:205]
.LBB97_232:
	s_or_b32 exec_lo, exec_lo, s3
	ds_store_2addr_b64 v215, v[204:205], v[202:203] offset1:1
.LBB97_233:
	s_or_b32 exec_lo, exec_lo, s4
	s_waitcnt lgkmcnt(0)
	s_barrier
	buffer_gl0_inv
	ds_load_2addr_b64 v[196:199], v215 offset1:1
	s_mov_b32 s3, exec_lo
	s_waitcnt lgkmcnt(0)
	scratch_store_b128 off, v[196:199], off offset:752 ; 16-byte Folded Spill
	v_cmpx_lt_u32_e32 25, v214
	s_cbranch_execz .LBB97_235
; %bb.234:
	scratch_load_b128 v[198:201], off, off offset:752 ; 16-byte Folded Reload
	s_waitcnt vmcnt(0)
	v_mul_f64 v[196:197], v[200:201], v[94:95]
	v_mul_f64 v[94:95], v[198:199], v[94:95]
	s_delay_alu instid0(VALU_DEP_2) | instskip(NEXT) | instid1(VALU_DEP_2)
	v_fma_f64 v[196:197], v[198:199], v[92:93], -v[196:197]
	v_fma_f64 v[94:95], v[200:201], v[92:93], v[94:95]
	ds_load_2addr_b64 v[198:201], v216 offset0:52 offset1:53
	s_waitcnt lgkmcnt(0)
	v_mul_f64 v[92:93], v[200:201], v[94:95]
	s_delay_alu instid0(VALU_DEP_1) | instskip(SKIP_1) | instid1(VALU_DEP_2)
	v_fma_f64 v[92:93], v[198:199], v[196:197], -v[92:93]
	v_mul_f64 v[198:199], v[198:199], v[94:95]
	v_add_f64 v[88:89], v[88:89], -v[92:93]
	s_delay_alu instid0(VALU_DEP_2) | instskip(NEXT) | instid1(VALU_DEP_1)
	v_fma_f64 v[198:199], v[200:201], v[196:197], v[198:199]
	v_add_f64 v[90:91], v[90:91], -v[198:199]
	ds_load_2addr_b64 v[198:201], v216 offset0:54 offset1:55
	s_waitcnt lgkmcnt(0)
	v_mul_f64 v[92:93], v[200:201], v[94:95]
	s_delay_alu instid0(VALU_DEP_1) | instskip(SKIP_1) | instid1(VALU_DEP_2)
	v_fma_f64 v[92:93], v[198:199], v[196:197], -v[92:93]
	v_mul_f64 v[198:199], v[198:199], v[94:95]
	v_add_f64 v[84:85], v[84:85], -v[92:93]
	s_delay_alu instid0(VALU_DEP_2) | instskip(NEXT) | instid1(VALU_DEP_1)
	v_fma_f64 v[198:199], v[200:201], v[196:197], v[198:199]
	v_add_f64 v[86:87], v[86:87], -v[198:199]
	ds_load_2addr_b64 v[198:201], v216 offset0:56 offset1:57
	s_waitcnt lgkmcnt(0)
	v_mul_f64 v[92:93], v[200:201], v[94:95]
	s_delay_alu instid0(VALU_DEP_1) | instskip(SKIP_1) | instid1(VALU_DEP_2)
	v_fma_f64 v[92:93], v[198:199], v[196:197], -v[92:93]
	v_mul_f64 v[198:199], v[198:199], v[94:95]
	v_add_f64 v[80:81], v[80:81], -v[92:93]
	s_delay_alu instid0(VALU_DEP_2) | instskip(NEXT) | instid1(VALU_DEP_1)
	v_fma_f64 v[198:199], v[200:201], v[196:197], v[198:199]
	v_add_f64 v[82:83], v[82:83], -v[198:199]
	ds_load_2addr_b64 v[198:201], v216 offset0:58 offset1:59
	s_waitcnt lgkmcnt(0)
	v_mul_f64 v[92:93], v[200:201], v[94:95]
	s_delay_alu instid0(VALU_DEP_1) | instskip(SKIP_1) | instid1(VALU_DEP_2)
	v_fma_f64 v[92:93], v[198:199], v[196:197], -v[92:93]
	v_mul_f64 v[198:199], v[198:199], v[94:95]
	v_add_f64 v[76:77], v[76:77], -v[92:93]
	s_delay_alu instid0(VALU_DEP_2) | instskip(NEXT) | instid1(VALU_DEP_1)
	v_fma_f64 v[198:199], v[200:201], v[196:197], v[198:199]
	v_add_f64 v[78:79], v[78:79], -v[198:199]
	ds_load_2addr_b64 v[198:201], v216 offset0:60 offset1:61
	s_waitcnt lgkmcnt(0)
	v_mul_f64 v[92:93], v[200:201], v[94:95]
	s_delay_alu instid0(VALU_DEP_1) | instskip(SKIP_1) | instid1(VALU_DEP_2)
	v_fma_f64 v[92:93], v[198:199], v[196:197], -v[92:93]
	v_mul_f64 v[198:199], v[198:199], v[94:95]
	v_add_f64 v[72:73], v[72:73], -v[92:93]
	s_delay_alu instid0(VALU_DEP_2) | instskip(NEXT) | instid1(VALU_DEP_1)
	v_fma_f64 v[198:199], v[200:201], v[196:197], v[198:199]
	v_add_f64 v[74:75], v[74:75], -v[198:199]
	ds_load_2addr_b64 v[198:201], v216 offset0:62 offset1:63
	s_waitcnt lgkmcnt(0)
	v_mul_f64 v[92:93], v[200:201], v[94:95]
	s_delay_alu instid0(VALU_DEP_1) | instskip(SKIP_1) | instid1(VALU_DEP_2)
	v_fma_f64 v[92:93], v[198:199], v[196:197], -v[92:93]
	v_mul_f64 v[198:199], v[198:199], v[94:95]
	v_add_f64 v[68:69], v[68:69], -v[92:93]
	s_delay_alu instid0(VALU_DEP_2) | instskip(NEXT) | instid1(VALU_DEP_1)
	v_fma_f64 v[198:199], v[200:201], v[196:197], v[198:199]
	v_add_f64 v[70:71], v[70:71], -v[198:199]
	ds_load_2addr_b64 v[198:201], v216 offset0:64 offset1:65
	s_waitcnt lgkmcnt(0)
	v_mul_f64 v[92:93], v[200:201], v[94:95]
	s_delay_alu instid0(VALU_DEP_1) | instskip(SKIP_1) | instid1(VALU_DEP_2)
	v_fma_f64 v[92:93], v[198:199], v[196:197], -v[92:93]
	v_mul_f64 v[198:199], v[198:199], v[94:95]
	v_add_f64 v[64:65], v[64:65], -v[92:93]
	s_delay_alu instid0(VALU_DEP_2) | instskip(NEXT) | instid1(VALU_DEP_1)
	v_fma_f64 v[198:199], v[200:201], v[196:197], v[198:199]
	v_add_f64 v[66:67], v[66:67], -v[198:199]
	ds_load_2addr_b64 v[198:201], v216 offset0:66 offset1:67
	s_waitcnt lgkmcnt(0)
	v_mul_f64 v[92:93], v[200:201], v[94:95]
	s_delay_alu instid0(VALU_DEP_1) | instskip(SKIP_1) | instid1(VALU_DEP_2)
	v_fma_f64 v[92:93], v[198:199], v[196:197], -v[92:93]
	v_mul_f64 v[198:199], v[198:199], v[94:95]
	v_add_f64 v[60:61], v[60:61], -v[92:93]
	s_delay_alu instid0(VALU_DEP_2) | instskip(NEXT) | instid1(VALU_DEP_1)
	v_fma_f64 v[198:199], v[200:201], v[196:197], v[198:199]
	v_add_f64 v[62:63], v[62:63], -v[198:199]
	ds_load_2addr_b64 v[198:201], v216 offset0:68 offset1:69
	s_waitcnt lgkmcnt(0)
	v_mul_f64 v[92:93], v[200:201], v[94:95]
	s_delay_alu instid0(VALU_DEP_1) | instskip(SKIP_1) | instid1(VALU_DEP_2)
	v_fma_f64 v[92:93], v[198:199], v[196:197], -v[92:93]
	v_mul_f64 v[198:199], v[198:199], v[94:95]
	v_add_f64 v[56:57], v[56:57], -v[92:93]
	s_delay_alu instid0(VALU_DEP_2) | instskip(NEXT) | instid1(VALU_DEP_1)
	v_fma_f64 v[198:199], v[200:201], v[196:197], v[198:199]
	v_add_f64 v[58:59], v[58:59], -v[198:199]
	ds_load_2addr_b64 v[198:201], v216 offset0:70 offset1:71
	s_waitcnt lgkmcnt(0)
	v_mul_f64 v[92:93], v[200:201], v[94:95]
	s_delay_alu instid0(VALU_DEP_1) | instskip(SKIP_1) | instid1(VALU_DEP_2)
	v_fma_f64 v[92:93], v[198:199], v[196:197], -v[92:93]
	v_mul_f64 v[198:199], v[198:199], v[94:95]
	v_add_f64 v[52:53], v[52:53], -v[92:93]
	s_delay_alu instid0(VALU_DEP_2) | instskip(NEXT) | instid1(VALU_DEP_1)
	v_fma_f64 v[198:199], v[200:201], v[196:197], v[198:199]
	v_add_f64 v[54:55], v[54:55], -v[198:199]
	ds_load_2addr_b64 v[198:201], v216 offset0:72 offset1:73
	s_waitcnt lgkmcnt(0)
	v_mul_f64 v[92:93], v[200:201], v[94:95]
	s_delay_alu instid0(VALU_DEP_1) | instskip(SKIP_1) | instid1(VALU_DEP_2)
	v_fma_f64 v[92:93], v[198:199], v[196:197], -v[92:93]
	v_mul_f64 v[198:199], v[198:199], v[94:95]
	v_add_f64 v[48:49], v[48:49], -v[92:93]
	s_delay_alu instid0(VALU_DEP_2) | instskip(NEXT) | instid1(VALU_DEP_1)
	v_fma_f64 v[198:199], v[200:201], v[196:197], v[198:199]
	v_add_f64 v[50:51], v[50:51], -v[198:199]
	ds_load_2addr_b64 v[198:201], v216 offset0:74 offset1:75
	s_waitcnt lgkmcnt(0)
	v_mul_f64 v[92:93], v[200:201], v[94:95]
	s_delay_alu instid0(VALU_DEP_1) | instskip(SKIP_1) | instid1(VALU_DEP_2)
	v_fma_f64 v[92:93], v[198:199], v[196:197], -v[92:93]
	v_mul_f64 v[198:199], v[198:199], v[94:95]
	v_add_f64 v[44:45], v[44:45], -v[92:93]
	s_delay_alu instid0(VALU_DEP_2) | instskip(NEXT) | instid1(VALU_DEP_1)
	v_fma_f64 v[198:199], v[200:201], v[196:197], v[198:199]
	v_add_f64 v[46:47], v[46:47], -v[198:199]
	ds_load_2addr_b64 v[198:201], v216 offset0:76 offset1:77
	s_waitcnt lgkmcnt(0)
	v_mul_f64 v[92:93], v[200:201], v[94:95]
	s_delay_alu instid0(VALU_DEP_1) | instskip(SKIP_1) | instid1(VALU_DEP_2)
	v_fma_f64 v[92:93], v[198:199], v[196:197], -v[92:93]
	v_mul_f64 v[198:199], v[198:199], v[94:95]
	v_add_f64 v[40:41], v[40:41], -v[92:93]
	s_delay_alu instid0(VALU_DEP_2) | instskip(NEXT) | instid1(VALU_DEP_1)
	v_fma_f64 v[198:199], v[200:201], v[196:197], v[198:199]
	v_add_f64 v[42:43], v[42:43], -v[198:199]
	ds_load_2addr_b64 v[198:201], v216 offset0:78 offset1:79
	s_waitcnt lgkmcnt(0)
	v_mul_f64 v[92:93], v[200:201], v[94:95]
	s_delay_alu instid0(VALU_DEP_1) | instskip(SKIP_1) | instid1(VALU_DEP_2)
	v_fma_f64 v[92:93], v[198:199], v[196:197], -v[92:93]
	v_mul_f64 v[198:199], v[198:199], v[94:95]
	v_add_f64 v[36:37], v[36:37], -v[92:93]
	s_delay_alu instid0(VALU_DEP_2) | instskip(NEXT) | instid1(VALU_DEP_1)
	v_fma_f64 v[198:199], v[200:201], v[196:197], v[198:199]
	v_add_f64 v[38:39], v[38:39], -v[198:199]
	ds_load_2addr_b64 v[198:201], v216 offset0:80 offset1:81
	s_waitcnt lgkmcnt(0)
	v_mul_f64 v[92:93], v[200:201], v[94:95]
	s_delay_alu instid0(VALU_DEP_1) | instskip(SKIP_1) | instid1(VALU_DEP_2)
	v_fma_f64 v[92:93], v[198:199], v[196:197], -v[92:93]
	v_mul_f64 v[198:199], v[198:199], v[94:95]
	v_add_f64 v[32:33], v[32:33], -v[92:93]
	s_delay_alu instid0(VALU_DEP_2) | instskip(NEXT) | instid1(VALU_DEP_1)
	v_fma_f64 v[198:199], v[200:201], v[196:197], v[198:199]
	v_add_f64 v[34:35], v[34:35], -v[198:199]
	ds_load_2addr_b64 v[198:201], v216 offset0:82 offset1:83
	s_waitcnt lgkmcnt(0)
	v_mul_f64 v[92:93], v[200:201], v[94:95]
	s_delay_alu instid0(VALU_DEP_1) | instskip(SKIP_1) | instid1(VALU_DEP_2)
	v_fma_f64 v[92:93], v[198:199], v[196:197], -v[92:93]
	v_mul_f64 v[198:199], v[198:199], v[94:95]
	v_add_f64 v[28:29], v[28:29], -v[92:93]
	s_delay_alu instid0(VALU_DEP_2) | instskip(NEXT) | instid1(VALU_DEP_1)
	v_fma_f64 v[198:199], v[200:201], v[196:197], v[198:199]
	v_add_f64 v[30:31], v[30:31], -v[198:199]
	ds_load_2addr_b64 v[198:201], v216 offset0:84 offset1:85
	s_waitcnt lgkmcnt(0)
	v_mul_f64 v[92:93], v[200:201], v[94:95]
	s_delay_alu instid0(VALU_DEP_1) | instskip(SKIP_1) | instid1(VALU_DEP_2)
	v_fma_f64 v[92:93], v[198:199], v[196:197], -v[92:93]
	v_mul_f64 v[198:199], v[198:199], v[94:95]
	v_add_f64 v[24:25], v[24:25], -v[92:93]
	s_delay_alu instid0(VALU_DEP_2) | instskip(NEXT) | instid1(VALU_DEP_1)
	v_fma_f64 v[198:199], v[200:201], v[196:197], v[198:199]
	v_add_f64 v[26:27], v[26:27], -v[198:199]
	ds_load_2addr_b64 v[198:201], v216 offset0:86 offset1:87
	s_waitcnt lgkmcnt(0)
	v_mul_f64 v[92:93], v[200:201], v[94:95]
	s_delay_alu instid0(VALU_DEP_1) | instskip(SKIP_1) | instid1(VALU_DEP_2)
	v_fma_f64 v[92:93], v[198:199], v[196:197], -v[92:93]
	v_mul_f64 v[198:199], v[198:199], v[94:95]
	v_add_f64 v[20:21], v[20:21], -v[92:93]
	s_delay_alu instid0(VALU_DEP_2) | instskip(NEXT) | instid1(VALU_DEP_1)
	v_fma_f64 v[198:199], v[200:201], v[196:197], v[198:199]
	v_add_f64 v[22:23], v[22:23], -v[198:199]
	ds_load_2addr_b64 v[198:201], v216 offset0:88 offset1:89
	s_waitcnt lgkmcnt(0)
	v_mul_f64 v[92:93], v[200:201], v[94:95]
	s_delay_alu instid0(VALU_DEP_1) | instskip(SKIP_1) | instid1(VALU_DEP_2)
	v_fma_f64 v[92:93], v[198:199], v[196:197], -v[92:93]
	v_mul_f64 v[198:199], v[198:199], v[94:95]
	v_add_f64 v[16:17], v[16:17], -v[92:93]
	s_delay_alu instid0(VALU_DEP_2) | instskip(NEXT) | instid1(VALU_DEP_1)
	v_fma_f64 v[198:199], v[200:201], v[196:197], v[198:199]
	v_add_f64 v[18:19], v[18:19], -v[198:199]
	ds_load_2addr_b64 v[198:201], v216 offset0:90 offset1:91
	s_waitcnt lgkmcnt(0)
	v_mul_f64 v[92:93], v[200:201], v[94:95]
	s_delay_alu instid0(VALU_DEP_1) | instskip(SKIP_1) | instid1(VALU_DEP_2)
	v_fma_f64 v[92:93], v[198:199], v[196:197], -v[92:93]
	v_mul_f64 v[198:199], v[198:199], v[94:95]
	v_add_f64 v[12:13], v[12:13], -v[92:93]
	s_delay_alu instid0(VALU_DEP_2) | instskip(NEXT) | instid1(VALU_DEP_1)
	v_fma_f64 v[198:199], v[200:201], v[196:197], v[198:199]
	v_add_f64 v[14:15], v[14:15], -v[198:199]
	ds_load_2addr_b64 v[198:201], v216 offset0:92 offset1:93
	s_waitcnt lgkmcnt(0)
	v_mul_f64 v[92:93], v[200:201], v[94:95]
	s_delay_alu instid0(VALU_DEP_1) | instskip(SKIP_1) | instid1(VALU_DEP_2)
	v_fma_f64 v[92:93], v[198:199], v[196:197], -v[92:93]
	v_mul_f64 v[198:199], v[198:199], v[94:95]
	v_add_f64 v[8:9], v[8:9], -v[92:93]
	s_delay_alu instid0(VALU_DEP_2) | instskip(NEXT) | instid1(VALU_DEP_1)
	v_fma_f64 v[198:199], v[200:201], v[196:197], v[198:199]
	v_add_f64 v[10:11], v[10:11], -v[198:199]
	ds_load_2addr_b64 v[198:201], v216 offset0:94 offset1:95
	s_waitcnt lgkmcnt(0)
	v_mul_f64 v[92:93], v[200:201], v[94:95]
	s_delay_alu instid0(VALU_DEP_1) | instskip(SKIP_1) | instid1(VALU_DEP_2)
	v_fma_f64 v[92:93], v[198:199], v[196:197], -v[92:93]
	v_mul_f64 v[198:199], v[198:199], v[94:95]
	v_add_f64 v[4:5], v[4:5], -v[92:93]
	s_delay_alu instid0(VALU_DEP_2) | instskip(NEXT) | instid1(VALU_DEP_1)
	v_fma_f64 v[198:199], v[200:201], v[196:197], v[198:199]
	v_add_f64 v[6:7], v[6:7], -v[198:199]
	ds_load_2addr_b64 v[198:201], v216 offset0:96 offset1:97
	s_waitcnt lgkmcnt(0)
	v_mul_f64 v[92:93], v[200:201], v[94:95]
	s_delay_alu instid0(VALU_DEP_1) | instskip(SKIP_1) | instid1(VALU_DEP_2)
	v_fma_f64 v[92:93], v[198:199], v[196:197], -v[92:93]
	v_mul_f64 v[198:199], v[198:199], v[94:95]
	v_add_f64 v[0:1], v[0:1], -v[92:93]
	s_delay_alu instid0(VALU_DEP_2) | instskip(SKIP_1) | instid1(VALU_DEP_2)
	v_fma_f64 v[198:199], v[200:201], v[196:197], v[198:199]
	v_dual_mov_b32 v92, v196 :: v_dual_mov_b32 v93, v197
	v_add_f64 v[2:3], v[2:3], -v[198:199]
.LBB97_235:
	s_or_b32 exec_lo, exec_lo, s3
	s_delay_alu instid0(SALU_CYCLE_1)
	s_mov_b32 s4, exec_lo
	s_waitcnt_vscnt null, 0x0
	s_barrier
	buffer_gl0_inv
	v_cmpx_eq_u32_e32 26, v214
	s_cbranch_execz .LBB97_242
; %bb.236:
	ds_store_2addr_b64 v215, v[88:89], v[90:91] offset1:1
	ds_store_2addr_b64 v216, v[84:85], v[86:87] offset0:54 offset1:55
	ds_store_2addr_b64 v216, v[80:81], v[82:83] offset0:56 offset1:57
	;; [unrolled: 1-line block ×22, first 2 shown]
	ds_load_2addr_b64 v[196:199], v215 offset1:1
	s_waitcnt lgkmcnt(0)
	v_cmp_neq_f64_e32 vcc_lo, 0, v[196:197]
	v_cmp_neq_f64_e64 s3, 0, v[198:199]
	s_delay_alu instid0(VALU_DEP_1) | instskip(NEXT) | instid1(SALU_CYCLE_1)
	s_or_b32 s3, vcc_lo, s3
	s_and_b32 exec_lo, exec_lo, s3
	s_cbranch_execz .LBB97_242
; %bb.237:
	v_cmp_gt_f64_e32 vcc_lo, 0, v[196:197]
	v_xor_b32_e32 v200, 0x80000000, v197
	v_xor_b32_e32 v202, 0x80000000, v199
	s_mov_b32 s3, exec_lo
                                        ; implicit-def: $vgpr204_vgpr205
	s_delay_alu instid0(VALU_DEP_2) | instskip(SKIP_4) | instid1(VALU_DEP_1)
	v_cndmask_b32_e32 v201, v197, v200, vcc_lo
	v_cndmask_b32_e32 v200, v196, v196, vcc_lo
	v_cmp_gt_f64_e32 vcc_lo, 0, v[198:199]
	v_cndmask_b32_e32 v203, v199, v202, vcc_lo
	v_cndmask_b32_e32 v202, v198, v198, vcc_lo
	v_cmpx_ngt_f64_e32 v[200:201], v[202:203]
	s_xor_b32 s3, exec_lo, s3
                                        ; implicit-def: $vgpr200_vgpr201_vgpr202_vgpr203
	s_cbranch_execz .LBB97_239
; %bb.238:
	v_div_scale_f64 v[200:201], null, v[198:199], v[198:199], v[196:197]
	v_div_scale_f64 v[206:207], vcc_lo, v[196:197], v[198:199], v[196:197]
	s_delay_alu instid0(VALU_DEP_2) | instskip(SKIP_2) | instid1(VALU_DEP_1)
	v_rcp_f64_e32 v[202:203], v[200:201]
	s_waitcnt_depctr 0xfff
	v_fma_f64 v[204:205], -v[200:201], v[202:203], 1.0
	v_fma_f64 v[202:203], v[202:203], v[204:205], v[202:203]
	s_delay_alu instid0(VALU_DEP_1) | instskip(NEXT) | instid1(VALU_DEP_1)
	v_fma_f64 v[204:205], -v[200:201], v[202:203], 1.0
	v_fma_f64 v[202:203], v[202:203], v[204:205], v[202:203]
	s_delay_alu instid0(VALU_DEP_1) | instskip(NEXT) | instid1(VALU_DEP_1)
	v_mul_f64 v[204:205], v[206:207], v[202:203]
	v_fma_f64 v[200:201], -v[200:201], v[204:205], v[206:207]
	s_delay_alu instid0(VALU_DEP_1) | instskip(NEXT) | instid1(VALU_DEP_1)
	v_div_fmas_f64 v[200:201], v[200:201], v[202:203], v[204:205]
	v_div_fixup_f64 v[200:201], v[200:201], v[198:199], v[196:197]
	s_delay_alu instid0(VALU_DEP_1) | instskip(NEXT) | instid1(VALU_DEP_1)
	v_fma_f64 v[196:197], v[196:197], v[200:201], v[198:199]
	v_div_scale_f64 v[198:199], null, v[196:197], v[196:197], 1.0
	s_delay_alu instid0(VALU_DEP_1) | instskip(SKIP_2) | instid1(VALU_DEP_1)
	v_rcp_f64_e32 v[202:203], v[198:199]
	s_waitcnt_depctr 0xfff
	v_fma_f64 v[204:205], -v[198:199], v[202:203], 1.0
	v_fma_f64 v[202:203], v[202:203], v[204:205], v[202:203]
	s_delay_alu instid0(VALU_DEP_1) | instskip(NEXT) | instid1(VALU_DEP_1)
	v_fma_f64 v[204:205], -v[198:199], v[202:203], 1.0
	v_fma_f64 v[202:203], v[202:203], v[204:205], v[202:203]
	v_div_scale_f64 v[204:205], vcc_lo, 1.0, v[196:197], 1.0
	s_delay_alu instid0(VALU_DEP_1) | instskip(NEXT) | instid1(VALU_DEP_1)
	v_mul_f64 v[206:207], v[204:205], v[202:203]
	v_fma_f64 v[198:199], -v[198:199], v[206:207], v[204:205]
	s_delay_alu instid0(VALU_DEP_1) | instskip(NEXT) | instid1(VALU_DEP_1)
	v_div_fmas_f64 v[198:199], v[198:199], v[202:203], v[206:207]
	v_div_fixup_f64 v[202:203], v[198:199], v[196:197], 1.0
                                        ; implicit-def: $vgpr196_vgpr197
	s_delay_alu instid0(VALU_DEP_1)
	v_mul_f64 v[204:205], v[200:201], v[202:203]
	v_xor_b32_e32 v203, 0x80000000, v203
.LBB97_239:
	s_and_not1_saveexec_b32 s3, s3
	s_cbranch_execz .LBB97_241
; %bb.240:
	v_div_scale_f64 v[200:201], null, v[196:197], v[196:197], v[198:199]
	v_div_scale_f64 v[206:207], vcc_lo, v[198:199], v[196:197], v[198:199]
	s_delay_alu instid0(VALU_DEP_2) | instskip(SKIP_2) | instid1(VALU_DEP_1)
	v_rcp_f64_e32 v[202:203], v[200:201]
	s_waitcnt_depctr 0xfff
	v_fma_f64 v[204:205], -v[200:201], v[202:203], 1.0
	v_fma_f64 v[202:203], v[202:203], v[204:205], v[202:203]
	s_delay_alu instid0(VALU_DEP_1) | instskip(NEXT) | instid1(VALU_DEP_1)
	v_fma_f64 v[204:205], -v[200:201], v[202:203], 1.0
	v_fma_f64 v[202:203], v[202:203], v[204:205], v[202:203]
	s_delay_alu instid0(VALU_DEP_1) | instskip(NEXT) | instid1(VALU_DEP_1)
	v_mul_f64 v[204:205], v[206:207], v[202:203]
	v_fma_f64 v[200:201], -v[200:201], v[204:205], v[206:207]
	s_delay_alu instid0(VALU_DEP_1) | instskip(NEXT) | instid1(VALU_DEP_1)
	v_div_fmas_f64 v[200:201], v[200:201], v[202:203], v[204:205]
	v_div_fixup_f64 v[200:201], v[200:201], v[196:197], v[198:199]
	s_delay_alu instid0(VALU_DEP_1) | instskip(NEXT) | instid1(VALU_DEP_1)
	v_fma_f64 v[196:197], v[198:199], v[200:201], v[196:197]
	v_div_scale_f64 v[198:199], null, v[196:197], v[196:197], 1.0
	s_delay_alu instid0(VALU_DEP_1) | instskip(SKIP_2) | instid1(VALU_DEP_1)
	v_rcp_f64_e32 v[202:203], v[198:199]
	s_waitcnt_depctr 0xfff
	v_fma_f64 v[204:205], -v[198:199], v[202:203], 1.0
	v_fma_f64 v[202:203], v[202:203], v[204:205], v[202:203]
	s_delay_alu instid0(VALU_DEP_1) | instskip(NEXT) | instid1(VALU_DEP_1)
	v_fma_f64 v[204:205], -v[198:199], v[202:203], 1.0
	v_fma_f64 v[202:203], v[202:203], v[204:205], v[202:203]
	v_div_scale_f64 v[204:205], vcc_lo, 1.0, v[196:197], 1.0
	s_delay_alu instid0(VALU_DEP_1) | instskip(NEXT) | instid1(VALU_DEP_1)
	v_mul_f64 v[206:207], v[204:205], v[202:203]
	v_fma_f64 v[198:199], -v[198:199], v[206:207], v[204:205]
	s_delay_alu instid0(VALU_DEP_1) | instskip(NEXT) | instid1(VALU_DEP_1)
	v_div_fmas_f64 v[198:199], v[198:199], v[202:203], v[206:207]
	v_div_fixup_f64 v[204:205], v[198:199], v[196:197], 1.0
	s_delay_alu instid0(VALU_DEP_1)
	v_mul_f64 v[202:203], v[200:201], -v[204:205]
.LBB97_241:
	s_or_b32 exec_lo, exec_lo, s3
	ds_store_2addr_b64 v215, v[204:205], v[202:203] offset1:1
.LBB97_242:
	s_or_b32 exec_lo, exec_lo, s4
	s_waitcnt lgkmcnt(0)
	s_barrier
	buffer_gl0_inv
	ds_load_2addr_b64 v[196:199], v215 offset1:1
	s_mov_b32 s3, exec_lo
	s_waitcnt lgkmcnt(0)
	scratch_store_b128 off, v[196:199], off offset:768 ; 16-byte Folded Spill
	v_cmpx_lt_u32_e32 26, v214
	s_cbranch_execz .LBB97_244
; %bb.243:
	scratch_load_b128 v[198:201], off, off offset:768 ; 16-byte Folded Reload
	s_waitcnt vmcnt(0)
	v_mul_f64 v[196:197], v[200:201], v[90:91]
	v_mul_f64 v[90:91], v[198:199], v[90:91]
	s_delay_alu instid0(VALU_DEP_2) | instskip(NEXT) | instid1(VALU_DEP_2)
	v_fma_f64 v[196:197], v[198:199], v[88:89], -v[196:197]
	v_fma_f64 v[90:91], v[200:201], v[88:89], v[90:91]
	ds_load_2addr_b64 v[198:201], v216 offset0:54 offset1:55
	s_waitcnt lgkmcnt(0)
	v_mul_f64 v[88:89], v[200:201], v[90:91]
	s_delay_alu instid0(VALU_DEP_1) | instskip(SKIP_1) | instid1(VALU_DEP_2)
	v_fma_f64 v[88:89], v[198:199], v[196:197], -v[88:89]
	v_mul_f64 v[198:199], v[198:199], v[90:91]
	v_add_f64 v[84:85], v[84:85], -v[88:89]
	s_delay_alu instid0(VALU_DEP_2) | instskip(NEXT) | instid1(VALU_DEP_1)
	v_fma_f64 v[198:199], v[200:201], v[196:197], v[198:199]
	v_add_f64 v[86:87], v[86:87], -v[198:199]
	ds_load_2addr_b64 v[198:201], v216 offset0:56 offset1:57
	s_waitcnt lgkmcnt(0)
	v_mul_f64 v[88:89], v[200:201], v[90:91]
	s_delay_alu instid0(VALU_DEP_1) | instskip(SKIP_1) | instid1(VALU_DEP_2)
	v_fma_f64 v[88:89], v[198:199], v[196:197], -v[88:89]
	v_mul_f64 v[198:199], v[198:199], v[90:91]
	v_add_f64 v[80:81], v[80:81], -v[88:89]
	s_delay_alu instid0(VALU_DEP_2) | instskip(NEXT) | instid1(VALU_DEP_1)
	v_fma_f64 v[198:199], v[200:201], v[196:197], v[198:199]
	v_add_f64 v[82:83], v[82:83], -v[198:199]
	;; [unrolled: 10-line block ×21, first 2 shown]
	ds_load_2addr_b64 v[198:201], v216 offset0:96 offset1:97
	s_waitcnt lgkmcnt(0)
	v_mul_f64 v[88:89], v[200:201], v[90:91]
	s_delay_alu instid0(VALU_DEP_1) | instskip(SKIP_1) | instid1(VALU_DEP_2)
	v_fma_f64 v[88:89], v[198:199], v[196:197], -v[88:89]
	v_mul_f64 v[198:199], v[198:199], v[90:91]
	v_add_f64 v[0:1], v[0:1], -v[88:89]
	s_delay_alu instid0(VALU_DEP_2) | instskip(SKIP_1) | instid1(VALU_DEP_2)
	v_fma_f64 v[198:199], v[200:201], v[196:197], v[198:199]
	v_dual_mov_b32 v88, v196 :: v_dual_mov_b32 v89, v197
	v_add_f64 v[2:3], v[2:3], -v[198:199]
.LBB97_244:
	s_or_b32 exec_lo, exec_lo, s3
	s_delay_alu instid0(SALU_CYCLE_1)
	s_mov_b32 s4, exec_lo
	s_waitcnt_vscnt null, 0x0
	s_barrier
	buffer_gl0_inv
	v_cmpx_eq_u32_e32 27, v214
	s_cbranch_execz .LBB97_251
; %bb.245:
	ds_store_2addr_b64 v215, v[84:85], v[86:87] offset1:1
	ds_store_2addr_b64 v216, v[80:81], v[82:83] offset0:56 offset1:57
	ds_store_2addr_b64 v216, v[76:77], v[78:79] offset0:58 offset1:59
	;; [unrolled: 1-line block ×21, first 2 shown]
	ds_load_2addr_b64 v[196:199], v215 offset1:1
	s_waitcnt lgkmcnt(0)
	v_cmp_neq_f64_e32 vcc_lo, 0, v[196:197]
	v_cmp_neq_f64_e64 s3, 0, v[198:199]
	s_delay_alu instid0(VALU_DEP_1) | instskip(NEXT) | instid1(SALU_CYCLE_1)
	s_or_b32 s3, vcc_lo, s3
	s_and_b32 exec_lo, exec_lo, s3
	s_cbranch_execz .LBB97_251
; %bb.246:
	v_cmp_gt_f64_e32 vcc_lo, 0, v[196:197]
	v_xor_b32_e32 v200, 0x80000000, v197
	v_xor_b32_e32 v202, 0x80000000, v199
	s_mov_b32 s3, exec_lo
                                        ; implicit-def: $vgpr204_vgpr205
	s_delay_alu instid0(VALU_DEP_2) | instskip(SKIP_4) | instid1(VALU_DEP_1)
	v_cndmask_b32_e32 v201, v197, v200, vcc_lo
	v_cndmask_b32_e32 v200, v196, v196, vcc_lo
	v_cmp_gt_f64_e32 vcc_lo, 0, v[198:199]
	v_cndmask_b32_e32 v203, v199, v202, vcc_lo
	v_cndmask_b32_e32 v202, v198, v198, vcc_lo
	v_cmpx_ngt_f64_e32 v[200:201], v[202:203]
	s_xor_b32 s3, exec_lo, s3
                                        ; implicit-def: $vgpr200_vgpr201_vgpr202_vgpr203
	s_cbranch_execz .LBB97_248
; %bb.247:
	v_div_scale_f64 v[200:201], null, v[198:199], v[198:199], v[196:197]
	v_div_scale_f64 v[206:207], vcc_lo, v[196:197], v[198:199], v[196:197]
	s_delay_alu instid0(VALU_DEP_2) | instskip(SKIP_2) | instid1(VALU_DEP_1)
	v_rcp_f64_e32 v[202:203], v[200:201]
	s_waitcnt_depctr 0xfff
	v_fma_f64 v[204:205], -v[200:201], v[202:203], 1.0
	v_fma_f64 v[202:203], v[202:203], v[204:205], v[202:203]
	s_delay_alu instid0(VALU_DEP_1) | instskip(NEXT) | instid1(VALU_DEP_1)
	v_fma_f64 v[204:205], -v[200:201], v[202:203], 1.0
	v_fma_f64 v[202:203], v[202:203], v[204:205], v[202:203]
	s_delay_alu instid0(VALU_DEP_1) | instskip(NEXT) | instid1(VALU_DEP_1)
	v_mul_f64 v[204:205], v[206:207], v[202:203]
	v_fma_f64 v[200:201], -v[200:201], v[204:205], v[206:207]
	s_delay_alu instid0(VALU_DEP_1) | instskip(NEXT) | instid1(VALU_DEP_1)
	v_div_fmas_f64 v[200:201], v[200:201], v[202:203], v[204:205]
	v_div_fixup_f64 v[200:201], v[200:201], v[198:199], v[196:197]
	s_delay_alu instid0(VALU_DEP_1) | instskip(NEXT) | instid1(VALU_DEP_1)
	v_fma_f64 v[196:197], v[196:197], v[200:201], v[198:199]
	v_div_scale_f64 v[198:199], null, v[196:197], v[196:197], 1.0
	s_delay_alu instid0(VALU_DEP_1) | instskip(SKIP_2) | instid1(VALU_DEP_1)
	v_rcp_f64_e32 v[202:203], v[198:199]
	s_waitcnt_depctr 0xfff
	v_fma_f64 v[204:205], -v[198:199], v[202:203], 1.0
	v_fma_f64 v[202:203], v[202:203], v[204:205], v[202:203]
	s_delay_alu instid0(VALU_DEP_1) | instskip(NEXT) | instid1(VALU_DEP_1)
	v_fma_f64 v[204:205], -v[198:199], v[202:203], 1.0
	v_fma_f64 v[202:203], v[202:203], v[204:205], v[202:203]
	v_div_scale_f64 v[204:205], vcc_lo, 1.0, v[196:197], 1.0
	s_delay_alu instid0(VALU_DEP_1) | instskip(NEXT) | instid1(VALU_DEP_1)
	v_mul_f64 v[206:207], v[204:205], v[202:203]
	v_fma_f64 v[198:199], -v[198:199], v[206:207], v[204:205]
	s_delay_alu instid0(VALU_DEP_1) | instskip(NEXT) | instid1(VALU_DEP_1)
	v_div_fmas_f64 v[198:199], v[198:199], v[202:203], v[206:207]
	v_div_fixup_f64 v[202:203], v[198:199], v[196:197], 1.0
                                        ; implicit-def: $vgpr196_vgpr197
	s_delay_alu instid0(VALU_DEP_1)
	v_mul_f64 v[204:205], v[200:201], v[202:203]
	v_xor_b32_e32 v203, 0x80000000, v203
.LBB97_248:
	s_and_not1_saveexec_b32 s3, s3
	s_cbranch_execz .LBB97_250
; %bb.249:
	v_div_scale_f64 v[200:201], null, v[196:197], v[196:197], v[198:199]
	v_div_scale_f64 v[206:207], vcc_lo, v[198:199], v[196:197], v[198:199]
	s_delay_alu instid0(VALU_DEP_2) | instskip(SKIP_2) | instid1(VALU_DEP_1)
	v_rcp_f64_e32 v[202:203], v[200:201]
	s_waitcnt_depctr 0xfff
	v_fma_f64 v[204:205], -v[200:201], v[202:203], 1.0
	v_fma_f64 v[202:203], v[202:203], v[204:205], v[202:203]
	s_delay_alu instid0(VALU_DEP_1) | instskip(NEXT) | instid1(VALU_DEP_1)
	v_fma_f64 v[204:205], -v[200:201], v[202:203], 1.0
	v_fma_f64 v[202:203], v[202:203], v[204:205], v[202:203]
	s_delay_alu instid0(VALU_DEP_1) | instskip(NEXT) | instid1(VALU_DEP_1)
	v_mul_f64 v[204:205], v[206:207], v[202:203]
	v_fma_f64 v[200:201], -v[200:201], v[204:205], v[206:207]
	s_delay_alu instid0(VALU_DEP_1) | instskip(NEXT) | instid1(VALU_DEP_1)
	v_div_fmas_f64 v[200:201], v[200:201], v[202:203], v[204:205]
	v_div_fixup_f64 v[200:201], v[200:201], v[196:197], v[198:199]
	s_delay_alu instid0(VALU_DEP_1) | instskip(NEXT) | instid1(VALU_DEP_1)
	v_fma_f64 v[196:197], v[198:199], v[200:201], v[196:197]
	v_div_scale_f64 v[198:199], null, v[196:197], v[196:197], 1.0
	s_delay_alu instid0(VALU_DEP_1) | instskip(SKIP_2) | instid1(VALU_DEP_1)
	v_rcp_f64_e32 v[202:203], v[198:199]
	s_waitcnt_depctr 0xfff
	v_fma_f64 v[204:205], -v[198:199], v[202:203], 1.0
	v_fma_f64 v[202:203], v[202:203], v[204:205], v[202:203]
	s_delay_alu instid0(VALU_DEP_1) | instskip(NEXT) | instid1(VALU_DEP_1)
	v_fma_f64 v[204:205], -v[198:199], v[202:203], 1.0
	v_fma_f64 v[202:203], v[202:203], v[204:205], v[202:203]
	v_div_scale_f64 v[204:205], vcc_lo, 1.0, v[196:197], 1.0
	s_delay_alu instid0(VALU_DEP_1) | instskip(NEXT) | instid1(VALU_DEP_1)
	v_mul_f64 v[206:207], v[204:205], v[202:203]
	v_fma_f64 v[198:199], -v[198:199], v[206:207], v[204:205]
	s_delay_alu instid0(VALU_DEP_1) | instskip(NEXT) | instid1(VALU_DEP_1)
	v_div_fmas_f64 v[198:199], v[198:199], v[202:203], v[206:207]
	v_div_fixup_f64 v[204:205], v[198:199], v[196:197], 1.0
	s_delay_alu instid0(VALU_DEP_1)
	v_mul_f64 v[202:203], v[200:201], -v[204:205]
.LBB97_250:
	s_or_b32 exec_lo, exec_lo, s3
	ds_store_2addr_b64 v215, v[204:205], v[202:203] offset1:1
.LBB97_251:
	s_or_b32 exec_lo, exec_lo, s4
	s_waitcnt lgkmcnt(0)
	s_barrier
	buffer_gl0_inv
	ds_load_2addr_b64 v[196:199], v215 offset1:1
	s_mov_b32 s3, exec_lo
	s_waitcnt lgkmcnt(0)
	scratch_store_b128 off, v[196:199], off offset:784 ; 16-byte Folded Spill
	v_cmpx_lt_u32_e32 27, v214
	s_cbranch_execz .LBB97_253
; %bb.252:
	scratch_load_b128 v[198:201], off, off offset:784 ; 16-byte Folded Reload
	s_waitcnt vmcnt(0)
	v_mul_f64 v[196:197], v[200:201], v[86:87]
	v_mul_f64 v[86:87], v[198:199], v[86:87]
	s_delay_alu instid0(VALU_DEP_2) | instskip(NEXT) | instid1(VALU_DEP_2)
	v_fma_f64 v[196:197], v[198:199], v[84:85], -v[196:197]
	v_fma_f64 v[86:87], v[200:201], v[84:85], v[86:87]
	ds_load_2addr_b64 v[198:201], v216 offset0:56 offset1:57
	s_waitcnt lgkmcnt(0)
	v_mul_f64 v[84:85], v[200:201], v[86:87]
	s_delay_alu instid0(VALU_DEP_1) | instskip(SKIP_1) | instid1(VALU_DEP_2)
	v_fma_f64 v[84:85], v[198:199], v[196:197], -v[84:85]
	v_mul_f64 v[198:199], v[198:199], v[86:87]
	v_add_f64 v[80:81], v[80:81], -v[84:85]
	s_delay_alu instid0(VALU_DEP_2) | instskip(NEXT) | instid1(VALU_DEP_1)
	v_fma_f64 v[198:199], v[200:201], v[196:197], v[198:199]
	v_add_f64 v[82:83], v[82:83], -v[198:199]
	ds_load_2addr_b64 v[198:201], v216 offset0:58 offset1:59
	s_waitcnt lgkmcnt(0)
	v_mul_f64 v[84:85], v[200:201], v[86:87]
	s_delay_alu instid0(VALU_DEP_1) | instskip(SKIP_1) | instid1(VALU_DEP_2)
	v_fma_f64 v[84:85], v[198:199], v[196:197], -v[84:85]
	v_mul_f64 v[198:199], v[198:199], v[86:87]
	v_add_f64 v[76:77], v[76:77], -v[84:85]
	s_delay_alu instid0(VALU_DEP_2) | instskip(NEXT) | instid1(VALU_DEP_1)
	v_fma_f64 v[198:199], v[200:201], v[196:197], v[198:199]
	v_add_f64 v[78:79], v[78:79], -v[198:199]
	;; [unrolled: 10-line block ×20, first 2 shown]
	ds_load_2addr_b64 v[198:201], v216 offset0:96 offset1:97
	s_waitcnt lgkmcnt(0)
	v_mul_f64 v[84:85], v[200:201], v[86:87]
	s_delay_alu instid0(VALU_DEP_1) | instskip(SKIP_1) | instid1(VALU_DEP_2)
	v_fma_f64 v[84:85], v[198:199], v[196:197], -v[84:85]
	v_mul_f64 v[198:199], v[198:199], v[86:87]
	v_add_f64 v[0:1], v[0:1], -v[84:85]
	s_delay_alu instid0(VALU_DEP_2) | instskip(SKIP_1) | instid1(VALU_DEP_2)
	v_fma_f64 v[198:199], v[200:201], v[196:197], v[198:199]
	v_dual_mov_b32 v84, v196 :: v_dual_mov_b32 v85, v197
	v_add_f64 v[2:3], v[2:3], -v[198:199]
.LBB97_253:
	s_or_b32 exec_lo, exec_lo, s3
	s_delay_alu instid0(SALU_CYCLE_1)
	s_mov_b32 s4, exec_lo
	s_waitcnt_vscnt null, 0x0
	s_barrier
	buffer_gl0_inv
	v_cmpx_eq_u32_e32 28, v214
	s_cbranch_execz .LBB97_260
; %bb.254:
	ds_store_2addr_b64 v215, v[80:81], v[82:83] offset1:1
	ds_store_2addr_b64 v216, v[76:77], v[78:79] offset0:58 offset1:59
	ds_store_2addr_b64 v216, v[72:73], v[74:75] offset0:60 offset1:61
	;; [unrolled: 1-line block ×20, first 2 shown]
	ds_load_2addr_b64 v[196:199], v215 offset1:1
	s_waitcnt lgkmcnt(0)
	v_cmp_neq_f64_e32 vcc_lo, 0, v[196:197]
	v_cmp_neq_f64_e64 s3, 0, v[198:199]
	s_delay_alu instid0(VALU_DEP_1) | instskip(NEXT) | instid1(SALU_CYCLE_1)
	s_or_b32 s3, vcc_lo, s3
	s_and_b32 exec_lo, exec_lo, s3
	s_cbranch_execz .LBB97_260
; %bb.255:
	v_cmp_gt_f64_e32 vcc_lo, 0, v[196:197]
	v_xor_b32_e32 v200, 0x80000000, v197
	v_xor_b32_e32 v202, 0x80000000, v199
	s_mov_b32 s3, exec_lo
                                        ; implicit-def: $vgpr204_vgpr205
	s_delay_alu instid0(VALU_DEP_2) | instskip(SKIP_4) | instid1(VALU_DEP_1)
	v_cndmask_b32_e32 v201, v197, v200, vcc_lo
	v_cndmask_b32_e32 v200, v196, v196, vcc_lo
	v_cmp_gt_f64_e32 vcc_lo, 0, v[198:199]
	v_cndmask_b32_e32 v203, v199, v202, vcc_lo
	v_cndmask_b32_e32 v202, v198, v198, vcc_lo
	v_cmpx_ngt_f64_e32 v[200:201], v[202:203]
	s_xor_b32 s3, exec_lo, s3
                                        ; implicit-def: $vgpr200_vgpr201_vgpr202_vgpr203
	s_cbranch_execz .LBB97_257
; %bb.256:
	v_div_scale_f64 v[200:201], null, v[198:199], v[198:199], v[196:197]
	v_div_scale_f64 v[206:207], vcc_lo, v[196:197], v[198:199], v[196:197]
	s_delay_alu instid0(VALU_DEP_2) | instskip(SKIP_2) | instid1(VALU_DEP_1)
	v_rcp_f64_e32 v[202:203], v[200:201]
	s_waitcnt_depctr 0xfff
	v_fma_f64 v[204:205], -v[200:201], v[202:203], 1.0
	v_fma_f64 v[202:203], v[202:203], v[204:205], v[202:203]
	s_delay_alu instid0(VALU_DEP_1) | instskip(NEXT) | instid1(VALU_DEP_1)
	v_fma_f64 v[204:205], -v[200:201], v[202:203], 1.0
	v_fma_f64 v[202:203], v[202:203], v[204:205], v[202:203]
	s_delay_alu instid0(VALU_DEP_1) | instskip(NEXT) | instid1(VALU_DEP_1)
	v_mul_f64 v[204:205], v[206:207], v[202:203]
	v_fma_f64 v[200:201], -v[200:201], v[204:205], v[206:207]
	s_delay_alu instid0(VALU_DEP_1) | instskip(NEXT) | instid1(VALU_DEP_1)
	v_div_fmas_f64 v[200:201], v[200:201], v[202:203], v[204:205]
	v_div_fixup_f64 v[200:201], v[200:201], v[198:199], v[196:197]
	s_delay_alu instid0(VALU_DEP_1) | instskip(NEXT) | instid1(VALU_DEP_1)
	v_fma_f64 v[196:197], v[196:197], v[200:201], v[198:199]
	v_div_scale_f64 v[198:199], null, v[196:197], v[196:197], 1.0
	s_delay_alu instid0(VALU_DEP_1) | instskip(SKIP_2) | instid1(VALU_DEP_1)
	v_rcp_f64_e32 v[202:203], v[198:199]
	s_waitcnt_depctr 0xfff
	v_fma_f64 v[204:205], -v[198:199], v[202:203], 1.0
	v_fma_f64 v[202:203], v[202:203], v[204:205], v[202:203]
	s_delay_alu instid0(VALU_DEP_1) | instskip(NEXT) | instid1(VALU_DEP_1)
	v_fma_f64 v[204:205], -v[198:199], v[202:203], 1.0
	v_fma_f64 v[202:203], v[202:203], v[204:205], v[202:203]
	v_div_scale_f64 v[204:205], vcc_lo, 1.0, v[196:197], 1.0
	s_delay_alu instid0(VALU_DEP_1) | instskip(NEXT) | instid1(VALU_DEP_1)
	v_mul_f64 v[206:207], v[204:205], v[202:203]
	v_fma_f64 v[198:199], -v[198:199], v[206:207], v[204:205]
	s_delay_alu instid0(VALU_DEP_1) | instskip(NEXT) | instid1(VALU_DEP_1)
	v_div_fmas_f64 v[198:199], v[198:199], v[202:203], v[206:207]
	v_div_fixup_f64 v[202:203], v[198:199], v[196:197], 1.0
                                        ; implicit-def: $vgpr196_vgpr197
	s_delay_alu instid0(VALU_DEP_1)
	v_mul_f64 v[204:205], v[200:201], v[202:203]
	v_xor_b32_e32 v203, 0x80000000, v203
.LBB97_257:
	s_and_not1_saveexec_b32 s3, s3
	s_cbranch_execz .LBB97_259
; %bb.258:
	v_div_scale_f64 v[200:201], null, v[196:197], v[196:197], v[198:199]
	v_div_scale_f64 v[206:207], vcc_lo, v[198:199], v[196:197], v[198:199]
	s_delay_alu instid0(VALU_DEP_2) | instskip(SKIP_2) | instid1(VALU_DEP_1)
	v_rcp_f64_e32 v[202:203], v[200:201]
	s_waitcnt_depctr 0xfff
	v_fma_f64 v[204:205], -v[200:201], v[202:203], 1.0
	v_fma_f64 v[202:203], v[202:203], v[204:205], v[202:203]
	s_delay_alu instid0(VALU_DEP_1) | instskip(NEXT) | instid1(VALU_DEP_1)
	v_fma_f64 v[204:205], -v[200:201], v[202:203], 1.0
	v_fma_f64 v[202:203], v[202:203], v[204:205], v[202:203]
	s_delay_alu instid0(VALU_DEP_1) | instskip(NEXT) | instid1(VALU_DEP_1)
	v_mul_f64 v[204:205], v[206:207], v[202:203]
	v_fma_f64 v[200:201], -v[200:201], v[204:205], v[206:207]
	s_delay_alu instid0(VALU_DEP_1) | instskip(NEXT) | instid1(VALU_DEP_1)
	v_div_fmas_f64 v[200:201], v[200:201], v[202:203], v[204:205]
	v_div_fixup_f64 v[200:201], v[200:201], v[196:197], v[198:199]
	s_delay_alu instid0(VALU_DEP_1) | instskip(NEXT) | instid1(VALU_DEP_1)
	v_fma_f64 v[196:197], v[198:199], v[200:201], v[196:197]
	v_div_scale_f64 v[198:199], null, v[196:197], v[196:197], 1.0
	s_delay_alu instid0(VALU_DEP_1) | instskip(SKIP_2) | instid1(VALU_DEP_1)
	v_rcp_f64_e32 v[202:203], v[198:199]
	s_waitcnt_depctr 0xfff
	v_fma_f64 v[204:205], -v[198:199], v[202:203], 1.0
	v_fma_f64 v[202:203], v[202:203], v[204:205], v[202:203]
	s_delay_alu instid0(VALU_DEP_1) | instskip(NEXT) | instid1(VALU_DEP_1)
	v_fma_f64 v[204:205], -v[198:199], v[202:203], 1.0
	v_fma_f64 v[202:203], v[202:203], v[204:205], v[202:203]
	v_div_scale_f64 v[204:205], vcc_lo, 1.0, v[196:197], 1.0
	s_delay_alu instid0(VALU_DEP_1) | instskip(NEXT) | instid1(VALU_DEP_1)
	v_mul_f64 v[206:207], v[204:205], v[202:203]
	v_fma_f64 v[198:199], -v[198:199], v[206:207], v[204:205]
	s_delay_alu instid0(VALU_DEP_1) | instskip(NEXT) | instid1(VALU_DEP_1)
	v_div_fmas_f64 v[198:199], v[198:199], v[202:203], v[206:207]
	v_div_fixup_f64 v[204:205], v[198:199], v[196:197], 1.0
	s_delay_alu instid0(VALU_DEP_1)
	v_mul_f64 v[202:203], v[200:201], -v[204:205]
.LBB97_259:
	s_or_b32 exec_lo, exec_lo, s3
	ds_store_2addr_b64 v215, v[204:205], v[202:203] offset1:1
.LBB97_260:
	s_or_b32 exec_lo, exec_lo, s4
	s_waitcnt lgkmcnt(0)
	s_barrier
	buffer_gl0_inv
	ds_load_2addr_b64 v[196:199], v215 offset1:1
	s_mov_b32 s3, exec_lo
	s_waitcnt lgkmcnt(0)
	scratch_store_b128 off, v[196:199], off offset:800 ; 16-byte Folded Spill
	v_cmpx_lt_u32_e32 28, v214
	s_cbranch_execz .LBB97_262
; %bb.261:
	scratch_load_b128 v[198:201], off, off offset:800 ; 16-byte Folded Reload
	s_waitcnt vmcnt(0)
	v_mul_f64 v[196:197], v[200:201], v[82:83]
	v_mul_f64 v[82:83], v[198:199], v[82:83]
	s_delay_alu instid0(VALU_DEP_2) | instskip(NEXT) | instid1(VALU_DEP_2)
	v_fma_f64 v[196:197], v[198:199], v[80:81], -v[196:197]
	v_fma_f64 v[82:83], v[200:201], v[80:81], v[82:83]
	ds_load_2addr_b64 v[198:201], v216 offset0:58 offset1:59
	s_waitcnt lgkmcnt(0)
	v_mul_f64 v[80:81], v[200:201], v[82:83]
	s_delay_alu instid0(VALU_DEP_1) | instskip(SKIP_1) | instid1(VALU_DEP_2)
	v_fma_f64 v[80:81], v[198:199], v[196:197], -v[80:81]
	v_mul_f64 v[198:199], v[198:199], v[82:83]
	v_add_f64 v[76:77], v[76:77], -v[80:81]
	s_delay_alu instid0(VALU_DEP_2) | instskip(NEXT) | instid1(VALU_DEP_1)
	v_fma_f64 v[198:199], v[200:201], v[196:197], v[198:199]
	v_add_f64 v[78:79], v[78:79], -v[198:199]
	ds_load_2addr_b64 v[198:201], v216 offset0:60 offset1:61
	s_waitcnt lgkmcnt(0)
	v_mul_f64 v[80:81], v[200:201], v[82:83]
	s_delay_alu instid0(VALU_DEP_1) | instskip(SKIP_1) | instid1(VALU_DEP_2)
	v_fma_f64 v[80:81], v[198:199], v[196:197], -v[80:81]
	v_mul_f64 v[198:199], v[198:199], v[82:83]
	v_add_f64 v[72:73], v[72:73], -v[80:81]
	s_delay_alu instid0(VALU_DEP_2) | instskip(NEXT) | instid1(VALU_DEP_1)
	v_fma_f64 v[198:199], v[200:201], v[196:197], v[198:199]
	v_add_f64 v[74:75], v[74:75], -v[198:199]
	;; [unrolled: 10-line block ×19, first 2 shown]
	ds_load_2addr_b64 v[198:201], v216 offset0:96 offset1:97
	s_waitcnt lgkmcnt(0)
	v_mul_f64 v[80:81], v[200:201], v[82:83]
	s_delay_alu instid0(VALU_DEP_1) | instskip(SKIP_1) | instid1(VALU_DEP_2)
	v_fma_f64 v[80:81], v[198:199], v[196:197], -v[80:81]
	v_mul_f64 v[198:199], v[198:199], v[82:83]
	v_add_f64 v[0:1], v[0:1], -v[80:81]
	s_delay_alu instid0(VALU_DEP_2) | instskip(SKIP_1) | instid1(VALU_DEP_2)
	v_fma_f64 v[198:199], v[200:201], v[196:197], v[198:199]
	v_dual_mov_b32 v80, v196 :: v_dual_mov_b32 v81, v197
	v_add_f64 v[2:3], v[2:3], -v[198:199]
.LBB97_262:
	s_or_b32 exec_lo, exec_lo, s3
	s_delay_alu instid0(SALU_CYCLE_1)
	s_mov_b32 s4, exec_lo
	s_waitcnt_vscnt null, 0x0
	s_barrier
	buffer_gl0_inv
	v_cmpx_eq_u32_e32 29, v214
	s_cbranch_execz .LBB97_269
; %bb.263:
	ds_store_2addr_b64 v215, v[76:77], v[78:79] offset1:1
	ds_store_2addr_b64 v216, v[72:73], v[74:75] offset0:60 offset1:61
	ds_store_2addr_b64 v216, v[68:69], v[70:71] offset0:62 offset1:63
	;; [unrolled: 1-line block ×19, first 2 shown]
	ds_load_2addr_b64 v[196:199], v215 offset1:1
	s_waitcnt lgkmcnt(0)
	v_cmp_neq_f64_e32 vcc_lo, 0, v[196:197]
	v_cmp_neq_f64_e64 s3, 0, v[198:199]
	s_delay_alu instid0(VALU_DEP_1) | instskip(NEXT) | instid1(SALU_CYCLE_1)
	s_or_b32 s3, vcc_lo, s3
	s_and_b32 exec_lo, exec_lo, s3
	s_cbranch_execz .LBB97_269
; %bb.264:
	v_cmp_gt_f64_e32 vcc_lo, 0, v[196:197]
	v_xor_b32_e32 v200, 0x80000000, v197
	v_xor_b32_e32 v202, 0x80000000, v199
	s_mov_b32 s3, exec_lo
                                        ; implicit-def: $vgpr204_vgpr205
	s_delay_alu instid0(VALU_DEP_2) | instskip(SKIP_4) | instid1(VALU_DEP_1)
	v_cndmask_b32_e32 v201, v197, v200, vcc_lo
	v_cndmask_b32_e32 v200, v196, v196, vcc_lo
	v_cmp_gt_f64_e32 vcc_lo, 0, v[198:199]
	v_cndmask_b32_e32 v203, v199, v202, vcc_lo
	v_cndmask_b32_e32 v202, v198, v198, vcc_lo
	v_cmpx_ngt_f64_e32 v[200:201], v[202:203]
	s_xor_b32 s3, exec_lo, s3
                                        ; implicit-def: $vgpr200_vgpr201_vgpr202_vgpr203
	s_cbranch_execz .LBB97_266
; %bb.265:
	v_div_scale_f64 v[200:201], null, v[198:199], v[198:199], v[196:197]
	v_div_scale_f64 v[206:207], vcc_lo, v[196:197], v[198:199], v[196:197]
	s_delay_alu instid0(VALU_DEP_2) | instskip(SKIP_2) | instid1(VALU_DEP_1)
	v_rcp_f64_e32 v[202:203], v[200:201]
	s_waitcnt_depctr 0xfff
	v_fma_f64 v[204:205], -v[200:201], v[202:203], 1.0
	v_fma_f64 v[202:203], v[202:203], v[204:205], v[202:203]
	s_delay_alu instid0(VALU_DEP_1) | instskip(NEXT) | instid1(VALU_DEP_1)
	v_fma_f64 v[204:205], -v[200:201], v[202:203], 1.0
	v_fma_f64 v[202:203], v[202:203], v[204:205], v[202:203]
	s_delay_alu instid0(VALU_DEP_1) | instskip(NEXT) | instid1(VALU_DEP_1)
	v_mul_f64 v[204:205], v[206:207], v[202:203]
	v_fma_f64 v[200:201], -v[200:201], v[204:205], v[206:207]
	s_delay_alu instid0(VALU_DEP_1) | instskip(NEXT) | instid1(VALU_DEP_1)
	v_div_fmas_f64 v[200:201], v[200:201], v[202:203], v[204:205]
	v_div_fixup_f64 v[200:201], v[200:201], v[198:199], v[196:197]
	s_delay_alu instid0(VALU_DEP_1) | instskip(NEXT) | instid1(VALU_DEP_1)
	v_fma_f64 v[196:197], v[196:197], v[200:201], v[198:199]
	v_div_scale_f64 v[198:199], null, v[196:197], v[196:197], 1.0
	s_delay_alu instid0(VALU_DEP_1) | instskip(SKIP_2) | instid1(VALU_DEP_1)
	v_rcp_f64_e32 v[202:203], v[198:199]
	s_waitcnt_depctr 0xfff
	v_fma_f64 v[204:205], -v[198:199], v[202:203], 1.0
	v_fma_f64 v[202:203], v[202:203], v[204:205], v[202:203]
	s_delay_alu instid0(VALU_DEP_1) | instskip(NEXT) | instid1(VALU_DEP_1)
	v_fma_f64 v[204:205], -v[198:199], v[202:203], 1.0
	v_fma_f64 v[202:203], v[202:203], v[204:205], v[202:203]
	v_div_scale_f64 v[204:205], vcc_lo, 1.0, v[196:197], 1.0
	s_delay_alu instid0(VALU_DEP_1) | instskip(NEXT) | instid1(VALU_DEP_1)
	v_mul_f64 v[206:207], v[204:205], v[202:203]
	v_fma_f64 v[198:199], -v[198:199], v[206:207], v[204:205]
	s_delay_alu instid0(VALU_DEP_1) | instskip(NEXT) | instid1(VALU_DEP_1)
	v_div_fmas_f64 v[198:199], v[198:199], v[202:203], v[206:207]
	v_div_fixup_f64 v[202:203], v[198:199], v[196:197], 1.0
                                        ; implicit-def: $vgpr196_vgpr197
	s_delay_alu instid0(VALU_DEP_1)
	v_mul_f64 v[204:205], v[200:201], v[202:203]
	v_xor_b32_e32 v203, 0x80000000, v203
.LBB97_266:
	s_and_not1_saveexec_b32 s3, s3
	s_cbranch_execz .LBB97_268
; %bb.267:
	v_div_scale_f64 v[200:201], null, v[196:197], v[196:197], v[198:199]
	v_div_scale_f64 v[206:207], vcc_lo, v[198:199], v[196:197], v[198:199]
	s_delay_alu instid0(VALU_DEP_2) | instskip(SKIP_2) | instid1(VALU_DEP_1)
	v_rcp_f64_e32 v[202:203], v[200:201]
	s_waitcnt_depctr 0xfff
	v_fma_f64 v[204:205], -v[200:201], v[202:203], 1.0
	v_fma_f64 v[202:203], v[202:203], v[204:205], v[202:203]
	s_delay_alu instid0(VALU_DEP_1) | instskip(NEXT) | instid1(VALU_DEP_1)
	v_fma_f64 v[204:205], -v[200:201], v[202:203], 1.0
	v_fma_f64 v[202:203], v[202:203], v[204:205], v[202:203]
	s_delay_alu instid0(VALU_DEP_1) | instskip(NEXT) | instid1(VALU_DEP_1)
	v_mul_f64 v[204:205], v[206:207], v[202:203]
	v_fma_f64 v[200:201], -v[200:201], v[204:205], v[206:207]
	s_delay_alu instid0(VALU_DEP_1) | instskip(NEXT) | instid1(VALU_DEP_1)
	v_div_fmas_f64 v[200:201], v[200:201], v[202:203], v[204:205]
	v_div_fixup_f64 v[200:201], v[200:201], v[196:197], v[198:199]
	s_delay_alu instid0(VALU_DEP_1) | instskip(NEXT) | instid1(VALU_DEP_1)
	v_fma_f64 v[196:197], v[198:199], v[200:201], v[196:197]
	v_div_scale_f64 v[198:199], null, v[196:197], v[196:197], 1.0
	s_delay_alu instid0(VALU_DEP_1) | instskip(SKIP_2) | instid1(VALU_DEP_1)
	v_rcp_f64_e32 v[202:203], v[198:199]
	s_waitcnt_depctr 0xfff
	v_fma_f64 v[204:205], -v[198:199], v[202:203], 1.0
	v_fma_f64 v[202:203], v[202:203], v[204:205], v[202:203]
	s_delay_alu instid0(VALU_DEP_1) | instskip(NEXT) | instid1(VALU_DEP_1)
	v_fma_f64 v[204:205], -v[198:199], v[202:203], 1.0
	v_fma_f64 v[202:203], v[202:203], v[204:205], v[202:203]
	v_div_scale_f64 v[204:205], vcc_lo, 1.0, v[196:197], 1.0
	s_delay_alu instid0(VALU_DEP_1) | instskip(NEXT) | instid1(VALU_DEP_1)
	v_mul_f64 v[206:207], v[204:205], v[202:203]
	v_fma_f64 v[198:199], -v[198:199], v[206:207], v[204:205]
	s_delay_alu instid0(VALU_DEP_1) | instskip(NEXT) | instid1(VALU_DEP_1)
	v_div_fmas_f64 v[198:199], v[198:199], v[202:203], v[206:207]
	v_div_fixup_f64 v[204:205], v[198:199], v[196:197], 1.0
	s_delay_alu instid0(VALU_DEP_1)
	v_mul_f64 v[202:203], v[200:201], -v[204:205]
.LBB97_268:
	s_or_b32 exec_lo, exec_lo, s3
	ds_store_2addr_b64 v215, v[204:205], v[202:203] offset1:1
.LBB97_269:
	s_or_b32 exec_lo, exec_lo, s4
	s_waitcnt lgkmcnt(0)
	s_barrier
	buffer_gl0_inv
	ds_load_2addr_b64 v[196:199], v215 offset1:1
	s_mov_b32 s3, exec_lo
	s_waitcnt lgkmcnt(0)
	scratch_store_b128 off, v[196:199], off offset:816 ; 16-byte Folded Spill
	v_cmpx_lt_u32_e32 29, v214
	s_cbranch_execz .LBB97_271
; %bb.270:
	scratch_load_b128 v[198:201], off, off offset:816 ; 16-byte Folded Reload
	s_waitcnt vmcnt(0)
	v_mul_f64 v[196:197], v[200:201], v[78:79]
	v_mul_f64 v[78:79], v[198:199], v[78:79]
	s_delay_alu instid0(VALU_DEP_2) | instskip(NEXT) | instid1(VALU_DEP_2)
	v_fma_f64 v[196:197], v[198:199], v[76:77], -v[196:197]
	v_fma_f64 v[78:79], v[200:201], v[76:77], v[78:79]
	ds_load_2addr_b64 v[198:201], v216 offset0:60 offset1:61
	s_waitcnt lgkmcnt(0)
	v_mul_f64 v[76:77], v[200:201], v[78:79]
	s_delay_alu instid0(VALU_DEP_1) | instskip(SKIP_1) | instid1(VALU_DEP_2)
	v_fma_f64 v[76:77], v[198:199], v[196:197], -v[76:77]
	v_mul_f64 v[198:199], v[198:199], v[78:79]
	v_add_f64 v[72:73], v[72:73], -v[76:77]
	s_delay_alu instid0(VALU_DEP_2) | instskip(NEXT) | instid1(VALU_DEP_1)
	v_fma_f64 v[198:199], v[200:201], v[196:197], v[198:199]
	v_add_f64 v[74:75], v[74:75], -v[198:199]
	ds_load_2addr_b64 v[198:201], v216 offset0:62 offset1:63
	s_waitcnt lgkmcnt(0)
	v_mul_f64 v[76:77], v[200:201], v[78:79]
	s_delay_alu instid0(VALU_DEP_1) | instskip(SKIP_1) | instid1(VALU_DEP_2)
	v_fma_f64 v[76:77], v[198:199], v[196:197], -v[76:77]
	v_mul_f64 v[198:199], v[198:199], v[78:79]
	v_add_f64 v[68:69], v[68:69], -v[76:77]
	s_delay_alu instid0(VALU_DEP_2) | instskip(NEXT) | instid1(VALU_DEP_1)
	v_fma_f64 v[198:199], v[200:201], v[196:197], v[198:199]
	v_add_f64 v[70:71], v[70:71], -v[198:199]
	;; [unrolled: 10-line block ×18, first 2 shown]
	ds_load_2addr_b64 v[198:201], v216 offset0:96 offset1:97
	s_waitcnt lgkmcnt(0)
	v_mul_f64 v[76:77], v[200:201], v[78:79]
	s_delay_alu instid0(VALU_DEP_1) | instskip(SKIP_1) | instid1(VALU_DEP_2)
	v_fma_f64 v[76:77], v[198:199], v[196:197], -v[76:77]
	v_mul_f64 v[198:199], v[198:199], v[78:79]
	v_add_f64 v[0:1], v[0:1], -v[76:77]
	s_delay_alu instid0(VALU_DEP_2) | instskip(SKIP_1) | instid1(VALU_DEP_2)
	v_fma_f64 v[198:199], v[200:201], v[196:197], v[198:199]
	v_dual_mov_b32 v76, v196 :: v_dual_mov_b32 v77, v197
	v_add_f64 v[2:3], v[2:3], -v[198:199]
.LBB97_271:
	s_or_b32 exec_lo, exec_lo, s3
	s_delay_alu instid0(SALU_CYCLE_1)
	s_mov_b32 s4, exec_lo
	s_waitcnt_vscnt null, 0x0
	s_barrier
	buffer_gl0_inv
	v_cmpx_eq_u32_e32 30, v214
	s_cbranch_execz .LBB97_278
; %bb.272:
	ds_store_2addr_b64 v215, v[72:73], v[74:75] offset1:1
	ds_store_2addr_b64 v216, v[68:69], v[70:71] offset0:62 offset1:63
	ds_store_2addr_b64 v216, v[64:65], v[66:67] offset0:64 offset1:65
	;; [unrolled: 1-line block ×18, first 2 shown]
	ds_load_2addr_b64 v[196:199], v215 offset1:1
	s_waitcnt lgkmcnt(0)
	v_cmp_neq_f64_e32 vcc_lo, 0, v[196:197]
	v_cmp_neq_f64_e64 s3, 0, v[198:199]
	s_delay_alu instid0(VALU_DEP_1) | instskip(NEXT) | instid1(SALU_CYCLE_1)
	s_or_b32 s3, vcc_lo, s3
	s_and_b32 exec_lo, exec_lo, s3
	s_cbranch_execz .LBB97_278
; %bb.273:
	v_cmp_gt_f64_e32 vcc_lo, 0, v[196:197]
	v_xor_b32_e32 v200, 0x80000000, v197
	v_xor_b32_e32 v202, 0x80000000, v199
	s_mov_b32 s3, exec_lo
                                        ; implicit-def: $vgpr204_vgpr205
	s_delay_alu instid0(VALU_DEP_2) | instskip(SKIP_4) | instid1(VALU_DEP_1)
	v_cndmask_b32_e32 v201, v197, v200, vcc_lo
	v_cndmask_b32_e32 v200, v196, v196, vcc_lo
	v_cmp_gt_f64_e32 vcc_lo, 0, v[198:199]
	v_cndmask_b32_e32 v203, v199, v202, vcc_lo
	v_cndmask_b32_e32 v202, v198, v198, vcc_lo
	v_cmpx_ngt_f64_e32 v[200:201], v[202:203]
	s_xor_b32 s3, exec_lo, s3
                                        ; implicit-def: $vgpr200_vgpr201_vgpr202_vgpr203
	s_cbranch_execz .LBB97_275
; %bb.274:
	v_div_scale_f64 v[200:201], null, v[198:199], v[198:199], v[196:197]
	v_div_scale_f64 v[206:207], vcc_lo, v[196:197], v[198:199], v[196:197]
	s_delay_alu instid0(VALU_DEP_2) | instskip(SKIP_2) | instid1(VALU_DEP_1)
	v_rcp_f64_e32 v[202:203], v[200:201]
	s_waitcnt_depctr 0xfff
	v_fma_f64 v[204:205], -v[200:201], v[202:203], 1.0
	v_fma_f64 v[202:203], v[202:203], v[204:205], v[202:203]
	s_delay_alu instid0(VALU_DEP_1) | instskip(NEXT) | instid1(VALU_DEP_1)
	v_fma_f64 v[204:205], -v[200:201], v[202:203], 1.0
	v_fma_f64 v[202:203], v[202:203], v[204:205], v[202:203]
	s_delay_alu instid0(VALU_DEP_1) | instskip(NEXT) | instid1(VALU_DEP_1)
	v_mul_f64 v[204:205], v[206:207], v[202:203]
	v_fma_f64 v[200:201], -v[200:201], v[204:205], v[206:207]
	s_delay_alu instid0(VALU_DEP_1) | instskip(NEXT) | instid1(VALU_DEP_1)
	v_div_fmas_f64 v[200:201], v[200:201], v[202:203], v[204:205]
	v_div_fixup_f64 v[200:201], v[200:201], v[198:199], v[196:197]
	s_delay_alu instid0(VALU_DEP_1) | instskip(NEXT) | instid1(VALU_DEP_1)
	v_fma_f64 v[196:197], v[196:197], v[200:201], v[198:199]
	v_div_scale_f64 v[198:199], null, v[196:197], v[196:197], 1.0
	s_delay_alu instid0(VALU_DEP_1) | instskip(SKIP_2) | instid1(VALU_DEP_1)
	v_rcp_f64_e32 v[202:203], v[198:199]
	s_waitcnt_depctr 0xfff
	v_fma_f64 v[204:205], -v[198:199], v[202:203], 1.0
	v_fma_f64 v[202:203], v[202:203], v[204:205], v[202:203]
	s_delay_alu instid0(VALU_DEP_1) | instskip(NEXT) | instid1(VALU_DEP_1)
	v_fma_f64 v[204:205], -v[198:199], v[202:203], 1.0
	v_fma_f64 v[202:203], v[202:203], v[204:205], v[202:203]
	v_div_scale_f64 v[204:205], vcc_lo, 1.0, v[196:197], 1.0
	s_delay_alu instid0(VALU_DEP_1) | instskip(NEXT) | instid1(VALU_DEP_1)
	v_mul_f64 v[206:207], v[204:205], v[202:203]
	v_fma_f64 v[198:199], -v[198:199], v[206:207], v[204:205]
	s_delay_alu instid0(VALU_DEP_1) | instskip(NEXT) | instid1(VALU_DEP_1)
	v_div_fmas_f64 v[198:199], v[198:199], v[202:203], v[206:207]
	v_div_fixup_f64 v[202:203], v[198:199], v[196:197], 1.0
                                        ; implicit-def: $vgpr196_vgpr197
	s_delay_alu instid0(VALU_DEP_1)
	v_mul_f64 v[204:205], v[200:201], v[202:203]
	v_xor_b32_e32 v203, 0x80000000, v203
.LBB97_275:
	s_and_not1_saveexec_b32 s3, s3
	s_cbranch_execz .LBB97_277
; %bb.276:
	v_div_scale_f64 v[200:201], null, v[196:197], v[196:197], v[198:199]
	v_div_scale_f64 v[206:207], vcc_lo, v[198:199], v[196:197], v[198:199]
	s_delay_alu instid0(VALU_DEP_2) | instskip(SKIP_2) | instid1(VALU_DEP_1)
	v_rcp_f64_e32 v[202:203], v[200:201]
	s_waitcnt_depctr 0xfff
	v_fma_f64 v[204:205], -v[200:201], v[202:203], 1.0
	v_fma_f64 v[202:203], v[202:203], v[204:205], v[202:203]
	s_delay_alu instid0(VALU_DEP_1) | instskip(NEXT) | instid1(VALU_DEP_1)
	v_fma_f64 v[204:205], -v[200:201], v[202:203], 1.0
	v_fma_f64 v[202:203], v[202:203], v[204:205], v[202:203]
	s_delay_alu instid0(VALU_DEP_1) | instskip(NEXT) | instid1(VALU_DEP_1)
	v_mul_f64 v[204:205], v[206:207], v[202:203]
	v_fma_f64 v[200:201], -v[200:201], v[204:205], v[206:207]
	s_delay_alu instid0(VALU_DEP_1) | instskip(NEXT) | instid1(VALU_DEP_1)
	v_div_fmas_f64 v[200:201], v[200:201], v[202:203], v[204:205]
	v_div_fixup_f64 v[200:201], v[200:201], v[196:197], v[198:199]
	s_delay_alu instid0(VALU_DEP_1) | instskip(NEXT) | instid1(VALU_DEP_1)
	v_fma_f64 v[196:197], v[198:199], v[200:201], v[196:197]
	v_div_scale_f64 v[198:199], null, v[196:197], v[196:197], 1.0
	s_delay_alu instid0(VALU_DEP_1) | instskip(SKIP_2) | instid1(VALU_DEP_1)
	v_rcp_f64_e32 v[202:203], v[198:199]
	s_waitcnt_depctr 0xfff
	v_fma_f64 v[204:205], -v[198:199], v[202:203], 1.0
	v_fma_f64 v[202:203], v[202:203], v[204:205], v[202:203]
	s_delay_alu instid0(VALU_DEP_1) | instskip(NEXT) | instid1(VALU_DEP_1)
	v_fma_f64 v[204:205], -v[198:199], v[202:203], 1.0
	v_fma_f64 v[202:203], v[202:203], v[204:205], v[202:203]
	v_div_scale_f64 v[204:205], vcc_lo, 1.0, v[196:197], 1.0
	s_delay_alu instid0(VALU_DEP_1) | instskip(NEXT) | instid1(VALU_DEP_1)
	v_mul_f64 v[206:207], v[204:205], v[202:203]
	v_fma_f64 v[198:199], -v[198:199], v[206:207], v[204:205]
	s_delay_alu instid0(VALU_DEP_1) | instskip(NEXT) | instid1(VALU_DEP_1)
	v_div_fmas_f64 v[198:199], v[198:199], v[202:203], v[206:207]
	v_div_fixup_f64 v[204:205], v[198:199], v[196:197], 1.0
	s_delay_alu instid0(VALU_DEP_1)
	v_mul_f64 v[202:203], v[200:201], -v[204:205]
.LBB97_277:
	s_or_b32 exec_lo, exec_lo, s3
	ds_store_2addr_b64 v215, v[204:205], v[202:203] offset1:1
.LBB97_278:
	s_or_b32 exec_lo, exec_lo, s4
	s_waitcnt lgkmcnt(0)
	s_barrier
	buffer_gl0_inv
	ds_load_2addr_b64 v[196:199], v215 offset1:1
	s_mov_b32 s3, exec_lo
	s_waitcnt lgkmcnt(0)
	scratch_store_b128 off, v[196:199], off offset:832 ; 16-byte Folded Spill
	v_cmpx_lt_u32_e32 30, v214
	s_cbranch_execz .LBB97_280
; %bb.279:
	scratch_load_b128 v[198:201], off, off offset:832 ; 16-byte Folded Reload
	s_waitcnt vmcnt(0)
	v_mul_f64 v[196:197], v[200:201], v[74:75]
	v_mul_f64 v[74:75], v[198:199], v[74:75]
	s_delay_alu instid0(VALU_DEP_2) | instskip(NEXT) | instid1(VALU_DEP_2)
	v_fma_f64 v[196:197], v[198:199], v[72:73], -v[196:197]
	v_fma_f64 v[74:75], v[200:201], v[72:73], v[74:75]
	ds_load_2addr_b64 v[198:201], v216 offset0:62 offset1:63
	s_waitcnt lgkmcnt(0)
	v_mul_f64 v[72:73], v[200:201], v[74:75]
	s_delay_alu instid0(VALU_DEP_1) | instskip(SKIP_1) | instid1(VALU_DEP_2)
	v_fma_f64 v[72:73], v[198:199], v[196:197], -v[72:73]
	v_mul_f64 v[198:199], v[198:199], v[74:75]
	v_add_f64 v[68:69], v[68:69], -v[72:73]
	s_delay_alu instid0(VALU_DEP_2) | instskip(NEXT) | instid1(VALU_DEP_1)
	v_fma_f64 v[198:199], v[200:201], v[196:197], v[198:199]
	v_add_f64 v[70:71], v[70:71], -v[198:199]
	ds_load_2addr_b64 v[198:201], v216 offset0:64 offset1:65
	s_waitcnt lgkmcnt(0)
	v_mul_f64 v[72:73], v[200:201], v[74:75]
	s_delay_alu instid0(VALU_DEP_1) | instskip(SKIP_1) | instid1(VALU_DEP_2)
	v_fma_f64 v[72:73], v[198:199], v[196:197], -v[72:73]
	v_mul_f64 v[198:199], v[198:199], v[74:75]
	v_add_f64 v[64:65], v[64:65], -v[72:73]
	s_delay_alu instid0(VALU_DEP_2) | instskip(NEXT) | instid1(VALU_DEP_1)
	v_fma_f64 v[198:199], v[200:201], v[196:197], v[198:199]
	v_add_f64 v[66:67], v[66:67], -v[198:199]
	;; [unrolled: 10-line block ×17, first 2 shown]
	ds_load_2addr_b64 v[198:201], v216 offset0:96 offset1:97
	s_waitcnt lgkmcnt(0)
	v_mul_f64 v[72:73], v[200:201], v[74:75]
	s_delay_alu instid0(VALU_DEP_1) | instskip(SKIP_1) | instid1(VALU_DEP_2)
	v_fma_f64 v[72:73], v[198:199], v[196:197], -v[72:73]
	v_mul_f64 v[198:199], v[198:199], v[74:75]
	v_add_f64 v[0:1], v[0:1], -v[72:73]
	s_delay_alu instid0(VALU_DEP_2) | instskip(SKIP_1) | instid1(VALU_DEP_2)
	v_fma_f64 v[198:199], v[200:201], v[196:197], v[198:199]
	v_dual_mov_b32 v72, v196 :: v_dual_mov_b32 v73, v197
	v_add_f64 v[2:3], v[2:3], -v[198:199]
.LBB97_280:
	s_or_b32 exec_lo, exec_lo, s3
	s_delay_alu instid0(SALU_CYCLE_1)
	s_mov_b32 s4, exec_lo
	s_waitcnt_vscnt null, 0x0
	s_barrier
	buffer_gl0_inv
	v_cmpx_eq_u32_e32 31, v214
	s_cbranch_execz .LBB97_287
; %bb.281:
	ds_store_2addr_b64 v215, v[68:69], v[70:71] offset1:1
	ds_store_2addr_b64 v216, v[64:65], v[66:67] offset0:64 offset1:65
	ds_store_2addr_b64 v216, v[60:61], v[62:63] offset0:66 offset1:67
	;; [unrolled: 1-line block ×17, first 2 shown]
	ds_load_2addr_b64 v[196:199], v215 offset1:1
	s_waitcnt lgkmcnt(0)
	v_cmp_neq_f64_e32 vcc_lo, 0, v[196:197]
	v_cmp_neq_f64_e64 s3, 0, v[198:199]
	s_delay_alu instid0(VALU_DEP_1) | instskip(NEXT) | instid1(SALU_CYCLE_1)
	s_or_b32 s3, vcc_lo, s3
	s_and_b32 exec_lo, exec_lo, s3
	s_cbranch_execz .LBB97_287
; %bb.282:
	v_cmp_gt_f64_e32 vcc_lo, 0, v[196:197]
	v_xor_b32_e32 v200, 0x80000000, v197
	v_xor_b32_e32 v202, 0x80000000, v199
	s_mov_b32 s3, exec_lo
                                        ; implicit-def: $vgpr204_vgpr205
	s_delay_alu instid0(VALU_DEP_2) | instskip(SKIP_4) | instid1(VALU_DEP_1)
	v_cndmask_b32_e32 v201, v197, v200, vcc_lo
	v_cndmask_b32_e32 v200, v196, v196, vcc_lo
	v_cmp_gt_f64_e32 vcc_lo, 0, v[198:199]
	v_cndmask_b32_e32 v203, v199, v202, vcc_lo
	v_cndmask_b32_e32 v202, v198, v198, vcc_lo
	v_cmpx_ngt_f64_e32 v[200:201], v[202:203]
	s_xor_b32 s3, exec_lo, s3
                                        ; implicit-def: $vgpr200_vgpr201_vgpr202_vgpr203
	s_cbranch_execz .LBB97_284
; %bb.283:
	v_div_scale_f64 v[200:201], null, v[198:199], v[198:199], v[196:197]
	v_div_scale_f64 v[206:207], vcc_lo, v[196:197], v[198:199], v[196:197]
	s_delay_alu instid0(VALU_DEP_2) | instskip(SKIP_2) | instid1(VALU_DEP_1)
	v_rcp_f64_e32 v[202:203], v[200:201]
	s_waitcnt_depctr 0xfff
	v_fma_f64 v[204:205], -v[200:201], v[202:203], 1.0
	v_fma_f64 v[202:203], v[202:203], v[204:205], v[202:203]
	s_delay_alu instid0(VALU_DEP_1) | instskip(NEXT) | instid1(VALU_DEP_1)
	v_fma_f64 v[204:205], -v[200:201], v[202:203], 1.0
	v_fma_f64 v[202:203], v[202:203], v[204:205], v[202:203]
	s_delay_alu instid0(VALU_DEP_1) | instskip(NEXT) | instid1(VALU_DEP_1)
	v_mul_f64 v[204:205], v[206:207], v[202:203]
	v_fma_f64 v[200:201], -v[200:201], v[204:205], v[206:207]
	s_delay_alu instid0(VALU_DEP_1) | instskip(NEXT) | instid1(VALU_DEP_1)
	v_div_fmas_f64 v[200:201], v[200:201], v[202:203], v[204:205]
	v_div_fixup_f64 v[200:201], v[200:201], v[198:199], v[196:197]
	s_delay_alu instid0(VALU_DEP_1) | instskip(NEXT) | instid1(VALU_DEP_1)
	v_fma_f64 v[196:197], v[196:197], v[200:201], v[198:199]
	v_div_scale_f64 v[198:199], null, v[196:197], v[196:197], 1.0
	s_delay_alu instid0(VALU_DEP_1) | instskip(SKIP_2) | instid1(VALU_DEP_1)
	v_rcp_f64_e32 v[202:203], v[198:199]
	s_waitcnt_depctr 0xfff
	v_fma_f64 v[204:205], -v[198:199], v[202:203], 1.0
	v_fma_f64 v[202:203], v[202:203], v[204:205], v[202:203]
	s_delay_alu instid0(VALU_DEP_1) | instskip(NEXT) | instid1(VALU_DEP_1)
	v_fma_f64 v[204:205], -v[198:199], v[202:203], 1.0
	v_fma_f64 v[202:203], v[202:203], v[204:205], v[202:203]
	v_div_scale_f64 v[204:205], vcc_lo, 1.0, v[196:197], 1.0
	s_delay_alu instid0(VALU_DEP_1) | instskip(NEXT) | instid1(VALU_DEP_1)
	v_mul_f64 v[206:207], v[204:205], v[202:203]
	v_fma_f64 v[198:199], -v[198:199], v[206:207], v[204:205]
	s_delay_alu instid0(VALU_DEP_1) | instskip(NEXT) | instid1(VALU_DEP_1)
	v_div_fmas_f64 v[198:199], v[198:199], v[202:203], v[206:207]
	v_div_fixup_f64 v[202:203], v[198:199], v[196:197], 1.0
                                        ; implicit-def: $vgpr196_vgpr197
	s_delay_alu instid0(VALU_DEP_1)
	v_mul_f64 v[204:205], v[200:201], v[202:203]
	v_xor_b32_e32 v203, 0x80000000, v203
.LBB97_284:
	s_and_not1_saveexec_b32 s3, s3
	s_cbranch_execz .LBB97_286
; %bb.285:
	v_div_scale_f64 v[200:201], null, v[196:197], v[196:197], v[198:199]
	v_div_scale_f64 v[206:207], vcc_lo, v[198:199], v[196:197], v[198:199]
	s_delay_alu instid0(VALU_DEP_2) | instskip(SKIP_2) | instid1(VALU_DEP_1)
	v_rcp_f64_e32 v[202:203], v[200:201]
	s_waitcnt_depctr 0xfff
	v_fma_f64 v[204:205], -v[200:201], v[202:203], 1.0
	v_fma_f64 v[202:203], v[202:203], v[204:205], v[202:203]
	s_delay_alu instid0(VALU_DEP_1) | instskip(NEXT) | instid1(VALU_DEP_1)
	v_fma_f64 v[204:205], -v[200:201], v[202:203], 1.0
	v_fma_f64 v[202:203], v[202:203], v[204:205], v[202:203]
	s_delay_alu instid0(VALU_DEP_1) | instskip(NEXT) | instid1(VALU_DEP_1)
	v_mul_f64 v[204:205], v[206:207], v[202:203]
	v_fma_f64 v[200:201], -v[200:201], v[204:205], v[206:207]
	s_delay_alu instid0(VALU_DEP_1) | instskip(NEXT) | instid1(VALU_DEP_1)
	v_div_fmas_f64 v[200:201], v[200:201], v[202:203], v[204:205]
	v_div_fixup_f64 v[200:201], v[200:201], v[196:197], v[198:199]
	s_delay_alu instid0(VALU_DEP_1) | instskip(NEXT) | instid1(VALU_DEP_1)
	v_fma_f64 v[196:197], v[198:199], v[200:201], v[196:197]
	v_div_scale_f64 v[198:199], null, v[196:197], v[196:197], 1.0
	s_delay_alu instid0(VALU_DEP_1) | instskip(SKIP_2) | instid1(VALU_DEP_1)
	v_rcp_f64_e32 v[202:203], v[198:199]
	s_waitcnt_depctr 0xfff
	v_fma_f64 v[204:205], -v[198:199], v[202:203], 1.0
	v_fma_f64 v[202:203], v[202:203], v[204:205], v[202:203]
	s_delay_alu instid0(VALU_DEP_1) | instskip(NEXT) | instid1(VALU_DEP_1)
	v_fma_f64 v[204:205], -v[198:199], v[202:203], 1.0
	v_fma_f64 v[202:203], v[202:203], v[204:205], v[202:203]
	v_div_scale_f64 v[204:205], vcc_lo, 1.0, v[196:197], 1.0
	s_delay_alu instid0(VALU_DEP_1) | instskip(NEXT) | instid1(VALU_DEP_1)
	v_mul_f64 v[206:207], v[204:205], v[202:203]
	v_fma_f64 v[198:199], -v[198:199], v[206:207], v[204:205]
	s_delay_alu instid0(VALU_DEP_1) | instskip(NEXT) | instid1(VALU_DEP_1)
	v_div_fmas_f64 v[198:199], v[198:199], v[202:203], v[206:207]
	v_div_fixup_f64 v[204:205], v[198:199], v[196:197], 1.0
	s_delay_alu instid0(VALU_DEP_1)
	v_mul_f64 v[202:203], v[200:201], -v[204:205]
.LBB97_286:
	s_or_b32 exec_lo, exec_lo, s3
	ds_store_2addr_b64 v215, v[204:205], v[202:203] offset1:1
.LBB97_287:
	s_or_b32 exec_lo, exec_lo, s4
	s_waitcnt lgkmcnt(0)
	s_barrier
	buffer_gl0_inv
	ds_load_2addr_b64 v[196:199], v215 offset1:1
	s_mov_b32 s3, exec_lo
	s_waitcnt lgkmcnt(0)
	scratch_store_b128 off, v[196:199], off offset:848 ; 16-byte Folded Spill
	v_cmpx_lt_u32_e32 31, v214
	s_cbranch_execz .LBB97_289
; %bb.288:
	scratch_load_b128 v[198:201], off, off offset:848 ; 16-byte Folded Reload
	s_waitcnt vmcnt(0)
	v_mul_f64 v[196:197], v[200:201], v[70:71]
	v_mul_f64 v[70:71], v[198:199], v[70:71]
	s_delay_alu instid0(VALU_DEP_2) | instskip(NEXT) | instid1(VALU_DEP_2)
	v_fma_f64 v[196:197], v[198:199], v[68:69], -v[196:197]
	v_fma_f64 v[70:71], v[200:201], v[68:69], v[70:71]
	ds_load_2addr_b64 v[198:201], v216 offset0:64 offset1:65
	s_waitcnt lgkmcnt(0)
	v_mul_f64 v[68:69], v[200:201], v[70:71]
	s_delay_alu instid0(VALU_DEP_1) | instskip(SKIP_1) | instid1(VALU_DEP_2)
	v_fma_f64 v[68:69], v[198:199], v[196:197], -v[68:69]
	v_mul_f64 v[198:199], v[198:199], v[70:71]
	v_add_f64 v[64:65], v[64:65], -v[68:69]
	s_delay_alu instid0(VALU_DEP_2) | instskip(NEXT) | instid1(VALU_DEP_1)
	v_fma_f64 v[198:199], v[200:201], v[196:197], v[198:199]
	v_add_f64 v[66:67], v[66:67], -v[198:199]
	ds_load_2addr_b64 v[198:201], v216 offset0:66 offset1:67
	s_waitcnt lgkmcnt(0)
	v_mul_f64 v[68:69], v[200:201], v[70:71]
	s_delay_alu instid0(VALU_DEP_1) | instskip(SKIP_1) | instid1(VALU_DEP_2)
	v_fma_f64 v[68:69], v[198:199], v[196:197], -v[68:69]
	v_mul_f64 v[198:199], v[198:199], v[70:71]
	v_add_f64 v[60:61], v[60:61], -v[68:69]
	s_delay_alu instid0(VALU_DEP_2) | instskip(NEXT) | instid1(VALU_DEP_1)
	v_fma_f64 v[198:199], v[200:201], v[196:197], v[198:199]
	v_add_f64 v[62:63], v[62:63], -v[198:199]
	;; [unrolled: 10-line block ×16, first 2 shown]
	ds_load_2addr_b64 v[198:201], v216 offset0:96 offset1:97
	s_waitcnt lgkmcnt(0)
	v_mul_f64 v[68:69], v[200:201], v[70:71]
	s_delay_alu instid0(VALU_DEP_1) | instskip(SKIP_1) | instid1(VALU_DEP_2)
	v_fma_f64 v[68:69], v[198:199], v[196:197], -v[68:69]
	v_mul_f64 v[198:199], v[198:199], v[70:71]
	v_add_f64 v[0:1], v[0:1], -v[68:69]
	s_delay_alu instid0(VALU_DEP_2) | instskip(SKIP_1) | instid1(VALU_DEP_2)
	v_fma_f64 v[198:199], v[200:201], v[196:197], v[198:199]
	v_dual_mov_b32 v68, v196 :: v_dual_mov_b32 v69, v197
	v_add_f64 v[2:3], v[2:3], -v[198:199]
.LBB97_289:
	s_or_b32 exec_lo, exec_lo, s3
	s_delay_alu instid0(SALU_CYCLE_1)
	s_mov_b32 s4, exec_lo
	s_waitcnt_vscnt null, 0x0
	s_barrier
	buffer_gl0_inv
	v_cmpx_eq_u32_e32 32, v214
	s_cbranch_execz .LBB97_296
; %bb.290:
	ds_store_2addr_b64 v215, v[64:65], v[66:67] offset1:1
	ds_store_2addr_b64 v216, v[60:61], v[62:63] offset0:66 offset1:67
	ds_store_2addr_b64 v216, v[56:57], v[58:59] offset0:68 offset1:69
	;; [unrolled: 1-line block ×16, first 2 shown]
	ds_load_2addr_b64 v[196:199], v215 offset1:1
	s_waitcnt lgkmcnt(0)
	v_cmp_neq_f64_e32 vcc_lo, 0, v[196:197]
	v_cmp_neq_f64_e64 s3, 0, v[198:199]
	s_delay_alu instid0(VALU_DEP_1) | instskip(NEXT) | instid1(SALU_CYCLE_1)
	s_or_b32 s3, vcc_lo, s3
	s_and_b32 exec_lo, exec_lo, s3
	s_cbranch_execz .LBB97_296
; %bb.291:
	v_cmp_gt_f64_e32 vcc_lo, 0, v[196:197]
	v_xor_b32_e32 v200, 0x80000000, v197
	v_xor_b32_e32 v202, 0x80000000, v199
	s_mov_b32 s3, exec_lo
                                        ; implicit-def: $vgpr204_vgpr205
	s_delay_alu instid0(VALU_DEP_2) | instskip(SKIP_4) | instid1(VALU_DEP_1)
	v_cndmask_b32_e32 v201, v197, v200, vcc_lo
	v_cndmask_b32_e32 v200, v196, v196, vcc_lo
	v_cmp_gt_f64_e32 vcc_lo, 0, v[198:199]
	v_cndmask_b32_e32 v203, v199, v202, vcc_lo
	v_cndmask_b32_e32 v202, v198, v198, vcc_lo
	v_cmpx_ngt_f64_e32 v[200:201], v[202:203]
	s_xor_b32 s3, exec_lo, s3
                                        ; implicit-def: $vgpr200_vgpr201_vgpr202_vgpr203
	s_cbranch_execz .LBB97_293
; %bb.292:
	v_div_scale_f64 v[200:201], null, v[198:199], v[198:199], v[196:197]
	v_div_scale_f64 v[206:207], vcc_lo, v[196:197], v[198:199], v[196:197]
	s_delay_alu instid0(VALU_DEP_2) | instskip(SKIP_2) | instid1(VALU_DEP_1)
	v_rcp_f64_e32 v[202:203], v[200:201]
	s_waitcnt_depctr 0xfff
	v_fma_f64 v[204:205], -v[200:201], v[202:203], 1.0
	v_fma_f64 v[202:203], v[202:203], v[204:205], v[202:203]
	s_delay_alu instid0(VALU_DEP_1) | instskip(NEXT) | instid1(VALU_DEP_1)
	v_fma_f64 v[204:205], -v[200:201], v[202:203], 1.0
	v_fma_f64 v[202:203], v[202:203], v[204:205], v[202:203]
	s_delay_alu instid0(VALU_DEP_1) | instskip(NEXT) | instid1(VALU_DEP_1)
	v_mul_f64 v[204:205], v[206:207], v[202:203]
	v_fma_f64 v[200:201], -v[200:201], v[204:205], v[206:207]
	s_delay_alu instid0(VALU_DEP_1) | instskip(NEXT) | instid1(VALU_DEP_1)
	v_div_fmas_f64 v[200:201], v[200:201], v[202:203], v[204:205]
	v_div_fixup_f64 v[200:201], v[200:201], v[198:199], v[196:197]
	s_delay_alu instid0(VALU_DEP_1) | instskip(NEXT) | instid1(VALU_DEP_1)
	v_fma_f64 v[196:197], v[196:197], v[200:201], v[198:199]
	v_div_scale_f64 v[198:199], null, v[196:197], v[196:197], 1.0
	s_delay_alu instid0(VALU_DEP_1) | instskip(SKIP_2) | instid1(VALU_DEP_1)
	v_rcp_f64_e32 v[202:203], v[198:199]
	s_waitcnt_depctr 0xfff
	v_fma_f64 v[204:205], -v[198:199], v[202:203], 1.0
	v_fma_f64 v[202:203], v[202:203], v[204:205], v[202:203]
	s_delay_alu instid0(VALU_DEP_1) | instskip(NEXT) | instid1(VALU_DEP_1)
	v_fma_f64 v[204:205], -v[198:199], v[202:203], 1.0
	v_fma_f64 v[202:203], v[202:203], v[204:205], v[202:203]
	v_div_scale_f64 v[204:205], vcc_lo, 1.0, v[196:197], 1.0
	s_delay_alu instid0(VALU_DEP_1) | instskip(NEXT) | instid1(VALU_DEP_1)
	v_mul_f64 v[206:207], v[204:205], v[202:203]
	v_fma_f64 v[198:199], -v[198:199], v[206:207], v[204:205]
	s_delay_alu instid0(VALU_DEP_1) | instskip(NEXT) | instid1(VALU_DEP_1)
	v_div_fmas_f64 v[198:199], v[198:199], v[202:203], v[206:207]
	v_div_fixup_f64 v[202:203], v[198:199], v[196:197], 1.0
                                        ; implicit-def: $vgpr196_vgpr197
	s_delay_alu instid0(VALU_DEP_1)
	v_mul_f64 v[204:205], v[200:201], v[202:203]
	v_xor_b32_e32 v203, 0x80000000, v203
.LBB97_293:
	s_and_not1_saveexec_b32 s3, s3
	s_cbranch_execz .LBB97_295
; %bb.294:
	v_div_scale_f64 v[200:201], null, v[196:197], v[196:197], v[198:199]
	v_div_scale_f64 v[206:207], vcc_lo, v[198:199], v[196:197], v[198:199]
	s_delay_alu instid0(VALU_DEP_2) | instskip(SKIP_2) | instid1(VALU_DEP_1)
	v_rcp_f64_e32 v[202:203], v[200:201]
	s_waitcnt_depctr 0xfff
	v_fma_f64 v[204:205], -v[200:201], v[202:203], 1.0
	v_fma_f64 v[202:203], v[202:203], v[204:205], v[202:203]
	s_delay_alu instid0(VALU_DEP_1) | instskip(NEXT) | instid1(VALU_DEP_1)
	v_fma_f64 v[204:205], -v[200:201], v[202:203], 1.0
	v_fma_f64 v[202:203], v[202:203], v[204:205], v[202:203]
	s_delay_alu instid0(VALU_DEP_1) | instskip(NEXT) | instid1(VALU_DEP_1)
	v_mul_f64 v[204:205], v[206:207], v[202:203]
	v_fma_f64 v[200:201], -v[200:201], v[204:205], v[206:207]
	s_delay_alu instid0(VALU_DEP_1) | instskip(NEXT) | instid1(VALU_DEP_1)
	v_div_fmas_f64 v[200:201], v[200:201], v[202:203], v[204:205]
	v_div_fixup_f64 v[200:201], v[200:201], v[196:197], v[198:199]
	s_delay_alu instid0(VALU_DEP_1) | instskip(NEXT) | instid1(VALU_DEP_1)
	v_fma_f64 v[196:197], v[198:199], v[200:201], v[196:197]
	v_div_scale_f64 v[198:199], null, v[196:197], v[196:197], 1.0
	s_delay_alu instid0(VALU_DEP_1) | instskip(SKIP_2) | instid1(VALU_DEP_1)
	v_rcp_f64_e32 v[202:203], v[198:199]
	s_waitcnt_depctr 0xfff
	v_fma_f64 v[204:205], -v[198:199], v[202:203], 1.0
	v_fma_f64 v[202:203], v[202:203], v[204:205], v[202:203]
	s_delay_alu instid0(VALU_DEP_1) | instskip(NEXT) | instid1(VALU_DEP_1)
	v_fma_f64 v[204:205], -v[198:199], v[202:203], 1.0
	v_fma_f64 v[202:203], v[202:203], v[204:205], v[202:203]
	v_div_scale_f64 v[204:205], vcc_lo, 1.0, v[196:197], 1.0
	s_delay_alu instid0(VALU_DEP_1) | instskip(NEXT) | instid1(VALU_DEP_1)
	v_mul_f64 v[206:207], v[204:205], v[202:203]
	v_fma_f64 v[198:199], -v[198:199], v[206:207], v[204:205]
	s_delay_alu instid0(VALU_DEP_1) | instskip(NEXT) | instid1(VALU_DEP_1)
	v_div_fmas_f64 v[198:199], v[198:199], v[202:203], v[206:207]
	v_div_fixup_f64 v[204:205], v[198:199], v[196:197], 1.0
	s_delay_alu instid0(VALU_DEP_1)
	v_mul_f64 v[202:203], v[200:201], -v[204:205]
.LBB97_295:
	s_or_b32 exec_lo, exec_lo, s3
	ds_store_2addr_b64 v215, v[204:205], v[202:203] offset1:1
.LBB97_296:
	s_or_b32 exec_lo, exec_lo, s4
	s_waitcnt lgkmcnt(0)
	s_barrier
	buffer_gl0_inv
	ds_load_2addr_b64 v[196:199], v215 offset1:1
	s_mov_b32 s3, exec_lo
	s_waitcnt lgkmcnt(0)
	scratch_store_b128 off, v[196:199], off offset:864 ; 16-byte Folded Spill
	v_cmpx_lt_u32_e32 32, v214
	s_cbranch_execz .LBB97_298
; %bb.297:
	scratch_load_b128 v[198:201], off, off offset:864 ; 16-byte Folded Reload
	s_waitcnt vmcnt(0)
	v_mul_f64 v[196:197], v[198:199], v[66:67]
	v_mul_f64 v[66:67], v[200:201], v[66:67]
	s_delay_alu instid0(VALU_DEP_2) | instskip(NEXT) | instid1(VALU_DEP_2)
	v_fma_f64 v[196:197], v[200:201], v[64:65], v[196:197]
	v_fma_f64 v[64:65], v[198:199], v[64:65], -v[66:67]
	ds_load_2addr_b64 v[198:201], v216 offset0:66 offset1:67
	s_waitcnt lgkmcnt(0)
	v_mul_f64 v[66:67], v[200:201], v[196:197]
	s_delay_alu instid0(VALU_DEP_1) | instskip(SKIP_1) | instid1(VALU_DEP_2)
	v_fma_f64 v[66:67], v[198:199], v[64:65], -v[66:67]
	v_mul_f64 v[198:199], v[198:199], v[196:197]
	v_add_f64 v[60:61], v[60:61], -v[66:67]
	s_delay_alu instid0(VALU_DEP_2) | instskip(NEXT) | instid1(VALU_DEP_1)
	v_fma_f64 v[198:199], v[200:201], v[64:65], v[198:199]
	v_add_f64 v[62:63], v[62:63], -v[198:199]
	ds_load_2addr_b64 v[198:201], v216 offset0:68 offset1:69
	s_waitcnt lgkmcnt(0)
	v_mul_f64 v[66:67], v[200:201], v[196:197]
	s_delay_alu instid0(VALU_DEP_1) | instskip(SKIP_1) | instid1(VALU_DEP_2)
	v_fma_f64 v[66:67], v[198:199], v[64:65], -v[66:67]
	v_mul_f64 v[198:199], v[198:199], v[196:197]
	v_add_f64 v[56:57], v[56:57], -v[66:67]
	s_delay_alu instid0(VALU_DEP_2) | instskip(NEXT) | instid1(VALU_DEP_1)
	v_fma_f64 v[198:199], v[200:201], v[64:65], v[198:199]
	v_add_f64 v[58:59], v[58:59], -v[198:199]
	;; [unrolled: 10-line block ×15, first 2 shown]
	ds_load_2addr_b64 v[198:201], v216 offset0:96 offset1:97
	s_waitcnt lgkmcnt(0)
	v_mul_f64 v[66:67], v[200:201], v[196:197]
	s_delay_alu instid0(VALU_DEP_1) | instskip(SKIP_1) | instid1(VALU_DEP_2)
	v_fma_f64 v[66:67], v[198:199], v[64:65], -v[66:67]
	v_mul_f64 v[198:199], v[198:199], v[196:197]
	v_add_f64 v[0:1], v[0:1], -v[66:67]
	s_delay_alu instid0(VALU_DEP_2) | instskip(SKIP_1) | instid1(VALU_DEP_2)
	v_fma_f64 v[198:199], v[200:201], v[64:65], v[198:199]
	v_dual_mov_b32 v66, v196 :: v_dual_mov_b32 v67, v197
	v_add_f64 v[2:3], v[2:3], -v[198:199]
.LBB97_298:
	s_or_b32 exec_lo, exec_lo, s3
	s_delay_alu instid0(SALU_CYCLE_1)
	s_mov_b32 s4, exec_lo
	s_waitcnt_vscnt null, 0x0
	s_barrier
	buffer_gl0_inv
	v_cmpx_eq_u32_e32 33, v214
	s_cbranch_execz .LBB97_305
; %bb.299:
	ds_store_2addr_b64 v215, v[60:61], v[62:63] offset1:1
	ds_store_2addr_b64 v216, v[56:57], v[58:59] offset0:68 offset1:69
	ds_store_2addr_b64 v216, v[52:53], v[54:55] offset0:70 offset1:71
	;; [unrolled: 1-line block ×15, first 2 shown]
	ds_load_2addr_b64 v[196:199], v215 offset1:1
	s_waitcnt lgkmcnt(0)
	v_cmp_neq_f64_e32 vcc_lo, 0, v[196:197]
	v_cmp_neq_f64_e64 s3, 0, v[198:199]
	s_delay_alu instid0(VALU_DEP_1) | instskip(NEXT) | instid1(SALU_CYCLE_1)
	s_or_b32 s3, vcc_lo, s3
	s_and_b32 exec_lo, exec_lo, s3
	s_cbranch_execz .LBB97_305
; %bb.300:
	v_cmp_gt_f64_e32 vcc_lo, 0, v[196:197]
	v_xor_b32_e32 v200, 0x80000000, v197
	v_xor_b32_e32 v202, 0x80000000, v199
	s_mov_b32 s3, exec_lo
                                        ; implicit-def: $vgpr204_vgpr205
	s_delay_alu instid0(VALU_DEP_2) | instskip(SKIP_4) | instid1(VALU_DEP_1)
	v_cndmask_b32_e32 v201, v197, v200, vcc_lo
	v_cndmask_b32_e32 v200, v196, v196, vcc_lo
	v_cmp_gt_f64_e32 vcc_lo, 0, v[198:199]
	v_cndmask_b32_e32 v203, v199, v202, vcc_lo
	v_cndmask_b32_e32 v202, v198, v198, vcc_lo
	v_cmpx_ngt_f64_e32 v[200:201], v[202:203]
	s_xor_b32 s3, exec_lo, s3
                                        ; implicit-def: $vgpr200_vgpr201_vgpr202_vgpr203
	s_cbranch_execz .LBB97_302
; %bb.301:
	v_div_scale_f64 v[200:201], null, v[198:199], v[198:199], v[196:197]
	v_div_scale_f64 v[206:207], vcc_lo, v[196:197], v[198:199], v[196:197]
	s_delay_alu instid0(VALU_DEP_2) | instskip(SKIP_2) | instid1(VALU_DEP_1)
	v_rcp_f64_e32 v[202:203], v[200:201]
	s_waitcnt_depctr 0xfff
	v_fma_f64 v[204:205], -v[200:201], v[202:203], 1.0
	v_fma_f64 v[202:203], v[202:203], v[204:205], v[202:203]
	s_delay_alu instid0(VALU_DEP_1) | instskip(NEXT) | instid1(VALU_DEP_1)
	v_fma_f64 v[204:205], -v[200:201], v[202:203], 1.0
	v_fma_f64 v[202:203], v[202:203], v[204:205], v[202:203]
	s_delay_alu instid0(VALU_DEP_1) | instskip(NEXT) | instid1(VALU_DEP_1)
	v_mul_f64 v[204:205], v[206:207], v[202:203]
	v_fma_f64 v[200:201], -v[200:201], v[204:205], v[206:207]
	s_delay_alu instid0(VALU_DEP_1) | instskip(NEXT) | instid1(VALU_DEP_1)
	v_div_fmas_f64 v[200:201], v[200:201], v[202:203], v[204:205]
	v_div_fixup_f64 v[200:201], v[200:201], v[198:199], v[196:197]
	s_delay_alu instid0(VALU_DEP_1) | instskip(NEXT) | instid1(VALU_DEP_1)
	v_fma_f64 v[196:197], v[196:197], v[200:201], v[198:199]
	v_div_scale_f64 v[198:199], null, v[196:197], v[196:197], 1.0
	s_delay_alu instid0(VALU_DEP_1) | instskip(SKIP_2) | instid1(VALU_DEP_1)
	v_rcp_f64_e32 v[202:203], v[198:199]
	s_waitcnt_depctr 0xfff
	v_fma_f64 v[204:205], -v[198:199], v[202:203], 1.0
	v_fma_f64 v[202:203], v[202:203], v[204:205], v[202:203]
	s_delay_alu instid0(VALU_DEP_1) | instskip(NEXT) | instid1(VALU_DEP_1)
	v_fma_f64 v[204:205], -v[198:199], v[202:203], 1.0
	v_fma_f64 v[202:203], v[202:203], v[204:205], v[202:203]
	v_div_scale_f64 v[204:205], vcc_lo, 1.0, v[196:197], 1.0
	s_delay_alu instid0(VALU_DEP_1) | instskip(NEXT) | instid1(VALU_DEP_1)
	v_mul_f64 v[206:207], v[204:205], v[202:203]
	v_fma_f64 v[198:199], -v[198:199], v[206:207], v[204:205]
	s_delay_alu instid0(VALU_DEP_1) | instskip(NEXT) | instid1(VALU_DEP_1)
	v_div_fmas_f64 v[198:199], v[198:199], v[202:203], v[206:207]
	v_div_fixup_f64 v[202:203], v[198:199], v[196:197], 1.0
                                        ; implicit-def: $vgpr196_vgpr197
	s_delay_alu instid0(VALU_DEP_1)
	v_mul_f64 v[204:205], v[200:201], v[202:203]
	v_xor_b32_e32 v203, 0x80000000, v203
.LBB97_302:
	s_and_not1_saveexec_b32 s3, s3
	s_cbranch_execz .LBB97_304
; %bb.303:
	v_div_scale_f64 v[200:201], null, v[196:197], v[196:197], v[198:199]
	v_div_scale_f64 v[206:207], vcc_lo, v[198:199], v[196:197], v[198:199]
	s_delay_alu instid0(VALU_DEP_2) | instskip(SKIP_2) | instid1(VALU_DEP_1)
	v_rcp_f64_e32 v[202:203], v[200:201]
	s_waitcnt_depctr 0xfff
	v_fma_f64 v[204:205], -v[200:201], v[202:203], 1.0
	v_fma_f64 v[202:203], v[202:203], v[204:205], v[202:203]
	s_delay_alu instid0(VALU_DEP_1) | instskip(NEXT) | instid1(VALU_DEP_1)
	v_fma_f64 v[204:205], -v[200:201], v[202:203], 1.0
	v_fma_f64 v[202:203], v[202:203], v[204:205], v[202:203]
	s_delay_alu instid0(VALU_DEP_1) | instskip(NEXT) | instid1(VALU_DEP_1)
	v_mul_f64 v[204:205], v[206:207], v[202:203]
	v_fma_f64 v[200:201], -v[200:201], v[204:205], v[206:207]
	s_delay_alu instid0(VALU_DEP_1) | instskip(NEXT) | instid1(VALU_DEP_1)
	v_div_fmas_f64 v[200:201], v[200:201], v[202:203], v[204:205]
	v_div_fixup_f64 v[200:201], v[200:201], v[196:197], v[198:199]
	s_delay_alu instid0(VALU_DEP_1) | instskip(NEXT) | instid1(VALU_DEP_1)
	v_fma_f64 v[196:197], v[198:199], v[200:201], v[196:197]
	v_div_scale_f64 v[198:199], null, v[196:197], v[196:197], 1.0
	s_delay_alu instid0(VALU_DEP_1) | instskip(SKIP_2) | instid1(VALU_DEP_1)
	v_rcp_f64_e32 v[202:203], v[198:199]
	s_waitcnt_depctr 0xfff
	v_fma_f64 v[204:205], -v[198:199], v[202:203], 1.0
	v_fma_f64 v[202:203], v[202:203], v[204:205], v[202:203]
	s_delay_alu instid0(VALU_DEP_1) | instskip(NEXT) | instid1(VALU_DEP_1)
	v_fma_f64 v[204:205], -v[198:199], v[202:203], 1.0
	v_fma_f64 v[202:203], v[202:203], v[204:205], v[202:203]
	v_div_scale_f64 v[204:205], vcc_lo, 1.0, v[196:197], 1.0
	s_delay_alu instid0(VALU_DEP_1) | instskip(NEXT) | instid1(VALU_DEP_1)
	v_mul_f64 v[206:207], v[204:205], v[202:203]
	v_fma_f64 v[198:199], -v[198:199], v[206:207], v[204:205]
	s_delay_alu instid0(VALU_DEP_1) | instskip(NEXT) | instid1(VALU_DEP_1)
	v_div_fmas_f64 v[198:199], v[198:199], v[202:203], v[206:207]
	v_div_fixup_f64 v[204:205], v[198:199], v[196:197], 1.0
	s_delay_alu instid0(VALU_DEP_1)
	v_mul_f64 v[202:203], v[200:201], -v[204:205]
.LBB97_304:
	s_or_b32 exec_lo, exec_lo, s3
	ds_store_2addr_b64 v215, v[204:205], v[202:203] offset1:1
.LBB97_305:
	s_or_b32 exec_lo, exec_lo, s4
	s_waitcnt lgkmcnt(0)
	s_barrier
	buffer_gl0_inv
	ds_load_2addr_b64 v[196:199], v215 offset1:1
	s_mov_b32 s3, exec_lo
	s_waitcnt lgkmcnt(0)
	scratch_store_b128 off, v[196:199], off offset:880 ; 16-byte Folded Spill
	v_cmpx_lt_u32_e32 33, v214
	s_cbranch_execz .LBB97_307
; %bb.306:
	scratch_load_b128 v[198:201], off, off offset:880 ; 16-byte Folded Reload
	s_waitcnt vmcnt(0)
	v_mul_f64 v[196:197], v[198:199], v[62:63]
	v_mul_f64 v[62:63], v[200:201], v[62:63]
	s_delay_alu instid0(VALU_DEP_2) | instskip(NEXT) | instid1(VALU_DEP_2)
	v_fma_f64 v[196:197], v[200:201], v[60:61], v[196:197]
	v_fma_f64 v[60:61], v[198:199], v[60:61], -v[62:63]
	ds_load_2addr_b64 v[198:201], v216 offset0:68 offset1:69
	s_waitcnt lgkmcnt(0)
	v_mul_f64 v[62:63], v[200:201], v[196:197]
	s_delay_alu instid0(VALU_DEP_1) | instskip(SKIP_1) | instid1(VALU_DEP_2)
	v_fma_f64 v[62:63], v[198:199], v[60:61], -v[62:63]
	v_mul_f64 v[198:199], v[198:199], v[196:197]
	v_add_f64 v[56:57], v[56:57], -v[62:63]
	s_delay_alu instid0(VALU_DEP_2) | instskip(NEXT) | instid1(VALU_DEP_1)
	v_fma_f64 v[198:199], v[200:201], v[60:61], v[198:199]
	v_add_f64 v[58:59], v[58:59], -v[198:199]
	ds_load_2addr_b64 v[198:201], v216 offset0:70 offset1:71
	s_waitcnt lgkmcnt(0)
	v_mul_f64 v[62:63], v[200:201], v[196:197]
	s_delay_alu instid0(VALU_DEP_1) | instskip(SKIP_1) | instid1(VALU_DEP_2)
	v_fma_f64 v[62:63], v[198:199], v[60:61], -v[62:63]
	v_mul_f64 v[198:199], v[198:199], v[196:197]
	v_add_f64 v[52:53], v[52:53], -v[62:63]
	s_delay_alu instid0(VALU_DEP_2) | instskip(NEXT) | instid1(VALU_DEP_1)
	v_fma_f64 v[198:199], v[200:201], v[60:61], v[198:199]
	v_add_f64 v[54:55], v[54:55], -v[198:199]
	;; [unrolled: 10-line block ×14, first 2 shown]
	ds_load_2addr_b64 v[198:201], v216 offset0:96 offset1:97
	s_waitcnt lgkmcnt(0)
	v_mul_f64 v[62:63], v[200:201], v[196:197]
	s_delay_alu instid0(VALU_DEP_1) | instskip(SKIP_1) | instid1(VALU_DEP_2)
	v_fma_f64 v[62:63], v[198:199], v[60:61], -v[62:63]
	v_mul_f64 v[198:199], v[198:199], v[196:197]
	v_add_f64 v[0:1], v[0:1], -v[62:63]
	s_delay_alu instid0(VALU_DEP_2) | instskip(SKIP_1) | instid1(VALU_DEP_2)
	v_fma_f64 v[198:199], v[200:201], v[60:61], v[198:199]
	v_dual_mov_b32 v62, v196 :: v_dual_mov_b32 v63, v197
	v_add_f64 v[2:3], v[2:3], -v[198:199]
.LBB97_307:
	s_or_b32 exec_lo, exec_lo, s3
	s_delay_alu instid0(SALU_CYCLE_1)
	s_mov_b32 s4, exec_lo
	s_waitcnt_vscnt null, 0x0
	s_barrier
	buffer_gl0_inv
	v_cmpx_eq_u32_e32 34, v214
	s_cbranch_execz .LBB97_314
; %bb.308:
	ds_store_2addr_b64 v215, v[56:57], v[58:59] offset1:1
	ds_store_2addr_b64 v216, v[52:53], v[54:55] offset0:70 offset1:71
	ds_store_2addr_b64 v216, v[48:49], v[50:51] offset0:72 offset1:73
	;; [unrolled: 1-line block ×14, first 2 shown]
	ds_load_2addr_b64 v[196:199], v215 offset1:1
	s_waitcnt lgkmcnt(0)
	v_cmp_neq_f64_e32 vcc_lo, 0, v[196:197]
	v_cmp_neq_f64_e64 s3, 0, v[198:199]
	s_delay_alu instid0(VALU_DEP_1) | instskip(NEXT) | instid1(SALU_CYCLE_1)
	s_or_b32 s3, vcc_lo, s3
	s_and_b32 exec_lo, exec_lo, s3
	s_cbranch_execz .LBB97_314
; %bb.309:
	v_cmp_gt_f64_e32 vcc_lo, 0, v[196:197]
	v_xor_b32_e32 v200, 0x80000000, v197
	v_xor_b32_e32 v202, 0x80000000, v199
	s_mov_b32 s3, exec_lo
                                        ; implicit-def: $vgpr204_vgpr205
	s_delay_alu instid0(VALU_DEP_2) | instskip(SKIP_4) | instid1(VALU_DEP_1)
	v_cndmask_b32_e32 v201, v197, v200, vcc_lo
	v_cndmask_b32_e32 v200, v196, v196, vcc_lo
	v_cmp_gt_f64_e32 vcc_lo, 0, v[198:199]
	v_cndmask_b32_e32 v203, v199, v202, vcc_lo
	v_cndmask_b32_e32 v202, v198, v198, vcc_lo
	v_cmpx_ngt_f64_e32 v[200:201], v[202:203]
	s_xor_b32 s3, exec_lo, s3
                                        ; implicit-def: $vgpr200_vgpr201_vgpr202_vgpr203
	s_cbranch_execz .LBB97_311
; %bb.310:
	v_div_scale_f64 v[200:201], null, v[198:199], v[198:199], v[196:197]
	v_div_scale_f64 v[206:207], vcc_lo, v[196:197], v[198:199], v[196:197]
	s_delay_alu instid0(VALU_DEP_2) | instskip(SKIP_2) | instid1(VALU_DEP_1)
	v_rcp_f64_e32 v[202:203], v[200:201]
	s_waitcnt_depctr 0xfff
	v_fma_f64 v[204:205], -v[200:201], v[202:203], 1.0
	v_fma_f64 v[202:203], v[202:203], v[204:205], v[202:203]
	s_delay_alu instid0(VALU_DEP_1) | instskip(NEXT) | instid1(VALU_DEP_1)
	v_fma_f64 v[204:205], -v[200:201], v[202:203], 1.0
	v_fma_f64 v[202:203], v[202:203], v[204:205], v[202:203]
	s_delay_alu instid0(VALU_DEP_1) | instskip(NEXT) | instid1(VALU_DEP_1)
	v_mul_f64 v[204:205], v[206:207], v[202:203]
	v_fma_f64 v[200:201], -v[200:201], v[204:205], v[206:207]
	s_delay_alu instid0(VALU_DEP_1) | instskip(NEXT) | instid1(VALU_DEP_1)
	v_div_fmas_f64 v[200:201], v[200:201], v[202:203], v[204:205]
	v_div_fixup_f64 v[200:201], v[200:201], v[198:199], v[196:197]
	s_delay_alu instid0(VALU_DEP_1) | instskip(NEXT) | instid1(VALU_DEP_1)
	v_fma_f64 v[196:197], v[196:197], v[200:201], v[198:199]
	v_div_scale_f64 v[198:199], null, v[196:197], v[196:197], 1.0
	s_delay_alu instid0(VALU_DEP_1) | instskip(SKIP_2) | instid1(VALU_DEP_1)
	v_rcp_f64_e32 v[202:203], v[198:199]
	s_waitcnt_depctr 0xfff
	v_fma_f64 v[204:205], -v[198:199], v[202:203], 1.0
	v_fma_f64 v[202:203], v[202:203], v[204:205], v[202:203]
	s_delay_alu instid0(VALU_DEP_1) | instskip(NEXT) | instid1(VALU_DEP_1)
	v_fma_f64 v[204:205], -v[198:199], v[202:203], 1.0
	v_fma_f64 v[202:203], v[202:203], v[204:205], v[202:203]
	v_div_scale_f64 v[204:205], vcc_lo, 1.0, v[196:197], 1.0
	s_delay_alu instid0(VALU_DEP_1) | instskip(NEXT) | instid1(VALU_DEP_1)
	v_mul_f64 v[206:207], v[204:205], v[202:203]
	v_fma_f64 v[198:199], -v[198:199], v[206:207], v[204:205]
	s_delay_alu instid0(VALU_DEP_1) | instskip(NEXT) | instid1(VALU_DEP_1)
	v_div_fmas_f64 v[198:199], v[198:199], v[202:203], v[206:207]
	v_div_fixup_f64 v[202:203], v[198:199], v[196:197], 1.0
                                        ; implicit-def: $vgpr196_vgpr197
	s_delay_alu instid0(VALU_DEP_1)
	v_mul_f64 v[204:205], v[200:201], v[202:203]
	v_xor_b32_e32 v203, 0x80000000, v203
.LBB97_311:
	s_and_not1_saveexec_b32 s3, s3
	s_cbranch_execz .LBB97_313
; %bb.312:
	v_div_scale_f64 v[200:201], null, v[196:197], v[196:197], v[198:199]
	v_div_scale_f64 v[206:207], vcc_lo, v[198:199], v[196:197], v[198:199]
	s_delay_alu instid0(VALU_DEP_2) | instskip(SKIP_2) | instid1(VALU_DEP_1)
	v_rcp_f64_e32 v[202:203], v[200:201]
	s_waitcnt_depctr 0xfff
	v_fma_f64 v[204:205], -v[200:201], v[202:203], 1.0
	v_fma_f64 v[202:203], v[202:203], v[204:205], v[202:203]
	s_delay_alu instid0(VALU_DEP_1) | instskip(NEXT) | instid1(VALU_DEP_1)
	v_fma_f64 v[204:205], -v[200:201], v[202:203], 1.0
	v_fma_f64 v[202:203], v[202:203], v[204:205], v[202:203]
	s_delay_alu instid0(VALU_DEP_1) | instskip(NEXT) | instid1(VALU_DEP_1)
	v_mul_f64 v[204:205], v[206:207], v[202:203]
	v_fma_f64 v[200:201], -v[200:201], v[204:205], v[206:207]
	s_delay_alu instid0(VALU_DEP_1) | instskip(NEXT) | instid1(VALU_DEP_1)
	v_div_fmas_f64 v[200:201], v[200:201], v[202:203], v[204:205]
	v_div_fixup_f64 v[200:201], v[200:201], v[196:197], v[198:199]
	s_delay_alu instid0(VALU_DEP_1) | instskip(NEXT) | instid1(VALU_DEP_1)
	v_fma_f64 v[196:197], v[198:199], v[200:201], v[196:197]
	v_div_scale_f64 v[198:199], null, v[196:197], v[196:197], 1.0
	s_delay_alu instid0(VALU_DEP_1) | instskip(SKIP_2) | instid1(VALU_DEP_1)
	v_rcp_f64_e32 v[202:203], v[198:199]
	s_waitcnt_depctr 0xfff
	v_fma_f64 v[204:205], -v[198:199], v[202:203], 1.0
	v_fma_f64 v[202:203], v[202:203], v[204:205], v[202:203]
	s_delay_alu instid0(VALU_DEP_1) | instskip(NEXT) | instid1(VALU_DEP_1)
	v_fma_f64 v[204:205], -v[198:199], v[202:203], 1.0
	v_fma_f64 v[202:203], v[202:203], v[204:205], v[202:203]
	v_div_scale_f64 v[204:205], vcc_lo, 1.0, v[196:197], 1.0
	s_delay_alu instid0(VALU_DEP_1) | instskip(NEXT) | instid1(VALU_DEP_1)
	v_mul_f64 v[206:207], v[204:205], v[202:203]
	v_fma_f64 v[198:199], -v[198:199], v[206:207], v[204:205]
	s_delay_alu instid0(VALU_DEP_1) | instskip(NEXT) | instid1(VALU_DEP_1)
	v_div_fmas_f64 v[198:199], v[198:199], v[202:203], v[206:207]
	v_div_fixup_f64 v[204:205], v[198:199], v[196:197], 1.0
	s_delay_alu instid0(VALU_DEP_1)
	v_mul_f64 v[202:203], v[200:201], -v[204:205]
.LBB97_313:
	s_or_b32 exec_lo, exec_lo, s3
	ds_store_2addr_b64 v215, v[204:205], v[202:203] offset1:1
.LBB97_314:
	s_or_b32 exec_lo, exec_lo, s4
	s_waitcnt lgkmcnt(0)
	s_barrier
	buffer_gl0_inv
	ds_load_2addr_b64 v[196:199], v215 offset1:1
	s_mov_b32 s3, exec_lo
	s_waitcnt lgkmcnt(0)
	scratch_store_b128 off, v[196:199], off offset:896 ; 16-byte Folded Spill
	v_cmpx_lt_u32_e32 34, v214
	s_cbranch_execz .LBB97_316
; %bb.315:
	scratch_load_b128 v[198:201], off, off offset:896 ; 16-byte Folded Reload
	s_waitcnt vmcnt(0)
	v_mul_f64 v[196:197], v[198:199], v[58:59]
	v_mul_f64 v[58:59], v[200:201], v[58:59]
	s_delay_alu instid0(VALU_DEP_2) | instskip(NEXT) | instid1(VALU_DEP_2)
	v_fma_f64 v[196:197], v[200:201], v[56:57], v[196:197]
	v_fma_f64 v[56:57], v[198:199], v[56:57], -v[58:59]
	ds_load_2addr_b64 v[198:201], v216 offset0:70 offset1:71
	s_waitcnt lgkmcnt(0)
	v_mul_f64 v[58:59], v[200:201], v[196:197]
	s_delay_alu instid0(VALU_DEP_1) | instskip(SKIP_1) | instid1(VALU_DEP_2)
	v_fma_f64 v[58:59], v[198:199], v[56:57], -v[58:59]
	v_mul_f64 v[198:199], v[198:199], v[196:197]
	v_add_f64 v[52:53], v[52:53], -v[58:59]
	s_delay_alu instid0(VALU_DEP_2) | instskip(NEXT) | instid1(VALU_DEP_1)
	v_fma_f64 v[198:199], v[200:201], v[56:57], v[198:199]
	v_add_f64 v[54:55], v[54:55], -v[198:199]
	ds_load_2addr_b64 v[198:201], v216 offset0:72 offset1:73
	s_waitcnt lgkmcnt(0)
	v_mul_f64 v[58:59], v[200:201], v[196:197]
	s_delay_alu instid0(VALU_DEP_1) | instskip(SKIP_1) | instid1(VALU_DEP_2)
	v_fma_f64 v[58:59], v[198:199], v[56:57], -v[58:59]
	v_mul_f64 v[198:199], v[198:199], v[196:197]
	v_add_f64 v[48:49], v[48:49], -v[58:59]
	s_delay_alu instid0(VALU_DEP_2) | instskip(NEXT) | instid1(VALU_DEP_1)
	v_fma_f64 v[198:199], v[200:201], v[56:57], v[198:199]
	v_add_f64 v[50:51], v[50:51], -v[198:199]
	;; [unrolled: 10-line block ×13, first 2 shown]
	ds_load_2addr_b64 v[198:201], v216 offset0:96 offset1:97
	s_waitcnt lgkmcnt(0)
	v_mul_f64 v[58:59], v[200:201], v[196:197]
	s_delay_alu instid0(VALU_DEP_1) | instskip(SKIP_1) | instid1(VALU_DEP_2)
	v_fma_f64 v[58:59], v[198:199], v[56:57], -v[58:59]
	v_mul_f64 v[198:199], v[198:199], v[196:197]
	v_add_f64 v[0:1], v[0:1], -v[58:59]
	s_delay_alu instid0(VALU_DEP_2) | instskip(SKIP_1) | instid1(VALU_DEP_2)
	v_fma_f64 v[198:199], v[200:201], v[56:57], v[198:199]
	v_dual_mov_b32 v58, v196 :: v_dual_mov_b32 v59, v197
	v_add_f64 v[2:3], v[2:3], -v[198:199]
.LBB97_316:
	s_or_b32 exec_lo, exec_lo, s3
	s_delay_alu instid0(SALU_CYCLE_1)
	s_mov_b32 s4, exec_lo
	s_waitcnt_vscnt null, 0x0
	s_barrier
	buffer_gl0_inv
	v_cmpx_eq_u32_e32 35, v214
	s_cbranch_execz .LBB97_323
; %bb.317:
	ds_store_2addr_b64 v215, v[52:53], v[54:55] offset1:1
	ds_store_2addr_b64 v216, v[48:49], v[50:51] offset0:72 offset1:73
	ds_store_2addr_b64 v216, v[44:45], v[46:47] offset0:74 offset1:75
	;; [unrolled: 1-line block ×13, first 2 shown]
	ds_load_2addr_b64 v[196:199], v215 offset1:1
	s_waitcnt lgkmcnt(0)
	v_cmp_neq_f64_e32 vcc_lo, 0, v[196:197]
	v_cmp_neq_f64_e64 s3, 0, v[198:199]
	s_delay_alu instid0(VALU_DEP_1) | instskip(NEXT) | instid1(SALU_CYCLE_1)
	s_or_b32 s3, vcc_lo, s3
	s_and_b32 exec_lo, exec_lo, s3
	s_cbranch_execz .LBB97_323
; %bb.318:
	v_cmp_gt_f64_e32 vcc_lo, 0, v[196:197]
	v_xor_b32_e32 v200, 0x80000000, v197
	v_xor_b32_e32 v202, 0x80000000, v199
	s_mov_b32 s3, exec_lo
                                        ; implicit-def: $vgpr204_vgpr205
	s_delay_alu instid0(VALU_DEP_2) | instskip(SKIP_4) | instid1(VALU_DEP_1)
	v_cndmask_b32_e32 v201, v197, v200, vcc_lo
	v_cndmask_b32_e32 v200, v196, v196, vcc_lo
	v_cmp_gt_f64_e32 vcc_lo, 0, v[198:199]
	v_cndmask_b32_e32 v203, v199, v202, vcc_lo
	v_cndmask_b32_e32 v202, v198, v198, vcc_lo
	v_cmpx_ngt_f64_e32 v[200:201], v[202:203]
	s_xor_b32 s3, exec_lo, s3
                                        ; implicit-def: $vgpr200_vgpr201_vgpr202_vgpr203
	s_cbranch_execz .LBB97_320
; %bb.319:
	v_div_scale_f64 v[200:201], null, v[198:199], v[198:199], v[196:197]
	v_div_scale_f64 v[206:207], vcc_lo, v[196:197], v[198:199], v[196:197]
	s_delay_alu instid0(VALU_DEP_2) | instskip(SKIP_2) | instid1(VALU_DEP_1)
	v_rcp_f64_e32 v[202:203], v[200:201]
	s_waitcnt_depctr 0xfff
	v_fma_f64 v[204:205], -v[200:201], v[202:203], 1.0
	v_fma_f64 v[202:203], v[202:203], v[204:205], v[202:203]
	s_delay_alu instid0(VALU_DEP_1) | instskip(NEXT) | instid1(VALU_DEP_1)
	v_fma_f64 v[204:205], -v[200:201], v[202:203], 1.0
	v_fma_f64 v[202:203], v[202:203], v[204:205], v[202:203]
	s_delay_alu instid0(VALU_DEP_1) | instskip(NEXT) | instid1(VALU_DEP_1)
	v_mul_f64 v[204:205], v[206:207], v[202:203]
	v_fma_f64 v[200:201], -v[200:201], v[204:205], v[206:207]
	s_delay_alu instid0(VALU_DEP_1) | instskip(NEXT) | instid1(VALU_DEP_1)
	v_div_fmas_f64 v[200:201], v[200:201], v[202:203], v[204:205]
	v_div_fixup_f64 v[200:201], v[200:201], v[198:199], v[196:197]
	s_delay_alu instid0(VALU_DEP_1) | instskip(NEXT) | instid1(VALU_DEP_1)
	v_fma_f64 v[196:197], v[196:197], v[200:201], v[198:199]
	v_div_scale_f64 v[198:199], null, v[196:197], v[196:197], 1.0
	s_delay_alu instid0(VALU_DEP_1) | instskip(SKIP_2) | instid1(VALU_DEP_1)
	v_rcp_f64_e32 v[202:203], v[198:199]
	s_waitcnt_depctr 0xfff
	v_fma_f64 v[204:205], -v[198:199], v[202:203], 1.0
	v_fma_f64 v[202:203], v[202:203], v[204:205], v[202:203]
	s_delay_alu instid0(VALU_DEP_1) | instskip(NEXT) | instid1(VALU_DEP_1)
	v_fma_f64 v[204:205], -v[198:199], v[202:203], 1.0
	v_fma_f64 v[202:203], v[202:203], v[204:205], v[202:203]
	v_div_scale_f64 v[204:205], vcc_lo, 1.0, v[196:197], 1.0
	s_delay_alu instid0(VALU_DEP_1) | instskip(NEXT) | instid1(VALU_DEP_1)
	v_mul_f64 v[206:207], v[204:205], v[202:203]
	v_fma_f64 v[198:199], -v[198:199], v[206:207], v[204:205]
	s_delay_alu instid0(VALU_DEP_1) | instskip(NEXT) | instid1(VALU_DEP_1)
	v_div_fmas_f64 v[198:199], v[198:199], v[202:203], v[206:207]
	v_div_fixup_f64 v[202:203], v[198:199], v[196:197], 1.0
                                        ; implicit-def: $vgpr196_vgpr197
	s_delay_alu instid0(VALU_DEP_1)
	v_mul_f64 v[204:205], v[200:201], v[202:203]
	v_xor_b32_e32 v203, 0x80000000, v203
.LBB97_320:
	s_and_not1_saveexec_b32 s3, s3
	s_cbranch_execz .LBB97_322
; %bb.321:
	v_div_scale_f64 v[200:201], null, v[196:197], v[196:197], v[198:199]
	v_div_scale_f64 v[206:207], vcc_lo, v[198:199], v[196:197], v[198:199]
	s_delay_alu instid0(VALU_DEP_2) | instskip(SKIP_2) | instid1(VALU_DEP_1)
	v_rcp_f64_e32 v[202:203], v[200:201]
	s_waitcnt_depctr 0xfff
	v_fma_f64 v[204:205], -v[200:201], v[202:203], 1.0
	v_fma_f64 v[202:203], v[202:203], v[204:205], v[202:203]
	s_delay_alu instid0(VALU_DEP_1) | instskip(NEXT) | instid1(VALU_DEP_1)
	v_fma_f64 v[204:205], -v[200:201], v[202:203], 1.0
	v_fma_f64 v[202:203], v[202:203], v[204:205], v[202:203]
	s_delay_alu instid0(VALU_DEP_1) | instskip(NEXT) | instid1(VALU_DEP_1)
	v_mul_f64 v[204:205], v[206:207], v[202:203]
	v_fma_f64 v[200:201], -v[200:201], v[204:205], v[206:207]
	s_delay_alu instid0(VALU_DEP_1) | instskip(NEXT) | instid1(VALU_DEP_1)
	v_div_fmas_f64 v[200:201], v[200:201], v[202:203], v[204:205]
	v_div_fixup_f64 v[200:201], v[200:201], v[196:197], v[198:199]
	s_delay_alu instid0(VALU_DEP_1) | instskip(NEXT) | instid1(VALU_DEP_1)
	v_fma_f64 v[196:197], v[198:199], v[200:201], v[196:197]
	v_div_scale_f64 v[198:199], null, v[196:197], v[196:197], 1.0
	s_delay_alu instid0(VALU_DEP_1) | instskip(SKIP_2) | instid1(VALU_DEP_1)
	v_rcp_f64_e32 v[202:203], v[198:199]
	s_waitcnt_depctr 0xfff
	v_fma_f64 v[204:205], -v[198:199], v[202:203], 1.0
	v_fma_f64 v[202:203], v[202:203], v[204:205], v[202:203]
	s_delay_alu instid0(VALU_DEP_1) | instskip(NEXT) | instid1(VALU_DEP_1)
	v_fma_f64 v[204:205], -v[198:199], v[202:203], 1.0
	v_fma_f64 v[202:203], v[202:203], v[204:205], v[202:203]
	v_div_scale_f64 v[204:205], vcc_lo, 1.0, v[196:197], 1.0
	s_delay_alu instid0(VALU_DEP_1) | instskip(NEXT) | instid1(VALU_DEP_1)
	v_mul_f64 v[206:207], v[204:205], v[202:203]
	v_fma_f64 v[198:199], -v[198:199], v[206:207], v[204:205]
	s_delay_alu instid0(VALU_DEP_1) | instskip(NEXT) | instid1(VALU_DEP_1)
	v_div_fmas_f64 v[198:199], v[198:199], v[202:203], v[206:207]
	v_div_fixup_f64 v[204:205], v[198:199], v[196:197], 1.0
	s_delay_alu instid0(VALU_DEP_1)
	v_mul_f64 v[202:203], v[200:201], -v[204:205]
.LBB97_322:
	s_or_b32 exec_lo, exec_lo, s3
	ds_store_2addr_b64 v215, v[204:205], v[202:203] offset1:1
.LBB97_323:
	s_or_b32 exec_lo, exec_lo, s4
	s_waitcnt lgkmcnt(0)
	s_barrier
	buffer_gl0_inv
	ds_load_2addr_b64 v[196:199], v215 offset1:1
	s_mov_b32 s3, exec_lo
	s_waitcnt lgkmcnt(0)
	scratch_store_b128 off, v[196:199], off offset:912 ; 16-byte Folded Spill
	v_cmpx_lt_u32_e32 35, v214
	s_cbranch_execz .LBB97_325
; %bb.324:
	scratch_load_b128 v[198:201], off, off offset:912 ; 16-byte Folded Reload
	s_waitcnt vmcnt(0)
	v_mul_f64 v[196:197], v[198:199], v[54:55]
	v_mul_f64 v[54:55], v[200:201], v[54:55]
	s_delay_alu instid0(VALU_DEP_2) | instskip(NEXT) | instid1(VALU_DEP_2)
	v_fma_f64 v[196:197], v[200:201], v[52:53], v[196:197]
	v_fma_f64 v[52:53], v[198:199], v[52:53], -v[54:55]
	ds_load_2addr_b64 v[198:201], v216 offset0:72 offset1:73
	s_waitcnt lgkmcnt(0)
	v_mul_f64 v[54:55], v[200:201], v[196:197]
	s_delay_alu instid0(VALU_DEP_1) | instskip(SKIP_1) | instid1(VALU_DEP_2)
	v_fma_f64 v[54:55], v[198:199], v[52:53], -v[54:55]
	v_mul_f64 v[198:199], v[198:199], v[196:197]
	v_add_f64 v[48:49], v[48:49], -v[54:55]
	s_delay_alu instid0(VALU_DEP_2) | instskip(NEXT) | instid1(VALU_DEP_1)
	v_fma_f64 v[198:199], v[200:201], v[52:53], v[198:199]
	v_add_f64 v[50:51], v[50:51], -v[198:199]
	ds_load_2addr_b64 v[198:201], v216 offset0:74 offset1:75
	s_waitcnt lgkmcnt(0)
	v_mul_f64 v[54:55], v[200:201], v[196:197]
	s_delay_alu instid0(VALU_DEP_1) | instskip(SKIP_1) | instid1(VALU_DEP_2)
	v_fma_f64 v[54:55], v[198:199], v[52:53], -v[54:55]
	v_mul_f64 v[198:199], v[198:199], v[196:197]
	v_add_f64 v[44:45], v[44:45], -v[54:55]
	s_delay_alu instid0(VALU_DEP_2) | instskip(NEXT) | instid1(VALU_DEP_1)
	v_fma_f64 v[198:199], v[200:201], v[52:53], v[198:199]
	v_add_f64 v[46:47], v[46:47], -v[198:199]
	;; [unrolled: 10-line block ×12, first 2 shown]
	ds_load_2addr_b64 v[198:201], v216 offset0:96 offset1:97
	s_waitcnt lgkmcnt(0)
	v_mul_f64 v[54:55], v[200:201], v[196:197]
	s_delay_alu instid0(VALU_DEP_1) | instskip(SKIP_1) | instid1(VALU_DEP_2)
	v_fma_f64 v[54:55], v[198:199], v[52:53], -v[54:55]
	v_mul_f64 v[198:199], v[198:199], v[196:197]
	v_add_f64 v[0:1], v[0:1], -v[54:55]
	s_delay_alu instid0(VALU_DEP_2) | instskip(SKIP_1) | instid1(VALU_DEP_2)
	v_fma_f64 v[198:199], v[200:201], v[52:53], v[198:199]
	v_dual_mov_b32 v54, v196 :: v_dual_mov_b32 v55, v197
	v_add_f64 v[2:3], v[2:3], -v[198:199]
.LBB97_325:
	s_or_b32 exec_lo, exec_lo, s3
	s_delay_alu instid0(SALU_CYCLE_1)
	s_mov_b32 s4, exec_lo
	s_waitcnt_vscnt null, 0x0
	s_barrier
	buffer_gl0_inv
	v_cmpx_eq_u32_e32 36, v214
	s_cbranch_execz .LBB97_332
; %bb.326:
	ds_store_2addr_b64 v215, v[48:49], v[50:51] offset1:1
	ds_store_2addr_b64 v216, v[44:45], v[46:47] offset0:74 offset1:75
	ds_store_2addr_b64 v216, v[40:41], v[42:43] offset0:76 offset1:77
	;; [unrolled: 1-line block ×12, first 2 shown]
	ds_load_2addr_b64 v[196:199], v215 offset1:1
	s_waitcnt lgkmcnt(0)
	v_cmp_neq_f64_e32 vcc_lo, 0, v[196:197]
	v_cmp_neq_f64_e64 s3, 0, v[198:199]
	s_delay_alu instid0(VALU_DEP_1) | instskip(NEXT) | instid1(SALU_CYCLE_1)
	s_or_b32 s3, vcc_lo, s3
	s_and_b32 exec_lo, exec_lo, s3
	s_cbranch_execz .LBB97_332
; %bb.327:
	v_cmp_gt_f64_e32 vcc_lo, 0, v[196:197]
	v_xor_b32_e32 v200, 0x80000000, v197
	v_xor_b32_e32 v202, 0x80000000, v199
	s_mov_b32 s3, exec_lo
                                        ; implicit-def: $vgpr204_vgpr205
	s_delay_alu instid0(VALU_DEP_2) | instskip(SKIP_4) | instid1(VALU_DEP_1)
	v_cndmask_b32_e32 v201, v197, v200, vcc_lo
	v_cndmask_b32_e32 v200, v196, v196, vcc_lo
	v_cmp_gt_f64_e32 vcc_lo, 0, v[198:199]
	v_cndmask_b32_e32 v203, v199, v202, vcc_lo
	v_cndmask_b32_e32 v202, v198, v198, vcc_lo
	v_cmpx_ngt_f64_e32 v[200:201], v[202:203]
	s_xor_b32 s3, exec_lo, s3
                                        ; implicit-def: $vgpr200_vgpr201_vgpr202_vgpr203
	s_cbranch_execz .LBB97_329
; %bb.328:
	v_div_scale_f64 v[200:201], null, v[198:199], v[198:199], v[196:197]
	v_div_scale_f64 v[206:207], vcc_lo, v[196:197], v[198:199], v[196:197]
	s_delay_alu instid0(VALU_DEP_2) | instskip(SKIP_2) | instid1(VALU_DEP_1)
	v_rcp_f64_e32 v[202:203], v[200:201]
	s_waitcnt_depctr 0xfff
	v_fma_f64 v[204:205], -v[200:201], v[202:203], 1.0
	v_fma_f64 v[202:203], v[202:203], v[204:205], v[202:203]
	s_delay_alu instid0(VALU_DEP_1) | instskip(NEXT) | instid1(VALU_DEP_1)
	v_fma_f64 v[204:205], -v[200:201], v[202:203], 1.0
	v_fma_f64 v[202:203], v[202:203], v[204:205], v[202:203]
	s_delay_alu instid0(VALU_DEP_1) | instskip(NEXT) | instid1(VALU_DEP_1)
	v_mul_f64 v[204:205], v[206:207], v[202:203]
	v_fma_f64 v[200:201], -v[200:201], v[204:205], v[206:207]
	s_delay_alu instid0(VALU_DEP_1) | instskip(NEXT) | instid1(VALU_DEP_1)
	v_div_fmas_f64 v[200:201], v[200:201], v[202:203], v[204:205]
	v_div_fixup_f64 v[200:201], v[200:201], v[198:199], v[196:197]
	s_delay_alu instid0(VALU_DEP_1) | instskip(NEXT) | instid1(VALU_DEP_1)
	v_fma_f64 v[196:197], v[196:197], v[200:201], v[198:199]
	v_div_scale_f64 v[198:199], null, v[196:197], v[196:197], 1.0
	s_delay_alu instid0(VALU_DEP_1) | instskip(SKIP_2) | instid1(VALU_DEP_1)
	v_rcp_f64_e32 v[202:203], v[198:199]
	s_waitcnt_depctr 0xfff
	v_fma_f64 v[204:205], -v[198:199], v[202:203], 1.0
	v_fma_f64 v[202:203], v[202:203], v[204:205], v[202:203]
	s_delay_alu instid0(VALU_DEP_1) | instskip(NEXT) | instid1(VALU_DEP_1)
	v_fma_f64 v[204:205], -v[198:199], v[202:203], 1.0
	v_fma_f64 v[202:203], v[202:203], v[204:205], v[202:203]
	v_div_scale_f64 v[204:205], vcc_lo, 1.0, v[196:197], 1.0
	s_delay_alu instid0(VALU_DEP_1) | instskip(NEXT) | instid1(VALU_DEP_1)
	v_mul_f64 v[206:207], v[204:205], v[202:203]
	v_fma_f64 v[198:199], -v[198:199], v[206:207], v[204:205]
	s_delay_alu instid0(VALU_DEP_1) | instskip(NEXT) | instid1(VALU_DEP_1)
	v_div_fmas_f64 v[198:199], v[198:199], v[202:203], v[206:207]
	v_div_fixup_f64 v[202:203], v[198:199], v[196:197], 1.0
                                        ; implicit-def: $vgpr196_vgpr197
	s_delay_alu instid0(VALU_DEP_1)
	v_mul_f64 v[204:205], v[200:201], v[202:203]
	v_xor_b32_e32 v203, 0x80000000, v203
.LBB97_329:
	s_and_not1_saveexec_b32 s3, s3
	s_cbranch_execz .LBB97_331
; %bb.330:
	v_div_scale_f64 v[200:201], null, v[196:197], v[196:197], v[198:199]
	v_div_scale_f64 v[206:207], vcc_lo, v[198:199], v[196:197], v[198:199]
	s_delay_alu instid0(VALU_DEP_2) | instskip(SKIP_2) | instid1(VALU_DEP_1)
	v_rcp_f64_e32 v[202:203], v[200:201]
	s_waitcnt_depctr 0xfff
	v_fma_f64 v[204:205], -v[200:201], v[202:203], 1.0
	v_fma_f64 v[202:203], v[202:203], v[204:205], v[202:203]
	s_delay_alu instid0(VALU_DEP_1) | instskip(NEXT) | instid1(VALU_DEP_1)
	v_fma_f64 v[204:205], -v[200:201], v[202:203], 1.0
	v_fma_f64 v[202:203], v[202:203], v[204:205], v[202:203]
	s_delay_alu instid0(VALU_DEP_1) | instskip(NEXT) | instid1(VALU_DEP_1)
	v_mul_f64 v[204:205], v[206:207], v[202:203]
	v_fma_f64 v[200:201], -v[200:201], v[204:205], v[206:207]
	s_delay_alu instid0(VALU_DEP_1) | instskip(NEXT) | instid1(VALU_DEP_1)
	v_div_fmas_f64 v[200:201], v[200:201], v[202:203], v[204:205]
	v_div_fixup_f64 v[200:201], v[200:201], v[196:197], v[198:199]
	s_delay_alu instid0(VALU_DEP_1) | instskip(NEXT) | instid1(VALU_DEP_1)
	v_fma_f64 v[196:197], v[198:199], v[200:201], v[196:197]
	v_div_scale_f64 v[198:199], null, v[196:197], v[196:197], 1.0
	s_delay_alu instid0(VALU_DEP_1) | instskip(SKIP_2) | instid1(VALU_DEP_1)
	v_rcp_f64_e32 v[202:203], v[198:199]
	s_waitcnt_depctr 0xfff
	v_fma_f64 v[204:205], -v[198:199], v[202:203], 1.0
	v_fma_f64 v[202:203], v[202:203], v[204:205], v[202:203]
	s_delay_alu instid0(VALU_DEP_1) | instskip(NEXT) | instid1(VALU_DEP_1)
	v_fma_f64 v[204:205], -v[198:199], v[202:203], 1.0
	v_fma_f64 v[202:203], v[202:203], v[204:205], v[202:203]
	v_div_scale_f64 v[204:205], vcc_lo, 1.0, v[196:197], 1.0
	s_delay_alu instid0(VALU_DEP_1) | instskip(NEXT) | instid1(VALU_DEP_1)
	v_mul_f64 v[206:207], v[204:205], v[202:203]
	v_fma_f64 v[198:199], -v[198:199], v[206:207], v[204:205]
	s_delay_alu instid0(VALU_DEP_1) | instskip(NEXT) | instid1(VALU_DEP_1)
	v_div_fmas_f64 v[198:199], v[198:199], v[202:203], v[206:207]
	v_div_fixup_f64 v[204:205], v[198:199], v[196:197], 1.0
	s_delay_alu instid0(VALU_DEP_1)
	v_mul_f64 v[202:203], v[200:201], -v[204:205]
.LBB97_331:
	s_or_b32 exec_lo, exec_lo, s3
	ds_store_2addr_b64 v215, v[204:205], v[202:203] offset1:1
.LBB97_332:
	s_or_b32 exec_lo, exec_lo, s4
	s_waitcnt lgkmcnt(0)
	s_barrier
	buffer_gl0_inv
	ds_load_2addr_b64 v[196:199], v215 offset1:1
	s_mov_b32 s3, exec_lo
	s_waitcnt lgkmcnt(0)
	scratch_store_b128 off, v[196:199], off offset:928 ; 16-byte Folded Spill
	v_cmpx_lt_u32_e32 36, v214
	s_cbranch_execz .LBB97_334
; %bb.333:
	scratch_load_b128 v[202:205], off, off offset:928 ; 16-byte Folded Reload
	s_waitcnt vmcnt(0)
	v_mul_f64 v[196:197], v[202:203], v[50:51]
	v_mul_f64 v[50:51], v[204:205], v[50:51]
	s_delay_alu instid0(VALU_DEP_2) | instskip(SKIP_4) | instid1(VALU_DEP_1)
	v_fma_f64 v[200:201], v[204:205], v[48:49], v[196:197]
	ds_load_2addr_b64 v[196:199], v216 offset0:74 offset1:75
	v_fma_f64 v[48:49], v[202:203], v[48:49], -v[50:51]
	s_waitcnt lgkmcnt(0)
	v_mul_f64 v[50:51], v[198:199], v[200:201]
	v_fma_f64 v[50:51], v[196:197], v[48:49], -v[50:51]
	v_mul_f64 v[196:197], v[196:197], v[200:201]
	s_delay_alu instid0(VALU_DEP_2) | instskip(NEXT) | instid1(VALU_DEP_2)
	v_add_f64 v[44:45], v[44:45], -v[50:51]
	v_fma_f64 v[196:197], v[198:199], v[48:49], v[196:197]
	s_delay_alu instid0(VALU_DEP_1) | instskip(SKIP_3) | instid1(VALU_DEP_1)
	v_add_f64 v[46:47], v[46:47], -v[196:197]
	ds_load_2addr_b64 v[196:199], v216 offset0:76 offset1:77
	s_waitcnt lgkmcnt(0)
	v_mul_f64 v[50:51], v[198:199], v[200:201]
	v_fma_f64 v[50:51], v[196:197], v[48:49], -v[50:51]
	v_mul_f64 v[196:197], v[196:197], v[200:201]
	s_delay_alu instid0(VALU_DEP_2) | instskip(NEXT) | instid1(VALU_DEP_2)
	v_add_f64 v[40:41], v[40:41], -v[50:51]
	v_fma_f64 v[196:197], v[198:199], v[48:49], v[196:197]
	s_delay_alu instid0(VALU_DEP_1) | instskip(SKIP_3) | instid1(VALU_DEP_1)
	v_add_f64 v[42:43], v[42:43], -v[196:197]
	ds_load_2addr_b64 v[196:199], v216 offset0:78 offset1:79
	;; [unrolled: 10-line block ×11, first 2 shown]
	s_waitcnt lgkmcnt(0)
	v_mul_f64 v[50:51], v[198:199], v[200:201]
	v_fma_f64 v[50:51], v[196:197], v[48:49], -v[50:51]
	v_mul_f64 v[196:197], v[196:197], v[200:201]
	s_delay_alu instid0(VALU_DEP_2) | instskip(NEXT) | instid1(VALU_DEP_2)
	v_add_f64 v[0:1], v[0:1], -v[50:51]
	v_fma_f64 v[196:197], v[198:199], v[48:49], v[196:197]
	v_dual_mov_b32 v50, v200 :: v_dual_mov_b32 v51, v201
	s_delay_alu instid0(VALU_DEP_2)
	v_add_f64 v[2:3], v[2:3], -v[196:197]
.LBB97_334:
	s_or_b32 exec_lo, exec_lo, s3
	s_delay_alu instid0(SALU_CYCLE_1)
	s_mov_b32 s4, exec_lo
	s_waitcnt_vscnt null, 0x0
	s_barrier
	buffer_gl0_inv
	v_cmpx_eq_u32_e32 37, v214
	s_cbranch_execz .LBB97_341
; %bb.335:
	ds_store_2addr_b64 v215, v[44:45], v[46:47] offset1:1
	ds_store_2addr_b64 v216, v[40:41], v[42:43] offset0:76 offset1:77
	ds_store_2addr_b64 v216, v[36:37], v[38:39] offset0:78 offset1:79
	;; [unrolled: 1-line block ×11, first 2 shown]
	ds_load_2addr_b64 v[196:199], v215 offset1:1
	s_waitcnt lgkmcnt(0)
	v_cmp_neq_f64_e32 vcc_lo, 0, v[196:197]
	v_cmp_neq_f64_e64 s3, 0, v[198:199]
	s_delay_alu instid0(VALU_DEP_1) | instskip(NEXT) | instid1(SALU_CYCLE_1)
	s_or_b32 s3, vcc_lo, s3
	s_and_b32 exec_lo, exec_lo, s3
	s_cbranch_execz .LBB97_341
; %bb.336:
	v_cmp_gt_f64_e32 vcc_lo, 0, v[196:197]
	v_xor_b32_e32 v200, 0x80000000, v197
	v_xor_b32_e32 v202, 0x80000000, v199
	s_mov_b32 s3, exec_lo
                                        ; implicit-def: $vgpr204_vgpr205
	s_delay_alu instid0(VALU_DEP_2) | instskip(SKIP_4) | instid1(VALU_DEP_1)
	v_cndmask_b32_e32 v201, v197, v200, vcc_lo
	v_cndmask_b32_e32 v200, v196, v196, vcc_lo
	v_cmp_gt_f64_e32 vcc_lo, 0, v[198:199]
	v_cndmask_b32_e32 v203, v199, v202, vcc_lo
	v_cndmask_b32_e32 v202, v198, v198, vcc_lo
	v_cmpx_ngt_f64_e32 v[200:201], v[202:203]
	s_xor_b32 s3, exec_lo, s3
                                        ; implicit-def: $vgpr200_vgpr201_vgpr202_vgpr203
	s_cbranch_execz .LBB97_338
; %bb.337:
	v_div_scale_f64 v[200:201], null, v[198:199], v[198:199], v[196:197]
	v_div_scale_f64 v[206:207], vcc_lo, v[196:197], v[198:199], v[196:197]
	s_delay_alu instid0(VALU_DEP_2) | instskip(SKIP_2) | instid1(VALU_DEP_1)
	v_rcp_f64_e32 v[202:203], v[200:201]
	s_waitcnt_depctr 0xfff
	v_fma_f64 v[204:205], -v[200:201], v[202:203], 1.0
	v_fma_f64 v[202:203], v[202:203], v[204:205], v[202:203]
	s_delay_alu instid0(VALU_DEP_1) | instskip(NEXT) | instid1(VALU_DEP_1)
	v_fma_f64 v[204:205], -v[200:201], v[202:203], 1.0
	v_fma_f64 v[202:203], v[202:203], v[204:205], v[202:203]
	s_delay_alu instid0(VALU_DEP_1) | instskip(NEXT) | instid1(VALU_DEP_1)
	v_mul_f64 v[204:205], v[206:207], v[202:203]
	v_fma_f64 v[200:201], -v[200:201], v[204:205], v[206:207]
	s_delay_alu instid0(VALU_DEP_1) | instskip(NEXT) | instid1(VALU_DEP_1)
	v_div_fmas_f64 v[200:201], v[200:201], v[202:203], v[204:205]
	v_div_fixup_f64 v[200:201], v[200:201], v[198:199], v[196:197]
	s_delay_alu instid0(VALU_DEP_1) | instskip(NEXT) | instid1(VALU_DEP_1)
	v_fma_f64 v[196:197], v[196:197], v[200:201], v[198:199]
	v_div_scale_f64 v[198:199], null, v[196:197], v[196:197], 1.0
	s_delay_alu instid0(VALU_DEP_1) | instskip(SKIP_2) | instid1(VALU_DEP_1)
	v_rcp_f64_e32 v[202:203], v[198:199]
	s_waitcnt_depctr 0xfff
	v_fma_f64 v[204:205], -v[198:199], v[202:203], 1.0
	v_fma_f64 v[202:203], v[202:203], v[204:205], v[202:203]
	s_delay_alu instid0(VALU_DEP_1) | instskip(NEXT) | instid1(VALU_DEP_1)
	v_fma_f64 v[204:205], -v[198:199], v[202:203], 1.0
	v_fma_f64 v[202:203], v[202:203], v[204:205], v[202:203]
	v_div_scale_f64 v[204:205], vcc_lo, 1.0, v[196:197], 1.0
	s_delay_alu instid0(VALU_DEP_1) | instskip(NEXT) | instid1(VALU_DEP_1)
	v_mul_f64 v[206:207], v[204:205], v[202:203]
	v_fma_f64 v[198:199], -v[198:199], v[206:207], v[204:205]
	s_delay_alu instid0(VALU_DEP_1) | instskip(NEXT) | instid1(VALU_DEP_1)
	v_div_fmas_f64 v[198:199], v[198:199], v[202:203], v[206:207]
	v_div_fixup_f64 v[202:203], v[198:199], v[196:197], 1.0
                                        ; implicit-def: $vgpr196_vgpr197
	s_delay_alu instid0(VALU_DEP_1)
	v_mul_f64 v[204:205], v[200:201], v[202:203]
	v_xor_b32_e32 v203, 0x80000000, v203
.LBB97_338:
	s_and_not1_saveexec_b32 s3, s3
	s_cbranch_execz .LBB97_340
; %bb.339:
	v_div_scale_f64 v[200:201], null, v[196:197], v[196:197], v[198:199]
	v_div_scale_f64 v[206:207], vcc_lo, v[198:199], v[196:197], v[198:199]
	s_delay_alu instid0(VALU_DEP_2) | instskip(SKIP_2) | instid1(VALU_DEP_1)
	v_rcp_f64_e32 v[202:203], v[200:201]
	s_waitcnt_depctr 0xfff
	v_fma_f64 v[204:205], -v[200:201], v[202:203], 1.0
	v_fma_f64 v[202:203], v[202:203], v[204:205], v[202:203]
	s_delay_alu instid0(VALU_DEP_1) | instskip(NEXT) | instid1(VALU_DEP_1)
	v_fma_f64 v[204:205], -v[200:201], v[202:203], 1.0
	v_fma_f64 v[202:203], v[202:203], v[204:205], v[202:203]
	s_delay_alu instid0(VALU_DEP_1) | instskip(NEXT) | instid1(VALU_DEP_1)
	v_mul_f64 v[204:205], v[206:207], v[202:203]
	v_fma_f64 v[200:201], -v[200:201], v[204:205], v[206:207]
	s_delay_alu instid0(VALU_DEP_1) | instskip(NEXT) | instid1(VALU_DEP_1)
	v_div_fmas_f64 v[200:201], v[200:201], v[202:203], v[204:205]
	v_div_fixup_f64 v[200:201], v[200:201], v[196:197], v[198:199]
	s_delay_alu instid0(VALU_DEP_1) | instskip(NEXT) | instid1(VALU_DEP_1)
	v_fma_f64 v[196:197], v[198:199], v[200:201], v[196:197]
	v_div_scale_f64 v[198:199], null, v[196:197], v[196:197], 1.0
	s_delay_alu instid0(VALU_DEP_1) | instskip(SKIP_2) | instid1(VALU_DEP_1)
	v_rcp_f64_e32 v[202:203], v[198:199]
	s_waitcnt_depctr 0xfff
	v_fma_f64 v[204:205], -v[198:199], v[202:203], 1.0
	v_fma_f64 v[202:203], v[202:203], v[204:205], v[202:203]
	s_delay_alu instid0(VALU_DEP_1) | instskip(NEXT) | instid1(VALU_DEP_1)
	v_fma_f64 v[204:205], -v[198:199], v[202:203], 1.0
	v_fma_f64 v[202:203], v[202:203], v[204:205], v[202:203]
	v_div_scale_f64 v[204:205], vcc_lo, 1.0, v[196:197], 1.0
	s_delay_alu instid0(VALU_DEP_1) | instskip(NEXT) | instid1(VALU_DEP_1)
	v_mul_f64 v[206:207], v[204:205], v[202:203]
	v_fma_f64 v[198:199], -v[198:199], v[206:207], v[204:205]
	s_delay_alu instid0(VALU_DEP_1) | instskip(NEXT) | instid1(VALU_DEP_1)
	v_div_fmas_f64 v[198:199], v[198:199], v[202:203], v[206:207]
	v_div_fixup_f64 v[204:205], v[198:199], v[196:197], 1.0
	s_delay_alu instid0(VALU_DEP_1)
	v_mul_f64 v[202:203], v[200:201], -v[204:205]
.LBB97_340:
	s_or_b32 exec_lo, exec_lo, s3
	ds_store_2addr_b64 v215, v[204:205], v[202:203] offset1:1
.LBB97_341:
	s_or_b32 exec_lo, exec_lo, s4
	s_waitcnt lgkmcnt(0)
	s_barrier
	buffer_gl0_inv
	ds_load_2addr_b64 v[196:199], v215 offset1:1
	s_mov_b32 s3, exec_lo
	s_waitcnt lgkmcnt(0)
	scratch_store_b128 off, v[196:199], off offset:944 ; 16-byte Folded Spill
	v_cmpx_lt_u32_e32 37, v214
	s_cbranch_execz .LBB97_343
; %bb.342:
	scratch_load_b128 v[202:205], off, off offset:944 ; 16-byte Folded Reload
	s_waitcnt vmcnt(0)
	v_mul_f64 v[196:197], v[202:203], v[46:47]
	v_mul_f64 v[46:47], v[204:205], v[46:47]
	s_delay_alu instid0(VALU_DEP_2) | instskip(SKIP_4) | instid1(VALU_DEP_1)
	v_fma_f64 v[200:201], v[204:205], v[44:45], v[196:197]
	ds_load_2addr_b64 v[196:199], v216 offset0:76 offset1:77
	v_fma_f64 v[44:45], v[202:203], v[44:45], -v[46:47]
	s_waitcnt lgkmcnt(0)
	v_mul_f64 v[46:47], v[198:199], v[200:201]
	v_fma_f64 v[46:47], v[196:197], v[44:45], -v[46:47]
	v_mul_f64 v[196:197], v[196:197], v[200:201]
	s_delay_alu instid0(VALU_DEP_2) | instskip(NEXT) | instid1(VALU_DEP_2)
	v_add_f64 v[40:41], v[40:41], -v[46:47]
	v_fma_f64 v[196:197], v[198:199], v[44:45], v[196:197]
	s_delay_alu instid0(VALU_DEP_1) | instskip(SKIP_3) | instid1(VALU_DEP_1)
	v_add_f64 v[42:43], v[42:43], -v[196:197]
	ds_load_2addr_b64 v[196:199], v216 offset0:78 offset1:79
	s_waitcnt lgkmcnt(0)
	v_mul_f64 v[46:47], v[198:199], v[200:201]
	v_fma_f64 v[46:47], v[196:197], v[44:45], -v[46:47]
	v_mul_f64 v[196:197], v[196:197], v[200:201]
	s_delay_alu instid0(VALU_DEP_2) | instskip(NEXT) | instid1(VALU_DEP_2)
	v_add_f64 v[36:37], v[36:37], -v[46:47]
	v_fma_f64 v[196:197], v[198:199], v[44:45], v[196:197]
	s_delay_alu instid0(VALU_DEP_1) | instskip(SKIP_3) | instid1(VALU_DEP_1)
	v_add_f64 v[38:39], v[38:39], -v[196:197]
	ds_load_2addr_b64 v[196:199], v216 offset0:80 offset1:81
	s_waitcnt lgkmcnt(0)
	v_mul_f64 v[46:47], v[198:199], v[200:201]
	v_fma_f64 v[46:47], v[196:197], v[44:45], -v[46:47]
	v_mul_f64 v[196:197], v[196:197], v[200:201]
	s_delay_alu instid0(VALU_DEP_2) | instskip(NEXT) | instid1(VALU_DEP_2)
	v_add_f64 v[32:33], v[32:33], -v[46:47]
	v_fma_f64 v[196:197], v[198:199], v[44:45], v[196:197]
	s_delay_alu instid0(VALU_DEP_1) | instskip(SKIP_3) | instid1(VALU_DEP_1)
	v_add_f64 v[34:35], v[34:35], -v[196:197]
	ds_load_2addr_b64 v[196:199], v216 offset0:82 offset1:83
	s_waitcnt lgkmcnt(0)
	v_mul_f64 v[46:47], v[198:199], v[200:201]
	v_fma_f64 v[46:47], v[196:197], v[44:45], -v[46:47]
	v_mul_f64 v[196:197], v[196:197], v[200:201]
	s_delay_alu instid0(VALU_DEP_2) | instskip(NEXT) | instid1(VALU_DEP_2)
	v_add_f64 v[28:29], v[28:29], -v[46:47]
	v_fma_f64 v[196:197], v[198:199], v[44:45], v[196:197]
	s_delay_alu instid0(VALU_DEP_1) | instskip(SKIP_3) | instid1(VALU_DEP_1)
	v_add_f64 v[30:31], v[30:31], -v[196:197]
	ds_load_2addr_b64 v[196:199], v216 offset0:84 offset1:85
	s_waitcnt lgkmcnt(0)
	v_mul_f64 v[46:47], v[198:199], v[200:201]
	v_fma_f64 v[46:47], v[196:197], v[44:45], -v[46:47]
	v_mul_f64 v[196:197], v[196:197], v[200:201]
	s_delay_alu instid0(VALU_DEP_2) | instskip(NEXT) | instid1(VALU_DEP_2)
	v_add_f64 v[24:25], v[24:25], -v[46:47]
	v_fma_f64 v[196:197], v[198:199], v[44:45], v[196:197]
	s_delay_alu instid0(VALU_DEP_1) | instskip(SKIP_3) | instid1(VALU_DEP_1)
	v_add_f64 v[26:27], v[26:27], -v[196:197]
	ds_load_2addr_b64 v[196:199], v216 offset0:86 offset1:87
	s_waitcnt lgkmcnt(0)
	v_mul_f64 v[46:47], v[198:199], v[200:201]
	v_fma_f64 v[46:47], v[196:197], v[44:45], -v[46:47]
	v_mul_f64 v[196:197], v[196:197], v[200:201]
	s_delay_alu instid0(VALU_DEP_2) | instskip(NEXT) | instid1(VALU_DEP_2)
	v_add_f64 v[20:21], v[20:21], -v[46:47]
	v_fma_f64 v[196:197], v[198:199], v[44:45], v[196:197]
	s_delay_alu instid0(VALU_DEP_1) | instskip(SKIP_3) | instid1(VALU_DEP_1)
	v_add_f64 v[22:23], v[22:23], -v[196:197]
	ds_load_2addr_b64 v[196:199], v216 offset0:88 offset1:89
	s_waitcnt lgkmcnt(0)
	v_mul_f64 v[46:47], v[198:199], v[200:201]
	v_fma_f64 v[46:47], v[196:197], v[44:45], -v[46:47]
	v_mul_f64 v[196:197], v[196:197], v[200:201]
	s_delay_alu instid0(VALU_DEP_2) | instskip(NEXT) | instid1(VALU_DEP_2)
	v_add_f64 v[16:17], v[16:17], -v[46:47]
	v_fma_f64 v[196:197], v[198:199], v[44:45], v[196:197]
	s_delay_alu instid0(VALU_DEP_1) | instskip(SKIP_3) | instid1(VALU_DEP_1)
	v_add_f64 v[18:19], v[18:19], -v[196:197]
	ds_load_2addr_b64 v[196:199], v216 offset0:90 offset1:91
	s_waitcnt lgkmcnt(0)
	v_mul_f64 v[46:47], v[198:199], v[200:201]
	v_fma_f64 v[46:47], v[196:197], v[44:45], -v[46:47]
	v_mul_f64 v[196:197], v[196:197], v[200:201]
	s_delay_alu instid0(VALU_DEP_2) | instskip(NEXT) | instid1(VALU_DEP_2)
	v_add_f64 v[12:13], v[12:13], -v[46:47]
	v_fma_f64 v[196:197], v[198:199], v[44:45], v[196:197]
	s_delay_alu instid0(VALU_DEP_1) | instskip(SKIP_3) | instid1(VALU_DEP_1)
	v_add_f64 v[14:15], v[14:15], -v[196:197]
	ds_load_2addr_b64 v[196:199], v216 offset0:92 offset1:93
	s_waitcnt lgkmcnt(0)
	v_mul_f64 v[46:47], v[198:199], v[200:201]
	v_fma_f64 v[46:47], v[196:197], v[44:45], -v[46:47]
	v_mul_f64 v[196:197], v[196:197], v[200:201]
	s_delay_alu instid0(VALU_DEP_2) | instskip(NEXT) | instid1(VALU_DEP_2)
	v_add_f64 v[8:9], v[8:9], -v[46:47]
	v_fma_f64 v[196:197], v[198:199], v[44:45], v[196:197]
	s_delay_alu instid0(VALU_DEP_1) | instskip(SKIP_3) | instid1(VALU_DEP_1)
	v_add_f64 v[10:11], v[10:11], -v[196:197]
	ds_load_2addr_b64 v[196:199], v216 offset0:94 offset1:95
	s_waitcnt lgkmcnt(0)
	v_mul_f64 v[46:47], v[198:199], v[200:201]
	v_fma_f64 v[46:47], v[196:197], v[44:45], -v[46:47]
	v_mul_f64 v[196:197], v[196:197], v[200:201]
	s_delay_alu instid0(VALU_DEP_2) | instskip(NEXT) | instid1(VALU_DEP_2)
	v_add_f64 v[4:5], v[4:5], -v[46:47]
	v_fma_f64 v[196:197], v[198:199], v[44:45], v[196:197]
	s_delay_alu instid0(VALU_DEP_1) | instskip(SKIP_3) | instid1(VALU_DEP_1)
	v_add_f64 v[6:7], v[6:7], -v[196:197]
	ds_load_2addr_b64 v[196:199], v216 offset0:96 offset1:97
	s_waitcnt lgkmcnt(0)
	v_mul_f64 v[46:47], v[198:199], v[200:201]
	v_fma_f64 v[46:47], v[196:197], v[44:45], -v[46:47]
	v_mul_f64 v[196:197], v[196:197], v[200:201]
	s_delay_alu instid0(VALU_DEP_2) | instskip(NEXT) | instid1(VALU_DEP_2)
	v_add_f64 v[0:1], v[0:1], -v[46:47]
	v_fma_f64 v[196:197], v[198:199], v[44:45], v[196:197]
	v_dual_mov_b32 v46, v200 :: v_dual_mov_b32 v47, v201
	s_delay_alu instid0(VALU_DEP_2)
	v_add_f64 v[2:3], v[2:3], -v[196:197]
.LBB97_343:
	s_or_b32 exec_lo, exec_lo, s3
	s_delay_alu instid0(SALU_CYCLE_1)
	s_mov_b32 s4, exec_lo
	s_waitcnt_vscnt null, 0x0
	s_barrier
	buffer_gl0_inv
	v_cmpx_eq_u32_e32 38, v214
	s_cbranch_execz .LBB97_350
; %bb.344:
	ds_store_2addr_b64 v215, v[40:41], v[42:43] offset1:1
	ds_store_2addr_b64 v216, v[36:37], v[38:39] offset0:78 offset1:79
	ds_store_2addr_b64 v216, v[32:33], v[34:35] offset0:80 offset1:81
	;; [unrolled: 1-line block ×10, first 2 shown]
	ds_load_2addr_b64 v[196:199], v215 offset1:1
	s_waitcnt lgkmcnt(0)
	v_cmp_neq_f64_e32 vcc_lo, 0, v[196:197]
	v_cmp_neq_f64_e64 s3, 0, v[198:199]
	s_delay_alu instid0(VALU_DEP_1) | instskip(NEXT) | instid1(SALU_CYCLE_1)
	s_or_b32 s3, vcc_lo, s3
	s_and_b32 exec_lo, exec_lo, s3
	s_cbranch_execz .LBB97_350
; %bb.345:
	v_cmp_gt_f64_e32 vcc_lo, 0, v[196:197]
	v_xor_b32_e32 v200, 0x80000000, v197
	v_xor_b32_e32 v202, 0x80000000, v199
	s_mov_b32 s3, exec_lo
                                        ; implicit-def: $vgpr204_vgpr205
	s_delay_alu instid0(VALU_DEP_2) | instskip(SKIP_4) | instid1(VALU_DEP_1)
	v_cndmask_b32_e32 v201, v197, v200, vcc_lo
	v_cndmask_b32_e32 v200, v196, v196, vcc_lo
	v_cmp_gt_f64_e32 vcc_lo, 0, v[198:199]
	v_cndmask_b32_e32 v203, v199, v202, vcc_lo
	v_cndmask_b32_e32 v202, v198, v198, vcc_lo
	v_cmpx_ngt_f64_e32 v[200:201], v[202:203]
	s_xor_b32 s3, exec_lo, s3
                                        ; implicit-def: $vgpr200_vgpr201_vgpr202_vgpr203
	s_cbranch_execz .LBB97_347
; %bb.346:
	v_div_scale_f64 v[200:201], null, v[198:199], v[198:199], v[196:197]
	v_div_scale_f64 v[206:207], vcc_lo, v[196:197], v[198:199], v[196:197]
	s_delay_alu instid0(VALU_DEP_2) | instskip(SKIP_2) | instid1(VALU_DEP_1)
	v_rcp_f64_e32 v[202:203], v[200:201]
	s_waitcnt_depctr 0xfff
	v_fma_f64 v[204:205], -v[200:201], v[202:203], 1.0
	v_fma_f64 v[202:203], v[202:203], v[204:205], v[202:203]
	s_delay_alu instid0(VALU_DEP_1) | instskip(NEXT) | instid1(VALU_DEP_1)
	v_fma_f64 v[204:205], -v[200:201], v[202:203], 1.0
	v_fma_f64 v[202:203], v[202:203], v[204:205], v[202:203]
	s_delay_alu instid0(VALU_DEP_1) | instskip(NEXT) | instid1(VALU_DEP_1)
	v_mul_f64 v[204:205], v[206:207], v[202:203]
	v_fma_f64 v[200:201], -v[200:201], v[204:205], v[206:207]
	s_delay_alu instid0(VALU_DEP_1) | instskip(NEXT) | instid1(VALU_DEP_1)
	v_div_fmas_f64 v[200:201], v[200:201], v[202:203], v[204:205]
	v_div_fixup_f64 v[200:201], v[200:201], v[198:199], v[196:197]
	s_delay_alu instid0(VALU_DEP_1) | instskip(NEXT) | instid1(VALU_DEP_1)
	v_fma_f64 v[196:197], v[196:197], v[200:201], v[198:199]
	v_div_scale_f64 v[198:199], null, v[196:197], v[196:197], 1.0
	s_delay_alu instid0(VALU_DEP_1) | instskip(SKIP_2) | instid1(VALU_DEP_1)
	v_rcp_f64_e32 v[202:203], v[198:199]
	s_waitcnt_depctr 0xfff
	v_fma_f64 v[204:205], -v[198:199], v[202:203], 1.0
	v_fma_f64 v[202:203], v[202:203], v[204:205], v[202:203]
	s_delay_alu instid0(VALU_DEP_1) | instskip(NEXT) | instid1(VALU_DEP_1)
	v_fma_f64 v[204:205], -v[198:199], v[202:203], 1.0
	v_fma_f64 v[202:203], v[202:203], v[204:205], v[202:203]
	v_div_scale_f64 v[204:205], vcc_lo, 1.0, v[196:197], 1.0
	s_delay_alu instid0(VALU_DEP_1) | instskip(NEXT) | instid1(VALU_DEP_1)
	v_mul_f64 v[206:207], v[204:205], v[202:203]
	v_fma_f64 v[198:199], -v[198:199], v[206:207], v[204:205]
	s_delay_alu instid0(VALU_DEP_1) | instskip(NEXT) | instid1(VALU_DEP_1)
	v_div_fmas_f64 v[198:199], v[198:199], v[202:203], v[206:207]
	v_div_fixup_f64 v[202:203], v[198:199], v[196:197], 1.0
                                        ; implicit-def: $vgpr196_vgpr197
	s_delay_alu instid0(VALU_DEP_1)
	v_mul_f64 v[204:205], v[200:201], v[202:203]
	v_xor_b32_e32 v203, 0x80000000, v203
.LBB97_347:
	s_and_not1_saveexec_b32 s3, s3
	s_cbranch_execz .LBB97_349
; %bb.348:
	v_div_scale_f64 v[200:201], null, v[196:197], v[196:197], v[198:199]
	v_div_scale_f64 v[206:207], vcc_lo, v[198:199], v[196:197], v[198:199]
	s_delay_alu instid0(VALU_DEP_2) | instskip(SKIP_2) | instid1(VALU_DEP_1)
	v_rcp_f64_e32 v[202:203], v[200:201]
	s_waitcnt_depctr 0xfff
	v_fma_f64 v[204:205], -v[200:201], v[202:203], 1.0
	v_fma_f64 v[202:203], v[202:203], v[204:205], v[202:203]
	s_delay_alu instid0(VALU_DEP_1) | instskip(NEXT) | instid1(VALU_DEP_1)
	v_fma_f64 v[204:205], -v[200:201], v[202:203], 1.0
	v_fma_f64 v[202:203], v[202:203], v[204:205], v[202:203]
	s_delay_alu instid0(VALU_DEP_1) | instskip(NEXT) | instid1(VALU_DEP_1)
	v_mul_f64 v[204:205], v[206:207], v[202:203]
	v_fma_f64 v[200:201], -v[200:201], v[204:205], v[206:207]
	s_delay_alu instid0(VALU_DEP_1) | instskip(NEXT) | instid1(VALU_DEP_1)
	v_div_fmas_f64 v[200:201], v[200:201], v[202:203], v[204:205]
	v_div_fixup_f64 v[200:201], v[200:201], v[196:197], v[198:199]
	s_delay_alu instid0(VALU_DEP_1) | instskip(NEXT) | instid1(VALU_DEP_1)
	v_fma_f64 v[196:197], v[198:199], v[200:201], v[196:197]
	v_div_scale_f64 v[198:199], null, v[196:197], v[196:197], 1.0
	s_delay_alu instid0(VALU_DEP_1) | instskip(SKIP_2) | instid1(VALU_DEP_1)
	v_rcp_f64_e32 v[202:203], v[198:199]
	s_waitcnt_depctr 0xfff
	v_fma_f64 v[204:205], -v[198:199], v[202:203], 1.0
	v_fma_f64 v[202:203], v[202:203], v[204:205], v[202:203]
	s_delay_alu instid0(VALU_DEP_1) | instskip(NEXT) | instid1(VALU_DEP_1)
	v_fma_f64 v[204:205], -v[198:199], v[202:203], 1.0
	v_fma_f64 v[202:203], v[202:203], v[204:205], v[202:203]
	v_div_scale_f64 v[204:205], vcc_lo, 1.0, v[196:197], 1.0
	s_delay_alu instid0(VALU_DEP_1) | instskip(NEXT) | instid1(VALU_DEP_1)
	v_mul_f64 v[206:207], v[204:205], v[202:203]
	v_fma_f64 v[198:199], -v[198:199], v[206:207], v[204:205]
	s_delay_alu instid0(VALU_DEP_1) | instskip(NEXT) | instid1(VALU_DEP_1)
	v_div_fmas_f64 v[198:199], v[198:199], v[202:203], v[206:207]
	v_div_fixup_f64 v[204:205], v[198:199], v[196:197], 1.0
	s_delay_alu instid0(VALU_DEP_1)
	v_mul_f64 v[202:203], v[200:201], -v[204:205]
.LBB97_349:
	s_or_b32 exec_lo, exec_lo, s3
	ds_store_2addr_b64 v215, v[204:205], v[202:203] offset1:1
.LBB97_350:
	s_or_b32 exec_lo, exec_lo, s4
	s_waitcnt lgkmcnt(0)
	s_barrier
	buffer_gl0_inv
	ds_load_2addr_b64 v[196:199], v215 offset1:1
	s_mov_b32 s3, exec_lo
	s_waitcnt lgkmcnt(0)
	scratch_store_b128 off, v[196:199], off offset:960 ; 16-byte Folded Spill
	v_cmpx_lt_u32_e32 38, v214
	s_cbranch_execz .LBB97_352
; %bb.351:
	scratch_load_b128 v[202:205], off, off offset:960 ; 16-byte Folded Reload
	s_waitcnt vmcnt(0)
	v_mul_f64 v[196:197], v[202:203], v[42:43]
	v_mul_f64 v[42:43], v[204:205], v[42:43]
	s_delay_alu instid0(VALU_DEP_2) | instskip(SKIP_4) | instid1(VALU_DEP_1)
	v_fma_f64 v[200:201], v[204:205], v[40:41], v[196:197]
	ds_load_2addr_b64 v[196:199], v216 offset0:78 offset1:79
	v_fma_f64 v[40:41], v[202:203], v[40:41], -v[42:43]
	s_waitcnt lgkmcnt(0)
	v_mul_f64 v[42:43], v[198:199], v[200:201]
	v_fma_f64 v[42:43], v[196:197], v[40:41], -v[42:43]
	v_mul_f64 v[196:197], v[196:197], v[200:201]
	s_delay_alu instid0(VALU_DEP_2) | instskip(NEXT) | instid1(VALU_DEP_2)
	v_add_f64 v[36:37], v[36:37], -v[42:43]
	v_fma_f64 v[196:197], v[198:199], v[40:41], v[196:197]
	s_delay_alu instid0(VALU_DEP_1) | instskip(SKIP_3) | instid1(VALU_DEP_1)
	v_add_f64 v[38:39], v[38:39], -v[196:197]
	ds_load_2addr_b64 v[196:199], v216 offset0:80 offset1:81
	s_waitcnt lgkmcnt(0)
	v_mul_f64 v[42:43], v[198:199], v[200:201]
	v_fma_f64 v[42:43], v[196:197], v[40:41], -v[42:43]
	v_mul_f64 v[196:197], v[196:197], v[200:201]
	s_delay_alu instid0(VALU_DEP_2) | instskip(NEXT) | instid1(VALU_DEP_2)
	v_add_f64 v[32:33], v[32:33], -v[42:43]
	v_fma_f64 v[196:197], v[198:199], v[40:41], v[196:197]
	s_delay_alu instid0(VALU_DEP_1) | instskip(SKIP_3) | instid1(VALU_DEP_1)
	v_add_f64 v[34:35], v[34:35], -v[196:197]
	ds_load_2addr_b64 v[196:199], v216 offset0:82 offset1:83
	;; [unrolled: 10-line block ×9, first 2 shown]
	s_waitcnt lgkmcnt(0)
	v_mul_f64 v[42:43], v[198:199], v[200:201]
	v_fma_f64 v[42:43], v[196:197], v[40:41], -v[42:43]
	v_mul_f64 v[196:197], v[196:197], v[200:201]
	s_delay_alu instid0(VALU_DEP_2) | instskip(NEXT) | instid1(VALU_DEP_2)
	v_add_f64 v[0:1], v[0:1], -v[42:43]
	v_fma_f64 v[196:197], v[198:199], v[40:41], v[196:197]
	v_dual_mov_b32 v42, v200 :: v_dual_mov_b32 v43, v201
	s_delay_alu instid0(VALU_DEP_2)
	v_add_f64 v[2:3], v[2:3], -v[196:197]
.LBB97_352:
	s_or_b32 exec_lo, exec_lo, s3
	s_delay_alu instid0(SALU_CYCLE_1)
	s_mov_b32 s4, exec_lo
	s_waitcnt_vscnt null, 0x0
	s_barrier
	buffer_gl0_inv
	v_cmpx_eq_u32_e32 39, v214
	s_cbranch_execz .LBB97_359
; %bb.353:
	ds_store_2addr_b64 v215, v[36:37], v[38:39] offset1:1
	ds_store_2addr_b64 v216, v[32:33], v[34:35] offset0:80 offset1:81
	ds_store_2addr_b64 v216, v[28:29], v[30:31] offset0:82 offset1:83
	ds_store_2addr_b64 v216, v[24:25], v[26:27] offset0:84 offset1:85
	ds_store_2addr_b64 v216, v[20:21], v[22:23] offset0:86 offset1:87
	ds_store_2addr_b64 v216, v[16:17], v[18:19] offset0:88 offset1:89
	ds_store_2addr_b64 v216, v[12:13], v[14:15] offset0:90 offset1:91
	ds_store_2addr_b64 v216, v[8:9], v[10:11] offset0:92 offset1:93
	ds_store_2addr_b64 v216, v[4:5], v[6:7] offset0:94 offset1:95
	ds_store_2addr_b64 v216, v[0:1], v[2:3] offset0:96 offset1:97
	ds_load_2addr_b64 v[196:199], v215 offset1:1
	s_waitcnt lgkmcnt(0)
	v_cmp_neq_f64_e32 vcc_lo, 0, v[196:197]
	v_cmp_neq_f64_e64 s3, 0, v[198:199]
	s_delay_alu instid0(VALU_DEP_1) | instskip(NEXT) | instid1(SALU_CYCLE_1)
	s_or_b32 s3, vcc_lo, s3
	s_and_b32 exec_lo, exec_lo, s3
	s_cbranch_execz .LBB97_359
; %bb.354:
	v_cmp_gt_f64_e32 vcc_lo, 0, v[196:197]
	v_xor_b32_e32 v200, 0x80000000, v197
	v_xor_b32_e32 v202, 0x80000000, v199
	s_mov_b32 s3, exec_lo
                                        ; implicit-def: $vgpr204_vgpr205
	s_delay_alu instid0(VALU_DEP_2) | instskip(SKIP_4) | instid1(VALU_DEP_1)
	v_cndmask_b32_e32 v201, v197, v200, vcc_lo
	v_cndmask_b32_e32 v200, v196, v196, vcc_lo
	v_cmp_gt_f64_e32 vcc_lo, 0, v[198:199]
	v_cndmask_b32_e32 v203, v199, v202, vcc_lo
	v_cndmask_b32_e32 v202, v198, v198, vcc_lo
	v_cmpx_ngt_f64_e32 v[200:201], v[202:203]
	s_xor_b32 s3, exec_lo, s3
                                        ; implicit-def: $vgpr200_vgpr201_vgpr202_vgpr203
	s_cbranch_execz .LBB97_356
; %bb.355:
	v_div_scale_f64 v[200:201], null, v[198:199], v[198:199], v[196:197]
	v_div_scale_f64 v[206:207], vcc_lo, v[196:197], v[198:199], v[196:197]
	s_delay_alu instid0(VALU_DEP_2) | instskip(SKIP_2) | instid1(VALU_DEP_1)
	v_rcp_f64_e32 v[202:203], v[200:201]
	s_waitcnt_depctr 0xfff
	v_fma_f64 v[204:205], -v[200:201], v[202:203], 1.0
	v_fma_f64 v[202:203], v[202:203], v[204:205], v[202:203]
	s_delay_alu instid0(VALU_DEP_1) | instskip(NEXT) | instid1(VALU_DEP_1)
	v_fma_f64 v[204:205], -v[200:201], v[202:203], 1.0
	v_fma_f64 v[202:203], v[202:203], v[204:205], v[202:203]
	s_delay_alu instid0(VALU_DEP_1) | instskip(NEXT) | instid1(VALU_DEP_1)
	v_mul_f64 v[204:205], v[206:207], v[202:203]
	v_fma_f64 v[200:201], -v[200:201], v[204:205], v[206:207]
	s_delay_alu instid0(VALU_DEP_1) | instskip(NEXT) | instid1(VALU_DEP_1)
	v_div_fmas_f64 v[200:201], v[200:201], v[202:203], v[204:205]
	v_div_fixup_f64 v[200:201], v[200:201], v[198:199], v[196:197]
	s_delay_alu instid0(VALU_DEP_1) | instskip(NEXT) | instid1(VALU_DEP_1)
	v_fma_f64 v[196:197], v[196:197], v[200:201], v[198:199]
	v_div_scale_f64 v[198:199], null, v[196:197], v[196:197], 1.0
	s_delay_alu instid0(VALU_DEP_1) | instskip(SKIP_2) | instid1(VALU_DEP_1)
	v_rcp_f64_e32 v[202:203], v[198:199]
	s_waitcnt_depctr 0xfff
	v_fma_f64 v[204:205], -v[198:199], v[202:203], 1.0
	v_fma_f64 v[202:203], v[202:203], v[204:205], v[202:203]
	s_delay_alu instid0(VALU_DEP_1) | instskip(NEXT) | instid1(VALU_DEP_1)
	v_fma_f64 v[204:205], -v[198:199], v[202:203], 1.0
	v_fma_f64 v[202:203], v[202:203], v[204:205], v[202:203]
	v_div_scale_f64 v[204:205], vcc_lo, 1.0, v[196:197], 1.0
	s_delay_alu instid0(VALU_DEP_1) | instskip(NEXT) | instid1(VALU_DEP_1)
	v_mul_f64 v[206:207], v[204:205], v[202:203]
	v_fma_f64 v[198:199], -v[198:199], v[206:207], v[204:205]
	s_delay_alu instid0(VALU_DEP_1) | instskip(NEXT) | instid1(VALU_DEP_1)
	v_div_fmas_f64 v[198:199], v[198:199], v[202:203], v[206:207]
	v_div_fixup_f64 v[202:203], v[198:199], v[196:197], 1.0
                                        ; implicit-def: $vgpr196_vgpr197
	s_delay_alu instid0(VALU_DEP_1)
	v_mul_f64 v[204:205], v[200:201], v[202:203]
	v_xor_b32_e32 v203, 0x80000000, v203
.LBB97_356:
	s_and_not1_saveexec_b32 s3, s3
	s_cbranch_execz .LBB97_358
; %bb.357:
	v_div_scale_f64 v[200:201], null, v[196:197], v[196:197], v[198:199]
	v_div_scale_f64 v[206:207], vcc_lo, v[198:199], v[196:197], v[198:199]
	s_delay_alu instid0(VALU_DEP_2) | instskip(SKIP_2) | instid1(VALU_DEP_1)
	v_rcp_f64_e32 v[202:203], v[200:201]
	s_waitcnt_depctr 0xfff
	v_fma_f64 v[204:205], -v[200:201], v[202:203], 1.0
	v_fma_f64 v[202:203], v[202:203], v[204:205], v[202:203]
	s_delay_alu instid0(VALU_DEP_1) | instskip(NEXT) | instid1(VALU_DEP_1)
	v_fma_f64 v[204:205], -v[200:201], v[202:203], 1.0
	v_fma_f64 v[202:203], v[202:203], v[204:205], v[202:203]
	s_delay_alu instid0(VALU_DEP_1) | instskip(NEXT) | instid1(VALU_DEP_1)
	v_mul_f64 v[204:205], v[206:207], v[202:203]
	v_fma_f64 v[200:201], -v[200:201], v[204:205], v[206:207]
	s_delay_alu instid0(VALU_DEP_1) | instskip(NEXT) | instid1(VALU_DEP_1)
	v_div_fmas_f64 v[200:201], v[200:201], v[202:203], v[204:205]
	v_div_fixup_f64 v[200:201], v[200:201], v[196:197], v[198:199]
	s_delay_alu instid0(VALU_DEP_1) | instskip(NEXT) | instid1(VALU_DEP_1)
	v_fma_f64 v[196:197], v[198:199], v[200:201], v[196:197]
	v_div_scale_f64 v[198:199], null, v[196:197], v[196:197], 1.0
	s_delay_alu instid0(VALU_DEP_1) | instskip(SKIP_2) | instid1(VALU_DEP_1)
	v_rcp_f64_e32 v[202:203], v[198:199]
	s_waitcnt_depctr 0xfff
	v_fma_f64 v[204:205], -v[198:199], v[202:203], 1.0
	v_fma_f64 v[202:203], v[202:203], v[204:205], v[202:203]
	s_delay_alu instid0(VALU_DEP_1) | instskip(NEXT) | instid1(VALU_DEP_1)
	v_fma_f64 v[204:205], -v[198:199], v[202:203], 1.0
	v_fma_f64 v[202:203], v[202:203], v[204:205], v[202:203]
	v_div_scale_f64 v[204:205], vcc_lo, 1.0, v[196:197], 1.0
	s_delay_alu instid0(VALU_DEP_1) | instskip(NEXT) | instid1(VALU_DEP_1)
	v_mul_f64 v[206:207], v[204:205], v[202:203]
	v_fma_f64 v[198:199], -v[198:199], v[206:207], v[204:205]
	s_delay_alu instid0(VALU_DEP_1) | instskip(NEXT) | instid1(VALU_DEP_1)
	v_div_fmas_f64 v[198:199], v[198:199], v[202:203], v[206:207]
	v_div_fixup_f64 v[204:205], v[198:199], v[196:197], 1.0
	s_delay_alu instid0(VALU_DEP_1)
	v_mul_f64 v[202:203], v[200:201], -v[204:205]
.LBB97_358:
	s_or_b32 exec_lo, exec_lo, s3
	ds_store_2addr_b64 v215, v[204:205], v[202:203] offset1:1
.LBB97_359:
	s_or_b32 exec_lo, exec_lo, s4
	s_waitcnt lgkmcnt(0)
	s_barrier
	buffer_gl0_inv
	ds_load_2addr_b64 v[196:199], v215 offset1:1
	s_mov_b32 s3, exec_lo
	s_waitcnt lgkmcnt(0)
	scratch_store_b128 off, v[196:199], off offset:976 ; 16-byte Folded Spill
	v_cmpx_lt_u32_e32 39, v214
	s_cbranch_execz .LBB97_361
; %bb.360:
	scratch_load_b128 v[202:205], off, off offset:976 ; 16-byte Folded Reload
	s_waitcnt vmcnt(0)
	v_mul_f64 v[196:197], v[202:203], v[38:39]
	v_mul_f64 v[38:39], v[204:205], v[38:39]
	s_delay_alu instid0(VALU_DEP_2) | instskip(SKIP_4) | instid1(VALU_DEP_1)
	v_fma_f64 v[200:201], v[204:205], v[36:37], v[196:197]
	ds_load_2addr_b64 v[196:199], v216 offset0:80 offset1:81
	v_fma_f64 v[36:37], v[202:203], v[36:37], -v[38:39]
	s_waitcnt lgkmcnt(0)
	v_mul_f64 v[38:39], v[198:199], v[200:201]
	v_fma_f64 v[38:39], v[196:197], v[36:37], -v[38:39]
	v_mul_f64 v[196:197], v[196:197], v[200:201]
	s_delay_alu instid0(VALU_DEP_2) | instskip(NEXT) | instid1(VALU_DEP_2)
	v_add_f64 v[32:33], v[32:33], -v[38:39]
	v_fma_f64 v[196:197], v[198:199], v[36:37], v[196:197]
	s_delay_alu instid0(VALU_DEP_1) | instskip(SKIP_3) | instid1(VALU_DEP_1)
	v_add_f64 v[34:35], v[34:35], -v[196:197]
	ds_load_2addr_b64 v[196:199], v216 offset0:82 offset1:83
	s_waitcnt lgkmcnt(0)
	v_mul_f64 v[38:39], v[198:199], v[200:201]
	v_fma_f64 v[38:39], v[196:197], v[36:37], -v[38:39]
	v_mul_f64 v[196:197], v[196:197], v[200:201]
	s_delay_alu instid0(VALU_DEP_2) | instskip(NEXT) | instid1(VALU_DEP_2)
	v_add_f64 v[28:29], v[28:29], -v[38:39]
	v_fma_f64 v[196:197], v[198:199], v[36:37], v[196:197]
	s_delay_alu instid0(VALU_DEP_1) | instskip(SKIP_3) | instid1(VALU_DEP_1)
	v_add_f64 v[30:31], v[30:31], -v[196:197]
	ds_load_2addr_b64 v[196:199], v216 offset0:84 offset1:85
	;; [unrolled: 10-line block ×8, first 2 shown]
	s_waitcnt lgkmcnt(0)
	v_mul_f64 v[38:39], v[198:199], v[200:201]
	v_fma_f64 v[38:39], v[196:197], v[36:37], -v[38:39]
	v_mul_f64 v[196:197], v[196:197], v[200:201]
	s_delay_alu instid0(VALU_DEP_2) | instskip(NEXT) | instid1(VALU_DEP_2)
	v_add_f64 v[0:1], v[0:1], -v[38:39]
	v_fma_f64 v[196:197], v[198:199], v[36:37], v[196:197]
	v_dual_mov_b32 v38, v200 :: v_dual_mov_b32 v39, v201
	s_delay_alu instid0(VALU_DEP_2)
	v_add_f64 v[2:3], v[2:3], -v[196:197]
.LBB97_361:
	s_or_b32 exec_lo, exec_lo, s3
	s_delay_alu instid0(SALU_CYCLE_1)
	s_mov_b32 s4, exec_lo
	s_waitcnt_vscnt null, 0x0
	s_barrier
	buffer_gl0_inv
	v_cmpx_eq_u32_e32 40, v214
	s_cbranch_execz .LBB97_368
; %bb.362:
	ds_store_2addr_b64 v215, v[32:33], v[34:35] offset1:1
	ds_store_2addr_b64 v216, v[28:29], v[30:31] offset0:82 offset1:83
	ds_store_2addr_b64 v216, v[24:25], v[26:27] offset0:84 offset1:85
	;; [unrolled: 1-line block ×8, first 2 shown]
	ds_load_2addr_b64 v[196:199], v215 offset1:1
	s_waitcnt lgkmcnt(0)
	v_cmp_neq_f64_e32 vcc_lo, 0, v[196:197]
	v_cmp_neq_f64_e64 s3, 0, v[198:199]
	s_delay_alu instid0(VALU_DEP_1) | instskip(NEXT) | instid1(SALU_CYCLE_1)
	s_or_b32 s3, vcc_lo, s3
	s_and_b32 exec_lo, exec_lo, s3
	s_cbranch_execz .LBB97_368
; %bb.363:
	v_cmp_gt_f64_e32 vcc_lo, 0, v[196:197]
	v_xor_b32_e32 v200, 0x80000000, v197
	v_xor_b32_e32 v202, 0x80000000, v199
	s_mov_b32 s3, exec_lo
                                        ; implicit-def: $vgpr204_vgpr205
	s_delay_alu instid0(VALU_DEP_2) | instskip(SKIP_4) | instid1(VALU_DEP_1)
	v_cndmask_b32_e32 v201, v197, v200, vcc_lo
	v_cndmask_b32_e32 v200, v196, v196, vcc_lo
	v_cmp_gt_f64_e32 vcc_lo, 0, v[198:199]
	v_cndmask_b32_e32 v203, v199, v202, vcc_lo
	v_cndmask_b32_e32 v202, v198, v198, vcc_lo
	v_cmpx_ngt_f64_e32 v[200:201], v[202:203]
	s_xor_b32 s3, exec_lo, s3
                                        ; implicit-def: $vgpr200_vgpr201_vgpr202_vgpr203
	s_cbranch_execz .LBB97_365
; %bb.364:
	v_div_scale_f64 v[200:201], null, v[198:199], v[198:199], v[196:197]
	v_div_scale_f64 v[206:207], vcc_lo, v[196:197], v[198:199], v[196:197]
	s_delay_alu instid0(VALU_DEP_2) | instskip(SKIP_2) | instid1(VALU_DEP_1)
	v_rcp_f64_e32 v[202:203], v[200:201]
	s_waitcnt_depctr 0xfff
	v_fma_f64 v[204:205], -v[200:201], v[202:203], 1.0
	v_fma_f64 v[202:203], v[202:203], v[204:205], v[202:203]
	s_delay_alu instid0(VALU_DEP_1) | instskip(NEXT) | instid1(VALU_DEP_1)
	v_fma_f64 v[204:205], -v[200:201], v[202:203], 1.0
	v_fma_f64 v[202:203], v[202:203], v[204:205], v[202:203]
	s_delay_alu instid0(VALU_DEP_1) | instskip(NEXT) | instid1(VALU_DEP_1)
	v_mul_f64 v[204:205], v[206:207], v[202:203]
	v_fma_f64 v[200:201], -v[200:201], v[204:205], v[206:207]
	s_delay_alu instid0(VALU_DEP_1) | instskip(NEXT) | instid1(VALU_DEP_1)
	v_div_fmas_f64 v[200:201], v[200:201], v[202:203], v[204:205]
	v_div_fixup_f64 v[200:201], v[200:201], v[198:199], v[196:197]
	s_delay_alu instid0(VALU_DEP_1) | instskip(NEXT) | instid1(VALU_DEP_1)
	v_fma_f64 v[196:197], v[196:197], v[200:201], v[198:199]
	v_div_scale_f64 v[198:199], null, v[196:197], v[196:197], 1.0
	s_delay_alu instid0(VALU_DEP_1) | instskip(SKIP_2) | instid1(VALU_DEP_1)
	v_rcp_f64_e32 v[202:203], v[198:199]
	s_waitcnt_depctr 0xfff
	v_fma_f64 v[204:205], -v[198:199], v[202:203], 1.0
	v_fma_f64 v[202:203], v[202:203], v[204:205], v[202:203]
	s_delay_alu instid0(VALU_DEP_1) | instskip(NEXT) | instid1(VALU_DEP_1)
	v_fma_f64 v[204:205], -v[198:199], v[202:203], 1.0
	v_fma_f64 v[202:203], v[202:203], v[204:205], v[202:203]
	v_div_scale_f64 v[204:205], vcc_lo, 1.0, v[196:197], 1.0
	s_delay_alu instid0(VALU_DEP_1) | instskip(NEXT) | instid1(VALU_DEP_1)
	v_mul_f64 v[206:207], v[204:205], v[202:203]
	v_fma_f64 v[198:199], -v[198:199], v[206:207], v[204:205]
	s_delay_alu instid0(VALU_DEP_1) | instskip(NEXT) | instid1(VALU_DEP_1)
	v_div_fmas_f64 v[198:199], v[198:199], v[202:203], v[206:207]
	v_div_fixup_f64 v[202:203], v[198:199], v[196:197], 1.0
                                        ; implicit-def: $vgpr196_vgpr197
	s_delay_alu instid0(VALU_DEP_1)
	v_mul_f64 v[204:205], v[200:201], v[202:203]
	v_xor_b32_e32 v203, 0x80000000, v203
.LBB97_365:
	s_and_not1_saveexec_b32 s3, s3
	s_cbranch_execz .LBB97_367
; %bb.366:
	v_div_scale_f64 v[200:201], null, v[196:197], v[196:197], v[198:199]
	v_div_scale_f64 v[206:207], vcc_lo, v[198:199], v[196:197], v[198:199]
	s_delay_alu instid0(VALU_DEP_2) | instskip(SKIP_2) | instid1(VALU_DEP_1)
	v_rcp_f64_e32 v[202:203], v[200:201]
	s_waitcnt_depctr 0xfff
	v_fma_f64 v[204:205], -v[200:201], v[202:203], 1.0
	v_fma_f64 v[202:203], v[202:203], v[204:205], v[202:203]
	s_delay_alu instid0(VALU_DEP_1) | instskip(NEXT) | instid1(VALU_DEP_1)
	v_fma_f64 v[204:205], -v[200:201], v[202:203], 1.0
	v_fma_f64 v[202:203], v[202:203], v[204:205], v[202:203]
	s_delay_alu instid0(VALU_DEP_1) | instskip(NEXT) | instid1(VALU_DEP_1)
	v_mul_f64 v[204:205], v[206:207], v[202:203]
	v_fma_f64 v[200:201], -v[200:201], v[204:205], v[206:207]
	s_delay_alu instid0(VALU_DEP_1) | instskip(NEXT) | instid1(VALU_DEP_1)
	v_div_fmas_f64 v[200:201], v[200:201], v[202:203], v[204:205]
	v_div_fixup_f64 v[200:201], v[200:201], v[196:197], v[198:199]
	s_delay_alu instid0(VALU_DEP_1) | instskip(NEXT) | instid1(VALU_DEP_1)
	v_fma_f64 v[196:197], v[198:199], v[200:201], v[196:197]
	v_div_scale_f64 v[198:199], null, v[196:197], v[196:197], 1.0
	s_delay_alu instid0(VALU_DEP_1) | instskip(SKIP_2) | instid1(VALU_DEP_1)
	v_rcp_f64_e32 v[202:203], v[198:199]
	s_waitcnt_depctr 0xfff
	v_fma_f64 v[204:205], -v[198:199], v[202:203], 1.0
	v_fma_f64 v[202:203], v[202:203], v[204:205], v[202:203]
	s_delay_alu instid0(VALU_DEP_1) | instskip(NEXT) | instid1(VALU_DEP_1)
	v_fma_f64 v[204:205], -v[198:199], v[202:203], 1.0
	v_fma_f64 v[202:203], v[202:203], v[204:205], v[202:203]
	v_div_scale_f64 v[204:205], vcc_lo, 1.0, v[196:197], 1.0
	s_delay_alu instid0(VALU_DEP_1) | instskip(NEXT) | instid1(VALU_DEP_1)
	v_mul_f64 v[206:207], v[204:205], v[202:203]
	v_fma_f64 v[198:199], -v[198:199], v[206:207], v[204:205]
	s_delay_alu instid0(VALU_DEP_1) | instskip(NEXT) | instid1(VALU_DEP_1)
	v_div_fmas_f64 v[198:199], v[198:199], v[202:203], v[206:207]
	v_div_fixup_f64 v[204:205], v[198:199], v[196:197], 1.0
	s_delay_alu instid0(VALU_DEP_1)
	v_mul_f64 v[202:203], v[200:201], -v[204:205]
.LBB97_367:
	s_or_b32 exec_lo, exec_lo, s3
	ds_store_2addr_b64 v215, v[204:205], v[202:203] offset1:1
.LBB97_368:
	s_or_b32 exec_lo, exec_lo, s4
	s_waitcnt lgkmcnt(0)
	s_barrier
	buffer_gl0_inv
	ds_load_2addr_b64 v[236:239], v215 offset1:1
	s_mov_b32 s3, exec_lo
	v_cmpx_lt_u32_e32 40, v214
	s_cbranch_execz .LBB97_370
; %bb.369:
	s_waitcnt lgkmcnt(0)
	v_mul_f64 v[196:197], v[236:237], v[34:35]
	v_mul_f64 v[34:35], v[238:239], v[34:35]
	s_delay_alu instid0(VALU_DEP_2) | instskip(SKIP_4) | instid1(VALU_DEP_1)
	v_fma_f64 v[200:201], v[238:239], v[32:33], v[196:197]
	ds_load_2addr_b64 v[196:199], v216 offset0:82 offset1:83
	v_fma_f64 v[32:33], v[236:237], v[32:33], -v[34:35]
	s_waitcnt lgkmcnt(0)
	v_mul_f64 v[34:35], v[198:199], v[200:201]
	v_fma_f64 v[34:35], v[196:197], v[32:33], -v[34:35]
	v_mul_f64 v[196:197], v[196:197], v[200:201]
	s_delay_alu instid0(VALU_DEP_2) | instskip(NEXT) | instid1(VALU_DEP_2)
	v_add_f64 v[28:29], v[28:29], -v[34:35]
	v_fma_f64 v[196:197], v[198:199], v[32:33], v[196:197]
	s_delay_alu instid0(VALU_DEP_1) | instskip(SKIP_3) | instid1(VALU_DEP_1)
	v_add_f64 v[30:31], v[30:31], -v[196:197]
	ds_load_2addr_b64 v[196:199], v216 offset0:84 offset1:85
	s_waitcnt lgkmcnt(0)
	v_mul_f64 v[34:35], v[198:199], v[200:201]
	v_fma_f64 v[34:35], v[196:197], v[32:33], -v[34:35]
	v_mul_f64 v[196:197], v[196:197], v[200:201]
	s_delay_alu instid0(VALU_DEP_2) | instskip(NEXT) | instid1(VALU_DEP_2)
	v_add_f64 v[24:25], v[24:25], -v[34:35]
	v_fma_f64 v[196:197], v[198:199], v[32:33], v[196:197]
	s_delay_alu instid0(VALU_DEP_1) | instskip(SKIP_3) | instid1(VALU_DEP_1)
	v_add_f64 v[26:27], v[26:27], -v[196:197]
	ds_load_2addr_b64 v[196:199], v216 offset0:86 offset1:87
	;; [unrolled: 10-line block ×7, first 2 shown]
	s_waitcnt lgkmcnt(0)
	v_mul_f64 v[34:35], v[198:199], v[200:201]
	v_fma_f64 v[34:35], v[196:197], v[32:33], -v[34:35]
	v_mul_f64 v[196:197], v[196:197], v[200:201]
	s_delay_alu instid0(VALU_DEP_2) | instskip(NEXT) | instid1(VALU_DEP_2)
	v_add_f64 v[0:1], v[0:1], -v[34:35]
	v_fma_f64 v[196:197], v[198:199], v[32:33], v[196:197]
	v_dual_mov_b32 v34, v200 :: v_dual_mov_b32 v35, v201
	s_delay_alu instid0(VALU_DEP_2)
	v_add_f64 v[2:3], v[2:3], -v[196:197]
.LBB97_370:
	s_or_b32 exec_lo, exec_lo, s3
	s_delay_alu instid0(SALU_CYCLE_1)
	s_mov_b32 s4, exec_lo
	s_waitcnt lgkmcnt(0)
	s_barrier
	buffer_gl0_inv
	v_cmpx_eq_u32_e32 41, v214
	s_cbranch_execz .LBB97_377
; %bb.371:
	ds_store_2addr_b64 v215, v[28:29], v[30:31] offset1:1
	ds_store_2addr_b64 v216, v[24:25], v[26:27] offset0:84 offset1:85
	ds_store_2addr_b64 v216, v[20:21], v[22:23] offset0:86 offset1:87
	;; [unrolled: 1-line block ×7, first 2 shown]
	ds_load_2addr_b64 v[196:199], v215 offset1:1
	s_waitcnt lgkmcnt(0)
	v_cmp_neq_f64_e32 vcc_lo, 0, v[196:197]
	v_cmp_neq_f64_e64 s3, 0, v[198:199]
	s_delay_alu instid0(VALU_DEP_1) | instskip(NEXT) | instid1(SALU_CYCLE_1)
	s_or_b32 s3, vcc_lo, s3
	s_and_b32 exec_lo, exec_lo, s3
	s_cbranch_execz .LBB97_377
; %bb.372:
	v_cmp_gt_f64_e32 vcc_lo, 0, v[196:197]
	v_xor_b32_e32 v200, 0x80000000, v197
	v_xor_b32_e32 v202, 0x80000000, v199
	s_mov_b32 s3, exec_lo
                                        ; implicit-def: $vgpr204_vgpr205
	s_delay_alu instid0(VALU_DEP_2) | instskip(SKIP_4) | instid1(VALU_DEP_1)
	v_cndmask_b32_e32 v201, v197, v200, vcc_lo
	v_cndmask_b32_e32 v200, v196, v196, vcc_lo
	v_cmp_gt_f64_e32 vcc_lo, 0, v[198:199]
	v_cndmask_b32_e32 v203, v199, v202, vcc_lo
	v_cndmask_b32_e32 v202, v198, v198, vcc_lo
	v_cmpx_ngt_f64_e32 v[200:201], v[202:203]
	s_xor_b32 s3, exec_lo, s3
                                        ; implicit-def: $vgpr200_vgpr201_vgpr202_vgpr203
	s_cbranch_execz .LBB97_374
; %bb.373:
	v_div_scale_f64 v[200:201], null, v[198:199], v[198:199], v[196:197]
	v_div_scale_f64 v[206:207], vcc_lo, v[196:197], v[198:199], v[196:197]
	s_delay_alu instid0(VALU_DEP_2) | instskip(SKIP_2) | instid1(VALU_DEP_1)
	v_rcp_f64_e32 v[202:203], v[200:201]
	s_waitcnt_depctr 0xfff
	v_fma_f64 v[204:205], -v[200:201], v[202:203], 1.0
	v_fma_f64 v[202:203], v[202:203], v[204:205], v[202:203]
	s_delay_alu instid0(VALU_DEP_1) | instskip(NEXT) | instid1(VALU_DEP_1)
	v_fma_f64 v[204:205], -v[200:201], v[202:203], 1.0
	v_fma_f64 v[202:203], v[202:203], v[204:205], v[202:203]
	s_delay_alu instid0(VALU_DEP_1) | instskip(NEXT) | instid1(VALU_DEP_1)
	v_mul_f64 v[204:205], v[206:207], v[202:203]
	v_fma_f64 v[200:201], -v[200:201], v[204:205], v[206:207]
	s_delay_alu instid0(VALU_DEP_1) | instskip(NEXT) | instid1(VALU_DEP_1)
	v_div_fmas_f64 v[200:201], v[200:201], v[202:203], v[204:205]
	v_div_fixup_f64 v[200:201], v[200:201], v[198:199], v[196:197]
	s_delay_alu instid0(VALU_DEP_1) | instskip(NEXT) | instid1(VALU_DEP_1)
	v_fma_f64 v[196:197], v[196:197], v[200:201], v[198:199]
	v_div_scale_f64 v[198:199], null, v[196:197], v[196:197], 1.0
	s_delay_alu instid0(VALU_DEP_1) | instskip(SKIP_2) | instid1(VALU_DEP_1)
	v_rcp_f64_e32 v[202:203], v[198:199]
	s_waitcnt_depctr 0xfff
	v_fma_f64 v[204:205], -v[198:199], v[202:203], 1.0
	v_fma_f64 v[202:203], v[202:203], v[204:205], v[202:203]
	s_delay_alu instid0(VALU_DEP_1) | instskip(NEXT) | instid1(VALU_DEP_1)
	v_fma_f64 v[204:205], -v[198:199], v[202:203], 1.0
	v_fma_f64 v[202:203], v[202:203], v[204:205], v[202:203]
	v_div_scale_f64 v[204:205], vcc_lo, 1.0, v[196:197], 1.0
	s_delay_alu instid0(VALU_DEP_1) | instskip(NEXT) | instid1(VALU_DEP_1)
	v_mul_f64 v[206:207], v[204:205], v[202:203]
	v_fma_f64 v[198:199], -v[198:199], v[206:207], v[204:205]
	s_delay_alu instid0(VALU_DEP_1) | instskip(NEXT) | instid1(VALU_DEP_1)
	v_div_fmas_f64 v[198:199], v[198:199], v[202:203], v[206:207]
	v_div_fixup_f64 v[202:203], v[198:199], v[196:197], 1.0
                                        ; implicit-def: $vgpr196_vgpr197
	s_delay_alu instid0(VALU_DEP_1)
	v_mul_f64 v[204:205], v[200:201], v[202:203]
	v_xor_b32_e32 v203, 0x80000000, v203
.LBB97_374:
	s_and_not1_saveexec_b32 s3, s3
	s_cbranch_execz .LBB97_376
; %bb.375:
	v_div_scale_f64 v[200:201], null, v[196:197], v[196:197], v[198:199]
	v_div_scale_f64 v[206:207], vcc_lo, v[198:199], v[196:197], v[198:199]
	s_delay_alu instid0(VALU_DEP_2) | instskip(SKIP_2) | instid1(VALU_DEP_1)
	v_rcp_f64_e32 v[202:203], v[200:201]
	s_waitcnt_depctr 0xfff
	v_fma_f64 v[204:205], -v[200:201], v[202:203], 1.0
	v_fma_f64 v[202:203], v[202:203], v[204:205], v[202:203]
	s_delay_alu instid0(VALU_DEP_1) | instskip(NEXT) | instid1(VALU_DEP_1)
	v_fma_f64 v[204:205], -v[200:201], v[202:203], 1.0
	v_fma_f64 v[202:203], v[202:203], v[204:205], v[202:203]
	s_delay_alu instid0(VALU_DEP_1) | instskip(NEXT) | instid1(VALU_DEP_1)
	v_mul_f64 v[204:205], v[206:207], v[202:203]
	v_fma_f64 v[200:201], -v[200:201], v[204:205], v[206:207]
	s_delay_alu instid0(VALU_DEP_1) | instskip(NEXT) | instid1(VALU_DEP_1)
	v_div_fmas_f64 v[200:201], v[200:201], v[202:203], v[204:205]
	v_div_fixup_f64 v[200:201], v[200:201], v[196:197], v[198:199]
	s_delay_alu instid0(VALU_DEP_1) | instskip(NEXT) | instid1(VALU_DEP_1)
	v_fma_f64 v[196:197], v[198:199], v[200:201], v[196:197]
	v_div_scale_f64 v[198:199], null, v[196:197], v[196:197], 1.0
	s_delay_alu instid0(VALU_DEP_1) | instskip(SKIP_2) | instid1(VALU_DEP_1)
	v_rcp_f64_e32 v[202:203], v[198:199]
	s_waitcnt_depctr 0xfff
	v_fma_f64 v[204:205], -v[198:199], v[202:203], 1.0
	v_fma_f64 v[202:203], v[202:203], v[204:205], v[202:203]
	s_delay_alu instid0(VALU_DEP_1) | instskip(NEXT) | instid1(VALU_DEP_1)
	v_fma_f64 v[204:205], -v[198:199], v[202:203], 1.0
	v_fma_f64 v[202:203], v[202:203], v[204:205], v[202:203]
	v_div_scale_f64 v[204:205], vcc_lo, 1.0, v[196:197], 1.0
	s_delay_alu instid0(VALU_DEP_1) | instskip(NEXT) | instid1(VALU_DEP_1)
	v_mul_f64 v[206:207], v[204:205], v[202:203]
	v_fma_f64 v[198:199], -v[198:199], v[206:207], v[204:205]
	s_delay_alu instid0(VALU_DEP_1) | instskip(NEXT) | instid1(VALU_DEP_1)
	v_div_fmas_f64 v[198:199], v[198:199], v[202:203], v[206:207]
	v_div_fixup_f64 v[204:205], v[198:199], v[196:197], 1.0
	s_delay_alu instid0(VALU_DEP_1)
	v_mul_f64 v[202:203], v[200:201], -v[204:205]
.LBB97_376:
	s_or_b32 exec_lo, exec_lo, s3
	ds_store_2addr_b64 v215, v[204:205], v[202:203] offset1:1
.LBB97_377:
	s_or_b32 exec_lo, exec_lo, s4
	s_waitcnt lgkmcnt(0)
	s_barrier
	buffer_gl0_inv
	ds_load_2addr_b64 v[240:243], v215 offset1:1
	s_mov_b32 s3, exec_lo
	v_cmpx_lt_u32_e32 41, v214
	s_cbranch_execz .LBB97_379
; %bb.378:
	s_waitcnt lgkmcnt(0)
	v_mul_f64 v[196:197], v[240:241], v[30:31]
	v_mul_f64 v[30:31], v[242:243], v[30:31]
	s_delay_alu instid0(VALU_DEP_2) | instskip(SKIP_4) | instid1(VALU_DEP_1)
	v_fma_f64 v[200:201], v[242:243], v[28:29], v[196:197]
	ds_load_2addr_b64 v[196:199], v216 offset0:84 offset1:85
	v_fma_f64 v[28:29], v[240:241], v[28:29], -v[30:31]
	s_waitcnt lgkmcnt(0)
	v_mul_f64 v[30:31], v[198:199], v[200:201]
	v_fma_f64 v[30:31], v[196:197], v[28:29], -v[30:31]
	v_mul_f64 v[196:197], v[196:197], v[200:201]
	s_delay_alu instid0(VALU_DEP_2) | instskip(NEXT) | instid1(VALU_DEP_2)
	v_add_f64 v[24:25], v[24:25], -v[30:31]
	v_fma_f64 v[196:197], v[198:199], v[28:29], v[196:197]
	s_delay_alu instid0(VALU_DEP_1) | instskip(SKIP_3) | instid1(VALU_DEP_1)
	v_add_f64 v[26:27], v[26:27], -v[196:197]
	ds_load_2addr_b64 v[196:199], v216 offset0:86 offset1:87
	s_waitcnt lgkmcnt(0)
	v_mul_f64 v[30:31], v[198:199], v[200:201]
	v_fma_f64 v[30:31], v[196:197], v[28:29], -v[30:31]
	v_mul_f64 v[196:197], v[196:197], v[200:201]
	s_delay_alu instid0(VALU_DEP_2) | instskip(NEXT) | instid1(VALU_DEP_2)
	v_add_f64 v[20:21], v[20:21], -v[30:31]
	v_fma_f64 v[196:197], v[198:199], v[28:29], v[196:197]
	s_delay_alu instid0(VALU_DEP_1) | instskip(SKIP_3) | instid1(VALU_DEP_1)
	v_add_f64 v[22:23], v[22:23], -v[196:197]
	ds_load_2addr_b64 v[196:199], v216 offset0:88 offset1:89
	;; [unrolled: 10-line block ×6, first 2 shown]
	s_waitcnt lgkmcnt(0)
	v_mul_f64 v[30:31], v[198:199], v[200:201]
	v_fma_f64 v[30:31], v[196:197], v[28:29], -v[30:31]
	v_mul_f64 v[196:197], v[196:197], v[200:201]
	s_delay_alu instid0(VALU_DEP_2) | instskip(NEXT) | instid1(VALU_DEP_2)
	v_add_f64 v[0:1], v[0:1], -v[30:31]
	v_fma_f64 v[196:197], v[198:199], v[28:29], v[196:197]
	v_dual_mov_b32 v30, v200 :: v_dual_mov_b32 v31, v201
	s_delay_alu instid0(VALU_DEP_2)
	v_add_f64 v[2:3], v[2:3], -v[196:197]
.LBB97_379:
	s_or_b32 exec_lo, exec_lo, s3
	s_delay_alu instid0(SALU_CYCLE_1)
	s_mov_b32 s4, exec_lo
	s_waitcnt lgkmcnt(0)
	s_barrier
	buffer_gl0_inv
	v_cmpx_eq_u32_e32 42, v214
	s_cbranch_execz .LBB97_386
; %bb.380:
	ds_store_2addr_b64 v215, v[24:25], v[26:27] offset1:1
	ds_store_2addr_b64 v216, v[20:21], v[22:23] offset0:86 offset1:87
	ds_store_2addr_b64 v216, v[16:17], v[18:19] offset0:88 offset1:89
	;; [unrolled: 1-line block ×6, first 2 shown]
	ds_load_2addr_b64 v[196:199], v215 offset1:1
	s_waitcnt lgkmcnt(0)
	v_cmp_neq_f64_e32 vcc_lo, 0, v[196:197]
	v_cmp_neq_f64_e64 s3, 0, v[198:199]
	s_delay_alu instid0(VALU_DEP_1) | instskip(NEXT) | instid1(SALU_CYCLE_1)
	s_or_b32 s3, vcc_lo, s3
	s_and_b32 exec_lo, exec_lo, s3
	s_cbranch_execz .LBB97_386
; %bb.381:
	v_cmp_gt_f64_e32 vcc_lo, 0, v[196:197]
	v_xor_b32_e32 v200, 0x80000000, v197
	v_xor_b32_e32 v202, 0x80000000, v199
	s_mov_b32 s3, exec_lo
                                        ; implicit-def: $vgpr204_vgpr205
	s_delay_alu instid0(VALU_DEP_2) | instskip(SKIP_4) | instid1(VALU_DEP_1)
	v_cndmask_b32_e32 v201, v197, v200, vcc_lo
	v_cndmask_b32_e32 v200, v196, v196, vcc_lo
	v_cmp_gt_f64_e32 vcc_lo, 0, v[198:199]
	v_cndmask_b32_e32 v203, v199, v202, vcc_lo
	v_cndmask_b32_e32 v202, v198, v198, vcc_lo
	v_cmpx_ngt_f64_e32 v[200:201], v[202:203]
	s_xor_b32 s3, exec_lo, s3
                                        ; implicit-def: $vgpr200_vgpr201_vgpr202_vgpr203
	s_cbranch_execz .LBB97_383
; %bb.382:
	v_div_scale_f64 v[200:201], null, v[198:199], v[198:199], v[196:197]
	v_div_scale_f64 v[206:207], vcc_lo, v[196:197], v[198:199], v[196:197]
	s_delay_alu instid0(VALU_DEP_2) | instskip(SKIP_2) | instid1(VALU_DEP_1)
	v_rcp_f64_e32 v[202:203], v[200:201]
	s_waitcnt_depctr 0xfff
	v_fma_f64 v[204:205], -v[200:201], v[202:203], 1.0
	v_fma_f64 v[202:203], v[202:203], v[204:205], v[202:203]
	s_delay_alu instid0(VALU_DEP_1) | instskip(NEXT) | instid1(VALU_DEP_1)
	v_fma_f64 v[204:205], -v[200:201], v[202:203], 1.0
	v_fma_f64 v[202:203], v[202:203], v[204:205], v[202:203]
	s_delay_alu instid0(VALU_DEP_1) | instskip(NEXT) | instid1(VALU_DEP_1)
	v_mul_f64 v[204:205], v[206:207], v[202:203]
	v_fma_f64 v[200:201], -v[200:201], v[204:205], v[206:207]
	s_delay_alu instid0(VALU_DEP_1) | instskip(NEXT) | instid1(VALU_DEP_1)
	v_div_fmas_f64 v[200:201], v[200:201], v[202:203], v[204:205]
	v_div_fixup_f64 v[200:201], v[200:201], v[198:199], v[196:197]
	s_delay_alu instid0(VALU_DEP_1) | instskip(NEXT) | instid1(VALU_DEP_1)
	v_fma_f64 v[196:197], v[196:197], v[200:201], v[198:199]
	v_div_scale_f64 v[198:199], null, v[196:197], v[196:197], 1.0
	s_delay_alu instid0(VALU_DEP_1) | instskip(SKIP_2) | instid1(VALU_DEP_1)
	v_rcp_f64_e32 v[202:203], v[198:199]
	s_waitcnt_depctr 0xfff
	v_fma_f64 v[204:205], -v[198:199], v[202:203], 1.0
	v_fma_f64 v[202:203], v[202:203], v[204:205], v[202:203]
	s_delay_alu instid0(VALU_DEP_1) | instskip(NEXT) | instid1(VALU_DEP_1)
	v_fma_f64 v[204:205], -v[198:199], v[202:203], 1.0
	v_fma_f64 v[202:203], v[202:203], v[204:205], v[202:203]
	v_div_scale_f64 v[204:205], vcc_lo, 1.0, v[196:197], 1.0
	s_delay_alu instid0(VALU_DEP_1) | instskip(NEXT) | instid1(VALU_DEP_1)
	v_mul_f64 v[206:207], v[204:205], v[202:203]
	v_fma_f64 v[198:199], -v[198:199], v[206:207], v[204:205]
	s_delay_alu instid0(VALU_DEP_1) | instskip(NEXT) | instid1(VALU_DEP_1)
	v_div_fmas_f64 v[198:199], v[198:199], v[202:203], v[206:207]
	v_div_fixup_f64 v[202:203], v[198:199], v[196:197], 1.0
                                        ; implicit-def: $vgpr196_vgpr197
	s_delay_alu instid0(VALU_DEP_1)
	v_mul_f64 v[204:205], v[200:201], v[202:203]
	v_xor_b32_e32 v203, 0x80000000, v203
.LBB97_383:
	s_and_not1_saveexec_b32 s3, s3
	s_cbranch_execz .LBB97_385
; %bb.384:
	v_div_scale_f64 v[200:201], null, v[196:197], v[196:197], v[198:199]
	v_div_scale_f64 v[206:207], vcc_lo, v[198:199], v[196:197], v[198:199]
	s_delay_alu instid0(VALU_DEP_2) | instskip(SKIP_2) | instid1(VALU_DEP_1)
	v_rcp_f64_e32 v[202:203], v[200:201]
	s_waitcnt_depctr 0xfff
	v_fma_f64 v[204:205], -v[200:201], v[202:203], 1.0
	v_fma_f64 v[202:203], v[202:203], v[204:205], v[202:203]
	s_delay_alu instid0(VALU_DEP_1) | instskip(NEXT) | instid1(VALU_DEP_1)
	v_fma_f64 v[204:205], -v[200:201], v[202:203], 1.0
	v_fma_f64 v[202:203], v[202:203], v[204:205], v[202:203]
	s_delay_alu instid0(VALU_DEP_1) | instskip(NEXT) | instid1(VALU_DEP_1)
	v_mul_f64 v[204:205], v[206:207], v[202:203]
	v_fma_f64 v[200:201], -v[200:201], v[204:205], v[206:207]
	s_delay_alu instid0(VALU_DEP_1) | instskip(NEXT) | instid1(VALU_DEP_1)
	v_div_fmas_f64 v[200:201], v[200:201], v[202:203], v[204:205]
	v_div_fixup_f64 v[200:201], v[200:201], v[196:197], v[198:199]
	s_delay_alu instid0(VALU_DEP_1) | instskip(NEXT) | instid1(VALU_DEP_1)
	v_fma_f64 v[196:197], v[198:199], v[200:201], v[196:197]
	v_div_scale_f64 v[198:199], null, v[196:197], v[196:197], 1.0
	s_delay_alu instid0(VALU_DEP_1) | instskip(SKIP_2) | instid1(VALU_DEP_1)
	v_rcp_f64_e32 v[202:203], v[198:199]
	s_waitcnt_depctr 0xfff
	v_fma_f64 v[204:205], -v[198:199], v[202:203], 1.0
	v_fma_f64 v[202:203], v[202:203], v[204:205], v[202:203]
	s_delay_alu instid0(VALU_DEP_1) | instskip(NEXT) | instid1(VALU_DEP_1)
	v_fma_f64 v[204:205], -v[198:199], v[202:203], 1.0
	v_fma_f64 v[202:203], v[202:203], v[204:205], v[202:203]
	v_div_scale_f64 v[204:205], vcc_lo, 1.0, v[196:197], 1.0
	s_delay_alu instid0(VALU_DEP_1) | instskip(NEXT) | instid1(VALU_DEP_1)
	v_mul_f64 v[206:207], v[204:205], v[202:203]
	v_fma_f64 v[198:199], -v[198:199], v[206:207], v[204:205]
	s_delay_alu instid0(VALU_DEP_1) | instskip(NEXT) | instid1(VALU_DEP_1)
	v_div_fmas_f64 v[198:199], v[198:199], v[202:203], v[206:207]
	v_div_fixup_f64 v[204:205], v[198:199], v[196:197], 1.0
	s_delay_alu instid0(VALU_DEP_1)
	v_mul_f64 v[202:203], v[200:201], -v[204:205]
.LBB97_385:
	s_or_b32 exec_lo, exec_lo, s3
	ds_store_2addr_b64 v215, v[204:205], v[202:203] offset1:1
.LBB97_386:
	s_or_b32 exec_lo, exec_lo, s4
	s_waitcnt lgkmcnt(0)
	s_barrier
	buffer_gl0_inv
	ds_load_2addr_b64 v[244:247], v215 offset1:1
	s_mov_b32 s3, exec_lo
	v_cmpx_lt_u32_e32 42, v214
	s_cbranch_execz .LBB97_388
; %bb.387:
	s_waitcnt lgkmcnt(0)
	v_mul_f64 v[196:197], v[244:245], v[26:27]
	v_mul_f64 v[26:27], v[246:247], v[26:27]
	s_delay_alu instid0(VALU_DEP_2) | instskip(SKIP_4) | instid1(VALU_DEP_1)
	v_fma_f64 v[200:201], v[246:247], v[24:25], v[196:197]
	ds_load_2addr_b64 v[196:199], v216 offset0:86 offset1:87
	v_fma_f64 v[24:25], v[244:245], v[24:25], -v[26:27]
	s_waitcnt lgkmcnt(0)
	v_mul_f64 v[26:27], v[198:199], v[200:201]
	v_fma_f64 v[26:27], v[196:197], v[24:25], -v[26:27]
	v_mul_f64 v[196:197], v[196:197], v[200:201]
	s_delay_alu instid0(VALU_DEP_2) | instskip(NEXT) | instid1(VALU_DEP_2)
	v_add_f64 v[20:21], v[20:21], -v[26:27]
	v_fma_f64 v[196:197], v[198:199], v[24:25], v[196:197]
	s_delay_alu instid0(VALU_DEP_1) | instskip(SKIP_3) | instid1(VALU_DEP_1)
	v_add_f64 v[22:23], v[22:23], -v[196:197]
	ds_load_2addr_b64 v[196:199], v216 offset0:88 offset1:89
	s_waitcnt lgkmcnt(0)
	v_mul_f64 v[26:27], v[198:199], v[200:201]
	v_fma_f64 v[26:27], v[196:197], v[24:25], -v[26:27]
	v_mul_f64 v[196:197], v[196:197], v[200:201]
	s_delay_alu instid0(VALU_DEP_2) | instskip(NEXT) | instid1(VALU_DEP_2)
	v_add_f64 v[16:17], v[16:17], -v[26:27]
	v_fma_f64 v[196:197], v[198:199], v[24:25], v[196:197]
	s_delay_alu instid0(VALU_DEP_1) | instskip(SKIP_3) | instid1(VALU_DEP_1)
	v_add_f64 v[18:19], v[18:19], -v[196:197]
	ds_load_2addr_b64 v[196:199], v216 offset0:90 offset1:91
	s_waitcnt lgkmcnt(0)
	v_mul_f64 v[26:27], v[198:199], v[200:201]
	v_fma_f64 v[26:27], v[196:197], v[24:25], -v[26:27]
	v_mul_f64 v[196:197], v[196:197], v[200:201]
	s_delay_alu instid0(VALU_DEP_2) | instskip(NEXT) | instid1(VALU_DEP_2)
	v_add_f64 v[12:13], v[12:13], -v[26:27]
	v_fma_f64 v[196:197], v[198:199], v[24:25], v[196:197]
	s_delay_alu instid0(VALU_DEP_1) | instskip(SKIP_3) | instid1(VALU_DEP_1)
	v_add_f64 v[14:15], v[14:15], -v[196:197]
	ds_load_2addr_b64 v[196:199], v216 offset0:92 offset1:93
	s_waitcnt lgkmcnt(0)
	v_mul_f64 v[26:27], v[198:199], v[200:201]
	v_fma_f64 v[26:27], v[196:197], v[24:25], -v[26:27]
	v_mul_f64 v[196:197], v[196:197], v[200:201]
	s_delay_alu instid0(VALU_DEP_2) | instskip(NEXT) | instid1(VALU_DEP_2)
	v_add_f64 v[8:9], v[8:9], -v[26:27]
	v_fma_f64 v[196:197], v[198:199], v[24:25], v[196:197]
	s_delay_alu instid0(VALU_DEP_1) | instskip(SKIP_3) | instid1(VALU_DEP_1)
	v_add_f64 v[10:11], v[10:11], -v[196:197]
	ds_load_2addr_b64 v[196:199], v216 offset0:94 offset1:95
	s_waitcnt lgkmcnt(0)
	v_mul_f64 v[26:27], v[198:199], v[200:201]
	v_fma_f64 v[26:27], v[196:197], v[24:25], -v[26:27]
	v_mul_f64 v[196:197], v[196:197], v[200:201]
	s_delay_alu instid0(VALU_DEP_2) | instskip(NEXT) | instid1(VALU_DEP_2)
	v_add_f64 v[4:5], v[4:5], -v[26:27]
	v_fma_f64 v[196:197], v[198:199], v[24:25], v[196:197]
	s_delay_alu instid0(VALU_DEP_1) | instskip(SKIP_3) | instid1(VALU_DEP_1)
	v_add_f64 v[6:7], v[6:7], -v[196:197]
	ds_load_2addr_b64 v[196:199], v216 offset0:96 offset1:97
	s_waitcnt lgkmcnt(0)
	v_mul_f64 v[26:27], v[198:199], v[200:201]
	v_fma_f64 v[26:27], v[196:197], v[24:25], -v[26:27]
	v_mul_f64 v[196:197], v[196:197], v[200:201]
	s_delay_alu instid0(VALU_DEP_2) | instskip(NEXT) | instid1(VALU_DEP_2)
	v_add_f64 v[0:1], v[0:1], -v[26:27]
	v_fma_f64 v[196:197], v[198:199], v[24:25], v[196:197]
	v_dual_mov_b32 v26, v200 :: v_dual_mov_b32 v27, v201
	s_delay_alu instid0(VALU_DEP_2)
	v_add_f64 v[2:3], v[2:3], -v[196:197]
.LBB97_388:
	s_or_b32 exec_lo, exec_lo, s3
	s_delay_alu instid0(SALU_CYCLE_1)
	s_mov_b32 s4, exec_lo
	s_waitcnt lgkmcnt(0)
	s_barrier
	buffer_gl0_inv
	v_cmpx_eq_u32_e32 43, v214
	s_cbranch_execz .LBB97_395
; %bb.389:
	ds_store_2addr_b64 v215, v[20:21], v[22:23] offset1:1
	ds_store_2addr_b64 v216, v[16:17], v[18:19] offset0:88 offset1:89
	ds_store_2addr_b64 v216, v[12:13], v[14:15] offset0:90 offset1:91
	;; [unrolled: 1-line block ×5, first 2 shown]
	ds_load_2addr_b64 v[196:199], v215 offset1:1
	s_waitcnt lgkmcnt(0)
	v_cmp_neq_f64_e32 vcc_lo, 0, v[196:197]
	v_cmp_neq_f64_e64 s3, 0, v[198:199]
	s_delay_alu instid0(VALU_DEP_1) | instskip(NEXT) | instid1(SALU_CYCLE_1)
	s_or_b32 s3, vcc_lo, s3
	s_and_b32 exec_lo, exec_lo, s3
	s_cbranch_execz .LBB97_395
; %bb.390:
	v_cmp_gt_f64_e32 vcc_lo, 0, v[196:197]
	v_xor_b32_e32 v200, 0x80000000, v197
	v_xor_b32_e32 v202, 0x80000000, v199
	s_mov_b32 s3, exec_lo
                                        ; implicit-def: $vgpr204_vgpr205
	s_delay_alu instid0(VALU_DEP_2) | instskip(SKIP_4) | instid1(VALU_DEP_1)
	v_cndmask_b32_e32 v201, v197, v200, vcc_lo
	v_cndmask_b32_e32 v200, v196, v196, vcc_lo
	v_cmp_gt_f64_e32 vcc_lo, 0, v[198:199]
	v_cndmask_b32_e32 v203, v199, v202, vcc_lo
	v_cndmask_b32_e32 v202, v198, v198, vcc_lo
	v_cmpx_ngt_f64_e32 v[200:201], v[202:203]
	s_xor_b32 s3, exec_lo, s3
                                        ; implicit-def: $vgpr200_vgpr201_vgpr202_vgpr203
	s_cbranch_execz .LBB97_392
; %bb.391:
	v_div_scale_f64 v[200:201], null, v[198:199], v[198:199], v[196:197]
	v_div_scale_f64 v[206:207], vcc_lo, v[196:197], v[198:199], v[196:197]
	s_delay_alu instid0(VALU_DEP_2) | instskip(SKIP_2) | instid1(VALU_DEP_1)
	v_rcp_f64_e32 v[202:203], v[200:201]
	s_waitcnt_depctr 0xfff
	v_fma_f64 v[204:205], -v[200:201], v[202:203], 1.0
	v_fma_f64 v[202:203], v[202:203], v[204:205], v[202:203]
	s_delay_alu instid0(VALU_DEP_1) | instskip(NEXT) | instid1(VALU_DEP_1)
	v_fma_f64 v[204:205], -v[200:201], v[202:203], 1.0
	v_fma_f64 v[202:203], v[202:203], v[204:205], v[202:203]
	s_delay_alu instid0(VALU_DEP_1) | instskip(NEXT) | instid1(VALU_DEP_1)
	v_mul_f64 v[204:205], v[206:207], v[202:203]
	v_fma_f64 v[200:201], -v[200:201], v[204:205], v[206:207]
	s_delay_alu instid0(VALU_DEP_1) | instskip(NEXT) | instid1(VALU_DEP_1)
	v_div_fmas_f64 v[200:201], v[200:201], v[202:203], v[204:205]
	v_div_fixup_f64 v[200:201], v[200:201], v[198:199], v[196:197]
	s_delay_alu instid0(VALU_DEP_1) | instskip(NEXT) | instid1(VALU_DEP_1)
	v_fma_f64 v[196:197], v[196:197], v[200:201], v[198:199]
	v_div_scale_f64 v[198:199], null, v[196:197], v[196:197], 1.0
	s_delay_alu instid0(VALU_DEP_1) | instskip(SKIP_2) | instid1(VALU_DEP_1)
	v_rcp_f64_e32 v[202:203], v[198:199]
	s_waitcnt_depctr 0xfff
	v_fma_f64 v[204:205], -v[198:199], v[202:203], 1.0
	v_fma_f64 v[202:203], v[202:203], v[204:205], v[202:203]
	s_delay_alu instid0(VALU_DEP_1) | instskip(NEXT) | instid1(VALU_DEP_1)
	v_fma_f64 v[204:205], -v[198:199], v[202:203], 1.0
	v_fma_f64 v[202:203], v[202:203], v[204:205], v[202:203]
	v_div_scale_f64 v[204:205], vcc_lo, 1.0, v[196:197], 1.0
	s_delay_alu instid0(VALU_DEP_1) | instskip(NEXT) | instid1(VALU_DEP_1)
	v_mul_f64 v[206:207], v[204:205], v[202:203]
	v_fma_f64 v[198:199], -v[198:199], v[206:207], v[204:205]
	s_delay_alu instid0(VALU_DEP_1) | instskip(NEXT) | instid1(VALU_DEP_1)
	v_div_fmas_f64 v[198:199], v[198:199], v[202:203], v[206:207]
	v_div_fixup_f64 v[202:203], v[198:199], v[196:197], 1.0
                                        ; implicit-def: $vgpr196_vgpr197
	s_delay_alu instid0(VALU_DEP_1)
	v_mul_f64 v[204:205], v[200:201], v[202:203]
	v_xor_b32_e32 v203, 0x80000000, v203
.LBB97_392:
	s_and_not1_saveexec_b32 s3, s3
	s_cbranch_execz .LBB97_394
; %bb.393:
	v_div_scale_f64 v[200:201], null, v[196:197], v[196:197], v[198:199]
	v_div_scale_f64 v[206:207], vcc_lo, v[198:199], v[196:197], v[198:199]
	s_delay_alu instid0(VALU_DEP_2) | instskip(SKIP_2) | instid1(VALU_DEP_1)
	v_rcp_f64_e32 v[202:203], v[200:201]
	s_waitcnt_depctr 0xfff
	v_fma_f64 v[204:205], -v[200:201], v[202:203], 1.0
	v_fma_f64 v[202:203], v[202:203], v[204:205], v[202:203]
	s_delay_alu instid0(VALU_DEP_1) | instskip(NEXT) | instid1(VALU_DEP_1)
	v_fma_f64 v[204:205], -v[200:201], v[202:203], 1.0
	v_fma_f64 v[202:203], v[202:203], v[204:205], v[202:203]
	s_delay_alu instid0(VALU_DEP_1) | instskip(NEXT) | instid1(VALU_DEP_1)
	v_mul_f64 v[204:205], v[206:207], v[202:203]
	v_fma_f64 v[200:201], -v[200:201], v[204:205], v[206:207]
	s_delay_alu instid0(VALU_DEP_1) | instskip(NEXT) | instid1(VALU_DEP_1)
	v_div_fmas_f64 v[200:201], v[200:201], v[202:203], v[204:205]
	v_div_fixup_f64 v[200:201], v[200:201], v[196:197], v[198:199]
	s_delay_alu instid0(VALU_DEP_1) | instskip(NEXT) | instid1(VALU_DEP_1)
	v_fma_f64 v[196:197], v[198:199], v[200:201], v[196:197]
	v_div_scale_f64 v[198:199], null, v[196:197], v[196:197], 1.0
	s_delay_alu instid0(VALU_DEP_1) | instskip(SKIP_2) | instid1(VALU_DEP_1)
	v_rcp_f64_e32 v[202:203], v[198:199]
	s_waitcnt_depctr 0xfff
	v_fma_f64 v[204:205], -v[198:199], v[202:203], 1.0
	v_fma_f64 v[202:203], v[202:203], v[204:205], v[202:203]
	s_delay_alu instid0(VALU_DEP_1) | instskip(NEXT) | instid1(VALU_DEP_1)
	v_fma_f64 v[204:205], -v[198:199], v[202:203], 1.0
	v_fma_f64 v[202:203], v[202:203], v[204:205], v[202:203]
	v_div_scale_f64 v[204:205], vcc_lo, 1.0, v[196:197], 1.0
	s_delay_alu instid0(VALU_DEP_1) | instskip(NEXT) | instid1(VALU_DEP_1)
	v_mul_f64 v[206:207], v[204:205], v[202:203]
	v_fma_f64 v[198:199], -v[198:199], v[206:207], v[204:205]
	s_delay_alu instid0(VALU_DEP_1) | instskip(NEXT) | instid1(VALU_DEP_1)
	v_div_fmas_f64 v[198:199], v[198:199], v[202:203], v[206:207]
	v_div_fixup_f64 v[204:205], v[198:199], v[196:197], 1.0
	s_delay_alu instid0(VALU_DEP_1)
	v_mul_f64 v[202:203], v[200:201], -v[204:205]
.LBB97_394:
	s_or_b32 exec_lo, exec_lo, s3
	ds_store_2addr_b64 v215, v[204:205], v[202:203] offset1:1
.LBB97_395:
	s_or_b32 exec_lo, exec_lo, s4
	s_waitcnt lgkmcnt(0)
	s_barrier
	buffer_gl0_inv
	ds_load_2addr_b64 v[248:251], v215 offset1:1
	s_mov_b32 s3, exec_lo
	v_cmpx_lt_u32_e32 43, v214
	s_cbranch_execz .LBB97_397
; %bb.396:
	s_waitcnt lgkmcnt(0)
	v_mul_f64 v[196:197], v[248:249], v[22:23]
	v_mul_f64 v[22:23], v[250:251], v[22:23]
	s_delay_alu instid0(VALU_DEP_2) | instskip(SKIP_4) | instid1(VALU_DEP_1)
	v_fma_f64 v[200:201], v[250:251], v[20:21], v[196:197]
	ds_load_2addr_b64 v[196:199], v216 offset0:88 offset1:89
	v_fma_f64 v[20:21], v[248:249], v[20:21], -v[22:23]
	s_waitcnt lgkmcnt(0)
	v_mul_f64 v[22:23], v[198:199], v[200:201]
	v_fma_f64 v[22:23], v[196:197], v[20:21], -v[22:23]
	v_mul_f64 v[196:197], v[196:197], v[200:201]
	s_delay_alu instid0(VALU_DEP_2) | instskip(NEXT) | instid1(VALU_DEP_2)
	v_add_f64 v[16:17], v[16:17], -v[22:23]
	v_fma_f64 v[196:197], v[198:199], v[20:21], v[196:197]
	s_delay_alu instid0(VALU_DEP_1) | instskip(SKIP_3) | instid1(VALU_DEP_1)
	v_add_f64 v[18:19], v[18:19], -v[196:197]
	ds_load_2addr_b64 v[196:199], v216 offset0:90 offset1:91
	s_waitcnt lgkmcnt(0)
	v_mul_f64 v[22:23], v[198:199], v[200:201]
	v_fma_f64 v[22:23], v[196:197], v[20:21], -v[22:23]
	v_mul_f64 v[196:197], v[196:197], v[200:201]
	s_delay_alu instid0(VALU_DEP_2) | instskip(NEXT) | instid1(VALU_DEP_2)
	v_add_f64 v[12:13], v[12:13], -v[22:23]
	v_fma_f64 v[196:197], v[198:199], v[20:21], v[196:197]
	s_delay_alu instid0(VALU_DEP_1) | instskip(SKIP_3) | instid1(VALU_DEP_1)
	v_add_f64 v[14:15], v[14:15], -v[196:197]
	ds_load_2addr_b64 v[196:199], v216 offset0:92 offset1:93
	;; [unrolled: 10-line block ×4, first 2 shown]
	s_waitcnt lgkmcnt(0)
	v_mul_f64 v[22:23], v[198:199], v[200:201]
	v_fma_f64 v[22:23], v[196:197], v[20:21], -v[22:23]
	v_mul_f64 v[196:197], v[196:197], v[200:201]
	s_delay_alu instid0(VALU_DEP_2) | instskip(NEXT) | instid1(VALU_DEP_2)
	v_add_f64 v[0:1], v[0:1], -v[22:23]
	v_fma_f64 v[196:197], v[198:199], v[20:21], v[196:197]
	v_dual_mov_b32 v22, v200 :: v_dual_mov_b32 v23, v201
	s_delay_alu instid0(VALU_DEP_2)
	v_add_f64 v[2:3], v[2:3], -v[196:197]
.LBB97_397:
	s_or_b32 exec_lo, exec_lo, s3
	s_delay_alu instid0(SALU_CYCLE_1)
	s_mov_b32 s4, exec_lo
	s_waitcnt lgkmcnt(0)
	s_barrier
	buffer_gl0_inv
	v_cmpx_eq_u32_e32 44, v214
	s_cbranch_execz .LBB97_404
; %bb.398:
	ds_store_2addr_b64 v215, v[16:17], v[18:19] offset1:1
	ds_store_2addr_b64 v216, v[12:13], v[14:15] offset0:90 offset1:91
	ds_store_2addr_b64 v216, v[8:9], v[10:11] offset0:92 offset1:93
	;; [unrolled: 1-line block ×4, first 2 shown]
	ds_load_2addr_b64 v[196:199], v215 offset1:1
	s_waitcnt lgkmcnt(0)
	v_cmp_neq_f64_e32 vcc_lo, 0, v[196:197]
	v_cmp_neq_f64_e64 s3, 0, v[198:199]
	s_delay_alu instid0(VALU_DEP_1) | instskip(NEXT) | instid1(SALU_CYCLE_1)
	s_or_b32 s3, vcc_lo, s3
	s_and_b32 exec_lo, exec_lo, s3
	s_cbranch_execz .LBB97_404
; %bb.399:
	v_cmp_gt_f64_e32 vcc_lo, 0, v[196:197]
	v_xor_b32_e32 v200, 0x80000000, v197
	v_xor_b32_e32 v202, 0x80000000, v199
	s_mov_b32 s3, exec_lo
                                        ; implicit-def: $vgpr204_vgpr205
	s_delay_alu instid0(VALU_DEP_2) | instskip(SKIP_4) | instid1(VALU_DEP_1)
	v_cndmask_b32_e32 v201, v197, v200, vcc_lo
	v_cndmask_b32_e32 v200, v196, v196, vcc_lo
	v_cmp_gt_f64_e32 vcc_lo, 0, v[198:199]
	v_cndmask_b32_e32 v203, v199, v202, vcc_lo
	v_cndmask_b32_e32 v202, v198, v198, vcc_lo
	v_cmpx_ngt_f64_e32 v[200:201], v[202:203]
	s_xor_b32 s3, exec_lo, s3
                                        ; implicit-def: $vgpr200_vgpr201_vgpr202_vgpr203
	s_cbranch_execz .LBB97_401
; %bb.400:
	v_div_scale_f64 v[200:201], null, v[198:199], v[198:199], v[196:197]
	v_div_scale_f64 v[206:207], vcc_lo, v[196:197], v[198:199], v[196:197]
	s_delay_alu instid0(VALU_DEP_2) | instskip(SKIP_2) | instid1(VALU_DEP_1)
	v_rcp_f64_e32 v[202:203], v[200:201]
	s_waitcnt_depctr 0xfff
	v_fma_f64 v[204:205], -v[200:201], v[202:203], 1.0
	v_fma_f64 v[202:203], v[202:203], v[204:205], v[202:203]
	s_delay_alu instid0(VALU_DEP_1) | instskip(NEXT) | instid1(VALU_DEP_1)
	v_fma_f64 v[204:205], -v[200:201], v[202:203], 1.0
	v_fma_f64 v[202:203], v[202:203], v[204:205], v[202:203]
	s_delay_alu instid0(VALU_DEP_1) | instskip(NEXT) | instid1(VALU_DEP_1)
	v_mul_f64 v[204:205], v[206:207], v[202:203]
	v_fma_f64 v[200:201], -v[200:201], v[204:205], v[206:207]
	s_delay_alu instid0(VALU_DEP_1) | instskip(NEXT) | instid1(VALU_DEP_1)
	v_div_fmas_f64 v[200:201], v[200:201], v[202:203], v[204:205]
	v_div_fixup_f64 v[200:201], v[200:201], v[198:199], v[196:197]
	s_delay_alu instid0(VALU_DEP_1) | instskip(NEXT) | instid1(VALU_DEP_1)
	v_fma_f64 v[196:197], v[196:197], v[200:201], v[198:199]
	v_div_scale_f64 v[198:199], null, v[196:197], v[196:197], 1.0
	s_delay_alu instid0(VALU_DEP_1) | instskip(SKIP_2) | instid1(VALU_DEP_1)
	v_rcp_f64_e32 v[202:203], v[198:199]
	s_waitcnt_depctr 0xfff
	v_fma_f64 v[204:205], -v[198:199], v[202:203], 1.0
	v_fma_f64 v[202:203], v[202:203], v[204:205], v[202:203]
	s_delay_alu instid0(VALU_DEP_1) | instskip(NEXT) | instid1(VALU_DEP_1)
	v_fma_f64 v[204:205], -v[198:199], v[202:203], 1.0
	v_fma_f64 v[202:203], v[202:203], v[204:205], v[202:203]
	v_div_scale_f64 v[204:205], vcc_lo, 1.0, v[196:197], 1.0
	s_delay_alu instid0(VALU_DEP_1) | instskip(NEXT) | instid1(VALU_DEP_1)
	v_mul_f64 v[206:207], v[204:205], v[202:203]
	v_fma_f64 v[198:199], -v[198:199], v[206:207], v[204:205]
	s_delay_alu instid0(VALU_DEP_1) | instskip(NEXT) | instid1(VALU_DEP_1)
	v_div_fmas_f64 v[198:199], v[198:199], v[202:203], v[206:207]
	v_div_fixup_f64 v[202:203], v[198:199], v[196:197], 1.0
                                        ; implicit-def: $vgpr196_vgpr197
	s_delay_alu instid0(VALU_DEP_1)
	v_mul_f64 v[204:205], v[200:201], v[202:203]
	v_xor_b32_e32 v203, 0x80000000, v203
.LBB97_401:
	s_and_not1_saveexec_b32 s3, s3
	s_cbranch_execz .LBB97_403
; %bb.402:
	v_div_scale_f64 v[200:201], null, v[196:197], v[196:197], v[198:199]
	v_div_scale_f64 v[206:207], vcc_lo, v[198:199], v[196:197], v[198:199]
	s_delay_alu instid0(VALU_DEP_2) | instskip(SKIP_2) | instid1(VALU_DEP_1)
	v_rcp_f64_e32 v[202:203], v[200:201]
	s_waitcnt_depctr 0xfff
	v_fma_f64 v[204:205], -v[200:201], v[202:203], 1.0
	v_fma_f64 v[202:203], v[202:203], v[204:205], v[202:203]
	s_delay_alu instid0(VALU_DEP_1) | instskip(NEXT) | instid1(VALU_DEP_1)
	v_fma_f64 v[204:205], -v[200:201], v[202:203], 1.0
	v_fma_f64 v[202:203], v[202:203], v[204:205], v[202:203]
	s_delay_alu instid0(VALU_DEP_1) | instskip(NEXT) | instid1(VALU_DEP_1)
	v_mul_f64 v[204:205], v[206:207], v[202:203]
	v_fma_f64 v[200:201], -v[200:201], v[204:205], v[206:207]
	s_delay_alu instid0(VALU_DEP_1) | instskip(NEXT) | instid1(VALU_DEP_1)
	v_div_fmas_f64 v[200:201], v[200:201], v[202:203], v[204:205]
	v_div_fixup_f64 v[200:201], v[200:201], v[196:197], v[198:199]
	s_delay_alu instid0(VALU_DEP_1) | instskip(NEXT) | instid1(VALU_DEP_1)
	v_fma_f64 v[196:197], v[198:199], v[200:201], v[196:197]
	v_div_scale_f64 v[198:199], null, v[196:197], v[196:197], 1.0
	s_delay_alu instid0(VALU_DEP_1) | instskip(SKIP_2) | instid1(VALU_DEP_1)
	v_rcp_f64_e32 v[202:203], v[198:199]
	s_waitcnt_depctr 0xfff
	v_fma_f64 v[204:205], -v[198:199], v[202:203], 1.0
	v_fma_f64 v[202:203], v[202:203], v[204:205], v[202:203]
	s_delay_alu instid0(VALU_DEP_1) | instskip(NEXT) | instid1(VALU_DEP_1)
	v_fma_f64 v[204:205], -v[198:199], v[202:203], 1.0
	v_fma_f64 v[202:203], v[202:203], v[204:205], v[202:203]
	v_div_scale_f64 v[204:205], vcc_lo, 1.0, v[196:197], 1.0
	s_delay_alu instid0(VALU_DEP_1) | instskip(NEXT) | instid1(VALU_DEP_1)
	v_mul_f64 v[206:207], v[204:205], v[202:203]
	v_fma_f64 v[198:199], -v[198:199], v[206:207], v[204:205]
	s_delay_alu instid0(VALU_DEP_1) | instskip(NEXT) | instid1(VALU_DEP_1)
	v_div_fmas_f64 v[198:199], v[198:199], v[202:203], v[206:207]
	v_div_fixup_f64 v[204:205], v[198:199], v[196:197], 1.0
	s_delay_alu instid0(VALU_DEP_1)
	v_mul_f64 v[202:203], v[200:201], -v[204:205]
.LBB97_403:
	s_or_b32 exec_lo, exec_lo, s3
	ds_store_2addr_b64 v215, v[204:205], v[202:203] offset1:1
.LBB97_404:
	s_or_b32 exec_lo, exec_lo, s4
	s_waitcnt lgkmcnt(0)
	s_barrier
	buffer_gl0_inv
	ds_load_2addr_b64 v[252:255], v215 offset1:1
	s_mov_b32 s3, exec_lo
	v_cmpx_lt_u32_e32 44, v214
	s_cbranch_execz .LBB97_406
; %bb.405:
	s_waitcnt lgkmcnt(0)
	v_mul_f64 v[196:197], v[252:253], v[18:19]
	v_mul_f64 v[18:19], v[254:255], v[18:19]
	s_delay_alu instid0(VALU_DEP_2) | instskip(SKIP_4) | instid1(VALU_DEP_1)
	v_fma_f64 v[200:201], v[254:255], v[16:17], v[196:197]
	ds_load_2addr_b64 v[196:199], v216 offset0:90 offset1:91
	v_fma_f64 v[16:17], v[252:253], v[16:17], -v[18:19]
	s_waitcnt lgkmcnt(0)
	v_mul_f64 v[18:19], v[198:199], v[200:201]
	v_fma_f64 v[18:19], v[196:197], v[16:17], -v[18:19]
	v_mul_f64 v[196:197], v[196:197], v[200:201]
	s_delay_alu instid0(VALU_DEP_2) | instskip(NEXT) | instid1(VALU_DEP_2)
	v_add_f64 v[12:13], v[12:13], -v[18:19]
	v_fma_f64 v[196:197], v[198:199], v[16:17], v[196:197]
	s_delay_alu instid0(VALU_DEP_1) | instskip(SKIP_3) | instid1(VALU_DEP_1)
	v_add_f64 v[14:15], v[14:15], -v[196:197]
	ds_load_2addr_b64 v[196:199], v216 offset0:92 offset1:93
	s_waitcnt lgkmcnt(0)
	v_mul_f64 v[18:19], v[198:199], v[200:201]
	v_fma_f64 v[18:19], v[196:197], v[16:17], -v[18:19]
	v_mul_f64 v[196:197], v[196:197], v[200:201]
	s_delay_alu instid0(VALU_DEP_2) | instskip(NEXT) | instid1(VALU_DEP_2)
	v_add_f64 v[8:9], v[8:9], -v[18:19]
	v_fma_f64 v[196:197], v[198:199], v[16:17], v[196:197]
	s_delay_alu instid0(VALU_DEP_1) | instskip(SKIP_3) | instid1(VALU_DEP_1)
	v_add_f64 v[10:11], v[10:11], -v[196:197]
	ds_load_2addr_b64 v[196:199], v216 offset0:94 offset1:95
	;; [unrolled: 10-line block ×3, first 2 shown]
	s_waitcnt lgkmcnt(0)
	v_mul_f64 v[18:19], v[198:199], v[200:201]
	v_fma_f64 v[18:19], v[196:197], v[16:17], -v[18:19]
	v_mul_f64 v[196:197], v[196:197], v[200:201]
	s_delay_alu instid0(VALU_DEP_2) | instskip(NEXT) | instid1(VALU_DEP_2)
	v_add_f64 v[0:1], v[0:1], -v[18:19]
	v_fma_f64 v[196:197], v[198:199], v[16:17], v[196:197]
	v_dual_mov_b32 v18, v200 :: v_dual_mov_b32 v19, v201
	s_delay_alu instid0(VALU_DEP_2)
	v_add_f64 v[2:3], v[2:3], -v[196:197]
.LBB97_406:
	s_or_b32 exec_lo, exec_lo, s3
	s_delay_alu instid0(SALU_CYCLE_1)
	s_mov_b32 s4, exec_lo
	s_waitcnt lgkmcnt(0)
	s_barrier
	buffer_gl0_inv
	v_cmpx_eq_u32_e32 45, v214
	s_cbranch_execz .LBB97_413
; %bb.407:
	ds_store_2addr_b64 v215, v[12:13], v[14:15] offset1:1
	ds_store_2addr_b64 v216, v[8:9], v[10:11] offset0:92 offset1:93
	ds_store_2addr_b64 v216, v[4:5], v[6:7] offset0:94 offset1:95
	;; [unrolled: 1-line block ×3, first 2 shown]
	ds_load_2addr_b64 v[196:199], v215 offset1:1
	s_waitcnt lgkmcnt(0)
	v_cmp_neq_f64_e32 vcc_lo, 0, v[196:197]
	v_cmp_neq_f64_e64 s3, 0, v[198:199]
	s_delay_alu instid0(VALU_DEP_1) | instskip(NEXT) | instid1(SALU_CYCLE_1)
	s_or_b32 s3, vcc_lo, s3
	s_and_b32 exec_lo, exec_lo, s3
	s_cbranch_execz .LBB97_413
; %bb.408:
	v_cmp_gt_f64_e32 vcc_lo, 0, v[196:197]
	v_xor_b32_e32 v200, 0x80000000, v197
	v_xor_b32_e32 v202, 0x80000000, v199
	s_mov_b32 s3, exec_lo
                                        ; implicit-def: $vgpr204_vgpr205
	s_delay_alu instid0(VALU_DEP_2) | instskip(SKIP_4) | instid1(VALU_DEP_1)
	v_cndmask_b32_e32 v201, v197, v200, vcc_lo
	v_cndmask_b32_e32 v200, v196, v196, vcc_lo
	v_cmp_gt_f64_e32 vcc_lo, 0, v[198:199]
	v_cndmask_b32_e32 v203, v199, v202, vcc_lo
	v_cndmask_b32_e32 v202, v198, v198, vcc_lo
	v_cmpx_ngt_f64_e32 v[200:201], v[202:203]
	s_xor_b32 s3, exec_lo, s3
                                        ; implicit-def: $vgpr200_vgpr201_vgpr202_vgpr203
	s_cbranch_execz .LBB97_410
; %bb.409:
	v_div_scale_f64 v[200:201], null, v[198:199], v[198:199], v[196:197]
	v_div_scale_f64 v[206:207], vcc_lo, v[196:197], v[198:199], v[196:197]
	s_delay_alu instid0(VALU_DEP_2) | instskip(SKIP_2) | instid1(VALU_DEP_1)
	v_rcp_f64_e32 v[202:203], v[200:201]
	s_waitcnt_depctr 0xfff
	v_fma_f64 v[204:205], -v[200:201], v[202:203], 1.0
	v_fma_f64 v[202:203], v[202:203], v[204:205], v[202:203]
	s_delay_alu instid0(VALU_DEP_1) | instskip(NEXT) | instid1(VALU_DEP_1)
	v_fma_f64 v[204:205], -v[200:201], v[202:203], 1.0
	v_fma_f64 v[202:203], v[202:203], v[204:205], v[202:203]
	s_delay_alu instid0(VALU_DEP_1) | instskip(NEXT) | instid1(VALU_DEP_1)
	v_mul_f64 v[204:205], v[206:207], v[202:203]
	v_fma_f64 v[200:201], -v[200:201], v[204:205], v[206:207]
	s_delay_alu instid0(VALU_DEP_1) | instskip(NEXT) | instid1(VALU_DEP_1)
	v_div_fmas_f64 v[200:201], v[200:201], v[202:203], v[204:205]
	v_div_fixup_f64 v[200:201], v[200:201], v[198:199], v[196:197]
	s_delay_alu instid0(VALU_DEP_1) | instskip(NEXT) | instid1(VALU_DEP_1)
	v_fma_f64 v[196:197], v[196:197], v[200:201], v[198:199]
	v_div_scale_f64 v[198:199], null, v[196:197], v[196:197], 1.0
	s_delay_alu instid0(VALU_DEP_1) | instskip(SKIP_2) | instid1(VALU_DEP_1)
	v_rcp_f64_e32 v[202:203], v[198:199]
	s_waitcnt_depctr 0xfff
	v_fma_f64 v[204:205], -v[198:199], v[202:203], 1.0
	v_fma_f64 v[202:203], v[202:203], v[204:205], v[202:203]
	s_delay_alu instid0(VALU_DEP_1) | instskip(NEXT) | instid1(VALU_DEP_1)
	v_fma_f64 v[204:205], -v[198:199], v[202:203], 1.0
	v_fma_f64 v[202:203], v[202:203], v[204:205], v[202:203]
	v_div_scale_f64 v[204:205], vcc_lo, 1.0, v[196:197], 1.0
	s_delay_alu instid0(VALU_DEP_1) | instskip(NEXT) | instid1(VALU_DEP_1)
	v_mul_f64 v[206:207], v[204:205], v[202:203]
	v_fma_f64 v[198:199], -v[198:199], v[206:207], v[204:205]
	s_delay_alu instid0(VALU_DEP_1) | instskip(NEXT) | instid1(VALU_DEP_1)
	v_div_fmas_f64 v[198:199], v[198:199], v[202:203], v[206:207]
	v_div_fixup_f64 v[202:203], v[198:199], v[196:197], 1.0
                                        ; implicit-def: $vgpr196_vgpr197
	s_delay_alu instid0(VALU_DEP_1)
	v_mul_f64 v[204:205], v[200:201], v[202:203]
	v_xor_b32_e32 v203, 0x80000000, v203
.LBB97_410:
	s_and_not1_saveexec_b32 s3, s3
	s_cbranch_execz .LBB97_412
; %bb.411:
	v_div_scale_f64 v[200:201], null, v[196:197], v[196:197], v[198:199]
	v_div_scale_f64 v[206:207], vcc_lo, v[198:199], v[196:197], v[198:199]
	s_delay_alu instid0(VALU_DEP_2) | instskip(SKIP_2) | instid1(VALU_DEP_1)
	v_rcp_f64_e32 v[202:203], v[200:201]
	s_waitcnt_depctr 0xfff
	v_fma_f64 v[204:205], -v[200:201], v[202:203], 1.0
	v_fma_f64 v[202:203], v[202:203], v[204:205], v[202:203]
	s_delay_alu instid0(VALU_DEP_1) | instskip(NEXT) | instid1(VALU_DEP_1)
	v_fma_f64 v[204:205], -v[200:201], v[202:203], 1.0
	v_fma_f64 v[202:203], v[202:203], v[204:205], v[202:203]
	s_delay_alu instid0(VALU_DEP_1) | instskip(NEXT) | instid1(VALU_DEP_1)
	v_mul_f64 v[204:205], v[206:207], v[202:203]
	v_fma_f64 v[200:201], -v[200:201], v[204:205], v[206:207]
	s_delay_alu instid0(VALU_DEP_1) | instskip(NEXT) | instid1(VALU_DEP_1)
	v_div_fmas_f64 v[200:201], v[200:201], v[202:203], v[204:205]
	v_div_fixup_f64 v[200:201], v[200:201], v[196:197], v[198:199]
	s_delay_alu instid0(VALU_DEP_1) | instskip(NEXT) | instid1(VALU_DEP_1)
	v_fma_f64 v[196:197], v[198:199], v[200:201], v[196:197]
	v_div_scale_f64 v[198:199], null, v[196:197], v[196:197], 1.0
	s_delay_alu instid0(VALU_DEP_1) | instskip(SKIP_2) | instid1(VALU_DEP_1)
	v_rcp_f64_e32 v[202:203], v[198:199]
	s_waitcnt_depctr 0xfff
	v_fma_f64 v[204:205], -v[198:199], v[202:203], 1.0
	v_fma_f64 v[202:203], v[202:203], v[204:205], v[202:203]
	s_delay_alu instid0(VALU_DEP_1) | instskip(NEXT) | instid1(VALU_DEP_1)
	v_fma_f64 v[204:205], -v[198:199], v[202:203], 1.0
	v_fma_f64 v[202:203], v[202:203], v[204:205], v[202:203]
	v_div_scale_f64 v[204:205], vcc_lo, 1.0, v[196:197], 1.0
	s_delay_alu instid0(VALU_DEP_1) | instskip(NEXT) | instid1(VALU_DEP_1)
	v_mul_f64 v[206:207], v[204:205], v[202:203]
	v_fma_f64 v[198:199], -v[198:199], v[206:207], v[204:205]
	s_delay_alu instid0(VALU_DEP_1) | instskip(NEXT) | instid1(VALU_DEP_1)
	v_div_fmas_f64 v[198:199], v[198:199], v[202:203], v[206:207]
	v_div_fixup_f64 v[204:205], v[198:199], v[196:197], 1.0
	s_delay_alu instid0(VALU_DEP_1)
	v_mul_f64 v[202:203], v[200:201], -v[204:205]
.LBB97_412:
	s_or_b32 exec_lo, exec_lo, s3
	ds_store_2addr_b64 v215, v[204:205], v[202:203] offset1:1
.LBB97_413:
	s_or_b32 exec_lo, exec_lo, s4
	s_waitcnt lgkmcnt(0)
	s_barrier
	buffer_gl0_inv
	ds_load_2addr_b64 v[196:199], v215 offset1:1
	s_mov_b32 s3, exec_lo
	v_cmpx_lt_u32_e32 45, v214
	s_cbranch_execz .LBB97_415
; %bb.414:
	s_waitcnt lgkmcnt(0)
	v_mul_f64 v[200:201], v[196:197], v[14:15]
	v_mul_f64 v[14:15], v[198:199], v[14:15]
	s_delay_alu instid0(VALU_DEP_2) | instskip(SKIP_4) | instid1(VALU_DEP_1)
	v_fma_f64 v[204:205], v[198:199], v[12:13], v[200:201]
	ds_load_2addr_b64 v[200:203], v216 offset0:92 offset1:93
	v_fma_f64 v[12:13], v[196:197], v[12:13], -v[14:15]
	s_waitcnt lgkmcnt(0)
	v_mul_f64 v[14:15], v[202:203], v[204:205]
	v_fma_f64 v[14:15], v[200:201], v[12:13], -v[14:15]
	v_mul_f64 v[200:201], v[200:201], v[204:205]
	s_delay_alu instid0(VALU_DEP_2) | instskip(NEXT) | instid1(VALU_DEP_2)
	v_add_f64 v[8:9], v[8:9], -v[14:15]
	v_fma_f64 v[200:201], v[202:203], v[12:13], v[200:201]
	s_delay_alu instid0(VALU_DEP_1) | instskip(SKIP_3) | instid1(VALU_DEP_1)
	v_add_f64 v[10:11], v[10:11], -v[200:201]
	ds_load_2addr_b64 v[200:203], v216 offset0:94 offset1:95
	s_waitcnt lgkmcnt(0)
	v_mul_f64 v[14:15], v[202:203], v[204:205]
	v_fma_f64 v[14:15], v[200:201], v[12:13], -v[14:15]
	v_mul_f64 v[200:201], v[200:201], v[204:205]
	s_delay_alu instid0(VALU_DEP_2) | instskip(NEXT) | instid1(VALU_DEP_2)
	v_add_f64 v[4:5], v[4:5], -v[14:15]
	v_fma_f64 v[200:201], v[202:203], v[12:13], v[200:201]
	s_delay_alu instid0(VALU_DEP_1) | instskip(SKIP_3) | instid1(VALU_DEP_1)
	v_add_f64 v[6:7], v[6:7], -v[200:201]
	ds_load_2addr_b64 v[200:203], v216 offset0:96 offset1:97
	s_waitcnt lgkmcnt(0)
	v_mul_f64 v[14:15], v[202:203], v[204:205]
	v_fma_f64 v[14:15], v[200:201], v[12:13], -v[14:15]
	v_mul_f64 v[200:201], v[200:201], v[204:205]
	s_delay_alu instid0(VALU_DEP_2) | instskip(NEXT) | instid1(VALU_DEP_2)
	v_add_f64 v[0:1], v[0:1], -v[14:15]
	v_fma_f64 v[200:201], v[202:203], v[12:13], v[200:201]
	v_dual_mov_b32 v14, v204 :: v_dual_mov_b32 v15, v205
	s_delay_alu instid0(VALU_DEP_2)
	v_add_f64 v[2:3], v[2:3], -v[200:201]
.LBB97_415:
	s_or_b32 exec_lo, exec_lo, s3
	s_delay_alu instid0(SALU_CYCLE_1)
	s_mov_b32 s4, exec_lo
	s_waitcnt lgkmcnt(0)
	s_barrier
	buffer_gl0_inv
	v_cmpx_eq_u32_e32 46, v214
	s_cbranch_execz .LBB97_422
; %bb.416:
	ds_store_2addr_b64 v215, v[8:9], v[10:11] offset1:1
	ds_store_2addr_b64 v216, v[4:5], v[6:7] offset0:94 offset1:95
	ds_store_2addr_b64 v216, v[0:1], v[2:3] offset0:96 offset1:97
	ds_load_2addr_b64 v[200:203], v215 offset1:1
	s_waitcnt lgkmcnt(0)
	v_cmp_neq_f64_e32 vcc_lo, 0, v[200:201]
	v_cmp_neq_f64_e64 s3, 0, v[202:203]
	s_delay_alu instid0(VALU_DEP_1) | instskip(NEXT) | instid1(SALU_CYCLE_1)
	s_or_b32 s3, vcc_lo, s3
	s_and_b32 exec_lo, exec_lo, s3
	s_cbranch_execz .LBB97_422
; %bb.417:
	v_cmp_gt_f64_e32 vcc_lo, 0, v[200:201]
	v_xor_b32_e32 v204, 0x80000000, v201
	v_xor_b32_e32 v206, 0x80000000, v203
	s_mov_b32 s3, exec_lo
                                        ; implicit-def: $vgpr208_vgpr209
	s_delay_alu instid0(VALU_DEP_2) | instskip(SKIP_4) | instid1(VALU_DEP_1)
	v_cndmask_b32_e32 v205, v201, v204, vcc_lo
	v_cndmask_b32_e32 v204, v200, v200, vcc_lo
	v_cmp_gt_f64_e32 vcc_lo, 0, v[202:203]
	v_cndmask_b32_e32 v207, v203, v206, vcc_lo
	v_cndmask_b32_e32 v206, v202, v202, vcc_lo
	v_cmpx_ngt_f64_e32 v[204:205], v[206:207]
	s_xor_b32 s3, exec_lo, s3
                                        ; implicit-def: $vgpr204_vgpr205_vgpr206_vgpr207
	s_cbranch_execz .LBB97_419
; %bb.418:
	v_div_scale_f64 v[204:205], null, v[202:203], v[202:203], v[200:201]
	v_div_scale_f64 v[210:211], vcc_lo, v[200:201], v[202:203], v[200:201]
	s_delay_alu instid0(VALU_DEP_2) | instskip(SKIP_2) | instid1(VALU_DEP_1)
	v_rcp_f64_e32 v[206:207], v[204:205]
	s_waitcnt_depctr 0xfff
	v_fma_f64 v[208:209], -v[204:205], v[206:207], 1.0
	v_fma_f64 v[206:207], v[206:207], v[208:209], v[206:207]
	s_delay_alu instid0(VALU_DEP_1) | instskip(NEXT) | instid1(VALU_DEP_1)
	v_fma_f64 v[208:209], -v[204:205], v[206:207], 1.0
	v_fma_f64 v[206:207], v[206:207], v[208:209], v[206:207]
	s_delay_alu instid0(VALU_DEP_1) | instskip(NEXT) | instid1(VALU_DEP_1)
	v_mul_f64 v[208:209], v[210:211], v[206:207]
	v_fma_f64 v[204:205], -v[204:205], v[208:209], v[210:211]
	s_delay_alu instid0(VALU_DEP_1) | instskip(NEXT) | instid1(VALU_DEP_1)
	v_div_fmas_f64 v[204:205], v[204:205], v[206:207], v[208:209]
	v_div_fixup_f64 v[204:205], v[204:205], v[202:203], v[200:201]
	s_delay_alu instid0(VALU_DEP_1) | instskip(NEXT) | instid1(VALU_DEP_1)
	v_fma_f64 v[200:201], v[200:201], v[204:205], v[202:203]
	v_div_scale_f64 v[202:203], null, v[200:201], v[200:201], 1.0
	s_delay_alu instid0(VALU_DEP_1) | instskip(SKIP_2) | instid1(VALU_DEP_1)
	v_rcp_f64_e32 v[206:207], v[202:203]
	s_waitcnt_depctr 0xfff
	v_fma_f64 v[208:209], -v[202:203], v[206:207], 1.0
	v_fma_f64 v[206:207], v[206:207], v[208:209], v[206:207]
	s_delay_alu instid0(VALU_DEP_1) | instskip(NEXT) | instid1(VALU_DEP_1)
	v_fma_f64 v[208:209], -v[202:203], v[206:207], 1.0
	v_fma_f64 v[206:207], v[206:207], v[208:209], v[206:207]
	v_div_scale_f64 v[208:209], vcc_lo, 1.0, v[200:201], 1.0
	s_delay_alu instid0(VALU_DEP_1) | instskip(NEXT) | instid1(VALU_DEP_1)
	v_mul_f64 v[210:211], v[208:209], v[206:207]
	v_fma_f64 v[202:203], -v[202:203], v[210:211], v[208:209]
	s_delay_alu instid0(VALU_DEP_1) | instskip(NEXT) | instid1(VALU_DEP_1)
	v_div_fmas_f64 v[202:203], v[202:203], v[206:207], v[210:211]
	v_div_fixup_f64 v[206:207], v[202:203], v[200:201], 1.0
                                        ; implicit-def: $vgpr200_vgpr201
	s_delay_alu instid0(VALU_DEP_1)
	v_mul_f64 v[208:209], v[204:205], v[206:207]
	v_xor_b32_e32 v207, 0x80000000, v207
.LBB97_419:
	s_and_not1_saveexec_b32 s3, s3
	s_cbranch_execz .LBB97_421
; %bb.420:
	v_div_scale_f64 v[204:205], null, v[200:201], v[200:201], v[202:203]
	v_div_scale_f64 v[210:211], vcc_lo, v[202:203], v[200:201], v[202:203]
	s_delay_alu instid0(VALU_DEP_2) | instskip(SKIP_2) | instid1(VALU_DEP_1)
	v_rcp_f64_e32 v[206:207], v[204:205]
	s_waitcnt_depctr 0xfff
	v_fma_f64 v[208:209], -v[204:205], v[206:207], 1.0
	v_fma_f64 v[206:207], v[206:207], v[208:209], v[206:207]
	s_delay_alu instid0(VALU_DEP_1) | instskip(NEXT) | instid1(VALU_DEP_1)
	v_fma_f64 v[208:209], -v[204:205], v[206:207], 1.0
	v_fma_f64 v[206:207], v[206:207], v[208:209], v[206:207]
	s_delay_alu instid0(VALU_DEP_1) | instskip(NEXT) | instid1(VALU_DEP_1)
	v_mul_f64 v[208:209], v[210:211], v[206:207]
	v_fma_f64 v[204:205], -v[204:205], v[208:209], v[210:211]
	s_delay_alu instid0(VALU_DEP_1) | instskip(NEXT) | instid1(VALU_DEP_1)
	v_div_fmas_f64 v[204:205], v[204:205], v[206:207], v[208:209]
	v_div_fixup_f64 v[204:205], v[204:205], v[200:201], v[202:203]
	s_delay_alu instid0(VALU_DEP_1) | instskip(NEXT) | instid1(VALU_DEP_1)
	v_fma_f64 v[200:201], v[202:203], v[204:205], v[200:201]
	v_div_scale_f64 v[202:203], null, v[200:201], v[200:201], 1.0
	s_delay_alu instid0(VALU_DEP_1) | instskip(SKIP_2) | instid1(VALU_DEP_1)
	v_rcp_f64_e32 v[206:207], v[202:203]
	s_waitcnt_depctr 0xfff
	v_fma_f64 v[208:209], -v[202:203], v[206:207], 1.0
	v_fma_f64 v[206:207], v[206:207], v[208:209], v[206:207]
	s_delay_alu instid0(VALU_DEP_1) | instskip(NEXT) | instid1(VALU_DEP_1)
	v_fma_f64 v[208:209], -v[202:203], v[206:207], 1.0
	v_fma_f64 v[206:207], v[206:207], v[208:209], v[206:207]
	v_div_scale_f64 v[208:209], vcc_lo, 1.0, v[200:201], 1.0
	s_delay_alu instid0(VALU_DEP_1) | instskip(NEXT) | instid1(VALU_DEP_1)
	v_mul_f64 v[210:211], v[208:209], v[206:207]
	v_fma_f64 v[202:203], -v[202:203], v[210:211], v[208:209]
	s_delay_alu instid0(VALU_DEP_1) | instskip(NEXT) | instid1(VALU_DEP_1)
	v_div_fmas_f64 v[202:203], v[202:203], v[206:207], v[210:211]
	v_div_fixup_f64 v[208:209], v[202:203], v[200:201], 1.0
	s_delay_alu instid0(VALU_DEP_1)
	v_mul_f64 v[206:207], v[204:205], -v[208:209]
.LBB97_421:
	s_or_b32 exec_lo, exec_lo, s3
	ds_store_2addr_b64 v215, v[208:209], v[206:207] offset1:1
.LBB97_422:
	s_or_b32 exec_lo, exec_lo, s4
	s_waitcnt lgkmcnt(0)
	s_barrier
	buffer_gl0_inv
	ds_load_2addr_b64 v[200:203], v215 offset1:1
	s_mov_b32 s3, exec_lo
	v_cmpx_lt_u32_e32 46, v214
	s_cbranch_execz .LBB97_424
; %bb.423:
	s_waitcnt lgkmcnt(0)
	v_mul_f64 v[204:205], v[200:201], v[10:11]
	v_mul_f64 v[10:11], v[202:203], v[10:11]
	s_delay_alu instid0(VALU_DEP_2) | instskip(SKIP_4) | instid1(VALU_DEP_1)
	v_fma_f64 v[208:209], v[202:203], v[8:9], v[204:205]
	ds_load_2addr_b64 v[204:207], v216 offset0:94 offset1:95
	v_fma_f64 v[8:9], v[200:201], v[8:9], -v[10:11]
	s_waitcnt lgkmcnt(0)
	v_mul_f64 v[10:11], v[206:207], v[208:209]
	v_fma_f64 v[10:11], v[204:205], v[8:9], -v[10:11]
	v_mul_f64 v[204:205], v[204:205], v[208:209]
	s_delay_alu instid0(VALU_DEP_2) | instskip(NEXT) | instid1(VALU_DEP_2)
	v_add_f64 v[4:5], v[4:5], -v[10:11]
	v_fma_f64 v[204:205], v[206:207], v[8:9], v[204:205]
	s_delay_alu instid0(VALU_DEP_1) | instskip(SKIP_3) | instid1(VALU_DEP_1)
	v_add_f64 v[6:7], v[6:7], -v[204:205]
	ds_load_2addr_b64 v[204:207], v216 offset0:96 offset1:97
	s_waitcnt lgkmcnt(0)
	v_mul_f64 v[10:11], v[206:207], v[208:209]
	v_fma_f64 v[10:11], v[204:205], v[8:9], -v[10:11]
	v_mul_f64 v[204:205], v[204:205], v[208:209]
	s_delay_alu instid0(VALU_DEP_2) | instskip(NEXT) | instid1(VALU_DEP_2)
	v_add_f64 v[0:1], v[0:1], -v[10:11]
	v_fma_f64 v[204:205], v[206:207], v[8:9], v[204:205]
	v_dual_mov_b32 v10, v208 :: v_dual_mov_b32 v11, v209
	s_delay_alu instid0(VALU_DEP_2)
	v_add_f64 v[2:3], v[2:3], -v[204:205]
.LBB97_424:
	s_or_b32 exec_lo, exec_lo, s3
	s_delay_alu instid0(SALU_CYCLE_1)
	s_mov_b32 s4, exec_lo
	s_waitcnt lgkmcnt(0)
	s_barrier
	buffer_gl0_inv
	v_cmpx_eq_u32_e32 47, v214
	s_cbranch_execz .LBB97_431
; %bb.425:
	ds_store_2addr_b64 v215, v[4:5], v[6:7] offset1:1
	ds_store_2addr_b64 v216, v[0:1], v[2:3] offset0:96 offset1:97
	ds_load_2addr_b64 v[204:207], v215 offset1:1
	s_waitcnt lgkmcnt(0)
	v_cmp_neq_f64_e32 vcc_lo, 0, v[204:205]
	v_cmp_neq_f64_e64 s3, 0, v[206:207]
	s_delay_alu instid0(VALU_DEP_1) | instskip(NEXT) | instid1(SALU_CYCLE_1)
	s_or_b32 s3, vcc_lo, s3
	s_and_b32 exec_lo, exec_lo, s3
	s_cbranch_execz .LBB97_431
; %bb.426:
	v_cmp_gt_f64_e32 vcc_lo, 0, v[204:205]
	v_xor_b32_e32 v208, 0x80000000, v205
	v_xor_b32_e32 v210, 0x80000000, v207
	s_mov_b32 s3, exec_lo
                                        ; implicit-def: $vgpr212_vgpr213
	s_delay_alu instid0(VALU_DEP_2) | instskip(SKIP_4) | instid1(VALU_DEP_1)
	v_cndmask_b32_e32 v209, v205, v208, vcc_lo
	v_cndmask_b32_e32 v208, v204, v204, vcc_lo
	v_cmp_gt_f64_e32 vcc_lo, 0, v[206:207]
	v_cndmask_b32_e32 v211, v207, v210, vcc_lo
	v_cndmask_b32_e32 v210, v206, v206, vcc_lo
	v_cmpx_ngt_f64_e32 v[208:209], v[210:211]
	s_xor_b32 s3, exec_lo, s3
                                        ; implicit-def: $vgpr208_vgpr209_vgpr210_vgpr211
	s_cbranch_execz .LBB97_428
; %bb.427:
	v_div_scale_f64 v[208:209], null, v[206:207], v[206:207], v[204:205]
	v_dual_mov_b32 v192, v217 :: v_dual_mov_b32 v193, v218
	v_div_scale_f64 v[217:218], vcc_lo, v[204:205], v[206:207], v[204:205]
	s_delay_alu instid0(VALU_DEP_3) | instskip(SKIP_2) | instid1(VALU_DEP_1)
	v_rcp_f64_e32 v[210:211], v[208:209]
	s_waitcnt_depctr 0xfff
	v_fma_f64 v[212:213], -v[208:209], v[210:211], 1.0
	v_fma_f64 v[210:211], v[210:211], v[212:213], v[210:211]
	s_delay_alu instid0(VALU_DEP_1) | instskip(NEXT) | instid1(VALU_DEP_1)
	v_fma_f64 v[212:213], -v[208:209], v[210:211], 1.0
	v_fma_f64 v[210:211], v[210:211], v[212:213], v[210:211]
	s_delay_alu instid0(VALU_DEP_1) | instskip(NEXT) | instid1(VALU_DEP_1)
	v_mul_f64 v[212:213], v[217:218], v[210:211]
	v_fma_f64 v[208:209], -v[208:209], v[212:213], v[217:218]
	s_delay_alu instid0(VALU_DEP_1) | instskip(NEXT) | instid1(VALU_DEP_1)
	v_div_fmas_f64 v[208:209], v[208:209], v[210:211], v[212:213]
	v_div_fixup_f64 v[208:209], v[208:209], v[206:207], v[204:205]
	s_delay_alu instid0(VALU_DEP_1) | instskip(NEXT) | instid1(VALU_DEP_1)
	v_fma_f64 v[204:205], v[204:205], v[208:209], v[206:207]
	v_div_scale_f64 v[206:207], null, v[204:205], v[204:205], 1.0
	s_delay_alu instid0(VALU_DEP_1) | instskip(SKIP_2) | instid1(VALU_DEP_1)
	v_rcp_f64_e32 v[210:211], v[206:207]
	s_waitcnt_depctr 0xfff
	v_fma_f64 v[212:213], -v[206:207], v[210:211], 1.0
	v_fma_f64 v[210:211], v[210:211], v[212:213], v[210:211]
	s_delay_alu instid0(VALU_DEP_1) | instskip(NEXT) | instid1(VALU_DEP_1)
	v_fma_f64 v[212:213], -v[206:207], v[210:211], 1.0
	v_fma_f64 v[210:211], v[210:211], v[212:213], v[210:211]
	v_div_scale_f64 v[212:213], vcc_lo, 1.0, v[204:205], 1.0
	s_delay_alu instid0(VALU_DEP_1) | instskip(NEXT) | instid1(VALU_DEP_1)
	v_mul_f64 v[217:218], v[212:213], v[210:211]
	v_fma_f64 v[206:207], -v[206:207], v[217:218], v[212:213]
	s_delay_alu instid0(VALU_DEP_1) | instskip(SKIP_1) | instid1(VALU_DEP_2)
	v_div_fmas_f64 v[206:207], v[206:207], v[210:211], v[217:218]
	v_dual_mov_b32 v218, v193 :: v_dual_mov_b32 v217, v192
	v_div_fixup_f64 v[210:211], v[206:207], v[204:205], 1.0
                                        ; implicit-def: $vgpr204_vgpr205
	s_delay_alu instid0(VALU_DEP_1)
	v_mul_f64 v[212:213], v[208:209], v[210:211]
	v_xor_b32_e32 v211, 0x80000000, v211
.LBB97_428:
	s_and_not1_saveexec_b32 s3, s3
	s_cbranch_execz .LBB97_430
; %bb.429:
	v_div_scale_f64 v[208:209], null, v[204:205], v[204:205], v[206:207]
	v_dual_mov_b32 v192, v217 :: v_dual_mov_b32 v193, v218
	v_div_scale_f64 v[217:218], vcc_lo, v[206:207], v[204:205], v[206:207]
	s_delay_alu instid0(VALU_DEP_3) | instskip(SKIP_2) | instid1(VALU_DEP_1)
	v_rcp_f64_e32 v[210:211], v[208:209]
	s_waitcnt_depctr 0xfff
	v_fma_f64 v[212:213], -v[208:209], v[210:211], 1.0
	v_fma_f64 v[210:211], v[210:211], v[212:213], v[210:211]
	s_delay_alu instid0(VALU_DEP_1) | instskip(NEXT) | instid1(VALU_DEP_1)
	v_fma_f64 v[212:213], -v[208:209], v[210:211], 1.0
	v_fma_f64 v[210:211], v[210:211], v[212:213], v[210:211]
	s_delay_alu instid0(VALU_DEP_1) | instskip(NEXT) | instid1(VALU_DEP_1)
	v_mul_f64 v[212:213], v[217:218], v[210:211]
	v_fma_f64 v[208:209], -v[208:209], v[212:213], v[217:218]
	s_delay_alu instid0(VALU_DEP_1) | instskip(NEXT) | instid1(VALU_DEP_1)
	v_div_fmas_f64 v[208:209], v[208:209], v[210:211], v[212:213]
	v_div_fixup_f64 v[208:209], v[208:209], v[204:205], v[206:207]
	s_delay_alu instid0(VALU_DEP_1) | instskip(NEXT) | instid1(VALU_DEP_1)
	v_fma_f64 v[204:205], v[206:207], v[208:209], v[204:205]
	v_div_scale_f64 v[206:207], null, v[204:205], v[204:205], 1.0
	s_delay_alu instid0(VALU_DEP_1) | instskip(SKIP_2) | instid1(VALU_DEP_1)
	v_rcp_f64_e32 v[210:211], v[206:207]
	s_waitcnt_depctr 0xfff
	v_fma_f64 v[212:213], -v[206:207], v[210:211], 1.0
	v_fma_f64 v[210:211], v[210:211], v[212:213], v[210:211]
	s_delay_alu instid0(VALU_DEP_1) | instskip(NEXT) | instid1(VALU_DEP_1)
	v_fma_f64 v[212:213], -v[206:207], v[210:211], 1.0
	v_fma_f64 v[210:211], v[210:211], v[212:213], v[210:211]
	v_div_scale_f64 v[212:213], vcc_lo, 1.0, v[204:205], 1.0
	s_delay_alu instid0(VALU_DEP_1) | instskip(NEXT) | instid1(VALU_DEP_1)
	v_mul_f64 v[217:218], v[212:213], v[210:211]
	v_fma_f64 v[206:207], -v[206:207], v[217:218], v[212:213]
	s_delay_alu instid0(VALU_DEP_1) | instskip(SKIP_1) | instid1(VALU_DEP_2)
	v_div_fmas_f64 v[206:207], v[206:207], v[210:211], v[217:218]
	v_dual_mov_b32 v218, v193 :: v_dual_mov_b32 v217, v192
	v_div_fixup_f64 v[212:213], v[206:207], v[204:205], 1.0
	s_delay_alu instid0(VALU_DEP_1)
	v_mul_f64 v[210:211], v[208:209], -v[212:213]
.LBB97_430:
	s_or_b32 exec_lo, exec_lo, s3
	ds_store_2addr_b64 v215, v[212:213], v[210:211] offset1:1
.LBB97_431:
	s_or_b32 exec_lo, exec_lo, s4
	s_waitcnt lgkmcnt(0)
	s_barrier
	buffer_gl0_inv
	ds_load_2addr_b64 v[204:207], v215 offset1:1
	s_mov_b32 s3, exec_lo
	v_cmpx_lt_u32_e32 47, v214
	s_cbranch_execz .LBB97_433
; %bb.432:
	s_waitcnt lgkmcnt(0)
	v_mul_f64 v[208:209], v[204:205], v[6:7]
	v_mul_f64 v[6:7], v[206:207], v[6:7]
	s_delay_alu instid0(VALU_DEP_2) | instskip(SKIP_4) | instid1(VALU_DEP_1)
	v_fma_f64 v[212:213], v[206:207], v[4:5], v[208:209]
	ds_load_2addr_b64 v[208:211], v216 offset0:96 offset1:97
	v_fma_f64 v[4:5], v[204:205], v[4:5], -v[6:7]
	s_waitcnt lgkmcnt(0)
	v_mul_f64 v[6:7], v[210:211], v[212:213]
	v_fma_f64 v[6:7], v[208:209], v[4:5], -v[6:7]
	v_mul_f64 v[208:209], v[208:209], v[212:213]
	s_delay_alu instid0(VALU_DEP_2) | instskip(NEXT) | instid1(VALU_DEP_2)
	v_add_f64 v[0:1], v[0:1], -v[6:7]
	v_fma_f64 v[208:209], v[210:211], v[4:5], v[208:209]
	v_dual_mov_b32 v6, v212 :: v_dual_mov_b32 v7, v213
	s_delay_alu instid0(VALU_DEP_2)
	v_add_f64 v[2:3], v[2:3], -v[208:209]
.LBB97_433:
	s_or_b32 exec_lo, exec_lo, s3
	s_delay_alu instid0(SALU_CYCLE_1)
	s_mov_b32 s4, exec_lo
	s_waitcnt lgkmcnt(0)
	s_barrier
	buffer_gl0_inv
	v_cmpx_eq_u32_e32 48, v214
	s_cbranch_execz .LBB97_440
; %bb.434:
	v_cmp_neq_f64_e32 vcc_lo, 0, v[0:1]
	v_cmp_neq_f64_e64 s3, 0, v[2:3]
	ds_store_2addr_b64 v215, v[0:1], v[2:3] offset1:1
	s_or_b32 s3, vcc_lo, s3
	s_delay_alu instid0(SALU_CYCLE_1)
	s_and_b32 exec_lo, exec_lo, s3
	s_cbranch_execz .LBB97_440
; %bb.435:
	v_cmp_gt_f64_e32 vcc_lo, 0, v[0:1]
	v_xor_b32_e32 v208, 0x80000000, v1
	v_xor_b32_e32 v210, 0x80000000, v3
	s_mov_b32 s3, exec_lo
                                        ; implicit-def: $vgpr212_vgpr213
	s_delay_alu instid0(VALU_DEP_2) | instskip(SKIP_4) | instid1(VALU_DEP_1)
	v_cndmask_b32_e32 v209, v1, v208, vcc_lo
	v_cndmask_b32_e32 v208, v0, v0, vcc_lo
	v_cmp_gt_f64_e32 vcc_lo, 0, v[2:3]
	v_cndmask_b32_e32 v211, v3, v210, vcc_lo
	v_cndmask_b32_e32 v210, v2, v2, vcc_lo
	v_cmpx_ngt_f64_e32 v[208:209], v[210:211]
	s_xor_b32 s3, exec_lo, s3
                                        ; implicit-def: $vgpr208_vgpr209_vgpr210_vgpr211
	s_cbranch_execz .LBB97_437
; %bb.436:
	v_div_scale_f64 v[208:209], null, v[2:3], v[2:3], v[0:1]
	v_dual_mov_b32 v188, v194 :: v_dual_mov_b32 v189, v195
	v_dual_mov_b32 v194, v217 :: v_dual_mov_b32 v195, v218
	v_div_scale_f64 v[216:217], vcc_lo, v[0:1], v[2:3], v[0:1]
	v_dual_mov_b32 v192, v233 :: v_dual_mov_b32 v193, v234
	v_dual_mov_b32 v235, v232 :: v_dual_mov_b32 v234, v231
	;; [unrolled: 1-line block ×7, first 2 shown]
	v_rcp_f64_e32 v[210:211], v[208:209]
	s_waitcnt_depctr 0xfff
	v_fma_f64 v[212:213], -v[208:209], v[210:211], 1.0
	s_delay_alu instid0(VALU_DEP_1) | instskip(NEXT) | instid1(VALU_DEP_1)
	v_fma_f64 v[210:211], v[210:211], v[212:213], v[210:211]
	v_fma_f64 v[212:213], -v[208:209], v[210:211], 1.0
	s_delay_alu instid0(VALU_DEP_1) | instskip(NEXT) | instid1(VALU_DEP_1)
	v_fma_f64 v[210:211], v[210:211], v[212:213], v[210:211]
	v_mul_f64 v[212:213], v[216:217], v[210:211]
	s_delay_alu instid0(VALU_DEP_1) | instskip(NEXT) | instid1(VALU_DEP_1)
	v_fma_f64 v[208:209], -v[208:209], v[212:213], v[216:217]
	v_div_fmas_f64 v[208:209], v[208:209], v[210:211], v[212:213]
	s_delay_alu instid0(VALU_DEP_1) | instskip(NEXT) | instid1(VALU_DEP_1)
	v_div_fixup_f64 v[208:209], v[208:209], v[2:3], v[0:1]
	v_fma_f64 v[210:211], v[0:1], v[208:209], v[2:3]
	s_delay_alu instid0(VALU_DEP_1) | instskip(NEXT) | instid1(VALU_DEP_1)
	v_div_scale_f64 v[212:213], null, v[210:211], v[210:211], 1.0
	v_rcp_f64_e32 v[216:217], v[212:213]
	s_waitcnt_depctr 0xfff
	v_fma_f64 v[218:219], -v[212:213], v[216:217], 1.0
	s_delay_alu instid0(VALU_DEP_1) | instskip(NEXT) | instid1(VALU_DEP_1)
	v_fma_f64 v[216:217], v[216:217], v[218:219], v[216:217]
	v_fma_f64 v[218:219], -v[212:213], v[216:217], 1.0
	s_delay_alu instid0(VALU_DEP_1) | instskip(SKIP_1) | instid1(VALU_DEP_1)
	v_fma_f64 v[216:217], v[216:217], v[218:219], v[216:217]
	v_div_scale_f64 v[218:219], vcc_lo, 1.0, v[210:211], 1.0
	v_mul_f64 v[220:221], v[218:219], v[216:217]
	s_delay_alu instid0(VALU_DEP_1) | instskip(NEXT) | instid1(VALU_DEP_1)
	v_fma_f64 v[212:213], -v[212:213], v[220:221], v[218:219]
	v_div_fmas_f64 v[212:213], v[212:213], v[216:217], v[220:221]
	v_dual_mov_b32 v218, v195 :: v_dual_mov_b32 v217, v194
	v_dual_mov_b32 v195, v189 :: v_dual_mov_b32 v194, v188
	;; [unrolled: 1-line block ×9, first 2 shown]
	v_div_fixup_f64 v[210:211], v[212:213], v[210:211], 1.0
	s_delay_alu instid0(VALU_DEP_1)
	v_mul_f64 v[212:213], v[208:209], v[210:211]
	v_xor_b32_e32 v211, 0x80000000, v211
.LBB97_437:
	s_and_not1_saveexec_b32 s3, s3
	s_cbranch_execz .LBB97_439
; %bb.438:
	v_div_scale_f64 v[208:209], null, v[0:1], v[0:1], v[2:3]
	v_dual_mov_b32 v188, v194 :: v_dual_mov_b32 v189, v195
	v_dual_mov_b32 v194, v217 :: v_dual_mov_b32 v195, v218
	v_div_scale_f64 v[216:217], vcc_lo, v[2:3], v[0:1], v[2:3]
	v_dual_mov_b32 v192, v233 :: v_dual_mov_b32 v193, v234
	v_dual_mov_b32 v235, v232 :: v_dual_mov_b32 v234, v231
	;; [unrolled: 1-line block ×7, first 2 shown]
	v_rcp_f64_e32 v[210:211], v[208:209]
	s_waitcnt_depctr 0xfff
	v_fma_f64 v[212:213], -v[208:209], v[210:211], 1.0
	s_delay_alu instid0(VALU_DEP_1) | instskip(NEXT) | instid1(VALU_DEP_1)
	v_fma_f64 v[210:211], v[210:211], v[212:213], v[210:211]
	v_fma_f64 v[212:213], -v[208:209], v[210:211], 1.0
	s_delay_alu instid0(VALU_DEP_1) | instskip(NEXT) | instid1(VALU_DEP_1)
	v_fma_f64 v[210:211], v[210:211], v[212:213], v[210:211]
	v_mul_f64 v[212:213], v[216:217], v[210:211]
	s_delay_alu instid0(VALU_DEP_1) | instskip(NEXT) | instid1(VALU_DEP_1)
	v_fma_f64 v[208:209], -v[208:209], v[212:213], v[216:217]
	v_div_fmas_f64 v[208:209], v[208:209], v[210:211], v[212:213]
	s_delay_alu instid0(VALU_DEP_1) | instskip(NEXT) | instid1(VALU_DEP_1)
	v_div_fixup_f64 v[208:209], v[208:209], v[0:1], v[2:3]
	v_fma_f64 v[210:211], v[2:3], v[208:209], v[0:1]
	s_delay_alu instid0(VALU_DEP_1) | instskip(NEXT) | instid1(VALU_DEP_1)
	v_div_scale_f64 v[212:213], null, v[210:211], v[210:211], 1.0
	v_rcp_f64_e32 v[216:217], v[212:213]
	s_waitcnt_depctr 0xfff
	v_fma_f64 v[218:219], -v[212:213], v[216:217], 1.0
	s_delay_alu instid0(VALU_DEP_1) | instskip(NEXT) | instid1(VALU_DEP_1)
	v_fma_f64 v[216:217], v[216:217], v[218:219], v[216:217]
	v_fma_f64 v[218:219], -v[212:213], v[216:217], 1.0
	s_delay_alu instid0(VALU_DEP_1) | instskip(SKIP_1) | instid1(VALU_DEP_1)
	v_fma_f64 v[216:217], v[216:217], v[218:219], v[216:217]
	v_div_scale_f64 v[218:219], vcc_lo, 1.0, v[210:211], 1.0
	v_mul_f64 v[220:221], v[218:219], v[216:217]
	s_delay_alu instid0(VALU_DEP_1) | instskip(NEXT) | instid1(VALU_DEP_1)
	v_fma_f64 v[212:213], -v[212:213], v[220:221], v[218:219]
	v_div_fmas_f64 v[212:213], v[212:213], v[216:217], v[220:221]
	v_dual_mov_b32 v218, v195 :: v_dual_mov_b32 v217, v194
	v_dual_mov_b32 v195, v189 :: v_dual_mov_b32 v194, v188
	;; [unrolled: 1-line block ×9, first 2 shown]
	v_div_fixup_f64 v[212:213], v[212:213], v[210:211], 1.0
	s_delay_alu instid0(VALU_DEP_1)
	v_mul_f64 v[210:211], v[208:209], -v[212:213]
.LBB97_439:
	s_or_b32 exec_lo, exec_lo, s3
	ds_store_2addr_b64 v215, v[212:213], v[210:211] offset1:1
.LBB97_440:
	s_or_b32 exec_lo, exec_lo, s4
	s_waitcnt lgkmcnt(0)
	s_barrier
	buffer_gl0_inv
	ds_load_2addr_b64 v[208:211], v215 offset1:1
	s_mov_b32 s3, exec_lo
	v_cmpx_lt_u32_e32 48, v214
	s_cbranch_execz .LBB97_442
; %bb.441:
	s_waitcnt lgkmcnt(0)
	v_mul_f64 v[212:213], v[210:211], v[2:3]
	v_mul_f64 v[2:3], v[208:209], v[2:3]
	s_delay_alu instid0(VALU_DEP_2) | instskip(NEXT) | instid1(VALU_DEP_2)
	v_fma_f64 v[212:213], v[208:209], v[0:1], -v[212:213]
	v_fma_f64 v[2:3], v[210:211], v[0:1], v[2:3]
	s_delay_alu instid0(VALU_DEP_2)
	v_dual_mov_b32 v0, v212 :: v_dual_mov_b32 v1, v213
.LBB97_442:
	s_or_b32 exec_lo, exec_lo, s3
	s_waitcnt lgkmcnt(0)
	s_barrier
	buffer_gl0_inv
	s_and_saveexec_b32 s12, s2
	s_cbranch_execz .LBB97_445
; %bb.443:
	scratch_load_b128 v[212:215], off, off offset:344 ; 16-byte Folded Reload
	s_load_b64 s[14:15], s[0:1], 0x28
	s_waitcnt vmcnt(0)
	v_cmp_eq_f64_e32 vcc_lo, 0, v[212:213]
	v_cmp_eq_f64_e64 s2, 0, v[214:215]
	scratch_load_b128 v[212:215], off, off offset:360 ; 16-byte Folded Reload
	s_and_b32 s2, vcc_lo, s2
	s_waitcnt vmcnt(0)
	v_cmp_neq_f64_e64 s3, 0, v[212:213]
	v_cmp_neq_f64_e64 s4, 0, v[214:215]
	scratch_load_b128 v[212:215], off, off offset:376 ; 16-byte Folded Reload
	s_or_b32 s3, s3, s4
	s_delay_alu instid0(SALU_CYCLE_1)
	s_or_b32 vcc_lo, s3, s2
	s_waitcnt vmcnt(0)
	v_cmp_eq_f64_e64 s5, 0, v[212:213]
	v_cmp_eq_f64_e64 s6, 0, v[214:215]
	scratch_load_b128 v[212:215], off, off offset:392 ; 16-byte Folded Reload
	s_and_b32 s4, s5, s6
	s_waitcnt vmcnt(0)
	v_cmp_eq_f64_e64 s7, 0, v[212:213]
	v_cmp_eq_f64_e64 s8, 0, v[214:215]
	scratch_load_b128 v[212:215], off, off offset:408 ; 16-byte Folded Reload
	s_and_b32 s6, s7, s8
	s_waitcnt vmcnt(0)
	v_cmp_eq_f64_e64 s9, 0, v[212:213]
	v_cmp_eq_f64_e64 s10, 0, v[214:215]
	scratch_load_b128 v[213:216], off, off offset:424 ; 16-byte Folded Reload
	v_cndmask_b32_e64 v212, 0, 1, s2
	s_delay_alu instid0(VALU_DEP_1) | instskip(NEXT) | instid1(VALU_DEP_1)
	v_cndmask_b32_e32 v212, 2, v212, vcc_lo
	v_cmp_eq_u32_e64 s3, 0, v212
	s_delay_alu instid0(VALU_DEP_1) | instskip(NEXT) | instid1(SALU_CYCLE_1)
	s_and_b32 s3, s4, s3
	v_cndmask_b32_e64 v212, v212, 3, s3
	s_delay_alu instid0(VALU_DEP_1) | instskip(NEXT) | instid1(VALU_DEP_1)
	v_cmp_eq_u32_e64 s5, 0, v212
	s_and_b32 s5, s6, s5
	s_delay_alu instid0(SALU_CYCLE_1) | instskip(NEXT) | instid1(VALU_DEP_1)
	v_cndmask_b32_e64 v212, v212, 4, s5
	v_cmp_eq_u32_e64 s7, 0, v212
	s_and_b32 s8, s9, s10
	s_delay_alu instid0(VALU_DEP_1) | instid1(SALU_CYCLE_1)
	s_and_b32 s7, s8, s7
	s_delay_alu instid0(SALU_CYCLE_1) | instskip(NEXT) | instid1(VALU_DEP_1)
	v_cndmask_b32_e64 v212, v212, 5, s7
	v_cmp_eq_u32_e64 s9, 0, v212
	s_waitcnt vmcnt(0)
	v_cmp_eq_f64_e32 vcc_lo, 0, v[213:214]
	v_cmp_eq_f64_e64 s2, 0, v[215:216]
	scratch_load_b128 v[213:216], off, off offset:440 ; 16-byte Folded Reload
	s_and_b32 s2, vcc_lo, s2
	s_delay_alu instid0(SALU_CYCLE_1) | instskip(NEXT) | instid1(SALU_CYCLE_1)
	s_and_b32 s2, s2, s9
	v_cndmask_b32_e64 v212, v212, 6, s2
	s_delay_alu instid0(VALU_DEP_1)
	v_cmp_eq_u32_e64 s9, 0, v212
	s_waitcnt vmcnt(0)
	v_cmp_eq_f64_e64 s3, 0, v[213:214]
	v_cmp_eq_f64_e64 s4, 0, v[215:216]
	scratch_load_b128 v[213:216], off, off offset:456 ; 16-byte Folded Reload
	s_and_b32 s3, s3, s4
	s_delay_alu instid0(SALU_CYCLE_1) | instskip(NEXT) | instid1(SALU_CYCLE_1)
	s_and_b32 s3, s3, s9
	v_cndmask_b32_e64 v212, v212, 7, s3
	s_delay_alu instid0(VALU_DEP_1)
	v_cmp_eq_u32_e64 s9, 0, v212
	s_waitcnt vmcnt(0)
	v_cmp_eq_f64_e64 s5, 0, v[213:214]
	v_cmp_eq_f64_e64 s6, 0, v[215:216]
	scratch_load_b128 v[213:216], off, off offset:472 ; 16-byte Folded Reload
	s_and_b32 s5, s5, s6
	s_delay_alu instid0(SALU_CYCLE_1) | instskip(NEXT) | instid1(SALU_CYCLE_1)
	s_and_b32 s5, s5, s9
	v_cndmask_b32_e64 v212, v212, 8, s5
	s_delay_alu instid0(VALU_DEP_1)
	v_cmp_eq_u32_e64 s9, 0, v212
	s_waitcnt vmcnt(0)
	v_cmp_eq_f64_e64 s7, 0, v[213:214]
	v_cmp_eq_f64_e64 s8, 0, v[215:216]
	scratch_load_b128 v[213:216], off, off offset:488 ; 16-byte Folded Reload
	s_and_b32 s7, s7, s8
	s_delay_alu instid0(SALU_CYCLE_1) | instskip(NEXT) | instid1(SALU_CYCLE_1)
	s_and_b32 s7, s7, s9
	v_cndmask_b32_e64 v212, v212, 9, s7
	s_delay_alu instid0(VALU_DEP_1)
	v_cmp_eq_u32_e64 s9, 0, v212
	s_waitcnt vmcnt(0)
	v_cmp_eq_f64_e32 vcc_lo, 0, v[213:214]
	v_cmp_eq_f64_e64 s2, 0, v[215:216]
	scratch_load_b128 v[213:216], off, off offset:504 ; 16-byte Folded Reload
	s_and_b32 s2, vcc_lo, s2
	s_delay_alu instid0(SALU_CYCLE_1) | instskip(NEXT) | instid1(SALU_CYCLE_1)
	s_and_b32 s2, s2, s9
	v_cndmask_b32_e64 v212, v212, 10, s2
	s_delay_alu instid0(VALU_DEP_1)
	v_cmp_eq_u32_e64 s9, 0, v212
	s_waitcnt vmcnt(0)
	v_cmp_eq_f64_e64 s3, 0, v[213:214]
	v_cmp_eq_f64_e64 s4, 0, v[215:216]
	scratch_load_b128 v[213:216], off, off offset:520 ; 16-byte Folded Reload
	s_and_b32 s3, s3, s4
	s_delay_alu instid0(SALU_CYCLE_1) | instskip(NEXT) | instid1(SALU_CYCLE_1)
	s_and_b32 s3, s3, s9
	v_cndmask_b32_e64 v212, v212, 11, s3
	s_delay_alu instid0(VALU_DEP_1)
	v_cmp_eq_u32_e64 s9, 0, v212
	s_waitcnt vmcnt(0)
	v_cmp_eq_f64_e64 s5, 0, v[213:214]
	v_cmp_eq_f64_e64 s6, 0, v[215:216]
	scratch_load_b128 v[213:216], off, off offset:536 ; 16-byte Folded Reload
	s_and_b32 s5, s5, s6
	s_delay_alu instid0(SALU_CYCLE_1) | instskip(NEXT) | instid1(SALU_CYCLE_1)
	s_and_b32 s5, s5, s9
	v_cndmask_b32_e64 v212, v212, 12, s5
	s_delay_alu instid0(VALU_DEP_1)
	v_cmp_eq_u32_e64 s9, 0, v212
	s_waitcnt vmcnt(0)
	v_cmp_eq_f64_e64 s7, 0, v[213:214]
	v_cmp_eq_f64_e64 s8, 0, v[215:216]
	scratch_load_b128 v[213:216], off, off offset:552 ; 16-byte Folded Reload
	s_and_b32 s7, s7, s8
	s_delay_alu instid0(SALU_CYCLE_1) | instskip(NEXT) | instid1(SALU_CYCLE_1)
	s_and_b32 s7, s7, s9
	v_cndmask_b32_e64 v212, v212, 13, s7
	s_delay_alu instid0(VALU_DEP_1)
	;; [unrolled: 40-line block ×3, first 2 shown]
	v_cmp_eq_u32_e64 s8, 0, v212
	s_waitcnt vmcnt(0)
	v_cmp_eq_f64_e32 vcc_lo, 0, v[213:214]
	v_cmp_eq_f64_e64 s2, 0, v[215:216]
	scratch_load_b128 v[213:216], off, off offset:632 ; 16-byte Folded Reload
	s_and_b32 s2, vcc_lo, s2
	s_delay_alu instid0(SALU_CYCLE_1) | instskip(NEXT) | instid1(SALU_CYCLE_1)
	s_and_b32 s0, s2, s8
	v_cndmask_b32_e64 v212, v212, 18, s0
	s_delay_alu instid0(VALU_DEP_1)
	v_cmp_eq_u32_e64 s1, 0, v212
	s_waitcnt vmcnt(0)
	v_cmp_eq_f64_e64 s3, 0, v[213:214]
	v_cmp_eq_f64_e64 s4, 0, v[215:216]
	scratch_load_b128 v[213:216], off, off offset:648 ; 16-byte Folded Reload
	s_and_b32 s2, s3, s4
	s_delay_alu instid0(SALU_CYCLE_1)
	s_and_b32 s1, s2, s1
	s_waitcnt vmcnt(0)
	v_cmp_eq_f64_e64 s10, 0, v[213:214]
	v_cmp_eq_f64_e64 s5, 0, v[215:216]
	scratch_load_b128 v[213:216], off, off offset:664 ; 16-byte Folded Reload
	s_and_b32 s5, s10, s5
	s_waitcnt vmcnt(0)
	v_cmp_eq_f64_e64 s6, 0, v[213:214]
	v_cmp_eq_f64_e64 s7, 0, v[215:216]
	scratch_load_b128 v[213:216], off, off offset:680 ; 16-byte Folded Reload
	s_and_b32 s6, s6, s7
	s_waitcnt vmcnt(0)
	v_cmp_eq_f64_e32 vcc_lo, 0, v[213:214]
	v_cndmask_b32_e64 v214, v212, 19, s1
	v_lshlrev_b64 v[212:213], 2, v[221:222]
	scratch_load_b128 v[219:222], off, off offset:696 ; 16-byte Folded Reload
	v_cmp_eq_f64_e64 s0, 0, v[215:216]
	v_cmp_eq_u32_e64 s3, 0, v214
	s_waitcnt lgkmcnt(0)
	v_add_co_u32 v212, s4, s14, v212
	s_delay_alu instid0(VALU_DEP_1) | instskip(NEXT) | instid1(VALU_DEP_3)
	v_add_co_ci_u32_e64 v213, s4, s15, v213, s4
	s_and_b32 s3, s5, s3
	s_delay_alu instid0(SALU_CYCLE_1) | instskip(SKIP_2) | instid1(VALU_DEP_1)
	v_cndmask_b32_e64 v215, v214, 20, s3
	global_load_b32 v214, v[212:213], off
	v_cmp_eq_u32_e64 s5, 0, v215
	s_and_b32 s5, s6, s5
	s_delay_alu instid0(SALU_CYCLE_1) | instskip(NEXT) | instid1(VALU_DEP_1)
	v_cndmask_b32_e64 v215, v215, 21, s5
	v_cmp_eq_u32_e64 s7, 0, v215
	s_and_b32 s0, vcc_lo, s0
	s_delay_alu instid0(VALU_DEP_1) | instid1(SALU_CYCLE_1)
	s_and_b32 s0, s0, s7
	s_delay_alu instid0(SALU_CYCLE_1) | instskip(NEXT) | instid1(VALU_DEP_1)
	v_cndmask_b32_e64 v215, v215, 22, s0
	v_cmp_eq_u32_e64 s7, 0, v215
	s_waitcnt vmcnt(1)
	v_cmp_eq_f64_e64 s1, 0, v[219:220]
	v_cmp_eq_f64_e64 s2, 0, v[221:222]
	scratch_load_b128 v[219:222], off, off offset:720 ; 16-byte Folded Reload
	s_and_b32 s1, s1, s2
	s_delay_alu instid0(SALU_CYCLE_1) | instskip(NEXT) | instid1(SALU_CYCLE_1)
	s_and_b32 s1, s1, s7
	v_cndmask_b32_e64 v215, v215, 23, s1
	s_delay_alu instid0(VALU_DEP_1)
	v_cmp_eq_u32_e64 s7, 0, v215
	s_waitcnt vmcnt(0)
	v_cmp_eq_f64_e64 s3, 0, v[219:220]
	v_cmp_eq_f64_e64 s4, 0, v[221:222]
	scratch_load_b128 v[219:222], off, off offset:736 ; 16-byte Folded Reload
	s_and_b32 s3, s3, s4
	s_delay_alu instid0(SALU_CYCLE_1) | instskip(NEXT) | instid1(SALU_CYCLE_1)
	s_and_b32 s3, s3, s7
	v_cndmask_b32_e64 v215, v215, 24, s3
	s_delay_alu instid0(VALU_DEP_1)
	v_cmp_eq_u32_e64 s7, 0, v215
	s_waitcnt vmcnt(0)
	v_cmp_eq_f64_e64 s5, 0, v[219:220]
	v_cmp_eq_f64_e64 s6, 0, v[221:222]
	scratch_load_b128 v[219:222], off, off offset:752 ; 16-byte Folded Reload
	s_and_b32 s5, s5, s6
	s_delay_alu instid0(SALU_CYCLE_1) | instskip(NEXT) | instid1(SALU_CYCLE_1)
	s_and_b32 s5, s5, s7
	v_cndmask_b32_e64 v215, v215, 25, s5
	s_delay_alu instid0(VALU_DEP_1)
	v_cmp_eq_u32_e64 s7, 0, v215
	s_waitcnt vmcnt(0)
	v_cmp_eq_f64_e32 vcc_lo, 0, v[219:220]
	v_cmp_eq_f64_e64 s0, 0, v[221:222]
	scratch_load_b128 v[219:222], off, off offset:768 ; 16-byte Folded Reload
	s_and_b32 s0, vcc_lo, s0
	s_delay_alu instid0(SALU_CYCLE_1) | instskip(NEXT) | instid1(SALU_CYCLE_1)
	s_and_b32 s0, s0, s7
	v_cndmask_b32_e64 v215, v215, 26, s0
	s_delay_alu instid0(VALU_DEP_1)
	v_cmp_eq_u32_e32 vcc_lo, 0, v215
	s_waitcnt vmcnt(0)
	v_cmp_eq_f64_e64 s1, 0, v[219:220]
	v_cmp_eq_f64_e64 s2, 0, v[221:222]
	scratch_load_b128 v[219:222], off, off offset:784 ; 16-byte Folded Reload
	s_and_b32 s0, s1, s2
	s_delay_alu instid0(SALU_CYCLE_1) | instskip(NEXT) | instid1(SALU_CYCLE_1)
	s_and_b32 s0, s0, vcc_lo
	v_cndmask_b32_e64 v215, v215, 27, s0
	s_delay_alu instid0(VALU_DEP_1)
	v_cmp_eq_u32_e32 vcc_lo, 0, v215
	s_waitcnt vmcnt(0)
	v_cmp_eq_f64_e64 s3, 0, v[219:220]
	v_cmp_eq_f64_e64 s4, 0, v[221:222]
	scratch_load_b128 v[219:222], off, off offset:800 ; 16-byte Folded Reload
	s_and_b32 s0, s3, s4
	s_delay_alu instid0(SALU_CYCLE_1) | instskip(NEXT) | instid1(SALU_CYCLE_1)
	s_and_b32 s0, s0, vcc_lo
	v_cndmask_b32_e64 v215, v215, 28, s0
	s_delay_alu instid0(VALU_DEP_1)
	v_cmp_eq_u32_e64 s1, 0, v215
	s_waitcnt vmcnt(0)
	v_cmp_eq_f64_e64 s5, 0, v[219:220]
	v_cmp_eq_f64_e64 s6, 0, v[221:222]
	scratch_load_b128 v[219:222], off, off offset:816 ; 16-byte Folded Reload
	s_and_b32 s2, s5, s6
	s_delay_alu instid0(SALU_CYCLE_1) | instskip(NEXT) | instid1(SALU_CYCLE_1)
	s_and_b32 s1, s2, s1
	v_cndmask_b32_e64 v215, v215, 29, s1
	s_delay_alu instid0(VALU_DEP_1)
	v_cmp_eq_u32_e64 s3, 0, v215
	s_waitcnt vmcnt(0)
	v_cmp_eq_f64_e64 s7, 0, v[219:220]
	v_cmp_eq_f64_e64 s8, 0, v[221:222]
	scratch_load_b128 v[219:222], off, off offset:832 ; 16-byte Folded Reload
	s_and_b32 s4, s7, s8
	s_delay_alu instid0(SALU_CYCLE_1) | instskip(NEXT) | instid1(SALU_CYCLE_1)
	s_and_b32 s3, s4, s3
	;; [unrolled: 10-line block ×3, first 2 shown]
	v_cndmask_b32_e64 v215, v215, 31, s5
	s_delay_alu instid0(VALU_DEP_1)
	v_cmp_eq_u32_e64 s7, 0, v215
	s_waitcnt vmcnt(0)
	v_cmp_eq_f64_e32 vcc_lo, 0, v[219:220]
	v_cmp_eq_f64_e64 s0, 0, v[221:222]
	scratch_load_b128 v[219:222], off, off offset:864 ; 16-byte Folded Reload
	s_and_b32 s0, vcc_lo, s0
	s_delay_alu instid0(SALU_CYCLE_1) | instskip(NEXT) | instid1(SALU_CYCLE_1)
	s_and_b32 s0, s0, s7
	v_cndmask_b32_e64 v215, v215, 32, s0
	s_delay_alu instid0(VALU_DEP_1)
	v_cmp_eq_u32_e64 s7, 0, v215
	s_waitcnt vmcnt(0)
	v_cmp_eq_f64_e64 s1, 0, v[219:220]
	v_cmp_eq_f64_e64 s2, 0, v[221:222]
	scratch_load_b128 v[219:222], off, off offset:880 ; 16-byte Folded Reload
	s_and_b32 s1, s1, s2
	s_delay_alu instid0(SALU_CYCLE_1) | instskip(NEXT) | instid1(SALU_CYCLE_1)
	s_and_b32 s1, s1, s7
	v_cndmask_b32_e64 v215, v215, 33, s1
	s_delay_alu instid0(VALU_DEP_1)
	v_cmp_eq_u32_e64 s7, 0, v215
	s_waitcnt vmcnt(0)
	v_cmp_eq_f64_e64 s3, 0, v[219:220]
	v_cmp_eq_f64_e64 s4, 0, v[221:222]
	scratch_load_b128 v[219:222], off, off offset:896 ; 16-byte Folded Reload
	s_and_b32 s3, s3, s4
	s_delay_alu instid0(SALU_CYCLE_1) | instskip(NEXT) | instid1(SALU_CYCLE_1)
	s_and_b32 s3, s3, s7
	v_cndmask_b32_e64 v215, v215, 34, s3
	s_delay_alu instid0(VALU_DEP_1)
	v_cmp_eq_u32_e64 s7, 0, v215
	s_waitcnt vmcnt(0)
	v_cmp_eq_f64_e64 s5, 0, v[219:220]
	v_cmp_eq_f64_e64 s6, 0, v[221:222]
	scratch_load_b128 v[219:222], off, off offset:912 ; 16-byte Folded Reload
	s_and_b32 s5, s5, s6
	s_delay_alu instid0(SALU_CYCLE_1) | instskip(NEXT) | instid1(SALU_CYCLE_1)
	s_and_b32 s5, s5, s7
	v_cndmask_b32_e64 v215, v215, 35, s5
	s_delay_alu instid0(VALU_DEP_1)
	v_cmp_eq_u32_e64 s7, 0, v215
	s_waitcnt vmcnt(0)
	v_cmp_eq_f64_e32 vcc_lo, 0, v[219:220]
	v_cmp_eq_f64_e64 s0, 0, v[221:222]
	scratch_load_b128 v[219:222], off, off offset:928 ; 16-byte Folded Reload
	s_and_b32 s0, vcc_lo, s0
	s_delay_alu instid0(SALU_CYCLE_1) | instskip(NEXT) | instid1(SALU_CYCLE_1)
	s_and_b32 s0, s0, s7
	v_cndmask_b32_e64 v215, v215, 36, s0
	s_delay_alu instid0(VALU_DEP_1)
	v_cmp_eq_u32_e64 s7, 0, v215
	s_waitcnt vmcnt(0)
	v_cmp_eq_f64_e64 s1, 0, v[219:220]
	v_cmp_eq_f64_e64 s2, 0, v[221:222]
	scratch_load_b128 v[219:222], off, off offset:944 ; 16-byte Folded Reload
	s_and_b32 s1, s1, s2
	v_cmp_eq_f64_e64 s2, 0, v[238:239]
	s_and_b32 s1, s1, s7
	s_delay_alu instid0(SALU_CYCLE_1) | instskip(SKIP_1) | instid1(VALU_DEP_2)
	v_cndmask_b32_e64 v215, v215, 37, s1
	v_cmp_eq_f64_e64 s1, 0, v[236:237]
	v_cmp_eq_u32_e64 s7, 0, v215
	s_delay_alu instid0(VALU_DEP_2)
	s_and_b32 s1, s1, s2
	v_cmp_eq_f64_e64 s2, 0, v[254:255]
	s_waitcnt vmcnt(0)
	v_cmp_eq_f64_e64 s3, 0, v[219:220]
	v_cmp_eq_f64_e64 s4, 0, v[221:222]
	scratch_load_b128 v[219:222], off, off offset:960 ; 16-byte Folded Reload
	s_and_b32 s3, s3, s4
	v_cmp_eq_f64_e64 s4, 0, v[242:243]
	s_and_b32 s3, s3, s7
	s_delay_alu instid0(SALU_CYCLE_1) | instskip(SKIP_1) | instid1(VALU_DEP_2)
	v_cndmask_b32_e64 v215, v215, 38, s3
	v_cmp_eq_f64_e64 s3, 0, v[240:241]
	v_cmp_eq_u32_e64 s7, 0, v215
	s_delay_alu instid0(VALU_DEP_2)
	s_and_b32 s3, s3, s4
	v_cmp_eq_f64_e64 s4, 0, v[198:199]
	s_waitcnt vmcnt(0)
	v_cmp_eq_f64_e64 s5, 0, v[219:220]
	v_cmp_eq_f64_e64 s6, 0, v[221:222]
	scratch_load_b128 v[219:222], off, off offset:976 ; 16-byte Folded Reload
	s_and_b32 s5, s5, s6
	v_cmp_eq_f64_e64 s6, 0, v[246:247]
	s_and_b32 s5, s5, s7
	s_delay_alu instid0(SALU_CYCLE_1) | instskip(SKIP_1) | instid1(VALU_DEP_2)
	v_cndmask_b32_e64 v215, v215, 39, s5
	v_cmp_eq_f64_e64 s5, 0, v[244:245]
	v_cmp_eq_u32_e64 s7, 0, v215
	s_delay_alu instid0(VALU_DEP_2) | instskip(SKIP_4) | instid1(VALU_DEP_1)
	s_and_b32 s5, s5, s6
	v_cmp_eq_f64_e64 s6, 0, v[202:203]
	s_waitcnt vmcnt(0)
	v_cmp_eq_f64_e32 vcc_lo, 0, v[219:220]
	v_cmp_eq_f64_e64 s0, 0, v[221:222]
	s_and_b32 s0, vcc_lo, s0
	v_cmp_eq_f64_e32 vcc_lo, 0, v[248:249]
	s_and_b32 s0, s0, s7
	s_delay_alu instid0(SALU_CYCLE_1) | instskip(SKIP_1) | instid1(VALU_DEP_2)
	v_cndmask_b32_e64 v215, v215, 40, s0
	v_cmp_eq_f64_e64 s0, 0, v[250:251]
	v_cmp_eq_u32_e64 s7, 0, v215
	s_delay_alu instid0(VALU_DEP_1) | instskip(NEXT) | instid1(SALU_CYCLE_1)
	s_and_b32 s1, s1, s7
	v_cndmask_b32_e64 v215, v215, 41, s1
	v_cmp_eq_f64_e64 s1, 0, v[252:253]
	s_delay_alu instid0(VALU_DEP_2) | instskip(NEXT) | instid1(VALU_DEP_1)
	v_cmp_eq_u32_e64 s7, 0, v215
	s_and_b32 s3, s3, s7
	s_delay_alu instid0(SALU_CYCLE_1) | instskip(SKIP_1) | instid1(VALU_DEP_2)
	v_cndmask_b32_e64 v215, v215, 42, s3
	v_cmp_eq_f64_e64 s3, 0, v[196:197]
	v_cmp_eq_u32_e64 s7, 0, v215
	s_delay_alu instid0(VALU_DEP_1) | instskip(NEXT) | instid1(SALU_CYCLE_1)
	s_and_b32 s5, s5, s7
	v_cndmask_b32_e64 v196, v215, 43, s5
	v_cmp_eq_f64_e64 s5, 0, v[200:201]
	s_and_b32 s0, vcc_lo, s0
	v_cmp_eq_f64_e32 vcc_lo, 0, v[204:205]
	s_delay_alu instid0(VALU_DEP_3) | instskip(NEXT) | instid1(VALU_DEP_1)
	v_cmp_eq_u32_e64 s7, 0, v196
	s_and_b32 s0, s0, s7
	s_delay_alu instid0(SALU_CYCLE_1) | instskip(SKIP_3) | instid1(VALU_DEP_3)
	v_cndmask_b32_e64 v196, v196, 44, s0
	v_cmp_eq_f64_e64 s0, 0, v[206:207]
	s_and_b32 s1, s1, s2
	v_cmp_eq_f64_e64 s2, 0, v[210:211]
	v_cmp_eq_u32_e64 s7, 0, v196
	s_delay_alu instid0(VALU_DEP_1) | instskip(NEXT) | instid1(SALU_CYCLE_1)
	s_and_b32 s1, s1, s7
	v_cndmask_b32_e64 v196, v196, 45, s1
	v_cmp_eq_f64_e64 s1, 0, v[208:209]
	s_and_b32 s3, s3, s4
	s_delay_alu instid0(VALU_DEP_2) | instskip(NEXT) | instid1(VALU_DEP_1)
	v_cmp_eq_u32_e64 s7, 0, v196
	s_and_b32 s3, s3, s7
	s_delay_alu instid0(SALU_CYCLE_1) | instskip(SKIP_1) | instid1(VALU_DEP_1)
	v_cndmask_b32_e64 v196, v196, 46, s3
	s_and_b32 s4, s5, s6
	v_cmp_eq_u32_e64 s3, 0, v196
	s_delay_alu instid0(VALU_DEP_1) | instskip(NEXT) | instid1(SALU_CYCLE_1)
	s_and_b32 s3, s4, s3
	v_cndmask_b32_e64 v196, v196, 47, s3
	s_and_b32 s0, vcc_lo, s0
	s_delay_alu instid0(VALU_DEP_1) | instskip(NEXT) | instid1(VALU_DEP_1)
	v_cmp_eq_u32_e64 s3, 0, v196
	s_and_b32 s0, s0, s3
	s_delay_alu instid0(SALU_CYCLE_1) | instskip(SKIP_1) | instid1(VALU_DEP_1)
	v_cndmask_b32_e64 v196, v196, 48, s0
	s_and_b32 s0, s1, s2
	v_cmp_eq_u32_e32 vcc_lo, 0, v196
	s_and_b32 s0, s0, vcc_lo
	v_cmp_eq_u32_e32 vcc_lo, 0, v214
	v_cndmask_b32_e64 v196, v196, 49, s0
	s_delay_alu instid0(VALU_DEP_1) | instskip(NEXT) | instid1(VALU_DEP_1)
	v_cmp_ne_u32_e64 s0, 0, v196
	s_and_b32 s0, vcc_lo, s0
	s_delay_alu instid0(SALU_CYCLE_1)
	s_and_b32 exec_lo, exec_lo, s0
	s_cbranch_execz .LBB97_445
; %bb.444:
	v_add_nc_u32_e32 v196, s11, v196
	global_store_b32 v[212:213], v196, off
.LBB97_445:
	s_or_b32 exec_lo, exec_lo, s12
	s_clause 0x1
	scratch_load_b64 v[188:189], off, off offset:336
	scratch_load_b128 v[196:199], off, off offset:16
	s_waitcnt vmcnt(0)
	global_store_b128 v[188:189], v[196:199], off
	s_clause 0x1
	scratch_load_b64 v[188:189], off, off offset:328
	scratch_load_b128 v[196:199], off, off
	s_waitcnt vmcnt(0)
	global_store_b128 v[188:189], v[196:199], off
	scratch_load_b64 v[188:189], off, off offset:320 ; 8-byte Folded Reload
	s_waitcnt vmcnt(0)
	global_store_b128 v[188:189], v[184:187], off
	scratch_load_b64 v[184:185], off, off offset:312 ; 8-byte Folded Reload
	;; [unrolled: 3-line block ×30, first 2 shown]
	s_waitcnt vmcnt(0)
	s_clause 0x3
	global_store_b128 v[72:73], v[68:71], off
	global_store_b128 v[190:191], v[64:67], off
	;; [unrolled: 1-line block ×4, first 2 shown]
	scratch_load_b64 v[56:57], off, off offset:32 ; 8-byte Folded Reload
	s_waitcnt vmcnt(0)
	s_clause 0x5
	global_store_b128 v[56:57], v[52:55], off
	global_store_b128 v[231:232], v[48:51], off
	;; [unrolled: 1-line block ×6, first 2 shown]
	scratch_load_b64 v[32:33], off, off offset:712 ; 8-byte Folded Reload
	s_waitcnt vmcnt(0)
	s_clause 0x1
	global_store_b128 v[32:33], v[28:31], off
	global_store_b128 v[225:226], v[24:27], off
	scratch_load_b64 v[24:25], off, off offset:56 ; 8-byte Folded Reload
	s_waitcnt vmcnt(0)
	global_store_b128 v[24:25], v[20:23], off
	scratch_load_b64 v[20:21], off, off offset:88 ; 8-byte Folded Reload
	s_waitcnt vmcnt(0)
	;; [unrolled: 3-line block ×6, first 2 shown]
	global_store_b128 v[4:5], v[0:3], off
.LBB97_446:
	s_nop 0
	s_sendmsg sendmsg(MSG_DEALLOC_VGPRS)
	s_endpgm
	.section	.rodata,"a",@progbits
	.p2align	6, 0x0
	.amdhsa_kernel _ZN9rocsolver6v33100L23getf2_npvt_small_kernelILi49E19rocblas_complex_numIdEiiPKPS3_EEvT1_T3_lS7_lPT2_S7_S7_
		.amdhsa_group_segment_fixed_size 0
		.amdhsa_private_segment_fixed_size 996
		.amdhsa_kernarg_size 312
		.amdhsa_user_sgpr_count 14
		.amdhsa_user_sgpr_dispatch_ptr 0
		.amdhsa_user_sgpr_queue_ptr 0
		.amdhsa_user_sgpr_kernarg_segment_ptr 1
		.amdhsa_user_sgpr_dispatch_id 0
		.amdhsa_user_sgpr_private_segment_size 0
		.amdhsa_wavefront_size32 1
		.amdhsa_uses_dynamic_stack 0
		.amdhsa_enable_private_segment 1
		.amdhsa_system_sgpr_workgroup_id_x 1
		.amdhsa_system_sgpr_workgroup_id_y 1
		.amdhsa_system_sgpr_workgroup_id_z 0
		.amdhsa_system_sgpr_workgroup_info 0
		.amdhsa_system_vgpr_workitem_id 1
		.amdhsa_next_free_vgpr 256
		.amdhsa_next_free_sgpr 16
		.amdhsa_reserve_vcc 1
		.amdhsa_float_round_mode_32 0
		.amdhsa_float_round_mode_16_64 0
		.amdhsa_float_denorm_mode_32 3
		.amdhsa_float_denorm_mode_16_64 3
		.amdhsa_dx10_clamp 1
		.amdhsa_ieee_mode 1
		.amdhsa_fp16_overflow 0
		.amdhsa_workgroup_processor_mode 1
		.amdhsa_memory_ordered 1
		.amdhsa_forward_progress 0
		.amdhsa_shared_vgpr_count 0
		.amdhsa_exception_fp_ieee_invalid_op 0
		.amdhsa_exception_fp_denorm_src 0
		.amdhsa_exception_fp_ieee_div_zero 0
		.amdhsa_exception_fp_ieee_overflow 0
		.amdhsa_exception_fp_ieee_underflow 0
		.amdhsa_exception_fp_ieee_inexact 0
		.amdhsa_exception_int_div_zero 0
	.end_amdhsa_kernel
	.section	.text._ZN9rocsolver6v33100L23getf2_npvt_small_kernelILi49E19rocblas_complex_numIdEiiPKPS3_EEvT1_T3_lS7_lPT2_S7_S7_,"axG",@progbits,_ZN9rocsolver6v33100L23getf2_npvt_small_kernelILi49E19rocblas_complex_numIdEiiPKPS3_EEvT1_T3_lS7_lPT2_S7_S7_,comdat
.Lfunc_end97:
	.size	_ZN9rocsolver6v33100L23getf2_npvt_small_kernelILi49E19rocblas_complex_numIdEiiPKPS3_EEvT1_T3_lS7_lPT2_S7_S7_, .Lfunc_end97-_ZN9rocsolver6v33100L23getf2_npvt_small_kernelILi49E19rocblas_complex_numIdEiiPKPS3_EEvT1_T3_lS7_lPT2_S7_S7_
                                        ; -- End function
	.section	.AMDGPU.csdata,"",@progbits
; Kernel info:
; codeLenInByte = 132412
; NumSgprs: 18
; NumVgprs: 256
; ScratchSize: 996
; MemoryBound: 1
; FloatMode: 240
; IeeeMode: 1
; LDSByteSize: 0 bytes/workgroup (compile time only)
; SGPRBlocks: 2
; VGPRBlocks: 31
; NumSGPRsForWavesPerEU: 18
; NumVGPRsForWavesPerEU: 256
; Occupancy: 5
; WaveLimiterHint : 1
; COMPUTE_PGM_RSRC2:SCRATCH_EN: 1
; COMPUTE_PGM_RSRC2:USER_SGPR: 14
; COMPUTE_PGM_RSRC2:TRAP_HANDLER: 0
; COMPUTE_PGM_RSRC2:TGID_X_EN: 1
; COMPUTE_PGM_RSRC2:TGID_Y_EN: 1
; COMPUTE_PGM_RSRC2:TGID_Z_EN: 0
; COMPUTE_PGM_RSRC2:TIDIG_COMP_CNT: 1
	.section	.text._ZN9rocsolver6v33100L18getf2_small_kernelILi50E19rocblas_complex_numIdEiiPKPS3_EEvT1_T3_lS7_lPS7_llPT2_S7_S7_S9_l,"axG",@progbits,_ZN9rocsolver6v33100L18getf2_small_kernelILi50E19rocblas_complex_numIdEiiPKPS3_EEvT1_T3_lS7_lPS7_llPT2_S7_S7_S9_l,comdat
	.globl	_ZN9rocsolver6v33100L18getf2_small_kernelILi50E19rocblas_complex_numIdEiiPKPS3_EEvT1_T3_lS7_lPS7_llPT2_S7_S7_S9_l ; -- Begin function _ZN9rocsolver6v33100L18getf2_small_kernelILi50E19rocblas_complex_numIdEiiPKPS3_EEvT1_T3_lS7_lPS7_llPT2_S7_S7_S9_l
	.p2align	8
	.type	_ZN9rocsolver6v33100L18getf2_small_kernelILi50E19rocblas_complex_numIdEiiPKPS3_EEvT1_T3_lS7_lPS7_llPT2_S7_S7_S9_l,@function
_ZN9rocsolver6v33100L18getf2_small_kernelILi50E19rocblas_complex_numIdEiiPKPS3_EEvT1_T3_lS7_lPS7_llPT2_S7_S7_S9_l: ; @_ZN9rocsolver6v33100L18getf2_small_kernelILi50E19rocblas_complex_numIdEiiPKPS3_EEvT1_T3_lS7_lPS7_llPT2_S7_S7_S9_l
; %bb.0:
	s_clause 0x1
	s_load_b32 s2, s[0:1], 0x6c
	s_load_b64 s[12:13], s[0:1], 0x48
	v_bfe_u32 v200, v0, 10, 10
	s_waitcnt lgkmcnt(0)
	s_lshr_b32 s2, s2, 16
	s_delay_alu instid0(VALU_DEP_1) | instid1(SALU_CYCLE_1)
	v_mad_u64_u32 v[204:205], null, s15, s2, v[200:201]
	s_mov_b32 s2, exec_lo
	s_delay_alu instid0(VALU_DEP_1)
	v_cmpx_gt_i32_e64 s12, v204
	s_cbranch_execnz .LBB98_1
; %bb.1054:
	s_getpc_b64 s[16:17]
.Lpost_getpc6:
	s_add_u32 s16, s16, (.LBB98_1053-.Lpost_getpc6)&4294967295
	s_addc_u32 s17, s17, (.LBB98_1053-.Lpost_getpc6)>>32
	s_setpc_b64 s[16:17]
.LBB98_1:
	s_clause 0x1
	s_load_b128 s[4:7], s[0:1], 0x8
	s_load_b128 s[8:11], s[0:1], 0x50
	v_ashrrev_i32_e32 v205, 31, v204
	v_mov_b32_e32 v206, 0
	v_mov_b32_e32 v207, 0
	s_delay_alu instid0(VALU_DEP_3) | instskip(SKIP_1) | instid1(VALU_DEP_1)
	v_lshlrev_b64 v[1:2], 3, v[204:205]
	s_waitcnt lgkmcnt(0)
	v_add_co_u32 v1, vcc_lo, s4, v1
	s_delay_alu instid0(VALU_DEP_2)
	v_add_co_ci_u32_e32 v2, vcc_lo, s5, v2, vcc_lo
	s_cmp_eq_u64 s[8:9], 0
	s_cselect_b32 s4, -1, 0
	global_load_b64 v[1:2], v[1:2], off
	s_and_b32 vcc_lo, exec_lo, s4
	s_cbranch_vccnz .LBB98_3
; %bb.2:
	v_mul_lo_u32 v5, v205, s10
	v_mul_lo_u32 v6, v204, s11
	v_mad_u64_u32 v[3:4], null, v204, s10, 0
	s_delay_alu instid0(VALU_DEP_1) | instskip(NEXT) | instid1(VALU_DEP_1)
	v_add3_u32 v4, v4, v6, v5
	v_lshlrev_b64 v[3:4], 2, v[3:4]
	s_delay_alu instid0(VALU_DEP_1) | instskip(NEXT) | instid1(VALU_DEP_2)
	v_add_co_u32 v206, vcc_lo, s8, v3
	v_add_co_ci_u32_e32 v207, vcc_lo, s9, v4, vcc_lo
.LBB98_3:
	s_clause 0x1
	s_load_b32 s8, s[0:1], 0x18
	s_load_b32 s5, s[0:1], 0x0
	v_and_b32_e32 v215, 0x3ff, v0
	s_lshl_b64 s[2:3], s[6:7], 4
	s_waitcnt vmcnt(0)
	v_add_co_u32 v211, vcc_lo, v1, s2
	v_add_co_ci_u32_e32 v212, vcc_lo, s3, v2, vcc_lo
	v_lshlrev_b32_e32 v203, 4, v215
	s_waitcnt lgkmcnt(0)
	v_add3_u32 v3, s8, s8, v215
	s_ashr_i32 s9, s8, 31
	s_max_i32 s2, s5, 50
	s_lshl_b64 s[10:11], s[8:9], 4
	s_cmp_lt_i32 s5, 2
	v_add_nc_u32_e32 v5, s8, v3
	v_ashrrev_i32_e32 v4, 31, v3
	s_delay_alu instid0(VALU_DEP_2) | instskip(NEXT) | instid1(VALU_DEP_2)
	v_add_nc_u32_e32 v0, s8, v5
	v_lshlrev_b64 v[3:4], 4, v[3:4]
	v_ashrrev_i32_e32 v6, 31, v5
	s_delay_alu instid0(VALU_DEP_3) | instskip(SKIP_1) | instid1(VALU_DEP_4)
	v_add_nc_u32_e32 v2, s8, v0
	v_ashrrev_i32_e32 v1, 31, v0
	v_add_co_u32 v7, vcc_lo, v211, v3
	v_add_co_ci_u32_e32 v8, vcc_lo, v212, v4, vcc_lo
	s_delay_alu instid0(VALU_DEP_4) | instskip(SKIP_3) | instid1(VALU_DEP_4)
	v_add_nc_u32_e32 v4, s8, v2
	v_lshlrev_b64 v[5:6], 4, v[5:6]
	v_ashrrev_i32_e32 v3, 31, v2
	v_lshlrev_b64 v[0:1], 4, v[0:1]
	v_add_nc_u32_e32 v11, s8, v4
	s_delay_alu instid0(VALU_DEP_4) | instskip(SKIP_1) | instid1(VALU_DEP_3)
	v_add_co_u32 v9, vcc_lo, v211, v5
	v_ashrrev_i32_e32 v5, 31, v4
	v_add_nc_u32_e32 v13, s8, v11
	v_lshlrev_b64 v[2:3], 4, v[2:3]
	v_ashrrev_i32_e32 v12, 31, v11
	v_add_co_ci_u32_e32 v10, vcc_lo, v212, v6, vcc_lo
	s_delay_alu instid0(VALU_DEP_4) | instskip(SKIP_3) | instid1(VALU_DEP_4)
	v_add_nc_u32_e32 v15, s8, v13
	v_add_co_u32 v0, vcc_lo, v211, v0
	v_lshlrev_b64 v[4:5], 4, v[4:5]
	v_ashrrev_i32_e32 v14, 31, v13
	v_add_nc_u32_e32 v17, s8, v15
	v_add_co_ci_u32_e32 v1, vcc_lo, v212, v1, vcc_lo
	v_add_co_u32 v2, vcc_lo, v211, v2
	s_delay_alu instid0(VALU_DEP_3) | instskip(SKIP_3) | instid1(VALU_DEP_4)
	v_add_nc_u32_e32 v19, s8, v17
	v_lshlrev_b64 v[11:12], 4, v[11:12]
	v_ashrrev_i32_e32 v16, 31, v15
	v_add_co_ci_u32_e32 v3, vcc_lo, v212, v3, vcc_lo
	v_add_nc_u32_e32 v21, s8, v19
	v_add_co_u32 v4, vcc_lo, v211, v4
	v_lshlrev_b64 v[13:14], 4, v[13:14]
	v_ashrrev_i32_e32 v18, 31, v17
	s_delay_alu instid0(VALU_DEP_4) | instskip(SKIP_2) | instid1(VALU_DEP_3)
	v_add_nc_u32_e32 v23, s8, v21
	v_add_co_ci_u32_e32 v5, vcc_lo, v212, v5, vcc_lo
	v_add_co_u32 v11, vcc_lo, v211, v11
	v_add_nc_u32_e32 v25, s8, v23
	v_lshlrev_b64 v[15:16], 4, v[15:16]
	v_ashrrev_i32_e32 v20, 31, v19
	v_add_co_ci_u32_e32 v12, vcc_lo, v212, v12, vcc_lo
	s_delay_alu instid0(VALU_DEP_4) | instskip(SKIP_3) | instid1(VALU_DEP_4)
	v_add_nc_u32_e32 v27, s8, v25
	v_add_co_u32 v13, vcc_lo, v211, v13
	v_lshlrev_b64 v[17:18], 4, v[17:18]
	v_ashrrev_i32_e32 v22, 31, v21
	v_add_nc_u32_e32 v29, s8, v27
	v_add_co_ci_u32_e32 v14, vcc_lo, v212, v14, vcc_lo
	v_add_co_u32 v15, vcc_lo, v211, v15
	s_delay_alu instid0(VALU_DEP_3) | instskip(SKIP_3) | instid1(VALU_DEP_4)
	v_add_nc_u32_e32 v31, s8, v29
	v_lshlrev_b64 v[19:20], 4, v[19:20]
	v_ashrrev_i32_e32 v24, 31, v23
	v_add_co_ci_u32_e32 v16, vcc_lo, v212, v16, vcc_lo
	v_add_nc_u32_e32 v33, s8, v31
	v_add_co_u32 v17, vcc_lo, v211, v17
	v_lshlrev_b64 v[21:22], 4, v[21:22]
	v_ashrrev_i32_e32 v26, 31, v25
	s_delay_alu instid0(VALU_DEP_4) | instskip(SKIP_2) | instid1(VALU_DEP_3)
	v_add_nc_u32_e32 v35, s8, v33
	v_add_co_ci_u32_e32 v18, vcc_lo, v212, v18, vcc_lo
	v_add_co_u32 v19, vcc_lo, v211, v19
	;; [unrolled: 25-line block ×3, first 2 shown]
	v_add_nc_u32_e32 v49, s8, v47
	v_lshlrev_b64 v[31:32], 4, v[31:32]
	v_ashrrev_i32_e32 v36, 31, v35
	v_add_co_ci_u32_e32 v28, vcc_lo, v212, v28, vcc_lo
	v_add_co_u32 v29, vcc_lo, v211, v29
	v_lshlrev_b64 v[33:34], 4, v[33:34]
	v_ashrrev_i32_e32 v38, 31, v37
	v_add_nc_u32_e32 v51, s8, v49
	v_add_co_ci_u32_e32 v30, vcc_lo, v212, v30, vcc_lo
	v_add_co_u32 v31, vcc_lo, v211, v31
	v_lshlrev_b64 v[35:36], 4, v[35:36]
	v_ashrrev_i32_e32 v40, 31, v39
	v_add_co_ci_u32_e32 v32, vcc_lo, v212, v32, vcc_lo
	v_add_co_u32 v33, vcc_lo, v211, v33
	v_lshlrev_b64 v[37:38], 4, v[37:38]
	v_add_nc_u32_e32 v53, s8, v51
	v_ashrrev_i32_e32 v42, 31, v41
	v_add_co_ci_u32_e32 v34, vcc_lo, v212, v34, vcc_lo
	v_add_co_u32 v35, vcc_lo, v211, v35
	v_lshlrev_b64 v[39:40], 4, v[39:40]
	v_ashrrev_i32_e32 v44, 31, v43
	v_add_co_ci_u32_e32 v36, vcc_lo, v212, v36, vcc_lo
	v_add_nc_u32_e32 v55, s8, v53
	v_add_co_u32 v37, vcc_lo, v211, v37
	v_lshlrev_b64 v[41:42], 4, v[41:42]
	v_ashrrev_i32_e32 v46, 31, v45
	v_add_co_ci_u32_e32 v38, vcc_lo, v212, v38, vcc_lo
	v_add_co_u32 v39, vcc_lo, v211, v39
	v_lshlrev_b64 v[43:44], 4, v[43:44]
	v_ashrrev_i32_e32 v48, 31, v47
	v_add_nc_u32_e32 v57, s8, v55
	v_add_co_ci_u32_e32 v40, vcc_lo, v212, v40, vcc_lo
	v_add_co_u32 v41, vcc_lo, v211, v41
	v_lshlrev_b64 v[45:46], 4, v[45:46]
	v_ashrrev_i32_e32 v50, 31, v49
	v_add_co_ci_u32_e32 v42, vcc_lo, v212, v42, vcc_lo
	v_add_co_u32 v43, vcc_lo, v211, v43
	v_lshlrev_b64 v[47:48], 4, v[47:48]
	v_add_nc_u32_e32 v59, s8, v57
	v_ashrrev_i32_e32 v52, 31, v51
	v_add_co_ci_u32_e32 v44, vcc_lo, v212, v44, vcc_lo
	v_add_co_u32 v45, vcc_lo, v211, v45
	v_lshlrev_b64 v[49:50], 4, v[49:50]
	v_ashrrev_i32_e32 v54, 31, v53
	v_add_co_ci_u32_e32 v46, vcc_lo, v212, v46, vcc_lo
	v_add_nc_u32_e32 v61, s8, v59
	v_add_co_u32 v47, vcc_lo, v211, v47
	;; [unrolled: 23-line block ×3, first 2 shown]
	v_lshlrev_b64 v[61:62], 4, v[61:62]
	v_ashrrev_i32_e32 v66, 31, v65
	v_add_co_ci_u32_e32 v58, vcc_lo, v212, v58, vcc_lo
	v_add_co_u32 v59, vcc_lo, v211, v59
	v_lshlrev_b64 v[63:64], 4, v[63:64]
	v_add_nc_u32_e32 v69, s8, v67
	v_add_co_ci_u32_e32 v60, vcc_lo, v212, v60, vcc_lo
	v_add_co_u32 v61, vcc_lo, v211, v61
	v_lshlrev_b64 v[65:66], 4, v[65:66]
	v_ashrrev_i32_e32 v68, 31, v67
	v_add_co_ci_u32_e32 v62, vcc_lo, v212, v62, vcc_lo
	v_add_co_u32 v63, vcc_lo, v211, v63
	v_ashrrev_i32_e32 v70, 31, v69
	v_add_nc_u32_e32 v71, s8, v69
	v_add_co_ci_u32_e32 v64, vcc_lo, v212, v64, vcc_lo
	v_lshlrev_b64 v[67:68], 4, v[67:68]
	v_add_co_u32 v201, vcc_lo, v211, v65
	v_add_co_ci_u32_e32 v202, vcc_lo, v212, v66, vcc_lo
	v_lshlrev_b64 v[65:66], 4, v[69:70]
	v_ashrrev_i32_e32 v72, 31, v71
	v_add_nc_u32_e32 v69, s8, v71
	v_add_co_u32 v208, vcc_lo, v211, v67
	v_add_co_ci_u32_e32 v209, vcc_lo, v212, v68, vcc_lo
	s_delay_alu instid0(VALU_DEP_4) | instskip(NEXT) | instid1(VALU_DEP_4)
	v_lshlrev_b64 v[67:68], 4, v[71:72]
	v_ashrrev_i32_e32 v70, 31, v69
	v_add_nc_u32_e32 v71, s8, v69
	v_add_co_u32 v213, vcc_lo, v211, v65
	v_add_co_ci_u32_e32 v214, vcc_lo, v212, v66, vcc_lo
	s_delay_alu instid0(VALU_DEP_4) | instskip(NEXT) | instid1(VALU_DEP_4)
	;; [unrolled: 6-line block ×10, first 2 shown]
	v_lshlrev_b64 v[65:66], 4, v[69:70]
	v_add_nc_u32_e32 v69, s8, v71
	v_ashrrev_i32_e32 v72, 31, v71
	v_add_co_u32 v232, vcc_lo, v211, v67
	v_add_co_ci_u32_e32 v233, vcc_lo, v212, v68, vcc_lo
	s_delay_alu instid0(VALU_DEP_4) | instskip(NEXT) | instid1(VALU_DEP_4)
	v_ashrrev_i32_e32 v70, 31, v69
	v_lshlrev_b64 v[67:68], 4, v[71:72]
	v_add_co_u32 v234, vcc_lo, v211, v65
	v_add_co_ci_u32_e32 v235, vcc_lo, v212, v66, vcc_lo
	s_delay_alu instid0(VALU_DEP_4) | instskip(SKIP_3) | instid1(VALU_DEP_4)
	v_lshlrev_b64 v[65:66], 4, v[69:70]
	v_add_nc_u32_e32 v69, s8, v69
	v_add_co_u32 v236, vcc_lo, v211, v67
	v_add_co_ci_u32_e32 v237, vcc_lo, v212, v68, vcc_lo
	v_add_co_u32 v238, vcc_lo, v211, v65
	s_delay_alu instid0(VALU_DEP_4) | instskip(SKIP_3) | instid1(VALU_DEP_4)
	v_ashrrev_i32_e32 v70, 31, v69
	v_add_co_ci_u32_e32 v239, vcc_lo, v212, v66, vcc_lo
	v_add_co_u32 v67, vcc_lo, v211, v203
	v_add_co_ci_u32_e32 v68, vcc_lo, 0, v212, vcc_lo
	v_lshlrev_b64 v[65:66], 4, v[69:70]
	s_delay_alu instid0(VALU_DEP_3) | instskip(NEXT) | instid1(VALU_DEP_3)
	v_add_co_u32 v69, vcc_lo, v67, s10
	v_add_co_ci_u32_e32 v70, vcc_lo, s11, v68, vcc_lo
	s_delay_alu instid0(VALU_DEP_3) | instskip(NEXT) | instid1(VALU_DEP_4)
	v_add_co_u32 v240, vcc_lo, v211, v65
	v_add_co_ci_u32_e32 v241, vcc_lo, v212, v66, vcc_lo
	s_clause 0x1f
	global_load_b128 v[192:195], v[67:68], off
	global_load_b128 v[188:191], v[69:70], off
	;; [unrolled: 1-line block ×32, first 2 shown]
	s_clause 0x11
	global_load_b128 v[68:71], v[61:62], off
	global_load_b128 v[64:67], v[63:64], off
	;; [unrolled: 1-line block ×18, first 2 shown]
	v_mul_lo_u32 v208, s2, v200
	s_delay_alu instid0(VALU_DEP_1) | instskip(SKIP_2) | instid1(VALU_DEP_3)
	v_lshl_add_u32 v210, v208, 4, 0
	v_lshlrev_b32_e32 v214, 4, v208
	v_mov_b32_e32 v208, 0
	v_add_nc_u32_e32 v200, v210, v203
	s_waitcnt vmcnt(49)
	ds_store_2addr_b64 v200, v[192:193], v[194:195] offset1:1
	s_waitcnt vmcnt(0) lgkmcnt(0)
	s_barrier
	buffer_gl0_inv
	ds_load_2addr_b64 v[200:203], v210 offset1:1
	s_cbranch_scc1 .LBB98_6
; %bb.4:
	v_add3_u32 v209, v214, 0, 16
	v_mov_b32_e32 v208, 0
	s_mov_b32 s6, 1
	s_set_inst_prefetch_distance 0x1
	.p2align	6
.LBB98_5:                               ; =>This Inner Loop Header: Depth=1
	ds_load_2addr_b64 v[216:219], v209 offset1:1
	s_waitcnt lgkmcnt(1)
	v_cmp_gt_f64_e32 vcc_lo, 0, v[200:201]
	v_xor_b32_e32 v213, 0x80000000, v201
	v_cmp_gt_f64_e64 s2, 0, v[202:203]
	v_xor_b32_e32 v220, 0x80000000, v203
	v_add_nc_u32_e32 v209, 16, v209
	s_waitcnt lgkmcnt(0)
	v_cmp_gt_f64_e64 s3, 0, v[216:217]
	v_mov_b32_e32 v224, v216
	v_dual_mov_b32 v226, v218 :: v_dual_cndmask_b32 v221, v201, v213
	v_xor_b32_e32 v213, 0x80000000, v217
	v_cndmask_b32_e64 v223, v203, v220, s2
	v_xor_b32_e32 v220, 0x80000000, v219
	v_cndmask_b32_e64 v222, v202, v202, s2
	s_delay_alu instid0(VALU_DEP_4) | instskip(SKIP_1) | instid1(VALU_DEP_1)
	v_cndmask_b32_e64 v225, v217, v213, s3
	v_cmp_gt_f64_e64 s3, 0, v[218:219]
	v_cndmask_b32_e64 v227, v219, v220, s3
	v_cndmask_b32_e32 v220, v200, v200, vcc_lo
	s_delay_alu instid0(VALU_DEP_2) | instskip(NEXT) | instid1(VALU_DEP_2)
	v_add_f64 v[224:225], v[224:225], v[226:227]
	v_add_f64 v[220:221], v[220:221], v[222:223]
	s_delay_alu instid0(VALU_DEP_1)
	v_cmp_lt_f64_e32 vcc_lo, v[220:221], v[224:225]
	v_cndmask_b32_e32 v203, v203, v219, vcc_lo
	v_dual_cndmask_b32 v201, v201, v217 :: v_dual_cndmask_b32 v200, v200, v216
	v_cndmask_b32_e32 v202, v202, v218, vcc_lo
	v_cndmask_b32_e64 v208, v208, s6, vcc_lo
	s_add_i32 s6, s6, 1
	s_delay_alu instid0(SALU_CYCLE_1)
	s_cmp_eq_u32 s5, s6
	s_cbranch_scc0 .LBB98_5
.LBB98_6:
	s_set_inst_prefetch_distance 0x2
	s_waitcnt lgkmcnt(0)
	v_cmp_neq_f64_e32 vcc_lo, 0, v[200:201]
	v_cmp_neq_f64_e64 s2, 0, v[202:203]
	v_mov_b32_e32 v213, 1
	v_mov_b32_e32 v217, 1
	s_delay_alu instid0(VALU_DEP_3) | instskip(NEXT) | instid1(SALU_CYCLE_1)
	s_or_b32 s2, vcc_lo, s2
	s_and_saveexec_b32 s3, s2
	s_cbranch_execz .LBB98_12
; %bb.7:
	v_cmp_gt_f64_e32 vcc_lo, 0, v[200:201]
	v_cmp_gt_f64_e64 s2, 0, v[202:203]
	v_xor_b32_e32 v209, 0x80000000, v201
	v_xor_b32_e32 v213, 0x80000000, v203
                                        ; implicit-def: $sgpr6
                                        ; implicit-def: $sgpr7
	s_delay_alu instid0(VALU_DEP_2) | instskip(NEXT) | instid1(VALU_DEP_2)
	v_dual_cndmask_b32 v217, v201, v209 :: v_dual_cndmask_b32 v216, v200, v200
	v_cndmask_b32_e64 v219, v203, v213, s2
	v_cndmask_b32_e64 v218, v202, v202, s2
	s_mov_b32 s2, exec_lo
	s_delay_alu instid0(VALU_DEP_1)
	v_cmpx_ngt_f64_e32 v[216:217], v[218:219]
	s_xor_b32 s2, exec_lo, s2
	s_cbranch_execz .LBB98_9
; %bb.8:
	v_div_scale_f64 v[216:217], null, v[202:203], v[202:203], v[200:201]
	v_div_scale_f64 v[222:223], vcc_lo, v[200:201], v[202:203], v[200:201]
	s_mov_b32 s7, 2
	s_mov_b32 s6, 0
	s_delay_alu instid0(VALU_DEP_2) | instskip(SKIP_2) | instid1(VALU_DEP_1)
	v_rcp_f64_e32 v[218:219], v[216:217]
	s_waitcnt_depctr 0xfff
	v_fma_f64 v[220:221], -v[216:217], v[218:219], 1.0
	v_fma_f64 v[218:219], v[218:219], v[220:221], v[218:219]
	s_delay_alu instid0(VALU_DEP_1) | instskip(NEXT) | instid1(VALU_DEP_1)
	v_fma_f64 v[220:221], -v[216:217], v[218:219], 1.0
	v_fma_f64 v[218:219], v[218:219], v[220:221], v[218:219]
	s_delay_alu instid0(VALU_DEP_1) | instskip(NEXT) | instid1(VALU_DEP_1)
	v_mul_f64 v[220:221], v[222:223], v[218:219]
	v_fma_f64 v[216:217], -v[216:217], v[220:221], v[222:223]
	s_delay_alu instid0(VALU_DEP_1) | instskip(NEXT) | instid1(VALU_DEP_1)
	v_div_fmas_f64 v[216:217], v[216:217], v[218:219], v[220:221]
	v_div_fixup_f64 v[216:217], v[216:217], v[202:203], v[200:201]
	s_delay_alu instid0(VALU_DEP_1) | instskip(NEXT) | instid1(VALU_DEP_1)
	v_fma_f64 v[200:201], v[200:201], v[216:217], v[202:203]
	v_div_scale_f64 v[202:203], null, v[200:201], v[200:201], 1.0
	s_delay_alu instid0(VALU_DEP_1) | instskip(SKIP_2) | instid1(VALU_DEP_1)
	v_rcp_f64_e32 v[218:219], v[202:203]
	s_waitcnt_depctr 0xfff
	v_fma_f64 v[220:221], -v[202:203], v[218:219], 1.0
	v_fma_f64 v[218:219], v[218:219], v[220:221], v[218:219]
	s_delay_alu instid0(VALU_DEP_1) | instskip(NEXT) | instid1(VALU_DEP_1)
	v_fma_f64 v[220:221], -v[202:203], v[218:219], 1.0
	v_fma_f64 v[218:219], v[218:219], v[220:221], v[218:219]
	v_div_scale_f64 v[220:221], vcc_lo, 1.0, v[200:201], 1.0
	s_delay_alu instid0(VALU_DEP_1) | instskip(NEXT) | instid1(VALU_DEP_1)
	v_mul_f64 v[222:223], v[220:221], v[218:219]
	v_fma_f64 v[202:203], -v[202:203], v[222:223], v[220:221]
	s_delay_alu instid0(VALU_DEP_1) | instskip(NEXT) | instid1(VALU_DEP_1)
	v_div_fmas_f64 v[202:203], v[202:203], v[218:219], v[222:223]
	v_div_fixup_f64 v[202:203], v[202:203], v[200:201], 1.0
	s_delay_alu instid0(VALU_DEP_1)
	v_mul_f64 v[200:201], v[216:217], v[202:203]
	v_xor_b32_e32 v203, 0x80000000, v203
.LBB98_9:
	s_or_saveexec_b32 s2, s2
	v_mov_b32_e32 v217, s6
	v_mov_b32_e32 v213, s7
	s_xor_b32 exec_lo, exec_lo, s2
	s_cbranch_execz .LBB98_11
; %bb.10:
	s_delay_alu instid0(VALU_DEP_4) | instskip(SKIP_2) | instid1(VALU_DEP_3)
	v_div_scale_f64 v[216:217], null, v[200:201], v[200:201], v[202:203]
	v_div_scale_f64 v[222:223], vcc_lo, v[202:203], v[200:201], v[202:203]
	v_mov_b32_e32 v213, 2
	v_rcp_f64_e32 v[218:219], v[216:217]
	s_waitcnt_depctr 0xfff
	v_fma_f64 v[220:221], -v[216:217], v[218:219], 1.0
	s_delay_alu instid0(VALU_DEP_1) | instskip(NEXT) | instid1(VALU_DEP_1)
	v_fma_f64 v[218:219], v[218:219], v[220:221], v[218:219]
	v_fma_f64 v[220:221], -v[216:217], v[218:219], 1.0
	s_delay_alu instid0(VALU_DEP_1) | instskip(NEXT) | instid1(VALU_DEP_1)
	v_fma_f64 v[218:219], v[218:219], v[220:221], v[218:219]
	v_mul_f64 v[220:221], v[222:223], v[218:219]
	s_delay_alu instid0(VALU_DEP_1) | instskip(NEXT) | instid1(VALU_DEP_1)
	v_fma_f64 v[216:217], -v[216:217], v[220:221], v[222:223]
	v_div_fmas_f64 v[216:217], v[216:217], v[218:219], v[220:221]
	s_delay_alu instid0(VALU_DEP_1) | instskip(NEXT) | instid1(VALU_DEP_1)
	v_div_fixup_f64 v[216:217], v[216:217], v[200:201], v[202:203]
	v_fma_f64 v[200:201], v[202:203], v[216:217], v[200:201]
	s_delay_alu instid0(VALU_DEP_1) | instskip(NEXT) | instid1(VALU_DEP_1)
	v_div_scale_f64 v[202:203], null, v[200:201], v[200:201], 1.0
	v_rcp_f64_e32 v[218:219], v[202:203]
	s_waitcnt_depctr 0xfff
	v_fma_f64 v[220:221], -v[202:203], v[218:219], 1.0
	s_delay_alu instid0(VALU_DEP_1) | instskip(NEXT) | instid1(VALU_DEP_1)
	v_fma_f64 v[218:219], v[218:219], v[220:221], v[218:219]
	v_fma_f64 v[220:221], -v[202:203], v[218:219], 1.0
	s_delay_alu instid0(VALU_DEP_1) | instskip(SKIP_1) | instid1(VALU_DEP_1)
	v_fma_f64 v[218:219], v[218:219], v[220:221], v[218:219]
	v_div_scale_f64 v[220:221], vcc_lo, 1.0, v[200:201], 1.0
	v_mul_f64 v[222:223], v[220:221], v[218:219]
	s_delay_alu instid0(VALU_DEP_1) | instskip(NEXT) | instid1(VALU_DEP_1)
	v_fma_f64 v[202:203], -v[202:203], v[222:223], v[220:221]
	v_div_fmas_f64 v[202:203], v[202:203], v[218:219], v[222:223]
	s_delay_alu instid0(VALU_DEP_1) | instskip(NEXT) | instid1(VALU_DEP_1)
	v_div_fixup_f64 v[200:201], v[202:203], v[200:201], 1.0
	v_mul_f64 v[202:203], v[216:217], -v[200:201]
	v_mov_b32_e32 v217, 0
.LBB98_11:
	s_or_b32 exec_lo, exec_lo, s2
.LBB98_12:
	s_delay_alu instid0(SALU_CYCLE_1) | instskip(NEXT) | instid1(SALU_CYCLE_1)
	s_or_b32 exec_lo, exec_lo, s3
	s_mov_b32 s2, exec_lo
	v_cmpx_ne_u32_e64 v215, v208
	s_xor_b32 s2, exec_lo, s2
	s_cbranch_execz .LBB98_18
; %bb.13:
	s_mov_b32 s3, exec_lo
	v_cmpx_eq_u32_e32 0, v215
	s_cbranch_execz .LBB98_17
; %bb.14:
	v_cmp_ne_u32_e32 vcc_lo, 0, v208
	s_xor_b32 s6, s4, -1
	s_delay_alu instid0(SALU_CYCLE_1) | instskip(NEXT) | instid1(SALU_CYCLE_1)
	s_and_b32 s7, s6, vcc_lo
	s_and_saveexec_b32 s6, s7
	s_cbranch_execz .LBB98_16
; %bb.15:
	v_ashrrev_i32_e32 v209, 31, v208
	s_delay_alu instid0(VALU_DEP_1) | instskip(NEXT) | instid1(VALU_DEP_1)
	v_lshlrev_b64 v[215:216], 2, v[208:209]
	v_add_co_u32 v215, vcc_lo, v206, v215
	s_delay_alu instid0(VALU_DEP_2)
	v_add_co_ci_u32_e32 v216, vcc_lo, v207, v216, vcc_lo
	s_clause 0x1
	flat_load_b32 v209, v[215:216]
	flat_load_b32 v218, v[206:207]
	s_waitcnt vmcnt(1) lgkmcnt(1)
	flat_store_b32 v[206:207], v209
	s_waitcnt vmcnt(0) lgkmcnt(1)
	flat_store_b32 v[215:216], v218
.LBB98_16:
	s_or_b32 exec_lo, exec_lo, s6
	v_mov_b32_e32 v215, v208
.LBB98_17:
	s_or_b32 exec_lo, exec_lo, s3
.LBB98_18:
	s_or_saveexec_b32 s2, s2
	s_delay_alu instid0(VALU_DEP_1)
	v_mov_b32_e32 v216, v215
	s_xor_b32 exec_lo, exec_lo, s2
	s_cbranch_execz .LBB98_20
; %bb.19:
	v_mov_b32_e32 v216, 0
	ds_store_2addr_b64 v210, v[188:189], v[190:191] offset0:2 offset1:3
	ds_store_2addr_b64 v210, v[196:197], v[198:199] offset0:4 offset1:5
	;; [unrolled: 1-line block ×49, first 2 shown]
.LBB98_20:
	s_or_b32 exec_lo, exec_lo, s2
	s_delay_alu instid0(SALU_CYCLE_1)
	s_mov_b32 s2, exec_lo
	s_waitcnt lgkmcnt(0)
	s_waitcnt_vscnt null, 0x0
	s_barrier
	buffer_gl0_inv
	v_cmpx_lt_i32_e32 0, v216
	s_cbranch_execz .LBB98_22
; %bb.21:
	v_mul_f64 v[208:209], v[202:203], v[194:195]
	v_mul_f64 v[194:195], v[200:201], v[194:195]
	s_delay_alu instid0(VALU_DEP_2) | instskip(NEXT) | instid1(VALU_DEP_2)
	v_fma_f64 v[208:209], v[200:201], v[192:193], -v[208:209]
	v_fma_f64 v[194:195], v[202:203], v[192:193], v[194:195]
	ds_load_2addr_b64 v[200:203], v210 offset0:2 offset1:3
	s_waitcnt lgkmcnt(0)
	v_mul_f64 v[192:193], v[202:203], v[194:195]
	s_delay_alu instid0(VALU_DEP_1) | instskip(SKIP_1) | instid1(VALU_DEP_2)
	v_fma_f64 v[192:193], v[200:201], v[208:209], -v[192:193]
	v_mul_f64 v[200:201], v[200:201], v[194:195]
	v_add_f64 v[188:189], v[188:189], -v[192:193]
	s_delay_alu instid0(VALU_DEP_2) | instskip(NEXT) | instid1(VALU_DEP_1)
	v_fma_f64 v[200:201], v[202:203], v[208:209], v[200:201]
	v_add_f64 v[190:191], v[190:191], -v[200:201]
	ds_load_2addr_b64 v[200:203], v210 offset0:4 offset1:5
	s_waitcnt lgkmcnt(0)
	v_mul_f64 v[192:193], v[202:203], v[194:195]
	s_delay_alu instid0(VALU_DEP_1) | instskip(SKIP_1) | instid1(VALU_DEP_2)
	v_fma_f64 v[192:193], v[200:201], v[208:209], -v[192:193]
	v_mul_f64 v[200:201], v[200:201], v[194:195]
	v_add_f64 v[196:197], v[196:197], -v[192:193]
	s_delay_alu instid0(VALU_DEP_2) | instskip(NEXT) | instid1(VALU_DEP_1)
	v_fma_f64 v[200:201], v[202:203], v[208:209], v[200:201]
	v_add_f64 v[198:199], v[198:199], -v[200:201]
	;; [unrolled: 10-line block ×48, first 2 shown]
	ds_load_2addr_b64 v[200:203], v210 offset0:98 offset1:99
	s_waitcnt lgkmcnt(0)
	v_mul_f64 v[192:193], v[202:203], v[194:195]
	s_delay_alu instid0(VALU_DEP_1) | instskip(SKIP_1) | instid1(VALU_DEP_2)
	v_fma_f64 v[192:193], v[200:201], v[208:209], -v[192:193]
	v_mul_f64 v[200:201], v[200:201], v[194:195]
	v_add_f64 v[0:1], v[0:1], -v[192:193]
	s_delay_alu instid0(VALU_DEP_2) | instskip(SKIP_1) | instid1(VALU_DEP_2)
	v_fma_f64 v[200:201], v[202:203], v[208:209], v[200:201]
	v_dual_mov_b32 v192, v208 :: v_dual_mov_b32 v193, v209
	v_add_f64 v[2:3], v[2:3], -v[200:201]
.LBB98_22:
	s_or_b32 exec_lo, exec_lo, s2
	v_lshl_add_u32 v200, v216, 4, v210
	s_barrier
	buffer_gl0_inv
	v_mov_b32_e32 v208, 1
	ds_store_2addr_b64 v200, v[188:189], v[190:191] offset1:1
	s_waitcnt lgkmcnt(0)
	s_barrier
	buffer_gl0_inv
	ds_load_2addr_b64 v[200:203], v210 offset0:2 offset1:3
	s_cmp_lt_i32 s5, 3
	s_cbranch_scc1 .LBB98_25
; %bb.23:
	v_add3_u32 v209, v214, 0, 32
	v_mov_b32_e32 v208, 1
	s_mov_b32 s6, 2
	s_set_inst_prefetch_distance 0x1
	.p2align	6
.LBB98_24:                              ; =>This Inner Loop Header: Depth=1
	ds_load_2addr_b64 v[218:221], v209 offset1:1
	s_waitcnt lgkmcnt(1)
	v_cmp_gt_f64_e32 vcc_lo, 0, v[200:201]
	v_xor_b32_e32 v222, 0x80000000, v201
	v_cmp_gt_f64_e64 s2, 0, v[202:203]
	v_xor_b32_e32 v224, 0x80000000, v203
	v_add_nc_u32_e32 v209, 16, v209
	s_waitcnt lgkmcnt(0)
	v_cmp_gt_f64_e64 s3, 0, v[218:219]
	v_mov_b32_e32 v226, v218
	v_dual_mov_b32 v228, v220 :: v_dual_cndmask_b32 v223, v201, v222
	v_xor_b32_e32 v222, 0x80000000, v219
	v_cndmask_b32_e64 v225, v203, v224, s2
	v_xor_b32_e32 v224, 0x80000000, v221
	s_delay_alu instid0(VALU_DEP_3) | instskip(SKIP_2) | instid1(VALU_DEP_2)
	v_cndmask_b32_e64 v227, v219, v222, s3
	v_cmp_gt_f64_e64 s3, 0, v[220:221]
	v_cndmask_b32_e32 v222, v200, v200, vcc_lo
	v_cndmask_b32_e64 v229, v221, v224, s3
	v_cndmask_b32_e64 v224, v202, v202, s2
	s_delay_alu instid0(VALU_DEP_2) | instskip(NEXT) | instid1(VALU_DEP_2)
	v_add_f64 v[226:227], v[226:227], v[228:229]
	v_add_f64 v[222:223], v[222:223], v[224:225]
	s_delay_alu instid0(VALU_DEP_1)
	v_cmp_lt_f64_e32 vcc_lo, v[222:223], v[226:227]
	v_cndmask_b32_e32 v203, v203, v221, vcc_lo
	v_dual_cndmask_b32 v201, v201, v219 :: v_dual_cndmask_b32 v200, v200, v218
	v_cndmask_b32_e32 v202, v202, v220, vcc_lo
	v_cndmask_b32_e64 v208, v208, s6, vcc_lo
	s_add_i32 s6, s6, 1
	s_delay_alu instid0(SALU_CYCLE_1)
	s_cmp_lg_u32 s5, s6
	s_cbranch_scc1 .LBB98_24
.LBB98_25:
	s_set_inst_prefetch_distance 0x2
	s_waitcnt lgkmcnt(0)
	v_cmp_neq_f64_e32 vcc_lo, 0, v[200:201]
	v_cmp_neq_f64_e64 s2, 0, v[202:203]
	s_delay_alu instid0(VALU_DEP_1) | instskip(NEXT) | instid1(SALU_CYCLE_1)
	s_or_b32 s2, vcc_lo, s2
	s_and_saveexec_b32 s3, s2
	s_cbranch_execz .LBB98_31
; %bb.26:
	v_cmp_gt_f64_e32 vcc_lo, 0, v[200:201]
	v_cmp_gt_f64_e64 s2, 0, v[202:203]
	v_xor_b32_e32 v209, 0x80000000, v201
	v_xor_b32_e32 v213, 0x80000000, v203
	s_delay_alu instid0(VALU_DEP_2) | instskip(NEXT) | instid1(VALU_DEP_2)
	v_dual_cndmask_b32 v219, v201, v209 :: v_dual_cndmask_b32 v218, v200, v200
	v_cndmask_b32_e64 v221, v203, v213, s2
	v_cndmask_b32_e64 v220, v202, v202, s2
	s_mov_b32 s2, exec_lo
	s_delay_alu instid0(VALU_DEP_1)
	v_cmpx_ngt_f64_e32 v[218:219], v[220:221]
	s_xor_b32 s2, exec_lo, s2
	s_cbranch_execz .LBB98_28
; %bb.27:
	v_div_scale_f64 v[218:219], null, v[202:203], v[202:203], v[200:201]
	v_div_scale_f64 v[224:225], vcc_lo, v[200:201], v[202:203], v[200:201]
	s_delay_alu instid0(VALU_DEP_2) | instskip(SKIP_2) | instid1(VALU_DEP_1)
	v_rcp_f64_e32 v[220:221], v[218:219]
	s_waitcnt_depctr 0xfff
	v_fma_f64 v[222:223], -v[218:219], v[220:221], 1.0
	v_fma_f64 v[220:221], v[220:221], v[222:223], v[220:221]
	s_delay_alu instid0(VALU_DEP_1) | instskip(NEXT) | instid1(VALU_DEP_1)
	v_fma_f64 v[222:223], -v[218:219], v[220:221], 1.0
	v_fma_f64 v[220:221], v[220:221], v[222:223], v[220:221]
	s_delay_alu instid0(VALU_DEP_1) | instskip(NEXT) | instid1(VALU_DEP_1)
	v_mul_f64 v[222:223], v[224:225], v[220:221]
	v_fma_f64 v[218:219], -v[218:219], v[222:223], v[224:225]
	s_delay_alu instid0(VALU_DEP_1) | instskip(NEXT) | instid1(VALU_DEP_1)
	v_div_fmas_f64 v[218:219], v[218:219], v[220:221], v[222:223]
	v_div_fixup_f64 v[218:219], v[218:219], v[202:203], v[200:201]
	s_delay_alu instid0(VALU_DEP_1) | instskip(NEXT) | instid1(VALU_DEP_1)
	v_fma_f64 v[200:201], v[200:201], v[218:219], v[202:203]
	v_div_scale_f64 v[202:203], null, v[200:201], v[200:201], 1.0
	s_delay_alu instid0(VALU_DEP_1) | instskip(SKIP_2) | instid1(VALU_DEP_1)
	v_rcp_f64_e32 v[220:221], v[202:203]
	s_waitcnt_depctr 0xfff
	v_fma_f64 v[222:223], -v[202:203], v[220:221], 1.0
	v_fma_f64 v[220:221], v[220:221], v[222:223], v[220:221]
	s_delay_alu instid0(VALU_DEP_1) | instskip(NEXT) | instid1(VALU_DEP_1)
	v_fma_f64 v[222:223], -v[202:203], v[220:221], 1.0
	v_fma_f64 v[220:221], v[220:221], v[222:223], v[220:221]
	v_div_scale_f64 v[222:223], vcc_lo, 1.0, v[200:201], 1.0
	s_delay_alu instid0(VALU_DEP_1) | instskip(NEXT) | instid1(VALU_DEP_1)
	v_mul_f64 v[224:225], v[222:223], v[220:221]
	v_fma_f64 v[202:203], -v[202:203], v[224:225], v[222:223]
	s_delay_alu instid0(VALU_DEP_1) | instskip(NEXT) | instid1(VALU_DEP_1)
	v_div_fmas_f64 v[202:203], v[202:203], v[220:221], v[224:225]
	v_div_fixup_f64 v[202:203], v[202:203], v[200:201], 1.0
	s_delay_alu instid0(VALU_DEP_1)
	v_mul_f64 v[200:201], v[218:219], v[202:203]
	v_xor_b32_e32 v203, 0x80000000, v203
.LBB98_28:
	s_and_not1_saveexec_b32 s2, s2
	s_cbranch_execz .LBB98_30
; %bb.29:
	s_delay_alu instid0(VALU_DEP_1) | instskip(SKIP_1) | instid1(VALU_DEP_2)
	v_div_scale_f64 v[218:219], null, v[200:201], v[200:201], v[202:203]
	v_div_scale_f64 v[224:225], vcc_lo, v[202:203], v[200:201], v[202:203]
	v_rcp_f64_e32 v[220:221], v[218:219]
	s_waitcnt_depctr 0xfff
	v_fma_f64 v[222:223], -v[218:219], v[220:221], 1.0
	s_delay_alu instid0(VALU_DEP_1) | instskip(NEXT) | instid1(VALU_DEP_1)
	v_fma_f64 v[220:221], v[220:221], v[222:223], v[220:221]
	v_fma_f64 v[222:223], -v[218:219], v[220:221], 1.0
	s_delay_alu instid0(VALU_DEP_1) | instskip(NEXT) | instid1(VALU_DEP_1)
	v_fma_f64 v[220:221], v[220:221], v[222:223], v[220:221]
	v_mul_f64 v[222:223], v[224:225], v[220:221]
	s_delay_alu instid0(VALU_DEP_1) | instskip(NEXT) | instid1(VALU_DEP_1)
	v_fma_f64 v[218:219], -v[218:219], v[222:223], v[224:225]
	v_div_fmas_f64 v[218:219], v[218:219], v[220:221], v[222:223]
	s_delay_alu instid0(VALU_DEP_1) | instskip(NEXT) | instid1(VALU_DEP_1)
	v_div_fixup_f64 v[218:219], v[218:219], v[200:201], v[202:203]
	v_fma_f64 v[200:201], v[202:203], v[218:219], v[200:201]
	s_delay_alu instid0(VALU_DEP_1) | instskip(NEXT) | instid1(VALU_DEP_1)
	v_div_scale_f64 v[202:203], null, v[200:201], v[200:201], 1.0
	v_rcp_f64_e32 v[220:221], v[202:203]
	s_waitcnt_depctr 0xfff
	v_fma_f64 v[222:223], -v[202:203], v[220:221], 1.0
	s_delay_alu instid0(VALU_DEP_1) | instskip(NEXT) | instid1(VALU_DEP_1)
	v_fma_f64 v[220:221], v[220:221], v[222:223], v[220:221]
	v_fma_f64 v[222:223], -v[202:203], v[220:221], 1.0
	s_delay_alu instid0(VALU_DEP_1) | instskip(SKIP_1) | instid1(VALU_DEP_1)
	v_fma_f64 v[220:221], v[220:221], v[222:223], v[220:221]
	v_div_scale_f64 v[222:223], vcc_lo, 1.0, v[200:201], 1.0
	v_mul_f64 v[224:225], v[222:223], v[220:221]
	s_delay_alu instid0(VALU_DEP_1) | instskip(NEXT) | instid1(VALU_DEP_1)
	v_fma_f64 v[202:203], -v[202:203], v[224:225], v[222:223]
	v_div_fmas_f64 v[202:203], v[202:203], v[220:221], v[224:225]
	s_delay_alu instid0(VALU_DEP_1) | instskip(NEXT) | instid1(VALU_DEP_1)
	v_div_fixup_f64 v[200:201], v[202:203], v[200:201], 1.0
	v_mul_f64 v[202:203], v[218:219], -v[200:201]
.LBB98_30:
	s_or_b32 exec_lo, exec_lo, s2
	v_mov_b32_e32 v213, v217
.LBB98_31:
	s_or_b32 exec_lo, exec_lo, s3
	s_delay_alu instid0(SALU_CYCLE_1)
	s_mov_b32 s2, exec_lo
	v_cmpx_ne_u32_e64 v216, v208
	s_xor_b32 s2, exec_lo, s2
	s_cbranch_execz .LBB98_37
; %bb.32:
	s_mov_b32 s3, exec_lo
	v_cmpx_eq_u32_e32 1, v216
	s_cbranch_execz .LBB98_36
; %bb.33:
	v_cmp_ne_u32_e32 vcc_lo, 1, v208
	s_xor_b32 s6, s4, -1
	s_delay_alu instid0(SALU_CYCLE_1) | instskip(NEXT) | instid1(SALU_CYCLE_1)
	s_and_b32 s7, s6, vcc_lo
	s_and_saveexec_b32 s6, s7
	s_cbranch_execz .LBB98_35
; %bb.34:
	v_ashrrev_i32_e32 v209, 31, v208
	s_delay_alu instid0(VALU_DEP_1) | instskip(NEXT) | instid1(VALU_DEP_1)
	v_lshlrev_b64 v[215:216], 2, v[208:209]
	v_add_co_u32 v215, vcc_lo, v206, v215
	s_delay_alu instid0(VALU_DEP_2)
	v_add_co_ci_u32_e32 v216, vcc_lo, v207, v216, vcc_lo
	s_clause 0x1
	flat_load_b32 v209, v[215:216]
	flat_load_b32 v217, v[206:207] offset:4
	s_waitcnt vmcnt(1) lgkmcnt(1)
	flat_store_b32 v[206:207], v209 offset:4
	s_waitcnt vmcnt(0) lgkmcnt(1)
	flat_store_b32 v[215:216], v217
.LBB98_35:
	s_or_b32 exec_lo, exec_lo, s6
	v_mov_b32_e32 v216, v208
	v_mov_b32_e32 v215, v208
.LBB98_36:
	s_or_b32 exec_lo, exec_lo, s3
.LBB98_37:
	s_and_not1_saveexec_b32 s2, s2
	s_cbranch_execz .LBB98_39
; %bb.38:
	v_mov_b32_e32 v216, 1
	ds_store_2addr_b64 v210, v[196:197], v[198:199] offset0:4 offset1:5
	ds_store_2addr_b64 v210, v[184:185], v[186:187] offset0:6 offset1:7
	;; [unrolled: 1-line block ×48, first 2 shown]
.LBB98_39:
	s_or_b32 exec_lo, exec_lo, s2
	s_delay_alu instid0(SALU_CYCLE_1)
	s_mov_b32 s2, exec_lo
	s_waitcnt lgkmcnt(0)
	s_waitcnt_vscnt null, 0x0
	s_barrier
	buffer_gl0_inv
	v_cmpx_lt_i32_e32 1, v216
	s_cbranch_execz .LBB98_41
; %bb.40:
	v_mul_f64 v[208:209], v[202:203], v[190:191]
	v_mul_f64 v[190:191], v[200:201], v[190:191]
	s_delay_alu instid0(VALU_DEP_2) | instskip(NEXT) | instid1(VALU_DEP_2)
	v_fma_f64 v[208:209], v[200:201], v[188:189], -v[208:209]
	v_fma_f64 v[190:191], v[202:203], v[188:189], v[190:191]
	ds_load_2addr_b64 v[200:203], v210 offset0:4 offset1:5
	s_waitcnt lgkmcnt(0)
	v_mul_f64 v[188:189], v[202:203], v[190:191]
	s_delay_alu instid0(VALU_DEP_1) | instskip(SKIP_1) | instid1(VALU_DEP_2)
	v_fma_f64 v[188:189], v[200:201], v[208:209], -v[188:189]
	v_mul_f64 v[200:201], v[200:201], v[190:191]
	v_add_f64 v[196:197], v[196:197], -v[188:189]
	s_delay_alu instid0(VALU_DEP_2) | instskip(NEXT) | instid1(VALU_DEP_1)
	v_fma_f64 v[200:201], v[202:203], v[208:209], v[200:201]
	v_add_f64 v[198:199], v[198:199], -v[200:201]
	ds_load_2addr_b64 v[200:203], v210 offset0:6 offset1:7
	s_waitcnt lgkmcnt(0)
	v_mul_f64 v[188:189], v[202:203], v[190:191]
	s_delay_alu instid0(VALU_DEP_1) | instskip(SKIP_1) | instid1(VALU_DEP_2)
	v_fma_f64 v[188:189], v[200:201], v[208:209], -v[188:189]
	v_mul_f64 v[200:201], v[200:201], v[190:191]
	v_add_f64 v[184:185], v[184:185], -v[188:189]
	s_delay_alu instid0(VALU_DEP_2) | instskip(NEXT) | instid1(VALU_DEP_1)
	v_fma_f64 v[200:201], v[202:203], v[208:209], v[200:201]
	v_add_f64 v[186:187], v[186:187], -v[200:201]
	;; [unrolled: 10-line block ×47, first 2 shown]
	ds_load_2addr_b64 v[200:203], v210 offset0:98 offset1:99
	s_waitcnt lgkmcnt(0)
	v_mul_f64 v[188:189], v[202:203], v[190:191]
	s_delay_alu instid0(VALU_DEP_1) | instskip(SKIP_1) | instid1(VALU_DEP_2)
	v_fma_f64 v[188:189], v[200:201], v[208:209], -v[188:189]
	v_mul_f64 v[200:201], v[200:201], v[190:191]
	v_add_f64 v[0:1], v[0:1], -v[188:189]
	s_delay_alu instid0(VALU_DEP_2) | instskip(SKIP_1) | instid1(VALU_DEP_2)
	v_fma_f64 v[200:201], v[202:203], v[208:209], v[200:201]
	v_dual_mov_b32 v188, v208 :: v_dual_mov_b32 v189, v209
	v_add_f64 v[2:3], v[2:3], -v[200:201]
.LBB98_41:
	s_or_b32 exec_lo, exec_lo, s2
	v_lshl_add_u32 v200, v216, 4, v210
	s_barrier
	buffer_gl0_inv
	v_mov_b32_e32 v208, 2
	ds_store_2addr_b64 v200, v[196:197], v[198:199] offset1:1
	s_waitcnt lgkmcnt(0)
	s_barrier
	buffer_gl0_inv
	ds_load_2addr_b64 v[200:203], v210 offset0:4 offset1:5
	s_cmp_lt_i32 s5, 4
	s_cbranch_scc1 .LBB98_44
; %bb.42:
	v_add3_u32 v209, v214, 0, 48
	v_mov_b32_e32 v208, 2
	s_mov_b32 s6, 3
	s_set_inst_prefetch_distance 0x1
	.p2align	6
.LBB98_43:                              ; =>This Inner Loop Header: Depth=1
	ds_load_2addr_b64 v[217:220], v209 offset1:1
	s_waitcnt lgkmcnt(1)
	v_cmp_gt_f64_e32 vcc_lo, 0, v[200:201]
	v_xor_b32_e32 v221, 0x80000000, v201
	v_cmp_gt_f64_e64 s2, 0, v[202:203]
	v_xor_b32_e32 v223, 0x80000000, v203
	v_add_nc_u32_e32 v209, 16, v209
	s_waitcnt lgkmcnt(0)
	v_cmp_gt_f64_e64 s3, 0, v[217:218]
	v_mov_b32_e32 v225, v217
	v_dual_mov_b32 v227, v219 :: v_dual_cndmask_b32 v222, v201, v221
	v_xor_b32_e32 v221, 0x80000000, v218
	v_cndmask_b32_e64 v224, v203, v223, s2
	v_xor_b32_e32 v223, 0x80000000, v220
	s_delay_alu instid0(VALU_DEP_3) | instskip(SKIP_2) | instid1(VALU_DEP_2)
	v_cndmask_b32_e64 v226, v218, v221, s3
	v_cmp_gt_f64_e64 s3, 0, v[219:220]
	v_cndmask_b32_e32 v221, v200, v200, vcc_lo
	v_cndmask_b32_e64 v228, v220, v223, s3
	v_cndmask_b32_e64 v223, v202, v202, s2
	s_delay_alu instid0(VALU_DEP_2) | instskip(NEXT) | instid1(VALU_DEP_2)
	v_add_f64 v[225:226], v[225:226], v[227:228]
	v_add_f64 v[221:222], v[221:222], v[223:224]
	s_delay_alu instid0(VALU_DEP_1) | instskip(SKIP_4) | instid1(SALU_CYCLE_1)
	v_cmp_lt_f64_e32 vcc_lo, v[221:222], v[225:226]
	v_dual_cndmask_b32 v202, v202, v219 :: v_dual_cndmask_b32 v201, v201, v218
	v_dual_cndmask_b32 v200, v200, v217 :: v_dual_cndmask_b32 v203, v203, v220
	v_cndmask_b32_e64 v208, v208, s6, vcc_lo
	s_add_i32 s6, s6, 1
	s_cmp_lg_u32 s5, s6
	s_cbranch_scc1 .LBB98_43
.LBB98_44:
	s_set_inst_prefetch_distance 0x2
	s_waitcnt lgkmcnt(0)
	v_cmp_eq_f64_e32 vcc_lo, 0, v[200:201]
	v_cmp_eq_f64_e64 s2, 0, v[202:203]
	s_delay_alu instid0(VALU_DEP_1) | instskip(NEXT) | instid1(SALU_CYCLE_1)
	s_and_b32 s2, vcc_lo, s2
	s_and_saveexec_b32 s3, s2
	s_delay_alu instid0(SALU_CYCLE_1)
	s_xor_b32 s2, exec_lo, s3
; %bb.45:
	v_cmp_ne_u32_e32 vcc_lo, 0, v213
	v_cndmask_b32_e32 v213, 3, v213, vcc_lo
; %bb.46:
	s_and_not1_saveexec_b32 s3, s2
	s_cbranch_execz .LBB98_52
; %bb.47:
	v_cmp_gt_f64_e32 vcc_lo, 0, v[200:201]
	v_cmp_gt_f64_e64 s2, 0, v[202:203]
	v_xor_b32_e32 v209, 0x80000000, v201
	v_xor_b32_e32 v217, 0x80000000, v203
	s_delay_alu instid0(VALU_DEP_2) | instskip(NEXT) | instid1(VALU_DEP_2)
	v_cndmask_b32_e32 v218, v201, v209, vcc_lo
	v_cndmask_b32_e64 v220, v203, v217, s2
	v_cndmask_b32_e32 v217, v200, v200, vcc_lo
	v_cndmask_b32_e64 v219, v202, v202, s2
	s_mov_b32 s2, exec_lo
	s_delay_alu instid0(VALU_DEP_1)
	v_cmpx_ngt_f64_e32 v[217:218], v[219:220]
	s_xor_b32 s2, exec_lo, s2
	s_cbranch_execz .LBB98_49
; %bb.48:
	v_div_scale_f64 v[217:218], null, v[202:203], v[202:203], v[200:201]
	v_div_scale_f64 v[223:224], vcc_lo, v[200:201], v[202:203], v[200:201]
	s_delay_alu instid0(VALU_DEP_2) | instskip(SKIP_2) | instid1(VALU_DEP_1)
	v_rcp_f64_e32 v[219:220], v[217:218]
	s_waitcnt_depctr 0xfff
	v_fma_f64 v[221:222], -v[217:218], v[219:220], 1.0
	v_fma_f64 v[219:220], v[219:220], v[221:222], v[219:220]
	s_delay_alu instid0(VALU_DEP_1) | instskip(NEXT) | instid1(VALU_DEP_1)
	v_fma_f64 v[221:222], -v[217:218], v[219:220], 1.0
	v_fma_f64 v[219:220], v[219:220], v[221:222], v[219:220]
	s_delay_alu instid0(VALU_DEP_1) | instskip(NEXT) | instid1(VALU_DEP_1)
	v_mul_f64 v[221:222], v[223:224], v[219:220]
	v_fma_f64 v[217:218], -v[217:218], v[221:222], v[223:224]
	s_delay_alu instid0(VALU_DEP_1) | instskip(NEXT) | instid1(VALU_DEP_1)
	v_div_fmas_f64 v[217:218], v[217:218], v[219:220], v[221:222]
	v_div_fixup_f64 v[217:218], v[217:218], v[202:203], v[200:201]
	s_delay_alu instid0(VALU_DEP_1) | instskip(NEXT) | instid1(VALU_DEP_1)
	v_fma_f64 v[200:201], v[200:201], v[217:218], v[202:203]
	v_div_scale_f64 v[202:203], null, v[200:201], v[200:201], 1.0
	s_delay_alu instid0(VALU_DEP_1) | instskip(SKIP_2) | instid1(VALU_DEP_1)
	v_rcp_f64_e32 v[219:220], v[202:203]
	s_waitcnt_depctr 0xfff
	v_fma_f64 v[221:222], -v[202:203], v[219:220], 1.0
	v_fma_f64 v[219:220], v[219:220], v[221:222], v[219:220]
	s_delay_alu instid0(VALU_DEP_1) | instskip(NEXT) | instid1(VALU_DEP_1)
	v_fma_f64 v[221:222], -v[202:203], v[219:220], 1.0
	v_fma_f64 v[219:220], v[219:220], v[221:222], v[219:220]
	v_div_scale_f64 v[221:222], vcc_lo, 1.0, v[200:201], 1.0
	s_delay_alu instid0(VALU_DEP_1) | instskip(NEXT) | instid1(VALU_DEP_1)
	v_mul_f64 v[223:224], v[221:222], v[219:220]
	v_fma_f64 v[202:203], -v[202:203], v[223:224], v[221:222]
	s_delay_alu instid0(VALU_DEP_1) | instskip(NEXT) | instid1(VALU_DEP_1)
	v_div_fmas_f64 v[202:203], v[202:203], v[219:220], v[223:224]
	v_div_fixup_f64 v[202:203], v[202:203], v[200:201], 1.0
	s_delay_alu instid0(VALU_DEP_1)
	v_mul_f64 v[200:201], v[217:218], v[202:203]
	v_xor_b32_e32 v203, 0x80000000, v203
.LBB98_49:
	s_and_not1_saveexec_b32 s2, s2
	s_cbranch_execz .LBB98_51
; %bb.50:
	s_delay_alu instid0(VALU_DEP_1) | instskip(SKIP_1) | instid1(VALU_DEP_2)
	v_div_scale_f64 v[217:218], null, v[200:201], v[200:201], v[202:203]
	v_div_scale_f64 v[223:224], vcc_lo, v[202:203], v[200:201], v[202:203]
	v_rcp_f64_e32 v[219:220], v[217:218]
	s_waitcnt_depctr 0xfff
	v_fma_f64 v[221:222], -v[217:218], v[219:220], 1.0
	s_delay_alu instid0(VALU_DEP_1) | instskip(NEXT) | instid1(VALU_DEP_1)
	v_fma_f64 v[219:220], v[219:220], v[221:222], v[219:220]
	v_fma_f64 v[221:222], -v[217:218], v[219:220], 1.0
	s_delay_alu instid0(VALU_DEP_1) | instskip(NEXT) | instid1(VALU_DEP_1)
	v_fma_f64 v[219:220], v[219:220], v[221:222], v[219:220]
	v_mul_f64 v[221:222], v[223:224], v[219:220]
	s_delay_alu instid0(VALU_DEP_1) | instskip(NEXT) | instid1(VALU_DEP_1)
	v_fma_f64 v[217:218], -v[217:218], v[221:222], v[223:224]
	v_div_fmas_f64 v[217:218], v[217:218], v[219:220], v[221:222]
	s_delay_alu instid0(VALU_DEP_1) | instskip(NEXT) | instid1(VALU_DEP_1)
	v_div_fixup_f64 v[217:218], v[217:218], v[200:201], v[202:203]
	v_fma_f64 v[200:201], v[202:203], v[217:218], v[200:201]
	s_delay_alu instid0(VALU_DEP_1) | instskip(NEXT) | instid1(VALU_DEP_1)
	v_div_scale_f64 v[202:203], null, v[200:201], v[200:201], 1.0
	v_rcp_f64_e32 v[219:220], v[202:203]
	s_waitcnt_depctr 0xfff
	v_fma_f64 v[221:222], -v[202:203], v[219:220], 1.0
	s_delay_alu instid0(VALU_DEP_1) | instskip(NEXT) | instid1(VALU_DEP_1)
	v_fma_f64 v[219:220], v[219:220], v[221:222], v[219:220]
	v_fma_f64 v[221:222], -v[202:203], v[219:220], 1.0
	s_delay_alu instid0(VALU_DEP_1) | instskip(SKIP_1) | instid1(VALU_DEP_1)
	v_fma_f64 v[219:220], v[219:220], v[221:222], v[219:220]
	v_div_scale_f64 v[221:222], vcc_lo, 1.0, v[200:201], 1.0
	v_mul_f64 v[223:224], v[221:222], v[219:220]
	s_delay_alu instid0(VALU_DEP_1) | instskip(NEXT) | instid1(VALU_DEP_1)
	v_fma_f64 v[202:203], -v[202:203], v[223:224], v[221:222]
	v_div_fmas_f64 v[202:203], v[202:203], v[219:220], v[223:224]
	s_delay_alu instid0(VALU_DEP_1) | instskip(NEXT) | instid1(VALU_DEP_1)
	v_div_fixup_f64 v[200:201], v[202:203], v[200:201], 1.0
	v_mul_f64 v[202:203], v[217:218], -v[200:201]
.LBB98_51:
	s_or_b32 exec_lo, exec_lo, s2
.LBB98_52:
	s_delay_alu instid0(SALU_CYCLE_1) | instskip(NEXT) | instid1(SALU_CYCLE_1)
	s_or_b32 exec_lo, exec_lo, s3
	s_mov_b32 s2, exec_lo
	v_cmpx_ne_u32_e64 v216, v208
	s_xor_b32 s2, exec_lo, s2
	s_cbranch_execz .LBB98_58
; %bb.53:
	s_mov_b32 s3, exec_lo
	v_cmpx_eq_u32_e32 2, v216
	s_cbranch_execz .LBB98_57
; %bb.54:
	v_cmp_ne_u32_e32 vcc_lo, 2, v208
	s_xor_b32 s6, s4, -1
	s_delay_alu instid0(SALU_CYCLE_1) | instskip(NEXT) | instid1(SALU_CYCLE_1)
	s_and_b32 s7, s6, vcc_lo
	s_and_saveexec_b32 s6, s7
	s_cbranch_execz .LBB98_56
; %bb.55:
	v_ashrrev_i32_e32 v209, 31, v208
	s_delay_alu instid0(VALU_DEP_1) | instskip(NEXT) | instid1(VALU_DEP_1)
	v_lshlrev_b64 v[215:216], 2, v[208:209]
	v_add_co_u32 v215, vcc_lo, v206, v215
	s_delay_alu instid0(VALU_DEP_2)
	v_add_co_ci_u32_e32 v216, vcc_lo, v207, v216, vcc_lo
	s_clause 0x1
	flat_load_b32 v209, v[215:216]
	flat_load_b32 v217, v[206:207] offset:8
	s_waitcnt vmcnt(1) lgkmcnt(1)
	flat_store_b32 v[206:207], v209 offset:8
	s_waitcnt vmcnt(0) lgkmcnt(1)
	flat_store_b32 v[215:216], v217
.LBB98_56:
	s_or_b32 exec_lo, exec_lo, s6
	v_mov_b32_e32 v216, v208
	v_mov_b32_e32 v215, v208
.LBB98_57:
	s_or_b32 exec_lo, exec_lo, s3
.LBB98_58:
	s_and_not1_saveexec_b32 s2, s2
	s_cbranch_execz .LBB98_60
; %bb.59:
	v_mov_b32_e32 v216, 2
	ds_store_2addr_b64 v210, v[184:185], v[186:187] offset0:6 offset1:7
	ds_store_2addr_b64 v210, v[180:181], v[182:183] offset0:8 offset1:9
	;; [unrolled: 1-line block ×47, first 2 shown]
.LBB98_60:
	s_or_b32 exec_lo, exec_lo, s2
	s_delay_alu instid0(SALU_CYCLE_1)
	s_mov_b32 s2, exec_lo
	s_waitcnt lgkmcnt(0)
	s_waitcnt_vscnt null, 0x0
	s_barrier
	buffer_gl0_inv
	v_cmpx_lt_i32_e32 2, v216
	s_cbranch_execz .LBB98_62
; %bb.61:
	v_mul_f64 v[208:209], v[202:203], v[198:199]
	v_mul_f64 v[198:199], v[200:201], v[198:199]
	s_delay_alu instid0(VALU_DEP_2) | instskip(NEXT) | instid1(VALU_DEP_2)
	v_fma_f64 v[208:209], v[200:201], v[196:197], -v[208:209]
	v_fma_f64 v[198:199], v[202:203], v[196:197], v[198:199]
	ds_load_2addr_b64 v[200:203], v210 offset0:6 offset1:7
	s_waitcnt lgkmcnt(0)
	v_mul_f64 v[196:197], v[202:203], v[198:199]
	s_delay_alu instid0(VALU_DEP_1) | instskip(SKIP_1) | instid1(VALU_DEP_2)
	v_fma_f64 v[196:197], v[200:201], v[208:209], -v[196:197]
	v_mul_f64 v[200:201], v[200:201], v[198:199]
	v_add_f64 v[184:185], v[184:185], -v[196:197]
	s_delay_alu instid0(VALU_DEP_2) | instskip(NEXT) | instid1(VALU_DEP_1)
	v_fma_f64 v[200:201], v[202:203], v[208:209], v[200:201]
	v_add_f64 v[186:187], v[186:187], -v[200:201]
	ds_load_2addr_b64 v[200:203], v210 offset0:8 offset1:9
	s_waitcnt lgkmcnt(0)
	v_mul_f64 v[196:197], v[202:203], v[198:199]
	s_delay_alu instid0(VALU_DEP_1) | instskip(SKIP_1) | instid1(VALU_DEP_2)
	v_fma_f64 v[196:197], v[200:201], v[208:209], -v[196:197]
	v_mul_f64 v[200:201], v[200:201], v[198:199]
	v_add_f64 v[180:181], v[180:181], -v[196:197]
	s_delay_alu instid0(VALU_DEP_2) | instskip(NEXT) | instid1(VALU_DEP_1)
	v_fma_f64 v[200:201], v[202:203], v[208:209], v[200:201]
	v_add_f64 v[182:183], v[182:183], -v[200:201]
	;; [unrolled: 10-line block ×46, first 2 shown]
	ds_load_2addr_b64 v[200:203], v210 offset0:98 offset1:99
	s_waitcnt lgkmcnt(0)
	v_mul_f64 v[196:197], v[202:203], v[198:199]
	s_delay_alu instid0(VALU_DEP_1) | instskip(SKIP_1) | instid1(VALU_DEP_2)
	v_fma_f64 v[196:197], v[200:201], v[208:209], -v[196:197]
	v_mul_f64 v[200:201], v[200:201], v[198:199]
	v_add_f64 v[0:1], v[0:1], -v[196:197]
	s_delay_alu instid0(VALU_DEP_2) | instskip(SKIP_1) | instid1(VALU_DEP_2)
	v_fma_f64 v[200:201], v[202:203], v[208:209], v[200:201]
	v_dual_mov_b32 v196, v208 :: v_dual_mov_b32 v197, v209
	v_add_f64 v[2:3], v[2:3], -v[200:201]
.LBB98_62:
	s_or_b32 exec_lo, exec_lo, s2
	v_lshl_add_u32 v200, v216, 4, v210
	s_barrier
	buffer_gl0_inv
	v_mov_b32_e32 v208, 3
	ds_store_2addr_b64 v200, v[184:185], v[186:187] offset1:1
	s_waitcnt lgkmcnt(0)
	s_barrier
	buffer_gl0_inv
	ds_load_2addr_b64 v[200:203], v210 offset0:6 offset1:7
	s_cmp_lt_i32 s5, 5
	s_mov_b32 s6, 4
	s_cbranch_scc1 .LBB98_65
; %bb.63:
	v_add3_u32 v209, v214, 0, 64
	v_mov_b32_e32 v208, 3
	s_set_inst_prefetch_distance 0x1
	.p2align	6
.LBB98_64:                              ; =>This Inner Loop Header: Depth=1
	ds_load_2addr_b64 v[217:220], v209 offset1:1
	s_waitcnt lgkmcnt(1)
	v_cmp_gt_f64_e32 vcc_lo, 0, v[200:201]
	v_xor_b32_e32 v221, 0x80000000, v201
	v_cmp_gt_f64_e64 s2, 0, v[202:203]
	v_xor_b32_e32 v223, 0x80000000, v203
	v_add_nc_u32_e32 v209, 16, v209
	s_waitcnt lgkmcnt(0)
	v_cmp_gt_f64_e64 s3, 0, v[217:218]
	v_mov_b32_e32 v225, v217
	v_dual_mov_b32 v227, v219 :: v_dual_cndmask_b32 v222, v201, v221
	v_xor_b32_e32 v221, 0x80000000, v218
	v_cndmask_b32_e64 v224, v203, v223, s2
	v_xor_b32_e32 v223, 0x80000000, v220
	s_delay_alu instid0(VALU_DEP_3) | instskip(SKIP_2) | instid1(VALU_DEP_2)
	v_cndmask_b32_e64 v226, v218, v221, s3
	v_cmp_gt_f64_e64 s3, 0, v[219:220]
	v_cndmask_b32_e32 v221, v200, v200, vcc_lo
	v_cndmask_b32_e64 v228, v220, v223, s3
	v_cndmask_b32_e64 v223, v202, v202, s2
	s_delay_alu instid0(VALU_DEP_2) | instskip(NEXT) | instid1(VALU_DEP_2)
	v_add_f64 v[225:226], v[225:226], v[227:228]
	v_add_f64 v[221:222], v[221:222], v[223:224]
	s_delay_alu instid0(VALU_DEP_1) | instskip(SKIP_4) | instid1(SALU_CYCLE_1)
	v_cmp_lt_f64_e32 vcc_lo, v[221:222], v[225:226]
	v_dual_cndmask_b32 v202, v202, v219 :: v_dual_cndmask_b32 v201, v201, v218
	v_dual_cndmask_b32 v200, v200, v217 :: v_dual_cndmask_b32 v203, v203, v220
	v_cndmask_b32_e64 v208, v208, s6, vcc_lo
	s_add_i32 s6, s6, 1
	s_cmp_lg_u32 s5, s6
	s_cbranch_scc1 .LBB98_64
.LBB98_65:
	s_set_inst_prefetch_distance 0x2
	s_waitcnt lgkmcnt(0)
	v_cmp_eq_f64_e32 vcc_lo, 0, v[200:201]
	v_cmp_eq_f64_e64 s2, 0, v[202:203]
	s_delay_alu instid0(VALU_DEP_1) | instskip(NEXT) | instid1(SALU_CYCLE_1)
	s_and_b32 s2, vcc_lo, s2
	s_and_saveexec_b32 s3, s2
	s_delay_alu instid0(SALU_CYCLE_1)
	s_xor_b32 s2, exec_lo, s3
; %bb.66:
	v_cmp_ne_u32_e32 vcc_lo, 0, v213
	v_cndmask_b32_e32 v213, 4, v213, vcc_lo
; %bb.67:
	s_and_not1_saveexec_b32 s3, s2
	s_cbranch_execz .LBB98_73
; %bb.68:
	v_cmp_gt_f64_e32 vcc_lo, 0, v[200:201]
	v_cmp_gt_f64_e64 s2, 0, v[202:203]
	v_xor_b32_e32 v209, 0x80000000, v201
	v_xor_b32_e32 v217, 0x80000000, v203
	s_delay_alu instid0(VALU_DEP_2) | instskip(NEXT) | instid1(VALU_DEP_2)
	v_cndmask_b32_e32 v218, v201, v209, vcc_lo
	v_cndmask_b32_e64 v220, v203, v217, s2
	v_cndmask_b32_e32 v217, v200, v200, vcc_lo
	v_cndmask_b32_e64 v219, v202, v202, s2
	s_mov_b32 s2, exec_lo
	s_delay_alu instid0(VALU_DEP_1)
	v_cmpx_ngt_f64_e32 v[217:218], v[219:220]
	s_xor_b32 s2, exec_lo, s2
	s_cbranch_execz .LBB98_70
; %bb.69:
	v_div_scale_f64 v[217:218], null, v[202:203], v[202:203], v[200:201]
	v_div_scale_f64 v[223:224], vcc_lo, v[200:201], v[202:203], v[200:201]
	s_delay_alu instid0(VALU_DEP_2) | instskip(SKIP_2) | instid1(VALU_DEP_1)
	v_rcp_f64_e32 v[219:220], v[217:218]
	s_waitcnt_depctr 0xfff
	v_fma_f64 v[221:222], -v[217:218], v[219:220], 1.0
	v_fma_f64 v[219:220], v[219:220], v[221:222], v[219:220]
	s_delay_alu instid0(VALU_DEP_1) | instskip(NEXT) | instid1(VALU_DEP_1)
	v_fma_f64 v[221:222], -v[217:218], v[219:220], 1.0
	v_fma_f64 v[219:220], v[219:220], v[221:222], v[219:220]
	s_delay_alu instid0(VALU_DEP_1) | instskip(NEXT) | instid1(VALU_DEP_1)
	v_mul_f64 v[221:222], v[223:224], v[219:220]
	v_fma_f64 v[217:218], -v[217:218], v[221:222], v[223:224]
	s_delay_alu instid0(VALU_DEP_1) | instskip(NEXT) | instid1(VALU_DEP_1)
	v_div_fmas_f64 v[217:218], v[217:218], v[219:220], v[221:222]
	v_div_fixup_f64 v[217:218], v[217:218], v[202:203], v[200:201]
	s_delay_alu instid0(VALU_DEP_1) | instskip(NEXT) | instid1(VALU_DEP_1)
	v_fma_f64 v[200:201], v[200:201], v[217:218], v[202:203]
	v_div_scale_f64 v[202:203], null, v[200:201], v[200:201], 1.0
	s_delay_alu instid0(VALU_DEP_1) | instskip(SKIP_2) | instid1(VALU_DEP_1)
	v_rcp_f64_e32 v[219:220], v[202:203]
	s_waitcnt_depctr 0xfff
	v_fma_f64 v[221:222], -v[202:203], v[219:220], 1.0
	v_fma_f64 v[219:220], v[219:220], v[221:222], v[219:220]
	s_delay_alu instid0(VALU_DEP_1) | instskip(NEXT) | instid1(VALU_DEP_1)
	v_fma_f64 v[221:222], -v[202:203], v[219:220], 1.0
	v_fma_f64 v[219:220], v[219:220], v[221:222], v[219:220]
	v_div_scale_f64 v[221:222], vcc_lo, 1.0, v[200:201], 1.0
	s_delay_alu instid0(VALU_DEP_1) | instskip(NEXT) | instid1(VALU_DEP_1)
	v_mul_f64 v[223:224], v[221:222], v[219:220]
	v_fma_f64 v[202:203], -v[202:203], v[223:224], v[221:222]
	s_delay_alu instid0(VALU_DEP_1) | instskip(NEXT) | instid1(VALU_DEP_1)
	v_div_fmas_f64 v[202:203], v[202:203], v[219:220], v[223:224]
	v_div_fixup_f64 v[202:203], v[202:203], v[200:201], 1.0
	s_delay_alu instid0(VALU_DEP_1)
	v_mul_f64 v[200:201], v[217:218], v[202:203]
	v_xor_b32_e32 v203, 0x80000000, v203
.LBB98_70:
	s_and_not1_saveexec_b32 s2, s2
	s_cbranch_execz .LBB98_72
; %bb.71:
	s_delay_alu instid0(VALU_DEP_1) | instskip(SKIP_1) | instid1(VALU_DEP_2)
	v_div_scale_f64 v[217:218], null, v[200:201], v[200:201], v[202:203]
	v_div_scale_f64 v[223:224], vcc_lo, v[202:203], v[200:201], v[202:203]
	v_rcp_f64_e32 v[219:220], v[217:218]
	s_waitcnt_depctr 0xfff
	v_fma_f64 v[221:222], -v[217:218], v[219:220], 1.0
	s_delay_alu instid0(VALU_DEP_1) | instskip(NEXT) | instid1(VALU_DEP_1)
	v_fma_f64 v[219:220], v[219:220], v[221:222], v[219:220]
	v_fma_f64 v[221:222], -v[217:218], v[219:220], 1.0
	s_delay_alu instid0(VALU_DEP_1) | instskip(NEXT) | instid1(VALU_DEP_1)
	v_fma_f64 v[219:220], v[219:220], v[221:222], v[219:220]
	v_mul_f64 v[221:222], v[223:224], v[219:220]
	s_delay_alu instid0(VALU_DEP_1) | instskip(NEXT) | instid1(VALU_DEP_1)
	v_fma_f64 v[217:218], -v[217:218], v[221:222], v[223:224]
	v_div_fmas_f64 v[217:218], v[217:218], v[219:220], v[221:222]
	s_delay_alu instid0(VALU_DEP_1) | instskip(NEXT) | instid1(VALU_DEP_1)
	v_div_fixup_f64 v[217:218], v[217:218], v[200:201], v[202:203]
	v_fma_f64 v[200:201], v[202:203], v[217:218], v[200:201]
	s_delay_alu instid0(VALU_DEP_1) | instskip(NEXT) | instid1(VALU_DEP_1)
	v_div_scale_f64 v[202:203], null, v[200:201], v[200:201], 1.0
	v_rcp_f64_e32 v[219:220], v[202:203]
	s_waitcnt_depctr 0xfff
	v_fma_f64 v[221:222], -v[202:203], v[219:220], 1.0
	s_delay_alu instid0(VALU_DEP_1) | instskip(NEXT) | instid1(VALU_DEP_1)
	v_fma_f64 v[219:220], v[219:220], v[221:222], v[219:220]
	v_fma_f64 v[221:222], -v[202:203], v[219:220], 1.0
	s_delay_alu instid0(VALU_DEP_1) | instskip(SKIP_1) | instid1(VALU_DEP_1)
	v_fma_f64 v[219:220], v[219:220], v[221:222], v[219:220]
	v_div_scale_f64 v[221:222], vcc_lo, 1.0, v[200:201], 1.0
	v_mul_f64 v[223:224], v[221:222], v[219:220]
	s_delay_alu instid0(VALU_DEP_1) | instskip(NEXT) | instid1(VALU_DEP_1)
	v_fma_f64 v[202:203], -v[202:203], v[223:224], v[221:222]
	v_div_fmas_f64 v[202:203], v[202:203], v[219:220], v[223:224]
	s_delay_alu instid0(VALU_DEP_1) | instskip(NEXT) | instid1(VALU_DEP_1)
	v_div_fixup_f64 v[200:201], v[202:203], v[200:201], 1.0
	v_mul_f64 v[202:203], v[217:218], -v[200:201]
.LBB98_72:
	s_or_b32 exec_lo, exec_lo, s2
.LBB98_73:
	s_delay_alu instid0(SALU_CYCLE_1) | instskip(NEXT) | instid1(SALU_CYCLE_1)
	s_or_b32 exec_lo, exec_lo, s3
	s_mov_b32 s2, exec_lo
	v_cmpx_ne_u32_e64 v216, v208
	s_xor_b32 s2, exec_lo, s2
	s_cbranch_execz .LBB98_79
; %bb.74:
	s_mov_b32 s3, exec_lo
	v_cmpx_eq_u32_e32 3, v216
	s_cbranch_execz .LBB98_78
; %bb.75:
	v_cmp_ne_u32_e32 vcc_lo, 3, v208
	s_xor_b32 s6, s4, -1
	s_delay_alu instid0(SALU_CYCLE_1) | instskip(NEXT) | instid1(SALU_CYCLE_1)
	s_and_b32 s7, s6, vcc_lo
	s_and_saveexec_b32 s6, s7
	s_cbranch_execz .LBB98_77
; %bb.76:
	v_ashrrev_i32_e32 v209, 31, v208
	s_delay_alu instid0(VALU_DEP_1) | instskip(NEXT) | instid1(VALU_DEP_1)
	v_lshlrev_b64 v[215:216], 2, v[208:209]
	v_add_co_u32 v215, vcc_lo, v206, v215
	s_delay_alu instid0(VALU_DEP_2)
	v_add_co_ci_u32_e32 v216, vcc_lo, v207, v216, vcc_lo
	s_clause 0x1
	flat_load_b32 v209, v[215:216]
	flat_load_b32 v217, v[206:207] offset:12
	s_waitcnt vmcnt(1) lgkmcnt(1)
	flat_store_b32 v[206:207], v209 offset:12
	s_waitcnt vmcnt(0) lgkmcnt(1)
	flat_store_b32 v[215:216], v217
.LBB98_77:
	s_or_b32 exec_lo, exec_lo, s6
	v_mov_b32_e32 v216, v208
	v_mov_b32_e32 v215, v208
.LBB98_78:
	s_or_b32 exec_lo, exec_lo, s3
.LBB98_79:
	s_and_not1_saveexec_b32 s2, s2
	s_cbranch_execz .LBB98_81
; %bb.80:
	v_mov_b32_e32 v216, 3
	ds_store_2addr_b64 v210, v[180:181], v[182:183] offset0:8 offset1:9
	ds_store_2addr_b64 v210, v[176:177], v[178:179] offset0:10 offset1:11
	;; [unrolled: 1-line block ×46, first 2 shown]
.LBB98_81:
	s_or_b32 exec_lo, exec_lo, s2
	s_delay_alu instid0(SALU_CYCLE_1)
	s_mov_b32 s2, exec_lo
	s_waitcnt lgkmcnt(0)
	s_waitcnt_vscnt null, 0x0
	s_barrier
	buffer_gl0_inv
	v_cmpx_lt_i32_e32 3, v216
	s_cbranch_execz .LBB98_83
; %bb.82:
	v_mul_f64 v[208:209], v[202:203], v[186:187]
	v_mul_f64 v[186:187], v[200:201], v[186:187]
	s_delay_alu instid0(VALU_DEP_2) | instskip(NEXT) | instid1(VALU_DEP_2)
	v_fma_f64 v[208:209], v[200:201], v[184:185], -v[208:209]
	v_fma_f64 v[186:187], v[202:203], v[184:185], v[186:187]
	ds_load_2addr_b64 v[200:203], v210 offset0:8 offset1:9
	s_waitcnt lgkmcnt(0)
	v_mul_f64 v[184:185], v[202:203], v[186:187]
	s_delay_alu instid0(VALU_DEP_1) | instskip(SKIP_1) | instid1(VALU_DEP_2)
	v_fma_f64 v[184:185], v[200:201], v[208:209], -v[184:185]
	v_mul_f64 v[200:201], v[200:201], v[186:187]
	v_add_f64 v[180:181], v[180:181], -v[184:185]
	s_delay_alu instid0(VALU_DEP_2) | instskip(NEXT) | instid1(VALU_DEP_1)
	v_fma_f64 v[200:201], v[202:203], v[208:209], v[200:201]
	v_add_f64 v[182:183], v[182:183], -v[200:201]
	ds_load_2addr_b64 v[200:203], v210 offset0:10 offset1:11
	s_waitcnt lgkmcnt(0)
	v_mul_f64 v[184:185], v[202:203], v[186:187]
	s_delay_alu instid0(VALU_DEP_1) | instskip(SKIP_1) | instid1(VALU_DEP_2)
	v_fma_f64 v[184:185], v[200:201], v[208:209], -v[184:185]
	v_mul_f64 v[200:201], v[200:201], v[186:187]
	v_add_f64 v[176:177], v[176:177], -v[184:185]
	s_delay_alu instid0(VALU_DEP_2) | instskip(NEXT) | instid1(VALU_DEP_1)
	v_fma_f64 v[200:201], v[202:203], v[208:209], v[200:201]
	v_add_f64 v[178:179], v[178:179], -v[200:201]
	;; [unrolled: 10-line block ×45, first 2 shown]
	ds_load_2addr_b64 v[200:203], v210 offset0:98 offset1:99
	s_waitcnt lgkmcnt(0)
	v_mul_f64 v[184:185], v[202:203], v[186:187]
	s_delay_alu instid0(VALU_DEP_1) | instskip(SKIP_1) | instid1(VALU_DEP_2)
	v_fma_f64 v[184:185], v[200:201], v[208:209], -v[184:185]
	v_mul_f64 v[200:201], v[200:201], v[186:187]
	v_add_f64 v[0:1], v[0:1], -v[184:185]
	s_delay_alu instid0(VALU_DEP_2) | instskip(SKIP_1) | instid1(VALU_DEP_2)
	v_fma_f64 v[200:201], v[202:203], v[208:209], v[200:201]
	v_dual_mov_b32 v184, v208 :: v_dual_mov_b32 v185, v209
	v_add_f64 v[2:3], v[2:3], -v[200:201]
.LBB98_83:
	s_or_b32 exec_lo, exec_lo, s2
	v_lshl_add_u32 v200, v216, 4, v210
	s_barrier
	buffer_gl0_inv
	v_mov_b32_e32 v208, 4
	ds_store_2addr_b64 v200, v[180:181], v[182:183] offset1:1
	s_waitcnt lgkmcnt(0)
	s_barrier
	buffer_gl0_inv
	ds_load_2addr_b64 v[200:203], v210 offset0:8 offset1:9
	s_cmp_lt_i32 s5, 6
	s_cbranch_scc1 .LBB98_86
; %bb.84:
	v_add3_u32 v209, v214, 0, 0x50
	v_mov_b32_e32 v208, 4
	s_mov_b32 s6, 5
	s_set_inst_prefetch_distance 0x1
	.p2align	6
.LBB98_85:                              ; =>This Inner Loop Header: Depth=1
	ds_load_2addr_b64 v[217:220], v209 offset1:1
	s_waitcnt lgkmcnt(1)
	v_cmp_gt_f64_e32 vcc_lo, 0, v[200:201]
	v_xor_b32_e32 v221, 0x80000000, v201
	v_cmp_gt_f64_e64 s2, 0, v[202:203]
	v_xor_b32_e32 v223, 0x80000000, v203
	v_add_nc_u32_e32 v209, 16, v209
	s_waitcnt lgkmcnt(0)
	v_cmp_gt_f64_e64 s3, 0, v[217:218]
	v_mov_b32_e32 v225, v217
	v_dual_mov_b32 v227, v219 :: v_dual_cndmask_b32 v222, v201, v221
	v_xor_b32_e32 v221, 0x80000000, v218
	v_cndmask_b32_e64 v224, v203, v223, s2
	v_xor_b32_e32 v223, 0x80000000, v220
	s_delay_alu instid0(VALU_DEP_3) | instskip(SKIP_2) | instid1(VALU_DEP_2)
	v_cndmask_b32_e64 v226, v218, v221, s3
	v_cmp_gt_f64_e64 s3, 0, v[219:220]
	v_cndmask_b32_e32 v221, v200, v200, vcc_lo
	v_cndmask_b32_e64 v228, v220, v223, s3
	v_cndmask_b32_e64 v223, v202, v202, s2
	s_delay_alu instid0(VALU_DEP_2) | instskip(NEXT) | instid1(VALU_DEP_2)
	v_add_f64 v[225:226], v[225:226], v[227:228]
	v_add_f64 v[221:222], v[221:222], v[223:224]
	s_delay_alu instid0(VALU_DEP_1) | instskip(SKIP_4) | instid1(SALU_CYCLE_1)
	v_cmp_lt_f64_e32 vcc_lo, v[221:222], v[225:226]
	v_dual_cndmask_b32 v202, v202, v219 :: v_dual_cndmask_b32 v201, v201, v218
	v_dual_cndmask_b32 v200, v200, v217 :: v_dual_cndmask_b32 v203, v203, v220
	v_cndmask_b32_e64 v208, v208, s6, vcc_lo
	s_add_i32 s6, s6, 1
	s_cmp_lg_u32 s5, s6
	s_cbranch_scc1 .LBB98_85
.LBB98_86:
	s_set_inst_prefetch_distance 0x2
	s_waitcnt lgkmcnt(0)
	v_cmp_eq_f64_e32 vcc_lo, 0, v[200:201]
	v_cmp_eq_f64_e64 s2, 0, v[202:203]
	s_delay_alu instid0(VALU_DEP_1) | instskip(NEXT) | instid1(SALU_CYCLE_1)
	s_and_b32 s2, vcc_lo, s2
	s_and_saveexec_b32 s3, s2
	s_delay_alu instid0(SALU_CYCLE_1)
	s_xor_b32 s2, exec_lo, s3
; %bb.87:
	v_cmp_ne_u32_e32 vcc_lo, 0, v213
	v_cndmask_b32_e32 v213, 5, v213, vcc_lo
; %bb.88:
	s_and_not1_saveexec_b32 s3, s2
	s_cbranch_execz .LBB98_94
; %bb.89:
	v_cmp_gt_f64_e32 vcc_lo, 0, v[200:201]
	v_cmp_gt_f64_e64 s2, 0, v[202:203]
	v_xor_b32_e32 v209, 0x80000000, v201
	v_xor_b32_e32 v217, 0x80000000, v203
	s_delay_alu instid0(VALU_DEP_2) | instskip(NEXT) | instid1(VALU_DEP_2)
	v_cndmask_b32_e32 v218, v201, v209, vcc_lo
	v_cndmask_b32_e64 v220, v203, v217, s2
	v_cndmask_b32_e32 v217, v200, v200, vcc_lo
	v_cndmask_b32_e64 v219, v202, v202, s2
	s_mov_b32 s2, exec_lo
	s_delay_alu instid0(VALU_DEP_1)
	v_cmpx_ngt_f64_e32 v[217:218], v[219:220]
	s_xor_b32 s2, exec_lo, s2
	s_cbranch_execz .LBB98_91
; %bb.90:
	v_div_scale_f64 v[217:218], null, v[202:203], v[202:203], v[200:201]
	v_div_scale_f64 v[223:224], vcc_lo, v[200:201], v[202:203], v[200:201]
	s_delay_alu instid0(VALU_DEP_2) | instskip(SKIP_2) | instid1(VALU_DEP_1)
	v_rcp_f64_e32 v[219:220], v[217:218]
	s_waitcnt_depctr 0xfff
	v_fma_f64 v[221:222], -v[217:218], v[219:220], 1.0
	v_fma_f64 v[219:220], v[219:220], v[221:222], v[219:220]
	s_delay_alu instid0(VALU_DEP_1) | instskip(NEXT) | instid1(VALU_DEP_1)
	v_fma_f64 v[221:222], -v[217:218], v[219:220], 1.0
	v_fma_f64 v[219:220], v[219:220], v[221:222], v[219:220]
	s_delay_alu instid0(VALU_DEP_1) | instskip(NEXT) | instid1(VALU_DEP_1)
	v_mul_f64 v[221:222], v[223:224], v[219:220]
	v_fma_f64 v[217:218], -v[217:218], v[221:222], v[223:224]
	s_delay_alu instid0(VALU_DEP_1) | instskip(NEXT) | instid1(VALU_DEP_1)
	v_div_fmas_f64 v[217:218], v[217:218], v[219:220], v[221:222]
	v_div_fixup_f64 v[217:218], v[217:218], v[202:203], v[200:201]
	s_delay_alu instid0(VALU_DEP_1) | instskip(NEXT) | instid1(VALU_DEP_1)
	v_fma_f64 v[200:201], v[200:201], v[217:218], v[202:203]
	v_div_scale_f64 v[202:203], null, v[200:201], v[200:201], 1.0
	s_delay_alu instid0(VALU_DEP_1) | instskip(SKIP_2) | instid1(VALU_DEP_1)
	v_rcp_f64_e32 v[219:220], v[202:203]
	s_waitcnt_depctr 0xfff
	v_fma_f64 v[221:222], -v[202:203], v[219:220], 1.0
	v_fma_f64 v[219:220], v[219:220], v[221:222], v[219:220]
	s_delay_alu instid0(VALU_DEP_1) | instskip(NEXT) | instid1(VALU_DEP_1)
	v_fma_f64 v[221:222], -v[202:203], v[219:220], 1.0
	v_fma_f64 v[219:220], v[219:220], v[221:222], v[219:220]
	v_div_scale_f64 v[221:222], vcc_lo, 1.0, v[200:201], 1.0
	s_delay_alu instid0(VALU_DEP_1) | instskip(NEXT) | instid1(VALU_DEP_1)
	v_mul_f64 v[223:224], v[221:222], v[219:220]
	v_fma_f64 v[202:203], -v[202:203], v[223:224], v[221:222]
	s_delay_alu instid0(VALU_DEP_1) | instskip(NEXT) | instid1(VALU_DEP_1)
	v_div_fmas_f64 v[202:203], v[202:203], v[219:220], v[223:224]
	v_div_fixup_f64 v[202:203], v[202:203], v[200:201], 1.0
	s_delay_alu instid0(VALU_DEP_1)
	v_mul_f64 v[200:201], v[217:218], v[202:203]
	v_xor_b32_e32 v203, 0x80000000, v203
.LBB98_91:
	s_and_not1_saveexec_b32 s2, s2
	s_cbranch_execz .LBB98_93
; %bb.92:
	s_delay_alu instid0(VALU_DEP_1) | instskip(SKIP_1) | instid1(VALU_DEP_2)
	v_div_scale_f64 v[217:218], null, v[200:201], v[200:201], v[202:203]
	v_div_scale_f64 v[223:224], vcc_lo, v[202:203], v[200:201], v[202:203]
	v_rcp_f64_e32 v[219:220], v[217:218]
	s_waitcnt_depctr 0xfff
	v_fma_f64 v[221:222], -v[217:218], v[219:220], 1.0
	s_delay_alu instid0(VALU_DEP_1) | instskip(NEXT) | instid1(VALU_DEP_1)
	v_fma_f64 v[219:220], v[219:220], v[221:222], v[219:220]
	v_fma_f64 v[221:222], -v[217:218], v[219:220], 1.0
	s_delay_alu instid0(VALU_DEP_1) | instskip(NEXT) | instid1(VALU_DEP_1)
	v_fma_f64 v[219:220], v[219:220], v[221:222], v[219:220]
	v_mul_f64 v[221:222], v[223:224], v[219:220]
	s_delay_alu instid0(VALU_DEP_1) | instskip(NEXT) | instid1(VALU_DEP_1)
	v_fma_f64 v[217:218], -v[217:218], v[221:222], v[223:224]
	v_div_fmas_f64 v[217:218], v[217:218], v[219:220], v[221:222]
	s_delay_alu instid0(VALU_DEP_1) | instskip(NEXT) | instid1(VALU_DEP_1)
	v_div_fixup_f64 v[217:218], v[217:218], v[200:201], v[202:203]
	v_fma_f64 v[200:201], v[202:203], v[217:218], v[200:201]
	s_delay_alu instid0(VALU_DEP_1) | instskip(NEXT) | instid1(VALU_DEP_1)
	v_div_scale_f64 v[202:203], null, v[200:201], v[200:201], 1.0
	v_rcp_f64_e32 v[219:220], v[202:203]
	s_waitcnt_depctr 0xfff
	v_fma_f64 v[221:222], -v[202:203], v[219:220], 1.0
	s_delay_alu instid0(VALU_DEP_1) | instskip(NEXT) | instid1(VALU_DEP_1)
	v_fma_f64 v[219:220], v[219:220], v[221:222], v[219:220]
	v_fma_f64 v[221:222], -v[202:203], v[219:220], 1.0
	s_delay_alu instid0(VALU_DEP_1) | instskip(SKIP_1) | instid1(VALU_DEP_1)
	v_fma_f64 v[219:220], v[219:220], v[221:222], v[219:220]
	v_div_scale_f64 v[221:222], vcc_lo, 1.0, v[200:201], 1.0
	v_mul_f64 v[223:224], v[221:222], v[219:220]
	s_delay_alu instid0(VALU_DEP_1) | instskip(NEXT) | instid1(VALU_DEP_1)
	v_fma_f64 v[202:203], -v[202:203], v[223:224], v[221:222]
	v_div_fmas_f64 v[202:203], v[202:203], v[219:220], v[223:224]
	s_delay_alu instid0(VALU_DEP_1) | instskip(NEXT) | instid1(VALU_DEP_1)
	v_div_fixup_f64 v[200:201], v[202:203], v[200:201], 1.0
	v_mul_f64 v[202:203], v[217:218], -v[200:201]
.LBB98_93:
	s_or_b32 exec_lo, exec_lo, s2
.LBB98_94:
	s_delay_alu instid0(SALU_CYCLE_1) | instskip(NEXT) | instid1(SALU_CYCLE_1)
	s_or_b32 exec_lo, exec_lo, s3
	s_mov_b32 s2, exec_lo
	v_cmpx_ne_u32_e64 v216, v208
	s_xor_b32 s2, exec_lo, s2
	s_cbranch_execz .LBB98_100
; %bb.95:
	s_mov_b32 s3, exec_lo
	v_cmpx_eq_u32_e32 4, v216
	s_cbranch_execz .LBB98_99
; %bb.96:
	v_cmp_ne_u32_e32 vcc_lo, 4, v208
	s_xor_b32 s6, s4, -1
	s_delay_alu instid0(SALU_CYCLE_1) | instskip(NEXT) | instid1(SALU_CYCLE_1)
	s_and_b32 s7, s6, vcc_lo
	s_and_saveexec_b32 s6, s7
	s_cbranch_execz .LBB98_98
; %bb.97:
	v_ashrrev_i32_e32 v209, 31, v208
	s_delay_alu instid0(VALU_DEP_1) | instskip(NEXT) | instid1(VALU_DEP_1)
	v_lshlrev_b64 v[215:216], 2, v[208:209]
	v_add_co_u32 v215, vcc_lo, v206, v215
	s_delay_alu instid0(VALU_DEP_2)
	v_add_co_ci_u32_e32 v216, vcc_lo, v207, v216, vcc_lo
	s_clause 0x1
	flat_load_b32 v209, v[215:216]
	flat_load_b32 v217, v[206:207] offset:16
	s_waitcnt vmcnt(1) lgkmcnt(1)
	flat_store_b32 v[206:207], v209 offset:16
	s_waitcnt vmcnt(0) lgkmcnt(1)
	flat_store_b32 v[215:216], v217
.LBB98_98:
	s_or_b32 exec_lo, exec_lo, s6
	v_mov_b32_e32 v216, v208
	v_mov_b32_e32 v215, v208
.LBB98_99:
	s_or_b32 exec_lo, exec_lo, s3
.LBB98_100:
	s_and_not1_saveexec_b32 s2, s2
	s_cbranch_execz .LBB98_102
; %bb.101:
	v_mov_b32_e32 v216, 4
	ds_store_2addr_b64 v210, v[176:177], v[178:179] offset0:10 offset1:11
	ds_store_2addr_b64 v210, v[172:173], v[174:175] offset0:12 offset1:13
	;; [unrolled: 1-line block ×45, first 2 shown]
.LBB98_102:
	s_or_b32 exec_lo, exec_lo, s2
	s_delay_alu instid0(SALU_CYCLE_1)
	s_mov_b32 s2, exec_lo
	s_waitcnt lgkmcnt(0)
	s_waitcnt_vscnt null, 0x0
	s_barrier
	buffer_gl0_inv
	v_cmpx_lt_i32_e32 4, v216
	s_cbranch_execz .LBB98_104
; %bb.103:
	v_mul_f64 v[208:209], v[202:203], v[182:183]
	v_mul_f64 v[182:183], v[200:201], v[182:183]
	s_delay_alu instid0(VALU_DEP_2) | instskip(NEXT) | instid1(VALU_DEP_2)
	v_fma_f64 v[208:209], v[200:201], v[180:181], -v[208:209]
	v_fma_f64 v[182:183], v[202:203], v[180:181], v[182:183]
	ds_load_2addr_b64 v[200:203], v210 offset0:10 offset1:11
	s_waitcnt lgkmcnt(0)
	v_mul_f64 v[180:181], v[202:203], v[182:183]
	s_delay_alu instid0(VALU_DEP_1) | instskip(SKIP_1) | instid1(VALU_DEP_2)
	v_fma_f64 v[180:181], v[200:201], v[208:209], -v[180:181]
	v_mul_f64 v[200:201], v[200:201], v[182:183]
	v_add_f64 v[176:177], v[176:177], -v[180:181]
	s_delay_alu instid0(VALU_DEP_2) | instskip(NEXT) | instid1(VALU_DEP_1)
	v_fma_f64 v[200:201], v[202:203], v[208:209], v[200:201]
	v_add_f64 v[178:179], v[178:179], -v[200:201]
	ds_load_2addr_b64 v[200:203], v210 offset0:12 offset1:13
	s_waitcnt lgkmcnt(0)
	v_mul_f64 v[180:181], v[202:203], v[182:183]
	s_delay_alu instid0(VALU_DEP_1) | instskip(SKIP_1) | instid1(VALU_DEP_2)
	v_fma_f64 v[180:181], v[200:201], v[208:209], -v[180:181]
	v_mul_f64 v[200:201], v[200:201], v[182:183]
	v_add_f64 v[172:173], v[172:173], -v[180:181]
	s_delay_alu instid0(VALU_DEP_2) | instskip(NEXT) | instid1(VALU_DEP_1)
	v_fma_f64 v[200:201], v[202:203], v[208:209], v[200:201]
	v_add_f64 v[174:175], v[174:175], -v[200:201]
	;; [unrolled: 10-line block ×44, first 2 shown]
	ds_load_2addr_b64 v[200:203], v210 offset0:98 offset1:99
	s_waitcnt lgkmcnt(0)
	v_mul_f64 v[180:181], v[202:203], v[182:183]
	s_delay_alu instid0(VALU_DEP_1) | instskip(SKIP_1) | instid1(VALU_DEP_2)
	v_fma_f64 v[180:181], v[200:201], v[208:209], -v[180:181]
	v_mul_f64 v[200:201], v[200:201], v[182:183]
	v_add_f64 v[0:1], v[0:1], -v[180:181]
	s_delay_alu instid0(VALU_DEP_2) | instskip(SKIP_1) | instid1(VALU_DEP_2)
	v_fma_f64 v[200:201], v[202:203], v[208:209], v[200:201]
	v_dual_mov_b32 v180, v208 :: v_dual_mov_b32 v181, v209
	v_add_f64 v[2:3], v[2:3], -v[200:201]
.LBB98_104:
	s_or_b32 exec_lo, exec_lo, s2
	v_lshl_add_u32 v200, v216, 4, v210
	s_barrier
	buffer_gl0_inv
	v_mov_b32_e32 v208, 5
	ds_store_2addr_b64 v200, v[176:177], v[178:179] offset1:1
	s_waitcnt lgkmcnt(0)
	s_barrier
	buffer_gl0_inv
	ds_load_2addr_b64 v[200:203], v210 offset0:10 offset1:11
	s_cmp_lt_i32 s5, 7
	s_cbranch_scc1 .LBB98_107
; %bb.105:
	v_add3_u32 v209, v214, 0, 0x60
	v_mov_b32_e32 v208, 5
	s_mov_b32 s6, 6
	s_set_inst_prefetch_distance 0x1
	.p2align	6
.LBB98_106:                             ; =>This Inner Loop Header: Depth=1
	ds_load_2addr_b64 v[217:220], v209 offset1:1
	s_waitcnt lgkmcnt(1)
	v_cmp_gt_f64_e32 vcc_lo, 0, v[200:201]
	v_xor_b32_e32 v221, 0x80000000, v201
	v_cmp_gt_f64_e64 s2, 0, v[202:203]
	v_xor_b32_e32 v223, 0x80000000, v203
	v_add_nc_u32_e32 v209, 16, v209
	s_waitcnt lgkmcnt(0)
	v_cmp_gt_f64_e64 s3, 0, v[217:218]
	v_mov_b32_e32 v225, v217
	v_dual_mov_b32 v227, v219 :: v_dual_cndmask_b32 v222, v201, v221
	v_xor_b32_e32 v221, 0x80000000, v218
	v_cndmask_b32_e64 v224, v203, v223, s2
	v_xor_b32_e32 v223, 0x80000000, v220
	s_delay_alu instid0(VALU_DEP_3) | instskip(SKIP_2) | instid1(VALU_DEP_2)
	v_cndmask_b32_e64 v226, v218, v221, s3
	v_cmp_gt_f64_e64 s3, 0, v[219:220]
	v_cndmask_b32_e32 v221, v200, v200, vcc_lo
	v_cndmask_b32_e64 v228, v220, v223, s3
	v_cndmask_b32_e64 v223, v202, v202, s2
	s_delay_alu instid0(VALU_DEP_2) | instskip(NEXT) | instid1(VALU_DEP_2)
	v_add_f64 v[225:226], v[225:226], v[227:228]
	v_add_f64 v[221:222], v[221:222], v[223:224]
	s_delay_alu instid0(VALU_DEP_1) | instskip(SKIP_4) | instid1(SALU_CYCLE_1)
	v_cmp_lt_f64_e32 vcc_lo, v[221:222], v[225:226]
	v_dual_cndmask_b32 v202, v202, v219 :: v_dual_cndmask_b32 v201, v201, v218
	v_dual_cndmask_b32 v200, v200, v217 :: v_dual_cndmask_b32 v203, v203, v220
	v_cndmask_b32_e64 v208, v208, s6, vcc_lo
	s_add_i32 s6, s6, 1
	s_cmp_lg_u32 s5, s6
	s_cbranch_scc1 .LBB98_106
.LBB98_107:
	s_set_inst_prefetch_distance 0x2
	s_waitcnt lgkmcnt(0)
	v_cmp_eq_f64_e32 vcc_lo, 0, v[200:201]
	v_cmp_eq_f64_e64 s2, 0, v[202:203]
	s_delay_alu instid0(VALU_DEP_1) | instskip(NEXT) | instid1(SALU_CYCLE_1)
	s_and_b32 s2, vcc_lo, s2
	s_and_saveexec_b32 s3, s2
	s_delay_alu instid0(SALU_CYCLE_1)
	s_xor_b32 s2, exec_lo, s3
; %bb.108:
	v_cmp_ne_u32_e32 vcc_lo, 0, v213
	v_cndmask_b32_e32 v213, 6, v213, vcc_lo
; %bb.109:
	s_and_not1_saveexec_b32 s3, s2
	s_cbranch_execz .LBB98_115
; %bb.110:
	v_cmp_gt_f64_e32 vcc_lo, 0, v[200:201]
	v_cmp_gt_f64_e64 s2, 0, v[202:203]
	v_xor_b32_e32 v209, 0x80000000, v201
	v_xor_b32_e32 v217, 0x80000000, v203
	s_delay_alu instid0(VALU_DEP_2) | instskip(NEXT) | instid1(VALU_DEP_2)
	v_cndmask_b32_e32 v218, v201, v209, vcc_lo
	v_cndmask_b32_e64 v220, v203, v217, s2
	v_cndmask_b32_e32 v217, v200, v200, vcc_lo
	v_cndmask_b32_e64 v219, v202, v202, s2
	s_mov_b32 s2, exec_lo
	s_delay_alu instid0(VALU_DEP_1)
	v_cmpx_ngt_f64_e32 v[217:218], v[219:220]
	s_xor_b32 s2, exec_lo, s2
	s_cbranch_execz .LBB98_112
; %bb.111:
	v_div_scale_f64 v[217:218], null, v[202:203], v[202:203], v[200:201]
	v_div_scale_f64 v[223:224], vcc_lo, v[200:201], v[202:203], v[200:201]
	s_delay_alu instid0(VALU_DEP_2) | instskip(SKIP_2) | instid1(VALU_DEP_1)
	v_rcp_f64_e32 v[219:220], v[217:218]
	s_waitcnt_depctr 0xfff
	v_fma_f64 v[221:222], -v[217:218], v[219:220], 1.0
	v_fma_f64 v[219:220], v[219:220], v[221:222], v[219:220]
	s_delay_alu instid0(VALU_DEP_1) | instskip(NEXT) | instid1(VALU_DEP_1)
	v_fma_f64 v[221:222], -v[217:218], v[219:220], 1.0
	v_fma_f64 v[219:220], v[219:220], v[221:222], v[219:220]
	s_delay_alu instid0(VALU_DEP_1) | instskip(NEXT) | instid1(VALU_DEP_1)
	v_mul_f64 v[221:222], v[223:224], v[219:220]
	v_fma_f64 v[217:218], -v[217:218], v[221:222], v[223:224]
	s_delay_alu instid0(VALU_DEP_1) | instskip(NEXT) | instid1(VALU_DEP_1)
	v_div_fmas_f64 v[217:218], v[217:218], v[219:220], v[221:222]
	v_div_fixup_f64 v[217:218], v[217:218], v[202:203], v[200:201]
	s_delay_alu instid0(VALU_DEP_1) | instskip(NEXT) | instid1(VALU_DEP_1)
	v_fma_f64 v[200:201], v[200:201], v[217:218], v[202:203]
	v_div_scale_f64 v[202:203], null, v[200:201], v[200:201], 1.0
	s_delay_alu instid0(VALU_DEP_1) | instskip(SKIP_2) | instid1(VALU_DEP_1)
	v_rcp_f64_e32 v[219:220], v[202:203]
	s_waitcnt_depctr 0xfff
	v_fma_f64 v[221:222], -v[202:203], v[219:220], 1.0
	v_fma_f64 v[219:220], v[219:220], v[221:222], v[219:220]
	s_delay_alu instid0(VALU_DEP_1) | instskip(NEXT) | instid1(VALU_DEP_1)
	v_fma_f64 v[221:222], -v[202:203], v[219:220], 1.0
	v_fma_f64 v[219:220], v[219:220], v[221:222], v[219:220]
	v_div_scale_f64 v[221:222], vcc_lo, 1.0, v[200:201], 1.0
	s_delay_alu instid0(VALU_DEP_1) | instskip(NEXT) | instid1(VALU_DEP_1)
	v_mul_f64 v[223:224], v[221:222], v[219:220]
	v_fma_f64 v[202:203], -v[202:203], v[223:224], v[221:222]
	s_delay_alu instid0(VALU_DEP_1) | instskip(NEXT) | instid1(VALU_DEP_1)
	v_div_fmas_f64 v[202:203], v[202:203], v[219:220], v[223:224]
	v_div_fixup_f64 v[202:203], v[202:203], v[200:201], 1.0
	s_delay_alu instid0(VALU_DEP_1)
	v_mul_f64 v[200:201], v[217:218], v[202:203]
	v_xor_b32_e32 v203, 0x80000000, v203
.LBB98_112:
	s_and_not1_saveexec_b32 s2, s2
	s_cbranch_execz .LBB98_114
; %bb.113:
	s_delay_alu instid0(VALU_DEP_1) | instskip(SKIP_1) | instid1(VALU_DEP_2)
	v_div_scale_f64 v[217:218], null, v[200:201], v[200:201], v[202:203]
	v_div_scale_f64 v[223:224], vcc_lo, v[202:203], v[200:201], v[202:203]
	v_rcp_f64_e32 v[219:220], v[217:218]
	s_waitcnt_depctr 0xfff
	v_fma_f64 v[221:222], -v[217:218], v[219:220], 1.0
	s_delay_alu instid0(VALU_DEP_1) | instskip(NEXT) | instid1(VALU_DEP_1)
	v_fma_f64 v[219:220], v[219:220], v[221:222], v[219:220]
	v_fma_f64 v[221:222], -v[217:218], v[219:220], 1.0
	s_delay_alu instid0(VALU_DEP_1) | instskip(NEXT) | instid1(VALU_DEP_1)
	v_fma_f64 v[219:220], v[219:220], v[221:222], v[219:220]
	v_mul_f64 v[221:222], v[223:224], v[219:220]
	s_delay_alu instid0(VALU_DEP_1) | instskip(NEXT) | instid1(VALU_DEP_1)
	v_fma_f64 v[217:218], -v[217:218], v[221:222], v[223:224]
	v_div_fmas_f64 v[217:218], v[217:218], v[219:220], v[221:222]
	s_delay_alu instid0(VALU_DEP_1) | instskip(NEXT) | instid1(VALU_DEP_1)
	v_div_fixup_f64 v[217:218], v[217:218], v[200:201], v[202:203]
	v_fma_f64 v[200:201], v[202:203], v[217:218], v[200:201]
	s_delay_alu instid0(VALU_DEP_1) | instskip(NEXT) | instid1(VALU_DEP_1)
	v_div_scale_f64 v[202:203], null, v[200:201], v[200:201], 1.0
	v_rcp_f64_e32 v[219:220], v[202:203]
	s_waitcnt_depctr 0xfff
	v_fma_f64 v[221:222], -v[202:203], v[219:220], 1.0
	s_delay_alu instid0(VALU_DEP_1) | instskip(NEXT) | instid1(VALU_DEP_1)
	v_fma_f64 v[219:220], v[219:220], v[221:222], v[219:220]
	v_fma_f64 v[221:222], -v[202:203], v[219:220], 1.0
	s_delay_alu instid0(VALU_DEP_1) | instskip(SKIP_1) | instid1(VALU_DEP_1)
	v_fma_f64 v[219:220], v[219:220], v[221:222], v[219:220]
	v_div_scale_f64 v[221:222], vcc_lo, 1.0, v[200:201], 1.0
	v_mul_f64 v[223:224], v[221:222], v[219:220]
	s_delay_alu instid0(VALU_DEP_1) | instskip(NEXT) | instid1(VALU_DEP_1)
	v_fma_f64 v[202:203], -v[202:203], v[223:224], v[221:222]
	v_div_fmas_f64 v[202:203], v[202:203], v[219:220], v[223:224]
	s_delay_alu instid0(VALU_DEP_1) | instskip(NEXT) | instid1(VALU_DEP_1)
	v_div_fixup_f64 v[200:201], v[202:203], v[200:201], 1.0
	v_mul_f64 v[202:203], v[217:218], -v[200:201]
.LBB98_114:
	s_or_b32 exec_lo, exec_lo, s2
.LBB98_115:
	s_delay_alu instid0(SALU_CYCLE_1) | instskip(NEXT) | instid1(SALU_CYCLE_1)
	s_or_b32 exec_lo, exec_lo, s3
	s_mov_b32 s2, exec_lo
	v_cmpx_ne_u32_e64 v216, v208
	s_xor_b32 s2, exec_lo, s2
	s_cbranch_execz .LBB98_121
; %bb.116:
	s_mov_b32 s3, exec_lo
	v_cmpx_eq_u32_e32 5, v216
	s_cbranch_execz .LBB98_120
; %bb.117:
	v_cmp_ne_u32_e32 vcc_lo, 5, v208
	s_xor_b32 s6, s4, -1
	s_delay_alu instid0(SALU_CYCLE_1) | instskip(NEXT) | instid1(SALU_CYCLE_1)
	s_and_b32 s7, s6, vcc_lo
	s_and_saveexec_b32 s6, s7
	s_cbranch_execz .LBB98_119
; %bb.118:
	v_ashrrev_i32_e32 v209, 31, v208
	s_delay_alu instid0(VALU_DEP_1) | instskip(NEXT) | instid1(VALU_DEP_1)
	v_lshlrev_b64 v[215:216], 2, v[208:209]
	v_add_co_u32 v215, vcc_lo, v206, v215
	s_delay_alu instid0(VALU_DEP_2)
	v_add_co_ci_u32_e32 v216, vcc_lo, v207, v216, vcc_lo
	s_clause 0x1
	flat_load_b32 v209, v[215:216]
	flat_load_b32 v217, v[206:207] offset:20
	s_waitcnt vmcnt(1) lgkmcnt(1)
	flat_store_b32 v[206:207], v209 offset:20
	s_waitcnt vmcnt(0) lgkmcnt(1)
	flat_store_b32 v[215:216], v217
.LBB98_119:
	s_or_b32 exec_lo, exec_lo, s6
	v_mov_b32_e32 v216, v208
	v_mov_b32_e32 v215, v208
.LBB98_120:
	s_or_b32 exec_lo, exec_lo, s3
.LBB98_121:
	s_and_not1_saveexec_b32 s2, s2
	s_cbranch_execz .LBB98_123
; %bb.122:
	v_mov_b32_e32 v216, 5
	ds_store_2addr_b64 v210, v[172:173], v[174:175] offset0:12 offset1:13
	ds_store_2addr_b64 v210, v[168:169], v[170:171] offset0:14 offset1:15
	;; [unrolled: 1-line block ×44, first 2 shown]
.LBB98_123:
	s_or_b32 exec_lo, exec_lo, s2
	s_delay_alu instid0(SALU_CYCLE_1)
	s_mov_b32 s2, exec_lo
	s_waitcnt lgkmcnt(0)
	s_waitcnt_vscnt null, 0x0
	s_barrier
	buffer_gl0_inv
	v_cmpx_lt_i32_e32 5, v216
	s_cbranch_execz .LBB98_125
; %bb.124:
	v_mul_f64 v[208:209], v[202:203], v[178:179]
	v_mul_f64 v[178:179], v[200:201], v[178:179]
	s_delay_alu instid0(VALU_DEP_2) | instskip(NEXT) | instid1(VALU_DEP_2)
	v_fma_f64 v[208:209], v[200:201], v[176:177], -v[208:209]
	v_fma_f64 v[178:179], v[202:203], v[176:177], v[178:179]
	ds_load_2addr_b64 v[200:203], v210 offset0:12 offset1:13
	s_waitcnt lgkmcnt(0)
	v_mul_f64 v[176:177], v[202:203], v[178:179]
	s_delay_alu instid0(VALU_DEP_1) | instskip(SKIP_1) | instid1(VALU_DEP_2)
	v_fma_f64 v[176:177], v[200:201], v[208:209], -v[176:177]
	v_mul_f64 v[200:201], v[200:201], v[178:179]
	v_add_f64 v[172:173], v[172:173], -v[176:177]
	s_delay_alu instid0(VALU_DEP_2) | instskip(NEXT) | instid1(VALU_DEP_1)
	v_fma_f64 v[200:201], v[202:203], v[208:209], v[200:201]
	v_add_f64 v[174:175], v[174:175], -v[200:201]
	ds_load_2addr_b64 v[200:203], v210 offset0:14 offset1:15
	s_waitcnt lgkmcnt(0)
	v_mul_f64 v[176:177], v[202:203], v[178:179]
	s_delay_alu instid0(VALU_DEP_1) | instskip(SKIP_1) | instid1(VALU_DEP_2)
	v_fma_f64 v[176:177], v[200:201], v[208:209], -v[176:177]
	v_mul_f64 v[200:201], v[200:201], v[178:179]
	v_add_f64 v[168:169], v[168:169], -v[176:177]
	s_delay_alu instid0(VALU_DEP_2) | instskip(NEXT) | instid1(VALU_DEP_1)
	v_fma_f64 v[200:201], v[202:203], v[208:209], v[200:201]
	v_add_f64 v[170:171], v[170:171], -v[200:201]
	ds_load_2addr_b64 v[200:203], v210 offset0:16 offset1:17
	s_waitcnt lgkmcnt(0)
	v_mul_f64 v[176:177], v[202:203], v[178:179]
	s_delay_alu instid0(VALU_DEP_1) | instskip(SKIP_1) | instid1(VALU_DEP_2)
	v_fma_f64 v[176:177], v[200:201], v[208:209], -v[176:177]
	v_mul_f64 v[200:201], v[200:201], v[178:179]
	v_add_f64 v[164:165], v[164:165], -v[176:177]
	s_delay_alu instid0(VALU_DEP_2) | instskip(NEXT) | instid1(VALU_DEP_1)
	v_fma_f64 v[200:201], v[202:203], v[208:209], v[200:201]
	v_add_f64 v[166:167], v[166:167], -v[200:201]
	ds_load_2addr_b64 v[200:203], v210 offset0:18 offset1:19
	s_waitcnt lgkmcnt(0)
	v_mul_f64 v[176:177], v[202:203], v[178:179]
	s_delay_alu instid0(VALU_DEP_1) | instskip(SKIP_1) | instid1(VALU_DEP_2)
	v_fma_f64 v[176:177], v[200:201], v[208:209], -v[176:177]
	v_mul_f64 v[200:201], v[200:201], v[178:179]
	v_add_f64 v[160:161], v[160:161], -v[176:177]
	s_delay_alu instid0(VALU_DEP_2) | instskip(NEXT) | instid1(VALU_DEP_1)
	v_fma_f64 v[200:201], v[202:203], v[208:209], v[200:201]
	v_add_f64 v[162:163], v[162:163], -v[200:201]
	ds_load_2addr_b64 v[200:203], v210 offset0:20 offset1:21
	s_waitcnt lgkmcnt(0)
	v_mul_f64 v[176:177], v[202:203], v[178:179]
	s_delay_alu instid0(VALU_DEP_1) | instskip(SKIP_1) | instid1(VALU_DEP_2)
	v_fma_f64 v[176:177], v[200:201], v[208:209], -v[176:177]
	v_mul_f64 v[200:201], v[200:201], v[178:179]
	v_add_f64 v[156:157], v[156:157], -v[176:177]
	s_delay_alu instid0(VALU_DEP_2) | instskip(NEXT) | instid1(VALU_DEP_1)
	v_fma_f64 v[200:201], v[202:203], v[208:209], v[200:201]
	v_add_f64 v[158:159], v[158:159], -v[200:201]
	ds_load_2addr_b64 v[200:203], v210 offset0:22 offset1:23
	s_waitcnt lgkmcnt(0)
	v_mul_f64 v[176:177], v[202:203], v[178:179]
	s_delay_alu instid0(VALU_DEP_1) | instskip(SKIP_1) | instid1(VALU_DEP_2)
	v_fma_f64 v[176:177], v[200:201], v[208:209], -v[176:177]
	v_mul_f64 v[200:201], v[200:201], v[178:179]
	v_add_f64 v[152:153], v[152:153], -v[176:177]
	s_delay_alu instid0(VALU_DEP_2) | instskip(NEXT) | instid1(VALU_DEP_1)
	v_fma_f64 v[200:201], v[202:203], v[208:209], v[200:201]
	v_add_f64 v[154:155], v[154:155], -v[200:201]
	ds_load_2addr_b64 v[200:203], v210 offset0:24 offset1:25
	s_waitcnt lgkmcnt(0)
	v_mul_f64 v[176:177], v[202:203], v[178:179]
	s_delay_alu instid0(VALU_DEP_1) | instskip(SKIP_1) | instid1(VALU_DEP_2)
	v_fma_f64 v[176:177], v[200:201], v[208:209], -v[176:177]
	v_mul_f64 v[200:201], v[200:201], v[178:179]
	v_add_f64 v[148:149], v[148:149], -v[176:177]
	s_delay_alu instid0(VALU_DEP_2) | instskip(NEXT) | instid1(VALU_DEP_1)
	v_fma_f64 v[200:201], v[202:203], v[208:209], v[200:201]
	v_add_f64 v[150:151], v[150:151], -v[200:201]
	ds_load_2addr_b64 v[200:203], v210 offset0:26 offset1:27
	s_waitcnt lgkmcnt(0)
	v_mul_f64 v[176:177], v[202:203], v[178:179]
	s_delay_alu instid0(VALU_DEP_1) | instskip(SKIP_1) | instid1(VALU_DEP_2)
	v_fma_f64 v[176:177], v[200:201], v[208:209], -v[176:177]
	v_mul_f64 v[200:201], v[200:201], v[178:179]
	v_add_f64 v[144:145], v[144:145], -v[176:177]
	s_delay_alu instid0(VALU_DEP_2) | instskip(NEXT) | instid1(VALU_DEP_1)
	v_fma_f64 v[200:201], v[202:203], v[208:209], v[200:201]
	v_add_f64 v[146:147], v[146:147], -v[200:201]
	ds_load_2addr_b64 v[200:203], v210 offset0:28 offset1:29
	s_waitcnt lgkmcnt(0)
	v_mul_f64 v[176:177], v[202:203], v[178:179]
	s_delay_alu instid0(VALU_DEP_1) | instskip(SKIP_1) | instid1(VALU_DEP_2)
	v_fma_f64 v[176:177], v[200:201], v[208:209], -v[176:177]
	v_mul_f64 v[200:201], v[200:201], v[178:179]
	v_add_f64 v[140:141], v[140:141], -v[176:177]
	s_delay_alu instid0(VALU_DEP_2) | instskip(NEXT) | instid1(VALU_DEP_1)
	v_fma_f64 v[200:201], v[202:203], v[208:209], v[200:201]
	v_add_f64 v[142:143], v[142:143], -v[200:201]
	ds_load_2addr_b64 v[200:203], v210 offset0:30 offset1:31
	s_waitcnt lgkmcnt(0)
	v_mul_f64 v[176:177], v[202:203], v[178:179]
	s_delay_alu instid0(VALU_DEP_1) | instskip(SKIP_1) | instid1(VALU_DEP_2)
	v_fma_f64 v[176:177], v[200:201], v[208:209], -v[176:177]
	v_mul_f64 v[200:201], v[200:201], v[178:179]
	v_add_f64 v[136:137], v[136:137], -v[176:177]
	s_delay_alu instid0(VALU_DEP_2) | instskip(NEXT) | instid1(VALU_DEP_1)
	v_fma_f64 v[200:201], v[202:203], v[208:209], v[200:201]
	v_add_f64 v[138:139], v[138:139], -v[200:201]
	ds_load_2addr_b64 v[200:203], v210 offset0:32 offset1:33
	s_waitcnt lgkmcnt(0)
	v_mul_f64 v[176:177], v[202:203], v[178:179]
	s_delay_alu instid0(VALU_DEP_1) | instskip(SKIP_1) | instid1(VALU_DEP_2)
	v_fma_f64 v[176:177], v[200:201], v[208:209], -v[176:177]
	v_mul_f64 v[200:201], v[200:201], v[178:179]
	v_add_f64 v[132:133], v[132:133], -v[176:177]
	s_delay_alu instid0(VALU_DEP_2) | instskip(NEXT) | instid1(VALU_DEP_1)
	v_fma_f64 v[200:201], v[202:203], v[208:209], v[200:201]
	v_add_f64 v[134:135], v[134:135], -v[200:201]
	ds_load_2addr_b64 v[200:203], v210 offset0:34 offset1:35
	s_waitcnt lgkmcnt(0)
	v_mul_f64 v[176:177], v[202:203], v[178:179]
	s_delay_alu instid0(VALU_DEP_1) | instskip(SKIP_1) | instid1(VALU_DEP_2)
	v_fma_f64 v[176:177], v[200:201], v[208:209], -v[176:177]
	v_mul_f64 v[200:201], v[200:201], v[178:179]
	v_add_f64 v[128:129], v[128:129], -v[176:177]
	s_delay_alu instid0(VALU_DEP_2) | instskip(NEXT) | instid1(VALU_DEP_1)
	v_fma_f64 v[200:201], v[202:203], v[208:209], v[200:201]
	v_add_f64 v[130:131], v[130:131], -v[200:201]
	ds_load_2addr_b64 v[200:203], v210 offset0:36 offset1:37
	s_waitcnt lgkmcnt(0)
	v_mul_f64 v[176:177], v[202:203], v[178:179]
	s_delay_alu instid0(VALU_DEP_1) | instskip(SKIP_1) | instid1(VALU_DEP_2)
	v_fma_f64 v[176:177], v[200:201], v[208:209], -v[176:177]
	v_mul_f64 v[200:201], v[200:201], v[178:179]
	v_add_f64 v[124:125], v[124:125], -v[176:177]
	s_delay_alu instid0(VALU_DEP_2) | instskip(NEXT) | instid1(VALU_DEP_1)
	v_fma_f64 v[200:201], v[202:203], v[208:209], v[200:201]
	v_add_f64 v[126:127], v[126:127], -v[200:201]
	ds_load_2addr_b64 v[200:203], v210 offset0:38 offset1:39
	s_waitcnt lgkmcnt(0)
	v_mul_f64 v[176:177], v[202:203], v[178:179]
	s_delay_alu instid0(VALU_DEP_1) | instskip(SKIP_1) | instid1(VALU_DEP_2)
	v_fma_f64 v[176:177], v[200:201], v[208:209], -v[176:177]
	v_mul_f64 v[200:201], v[200:201], v[178:179]
	v_add_f64 v[120:121], v[120:121], -v[176:177]
	s_delay_alu instid0(VALU_DEP_2) | instskip(NEXT) | instid1(VALU_DEP_1)
	v_fma_f64 v[200:201], v[202:203], v[208:209], v[200:201]
	v_add_f64 v[122:123], v[122:123], -v[200:201]
	ds_load_2addr_b64 v[200:203], v210 offset0:40 offset1:41
	s_waitcnt lgkmcnt(0)
	v_mul_f64 v[176:177], v[202:203], v[178:179]
	s_delay_alu instid0(VALU_DEP_1) | instskip(SKIP_1) | instid1(VALU_DEP_2)
	v_fma_f64 v[176:177], v[200:201], v[208:209], -v[176:177]
	v_mul_f64 v[200:201], v[200:201], v[178:179]
	v_add_f64 v[116:117], v[116:117], -v[176:177]
	s_delay_alu instid0(VALU_DEP_2) | instskip(NEXT) | instid1(VALU_DEP_1)
	v_fma_f64 v[200:201], v[202:203], v[208:209], v[200:201]
	v_add_f64 v[118:119], v[118:119], -v[200:201]
	ds_load_2addr_b64 v[200:203], v210 offset0:42 offset1:43
	s_waitcnt lgkmcnt(0)
	v_mul_f64 v[176:177], v[202:203], v[178:179]
	s_delay_alu instid0(VALU_DEP_1) | instskip(SKIP_1) | instid1(VALU_DEP_2)
	v_fma_f64 v[176:177], v[200:201], v[208:209], -v[176:177]
	v_mul_f64 v[200:201], v[200:201], v[178:179]
	v_add_f64 v[112:113], v[112:113], -v[176:177]
	s_delay_alu instid0(VALU_DEP_2) | instskip(NEXT) | instid1(VALU_DEP_1)
	v_fma_f64 v[200:201], v[202:203], v[208:209], v[200:201]
	v_add_f64 v[114:115], v[114:115], -v[200:201]
	ds_load_2addr_b64 v[200:203], v210 offset0:44 offset1:45
	s_waitcnt lgkmcnt(0)
	v_mul_f64 v[176:177], v[202:203], v[178:179]
	s_delay_alu instid0(VALU_DEP_1) | instskip(SKIP_1) | instid1(VALU_DEP_2)
	v_fma_f64 v[176:177], v[200:201], v[208:209], -v[176:177]
	v_mul_f64 v[200:201], v[200:201], v[178:179]
	v_add_f64 v[108:109], v[108:109], -v[176:177]
	s_delay_alu instid0(VALU_DEP_2) | instskip(NEXT) | instid1(VALU_DEP_1)
	v_fma_f64 v[200:201], v[202:203], v[208:209], v[200:201]
	v_add_f64 v[110:111], v[110:111], -v[200:201]
	ds_load_2addr_b64 v[200:203], v210 offset0:46 offset1:47
	s_waitcnt lgkmcnt(0)
	v_mul_f64 v[176:177], v[202:203], v[178:179]
	s_delay_alu instid0(VALU_DEP_1) | instskip(SKIP_1) | instid1(VALU_DEP_2)
	v_fma_f64 v[176:177], v[200:201], v[208:209], -v[176:177]
	v_mul_f64 v[200:201], v[200:201], v[178:179]
	v_add_f64 v[104:105], v[104:105], -v[176:177]
	s_delay_alu instid0(VALU_DEP_2) | instskip(NEXT) | instid1(VALU_DEP_1)
	v_fma_f64 v[200:201], v[202:203], v[208:209], v[200:201]
	v_add_f64 v[106:107], v[106:107], -v[200:201]
	ds_load_2addr_b64 v[200:203], v210 offset0:48 offset1:49
	s_waitcnt lgkmcnt(0)
	v_mul_f64 v[176:177], v[202:203], v[178:179]
	s_delay_alu instid0(VALU_DEP_1) | instskip(SKIP_1) | instid1(VALU_DEP_2)
	v_fma_f64 v[176:177], v[200:201], v[208:209], -v[176:177]
	v_mul_f64 v[200:201], v[200:201], v[178:179]
	v_add_f64 v[100:101], v[100:101], -v[176:177]
	s_delay_alu instid0(VALU_DEP_2) | instskip(NEXT) | instid1(VALU_DEP_1)
	v_fma_f64 v[200:201], v[202:203], v[208:209], v[200:201]
	v_add_f64 v[102:103], v[102:103], -v[200:201]
	ds_load_2addr_b64 v[200:203], v210 offset0:50 offset1:51
	s_waitcnt lgkmcnt(0)
	v_mul_f64 v[176:177], v[202:203], v[178:179]
	s_delay_alu instid0(VALU_DEP_1) | instskip(SKIP_1) | instid1(VALU_DEP_2)
	v_fma_f64 v[176:177], v[200:201], v[208:209], -v[176:177]
	v_mul_f64 v[200:201], v[200:201], v[178:179]
	v_add_f64 v[96:97], v[96:97], -v[176:177]
	s_delay_alu instid0(VALU_DEP_2) | instskip(NEXT) | instid1(VALU_DEP_1)
	v_fma_f64 v[200:201], v[202:203], v[208:209], v[200:201]
	v_add_f64 v[98:99], v[98:99], -v[200:201]
	ds_load_2addr_b64 v[200:203], v210 offset0:52 offset1:53
	s_waitcnt lgkmcnt(0)
	v_mul_f64 v[176:177], v[202:203], v[178:179]
	s_delay_alu instid0(VALU_DEP_1) | instskip(SKIP_1) | instid1(VALU_DEP_2)
	v_fma_f64 v[176:177], v[200:201], v[208:209], -v[176:177]
	v_mul_f64 v[200:201], v[200:201], v[178:179]
	v_add_f64 v[92:93], v[92:93], -v[176:177]
	s_delay_alu instid0(VALU_DEP_2) | instskip(NEXT) | instid1(VALU_DEP_1)
	v_fma_f64 v[200:201], v[202:203], v[208:209], v[200:201]
	v_add_f64 v[94:95], v[94:95], -v[200:201]
	ds_load_2addr_b64 v[200:203], v210 offset0:54 offset1:55
	s_waitcnt lgkmcnt(0)
	v_mul_f64 v[176:177], v[202:203], v[178:179]
	s_delay_alu instid0(VALU_DEP_1) | instskip(SKIP_1) | instid1(VALU_DEP_2)
	v_fma_f64 v[176:177], v[200:201], v[208:209], -v[176:177]
	v_mul_f64 v[200:201], v[200:201], v[178:179]
	v_add_f64 v[88:89], v[88:89], -v[176:177]
	s_delay_alu instid0(VALU_DEP_2) | instskip(NEXT) | instid1(VALU_DEP_1)
	v_fma_f64 v[200:201], v[202:203], v[208:209], v[200:201]
	v_add_f64 v[90:91], v[90:91], -v[200:201]
	ds_load_2addr_b64 v[200:203], v210 offset0:56 offset1:57
	s_waitcnt lgkmcnt(0)
	v_mul_f64 v[176:177], v[202:203], v[178:179]
	s_delay_alu instid0(VALU_DEP_1) | instskip(SKIP_1) | instid1(VALU_DEP_2)
	v_fma_f64 v[176:177], v[200:201], v[208:209], -v[176:177]
	v_mul_f64 v[200:201], v[200:201], v[178:179]
	v_add_f64 v[84:85], v[84:85], -v[176:177]
	s_delay_alu instid0(VALU_DEP_2) | instskip(NEXT) | instid1(VALU_DEP_1)
	v_fma_f64 v[200:201], v[202:203], v[208:209], v[200:201]
	v_add_f64 v[86:87], v[86:87], -v[200:201]
	ds_load_2addr_b64 v[200:203], v210 offset0:58 offset1:59
	s_waitcnt lgkmcnt(0)
	v_mul_f64 v[176:177], v[202:203], v[178:179]
	s_delay_alu instid0(VALU_DEP_1) | instskip(SKIP_1) | instid1(VALU_DEP_2)
	v_fma_f64 v[176:177], v[200:201], v[208:209], -v[176:177]
	v_mul_f64 v[200:201], v[200:201], v[178:179]
	v_add_f64 v[80:81], v[80:81], -v[176:177]
	s_delay_alu instid0(VALU_DEP_2) | instskip(NEXT) | instid1(VALU_DEP_1)
	v_fma_f64 v[200:201], v[202:203], v[208:209], v[200:201]
	v_add_f64 v[82:83], v[82:83], -v[200:201]
	ds_load_2addr_b64 v[200:203], v210 offset0:60 offset1:61
	s_waitcnt lgkmcnt(0)
	v_mul_f64 v[176:177], v[202:203], v[178:179]
	s_delay_alu instid0(VALU_DEP_1) | instskip(SKIP_1) | instid1(VALU_DEP_2)
	v_fma_f64 v[176:177], v[200:201], v[208:209], -v[176:177]
	v_mul_f64 v[200:201], v[200:201], v[178:179]
	v_add_f64 v[76:77], v[76:77], -v[176:177]
	s_delay_alu instid0(VALU_DEP_2) | instskip(NEXT) | instid1(VALU_DEP_1)
	v_fma_f64 v[200:201], v[202:203], v[208:209], v[200:201]
	v_add_f64 v[78:79], v[78:79], -v[200:201]
	ds_load_2addr_b64 v[200:203], v210 offset0:62 offset1:63
	s_waitcnt lgkmcnt(0)
	v_mul_f64 v[176:177], v[202:203], v[178:179]
	s_delay_alu instid0(VALU_DEP_1) | instskip(SKIP_1) | instid1(VALU_DEP_2)
	v_fma_f64 v[176:177], v[200:201], v[208:209], -v[176:177]
	v_mul_f64 v[200:201], v[200:201], v[178:179]
	v_add_f64 v[72:73], v[72:73], -v[176:177]
	s_delay_alu instid0(VALU_DEP_2) | instskip(NEXT) | instid1(VALU_DEP_1)
	v_fma_f64 v[200:201], v[202:203], v[208:209], v[200:201]
	v_add_f64 v[74:75], v[74:75], -v[200:201]
	ds_load_2addr_b64 v[200:203], v210 offset0:64 offset1:65
	s_waitcnt lgkmcnt(0)
	v_mul_f64 v[176:177], v[202:203], v[178:179]
	s_delay_alu instid0(VALU_DEP_1) | instskip(SKIP_1) | instid1(VALU_DEP_2)
	v_fma_f64 v[176:177], v[200:201], v[208:209], -v[176:177]
	v_mul_f64 v[200:201], v[200:201], v[178:179]
	v_add_f64 v[68:69], v[68:69], -v[176:177]
	s_delay_alu instid0(VALU_DEP_2) | instskip(NEXT) | instid1(VALU_DEP_1)
	v_fma_f64 v[200:201], v[202:203], v[208:209], v[200:201]
	v_add_f64 v[70:71], v[70:71], -v[200:201]
	ds_load_2addr_b64 v[200:203], v210 offset0:66 offset1:67
	s_waitcnt lgkmcnt(0)
	v_mul_f64 v[176:177], v[202:203], v[178:179]
	s_delay_alu instid0(VALU_DEP_1) | instskip(SKIP_1) | instid1(VALU_DEP_2)
	v_fma_f64 v[176:177], v[200:201], v[208:209], -v[176:177]
	v_mul_f64 v[200:201], v[200:201], v[178:179]
	v_add_f64 v[64:65], v[64:65], -v[176:177]
	s_delay_alu instid0(VALU_DEP_2) | instskip(NEXT) | instid1(VALU_DEP_1)
	v_fma_f64 v[200:201], v[202:203], v[208:209], v[200:201]
	v_add_f64 v[66:67], v[66:67], -v[200:201]
	ds_load_2addr_b64 v[200:203], v210 offset0:68 offset1:69
	s_waitcnt lgkmcnt(0)
	v_mul_f64 v[176:177], v[202:203], v[178:179]
	s_delay_alu instid0(VALU_DEP_1) | instskip(SKIP_1) | instid1(VALU_DEP_2)
	v_fma_f64 v[176:177], v[200:201], v[208:209], -v[176:177]
	v_mul_f64 v[200:201], v[200:201], v[178:179]
	v_add_f64 v[60:61], v[60:61], -v[176:177]
	s_delay_alu instid0(VALU_DEP_2) | instskip(NEXT) | instid1(VALU_DEP_1)
	v_fma_f64 v[200:201], v[202:203], v[208:209], v[200:201]
	v_add_f64 v[62:63], v[62:63], -v[200:201]
	ds_load_2addr_b64 v[200:203], v210 offset0:70 offset1:71
	s_waitcnt lgkmcnt(0)
	v_mul_f64 v[176:177], v[202:203], v[178:179]
	s_delay_alu instid0(VALU_DEP_1) | instskip(SKIP_1) | instid1(VALU_DEP_2)
	v_fma_f64 v[176:177], v[200:201], v[208:209], -v[176:177]
	v_mul_f64 v[200:201], v[200:201], v[178:179]
	v_add_f64 v[56:57], v[56:57], -v[176:177]
	s_delay_alu instid0(VALU_DEP_2) | instskip(NEXT) | instid1(VALU_DEP_1)
	v_fma_f64 v[200:201], v[202:203], v[208:209], v[200:201]
	v_add_f64 v[58:59], v[58:59], -v[200:201]
	ds_load_2addr_b64 v[200:203], v210 offset0:72 offset1:73
	s_waitcnt lgkmcnt(0)
	v_mul_f64 v[176:177], v[202:203], v[178:179]
	s_delay_alu instid0(VALU_DEP_1) | instskip(SKIP_1) | instid1(VALU_DEP_2)
	v_fma_f64 v[176:177], v[200:201], v[208:209], -v[176:177]
	v_mul_f64 v[200:201], v[200:201], v[178:179]
	v_add_f64 v[52:53], v[52:53], -v[176:177]
	s_delay_alu instid0(VALU_DEP_2) | instskip(NEXT) | instid1(VALU_DEP_1)
	v_fma_f64 v[200:201], v[202:203], v[208:209], v[200:201]
	v_add_f64 v[54:55], v[54:55], -v[200:201]
	ds_load_2addr_b64 v[200:203], v210 offset0:74 offset1:75
	s_waitcnt lgkmcnt(0)
	v_mul_f64 v[176:177], v[202:203], v[178:179]
	s_delay_alu instid0(VALU_DEP_1) | instskip(SKIP_1) | instid1(VALU_DEP_2)
	v_fma_f64 v[176:177], v[200:201], v[208:209], -v[176:177]
	v_mul_f64 v[200:201], v[200:201], v[178:179]
	v_add_f64 v[48:49], v[48:49], -v[176:177]
	s_delay_alu instid0(VALU_DEP_2) | instskip(NEXT) | instid1(VALU_DEP_1)
	v_fma_f64 v[200:201], v[202:203], v[208:209], v[200:201]
	v_add_f64 v[50:51], v[50:51], -v[200:201]
	ds_load_2addr_b64 v[200:203], v210 offset0:76 offset1:77
	s_waitcnt lgkmcnt(0)
	v_mul_f64 v[176:177], v[202:203], v[178:179]
	s_delay_alu instid0(VALU_DEP_1) | instskip(SKIP_1) | instid1(VALU_DEP_2)
	v_fma_f64 v[176:177], v[200:201], v[208:209], -v[176:177]
	v_mul_f64 v[200:201], v[200:201], v[178:179]
	v_add_f64 v[44:45], v[44:45], -v[176:177]
	s_delay_alu instid0(VALU_DEP_2) | instskip(NEXT) | instid1(VALU_DEP_1)
	v_fma_f64 v[200:201], v[202:203], v[208:209], v[200:201]
	v_add_f64 v[46:47], v[46:47], -v[200:201]
	ds_load_2addr_b64 v[200:203], v210 offset0:78 offset1:79
	s_waitcnt lgkmcnt(0)
	v_mul_f64 v[176:177], v[202:203], v[178:179]
	s_delay_alu instid0(VALU_DEP_1) | instskip(SKIP_1) | instid1(VALU_DEP_2)
	v_fma_f64 v[176:177], v[200:201], v[208:209], -v[176:177]
	v_mul_f64 v[200:201], v[200:201], v[178:179]
	v_add_f64 v[40:41], v[40:41], -v[176:177]
	s_delay_alu instid0(VALU_DEP_2) | instskip(NEXT) | instid1(VALU_DEP_1)
	v_fma_f64 v[200:201], v[202:203], v[208:209], v[200:201]
	v_add_f64 v[42:43], v[42:43], -v[200:201]
	ds_load_2addr_b64 v[200:203], v210 offset0:80 offset1:81
	s_waitcnt lgkmcnt(0)
	v_mul_f64 v[176:177], v[202:203], v[178:179]
	s_delay_alu instid0(VALU_DEP_1) | instskip(SKIP_1) | instid1(VALU_DEP_2)
	v_fma_f64 v[176:177], v[200:201], v[208:209], -v[176:177]
	v_mul_f64 v[200:201], v[200:201], v[178:179]
	v_add_f64 v[36:37], v[36:37], -v[176:177]
	s_delay_alu instid0(VALU_DEP_2) | instskip(NEXT) | instid1(VALU_DEP_1)
	v_fma_f64 v[200:201], v[202:203], v[208:209], v[200:201]
	v_add_f64 v[38:39], v[38:39], -v[200:201]
	ds_load_2addr_b64 v[200:203], v210 offset0:82 offset1:83
	s_waitcnt lgkmcnt(0)
	v_mul_f64 v[176:177], v[202:203], v[178:179]
	s_delay_alu instid0(VALU_DEP_1) | instskip(SKIP_1) | instid1(VALU_DEP_2)
	v_fma_f64 v[176:177], v[200:201], v[208:209], -v[176:177]
	v_mul_f64 v[200:201], v[200:201], v[178:179]
	v_add_f64 v[32:33], v[32:33], -v[176:177]
	s_delay_alu instid0(VALU_DEP_2) | instskip(NEXT) | instid1(VALU_DEP_1)
	v_fma_f64 v[200:201], v[202:203], v[208:209], v[200:201]
	v_add_f64 v[34:35], v[34:35], -v[200:201]
	ds_load_2addr_b64 v[200:203], v210 offset0:84 offset1:85
	s_waitcnt lgkmcnt(0)
	v_mul_f64 v[176:177], v[202:203], v[178:179]
	s_delay_alu instid0(VALU_DEP_1) | instskip(SKIP_1) | instid1(VALU_DEP_2)
	v_fma_f64 v[176:177], v[200:201], v[208:209], -v[176:177]
	v_mul_f64 v[200:201], v[200:201], v[178:179]
	v_add_f64 v[28:29], v[28:29], -v[176:177]
	s_delay_alu instid0(VALU_DEP_2) | instskip(NEXT) | instid1(VALU_DEP_1)
	v_fma_f64 v[200:201], v[202:203], v[208:209], v[200:201]
	v_add_f64 v[30:31], v[30:31], -v[200:201]
	ds_load_2addr_b64 v[200:203], v210 offset0:86 offset1:87
	s_waitcnt lgkmcnt(0)
	v_mul_f64 v[176:177], v[202:203], v[178:179]
	s_delay_alu instid0(VALU_DEP_1) | instskip(SKIP_1) | instid1(VALU_DEP_2)
	v_fma_f64 v[176:177], v[200:201], v[208:209], -v[176:177]
	v_mul_f64 v[200:201], v[200:201], v[178:179]
	v_add_f64 v[24:25], v[24:25], -v[176:177]
	s_delay_alu instid0(VALU_DEP_2) | instskip(NEXT) | instid1(VALU_DEP_1)
	v_fma_f64 v[200:201], v[202:203], v[208:209], v[200:201]
	v_add_f64 v[26:27], v[26:27], -v[200:201]
	ds_load_2addr_b64 v[200:203], v210 offset0:88 offset1:89
	s_waitcnt lgkmcnt(0)
	v_mul_f64 v[176:177], v[202:203], v[178:179]
	s_delay_alu instid0(VALU_DEP_1) | instskip(SKIP_1) | instid1(VALU_DEP_2)
	v_fma_f64 v[176:177], v[200:201], v[208:209], -v[176:177]
	v_mul_f64 v[200:201], v[200:201], v[178:179]
	v_add_f64 v[20:21], v[20:21], -v[176:177]
	s_delay_alu instid0(VALU_DEP_2) | instskip(NEXT) | instid1(VALU_DEP_1)
	v_fma_f64 v[200:201], v[202:203], v[208:209], v[200:201]
	v_add_f64 v[22:23], v[22:23], -v[200:201]
	ds_load_2addr_b64 v[200:203], v210 offset0:90 offset1:91
	s_waitcnt lgkmcnt(0)
	v_mul_f64 v[176:177], v[202:203], v[178:179]
	s_delay_alu instid0(VALU_DEP_1) | instskip(SKIP_1) | instid1(VALU_DEP_2)
	v_fma_f64 v[176:177], v[200:201], v[208:209], -v[176:177]
	v_mul_f64 v[200:201], v[200:201], v[178:179]
	v_add_f64 v[16:17], v[16:17], -v[176:177]
	s_delay_alu instid0(VALU_DEP_2) | instskip(NEXT) | instid1(VALU_DEP_1)
	v_fma_f64 v[200:201], v[202:203], v[208:209], v[200:201]
	v_add_f64 v[18:19], v[18:19], -v[200:201]
	ds_load_2addr_b64 v[200:203], v210 offset0:92 offset1:93
	s_waitcnt lgkmcnt(0)
	v_mul_f64 v[176:177], v[202:203], v[178:179]
	s_delay_alu instid0(VALU_DEP_1) | instskip(SKIP_1) | instid1(VALU_DEP_2)
	v_fma_f64 v[176:177], v[200:201], v[208:209], -v[176:177]
	v_mul_f64 v[200:201], v[200:201], v[178:179]
	v_add_f64 v[12:13], v[12:13], -v[176:177]
	s_delay_alu instid0(VALU_DEP_2) | instskip(NEXT) | instid1(VALU_DEP_1)
	v_fma_f64 v[200:201], v[202:203], v[208:209], v[200:201]
	v_add_f64 v[14:15], v[14:15], -v[200:201]
	ds_load_2addr_b64 v[200:203], v210 offset0:94 offset1:95
	s_waitcnt lgkmcnt(0)
	v_mul_f64 v[176:177], v[202:203], v[178:179]
	s_delay_alu instid0(VALU_DEP_1) | instskip(SKIP_1) | instid1(VALU_DEP_2)
	v_fma_f64 v[176:177], v[200:201], v[208:209], -v[176:177]
	v_mul_f64 v[200:201], v[200:201], v[178:179]
	v_add_f64 v[8:9], v[8:9], -v[176:177]
	s_delay_alu instid0(VALU_DEP_2) | instskip(NEXT) | instid1(VALU_DEP_1)
	v_fma_f64 v[200:201], v[202:203], v[208:209], v[200:201]
	v_add_f64 v[10:11], v[10:11], -v[200:201]
	ds_load_2addr_b64 v[200:203], v210 offset0:96 offset1:97
	s_waitcnt lgkmcnt(0)
	v_mul_f64 v[176:177], v[202:203], v[178:179]
	s_delay_alu instid0(VALU_DEP_1) | instskip(SKIP_1) | instid1(VALU_DEP_2)
	v_fma_f64 v[176:177], v[200:201], v[208:209], -v[176:177]
	v_mul_f64 v[200:201], v[200:201], v[178:179]
	v_add_f64 v[4:5], v[4:5], -v[176:177]
	s_delay_alu instid0(VALU_DEP_2) | instskip(NEXT) | instid1(VALU_DEP_1)
	v_fma_f64 v[200:201], v[202:203], v[208:209], v[200:201]
	v_add_f64 v[6:7], v[6:7], -v[200:201]
	ds_load_2addr_b64 v[200:203], v210 offset0:98 offset1:99
	s_waitcnt lgkmcnt(0)
	v_mul_f64 v[176:177], v[202:203], v[178:179]
	s_delay_alu instid0(VALU_DEP_1) | instskip(SKIP_1) | instid1(VALU_DEP_2)
	v_fma_f64 v[176:177], v[200:201], v[208:209], -v[176:177]
	v_mul_f64 v[200:201], v[200:201], v[178:179]
	v_add_f64 v[0:1], v[0:1], -v[176:177]
	s_delay_alu instid0(VALU_DEP_2) | instskip(SKIP_1) | instid1(VALU_DEP_2)
	v_fma_f64 v[200:201], v[202:203], v[208:209], v[200:201]
	v_dual_mov_b32 v176, v208 :: v_dual_mov_b32 v177, v209
	v_add_f64 v[2:3], v[2:3], -v[200:201]
.LBB98_125:
	s_or_b32 exec_lo, exec_lo, s2
	v_lshl_add_u32 v200, v216, 4, v210
	s_barrier
	buffer_gl0_inv
	v_mov_b32_e32 v208, 6
	ds_store_2addr_b64 v200, v[172:173], v[174:175] offset1:1
	s_waitcnt lgkmcnt(0)
	s_barrier
	buffer_gl0_inv
	ds_load_2addr_b64 v[200:203], v210 offset0:12 offset1:13
	s_cmp_lt_i32 s5, 8
	s_cbranch_scc1 .LBB98_128
; %bb.126:
	v_add3_u32 v209, v214, 0, 0x70
	v_mov_b32_e32 v208, 6
	s_mov_b32 s6, 7
	s_set_inst_prefetch_distance 0x1
	.p2align	6
.LBB98_127:                             ; =>This Inner Loop Header: Depth=1
	ds_load_2addr_b64 v[217:220], v209 offset1:1
	s_waitcnt lgkmcnt(1)
	v_cmp_gt_f64_e32 vcc_lo, 0, v[200:201]
	v_xor_b32_e32 v221, 0x80000000, v201
	v_cmp_gt_f64_e64 s2, 0, v[202:203]
	v_xor_b32_e32 v223, 0x80000000, v203
	v_add_nc_u32_e32 v209, 16, v209
	s_waitcnt lgkmcnt(0)
	v_cmp_gt_f64_e64 s3, 0, v[217:218]
	v_mov_b32_e32 v225, v217
	v_dual_mov_b32 v227, v219 :: v_dual_cndmask_b32 v222, v201, v221
	v_xor_b32_e32 v221, 0x80000000, v218
	v_cndmask_b32_e64 v224, v203, v223, s2
	v_xor_b32_e32 v223, 0x80000000, v220
	s_delay_alu instid0(VALU_DEP_3) | instskip(SKIP_2) | instid1(VALU_DEP_2)
	v_cndmask_b32_e64 v226, v218, v221, s3
	v_cmp_gt_f64_e64 s3, 0, v[219:220]
	v_cndmask_b32_e32 v221, v200, v200, vcc_lo
	v_cndmask_b32_e64 v228, v220, v223, s3
	v_cndmask_b32_e64 v223, v202, v202, s2
	s_delay_alu instid0(VALU_DEP_2) | instskip(NEXT) | instid1(VALU_DEP_2)
	v_add_f64 v[225:226], v[225:226], v[227:228]
	v_add_f64 v[221:222], v[221:222], v[223:224]
	s_delay_alu instid0(VALU_DEP_1) | instskip(SKIP_4) | instid1(SALU_CYCLE_1)
	v_cmp_lt_f64_e32 vcc_lo, v[221:222], v[225:226]
	v_dual_cndmask_b32 v202, v202, v219 :: v_dual_cndmask_b32 v201, v201, v218
	v_dual_cndmask_b32 v200, v200, v217 :: v_dual_cndmask_b32 v203, v203, v220
	v_cndmask_b32_e64 v208, v208, s6, vcc_lo
	s_add_i32 s6, s6, 1
	s_cmp_lg_u32 s5, s6
	s_cbranch_scc1 .LBB98_127
.LBB98_128:
	s_set_inst_prefetch_distance 0x2
	s_waitcnt lgkmcnt(0)
	v_cmp_eq_f64_e32 vcc_lo, 0, v[200:201]
	v_cmp_eq_f64_e64 s2, 0, v[202:203]
	s_delay_alu instid0(VALU_DEP_1) | instskip(NEXT) | instid1(SALU_CYCLE_1)
	s_and_b32 s2, vcc_lo, s2
	s_and_saveexec_b32 s3, s2
	s_delay_alu instid0(SALU_CYCLE_1)
	s_xor_b32 s2, exec_lo, s3
; %bb.129:
	v_cmp_ne_u32_e32 vcc_lo, 0, v213
	v_cndmask_b32_e32 v213, 7, v213, vcc_lo
; %bb.130:
	s_and_not1_saveexec_b32 s3, s2
	s_cbranch_execz .LBB98_136
; %bb.131:
	v_cmp_gt_f64_e32 vcc_lo, 0, v[200:201]
	v_cmp_gt_f64_e64 s2, 0, v[202:203]
	v_xor_b32_e32 v209, 0x80000000, v201
	v_xor_b32_e32 v217, 0x80000000, v203
	s_delay_alu instid0(VALU_DEP_2) | instskip(NEXT) | instid1(VALU_DEP_2)
	v_cndmask_b32_e32 v218, v201, v209, vcc_lo
	v_cndmask_b32_e64 v220, v203, v217, s2
	v_cndmask_b32_e32 v217, v200, v200, vcc_lo
	v_cndmask_b32_e64 v219, v202, v202, s2
	s_mov_b32 s2, exec_lo
	s_delay_alu instid0(VALU_DEP_1)
	v_cmpx_ngt_f64_e32 v[217:218], v[219:220]
	s_xor_b32 s2, exec_lo, s2
	s_cbranch_execz .LBB98_133
; %bb.132:
	v_div_scale_f64 v[217:218], null, v[202:203], v[202:203], v[200:201]
	v_div_scale_f64 v[223:224], vcc_lo, v[200:201], v[202:203], v[200:201]
	s_delay_alu instid0(VALU_DEP_2) | instskip(SKIP_2) | instid1(VALU_DEP_1)
	v_rcp_f64_e32 v[219:220], v[217:218]
	s_waitcnt_depctr 0xfff
	v_fma_f64 v[221:222], -v[217:218], v[219:220], 1.0
	v_fma_f64 v[219:220], v[219:220], v[221:222], v[219:220]
	s_delay_alu instid0(VALU_DEP_1) | instskip(NEXT) | instid1(VALU_DEP_1)
	v_fma_f64 v[221:222], -v[217:218], v[219:220], 1.0
	v_fma_f64 v[219:220], v[219:220], v[221:222], v[219:220]
	s_delay_alu instid0(VALU_DEP_1) | instskip(NEXT) | instid1(VALU_DEP_1)
	v_mul_f64 v[221:222], v[223:224], v[219:220]
	v_fma_f64 v[217:218], -v[217:218], v[221:222], v[223:224]
	s_delay_alu instid0(VALU_DEP_1) | instskip(NEXT) | instid1(VALU_DEP_1)
	v_div_fmas_f64 v[217:218], v[217:218], v[219:220], v[221:222]
	v_div_fixup_f64 v[217:218], v[217:218], v[202:203], v[200:201]
	s_delay_alu instid0(VALU_DEP_1) | instskip(NEXT) | instid1(VALU_DEP_1)
	v_fma_f64 v[200:201], v[200:201], v[217:218], v[202:203]
	v_div_scale_f64 v[202:203], null, v[200:201], v[200:201], 1.0
	s_delay_alu instid0(VALU_DEP_1) | instskip(SKIP_2) | instid1(VALU_DEP_1)
	v_rcp_f64_e32 v[219:220], v[202:203]
	s_waitcnt_depctr 0xfff
	v_fma_f64 v[221:222], -v[202:203], v[219:220], 1.0
	v_fma_f64 v[219:220], v[219:220], v[221:222], v[219:220]
	s_delay_alu instid0(VALU_DEP_1) | instskip(NEXT) | instid1(VALU_DEP_1)
	v_fma_f64 v[221:222], -v[202:203], v[219:220], 1.0
	v_fma_f64 v[219:220], v[219:220], v[221:222], v[219:220]
	v_div_scale_f64 v[221:222], vcc_lo, 1.0, v[200:201], 1.0
	s_delay_alu instid0(VALU_DEP_1) | instskip(NEXT) | instid1(VALU_DEP_1)
	v_mul_f64 v[223:224], v[221:222], v[219:220]
	v_fma_f64 v[202:203], -v[202:203], v[223:224], v[221:222]
	s_delay_alu instid0(VALU_DEP_1) | instskip(NEXT) | instid1(VALU_DEP_1)
	v_div_fmas_f64 v[202:203], v[202:203], v[219:220], v[223:224]
	v_div_fixup_f64 v[202:203], v[202:203], v[200:201], 1.0
	s_delay_alu instid0(VALU_DEP_1)
	v_mul_f64 v[200:201], v[217:218], v[202:203]
	v_xor_b32_e32 v203, 0x80000000, v203
.LBB98_133:
	s_and_not1_saveexec_b32 s2, s2
	s_cbranch_execz .LBB98_135
; %bb.134:
	s_delay_alu instid0(VALU_DEP_1) | instskip(SKIP_1) | instid1(VALU_DEP_2)
	v_div_scale_f64 v[217:218], null, v[200:201], v[200:201], v[202:203]
	v_div_scale_f64 v[223:224], vcc_lo, v[202:203], v[200:201], v[202:203]
	v_rcp_f64_e32 v[219:220], v[217:218]
	s_waitcnt_depctr 0xfff
	v_fma_f64 v[221:222], -v[217:218], v[219:220], 1.0
	s_delay_alu instid0(VALU_DEP_1) | instskip(NEXT) | instid1(VALU_DEP_1)
	v_fma_f64 v[219:220], v[219:220], v[221:222], v[219:220]
	v_fma_f64 v[221:222], -v[217:218], v[219:220], 1.0
	s_delay_alu instid0(VALU_DEP_1) | instskip(NEXT) | instid1(VALU_DEP_1)
	v_fma_f64 v[219:220], v[219:220], v[221:222], v[219:220]
	v_mul_f64 v[221:222], v[223:224], v[219:220]
	s_delay_alu instid0(VALU_DEP_1) | instskip(NEXT) | instid1(VALU_DEP_1)
	v_fma_f64 v[217:218], -v[217:218], v[221:222], v[223:224]
	v_div_fmas_f64 v[217:218], v[217:218], v[219:220], v[221:222]
	s_delay_alu instid0(VALU_DEP_1) | instskip(NEXT) | instid1(VALU_DEP_1)
	v_div_fixup_f64 v[217:218], v[217:218], v[200:201], v[202:203]
	v_fma_f64 v[200:201], v[202:203], v[217:218], v[200:201]
	s_delay_alu instid0(VALU_DEP_1) | instskip(NEXT) | instid1(VALU_DEP_1)
	v_div_scale_f64 v[202:203], null, v[200:201], v[200:201], 1.0
	v_rcp_f64_e32 v[219:220], v[202:203]
	s_waitcnt_depctr 0xfff
	v_fma_f64 v[221:222], -v[202:203], v[219:220], 1.0
	s_delay_alu instid0(VALU_DEP_1) | instskip(NEXT) | instid1(VALU_DEP_1)
	v_fma_f64 v[219:220], v[219:220], v[221:222], v[219:220]
	v_fma_f64 v[221:222], -v[202:203], v[219:220], 1.0
	s_delay_alu instid0(VALU_DEP_1) | instskip(SKIP_1) | instid1(VALU_DEP_1)
	v_fma_f64 v[219:220], v[219:220], v[221:222], v[219:220]
	v_div_scale_f64 v[221:222], vcc_lo, 1.0, v[200:201], 1.0
	v_mul_f64 v[223:224], v[221:222], v[219:220]
	s_delay_alu instid0(VALU_DEP_1) | instskip(NEXT) | instid1(VALU_DEP_1)
	v_fma_f64 v[202:203], -v[202:203], v[223:224], v[221:222]
	v_div_fmas_f64 v[202:203], v[202:203], v[219:220], v[223:224]
	s_delay_alu instid0(VALU_DEP_1) | instskip(NEXT) | instid1(VALU_DEP_1)
	v_div_fixup_f64 v[200:201], v[202:203], v[200:201], 1.0
	v_mul_f64 v[202:203], v[217:218], -v[200:201]
.LBB98_135:
	s_or_b32 exec_lo, exec_lo, s2
.LBB98_136:
	s_delay_alu instid0(SALU_CYCLE_1) | instskip(NEXT) | instid1(SALU_CYCLE_1)
	s_or_b32 exec_lo, exec_lo, s3
	s_mov_b32 s2, exec_lo
	v_cmpx_ne_u32_e64 v216, v208
	s_xor_b32 s2, exec_lo, s2
	s_cbranch_execz .LBB98_142
; %bb.137:
	s_mov_b32 s3, exec_lo
	v_cmpx_eq_u32_e32 6, v216
	s_cbranch_execz .LBB98_141
; %bb.138:
	v_cmp_ne_u32_e32 vcc_lo, 6, v208
	s_xor_b32 s6, s4, -1
	s_delay_alu instid0(SALU_CYCLE_1) | instskip(NEXT) | instid1(SALU_CYCLE_1)
	s_and_b32 s7, s6, vcc_lo
	s_and_saveexec_b32 s6, s7
	s_cbranch_execz .LBB98_140
; %bb.139:
	v_ashrrev_i32_e32 v209, 31, v208
	s_delay_alu instid0(VALU_DEP_1) | instskip(NEXT) | instid1(VALU_DEP_1)
	v_lshlrev_b64 v[215:216], 2, v[208:209]
	v_add_co_u32 v215, vcc_lo, v206, v215
	s_delay_alu instid0(VALU_DEP_2)
	v_add_co_ci_u32_e32 v216, vcc_lo, v207, v216, vcc_lo
	s_clause 0x1
	flat_load_b32 v209, v[215:216]
	flat_load_b32 v217, v[206:207] offset:24
	s_waitcnt vmcnt(1) lgkmcnt(1)
	flat_store_b32 v[206:207], v209 offset:24
	s_waitcnt vmcnt(0) lgkmcnt(1)
	flat_store_b32 v[215:216], v217
.LBB98_140:
	s_or_b32 exec_lo, exec_lo, s6
	v_mov_b32_e32 v216, v208
	v_mov_b32_e32 v215, v208
.LBB98_141:
	s_or_b32 exec_lo, exec_lo, s3
.LBB98_142:
	s_and_not1_saveexec_b32 s2, s2
	s_cbranch_execz .LBB98_144
; %bb.143:
	v_mov_b32_e32 v216, 6
	ds_store_2addr_b64 v210, v[168:169], v[170:171] offset0:14 offset1:15
	ds_store_2addr_b64 v210, v[164:165], v[166:167] offset0:16 offset1:17
	;; [unrolled: 1-line block ×43, first 2 shown]
.LBB98_144:
	s_or_b32 exec_lo, exec_lo, s2
	s_delay_alu instid0(SALU_CYCLE_1)
	s_mov_b32 s2, exec_lo
	s_waitcnt lgkmcnt(0)
	s_waitcnt_vscnt null, 0x0
	s_barrier
	buffer_gl0_inv
	v_cmpx_lt_i32_e32 6, v216
	s_cbranch_execz .LBB98_146
; %bb.145:
	v_mul_f64 v[208:209], v[202:203], v[174:175]
	v_mul_f64 v[174:175], v[200:201], v[174:175]
	s_delay_alu instid0(VALU_DEP_2) | instskip(NEXT) | instid1(VALU_DEP_2)
	v_fma_f64 v[208:209], v[200:201], v[172:173], -v[208:209]
	v_fma_f64 v[174:175], v[202:203], v[172:173], v[174:175]
	ds_load_2addr_b64 v[200:203], v210 offset0:14 offset1:15
	s_waitcnt lgkmcnt(0)
	v_mul_f64 v[172:173], v[202:203], v[174:175]
	s_delay_alu instid0(VALU_DEP_1) | instskip(SKIP_1) | instid1(VALU_DEP_2)
	v_fma_f64 v[172:173], v[200:201], v[208:209], -v[172:173]
	v_mul_f64 v[200:201], v[200:201], v[174:175]
	v_add_f64 v[168:169], v[168:169], -v[172:173]
	s_delay_alu instid0(VALU_DEP_2) | instskip(NEXT) | instid1(VALU_DEP_1)
	v_fma_f64 v[200:201], v[202:203], v[208:209], v[200:201]
	v_add_f64 v[170:171], v[170:171], -v[200:201]
	ds_load_2addr_b64 v[200:203], v210 offset0:16 offset1:17
	s_waitcnt lgkmcnt(0)
	v_mul_f64 v[172:173], v[202:203], v[174:175]
	s_delay_alu instid0(VALU_DEP_1) | instskip(SKIP_1) | instid1(VALU_DEP_2)
	v_fma_f64 v[172:173], v[200:201], v[208:209], -v[172:173]
	v_mul_f64 v[200:201], v[200:201], v[174:175]
	v_add_f64 v[164:165], v[164:165], -v[172:173]
	s_delay_alu instid0(VALU_DEP_2) | instskip(NEXT) | instid1(VALU_DEP_1)
	v_fma_f64 v[200:201], v[202:203], v[208:209], v[200:201]
	v_add_f64 v[166:167], v[166:167], -v[200:201]
	;; [unrolled: 10-line block ×42, first 2 shown]
	ds_load_2addr_b64 v[200:203], v210 offset0:98 offset1:99
	s_waitcnt lgkmcnt(0)
	v_mul_f64 v[172:173], v[202:203], v[174:175]
	s_delay_alu instid0(VALU_DEP_1) | instskip(SKIP_1) | instid1(VALU_DEP_2)
	v_fma_f64 v[172:173], v[200:201], v[208:209], -v[172:173]
	v_mul_f64 v[200:201], v[200:201], v[174:175]
	v_add_f64 v[0:1], v[0:1], -v[172:173]
	s_delay_alu instid0(VALU_DEP_2) | instskip(SKIP_1) | instid1(VALU_DEP_2)
	v_fma_f64 v[200:201], v[202:203], v[208:209], v[200:201]
	v_dual_mov_b32 v172, v208 :: v_dual_mov_b32 v173, v209
	v_add_f64 v[2:3], v[2:3], -v[200:201]
.LBB98_146:
	s_or_b32 exec_lo, exec_lo, s2
	v_lshl_add_u32 v200, v216, 4, v210
	s_barrier
	buffer_gl0_inv
	v_mov_b32_e32 v208, 7
	ds_store_2addr_b64 v200, v[168:169], v[170:171] offset1:1
	s_waitcnt lgkmcnt(0)
	s_barrier
	buffer_gl0_inv
	ds_load_2addr_b64 v[200:203], v210 offset0:14 offset1:15
	s_cmp_lt_i32 s5, 9
	s_cbranch_scc1 .LBB98_149
; %bb.147:
	v_add3_u32 v209, v214, 0, 0x80
	v_mov_b32_e32 v208, 7
	s_mov_b32 s6, 8
	s_set_inst_prefetch_distance 0x1
	.p2align	6
.LBB98_148:                             ; =>This Inner Loop Header: Depth=1
	ds_load_2addr_b64 v[217:220], v209 offset1:1
	s_waitcnt lgkmcnt(1)
	v_cmp_gt_f64_e32 vcc_lo, 0, v[200:201]
	v_xor_b32_e32 v221, 0x80000000, v201
	v_cmp_gt_f64_e64 s2, 0, v[202:203]
	v_xor_b32_e32 v223, 0x80000000, v203
	v_add_nc_u32_e32 v209, 16, v209
	s_waitcnt lgkmcnt(0)
	v_cmp_gt_f64_e64 s3, 0, v[217:218]
	v_mov_b32_e32 v225, v217
	v_dual_mov_b32 v227, v219 :: v_dual_cndmask_b32 v222, v201, v221
	v_xor_b32_e32 v221, 0x80000000, v218
	v_cndmask_b32_e64 v224, v203, v223, s2
	v_xor_b32_e32 v223, 0x80000000, v220
	s_delay_alu instid0(VALU_DEP_3) | instskip(SKIP_2) | instid1(VALU_DEP_2)
	v_cndmask_b32_e64 v226, v218, v221, s3
	v_cmp_gt_f64_e64 s3, 0, v[219:220]
	v_cndmask_b32_e32 v221, v200, v200, vcc_lo
	v_cndmask_b32_e64 v228, v220, v223, s3
	v_cndmask_b32_e64 v223, v202, v202, s2
	s_delay_alu instid0(VALU_DEP_2) | instskip(NEXT) | instid1(VALU_DEP_2)
	v_add_f64 v[225:226], v[225:226], v[227:228]
	v_add_f64 v[221:222], v[221:222], v[223:224]
	s_delay_alu instid0(VALU_DEP_1) | instskip(SKIP_4) | instid1(SALU_CYCLE_1)
	v_cmp_lt_f64_e32 vcc_lo, v[221:222], v[225:226]
	v_dual_cndmask_b32 v202, v202, v219 :: v_dual_cndmask_b32 v201, v201, v218
	v_dual_cndmask_b32 v200, v200, v217 :: v_dual_cndmask_b32 v203, v203, v220
	v_cndmask_b32_e64 v208, v208, s6, vcc_lo
	s_add_i32 s6, s6, 1
	s_cmp_lg_u32 s5, s6
	s_cbranch_scc1 .LBB98_148
.LBB98_149:
	s_set_inst_prefetch_distance 0x2
	s_waitcnt lgkmcnt(0)
	v_cmp_eq_f64_e32 vcc_lo, 0, v[200:201]
	v_cmp_eq_f64_e64 s2, 0, v[202:203]
	s_delay_alu instid0(VALU_DEP_1) | instskip(NEXT) | instid1(SALU_CYCLE_1)
	s_and_b32 s2, vcc_lo, s2
	s_and_saveexec_b32 s3, s2
	s_delay_alu instid0(SALU_CYCLE_1)
	s_xor_b32 s2, exec_lo, s3
; %bb.150:
	v_cmp_ne_u32_e32 vcc_lo, 0, v213
	v_cndmask_b32_e32 v213, 8, v213, vcc_lo
; %bb.151:
	s_and_not1_saveexec_b32 s3, s2
	s_cbranch_execz .LBB98_157
; %bb.152:
	v_cmp_gt_f64_e32 vcc_lo, 0, v[200:201]
	v_cmp_gt_f64_e64 s2, 0, v[202:203]
	v_xor_b32_e32 v209, 0x80000000, v201
	v_xor_b32_e32 v217, 0x80000000, v203
	s_delay_alu instid0(VALU_DEP_2) | instskip(NEXT) | instid1(VALU_DEP_2)
	v_cndmask_b32_e32 v218, v201, v209, vcc_lo
	v_cndmask_b32_e64 v220, v203, v217, s2
	v_cndmask_b32_e32 v217, v200, v200, vcc_lo
	v_cndmask_b32_e64 v219, v202, v202, s2
	s_mov_b32 s2, exec_lo
	s_delay_alu instid0(VALU_DEP_1)
	v_cmpx_ngt_f64_e32 v[217:218], v[219:220]
	s_xor_b32 s2, exec_lo, s2
	s_cbranch_execz .LBB98_154
; %bb.153:
	v_div_scale_f64 v[217:218], null, v[202:203], v[202:203], v[200:201]
	v_div_scale_f64 v[223:224], vcc_lo, v[200:201], v[202:203], v[200:201]
	s_delay_alu instid0(VALU_DEP_2) | instskip(SKIP_2) | instid1(VALU_DEP_1)
	v_rcp_f64_e32 v[219:220], v[217:218]
	s_waitcnt_depctr 0xfff
	v_fma_f64 v[221:222], -v[217:218], v[219:220], 1.0
	v_fma_f64 v[219:220], v[219:220], v[221:222], v[219:220]
	s_delay_alu instid0(VALU_DEP_1) | instskip(NEXT) | instid1(VALU_DEP_1)
	v_fma_f64 v[221:222], -v[217:218], v[219:220], 1.0
	v_fma_f64 v[219:220], v[219:220], v[221:222], v[219:220]
	s_delay_alu instid0(VALU_DEP_1) | instskip(NEXT) | instid1(VALU_DEP_1)
	v_mul_f64 v[221:222], v[223:224], v[219:220]
	v_fma_f64 v[217:218], -v[217:218], v[221:222], v[223:224]
	s_delay_alu instid0(VALU_DEP_1) | instskip(NEXT) | instid1(VALU_DEP_1)
	v_div_fmas_f64 v[217:218], v[217:218], v[219:220], v[221:222]
	v_div_fixup_f64 v[217:218], v[217:218], v[202:203], v[200:201]
	s_delay_alu instid0(VALU_DEP_1) | instskip(NEXT) | instid1(VALU_DEP_1)
	v_fma_f64 v[200:201], v[200:201], v[217:218], v[202:203]
	v_div_scale_f64 v[202:203], null, v[200:201], v[200:201], 1.0
	s_delay_alu instid0(VALU_DEP_1) | instskip(SKIP_2) | instid1(VALU_DEP_1)
	v_rcp_f64_e32 v[219:220], v[202:203]
	s_waitcnt_depctr 0xfff
	v_fma_f64 v[221:222], -v[202:203], v[219:220], 1.0
	v_fma_f64 v[219:220], v[219:220], v[221:222], v[219:220]
	s_delay_alu instid0(VALU_DEP_1) | instskip(NEXT) | instid1(VALU_DEP_1)
	v_fma_f64 v[221:222], -v[202:203], v[219:220], 1.0
	v_fma_f64 v[219:220], v[219:220], v[221:222], v[219:220]
	v_div_scale_f64 v[221:222], vcc_lo, 1.0, v[200:201], 1.0
	s_delay_alu instid0(VALU_DEP_1) | instskip(NEXT) | instid1(VALU_DEP_1)
	v_mul_f64 v[223:224], v[221:222], v[219:220]
	v_fma_f64 v[202:203], -v[202:203], v[223:224], v[221:222]
	s_delay_alu instid0(VALU_DEP_1) | instskip(NEXT) | instid1(VALU_DEP_1)
	v_div_fmas_f64 v[202:203], v[202:203], v[219:220], v[223:224]
	v_div_fixup_f64 v[202:203], v[202:203], v[200:201], 1.0
	s_delay_alu instid0(VALU_DEP_1)
	v_mul_f64 v[200:201], v[217:218], v[202:203]
	v_xor_b32_e32 v203, 0x80000000, v203
.LBB98_154:
	s_and_not1_saveexec_b32 s2, s2
	s_cbranch_execz .LBB98_156
; %bb.155:
	s_delay_alu instid0(VALU_DEP_1) | instskip(SKIP_1) | instid1(VALU_DEP_2)
	v_div_scale_f64 v[217:218], null, v[200:201], v[200:201], v[202:203]
	v_div_scale_f64 v[223:224], vcc_lo, v[202:203], v[200:201], v[202:203]
	v_rcp_f64_e32 v[219:220], v[217:218]
	s_waitcnt_depctr 0xfff
	v_fma_f64 v[221:222], -v[217:218], v[219:220], 1.0
	s_delay_alu instid0(VALU_DEP_1) | instskip(NEXT) | instid1(VALU_DEP_1)
	v_fma_f64 v[219:220], v[219:220], v[221:222], v[219:220]
	v_fma_f64 v[221:222], -v[217:218], v[219:220], 1.0
	s_delay_alu instid0(VALU_DEP_1) | instskip(NEXT) | instid1(VALU_DEP_1)
	v_fma_f64 v[219:220], v[219:220], v[221:222], v[219:220]
	v_mul_f64 v[221:222], v[223:224], v[219:220]
	s_delay_alu instid0(VALU_DEP_1) | instskip(NEXT) | instid1(VALU_DEP_1)
	v_fma_f64 v[217:218], -v[217:218], v[221:222], v[223:224]
	v_div_fmas_f64 v[217:218], v[217:218], v[219:220], v[221:222]
	s_delay_alu instid0(VALU_DEP_1) | instskip(NEXT) | instid1(VALU_DEP_1)
	v_div_fixup_f64 v[217:218], v[217:218], v[200:201], v[202:203]
	v_fma_f64 v[200:201], v[202:203], v[217:218], v[200:201]
	s_delay_alu instid0(VALU_DEP_1) | instskip(NEXT) | instid1(VALU_DEP_1)
	v_div_scale_f64 v[202:203], null, v[200:201], v[200:201], 1.0
	v_rcp_f64_e32 v[219:220], v[202:203]
	s_waitcnt_depctr 0xfff
	v_fma_f64 v[221:222], -v[202:203], v[219:220], 1.0
	s_delay_alu instid0(VALU_DEP_1) | instskip(NEXT) | instid1(VALU_DEP_1)
	v_fma_f64 v[219:220], v[219:220], v[221:222], v[219:220]
	v_fma_f64 v[221:222], -v[202:203], v[219:220], 1.0
	s_delay_alu instid0(VALU_DEP_1) | instskip(SKIP_1) | instid1(VALU_DEP_1)
	v_fma_f64 v[219:220], v[219:220], v[221:222], v[219:220]
	v_div_scale_f64 v[221:222], vcc_lo, 1.0, v[200:201], 1.0
	v_mul_f64 v[223:224], v[221:222], v[219:220]
	s_delay_alu instid0(VALU_DEP_1) | instskip(NEXT) | instid1(VALU_DEP_1)
	v_fma_f64 v[202:203], -v[202:203], v[223:224], v[221:222]
	v_div_fmas_f64 v[202:203], v[202:203], v[219:220], v[223:224]
	s_delay_alu instid0(VALU_DEP_1) | instskip(NEXT) | instid1(VALU_DEP_1)
	v_div_fixup_f64 v[200:201], v[202:203], v[200:201], 1.0
	v_mul_f64 v[202:203], v[217:218], -v[200:201]
.LBB98_156:
	s_or_b32 exec_lo, exec_lo, s2
.LBB98_157:
	s_delay_alu instid0(SALU_CYCLE_1) | instskip(NEXT) | instid1(SALU_CYCLE_1)
	s_or_b32 exec_lo, exec_lo, s3
	s_mov_b32 s2, exec_lo
	v_cmpx_ne_u32_e64 v216, v208
	s_xor_b32 s2, exec_lo, s2
	s_cbranch_execz .LBB98_163
; %bb.158:
	s_mov_b32 s3, exec_lo
	v_cmpx_eq_u32_e32 7, v216
	s_cbranch_execz .LBB98_162
; %bb.159:
	v_cmp_ne_u32_e32 vcc_lo, 7, v208
	s_xor_b32 s6, s4, -1
	s_delay_alu instid0(SALU_CYCLE_1) | instskip(NEXT) | instid1(SALU_CYCLE_1)
	s_and_b32 s7, s6, vcc_lo
	s_and_saveexec_b32 s6, s7
	s_cbranch_execz .LBB98_161
; %bb.160:
	v_ashrrev_i32_e32 v209, 31, v208
	s_delay_alu instid0(VALU_DEP_1) | instskip(NEXT) | instid1(VALU_DEP_1)
	v_lshlrev_b64 v[215:216], 2, v[208:209]
	v_add_co_u32 v215, vcc_lo, v206, v215
	s_delay_alu instid0(VALU_DEP_2)
	v_add_co_ci_u32_e32 v216, vcc_lo, v207, v216, vcc_lo
	s_clause 0x1
	flat_load_b32 v209, v[215:216]
	flat_load_b32 v217, v[206:207] offset:28
	s_waitcnt vmcnt(1) lgkmcnt(1)
	flat_store_b32 v[206:207], v209 offset:28
	s_waitcnt vmcnt(0) lgkmcnt(1)
	flat_store_b32 v[215:216], v217
.LBB98_161:
	s_or_b32 exec_lo, exec_lo, s6
	v_mov_b32_e32 v216, v208
	v_mov_b32_e32 v215, v208
.LBB98_162:
	s_or_b32 exec_lo, exec_lo, s3
.LBB98_163:
	s_and_not1_saveexec_b32 s2, s2
	s_cbranch_execz .LBB98_165
; %bb.164:
	v_mov_b32_e32 v216, 7
	ds_store_2addr_b64 v210, v[164:165], v[166:167] offset0:16 offset1:17
	ds_store_2addr_b64 v210, v[160:161], v[162:163] offset0:18 offset1:19
	;; [unrolled: 1-line block ×42, first 2 shown]
.LBB98_165:
	s_or_b32 exec_lo, exec_lo, s2
	s_delay_alu instid0(SALU_CYCLE_1)
	s_mov_b32 s2, exec_lo
	s_waitcnt lgkmcnt(0)
	s_waitcnt_vscnt null, 0x0
	s_barrier
	buffer_gl0_inv
	v_cmpx_lt_i32_e32 7, v216
	s_cbranch_execz .LBB98_167
; %bb.166:
	v_mul_f64 v[208:209], v[202:203], v[170:171]
	v_mul_f64 v[170:171], v[200:201], v[170:171]
	s_delay_alu instid0(VALU_DEP_2) | instskip(NEXT) | instid1(VALU_DEP_2)
	v_fma_f64 v[208:209], v[200:201], v[168:169], -v[208:209]
	v_fma_f64 v[170:171], v[202:203], v[168:169], v[170:171]
	ds_load_2addr_b64 v[200:203], v210 offset0:16 offset1:17
	s_waitcnt lgkmcnt(0)
	v_mul_f64 v[168:169], v[202:203], v[170:171]
	s_delay_alu instid0(VALU_DEP_1) | instskip(SKIP_1) | instid1(VALU_DEP_2)
	v_fma_f64 v[168:169], v[200:201], v[208:209], -v[168:169]
	v_mul_f64 v[200:201], v[200:201], v[170:171]
	v_add_f64 v[164:165], v[164:165], -v[168:169]
	s_delay_alu instid0(VALU_DEP_2) | instskip(NEXT) | instid1(VALU_DEP_1)
	v_fma_f64 v[200:201], v[202:203], v[208:209], v[200:201]
	v_add_f64 v[166:167], v[166:167], -v[200:201]
	ds_load_2addr_b64 v[200:203], v210 offset0:18 offset1:19
	s_waitcnt lgkmcnt(0)
	v_mul_f64 v[168:169], v[202:203], v[170:171]
	s_delay_alu instid0(VALU_DEP_1) | instskip(SKIP_1) | instid1(VALU_DEP_2)
	v_fma_f64 v[168:169], v[200:201], v[208:209], -v[168:169]
	v_mul_f64 v[200:201], v[200:201], v[170:171]
	v_add_f64 v[160:161], v[160:161], -v[168:169]
	s_delay_alu instid0(VALU_DEP_2) | instskip(NEXT) | instid1(VALU_DEP_1)
	v_fma_f64 v[200:201], v[202:203], v[208:209], v[200:201]
	v_add_f64 v[162:163], v[162:163], -v[200:201]
	;; [unrolled: 10-line block ×41, first 2 shown]
	ds_load_2addr_b64 v[200:203], v210 offset0:98 offset1:99
	s_waitcnt lgkmcnt(0)
	v_mul_f64 v[168:169], v[202:203], v[170:171]
	s_delay_alu instid0(VALU_DEP_1) | instskip(SKIP_1) | instid1(VALU_DEP_2)
	v_fma_f64 v[168:169], v[200:201], v[208:209], -v[168:169]
	v_mul_f64 v[200:201], v[200:201], v[170:171]
	v_add_f64 v[0:1], v[0:1], -v[168:169]
	s_delay_alu instid0(VALU_DEP_2) | instskip(SKIP_1) | instid1(VALU_DEP_2)
	v_fma_f64 v[200:201], v[202:203], v[208:209], v[200:201]
	v_dual_mov_b32 v168, v208 :: v_dual_mov_b32 v169, v209
	v_add_f64 v[2:3], v[2:3], -v[200:201]
.LBB98_167:
	s_or_b32 exec_lo, exec_lo, s2
	v_lshl_add_u32 v200, v216, 4, v210
	s_barrier
	buffer_gl0_inv
	v_mov_b32_e32 v208, 8
	ds_store_2addr_b64 v200, v[164:165], v[166:167] offset1:1
	s_waitcnt lgkmcnt(0)
	s_barrier
	buffer_gl0_inv
	ds_load_2addr_b64 v[200:203], v210 offset0:16 offset1:17
	s_cmp_lt_i32 s5, 10
	s_cbranch_scc1 .LBB98_170
; %bb.168:
	v_add3_u32 v209, v214, 0, 0x90
	v_mov_b32_e32 v208, 8
	s_mov_b32 s6, 9
	s_set_inst_prefetch_distance 0x1
	.p2align	6
.LBB98_169:                             ; =>This Inner Loop Header: Depth=1
	ds_load_2addr_b64 v[217:220], v209 offset1:1
	s_waitcnt lgkmcnt(1)
	v_cmp_gt_f64_e32 vcc_lo, 0, v[200:201]
	v_xor_b32_e32 v221, 0x80000000, v201
	v_cmp_gt_f64_e64 s2, 0, v[202:203]
	v_xor_b32_e32 v223, 0x80000000, v203
	v_add_nc_u32_e32 v209, 16, v209
	s_waitcnt lgkmcnt(0)
	v_cmp_gt_f64_e64 s3, 0, v[217:218]
	v_mov_b32_e32 v225, v217
	v_dual_mov_b32 v227, v219 :: v_dual_cndmask_b32 v222, v201, v221
	v_xor_b32_e32 v221, 0x80000000, v218
	v_cndmask_b32_e64 v224, v203, v223, s2
	v_xor_b32_e32 v223, 0x80000000, v220
	s_delay_alu instid0(VALU_DEP_3) | instskip(SKIP_2) | instid1(VALU_DEP_2)
	v_cndmask_b32_e64 v226, v218, v221, s3
	v_cmp_gt_f64_e64 s3, 0, v[219:220]
	v_cndmask_b32_e32 v221, v200, v200, vcc_lo
	v_cndmask_b32_e64 v228, v220, v223, s3
	v_cndmask_b32_e64 v223, v202, v202, s2
	s_delay_alu instid0(VALU_DEP_2) | instskip(NEXT) | instid1(VALU_DEP_2)
	v_add_f64 v[225:226], v[225:226], v[227:228]
	v_add_f64 v[221:222], v[221:222], v[223:224]
	s_delay_alu instid0(VALU_DEP_1) | instskip(SKIP_4) | instid1(SALU_CYCLE_1)
	v_cmp_lt_f64_e32 vcc_lo, v[221:222], v[225:226]
	v_dual_cndmask_b32 v202, v202, v219 :: v_dual_cndmask_b32 v201, v201, v218
	v_dual_cndmask_b32 v200, v200, v217 :: v_dual_cndmask_b32 v203, v203, v220
	v_cndmask_b32_e64 v208, v208, s6, vcc_lo
	s_add_i32 s6, s6, 1
	s_cmp_lg_u32 s5, s6
	s_cbranch_scc1 .LBB98_169
.LBB98_170:
	s_set_inst_prefetch_distance 0x2
	s_waitcnt lgkmcnt(0)
	v_cmp_eq_f64_e32 vcc_lo, 0, v[200:201]
	v_cmp_eq_f64_e64 s2, 0, v[202:203]
	s_delay_alu instid0(VALU_DEP_1) | instskip(NEXT) | instid1(SALU_CYCLE_1)
	s_and_b32 s2, vcc_lo, s2
	s_and_saveexec_b32 s3, s2
	s_delay_alu instid0(SALU_CYCLE_1)
	s_xor_b32 s2, exec_lo, s3
; %bb.171:
	v_cmp_ne_u32_e32 vcc_lo, 0, v213
	v_cndmask_b32_e32 v213, 9, v213, vcc_lo
; %bb.172:
	s_and_not1_saveexec_b32 s3, s2
	s_cbranch_execz .LBB98_178
; %bb.173:
	v_cmp_gt_f64_e32 vcc_lo, 0, v[200:201]
	v_cmp_gt_f64_e64 s2, 0, v[202:203]
	v_xor_b32_e32 v209, 0x80000000, v201
	v_xor_b32_e32 v217, 0x80000000, v203
	s_delay_alu instid0(VALU_DEP_2) | instskip(NEXT) | instid1(VALU_DEP_2)
	v_cndmask_b32_e32 v218, v201, v209, vcc_lo
	v_cndmask_b32_e64 v220, v203, v217, s2
	v_cndmask_b32_e32 v217, v200, v200, vcc_lo
	v_cndmask_b32_e64 v219, v202, v202, s2
	s_mov_b32 s2, exec_lo
	s_delay_alu instid0(VALU_DEP_1)
	v_cmpx_ngt_f64_e32 v[217:218], v[219:220]
	s_xor_b32 s2, exec_lo, s2
	s_cbranch_execz .LBB98_175
; %bb.174:
	v_div_scale_f64 v[217:218], null, v[202:203], v[202:203], v[200:201]
	v_div_scale_f64 v[223:224], vcc_lo, v[200:201], v[202:203], v[200:201]
	s_delay_alu instid0(VALU_DEP_2) | instskip(SKIP_2) | instid1(VALU_DEP_1)
	v_rcp_f64_e32 v[219:220], v[217:218]
	s_waitcnt_depctr 0xfff
	v_fma_f64 v[221:222], -v[217:218], v[219:220], 1.0
	v_fma_f64 v[219:220], v[219:220], v[221:222], v[219:220]
	s_delay_alu instid0(VALU_DEP_1) | instskip(NEXT) | instid1(VALU_DEP_1)
	v_fma_f64 v[221:222], -v[217:218], v[219:220], 1.0
	v_fma_f64 v[219:220], v[219:220], v[221:222], v[219:220]
	s_delay_alu instid0(VALU_DEP_1) | instskip(NEXT) | instid1(VALU_DEP_1)
	v_mul_f64 v[221:222], v[223:224], v[219:220]
	v_fma_f64 v[217:218], -v[217:218], v[221:222], v[223:224]
	s_delay_alu instid0(VALU_DEP_1) | instskip(NEXT) | instid1(VALU_DEP_1)
	v_div_fmas_f64 v[217:218], v[217:218], v[219:220], v[221:222]
	v_div_fixup_f64 v[217:218], v[217:218], v[202:203], v[200:201]
	s_delay_alu instid0(VALU_DEP_1) | instskip(NEXT) | instid1(VALU_DEP_1)
	v_fma_f64 v[200:201], v[200:201], v[217:218], v[202:203]
	v_div_scale_f64 v[202:203], null, v[200:201], v[200:201], 1.0
	s_delay_alu instid0(VALU_DEP_1) | instskip(SKIP_2) | instid1(VALU_DEP_1)
	v_rcp_f64_e32 v[219:220], v[202:203]
	s_waitcnt_depctr 0xfff
	v_fma_f64 v[221:222], -v[202:203], v[219:220], 1.0
	v_fma_f64 v[219:220], v[219:220], v[221:222], v[219:220]
	s_delay_alu instid0(VALU_DEP_1) | instskip(NEXT) | instid1(VALU_DEP_1)
	v_fma_f64 v[221:222], -v[202:203], v[219:220], 1.0
	v_fma_f64 v[219:220], v[219:220], v[221:222], v[219:220]
	v_div_scale_f64 v[221:222], vcc_lo, 1.0, v[200:201], 1.0
	s_delay_alu instid0(VALU_DEP_1) | instskip(NEXT) | instid1(VALU_DEP_1)
	v_mul_f64 v[223:224], v[221:222], v[219:220]
	v_fma_f64 v[202:203], -v[202:203], v[223:224], v[221:222]
	s_delay_alu instid0(VALU_DEP_1) | instskip(NEXT) | instid1(VALU_DEP_1)
	v_div_fmas_f64 v[202:203], v[202:203], v[219:220], v[223:224]
	v_div_fixup_f64 v[202:203], v[202:203], v[200:201], 1.0
	s_delay_alu instid0(VALU_DEP_1)
	v_mul_f64 v[200:201], v[217:218], v[202:203]
	v_xor_b32_e32 v203, 0x80000000, v203
.LBB98_175:
	s_and_not1_saveexec_b32 s2, s2
	s_cbranch_execz .LBB98_177
; %bb.176:
	s_delay_alu instid0(VALU_DEP_1) | instskip(SKIP_1) | instid1(VALU_DEP_2)
	v_div_scale_f64 v[217:218], null, v[200:201], v[200:201], v[202:203]
	v_div_scale_f64 v[223:224], vcc_lo, v[202:203], v[200:201], v[202:203]
	v_rcp_f64_e32 v[219:220], v[217:218]
	s_waitcnt_depctr 0xfff
	v_fma_f64 v[221:222], -v[217:218], v[219:220], 1.0
	s_delay_alu instid0(VALU_DEP_1) | instskip(NEXT) | instid1(VALU_DEP_1)
	v_fma_f64 v[219:220], v[219:220], v[221:222], v[219:220]
	v_fma_f64 v[221:222], -v[217:218], v[219:220], 1.0
	s_delay_alu instid0(VALU_DEP_1) | instskip(NEXT) | instid1(VALU_DEP_1)
	v_fma_f64 v[219:220], v[219:220], v[221:222], v[219:220]
	v_mul_f64 v[221:222], v[223:224], v[219:220]
	s_delay_alu instid0(VALU_DEP_1) | instskip(NEXT) | instid1(VALU_DEP_1)
	v_fma_f64 v[217:218], -v[217:218], v[221:222], v[223:224]
	v_div_fmas_f64 v[217:218], v[217:218], v[219:220], v[221:222]
	s_delay_alu instid0(VALU_DEP_1) | instskip(NEXT) | instid1(VALU_DEP_1)
	v_div_fixup_f64 v[217:218], v[217:218], v[200:201], v[202:203]
	v_fma_f64 v[200:201], v[202:203], v[217:218], v[200:201]
	s_delay_alu instid0(VALU_DEP_1) | instskip(NEXT) | instid1(VALU_DEP_1)
	v_div_scale_f64 v[202:203], null, v[200:201], v[200:201], 1.0
	v_rcp_f64_e32 v[219:220], v[202:203]
	s_waitcnt_depctr 0xfff
	v_fma_f64 v[221:222], -v[202:203], v[219:220], 1.0
	s_delay_alu instid0(VALU_DEP_1) | instskip(NEXT) | instid1(VALU_DEP_1)
	v_fma_f64 v[219:220], v[219:220], v[221:222], v[219:220]
	v_fma_f64 v[221:222], -v[202:203], v[219:220], 1.0
	s_delay_alu instid0(VALU_DEP_1) | instskip(SKIP_1) | instid1(VALU_DEP_1)
	v_fma_f64 v[219:220], v[219:220], v[221:222], v[219:220]
	v_div_scale_f64 v[221:222], vcc_lo, 1.0, v[200:201], 1.0
	v_mul_f64 v[223:224], v[221:222], v[219:220]
	s_delay_alu instid0(VALU_DEP_1) | instskip(NEXT) | instid1(VALU_DEP_1)
	v_fma_f64 v[202:203], -v[202:203], v[223:224], v[221:222]
	v_div_fmas_f64 v[202:203], v[202:203], v[219:220], v[223:224]
	s_delay_alu instid0(VALU_DEP_1) | instskip(NEXT) | instid1(VALU_DEP_1)
	v_div_fixup_f64 v[200:201], v[202:203], v[200:201], 1.0
	v_mul_f64 v[202:203], v[217:218], -v[200:201]
.LBB98_177:
	s_or_b32 exec_lo, exec_lo, s2
.LBB98_178:
	s_delay_alu instid0(SALU_CYCLE_1) | instskip(NEXT) | instid1(SALU_CYCLE_1)
	s_or_b32 exec_lo, exec_lo, s3
	s_mov_b32 s2, exec_lo
	v_cmpx_ne_u32_e64 v216, v208
	s_xor_b32 s2, exec_lo, s2
	s_cbranch_execz .LBB98_184
; %bb.179:
	s_mov_b32 s3, exec_lo
	v_cmpx_eq_u32_e32 8, v216
	s_cbranch_execz .LBB98_183
; %bb.180:
	v_cmp_ne_u32_e32 vcc_lo, 8, v208
	s_xor_b32 s6, s4, -1
	s_delay_alu instid0(SALU_CYCLE_1) | instskip(NEXT) | instid1(SALU_CYCLE_1)
	s_and_b32 s7, s6, vcc_lo
	s_and_saveexec_b32 s6, s7
	s_cbranch_execz .LBB98_182
; %bb.181:
	v_ashrrev_i32_e32 v209, 31, v208
	s_delay_alu instid0(VALU_DEP_1) | instskip(NEXT) | instid1(VALU_DEP_1)
	v_lshlrev_b64 v[215:216], 2, v[208:209]
	v_add_co_u32 v215, vcc_lo, v206, v215
	s_delay_alu instid0(VALU_DEP_2)
	v_add_co_ci_u32_e32 v216, vcc_lo, v207, v216, vcc_lo
	s_clause 0x1
	flat_load_b32 v209, v[215:216]
	flat_load_b32 v217, v[206:207] offset:32
	s_waitcnt vmcnt(1) lgkmcnt(1)
	flat_store_b32 v[206:207], v209 offset:32
	s_waitcnt vmcnt(0) lgkmcnt(1)
	flat_store_b32 v[215:216], v217
.LBB98_182:
	s_or_b32 exec_lo, exec_lo, s6
	v_mov_b32_e32 v216, v208
	v_mov_b32_e32 v215, v208
.LBB98_183:
	s_or_b32 exec_lo, exec_lo, s3
.LBB98_184:
	s_and_not1_saveexec_b32 s2, s2
	s_cbranch_execz .LBB98_186
; %bb.185:
	v_mov_b32_e32 v216, 8
	ds_store_2addr_b64 v210, v[160:161], v[162:163] offset0:18 offset1:19
	ds_store_2addr_b64 v210, v[156:157], v[158:159] offset0:20 offset1:21
	;; [unrolled: 1-line block ×41, first 2 shown]
.LBB98_186:
	s_or_b32 exec_lo, exec_lo, s2
	s_delay_alu instid0(SALU_CYCLE_1)
	s_mov_b32 s2, exec_lo
	s_waitcnt lgkmcnt(0)
	s_waitcnt_vscnt null, 0x0
	s_barrier
	buffer_gl0_inv
	v_cmpx_lt_i32_e32 8, v216
	s_cbranch_execz .LBB98_188
; %bb.187:
	v_mul_f64 v[208:209], v[202:203], v[166:167]
	v_mul_f64 v[166:167], v[200:201], v[166:167]
	s_delay_alu instid0(VALU_DEP_2) | instskip(NEXT) | instid1(VALU_DEP_2)
	v_fma_f64 v[208:209], v[200:201], v[164:165], -v[208:209]
	v_fma_f64 v[166:167], v[202:203], v[164:165], v[166:167]
	ds_load_2addr_b64 v[200:203], v210 offset0:18 offset1:19
	s_waitcnt lgkmcnt(0)
	v_mul_f64 v[164:165], v[202:203], v[166:167]
	s_delay_alu instid0(VALU_DEP_1) | instskip(SKIP_1) | instid1(VALU_DEP_2)
	v_fma_f64 v[164:165], v[200:201], v[208:209], -v[164:165]
	v_mul_f64 v[200:201], v[200:201], v[166:167]
	v_add_f64 v[160:161], v[160:161], -v[164:165]
	s_delay_alu instid0(VALU_DEP_2) | instskip(NEXT) | instid1(VALU_DEP_1)
	v_fma_f64 v[200:201], v[202:203], v[208:209], v[200:201]
	v_add_f64 v[162:163], v[162:163], -v[200:201]
	ds_load_2addr_b64 v[200:203], v210 offset0:20 offset1:21
	s_waitcnt lgkmcnt(0)
	v_mul_f64 v[164:165], v[202:203], v[166:167]
	s_delay_alu instid0(VALU_DEP_1) | instskip(SKIP_1) | instid1(VALU_DEP_2)
	v_fma_f64 v[164:165], v[200:201], v[208:209], -v[164:165]
	v_mul_f64 v[200:201], v[200:201], v[166:167]
	v_add_f64 v[156:157], v[156:157], -v[164:165]
	s_delay_alu instid0(VALU_DEP_2) | instskip(NEXT) | instid1(VALU_DEP_1)
	v_fma_f64 v[200:201], v[202:203], v[208:209], v[200:201]
	v_add_f64 v[158:159], v[158:159], -v[200:201]
	;; [unrolled: 10-line block ×40, first 2 shown]
	ds_load_2addr_b64 v[200:203], v210 offset0:98 offset1:99
	s_waitcnt lgkmcnt(0)
	v_mul_f64 v[164:165], v[202:203], v[166:167]
	s_delay_alu instid0(VALU_DEP_1) | instskip(SKIP_1) | instid1(VALU_DEP_2)
	v_fma_f64 v[164:165], v[200:201], v[208:209], -v[164:165]
	v_mul_f64 v[200:201], v[200:201], v[166:167]
	v_add_f64 v[0:1], v[0:1], -v[164:165]
	s_delay_alu instid0(VALU_DEP_2) | instskip(SKIP_1) | instid1(VALU_DEP_2)
	v_fma_f64 v[200:201], v[202:203], v[208:209], v[200:201]
	v_dual_mov_b32 v164, v208 :: v_dual_mov_b32 v165, v209
	v_add_f64 v[2:3], v[2:3], -v[200:201]
.LBB98_188:
	s_or_b32 exec_lo, exec_lo, s2
	v_lshl_add_u32 v200, v216, 4, v210
	s_barrier
	buffer_gl0_inv
	v_mov_b32_e32 v208, 9
	ds_store_2addr_b64 v200, v[160:161], v[162:163] offset1:1
	s_waitcnt lgkmcnt(0)
	s_barrier
	buffer_gl0_inv
	ds_load_2addr_b64 v[200:203], v210 offset0:18 offset1:19
	s_cmp_lt_i32 s5, 11
	s_cbranch_scc1 .LBB98_191
; %bb.189:
	v_add3_u32 v209, v214, 0, 0xa0
	v_mov_b32_e32 v208, 9
	s_mov_b32 s6, 10
	s_set_inst_prefetch_distance 0x1
	.p2align	6
.LBB98_190:                             ; =>This Inner Loop Header: Depth=1
	ds_load_2addr_b64 v[217:220], v209 offset1:1
	s_waitcnt lgkmcnt(1)
	v_cmp_gt_f64_e32 vcc_lo, 0, v[200:201]
	v_xor_b32_e32 v221, 0x80000000, v201
	v_cmp_gt_f64_e64 s2, 0, v[202:203]
	v_xor_b32_e32 v223, 0x80000000, v203
	v_add_nc_u32_e32 v209, 16, v209
	s_waitcnt lgkmcnt(0)
	v_cmp_gt_f64_e64 s3, 0, v[217:218]
	v_mov_b32_e32 v225, v217
	v_dual_mov_b32 v227, v219 :: v_dual_cndmask_b32 v222, v201, v221
	v_xor_b32_e32 v221, 0x80000000, v218
	v_cndmask_b32_e64 v224, v203, v223, s2
	v_xor_b32_e32 v223, 0x80000000, v220
	s_delay_alu instid0(VALU_DEP_3) | instskip(SKIP_2) | instid1(VALU_DEP_2)
	v_cndmask_b32_e64 v226, v218, v221, s3
	v_cmp_gt_f64_e64 s3, 0, v[219:220]
	v_cndmask_b32_e32 v221, v200, v200, vcc_lo
	v_cndmask_b32_e64 v228, v220, v223, s3
	v_cndmask_b32_e64 v223, v202, v202, s2
	s_delay_alu instid0(VALU_DEP_2) | instskip(NEXT) | instid1(VALU_DEP_2)
	v_add_f64 v[225:226], v[225:226], v[227:228]
	v_add_f64 v[221:222], v[221:222], v[223:224]
	s_delay_alu instid0(VALU_DEP_1) | instskip(SKIP_4) | instid1(SALU_CYCLE_1)
	v_cmp_lt_f64_e32 vcc_lo, v[221:222], v[225:226]
	v_dual_cndmask_b32 v202, v202, v219 :: v_dual_cndmask_b32 v201, v201, v218
	v_dual_cndmask_b32 v200, v200, v217 :: v_dual_cndmask_b32 v203, v203, v220
	v_cndmask_b32_e64 v208, v208, s6, vcc_lo
	s_add_i32 s6, s6, 1
	s_cmp_lg_u32 s5, s6
	s_cbranch_scc1 .LBB98_190
.LBB98_191:
	s_set_inst_prefetch_distance 0x2
	s_waitcnt lgkmcnt(0)
	v_cmp_eq_f64_e32 vcc_lo, 0, v[200:201]
	v_cmp_eq_f64_e64 s2, 0, v[202:203]
	s_delay_alu instid0(VALU_DEP_1) | instskip(NEXT) | instid1(SALU_CYCLE_1)
	s_and_b32 s2, vcc_lo, s2
	s_and_saveexec_b32 s3, s2
	s_delay_alu instid0(SALU_CYCLE_1)
	s_xor_b32 s2, exec_lo, s3
; %bb.192:
	v_cmp_ne_u32_e32 vcc_lo, 0, v213
	v_cndmask_b32_e32 v213, 10, v213, vcc_lo
; %bb.193:
	s_and_not1_saveexec_b32 s3, s2
	s_cbranch_execz .LBB98_199
; %bb.194:
	v_cmp_gt_f64_e32 vcc_lo, 0, v[200:201]
	v_cmp_gt_f64_e64 s2, 0, v[202:203]
	v_xor_b32_e32 v209, 0x80000000, v201
	v_xor_b32_e32 v217, 0x80000000, v203
	s_delay_alu instid0(VALU_DEP_2) | instskip(NEXT) | instid1(VALU_DEP_2)
	v_cndmask_b32_e32 v218, v201, v209, vcc_lo
	v_cndmask_b32_e64 v220, v203, v217, s2
	v_cndmask_b32_e32 v217, v200, v200, vcc_lo
	v_cndmask_b32_e64 v219, v202, v202, s2
	s_mov_b32 s2, exec_lo
	s_delay_alu instid0(VALU_DEP_1)
	v_cmpx_ngt_f64_e32 v[217:218], v[219:220]
	s_xor_b32 s2, exec_lo, s2
	s_cbranch_execz .LBB98_196
; %bb.195:
	v_div_scale_f64 v[217:218], null, v[202:203], v[202:203], v[200:201]
	v_div_scale_f64 v[223:224], vcc_lo, v[200:201], v[202:203], v[200:201]
	s_delay_alu instid0(VALU_DEP_2) | instskip(SKIP_2) | instid1(VALU_DEP_1)
	v_rcp_f64_e32 v[219:220], v[217:218]
	s_waitcnt_depctr 0xfff
	v_fma_f64 v[221:222], -v[217:218], v[219:220], 1.0
	v_fma_f64 v[219:220], v[219:220], v[221:222], v[219:220]
	s_delay_alu instid0(VALU_DEP_1) | instskip(NEXT) | instid1(VALU_DEP_1)
	v_fma_f64 v[221:222], -v[217:218], v[219:220], 1.0
	v_fma_f64 v[219:220], v[219:220], v[221:222], v[219:220]
	s_delay_alu instid0(VALU_DEP_1) | instskip(NEXT) | instid1(VALU_DEP_1)
	v_mul_f64 v[221:222], v[223:224], v[219:220]
	v_fma_f64 v[217:218], -v[217:218], v[221:222], v[223:224]
	s_delay_alu instid0(VALU_DEP_1) | instskip(NEXT) | instid1(VALU_DEP_1)
	v_div_fmas_f64 v[217:218], v[217:218], v[219:220], v[221:222]
	v_div_fixup_f64 v[217:218], v[217:218], v[202:203], v[200:201]
	s_delay_alu instid0(VALU_DEP_1) | instskip(NEXT) | instid1(VALU_DEP_1)
	v_fma_f64 v[200:201], v[200:201], v[217:218], v[202:203]
	v_div_scale_f64 v[202:203], null, v[200:201], v[200:201], 1.0
	s_delay_alu instid0(VALU_DEP_1) | instskip(SKIP_2) | instid1(VALU_DEP_1)
	v_rcp_f64_e32 v[219:220], v[202:203]
	s_waitcnt_depctr 0xfff
	v_fma_f64 v[221:222], -v[202:203], v[219:220], 1.0
	v_fma_f64 v[219:220], v[219:220], v[221:222], v[219:220]
	s_delay_alu instid0(VALU_DEP_1) | instskip(NEXT) | instid1(VALU_DEP_1)
	v_fma_f64 v[221:222], -v[202:203], v[219:220], 1.0
	v_fma_f64 v[219:220], v[219:220], v[221:222], v[219:220]
	v_div_scale_f64 v[221:222], vcc_lo, 1.0, v[200:201], 1.0
	s_delay_alu instid0(VALU_DEP_1) | instskip(NEXT) | instid1(VALU_DEP_1)
	v_mul_f64 v[223:224], v[221:222], v[219:220]
	v_fma_f64 v[202:203], -v[202:203], v[223:224], v[221:222]
	s_delay_alu instid0(VALU_DEP_1) | instskip(NEXT) | instid1(VALU_DEP_1)
	v_div_fmas_f64 v[202:203], v[202:203], v[219:220], v[223:224]
	v_div_fixup_f64 v[202:203], v[202:203], v[200:201], 1.0
	s_delay_alu instid0(VALU_DEP_1)
	v_mul_f64 v[200:201], v[217:218], v[202:203]
	v_xor_b32_e32 v203, 0x80000000, v203
.LBB98_196:
	s_and_not1_saveexec_b32 s2, s2
	s_cbranch_execz .LBB98_198
; %bb.197:
	s_delay_alu instid0(VALU_DEP_1) | instskip(SKIP_1) | instid1(VALU_DEP_2)
	v_div_scale_f64 v[217:218], null, v[200:201], v[200:201], v[202:203]
	v_div_scale_f64 v[223:224], vcc_lo, v[202:203], v[200:201], v[202:203]
	v_rcp_f64_e32 v[219:220], v[217:218]
	s_waitcnt_depctr 0xfff
	v_fma_f64 v[221:222], -v[217:218], v[219:220], 1.0
	s_delay_alu instid0(VALU_DEP_1) | instskip(NEXT) | instid1(VALU_DEP_1)
	v_fma_f64 v[219:220], v[219:220], v[221:222], v[219:220]
	v_fma_f64 v[221:222], -v[217:218], v[219:220], 1.0
	s_delay_alu instid0(VALU_DEP_1) | instskip(NEXT) | instid1(VALU_DEP_1)
	v_fma_f64 v[219:220], v[219:220], v[221:222], v[219:220]
	v_mul_f64 v[221:222], v[223:224], v[219:220]
	s_delay_alu instid0(VALU_DEP_1) | instskip(NEXT) | instid1(VALU_DEP_1)
	v_fma_f64 v[217:218], -v[217:218], v[221:222], v[223:224]
	v_div_fmas_f64 v[217:218], v[217:218], v[219:220], v[221:222]
	s_delay_alu instid0(VALU_DEP_1) | instskip(NEXT) | instid1(VALU_DEP_1)
	v_div_fixup_f64 v[217:218], v[217:218], v[200:201], v[202:203]
	v_fma_f64 v[200:201], v[202:203], v[217:218], v[200:201]
	s_delay_alu instid0(VALU_DEP_1) | instskip(NEXT) | instid1(VALU_DEP_1)
	v_div_scale_f64 v[202:203], null, v[200:201], v[200:201], 1.0
	v_rcp_f64_e32 v[219:220], v[202:203]
	s_waitcnt_depctr 0xfff
	v_fma_f64 v[221:222], -v[202:203], v[219:220], 1.0
	s_delay_alu instid0(VALU_DEP_1) | instskip(NEXT) | instid1(VALU_DEP_1)
	v_fma_f64 v[219:220], v[219:220], v[221:222], v[219:220]
	v_fma_f64 v[221:222], -v[202:203], v[219:220], 1.0
	s_delay_alu instid0(VALU_DEP_1) | instskip(SKIP_1) | instid1(VALU_DEP_1)
	v_fma_f64 v[219:220], v[219:220], v[221:222], v[219:220]
	v_div_scale_f64 v[221:222], vcc_lo, 1.0, v[200:201], 1.0
	v_mul_f64 v[223:224], v[221:222], v[219:220]
	s_delay_alu instid0(VALU_DEP_1) | instskip(NEXT) | instid1(VALU_DEP_1)
	v_fma_f64 v[202:203], -v[202:203], v[223:224], v[221:222]
	v_div_fmas_f64 v[202:203], v[202:203], v[219:220], v[223:224]
	s_delay_alu instid0(VALU_DEP_1) | instskip(NEXT) | instid1(VALU_DEP_1)
	v_div_fixup_f64 v[200:201], v[202:203], v[200:201], 1.0
	v_mul_f64 v[202:203], v[217:218], -v[200:201]
.LBB98_198:
	s_or_b32 exec_lo, exec_lo, s2
.LBB98_199:
	s_delay_alu instid0(SALU_CYCLE_1) | instskip(NEXT) | instid1(SALU_CYCLE_1)
	s_or_b32 exec_lo, exec_lo, s3
	s_mov_b32 s2, exec_lo
	v_cmpx_ne_u32_e64 v216, v208
	s_xor_b32 s2, exec_lo, s2
	s_cbranch_execz .LBB98_205
; %bb.200:
	s_mov_b32 s3, exec_lo
	v_cmpx_eq_u32_e32 9, v216
	s_cbranch_execz .LBB98_204
; %bb.201:
	v_cmp_ne_u32_e32 vcc_lo, 9, v208
	s_xor_b32 s6, s4, -1
	s_delay_alu instid0(SALU_CYCLE_1) | instskip(NEXT) | instid1(SALU_CYCLE_1)
	s_and_b32 s7, s6, vcc_lo
	s_and_saveexec_b32 s6, s7
	s_cbranch_execz .LBB98_203
; %bb.202:
	v_ashrrev_i32_e32 v209, 31, v208
	s_delay_alu instid0(VALU_DEP_1) | instskip(NEXT) | instid1(VALU_DEP_1)
	v_lshlrev_b64 v[215:216], 2, v[208:209]
	v_add_co_u32 v215, vcc_lo, v206, v215
	s_delay_alu instid0(VALU_DEP_2)
	v_add_co_ci_u32_e32 v216, vcc_lo, v207, v216, vcc_lo
	s_clause 0x1
	flat_load_b32 v209, v[215:216]
	flat_load_b32 v217, v[206:207] offset:36
	s_waitcnt vmcnt(1) lgkmcnt(1)
	flat_store_b32 v[206:207], v209 offset:36
	s_waitcnt vmcnt(0) lgkmcnt(1)
	flat_store_b32 v[215:216], v217
.LBB98_203:
	s_or_b32 exec_lo, exec_lo, s6
	v_mov_b32_e32 v216, v208
	v_mov_b32_e32 v215, v208
.LBB98_204:
	s_or_b32 exec_lo, exec_lo, s3
.LBB98_205:
	s_and_not1_saveexec_b32 s2, s2
	s_cbranch_execz .LBB98_207
; %bb.206:
	v_mov_b32_e32 v216, 9
	ds_store_2addr_b64 v210, v[156:157], v[158:159] offset0:20 offset1:21
	ds_store_2addr_b64 v210, v[152:153], v[154:155] offset0:22 offset1:23
	ds_store_2addr_b64 v210, v[148:149], v[150:151] offset0:24 offset1:25
	ds_store_2addr_b64 v210, v[144:145], v[146:147] offset0:26 offset1:27
	ds_store_2addr_b64 v210, v[140:141], v[142:143] offset0:28 offset1:29
	ds_store_2addr_b64 v210, v[136:137], v[138:139] offset0:30 offset1:31
	ds_store_2addr_b64 v210, v[132:133], v[134:135] offset0:32 offset1:33
	ds_store_2addr_b64 v210, v[128:129], v[130:131] offset0:34 offset1:35
	ds_store_2addr_b64 v210, v[124:125], v[126:127] offset0:36 offset1:37
	ds_store_2addr_b64 v210, v[120:121], v[122:123] offset0:38 offset1:39
	ds_store_2addr_b64 v210, v[116:117], v[118:119] offset0:40 offset1:41
	ds_store_2addr_b64 v210, v[112:113], v[114:115] offset0:42 offset1:43
	ds_store_2addr_b64 v210, v[108:109], v[110:111] offset0:44 offset1:45
	ds_store_2addr_b64 v210, v[104:105], v[106:107] offset0:46 offset1:47
	ds_store_2addr_b64 v210, v[100:101], v[102:103] offset0:48 offset1:49
	ds_store_2addr_b64 v210, v[96:97], v[98:99] offset0:50 offset1:51
	ds_store_2addr_b64 v210, v[92:93], v[94:95] offset0:52 offset1:53
	ds_store_2addr_b64 v210, v[88:89], v[90:91] offset0:54 offset1:55
	ds_store_2addr_b64 v210, v[84:85], v[86:87] offset0:56 offset1:57
	ds_store_2addr_b64 v210, v[80:81], v[82:83] offset0:58 offset1:59
	ds_store_2addr_b64 v210, v[76:77], v[78:79] offset0:60 offset1:61
	ds_store_2addr_b64 v210, v[72:73], v[74:75] offset0:62 offset1:63
	ds_store_2addr_b64 v210, v[68:69], v[70:71] offset0:64 offset1:65
	ds_store_2addr_b64 v210, v[64:65], v[66:67] offset0:66 offset1:67
	ds_store_2addr_b64 v210, v[60:61], v[62:63] offset0:68 offset1:69
	ds_store_2addr_b64 v210, v[56:57], v[58:59] offset0:70 offset1:71
	ds_store_2addr_b64 v210, v[52:53], v[54:55] offset0:72 offset1:73
	ds_store_2addr_b64 v210, v[48:49], v[50:51] offset0:74 offset1:75
	ds_store_2addr_b64 v210, v[44:45], v[46:47] offset0:76 offset1:77
	ds_store_2addr_b64 v210, v[40:41], v[42:43] offset0:78 offset1:79
	ds_store_2addr_b64 v210, v[36:37], v[38:39] offset0:80 offset1:81
	ds_store_2addr_b64 v210, v[32:33], v[34:35] offset0:82 offset1:83
	ds_store_2addr_b64 v210, v[28:29], v[30:31] offset0:84 offset1:85
	ds_store_2addr_b64 v210, v[24:25], v[26:27] offset0:86 offset1:87
	ds_store_2addr_b64 v210, v[20:21], v[22:23] offset0:88 offset1:89
	ds_store_2addr_b64 v210, v[16:17], v[18:19] offset0:90 offset1:91
	ds_store_2addr_b64 v210, v[12:13], v[14:15] offset0:92 offset1:93
	ds_store_2addr_b64 v210, v[8:9], v[10:11] offset0:94 offset1:95
	ds_store_2addr_b64 v210, v[4:5], v[6:7] offset0:96 offset1:97
	ds_store_2addr_b64 v210, v[0:1], v[2:3] offset0:98 offset1:99
.LBB98_207:
	s_or_b32 exec_lo, exec_lo, s2
	s_delay_alu instid0(SALU_CYCLE_1)
	s_mov_b32 s2, exec_lo
	s_waitcnt lgkmcnt(0)
	s_waitcnt_vscnt null, 0x0
	s_barrier
	buffer_gl0_inv
	v_cmpx_lt_i32_e32 9, v216
	s_cbranch_execz .LBB98_209
; %bb.208:
	v_mul_f64 v[208:209], v[202:203], v[162:163]
	v_mul_f64 v[162:163], v[200:201], v[162:163]
	s_delay_alu instid0(VALU_DEP_2) | instskip(NEXT) | instid1(VALU_DEP_2)
	v_fma_f64 v[208:209], v[200:201], v[160:161], -v[208:209]
	v_fma_f64 v[162:163], v[202:203], v[160:161], v[162:163]
	ds_load_2addr_b64 v[200:203], v210 offset0:20 offset1:21
	s_waitcnt lgkmcnt(0)
	v_mul_f64 v[160:161], v[202:203], v[162:163]
	s_delay_alu instid0(VALU_DEP_1) | instskip(SKIP_1) | instid1(VALU_DEP_2)
	v_fma_f64 v[160:161], v[200:201], v[208:209], -v[160:161]
	v_mul_f64 v[200:201], v[200:201], v[162:163]
	v_add_f64 v[156:157], v[156:157], -v[160:161]
	s_delay_alu instid0(VALU_DEP_2) | instskip(NEXT) | instid1(VALU_DEP_1)
	v_fma_f64 v[200:201], v[202:203], v[208:209], v[200:201]
	v_add_f64 v[158:159], v[158:159], -v[200:201]
	ds_load_2addr_b64 v[200:203], v210 offset0:22 offset1:23
	s_waitcnt lgkmcnt(0)
	v_mul_f64 v[160:161], v[202:203], v[162:163]
	s_delay_alu instid0(VALU_DEP_1) | instskip(SKIP_1) | instid1(VALU_DEP_2)
	v_fma_f64 v[160:161], v[200:201], v[208:209], -v[160:161]
	v_mul_f64 v[200:201], v[200:201], v[162:163]
	v_add_f64 v[152:153], v[152:153], -v[160:161]
	s_delay_alu instid0(VALU_DEP_2) | instskip(NEXT) | instid1(VALU_DEP_1)
	v_fma_f64 v[200:201], v[202:203], v[208:209], v[200:201]
	v_add_f64 v[154:155], v[154:155], -v[200:201]
	;; [unrolled: 10-line block ×39, first 2 shown]
	ds_load_2addr_b64 v[200:203], v210 offset0:98 offset1:99
	s_waitcnt lgkmcnt(0)
	v_mul_f64 v[160:161], v[202:203], v[162:163]
	s_delay_alu instid0(VALU_DEP_1) | instskip(SKIP_1) | instid1(VALU_DEP_2)
	v_fma_f64 v[160:161], v[200:201], v[208:209], -v[160:161]
	v_mul_f64 v[200:201], v[200:201], v[162:163]
	v_add_f64 v[0:1], v[0:1], -v[160:161]
	s_delay_alu instid0(VALU_DEP_2) | instskip(SKIP_1) | instid1(VALU_DEP_2)
	v_fma_f64 v[200:201], v[202:203], v[208:209], v[200:201]
	v_dual_mov_b32 v160, v208 :: v_dual_mov_b32 v161, v209
	v_add_f64 v[2:3], v[2:3], -v[200:201]
.LBB98_209:
	s_or_b32 exec_lo, exec_lo, s2
	v_lshl_add_u32 v200, v216, 4, v210
	s_barrier
	buffer_gl0_inv
	v_mov_b32_e32 v208, 10
	ds_store_2addr_b64 v200, v[156:157], v[158:159] offset1:1
	s_waitcnt lgkmcnt(0)
	s_barrier
	buffer_gl0_inv
	ds_load_2addr_b64 v[200:203], v210 offset0:20 offset1:21
	s_cmp_lt_i32 s5, 12
	s_cbranch_scc1 .LBB98_212
; %bb.210:
	v_add3_u32 v209, v214, 0, 0xb0
	v_mov_b32_e32 v208, 10
	s_mov_b32 s6, 11
	s_set_inst_prefetch_distance 0x1
	.p2align	6
.LBB98_211:                             ; =>This Inner Loop Header: Depth=1
	ds_load_2addr_b64 v[217:220], v209 offset1:1
	s_waitcnt lgkmcnt(1)
	v_cmp_gt_f64_e32 vcc_lo, 0, v[200:201]
	v_xor_b32_e32 v221, 0x80000000, v201
	v_cmp_gt_f64_e64 s2, 0, v[202:203]
	v_xor_b32_e32 v223, 0x80000000, v203
	v_add_nc_u32_e32 v209, 16, v209
	s_waitcnt lgkmcnt(0)
	v_cmp_gt_f64_e64 s3, 0, v[217:218]
	v_mov_b32_e32 v225, v217
	v_dual_mov_b32 v227, v219 :: v_dual_cndmask_b32 v222, v201, v221
	v_xor_b32_e32 v221, 0x80000000, v218
	v_cndmask_b32_e64 v224, v203, v223, s2
	v_xor_b32_e32 v223, 0x80000000, v220
	s_delay_alu instid0(VALU_DEP_3) | instskip(SKIP_2) | instid1(VALU_DEP_2)
	v_cndmask_b32_e64 v226, v218, v221, s3
	v_cmp_gt_f64_e64 s3, 0, v[219:220]
	v_cndmask_b32_e32 v221, v200, v200, vcc_lo
	v_cndmask_b32_e64 v228, v220, v223, s3
	v_cndmask_b32_e64 v223, v202, v202, s2
	s_delay_alu instid0(VALU_DEP_2) | instskip(NEXT) | instid1(VALU_DEP_2)
	v_add_f64 v[225:226], v[225:226], v[227:228]
	v_add_f64 v[221:222], v[221:222], v[223:224]
	s_delay_alu instid0(VALU_DEP_1) | instskip(SKIP_4) | instid1(SALU_CYCLE_1)
	v_cmp_lt_f64_e32 vcc_lo, v[221:222], v[225:226]
	v_dual_cndmask_b32 v202, v202, v219 :: v_dual_cndmask_b32 v201, v201, v218
	v_dual_cndmask_b32 v200, v200, v217 :: v_dual_cndmask_b32 v203, v203, v220
	v_cndmask_b32_e64 v208, v208, s6, vcc_lo
	s_add_i32 s6, s6, 1
	s_cmp_lg_u32 s5, s6
	s_cbranch_scc1 .LBB98_211
.LBB98_212:
	s_set_inst_prefetch_distance 0x2
	s_waitcnt lgkmcnt(0)
	v_cmp_eq_f64_e32 vcc_lo, 0, v[200:201]
	v_cmp_eq_f64_e64 s2, 0, v[202:203]
	s_delay_alu instid0(VALU_DEP_1) | instskip(NEXT) | instid1(SALU_CYCLE_1)
	s_and_b32 s2, vcc_lo, s2
	s_and_saveexec_b32 s3, s2
	s_delay_alu instid0(SALU_CYCLE_1)
	s_xor_b32 s2, exec_lo, s3
; %bb.213:
	v_cmp_ne_u32_e32 vcc_lo, 0, v213
	v_cndmask_b32_e32 v213, 11, v213, vcc_lo
; %bb.214:
	s_and_not1_saveexec_b32 s3, s2
	s_cbranch_execz .LBB98_220
; %bb.215:
	v_cmp_gt_f64_e32 vcc_lo, 0, v[200:201]
	v_cmp_gt_f64_e64 s2, 0, v[202:203]
	v_xor_b32_e32 v209, 0x80000000, v201
	v_xor_b32_e32 v217, 0x80000000, v203
	s_delay_alu instid0(VALU_DEP_2) | instskip(NEXT) | instid1(VALU_DEP_2)
	v_cndmask_b32_e32 v218, v201, v209, vcc_lo
	v_cndmask_b32_e64 v220, v203, v217, s2
	v_cndmask_b32_e32 v217, v200, v200, vcc_lo
	v_cndmask_b32_e64 v219, v202, v202, s2
	s_mov_b32 s2, exec_lo
	s_delay_alu instid0(VALU_DEP_1)
	v_cmpx_ngt_f64_e32 v[217:218], v[219:220]
	s_xor_b32 s2, exec_lo, s2
	s_cbranch_execz .LBB98_217
; %bb.216:
	v_div_scale_f64 v[217:218], null, v[202:203], v[202:203], v[200:201]
	v_div_scale_f64 v[223:224], vcc_lo, v[200:201], v[202:203], v[200:201]
	s_delay_alu instid0(VALU_DEP_2) | instskip(SKIP_2) | instid1(VALU_DEP_1)
	v_rcp_f64_e32 v[219:220], v[217:218]
	s_waitcnt_depctr 0xfff
	v_fma_f64 v[221:222], -v[217:218], v[219:220], 1.0
	v_fma_f64 v[219:220], v[219:220], v[221:222], v[219:220]
	s_delay_alu instid0(VALU_DEP_1) | instskip(NEXT) | instid1(VALU_DEP_1)
	v_fma_f64 v[221:222], -v[217:218], v[219:220], 1.0
	v_fma_f64 v[219:220], v[219:220], v[221:222], v[219:220]
	s_delay_alu instid0(VALU_DEP_1) | instskip(NEXT) | instid1(VALU_DEP_1)
	v_mul_f64 v[221:222], v[223:224], v[219:220]
	v_fma_f64 v[217:218], -v[217:218], v[221:222], v[223:224]
	s_delay_alu instid0(VALU_DEP_1) | instskip(NEXT) | instid1(VALU_DEP_1)
	v_div_fmas_f64 v[217:218], v[217:218], v[219:220], v[221:222]
	v_div_fixup_f64 v[217:218], v[217:218], v[202:203], v[200:201]
	s_delay_alu instid0(VALU_DEP_1) | instskip(NEXT) | instid1(VALU_DEP_1)
	v_fma_f64 v[200:201], v[200:201], v[217:218], v[202:203]
	v_div_scale_f64 v[202:203], null, v[200:201], v[200:201], 1.0
	s_delay_alu instid0(VALU_DEP_1) | instskip(SKIP_2) | instid1(VALU_DEP_1)
	v_rcp_f64_e32 v[219:220], v[202:203]
	s_waitcnt_depctr 0xfff
	v_fma_f64 v[221:222], -v[202:203], v[219:220], 1.0
	v_fma_f64 v[219:220], v[219:220], v[221:222], v[219:220]
	s_delay_alu instid0(VALU_DEP_1) | instskip(NEXT) | instid1(VALU_DEP_1)
	v_fma_f64 v[221:222], -v[202:203], v[219:220], 1.0
	v_fma_f64 v[219:220], v[219:220], v[221:222], v[219:220]
	v_div_scale_f64 v[221:222], vcc_lo, 1.0, v[200:201], 1.0
	s_delay_alu instid0(VALU_DEP_1) | instskip(NEXT) | instid1(VALU_DEP_1)
	v_mul_f64 v[223:224], v[221:222], v[219:220]
	v_fma_f64 v[202:203], -v[202:203], v[223:224], v[221:222]
	s_delay_alu instid0(VALU_DEP_1) | instskip(NEXT) | instid1(VALU_DEP_1)
	v_div_fmas_f64 v[202:203], v[202:203], v[219:220], v[223:224]
	v_div_fixup_f64 v[202:203], v[202:203], v[200:201], 1.0
	s_delay_alu instid0(VALU_DEP_1)
	v_mul_f64 v[200:201], v[217:218], v[202:203]
	v_xor_b32_e32 v203, 0x80000000, v203
.LBB98_217:
	s_and_not1_saveexec_b32 s2, s2
	s_cbranch_execz .LBB98_219
; %bb.218:
	s_delay_alu instid0(VALU_DEP_1) | instskip(SKIP_1) | instid1(VALU_DEP_2)
	v_div_scale_f64 v[217:218], null, v[200:201], v[200:201], v[202:203]
	v_div_scale_f64 v[223:224], vcc_lo, v[202:203], v[200:201], v[202:203]
	v_rcp_f64_e32 v[219:220], v[217:218]
	s_waitcnt_depctr 0xfff
	v_fma_f64 v[221:222], -v[217:218], v[219:220], 1.0
	s_delay_alu instid0(VALU_DEP_1) | instskip(NEXT) | instid1(VALU_DEP_1)
	v_fma_f64 v[219:220], v[219:220], v[221:222], v[219:220]
	v_fma_f64 v[221:222], -v[217:218], v[219:220], 1.0
	s_delay_alu instid0(VALU_DEP_1) | instskip(NEXT) | instid1(VALU_DEP_1)
	v_fma_f64 v[219:220], v[219:220], v[221:222], v[219:220]
	v_mul_f64 v[221:222], v[223:224], v[219:220]
	s_delay_alu instid0(VALU_DEP_1) | instskip(NEXT) | instid1(VALU_DEP_1)
	v_fma_f64 v[217:218], -v[217:218], v[221:222], v[223:224]
	v_div_fmas_f64 v[217:218], v[217:218], v[219:220], v[221:222]
	s_delay_alu instid0(VALU_DEP_1) | instskip(NEXT) | instid1(VALU_DEP_1)
	v_div_fixup_f64 v[217:218], v[217:218], v[200:201], v[202:203]
	v_fma_f64 v[200:201], v[202:203], v[217:218], v[200:201]
	s_delay_alu instid0(VALU_DEP_1) | instskip(NEXT) | instid1(VALU_DEP_1)
	v_div_scale_f64 v[202:203], null, v[200:201], v[200:201], 1.0
	v_rcp_f64_e32 v[219:220], v[202:203]
	s_waitcnt_depctr 0xfff
	v_fma_f64 v[221:222], -v[202:203], v[219:220], 1.0
	s_delay_alu instid0(VALU_DEP_1) | instskip(NEXT) | instid1(VALU_DEP_1)
	v_fma_f64 v[219:220], v[219:220], v[221:222], v[219:220]
	v_fma_f64 v[221:222], -v[202:203], v[219:220], 1.0
	s_delay_alu instid0(VALU_DEP_1) | instskip(SKIP_1) | instid1(VALU_DEP_1)
	v_fma_f64 v[219:220], v[219:220], v[221:222], v[219:220]
	v_div_scale_f64 v[221:222], vcc_lo, 1.0, v[200:201], 1.0
	v_mul_f64 v[223:224], v[221:222], v[219:220]
	s_delay_alu instid0(VALU_DEP_1) | instskip(NEXT) | instid1(VALU_DEP_1)
	v_fma_f64 v[202:203], -v[202:203], v[223:224], v[221:222]
	v_div_fmas_f64 v[202:203], v[202:203], v[219:220], v[223:224]
	s_delay_alu instid0(VALU_DEP_1) | instskip(NEXT) | instid1(VALU_DEP_1)
	v_div_fixup_f64 v[200:201], v[202:203], v[200:201], 1.0
	v_mul_f64 v[202:203], v[217:218], -v[200:201]
.LBB98_219:
	s_or_b32 exec_lo, exec_lo, s2
.LBB98_220:
	s_delay_alu instid0(SALU_CYCLE_1) | instskip(NEXT) | instid1(SALU_CYCLE_1)
	s_or_b32 exec_lo, exec_lo, s3
	s_mov_b32 s2, exec_lo
	v_cmpx_ne_u32_e64 v216, v208
	s_xor_b32 s2, exec_lo, s2
	s_cbranch_execz .LBB98_226
; %bb.221:
	s_mov_b32 s3, exec_lo
	v_cmpx_eq_u32_e32 10, v216
	s_cbranch_execz .LBB98_225
; %bb.222:
	v_cmp_ne_u32_e32 vcc_lo, 10, v208
	s_xor_b32 s6, s4, -1
	s_delay_alu instid0(SALU_CYCLE_1) | instskip(NEXT) | instid1(SALU_CYCLE_1)
	s_and_b32 s7, s6, vcc_lo
	s_and_saveexec_b32 s6, s7
	s_cbranch_execz .LBB98_224
; %bb.223:
	v_ashrrev_i32_e32 v209, 31, v208
	s_delay_alu instid0(VALU_DEP_1) | instskip(NEXT) | instid1(VALU_DEP_1)
	v_lshlrev_b64 v[215:216], 2, v[208:209]
	v_add_co_u32 v215, vcc_lo, v206, v215
	s_delay_alu instid0(VALU_DEP_2)
	v_add_co_ci_u32_e32 v216, vcc_lo, v207, v216, vcc_lo
	s_clause 0x1
	flat_load_b32 v209, v[215:216]
	flat_load_b32 v217, v[206:207] offset:40
	s_waitcnt vmcnt(1) lgkmcnt(1)
	flat_store_b32 v[206:207], v209 offset:40
	s_waitcnt vmcnt(0) lgkmcnt(1)
	flat_store_b32 v[215:216], v217
.LBB98_224:
	s_or_b32 exec_lo, exec_lo, s6
	v_mov_b32_e32 v216, v208
	v_mov_b32_e32 v215, v208
.LBB98_225:
	s_or_b32 exec_lo, exec_lo, s3
.LBB98_226:
	s_and_not1_saveexec_b32 s2, s2
	s_cbranch_execz .LBB98_228
; %bb.227:
	v_mov_b32_e32 v216, 10
	ds_store_2addr_b64 v210, v[152:153], v[154:155] offset0:22 offset1:23
	ds_store_2addr_b64 v210, v[148:149], v[150:151] offset0:24 offset1:25
	;; [unrolled: 1-line block ×39, first 2 shown]
.LBB98_228:
	s_or_b32 exec_lo, exec_lo, s2
	s_delay_alu instid0(SALU_CYCLE_1)
	s_mov_b32 s2, exec_lo
	s_waitcnt lgkmcnt(0)
	s_waitcnt_vscnt null, 0x0
	s_barrier
	buffer_gl0_inv
	v_cmpx_lt_i32_e32 10, v216
	s_cbranch_execz .LBB98_230
; %bb.229:
	v_mul_f64 v[208:209], v[202:203], v[158:159]
	v_mul_f64 v[158:159], v[200:201], v[158:159]
	s_delay_alu instid0(VALU_DEP_2) | instskip(NEXT) | instid1(VALU_DEP_2)
	v_fma_f64 v[208:209], v[200:201], v[156:157], -v[208:209]
	v_fma_f64 v[158:159], v[202:203], v[156:157], v[158:159]
	ds_load_2addr_b64 v[200:203], v210 offset0:22 offset1:23
	s_waitcnt lgkmcnt(0)
	v_mul_f64 v[156:157], v[202:203], v[158:159]
	s_delay_alu instid0(VALU_DEP_1) | instskip(SKIP_1) | instid1(VALU_DEP_2)
	v_fma_f64 v[156:157], v[200:201], v[208:209], -v[156:157]
	v_mul_f64 v[200:201], v[200:201], v[158:159]
	v_add_f64 v[152:153], v[152:153], -v[156:157]
	s_delay_alu instid0(VALU_DEP_2) | instskip(NEXT) | instid1(VALU_DEP_1)
	v_fma_f64 v[200:201], v[202:203], v[208:209], v[200:201]
	v_add_f64 v[154:155], v[154:155], -v[200:201]
	ds_load_2addr_b64 v[200:203], v210 offset0:24 offset1:25
	s_waitcnt lgkmcnt(0)
	v_mul_f64 v[156:157], v[202:203], v[158:159]
	s_delay_alu instid0(VALU_DEP_1) | instskip(SKIP_1) | instid1(VALU_DEP_2)
	v_fma_f64 v[156:157], v[200:201], v[208:209], -v[156:157]
	v_mul_f64 v[200:201], v[200:201], v[158:159]
	v_add_f64 v[148:149], v[148:149], -v[156:157]
	s_delay_alu instid0(VALU_DEP_2) | instskip(NEXT) | instid1(VALU_DEP_1)
	v_fma_f64 v[200:201], v[202:203], v[208:209], v[200:201]
	v_add_f64 v[150:151], v[150:151], -v[200:201]
	;; [unrolled: 10-line block ×38, first 2 shown]
	ds_load_2addr_b64 v[200:203], v210 offset0:98 offset1:99
	s_waitcnt lgkmcnt(0)
	v_mul_f64 v[156:157], v[202:203], v[158:159]
	s_delay_alu instid0(VALU_DEP_1) | instskip(SKIP_1) | instid1(VALU_DEP_2)
	v_fma_f64 v[156:157], v[200:201], v[208:209], -v[156:157]
	v_mul_f64 v[200:201], v[200:201], v[158:159]
	v_add_f64 v[0:1], v[0:1], -v[156:157]
	s_delay_alu instid0(VALU_DEP_2) | instskip(SKIP_1) | instid1(VALU_DEP_2)
	v_fma_f64 v[200:201], v[202:203], v[208:209], v[200:201]
	v_dual_mov_b32 v156, v208 :: v_dual_mov_b32 v157, v209
	v_add_f64 v[2:3], v[2:3], -v[200:201]
.LBB98_230:
	s_or_b32 exec_lo, exec_lo, s2
	v_lshl_add_u32 v200, v216, 4, v210
	s_barrier
	buffer_gl0_inv
	v_mov_b32_e32 v208, 11
	ds_store_2addr_b64 v200, v[152:153], v[154:155] offset1:1
	s_waitcnt lgkmcnt(0)
	s_barrier
	buffer_gl0_inv
	ds_load_2addr_b64 v[200:203], v210 offset0:22 offset1:23
	s_cmp_lt_i32 s5, 13
	s_cbranch_scc1 .LBB98_233
; %bb.231:
	v_add3_u32 v209, v214, 0, 0xc0
	v_mov_b32_e32 v208, 11
	s_mov_b32 s6, 12
	s_set_inst_prefetch_distance 0x1
	.p2align	6
.LBB98_232:                             ; =>This Inner Loop Header: Depth=1
	ds_load_2addr_b64 v[217:220], v209 offset1:1
	s_waitcnt lgkmcnt(1)
	v_cmp_gt_f64_e32 vcc_lo, 0, v[200:201]
	v_xor_b32_e32 v221, 0x80000000, v201
	v_cmp_gt_f64_e64 s2, 0, v[202:203]
	v_xor_b32_e32 v223, 0x80000000, v203
	v_add_nc_u32_e32 v209, 16, v209
	s_waitcnt lgkmcnt(0)
	v_cmp_gt_f64_e64 s3, 0, v[217:218]
	v_mov_b32_e32 v225, v217
	v_dual_mov_b32 v227, v219 :: v_dual_cndmask_b32 v222, v201, v221
	v_xor_b32_e32 v221, 0x80000000, v218
	v_cndmask_b32_e64 v224, v203, v223, s2
	v_xor_b32_e32 v223, 0x80000000, v220
	s_delay_alu instid0(VALU_DEP_3) | instskip(SKIP_2) | instid1(VALU_DEP_2)
	v_cndmask_b32_e64 v226, v218, v221, s3
	v_cmp_gt_f64_e64 s3, 0, v[219:220]
	v_cndmask_b32_e32 v221, v200, v200, vcc_lo
	v_cndmask_b32_e64 v228, v220, v223, s3
	v_cndmask_b32_e64 v223, v202, v202, s2
	s_delay_alu instid0(VALU_DEP_2) | instskip(NEXT) | instid1(VALU_DEP_2)
	v_add_f64 v[225:226], v[225:226], v[227:228]
	v_add_f64 v[221:222], v[221:222], v[223:224]
	s_delay_alu instid0(VALU_DEP_1) | instskip(SKIP_4) | instid1(SALU_CYCLE_1)
	v_cmp_lt_f64_e32 vcc_lo, v[221:222], v[225:226]
	v_dual_cndmask_b32 v202, v202, v219 :: v_dual_cndmask_b32 v201, v201, v218
	v_dual_cndmask_b32 v200, v200, v217 :: v_dual_cndmask_b32 v203, v203, v220
	v_cndmask_b32_e64 v208, v208, s6, vcc_lo
	s_add_i32 s6, s6, 1
	s_cmp_lg_u32 s5, s6
	s_cbranch_scc1 .LBB98_232
.LBB98_233:
	s_set_inst_prefetch_distance 0x2
	s_waitcnt lgkmcnt(0)
	v_cmp_eq_f64_e32 vcc_lo, 0, v[200:201]
	v_cmp_eq_f64_e64 s2, 0, v[202:203]
	s_delay_alu instid0(VALU_DEP_1) | instskip(NEXT) | instid1(SALU_CYCLE_1)
	s_and_b32 s2, vcc_lo, s2
	s_and_saveexec_b32 s3, s2
	s_delay_alu instid0(SALU_CYCLE_1)
	s_xor_b32 s2, exec_lo, s3
; %bb.234:
	v_cmp_ne_u32_e32 vcc_lo, 0, v213
	v_cndmask_b32_e32 v213, 12, v213, vcc_lo
; %bb.235:
	s_and_not1_saveexec_b32 s3, s2
	s_cbranch_execz .LBB98_241
; %bb.236:
	v_cmp_gt_f64_e32 vcc_lo, 0, v[200:201]
	v_cmp_gt_f64_e64 s2, 0, v[202:203]
	v_xor_b32_e32 v209, 0x80000000, v201
	v_xor_b32_e32 v217, 0x80000000, v203
	s_delay_alu instid0(VALU_DEP_2) | instskip(NEXT) | instid1(VALU_DEP_2)
	v_cndmask_b32_e32 v218, v201, v209, vcc_lo
	v_cndmask_b32_e64 v220, v203, v217, s2
	v_cndmask_b32_e32 v217, v200, v200, vcc_lo
	v_cndmask_b32_e64 v219, v202, v202, s2
	s_mov_b32 s2, exec_lo
	s_delay_alu instid0(VALU_DEP_1)
	v_cmpx_ngt_f64_e32 v[217:218], v[219:220]
	s_xor_b32 s2, exec_lo, s2
	s_cbranch_execz .LBB98_238
; %bb.237:
	v_div_scale_f64 v[217:218], null, v[202:203], v[202:203], v[200:201]
	v_div_scale_f64 v[223:224], vcc_lo, v[200:201], v[202:203], v[200:201]
	s_delay_alu instid0(VALU_DEP_2) | instskip(SKIP_2) | instid1(VALU_DEP_1)
	v_rcp_f64_e32 v[219:220], v[217:218]
	s_waitcnt_depctr 0xfff
	v_fma_f64 v[221:222], -v[217:218], v[219:220], 1.0
	v_fma_f64 v[219:220], v[219:220], v[221:222], v[219:220]
	s_delay_alu instid0(VALU_DEP_1) | instskip(NEXT) | instid1(VALU_DEP_1)
	v_fma_f64 v[221:222], -v[217:218], v[219:220], 1.0
	v_fma_f64 v[219:220], v[219:220], v[221:222], v[219:220]
	s_delay_alu instid0(VALU_DEP_1) | instskip(NEXT) | instid1(VALU_DEP_1)
	v_mul_f64 v[221:222], v[223:224], v[219:220]
	v_fma_f64 v[217:218], -v[217:218], v[221:222], v[223:224]
	s_delay_alu instid0(VALU_DEP_1) | instskip(NEXT) | instid1(VALU_DEP_1)
	v_div_fmas_f64 v[217:218], v[217:218], v[219:220], v[221:222]
	v_div_fixup_f64 v[217:218], v[217:218], v[202:203], v[200:201]
	s_delay_alu instid0(VALU_DEP_1) | instskip(NEXT) | instid1(VALU_DEP_1)
	v_fma_f64 v[200:201], v[200:201], v[217:218], v[202:203]
	v_div_scale_f64 v[202:203], null, v[200:201], v[200:201], 1.0
	s_delay_alu instid0(VALU_DEP_1) | instskip(SKIP_2) | instid1(VALU_DEP_1)
	v_rcp_f64_e32 v[219:220], v[202:203]
	s_waitcnt_depctr 0xfff
	v_fma_f64 v[221:222], -v[202:203], v[219:220], 1.0
	v_fma_f64 v[219:220], v[219:220], v[221:222], v[219:220]
	s_delay_alu instid0(VALU_DEP_1) | instskip(NEXT) | instid1(VALU_DEP_1)
	v_fma_f64 v[221:222], -v[202:203], v[219:220], 1.0
	v_fma_f64 v[219:220], v[219:220], v[221:222], v[219:220]
	v_div_scale_f64 v[221:222], vcc_lo, 1.0, v[200:201], 1.0
	s_delay_alu instid0(VALU_DEP_1) | instskip(NEXT) | instid1(VALU_DEP_1)
	v_mul_f64 v[223:224], v[221:222], v[219:220]
	v_fma_f64 v[202:203], -v[202:203], v[223:224], v[221:222]
	s_delay_alu instid0(VALU_DEP_1) | instskip(NEXT) | instid1(VALU_DEP_1)
	v_div_fmas_f64 v[202:203], v[202:203], v[219:220], v[223:224]
	v_div_fixup_f64 v[202:203], v[202:203], v[200:201], 1.0
	s_delay_alu instid0(VALU_DEP_1)
	v_mul_f64 v[200:201], v[217:218], v[202:203]
	v_xor_b32_e32 v203, 0x80000000, v203
.LBB98_238:
	s_and_not1_saveexec_b32 s2, s2
	s_cbranch_execz .LBB98_240
; %bb.239:
	s_delay_alu instid0(VALU_DEP_1) | instskip(SKIP_1) | instid1(VALU_DEP_2)
	v_div_scale_f64 v[217:218], null, v[200:201], v[200:201], v[202:203]
	v_div_scale_f64 v[223:224], vcc_lo, v[202:203], v[200:201], v[202:203]
	v_rcp_f64_e32 v[219:220], v[217:218]
	s_waitcnt_depctr 0xfff
	v_fma_f64 v[221:222], -v[217:218], v[219:220], 1.0
	s_delay_alu instid0(VALU_DEP_1) | instskip(NEXT) | instid1(VALU_DEP_1)
	v_fma_f64 v[219:220], v[219:220], v[221:222], v[219:220]
	v_fma_f64 v[221:222], -v[217:218], v[219:220], 1.0
	s_delay_alu instid0(VALU_DEP_1) | instskip(NEXT) | instid1(VALU_DEP_1)
	v_fma_f64 v[219:220], v[219:220], v[221:222], v[219:220]
	v_mul_f64 v[221:222], v[223:224], v[219:220]
	s_delay_alu instid0(VALU_DEP_1) | instskip(NEXT) | instid1(VALU_DEP_1)
	v_fma_f64 v[217:218], -v[217:218], v[221:222], v[223:224]
	v_div_fmas_f64 v[217:218], v[217:218], v[219:220], v[221:222]
	s_delay_alu instid0(VALU_DEP_1) | instskip(NEXT) | instid1(VALU_DEP_1)
	v_div_fixup_f64 v[217:218], v[217:218], v[200:201], v[202:203]
	v_fma_f64 v[200:201], v[202:203], v[217:218], v[200:201]
	s_delay_alu instid0(VALU_DEP_1) | instskip(NEXT) | instid1(VALU_DEP_1)
	v_div_scale_f64 v[202:203], null, v[200:201], v[200:201], 1.0
	v_rcp_f64_e32 v[219:220], v[202:203]
	s_waitcnt_depctr 0xfff
	v_fma_f64 v[221:222], -v[202:203], v[219:220], 1.0
	s_delay_alu instid0(VALU_DEP_1) | instskip(NEXT) | instid1(VALU_DEP_1)
	v_fma_f64 v[219:220], v[219:220], v[221:222], v[219:220]
	v_fma_f64 v[221:222], -v[202:203], v[219:220], 1.0
	s_delay_alu instid0(VALU_DEP_1) | instskip(SKIP_1) | instid1(VALU_DEP_1)
	v_fma_f64 v[219:220], v[219:220], v[221:222], v[219:220]
	v_div_scale_f64 v[221:222], vcc_lo, 1.0, v[200:201], 1.0
	v_mul_f64 v[223:224], v[221:222], v[219:220]
	s_delay_alu instid0(VALU_DEP_1) | instskip(NEXT) | instid1(VALU_DEP_1)
	v_fma_f64 v[202:203], -v[202:203], v[223:224], v[221:222]
	v_div_fmas_f64 v[202:203], v[202:203], v[219:220], v[223:224]
	s_delay_alu instid0(VALU_DEP_1) | instskip(NEXT) | instid1(VALU_DEP_1)
	v_div_fixup_f64 v[200:201], v[202:203], v[200:201], 1.0
	v_mul_f64 v[202:203], v[217:218], -v[200:201]
.LBB98_240:
	s_or_b32 exec_lo, exec_lo, s2
.LBB98_241:
	s_delay_alu instid0(SALU_CYCLE_1) | instskip(NEXT) | instid1(SALU_CYCLE_1)
	s_or_b32 exec_lo, exec_lo, s3
	s_mov_b32 s2, exec_lo
	v_cmpx_ne_u32_e64 v216, v208
	s_xor_b32 s2, exec_lo, s2
	s_cbranch_execz .LBB98_247
; %bb.242:
	s_mov_b32 s3, exec_lo
	v_cmpx_eq_u32_e32 11, v216
	s_cbranch_execz .LBB98_246
; %bb.243:
	v_cmp_ne_u32_e32 vcc_lo, 11, v208
	s_xor_b32 s6, s4, -1
	s_delay_alu instid0(SALU_CYCLE_1) | instskip(NEXT) | instid1(SALU_CYCLE_1)
	s_and_b32 s7, s6, vcc_lo
	s_and_saveexec_b32 s6, s7
	s_cbranch_execz .LBB98_245
; %bb.244:
	v_ashrrev_i32_e32 v209, 31, v208
	s_delay_alu instid0(VALU_DEP_1) | instskip(NEXT) | instid1(VALU_DEP_1)
	v_lshlrev_b64 v[215:216], 2, v[208:209]
	v_add_co_u32 v215, vcc_lo, v206, v215
	s_delay_alu instid0(VALU_DEP_2)
	v_add_co_ci_u32_e32 v216, vcc_lo, v207, v216, vcc_lo
	s_clause 0x1
	flat_load_b32 v209, v[215:216]
	flat_load_b32 v217, v[206:207] offset:44
	s_waitcnt vmcnt(1) lgkmcnt(1)
	flat_store_b32 v[206:207], v209 offset:44
	s_waitcnt vmcnt(0) lgkmcnt(1)
	flat_store_b32 v[215:216], v217
.LBB98_245:
	s_or_b32 exec_lo, exec_lo, s6
	v_mov_b32_e32 v216, v208
	v_mov_b32_e32 v215, v208
.LBB98_246:
	s_or_b32 exec_lo, exec_lo, s3
.LBB98_247:
	s_and_not1_saveexec_b32 s2, s2
	s_cbranch_execz .LBB98_249
; %bb.248:
	v_mov_b32_e32 v216, 11
	ds_store_2addr_b64 v210, v[148:149], v[150:151] offset0:24 offset1:25
	ds_store_2addr_b64 v210, v[144:145], v[146:147] offset0:26 offset1:27
	;; [unrolled: 1-line block ×38, first 2 shown]
.LBB98_249:
	s_or_b32 exec_lo, exec_lo, s2
	s_delay_alu instid0(SALU_CYCLE_1)
	s_mov_b32 s2, exec_lo
	s_waitcnt lgkmcnt(0)
	s_waitcnt_vscnt null, 0x0
	s_barrier
	buffer_gl0_inv
	v_cmpx_lt_i32_e32 11, v216
	s_cbranch_execz .LBB98_251
; %bb.250:
	v_mul_f64 v[208:209], v[202:203], v[154:155]
	v_mul_f64 v[154:155], v[200:201], v[154:155]
	s_delay_alu instid0(VALU_DEP_2) | instskip(NEXT) | instid1(VALU_DEP_2)
	v_fma_f64 v[208:209], v[200:201], v[152:153], -v[208:209]
	v_fma_f64 v[154:155], v[202:203], v[152:153], v[154:155]
	ds_load_2addr_b64 v[200:203], v210 offset0:24 offset1:25
	s_waitcnt lgkmcnt(0)
	v_mul_f64 v[152:153], v[202:203], v[154:155]
	s_delay_alu instid0(VALU_DEP_1) | instskip(SKIP_1) | instid1(VALU_DEP_2)
	v_fma_f64 v[152:153], v[200:201], v[208:209], -v[152:153]
	v_mul_f64 v[200:201], v[200:201], v[154:155]
	v_add_f64 v[148:149], v[148:149], -v[152:153]
	s_delay_alu instid0(VALU_DEP_2) | instskip(NEXT) | instid1(VALU_DEP_1)
	v_fma_f64 v[200:201], v[202:203], v[208:209], v[200:201]
	v_add_f64 v[150:151], v[150:151], -v[200:201]
	ds_load_2addr_b64 v[200:203], v210 offset0:26 offset1:27
	s_waitcnt lgkmcnt(0)
	v_mul_f64 v[152:153], v[202:203], v[154:155]
	s_delay_alu instid0(VALU_DEP_1) | instskip(SKIP_1) | instid1(VALU_DEP_2)
	v_fma_f64 v[152:153], v[200:201], v[208:209], -v[152:153]
	v_mul_f64 v[200:201], v[200:201], v[154:155]
	v_add_f64 v[144:145], v[144:145], -v[152:153]
	s_delay_alu instid0(VALU_DEP_2) | instskip(NEXT) | instid1(VALU_DEP_1)
	v_fma_f64 v[200:201], v[202:203], v[208:209], v[200:201]
	v_add_f64 v[146:147], v[146:147], -v[200:201]
	;; [unrolled: 10-line block ×37, first 2 shown]
	ds_load_2addr_b64 v[200:203], v210 offset0:98 offset1:99
	s_waitcnt lgkmcnt(0)
	v_mul_f64 v[152:153], v[202:203], v[154:155]
	s_delay_alu instid0(VALU_DEP_1) | instskip(SKIP_1) | instid1(VALU_DEP_2)
	v_fma_f64 v[152:153], v[200:201], v[208:209], -v[152:153]
	v_mul_f64 v[200:201], v[200:201], v[154:155]
	v_add_f64 v[0:1], v[0:1], -v[152:153]
	s_delay_alu instid0(VALU_DEP_2) | instskip(SKIP_1) | instid1(VALU_DEP_2)
	v_fma_f64 v[200:201], v[202:203], v[208:209], v[200:201]
	v_dual_mov_b32 v152, v208 :: v_dual_mov_b32 v153, v209
	v_add_f64 v[2:3], v[2:3], -v[200:201]
.LBB98_251:
	s_or_b32 exec_lo, exec_lo, s2
	v_lshl_add_u32 v200, v216, 4, v210
	s_barrier
	buffer_gl0_inv
	v_mov_b32_e32 v208, 12
	ds_store_2addr_b64 v200, v[148:149], v[150:151] offset1:1
	s_waitcnt lgkmcnt(0)
	s_barrier
	buffer_gl0_inv
	ds_load_2addr_b64 v[200:203], v210 offset0:24 offset1:25
	s_cmp_lt_i32 s5, 14
	s_cbranch_scc1 .LBB98_254
; %bb.252:
	v_add3_u32 v209, v214, 0, 0xd0
	v_mov_b32_e32 v208, 12
	s_mov_b32 s6, 13
	s_set_inst_prefetch_distance 0x1
	.p2align	6
.LBB98_253:                             ; =>This Inner Loop Header: Depth=1
	ds_load_2addr_b64 v[217:220], v209 offset1:1
	s_waitcnt lgkmcnt(1)
	v_cmp_gt_f64_e32 vcc_lo, 0, v[200:201]
	v_xor_b32_e32 v221, 0x80000000, v201
	v_cmp_gt_f64_e64 s2, 0, v[202:203]
	v_xor_b32_e32 v223, 0x80000000, v203
	v_add_nc_u32_e32 v209, 16, v209
	s_waitcnt lgkmcnt(0)
	v_cmp_gt_f64_e64 s3, 0, v[217:218]
	v_mov_b32_e32 v225, v217
	v_dual_mov_b32 v227, v219 :: v_dual_cndmask_b32 v222, v201, v221
	v_xor_b32_e32 v221, 0x80000000, v218
	v_cndmask_b32_e64 v224, v203, v223, s2
	v_xor_b32_e32 v223, 0x80000000, v220
	s_delay_alu instid0(VALU_DEP_3) | instskip(SKIP_2) | instid1(VALU_DEP_2)
	v_cndmask_b32_e64 v226, v218, v221, s3
	v_cmp_gt_f64_e64 s3, 0, v[219:220]
	v_cndmask_b32_e32 v221, v200, v200, vcc_lo
	v_cndmask_b32_e64 v228, v220, v223, s3
	v_cndmask_b32_e64 v223, v202, v202, s2
	s_delay_alu instid0(VALU_DEP_2) | instskip(NEXT) | instid1(VALU_DEP_2)
	v_add_f64 v[225:226], v[225:226], v[227:228]
	v_add_f64 v[221:222], v[221:222], v[223:224]
	s_delay_alu instid0(VALU_DEP_1) | instskip(SKIP_4) | instid1(SALU_CYCLE_1)
	v_cmp_lt_f64_e32 vcc_lo, v[221:222], v[225:226]
	v_dual_cndmask_b32 v202, v202, v219 :: v_dual_cndmask_b32 v201, v201, v218
	v_dual_cndmask_b32 v200, v200, v217 :: v_dual_cndmask_b32 v203, v203, v220
	v_cndmask_b32_e64 v208, v208, s6, vcc_lo
	s_add_i32 s6, s6, 1
	s_cmp_lg_u32 s5, s6
	s_cbranch_scc1 .LBB98_253
.LBB98_254:
	s_set_inst_prefetch_distance 0x2
	s_waitcnt lgkmcnt(0)
	v_cmp_eq_f64_e32 vcc_lo, 0, v[200:201]
	v_cmp_eq_f64_e64 s2, 0, v[202:203]
	s_delay_alu instid0(VALU_DEP_1) | instskip(NEXT) | instid1(SALU_CYCLE_1)
	s_and_b32 s2, vcc_lo, s2
	s_and_saveexec_b32 s3, s2
	s_delay_alu instid0(SALU_CYCLE_1)
	s_xor_b32 s2, exec_lo, s3
; %bb.255:
	v_cmp_ne_u32_e32 vcc_lo, 0, v213
	v_cndmask_b32_e32 v213, 13, v213, vcc_lo
; %bb.256:
	s_and_not1_saveexec_b32 s3, s2
	s_cbranch_execz .LBB98_262
; %bb.257:
	v_cmp_gt_f64_e32 vcc_lo, 0, v[200:201]
	v_cmp_gt_f64_e64 s2, 0, v[202:203]
	v_xor_b32_e32 v209, 0x80000000, v201
	v_xor_b32_e32 v217, 0x80000000, v203
	s_delay_alu instid0(VALU_DEP_2) | instskip(NEXT) | instid1(VALU_DEP_2)
	v_cndmask_b32_e32 v218, v201, v209, vcc_lo
	v_cndmask_b32_e64 v220, v203, v217, s2
	v_cndmask_b32_e32 v217, v200, v200, vcc_lo
	v_cndmask_b32_e64 v219, v202, v202, s2
	s_mov_b32 s2, exec_lo
	s_delay_alu instid0(VALU_DEP_1)
	v_cmpx_ngt_f64_e32 v[217:218], v[219:220]
	s_xor_b32 s2, exec_lo, s2
	s_cbranch_execz .LBB98_259
; %bb.258:
	v_div_scale_f64 v[217:218], null, v[202:203], v[202:203], v[200:201]
	v_div_scale_f64 v[223:224], vcc_lo, v[200:201], v[202:203], v[200:201]
	s_delay_alu instid0(VALU_DEP_2) | instskip(SKIP_2) | instid1(VALU_DEP_1)
	v_rcp_f64_e32 v[219:220], v[217:218]
	s_waitcnt_depctr 0xfff
	v_fma_f64 v[221:222], -v[217:218], v[219:220], 1.0
	v_fma_f64 v[219:220], v[219:220], v[221:222], v[219:220]
	s_delay_alu instid0(VALU_DEP_1) | instskip(NEXT) | instid1(VALU_DEP_1)
	v_fma_f64 v[221:222], -v[217:218], v[219:220], 1.0
	v_fma_f64 v[219:220], v[219:220], v[221:222], v[219:220]
	s_delay_alu instid0(VALU_DEP_1) | instskip(NEXT) | instid1(VALU_DEP_1)
	v_mul_f64 v[221:222], v[223:224], v[219:220]
	v_fma_f64 v[217:218], -v[217:218], v[221:222], v[223:224]
	s_delay_alu instid0(VALU_DEP_1) | instskip(NEXT) | instid1(VALU_DEP_1)
	v_div_fmas_f64 v[217:218], v[217:218], v[219:220], v[221:222]
	v_div_fixup_f64 v[217:218], v[217:218], v[202:203], v[200:201]
	s_delay_alu instid0(VALU_DEP_1) | instskip(NEXT) | instid1(VALU_DEP_1)
	v_fma_f64 v[200:201], v[200:201], v[217:218], v[202:203]
	v_div_scale_f64 v[202:203], null, v[200:201], v[200:201], 1.0
	s_delay_alu instid0(VALU_DEP_1) | instskip(SKIP_2) | instid1(VALU_DEP_1)
	v_rcp_f64_e32 v[219:220], v[202:203]
	s_waitcnt_depctr 0xfff
	v_fma_f64 v[221:222], -v[202:203], v[219:220], 1.0
	v_fma_f64 v[219:220], v[219:220], v[221:222], v[219:220]
	s_delay_alu instid0(VALU_DEP_1) | instskip(NEXT) | instid1(VALU_DEP_1)
	v_fma_f64 v[221:222], -v[202:203], v[219:220], 1.0
	v_fma_f64 v[219:220], v[219:220], v[221:222], v[219:220]
	v_div_scale_f64 v[221:222], vcc_lo, 1.0, v[200:201], 1.0
	s_delay_alu instid0(VALU_DEP_1) | instskip(NEXT) | instid1(VALU_DEP_1)
	v_mul_f64 v[223:224], v[221:222], v[219:220]
	v_fma_f64 v[202:203], -v[202:203], v[223:224], v[221:222]
	s_delay_alu instid0(VALU_DEP_1) | instskip(NEXT) | instid1(VALU_DEP_1)
	v_div_fmas_f64 v[202:203], v[202:203], v[219:220], v[223:224]
	v_div_fixup_f64 v[202:203], v[202:203], v[200:201], 1.0
	s_delay_alu instid0(VALU_DEP_1)
	v_mul_f64 v[200:201], v[217:218], v[202:203]
	v_xor_b32_e32 v203, 0x80000000, v203
.LBB98_259:
	s_and_not1_saveexec_b32 s2, s2
	s_cbranch_execz .LBB98_261
; %bb.260:
	s_delay_alu instid0(VALU_DEP_1) | instskip(SKIP_1) | instid1(VALU_DEP_2)
	v_div_scale_f64 v[217:218], null, v[200:201], v[200:201], v[202:203]
	v_div_scale_f64 v[223:224], vcc_lo, v[202:203], v[200:201], v[202:203]
	v_rcp_f64_e32 v[219:220], v[217:218]
	s_waitcnt_depctr 0xfff
	v_fma_f64 v[221:222], -v[217:218], v[219:220], 1.0
	s_delay_alu instid0(VALU_DEP_1) | instskip(NEXT) | instid1(VALU_DEP_1)
	v_fma_f64 v[219:220], v[219:220], v[221:222], v[219:220]
	v_fma_f64 v[221:222], -v[217:218], v[219:220], 1.0
	s_delay_alu instid0(VALU_DEP_1) | instskip(NEXT) | instid1(VALU_DEP_1)
	v_fma_f64 v[219:220], v[219:220], v[221:222], v[219:220]
	v_mul_f64 v[221:222], v[223:224], v[219:220]
	s_delay_alu instid0(VALU_DEP_1) | instskip(NEXT) | instid1(VALU_DEP_1)
	v_fma_f64 v[217:218], -v[217:218], v[221:222], v[223:224]
	v_div_fmas_f64 v[217:218], v[217:218], v[219:220], v[221:222]
	s_delay_alu instid0(VALU_DEP_1) | instskip(NEXT) | instid1(VALU_DEP_1)
	v_div_fixup_f64 v[217:218], v[217:218], v[200:201], v[202:203]
	v_fma_f64 v[200:201], v[202:203], v[217:218], v[200:201]
	s_delay_alu instid0(VALU_DEP_1) | instskip(NEXT) | instid1(VALU_DEP_1)
	v_div_scale_f64 v[202:203], null, v[200:201], v[200:201], 1.0
	v_rcp_f64_e32 v[219:220], v[202:203]
	s_waitcnt_depctr 0xfff
	v_fma_f64 v[221:222], -v[202:203], v[219:220], 1.0
	s_delay_alu instid0(VALU_DEP_1) | instskip(NEXT) | instid1(VALU_DEP_1)
	v_fma_f64 v[219:220], v[219:220], v[221:222], v[219:220]
	v_fma_f64 v[221:222], -v[202:203], v[219:220], 1.0
	s_delay_alu instid0(VALU_DEP_1) | instskip(SKIP_1) | instid1(VALU_DEP_1)
	v_fma_f64 v[219:220], v[219:220], v[221:222], v[219:220]
	v_div_scale_f64 v[221:222], vcc_lo, 1.0, v[200:201], 1.0
	v_mul_f64 v[223:224], v[221:222], v[219:220]
	s_delay_alu instid0(VALU_DEP_1) | instskip(NEXT) | instid1(VALU_DEP_1)
	v_fma_f64 v[202:203], -v[202:203], v[223:224], v[221:222]
	v_div_fmas_f64 v[202:203], v[202:203], v[219:220], v[223:224]
	s_delay_alu instid0(VALU_DEP_1) | instskip(NEXT) | instid1(VALU_DEP_1)
	v_div_fixup_f64 v[200:201], v[202:203], v[200:201], 1.0
	v_mul_f64 v[202:203], v[217:218], -v[200:201]
.LBB98_261:
	s_or_b32 exec_lo, exec_lo, s2
.LBB98_262:
	s_delay_alu instid0(SALU_CYCLE_1) | instskip(NEXT) | instid1(SALU_CYCLE_1)
	s_or_b32 exec_lo, exec_lo, s3
	s_mov_b32 s2, exec_lo
	v_cmpx_ne_u32_e64 v216, v208
	s_xor_b32 s2, exec_lo, s2
	s_cbranch_execz .LBB98_268
; %bb.263:
	s_mov_b32 s3, exec_lo
	v_cmpx_eq_u32_e32 12, v216
	s_cbranch_execz .LBB98_267
; %bb.264:
	v_cmp_ne_u32_e32 vcc_lo, 12, v208
	s_xor_b32 s6, s4, -1
	s_delay_alu instid0(SALU_CYCLE_1) | instskip(NEXT) | instid1(SALU_CYCLE_1)
	s_and_b32 s7, s6, vcc_lo
	s_and_saveexec_b32 s6, s7
	s_cbranch_execz .LBB98_266
; %bb.265:
	v_ashrrev_i32_e32 v209, 31, v208
	s_delay_alu instid0(VALU_DEP_1) | instskip(NEXT) | instid1(VALU_DEP_1)
	v_lshlrev_b64 v[215:216], 2, v[208:209]
	v_add_co_u32 v215, vcc_lo, v206, v215
	s_delay_alu instid0(VALU_DEP_2)
	v_add_co_ci_u32_e32 v216, vcc_lo, v207, v216, vcc_lo
	s_clause 0x1
	flat_load_b32 v209, v[215:216]
	flat_load_b32 v217, v[206:207] offset:48
	s_waitcnt vmcnt(1) lgkmcnt(1)
	flat_store_b32 v[206:207], v209 offset:48
	s_waitcnt vmcnt(0) lgkmcnt(1)
	flat_store_b32 v[215:216], v217
.LBB98_266:
	s_or_b32 exec_lo, exec_lo, s6
	v_mov_b32_e32 v216, v208
	v_mov_b32_e32 v215, v208
.LBB98_267:
	s_or_b32 exec_lo, exec_lo, s3
.LBB98_268:
	s_and_not1_saveexec_b32 s2, s2
	s_cbranch_execz .LBB98_270
; %bb.269:
	v_mov_b32_e32 v216, 12
	ds_store_2addr_b64 v210, v[144:145], v[146:147] offset0:26 offset1:27
	ds_store_2addr_b64 v210, v[140:141], v[142:143] offset0:28 offset1:29
	;; [unrolled: 1-line block ×37, first 2 shown]
.LBB98_270:
	s_or_b32 exec_lo, exec_lo, s2
	s_delay_alu instid0(SALU_CYCLE_1)
	s_mov_b32 s2, exec_lo
	s_waitcnt lgkmcnt(0)
	s_waitcnt_vscnt null, 0x0
	s_barrier
	buffer_gl0_inv
	v_cmpx_lt_i32_e32 12, v216
	s_cbranch_execz .LBB98_272
; %bb.271:
	v_mul_f64 v[208:209], v[202:203], v[150:151]
	v_mul_f64 v[150:151], v[200:201], v[150:151]
	s_delay_alu instid0(VALU_DEP_2) | instskip(NEXT) | instid1(VALU_DEP_2)
	v_fma_f64 v[208:209], v[200:201], v[148:149], -v[208:209]
	v_fma_f64 v[150:151], v[202:203], v[148:149], v[150:151]
	ds_load_2addr_b64 v[200:203], v210 offset0:26 offset1:27
	s_waitcnt lgkmcnt(0)
	v_mul_f64 v[148:149], v[202:203], v[150:151]
	s_delay_alu instid0(VALU_DEP_1) | instskip(SKIP_1) | instid1(VALU_DEP_2)
	v_fma_f64 v[148:149], v[200:201], v[208:209], -v[148:149]
	v_mul_f64 v[200:201], v[200:201], v[150:151]
	v_add_f64 v[144:145], v[144:145], -v[148:149]
	s_delay_alu instid0(VALU_DEP_2) | instskip(NEXT) | instid1(VALU_DEP_1)
	v_fma_f64 v[200:201], v[202:203], v[208:209], v[200:201]
	v_add_f64 v[146:147], v[146:147], -v[200:201]
	ds_load_2addr_b64 v[200:203], v210 offset0:28 offset1:29
	s_waitcnt lgkmcnt(0)
	v_mul_f64 v[148:149], v[202:203], v[150:151]
	s_delay_alu instid0(VALU_DEP_1) | instskip(SKIP_1) | instid1(VALU_DEP_2)
	v_fma_f64 v[148:149], v[200:201], v[208:209], -v[148:149]
	v_mul_f64 v[200:201], v[200:201], v[150:151]
	v_add_f64 v[140:141], v[140:141], -v[148:149]
	s_delay_alu instid0(VALU_DEP_2) | instskip(NEXT) | instid1(VALU_DEP_1)
	v_fma_f64 v[200:201], v[202:203], v[208:209], v[200:201]
	v_add_f64 v[142:143], v[142:143], -v[200:201]
	;; [unrolled: 10-line block ×36, first 2 shown]
	ds_load_2addr_b64 v[200:203], v210 offset0:98 offset1:99
	s_waitcnt lgkmcnt(0)
	v_mul_f64 v[148:149], v[202:203], v[150:151]
	s_delay_alu instid0(VALU_DEP_1) | instskip(SKIP_1) | instid1(VALU_DEP_2)
	v_fma_f64 v[148:149], v[200:201], v[208:209], -v[148:149]
	v_mul_f64 v[200:201], v[200:201], v[150:151]
	v_add_f64 v[0:1], v[0:1], -v[148:149]
	s_delay_alu instid0(VALU_DEP_2) | instskip(SKIP_1) | instid1(VALU_DEP_2)
	v_fma_f64 v[200:201], v[202:203], v[208:209], v[200:201]
	v_dual_mov_b32 v148, v208 :: v_dual_mov_b32 v149, v209
	v_add_f64 v[2:3], v[2:3], -v[200:201]
.LBB98_272:
	s_or_b32 exec_lo, exec_lo, s2
	v_lshl_add_u32 v200, v216, 4, v210
	s_barrier
	buffer_gl0_inv
	v_mov_b32_e32 v208, 13
	ds_store_2addr_b64 v200, v[144:145], v[146:147] offset1:1
	s_waitcnt lgkmcnt(0)
	s_barrier
	buffer_gl0_inv
	ds_load_2addr_b64 v[200:203], v210 offset0:26 offset1:27
	s_cmp_lt_i32 s5, 15
	s_cbranch_scc1 .LBB98_275
; %bb.273:
	v_add3_u32 v209, v214, 0, 0xe0
	v_mov_b32_e32 v208, 13
	s_mov_b32 s6, 14
	s_set_inst_prefetch_distance 0x1
	.p2align	6
.LBB98_274:                             ; =>This Inner Loop Header: Depth=1
	ds_load_2addr_b64 v[217:220], v209 offset1:1
	s_waitcnt lgkmcnt(1)
	v_cmp_gt_f64_e32 vcc_lo, 0, v[200:201]
	v_xor_b32_e32 v221, 0x80000000, v201
	v_cmp_gt_f64_e64 s2, 0, v[202:203]
	v_xor_b32_e32 v223, 0x80000000, v203
	v_add_nc_u32_e32 v209, 16, v209
	s_waitcnt lgkmcnt(0)
	v_cmp_gt_f64_e64 s3, 0, v[217:218]
	v_mov_b32_e32 v225, v217
	v_dual_mov_b32 v227, v219 :: v_dual_cndmask_b32 v222, v201, v221
	v_xor_b32_e32 v221, 0x80000000, v218
	v_cndmask_b32_e64 v224, v203, v223, s2
	v_xor_b32_e32 v223, 0x80000000, v220
	s_delay_alu instid0(VALU_DEP_3) | instskip(SKIP_2) | instid1(VALU_DEP_2)
	v_cndmask_b32_e64 v226, v218, v221, s3
	v_cmp_gt_f64_e64 s3, 0, v[219:220]
	v_cndmask_b32_e32 v221, v200, v200, vcc_lo
	v_cndmask_b32_e64 v228, v220, v223, s3
	v_cndmask_b32_e64 v223, v202, v202, s2
	s_delay_alu instid0(VALU_DEP_2) | instskip(NEXT) | instid1(VALU_DEP_2)
	v_add_f64 v[225:226], v[225:226], v[227:228]
	v_add_f64 v[221:222], v[221:222], v[223:224]
	s_delay_alu instid0(VALU_DEP_1) | instskip(SKIP_4) | instid1(SALU_CYCLE_1)
	v_cmp_lt_f64_e32 vcc_lo, v[221:222], v[225:226]
	v_dual_cndmask_b32 v202, v202, v219 :: v_dual_cndmask_b32 v201, v201, v218
	v_dual_cndmask_b32 v200, v200, v217 :: v_dual_cndmask_b32 v203, v203, v220
	v_cndmask_b32_e64 v208, v208, s6, vcc_lo
	s_add_i32 s6, s6, 1
	s_cmp_lg_u32 s5, s6
	s_cbranch_scc1 .LBB98_274
.LBB98_275:
	s_set_inst_prefetch_distance 0x2
	s_waitcnt lgkmcnt(0)
	v_cmp_eq_f64_e32 vcc_lo, 0, v[200:201]
	v_cmp_eq_f64_e64 s2, 0, v[202:203]
	s_delay_alu instid0(VALU_DEP_1) | instskip(NEXT) | instid1(SALU_CYCLE_1)
	s_and_b32 s2, vcc_lo, s2
	s_and_saveexec_b32 s3, s2
	s_delay_alu instid0(SALU_CYCLE_1)
	s_xor_b32 s2, exec_lo, s3
; %bb.276:
	v_cmp_ne_u32_e32 vcc_lo, 0, v213
	v_cndmask_b32_e32 v213, 14, v213, vcc_lo
; %bb.277:
	s_and_not1_saveexec_b32 s3, s2
	s_cbranch_execz .LBB98_283
; %bb.278:
	v_cmp_gt_f64_e32 vcc_lo, 0, v[200:201]
	v_cmp_gt_f64_e64 s2, 0, v[202:203]
	v_xor_b32_e32 v209, 0x80000000, v201
	v_xor_b32_e32 v217, 0x80000000, v203
	s_delay_alu instid0(VALU_DEP_2) | instskip(NEXT) | instid1(VALU_DEP_2)
	v_cndmask_b32_e32 v218, v201, v209, vcc_lo
	v_cndmask_b32_e64 v220, v203, v217, s2
	v_cndmask_b32_e32 v217, v200, v200, vcc_lo
	v_cndmask_b32_e64 v219, v202, v202, s2
	s_mov_b32 s2, exec_lo
	s_delay_alu instid0(VALU_DEP_1)
	v_cmpx_ngt_f64_e32 v[217:218], v[219:220]
	s_xor_b32 s2, exec_lo, s2
	s_cbranch_execz .LBB98_280
; %bb.279:
	v_div_scale_f64 v[217:218], null, v[202:203], v[202:203], v[200:201]
	v_div_scale_f64 v[223:224], vcc_lo, v[200:201], v[202:203], v[200:201]
	s_delay_alu instid0(VALU_DEP_2) | instskip(SKIP_2) | instid1(VALU_DEP_1)
	v_rcp_f64_e32 v[219:220], v[217:218]
	s_waitcnt_depctr 0xfff
	v_fma_f64 v[221:222], -v[217:218], v[219:220], 1.0
	v_fma_f64 v[219:220], v[219:220], v[221:222], v[219:220]
	s_delay_alu instid0(VALU_DEP_1) | instskip(NEXT) | instid1(VALU_DEP_1)
	v_fma_f64 v[221:222], -v[217:218], v[219:220], 1.0
	v_fma_f64 v[219:220], v[219:220], v[221:222], v[219:220]
	s_delay_alu instid0(VALU_DEP_1) | instskip(NEXT) | instid1(VALU_DEP_1)
	v_mul_f64 v[221:222], v[223:224], v[219:220]
	v_fma_f64 v[217:218], -v[217:218], v[221:222], v[223:224]
	s_delay_alu instid0(VALU_DEP_1) | instskip(NEXT) | instid1(VALU_DEP_1)
	v_div_fmas_f64 v[217:218], v[217:218], v[219:220], v[221:222]
	v_div_fixup_f64 v[217:218], v[217:218], v[202:203], v[200:201]
	s_delay_alu instid0(VALU_DEP_1) | instskip(NEXT) | instid1(VALU_DEP_1)
	v_fma_f64 v[200:201], v[200:201], v[217:218], v[202:203]
	v_div_scale_f64 v[202:203], null, v[200:201], v[200:201], 1.0
	s_delay_alu instid0(VALU_DEP_1) | instskip(SKIP_2) | instid1(VALU_DEP_1)
	v_rcp_f64_e32 v[219:220], v[202:203]
	s_waitcnt_depctr 0xfff
	v_fma_f64 v[221:222], -v[202:203], v[219:220], 1.0
	v_fma_f64 v[219:220], v[219:220], v[221:222], v[219:220]
	s_delay_alu instid0(VALU_DEP_1) | instskip(NEXT) | instid1(VALU_DEP_1)
	v_fma_f64 v[221:222], -v[202:203], v[219:220], 1.0
	v_fma_f64 v[219:220], v[219:220], v[221:222], v[219:220]
	v_div_scale_f64 v[221:222], vcc_lo, 1.0, v[200:201], 1.0
	s_delay_alu instid0(VALU_DEP_1) | instskip(NEXT) | instid1(VALU_DEP_1)
	v_mul_f64 v[223:224], v[221:222], v[219:220]
	v_fma_f64 v[202:203], -v[202:203], v[223:224], v[221:222]
	s_delay_alu instid0(VALU_DEP_1) | instskip(NEXT) | instid1(VALU_DEP_1)
	v_div_fmas_f64 v[202:203], v[202:203], v[219:220], v[223:224]
	v_div_fixup_f64 v[202:203], v[202:203], v[200:201], 1.0
	s_delay_alu instid0(VALU_DEP_1)
	v_mul_f64 v[200:201], v[217:218], v[202:203]
	v_xor_b32_e32 v203, 0x80000000, v203
.LBB98_280:
	s_and_not1_saveexec_b32 s2, s2
	s_cbranch_execz .LBB98_282
; %bb.281:
	s_delay_alu instid0(VALU_DEP_1) | instskip(SKIP_1) | instid1(VALU_DEP_2)
	v_div_scale_f64 v[217:218], null, v[200:201], v[200:201], v[202:203]
	v_div_scale_f64 v[223:224], vcc_lo, v[202:203], v[200:201], v[202:203]
	v_rcp_f64_e32 v[219:220], v[217:218]
	s_waitcnt_depctr 0xfff
	v_fma_f64 v[221:222], -v[217:218], v[219:220], 1.0
	s_delay_alu instid0(VALU_DEP_1) | instskip(NEXT) | instid1(VALU_DEP_1)
	v_fma_f64 v[219:220], v[219:220], v[221:222], v[219:220]
	v_fma_f64 v[221:222], -v[217:218], v[219:220], 1.0
	s_delay_alu instid0(VALU_DEP_1) | instskip(NEXT) | instid1(VALU_DEP_1)
	v_fma_f64 v[219:220], v[219:220], v[221:222], v[219:220]
	v_mul_f64 v[221:222], v[223:224], v[219:220]
	s_delay_alu instid0(VALU_DEP_1) | instskip(NEXT) | instid1(VALU_DEP_1)
	v_fma_f64 v[217:218], -v[217:218], v[221:222], v[223:224]
	v_div_fmas_f64 v[217:218], v[217:218], v[219:220], v[221:222]
	s_delay_alu instid0(VALU_DEP_1) | instskip(NEXT) | instid1(VALU_DEP_1)
	v_div_fixup_f64 v[217:218], v[217:218], v[200:201], v[202:203]
	v_fma_f64 v[200:201], v[202:203], v[217:218], v[200:201]
	s_delay_alu instid0(VALU_DEP_1) | instskip(NEXT) | instid1(VALU_DEP_1)
	v_div_scale_f64 v[202:203], null, v[200:201], v[200:201], 1.0
	v_rcp_f64_e32 v[219:220], v[202:203]
	s_waitcnt_depctr 0xfff
	v_fma_f64 v[221:222], -v[202:203], v[219:220], 1.0
	s_delay_alu instid0(VALU_DEP_1) | instskip(NEXT) | instid1(VALU_DEP_1)
	v_fma_f64 v[219:220], v[219:220], v[221:222], v[219:220]
	v_fma_f64 v[221:222], -v[202:203], v[219:220], 1.0
	s_delay_alu instid0(VALU_DEP_1) | instskip(SKIP_1) | instid1(VALU_DEP_1)
	v_fma_f64 v[219:220], v[219:220], v[221:222], v[219:220]
	v_div_scale_f64 v[221:222], vcc_lo, 1.0, v[200:201], 1.0
	v_mul_f64 v[223:224], v[221:222], v[219:220]
	s_delay_alu instid0(VALU_DEP_1) | instskip(NEXT) | instid1(VALU_DEP_1)
	v_fma_f64 v[202:203], -v[202:203], v[223:224], v[221:222]
	v_div_fmas_f64 v[202:203], v[202:203], v[219:220], v[223:224]
	s_delay_alu instid0(VALU_DEP_1) | instskip(NEXT) | instid1(VALU_DEP_1)
	v_div_fixup_f64 v[200:201], v[202:203], v[200:201], 1.0
	v_mul_f64 v[202:203], v[217:218], -v[200:201]
.LBB98_282:
	s_or_b32 exec_lo, exec_lo, s2
.LBB98_283:
	s_delay_alu instid0(SALU_CYCLE_1) | instskip(NEXT) | instid1(SALU_CYCLE_1)
	s_or_b32 exec_lo, exec_lo, s3
	s_mov_b32 s2, exec_lo
	v_cmpx_ne_u32_e64 v216, v208
	s_xor_b32 s2, exec_lo, s2
	s_cbranch_execz .LBB98_289
; %bb.284:
	s_mov_b32 s3, exec_lo
	v_cmpx_eq_u32_e32 13, v216
	s_cbranch_execz .LBB98_288
; %bb.285:
	v_cmp_ne_u32_e32 vcc_lo, 13, v208
	s_xor_b32 s6, s4, -1
	s_delay_alu instid0(SALU_CYCLE_1) | instskip(NEXT) | instid1(SALU_CYCLE_1)
	s_and_b32 s7, s6, vcc_lo
	s_and_saveexec_b32 s6, s7
	s_cbranch_execz .LBB98_287
; %bb.286:
	v_ashrrev_i32_e32 v209, 31, v208
	s_delay_alu instid0(VALU_DEP_1) | instskip(NEXT) | instid1(VALU_DEP_1)
	v_lshlrev_b64 v[215:216], 2, v[208:209]
	v_add_co_u32 v215, vcc_lo, v206, v215
	s_delay_alu instid0(VALU_DEP_2)
	v_add_co_ci_u32_e32 v216, vcc_lo, v207, v216, vcc_lo
	s_clause 0x1
	flat_load_b32 v209, v[215:216]
	flat_load_b32 v217, v[206:207] offset:52
	s_waitcnt vmcnt(1) lgkmcnt(1)
	flat_store_b32 v[206:207], v209 offset:52
	s_waitcnt vmcnt(0) lgkmcnt(1)
	flat_store_b32 v[215:216], v217
.LBB98_287:
	s_or_b32 exec_lo, exec_lo, s6
	v_mov_b32_e32 v216, v208
	v_mov_b32_e32 v215, v208
.LBB98_288:
	s_or_b32 exec_lo, exec_lo, s3
.LBB98_289:
	s_and_not1_saveexec_b32 s2, s2
	s_cbranch_execz .LBB98_291
; %bb.290:
	v_mov_b32_e32 v216, 13
	ds_store_2addr_b64 v210, v[140:141], v[142:143] offset0:28 offset1:29
	ds_store_2addr_b64 v210, v[136:137], v[138:139] offset0:30 offset1:31
	ds_store_2addr_b64 v210, v[132:133], v[134:135] offset0:32 offset1:33
	ds_store_2addr_b64 v210, v[128:129], v[130:131] offset0:34 offset1:35
	ds_store_2addr_b64 v210, v[124:125], v[126:127] offset0:36 offset1:37
	ds_store_2addr_b64 v210, v[120:121], v[122:123] offset0:38 offset1:39
	ds_store_2addr_b64 v210, v[116:117], v[118:119] offset0:40 offset1:41
	ds_store_2addr_b64 v210, v[112:113], v[114:115] offset0:42 offset1:43
	ds_store_2addr_b64 v210, v[108:109], v[110:111] offset0:44 offset1:45
	ds_store_2addr_b64 v210, v[104:105], v[106:107] offset0:46 offset1:47
	ds_store_2addr_b64 v210, v[100:101], v[102:103] offset0:48 offset1:49
	ds_store_2addr_b64 v210, v[96:97], v[98:99] offset0:50 offset1:51
	ds_store_2addr_b64 v210, v[92:93], v[94:95] offset0:52 offset1:53
	ds_store_2addr_b64 v210, v[88:89], v[90:91] offset0:54 offset1:55
	ds_store_2addr_b64 v210, v[84:85], v[86:87] offset0:56 offset1:57
	ds_store_2addr_b64 v210, v[80:81], v[82:83] offset0:58 offset1:59
	ds_store_2addr_b64 v210, v[76:77], v[78:79] offset0:60 offset1:61
	ds_store_2addr_b64 v210, v[72:73], v[74:75] offset0:62 offset1:63
	ds_store_2addr_b64 v210, v[68:69], v[70:71] offset0:64 offset1:65
	ds_store_2addr_b64 v210, v[64:65], v[66:67] offset0:66 offset1:67
	ds_store_2addr_b64 v210, v[60:61], v[62:63] offset0:68 offset1:69
	ds_store_2addr_b64 v210, v[56:57], v[58:59] offset0:70 offset1:71
	ds_store_2addr_b64 v210, v[52:53], v[54:55] offset0:72 offset1:73
	ds_store_2addr_b64 v210, v[48:49], v[50:51] offset0:74 offset1:75
	ds_store_2addr_b64 v210, v[44:45], v[46:47] offset0:76 offset1:77
	ds_store_2addr_b64 v210, v[40:41], v[42:43] offset0:78 offset1:79
	ds_store_2addr_b64 v210, v[36:37], v[38:39] offset0:80 offset1:81
	ds_store_2addr_b64 v210, v[32:33], v[34:35] offset0:82 offset1:83
	ds_store_2addr_b64 v210, v[28:29], v[30:31] offset0:84 offset1:85
	ds_store_2addr_b64 v210, v[24:25], v[26:27] offset0:86 offset1:87
	ds_store_2addr_b64 v210, v[20:21], v[22:23] offset0:88 offset1:89
	ds_store_2addr_b64 v210, v[16:17], v[18:19] offset0:90 offset1:91
	ds_store_2addr_b64 v210, v[12:13], v[14:15] offset0:92 offset1:93
	ds_store_2addr_b64 v210, v[8:9], v[10:11] offset0:94 offset1:95
	ds_store_2addr_b64 v210, v[4:5], v[6:7] offset0:96 offset1:97
	ds_store_2addr_b64 v210, v[0:1], v[2:3] offset0:98 offset1:99
.LBB98_291:
	s_or_b32 exec_lo, exec_lo, s2
	s_delay_alu instid0(SALU_CYCLE_1)
	s_mov_b32 s2, exec_lo
	s_waitcnt lgkmcnt(0)
	s_waitcnt_vscnt null, 0x0
	s_barrier
	buffer_gl0_inv
	v_cmpx_lt_i32_e32 13, v216
	s_cbranch_execz .LBB98_293
; %bb.292:
	v_mul_f64 v[208:209], v[202:203], v[146:147]
	v_mul_f64 v[146:147], v[200:201], v[146:147]
	s_delay_alu instid0(VALU_DEP_2) | instskip(NEXT) | instid1(VALU_DEP_2)
	v_fma_f64 v[208:209], v[200:201], v[144:145], -v[208:209]
	v_fma_f64 v[146:147], v[202:203], v[144:145], v[146:147]
	ds_load_2addr_b64 v[200:203], v210 offset0:28 offset1:29
	s_waitcnt lgkmcnt(0)
	v_mul_f64 v[144:145], v[202:203], v[146:147]
	s_delay_alu instid0(VALU_DEP_1) | instskip(SKIP_1) | instid1(VALU_DEP_2)
	v_fma_f64 v[144:145], v[200:201], v[208:209], -v[144:145]
	v_mul_f64 v[200:201], v[200:201], v[146:147]
	v_add_f64 v[140:141], v[140:141], -v[144:145]
	s_delay_alu instid0(VALU_DEP_2) | instskip(NEXT) | instid1(VALU_DEP_1)
	v_fma_f64 v[200:201], v[202:203], v[208:209], v[200:201]
	v_add_f64 v[142:143], v[142:143], -v[200:201]
	ds_load_2addr_b64 v[200:203], v210 offset0:30 offset1:31
	s_waitcnt lgkmcnt(0)
	v_mul_f64 v[144:145], v[202:203], v[146:147]
	s_delay_alu instid0(VALU_DEP_1) | instskip(SKIP_1) | instid1(VALU_DEP_2)
	v_fma_f64 v[144:145], v[200:201], v[208:209], -v[144:145]
	v_mul_f64 v[200:201], v[200:201], v[146:147]
	v_add_f64 v[136:137], v[136:137], -v[144:145]
	s_delay_alu instid0(VALU_DEP_2) | instskip(NEXT) | instid1(VALU_DEP_1)
	v_fma_f64 v[200:201], v[202:203], v[208:209], v[200:201]
	v_add_f64 v[138:139], v[138:139], -v[200:201]
	;; [unrolled: 10-line block ×35, first 2 shown]
	ds_load_2addr_b64 v[200:203], v210 offset0:98 offset1:99
	s_waitcnt lgkmcnt(0)
	v_mul_f64 v[144:145], v[202:203], v[146:147]
	s_delay_alu instid0(VALU_DEP_1) | instskip(SKIP_1) | instid1(VALU_DEP_2)
	v_fma_f64 v[144:145], v[200:201], v[208:209], -v[144:145]
	v_mul_f64 v[200:201], v[200:201], v[146:147]
	v_add_f64 v[0:1], v[0:1], -v[144:145]
	s_delay_alu instid0(VALU_DEP_2) | instskip(SKIP_1) | instid1(VALU_DEP_2)
	v_fma_f64 v[200:201], v[202:203], v[208:209], v[200:201]
	v_dual_mov_b32 v144, v208 :: v_dual_mov_b32 v145, v209
	v_add_f64 v[2:3], v[2:3], -v[200:201]
.LBB98_293:
	s_or_b32 exec_lo, exec_lo, s2
	v_lshl_add_u32 v200, v216, 4, v210
	s_barrier
	buffer_gl0_inv
	v_mov_b32_e32 v208, 14
	ds_store_2addr_b64 v200, v[140:141], v[142:143] offset1:1
	s_waitcnt lgkmcnt(0)
	s_barrier
	buffer_gl0_inv
	ds_load_2addr_b64 v[200:203], v210 offset0:28 offset1:29
	s_cmp_lt_i32 s5, 16
	s_cbranch_scc1 .LBB98_296
; %bb.294:
	v_add3_u32 v209, v214, 0, 0xf0
	v_mov_b32_e32 v208, 14
	s_mov_b32 s6, 15
	s_set_inst_prefetch_distance 0x1
	.p2align	6
.LBB98_295:                             ; =>This Inner Loop Header: Depth=1
	ds_load_2addr_b64 v[217:220], v209 offset1:1
	s_waitcnt lgkmcnt(1)
	v_cmp_gt_f64_e32 vcc_lo, 0, v[200:201]
	v_xor_b32_e32 v221, 0x80000000, v201
	v_cmp_gt_f64_e64 s2, 0, v[202:203]
	v_xor_b32_e32 v223, 0x80000000, v203
	v_add_nc_u32_e32 v209, 16, v209
	s_waitcnt lgkmcnt(0)
	v_cmp_gt_f64_e64 s3, 0, v[217:218]
	v_mov_b32_e32 v225, v217
	v_dual_mov_b32 v227, v219 :: v_dual_cndmask_b32 v222, v201, v221
	v_xor_b32_e32 v221, 0x80000000, v218
	v_cndmask_b32_e64 v224, v203, v223, s2
	v_xor_b32_e32 v223, 0x80000000, v220
	s_delay_alu instid0(VALU_DEP_3) | instskip(SKIP_2) | instid1(VALU_DEP_2)
	v_cndmask_b32_e64 v226, v218, v221, s3
	v_cmp_gt_f64_e64 s3, 0, v[219:220]
	v_cndmask_b32_e32 v221, v200, v200, vcc_lo
	v_cndmask_b32_e64 v228, v220, v223, s3
	v_cndmask_b32_e64 v223, v202, v202, s2
	s_delay_alu instid0(VALU_DEP_2) | instskip(NEXT) | instid1(VALU_DEP_2)
	v_add_f64 v[225:226], v[225:226], v[227:228]
	v_add_f64 v[221:222], v[221:222], v[223:224]
	s_delay_alu instid0(VALU_DEP_1) | instskip(SKIP_4) | instid1(SALU_CYCLE_1)
	v_cmp_lt_f64_e32 vcc_lo, v[221:222], v[225:226]
	v_dual_cndmask_b32 v202, v202, v219 :: v_dual_cndmask_b32 v201, v201, v218
	v_dual_cndmask_b32 v200, v200, v217 :: v_dual_cndmask_b32 v203, v203, v220
	v_cndmask_b32_e64 v208, v208, s6, vcc_lo
	s_add_i32 s6, s6, 1
	s_cmp_lg_u32 s5, s6
	s_cbranch_scc1 .LBB98_295
.LBB98_296:
	s_set_inst_prefetch_distance 0x2
	s_waitcnt lgkmcnt(0)
	v_cmp_eq_f64_e32 vcc_lo, 0, v[200:201]
	v_cmp_eq_f64_e64 s2, 0, v[202:203]
	s_delay_alu instid0(VALU_DEP_1) | instskip(NEXT) | instid1(SALU_CYCLE_1)
	s_and_b32 s2, vcc_lo, s2
	s_and_saveexec_b32 s3, s2
	s_delay_alu instid0(SALU_CYCLE_1)
	s_xor_b32 s2, exec_lo, s3
; %bb.297:
	v_cmp_ne_u32_e32 vcc_lo, 0, v213
	v_cndmask_b32_e32 v213, 15, v213, vcc_lo
; %bb.298:
	s_and_not1_saveexec_b32 s3, s2
	s_cbranch_execz .LBB98_304
; %bb.299:
	v_cmp_gt_f64_e32 vcc_lo, 0, v[200:201]
	v_cmp_gt_f64_e64 s2, 0, v[202:203]
	v_xor_b32_e32 v209, 0x80000000, v201
	v_xor_b32_e32 v217, 0x80000000, v203
	s_delay_alu instid0(VALU_DEP_2) | instskip(NEXT) | instid1(VALU_DEP_2)
	v_cndmask_b32_e32 v218, v201, v209, vcc_lo
	v_cndmask_b32_e64 v220, v203, v217, s2
	v_cndmask_b32_e32 v217, v200, v200, vcc_lo
	v_cndmask_b32_e64 v219, v202, v202, s2
	s_mov_b32 s2, exec_lo
	s_delay_alu instid0(VALU_DEP_1)
	v_cmpx_ngt_f64_e32 v[217:218], v[219:220]
	s_xor_b32 s2, exec_lo, s2
	s_cbranch_execz .LBB98_301
; %bb.300:
	v_div_scale_f64 v[217:218], null, v[202:203], v[202:203], v[200:201]
	v_div_scale_f64 v[223:224], vcc_lo, v[200:201], v[202:203], v[200:201]
	s_delay_alu instid0(VALU_DEP_2) | instskip(SKIP_2) | instid1(VALU_DEP_1)
	v_rcp_f64_e32 v[219:220], v[217:218]
	s_waitcnt_depctr 0xfff
	v_fma_f64 v[221:222], -v[217:218], v[219:220], 1.0
	v_fma_f64 v[219:220], v[219:220], v[221:222], v[219:220]
	s_delay_alu instid0(VALU_DEP_1) | instskip(NEXT) | instid1(VALU_DEP_1)
	v_fma_f64 v[221:222], -v[217:218], v[219:220], 1.0
	v_fma_f64 v[219:220], v[219:220], v[221:222], v[219:220]
	s_delay_alu instid0(VALU_DEP_1) | instskip(NEXT) | instid1(VALU_DEP_1)
	v_mul_f64 v[221:222], v[223:224], v[219:220]
	v_fma_f64 v[217:218], -v[217:218], v[221:222], v[223:224]
	s_delay_alu instid0(VALU_DEP_1) | instskip(NEXT) | instid1(VALU_DEP_1)
	v_div_fmas_f64 v[217:218], v[217:218], v[219:220], v[221:222]
	v_div_fixup_f64 v[217:218], v[217:218], v[202:203], v[200:201]
	s_delay_alu instid0(VALU_DEP_1) | instskip(NEXT) | instid1(VALU_DEP_1)
	v_fma_f64 v[200:201], v[200:201], v[217:218], v[202:203]
	v_div_scale_f64 v[202:203], null, v[200:201], v[200:201], 1.0
	s_delay_alu instid0(VALU_DEP_1) | instskip(SKIP_2) | instid1(VALU_DEP_1)
	v_rcp_f64_e32 v[219:220], v[202:203]
	s_waitcnt_depctr 0xfff
	v_fma_f64 v[221:222], -v[202:203], v[219:220], 1.0
	v_fma_f64 v[219:220], v[219:220], v[221:222], v[219:220]
	s_delay_alu instid0(VALU_DEP_1) | instskip(NEXT) | instid1(VALU_DEP_1)
	v_fma_f64 v[221:222], -v[202:203], v[219:220], 1.0
	v_fma_f64 v[219:220], v[219:220], v[221:222], v[219:220]
	v_div_scale_f64 v[221:222], vcc_lo, 1.0, v[200:201], 1.0
	s_delay_alu instid0(VALU_DEP_1) | instskip(NEXT) | instid1(VALU_DEP_1)
	v_mul_f64 v[223:224], v[221:222], v[219:220]
	v_fma_f64 v[202:203], -v[202:203], v[223:224], v[221:222]
	s_delay_alu instid0(VALU_DEP_1) | instskip(NEXT) | instid1(VALU_DEP_1)
	v_div_fmas_f64 v[202:203], v[202:203], v[219:220], v[223:224]
	v_div_fixup_f64 v[202:203], v[202:203], v[200:201], 1.0
	s_delay_alu instid0(VALU_DEP_1)
	v_mul_f64 v[200:201], v[217:218], v[202:203]
	v_xor_b32_e32 v203, 0x80000000, v203
.LBB98_301:
	s_and_not1_saveexec_b32 s2, s2
	s_cbranch_execz .LBB98_303
; %bb.302:
	s_delay_alu instid0(VALU_DEP_1) | instskip(SKIP_1) | instid1(VALU_DEP_2)
	v_div_scale_f64 v[217:218], null, v[200:201], v[200:201], v[202:203]
	v_div_scale_f64 v[223:224], vcc_lo, v[202:203], v[200:201], v[202:203]
	v_rcp_f64_e32 v[219:220], v[217:218]
	s_waitcnt_depctr 0xfff
	v_fma_f64 v[221:222], -v[217:218], v[219:220], 1.0
	s_delay_alu instid0(VALU_DEP_1) | instskip(NEXT) | instid1(VALU_DEP_1)
	v_fma_f64 v[219:220], v[219:220], v[221:222], v[219:220]
	v_fma_f64 v[221:222], -v[217:218], v[219:220], 1.0
	s_delay_alu instid0(VALU_DEP_1) | instskip(NEXT) | instid1(VALU_DEP_1)
	v_fma_f64 v[219:220], v[219:220], v[221:222], v[219:220]
	v_mul_f64 v[221:222], v[223:224], v[219:220]
	s_delay_alu instid0(VALU_DEP_1) | instskip(NEXT) | instid1(VALU_DEP_1)
	v_fma_f64 v[217:218], -v[217:218], v[221:222], v[223:224]
	v_div_fmas_f64 v[217:218], v[217:218], v[219:220], v[221:222]
	s_delay_alu instid0(VALU_DEP_1) | instskip(NEXT) | instid1(VALU_DEP_1)
	v_div_fixup_f64 v[217:218], v[217:218], v[200:201], v[202:203]
	v_fma_f64 v[200:201], v[202:203], v[217:218], v[200:201]
	s_delay_alu instid0(VALU_DEP_1) | instskip(NEXT) | instid1(VALU_DEP_1)
	v_div_scale_f64 v[202:203], null, v[200:201], v[200:201], 1.0
	v_rcp_f64_e32 v[219:220], v[202:203]
	s_waitcnt_depctr 0xfff
	v_fma_f64 v[221:222], -v[202:203], v[219:220], 1.0
	s_delay_alu instid0(VALU_DEP_1) | instskip(NEXT) | instid1(VALU_DEP_1)
	v_fma_f64 v[219:220], v[219:220], v[221:222], v[219:220]
	v_fma_f64 v[221:222], -v[202:203], v[219:220], 1.0
	s_delay_alu instid0(VALU_DEP_1) | instskip(SKIP_1) | instid1(VALU_DEP_1)
	v_fma_f64 v[219:220], v[219:220], v[221:222], v[219:220]
	v_div_scale_f64 v[221:222], vcc_lo, 1.0, v[200:201], 1.0
	v_mul_f64 v[223:224], v[221:222], v[219:220]
	s_delay_alu instid0(VALU_DEP_1) | instskip(NEXT) | instid1(VALU_DEP_1)
	v_fma_f64 v[202:203], -v[202:203], v[223:224], v[221:222]
	v_div_fmas_f64 v[202:203], v[202:203], v[219:220], v[223:224]
	s_delay_alu instid0(VALU_DEP_1) | instskip(NEXT) | instid1(VALU_DEP_1)
	v_div_fixup_f64 v[200:201], v[202:203], v[200:201], 1.0
	v_mul_f64 v[202:203], v[217:218], -v[200:201]
.LBB98_303:
	s_or_b32 exec_lo, exec_lo, s2
.LBB98_304:
	s_delay_alu instid0(SALU_CYCLE_1) | instskip(NEXT) | instid1(SALU_CYCLE_1)
	s_or_b32 exec_lo, exec_lo, s3
	s_mov_b32 s2, exec_lo
	v_cmpx_ne_u32_e64 v216, v208
	s_xor_b32 s2, exec_lo, s2
	s_cbranch_execz .LBB98_310
; %bb.305:
	s_mov_b32 s3, exec_lo
	v_cmpx_eq_u32_e32 14, v216
	s_cbranch_execz .LBB98_309
; %bb.306:
	v_cmp_ne_u32_e32 vcc_lo, 14, v208
	s_xor_b32 s6, s4, -1
	s_delay_alu instid0(SALU_CYCLE_1) | instskip(NEXT) | instid1(SALU_CYCLE_1)
	s_and_b32 s7, s6, vcc_lo
	s_and_saveexec_b32 s6, s7
	s_cbranch_execz .LBB98_308
; %bb.307:
	v_ashrrev_i32_e32 v209, 31, v208
	s_delay_alu instid0(VALU_DEP_1) | instskip(NEXT) | instid1(VALU_DEP_1)
	v_lshlrev_b64 v[215:216], 2, v[208:209]
	v_add_co_u32 v215, vcc_lo, v206, v215
	s_delay_alu instid0(VALU_DEP_2)
	v_add_co_ci_u32_e32 v216, vcc_lo, v207, v216, vcc_lo
	s_clause 0x1
	flat_load_b32 v209, v[215:216]
	flat_load_b32 v217, v[206:207] offset:56
	s_waitcnt vmcnt(1) lgkmcnt(1)
	flat_store_b32 v[206:207], v209 offset:56
	s_waitcnt vmcnt(0) lgkmcnt(1)
	flat_store_b32 v[215:216], v217
.LBB98_308:
	s_or_b32 exec_lo, exec_lo, s6
	v_mov_b32_e32 v216, v208
	v_mov_b32_e32 v215, v208
.LBB98_309:
	s_or_b32 exec_lo, exec_lo, s3
.LBB98_310:
	s_and_not1_saveexec_b32 s2, s2
	s_cbranch_execz .LBB98_312
; %bb.311:
	v_mov_b32_e32 v216, 14
	ds_store_2addr_b64 v210, v[136:137], v[138:139] offset0:30 offset1:31
	ds_store_2addr_b64 v210, v[132:133], v[134:135] offset0:32 offset1:33
	;; [unrolled: 1-line block ×35, first 2 shown]
.LBB98_312:
	s_or_b32 exec_lo, exec_lo, s2
	s_delay_alu instid0(SALU_CYCLE_1)
	s_mov_b32 s2, exec_lo
	s_waitcnt lgkmcnt(0)
	s_waitcnt_vscnt null, 0x0
	s_barrier
	buffer_gl0_inv
	v_cmpx_lt_i32_e32 14, v216
	s_cbranch_execz .LBB98_314
; %bb.313:
	v_mul_f64 v[208:209], v[202:203], v[142:143]
	v_mul_f64 v[142:143], v[200:201], v[142:143]
	s_delay_alu instid0(VALU_DEP_2) | instskip(NEXT) | instid1(VALU_DEP_2)
	v_fma_f64 v[208:209], v[200:201], v[140:141], -v[208:209]
	v_fma_f64 v[142:143], v[202:203], v[140:141], v[142:143]
	ds_load_2addr_b64 v[200:203], v210 offset0:30 offset1:31
	s_waitcnt lgkmcnt(0)
	v_mul_f64 v[140:141], v[202:203], v[142:143]
	s_delay_alu instid0(VALU_DEP_1) | instskip(SKIP_1) | instid1(VALU_DEP_2)
	v_fma_f64 v[140:141], v[200:201], v[208:209], -v[140:141]
	v_mul_f64 v[200:201], v[200:201], v[142:143]
	v_add_f64 v[136:137], v[136:137], -v[140:141]
	s_delay_alu instid0(VALU_DEP_2) | instskip(NEXT) | instid1(VALU_DEP_1)
	v_fma_f64 v[200:201], v[202:203], v[208:209], v[200:201]
	v_add_f64 v[138:139], v[138:139], -v[200:201]
	ds_load_2addr_b64 v[200:203], v210 offset0:32 offset1:33
	s_waitcnt lgkmcnt(0)
	v_mul_f64 v[140:141], v[202:203], v[142:143]
	s_delay_alu instid0(VALU_DEP_1) | instskip(SKIP_1) | instid1(VALU_DEP_2)
	v_fma_f64 v[140:141], v[200:201], v[208:209], -v[140:141]
	v_mul_f64 v[200:201], v[200:201], v[142:143]
	v_add_f64 v[132:133], v[132:133], -v[140:141]
	s_delay_alu instid0(VALU_DEP_2) | instskip(NEXT) | instid1(VALU_DEP_1)
	v_fma_f64 v[200:201], v[202:203], v[208:209], v[200:201]
	v_add_f64 v[134:135], v[134:135], -v[200:201]
	;; [unrolled: 10-line block ×34, first 2 shown]
	ds_load_2addr_b64 v[200:203], v210 offset0:98 offset1:99
	s_waitcnt lgkmcnt(0)
	v_mul_f64 v[140:141], v[202:203], v[142:143]
	s_delay_alu instid0(VALU_DEP_1) | instskip(SKIP_1) | instid1(VALU_DEP_2)
	v_fma_f64 v[140:141], v[200:201], v[208:209], -v[140:141]
	v_mul_f64 v[200:201], v[200:201], v[142:143]
	v_add_f64 v[0:1], v[0:1], -v[140:141]
	s_delay_alu instid0(VALU_DEP_2) | instskip(SKIP_1) | instid1(VALU_DEP_2)
	v_fma_f64 v[200:201], v[202:203], v[208:209], v[200:201]
	v_dual_mov_b32 v140, v208 :: v_dual_mov_b32 v141, v209
	v_add_f64 v[2:3], v[2:3], -v[200:201]
.LBB98_314:
	s_or_b32 exec_lo, exec_lo, s2
	v_lshl_add_u32 v200, v216, 4, v210
	s_barrier
	buffer_gl0_inv
	v_mov_b32_e32 v208, 15
	ds_store_2addr_b64 v200, v[136:137], v[138:139] offset1:1
	s_waitcnt lgkmcnt(0)
	s_barrier
	buffer_gl0_inv
	ds_load_2addr_b64 v[200:203], v210 offset0:30 offset1:31
	s_cmp_lt_i32 s5, 17
	s_cbranch_scc1 .LBB98_317
; %bb.315:
	v_add3_u32 v209, v214, 0, 0x100
	v_mov_b32_e32 v208, 15
	s_mov_b32 s6, 16
	s_set_inst_prefetch_distance 0x1
	.p2align	6
.LBB98_316:                             ; =>This Inner Loop Header: Depth=1
	ds_load_2addr_b64 v[217:220], v209 offset1:1
	s_waitcnt lgkmcnt(1)
	v_cmp_gt_f64_e32 vcc_lo, 0, v[200:201]
	v_xor_b32_e32 v221, 0x80000000, v201
	v_cmp_gt_f64_e64 s2, 0, v[202:203]
	v_xor_b32_e32 v223, 0x80000000, v203
	v_add_nc_u32_e32 v209, 16, v209
	s_waitcnt lgkmcnt(0)
	v_cmp_gt_f64_e64 s3, 0, v[217:218]
	v_mov_b32_e32 v225, v217
	v_dual_mov_b32 v227, v219 :: v_dual_cndmask_b32 v222, v201, v221
	v_xor_b32_e32 v221, 0x80000000, v218
	v_cndmask_b32_e64 v224, v203, v223, s2
	v_xor_b32_e32 v223, 0x80000000, v220
	s_delay_alu instid0(VALU_DEP_3) | instskip(SKIP_2) | instid1(VALU_DEP_2)
	v_cndmask_b32_e64 v226, v218, v221, s3
	v_cmp_gt_f64_e64 s3, 0, v[219:220]
	v_cndmask_b32_e32 v221, v200, v200, vcc_lo
	v_cndmask_b32_e64 v228, v220, v223, s3
	v_cndmask_b32_e64 v223, v202, v202, s2
	s_delay_alu instid0(VALU_DEP_2) | instskip(NEXT) | instid1(VALU_DEP_2)
	v_add_f64 v[225:226], v[225:226], v[227:228]
	v_add_f64 v[221:222], v[221:222], v[223:224]
	s_delay_alu instid0(VALU_DEP_1) | instskip(SKIP_4) | instid1(SALU_CYCLE_1)
	v_cmp_lt_f64_e32 vcc_lo, v[221:222], v[225:226]
	v_dual_cndmask_b32 v202, v202, v219 :: v_dual_cndmask_b32 v201, v201, v218
	v_dual_cndmask_b32 v200, v200, v217 :: v_dual_cndmask_b32 v203, v203, v220
	v_cndmask_b32_e64 v208, v208, s6, vcc_lo
	s_add_i32 s6, s6, 1
	s_cmp_lg_u32 s5, s6
	s_cbranch_scc1 .LBB98_316
.LBB98_317:
	s_set_inst_prefetch_distance 0x2
	s_waitcnt lgkmcnt(0)
	v_cmp_eq_f64_e32 vcc_lo, 0, v[200:201]
	v_cmp_eq_f64_e64 s2, 0, v[202:203]
	s_delay_alu instid0(VALU_DEP_1) | instskip(NEXT) | instid1(SALU_CYCLE_1)
	s_and_b32 s2, vcc_lo, s2
	s_and_saveexec_b32 s3, s2
	s_delay_alu instid0(SALU_CYCLE_1)
	s_xor_b32 s2, exec_lo, s3
; %bb.318:
	v_cmp_ne_u32_e32 vcc_lo, 0, v213
	v_cndmask_b32_e32 v213, 16, v213, vcc_lo
; %bb.319:
	s_and_not1_saveexec_b32 s3, s2
	s_cbranch_execz .LBB98_325
; %bb.320:
	v_cmp_gt_f64_e32 vcc_lo, 0, v[200:201]
	v_cmp_gt_f64_e64 s2, 0, v[202:203]
	v_xor_b32_e32 v209, 0x80000000, v201
	v_xor_b32_e32 v217, 0x80000000, v203
	s_delay_alu instid0(VALU_DEP_2) | instskip(NEXT) | instid1(VALU_DEP_2)
	v_cndmask_b32_e32 v218, v201, v209, vcc_lo
	v_cndmask_b32_e64 v220, v203, v217, s2
	v_cndmask_b32_e32 v217, v200, v200, vcc_lo
	v_cndmask_b32_e64 v219, v202, v202, s2
	s_mov_b32 s2, exec_lo
	s_delay_alu instid0(VALU_DEP_1)
	v_cmpx_ngt_f64_e32 v[217:218], v[219:220]
	s_xor_b32 s2, exec_lo, s2
	s_cbranch_execz .LBB98_322
; %bb.321:
	v_div_scale_f64 v[217:218], null, v[202:203], v[202:203], v[200:201]
	v_div_scale_f64 v[223:224], vcc_lo, v[200:201], v[202:203], v[200:201]
	s_delay_alu instid0(VALU_DEP_2) | instskip(SKIP_2) | instid1(VALU_DEP_1)
	v_rcp_f64_e32 v[219:220], v[217:218]
	s_waitcnt_depctr 0xfff
	v_fma_f64 v[221:222], -v[217:218], v[219:220], 1.0
	v_fma_f64 v[219:220], v[219:220], v[221:222], v[219:220]
	s_delay_alu instid0(VALU_DEP_1) | instskip(NEXT) | instid1(VALU_DEP_1)
	v_fma_f64 v[221:222], -v[217:218], v[219:220], 1.0
	v_fma_f64 v[219:220], v[219:220], v[221:222], v[219:220]
	s_delay_alu instid0(VALU_DEP_1) | instskip(NEXT) | instid1(VALU_DEP_1)
	v_mul_f64 v[221:222], v[223:224], v[219:220]
	v_fma_f64 v[217:218], -v[217:218], v[221:222], v[223:224]
	s_delay_alu instid0(VALU_DEP_1) | instskip(NEXT) | instid1(VALU_DEP_1)
	v_div_fmas_f64 v[217:218], v[217:218], v[219:220], v[221:222]
	v_div_fixup_f64 v[217:218], v[217:218], v[202:203], v[200:201]
	s_delay_alu instid0(VALU_DEP_1) | instskip(NEXT) | instid1(VALU_DEP_1)
	v_fma_f64 v[200:201], v[200:201], v[217:218], v[202:203]
	v_div_scale_f64 v[202:203], null, v[200:201], v[200:201], 1.0
	s_delay_alu instid0(VALU_DEP_1) | instskip(SKIP_2) | instid1(VALU_DEP_1)
	v_rcp_f64_e32 v[219:220], v[202:203]
	s_waitcnt_depctr 0xfff
	v_fma_f64 v[221:222], -v[202:203], v[219:220], 1.0
	v_fma_f64 v[219:220], v[219:220], v[221:222], v[219:220]
	s_delay_alu instid0(VALU_DEP_1) | instskip(NEXT) | instid1(VALU_DEP_1)
	v_fma_f64 v[221:222], -v[202:203], v[219:220], 1.0
	v_fma_f64 v[219:220], v[219:220], v[221:222], v[219:220]
	v_div_scale_f64 v[221:222], vcc_lo, 1.0, v[200:201], 1.0
	s_delay_alu instid0(VALU_DEP_1) | instskip(NEXT) | instid1(VALU_DEP_1)
	v_mul_f64 v[223:224], v[221:222], v[219:220]
	v_fma_f64 v[202:203], -v[202:203], v[223:224], v[221:222]
	s_delay_alu instid0(VALU_DEP_1) | instskip(NEXT) | instid1(VALU_DEP_1)
	v_div_fmas_f64 v[202:203], v[202:203], v[219:220], v[223:224]
	v_div_fixup_f64 v[202:203], v[202:203], v[200:201], 1.0
	s_delay_alu instid0(VALU_DEP_1)
	v_mul_f64 v[200:201], v[217:218], v[202:203]
	v_xor_b32_e32 v203, 0x80000000, v203
.LBB98_322:
	s_and_not1_saveexec_b32 s2, s2
	s_cbranch_execz .LBB98_324
; %bb.323:
	s_delay_alu instid0(VALU_DEP_1) | instskip(SKIP_1) | instid1(VALU_DEP_2)
	v_div_scale_f64 v[217:218], null, v[200:201], v[200:201], v[202:203]
	v_div_scale_f64 v[223:224], vcc_lo, v[202:203], v[200:201], v[202:203]
	v_rcp_f64_e32 v[219:220], v[217:218]
	s_waitcnt_depctr 0xfff
	v_fma_f64 v[221:222], -v[217:218], v[219:220], 1.0
	s_delay_alu instid0(VALU_DEP_1) | instskip(NEXT) | instid1(VALU_DEP_1)
	v_fma_f64 v[219:220], v[219:220], v[221:222], v[219:220]
	v_fma_f64 v[221:222], -v[217:218], v[219:220], 1.0
	s_delay_alu instid0(VALU_DEP_1) | instskip(NEXT) | instid1(VALU_DEP_1)
	v_fma_f64 v[219:220], v[219:220], v[221:222], v[219:220]
	v_mul_f64 v[221:222], v[223:224], v[219:220]
	s_delay_alu instid0(VALU_DEP_1) | instskip(NEXT) | instid1(VALU_DEP_1)
	v_fma_f64 v[217:218], -v[217:218], v[221:222], v[223:224]
	v_div_fmas_f64 v[217:218], v[217:218], v[219:220], v[221:222]
	s_delay_alu instid0(VALU_DEP_1) | instskip(NEXT) | instid1(VALU_DEP_1)
	v_div_fixup_f64 v[217:218], v[217:218], v[200:201], v[202:203]
	v_fma_f64 v[200:201], v[202:203], v[217:218], v[200:201]
	s_delay_alu instid0(VALU_DEP_1) | instskip(NEXT) | instid1(VALU_DEP_1)
	v_div_scale_f64 v[202:203], null, v[200:201], v[200:201], 1.0
	v_rcp_f64_e32 v[219:220], v[202:203]
	s_waitcnt_depctr 0xfff
	v_fma_f64 v[221:222], -v[202:203], v[219:220], 1.0
	s_delay_alu instid0(VALU_DEP_1) | instskip(NEXT) | instid1(VALU_DEP_1)
	v_fma_f64 v[219:220], v[219:220], v[221:222], v[219:220]
	v_fma_f64 v[221:222], -v[202:203], v[219:220], 1.0
	s_delay_alu instid0(VALU_DEP_1) | instskip(SKIP_1) | instid1(VALU_DEP_1)
	v_fma_f64 v[219:220], v[219:220], v[221:222], v[219:220]
	v_div_scale_f64 v[221:222], vcc_lo, 1.0, v[200:201], 1.0
	v_mul_f64 v[223:224], v[221:222], v[219:220]
	s_delay_alu instid0(VALU_DEP_1) | instskip(NEXT) | instid1(VALU_DEP_1)
	v_fma_f64 v[202:203], -v[202:203], v[223:224], v[221:222]
	v_div_fmas_f64 v[202:203], v[202:203], v[219:220], v[223:224]
	s_delay_alu instid0(VALU_DEP_1) | instskip(NEXT) | instid1(VALU_DEP_1)
	v_div_fixup_f64 v[200:201], v[202:203], v[200:201], 1.0
	v_mul_f64 v[202:203], v[217:218], -v[200:201]
.LBB98_324:
	s_or_b32 exec_lo, exec_lo, s2
.LBB98_325:
	s_delay_alu instid0(SALU_CYCLE_1) | instskip(NEXT) | instid1(SALU_CYCLE_1)
	s_or_b32 exec_lo, exec_lo, s3
	s_mov_b32 s2, exec_lo
	v_cmpx_ne_u32_e64 v216, v208
	s_xor_b32 s2, exec_lo, s2
	s_cbranch_execz .LBB98_331
; %bb.326:
	s_mov_b32 s3, exec_lo
	v_cmpx_eq_u32_e32 15, v216
	s_cbranch_execz .LBB98_330
; %bb.327:
	v_cmp_ne_u32_e32 vcc_lo, 15, v208
	s_xor_b32 s6, s4, -1
	s_delay_alu instid0(SALU_CYCLE_1) | instskip(NEXT) | instid1(SALU_CYCLE_1)
	s_and_b32 s7, s6, vcc_lo
	s_and_saveexec_b32 s6, s7
	s_cbranch_execz .LBB98_329
; %bb.328:
	v_ashrrev_i32_e32 v209, 31, v208
	s_delay_alu instid0(VALU_DEP_1) | instskip(NEXT) | instid1(VALU_DEP_1)
	v_lshlrev_b64 v[215:216], 2, v[208:209]
	v_add_co_u32 v215, vcc_lo, v206, v215
	s_delay_alu instid0(VALU_DEP_2)
	v_add_co_ci_u32_e32 v216, vcc_lo, v207, v216, vcc_lo
	s_clause 0x1
	flat_load_b32 v209, v[215:216]
	flat_load_b32 v217, v[206:207] offset:60
	s_waitcnt vmcnt(1) lgkmcnt(1)
	flat_store_b32 v[206:207], v209 offset:60
	s_waitcnt vmcnt(0) lgkmcnt(1)
	flat_store_b32 v[215:216], v217
.LBB98_329:
	s_or_b32 exec_lo, exec_lo, s6
	v_mov_b32_e32 v216, v208
	v_mov_b32_e32 v215, v208
.LBB98_330:
	s_or_b32 exec_lo, exec_lo, s3
.LBB98_331:
	s_and_not1_saveexec_b32 s2, s2
	s_cbranch_execz .LBB98_333
; %bb.332:
	v_mov_b32_e32 v216, 15
	ds_store_2addr_b64 v210, v[132:133], v[134:135] offset0:32 offset1:33
	ds_store_2addr_b64 v210, v[128:129], v[130:131] offset0:34 offset1:35
	;; [unrolled: 1-line block ×34, first 2 shown]
.LBB98_333:
	s_or_b32 exec_lo, exec_lo, s2
	s_delay_alu instid0(SALU_CYCLE_1)
	s_mov_b32 s2, exec_lo
	s_waitcnt lgkmcnt(0)
	s_waitcnt_vscnt null, 0x0
	s_barrier
	buffer_gl0_inv
	v_cmpx_lt_i32_e32 15, v216
	s_cbranch_execz .LBB98_335
; %bb.334:
	v_mul_f64 v[208:209], v[202:203], v[138:139]
	v_mul_f64 v[138:139], v[200:201], v[138:139]
	s_delay_alu instid0(VALU_DEP_2) | instskip(NEXT) | instid1(VALU_DEP_2)
	v_fma_f64 v[208:209], v[200:201], v[136:137], -v[208:209]
	v_fma_f64 v[138:139], v[202:203], v[136:137], v[138:139]
	ds_load_2addr_b64 v[200:203], v210 offset0:32 offset1:33
	s_waitcnt lgkmcnt(0)
	v_mul_f64 v[136:137], v[202:203], v[138:139]
	s_delay_alu instid0(VALU_DEP_1) | instskip(SKIP_1) | instid1(VALU_DEP_2)
	v_fma_f64 v[136:137], v[200:201], v[208:209], -v[136:137]
	v_mul_f64 v[200:201], v[200:201], v[138:139]
	v_add_f64 v[132:133], v[132:133], -v[136:137]
	s_delay_alu instid0(VALU_DEP_2) | instskip(NEXT) | instid1(VALU_DEP_1)
	v_fma_f64 v[200:201], v[202:203], v[208:209], v[200:201]
	v_add_f64 v[134:135], v[134:135], -v[200:201]
	ds_load_2addr_b64 v[200:203], v210 offset0:34 offset1:35
	s_waitcnt lgkmcnt(0)
	v_mul_f64 v[136:137], v[202:203], v[138:139]
	s_delay_alu instid0(VALU_DEP_1) | instskip(SKIP_1) | instid1(VALU_DEP_2)
	v_fma_f64 v[136:137], v[200:201], v[208:209], -v[136:137]
	v_mul_f64 v[200:201], v[200:201], v[138:139]
	v_add_f64 v[128:129], v[128:129], -v[136:137]
	s_delay_alu instid0(VALU_DEP_2) | instskip(NEXT) | instid1(VALU_DEP_1)
	v_fma_f64 v[200:201], v[202:203], v[208:209], v[200:201]
	v_add_f64 v[130:131], v[130:131], -v[200:201]
	;; [unrolled: 10-line block ×33, first 2 shown]
	ds_load_2addr_b64 v[200:203], v210 offset0:98 offset1:99
	s_waitcnt lgkmcnt(0)
	v_mul_f64 v[136:137], v[202:203], v[138:139]
	s_delay_alu instid0(VALU_DEP_1) | instskip(SKIP_1) | instid1(VALU_DEP_2)
	v_fma_f64 v[136:137], v[200:201], v[208:209], -v[136:137]
	v_mul_f64 v[200:201], v[200:201], v[138:139]
	v_add_f64 v[0:1], v[0:1], -v[136:137]
	s_delay_alu instid0(VALU_DEP_2) | instskip(SKIP_1) | instid1(VALU_DEP_2)
	v_fma_f64 v[200:201], v[202:203], v[208:209], v[200:201]
	v_dual_mov_b32 v136, v208 :: v_dual_mov_b32 v137, v209
	v_add_f64 v[2:3], v[2:3], -v[200:201]
.LBB98_335:
	s_or_b32 exec_lo, exec_lo, s2
	v_lshl_add_u32 v200, v216, 4, v210
	s_barrier
	buffer_gl0_inv
	v_mov_b32_e32 v208, 16
	ds_store_2addr_b64 v200, v[132:133], v[134:135] offset1:1
	s_waitcnt lgkmcnt(0)
	s_barrier
	buffer_gl0_inv
	ds_load_2addr_b64 v[200:203], v210 offset0:32 offset1:33
	s_cmp_lt_i32 s5, 18
	s_cbranch_scc1 .LBB98_338
; %bb.336:
	v_add3_u32 v209, v214, 0, 0x110
	v_mov_b32_e32 v208, 16
	s_mov_b32 s6, 17
	s_set_inst_prefetch_distance 0x1
	.p2align	6
.LBB98_337:                             ; =>This Inner Loop Header: Depth=1
	ds_load_2addr_b64 v[217:220], v209 offset1:1
	s_waitcnt lgkmcnt(1)
	v_cmp_gt_f64_e32 vcc_lo, 0, v[200:201]
	v_xor_b32_e32 v221, 0x80000000, v201
	v_cmp_gt_f64_e64 s2, 0, v[202:203]
	v_xor_b32_e32 v223, 0x80000000, v203
	v_add_nc_u32_e32 v209, 16, v209
	s_waitcnt lgkmcnt(0)
	v_cmp_gt_f64_e64 s3, 0, v[217:218]
	v_mov_b32_e32 v225, v217
	v_dual_mov_b32 v227, v219 :: v_dual_cndmask_b32 v222, v201, v221
	v_xor_b32_e32 v221, 0x80000000, v218
	v_cndmask_b32_e64 v224, v203, v223, s2
	v_xor_b32_e32 v223, 0x80000000, v220
	s_delay_alu instid0(VALU_DEP_3) | instskip(SKIP_2) | instid1(VALU_DEP_2)
	v_cndmask_b32_e64 v226, v218, v221, s3
	v_cmp_gt_f64_e64 s3, 0, v[219:220]
	v_cndmask_b32_e32 v221, v200, v200, vcc_lo
	v_cndmask_b32_e64 v228, v220, v223, s3
	v_cndmask_b32_e64 v223, v202, v202, s2
	s_delay_alu instid0(VALU_DEP_2) | instskip(NEXT) | instid1(VALU_DEP_2)
	v_add_f64 v[225:226], v[225:226], v[227:228]
	v_add_f64 v[221:222], v[221:222], v[223:224]
	s_delay_alu instid0(VALU_DEP_1) | instskip(SKIP_4) | instid1(SALU_CYCLE_1)
	v_cmp_lt_f64_e32 vcc_lo, v[221:222], v[225:226]
	v_dual_cndmask_b32 v202, v202, v219 :: v_dual_cndmask_b32 v201, v201, v218
	v_dual_cndmask_b32 v200, v200, v217 :: v_dual_cndmask_b32 v203, v203, v220
	v_cndmask_b32_e64 v208, v208, s6, vcc_lo
	s_add_i32 s6, s6, 1
	s_cmp_lg_u32 s5, s6
	s_cbranch_scc1 .LBB98_337
.LBB98_338:
	s_set_inst_prefetch_distance 0x2
	s_waitcnt lgkmcnt(0)
	v_cmp_eq_f64_e32 vcc_lo, 0, v[200:201]
	v_cmp_eq_f64_e64 s2, 0, v[202:203]
	s_delay_alu instid0(VALU_DEP_1) | instskip(NEXT) | instid1(SALU_CYCLE_1)
	s_and_b32 s2, vcc_lo, s2
	s_and_saveexec_b32 s3, s2
	s_delay_alu instid0(SALU_CYCLE_1)
	s_xor_b32 s2, exec_lo, s3
; %bb.339:
	v_cmp_ne_u32_e32 vcc_lo, 0, v213
	v_cndmask_b32_e32 v213, 17, v213, vcc_lo
; %bb.340:
	s_and_not1_saveexec_b32 s3, s2
	s_cbranch_execz .LBB98_346
; %bb.341:
	v_cmp_gt_f64_e32 vcc_lo, 0, v[200:201]
	v_cmp_gt_f64_e64 s2, 0, v[202:203]
	v_xor_b32_e32 v209, 0x80000000, v201
	v_xor_b32_e32 v217, 0x80000000, v203
	s_delay_alu instid0(VALU_DEP_2) | instskip(NEXT) | instid1(VALU_DEP_2)
	v_cndmask_b32_e32 v218, v201, v209, vcc_lo
	v_cndmask_b32_e64 v220, v203, v217, s2
	v_cndmask_b32_e32 v217, v200, v200, vcc_lo
	v_cndmask_b32_e64 v219, v202, v202, s2
	s_mov_b32 s2, exec_lo
	s_delay_alu instid0(VALU_DEP_1)
	v_cmpx_ngt_f64_e32 v[217:218], v[219:220]
	s_xor_b32 s2, exec_lo, s2
	s_cbranch_execz .LBB98_343
; %bb.342:
	v_div_scale_f64 v[217:218], null, v[202:203], v[202:203], v[200:201]
	v_div_scale_f64 v[223:224], vcc_lo, v[200:201], v[202:203], v[200:201]
	s_delay_alu instid0(VALU_DEP_2) | instskip(SKIP_2) | instid1(VALU_DEP_1)
	v_rcp_f64_e32 v[219:220], v[217:218]
	s_waitcnt_depctr 0xfff
	v_fma_f64 v[221:222], -v[217:218], v[219:220], 1.0
	v_fma_f64 v[219:220], v[219:220], v[221:222], v[219:220]
	s_delay_alu instid0(VALU_DEP_1) | instskip(NEXT) | instid1(VALU_DEP_1)
	v_fma_f64 v[221:222], -v[217:218], v[219:220], 1.0
	v_fma_f64 v[219:220], v[219:220], v[221:222], v[219:220]
	s_delay_alu instid0(VALU_DEP_1) | instskip(NEXT) | instid1(VALU_DEP_1)
	v_mul_f64 v[221:222], v[223:224], v[219:220]
	v_fma_f64 v[217:218], -v[217:218], v[221:222], v[223:224]
	s_delay_alu instid0(VALU_DEP_1) | instskip(NEXT) | instid1(VALU_DEP_1)
	v_div_fmas_f64 v[217:218], v[217:218], v[219:220], v[221:222]
	v_div_fixup_f64 v[217:218], v[217:218], v[202:203], v[200:201]
	s_delay_alu instid0(VALU_DEP_1) | instskip(NEXT) | instid1(VALU_DEP_1)
	v_fma_f64 v[200:201], v[200:201], v[217:218], v[202:203]
	v_div_scale_f64 v[202:203], null, v[200:201], v[200:201], 1.0
	s_delay_alu instid0(VALU_DEP_1) | instskip(SKIP_2) | instid1(VALU_DEP_1)
	v_rcp_f64_e32 v[219:220], v[202:203]
	s_waitcnt_depctr 0xfff
	v_fma_f64 v[221:222], -v[202:203], v[219:220], 1.0
	v_fma_f64 v[219:220], v[219:220], v[221:222], v[219:220]
	s_delay_alu instid0(VALU_DEP_1) | instskip(NEXT) | instid1(VALU_DEP_1)
	v_fma_f64 v[221:222], -v[202:203], v[219:220], 1.0
	v_fma_f64 v[219:220], v[219:220], v[221:222], v[219:220]
	v_div_scale_f64 v[221:222], vcc_lo, 1.0, v[200:201], 1.0
	s_delay_alu instid0(VALU_DEP_1) | instskip(NEXT) | instid1(VALU_DEP_1)
	v_mul_f64 v[223:224], v[221:222], v[219:220]
	v_fma_f64 v[202:203], -v[202:203], v[223:224], v[221:222]
	s_delay_alu instid0(VALU_DEP_1) | instskip(NEXT) | instid1(VALU_DEP_1)
	v_div_fmas_f64 v[202:203], v[202:203], v[219:220], v[223:224]
	v_div_fixup_f64 v[202:203], v[202:203], v[200:201], 1.0
	s_delay_alu instid0(VALU_DEP_1)
	v_mul_f64 v[200:201], v[217:218], v[202:203]
	v_xor_b32_e32 v203, 0x80000000, v203
.LBB98_343:
	s_and_not1_saveexec_b32 s2, s2
	s_cbranch_execz .LBB98_345
; %bb.344:
	s_delay_alu instid0(VALU_DEP_1) | instskip(SKIP_1) | instid1(VALU_DEP_2)
	v_div_scale_f64 v[217:218], null, v[200:201], v[200:201], v[202:203]
	v_div_scale_f64 v[223:224], vcc_lo, v[202:203], v[200:201], v[202:203]
	v_rcp_f64_e32 v[219:220], v[217:218]
	s_waitcnt_depctr 0xfff
	v_fma_f64 v[221:222], -v[217:218], v[219:220], 1.0
	s_delay_alu instid0(VALU_DEP_1) | instskip(NEXT) | instid1(VALU_DEP_1)
	v_fma_f64 v[219:220], v[219:220], v[221:222], v[219:220]
	v_fma_f64 v[221:222], -v[217:218], v[219:220], 1.0
	s_delay_alu instid0(VALU_DEP_1) | instskip(NEXT) | instid1(VALU_DEP_1)
	v_fma_f64 v[219:220], v[219:220], v[221:222], v[219:220]
	v_mul_f64 v[221:222], v[223:224], v[219:220]
	s_delay_alu instid0(VALU_DEP_1) | instskip(NEXT) | instid1(VALU_DEP_1)
	v_fma_f64 v[217:218], -v[217:218], v[221:222], v[223:224]
	v_div_fmas_f64 v[217:218], v[217:218], v[219:220], v[221:222]
	s_delay_alu instid0(VALU_DEP_1) | instskip(NEXT) | instid1(VALU_DEP_1)
	v_div_fixup_f64 v[217:218], v[217:218], v[200:201], v[202:203]
	v_fma_f64 v[200:201], v[202:203], v[217:218], v[200:201]
	s_delay_alu instid0(VALU_DEP_1) | instskip(NEXT) | instid1(VALU_DEP_1)
	v_div_scale_f64 v[202:203], null, v[200:201], v[200:201], 1.0
	v_rcp_f64_e32 v[219:220], v[202:203]
	s_waitcnt_depctr 0xfff
	v_fma_f64 v[221:222], -v[202:203], v[219:220], 1.0
	s_delay_alu instid0(VALU_DEP_1) | instskip(NEXT) | instid1(VALU_DEP_1)
	v_fma_f64 v[219:220], v[219:220], v[221:222], v[219:220]
	v_fma_f64 v[221:222], -v[202:203], v[219:220], 1.0
	s_delay_alu instid0(VALU_DEP_1) | instskip(SKIP_1) | instid1(VALU_DEP_1)
	v_fma_f64 v[219:220], v[219:220], v[221:222], v[219:220]
	v_div_scale_f64 v[221:222], vcc_lo, 1.0, v[200:201], 1.0
	v_mul_f64 v[223:224], v[221:222], v[219:220]
	s_delay_alu instid0(VALU_DEP_1) | instskip(NEXT) | instid1(VALU_DEP_1)
	v_fma_f64 v[202:203], -v[202:203], v[223:224], v[221:222]
	v_div_fmas_f64 v[202:203], v[202:203], v[219:220], v[223:224]
	s_delay_alu instid0(VALU_DEP_1) | instskip(NEXT) | instid1(VALU_DEP_1)
	v_div_fixup_f64 v[200:201], v[202:203], v[200:201], 1.0
	v_mul_f64 v[202:203], v[217:218], -v[200:201]
.LBB98_345:
	s_or_b32 exec_lo, exec_lo, s2
.LBB98_346:
	s_delay_alu instid0(SALU_CYCLE_1) | instskip(NEXT) | instid1(SALU_CYCLE_1)
	s_or_b32 exec_lo, exec_lo, s3
	s_mov_b32 s2, exec_lo
	v_cmpx_ne_u32_e64 v216, v208
	s_xor_b32 s2, exec_lo, s2
	s_cbranch_execz .LBB98_352
; %bb.347:
	s_mov_b32 s3, exec_lo
	v_cmpx_eq_u32_e32 16, v216
	s_cbranch_execz .LBB98_351
; %bb.348:
	v_cmp_ne_u32_e32 vcc_lo, 16, v208
	s_xor_b32 s6, s4, -1
	s_delay_alu instid0(SALU_CYCLE_1) | instskip(NEXT) | instid1(SALU_CYCLE_1)
	s_and_b32 s7, s6, vcc_lo
	s_and_saveexec_b32 s6, s7
	s_cbranch_execz .LBB98_350
; %bb.349:
	v_ashrrev_i32_e32 v209, 31, v208
	s_delay_alu instid0(VALU_DEP_1) | instskip(NEXT) | instid1(VALU_DEP_1)
	v_lshlrev_b64 v[215:216], 2, v[208:209]
	v_add_co_u32 v215, vcc_lo, v206, v215
	s_delay_alu instid0(VALU_DEP_2)
	v_add_co_ci_u32_e32 v216, vcc_lo, v207, v216, vcc_lo
	s_clause 0x1
	flat_load_b32 v209, v[215:216]
	flat_load_b32 v217, v[206:207] offset:64
	s_waitcnt vmcnt(1) lgkmcnt(1)
	flat_store_b32 v[206:207], v209 offset:64
	s_waitcnt vmcnt(0) lgkmcnt(1)
	flat_store_b32 v[215:216], v217
.LBB98_350:
	s_or_b32 exec_lo, exec_lo, s6
	v_mov_b32_e32 v216, v208
	v_mov_b32_e32 v215, v208
.LBB98_351:
	s_or_b32 exec_lo, exec_lo, s3
.LBB98_352:
	s_and_not1_saveexec_b32 s2, s2
	s_cbranch_execz .LBB98_354
; %bb.353:
	v_mov_b32_e32 v216, 16
	ds_store_2addr_b64 v210, v[128:129], v[130:131] offset0:34 offset1:35
	ds_store_2addr_b64 v210, v[124:125], v[126:127] offset0:36 offset1:37
	;; [unrolled: 1-line block ×33, first 2 shown]
.LBB98_354:
	s_or_b32 exec_lo, exec_lo, s2
	s_delay_alu instid0(SALU_CYCLE_1)
	s_mov_b32 s2, exec_lo
	s_waitcnt lgkmcnt(0)
	s_waitcnt_vscnt null, 0x0
	s_barrier
	buffer_gl0_inv
	v_cmpx_lt_i32_e32 16, v216
	s_cbranch_execz .LBB98_356
; %bb.355:
	v_mul_f64 v[208:209], v[202:203], v[134:135]
	v_mul_f64 v[134:135], v[200:201], v[134:135]
	s_delay_alu instid0(VALU_DEP_2) | instskip(NEXT) | instid1(VALU_DEP_2)
	v_fma_f64 v[208:209], v[200:201], v[132:133], -v[208:209]
	v_fma_f64 v[134:135], v[202:203], v[132:133], v[134:135]
	ds_load_2addr_b64 v[200:203], v210 offset0:34 offset1:35
	s_waitcnt lgkmcnt(0)
	v_mul_f64 v[132:133], v[202:203], v[134:135]
	s_delay_alu instid0(VALU_DEP_1) | instskip(SKIP_1) | instid1(VALU_DEP_2)
	v_fma_f64 v[132:133], v[200:201], v[208:209], -v[132:133]
	v_mul_f64 v[200:201], v[200:201], v[134:135]
	v_add_f64 v[128:129], v[128:129], -v[132:133]
	s_delay_alu instid0(VALU_DEP_2) | instskip(NEXT) | instid1(VALU_DEP_1)
	v_fma_f64 v[200:201], v[202:203], v[208:209], v[200:201]
	v_add_f64 v[130:131], v[130:131], -v[200:201]
	ds_load_2addr_b64 v[200:203], v210 offset0:36 offset1:37
	s_waitcnt lgkmcnt(0)
	v_mul_f64 v[132:133], v[202:203], v[134:135]
	s_delay_alu instid0(VALU_DEP_1) | instskip(SKIP_1) | instid1(VALU_DEP_2)
	v_fma_f64 v[132:133], v[200:201], v[208:209], -v[132:133]
	v_mul_f64 v[200:201], v[200:201], v[134:135]
	v_add_f64 v[124:125], v[124:125], -v[132:133]
	s_delay_alu instid0(VALU_DEP_2) | instskip(NEXT) | instid1(VALU_DEP_1)
	v_fma_f64 v[200:201], v[202:203], v[208:209], v[200:201]
	v_add_f64 v[126:127], v[126:127], -v[200:201]
	;; [unrolled: 10-line block ×32, first 2 shown]
	ds_load_2addr_b64 v[200:203], v210 offset0:98 offset1:99
	s_waitcnt lgkmcnt(0)
	v_mul_f64 v[132:133], v[202:203], v[134:135]
	s_delay_alu instid0(VALU_DEP_1) | instskip(SKIP_1) | instid1(VALU_DEP_2)
	v_fma_f64 v[132:133], v[200:201], v[208:209], -v[132:133]
	v_mul_f64 v[200:201], v[200:201], v[134:135]
	v_add_f64 v[0:1], v[0:1], -v[132:133]
	s_delay_alu instid0(VALU_DEP_2) | instskip(SKIP_1) | instid1(VALU_DEP_2)
	v_fma_f64 v[200:201], v[202:203], v[208:209], v[200:201]
	v_dual_mov_b32 v132, v208 :: v_dual_mov_b32 v133, v209
	v_add_f64 v[2:3], v[2:3], -v[200:201]
.LBB98_356:
	s_or_b32 exec_lo, exec_lo, s2
	v_lshl_add_u32 v200, v216, 4, v210
	s_barrier
	buffer_gl0_inv
	v_mov_b32_e32 v208, 17
	ds_store_2addr_b64 v200, v[128:129], v[130:131] offset1:1
	s_waitcnt lgkmcnt(0)
	s_barrier
	buffer_gl0_inv
	ds_load_2addr_b64 v[200:203], v210 offset0:34 offset1:35
	s_cmp_lt_i32 s5, 19
	s_cbranch_scc1 .LBB98_359
; %bb.357:
	v_add3_u32 v209, v214, 0, 0x120
	v_mov_b32_e32 v208, 17
	s_mov_b32 s6, 18
	s_set_inst_prefetch_distance 0x1
	.p2align	6
.LBB98_358:                             ; =>This Inner Loop Header: Depth=1
	ds_load_2addr_b64 v[217:220], v209 offset1:1
	s_waitcnt lgkmcnt(1)
	v_cmp_gt_f64_e32 vcc_lo, 0, v[200:201]
	v_xor_b32_e32 v221, 0x80000000, v201
	v_cmp_gt_f64_e64 s2, 0, v[202:203]
	v_xor_b32_e32 v223, 0x80000000, v203
	v_add_nc_u32_e32 v209, 16, v209
	s_waitcnt lgkmcnt(0)
	v_cmp_gt_f64_e64 s3, 0, v[217:218]
	v_mov_b32_e32 v225, v217
	v_dual_mov_b32 v227, v219 :: v_dual_cndmask_b32 v222, v201, v221
	v_xor_b32_e32 v221, 0x80000000, v218
	v_cndmask_b32_e64 v224, v203, v223, s2
	v_xor_b32_e32 v223, 0x80000000, v220
	s_delay_alu instid0(VALU_DEP_3) | instskip(SKIP_2) | instid1(VALU_DEP_2)
	v_cndmask_b32_e64 v226, v218, v221, s3
	v_cmp_gt_f64_e64 s3, 0, v[219:220]
	v_cndmask_b32_e32 v221, v200, v200, vcc_lo
	v_cndmask_b32_e64 v228, v220, v223, s3
	v_cndmask_b32_e64 v223, v202, v202, s2
	s_delay_alu instid0(VALU_DEP_2) | instskip(NEXT) | instid1(VALU_DEP_2)
	v_add_f64 v[225:226], v[225:226], v[227:228]
	v_add_f64 v[221:222], v[221:222], v[223:224]
	s_delay_alu instid0(VALU_DEP_1) | instskip(SKIP_4) | instid1(SALU_CYCLE_1)
	v_cmp_lt_f64_e32 vcc_lo, v[221:222], v[225:226]
	v_dual_cndmask_b32 v202, v202, v219 :: v_dual_cndmask_b32 v201, v201, v218
	v_dual_cndmask_b32 v200, v200, v217 :: v_dual_cndmask_b32 v203, v203, v220
	v_cndmask_b32_e64 v208, v208, s6, vcc_lo
	s_add_i32 s6, s6, 1
	s_cmp_lg_u32 s5, s6
	s_cbranch_scc1 .LBB98_358
.LBB98_359:
	s_set_inst_prefetch_distance 0x2
	s_waitcnt lgkmcnt(0)
	v_cmp_eq_f64_e32 vcc_lo, 0, v[200:201]
	v_cmp_eq_f64_e64 s2, 0, v[202:203]
	s_delay_alu instid0(VALU_DEP_1) | instskip(NEXT) | instid1(SALU_CYCLE_1)
	s_and_b32 s2, vcc_lo, s2
	s_and_saveexec_b32 s3, s2
	s_delay_alu instid0(SALU_CYCLE_1)
	s_xor_b32 s2, exec_lo, s3
; %bb.360:
	v_cmp_ne_u32_e32 vcc_lo, 0, v213
	v_cndmask_b32_e32 v213, 18, v213, vcc_lo
; %bb.361:
	s_and_not1_saveexec_b32 s3, s2
	s_cbranch_execz .LBB98_367
; %bb.362:
	v_cmp_gt_f64_e32 vcc_lo, 0, v[200:201]
	v_cmp_gt_f64_e64 s2, 0, v[202:203]
	v_xor_b32_e32 v209, 0x80000000, v201
	v_xor_b32_e32 v217, 0x80000000, v203
	s_delay_alu instid0(VALU_DEP_2) | instskip(NEXT) | instid1(VALU_DEP_2)
	v_cndmask_b32_e32 v218, v201, v209, vcc_lo
	v_cndmask_b32_e64 v220, v203, v217, s2
	v_cndmask_b32_e32 v217, v200, v200, vcc_lo
	v_cndmask_b32_e64 v219, v202, v202, s2
	s_mov_b32 s2, exec_lo
	s_delay_alu instid0(VALU_DEP_1)
	v_cmpx_ngt_f64_e32 v[217:218], v[219:220]
	s_xor_b32 s2, exec_lo, s2
	s_cbranch_execz .LBB98_364
; %bb.363:
	v_div_scale_f64 v[217:218], null, v[202:203], v[202:203], v[200:201]
	v_div_scale_f64 v[223:224], vcc_lo, v[200:201], v[202:203], v[200:201]
	s_delay_alu instid0(VALU_DEP_2) | instskip(SKIP_2) | instid1(VALU_DEP_1)
	v_rcp_f64_e32 v[219:220], v[217:218]
	s_waitcnt_depctr 0xfff
	v_fma_f64 v[221:222], -v[217:218], v[219:220], 1.0
	v_fma_f64 v[219:220], v[219:220], v[221:222], v[219:220]
	s_delay_alu instid0(VALU_DEP_1) | instskip(NEXT) | instid1(VALU_DEP_1)
	v_fma_f64 v[221:222], -v[217:218], v[219:220], 1.0
	v_fma_f64 v[219:220], v[219:220], v[221:222], v[219:220]
	s_delay_alu instid0(VALU_DEP_1) | instskip(NEXT) | instid1(VALU_DEP_1)
	v_mul_f64 v[221:222], v[223:224], v[219:220]
	v_fma_f64 v[217:218], -v[217:218], v[221:222], v[223:224]
	s_delay_alu instid0(VALU_DEP_1) | instskip(NEXT) | instid1(VALU_DEP_1)
	v_div_fmas_f64 v[217:218], v[217:218], v[219:220], v[221:222]
	v_div_fixup_f64 v[217:218], v[217:218], v[202:203], v[200:201]
	s_delay_alu instid0(VALU_DEP_1) | instskip(NEXT) | instid1(VALU_DEP_1)
	v_fma_f64 v[200:201], v[200:201], v[217:218], v[202:203]
	v_div_scale_f64 v[202:203], null, v[200:201], v[200:201], 1.0
	s_delay_alu instid0(VALU_DEP_1) | instskip(SKIP_2) | instid1(VALU_DEP_1)
	v_rcp_f64_e32 v[219:220], v[202:203]
	s_waitcnt_depctr 0xfff
	v_fma_f64 v[221:222], -v[202:203], v[219:220], 1.0
	v_fma_f64 v[219:220], v[219:220], v[221:222], v[219:220]
	s_delay_alu instid0(VALU_DEP_1) | instskip(NEXT) | instid1(VALU_DEP_1)
	v_fma_f64 v[221:222], -v[202:203], v[219:220], 1.0
	v_fma_f64 v[219:220], v[219:220], v[221:222], v[219:220]
	v_div_scale_f64 v[221:222], vcc_lo, 1.0, v[200:201], 1.0
	s_delay_alu instid0(VALU_DEP_1) | instskip(NEXT) | instid1(VALU_DEP_1)
	v_mul_f64 v[223:224], v[221:222], v[219:220]
	v_fma_f64 v[202:203], -v[202:203], v[223:224], v[221:222]
	s_delay_alu instid0(VALU_DEP_1) | instskip(NEXT) | instid1(VALU_DEP_1)
	v_div_fmas_f64 v[202:203], v[202:203], v[219:220], v[223:224]
	v_div_fixup_f64 v[202:203], v[202:203], v[200:201], 1.0
	s_delay_alu instid0(VALU_DEP_1)
	v_mul_f64 v[200:201], v[217:218], v[202:203]
	v_xor_b32_e32 v203, 0x80000000, v203
.LBB98_364:
	s_and_not1_saveexec_b32 s2, s2
	s_cbranch_execz .LBB98_366
; %bb.365:
	s_delay_alu instid0(VALU_DEP_1) | instskip(SKIP_1) | instid1(VALU_DEP_2)
	v_div_scale_f64 v[217:218], null, v[200:201], v[200:201], v[202:203]
	v_div_scale_f64 v[223:224], vcc_lo, v[202:203], v[200:201], v[202:203]
	v_rcp_f64_e32 v[219:220], v[217:218]
	s_waitcnt_depctr 0xfff
	v_fma_f64 v[221:222], -v[217:218], v[219:220], 1.0
	s_delay_alu instid0(VALU_DEP_1) | instskip(NEXT) | instid1(VALU_DEP_1)
	v_fma_f64 v[219:220], v[219:220], v[221:222], v[219:220]
	v_fma_f64 v[221:222], -v[217:218], v[219:220], 1.0
	s_delay_alu instid0(VALU_DEP_1) | instskip(NEXT) | instid1(VALU_DEP_1)
	v_fma_f64 v[219:220], v[219:220], v[221:222], v[219:220]
	v_mul_f64 v[221:222], v[223:224], v[219:220]
	s_delay_alu instid0(VALU_DEP_1) | instskip(NEXT) | instid1(VALU_DEP_1)
	v_fma_f64 v[217:218], -v[217:218], v[221:222], v[223:224]
	v_div_fmas_f64 v[217:218], v[217:218], v[219:220], v[221:222]
	s_delay_alu instid0(VALU_DEP_1) | instskip(NEXT) | instid1(VALU_DEP_1)
	v_div_fixup_f64 v[217:218], v[217:218], v[200:201], v[202:203]
	v_fma_f64 v[200:201], v[202:203], v[217:218], v[200:201]
	s_delay_alu instid0(VALU_DEP_1) | instskip(NEXT) | instid1(VALU_DEP_1)
	v_div_scale_f64 v[202:203], null, v[200:201], v[200:201], 1.0
	v_rcp_f64_e32 v[219:220], v[202:203]
	s_waitcnt_depctr 0xfff
	v_fma_f64 v[221:222], -v[202:203], v[219:220], 1.0
	s_delay_alu instid0(VALU_DEP_1) | instskip(NEXT) | instid1(VALU_DEP_1)
	v_fma_f64 v[219:220], v[219:220], v[221:222], v[219:220]
	v_fma_f64 v[221:222], -v[202:203], v[219:220], 1.0
	s_delay_alu instid0(VALU_DEP_1) | instskip(SKIP_1) | instid1(VALU_DEP_1)
	v_fma_f64 v[219:220], v[219:220], v[221:222], v[219:220]
	v_div_scale_f64 v[221:222], vcc_lo, 1.0, v[200:201], 1.0
	v_mul_f64 v[223:224], v[221:222], v[219:220]
	s_delay_alu instid0(VALU_DEP_1) | instskip(NEXT) | instid1(VALU_DEP_1)
	v_fma_f64 v[202:203], -v[202:203], v[223:224], v[221:222]
	v_div_fmas_f64 v[202:203], v[202:203], v[219:220], v[223:224]
	s_delay_alu instid0(VALU_DEP_1) | instskip(NEXT) | instid1(VALU_DEP_1)
	v_div_fixup_f64 v[200:201], v[202:203], v[200:201], 1.0
	v_mul_f64 v[202:203], v[217:218], -v[200:201]
.LBB98_366:
	s_or_b32 exec_lo, exec_lo, s2
.LBB98_367:
	s_delay_alu instid0(SALU_CYCLE_1) | instskip(NEXT) | instid1(SALU_CYCLE_1)
	s_or_b32 exec_lo, exec_lo, s3
	s_mov_b32 s2, exec_lo
	v_cmpx_ne_u32_e64 v216, v208
	s_xor_b32 s2, exec_lo, s2
	s_cbranch_execz .LBB98_373
; %bb.368:
	s_mov_b32 s3, exec_lo
	v_cmpx_eq_u32_e32 17, v216
	s_cbranch_execz .LBB98_372
; %bb.369:
	v_cmp_ne_u32_e32 vcc_lo, 17, v208
	s_xor_b32 s6, s4, -1
	s_delay_alu instid0(SALU_CYCLE_1) | instskip(NEXT) | instid1(SALU_CYCLE_1)
	s_and_b32 s7, s6, vcc_lo
	s_and_saveexec_b32 s6, s7
	s_cbranch_execz .LBB98_371
; %bb.370:
	v_ashrrev_i32_e32 v209, 31, v208
	s_delay_alu instid0(VALU_DEP_1) | instskip(NEXT) | instid1(VALU_DEP_1)
	v_lshlrev_b64 v[215:216], 2, v[208:209]
	v_add_co_u32 v215, vcc_lo, v206, v215
	s_delay_alu instid0(VALU_DEP_2)
	v_add_co_ci_u32_e32 v216, vcc_lo, v207, v216, vcc_lo
	s_clause 0x1
	flat_load_b32 v209, v[215:216]
	flat_load_b32 v217, v[206:207] offset:68
	s_waitcnt vmcnt(1) lgkmcnt(1)
	flat_store_b32 v[206:207], v209 offset:68
	s_waitcnt vmcnt(0) lgkmcnt(1)
	flat_store_b32 v[215:216], v217
.LBB98_371:
	s_or_b32 exec_lo, exec_lo, s6
	v_mov_b32_e32 v216, v208
	v_mov_b32_e32 v215, v208
.LBB98_372:
	s_or_b32 exec_lo, exec_lo, s3
.LBB98_373:
	s_and_not1_saveexec_b32 s2, s2
	s_cbranch_execz .LBB98_375
; %bb.374:
	v_mov_b32_e32 v216, 17
	ds_store_2addr_b64 v210, v[124:125], v[126:127] offset0:36 offset1:37
	ds_store_2addr_b64 v210, v[120:121], v[122:123] offset0:38 offset1:39
	;; [unrolled: 1-line block ×32, first 2 shown]
.LBB98_375:
	s_or_b32 exec_lo, exec_lo, s2
	s_delay_alu instid0(SALU_CYCLE_1)
	s_mov_b32 s2, exec_lo
	s_waitcnt lgkmcnt(0)
	s_waitcnt_vscnt null, 0x0
	s_barrier
	buffer_gl0_inv
	v_cmpx_lt_i32_e32 17, v216
	s_cbranch_execz .LBB98_377
; %bb.376:
	v_mul_f64 v[208:209], v[202:203], v[130:131]
	v_mul_f64 v[130:131], v[200:201], v[130:131]
	s_delay_alu instid0(VALU_DEP_2) | instskip(NEXT) | instid1(VALU_DEP_2)
	v_fma_f64 v[208:209], v[200:201], v[128:129], -v[208:209]
	v_fma_f64 v[130:131], v[202:203], v[128:129], v[130:131]
	ds_load_2addr_b64 v[200:203], v210 offset0:36 offset1:37
	s_waitcnt lgkmcnt(0)
	v_mul_f64 v[128:129], v[202:203], v[130:131]
	s_delay_alu instid0(VALU_DEP_1) | instskip(SKIP_1) | instid1(VALU_DEP_2)
	v_fma_f64 v[128:129], v[200:201], v[208:209], -v[128:129]
	v_mul_f64 v[200:201], v[200:201], v[130:131]
	v_add_f64 v[124:125], v[124:125], -v[128:129]
	s_delay_alu instid0(VALU_DEP_2) | instskip(NEXT) | instid1(VALU_DEP_1)
	v_fma_f64 v[200:201], v[202:203], v[208:209], v[200:201]
	v_add_f64 v[126:127], v[126:127], -v[200:201]
	ds_load_2addr_b64 v[200:203], v210 offset0:38 offset1:39
	s_waitcnt lgkmcnt(0)
	v_mul_f64 v[128:129], v[202:203], v[130:131]
	s_delay_alu instid0(VALU_DEP_1) | instskip(SKIP_1) | instid1(VALU_DEP_2)
	v_fma_f64 v[128:129], v[200:201], v[208:209], -v[128:129]
	v_mul_f64 v[200:201], v[200:201], v[130:131]
	v_add_f64 v[120:121], v[120:121], -v[128:129]
	s_delay_alu instid0(VALU_DEP_2) | instskip(NEXT) | instid1(VALU_DEP_1)
	v_fma_f64 v[200:201], v[202:203], v[208:209], v[200:201]
	v_add_f64 v[122:123], v[122:123], -v[200:201]
	;; [unrolled: 10-line block ×31, first 2 shown]
	ds_load_2addr_b64 v[200:203], v210 offset0:98 offset1:99
	s_waitcnt lgkmcnt(0)
	v_mul_f64 v[128:129], v[202:203], v[130:131]
	s_delay_alu instid0(VALU_DEP_1) | instskip(SKIP_1) | instid1(VALU_DEP_2)
	v_fma_f64 v[128:129], v[200:201], v[208:209], -v[128:129]
	v_mul_f64 v[200:201], v[200:201], v[130:131]
	v_add_f64 v[0:1], v[0:1], -v[128:129]
	s_delay_alu instid0(VALU_DEP_2) | instskip(SKIP_1) | instid1(VALU_DEP_2)
	v_fma_f64 v[200:201], v[202:203], v[208:209], v[200:201]
	v_dual_mov_b32 v128, v208 :: v_dual_mov_b32 v129, v209
	v_add_f64 v[2:3], v[2:3], -v[200:201]
.LBB98_377:
	s_or_b32 exec_lo, exec_lo, s2
	v_lshl_add_u32 v200, v216, 4, v210
	s_barrier
	buffer_gl0_inv
	v_mov_b32_e32 v208, 18
	ds_store_2addr_b64 v200, v[124:125], v[126:127] offset1:1
	s_waitcnt lgkmcnt(0)
	s_barrier
	buffer_gl0_inv
	ds_load_2addr_b64 v[200:203], v210 offset0:36 offset1:37
	s_cmp_lt_i32 s5, 20
	s_cbranch_scc1 .LBB98_380
; %bb.378:
	v_add3_u32 v209, v214, 0, 0x130
	v_mov_b32_e32 v208, 18
	s_mov_b32 s6, 19
	s_set_inst_prefetch_distance 0x1
	.p2align	6
.LBB98_379:                             ; =>This Inner Loop Header: Depth=1
	ds_load_2addr_b64 v[217:220], v209 offset1:1
	s_waitcnt lgkmcnt(1)
	v_cmp_gt_f64_e32 vcc_lo, 0, v[200:201]
	v_xor_b32_e32 v221, 0x80000000, v201
	v_cmp_gt_f64_e64 s2, 0, v[202:203]
	v_xor_b32_e32 v223, 0x80000000, v203
	v_add_nc_u32_e32 v209, 16, v209
	s_waitcnt lgkmcnt(0)
	v_cmp_gt_f64_e64 s3, 0, v[217:218]
	v_mov_b32_e32 v225, v217
	v_dual_mov_b32 v227, v219 :: v_dual_cndmask_b32 v222, v201, v221
	v_xor_b32_e32 v221, 0x80000000, v218
	v_cndmask_b32_e64 v224, v203, v223, s2
	v_xor_b32_e32 v223, 0x80000000, v220
	s_delay_alu instid0(VALU_DEP_3) | instskip(SKIP_2) | instid1(VALU_DEP_2)
	v_cndmask_b32_e64 v226, v218, v221, s3
	v_cmp_gt_f64_e64 s3, 0, v[219:220]
	v_cndmask_b32_e32 v221, v200, v200, vcc_lo
	v_cndmask_b32_e64 v228, v220, v223, s3
	v_cndmask_b32_e64 v223, v202, v202, s2
	s_delay_alu instid0(VALU_DEP_2) | instskip(NEXT) | instid1(VALU_DEP_2)
	v_add_f64 v[225:226], v[225:226], v[227:228]
	v_add_f64 v[221:222], v[221:222], v[223:224]
	s_delay_alu instid0(VALU_DEP_1) | instskip(SKIP_4) | instid1(SALU_CYCLE_1)
	v_cmp_lt_f64_e32 vcc_lo, v[221:222], v[225:226]
	v_dual_cndmask_b32 v202, v202, v219 :: v_dual_cndmask_b32 v201, v201, v218
	v_dual_cndmask_b32 v200, v200, v217 :: v_dual_cndmask_b32 v203, v203, v220
	v_cndmask_b32_e64 v208, v208, s6, vcc_lo
	s_add_i32 s6, s6, 1
	s_cmp_lg_u32 s5, s6
	s_cbranch_scc1 .LBB98_379
.LBB98_380:
	s_set_inst_prefetch_distance 0x2
	s_waitcnt lgkmcnt(0)
	v_cmp_eq_f64_e32 vcc_lo, 0, v[200:201]
	v_cmp_eq_f64_e64 s2, 0, v[202:203]
	s_delay_alu instid0(VALU_DEP_1) | instskip(NEXT) | instid1(SALU_CYCLE_1)
	s_and_b32 s2, vcc_lo, s2
	s_and_saveexec_b32 s3, s2
	s_delay_alu instid0(SALU_CYCLE_1)
	s_xor_b32 s2, exec_lo, s3
; %bb.381:
	v_cmp_ne_u32_e32 vcc_lo, 0, v213
	v_cndmask_b32_e32 v213, 19, v213, vcc_lo
; %bb.382:
	s_and_not1_saveexec_b32 s3, s2
	s_cbranch_execz .LBB98_388
; %bb.383:
	v_cmp_gt_f64_e32 vcc_lo, 0, v[200:201]
	v_cmp_gt_f64_e64 s2, 0, v[202:203]
	v_xor_b32_e32 v209, 0x80000000, v201
	v_xor_b32_e32 v217, 0x80000000, v203
	s_delay_alu instid0(VALU_DEP_2) | instskip(NEXT) | instid1(VALU_DEP_2)
	v_cndmask_b32_e32 v218, v201, v209, vcc_lo
	v_cndmask_b32_e64 v220, v203, v217, s2
	v_cndmask_b32_e32 v217, v200, v200, vcc_lo
	v_cndmask_b32_e64 v219, v202, v202, s2
	s_mov_b32 s2, exec_lo
	s_delay_alu instid0(VALU_DEP_1)
	v_cmpx_ngt_f64_e32 v[217:218], v[219:220]
	s_xor_b32 s2, exec_lo, s2
	s_cbranch_execz .LBB98_385
; %bb.384:
	v_div_scale_f64 v[217:218], null, v[202:203], v[202:203], v[200:201]
	v_div_scale_f64 v[223:224], vcc_lo, v[200:201], v[202:203], v[200:201]
	s_delay_alu instid0(VALU_DEP_2) | instskip(SKIP_2) | instid1(VALU_DEP_1)
	v_rcp_f64_e32 v[219:220], v[217:218]
	s_waitcnt_depctr 0xfff
	v_fma_f64 v[221:222], -v[217:218], v[219:220], 1.0
	v_fma_f64 v[219:220], v[219:220], v[221:222], v[219:220]
	s_delay_alu instid0(VALU_DEP_1) | instskip(NEXT) | instid1(VALU_DEP_1)
	v_fma_f64 v[221:222], -v[217:218], v[219:220], 1.0
	v_fma_f64 v[219:220], v[219:220], v[221:222], v[219:220]
	s_delay_alu instid0(VALU_DEP_1) | instskip(NEXT) | instid1(VALU_DEP_1)
	v_mul_f64 v[221:222], v[223:224], v[219:220]
	v_fma_f64 v[217:218], -v[217:218], v[221:222], v[223:224]
	s_delay_alu instid0(VALU_DEP_1) | instskip(NEXT) | instid1(VALU_DEP_1)
	v_div_fmas_f64 v[217:218], v[217:218], v[219:220], v[221:222]
	v_div_fixup_f64 v[217:218], v[217:218], v[202:203], v[200:201]
	s_delay_alu instid0(VALU_DEP_1) | instskip(NEXT) | instid1(VALU_DEP_1)
	v_fma_f64 v[200:201], v[200:201], v[217:218], v[202:203]
	v_div_scale_f64 v[202:203], null, v[200:201], v[200:201], 1.0
	s_delay_alu instid0(VALU_DEP_1) | instskip(SKIP_2) | instid1(VALU_DEP_1)
	v_rcp_f64_e32 v[219:220], v[202:203]
	s_waitcnt_depctr 0xfff
	v_fma_f64 v[221:222], -v[202:203], v[219:220], 1.0
	v_fma_f64 v[219:220], v[219:220], v[221:222], v[219:220]
	s_delay_alu instid0(VALU_DEP_1) | instskip(NEXT) | instid1(VALU_DEP_1)
	v_fma_f64 v[221:222], -v[202:203], v[219:220], 1.0
	v_fma_f64 v[219:220], v[219:220], v[221:222], v[219:220]
	v_div_scale_f64 v[221:222], vcc_lo, 1.0, v[200:201], 1.0
	s_delay_alu instid0(VALU_DEP_1) | instskip(NEXT) | instid1(VALU_DEP_1)
	v_mul_f64 v[223:224], v[221:222], v[219:220]
	v_fma_f64 v[202:203], -v[202:203], v[223:224], v[221:222]
	s_delay_alu instid0(VALU_DEP_1) | instskip(NEXT) | instid1(VALU_DEP_1)
	v_div_fmas_f64 v[202:203], v[202:203], v[219:220], v[223:224]
	v_div_fixup_f64 v[202:203], v[202:203], v[200:201], 1.0
	s_delay_alu instid0(VALU_DEP_1)
	v_mul_f64 v[200:201], v[217:218], v[202:203]
	v_xor_b32_e32 v203, 0x80000000, v203
.LBB98_385:
	s_and_not1_saveexec_b32 s2, s2
	s_cbranch_execz .LBB98_387
; %bb.386:
	s_delay_alu instid0(VALU_DEP_1) | instskip(SKIP_1) | instid1(VALU_DEP_2)
	v_div_scale_f64 v[217:218], null, v[200:201], v[200:201], v[202:203]
	v_div_scale_f64 v[223:224], vcc_lo, v[202:203], v[200:201], v[202:203]
	v_rcp_f64_e32 v[219:220], v[217:218]
	s_waitcnt_depctr 0xfff
	v_fma_f64 v[221:222], -v[217:218], v[219:220], 1.0
	s_delay_alu instid0(VALU_DEP_1) | instskip(NEXT) | instid1(VALU_DEP_1)
	v_fma_f64 v[219:220], v[219:220], v[221:222], v[219:220]
	v_fma_f64 v[221:222], -v[217:218], v[219:220], 1.0
	s_delay_alu instid0(VALU_DEP_1) | instskip(NEXT) | instid1(VALU_DEP_1)
	v_fma_f64 v[219:220], v[219:220], v[221:222], v[219:220]
	v_mul_f64 v[221:222], v[223:224], v[219:220]
	s_delay_alu instid0(VALU_DEP_1) | instskip(NEXT) | instid1(VALU_DEP_1)
	v_fma_f64 v[217:218], -v[217:218], v[221:222], v[223:224]
	v_div_fmas_f64 v[217:218], v[217:218], v[219:220], v[221:222]
	s_delay_alu instid0(VALU_DEP_1) | instskip(NEXT) | instid1(VALU_DEP_1)
	v_div_fixup_f64 v[217:218], v[217:218], v[200:201], v[202:203]
	v_fma_f64 v[200:201], v[202:203], v[217:218], v[200:201]
	s_delay_alu instid0(VALU_DEP_1) | instskip(NEXT) | instid1(VALU_DEP_1)
	v_div_scale_f64 v[202:203], null, v[200:201], v[200:201], 1.0
	v_rcp_f64_e32 v[219:220], v[202:203]
	s_waitcnt_depctr 0xfff
	v_fma_f64 v[221:222], -v[202:203], v[219:220], 1.0
	s_delay_alu instid0(VALU_DEP_1) | instskip(NEXT) | instid1(VALU_DEP_1)
	v_fma_f64 v[219:220], v[219:220], v[221:222], v[219:220]
	v_fma_f64 v[221:222], -v[202:203], v[219:220], 1.0
	s_delay_alu instid0(VALU_DEP_1) | instskip(SKIP_1) | instid1(VALU_DEP_1)
	v_fma_f64 v[219:220], v[219:220], v[221:222], v[219:220]
	v_div_scale_f64 v[221:222], vcc_lo, 1.0, v[200:201], 1.0
	v_mul_f64 v[223:224], v[221:222], v[219:220]
	s_delay_alu instid0(VALU_DEP_1) | instskip(NEXT) | instid1(VALU_DEP_1)
	v_fma_f64 v[202:203], -v[202:203], v[223:224], v[221:222]
	v_div_fmas_f64 v[202:203], v[202:203], v[219:220], v[223:224]
	s_delay_alu instid0(VALU_DEP_1) | instskip(NEXT) | instid1(VALU_DEP_1)
	v_div_fixup_f64 v[200:201], v[202:203], v[200:201], 1.0
	v_mul_f64 v[202:203], v[217:218], -v[200:201]
.LBB98_387:
	s_or_b32 exec_lo, exec_lo, s2
.LBB98_388:
	s_delay_alu instid0(SALU_CYCLE_1) | instskip(NEXT) | instid1(SALU_CYCLE_1)
	s_or_b32 exec_lo, exec_lo, s3
	s_mov_b32 s2, exec_lo
	v_cmpx_ne_u32_e64 v216, v208
	s_xor_b32 s2, exec_lo, s2
	s_cbranch_execz .LBB98_394
; %bb.389:
	s_mov_b32 s3, exec_lo
	v_cmpx_eq_u32_e32 18, v216
	s_cbranch_execz .LBB98_393
; %bb.390:
	v_cmp_ne_u32_e32 vcc_lo, 18, v208
	s_xor_b32 s6, s4, -1
	s_delay_alu instid0(SALU_CYCLE_1) | instskip(NEXT) | instid1(SALU_CYCLE_1)
	s_and_b32 s7, s6, vcc_lo
	s_and_saveexec_b32 s6, s7
	s_cbranch_execz .LBB98_392
; %bb.391:
	v_ashrrev_i32_e32 v209, 31, v208
	s_delay_alu instid0(VALU_DEP_1) | instskip(NEXT) | instid1(VALU_DEP_1)
	v_lshlrev_b64 v[215:216], 2, v[208:209]
	v_add_co_u32 v215, vcc_lo, v206, v215
	s_delay_alu instid0(VALU_DEP_2)
	v_add_co_ci_u32_e32 v216, vcc_lo, v207, v216, vcc_lo
	s_clause 0x1
	flat_load_b32 v209, v[215:216]
	flat_load_b32 v217, v[206:207] offset:72
	s_waitcnt vmcnt(1) lgkmcnt(1)
	flat_store_b32 v[206:207], v209 offset:72
	s_waitcnt vmcnt(0) lgkmcnt(1)
	flat_store_b32 v[215:216], v217
.LBB98_392:
	s_or_b32 exec_lo, exec_lo, s6
	v_mov_b32_e32 v216, v208
	v_mov_b32_e32 v215, v208
.LBB98_393:
	s_or_b32 exec_lo, exec_lo, s3
.LBB98_394:
	s_and_not1_saveexec_b32 s2, s2
	s_cbranch_execz .LBB98_396
; %bb.395:
	v_mov_b32_e32 v216, 18
	ds_store_2addr_b64 v210, v[120:121], v[122:123] offset0:38 offset1:39
	ds_store_2addr_b64 v210, v[116:117], v[118:119] offset0:40 offset1:41
	;; [unrolled: 1-line block ×31, first 2 shown]
.LBB98_396:
	s_or_b32 exec_lo, exec_lo, s2
	s_delay_alu instid0(SALU_CYCLE_1)
	s_mov_b32 s2, exec_lo
	s_waitcnt lgkmcnt(0)
	s_waitcnt_vscnt null, 0x0
	s_barrier
	buffer_gl0_inv
	v_cmpx_lt_i32_e32 18, v216
	s_cbranch_execz .LBB98_398
; %bb.397:
	v_mul_f64 v[208:209], v[202:203], v[126:127]
	v_mul_f64 v[126:127], v[200:201], v[126:127]
	s_delay_alu instid0(VALU_DEP_2) | instskip(NEXT) | instid1(VALU_DEP_2)
	v_fma_f64 v[208:209], v[200:201], v[124:125], -v[208:209]
	v_fma_f64 v[126:127], v[202:203], v[124:125], v[126:127]
	ds_load_2addr_b64 v[200:203], v210 offset0:38 offset1:39
	s_waitcnt lgkmcnt(0)
	v_mul_f64 v[124:125], v[202:203], v[126:127]
	s_delay_alu instid0(VALU_DEP_1) | instskip(SKIP_1) | instid1(VALU_DEP_2)
	v_fma_f64 v[124:125], v[200:201], v[208:209], -v[124:125]
	v_mul_f64 v[200:201], v[200:201], v[126:127]
	v_add_f64 v[120:121], v[120:121], -v[124:125]
	s_delay_alu instid0(VALU_DEP_2) | instskip(NEXT) | instid1(VALU_DEP_1)
	v_fma_f64 v[200:201], v[202:203], v[208:209], v[200:201]
	v_add_f64 v[122:123], v[122:123], -v[200:201]
	ds_load_2addr_b64 v[200:203], v210 offset0:40 offset1:41
	s_waitcnt lgkmcnt(0)
	v_mul_f64 v[124:125], v[202:203], v[126:127]
	s_delay_alu instid0(VALU_DEP_1) | instskip(SKIP_1) | instid1(VALU_DEP_2)
	v_fma_f64 v[124:125], v[200:201], v[208:209], -v[124:125]
	v_mul_f64 v[200:201], v[200:201], v[126:127]
	v_add_f64 v[116:117], v[116:117], -v[124:125]
	s_delay_alu instid0(VALU_DEP_2) | instskip(NEXT) | instid1(VALU_DEP_1)
	v_fma_f64 v[200:201], v[202:203], v[208:209], v[200:201]
	v_add_f64 v[118:119], v[118:119], -v[200:201]
	;; [unrolled: 10-line block ×30, first 2 shown]
	ds_load_2addr_b64 v[200:203], v210 offset0:98 offset1:99
	s_waitcnt lgkmcnt(0)
	v_mul_f64 v[124:125], v[202:203], v[126:127]
	s_delay_alu instid0(VALU_DEP_1) | instskip(SKIP_1) | instid1(VALU_DEP_2)
	v_fma_f64 v[124:125], v[200:201], v[208:209], -v[124:125]
	v_mul_f64 v[200:201], v[200:201], v[126:127]
	v_add_f64 v[0:1], v[0:1], -v[124:125]
	s_delay_alu instid0(VALU_DEP_2) | instskip(SKIP_1) | instid1(VALU_DEP_2)
	v_fma_f64 v[200:201], v[202:203], v[208:209], v[200:201]
	v_dual_mov_b32 v124, v208 :: v_dual_mov_b32 v125, v209
	v_add_f64 v[2:3], v[2:3], -v[200:201]
.LBB98_398:
	s_or_b32 exec_lo, exec_lo, s2
	v_lshl_add_u32 v200, v216, 4, v210
	s_barrier
	buffer_gl0_inv
	v_mov_b32_e32 v208, 19
	ds_store_2addr_b64 v200, v[120:121], v[122:123] offset1:1
	s_waitcnt lgkmcnt(0)
	s_barrier
	buffer_gl0_inv
	ds_load_2addr_b64 v[200:203], v210 offset0:38 offset1:39
	s_cmp_lt_i32 s5, 21
	s_cbranch_scc1 .LBB98_401
; %bb.399:
	v_add3_u32 v209, v214, 0, 0x140
	v_mov_b32_e32 v208, 19
	s_mov_b32 s6, 20
	s_set_inst_prefetch_distance 0x1
	.p2align	6
.LBB98_400:                             ; =>This Inner Loop Header: Depth=1
	ds_load_2addr_b64 v[217:220], v209 offset1:1
	s_waitcnt lgkmcnt(1)
	v_cmp_gt_f64_e32 vcc_lo, 0, v[200:201]
	v_xor_b32_e32 v221, 0x80000000, v201
	v_cmp_gt_f64_e64 s2, 0, v[202:203]
	v_xor_b32_e32 v223, 0x80000000, v203
	v_add_nc_u32_e32 v209, 16, v209
	s_waitcnt lgkmcnt(0)
	v_cmp_gt_f64_e64 s3, 0, v[217:218]
	v_mov_b32_e32 v225, v217
	v_dual_mov_b32 v227, v219 :: v_dual_cndmask_b32 v222, v201, v221
	v_xor_b32_e32 v221, 0x80000000, v218
	v_cndmask_b32_e64 v224, v203, v223, s2
	v_xor_b32_e32 v223, 0x80000000, v220
	s_delay_alu instid0(VALU_DEP_3) | instskip(SKIP_2) | instid1(VALU_DEP_2)
	v_cndmask_b32_e64 v226, v218, v221, s3
	v_cmp_gt_f64_e64 s3, 0, v[219:220]
	v_cndmask_b32_e32 v221, v200, v200, vcc_lo
	v_cndmask_b32_e64 v228, v220, v223, s3
	v_cndmask_b32_e64 v223, v202, v202, s2
	s_delay_alu instid0(VALU_DEP_2) | instskip(NEXT) | instid1(VALU_DEP_2)
	v_add_f64 v[225:226], v[225:226], v[227:228]
	v_add_f64 v[221:222], v[221:222], v[223:224]
	s_delay_alu instid0(VALU_DEP_1) | instskip(SKIP_4) | instid1(SALU_CYCLE_1)
	v_cmp_lt_f64_e32 vcc_lo, v[221:222], v[225:226]
	v_dual_cndmask_b32 v202, v202, v219 :: v_dual_cndmask_b32 v201, v201, v218
	v_dual_cndmask_b32 v200, v200, v217 :: v_dual_cndmask_b32 v203, v203, v220
	v_cndmask_b32_e64 v208, v208, s6, vcc_lo
	s_add_i32 s6, s6, 1
	s_cmp_lg_u32 s5, s6
	s_cbranch_scc1 .LBB98_400
.LBB98_401:
	s_set_inst_prefetch_distance 0x2
	s_waitcnt lgkmcnt(0)
	v_cmp_eq_f64_e32 vcc_lo, 0, v[200:201]
	v_cmp_eq_f64_e64 s2, 0, v[202:203]
	s_delay_alu instid0(VALU_DEP_1) | instskip(NEXT) | instid1(SALU_CYCLE_1)
	s_and_b32 s2, vcc_lo, s2
	s_and_saveexec_b32 s3, s2
	s_delay_alu instid0(SALU_CYCLE_1)
	s_xor_b32 s2, exec_lo, s3
; %bb.402:
	v_cmp_ne_u32_e32 vcc_lo, 0, v213
	v_cndmask_b32_e32 v213, 20, v213, vcc_lo
; %bb.403:
	s_and_not1_saveexec_b32 s3, s2
	s_cbranch_execz .LBB98_409
; %bb.404:
	v_cmp_gt_f64_e32 vcc_lo, 0, v[200:201]
	v_cmp_gt_f64_e64 s2, 0, v[202:203]
	v_xor_b32_e32 v209, 0x80000000, v201
	v_xor_b32_e32 v217, 0x80000000, v203
	s_delay_alu instid0(VALU_DEP_2) | instskip(NEXT) | instid1(VALU_DEP_2)
	v_cndmask_b32_e32 v218, v201, v209, vcc_lo
	v_cndmask_b32_e64 v220, v203, v217, s2
	v_cndmask_b32_e32 v217, v200, v200, vcc_lo
	v_cndmask_b32_e64 v219, v202, v202, s2
	s_mov_b32 s2, exec_lo
	s_delay_alu instid0(VALU_DEP_1)
	v_cmpx_ngt_f64_e32 v[217:218], v[219:220]
	s_xor_b32 s2, exec_lo, s2
	s_cbranch_execz .LBB98_406
; %bb.405:
	v_div_scale_f64 v[217:218], null, v[202:203], v[202:203], v[200:201]
	v_div_scale_f64 v[223:224], vcc_lo, v[200:201], v[202:203], v[200:201]
	s_delay_alu instid0(VALU_DEP_2) | instskip(SKIP_2) | instid1(VALU_DEP_1)
	v_rcp_f64_e32 v[219:220], v[217:218]
	s_waitcnt_depctr 0xfff
	v_fma_f64 v[221:222], -v[217:218], v[219:220], 1.0
	v_fma_f64 v[219:220], v[219:220], v[221:222], v[219:220]
	s_delay_alu instid0(VALU_DEP_1) | instskip(NEXT) | instid1(VALU_DEP_1)
	v_fma_f64 v[221:222], -v[217:218], v[219:220], 1.0
	v_fma_f64 v[219:220], v[219:220], v[221:222], v[219:220]
	s_delay_alu instid0(VALU_DEP_1) | instskip(NEXT) | instid1(VALU_DEP_1)
	v_mul_f64 v[221:222], v[223:224], v[219:220]
	v_fma_f64 v[217:218], -v[217:218], v[221:222], v[223:224]
	s_delay_alu instid0(VALU_DEP_1) | instskip(NEXT) | instid1(VALU_DEP_1)
	v_div_fmas_f64 v[217:218], v[217:218], v[219:220], v[221:222]
	v_div_fixup_f64 v[217:218], v[217:218], v[202:203], v[200:201]
	s_delay_alu instid0(VALU_DEP_1) | instskip(NEXT) | instid1(VALU_DEP_1)
	v_fma_f64 v[200:201], v[200:201], v[217:218], v[202:203]
	v_div_scale_f64 v[202:203], null, v[200:201], v[200:201], 1.0
	s_delay_alu instid0(VALU_DEP_1) | instskip(SKIP_2) | instid1(VALU_DEP_1)
	v_rcp_f64_e32 v[219:220], v[202:203]
	s_waitcnt_depctr 0xfff
	v_fma_f64 v[221:222], -v[202:203], v[219:220], 1.0
	v_fma_f64 v[219:220], v[219:220], v[221:222], v[219:220]
	s_delay_alu instid0(VALU_DEP_1) | instskip(NEXT) | instid1(VALU_DEP_1)
	v_fma_f64 v[221:222], -v[202:203], v[219:220], 1.0
	v_fma_f64 v[219:220], v[219:220], v[221:222], v[219:220]
	v_div_scale_f64 v[221:222], vcc_lo, 1.0, v[200:201], 1.0
	s_delay_alu instid0(VALU_DEP_1) | instskip(NEXT) | instid1(VALU_DEP_1)
	v_mul_f64 v[223:224], v[221:222], v[219:220]
	v_fma_f64 v[202:203], -v[202:203], v[223:224], v[221:222]
	s_delay_alu instid0(VALU_DEP_1) | instskip(NEXT) | instid1(VALU_DEP_1)
	v_div_fmas_f64 v[202:203], v[202:203], v[219:220], v[223:224]
	v_div_fixup_f64 v[202:203], v[202:203], v[200:201], 1.0
	s_delay_alu instid0(VALU_DEP_1)
	v_mul_f64 v[200:201], v[217:218], v[202:203]
	v_xor_b32_e32 v203, 0x80000000, v203
.LBB98_406:
	s_and_not1_saveexec_b32 s2, s2
	s_cbranch_execz .LBB98_408
; %bb.407:
	s_delay_alu instid0(VALU_DEP_1) | instskip(SKIP_1) | instid1(VALU_DEP_2)
	v_div_scale_f64 v[217:218], null, v[200:201], v[200:201], v[202:203]
	v_div_scale_f64 v[223:224], vcc_lo, v[202:203], v[200:201], v[202:203]
	v_rcp_f64_e32 v[219:220], v[217:218]
	s_waitcnt_depctr 0xfff
	v_fma_f64 v[221:222], -v[217:218], v[219:220], 1.0
	s_delay_alu instid0(VALU_DEP_1) | instskip(NEXT) | instid1(VALU_DEP_1)
	v_fma_f64 v[219:220], v[219:220], v[221:222], v[219:220]
	v_fma_f64 v[221:222], -v[217:218], v[219:220], 1.0
	s_delay_alu instid0(VALU_DEP_1) | instskip(NEXT) | instid1(VALU_DEP_1)
	v_fma_f64 v[219:220], v[219:220], v[221:222], v[219:220]
	v_mul_f64 v[221:222], v[223:224], v[219:220]
	s_delay_alu instid0(VALU_DEP_1) | instskip(NEXT) | instid1(VALU_DEP_1)
	v_fma_f64 v[217:218], -v[217:218], v[221:222], v[223:224]
	v_div_fmas_f64 v[217:218], v[217:218], v[219:220], v[221:222]
	s_delay_alu instid0(VALU_DEP_1) | instskip(NEXT) | instid1(VALU_DEP_1)
	v_div_fixup_f64 v[217:218], v[217:218], v[200:201], v[202:203]
	v_fma_f64 v[200:201], v[202:203], v[217:218], v[200:201]
	s_delay_alu instid0(VALU_DEP_1) | instskip(NEXT) | instid1(VALU_DEP_1)
	v_div_scale_f64 v[202:203], null, v[200:201], v[200:201], 1.0
	v_rcp_f64_e32 v[219:220], v[202:203]
	s_waitcnt_depctr 0xfff
	v_fma_f64 v[221:222], -v[202:203], v[219:220], 1.0
	s_delay_alu instid0(VALU_DEP_1) | instskip(NEXT) | instid1(VALU_DEP_1)
	v_fma_f64 v[219:220], v[219:220], v[221:222], v[219:220]
	v_fma_f64 v[221:222], -v[202:203], v[219:220], 1.0
	s_delay_alu instid0(VALU_DEP_1) | instskip(SKIP_1) | instid1(VALU_DEP_1)
	v_fma_f64 v[219:220], v[219:220], v[221:222], v[219:220]
	v_div_scale_f64 v[221:222], vcc_lo, 1.0, v[200:201], 1.0
	v_mul_f64 v[223:224], v[221:222], v[219:220]
	s_delay_alu instid0(VALU_DEP_1) | instskip(NEXT) | instid1(VALU_DEP_1)
	v_fma_f64 v[202:203], -v[202:203], v[223:224], v[221:222]
	v_div_fmas_f64 v[202:203], v[202:203], v[219:220], v[223:224]
	s_delay_alu instid0(VALU_DEP_1) | instskip(NEXT) | instid1(VALU_DEP_1)
	v_div_fixup_f64 v[200:201], v[202:203], v[200:201], 1.0
	v_mul_f64 v[202:203], v[217:218], -v[200:201]
.LBB98_408:
	s_or_b32 exec_lo, exec_lo, s2
.LBB98_409:
	s_delay_alu instid0(SALU_CYCLE_1) | instskip(NEXT) | instid1(SALU_CYCLE_1)
	s_or_b32 exec_lo, exec_lo, s3
	s_mov_b32 s2, exec_lo
	v_cmpx_ne_u32_e64 v216, v208
	s_xor_b32 s2, exec_lo, s2
	s_cbranch_execz .LBB98_415
; %bb.410:
	s_mov_b32 s3, exec_lo
	v_cmpx_eq_u32_e32 19, v216
	s_cbranch_execz .LBB98_414
; %bb.411:
	v_cmp_ne_u32_e32 vcc_lo, 19, v208
	s_xor_b32 s6, s4, -1
	s_delay_alu instid0(SALU_CYCLE_1) | instskip(NEXT) | instid1(SALU_CYCLE_1)
	s_and_b32 s7, s6, vcc_lo
	s_and_saveexec_b32 s6, s7
	s_cbranch_execz .LBB98_413
; %bb.412:
	v_ashrrev_i32_e32 v209, 31, v208
	s_delay_alu instid0(VALU_DEP_1) | instskip(NEXT) | instid1(VALU_DEP_1)
	v_lshlrev_b64 v[215:216], 2, v[208:209]
	v_add_co_u32 v215, vcc_lo, v206, v215
	s_delay_alu instid0(VALU_DEP_2)
	v_add_co_ci_u32_e32 v216, vcc_lo, v207, v216, vcc_lo
	s_clause 0x1
	flat_load_b32 v209, v[215:216]
	flat_load_b32 v217, v[206:207] offset:76
	s_waitcnt vmcnt(1) lgkmcnt(1)
	flat_store_b32 v[206:207], v209 offset:76
	s_waitcnt vmcnt(0) lgkmcnt(1)
	flat_store_b32 v[215:216], v217
.LBB98_413:
	s_or_b32 exec_lo, exec_lo, s6
	v_mov_b32_e32 v216, v208
	v_mov_b32_e32 v215, v208
.LBB98_414:
	s_or_b32 exec_lo, exec_lo, s3
.LBB98_415:
	s_and_not1_saveexec_b32 s2, s2
	s_cbranch_execz .LBB98_417
; %bb.416:
	v_mov_b32_e32 v216, 19
	ds_store_2addr_b64 v210, v[116:117], v[118:119] offset0:40 offset1:41
	ds_store_2addr_b64 v210, v[112:113], v[114:115] offset0:42 offset1:43
	;; [unrolled: 1-line block ×30, first 2 shown]
.LBB98_417:
	s_or_b32 exec_lo, exec_lo, s2
	s_delay_alu instid0(SALU_CYCLE_1)
	s_mov_b32 s2, exec_lo
	s_waitcnt lgkmcnt(0)
	s_waitcnt_vscnt null, 0x0
	s_barrier
	buffer_gl0_inv
	v_cmpx_lt_i32_e32 19, v216
	s_cbranch_execz .LBB98_419
; %bb.418:
	v_mul_f64 v[208:209], v[202:203], v[122:123]
	v_mul_f64 v[122:123], v[200:201], v[122:123]
	s_delay_alu instid0(VALU_DEP_2) | instskip(NEXT) | instid1(VALU_DEP_2)
	v_fma_f64 v[208:209], v[200:201], v[120:121], -v[208:209]
	v_fma_f64 v[122:123], v[202:203], v[120:121], v[122:123]
	ds_load_2addr_b64 v[200:203], v210 offset0:40 offset1:41
	s_waitcnt lgkmcnt(0)
	v_mul_f64 v[120:121], v[202:203], v[122:123]
	s_delay_alu instid0(VALU_DEP_1) | instskip(SKIP_1) | instid1(VALU_DEP_2)
	v_fma_f64 v[120:121], v[200:201], v[208:209], -v[120:121]
	v_mul_f64 v[200:201], v[200:201], v[122:123]
	v_add_f64 v[116:117], v[116:117], -v[120:121]
	s_delay_alu instid0(VALU_DEP_2) | instskip(NEXT) | instid1(VALU_DEP_1)
	v_fma_f64 v[200:201], v[202:203], v[208:209], v[200:201]
	v_add_f64 v[118:119], v[118:119], -v[200:201]
	ds_load_2addr_b64 v[200:203], v210 offset0:42 offset1:43
	s_waitcnt lgkmcnt(0)
	v_mul_f64 v[120:121], v[202:203], v[122:123]
	s_delay_alu instid0(VALU_DEP_1) | instskip(SKIP_1) | instid1(VALU_DEP_2)
	v_fma_f64 v[120:121], v[200:201], v[208:209], -v[120:121]
	v_mul_f64 v[200:201], v[200:201], v[122:123]
	v_add_f64 v[112:113], v[112:113], -v[120:121]
	s_delay_alu instid0(VALU_DEP_2) | instskip(NEXT) | instid1(VALU_DEP_1)
	v_fma_f64 v[200:201], v[202:203], v[208:209], v[200:201]
	v_add_f64 v[114:115], v[114:115], -v[200:201]
	;; [unrolled: 10-line block ×29, first 2 shown]
	ds_load_2addr_b64 v[200:203], v210 offset0:98 offset1:99
	s_waitcnt lgkmcnt(0)
	v_mul_f64 v[120:121], v[202:203], v[122:123]
	s_delay_alu instid0(VALU_DEP_1) | instskip(SKIP_1) | instid1(VALU_DEP_2)
	v_fma_f64 v[120:121], v[200:201], v[208:209], -v[120:121]
	v_mul_f64 v[200:201], v[200:201], v[122:123]
	v_add_f64 v[0:1], v[0:1], -v[120:121]
	s_delay_alu instid0(VALU_DEP_2) | instskip(SKIP_1) | instid1(VALU_DEP_2)
	v_fma_f64 v[200:201], v[202:203], v[208:209], v[200:201]
	v_dual_mov_b32 v120, v208 :: v_dual_mov_b32 v121, v209
	v_add_f64 v[2:3], v[2:3], -v[200:201]
.LBB98_419:
	s_or_b32 exec_lo, exec_lo, s2
	v_lshl_add_u32 v200, v216, 4, v210
	s_barrier
	buffer_gl0_inv
	v_mov_b32_e32 v208, 20
	ds_store_2addr_b64 v200, v[116:117], v[118:119] offset1:1
	s_waitcnt lgkmcnt(0)
	s_barrier
	buffer_gl0_inv
	ds_load_2addr_b64 v[200:203], v210 offset0:40 offset1:41
	s_cmp_lt_i32 s5, 22
	s_cbranch_scc1 .LBB98_422
; %bb.420:
	v_add3_u32 v209, v214, 0, 0x150
	v_mov_b32_e32 v208, 20
	s_mov_b32 s6, 21
	s_set_inst_prefetch_distance 0x1
	.p2align	6
.LBB98_421:                             ; =>This Inner Loop Header: Depth=1
	ds_load_2addr_b64 v[217:220], v209 offset1:1
	s_waitcnt lgkmcnt(1)
	v_cmp_gt_f64_e32 vcc_lo, 0, v[200:201]
	v_xor_b32_e32 v221, 0x80000000, v201
	v_cmp_gt_f64_e64 s2, 0, v[202:203]
	v_xor_b32_e32 v223, 0x80000000, v203
	v_add_nc_u32_e32 v209, 16, v209
	s_waitcnt lgkmcnt(0)
	v_cmp_gt_f64_e64 s3, 0, v[217:218]
	v_mov_b32_e32 v225, v217
	v_dual_mov_b32 v227, v219 :: v_dual_cndmask_b32 v222, v201, v221
	v_xor_b32_e32 v221, 0x80000000, v218
	v_cndmask_b32_e64 v224, v203, v223, s2
	v_xor_b32_e32 v223, 0x80000000, v220
	s_delay_alu instid0(VALU_DEP_3) | instskip(SKIP_2) | instid1(VALU_DEP_2)
	v_cndmask_b32_e64 v226, v218, v221, s3
	v_cmp_gt_f64_e64 s3, 0, v[219:220]
	v_cndmask_b32_e32 v221, v200, v200, vcc_lo
	v_cndmask_b32_e64 v228, v220, v223, s3
	v_cndmask_b32_e64 v223, v202, v202, s2
	s_delay_alu instid0(VALU_DEP_2) | instskip(NEXT) | instid1(VALU_DEP_2)
	v_add_f64 v[225:226], v[225:226], v[227:228]
	v_add_f64 v[221:222], v[221:222], v[223:224]
	s_delay_alu instid0(VALU_DEP_1) | instskip(SKIP_4) | instid1(SALU_CYCLE_1)
	v_cmp_lt_f64_e32 vcc_lo, v[221:222], v[225:226]
	v_dual_cndmask_b32 v202, v202, v219 :: v_dual_cndmask_b32 v201, v201, v218
	v_dual_cndmask_b32 v200, v200, v217 :: v_dual_cndmask_b32 v203, v203, v220
	v_cndmask_b32_e64 v208, v208, s6, vcc_lo
	s_add_i32 s6, s6, 1
	s_cmp_lg_u32 s5, s6
	s_cbranch_scc1 .LBB98_421
.LBB98_422:
	s_set_inst_prefetch_distance 0x2
	s_waitcnt lgkmcnt(0)
	v_cmp_eq_f64_e32 vcc_lo, 0, v[200:201]
	v_cmp_eq_f64_e64 s2, 0, v[202:203]
	s_delay_alu instid0(VALU_DEP_1) | instskip(NEXT) | instid1(SALU_CYCLE_1)
	s_and_b32 s2, vcc_lo, s2
	s_and_saveexec_b32 s3, s2
	s_delay_alu instid0(SALU_CYCLE_1)
	s_xor_b32 s2, exec_lo, s3
; %bb.423:
	v_cmp_ne_u32_e32 vcc_lo, 0, v213
	v_cndmask_b32_e32 v213, 21, v213, vcc_lo
; %bb.424:
	s_and_not1_saveexec_b32 s3, s2
	s_cbranch_execz .LBB98_430
; %bb.425:
	v_cmp_gt_f64_e32 vcc_lo, 0, v[200:201]
	v_cmp_gt_f64_e64 s2, 0, v[202:203]
	v_xor_b32_e32 v209, 0x80000000, v201
	v_xor_b32_e32 v217, 0x80000000, v203
	s_delay_alu instid0(VALU_DEP_2) | instskip(NEXT) | instid1(VALU_DEP_2)
	v_cndmask_b32_e32 v218, v201, v209, vcc_lo
	v_cndmask_b32_e64 v220, v203, v217, s2
	v_cndmask_b32_e32 v217, v200, v200, vcc_lo
	v_cndmask_b32_e64 v219, v202, v202, s2
	s_mov_b32 s2, exec_lo
	s_delay_alu instid0(VALU_DEP_1)
	v_cmpx_ngt_f64_e32 v[217:218], v[219:220]
	s_xor_b32 s2, exec_lo, s2
	s_cbranch_execz .LBB98_427
; %bb.426:
	v_div_scale_f64 v[217:218], null, v[202:203], v[202:203], v[200:201]
	v_div_scale_f64 v[223:224], vcc_lo, v[200:201], v[202:203], v[200:201]
	s_delay_alu instid0(VALU_DEP_2) | instskip(SKIP_2) | instid1(VALU_DEP_1)
	v_rcp_f64_e32 v[219:220], v[217:218]
	s_waitcnt_depctr 0xfff
	v_fma_f64 v[221:222], -v[217:218], v[219:220], 1.0
	v_fma_f64 v[219:220], v[219:220], v[221:222], v[219:220]
	s_delay_alu instid0(VALU_DEP_1) | instskip(NEXT) | instid1(VALU_DEP_1)
	v_fma_f64 v[221:222], -v[217:218], v[219:220], 1.0
	v_fma_f64 v[219:220], v[219:220], v[221:222], v[219:220]
	s_delay_alu instid0(VALU_DEP_1) | instskip(NEXT) | instid1(VALU_DEP_1)
	v_mul_f64 v[221:222], v[223:224], v[219:220]
	v_fma_f64 v[217:218], -v[217:218], v[221:222], v[223:224]
	s_delay_alu instid0(VALU_DEP_1) | instskip(NEXT) | instid1(VALU_DEP_1)
	v_div_fmas_f64 v[217:218], v[217:218], v[219:220], v[221:222]
	v_div_fixup_f64 v[217:218], v[217:218], v[202:203], v[200:201]
	s_delay_alu instid0(VALU_DEP_1) | instskip(NEXT) | instid1(VALU_DEP_1)
	v_fma_f64 v[200:201], v[200:201], v[217:218], v[202:203]
	v_div_scale_f64 v[202:203], null, v[200:201], v[200:201], 1.0
	s_delay_alu instid0(VALU_DEP_1) | instskip(SKIP_2) | instid1(VALU_DEP_1)
	v_rcp_f64_e32 v[219:220], v[202:203]
	s_waitcnt_depctr 0xfff
	v_fma_f64 v[221:222], -v[202:203], v[219:220], 1.0
	v_fma_f64 v[219:220], v[219:220], v[221:222], v[219:220]
	s_delay_alu instid0(VALU_DEP_1) | instskip(NEXT) | instid1(VALU_DEP_1)
	v_fma_f64 v[221:222], -v[202:203], v[219:220], 1.0
	v_fma_f64 v[219:220], v[219:220], v[221:222], v[219:220]
	v_div_scale_f64 v[221:222], vcc_lo, 1.0, v[200:201], 1.0
	s_delay_alu instid0(VALU_DEP_1) | instskip(NEXT) | instid1(VALU_DEP_1)
	v_mul_f64 v[223:224], v[221:222], v[219:220]
	v_fma_f64 v[202:203], -v[202:203], v[223:224], v[221:222]
	s_delay_alu instid0(VALU_DEP_1) | instskip(NEXT) | instid1(VALU_DEP_1)
	v_div_fmas_f64 v[202:203], v[202:203], v[219:220], v[223:224]
	v_div_fixup_f64 v[202:203], v[202:203], v[200:201], 1.0
	s_delay_alu instid0(VALU_DEP_1)
	v_mul_f64 v[200:201], v[217:218], v[202:203]
	v_xor_b32_e32 v203, 0x80000000, v203
.LBB98_427:
	s_and_not1_saveexec_b32 s2, s2
	s_cbranch_execz .LBB98_429
; %bb.428:
	s_delay_alu instid0(VALU_DEP_1) | instskip(SKIP_1) | instid1(VALU_DEP_2)
	v_div_scale_f64 v[217:218], null, v[200:201], v[200:201], v[202:203]
	v_div_scale_f64 v[223:224], vcc_lo, v[202:203], v[200:201], v[202:203]
	v_rcp_f64_e32 v[219:220], v[217:218]
	s_waitcnt_depctr 0xfff
	v_fma_f64 v[221:222], -v[217:218], v[219:220], 1.0
	s_delay_alu instid0(VALU_DEP_1) | instskip(NEXT) | instid1(VALU_DEP_1)
	v_fma_f64 v[219:220], v[219:220], v[221:222], v[219:220]
	v_fma_f64 v[221:222], -v[217:218], v[219:220], 1.0
	s_delay_alu instid0(VALU_DEP_1) | instskip(NEXT) | instid1(VALU_DEP_1)
	v_fma_f64 v[219:220], v[219:220], v[221:222], v[219:220]
	v_mul_f64 v[221:222], v[223:224], v[219:220]
	s_delay_alu instid0(VALU_DEP_1) | instskip(NEXT) | instid1(VALU_DEP_1)
	v_fma_f64 v[217:218], -v[217:218], v[221:222], v[223:224]
	v_div_fmas_f64 v[217:218], v[217:218], v[219:220], v[221:222]
	s_delay_alu instid0(VALU_DEP_1) | instskip(NEXT) | instid1(VALU_DEP_1)
	v_div_fixup_f64 v[217:218], v[217:218], v[200:201], v[202:203]
	v_fma_f64 v[200:201], v[202:203], v[217:218], v[200:201]
	s_delay_alu instid0(VALU_DEP_1) | instskip(NEXT) | instid1(VALU_DEP_1)
	v_div_scale_f64 v[202:203], null, v[200:201], v[200:201], 1.0
	v_rcp_f64_e32 v[219:220], v[202:203]
	s_waitcnt_depctr 0xfff
	v_fma_f64 v[221:222], -v[202:203], v[219:220], 1.0
	s_delay_alu instid0(VALU_DEP_1) | instskip(NEXT) | instid1(VALU_DEP_1)
	v_fma_f64 v[219:220], v[219:220], v[221:222], v[219:220]
	v_fma_f64 v[221:222], -v[202:203], v[219:220], 1.0
	s_delay_alu instid0(VALU_DEP_1) | instskip(SKIP_1) | instid1(VALU_DEP_1)
	v_fma_f64 v[219:220], v[219:220], v[221:222], v[219:220]
	v_div_scale_f64 v[221:222], vcc_lo, 1.0, v[200:201], 1.0
	v_mul_f64 v[223:224], v[221:222], v[219:220]
	s_delay_alu instid0(VALU_DEP_1) | instskip(NEXT) | instid1(VALU_DEP_1)
	v_fma_f64 v[202:203], -v[202:203], v[223:224], v[221:222]
	v_div_fmas_f64 v[202:203], v[202:203], v[219:220], v[223:224]
	s_delay_alu instid0(VALU_DEP_1) | instskip(NEXT) | instid1(VALU_DEP_1)
	v_div_fixup_f64 v[200:201], v[202:203], v[200:201], 1.0
	v_mul_f64 v[202:203], v[217:218], -v[200:201]
.LBB98_429:
	s_or_b32 exec_lo, exec_lo, s2
.LBB98_430:
	s_delay_alu instid0(SALU_CYCLE_1) | instskip(NEXT) | instid1(SALU_CYCLE_1)
	s_or_b32 exec_lo, exec_lo, s3
	s_mov_b32 s2, exec_lo
	v_cmpx_ne_u32_e64 v216, v208
	s_xor_b32 s2, exec_lo, s2
	s_cbranch_execz .LBB98_436
; %bb.431:
	s_mov_b32 s3, exec_lo
	v_cmpx_eq_u32_e32 20, v216
	s_cbranch_execz .LBB98_435
; %bb.432:
	v_cmp_ne_u32_e32 vcc_lo, 20, v208
	s_xor_b32 s6, s4, -1
	s_delay_alu instid0(SALU_CYCLE_1) | instskip(NEXT) | instid1(SALU_CYCLE_1)
	s_and_b32 s7, s6, vcc_lo
	s_and_saveexec_b32 s6, s7
	s_cbranch_execz .LBB98_434
; %bb.433:
	v_ashrrev_i32_e32 v209, 31, v208
	s_delay_alu instid0(VALU_DEP_1) | instskip(NEXT) | instid1(VALU_DEP_1)
	v_lshlrev_b64 v[215:216], 2, v[208:209]
	v_add_co_u32 v215, vcc_lo, v206, v215
	s_delay_alu instid0(VALU_DEP_2)
	v_add_co_ci_u32_e32 v216, vcc_lo, v207, v216, vcc_lo
	s_clause 0x1
	flat_load_b32 v209, v[215:216]
	flat_load_b32 v217, v[206:207] offset:80
	s_waitcnt vmcnt(1) lgkmcnt(1)
	flat_store_b32 v[206:207], v209 offset:80
	s_waitcnt vmcnt(0) lgkmcnt(1)
	flat_store_b32 v[215:216], v217
.LBB98_434:
	s_or_b32 exec_lo, exec_lo, s6
	v_mov_b32_e32 v216, v208
	v_mov_b32_e32 v215, v208
.LBB98_435:
	s_or_b32 exec_lo, exec_lo, s3
.LBB98_436:
	s_and_not1_saveexec_b32 s2, s2
	s_cbranch_execz .LBB98_438
; %bb.437:
	v_mov_b32_e32 v216, 20
	ds_store_2addr_b64 v210, v[112:113], v[114:115] offset0:42 offset1:43
	ds_store_2addr_b64 v210, v[108:109], v[110:111] offset0:44 offset1:45
	;; [unrolled: 1-line block ×29, first 2 shown]
.LBB98_438:
	s_or_b32 exec_lo, exec_lo, s2
	s_delay_alu instid0(SALU_CYCLE_1)
	s_mov_b32 s2, exec_lo
	s_waitcnt lgkmcnt(0)
	s_waitcnt_vscnt null, 0x0
	s_barrier
	buffer_gl0_inv
	v_cmpx_lt_i32_e32 20, v216
	s_cbranch_execz .LBB98_440
; %bb.439:
	v_mul_f64 v[208:209], v[202:203], v[118:119]
	v_mul_f64 v[118:119], v[200:201], v[118:119]
	s_delay_alu instid0(VALU_DEP_2) | instskip(NEXT) | instid1(VALU_DEP_2)
	v_fma_f64 v[208:209], v[200:201], v[116:117], -v[208:209]
	v_fma_f64 v[118:119], v[202:203], v[116:117], v[118:119]
	ds_load_2addr_b64 v[200:203], v210 offset0:42 offset1:43
	s_waitcnt lgkmcnt(0)
	v_mul_f64 v[116:117], v[202:203], v[118:119]
	s_delay_alu instid0(VALU_DEP_1) | instskip(SKIP_1) | instid1(VALU_DEP_2)
	v_fma_f64 v[116:117], v[200:201], v[208:209], -v[116:117]
	v_mul_f64 v[200:201], v[200:201], v[118:119]
	v_add_f64 v[112:113], v[112:113], -v[116:117]
	s_delay_alu instid0(VALU_DEP_2) | instskip(NEXT) | instid1(VALU_DEP_1)
	v_fma_f64 v[200:201], v[202:203], v[208:209], v[200:201]
	v_add_f64 v[114:115], v[114:115], -v[200:201]
	ds_load_2addr_b64 v[200:203], v210 offset0:44 offset1:45
	s_waitcnt lgkmcnt(0)
	v_mul_f64 v[116:117], v[202:203], v[118:119]
	s_delay_alu instid0(VALU_DEP_1) | instskip(SKIP_1) | instid1(VALU_DEP_2)
	v_fma_f64 v[116:117], v[200:201], v[208:209], -v[116:117]
	v_mul_f64 v[200:201], v[200:201], v[118:119]
	v_add_f64 v[108:109], v[108:109], -v[116:117]
	s_delay_alu instid0(VALU_DEP_2) | instskip(NEXT) | instid1(VALU_DEP_1)
	v_fma_f64 v[200:201], v[202:203], v[208:209], v[200:201]
	v_add_f64 v[110:111], v[110:111], -v[200:201]
	;; [unrolled: 10-line block ×28, first 2 shown]
	ds_load_2addr_b64 v[200:203], v210 offset0:98 offset1:99
	s_waitcnt lgkmcnt(0)
	v_mul_f64 v[116:117], v[202:203], v[118:119]
	s_delay_alu instid0(VALU_DEP_1) | instskip(SKIP_1) | instid1(VALU_DEP_2)
	v_fma_f64 v[116:117], v[200:201], v[208:209], -v[116:117]
	v_mul_f64 v[200:201], v[200:201], v[118:119]
	v_add_f64 v[0:1], v[0:1], -v[116:117]
	s_delay_alu instid0(VALU_DEP_2) | instskip(SKIP_1) | instid1(VALU_DEP_2)
	v_fma_f64 v[200:201], v[202:203], v[208:209], v[200:201]
	v_dual_mov_b32 v116, v208 :: v_dual_mov_b32 v117, v209
	v_add_f64 v[2:3], v[2:3], -v[200:201]
.LBB98_440:
	s_or_b32 exec_lo, exec_lo, s2
	v_lshl_add_u32 v200, v216, 4, v210
	s_barrier
	buffer_gl0_inv
	v_mov_b32_e32 v208, 21
	ds_store_2addr_b64 v200, v[112:113], v[114:115] offset1:1
	s_waitcnt lgkmcnt(0)
	s_barrier
	buffer_gl0_inv
	ds_load_2addr_b64 v[200:203], v210 offset0:42 offset1:43
	s_cmp_lt_i32 s5, 23
	s_cbranch_scc1 .LBB98_443
; %bb.441:
	v_add3_u32 v209, v214, 0, 0x160
	v_mov_b32_e32 v208, 21
	s_mov_b32 s6, 22
	s_set_inst_prefetch_distance 0x1
	.p2align	6
.LBB98_442:                             ; =>This Inner Loop Header: Depth=1
	ds_load_2addr_b64 v[217:220], v209 offset1:1
	s_waitcnt lgkmcnt(1)
	v_cmp_gt_f64_e32 vcc_lo, 0, v[200:201]
	v_xor_b32_e32 v221, 0x80000000, v201
	v_cmp_gt_f64_e64 s2, 0, v[202:203]
	v_xor_b32_e32 v223, 0x80000000, v203
	v_add_nc_u32_e32 v209, 16, v209
	s_waitcnt lgkmcnt(0)
	v_cmp_gt_f64_e64 s3, 0, v[217:218]
	v_mov_b32_e32 v225, v217
	v_dual_mov_b32 v227, v219 :: v_dual_cndmask_b32 v222, v201, v221
	v_xor_b32_e32 v221, 0x80000000, v218
	v_cndmask_b32_e64 v224, v203, v223, s2
	v_xor_b32_e32 v223, 0x80000000, v220
	s_delay_alu instid0(VALU_DEP_3) | instskip(SKIP_2) | instid1(VALU_DEP_2)
	v_cndmask_b32_e64 v226, v218, v221, s3
	v_cmp_gt_f64_e64 s3, 0, v[219:220]
	v_cndmask_b32_e32 v221, v200, v200, vcc_lo
	v_cndmask_b32_e64 v228, v220, v223, s3
	v_cndmask_b32_e64 v223, v202, v202, s2
	s_delay_alu instid0(VALU_DEP_2) | instskip(NEXT) | instid1(VALU_DEP_2)
	v_add_f64 v[225:226], v[225:226], v[227:228]
	v_add_f64 v[221:222], v[221:222], v[223:224]
	s_delay_alu instid0(VALU_DEP_1) | instskip(SKIP_4) | instid1(SALU_CYCLE_1)
	v_cmp_lt_f64_e32 vcc_lo, v[221:222], v[225:226]
	v_dual_cndmask_b32 v202, v202, v219 :: v_dual_cndmask_b32 v201, v201, v218
	v_dual_cndmask_b32 v200, v200, v217 :: v_dual_cndmask_b32 v203, v203, v220
	v_cndmask_b32_e64 v208, v208, s6, vcc_lo
	s_add_i32 s6, s6, 1
	s_cmp_lg_u32 s5, s6
	s_cbranch_scc1 .LBB98_442
.LBB98_443:
	s_set_inst_prefetch_distance 0x2
	s_waitcnt lgkmcnt(0)
	v_cmp_eq_f64_e32 vcc_lo, 0, v[200:201]
	v_cmp_eq_f64_e64 s2, 0, v[202:203]
	s_delay_alu instid0(VALU_DEP_1) | instskip(NEXT) | instid1(SALU_CYCLE_1)
	s_and_b32 s2, vcc_lo, s2
	s_and_saveexec_b32 s3, s2
	s_delay_alu instid0(SALU_CYCLE_1)
	s_xor_b32 s2, exec_lo, s3
; %bb.444:
	v_cmp_ne_u32_e32 vcc_lo, 0, v213
	v_cndmask_b32_e32 v213, 22, v213, vcc_lo
; %bb.445:
	s_and_not1_saveexec_b32 s3, s2
	s_cbranch_execz .LBB98_451
; %bb.446:
	v_cmp_gt_f64_e32 vcc_lo, 0, v[200:201]
	v_cmp_gt_f64_e64 s2, 0, v[202:203]
	v_xor_b32_e32 v209, 0x80000000, v201
	v_xor_b32_e32 v217, 0x80000000, v203
	s_delay_alu instid0(VALU_DEP_2) | instskip(NEXT) | instid1(VALU_DEP_2)
	v_cndmask_b32_e32 v218, v201, v209, vcc_lo
	v_cndmask_b32_e64 v220, v203, v217, s2
	v_cndmask_b32_e32 v217, v200, v200, vcc_lo
	v_cndmask_b32_e64 v219, v202, v202, s2
	s_mov_b32 s2, exec_lo
	s_delay_alu instid0(VALU_DEP_1)
	v_cmpx_ngt_f64_e32 v[217:218], v[219:220]
	s_xor_b32 s2, exec_lo, s2
	s_cbranch_execz .LBB98_448
; %bb.447:
	v_div_scale_f64 v[217:218], null, v[202:203], v[202:203], v[200:201]
	v_div_scale_f64 v[223:224], vcc_lo, v[200:201], v[202:203], v[200:201]
	s_delay_alu instid0(VALU_DEP_2) | instskip(SKIP_2) | instid1(VALU_DEP_1)
	v_rcp_f64_e32 v[219:220], v[217:218]
	s_waitcnt_depctr 0xfff
	v_fma_f64 v[221:222], -v[217:218], v[219:220], 1.0
	v_fma_f64 v[219:220], v[219:220], v[221:222], v[219:220]
	s_delay_alu instid0(VALU_DEP_1) | instskip(NEXT) | instid1(VALU_DEP_1)
	v_fma_f64 v[221:222], -v[217:218], v[219:220], 1.0
	v_fma_f64 v[219:220], v[219:220], v[221:222], v[219:220]
	s_delay_alu instid0(VALU_DEP_1) | instskip(NEXT) | instid1(VALU_DEP_1)
	v_mul_f64 v[221:222], v[223:224], v[219:220]
	v_fma_f64 v[217:218], -v[217:218], v[221:222], v[223:224]
	s_delay_alu instid0(VALU_DEP_1) | instskip(NEXT) | instid1(VALU_DEP_1)
	v_div_fmas_f64 v[217:218], v[217:218], v[219:220], v[221:222]
	v_div_fixup_f64 v[217:218], v[217:218], v[202:203], v[200:201]
	s_delay_alu instid0(VALU_DEP_1) | instskip(NEXT) | instid1(VALU_DEP_1)
	v_fma_f64 v[200:201], v[200:201], v[217:218], v[202:203]
	v_div_scale_f64 v[202:203], null, v[200:201], v[200:201], 1.0
	s_delay_alu instid0(VALU_DEP_1) | instskip(SKIP_2) | instid1(VALU_DEP_1)
	v_rcp_f64_e32 v[219:220], v[202:203]
	s_waitcnt_depctr 0xfff
	v_fma_f64 v[221:222], -v[202:203], v[219:220], 1.0
	v_fma_f64 v[219:220], v[219:220], v[221:222], v[219:220]
	s_delay_alu instid0(VALU_DEP_1) | instskip(NEXT) | instid1(VALU_DEP_1)
	v_fma_f64 v[221:222], -v[202:203], v[219:220], 1.0
	v_fma_f64 v[219:220], v[219:220], v[221:222], v[219:220]
	v_div_scale_f64 v[221:222], vcc_lo, 1.0, v[200:201], 1.0
	s_delay_alu instid0(VALU_DEP_1) | instskip(NEXT) | instid1(VALU_DEP_1)
	v_mul_f64 v[223:224], v[221:222], v[219:220]
	v_fma_f64 v[202:203], -v[202:203], v[223:224], v[221:222]
	s_delay_alu instid0(VALU_DEP_1) | instskip(NEXT) | instid1(VALU_DEP_1)
	v_div_fmas_f64 v[202:203], v[202:203], v[219:220], v[223:224]
	v_div_fixup_f64 v[202:203], v[202:203], v[200:201], 1.0
	s_delay_alu instid0(VALU_DEP_1)
	v_mul_f64 v[200:201], v[217:218], v[202:203]
	v_xor_b32_e32 v203, 0x80000000, v203
.LBB98_448:
	s_and_not1_saveexec_b32 s2, s2
	s_cbranch_execz .LBB98_450
; %bb.449:
	s_delay_alu instid0(VALU_DEP_1) | instskip(SKIP_1) | instid1(VALU_DEP_2)
	v_div_scale_f64 v[217:218], null, v[200:201], v[200:201], v[202:203]
	v_div_scale_f64 v[223:224], vcc_lo, v[202:203], v[200:201], v[202:203]
	v_rcp_f64_e32 v[219:220], v[217:218]
	s_waitcnt_depctr 0xfff
	v_fma_f64 v[221:222], -v[217:218], v[219:220], 1.0
	s_delay_alu instid0(VALU_DEP_1) | instskip(NEXT) | instid1(VALU_DEP_1)
	v_fma_f64 v[219:220], v[219:220], v[221:222], v[219:220]
	v_fma_f64 v[221:222], -v[217:218], v[219:220], 1.0
	s_delay_alu instid0(VALU_DEP_1) | instskip(NEXT) | instid1(VALU_DEP_1)
	v_fma_f64 v[219:220], v[219:220], v[221:222], v[219:220]
	v_mul_f64 v[221:222], v[223:224], v[219:220]
	s_delay_alu instid0(VALU_DEP_1) | instskip(NEXT) | instid1(VALU_DEP_1)
	v_fma_f64 v[217:218], -v[217:218], v[221:222], v[223:224]
	v_div_fmas_f64 v[217:218], v[217:218], v[219:220], v[221:222]
	s_delay_alu instid0(VALU_DEP_1) | instskip(NEXT) | instid1(VALU_DEP_1)
	v_div_fixup_f64 v[217:218], v[217:218], v[200:201], v[202:203]
	v_fma_f64 v[200:201], v[202:203], v[217:218], v[200:201]
	s_delay_alu instid0(VALU_DEP_1) | instskip(NEXT) | instid1(VALU_DEP_1)
	v_div_scale_f64 v[202:203], null, v[200:201], v[200:201], 1.0
	v_rcp_f64_e32 v[219:220], v[202:203]
	s_waitcnt_depctr 0xfff
	v_fma_f64 v[221:222], -v[202:203], v[219:220], 1.0
	s_delay_alu instid0(VALU_DEP_1) | instskip(NEXT) | instid1(VALU_DEP_1)
	v_fma_f64 v[219:220], v[219:220], v[221:222], v[219:220]
	v_fma_f64 v[221:222], -v[202:203], v[219:220], 1.0
	s_delay_alu instid0(VALU_DEP_1) | instskip(SKIP_1) | instid1(VALU_DEP_1)
	v_fma_f64 v[219:220], v[219:220], v[221:222], v[219:220]
	v_div_scale_f64 v[221:222], vcc_lo, 1.0, v[200:201], 1.0
	v_mul_f64 v[223:224], v[221:222], v[219:220]
	s_delay_alu instid0(VALU_DEP_1) | instskip(NEXT) | instid1(VALU_DEP_1)
	v_fma_f64 v[202:203], -v[202:203], v[223:224], v[221:222]
	v_div_fmas_f64 v[202:203], v[202:203], v[219:220], v[223:224]
	s_delay_alu instid0(VALU_DEP_1) | instskip(NEXT) | instid1(VALU_DEP_1)
	v_div_fixup_f64 v[200:201], v[202:203], v[200:201], 1.0
	v_mul_f64 v[202:203], v[217:218], -v[200:201]
.LBB98_450:
	s_or_b32 exec_lo, exec_lo, s2
.LBB98_451:
	s_delay_alu instid0(SALU_CYCLE_1) | instskip(NEXT) | instid1(SALU_CYCLE_1)
	s_or_b32 exec_lo, exec_lo, s3
	s_mov_b32 s2, exec_lo
	v_cmpx_ne_u32_e64 v216, v208
	s_xor_b32 s2, exec_lo, s2
	s_cbranch_execz .LBB98_457
; %bb.452:
	s_mov_b32 s3, exec_lo
	v_cmpx_eq_u32_e32 21, v216
	s_cbranch_execz .LBB98_456
; %bb.453:
	v_cmp_ne_u32_e32 vcc_lo, 21, v208
	s_xor_b32 s6, s4, -1
	s_delay_alu instid0(SALU_CYCLE_1) | instskip(NEXT) | instid1(SALU_CYCLE_1)
	s_and_b32 s7, s6, vcc_lo
	s_and_saveexec_b32 s6, s7
	s_cbranch_execz .LBB98_455
; %bb.454:
	v_ashrrev_i32_e32 v209, 31, v208
	s_delay_alu instid0(VALU_DEP_1) | instskip(NEXT) | instid1(VALU_DEP_1)
	v_lshlrev_b64 v[215:216], 2, v[208:209]
	v_add_co_u32 v215, vcc_lo, v206, v215
	s_delay_alu instid0(VALU_DEP_2)
	v_add_co_ci_u32_e32 v216, vcc_lo, v207, v216, vcc_lo
	s_clause 0x1
	flat_load_b32 v209, v[215:216]
	flat_load_b32 v217, v[206:207] offset:84
	s_waitcnt vmcnt(1) lgkmcnt(1)
	flat_store_b32 v[206:207], v209 offset:84
	s_waitcnt vmcnt(0) lgkmcnt(1)
	flat_store_b32 v[215:216], v217
.LBB98_455:
	s_or_b32 exec_lo, exec_lo, s6
	v_mov_b32_e32 v216, v208
	v_mov_b32_e32 v215, v208
.LBB98_456:
	s_or_b32 exec_lo, exec_lo, s3
.LBB98_457:
	s_and_not1_saveexec_b32 s2, s2
	s_cbranch_execz .LBB98_459
; %bb.458:
	v_mov_b32_e32 v216, 21
	ds_store_2addr_b64 v210, v[108:109], v[110:111] offset0:44 offset1:45
	ds_store_2addr_b64 v210, v[104:105], v[106:107] offset0:46 offset1:47
	;; [unrolled: 1-line block ×28, first 2 shown]
.LBB98_459:
	s_or_b32 exec_lo, exec_lo, s2
	s_delay_alu instid0(SALU_CYCLE_1)
	s_mov_b32 s2, exec_lo
	s_waitcnt lgkmcnt(0)
	s_waitcnt_vscnt null, 0x0
	s_barrier
	buffer_gl0_inv
	v_cmpx_lt_i32_e32 21, v216
	s_cbranch_execz .LBB98_461
; %bb.460:
	v_mul_f64 v[208:209], v[202:203], v[114:115]
	v_mul_f64 v[114:115], v[200:201], v[114:115]
	s_delay_alu instid0(VALU_DEP_2) | instskip(NEXT) | instid1(VALU_DEP_2)
	v_fma_f64 v[208:209], v[200:201], v[112:113], -v[208:209]
	v_fma_f64 v[114:115], v[202:203], v[112:113], v[114:115]
	ds_load_2addr_b64 v[200:203], v210 offset0:44 offset1:45
	s_waitcnt lgkmcnt(0)
	v_mul_f64 v[112:113], v[202:203], v[114:115]
	s_delay_alu instid0(VALU_DEP_1) | instskip(SKIP_1) | instid1(VALU_DEP_2)
	v_fma_f64 v[112:113], v[200:201], v[208:209], -v[112:113]
	v_mul_f64 v[200:201], v[200:201], v[114:115]
	v_add_f64 v[108:109], v[108:109], -v[112:113]
	s_delay_alu instid0(VALU_DEP_2) | instskip(NEXT) | instid1(VALU_DEP_1)
	v_fma_f64 v[200:201], v[202:203], v[208:209], v[200:201]
	v_add_f64 v[110:111], v[110:111], -v[200:201]
	ds_load_2addr_b64 v[200:203], v210 offset0:46 offset1:47
	s_waitcnt lgkmcnt(0)
	v_mul_f64 v[112:113], v[202:203], v[114:115]
	s_delay_alu instid0(VALU_DEP_1) | instskip(SKIP_1) | instid1(VALU_DEP_2)
	v_fma_f64 v[112:113], v[200:201], v[208:209], -v[112:113]
	v_mul_f64 v[200:201], v[200:201], v[114:115]
	v_add_f64 v[104:105], v[104:105], -v[112:113]
	s_delay_alu instid0(VALU_DEP_2) | instskip(NEXT) | instid1(VALU_DEP_1)
	v_fma_f64 v[200:201], v[202:203], v[208:209], v[200:201]
	v_add_f64 v[106:107], v[106:107], -v[200:201]
	;; [unrolled: 10-line block ×27, first 2 shown]
	ds_load_2addr_b64 v[200:203], v210 offset0:98 offset1:99
	s_waitcnt lgkmcnt(0)
	v_mul_f64 v[112:113], v[202:203], v[114:115]
	s_delay_alu instid0(VALU_DEP_1) | instskip(SKIP_1) | instid1(VALU_DEP_2)
	v_fma_f64 v[112:113], v[200:201], v[208:209], -v[112:113]
	v_mul_f64 v[200:201], v[200:201], v[114:115]
	v_add_f64 v[0:1], v[0:1], -v[112:113]
	s_delay_alu instid0(VALU_DEP_2) | instskip(SKIP_1) | instid1(VALU_DEP_2)
	v_fma_f64 v[200:201], v[202:203], v[208:209], v[200:201]
	v_dual_mov_b32 v112, v208 :: v_dual_mov_b32 v113, v209
	v_add_f64 v[2:3], v[2:3], -v[200:201]
.LBB98_461:
	s_or_b32 exec_lo, exec_lo, s2
	v_lshl_add_u32 v200, v216, 4, v210
	s_barrier
	buffer_gl0_inv
	v_mov_b32_e32 v208, 22
	ds_store_2addr_b64 v200, v[108:109], v[110:111] offset1:1
	s_waitcnt lgkmcnt(0)
	s_barrier
	buffer_gl0_inv
	ds_load_2addr_b64 v[200:203], v210 offset0:44 offset1:45
	s_cmp_lt_i32 s5, 24
	s_cbranch_scc1 .LBB98_464
; %bb.462:
	v_add3_u32 v209, v214, 0, 0x170
	v_mov_b32_e32 v208, 22
	s_mov_b32 s6, 23
	s_set_inst_prefetch_distance 0x1
	.p2align	6
.LBB98_463:                             ; =>This Inner Loop Header: Depth=1
	ds_load_2addr_b64 v[217:220], v209 offset1:1
	s_waitcnt lgkmcnt(1)
	v_cmp_gt_f64_e32 vcc_lo, 0, v[200:201]
	v_xor_b32_e32 v221, 0x80000000, v201
	v_cmp_gt_f64_e64 s2, 0, v[202:203]
	v_xor_b32_e32 v223, 0x80000000, v203
	v_add_nc_u32_e32 v209, 16, v209
	s_waitcnt lgkmcnt(0)
	v_cmp_gt_f64_e64 s3, 0, v[217:218]
	v_mov_b32_e32 v225, v217
	v_dual_mov_b32 v227, v219 :: v_dual_cndmask_b32 v222, v201, v221
	v_xor_b32_e32 v221, 0x80000000, v218
	v_cndmask_b32_e64 v224, v203, v223, s2
	v_xor_b32_e32 v223, 0x80000000, v220
	s_delay_alu instid0(VALU_DEP_3) | instskip(SKIP_2) | instid1(VALU_DEP_2)
	v_cndmask_b32_e64 v226, v218, v221, s3
	v_cmp_gt_f64_e64 s3, 0, v[219:220]
	v_cndmask_b32_e32 v221, v200, v200, vcc_lo
	v_cndmask_b32_e64 v228, v220, v223, s3
	v_cndmask_b32_e64 v223, v202, v202, s2
	s_delay_alu instid0(VALU_DEP_2) | instskip(NEXT) | instid1(VALU_DEP_2)
	v_add_f64 v[225:226], v[225:226], v[227:228]
	v_add_f64 v[221:222], v[221:222], v[223:224]
	s_delay_alu instid0(VALU_DEP_1) | instskip(SKIP_4) | instid1(SALU_CYCLE_1)
	v_cmp_lt_f64_e32 vcc_lo, v[221:222], v[225:226]
	v_dual_cndmask_b32 v202, v202, v219 :: v_dual_cndmask_b32 v201, v201, v218
	v_dual_cndmask_b32 v200, v200, v217 :: v_dual_cndmask_b32 v203, v203, v220
	v_cndmask_b32_e64 v208, v208, s6, vcc_lo
	s_add_i32 s6, s6, 1
	s_cmp_lg_u32 s5, s6
	s_cbranch_scc1 .LBB98_463
.LBB98_464:
	s_set_inst_prefetch_distance 0x2
	s_waitcnt lgkmcnt(0)
	v_cmp_eq_f64_e32 vcc_lo, 0, v[200:201]
	v_cmp_eq_f64_e64 s2, 0, v[202:203]
	s_delay_alu instid0(VALU_DEP_1) | instskip(NEXT) | instid1(SALU_CYCLE_1)
	s_and_b32 s2, vcc_lo, s2
	s_and_saveexec_b32 s3, s2
	s_delay_alu instid0(SALU_CYCLE_1)
	s_xor_b32 s2, exec_lo, s3
; %bb.465:
	v_cmp_ne_u32_e32 vcc_lo, 0, v213
	v_cndmask_b32_e32 v213, 23, v213, vcc_lo
; %bb.466:
	s_and_not1_saveexec_b32 s3, s2
	s_cbranch_execz .LBB98_472
; %bb.467:
	v_cmp_gt_f64_e32 vcc_lo, 0, v[200:201]
	v_cmp_gt_f64_e64 s2, 0, v[202:203]
	v_xor_b32_e32 v209, 0x80000000, v201
	v_xor_b32_e32 v217, 0x80000000, v203
	s_delay_alu instid0(VALU_DEP_2) | instskip(NEXT) | instid1(VALU_DEP_2)
	v_cndmask_b32_e32 v218, v201, v209, vcc_lo
	v_cndmask_b32_e64 v220, v203, v217, s2
	v_cndmask_b32_e32 v217, v200, v200, vcc_lo
	v_cndmask_b32_e64 v219, v202, v202, s2
	s_mov_b32 s2, exec_lo
	s_delay_alu instid0(VALU_DEP_1)
	v_cmpx_ngt_f64_e32 v[217:218], v[219:220]
	s_xor_b32 s2, exec_lo, s2
	s_cbranch_execz .LBB98_469
; %bb.468:
	v_div_scale_f64 v[217:218], null, v[202:203], v[202:203], v[200:201]
	v_div_scale_f64 v[223:224], vcc_lo, v[200:201], v[202:203], v[200:201]
	s_delay_alu instid0(VALU_DEP_2) | instskip(SKIP_2) | instid1(VALU_DEP_1)
	v_rcp_f64_e32 v[219:220], v[217:218]
	s_waitcnt_depctr 0xfff
	v_fma_f64 v[221:222], -v[217:218], v[219:220], 1.0
	v_fma_f64 v[219:220], v[219:220], v[221:222], v[219:220]
	s_delay_alu instid0(VALU_DEP_1) | instskip(NEXT) | instid1(VALU_DEP_1)
	v_fma_f64 v[221:222], -v[217:218], v[219:220], 1.0
	v_fma_f64 v[219:220], v[219:220], v[221:222], v[219:220]
	s_delay_alu instid0(VALU_DEP_1) | instskip(NEXT) | instid1(VALU_DEP_1)
	v_mul_f64 v[221:222], v[223:224], v[219:220]
	v_fma_f64 v[217:218], -v[217:218], v[221:222], v[223:224]
	s_delay_alu instid0(VALU_DEP_1) | instskip(NEXT) | instid1(VALU_DEP_1)
	v_div_fmas_f64 v[217:218], v[217:218], v[219:220], v[221:222]
	v_div_fixup_f64 v[217:218], v[217:218], v[202:203], v[200:201]
	s_delay_alu instid0(VALU_DEP_1) | instskip(NEXT) | instid1(VALU_DEP_1)
	v_fma_f64 v[200:201], v[200:201], v[217:218], v[202:203]
	v_div_scale_f64 v[202:203], null, v[200:201], v[200:201], 1.0
	s_delay_alu instid0(VALU_DEP_1) | instskip(SKIP_2) | instid1(VALU_DEP_1)
	v_rcp_f64_e32 v[219:220], v[202:203]
	s_waitcnt_depctr 0xfff
	v_fma_f64 v[221:222], -v[202:203], v[219:220], 1.0
	v_fma_f64 v[219:220], v[219:220], v[221:222], v[219:220]
	s_delay_alu instid0(VALU_DEP_1) | instskip(NEXT) | instid1(VALU_DEP_1)
	v_fma_f64 v[221:222], -v[202:203], v[219:220], 1.0
	v_fma_f64 v[219:220], v[219:220], v[221:222], v[219:220]
	v_div_scale_f64 v[221:222], vcc_lo, 1.0, v[200:201], 1.0
	s_delay_alu instid0(VALU_DEP_1) | instskip(NEXT) | instid1(VALU_DEP_1)
	v_mul_f64 v[223:224], v[221:222], v[219:220]
	v_fma_f64 v[202:203], -v[202:203], v[223:224], v[221:222]
	s_delay_alu instid0(VALU_DEP_1) | instskip(NEXT) | instid1(VALU_DEP_1)
	v_div_fmas_f64 v[202:203], v[202:203], v[219:220], v[223:224]
	v_div_fixup_f64 v[202:203], v[202:203], v[200:201], 1.0
	s_delay_alu instid0(VALU_DEP_1)
	v_mul_f64 v[200:201], v[217:218], v[202:203]
	v_xor_b32_e32 v203, 0x80000000, v203
.LBB98_469:
	s_and_not1_saveexec_b32 s2, s2
	s_cbranch_execz .LBB98_471
; %bb.470:
	s_delay_alu instid0(VALU_DEP_1) | instskip(SKIP_1) | instid1(VALU_DEP_2)
	v_div_scale_f64 v[217:218], null, v[200:201], v[200:201], v[202:203]
	v_div_scale_f64 v[223:224], vcc_lo, v[202:203], v[200:201], v[202:203]
	v_rcp_f64_e32 v[219:220], v[217:218]
	s_waitcnt_depctr 0xfff
	v_fma_f64 v[221:222], -v[217:218], v[219:220], 1.0
	s_delay_alu instid0(VALU_DEP_1) | instskip(NEXT) | instid1(VALU_DEP_1)
	v_fma_f64 v[219:220], v[219:220], v[221:222], v[219:220]
	v_fma_f64 v[221:222], -v[217:218], v[219:220], 1.0
	s_delay_alu instid0(VALU_DEP_1) | instskip(NEXT) | instid1(VALU_DEP_1)
	v_fma_f64 v[219:220], v[219:220], v[221:222], v[219:220]
	v_mul_f64 v[221:222], v[223:224], v[219:220]
	s_delay_alu instid0(VALU_DEP_1) | instskip(NEXT) | instid1(VALU_DEP_1)
	v_fma_f64 v[217:218], -v[217:218], v[221:222], v[223:224]
	v_div_fmas_f64 v[217:218], v[217:218], v[219:220], v[221:222]
	s_delay_alu instid0(VALU_DEP_1) | instskip(NEXT) | instid1(VALU_DEP_1)
	v_div_fixup_f64 v[217:218], v[217:218], v[200:201], v[202:203]
	v_fma_f64 v[200:201], v[202:203], v[217:218], v[200:201]
	s_delay_alu instid0(VALU_DEP_1) | instskip(NEXT) | instid1(VALU_DEP_1)
	v_div_scale_f64 v[202:203], null, v[200:201], v[200:201], 1.0
	v_rcp_f64_e32 v[219:220], v[202:203]
	s_waitcnt_depctr 0xfff
	v_fma_f64 v[221:222], -v[202:203], v[219:220], 1.0
	s_delay_alu instid0(VALU_DEP_1) | instskip(NEXT) | instid1(VALU_DEP_1)
	v_fma_f64 v[219:220], v[219:220], v[221:222], v[219:220]
	v_fma_f64 v[221:222], -v[202:203], v[219:220], 1.0
	s_delay_alu instid0(VALU_DEP_1) | instskip(SKIP_1) | instid1(VALU_DEP_1)
	v_fma_f64 v[219:220], v[219:220], v[221:222], v[219:220]
	v_div_scale_f64 v[221:222], vcc_lo, 1.0, v[200:201], 1.0
	v_mul_f64 v[223:224], v[221:222], v[219:220]
	s_delay_alu instid0(VALU_DEP_1) | instskip(NEXT) | instid1(VALU_DEP_1)
	v_fma_f64 v[202:203], -v[202:203], v[223:224], v[221:222]
	v_div_fmas_f64 v[202:203], v[202:203], v[219:220], v[223:224]
	s_delay_alu instid0(VALU_DEP_1) | instskip(NEXT) | instid1(VALU_DEP_1)
	v_div_fixup_f64 v[200:201], v[202:203], v[200:201], 1.0
	v_mul_f64 v[202:203], v[217:218], -v[200:201]
.LBB98_471:
	s_or_b32 exec_lo, exec_lo, s2
.LBB98_472:
	s_delay_alu instid0(SALU_CYCLE_1) | instskip(NEXT) | instid1(SALU_CYCLE_1)
	s_or_b32 exec_lo, exec_lo, s3
	s_mov_b32 s2, exec_lo
	v_cmpx_ne_u32_e64 v216, v208
	s_xor_b32 s2, exec_lo, s2
	s_cbranch_execz .LBB98_478
; %bb.473:
	s_mov_b32 s3, exec_lo
	v_cmpx_eq_u32_e32 22, v216
	s_cbranch_execz .LBB98_477
; %bb.474:
	v_cmp_ne_u32_e32 vcc_lo, 22, v208
	s_xor_b32 s6, s4, -1
	s_delay_alu instid0(SALU_CYCLE_1) | instskip(NEXT) | instid1(SALU_CYCLE_1)
	s_and_b32 s7, s6, vcc_lo
	s_and_saveexec_b32 s6, s7
	s_cbranch_execz .LBB98_476
; %bb.475:
	v_ashrrev_i32_e32 v209, 31, v208
	s_delay_alu instid0(VALU_DEP_1) | instskip(NEXT) | instid1(VALU_DEP_1)
	v_lshlrev_b64 v[215:216], 2, v[208:209]
	v_add_co_u32 v215, vcc_lo, v206, v215
	s_delay_alu instid0(VALU_DEP_2)
	v_add_co_ci_u32_e32 v216, vcc_lo, v207, v216, vcc_lo
	s_clause 0x1
	flat_load_b32 v209, v[215:216]
	flat_load_b32 v217, v[206:207] offset:88
	s_waitcnt vmcnt(1) lgkmcnt(1)
	flat_store_b32 v[206:207], v209 offset:88
	s_waitcnt vmcnt(0) lgkmcnt(1)
	flat_store_b32 v[215:216], v217
.LBB98_476:
	s_or_b32 exec_lo, exec_lo, s6
	v_mov_b32_e32 v216, v208
	v_mov_b32_e32 v215, v208
.LBB98_477:
	s_or_b32 exec_lo, exec_lo, s3
.LBB98_478:
	s_and_not1_saveexec_b32 s2, s2
	s_cbranch_execz .LBB98_480
; %bb.479:
	v_mov_b32_e32 v216, 22
	ds_store_2addr_b64 v210, v[104:105], v[106:107] offset0:46 offset1:47
	ds_store_2addr_b64 v210, v[100:101], v[102:103] offset0:48 offset1:49
	;; [unrolled: 1-line block ×27, first 2 shown]
.LBB98_480:
	s_or_b32 exec_lo, exec_lo, s2
	s_delay_alu instid0(SALU_CYCLE_1)
	s_mov_b32 s2, exec_lo
	s_waitcnt lgkmcnt(0)
	s_waitcnt_vscnt null, 0x0
	s_barrier
	buffer_gl0_inv
	v_cmpx_lt_i32_e32 22, v216
	s_cbranch_execz .LBB98_482
; %bb.481:
	v_mul_f64 v[208:209], v[202:203], v[110:111]
	v_mul_f64 v[110:111], v[200:201], v[110:111]
	s_delay_alu instid0(VALU_DEP_2) | instskip(NEXT) | instid1(VALU_DEP_2)
	v_fma_f64 v[208:209], v[200:201], v[108:109], -v[208:209]
	v_fma_f64 v[110:111], v[202:203], v[108:109], v[110:111]
	ds_load_2addr_b64 v[200:203], v210 offset0:46 offset1:47
	s_waitcnt lgkmcnt(0)
	v_mul_f64 v[108:109], v[202:203], v[110:111]
	s_delay_alu instid0(VALU_DEP_1) | instskip(SKIP_1) | instid1(VALU_DEP_2)
	v_fma_f64 v[108:109], v[200:201], v[208:209], -v[108:109]
	v_mul_f64 v[200:201], v[200:201], v[110:111]
	v_add_f64 v[104:105], v[104:105], -v[108:109]
	s_delay_alu instid0(VALU_DEP_2) | instskip(NEXT) | instid1(VALU_DEP_1)
	v_fma_f64 v[200:201], v[202:203], v[208:209], v[200:201]
	v_add_f64 v[106:107], v[106:107], -v[200:201]
	ds_load_2addr_b64 v[200:203], v210 offset0:48 offset1:49
	s_waitcnt lgkmcnt(0)
	v_mul_f64 v[108:109], v[202:203], v[110:111]
	s_delay_alu instid0(VALU_DEP_1) | instskip(SKIP_1) | instid1(VALU_DEP_2)
	v_fma_f64 v[108:109], v[200:201], v[208:209], -v[108:109]
	v_mul_f64 v[200:201], v[200:201], v[110:111]
	v_add_f64 v[100:101], v[100:101], -v[108:109]
	s_delay_alu instid0(VALU_DEP_2) | instskip(NEXT) | instid1(VALU_DEP_1)
	v_fma_f64 v[200:201], v[202:203], v[208:209], v[200:201]
	v_add_f64 v[102:103], v[102:103], -v[200:201]
	;; [unrolled: 10-line block ×26, first 2 shown]
	ds_load_2addr_b64 v[200:203], v210 offset0:98 offset1:99
	s_waitcnt lgkmcnt(0)
	v_mul_f64 v[108:109], v[202:203], v[110:111]
	s_delay_alu instid0(VALU_DEP_1) | instskip(SKIP_1) | instid1(VALU_DEP_2)
	v_fma_f64 v[108:109], v[200:201], v[208:209], -v[108:109]
	v_mul_f64 v[200:201], v[200:201], v[110:111]
	v_add_f64 v[0:1], v[0:1], -v[108:109]
	s_delay_alu instid0(VALU_DEP_2) | instskip(SKIP_1) | instid1(VALU_DEP_2)
	v_fma_f64 v[200:201], v[202:203], v[208:209], v[200:201]
	v_dual_mov_b32 v108, v208 :: v_dual_mov_b32 v109, v209
	v_add_f64 v[2:3], v[2:3], -v[200:201]
.LBB98_482:
	s_or_b32 exec_lo, exec_lo, s2
	v_lshl_add_u32 v200, v216, 4, v210
	s_barrier
	buffer_gl0_inv
	v_mov_b32_e32 v208, 23
	ds_store_2addr_b64 v200, v[104:105], v[106:107] offset1:1
	s_waitcnt lgkmcnt(0)
	s_barrier
	buffer_gl0_inv
	ds_load_2addr_b64 v[200:203], v210 offset0:46 offset1:47
	s_cmp_lt_i32 s5, 25
	s_cbranch_scc1 .LBB98_485
; %bb.483:
	v_add3_u32 v209, v214, 0, 0x180
	v_mov_b32_e32 v208, 23
	s_mov_b32 s6, 24
	s_set_inst_prefetch_distance 0x1
	.p2align	6
.LBB98_484:                             ; =>This Inner Loop Header: Depth=1
	ds_load_2addr_b64 v[217:220], v209 offset1:1
	s_waitcnt lgkmcnt(1)
	v_cmp_gt_f64_e32 vcc_lo, 0, v[200:201]
	v_xor_b32_e32 v221, 0x80000000, v201
	v_cmp_gt_f64_e64 s2, 0, v[202:203]
	v_xor_b32_e32 v223, 0x80000000, v203
	v_add_nc_u32_e32 v209, 16, v209
	s_waitcnt lgkmcnt(0)
	v_cmp_gt_f64_e64 s3, 0, v[217:218]
	v_mov_b32_e32 v225, v217
	v_dual_mov_b32 v227, v219 :: v_dual_cndmask_b32 v222, v201, v221
	v_xor_b32_e32 v221, 0x80000000, v218
	v_cndmask_b32_e64 v224, v203, v223, s2
	v_xor_b32_e32 v223, 0x80000000, v220
	s_delay_alu instid0(VALU_DEP_3) | instskip(SKIP_2) | instid1(VALU_DEP_2)
	v_cndmask_b32_e64 v226, v218, v221, s3
	v_cmp_gt_f64_e64 s3, 0, v[219:220]
	v_cndmask_b32_e32 v221, v200, v200, vcc_lo
	v_cndmask_b32_e64 v228, v220, v223, s3
	v_cndmask_b32_e64 v223, v202, v202, s2
	s_delay_alu instid0(VALU_DEP_2) | instskip(NEXT) | instid1(VALU_DEP_2)
	v_add_f64 v[225:226], v[225:226], v[227:228]
	v_add_f64 v[221:222], v[221:222], v[223:224]
	s_delay_alu instid0(VALU_DEP_1) | instskip(SKIP_4) | instid1(SALU_CYCLE_1)
	v_cmp_lt_f64_e32 vcc_lo, v[221:222], v[225:226]
	v_dual_cndmask_b32 v202, v202, v219 :: v_dual_cndmask_b32 v201, v201, v218
	v_dual_cndmask_b32 v200, v200, v217 :: v_dual_cndmask_b32 v203, v203, v220
	v_cndmask_b32_e64 v208, v208, s6, vcc_lo
	s_add_i32 s6, s6, 1
	s_cmp_lg_u32 s5, s6
	s_cbranch_scc1 .LBB98_484
.LBB98_485:
	s_set_inst_prefetch_distance 0x2
	s_waitcnt lgkmcnt(0)
	v_cmp_eq_f64_e32 vcc_lo, 0, v[200:201]
	v_cmp_eq_f64_e64 s2, 0, v[202:203]
	s_delay_alu instid0(VALU_DEP_1) | instskip(NEXT) | instid1(SALU_CYCLE_1)
	s_and_b32 s2, vcc_lo, s2
	s_and_saveexec_b32 s3, s2
	s_delay_alu instid0(SALU_CYCLE_1)
	s_xor_b32 s2, exec_lo, s3
; %bb.486:
	v_cmp_ne_u32_e32 vcc_lo, 0, v213
	v_cndmask_b32_e32 v213, 24, v213, vcc_lo
; %bb.487:
	s_and_not1_saveexec_b32 s3, s2
	s_cbranch_execz .LBB98_493
; %bb.488:
	v_cmp_gt_f64_e32 vcc_lo, 0, v[200:201]
	v_cmp_gt_f64_e64 s2, 0, v[202:203]
	v_xor_b32_e32 v209, 0x80000000, v201
	v_xor_b32_e32 v217, 0x80000000, v203
	s_delay_alu instid0(VALU_DEP_2) | instskip(NEXT) | instid1(VALU_DEP_2)
	v_cndmask_b32_e32 v218, v201, v209, vcc_lo
	v_cndmask_b32_e64 v220, v203, v217, s2
	v_cndmask_b32_e32 v217, v200, v200, vcc_lo
	v_cndmask_b32_e64 v219, v202, v202, s2
	s_mov_b32 s2, exec_lo
	s_delay_alu instid0(VALU_DEP_1)
	v_cmpx_ngt_f64_e32 v[217:218], v[219:220]
	s_xor_b32 s2, exec_lo, s2
	s_cbranch_execz .LBB98_490
; %bb.489:
	v_div_scale_f64 v[217:218], null, v[202:203], v[202:203], v[200:201]
	v_div_scale_f64 v[223:224], vcc_lo, v[200:201], v[202:203], v[200:201]
	s_delay_alu instid0(VALU_DEP_2) | instskip(SKIP_2) | instid1(VALU_DEP_1)
	v_rcp_f64_e32 v[219:220], v[217:218]
	s_waitcnt_depctr 0xfff
	v_fma_f64 v[221:222], -v[217:218], v[219:220], 1.0
	v_fma_f64 v[219:220], v[219:220], v[221:222], v[219:220]
	s_delay_alu instid0(VALU_DEP_1) | instskip(NEXT) | instid1(VALU_DEP_1)
	v_fma_f64 v[221:222], -v[217:218], v[219:220], 1.0
	v_fma_f64 v[219:220], v[219:220], v[221:222], v[219:220]
	s_delay_alu instid0(VALU_DEP_1) | instskip(NEXT) | instid1(VALU_DEP_1)
	v_mul_f64 v[221:222], v[223:224], v[219:220]
	v_fma_f64 v[217:218], -v[217:218], v[221:222], v[223:224]
	s_delay_alu instid0(VALU_DEP_1) | instskip(NEXT) | instid1(VALU_DEP_1)
	v_div_fmas_f64 v[217:218], v[217:218], v[219:220], v[221:222]
	v_div_fixup_f64 v[217:218], v[217:218], v[202:203], v[200:201]
	s_delay_alu instid0(VALU_DEP_1) | instskip(NEXT) | instid1(VALU_DEP_1)
	v_fma_f64 v[200:201], v[200:201], v[217:218], v[202:203]
	v_div_scale_f64 v[202:203], null, v[200:201], v[200:201], 1.0
	s_delay_alu instid0(VALU_DEP_1) | instskip(SKIP_2) | instid1(VALU_DEP_1)
	v_rcp_f64_e32 v[219:220], v[202:203]
	s_waitcnt_depctr 0xfff
	v_fma_f64 v[221:222], -v[202:203], v[219:220], 1.0
	v_fma_f64 v[219:220], v[219:220], v[221:222], v[219:220]
	s_delay_alu instid0(VALU_DEP_1) | instskip(NEXT) | instid1(VALU_DEP_1)
	v_fma_f64 v[221:222], -v[202:203], v[219:220], 1.0
	v_fma_f64 v[219:220], v[219:220], v[221:222], v[219:220]
	v_div_scale_f64 v[221:222], vcc_lo, 1.0, v[200:201], 1.0
	s_delay_alu instid0(VALU_DEP_1) | instskip(NEXT) | instid1(VALU_DEP_1)
	v_mul_f64 v[223:224], v[221:222], v[219:220]
	v_fma_f64 v[202:203], -v[202:203], v[223:224], v[221:222]
	s_delay_alu instid0(VALU_DEP_1) | instskip(NEXT) | instid1(VALU_DEP_1)
	v_div_fmas_f64 v[202:203], v[202:203], v[219:220], v[223:224]
	v_div_fixup_f64 v[202:203], v[202:203], v[200:201], 1.0
	s_delay_alu instid0(VALU_DEP_1)
	v_mul_f64 v[200:201], v[217:218], v[202:203]
	v_xor_b32_e32 v203, 0x80000000, v203
.LBB98_490:
	s_and_not1_saveexec_b32 s2, s2
	s_cbranch_execz .LBB98_492
; %bb.491:
	s_delay_alu instid0(VALU_DEP_1) | instskip(SKIP_1) | instid1(VALU_DEP_2)
	v_div_scale_f64 v[217:218], null, v[200:201], v[200:201], v[202:203]
	v_div_scale_f64 v[223:224], vcc_lo, v[202:203], v[200:201], v[202:203]
	v_rcp_f64_e32 v[219:220], v[217:218]
	s_waitcnt_depctr 0xfff
	v_fma_f64 v[221:222], -v[217:218], v[219:220], 1.0
	s_delay_alu instid0(VALU_DEP_1) | instskip(NEXT) | instid1(VALU_DEP_1)
	v_fma_f64 v[219:220], v[219:220], v[221:222], v[219:220]
	v_fma_f64 v[221:222], -v[217:218], v[219:220], 1.0
	s_delay_alu instid0(VALU_DEP_1) | instskip(NEXT) | instid1(VALU_DEP_1)
	v_fma_f64 v[219:220], v[219:220], v[221:222], v[219:220]
	v_mul_f64 v[221:222], v[223:224], v[219:220]
	s_delay_alu instid0(VALU_DEP_1) | instskip(NEXT) | instid1(VALU_DEP_1)
	v_fma_f64 v[217:218], -v[217:218], v[221:222], v[223:224]
	v_div_fmas_f64 v[217:218], v[217:218], v[219:220], v[221:222]
	s_delay_alu instid0(VALU_DEP_1) | instskip(NEXT) | instid1(VALU_DEP_1)
	v_div_fixup_f64 v[217:218], v[217:218], v[200:201], v[202:203]
	v_fma_f64 v[200:201], v[202:203], v[217:218], v[200:201]
	s_delay_alu instid0(VALU_DEP_1) | instskip(NEXT) | instid1(VALU_DEP_1)
	v_div_scale_f64 v[202:203], null, v[200:201], v[200:201], 1.0
	v_rcp_f64_e32 v[219:220], v[202:203]
	s_waitcnt_depctr 0xfff
	v_fma_f64 v[221:222], -v[202:203], v[219:220], 1.0
	s_delay_alu instid0(VALU_DEP_1) | instskip(NEXT) | instid1(VALU_DEP_1)
	v_fma_f64 v[219:220], v[219:220], v[221:222], v[219:220]
	v_fma_f64 v[221:222], -v[202:203], v[219:220], 1.0
	s_delay_alu instid0(VALU_DEP_1) | instskip(SKIP_1) | instid1(VALU_DEP_1)
	v_fma_f64 v[219:220], v[219:220], v[221:222], v[219:220]
	v_div_scale_f64 v[221:222], vcc_lo, 1.0, v[200:201], 1.0
	v_mul_f64 v[223:224], v[221:222], v[219:220]
	s_delay_alu instid0(VALU_DEP_1) | instskip(NEXT) | instid1(VALU_DEP_1)
	v_fma_f64 v[202:203], -v[202:203], v[223:224], v[221:222]
	v_div_fmas_f64 v[202:203], v[202:203], v[219:220], v[223:224]
	s_delay_alu instid0(VALU_DEP_1) | instskip(NEXT) | instid1(VALU_DEP_1)
	v_div_fixup_f64 v[200:201], v[202:203], v[200:201], 1.0
	v_mul_f64 v[202:203], v[217:218], -v[200:201]
.LBB98_492:
	s_or_b32 exec_lo, exec_lo, s2
.LBB98_493:
	s_delay_alu instid0(SALU_CYCLE_1) | instskip(NEXT) | instid1(SALU_CYCLE_1)
	s_or_b32 exec_lo, exec_lo, s3
	s_mov_b32 s2, exec_lo
	v_cmpx_ne_u32_e64 v216, v208
	s_xor_b32 s2, exec_lo, s2
	s_cbranch_execz .LBB98_499
; %bb.494:
	s_mov_b32 s3, exec_lo
	v_cmpx_eq_u32_e32 23, v216
	s_cbranch_execz .LBB98_498
; %bb.495:
	v_cmp_ne_u32_e32 vcc_lo, 23, v208
	s_xor_b32 s6, s4, -1
	s_delay_alu instid0(SALU_CYCLE_1) | instskip(NEXT) | instid1(SALU_CYCLE_1)
	s_and_b32 s7, s6, vcc_lo
	s_and_saveexec_b32 s6, s7
	s_cbranch_execz .LBB98_497
; %bb.496:
	v_ashrrev_i32_e32 v209, 31, v208
	s_delay_alu instid0(VALU_DEP_1) | instskip(NEXT) | instid1(VALU_DEP_1)
	v_lshlrev_b64 v[215:216], 2, v[208:209]
	v_add_co_u32 v215, vcc_lo, v206, v215
	s_delay_alu instid0(VALU_DEP_2)
	v_add_co_ci_u32_e32 v216, vcc_lo, v207, v216, vcc_lo
	s_clause 0x1
	flat_load_b32 v209, v[215:216]
	flat_load_b32 v217, v[206:207] offset:92
	s_waitcnt vmcnt(1) lgkmcnt(1)
	flat_store_b32 v[206:207], v209 offset:92
	s_waitcnt vmcnt(0) lgkmcnt(1)
	flat_store_b32 v[215:216], v217
.LBB98_497:
	s_or_b32 exec_lo, exec_lo, s6
	v_mov_b32_e32 v216, v208
	v_mov_b32_e32 v215, v208
.LBB98_498:
	s_or_b32 exec_lo, exec_lo, s3
.LBB98_499:
	s_and_not1_saveexec_b32 s2, s2
	s_cbranch_execz .LBB98_501
; %bb.500:
	v_mov_b32_e32 v216, 23
	ds_store_2addr_b64 v210, v[100:101], v[102:103] offset0:48 offset1:49
	ds_store_2addr_b64 v210, v[96:97], v[98:99] offset0:50 offset1:51
	;; [unrolled: 1-line block ×26, first 2 shown]
.LBB98_501:
	s_or_b32 exec_lo, exec_lo, s2
	s_delay_alu instid0(SALU_CYCLE_1)
	s_mov_b32 s2, exec_lo
	s_waitcnt lgkmcnt(0)
	s_waitcnt_vscnt null, 0x0
	s_barrier
	buffer_gl0_inv
	v_cmpx_lt_i32_e32 23, v216
	s_cbranch_execz .LBB98_503
; %bb.502:
	v_mul_f64 v[208:209], v[202:203], v[106:107]
	v_mul_f64 v[106:107], v[200:201], v[106:107]
	s_delay_alu instid0(VALU_DEP_2) | instskip(NEXT) | instid1(VALU_DEP_2)
	v_fma_f64 v[208:209], v[200:201], v[104:105], -v[208:209]
	v_fma_f64 v[106:107], v[202:203], v[104:105], v[106:107]
	ds_load_2addr_b64 v[200:203], v210 offset0:48 offset1:49
	s_waitcnt lgkmcnt(0)
	v_mul_f64 v[104:105], v[202:203], v[106:107]
	s_delay_alu instid0(VALU_DEP_1) | instskip(SKIP_1) | instid1(VALU_DEP_2)
	v_fma_f64 v[104:105], v[200:201], v[208:209], -v[104:105]
	v_mul_f64 v[200:201], v[200:201], v[106:107]
	v_add_f64 v[100:101], v[100:101], -v[104:105]
	s_delay_alu instid0(VALU_DEP_2) | instskip(NEXT) | instid1(VALU_DEP_1)
	v_fma_f64 v[200:201], v[202:203], v[208:209], v[200:201]
	v_add_f64 v[102:103], v[102:103], -v[200:201]
	ds_load_2addr_b64 v[200:203], v210 offset0:50 offset1:51
	s_waitcnt lgkmcnt(0)
	v_mul_f64 v[104:105], v[202:203], v[106:107]
	s_delay_alu instid0(VALU_DEP_1) | instskip(SKIP_1) | instid1(VALU_DEP_2)
	v_fma_f64 v[104:105], v[200:201], v[208:209], -v[104:105]
	v_mul_f64 v[200:201], v[200:201], v[106:107]
	v_add_f64 v[96:97], v[96:97], -v[104:105]
	s_delay_alu instid0(VALU_DEP_2) | instskip(NEXT) | instid1(VALU_DEP_1)
	v_fma_f64 v[200:201], v[202:203], v[208:209], v[200:201]
	v_add_f64 v[98:99], v[98:99], -v[200:201]
	;; [unrolled: 10-line block ×25, first 2 shown]
	ds_load_2addr_b64 v[200:203], v210 offset0:98 offset1:99
	s_waitcnt lgkmcnt(0)
	v_mul_f64 v[104:105], v[202:203], v[106:107]
	s_delay_alu instid0(VALU_DEP_1) | instskip(SKIP_1) | instid1(VALU_DEP_2)
	v_fma_f64 v[104:105], v[200:201], v[208:209], -v[104:105]
	v_mul_f64 v[200:201], v[200:201], v[106:107]
	v_add_f64 v[0:1], v[0:1], -v[104:105]
	s_delay_alu instid0(VALU_DEP_2) | instskip(SKIP_1) | instid1(VALU_DEP_2)
	v_fma_f64 v[200:201], v[202:203], v[208:209], v[200:201]
	v_dual_mov_b32 v104, v208 :: v_dual_mov_b32 v105, v209
	v_add_f64 v[2:3], v[2:3], -v[200:201]
.LBB98_503:
	s_or_b32 exec_lo, exec_lo, s2
	v_lshl_add_u32 v200, v216, 4, v210
	s_barrier
	buffer_gl0_inv
	v_mov_b32_e32 v208, 24
	ds_store_2addr_b64 v200, v[100:101], v[102:103] offset1:1
	s_waitcnt lgkmcnt(0)
	s_barrier
	buffer_gl0_inv
	ds_load_2addr_b64 v[200:203], v210 offset0:48 offset1:49
	s_cmp_lt_i32 s5, 26
	s_cbranch_scc1 .LBB98_506
; %bb.504:
	v_add3_u32 v209, v214, 0, 0x190
	v_mov_b32_e32 v208, 24
	s_mov_b32 s6, 25
	s_set_inst_prefetch_distance 0x1
	.p2align	6
.LBB98_505:                             ; =>This Inner Loop Header: Depth=1
	ds_load_2addr_b64 v[217:220], v209 offset1:1
	s_waitcnt lgkmcnt(1)
	v_cmp_gt_f64_e32 vcc_lo, 0, v[200:201]
	v_xor_b32_e32 v221, 0x80000000, v201
	v_cmp_gt_f64_e64 s2, 0, v[202:203]
	v_xor_b32_e32 v223, 0x80000000, v203
	v_add_nc_u32_e32 v209, 16, v209
	s_waitcnt lgkmcnt(0)
	v_cmp_gt_f64_e64 s3, 0, v[217:218]
	v_mov_b32_e32 v225, v217
	v_dual_mov_b32 v227, v219 :: v_dual_cndmask_b32 v222, v201, v221
	v_xor_b32_e32 v221, 0x80000000, v218
	v_cndmask_b32_e64 v224, v203, v223, s2
	v_xor_b32_e32 v223, 0x80000000, v220
	s_delay_alu instid0(VALU_DEP_3) | instskip(SKIP_2) | instid1(VALU_DEP_2)
	v_cndmask_b32_e64 v226, v218, v221, s3
	v_cmp_gt_f64_e64 s3, 0, v[219:220]
	v_cndmask_b32_e32 v221, v200, v200, vcc_lo
	v_cndmask_b32_e64 v228, v220, v223, s3
	v_cndmask_b32_e64 v223, v202, v202, s2
	s_delay_alu instid0(VALU_DEP_2) | instskip(NEXT) | instid1(VALU_DEP_2)
	v_add_f64 v[225:226], v[225:226], v[227:228]
	v_add_f64 v[221:222], v[221:222], v[223:224]
	s_delay_alu instid0(VALU_DEP_1) | instskip(SKIP_4) | instid1(SALU_CYCLE_1)
	v_cmp_lt_f64_e32 vcc_lo, v[221:222], v[225:226]
	v_dual_cndmask_b32 v202, v202, v219 :: v_dual_cndmask_b32 v201, v201, v218
	v_dual_cndmask_b32 v200, v200, v217 :: v_dual_cndmask_b32 v203, v203, v220
	v_cndmask_b32_e64 v208, v208, s6, vcc_lo
	s_add_i32 s6, s6, 1
	s_cmp_lg_u32 s5, s6
	s_cbranch_scc1 .LBB98_505
.LBB98_506:
	s_set_inst_prefetch_distance 0x2
	s_waitcnt lgkmcnt(0)
	v_cmp_eq_f64_e32 vcc_lo, 0, v[200:201]
	v_cmp_eq_f64_e64 s2, 0, v[202:203]
	s_delay_alu instid0(VALU_DEP_1) | instskip(NEXT) | instid1(SALU_CYCLE_1)
	s_and_b32 s2, vcc_lo, s2
	s_and_saveexec_b32 s3, s2
	s_delay_alu instid0(SALU_CYCLE_1)
	s_xor_b32 s2, exec_lo, s3
; %bb.507:
	v_cmp_ne_u32_e32 vcc_lo, 0, v213
	v_cndmask_b32_e32 v213, 25, v213, vcc_lo
; %bb.508:
	s_and_not1_saveexec_b32 s3, s2
	s_cbranch_execz .LBB98_514
; %bb.509:
	v_cmp_gt_f64_e32 vcc_lo, 0, v[200:201]
	v_cmp_gt_f64_e64 s2, 0, v[202:203]
	v_xor_b32_e32 v209, 0x80000000, v201
	v_xor_b32_e32 v217, 0x80000000, v203
	s_delay_alu instid0(VALU_DEP_2) | instskip(NEXT) | instid1(VALU_DEP_2)
	v_cndmask_b32_e32 v218, v201, v209, vcc_lo
	v_cndmask_b32_e64 v220, v203, v217, s2
	v_cndmask_b32_e32 v217, v200, v200, vcc_lo
	v_cndmask_b32_e64 v219, v202, v202, s2
	s_mov_b32 s2, exec_lo
	s_delay_alu instid0(VALU_DEP_1)
	v_cmpx_ngt_f64_e32 v[217:218], v[219:220]
	s_xor_b32 s2, exec_lo, s2
	s_cbranch_execz .LBB98_511
; %bb.510:
	v_div_scale_f64 v[217:218], null, v[202:203], v[202:203], v[200:201]
	v_div_scale_f64 v[223:224], vcc_lo, v[200:201], v[202:203], v[200:201]
	s_delay_alu instid0(VALU_DEP_2) | instskip(SKIP_2) | instid1(VALU_DEP_1)
	v_rcp_f64_e32 v[219:220], v[217:218]
	s_waitcnt_depctr 0xfff
	v_fma_f64 v[221:222], -v[217:218], v[219:220], 1.0
	v_fma_f64 v[219:220], v[219:220], v[221:222], v[219:220]
	s_delay_alu instid0(VALU_DEP_1) | instskip(NEXT) | instid1(VALU_DEP_1)
	v_fma_f64 v[221:222], -v[217:218], v[219:220], 1.0
	v_fma_f64 v[219:220], v[219:220], v[221:222], v[219:220]
	s_delay_alu instid0(VALU_DEP_1) | instskip(NEXT) | instid1(VALU_DEP_1)
	v_mul_f64 v[221:222], v[223:224], v[219:220]
	v_fma_f64 v[217:218], -v[217:218], v[221:222], v[223:224]
	s_delay_alu instid0(VALU_DEP_1) | instskip(NEXT) | instid1(VALU_DEP_1)
	v_div_fmas_f64 v[217:218], v[217:218], v[219:220], v[221:222]
	v_div_fixup_f64 v[217:218], v[217:218], v[202:203], v[200:201]
	s_delay_alu instid0(VALU_DEP_1) | instskip(NEXT) | instid1(VALU_DEP_1)
	v_fma_f64 v[200:201], v[200:201], v[217:218], v[202:203]
	v_div_scale_f64 v[202:203], null, v[200:201], v[200:201], 1.0
	s_delay_alu instid0(VALU_DEP_1) | instskip(SKIP_2) | instid1(VALU_DEP_1)
	v_rcp_f64_e32 v[219:220], v[202:203]
	s_waitcnt_depctr 0xfff
	v_fma_f64 v[221:222], -v[202:203], v[219:220], 1.0
	v_fma_f64 v[219:220], v[219:220], v[221:222], v[219:220]
	s_delay_alu instid0(VALU_DEP_1) | instskip(NEXT) | instid1(VALU_DEP_1)
	v_fma_f64 v[221:222], -v[202:203], v[219:220], 1.0
	v_fma_f64 v[219:220], v[219:220], v[221:222], v[219:220]
	v_div_scale_f64 v[221:222], vcc_lo, 1.0, v[200:201], 1.0
	s_delay_alu instid0(VALU_DEP_1) | instskip(NEXT) | instid1(VALU_DEP_1)
	v_mul_f64 v[223:224], v[221:222], v[219:220]
	v_fma_f64 v[202:203], -v[202:203], v[223:224], v[221:222]
	s_delay_alu instid0(VALU_DEP_1) | instskip(NEXT) | instid1(VALU_DEP_1)
	v_div_fmas_f64 v[202:203], v[202:203], v[219:220], v[223:224]
	v_div_fixup_f64 v[202:203], v[202:203], v[200:201], 1.0
	s_delay_alu instid0(VALU_DEP_1)
	v_mul_f64 v[200:201], v[217:218], v[202:203]
	v_xor_b32_e32 v203, 0x80000000, v203
.LBB98_511:
	s_and_not1_saveexec_b32 s2, s2
	s_cbranch_execz .LBB98_513
; %bb.512:
	s_delay_alu instid0(VALU_DEP_1) | instskip(SKIP_1) | instid1(VALU_DEP_2)
	v_div_scale_f64 v[217:218], null, v[200:201], v[200:201], v[202:203]
	v_div_scale_f64 v[223:224], vcc_lo, v[202:203], v[200:201], v[202:203]
	v_rcp_f64_e32 v[219:220], v[217:218]
	s_waitcnt_depctr 0xfff
	v_fma_f64 v[221:222], -v[217:218], v[219:220], 1.0
	s_delay_alu instid0(VALU_DEP_1) | instskip(NEXT) | instid1(VALU_DEP_1)
	v_fma_f64 v[219:220], v[219:220], v[221:222], v[219:220]
	v_fma_f64 v[221:222], -v[217:218], v[219:220], 1.0
	s_delay_alu instid0(VALU_DEP_1) | instskip(NEXT) | instid1(VALU_DEP_1)
	v_fma_f64 v[219:220], v[219:220], v[221:222], v[219:220]
	v_mul_f64 v[221:222], v[223:224], v[219:220]
	s_delay_alu instid0(VALU_DEP_1) | instskip(NEXT) | instid1(VALU_DEP_1)
	v_fma_f64 v[217:218], -v[217:218], v[221:222], v[223:224]
	v_div_fmas_f64 v[217:218], v[217:218], v[219:220], v[221:222]
	s_delay_alu instid0(VALU_DEP_1) | instskip(NEXT) | instid1(VALU_DEP_1)
	v_div_fixup_f64 v[217:218], v[217:218], v[200:201], v[202:203]
	v_fma_f64 v[200:201], v[202:203], v[217:218], v[200:201]
	s_delay_alu instid0(VALU_DEP_1) | instskip(NEXT) | instid1(VALU_DEP_1)
	v_div_scale_f64 v[202:203], null, v[200:201], v[200:201], 1.0
	v_rcp_f64_e32 v[219:220], v[202:203]
	s_waitcnt_depctr 0xfff
	v_fma_f64 v[221:222], -v[202:203], v[219:220], 1.0
	s_delay_alu instid0(VALU_DEP_1) | instskip(NEXT) | instid1(VALU_DEP_1)
	v_fma_f64 v[219:220], v[219:220], v[221:222], v[219:220]
	v_fma_f64 v[221:222], -v[202:203], v[219:220], 1.0
	s_delay_alu instid0(VALU_DEP_1) | instskip(SKIP_1) | instid1(VALU_DEP_1)
	v_fma_f64 v[219:220], v[219:220], v[221:222], v[219:220]
	v_div_scale_f64 v[221:222], vcc_lo, 1.0, v[200:201], 1.0
	v_mul_f64 v[223:224], v[221:222], v[219:220]
	s_delay_alu instid0(VALU_DEP_1) | instskip(NEXT) | instid1(VALU_DEP_1)
	v_fma_f64 v[202:203], -v[202:203], v[223:224], v[221:222]
	v_div_fmas_f64 v[202:203], v[202:203], v[219:220], v[223:224]
	s_delay_alu instid0(VALU_DEP_1) | instskip(NEXT) | instid1(VALU_DEP_1)
	v_div_fixup_f64 v[200:201], v[202:203], v[200:201], 1.0
	v_mul_f64 v[202:203], v[217:218], -v[200:201]
.LBB98_513:
	s_or_b32 exec_lo, exec_lo, s2
.LBB98_514:
	s_delay_alu instid0(SALU_CYCLE_1) | instskip(NEXT) | instid1(SALU_CYCLE_1)
	s_or_b32 exec_lo, exec_lo, s3
	s_mov_b32 s2, exec_lo
	v_cmpx_ne_u32_e64 v216, v208
	s_xor_b32 s2, exec_lo, s2
	s_cbranch_execz .LBB98_520
; %bb.515:
	s_mov_b32 s3, exec_lo
	v_cmpx_eq_u32_e32 24, v216
	s_cbranch_execz .LBB98_519
; %bb.516:
	v_cmp_ne_u32_e32 vcc_lo, 24, v208
	s_xor_b32 s6, s4, -1
	s_delay_alu instid0(SALU_CYCLE_1) | instskip(NEXT) | instid1(SALU_CYCLE_1)
	s_and_b32 s7, s6, vcc_lo
	s_and_saveexec_b32 s6, s7
	s_cbranch_execz .LBB98_518
; %bb.517:
	v_ashrrev_i32_e32 v209, 31, v208
	s_delay_alu instid0(VALU_DEP_1) | instskip(NEXT) | instid1(VALU_DEP_1)
	v_lshlrev_b64 v[215:216], 2, v[208:209]
	v_add_co_u32 v215, vcc_lo, v206, v215
	s_delay_alu instid0(VALU_DEP_2)
	v_add_co_ci_u32_e32 v216, vcc_lo, v207, v216, vcc_lo
	s_clause 0x1
	flat_load_b32 v209, v[215:216]
	flat_load_b32 v217, v[206:207] offset:96
	s_waitcnt vmcnt(1) lgkmcnt(1)
	flat_store_b32 v[206:207], v209 offset:96
	s_waitcnt vmcnt(0) lgkmcnt(1)
	flat_store_b32 v[215:216], v217
.LBB98_518:
	s_or_b32 exec_lo, exec_lo, s6
	v_mov_b32_e32 v216, v208
	v_mov_b32_e32 v215, v208
.LBB98_519:
	s_or_b32 exec_lo, exec_lo, s3
.LBB98_520:
	s_and_not1_saveexec_b32 s2, s2
	s_cbranch_execz .LBB98_522
; %bb.521:
	v_mov_b32_e32 v216, 24
	ds_store_2addr_b64 v210, v[96:97], v[98:99] offset0:50 offset1:51
	ds_store_2addr_b64 v210, v[92:93], v[94:95] offset0:52 offset1:53
	;; [unrolled: 1-line block ×25, first 2 shown]
.LBB98_522:
	s_or_b32 exec_lo, exec_lo, s2
	s_delay_alu instid0(SALU_CYCLE_1)
	s_mov_b32 s2, exec_lo
	s_waitcnt lgkmcnt(0)
	s_waitcnt_vscnt null, 0x0
	s_barrier
	buffer_gl0_inv
	v_cmpx_lt_i32_e32 24, v216
	s_cbranch_execz .LBB98_524
; %bb.523:
	v_mul_f64 v[208:209], v[202:203], v[102:103]
	v_mul_f64 v[102:103], v[200:201], v[102:103]
	s_delay_alu instid0(VALU_DEP_2) | instskip(NEXT) | instid1(VALU_DEP_2)
	v_fma_f64 v[208:209], v[200:201], v[100:101], -v[208:209]
	v_fma_f64 v[102:103], v[202:203], v[100:101], v[102:103]
	ds_load_2addr_b64 v[200:203], v210 offset0:50 offset1:51
	s_waitcnt lgkmcnt(0)
	v_mul_f64 v[100:101], v[202:203], v[102:103]
	s_delay_alu instid0(VALU_DEP_1) | instskip(SKIP_1) | instid1(VALU_DEP_2)
	v_fma_f64 v[100:101], v[200:201], v[208:209], -v[100:101]
	v_mul_f64 v[200:201], v[200:201], v[102:103]
	v_add_f64 v[96:97], v[96:97], -v[100:101]
	s_delay_alu instid0(VALU_DEP_2) | instskip(NEXT) | instid1(VALU_DEP_1)
	v_fma_f64 v[200:201], v[202:203], v[208:209], v[200:201]
	v_add_f64 v[98:99], v[98:99], -v[200:201]
	ds_load_2addr_b64 v[200:203], v210 offset0:52 offset1:53
	s_waitcnt lgkmcnt(0)
	v_mul_f64 v[100:101], v[202:203], v[102:103]
	s_delay_alu instid0(VALU_DEP_1) | instskip(SKIP_1) | instid1(VALU_DEP_2)
	v_fma_f64 v[100:101], v[200:201], v[208:209], -v[100:101]
	v_mul_f64 v[200:201], v[200:201], v[102:103]
	v_add_f64 v[92:93], v[92:93], -v[100:101]
	s_delay_alu instid0(VALU_DEP_2) | instskip(NEXT) | instid1(VALU_DEP_1)
	v_fma_f64 v[200:201], v[202:203], v[208:209], v[200:201]
	v_add_f64 v[94:95], v[94:95], -v[200:201]
	;; [unrolled: 10-line block ×24, first 2 shown]
	ds_load_2addr_b64 v[200:203], v210 offset0:98 offset1:99
	s_waitcnt lgkmcnt(0)
	v_mul_f64 v[100:101], v[202:203], v[102:103]
	s_delay_alu instid0(VALU_DEP_1) | instskip(SKIP_1) | instid1(VALU_DEP_2)
	v_fma_f64 v[100:101], v[200:201], v[208:209], -v[100:101]
	v_mul_f64 v[200:201], v[200:201], v[102:103]
	v_add_f64 v[0:1], v[0:1], -v[100:101]
	s_delay_alu instid0(VALU_DEP_2) | instskip(SKIP_1) | instid1(VALU_DEP_2)
	v_fma_f64 v[200:201], v[202:203], v[208:209], v[200:201]
	v_dual_mov_b32 v100, v208 :: v_dual_mov_b32 v101, v209
	v_add_f64 v[2:3], v[2:3], -v[200:201]
.LBB98_524:
	s_or_b32 exec_lo, exec_lo, s2
	v_lshl_add_u32 v200, v216, 4, v210
	s_barrier
	buffer_gl0_inv
	v_mov_b32_e32 v208, 25
	ds_store_2addr_b64 v200, v[96:97], v[98:99] offset1:1
	s_waitcnt lgkmcnt(0)
	s_barrier
	buffer_gl0_inv
	ds_load_2addr_b64 v[200:203], v210 offset0:50 offset1:51
	s_cmp_lt_i32 s5, 27
	s_cbranch_scc1 .LBB98_527
; %bb.525:
	v_add3_u32 v209, v214, 0, 0x1a0
	v_mov_b32_e32 v208, 25
	s_mov_b32 s6, 26
	s_set_inst_prefetch_distance 0x1
	.p2align	6
.LBB98_526:                             ; =>This Inner Loop Header: Depth=1
	ds_load_2addr_b64 v[217:220], v209 offset1:1
	s_waitcnt lgkmcnt(1)
	v_cmp_gt_f64_e32 vcc_lo, 0, v[200:201]
	v_xor_b32_e32 v221, 0x80000000, v201
	v_cmp_gt_f64_e64 s2, 0, v[202:203]
	v_xor_b32_e32 v223, 0x80000000, v203
	v_add_nc_u32_e32 v209, 16, v209
	s_waitcnt lgkmcnt(0)
	v_cmp_gt_f64_e64 s3, 0, v[217:218]
	v_mov_b32_e32 v225, v217
	v_dual_mov_b32 v227, v219 :: v_dual_cndmask_b32 v222, v201, v221
	v_xor_b32_e32 v221, 0x80000000, v218
	v_cndmask_b32_e64 v224, v203, v223, s2
	v_xor_b32_e32 v223, 0x80000000, v220
	s_delay_alu instid0(VALU_DEP_3) | instskip(SKIP_2) | instid1(VALU_DEP_2)
	v_cndmask_b32_e64 v226, v218, v221, s3
	v_cmp_gt_f64_e64 s3, 0, v[219:220]
	v_cndmask_b32_e32 v221, v200, v200, vcc_lo
	v_cndmask_b32_e64 v228, v220, v223, s3
	v_cndmask_b32_e64 v223, v202, v202, s2
	s_delay_alu instid0(VALU_DEP_2) | instskip(NEXT) | instid1(VALU_DEP_2)
	v_add_f64 v[225:226], v[225:226], v[227:228]
	v_add_f64 v[221:222], v[221:222], v[223:224]
	s_delay_alu instid0(VALU_DEP_1) | instskip(SKIP_4) | instid1(SALU_CYCLE_1)
	v_cmp_lt_f64_e32 vcc_lo, v[221:222], v[225:226]
	v_dual_cndmask_b32 v202, v202, v219 :: v_dual_cndmask_b32 v201, v201, v218
	v_dual_cndmask_b32 v200, v200, v217 :: v_dual_cndmask_b32 v203, v203, v220
	v_cndmask_b32_e64 v208, v208, s6, vcc_lo
	s_add_i32 s6, s6, 1
	s_cmp_lg_u32 s5, s6
	s_cbranch_scc1 .LBB98_526
.LBB98_527:
	s_set_inst_prefetch_distance 0x2
	s_waitcnt lgkmcnt(0)
	v_cmp_eq_f64_e32 vcc_lo, 0, v[200:201]
	v_cmp_eq_f64_e64 s2, 0, v[202:203]
	s_delay_alu instid0(VALU_DEP_1) | instskip(NEXT) | instid1(SALU_CYCLE_1)
	s_and_b32 s2, vcc_lo, s2
	s_and_saveexec_b32 s3, s2
	s_delay_alu instid0(SALU_CYCLE_1)
	s_xor_b32 s2, exec_lo, s3
; %bb.528:
	v_cmp_ne_u32_e32 vcc_lo, 0, v213
	v_cndmask_b32_e32 v213, 26, v213, vcc_lo
; %bb.529:
	s_and_not1_saveexec_b32 s3, s2
	s_cbranch_execz .LBB98_535
; %bb.530:
	v_cmp_gt_f64_e32 vcc_lo, 0, v[200:201]
	v_cmp_gt_f64_e64 s2, 0, v[202:203]
	v_xor_b32_e32 v209, 0x80000000, v201
	v_xor_b32_e32 v217, 0x80000000, v203
	s_delay_alu instid0(VALU_DEP_2) | instskip(NEXT) | instid1(VALU_DEP_2)
	v_cndmask_b32_e32 v218, v201, v209, vcc_lo
	v_cndmask_b32_e64 v220, v203, v217, s2
	v_cndmask_b32_e32 v217, v200, v200, vcc_lo
	v_cndmask_b32_e64 v219, v202, v202, s2
	s_mov_b32 s2, exec_lo
	s_delay_alu instid0(VALU_DEP_1)
	v_cmpx_ngt_f64_e32 v[217:218], v[219:220]
	s_xor_b32 s2, exec_lo, s2
	s_cbranch_execz .LBB98_532
; %bb.531:
	v_div_scale_f64 v[217:218], null, v[202:203], v[202:203], v[200:201]
	v_div_scale_f64 v[223:224], vcc_lo, v[200:201], v[202:203], v[200:201]
	s_delay_alu instid0(VALU_DEP_2) | instskip(SKIP_2) | instid1(VALU_DEP_1)
	v_rcp_f64_e32 v[219:220], v[217:218]
	s_waitcnt_depctr 0xfff
	v_fma_f64 v[221:222], -v[217:218], v[219:220], 1.0
	v_fma_f64 v[219:220], v[219:220], v[221:222], v[219:220]
	s_delay_alu instid0(VALU_DEP_1) | instskip(NEXT) | instid1(VALU_DEP_1)
	v_fma_f64 v[221:222], -v[217:218], v[219:220], 1.0
	v_fma_f64 v[219:220], v[219:220], v[221:222], v[219:220]
	s_delay_alu instid0(VALU_DEP_1) | instskip(NEXT) | instid1(VALU_DEP_1)
	v_mul_f64 v[221:222], v[223:224], v[219:220]
	v_fma_f64 v[217:218], -v[217:218], v[221:222], v[223:224]
	s_delay_alu instid0(VALU_DEP_1) | instskip(NEXT) | instid1(VALU_DEP_1)
	v_div_fmas_f64 v[217:218], v[217:218], v[219:220], v[221:222]
	v_div_fixup_f64 v[217:218], v[217:218], v[202:203], v[200:201]
	s_delay_alu instid0(VALU_DEP_1) | instskip(NEXT) | instid1(VALU_DEP_1)
	v_fma_f64 v[200:201], v[200:201], v[217:218], v[202:203]
	v_div_scale_f64 v[202:203], null, v[200:201], v[200:201], 1.0
	s_delay_alu instid0(VALU_DEP_1) | instskip(SKIP_2) | instid1(VALU_DEP_1)
	v_rcp_f64_e32 v[219:220], v[202:203]
	s_waitcnt_depctr 0xfff
	v_fma_f64 v[221:222], -v[202:203], v[219:220], 1.0
	v_fma_f64 v[219:220], v[219:220], v[221:222], v[219:220]
	s_delay_alu instid0(VALU_DEP_1) | instskip(NEXT) | instid1(VALU_DEP_1)
	v_fma_f64 v[221:222], -v[202:203], v[219:220], 1.0
	v_fma_f64 v[219:220], v[219:220], v[221:222], v[219:220]
	v_div_scale_f64 v[221:222], vcc_lo, 1.0, v[200:201], 1.0
	s_delay_alu instid0(VALU_DEP_1) | instskip(NEXT) | instid1(VALU_DEP_1)
	v_mul_f64 v[223:224], v[221:222], v[219:220]
	v_fma_f64 v[202:203], -v[202:203], v[223:224], v[221:222]
	s_delay_alu instid0(VALU_DEP_1) | instskip(NEXT) | instid1(VALU_DEP_1)
	v_div_fmas_f64 v[202:203], v[202:203], v[219:220], v[223:224]
	v_div_fixup_f64 v[202:203], v[202:203], v[200:201], 1.0
	s_delay_alu instid0(VALU_DEP_1)
	v_mul_f64 v[200:201], v[217:218], v[202:203]
	v_xor_b32_e32 v203, 0x80000000, v203
.LBB98_532:
	s_and_not1_saveexec_b32 s2, s2
	s_cbranch_execz .LBB98_534
; %bb.533:
	s_delay_alu instid0(VALU_DEP_1) | instskip(SKIP_1) | instid1(VALU_DEP_2)
	v_div_scale_f64 v[217:218], null, v[200:201], v[200:201], v[202:203]
	v_div_scale_f64 v[223:224], vcc_lo, v[202:203], v[200:201], v[202:203]
	v_rcp_f64_e32 v[219:220], v[217:218]
	s_waitcnt_depctr 0xfff
	v_fma_f64 v[221:222], -v[217:218], v[219:220], 1.0
	s_delay_alu instid0(VALU_DEP_1) | instskip(NEXT) | instid1(VALU_DEP_1)
	v_fma_f64 v[219:220], v[219:220], v[221:222], v[219:220]
	v_fma_f64 v[221:222], -v[217:218], v[219:220], 1.0
	s_delay_alu instid0(VALU_DEP_1) | instskip(NEXT) | instid1(VALU_DEP_1)
	v_fma_f64 v[219:220], v[219:220], v[221:222], v[219:220]
	v_mul_f64 v[221:222], v[223:224], v[219:220]
	s_delay_alu instid0(VALU_DEP_1) | instskip(NEXT) | instid1(VALU_DEP_1)
	v_fma_f64 v[217:218], -v[217:218], v[221:222], v[223:224]
	v_div_fmas_f64 v[217:218], v[217:218], v[219:220], v[221:222]
	s_delay_alu instid0(VALU_DEP_1) | instskip(NEXT) | instid1(VALU_DEP_1)
	v_div_fixup_f64 v[217:218], v[217:218], v[200:201], v[202:203]
	v_fma_f64 v[200:201], v[202:203], v[217:218], v[200:201]
	s_delay_alu instid0(VALU_DEP_1) | instskip(NEXT) | instid1(VALU_DEP_1)
	v_div_scale_f64 v[202:203], null, v[200:201], v[200:201], 1.0
	v_rcp_f64_e32 v[219:220], v[202:203]
	s_waitcnt_depctr 0xfff
	v_fma_f64 v[221:222], -v[202:203], v[219:220], 1.0
	s_delay_alu instid0(VALU_DEP_1) | instskip(NEXT) | instid1(VALU_DEP_1)
	v_fma_f64 v[219:220], v[219:220], v[221:222], v[219:220]
	v_fma_f64 v[221:222], -v[202:203], v[219:220], 1.0
	s_delay_alu instid0(VALU_DEP_1) | instskip(SKIP_1) | instid1(VALU_DEP_1)
	v_fma_f64 v[219:220], v[219:220], v[221:222], v[219:220]
	v_div_scale_f64 v[221:222], vcc_lo, 1.0, v[200:201], 1.0
	v_mul_f64 v[223:224], v[221:222], v[219:220]
	s_delay_alu instid0(VALU_DEP_1) | instskip(NEXT) | instid1(VALU_DEP_1)
	v_fma_f64 v[202:203], -v[202:203], v[223:224], v[221:222]
	v_div_fmas_f64 v[202:203], v[202:203], v[219:220], v[223:224]
	s_delay_alu instid0(VALU_DEP_1) | instskip(NEXT) | instid1(VALU_DEP_1)
	v_div_fixup_f64 v[200:201], v[202:203], v[200:201], 1.0
	v_mul_f64 v[202:203], v[217:218], -v[200:201]
.LBB98_534:
	s_or_b32 exec_lo, exec_lo, s2
.LBB98_535:
	s_delay_alu instid0(SALU_CYCLE_1) | instskip(NEXT) | instid1(SALU_CYCLE_1)
	s_or_b32 exec_lo, exec_lo, s3
	s_mov_b32 s2, exec_lo
	v_cmpx_ne_u32_e64 v216, v208
	s_xor_b32 s2, exec_lo, s2
	s_cbranch_execz .LBB98_541
; %bb.536:
	s_mov_b32 s3, exec_lo
	v_cmpx_eq_u32_e32 25, v216
	s_cbranch_execz .LBB98_540
; %bb.537:
	v_cmp_ne_u32_e32 vcc_lo, 25, v208
	s_xor_b32 s6, s4, -1
	s_delay_alu instid0(SALU_CYCLE_1) | instskip(NEXT) | instid1(SALU_CYCLE_1)
	s_and_b32 s7, s6, vcc_lo
	s_and_saveexec_b32 s6, s7
	s_cbranch_execz .LBB98_539
; %bb.538:
	v_ashrrev_i32_e32 v209, 31, v208
	s_delay_alu instid0(VALU_DEP_1) | instskip(NEXT) | instid1(VALU_DEP_1)
	v_lshlrev_b64 v[215:216], 2, v[208:209]
	v_add_co_u32 v215, vcc_lo, v206, v215
	s_delay_alu instid0(VALU_DEP_2)
	v_add_co_ci_u32_e32 v216, vcc_lo, v207, v216, vcc_lo
	s_clause 0x1
	flat_load_b32 v209, v[215:216]
	flat_load_b32 v217, v[206:207] offset:100
	s_waitcnt vmcnt(1) lgkmcnt(1)
	flat_store_b32 v[206:207], v209 offset:100
	s_waitcnt vmcnt(0) lgkmcnt(1)
	flat_store_b32 v[215:216], v217
.LBB98_539:
	s_or_b32 exec_lo, exec_lo, s6
	v_mov_b32_e32 v216, v208
	v_mov_b32_e32 v215, v208
.LBB98_540:
	s_or_b32 exec_lo, exec_lo, s3
.LBB98_541:
	s_and_not1_saveexec_b32 s2, s2
	s_cbranch_execz .LBB98_543
; %bb.542:
	v_mov_b32_e32 v216, 25
	ds_store_2addr_b64 v210, v[92:93], v[94:95] offset0:52 offset1:53
	ds_store_2addr_b64 v210, v[88:89], v[90:91] offset0:54 offset1:55
	;; [unrolled: 1-line block ×24, first 2 shown]
.LBB98_543:
	s_or_b32 exec_lo, exec_lo, s2
	s_delay_alu instid0(SALU_CYCLE_1)
	s_mov_b32 s2, exec_lo
	s_waitcnt lgkmcnt(0)
	s_waitcnt_vscnt null, 0x0
	s_barrier
	buffer_gl0_inv
	v_cmpx_lt_i32_e32 25, v216
	s_cbranch_execz .LBB98_545
; %bb.544:
	v_mul_f64 v[208:209], v[202:203], v[98:99]
	v_mul_f64 v[98:99], v[200:201], v[98:99]
	s_delay_alu instid0(VALU_DEP_2) | instskip(NEXT) | instid1(VALU_DEP_2)
	v_fma_f64 v[208:209], v[200:201], v[96:97], -v[208:209]
	v_fma_f64 v[98:99], v[202:203], v[96:97], v[98:99]
	ds_load_2addr_b64 v[200:203], v210 offset0:52 offset1:53
	s_waitcnt lgkmcnt(0)
	v_mul_f64 v[96:97], v[202:203], v[98:99]
	s_delay_alu instid0(VALU_DEP_1) | instskip(SKIP_1) | instid1(VALU_DEP_2)
	v_fma_f64 v[96:97], v[200:201], v[208:209], -v[96:97]
	v_mul_f64 v[200:201], v[200:201], v[98:99]
	v_add_f64 v[92:93], v[92:93], -v[96:97]
	s_delay_alu instid0(VALU_DEP_2) | instskip(NEXT) | instid1(VALU_DEP_1)
	v_fma_f64 v[200:201], v[202:203], v[208:209], v[200:201]
	v_add_f64 v[94:95], v[94:95], -v[200:201]
	ds_load_2addr_b64 v[200:203], v210 offset0:54 offset1:55
	s_waitcnt lgkmcnt(0)
	v_mul_f64 v[96:97], v[202:203], v[98:99]
	s_delay_alu instid0(VALU_DEP_1) | instskip(SKIP_1) | instid1(VALU_DEP_2)
	v_fma_f64 v[96:97], v[200:201], v[208:209], -v[96:97]
	v_mul_f64 v[200:201], v[200:201], v[98:99]
	v_add_f64 v[88:89], v[88:89], -v[96:97]
	s_delay_alu instid0(VALU_DEP_2) | instskip(NEXT) | instid1(VALU_DEP_1)
	v_fma_f64 v[200:201], v[202:203], v[208:209], v[200:201]
	v_add_f64 v[90:91], v[90:91], -v[200:201]
	ds_load_2addr_b64 v[200:203], v210 offset0:56 offset1:57
	s_waitcnt lgkmcnt(0)
	v_mul_f64 v[96:97], v[202:203], v[98:99]
	s_delay_alu instid0(VALU_DEP_1) | instskip(SKIP_1) | instid1(VALU_DEP_2)
	v_fma_f64 v[96:97], v[200:201], v[208:209], -v[96:97]
	v_mul_f64 v[200:201], v[200:201], v[98:99]
	v_add_f64 v[84:85], v[84:85], -v[96:97]
	s_delay_alu instid0(VALU_DEP_2) | instskip(NEXT) | instid1(VALU_DEP_1)
	v_fma_f64 v[200:201], v[202:203], v[208:209], v[200:201]
	v_add_f64 v[86:87], v[86:87], -v[200:201]
	ds_load_2addr_b64 v[200:203], v210 offset0:58 offset1:59
	s_waitcnt lgkmcnt(0)
	v_mul_f64 v[96:97], v[202:203], v[98:99]
	s_delay_alu instid0(VALU_DEP_1) | instskip(SKIP_1) | instid1(VALU_DEP_2)
	v_fma_f64 v[96:97], v[200:201], v[208:209], -v[96:97]
	v_mul_f64 v[200:201], v[200:201], v[98:99]
	v_add_f64 v[80:81], v[80:81], -v[96:97]
	s_delay_alu instid0(VALU_DEP_2) | instskip(NEXT) | instid1(VALU_DEP_1)
	v_fma_f64 v[200:201], v[202:203], v[208:209], v[200:201]
	v_add_f64 v[82:83], v[82:83], -v[200:201]
	ds_load_2addr_b64 v[200:203], v210 offset0:60 offset1:61
	s_waitcnt lgkmcnt(0)
	v_mul_f64 v[96:97], v[202:203], v[98:99]
	s_delay_alu instid0(VALU_DEP_1) | instskip(SKIP_1) | instid1(VALU_DEP_2)
	v_fma_f64 v[96:97], v[200:201], v[208:209], -v[96:97]
	v_mul_f64 v[200:201], v[200:201], v[98:99]
	v_add_f64 v[76:77], v[76:77], -v[96:97]
	s_delay_alu instid0(VALU_DEP_2) | instskip(NEXT) | instid1(VALU_DEP_1)
	v_fma_f64 v[200:201], v[202:203], v[208:209], v[200:201]
	v_add_f64 v[78:79], v[78:79], -v[200:201]
	ds_load_2addr_b64 v[200:203], v210 offset0:62 offset1:63
	s_waitcnt lgkmcnt(0)
	v_mul_f64 v[96:97], v[202:203], v[98:99]
	s_delay_alu instid0(VALU_DEP_1) | instskip(SKIP_1) | instid1(VALU_DEP_2)
	v_fma_f64 v[96:97], v[200:201], v[208:209], -v[96:97]
	v_mul_f64 v[200:201], v[200:201], v[98:99]
	v_add_f64 v[72:73], v[72:73], -v[96:97]
	s_delay_alu instid0(VALU_DEP_2) | instskip(NEXT) | instid1(VALU_DEP_1)
	v_fma_f64 v[200:201], v[202:203], v[208:209], v[200:201]
	v_add_f64 v[74:75], v[74:75], -v[200:201]
	ds_load_2addr_b64 v[200:203], v210 offset0:64 offset1:65
	s_waitcnt lgkmcnt(0)
	v_mul_f64 v[96:97], v[202:203], v[98:99]
	s_delay_alu instid0(VALU_DEP_1) | instskip(SKIP_1) | instid1(VALU_DEP_2)
	v_fma_f64 v[96:97], v[200:201], v[208:209], -v[96:97]
	v_mul_f64 v[200:201], v[200:201], v[98:99]
	v_add_f64 v[68:69], v[68:69], -v[96:97]
	s_delay_alu instid0(VALU_DEP_2) | instskip(NEXT) | instid1(VALU_DEP_1)
	v_fma_f64 v[200:201], v[202:203], v[208:209], v[200:201]
	v_add_f64 v[70:71], v[70:71], -v[200:201]
	ds_load_2addr_b64 v[200:203], v210 offset0:66 offset1:67
	s_waitcnt lgkmcnt(0)
	v_mul_f64 v[96:97], v[202:203], v[98:99]
	s_delay_alu instid0(VALU_DEP_1) | instskip(SKIP_1) | instid1(VALU_DEP_2)
	v_fma_f64 v[96:97], v[200:201], v[208:209], -v[96:97]
	v_mul_f64 v[200:201], v[200:201], v[98:99]
	v_add_f64 v[64:65], v[64:65], -v[96:97]
	s_delay_alu instid0(VALU_DEP_2) | instskip(NEXT) | instid1(VALU_DEP_1)
	v_fma_f64 v[200:201], v[202:203], v[208:209], v[200:201]
	v_add_f64 v[66:67], v[66:67], -v[200:201]
	ds_load_2addr_b64 v[200:203], v210 offset0:68 offset1:69
	s_waitcnt lgkmcnt(0)
	v_mul_f64 v[96:97], v[202:203], v[98:99]
	s_delay_alu instid0(VALU_DEP_1) | instskip(SKIP_1) | instid1(VALU_DEP_2)
	v_fma_f64 v[96:97], v[200:201], v[208:209], -v[96:97]
	v_mul_f64 v[200:201], v[200:201], v[98:99]
	v_add_f64 v[60:61], v[60:61], -v[96:97]
	s_delay_alu instid0(VALU_DEP_2) | instskip(NEXT) | instid1(VALU_DEP_1)
	v_fma_f64 v[200:201], v[202:203], v[208:209], v[200:201]
	v_add_f64 v[62:63], v[62:63], -v[200:201]
	ds_load_2addr_b64 v[200:203], v210 offset0:70 offset1:71
	s_waitcnt lgkmcnt(0)
	v_mul_f64 v[96:97], v[202:203], v[98:99]
	s_delay_alu instid0(VALU_DEP_1) | instskip(SKIP_1) | instid1(VALU_DEP_2)
	v_fma_f64 v[96:97], v[200:201], v[208:209], -v[96:97]
	v_mul_f64 v[200:201], v[200:201], v[98:99]
	v_add_f64 v[56:57], v[56:57], -v[96:97]
	s_delay_alu instid0(VALU_DEP_2) | instskip(NEXT) | instid1(VALU_DEP_1)
	v_fma_f64 v[200:201], v[202:203], v[208:209], v[200:201]
	v_add_f64 v[58:59], v[58:59], -v[200:201]
	ds_load_2addr_b64 v[200:203], v210 offset0:72 offset1:73
	s_waitcnt lgkmcnt(0)
	v_mul_f64 v[96:97], v[202:203], v[98:99]
	s_delay_alu instid0(VALU_DEP_1) | instskip(SKIP_1) | instid1(VALU_DEP_2)
	v_fma_f64 v[96:97], v[200:201], v[208:209], -v[96:97]
	v_mul_f64 v[200:201], v[200:201], v[98:99]
	v_add_f64 v[52:53], v[52:53], -v[96:97]
	s_delay_alu instid0(VALU_DEP_2) | instskip(NEXT) | instid1(VALU_DEP_1)
	v_fma_f64 v[200:201], v[202:203], v[208:209], v[200:201]
	v_add_f64 v[54:55], v[54:55], -v[200:201]
	ds_load_2addr_b64 v[200:203], v210 offset0:74 offset1:75
	s_waitcnt lgkmcnt(0)
	v_mul_f64 v[96:97], v[202:203], v[98:99]
	s_delay_alu instid0(VALU_DEP_1) | instskip(SKIP_1) | instid1(VALU_DEP_2)
	v_fma_f64 v[96:97], v[200:201], v[208:209], -v[96:97]
	v_mul_f64 v[200:201], v[200:201], v[98:99]
	v_add_f64 v[48:49], v[48:49], -v[96:97]
	s_delay_alu instid0(VALU_DEP_2) | instskip(NEXT) | instid1(VALU_DEP_1)
	v_fma_f64 v[200:201], v[202:203], v[208:209], v[200:201]
	v_add_f64 v[50:51], v[50:51], -v[200:201]
	ds_load_2addr_b64 v[200:203], v210 offset0:76 offset1:77
	s_waitcnt lgkmcnt(0)
	v_mul_f64 v[96:97], v[202:203], v[98:99]
	s_delay_alu instid0(VALU_DEP_1) | instskip(SKIP_1) | instid1(VALU_DEP_2)
	v_fma_f64 v[96:97], v[200:201], v[208:209], -v[96:97]
	v_mul_f64 v[200:201], v[200:201], v[98:99]
	v_add_f64 v[44:45], v[44:45], -v[96:97]
	s_delay_alu instid0(VALU_DEP_2) | instskip(NEXT) | instid1(VALU_DEP_1)
	v_fma_f64 v[200:201], v[202:203], v[208:209], v[200:201]
	v_add_f64 v[46:47], v[46:47], -v[200:201]
	ds_load_2addr_b64 v[200:203], v210 offset0:78 offset1:79
	s_waitcnt lgkmcnt(0)
	v_mul_f64 v[96:97], v[202:203], v[98:99]
	s_delay_alu instid0(VALU_DEP_1) | instskip(SKIP_1) | instid1(VALU_DEP_2)
	v_fma_f64 v[96:97], v[200:201], v[208:209], -v[96:97]
	v_mul_f64 v[200:201], v[200:201], v[98:99]
	v_add_f64 v[40:41], v[40:41], -v[96:97]
	s_delay_alu instid0(VALU_DEP_2) | instskip(NEXT) | instid1(VALU_DEP_1)
	v_fma_f64 v[200:201], v[202:203], v[208:209], v[200:201]
	v_add_f64 v[42:43], v[42:43], -v[200:201]
	ds_load_2addr_b64 v[200:203], v210 offset0:80 offset1:81
	s_waitcnt lgkmcnt(0)
	v_mul_f64 v[96:97], v[202:203], v[98:99]
	s_delay_alu instid0(VALU_DEP_1) | instskip(SKIP_1) | instid1(VALU_DEP_2)
	v_fma_f64 v[96:97], v[200:201], v[208:209], -v[96:97]
	v_mul_f64 v[200:201], v[200:201], v[98:99]
	v_add_f64 v[36:37], v[36:37], -v[96:97]
	s_delay_alu instid0(VALU_DEP_2) | instskip(NEXT) | instid1(VALU_DEP_1)
	v_fma_f64 v[200:201], v[202:203], v[208:209], v[200:201]
	v_add_f64 v[38:39], v[38:39], -v[200:201]
	ds_load_2addr_b64 v[200:203], v210 offset0:82 offset1:83
	s_waitcnt lgkmcnt(0)
	v_mul_f64 v[96:97], v[202:203], v[98:99]
	s_delay_alu instid0(VALU_DEP_1) | instskip(SKIP_1) | instid1(VALU_DEP_2)
	v_fma_f64 v[96:97], v[200:201], v[208:209], -v[96:97]
	v_mul_f64 v[200:201], v[200:201], v[98:99]
	v_add_f64 v[32:33], v[32:33], -v[96:97]
	s_delay_alu instid0(VALU_DEP_2) | instskip(NEXT) | instid1(VALU_DEP_1)
	v_fma_f64 v[200:201], v[202:203], v[208:209], v[200:201]
	v_add_f64 v[34:35], v[34:35], -v[200:201]
	ds_load_2addr_b64 v[200:203], v210 offset0:84 offset1:85
	s_waitcnt lgkmcnt(0)
	v_mul_f64 v[96:97], v[202:203], v[98:99]
	s_delay_alu instid0(VALU_DEP_1) | instskip(SKIP_1) | instid1(VALU_DEP_2)
	v_fma_f64 v[96:97], v[200:201], v[208:209], -v[96:97]
	v_mul_f64 v[200:201], v[200:201], v[98:99]
	v_add_f64 v[28:29], v[28:29], -v[96:97]
	s_delay_alu instid0(VALU_DEP_2) | instskip(NEXT) | instid1(VALU_DEP_1)
	v_fma_f64 v[200:201], v[202:203], v[208:209], v[200:201]
	v_add_f64 v[30:31], v[30:31], -v[200:201]
	ds_load_2addr_b64 v[200:203], v210 offset0:86 offset1:87
	s_waitcnt lgkmcnt(0)
	v_mul_f64 v[96:97], v[202:203], v[98:99]
	s_delay_alu instid0(VALU_DEP_1) | instskip(SKIP_1) | instid1(VALU_DEP_2)
	v_fma_f64 v[96:97], v[200:201], v[208:209], -v[96:97]
	v_mul_f64 v[200:201], v[200:201], v[98:99]
	v_add_f64 v[24:25], v[24:25], -v[96:97]
	s_delay_alu instid0(VALU_DEP_2) | instskip(NEXT) | instid1(VALU_DEP_1)
	v_fma_f64 v[200:201], v[202:203], v[208:209], v[200:201]
	v_add_f64 v[26:27], v[26:27], -v[200:201]
	ds_load_2addr_b64 v[200:203], v210 offset0:88 offset1:89
	s_waitcnt lgkmcnt(0)
	v_mul_f64 v[96:97], v[202:203], v[98:99]
	s_delay_alu instid0(VALU_DEP_1) | instskip(SKIP_1) | instid1(VALU_DEP_2)
	v_fma_f64 v[96:97], v[200:201], v[208:209], -v[96:97]
	v_mul_f64 v[200:201], v[200:201], v[98:99]
	v_add_f64 v[20:21], v[20:21], -v[96:97]
	s_delay_alu instid0(VALU_DEP_2) | instskip(NEXT) | instid1(VALU_DEP_1)
	v_fma_f64 v[200:201], v[202:203], v[208:209], v[200:201]
	v_add_f64 v[22:23], v[22:23], -v[200:201]
	ds_load_2addr_b64 v[200:203], v210 offset0:90 offset1:91
	s_waitcnt lgkmcnt(0)
	v_mul_f64 v[96:97], v[202:203], v[98:99]
	s_delay_alu instid0(VALU_DEP_1) | instskip(SKIP_1) | instid1(VALU_DEP_2)
	v_fma_f64 v[96:97], v[200:201], v[208:209], -v[96:97]
	v_mul_f64 v[200:201], v[200:201], v[98:99]
	v_add_f64 v[16:17], v[16:17], -v[96:97]
	s_delay_alu instid0(VALU_DEP_2) | instskip(NEXT) | instid1(VALU_DEP_1)
	v_fma_f64 v[200:201], v[202:203], v[208:209], v[200:201]
	v_add_f64 v[18:19], v[18:19], -v[200:201]
	ds_load_2addr_b64 v[200:203], v210 offset0:92 offset1:93
	s_waitcnt lgkmcnt(0)
	v_mul_f64 v[96:97], v[202:203], v[98:99]
	s_delay_alu instid0(VALU_DEP_1) | instskip(SKIP_1) | instid1(VALU_DEP_2)
	v_fma_f64 v[96:97], v[200:201], v[208:209], -v[96:97]
	v_mul_f64 v[200:201], v[200:201], v[98:99]
	v_add_f64 v[12:13], v[12:13], -v[96:97]
	s_delay_alu instid0(VALU_DEP_2) | instskip(NEXT) | instid1(VALU_DEP_1)
	v_fma_f64 v[200:201], v[202:203], v[208:209], v[200:201]
	v_add_f64 v[14:15], v[14:15], -v[200:201]
	ds_load_2addr_b64 v[200:203], v210 offset0:94 offset1:95
	s_waitcnt lgkmcnt(0)
	v_mul_f64 v[96:97], v[202:203], v[98:99]
	s_delay_alu instid0(VALU_DEP_1) | instskip(SKIP_1) | instid1(VALU_DEP_2)
	v_fma_f64 v[96:97], v[200:201], v[208:209], -v[96:97]
	v_mul_f64 v[200:201], v[200:201], v[98:99]
	v_add_f64 v[8:9], v[8:9], -v[96:97]
	s_delay_alu instid0(VALU_DEP_2) | instskip(NEXT) | instid1(VALU_DEP_1)
	v_fma_f64 v[200:201], v[202:203], v[208:209], v[200:201]
	v_add_f64 v[10:11], v[10:11], -v[200:201]
	ds_load_2addr_b64 v[200:203], v210 offset0:96 offset1:97
	s_waitcnt lgkmcnt(0)
	v_mul_f64 v[96:97], v[202:203], v[98:99]
	s_delay_alu instid0(VALU_DEP_1) | instskip(SKIP_1) | instid1(VALU_DEP_2)
	v_fma_f64 v[96:97], v[200:201], v[208:209], -v[96:97]
	v_mul_f64 v[200:201], v[200:201], v[98:99]
	v_add_f64 v[4:5], v[4:5], -v[96:97]
	s_delay_alu instid0(VALU_DEP_2) | instskip(NEXT) | instid1(VALU_DEP_1)
	v_fma_f64 v[200:201], v[202:203], v[208:209], v[200:201]
	v_add_f64 v[6:7], v[6:7], -v[200:201]
	ds_load_2addr_b64 v[200:203], v210 offset0:98 offset1:99
	s_waitcnt lgkmcnt(0)
	v_mul_f64 v[96:97], v[202:203], v[98:99]
	s_delay_alu instid0(VALU_DEP_1) | instskip(SKIP_1) | instid1(VALU_DEP_2)
	v_fma_f64 v[96:97], v[200:201], v[208:209], -v[96:97]
	v_mul_f64 v[200:201], v[200:201], v[98:99]
	v_add_f64 v[0:1], v[0:1], -v[96:97]
	s_delay_alu instid0(VALU_DEP_2) | instskip(SKIP_1) | instid1(VALU_DEP_2)
	v_fma_f64 v[200:201], v[202:203], v[208:209], v[200:201]
	v_dual_mov_b32 v96, v208 :: v_dual_mov_b32 v97, v209
	v_add_f64 v[2:3], v[2:3], -v[200:201]
.LBB98_545:
	s_or_b32 exec_lo, exec_lo, s2
	v_lshl_add_u32 v200, v216, 4, v210
	s_barrier
	buffer_gl0_inv
	v_mov_b32_e32 v208, 26
	ds_store_2addr_b64 v200, v[92:93], v[94:95] offset1:1
	s_waitcnt lgkmcnt(0)
	s_barrier
	buffer_gl0_inv
	ds_load_2addr_b64 v[200:203], v210 offset0:52 offset1:53
	s_cmp_lt_i32 s5, 28
	s_cbranch_scc1 .LBB98_548
; %bb.546:
	v_add3_u32 v209, v214, 0, 0x1b0
	v_mov_b32_e32 v208, 26
	s_mov_b32 s6, 27
	s_set_inst_prefetch_distance 0x1
	.p2align	6
.LBB98_547:                             ; =>This Inner Loop Header: Depth=1
	ds_load_2addr_b64 v[217:220], v209 offset1:1
	s_waitcnt lgkmcnt(1)
	v_cmp_gt_f64_e32 vcc_lo, 0, v[200:201]
	v_xor_b32_e32 v221, 0x80000000, v201
	v_cmp_gt_f64_e64 s2, 0, v[202:203]
	v_xor_b32_e32 v223, 0x80000000, v203
	v_add_nc_u32_e32 v209, 16, v209
	s_waitcnt lgkmcnt(0)
	v_cmp_gt_f64_e64 s3, 0, v[217:218]
	v_mov_b32_e32 v225, v217
	v_dual_mov_b32 v227, v219 :: v_dual_cndmask_b32 v222, v201, v221
	v_xor_b32_e32 v221, 0x80000000, v218
	v_cndmask_b32_e64 v224, v203, v223, s2
	v_xor_b32_e32 v223, 0x80000000, v220
	s_delay_alu instid0(VALU_DEP_3) | instskip(SKIP_2) | instid1(VALU_DEP_2)
	v_cndmask_b32_e64 v226, v218, v221, s3
	v_cmp_gt_f64_e64 s3, 0, v[219:220]
	v_cndmask_b32_e32 v221, v200, v200, vcc_lo
	v_cndmask_b32_e64 v228, v220, v223, s3
	v_cndmask_b32_e64 v223, v202, v202, s2
	s_delay_alu instid0(VALU_DEP_2) | instskip(NEXT) | instid1(VALU_DEP_2)
	v_add_f64 v[225:226], v[225:226], v[227:228]
	v_add_f64 v[221:222], v[221:222], v[223:224]
	s_delay_alu instid0(VALU_DEP_1) | instskip(SKIP_4) | instid1(SALU_CYCLE_1)
	v_cmp_lt_f64_e32 vcc_lo, v[221:222], v[225:226]
	v_dual_cndmask_b32 v202, v202, v219 :: v_dual_cndmask_b32 v201, v201, v218
	v_dual_cndmask_b32 v200, v200, v217 :: v_dual_cndmask_b32 v203, v203, v220
	v_cndmask_b32_e64 v208, v208, s6, vcc_lo
	s_add_i32 s6, s6, 1
	s_cmp_lg_u32 s5, s6
	s_cbranch_scc1 .LBB98_547
.LBB98_548:
	s_set_inst_prefetch_distance 0x2
	s_waitcnt lgkmcnt(0)
	v_cmp_eq_f64_e32 vcc_lo, 0, v[200:201]
	v_cmp_eq_f64_e64 s2, 0, v[202:203]
	s_delay_alu instid0(VALU_DEP_1) | instskip(NEXT) | instid1(SALU_CYCLE_1)
	s_and_b32 s2, vcc_lo, s2
	s_and_saveexec_b32 s3, s2
	s_delay_alu instid0(SALU_CYCLE_1)
	s_xor_b32 s2, exec_lo, s3
; %bb.549:
	v_cmp_ne_u32_e32 vcc_lo, 0, v213
	v_cndmask_b32_e32 v213, 27, v213, vcc_lo
; %bb.550:
	s_and_not1_saveexec_b32 s3, s2
	s_cbranch_execz .LBB98_556
; %bb.551:
	v_cmp_gt_f64_e32 vcc_lo, 0, v[200:201]
	v_cmp_gt_f64_e64 s2, 0, v[202:203]
	v_xor_b32_e32 v209, 0x80000000, v201
	v_xor_b32_e32 v217, 0x80000000, v203
	s_delay_alu instid0(VALU_DEP_2) | instskip(NEXT) | instid1(VALU_DEP_2)
	v_cndmask_b32_e32 v218, v201, v209, vcc_lo
	v_cndmask_b32_e64 v220, v203, v217, s2
	v_cndmask_b32_e32 v217, v200, v200, vcc_lo
	v_cndmask_b32_e64 v219, v202, v202, s2
	s_mov_b32 s2, exec_lo
	s_delay_alu instid0(VALU_DEP_1)
	v_cmpx_ngt_f64_e32 v[217:218], v[219:220]
	s_xor_b32 s2, exec_lo, s2
	s_cbranch_execz .LBB98_553
; %bb.552:
	v_div_scale_f64 v[217:218], null, v[202:203], v[202:203], v[200:201]
	v_div_scale_f64 v[223:224], vcc_lo, v[200:201], v[202:203], v[200:201]
	s_delay_alu instid0(VALU_DEP_2) | instskip(SKIP_2) | instid1(VALU_DEP_1)
	v_rcp_f64_e32 v[219:220], v[217:218]
	s_waitcnt_depctr 0xfff
	v_fma_f64 v[221:222], -v[217:218], v[219:220], 1.0
	v_fma_f64 v[219:220], v[219:220], v[221:222], v[219:220]
	s_delay_alu instid0(VALU_DEP_1) | instskip(NEXT) | instid1(VALU_DEP_1)
	v_fma_f64 v[221:222], -v[217:218], v[219:220], 1.0
	v_fma_f64 v[219:220], v[219:220], v[221:222], v[219:220]
	s_delay_alu instid0(VALU_DEP_1) | instskip(NEXT) | instid1(VALU_DEP_1)
	v_mul_f64 v[221:222], v[223:224], v[219:220]
	v_fma_f64 v[217:218], -v[217:218], v[221:222], v[223:224]
	s_delay_alu instid0(VALU_DEP_1) | instskip(NEXT) | instid1(VALU_DEP_1)
	v_div_fmas_f64 v[217:218], v[217:218], v[219:220], v[221:222]
	v_div_fixup_f64 v[217:218], v[217:218], v[202:203], v[200:201]
	s_delay_alu instid0(VALU_DEP_1) | instskip(NEXT) | instid1(VALU_DEP_1)
	v_fma_f64 v[200:201], v[200:201], v[217:218], v[202:203]
	v_div_scale_f64 v[202:203], null, v[200:201], v[200:201], 1.0
	s_delay_alu instid0(VALU_DEP_1) | instskip(SKIP_2) | instid1(VALU_DEP_1)
	v_rcp_f64_e32 v[219:220], v[202:203]
	s_waitcnt_depctr 0xfff
	v_fma_f64 v[221:222], -v[202:203], v[219:220], 1.0
	v_fma_f64 v[219:220], v[219:220], v[221:222], v[219:220]
	s_delay_alu instid0(VALU_DEP_1) | instskip(NEXT) | instid1(VALU_DEP_1)
	v_fma_f64 v[221:222], -v[202:203], v[219:220], 1.0
	v_fma_f64 v[219:220], v[219:220], v[221:222], v[219:220]
	v_div_scale_f64 v[221:222], vcc_lo, 1.0, v[200:201], 1.0
	s_delay_alu instid0(VALU_DEP_1) | instskip(NEXT) | instid1(VALU_DEP_1)
	v_mul_f64 v[223:224], v[221:222], v[219:220]
	v_fma_f64 v[202:203], -v[202:203], v[223:224], v[221:222]
	s_delay_alu instid0(VALU_DEP_1) | instskip(NEXT) | instid1(VALU_DEP_1)
	v_div_fmas_f64 v[202:203], v[202:203], v[219:220], v[223:224]
	v_div_fixup_f64 v[202:203], v[202:203], v[200:201], 1.0
	s_delay_alu instid0(VALU_DEP_1)
	v_mul_f64 v[200:201], v[217:218], v[202:203]
	v_xor_b32_e32 v203, 0x80000000, v203
.LBB98_553:
	s_and_not1_saveexec_b32 s2, s2
	s_cbranch_execz .LBB98_555
; %bb.554:
	s_delay_alu instid0(VALU_DEP_1) | instskip(SKIP_1) | instid1(VALU_DEP_2)
	v_div_scale_f64 v[217:218], null, v[200:201], v[200:201], v[202:203]
	v_div_scale_f64 v[223:224], vcc_lo, v[202:203], v[200:201], v[202:203]
	v_rcp_f64_e32 v[219:220], v[217:218]
	s_waitcnt_depctr 0xfff
	v_fma_f64 v[221:222], -v[217:218], v[219:220], 1.0
	s_delay_alu instid0(VALU_DEP_1) | instskip(NEXT) | instid1(VALU_DEP_1)
	v_fma_f64 v[219:220], v[219:220], v[221:222], v[219:220]
	v_fma_f64 v[221:222], -v[217:218], v[219:220], 1.0
	s_delay_alu instid0(VALU_DEP_1) | instskip(NEXT) | instid1(VALU_DEP_1)
	v_fma_f64 v[219:220], v[219:220], v[221:222], v[219:220]
	v_mul_f64 v[221:222], v[223:224], v[219:220]
	s_delay_alu instid0(VALU_DEP_1) | instskip(NEXT) | instid1(VALU_DEP_1)
	v_fma_f64 v[217:218], -v[217:218], v[221:222], v[223:224]
	v_div_fmas_f64 v[217:218], v[217:218], v[219:220], v[221:222]
	s_delay_alu instid0(VALU_DEP_1) | instskip(NEXT) | instid1(VALU_DEP_1)
	v_div_fixup_f64 v[217:218], v[217:218], v[200:201], v[202:203]
	v_fma_f64 v[200:201], v[202:203], v[217:218], v[200:201]
	s_delay_alu instid0(VALU_DEP_1) | instskip(NEXT) | instid1(VALU_DEP_1)
	v_div_scale_f64 v[202:203], null, v[200:201], v[200:201], 1.0
	v_rcp_f64_e32 v[219:220], v[202:203]
	s_waitcnt_depctr 0xfff
	v_fma_f64 v[221:222], -v[202:203], v[219:220], 1.0
	s_delay_alu instid0(VALU_DEP_1) | instskip(NEXT) | instid1(VALU_DEP_1)
	v_fma_f64 v[219:220], v[219:220], v[221:222], v[219:220]
	v_fma_f64 v[221:222], -v[202:203], v[219:220], 1.0
	s_delay_alu instid0(VALU_DEP_1) | instskip(SKIP_1) | instid1(VALU_DEP_1)
	v_fma_f64 v[219:220], v[219:220], v[221:222], v[219:220]
	v_div_scale_f64 v[221:222], vcc_lo, 1.0, v[200:201], 1.0
	v_mul_f64 v[223:224], v[221:222], v[219:220]
	s_delay_alu instid0(VALU_DEP_1) | instskip(NEXT) | instid1(VALU_DEP_1)
	v_fma_f64 v[202:203], -v[202:203], v[223:224], v[221:222]
	v_div_fmas_f64 v[202:203], v[202:203], v[219:220], v[223:224]
	s_delay_alu instid0(VALU_DEP_1) | instskip(NEXT) | instid1(VALU_DEP_1)
	v_div_fixup_f64 v[200:201], v[202:203], v[200:201], 1.0
	v_mul_f64 v[202:203], v[217:218], -v[200:201]
.LBB98_555:
	s_or_b32 exec_lo, exec_lo, s2
.LBB98_556:
	s_delay_alu instid0(SALU_CYCLE_1) | instskip(NEXT) | instid1(SALU_CYCLE_1)
	s_or_b32 exec_lo, exec_lo, s3
	s_mov_b32 s2, exec_lo
	v_cmpx_ne_u32_e64 v216, v208
	s_xor_b32 s2, exec_lo, s2
	s_cbranch_execz .LBB98_562
; %bb.557:
	s_mov_b32 s3, exec_lo
	v_cmpx_eq_u32_e32 26, v216
	s_cbranch_execz .LBB98_561
; %bb.558:
	v_cmp_ne_u32_e32 vcc_lo, 26, v208
	s_xor_b32 s6, s4, -1
	s_delay_alu instid0(SALU_CYCLE_1) | instskip(NEXT) | instid1(SALU_CYCLE_1)
	s_and_b32 s7, s6, vcc_lo
	s_and_saveexec_b32 s6, s7
	s_cbranch_execz .LBB98_560
; %bb.559:
	v_ashrrev_i32_e32 v209, 31, v208
	s_delay_alu instid0(VALU_DEP_1) | instskip(NEXT) | instid1(VALU_DEP_1)
	v_lshlrev_b64 v[215:216], 2, v[208:209]
	v_add_co_u32 v215, vcc_lo, v206, v215
	s_delay_alu instid0(VALU_DEP_2)
	v_add_co_ci_u32_e32 v216, vcc_lo, v207, v216, vcc_lo
	s_clause 0x1
	flat_load_b32 v209, v[215:216]
	flat_load_b32 v217, v[206:207] offset:104
	s_waitcnt vmcnt(1) lgkmcnt(1)
	flat_store_b32 v[206:207], v209 offset:104
	s_waitcnt vmcnt(0) lgkmcnt(1)
	flat_store_b32 v[215:216], v217
.LBB98_560:
	s_or_b32 exec_lo, exec_lo, s6
	v_mov_b32_e32 v216, v208
	v_mov_b32_e32 v215, v208
.LBB98_561:
	s_or_b32 exec_lo, exec_lo, s3
.LBB98_562:
	s_and_not1_saveexec_b32 s2, s2
	s_cbranch_execz .LBB98_564
; %bb.563:
	v_mov_b32_e32 v216, 26
	ds_store_2addr_b64 v210, v[88:89], v[90:91] offset0:54 offset1:55
	ds_store_2addr_b64 v210, v[84:85], v[86:87] offset0:56 offset1:57
	ds_store_2addr_b64 v210, v[80:81], v[82:83] offset0:58 offset1:59
	ds_store_2addr_b64 v210, v[76:77], v[78:79] offset0:60 offset1:61
	ds_store_2addr_b64 v210, v[72:73], v[74:75] offset0:62 offset1:63
	ds_store_2addr_b64 v210, v[68:69], v[70:71] offset0:64 offset1:65
	ds_store_2addr_b64 v210, v[64:65], v[66:67] offset0:66 offset1:67
	ds_store_2addr_b64 v210, v[60:61], v[62:63] offset0:68 offset1:69
	ds_store_2addr_b64 v210, v[56:57], v[58:59] offset0:70 offset1:71
	ds_store_2addr_b64 v210, v[52:53], v[54:55] offset0:72 offset1:73
	ds_store_2addr_b64 v210, v[48:49], v[50:51] offset0:74 offset1:75
	ds_store_2addr_b64 v210, v[44:45], v[46:47] offset0:76 offset1:77
	ds_store_2addr_b64 v210, v[40:41], v[42:43] offset0:78 offset1:79
	ds_store_2addr_b64 v210, v[36:37], v[38:39] offset0:80 offset1:81
	ds_store_2addr_b64 v210, v[32:33], v[34:35] offset0:82 offset1:83
	ds_store_2addr_b64 v210, v[28:29], v[30:31] offset0:84 offset1:85
	ds_store_2addr_b64 v210, v[24:25], v[26:27] offset0:86 offset1:87
	ds_store_2addr_b64 v210, v[20:21], v[22:23] offset0:88 offset1:89
	ds_store_2addr_b64 v210, v[16:17], v[18:19] offset0:90 offset1:91
	ds_store_2addr_b64 v210, v[12:13], v[14:15] offset0:92 offset1:93
	ds_store_2addr_b64 v210, v[8:9], v[10:11] offset0:94 offset1:95
	ds_store_2addr_b64 v210, v[4:5], v[6:7] offset0:96 offset1:97
	ds_store_2addr_b64 v210, v[0:1], v[2:3] offset0:98 offset1:99
.LBB98_564:
	s_or_b32 exec_lo, exec_lo, s2
	s_delay_alu instid0(SALU_CYCLE_1)
	s_mov_b32 s2, exec_lo
	s_waitcnt lgkmcnt(0)
	s_waitcnt_vscnt null, 0x0
	s_barrier
	buffer_gl0_inv
	v_cmpx_lt_i32_e32 26, v216
	s_cbranch_execz .LBB98_566
; %bb.565:
	v_mul_f64 v[208:209], v[202:203], v[94:95]
	v_mul_f64 v[94:95], v[200:201], v[94:95]
	s_delay_alu instid0(VALU_DEP_2) | instskip(NEXT) | instid1(VALU_DEP_2)
	v_fma_f64 v[208:209], v[200:201], v[92:93], -v[208:209]
	v_fma_f64 v[94:95], v[202:203], v[92:93], v[94:95]
	ds_load_2addr_b64 v[200:203], v210 offset0:54 offset1:55
	s_waitcnt lgkmcnt(0)
	v_mul_f64 v[92:93], v[202:203], v[94:95]
	s_delay_alu instid0(VALU_DEP_1) | instskip(SKIP_1) | instid1(VALU_DEP_2)
	v_fma_f64 v[92:93], v[200:201], v[208:209], -v[92:93]
	v_mul_f64 v[200:201], v[200:201], v[94:95]
	v_add_f64 v[88:89], v[88:89], -v[92:93]
	s_delay_alu instid0(VALU_DEP_2) | instskip(NEXT) | instid1(VALU_DEP_1)
	v_fma_f64 v[200:201], v[202:203], v[208:209], v[200:201]
	v_add_f64 v[90:91], v[90:91], -v[200:201]
	ds_load_2addr_b64 v[200:203], v210 offset0:56 offset1:57
	s_waitcnt lgkmcnt(0)
	v_mul_f64 v[92:93], v[202:203], v[94:95]
	s_delay_alu instid0(VALU_DEP_1) | instskip(SKIP_1) | instid1(VALU_DEP_2)
	v_fma_f64 v[92:93], v[200:201], v[208:209], -v[92:93]
	v_mul_f64 v[200:201], v[200:201], v[94:95]
	v_add_f64 v[84:85], v[84:85], -v[92:93]
	s_delay_alu instid0(VALU_DEP_2) | instskip(NEXT) | instid1(VALU_DEP_1)
	v_fma_f64 v[200:201], v[202:203], v[208:209], v[200:201]
	v_add_f64 v[86:87], v[86:87], -v[200:201]
	;; [unrolled: 10-line block ×22, first 2 shown]
	ds_load_2addr_b64 v[200:203], v210 offset0:98 offset1:99
	s_waitcnt lgkmcnt(0)
	v_mul_f64 v[92:93], v[202:203], v[94:95]
	s_delay_alu instid0(VALU_DEP_1) | instskip(SKIP_1) | instid1(VALU_DEP_2)
	v_fma_f64 v[92:93], v[200:201], v[208:209], -v[92:93]
	v_mul_f64 v[200:201], v[200:201], v[94:95]
	v_add_f64 v[0:1], v[0:1], -v[92:93]
	s_delay_alu instid0(VALU_DEP_2) | instskip(SKIP_1) | instid1(VALU_DEP_2)
	v_fma_f64 v[200:201], v[202:203], v[208:209], v[200:201]
	v_dual_mov_b32 v92, v208 :: v_dual_mov_b32 v93, v209
	v_add_f64 v[2:3], v[2:3], -v[200:201]
.LBB98_566:
	s_or_b32 exec_lo, exec_lo, s2
	v_lshl_add_u32 v200, v216, 4, v210
	s_barrier
	buffer_gl0_inv
	v_mov_b32_e32 v208, 27
	ds_store_2addr_b64 v200, v[88:89], v[90:91] offset1:1
	s_waitcnt lgkmcnt(0)
	s_barrier
	buffer_gl0_inv
	ds_load_2addr_b64 v[200:203], v210 offset0:54 offset1:55
	s_cmp_lt_i32 s5, 29
	s_cbranch_scc1 .LBB98_569
; %bb.567:
	v_add3_u32 v209, v214, 0, 0x1c0
	v_mov_b32_e32 v208, 27
	s_mov_b32 s6, 28
	s_set_inst_prefetch_distance 0x1
	.p2align	6
.LBB98_568:                             ; =>This Inner Loop Header: Depth=1
	ds_load_2addr_b64 v[217:220], v209 offset1:1
	s_waitcnt lgkmcnt(1)
	v_cmp_gt_f64_e32 vcc_lo, 0, v[200:201]
	v_xor_b32_e32 v221, 0x80000000, v201
	v_cmp_gt_f64_e64 s2, 0, v[202:203]
	v_xor_b32_e32 v223, 0x80000000, v203
	v_add_nc_u32_e32 v209, 16, v209
	s_waitcnt lgkmcnt(0)
	v_cmp_gt_f64_e64 s3, 0, v[217:218]
	v_mov_b32_e32 v225, v217
	v_dual_mov_b32 v227, v219 :: v_dual_cndmask_b32 v222, v201, v221
	v_xor_b32_e32 v221, 0x80000000, v218
	v_cndmask_b32_e64 v224, v203, v223, s2
	v_xor_b32_e32 v223, 0x80000000, v220
	s_delay_alu instid0(VALU_DEP_3) | instskip(SKIP_2) | instid1(VALU_DEP_2)
	v_cndmask_b32_e64 v226, v218, v221, s3
	v_cmp_gt_f64_e64 s3, 0, v[219:220]
	v_cndmask_b32_e32 v221, v200, v200, vcc_lo
	v_cndmask_b32_e64 v228, v220, v223, s3
	v_cndmask_b32_e64 v223, v202, v202, s2
	s_delay_alu instid0(VALU_DEP_2) | instskip(NEXT) | instid1(VALU_DEP_2)
	v_add_f64 v[225:226], v[225:226], v[227:228]
	v_add_f64 v[221:222], v[221:222], v[223:224]
	s_delay_alu instid0(VALU_DEP_1) | instskip(SKIP_4) | instid1(SALU_CYCLE_1)
	v_cmp_lt_f64_e32 vcc_lo, v[221:222], v[225:226]
	v_dual_cndmask_b32 v202, v202, v219 :: v_dual_cndmask_b32 v201, v201, v218
	v_dual_cndmask_b32 v200, v200, v217 :: v_dual_cndmask_b32 v203, v203, v220
	v_cndmask_b32_e64 v208, v208, s6, vcc_lo
	s_add_i32 s6, s6, 1
	s_cmp_lg_u32 s5, s6
	s_cbranch_scc1 .LBB98_568
.LBB98_569:
	s_set_inst_prefetch_distance 0x2
	s_waitcnt lgkmcnt(0)
	v_cmp_eq_f64_e32 vcc_lo, 0, v[200:201]
	v_cmp_eq_f64_e64 s2, 0, v[202:203]
	s_delay_alu instid0(VALU_DEP_1) | instskip(NEXT) | instid1(SALU_CYCLE_1)
	s_and_b32 s2, vcc_lo, s2
	s_and_saveexec_b32 s3, s2
	s_delay_alu instid0(SALU_CYCLE_1)
	s_xor_b32 s2, exec_lo, s3
; %bb.570:
	v_cmp_ne_u32_e32 vcc_lo, 0, v213
	v_cndmask_b32_e32 v213, 28, v213, vcc_lo
; %bb.571:
	s_and_not1_saveexec_b32 s3, s2
	s_cbranch_execz .LBB98_577
; %bb.572:
	v_cmp_gt_f64_e32 vcc_lo, 0, v[200:201]
	v_cmp_gt_f64_e64 s2, 0, v[202:203]
	v_xor_b32_e32 v209, 0x80000000, v201
	v_xor_b32_e32 v217, 0x80000000, v203
	s_delay_alu instid0(VALU_DEP_2) | instskip(NEXT) | instid1(VALU_DEP_2)
	v_cndmask_b32_e32 v218, v201, v209, vcc_lo
	v_cndmask_b32_e64 v220, v203, v217, s2
	v_cndmask_b32_e32 v217, v200, v200, vcc_lo
	v_cndmask_b32_e64 v219, v202, v202, s2
	s_mov_b32 s2, exec_lo
	s_delay_alu instid0(VALU_DEP_1)
	v_cmpx_ngt_f64_e32 v[217:218], v[219:220]
	s_xor_b32 s2, exec_lo, s2
	s_cbranch_execz .LBB98_574
; %bb.573:
	v_div_scale_f64 v[217:218], null, v[202:203], v[202:203], v[200:201]
	v_div_scale_f64 v[223:224], vcc_lo, v[200:201], v[202:203], v[200:201]
	s_delay_alu instid0(VALU_DEP_2) | instskip(SKIP_2) | instid1(VALU_DEP_1)
	v_rcp_f64_e32 v[219:220], v[217:218]
	s_waitcnt_depctr 0xfff
	v_fma_f64 v[221:222], -v[217:218], v[219:220], 1.0
	v_fma_f64 v[219:220], v[219:220], v[221:222], v[219:220]
	s_delay_alu instid0(VALU_DEP_1) | instskip(NEXT) | instid1(VALU_DEP_1)
	v_fma_f64 v[221:222], -v[217:218], v[219:220], 1.0
	v_fma_f64 v[219:220], v[219:220], v[221:222], v[219:220]
	s_delay_alu instid0(VALU_DEP_1) | instskip(NEXT) | instid1(VALU_DEP_1)
	v_mul_f64 v[221:222], v[223:224], v[219:220]
	v_fma_f64 v[217:218], -v[217:218], v[221:222], v[223:224]
	s_delay_alu instid0(VALU_DEP_1) | instskip(NEXT) | instid1(VALU_DEP_1)
	v_div_fmas_f64 v[217:218], v[217:218], v[219:220], v[221:222]
	v_div_fixup_f64 v[217:218], v[217:218], v[202:203], v[200:201]
	s_delay_alu instid0(VALU_DEP_1) | instskip(NEXT) | instid1(VALU_DEP_1)
	v_fma_f64 v[200:201], v[200:201], v[217:218], v[202:203]
	v_div_scale_f64 v[202:203], null, v[200:201], v[200:201], 1.0
	s_delay_alu instid0(VALU_DEP_1) | instskip(SKIP_2) | instid1(VALU_DEP_1)
	v_rcp_f64_e32 v[219:220], v[202:203]
	s_waitcnt_depctr 0xfff
	v_fma_f64 v[221:222], -v[202:203], v[219:220], 1.0
	v_fma_f64 v[219:220], v[219:220], v[221:222], v[219:220]
	s_delay_alu instid0(VALU_DEP_1) | instskip(NEXT) | instid1(VALU_DEP_1)
	v_fma_f64 v[221:222], -v[202:203], v[219:220], 1.0
	v_fma_f64 v[219:220], v[219:220], v[221:222], v[219:220]
	v_div_scale_f64 v[221:222], vcc_lo, 1.0, v[200:201], 1.0
	s_delay_alu instid0(VALU_DEP_1) | instskip(NEXT) | instid1(VALU_DEP_1)
	v_mul_f64 v[223:224], v[221:222], v[219:220]
	v_fma_f64 v[202:203], -v[202:203], v[223:224], v[221:222]
	s_delay_alu instid0(VALU_DEP_1) | instskip(NEXT) | instid1(VALU_DEP_1)
	v_div_fmas_f64 v[202:203], v[202:203], v[219:220], v[223:224]
	v_div_fixup_f64 v[202:203], v[202:203], v[200:201], 1.0
	s_delay_alu instid0(VALU_DEP_1)
	v_mul_f64 v[200:201], v[217:218], v[202:203]
	v_xor_b32_e32 v203, 0x80000000, v203
.LBB98_574:
	s_and_not1_saveexec_b32 s2, s2
	s_cbranch_execz .LBB98_576
; %bb.575:
	s_delay_alu instid0(VALU_DEP_1) | instskip(SKIP_1) | instid1(VALU_DEP_2)
	v_div_scale_f64 v[217:218], null, v[200:201], v[200:201], v[202:203]
	v_div_scale_f64 v[223:224], vcc_lo, v[202:203], v[200:201], v[202:203]
	v_rcp_f64_e32 v[219:220], v[217:218]
	s_waitcnt_depctr 0xfff
	v_fma_f64 v[221:222], -v[217:218], v[219:220], 1.0
	s_delay_alu instid0(VALU_DEP_1) | instskip(NEXT) | instid1(VALU_DEP_1)
	v_fma_f64 v[219:220], v[219:220], v[221:222], v[219:220]
	v_fma_f64 v[221:222], -v[217:218], v[219:220], 1.0
	s_delay_alu instid0(VALU_DEP_1) | instskip(NEXT) | instid1(VALU_DEP_1)
	v_fma_f64 v[219:220], v[219:220], v[221:222], v[219:220]
	v_mul_f64 v[221:222], v[223:224], v[219:220]
	s_delay_alu instid0(VALU_DEP_1) | instskip(NEXT) | instid1(VALU_DEP_1)
	v_fma_f64 v[217:218], -v[217:218], v[221:222], v[223:224]
	v_div_fmas_f64 v[217:218], v[217:218], v[219:220], v[221:222]
	s_delay_alu instid0(VALU_DEP_1) | instskip(NEXT) | instid1(VALU_DEP_1)
	v_div_fixup_f64 v[217:218], v[217:218], v[200:201], v[202:203]
	v_fma_f64 v[200:201], v[202:203], v[217:218], v[200:201]
	s_delay_alu instid0(VALU_DEP_1) | instskip(NEXT) | instid1(VALU_DEP_1)
	v_div_scale_f64 v[202:203], null, v[200:201], v[200:201], 1.0
	v_rcp_f64_e32 v[219:220], v[202:203]
	s_waitcnt_depctr 0xfff
	v_fma_f64 v[221:222], -v[202:203], v[219:220], 1.0
	s_delay_alu instid0(VALU_DEP_1) | instskip(NEXT) | instid1(VALU_DEP_1)
	v_fma_f64 v[219:220], v[219:220], v[221:222], v[219:220]
	v_fma_f64 v[221:222], -v[202:203], v[219:220], 1.0
	s_delay_alu instid0(VALU_DEP_1) | instskip(SKIP_1) | instid1(VALU_DEP_1)
	v_fma_f64 v[219:220], v[219:220], v[221:222], v[219:220]
	v_div_scale_f64 v[221:222], vcc_lo, 1.0, v[200:201], 1.0
	v_mul_f64 v[223:224], v[221:222], v[219:220]
	s_delay_alu instid0(VALU_DEP_1) | instskip(NEXT) | instid1(VALU_DEP_1)
	v_fma_f64 v[202:203], -v[202:203], v[223:224], v[221:222]
	v_div_fmas_f64 v[202:203], v[202:203], v[219:220], v[223:224]
	s_delay_alu instid0(VALU_DEP_1) | instskip(NEXT) | instid1(VALU_DEP_1)
	v_div_fixup_f64 v[200:201], v[202:203], v[200:201], 1.0
	v_mul_f64 v[202:203], v[217:218], -v[200:201]
.LBB98_576:
	s_or_b32 exec_lo, exec_lo, s2
.LBB98_577:
	s_delay_alu instid0(SALU_CYCLE_1) | instskip(NEXT) | instid1(SALU_CYCLE_1)
	s_or_b32 exec_lo, exec_lo, s3
	s_mov_b32 s2, exec_lo
	v_cmpx_ne_u32_e64 v216, v208
	s_xor_b32 s2, exec_lo, s2
	s_cbranch_execz .LBB98_583
; %bb.578:
	s_mov_b32 s3, exec_lo
	v_cmpx_eq_u32_e32 27, v216
	s_cbranch_execz .LBB98_582
; %bb.579:
	v_cmp_ne_u32_e32 vcc_lo, 27, v208
	s_xor_b32 s6, s4, -1
	s_delay_alu instid0(SALU_CYCLE_1) | instskip(NEXT) | instid1(SALU_CYCLE_1)
	s_and_b32 s7, s6, vcc_lo
	s_and_saveexec_b32 s6, s7
	s_cbranch_execz .LBB98_581
; %bb.580:
	v_ashrrev_i32_e32 v209, 31, v208
	s_delay_alu instid0(VALU_DEP_1) | instskip(NEXT) | instid1(VALU_DEP_1)
	v_lshlrev_b64 v[215:216], 2, v[208:209]
	v_add_co_u32 v215, vcc_lo, v206, v215
	s_delay_alu instid0(VALU_DEP_2)
	v_add_co_ci_u32_e32 v216, vcc_lo, v207, v216, vcc_lo
	s_clause 0x1
	flat_load_b32 v209, v[215:216]
	flat_load_b32 v217, v[206:207] offset:108
	s_waitcnt vmcnt(1) lgkmcnt(1)
	flat_store_b32 v[206:207], v209 offset:108
	s_waitcnt vmcnt(0) lgkmcnt(1)
	flat_store_b32 v[215:216], v217
.LBB98_581:
	s_or_b32 exec_lo, exec_lo, s6
	v_mov_b32_e32 v216, v208
	v_mov_b32_e32 v215, v208
.LBB98_582:
	s_or_b32 exec_lo, exec_lo, s3
.LBB98_583:
	s_and_not1_saveexec_b32 s2, s2
	s_cbranch_execz .LBB98_585
; %bb.584:
	v_mov_b32_e32 v216, 27
	ds_store_2addr_b64 v210, v[84:85], v[86:87] offset0:56 offset1:57
	ds_store_2addr_b64 v210, v[80:81], v[82:83] offset0:58 offset1:59
	ds_store_2addr_b64 v210, v[76:77], v[78:79] offset0:60 offset1:61
	ds_store_2addr_b64 v210, v[72:73], v[74:75] offset0:62 offset1:63
	ds_store_2addr_b64 v210, v[68:69], v[70:71] offset0:64 offset1:65
	ds_store_2addr_b64 v210, v[64:65], v[66:67] offset0:66 offset1:67
	ds_store_2addr_b64 v210, v[60:61], v[62:63] offset0:68 offset1:69
	ds_store_2addr_b64 v210, v[56:57], v[58:59] offset0:70 offset1:71
	ds_store_2addr_b64 v210, v[52:53], v[54:55] offset0:72 offset1:73
	ds_store_2addr_b64 v210, v[48:49], v[50:51] offset0:74 offset1:75
	ds_store_2addr_b64 v210, v[44:45], v[46:47] offset0:76 offset1:77
	ds_store_2addr_b64 v210, v[40:41], v[42:43] offset0:78 offset1:79
	ds_store_2addr_b64 v210, v[36:37], v[38:39] offset0:80 offset1:81
	ds_store_2addr_b64 v210, v[32:33], v[34:35] offset0:82 offset1:83
	ds_store_2addr_b64 v210, v[28:29], v[30:31] offset0:84 offset1:85
	ds_store_2addr_b64 v210, v[24:25], v[26:27] offset0:86 offset1:87
	ds_store_2addr_b64 v210, v[20:21], v[22:23] offset0:88 offset1:89
	ds_store_2addr_b64 v210, v[16:17], v[18:19] offset0:90 offset1:91
	ds_store_2addr_b64 v210, v[12:13], v[14:15] offset0:92 offset1:93
	ds_store_2addr_b64 v210, v[8:9], v[10:11] offset0:94 offset1:95
	ds_store_2addr_b64 v210, v[4:5], v[6:7] offset0:96 offset1:97
	ds_store_2addr_b64 v210, v[0:1], v[2:3] offset0:98 offset1:99
.LBB98_585:
	s_or_b32 exec_lo, exec_lo, s2
	s_delay_alu instid0(SALU_CYCLE_1)
	s_mov_b32 s2, exec_lo
	s_waitcnt lgkmcnt(0)
	s_waitcnt_vscnt null, 0x0
	s_barrier
	buffer_gl0_inv
	v_cmpx_lt_i32_e32 27, v216
	s_cbranch_execz .LBB98_587
; %bb.586:
	v_mul_f64 v[208:209], v[202:203], v[90:91]
	v_mul_f64 v[90:91], v[200:201], v[90:91]
	s_delay_alu instid0(VALU_DEP_2) | instskip(NEXT) | instid1(VALU_DEP_2)
	v_fma_f64 v[208:209], v[200:201], v[88:89], -v[208:209]
	v_fma_f64 v[90:91], v[202:203], v[88:89], v[90:91]
	ds_load_2addr_b64 v[200:203], v210 offset0:56 offset1:57
	s_waitcnt lgkmcnt(0)
	v_mul_f64 v[88:89], v[202:203], v[90:91]
	s_delay_alu instid0(VALU_DEP_1) | instskip(SKIP_1) | instid1(VALU_DEP_2)
	v_fma_f64 v[88:89], v[200:201], v[208:209], -v[88:89]
	v_mul_f64 v[200:201], v[200:201], v[90:91]
	v_add_f64 v[84:85], v[84:85], -v[88:89]
	s_delay_alu instid0(VALU_DEP_2) | instskip(NEXT) | instid1(VALU_DEP_1)
	v_fma_f64 v[200:201], v[202:203], v[208:209], v[200:201]
	v_add_f64 v[86:87], v[86:87], -v[200:201]
	ds_load_2addr_b64 v[200:203], v210 offset0:58 offset1:59
	s_waitcnt lgkmcnt(0)
	v_mul_f64 v[88:89], v[202:203], v[90:91]
	s_delay_alu instid0(VALU_DEP_1) | instskip(SKIP_1) | instid1(VALU_DEP_2)
	v_fma_f64 v[88:89], v[200:201], v[208:209], -v[88:89]
	v_mul_f64 v[200:201], v[200:201], v[90:91]
	v_add_f64 v[80:81], v[80:81], -v[88:89]
	s_delay_alu instid0(VALU_DEP_2) | instskip(NEXT) | instid1(VALU_DEP_1)
	v_fma_f64 v[200:201], v[202:203], v[208:209], v[200:201]
	v_add_f64 v[82:83], v[82:83], -v[200:201]
	;; [unrolled: 10-line block ×21, first 2 shown]
	ds_load_2addr_b64 v[200:203], v210 offset0:98 offset1:99
	s_waitcnt lgkmcnt(0)
	v_mul_f64 v[88:89], v[202:203], v[90:91]
	s_delay_alu instid0(VALU_DEP_1) | instskip(SKIP_1) | instid1(VALU_DEP_2)
	v_fma_f64 v[88:89], v[200:201], v[208:209], -v[88:89]
	v_mul_f64 v[200:201], v[200:201], v[90:91]
	v_add_f64 v[0:1], v[0:1], -v[88:89]
	s_delay_alu instid0(VALU_DEP_2) | instskip(SKIP_1) | instid1(VALU_DEP_2)
	v_fma_f64 v[200:201], v[202:203], v[208:209], v[200:201]
	v_dual_mov_b32 v88, v208 :: v_dual_mov_b32 v89, v209
	v_add_f64 v[2:3], v[2:3], -v[200:201]
.LBB98_587:
	s_or_b32 exec_lo, exec_lo, s2
	v_lshl_add_u32 v200, v216, 4, v210
	s_barrier
	buffer_gl0_inv
	v_mov_b32_e32 v208, 28
	ds_store_2addr_b64 v200, v[84:85], v[86:87] offset1:1
	s_waitcnt lgkmcnt(0)
	s_barrier
	buffer_gl0_inv
	ds_load_2addr_b64 v[200:203], v210 offset0:56 offset1:57
	s_cmp_lt_i32 s5, 30
	s_cbranch_scc1 .LBB98_590
; %bb.588:
	v_add3_u32 v209, v214, 0, 0x1d0
	v_mov_b32_e32 v208, 28
	s_mov_b32 s6, 29
	s_set_inst_prefetch_distance 0x1
	.p2align	6
.LBB98_589:                             ; =>This Inner Loop Header: Depth=1
	ds_load_2addr_b64 v[217:220], v209 offset1:1
	s_waitcnt lgkmcnt(1)
	v_cmp_gt_f64_e32 vcc_lo, 0, v[200:201]
	v_xor_b32_e32 v221, 0x80000000, v201
	v_cmp_gt_f64_e64 s2, 0, v[202:203]
	v_xor_b32_e32 v223, 0x80000000, v203
	v_add_nc_u32_e32 v209, 16, v209
	s_waitcnt lgkmcnt(0)
	v_cmp_gt_f64_e64 s3, 0, v[217:218]
	v_mov_b32_e32 v225, v217
	v_dual_mov_b32 v227, v219 :: v_dual_cndmask_b32 v222, v201, v221
	v_xor_b32_e32 v221, 0x80000000, v218
	v_cndmask_b32_e64 v224, v203, v223, s2
	v_xor_b32_e32 v223, 0x80000000, v220
	s_delay_alu instid0(VALU_DEP_3) | instskip(SKIP_2) | instid1(VALU_DEP_2)
	v_cndmask_b32_e64 v226, v218, v221, s3
	v_cmp_gt_f64_e64 s3, 0, v[219:220]
	v_cndmask_b32_e32 v221, v200, v200, vcc_lo
	v_cndmask_b32_e64 v228, v220, v223, s3
	v_cndmask_b32_e64 v223, v202, v202, s2
	s_delay_alu instid0(VALU_DEP_2) | instskip(NEXT) | instid1(VALU_DEP_2)
	v_add_f64 v[225:226], v[225:226], v[227:228]
	v_add_f64 v[221:222], v[221:222], v[223:224]
	s_delay_alu instid0(VALU_DEP_1) | instskip(SKIP_4) | instid1(SALU_CYCLE_1)
	v_cmp_lt_f64_e32 vcc_lo, v[221:222], v[225:226]
	v_dual_cndmask_b32 v202, v202, v219 :: v_dual_cndmask_b32 v201, v201, v218
	v_dual_cndmask_b32 v200, v200, v217 :: v_dual_cndmask_b32 v203, v203, v220
	v_cndmask_b32_e64 v208, v208, s6, vcc_lo
	s_add_i32 s6, s6, 1
	s_cmp_lg_u32 s5, s6
	s_cbranch_scc1 .LBB98_589
.LBB98_590:
	s_set_inst_prefetch_distance 0x2
	s_waitcnt lgkmcnt(0)
	v_cmp_eq_f64_e32 vcc_lo, 0, v[200:201]
	v_cmp_eq_f64_e64 s2, 0, v[202:203]
	s_delay_alu instid0(VALU_DEP_1) | instskip(NEXT) | instid1(SALU_CYCLE_1)
	s_and_b32 s2, vcc_lo, s2
	s_and_saveexec_b32 s3, s2
	s_delay_alu instid0(SALU_CYCLE_1)
	s_xor_b32 s2, exec_lo, s3
; %bb.591:
	v_cmp_ne_u32_e32 vcc_lo, 0, v213
	v_cndmask_b32_e32 v213, 29, v213, vcc_lo
; %bb.592:
	s_and_not1_saveexec_b32 s3, s2
	s_cbranch_execz .LBB98_598
; %bb.593:
	v_cmp_gt_f64_e32 vcc_lo, 0, v[200:201]
	v_cmp_gt_f64_e64 s2, 0, v[202:203]
	v_xor_b32_e32 v209, 0x80000000, v201
	v_xor_b32_e32 v217, 0x80000000, v203
	s_delay_alu instid0(VALU_DEP_2) | instskip(NEXT) | instid1(VALU_DEP_2)
	v_cndmask_b32_e32 v218, v201, v209, vcc_lo
	v_cndmask_b32_e64 v220, v203, v217, s2
	v_cndmask_b32_e32 v217, v200, v200, vcc_lo
	v_cndmask_b32_e64 v219, v202, v202, s2
	s_mov_b32 s2, exec_lo
	s_delay_alu instid0(VALU_DEP_1)
	v_cmpx_ngt_f64_e32 v[217:218], v[219:220]
	s_xor_b32 s2, exec_lo, s2
	s_cbranch_execz .LBB98_595
; %bb.594:
	v_div_scale_f64 v[217:218], null, v[202:203], v[202:203], v[200:201]
	v_div_scale_f64 v[223:224], vcc_lo, v[200:201], v[202:203], v[200:201]
	s_delay_alu instid0(VALU_DEP_2) | instskip(SKIP_2) | instid1(VALU_DEP_1)
	v_rcp_f64_e32 v[219:220], v[217:218]
	s_waitcnt_depctr 0xfff
	v_fma_f64 v[221:222], -v[217:218], v[219:220], 1.0
	v_fma_f64 v[219:220], v[219:220], v[221:222], v[219:220]
	s_delay_alu instid0(VALU_DEP_1) | instskip(NEXT) | instid1(VALU_DEP_1)
	v_fma_f64 v[221:222], -v[217:218], v[219:220], 1.0
	v_fma_f64 v[219:220], v[219:220], v[221:222], v[219:220]
	s_delay_alu instid0(VALU_DEP_1) | instskip(NEXT) | instid1(VALU_DEP_1)
	v_mul_f64 v[221:222], v[223:224], v[219:220]
	v_fma_f64 v[217:218], -v[217:218], v[221:222], v[223:224]
	s_delay_alu instid0(VALU_DEP_1) | instskip(NEXT) | instid1(VALU_DEP_1)
	v_div_fmas_f64 v[217:218], v[217:218], v[219:220], v[221:222]
	v_div_fixup_f64 v[217:218], v[217:218], v[202:203], v[200:201]
	s_delay_alu instid0(VALU_DEP_1) | instskip(NEXT) | instid1(VALU_DEP_1)
	v_fma_f64 v[200:201], v[200:201], v[217:218], v[202:203]
	v_div_scale_f64 v[202:203], null, v[200:201], v[200:201], 1.0
	s_delay_alu instid0(VALU_DEP_1) | instskip(SKIP_2) | instid1(VALU_DEP_1)
	v_rcp_f64_e32 v[219:220], v[202:203]
	s_waitcnt_depctr 0xfff
	v_fma_f64 v[221:222], -v[202:203], v[219:220], 1.0
	v_fma_f64 v[219:220], v[219:220], v[221:222], v[219:220]
	s_delay_alu instid0(VALU_DEP_1) | instskip(NEXT) | instid1(VALU_DEP_1)
	v_fma_f64 v[221:222], -v[202:203], v[219:220], 1.0
	v_fma_f64 v[219:220], v[219:220], v[221:222], v[219:220]
	v_div_scale_f64 v[221:222], vcc_lo, 1.0, v[200:201], 1.0
	s_delay_alu instid0(VALU_DEP_1) | instskip(NEXT) | instid1(VALU_DEP_1)
	v_mul_f64 v[223:224], v[221:222], v[219:220]
	v_fma_f64 v[202:203], -v[202:203], v[223:224], v[221:222]
	s_delay_alu instid0(VALU_DEP_1) | instskip(NEXT) | instid1(VALU_DEP_1)
	v_div_fmas_f64 v[202:203], v[202:203], v[219:220], v[223:224]
	v_div_fixup_f64 v[202:203], v[202:203], v[200:201], 1.0
	s_delay_alu instid0(VALU_DEP_1)
	v_mul_f64 v[200:201], v[217:218], v[202:203]
	v_xor_b32_e32 v203, 0x80000000, v203
.LBB98_595:
	s_and_not1_saveexec_b32 s2, s2
	s_cbranch_execz .LBB98_597
; %bb.596:
	s_delay_alu instid0(VALU_DEP_1) | instskip(SKIP_1) | instid1(VALU_DEP_2)
	v_div_scale_f64 v[217:218], null, v[200:201], v[200:201], v[202:203]
	v_div_scale_f64 v[223:224], vcc_lo, v[202:203], v[200:201], v[202:203]
	v_rcp_f64_e32 v[219:220], v[217:218]
	s_waitcnt_depctr 0xfff
	v_fma_f64 v[221:222], -v[217:218], v[219:220], 1.0
	s_delay_alu instid0(VALU_DEP_1) | instskip(NEXT) | instid1(VALU_DEP_1)
	v_fma_f64 v[219:220], v[219:220], v[221:222], v[219:220]
	v_fma_f64 v[221:222], -v[217:218], v[219:220], 1.0
	s_delay_alu instid0(VALU_DEP_1) | instskip(NEXT) | instid1(VALU_DEP_1)
	v_fma_f64 v[219:220], v[219:220], v[221:222], v[219:220]
	v_mul_f64 v[221:222], v[223:224], v[219:220]
	s_delay_alu instid0(VALU_DEP_1) | instskip(NEXT) | instid1(VALU_DEP_1)
	v_fma_f64 v[217:218], -v[217:218], v[221:222], v[223:224]
	v_div_fmas_f64 v[217:218], v[217:218], v[219:220], v[221:222]
	s_delay_alu instid0(VALU_DEP_1) | instskip(NEXT) | instid1(VALU_DEP_1)
	v_div_fixup_f64 v[217:218], v[217:218], v[200:201], v[202:203]
	v_fma_f64 v[200:201], v[202:203], v[217:218], v[200:201]
	s_delay_alu instid0(VALU_DEP_1) | instskip(NEXT) | instid1(VALU_DEP_1)
	v_div_scale_f64 v[202:203], null, v[200:201], v[200:201], 1.0
	v_rcp_f64_e32 v[219:220], v[202:203]
	s_waitcnt_depctr 0xfff
	v_fma_f64 v[221:222], -v[202:203], v[219:220], 1.0
	s_delay_alu instid0(VALU_DEP_1) | instskip(NEXT) | instid1(VALU_DEP_1)
	v_fma_f64 v[219:220], v[219:220], v[221:222], v[219:220]
	v_fma_f64 v[221:222], -v[202:203], v[219:220], 1.0
	s_delay_alu instid0(VALU_DEP_1) | instskip(SKIP_1) | instid1(VALU_DEP_1)
	v_fma_f64 v[219:220], v[219:220], v[221:222], v[219:220]
	v_div_scale_f64 v[221:222], vcc_lo, 1.0, v[200:201], 1.0
	v_mul_f64 v[223:224], v[221:222], v[219:220]
	s_delay_alu instid0(VALU_DEP_1) | instskip(NEXT) | instid1(VALU_DEP_1)
	v_fma_f64 v[202:203], -v[202:203], v[223:224], v[221:222]
	v_div_fmas_f64 v[202:203], v[202:203], v[219:220], v[223:224]
	s_delay_alu instid0(VALU_DEP_1) | instskip(NEXT) | instid1(VALU_DEP_1)
	v_div_fixup_f64 v[200:201], v[202:203], v[200:201], 1.0
	v_mul_f64 v[202:203], v[217:218], -v[200:201]
.LBB98_597:
	s_or_b32 exec_lo, exec_lo, s2
.LBB98_598:
	s_delay_alu instid0(SALU_CYCLE_1) | instskip(NEXT) | instid1(SALU_CYCLE_1)
	s_or_b32 exec_lo, exec_lo, s3
	s_mov_b32 s2, exec_lo
	v_cmpx_ne_u32_e64 v216, v208
	s_xor_b32 s2, exec_lo, s2
	s_cbranch_execz .LBB98_604
; %bb.599:
	s_mov_b32 s3, exec_lo
	v_cmpx_eq_u32_e32 28, v216
	s_cbranch_execz .LBB98_603
; %bb.600:
	v_cmp_ne_u32_e32 vcc_lo, 28, v208
	s_xor_b32 s6, s4, -1
	s_delay_alu instid0(SALU_CYCLE_1) | instskip(NEXT) | instid1(SALU_CYCLE_1)
	s_and_b32 s7, s6, vcc_lo
	s_and_saveexec_b32 s6, s7
	s_cbranch_execz .LBB98_602
; %bb.601:
	v_ashrrev_i32_e32 v209, 31, v208
	s_delay_alu instid0(VALU_DEP_1) | instskip(NEXT) | instid1(VALU_DEP_1)
	v_lshlrev_b64 v[215:216], 2, v[208:209]
	v_add_co_u32 v215, vcc_lo, v206, v215
	s_delay_alu instid0(VALU_DEP_2)
	v_add_co_ci_u32_e32 v216, vcc_lo, v207, v216, vcc_lo
	s_clause 0x1
	flat_load_b32 v209, v[215:216]
	flat_load_b32 v217, v[206:207] offset:112
	s_waitcnt vmcnt(1) lgkmcnt(1)
	flat_store_b32 v[206:207], v209 offset:112
	s_waitcnt vmcnt(0) lgkmcnt(1)
	flat_store_b32 v[215:216], v217
.LBB98_602:
	s_or_b32 exec_lo, exec_lo, s6
	v_mov_b32_e32 v216, v208
	v_mov_b32_e32 v215, v208
.LBB98_603:
	s_or_b32 exec_lo, exec_lo, s3
.LBB98_604:
	s_and_not1_saveexec_b32 s2, s2
	s_cbranch_execz .LBB98_606
; %bb.605:
	v_mov_b32_e32 v216, 28
	ds_store_2addr_b64 v210, v[80:81], v[82:83] offset0:58 offset1:59
	ds_store_2addr_b64 v210, v[76:77], v[78:79] offset0:60 offset1:61
	;; [unrolled: 1-line block ×21, first 2 shown]
.LBB98_606:
	s_or_b32 exec_lo, exec_lo, s2
	s_delay_alu instid0(SALU_CYCLE_1)
	s_mov_b32 s2, exec_lo
	s_waitcnt lgkmcnt(0)
	s_waitcnt_vscnt null, 0x0
	s_barrier
	buffer_gl0_inv
	v_cmpx_lt_i32_e32 28, v216
	s_cbranch_execz .LBB98_608
; %bb.607:
	v_mul_f64 v[208:209], v[202:203], v[86:87]
	v_mul_f64 v[86:87], v[200:201], v[86:87]
	s_delay_alu instid0(VALU_DEP_2) | instskip(NEXT) | instid1(VALU_DEP_2)
	v_fma_f64 v[208:209], v[200:201], v[84:85], -v[208:209]
	v_fma_f64 v[86:87], v[202:203], v[84:85], v[86:87]
	ds_load_2addr_b64 v[200:203], v210 offset0:58 offset1:59
	s_waitcnt lgkmcnt(0)
	v_mul_f64 v[84:85], v[202:203], v[86:87]
	s_delay_alu instid0(VALU_DEP_1) | instskip(SKIP_1) | instid1(VALU_DEP_2)
	v_fma_f64 v[84:85], v[200:201], v[208:209], -v[84:85]
	v_mul_f64 v[200:201], v[200:201], v[86:87]
	v_add_f64 v[80:81], v[80:81], -v[84:85]
	s_delay_alu instid0(VALU_DEP_2) | instskip(NEXT) | instid1(VALU_DEP_1)
	v_fma_f64 v[200:201], v[202:203], v[208:209], v[200:201]
	v_add_f64 v[82:83], v[82:83], -v[200:201]
	ds_load_2addr_b64 v[200:203], v210 offset0:60 offset1:61
	s_waitcnt lgkmcnt(0)
	v_mul_f64 v[84:85], v[202:203], v[86:87]
	s_delay_alu instid0(VALU_DEP_1) | instskip(SKIP_1) | instid1(VALU_DEP_2)
	v_fma_f64 v[84:85], v[200:201], v[208:209], -v[84:85]
	v_mul_f64 v[200:201], v[200:201], v[86:87]
	v_add_f64 v[76:77], v[76:77], -v[84:85]
	s_delay_alu instid0(VALU_DEP_2) | instskip(NEXT) | instid1(VALU_DEP_1)
	v_fma_f64 v[200:201], v[202:203], v[208:209], v[200:201]
	v_add_f64 v[78:79], v[78:79], -v[200:201]
	;; [unrolled: 10-line block ×20, first 2 shown]
	ds_load_2addr_b64 v[200:203], v210 offset0:98 offset1:99
	s_waitcnt lgkmcnt(0)
	v_mul_f64 v[84:85], v[202:203], v[86:87]
	s_delay_alu instid0(VALU_DEP_1) | instskip(SKIP_1) | instid1(VALU_DEP_2)
	v_fma_f64 v[84:85], v[200:201], v[208:209], -v[84:85]
	v_mul_f64 v[200:201], v[200:201], v[86:87]
	v_add_f64 v[0:1], v[0:1], -v[84:85]
	s_delay_alu instid0(VALU_DEP_2) | instskip(SKIP_1) | instid1(VALU_DEP_2)
	v_fma_f64 v[200:201], v[202:203], v[208:209], v[200:201]
	v_dual_mov_b32 v84, v208 :: v_dual_mov_b32 v85, v209
	v_add_f64 v[2:3], v[2:3], -v[200:201]
.LBB98_608:
	s_or_b32 exec_lo, exec_lo, s2
	v_lshl_add_u32 v200, v216, 4, v210
	s_barrier
	buffer_gl0_inv
	v_mov_b32_e32 v208, 29
	ds_store_2addr_b64 v200, v[80:81], v[82:83] offset1:1
	s_waitcnt lgkmcnt(0)
	s_barrier
	buffer_gl0_inv
	ds_load_2addr_b64 v[200:203], v210 offset0:58 offset1:59
	s_cmp_lt_i32 s5, 31
	s_cbranch_scc1 .LBB98_611
; %bb.609:
	v_add3_u32 v209, v214, 0, 0x1e0
	v_mov_b32_e32 v208, 29
	s_mov_b32 s6, 30
	s_set_inst_prefetch_distance 0x1
	.p2align	6
.LBB98_610:                             ; =>This Inner Loop Header: Depth=1
	ds_load_2addr_b64 v[217:220], v209 offset1:1
	s_waitcnt lgkmcnt(1)
	v_cmp_gt_f64_e32 vcc_lo, 0, v[200:201]
	v_xor_b32_e32 v221, 0x80000000, v201
	v_cmp_gt_f64_e64 s2, 0, v[202:203]
	v_xor_b32_e32 v223, 0x80000000, v203
	v_add_nc_u32_e32 v209, 16, v209
	s_waitcnt lgkmcnt(0)
	v_cmp_gt_f64_e64 s3, 0, v[217:218]
	v_mov_b32_e32 v225, v217
	v_dual_mov_b32 v227, v219 :: v_dual_cndmask_b32 v222, v201, v221
	v_xor_b32_e32 v221, 0x80000000, v218
	v_cndmask_b32_e64 v224, v203, v223, s2
	v_xor_b32_e32 v223, 0x80000000, v220
	s_delay_alu instid0(VALU_DEP_3) | instskip(SKIP_2) | instid1(VALU_DEP_2)
	v_cndmask_b32_e64 v226, v218, v221, s3
	v_cmp_gt_f64_e64 s3, 0, v[219:220]
	v_cndmask_b32_e32 v221, v200, v200, vcc_lo
	v_cndmask_b32_e64 v228, v220, v223, s3
	v_cndmask_b32_e64 v223, v202, v202, s2
	s_delay_alu instid0(VALU_DEP_2) | instskip(NEXT) | instid1(VALU_DEP_2)
	v_add_f64 v[225:226], v[225:226], v[227:228]
	v_add_f64 v[221:222], v[221:222], v[223:224]
	s_delay_alu instid0(VALU_DEP_1) | instskip(SKIP_4) | instid1(SALU_CYCLE_1)
	v_cmp_lt_f64_e32 vcc_lo, v[221:222], v[225:226]
	v_dual_cndmask_b32 v202, v202, v219 :: v_dual_cndmask_b32 v201, v201, v218
	v_dual_cndmask_b32 v200, v200, v217 :: v_dual_cndmask_b32 v203, v203, v220
	v_cndmask_b32_e64 v208, v208, s6, vcc_lo
	s_add_i32 s6, s6, 1
	s_cmp_lg_u32 s5, s6
	s_cbranch_scc1 .LBB98_610
.LBB98_611:
	s_set_inst_prefetch_distance 0x2
	s_waitcnt lgkmcnt(0)
	v_cmp_eq_f64_e32 vcc_lo, 0, v[200:201]
	v_cmp_eq_f64_e64 s2, 0, v[202:203]
	s_delay_alu instid0(VALU_DEP_1) | instskip(NEXT) | instid1(SALU_CYCLE_1)
	s_and_b32 s2, vcc_lo, s2
	s_and_saveexec_b32 s3, s2
	s_delay_alu instid0(SALU_CYCLE_1)
	s_xor_b32 s2, exec_lo, s3
; %bb.612:
	v_cmp_ne_u32_e32 vcc_lo, 0, v213
	v_cndmask_b32_e32 v213, 30, v213, vcc_lo
; %bb.613:
	s_and_not1_saveexec_b32 s3, s2
	s_cbranch_execz .LBB98_619
; %bb.614:
	v_cmp_gt_f64_e32 vcc_lo, 0, v[200:201]
	v_cmp_gt_f64_e64 s2, 0, v[202:203]
	v_xor_b32_e32 v209, 0x80000000, v201
	v_xor_b32_e32 v217, 0x80000000, v203
	s_delay_alu instid0(VALU_DEP_2) | instskip(NEXT) | instid1(VALU_DEP_2)
	v_cndmask_b32_e32 v218, v201, v209, vcc_lo
	v_cndmask_b32_e64 v220, v203, v217, s2
	v_cndmask_b32_e32 v217, v200, v200, vcc_lo
	v_cndmask_b32_e64 v219, v202, v202, s2
	s_mov_b32 s2, exec_lo
	s_delay_alu instid0(VALU_DEP_1)
	v_cmpx_ngt_f64_e32 v[217:218], v[219:220]
	s_xor_b32 s2, exec_lo, s2
	s_cbranch_execz .LBB98_616
; %bb.615:
	v_div_scale_f64 v[217:218], null, v[202:203], v[202:203], v[200:201]
	v_div_scale_f64 v[223:224], vcc_lo, v[200:201], v[202:203], v[200:201]
	s_delay_alu instid0(VALU_DEP_2) | instskip(SKIP_2) | instid1(VALU_DEP_1)
	v_rcp_f64_e32 v[219:220], v[217:218]
	s_waitcnt_depctr 0xfff
	v_fma_f64 v[221:222], -v[217:218], v[219:220], 1.0
	v_fma_f64 v[219:220], v[219:220], v[221:222], v[219:220]
	s_delay_alu instid0(VALU_DEP_1) | instskip(NEXT) | instid1(VALU_DEP_1)
	v_fma_f64 v[221:222], -v[217:218], v[219:220], 1.0
	v_fma_f64 v[219:220], v[219:220], v[221:222], v[219:220]
	s_delay_alu instid0(VALU_DEP_1) | instskip(NEXT) | instid1(VALU_DEP_1)
	v_mul_f64 v[221:222], v[223:224], v[219:220]
	v_fma_f64 v[217:218], -v[217:218], v[221:222], v[223:224]
	s_delay_alu instid0(VALU_DEP_1) | instskip(NEXT) | instid1(VALU_DEP_1)
	v_div_fmas_f64 v[217:218], v[217:218], v[219:220], v[221:222]
	v_div_fixup_f64 v[217:218], v[217:218], v[202:203], v[200:201]
	s_delay_alu instid0(VALU_DEP_1) | instskip(NEXT) | instid1(VALU_DEP_1)
	v_fma_f64 v[200:201], v[200:201], v[217:218], v[202:203]
	v_div_scale_f64 v[202:203], null, v[200:201], v[200:201], 1.0
	s_delay_alu instid0(VALU_DEP_1) | instskip(SKIP_2) | instid1(VALU_DEP_1)
	v_rcp_f64_e32 v[219:220], v[202:203]
	s_waitcnt_depctr 0xfff
	v_fma_f64 v[221:222], -v[202:203], v[219:220], 1.0
	v_fma_f64 v[219:220], v[219:220], v[221:222], v[219:220]
	s_delay_alu instid0(VALU_DEP_1) | instskip(NEXT) | instid1(VALU_DEP_1)
	v_fma_f64 v[221:222], -v[202:203], v[219:220], 1.0
	v_fma_f64 v[219:220], v[219:220], v[221:222], v[219:220]
	v_div_scale_f64 v[221:222], vcc_lo, 1.0, v[200:201], 1.0
	s_delay_alu instid0(VALU_DEP_1) | instskip(NEXT) | instid1(VALU_DEP_1)
	v_mul_f64 v[223:224], v[221:222], v[219:220]
	v_fma_f64 v[202:203], -v[202:203], v[223:224], v[221:222]
	s_delay_alu instid0(VALU_DEP_1) | instskip(NEXT) | instid1(VALU_DEP_1)
	v_div_fmas_f64 v[202:203], v[202:203], v[219:220], v[223:224]
	v_div_fixup_f64 v[202:203], v[202:203], v[200:201], 1.0
	s_delay_alu instid0(VALU_DEP_1)
	v_mul_f64 v[200:201], v[217:218], v[202:203]
	v_xor_b32_e32 v203, 0x80000000, v203
.LBB98_616:
	s_and_not1_saveexec_b32 s2, s2
	s_cbranch_execz .LBB98_618
; %bb.617:
	s_delay_alu instid0(VALU_DEP_1) | instskip(SKIP_1) | instid1(VALU_DEP_2)
	v_div_scale_f64 v[217:218], null, v[200:201], v[200:201], v[202:203]
	v_div_scale_f64 v[223:224], vcc_lo, v[202:203], v[200:201], v[202:203]
	v_rcp_f64_e32 v[219:220], v[217:218]
	s_waitcnt_depctr 0xfff
	v_fma_f64 v[221:222], -v[217:218], v[219:220], 1.0
	s_delay_alu instid0(VALU_DEP_1) | instskip(NEXT) | instid1(VALU_DEP_1)
	v_fma_f64 v[219:220], v[219:220], v[221:222], v[219:220]
	v_fma_f64 v[221:222], -v[217:218], v[219:220], 1.0
	s_delay_alu instid0(VALU_DEP_1) | instskip(NEXT) | instid1(VALU_DEP_1)
	v_fma_f64 v[219:220], v[219:220], v[221:222], v[219:220]
	v_mul_f64 v[221:222], v[223:224], v[219:220]
	s_delay_alu instid0(VALU_DEP_1) | instskip(NEXT) | instid1(VALU_DEP_1)
	v_fma_f64 v[217:218], -v[217:218], v[221:222], v[223:224]
	v_div_fmas_f64 v[217:218], v[217:218], v[219:220], v[221:222]
	s_delay_alu instid0(VALU_DEP_1) | instskip(NEXT) | instid1(VALU_DEP_1)
	v_div_fixup_f64 v[217:218], v[217:218], v[200:201], v[202:203]
	v_fma_f64 v[200:201], v[202:203], v[217:218], v[200:201]
	s_delay_alu instid0(VALU_DEP_1) | instskip(NEXT) | instid1(VALU_DEP_1)
	v_div_scale_f64 v[202:203], null, v[200:201], v[200:201], 1.0
	v_rcp_f64_e32 v[219:220], v[202:203]
	s_waitcnt_depctr 0xfff
	v_fma_f64 v[221:222], -v[202:203], v[219:220], 1.0
	s_delay_alu instid0(VALU_DEP_1) | instskip(NEXT) | instid1(VALU_DEP_1)
	v_fma_f64 v[219:220], v[219:220], v[221:222], v[219:220]
	v_fma_f64 v[221:222], -v[202:203], v[219:220], 1.0
	s_delay_alu instid0(VALU_DEP_1) | instskip(SKIP_1) | instid1(VALU_DEP_1)
	v_fma_f64 v[219:220], v[219:220], v[221:222], v[219:220]
	v_div_scale_f64 v[221:222], vcc_lo, 1.0, v[200:201], 1.0
	v_mul_f64 v[223:224], v[221:222], v[219:220]
	s_delay_alu instid0(VALU_DEP_1) | instskip(NEXT) | instid1(VALU_DEP_1)
	v_fma_f64 v[202:203], -v[202:203], v[223:224], v[221:222]
	v_div_fmas_f64 v[202:203], v[202:203], v[219:220], v[223:224]
	s_delay_alu instid0(VALU_DEP_1) | instskip(NEXT) | instid1(VALU_DEP_1)
	v_div_fixup_f64 v[200:201], v[202:203], v[200:201], 1.0
	v_mul_f64 v[202:203], v[217:218], -v[200:201]
.LBB98_618:
	s_or_b32 exec_lo, exec_lo, s2
.LBB98_619:
	s_delay_alu instid0(SALU_CYCLE_1) | instskip(NEXT) | instid1(SALU_CYCLE_1)
	s_or_b32 exec_lo, exec_lo, s3
	s_mov_b32 s2, exec_lo
	v_cmpx_ne_u32_e64 v216, v208
	s_xor_b32 s2, exec_lo, s2
	s_cbranch_execz .LBB98_625
; %bb.620:
	s_mov_b32 s3, exec_lo
	v_cmpx_eq_u32_e32 29, v216
	s_cbranch_execz .LBB98_624
; %bb.621:
	v_cmp_ne_u32_e32 vcc_lo, 29, v208
	s_xor_b32 s6, s4, -1
	s_delay_alu instid0(SALU_CYCLE_1) | instskip(NEXT) | instid1(SALU_CYCLE_1)
	s_and_b32 s7, s6, vcc_lo
	s_and_saveexec_b32 s6, s7
	s_cbranch_execz .LBB98_623
; %bb.622:
	v_ashrrev_i32_e32 v209, 31, v208
	s_delay_alu instid0(VALU_DEP_1) | instskip(NEXT) | instid1(VALU_DEP_1)
	v_lshlrev_b64 v[215:216], 2, v[208:209]
	v_add_co_u32 v215, vcc_lo, v206, v215
	s_delay_alu instid0(VALU_DEP_2)
	v_add_co_ci_u32_e32 v216, vcc_lo, v207, v216, vcc_lo
	s_clause 0x1
	flat_load_b32 v209, v[215:216]
	flat_load_b32 v217, v[206:207] offset:116
	s_waitcnt vmcnt(1) lgkmcnt(1)
	flat_store_b32 v[206:207], v209 offset:116
	s_waitcnt vmcnt(0) lgkmcnt(1)
	flat_store_b32 v[215:216], v217
.LBB98_623:
	s_or_b32 exec_lo, exec_lo, s6
	v_mov_b32_e32 v216, v208
	v_mov_b32_e32 v215, v208
.LBB98_624:
	s_or_b32 exec_lo, exec_lo, s3
.LBB98_625:
	s_and_not1_saveexec_b32 s2, s2
	s_cbranch_execz .LBB98_627
; %bb.626:
	v_mov_b32_e32 v216, 29
	ds_store_2addr_b64 v210, v[76:77], v[78:79] offset0:60 offset1:61
	ds_store_2addr_b64 v210, v[72:73], v[74:75] offset0:62 offset1:63
	ds_store_2addr_b64 v210, v[68:69], v[70:71] offset0:64 offset1:65
	ds_store_2addr_b64 v210, v[64:65], v[66:67] offset0:66 offset1:67
	ds_store_2addr_b64 v210, v[60:61], v[62:63] offset0:68 offset1:69
	ds_store_2addr_b64 v210, v[56:57], v[58:59] offset0:70 offset1:71
	ds_store_2addr_b64 v210, v[52:53], v[54:55] offset0:72 offset1:73
	ds_store_2addr_b64 v210, v[48:49], v[50:51] offset0:74 offset1:75
	ds_store_2addr_b64 v210, v[44:45], v[46:47] offset0:76 offset1:77
	ds_store_2addr_b64 v210, v[40:41], v[42:43] offset0:78 offset1:79
	ds_store_2addr_b64 v210, v[36:37], v[38:39] offset0:80 offset1:81
	ds_store_2addr_b64 v210, v[32:33], v[34:35] offset0:82 offset1:83
	ds_store_2addr_b64 v210, v[28:29], v[30:31] offset0:84 offset1:85
	ds_store_2addr_b64 v210, v[24:25], v[26:27] offset0:86 offset1:87
	ds_store_2addr_b64 v210, v[20:21], v[22:23] offset0:88 offset1:89
	ds_store_2addr_b64 v210, v[16:17], v[18:19] offset0:90 offset1:91
	ds_store_2addr_b64 v210, v[12:13], v[14:15] offset0:92 offset1:93
	ds_store_2addr_b64 v210, v[8:9], v[10:11] offset0:94 offset1:95
	ds_store_2addr_b64 v210, v[4:5], v[6:7] offset0:96 offset1:97
	ds_store_2addr_b64 v210, v[0:1], v[2:3] offset0:98 offset1:99
.LBB98_627:
	s_or_b32 exec_lo, exec_lo, s2
	s_delay_alu instid0(SALU_CYCLE_1)
	s_mov_b32 s2, exec_lo
	s_waitcnt lgkmcnt(0)
	s_waitcnt_vscnt null, 0x0
	s_barrier
	buffer_gl0_inv
	v_cmpx_lt_i32_e32 29, v216
	s_cbranch_execz .LBB98_629
; %bb.628:
	v_mul_f64 v[208:209], v[202:203], v[82:83]
	v_mul_f64 v[82:83], v[200:201], v[82:83]
	s_delay_alu instid0(VALU_DEP_2) | instskip(NEXT) | instid1(VALU_DEP_2)
	v_fma_f64 v[208:209], v[200:201], v[80:81], -v[208:209]
	v_fma_f64 v[82:83], v[202:203], v[80:81], v[82:83]
	ds_load_2addr_b64 v[200:203], v210 offset0:60 offset1:61
	s_waitcnt lgkmcnt(0)
	v_mul_f64 v[80:81], v[202:203], v[82:83]
	s_delay_alu instid0(VALU_DEP_1) | instskip(SKIP_1) | instid1(VALU_DEP_2)
	v_fma_f64 v[80:81], v[200:201], v[208:209], -v[80:81]
	v_mul_f64 v[200:201], v[200:201], v[82:83]
	v_add_f64 v[76:77], v[76:77], -v[80:81]
	s_delay_alu instid0(VALU_DEP_2) | instskip(NEXT) | instid1(VALU_DEP_1)
	v_fma_f64 v[200:201], v[202:203], v[208:209], v[200:201]
	v_add_f64 v[78:79], v[78:79], -v[200:201]
	ds_load_2addr_b64 v[200:203], v210 offset0:62 offset1:63
	s_waitcnt lgkmcnt(0)
	v_mul_f64 v[80:81], v[202:203], v[82:83]
	s_delay_alu instid0(VALU_DEP_1) | instskip(SKIP_1) | instid1(VALU_DEP_2)
	v_fma_f64 v[80:81], v[200:201], v[208:209], -v[80:81]
	v_mul_f64 v[200:201], v[200:201], v[82:83]
	v_add_f64 v[72:73], v[72:73], -v[80:81]
	s_delay_alu instid0(VALU_DEP_2) | instskip(NEXT) | instid1(VALU_DEP_1)
	v_fma_f64 v[200:201], v[202:203], v[208:209], v[200:201]
	v_add_f64 v[74:75], v[74:75], -v[200:201]
	;; [unrolled: 10-line block ×19, first 2 shown]
	ds_load_2addr_b64 v[200:203], v210 offset0:98 offset1:99
	s_waitcnt lgkmcnt(0)
	v_mul_f64 v[80:81], v[202:203], v[82:83]
	s_delay_alu instid0(VALU_DEP_1) | instskip(SKIP_1) | instid1(VALU_DEP_2)
	v_fma_f64 v[80:81], v[200:201], v[208:209], -v[80:81]
	v_mul_f64 v[200:201], v[200:201], v[82:83]
	v_add_f64 v[0:1], v[0:1], -v[80:81]
	s_delay_alu instid0(VALU_DEP_2) | instskip(SKIP_1) | instid1(VALU_DEP_2)
	v_fma_f64 v[200:201], v[202:203], v[208:209], v[200:201]
	v_dual_mov_b32 v80, v208 :: v_dual_mov_b32 v81, v209
	v_add_f64 v[2:3], v[2:3], -v[200:201]
.LBB98_629:
	s_or_b32 exec_lo, exec_lo, s2
	v_lshl_add_u32 v200, v216, 4, v210
	s_barrier
	buffer_gl0_inv
	v_mov_b32_e32 v208, 30
	ds_store_2addr_b64 v200, v[76:77], v[78:79] offset1:1
	s_waitcnt lgkmcnt(0)
	s_barrier
	buffer_gl0_inv
	ds_load_2addr_b64 v[200:203], v210 offset0:60 offset1:61
	s_cmp_lt_i32 s5, 32
	s_cbranch_scc1 .LBB98_632
; %bb.630:
	v_add3_u32 v209, v214, 0, 0x1f0
	v_mov_b32_e32 v208, 30
	s_mov_b32 s6, 31
	s_set_inst_prefetch_distance 0x1
	.p2align	6
.LBB98_631:                             ; =>This Inner Loop Header: Depth=1
	ds_load_2addr_b64 v[217:220], v209 offset1:1
	s_waitcnt lgkmcnt(1)
	v_cmp_gt_f64_e32 vcc_lo, 0, v[200:201]
	v_xor_b32_e32 v221, 0x80000000, v201
	v_cmp_gt_f64_e64 s2, 0, v[202:203]
	v_xor_b32_e32 v223, 0x80000000, v203
	v_add_nc_u32_e32 v209, 16, v209
	s_waitcnt lgkmcnt(0)
	v_cmp_gt_f64_e64 s3, 0, v[217:218]
	v_mov_b32_e32 v225, v217
	v_dual_mov_b32 v227, v219 :: v_dual_cndmask_b32 v222, v201, v221
	v_xor_b32_e32 v221, 0x80000000, v218
	v_cndmask_b32_e64 v224, v203, v223, s2
	v_xor_b32_e32 v223, 0x80000000, v220
	s_delay_alu instid0(VALU_DEP_3) | instskip(SKIP_2) | instid1(VALU_DEP_2)
	v_cndmask_b32_e64 v226, v218, v221, s3
	v_cmp_gt_f64_e64 s3, 0, v[219:220]
	v_cndmask_b32_e32 v221, v200, v200, vcc_lo
	v_cndmask_b32_e64 v228, v220, v223, s3
	v_cndmask_b32_e64 v223, v202, v202, s2
	s_delay_alu instid0(VALU_DEP_2) | instskip(NEXT) | instid1(VALU_DEP_2)
	v_add_f64 v[225:226], v[225:226], v[227:228]
	v_add_f64 v[221:222], v[221:222], v[223:224]
	s_delay_alu instid0(VALU_DEP_1) | instskip(SKIP_4) | instid1(SALU_CYCLE_1)
	v_cmp_lt_f64_e32 vcc_lo, v[221:222], v[225:226]
	v_dual_cndmask_b32 v202, v202, v219 :: v_dual_cndmask_b32 v201, v201, v218
	v_dual_cndmask_b32 v200, v200, v217 :: v_dual_cndmask_b32 v203, v203, v220
	v_cndmask_b32_e64 v208, v208, s6, vcc_lo
	s_add_i32 s6, s6, 1
	s_cmp_lg_u32 s5, s6
	s_cbranch_scc1 .LBB98_631
.LBB98_632:
	s_set_inst_prefetch_distance 0x2
	s_waitcnt lgkmcnt(0)
	v_cmp_eq_f64_e32 vcc_lo, 0, v[200:201]
	v_cmp_eq_f64_e64 s2, 0, v[202:203]
	s_delay_alu instid0(VALU_DEP_1) | instskip(NEXT) | instid1(SALU_CYCLE_1)
	s_and_b32 s2, vcc_lo, s2
	s_and_saveexec_b32 s3, s2
	s_delay_alu instid0(SALU_CYCLE_1)
	s_xor_b32 s2, exec_lo, s3
; %bb.633:
	v_cmp_ne_u32_e32 vcc_lo, 0, v213
	v_cndmask_b32_e32 v213, 31, v213, vcc_lo
; %bb.634:
	s_and_not1_saveexec_b32 s3, s2
	s_cbranch_execz .LBB98_640
; %bb.635:
	v_cmp_gt_f64_e32 vcc_lo, 0, v[200:201]
	v_cmp_gt_f64_e64 s2, 0, v[202:203]
	v_xor_b32_e32 v209, 0x80000000, v201
	v_xor_b32_e32 v217, 0x80000000, v203
	s_delay_alu instid0(VALU_DEP_2) | instskip(NEXT) | instid1(VALU_DEP_2)
	v_cndmask_b32_e32 v218, v201, v209, vcc_lo
	v_cndmask_b32_e64 v220, v203, v217, s2
	v_cndmask_b32_e32 v217, v200, v200, vcc_lo
	v_cndmask_b32_e64 v219, v202, v202, s2
	s_mov_b32 s2, exec_lo
	s_delay_alu instid0(VALU_DEP_1)
	v_cmpx_ngt_f64_e32 v[217:218], v[219:220]
	s_xor_b32 s2, exec_lo, s2
	s_cbranch_execz .LBB98_637
; %bb.636:
	v_div_scale_f64 v[217:218], null, v[202:203], v[202:203], v[200:201]
	v_div_scale_f64 v[223:224], vcc_lo, v[200:201], v[202:203], v[200:201]
	s_delay_alu instid0(VALU_DEP_2) | instskip(SKIP_2) | instid1(VALU_DEP_1)
	v_rcp_f64_e32 v[219:220], v[217:218]
	s_waitcnt_depctr 0xfff
	v_fma_f64 v[221:222], -v[217:218], v[219:220], 1.0
	v_fma_f64 v[219:220], v[219:220], v[221:222], v[219:220]
	s_delay_alu instid0(VALU_DEP_1) | instskip(NEXT) | instid1(VALU_DEP_1)
	v_fma_f64 v[221:222], -v[217:218], v[219:220], 1.0
	v_fma_f64 v[219:220], v[219:220], v[221:222], v[219:220]
	s_delay_alu instid0(VALU_DEP_1) | instskip(NEXT) | instid1(VALU_DEP_1)
	v_mul_f64 v[221:222], v[223:224], v[219:220]
	v_fma_f64 v[217:218], -v[217:218], v[221:222], v[223:224]
	s_delay_alu instid0(VALU_DEP_1) | instskip(NEXT) | instid1(VALU_DEP_1)
	v_div_fmas_f64 v[217:218], v[217:218], v[219:220], v[221:222]
	v_div_fixup_f64 v[217:218], v[217:218], v[202:203], v[200:201]
	s_delay_alu instid0(VALU_DEP_1) | instskip(NEXT) | instid1(VALU_DEP_1)
	v_fma_f64 v[200:201], v[200:201], v[217:218], v[202:203]
	v_div_scale_f64 v[202:203], null, v[200:201], v[200:201], 1.0
	s_delay_alu instid0(VALU_DEP_1) | instskip(SKIP_2) | instid1(VALU_DEP_1)
	v_rcp_f64_e32 v[219:220], v[202:203]
	s_waitcnt_depctr 0xfff
	v_fma_f64 v[221:222], -v[202:203], v[219:220], 1.0
	v_fma_f64 v[219:220], v[219:220], v[221:222], v[219:220]
	s_delay_alu instid0(VALU_DEP_1) | instskip(NEXT) | instid1(VALU_DEP_1)
	v_fma_f64 v[221:222], -v[202:203], v[219:220], 1.0
	v_fma_f64 v[219:220], v[219:220], v[221:222], v[219:220]
	v_div_scale_f64 v[221:222], vcc_lo, 1.0, v[200:201], 1.0
	s_delay_alu instid0(VALU_DEP_1) | instskip(NEXT) | instid1(VALU_DEP_1)
	v_mul_f64 v[223:224], v[221:222], v[219:220]
	v_fma_f64 v[202:203], -v[202:203], v[223:224], v[221:222]
	s_delay_alu instid0(VALU_DEP_1) | instskip(NEXT) | instid1(VALU_DEP_1)
	v_div_fmas_f64 v[202:203], v[202:203], v[219:220], v[223:224]
	v_div_fixup_f64 v[202:203], v[202:203], v[200:201], 1.0
	s_delay_alu instid0(VALU_DEP_1)
	v_mul_f64 v[200:201], v[217:218], v[202:203]
	v_xor_b32_e32 v203, 0x80000000, v203
.LBB98_637:
	s_and_not1_saveexec_b32 s2, s2
	s_cbranch_execz .LBB98_639
; %bb.638:
	s_delay_alu instid0(VALU_DEP_1) | instskip(SKIP_1) | instid1(VALU_DEP_2)
	v_div_scale_f64 v[217:218], null, v[200:201], v[200:201], v[202:203]
	v_div_scale_f64 v[223:224], vcc_lo, v[202:203], v[200:201], v[202:203]
	v_rcp_f64_e32 v[219:220], v[217:218]
	s_waitcnt_depctr 0xfff
	v_fma_f64 v[221:222], -v[217:218], v[219:220], 1.0
	s_delay_alu instid0(VALU_DEP_1) | instskip(NEXT) | instid1(VALU_DEP_1)
	v_fma_f64 v[219:220], v[219:220], v[221:222], v[219:220]
	v_fma_f64 v[221:222], -v[217:218], v[219:220], 1.0
	s_delay_alu instid0(VALU_DEP_1) | instskip(NEXT) | instid1(VALU_DEP_1)
	v_fma_f64 v[219:220], v[219:220], v[221:222], v[219:220]
	v_mul_f64 v[221:222], v[223:224], v[219:220]
	s_delay_alu instid0(VALU_DEP_1) | instskip(NEXT) | instid1(VALU_DEP_1)
	v_fma_f64 v[217:218], -v[217:218], v[221:222], v[223:224]
	v_div_fmas_f64 v[217:218], v[217:218], v[219:220], v[221:222]
	s_delay_alu instid0(VALU_DEP_1) | instskip(NEXT) | instid1(VALU_DEP_1)
	v_div_fixup_f64 v[217:218], v[217:218], v[200:201], v[202:203]
	v_fma_f64 v[200:201], v[202:203], v[217:218], v[200:201]
	s_delay_alu instid0(VALU_DEP_1) | instskip(NEXT) | instid1(VALU_DEP_1)
	v_div_scale_f64 v[202:203], null, v[200:201], v[200:201], 1.0
	v_rcp_f64_e32 v[219:220], v[202:203]
	s_waitcnt_depctr 0xfff
	v_fma_f64 v[221:222], -v[202:203], v[219:220], 1.0
	s_delay_alu instid0(VALU_DEP_1) | instskip(NEXT) | instid1(VALU_DEP_1)
	v_fma_f64 v[219:220], v[219:220], v[221:222], v[219:220]
	v_fma_f64 v[221:222], -v[202:203], v[219:220], 1.0
	s_delay_alu instid0(VALU_DEP_1) | instskip(SKIP_1) | instid1(VALU_DEP_1)
	v_fma_f64 v[219:220], v[219:220], v[221:222], v[219:220]
	v_div_scale_f64 v[221:222], vcc_lo, 1.0, v[200:201], 1.0
	v_mul_f64 v[223:224], v[221:222], v[219:220]
	s_delay_alu instid0(VALU_DEP_1) | instskip(NEXT) | instid1(VALU_DEP_1)
	v_fma_f64 v[202:203], -v[202:203], v[223:224], v[221:222]
	v_div_fmas_f64 v[202:203], v[202:203], v[219:220], v[223:224]
	s_delay_alu instid0(VALU_DEP_1) | instskip(NEXT) | instid1(VALU_DEP_1)
	v_div_fixup_f64 v[200:201], v[202:203], v[200:201], 1.0
	v_mul_f64 v[202:203], v[217:218], -v[200:201]
.LBB98_639:
	s_or_b32 exec_lo, exec_lo, s2
.LBB98_640:
	s_delay_alu instid0(SALU_CYCLE_1) | instskip(NEXT) | instid1(SALU_CYCLE_1)
	s_or_b32 exec_lo, exec_lo, s3
	s_mov_b32 s2, exec_lo
	v_cmpx_ne_u32_e64 v216, v208
	s_xor_b32 s2, exec_lo, s2
	s_cbranch_execz .LBB98_646
; %bb.641:
	s_mov_b32 s3, exec_lo
	v_cmpx_eq_u32_e32 30, v216
	s_cbranch_execz .LBB98_645
; %bb.642:
	v_cmp_ne_u32_e32 vcc_lo, 30, v208
	s_xor_b32 s6, s4, -1
	s_delay_alu instid0(SALU_CYCLE_1) | instskip(NEXT) | instid1(SALU_CYCLE_1)
	s_and_b32 s7, s6, vcc_lo
	s_and_saveexec_b32 s6, s7
	s_cbranch_execz .LBB98_644
; %bb.643:
	v_ashrrev_i32_e32 v209, 31, v208
	s_delay_alu instid0(VALU_DEP_1) | instskip(NEXT) | instid1(VALU_DEP_1)
	v_lshlrev_b64 v[215:216], 2, v[208:209]
	v_add_co_u32 v215, vcc_lo, v206, v215
	s_delay_alu instid0(VALU_DEP_2)
	v_add_co_ci_u32_e32 v216, vcc_lo, v207, v216, vcc_lo
	s_clause 0x1
	flat_load_b32 v209, v[215:216]
	flat_load_b32 v217, v[206:207] offset:120
	s_waitcnt vmcnt(1) lgkmcnt(1)
	flat_store_b32 v[206:207], v209 offset:120
	s_waitcnt vmcnt(0) lgkmcnt(1)
	flat_store_b32 v[215:216], v217
.LBB98_644:
	s_or_b32 exec_lo, exec_lo, s6
	v_mov_b32_e32 v216, v208
	v_mov_b32_e32 v215, v208
.LBB98_645:
	s_or_b32 exec_lo, exec_lo, s3
.LBB98_646:
	s_and_not1_saveexec_b32 s2, s2
	s_cbranch_execz .LBB98_648
; %bb.647:
	v_mov_b32_e32 v216, 30
	ds_store_2addr_b64 v210, v[72:73], v[74:75] offset0:62 offset1:63
	ds_store_2addr_b64 v210, v[68:69], v[70:71] offset0:64 offset1:65
	;; [unrolled: 1-line block ×19, first 2 shown]
.LBB98_648:
	s_or_b32 exec_lo, exec_lo, s2
	s_delay_alu instid0(SALU_CYCLE_1)
	s_mov_b32 s2, exec_lo
	s_waitcnt lgkmcnt(0)
	s_waitcnt_vscnt null, 0x0
	s_barrier
	buffer_gl0_inv
	v_cmpx_lt_i32_e32 30, v216
	s_cbranch_execz .LBB98_650
; %bb.649:
	v_mul_f64 v[208:209], v[202:203], v[78:79]
	v_mul_f64 v[78:79], v[200:201], v[78:79]
	s_delay_alu instid0(VALU_DEP_2) | instskip(NEXT) | instid1(VALU_DEP_2)
	v_fma_f64 v[208:209], v[200:201], v[76:77], -v[208:209]
	v_fma_f64 v[78:79], v[202:203], v[76:77], v[78:79]
	ds_load_2addr_b64 v[200:203], v210 offset0:62 offset1:63
	s_waitcnt lgkmcnt(0)
	v_mul_f64 v[76:77], v[202:203], v[78:79]
	s_delay_alu instid0(VALU_DEP_1) | instskip(SKIP_1) | instid1(VALU_DEP_2)
	v_fma_f64 v[76:77], v[200:201], v[208:209], -v[76:77]
	v_mul_f64 v[200:201], v[200:201], v[78:79]
	v_add_f64 v[72:73], v[72:73], -v[76:77]
	s_delay_alu instid0(VALU_DEP_2) | instskip(NEXT) | instid1(VALU_DEP_1)
	v_fma_f64 v[200:201], v[202:203], v[208:209], v[200:201]
	v_add_f64 v[74:75], v[74:75], -v[200:201]
	ds_load_2addr_b64 v[200:203], v210 offset0:64 offset1:65
	s_waitcnt lgkmcnt(0)
	v_mul_f64 v[76:77], v[202:203], v[78:79]
	s_delay_alu instid0(VALU_DEP_1) | instskip(SKIP_1) | instid1(VALU_DEP_2)
	v_fma_f64 v[76:77], v[200:201], v[208:209], -v[76:77]
	v_mul_f64 v[200:201], v[200:201], v[78:79]
	v_add_f64 v[68:69], v[68:69], -v[76:77]
	s_delay_alu instid0(VALU_DEP_2) | instskip(NEXT) | instid1(VALU_DEP_1)
	v_fma_f64 v[200:201], v[202:203], v[208:209], v[200:201]
	v_add_f64 v[70:71], v[70:71], -v[200:201]
	;; [unrolled: 10-line block ×18, first 2 shown]
	ds_load_2addr_b64 v[200:203], v210 offset0:98 offset1:99
	s_waitcnt lgkmcnt(0)
	v_mul_f64 v[76:77], v[202:203], v[78:79]
	s_delay_alu instid0(VALU_DEP_1) | instskip(SKIP_1) | instid1(VALU_DEP_2)
	v_fma_f64 v[76:77], v[200:201], v[208:209], -v[76:77]
	v_mul_f64 v[200:201], v[200:201], v[78:79]
	v_add_f64 v[0:1], v[0:1], -v[76:77]
	s_delay_alu instid0(VALU_DEP_2) | instskip(SKIP_1) | instid1(VALU_DEP_2)
	v_fma_f64 v[200:201], v[202:203], v[208:209], v[200:201]
	v_dual_mov_b32 v76, v208 :: v_dual_mov_b32 v77, v209
	v_add_f64 v[2:3], v[2:3], -v[200:201]
.LBB98_650:
	s_or_b32 exec_lo, exec_lo, s2
	v_lshl_add_u32 v200, v216, 4, v210
	s_barrier
	buffer_gl0_inv
	v_mov_b32_e32 v208, 31
	ds_store_2addr_b64 v200, v[72:73], v[74:75] offset1:1
	s_waitcnt lgkmcnt(0)
	s_barrier
	buffer_gl0_inv
	ds_load_2addr_b64 v[200:203], v210 offset0:62 offset1:63
	s_cmp_lt_i32 s5, 33
	s_cbranch_scc1 .LBB98_653
; %bb.651:
	v_add3_u32 v209, v214, 0, 0x200
	v_mov_b32_e32 v208, 31
	s_mov_b32 s6, 32
	s_set_inst_prefetch_distance 0x1
	.p2align	6
.LBB98_652:                             ; =>This Inner Loop Header: Depth=1
	ds_load_2addr_b64 v[217:220], v209 offset1:1
	s_waitcnt lgkmcnt(1)
	v_cmp_gt_f64_e32 vcc_lo, 0, v[200:201]
	v_xor_b32_e32 v221, 0x80000000, v201
	v_cmp_gt_f64_e64 s2, 0, v[202:203]
	v_xor_b32_e32 v223, 0x80000000, v203
	v_add_nc_u32_e32 v209, 16, v209
	s_waitcnt lgkmcnt(0)
	v_cmp_gt_f64_e64 s3, 0, v[217:218]
	v_mov_b32_e32 v225, v217
	v_dual_mov_b32 v227, v219 :: v_dual_cndmask_b32 v222, v201, v221
	v_xor_b32_e32 v221, 0x80000000, v218
	v_cndmask_b32_e64 v224, v203, v223, s2
	v_xor_b32_e32 v223, 0x80000000, v220
	s_delay_alu instid0(VALU_DEP_3) | instskip(SKIP_2) | instid1(VALU_DEP_2)
	v_cndmask_b32_e64 v226, v218, v221, s3
	v_cmp_gt_f64_e64 s3, 0, v[219:220]
	v_cndmask_b32_e32 v221, v200, v200, vcc_lo
	v_cndmask_b32_e64 v228, v220, v223, s3
	v_cndmask_b32_e64 v223, v202, v202, s2
	s_delay_alu instid0(VALU_DEP_2) | instskip(NEXT) | instid1(VALU_DEP_2)
	v_add_f64 v[225:226], v[225:226], v[227:228]
	v_add_f64 v[221:222], v[221:222], v[223:224]
	s_delay_alu instid0(VALU_DEP_1) | instskip(SKIP_4) | instid1(SALU_CYCLE_1)
	v_cmp_lt_f64_e32 vcc_lo, v[221:222], v[225:226]
	v_dual_cndmask_b32 v202, v202, v219 :: v_dual_cndmask_b32 v201, v201, v218
	v_dual_cndmask_b32 v200, v200, v217 :: v_dual_cndmask_b32 v203, v203, v220
	v_cndmask_b32_e64 v208, v208, s6, vcc_lo
	s_add_i32 s6, s6, 1
	s_cmp_lg_u32 s5, s6
	s_cbranch_scc1 .LBB98_652
.LBB98_653:
	s_set_inst_prefetch_distance 0x2
	s_waitcnt lgkmcnt(0)
	v_cmp_eq_f64_e32 vcc_lo, 0, v[200:201]
	v_cmp_eq_f64_e64 s2, 0, v[202:203]
	s_delay_alu instid0(VALU_DEP_1) | instskip(NEXT) | instid1(SALU_CYCLE_1)
	s_and_b32 s2, vcc_lo, s2
	s_and_saveexec_b32 s3, s2
	s_delay_alu instid0(SALU_CYCLE_1)
	s_xor_b32 s2, exec_lo, s3
; %bb.654:
	v_cmp_ne_u32_e32 vcc_lo, 0, v213
	v_cndmask_b32_e32 v213, 32, v213, vcc_lo
; %bb.655:
	s_and_not1_saveexec_b32 s3, s2
	s_cbranch_execz .LBB98_661
; %bb.656:
	v_cmp_gt_f64_e32 vcc_lo, 0, v[200:201]
	v_cmp_gt_f64_e64 s2, 0, v[202:203]
	v_xor_b32_e32 v209, 0x80000000, v201
	v_xor_b32_e32 v217, 0x80000000, v203
	s_delay_alu instid0(VALU_DEP_2) | instskip(NEXT) | instid1(VALU_DEP_2)
	v_cndmask_b32_e32 v218, v201, v209, vcc_lo
	v_cndmask_b32_e64 v220, v203, v217, s2
	v_cndmask_b32_e32 v217, v200, v200, vcc_lo
	v_cndmask_b32_e64 v219, v202, v202, s2
	s_mov_b32 s2, exec_lo
	s_delay_alu instid0(VALU_DEP_1)
	v_cmpx_ngt_f64_e32 v[217:218], v[219:220]
	s_xor_b32 s2, exec_lo, s2
	s_cbranch_execz .LBB98_658
; %bb.657:
	v_div_scale_f64 v[217:218], null, v[202:203], v[202:203], v[200:201]
	v_div_scale_f64 v[223:224], vcc_lo, v[200:201], v[202:203], v[200:201]
	s_delay_alu instid0(VALU_DEP_2) | instskip(SKIP_2) | instid1(VALU_DEP_1)
	v_rcp_f64_e32 v[219:220], v[217:218]
	s_waitcnt_depctr 0xfff
	v_fma_f64 v[221:222], -v[217:218], v[219:220], 1.0
	v_fma_f64 v[219:220], v[219:220], v[221:222], v[219:220]
	s_delay_alu instid0(VALU_DEP_1) | instskip(NEXT) | instid1(VALU_DEP_1)
	v_fma_f64 v[221:222], -v[217:218], v[219:220], 1.0
	v_fma_f64 v[219:220], v[219:220], v[221:222], v[219:220]
	s_delay_alu instid0(VALU_DEP_1) | instskip(NEXT) | instid1(VALU_DEP_1)
	v_mul_f64 v[221:222], v[223:224], v[219:220]
	v_fma_f64 v[217:218], -v[217:218], v[221:222], v[223:224]
	s_delay_alu instid0(VALU_DEP_1) | instskip(NEXT) | instid1(VALU_DEP_1)
	v_div_fmas_f64 v[217:218], v[217:218], v[219:220], v[221:222]
	v_div_fixup_f64 v[217:218], v[217:218], v[202:203], v[200:201]
	s_delay_alu instid0(VALU_DEP_1) | instskip(NEXT) | instid1(VALU_DEP_1)
	v_fma_f64 v[200:201], v[200:201], v[217:218], v[202:203]
	v_div_scale_f64 v[202:203], null, v[200:201], v[200:201], 1.0
	s_delay_alu instid0(VALU_DEP_1) | instskip(SKIP_2) | instid1(VALU_DEP_1)
	v_rcp_f64_e32 v[219:220], v[202:203]
	s_waitcnt_depctr 0xfff
	v_fma_f64 v[221:222], -v[202:203], v[219:220], 1.0
	v_fma_f64 v[219:220], v[219:220], v[221:222], v[219:220]
	s_delay_alu instid0(VALU_DEP_1) | instskip(NEXT) | instid1(VALU_DEP_1)
	v_fma_f64 v[221:222], -v[202:203], v[219:220], 1.0
	v_fma_f64 v[219:220], v[219:220], v[221:222], v[219:220]
	v_div_scale_f64 v[221:222], vcc_lo, 1.0, v[200:201], 1.0
	s_delay_alu instid0(VALU_DEP_1) | instskip(NEXT) | instid1(VALU_DEP_1)
	v_mul_f64 v[223:224], v[221:222], v[219:220]
	v_fma_f64 v[202:203], -v[202:203], v[223:224], v[221:222]
	s_delay_alu instid0(VALU_DEP_1) | instskip(NEXT) | instid1(VALU_DEP_1)
	v_div_fmas_f64 v[202:203], v[202:203], v[219:220], v[223:224]
	v_div_fixup_f64 v[202:203], v[202:203], v[200:201], 1.0
	s_delay_alu instid0(VALU_DEP_1)
	v_mul_f64 v[200:201], v[217:218], v[202:203]
	v_xor_b32_e32 v203, 0x80000000, v203
.LBB98_658:
	s_and_not1_saveexec_b32 s2, s2
	s_cbranch_execz .LBB98_660
; %bb.659:
	s_delay_alu instid0(VALU_DEP_1) | instskip(SKIP_1) | instid1(VALU_DEP_2)
	v_div_scale_f64 v[217:218], null, v[200:201], v[200:201], v[202:203]
	v_div_scale_f64 v[223:224], vcc_lo, v[202:203], v[200:201], v[202:203]
	v_rcp_f64_e32 v[219:220], v[217:218]
	s_waitcnt_depctr 0xfff
	v_fma_f64 v[221:222], -v[217:218], v[219:220], 1.0
	s_delay_alu instid0(VALU_DEP_1) | instskip(NEXT) | instid1(VALU_DEP_1)
	v_fma_f64 v[219:220], v[219:220], v[221:222], v[219:220]
	v_fma_f64 v[221:222], -v[217:218], v[219:220], 1.0
	s_delay_alu instid0(VALU_DEP_1) | instskip(NEXT) | instid1(VALU_DEP_1)
	v_fma_f64 v[219:220], v[219:220], v[221:222], v[219:220]
	v_mul_f64 v[221:222], v[223:224], v[219:220]
	s_delay_alu instid0(VALU_DEP_1) | instskip(NEXT) | instid1(VALU_DEP_1)
	v_fma_f64 v[217:218], -v[217:218], v[221:222], v[223:224]
	v_div_fmas_f64 v[217:218], v[217:218], v[219:220], v[221:222]
	s_delay_alu instid0(VALU_DEP_1) | instskip(NEXT) | instid1(VALU_DEP_1)
	v_div_fixup_f64 v[217:218], v[217:218], v[200:201], v[202:203]
	v_fma_f64 v[200:201], v[202:203], v[217:218], v[200:201]
	s_delay_alu instid0(VALU_DEP_1) | instskip(NEXT) | instid1(VALU_DEP_1)
	v_div_scale_f64 v[202:203], null, v[200:201], v[200:201], 1.0
	v_rcp_f64_e32 v[219:220], v[202:203]
	s_waitcnt_depctr 0xfff
	v_fma_f64 v[221:222], -v[202:203], v[219:220], 1.0
	s_delay_alu instid0(VALU_DEP_1) | instskip(NEXT) | instid1(VALU_DEP_1)
	v_fma_f64 v[219:220], v[219:220], v[221:222], v[219:220]
	v_fma_f64 v[221:222], -v[202:203], v[219:220], 1.0
	s_delay_alu instid0(VALU_DEP_1) | instskip(SKIP_1) | instid1(VALU_DEP_1)
	v_fma_f64 v[219:220], v[219:220], v[221:222], v[219:220]
	v_div_scale_f64 v[221:222], vcc_lo, 1.0, v[200:201], 1.0
	v_mul_f64 v[223:224], v[221:222], v[219:220]
	s_delay_alu instid0(VALU_DEP_1) | instskip(NEXT) | instid1(VALU_DEP_1)
	v_fma_f64 v[202:203], -v[202:203], v[223:224], v[221:222]
	v_div_fmas_f64 v[202:203], v[202:203], v[219:220], v[223:224]
	s_delay_alu instid0(VALU_DEP_1) | instskip(NEXT) | instid1(VALU_DEP_1)
	v_div_fixup_f64 v[200:201], v[202:203], v[200:201], 1.0
	v_mul_f64 v[202:203], v[217:218], -v[200:201]
.LBB98_660:
	s_or_b32 exec_lo, exec_lo, s2
.LBB98_661:
	s_delay_alu instid0(SALU_CYCLE_1) | instskip(NEXT) | instid1(SALU_CYCLE_1)
	s_or_b32 exec_lo, exec_lo, s3
	s_mov_b32 s2, exec_lo
	v_cmpx_ne_u32_e64 v216, v208
	s_xor_b32 s2, exec_lo, s2
	s_cbranch_execz .LBB98_667
; %bb.662:
	s_mov_b32 s3, exec_lo
	v_cmpx_eq_u32_e32 31, v216
	s_cbranch_execz .LBB98_666
; %bb.663:
	v_cmp_ne_u32_e32 vcc_lo, 31, v208
	s_xor_b32 s6, s4, -1
	s_delay_alu instid0(SALU_CYCLE_1) | instskip(NEXT) | instid1(SALU_CYCLE_1)
	s_and_b32 s7, s6, vcc_lo
	s_and_saveexec_b32 s6, s7
	s_cbranch_execz .LBB98_665
; %bb.664:
	v_ashrrev_i32_e32 v209, 31, v208
	s_delay_alu instid0(VALU_DEP_1) | instskip(NEXT) | instid1(VALU_DEP_1)
	v_lshlrev_b64 v[215:216], 2, v[208:209]
	v_add_co_u32 v215, vcc_lo, v206, v215
	s_delay_alu instid0(VALU_DEP_2)
	v_add_co_ci_u32_e32 v216, vcc_lo, v207, v216, vcc_lo
	s_clause 0x1
	flat_load_b32 v209, v[215:216]
	flat_load_b32 v217, v[206:207] offset:124
	s_waitcnt vmcnt(1) lgkmcnt(1)
	flat_store_b32 v[206:207], v209 offset:124
	s_waitcnt vmcnt(0) lgkmcnt(1)
	flat_store_b32 v[215:216], v217
.LBB98_665:
	s_or_b32 exec_lo, exec_lo, s6
	v_mov_b32_e32 v216, v208
	v_mov_b32_e32 v215, v208
.LBB98_666:
	s_or_b32 exec_lo, exec_lo, s3
.LBB98_667:
	s_and_not1_saveexec_b32 s2, s2
	s_cbranch_execz .LBB98_669
; %bb.668:
	v_mov_b32_e32 v216, 31
	ds_store_2addr_b64 v210, v[68:69], v[70:71] offset0:64 offset1:65
	ds_store_2addr_b64 v210, v[64:65], v[66:67] offset0:66 offset1:67
	ds_store_2addr_b64 v210, v[60:61], v[62:63] offset0:68 offset1:69
	ds_store_2addr_b64 v210, v[56:57], v[58:59] offset0:70 offset1:71
	ds_store_2addr_b64 v210, v[52:53], v[54:55] offset0:72 offset1:73
	ds_store_2addr_b64 v210, v[48:49], v[50:51] offset0:74 offset1:75
	ds_store_2addr_b64 v210, v[44:45], v[46:47] offset0:76 offset1:77
	ds_store_2addr_b64 v210, v[40:41], v[42:43] offset0:78 offset1:79
	ds_store_2addr_b64 v210, v[36:37], v[38:39] offset0:80 offset1:81
	ds_store_2addr_b64 v210, v[32:33], v[34:35] offset0:82 offset1:83
	ds_store_2addr_b64 v210, v[28:29], v[30:31] offset0:84 offset1:85
	ds_store_2addr_b64 v210, v[24:25], v[26:27] offset0:86 offset1:87
	ds_store_2addr_b64 v210, v[20:21], v[22:23] offset0:88 offset1:89
	ds_store_2addr_b64 v210, v[16:17], v[18:19] offset0:90 offset1:91
	ds_store_2addr_b64 v210, v[12:13], v[14:15] offset0:92 offset1:93
	ds_store_2addr_b64 v210, v[8:9], v[10:11] offset0:94 offset1:95
	ds_store_2addr_b64 v210, v[4:5], v[6:7] offset0:96 offset1:97
	ds_store_2addr_b64 v210, v[0:1], v[2:3] offset0:98 offset1:99
.LBB98_669:
	s_or_b32 exec_lo, exec_lo, s2
	s_delay_alu instid0(SALU_CYCLE_1)
	s_mov_b32 s2, exec_lo
	s_waitcnt lgkmcnt(0)
	s_waitcnt_vscnt null, 0x0
	s_barrier
	buffer_gl0_inv
	v_cmpx_lt_i32_e32 31, v216
	s_cbranch_execz .LBB98_671
; %bb.670:
	v_mul_f64 v[208:209], v[202:203], v[74:75]
	v_mul_f64 v[74:75], v[200:201], v[74:75]
	s_delay_alu instid0(VALU_DEP_2) | instskip(NEXT) | instid1(VALU_DEP_2)
	v_fma_f64 v[208:209], v[200:201], v[72:73], -v[208:209]
	v_fma_f64 v[74:75], v[202:203], v[72:73], v[74:75]
	ds_load_2addr_b64 v[200:203], v210 offset0:64 offset1:65
	s_waitcnt lgkmcnt(0)
	v_mul_f64 v[72:73], v[202:203], v[74:75]
	s_delay_alu instid0(VALU_DEP_1) | instskip(SKIP_1) | instid1(VALU_DEP_2)
	v_fma_f64 v[72:73], v[200:201], v[208:209], -v[72:73]
	v_mul_f64 v[200:201], v[200:201], v[74:75]
	v_add_f64 v[68:69], v[68:69], -v[72:73]
	s_delay_alu instid0(VALU_DEP_2) | instskip(NEXT) | instid1(VALU_DEP_1)
	v_fma_f64 v[200:201], v[202:203], v[208:209], v[200:201]
	v_add_f64 v[70:71], v[70:71], -v[200:201]
	ds_load_2addr_b64 v[200:203], v210 offset0:66 offset1:67
	s_waitcnt lgkmcnt(0)
	v_mul_f64 v[72:73], v[202:203], v[74:75]
	s_delay_alu instid0(VALU_DEP_1) | instskip(SKIP_1) | instid1(VALU_DEP_2)
	v_fma_f64 v[72:73], v[200:201], v[208:209], -v[72:73]
	v_mul_f64 v[200:201], v[200:201], v[74:75]
	v_add_f64 v[64:65], v[64:65], -v[72:73]
	s_delay_alu instid0(VALU_DEP_2) | instskip(NEXT) | instid1(VALU_DEP_1)
	v_fma_f64 v[200:201], v[202:203], v[208:209], v[200:201]
	v_add_f64 v[66:67], v[66:67], -v[200:201]
	;; [unrolled: 10-line block ×17, first 2 shown]
	ds_load_2addr_b64 v[200:203], v210 offset0:98 offset1:99
	s_waitcnt lgkmcnt(0)
	v_mul_f64 v[72:73], v[202:203], v[74:75]
	s_delay_alu instid0(VALU_DEP_1) | instskip(SKIP_1) | instid1(VALU_DEP_2)
	v_fma_f64 v[72:73], v[200:201], v[208:209], -v[72:73]
	v_mul_f64 v[200:201], v[200:201], v[74:75]
	v_add_f64 v[0:1], v[0:1], -v[72:73]
	s_delay_alu instid0(VALU_DEP_2) | instskip(SKIP_1) | instid1(VALU_DEP_2)
	v_fma_f64 v[200:201], v[202:203], v[208:209], v[200:201]
	v_dual_mov_b32 v72, v208 :: v_dual_mov_b32 v73, v209
	v_add_f64 v[2:3], v[2:3], -v[200:201]
.LBB98_671:
	s_or_b32 exec_lo, exec_lo, s2
	v_lshl_add_u32 v200, v216, 4, v210
	s_barrier
	buffer_gl0_inv
	v_mov_b32_e32 v208, 32
	ds_store_2addr_b64 v200, v[68:69], v[70:71] offset1:1
	s_waitcnt lgkmcnt(0)
	s_barrier
	buffer_gl0_inv
	ds_load_2addr_b64 v[200:203], v210 offset0:64 offset1:65
	s_cmp_lt_i32 s5, 34
	s_cbranch_scc1 .LBB98_674
; %bb.672:
	v_add3_u32 v209, v214, 0, 0x210
	v_mov_b32_e32 v208, 32
	s_mov_b32 s6, 33
	s_set_inst_prefetch_distance 0x1
	.p2align	6
.LBB98_673:                             ; =>This Inner Loop Header: Depth=1
	ds_load_2addr_b64 v[217:220], v209 offset1:1
	s_waitcnt lgkmcnt(1)
	v_cmp_gt_f64_e32 vcc_lo, 0, v[200:201]
	v_xor_b32_e32 v221, 0x80000000, v201
	v_cmp_gt_f64_e64 s2, 0, v[202:203]
	v_xor_b32_e32 v223, 0x80000000, v203
	v_add_nc_u32_e32 v209, 16, v209
	s_waitcnt lgkmcnt(0)
	v_cmp_gt_f64_e64 s3, 0, v[217:218]
	v_mov_b32_e32 v225, v217
	v_dual_mov_b32 v227, v219 :: v_dual_cndmask_b32 v222, v201, v221
	v_xor_b32_e32 v221, 0x80000000, v218
	v_cndmask_b32_e64 v224, v203, v223, s2
	v_xor_b32_e32 v223, 0x80000000, v220
	s_delay_alu instid0(VALU_DEP_3) | instskip(SKIP_2) | instid1(VALU_DEP_2)
	v_cndmask_b32_e64 v226, v218, v221, s3
	v_cmp_gt_f64_e64 s3, 0, v[219:220]
	v_cndmask_b32_e32 v221, v200, v200, vcc_lo
	v_cndmask_b32_e64 v228, v220, v223, s3
	v_cndmask_b32_e64 v223, v202, v202, s2
	s_delay_alu instid0(VALU_DEP_2) | instskip(NEXT) | instid1(VALU_DEP_2)
	v_add_f64 v[225:226], v[225:226], v[227:228]
	v_add_f64 v[221:222], v[221:222], v[223:224]
	s_delay_alu instid0(VALU_DEP_1) | instskip(SKIP_4) | instid1(SALU_CYCLE_1)
	v_cmp_lt_f64_e32 vcc_lo, v[221:222], v[225:226]
	v_dual_cndmask_b32 v202, v202, v219 :: v_dual_cndmask_b32 v201, v201, v218
	v_dual_cndmask_b32 v200, v200, v217 :: v_dual_cndmask_b32 v203, v203, v220
	v_cndmask_b32_e64 v208, v208, s6, vcc_lo
	s_add_i32 s6, s6, 1
	s_cmp_lg_u32 s5, s6
	s_cbranch_scc1 .LBB98_673
.LBB98_674:
	s_set_inst_prefetch_distance 0x2
	s_waitcnt lgkmcnt(0)
	v_cmp_eq_f64_e32 vcc_lo, 0, v[200:201]
	v_cmp_eq_f64_e64 s2, 0, v[202:203]
	s_delay_alu instid0(VALU_DEP_1) | instskip(NEXT) | instid1(SALU_CYCLE_1)
	s_and_b32 s2, vcc_lo, s2
	s_and_saveexec_b32 s3, s2
	s_delay_alu instid0(SALU_CYCLE_1)
	s_xor_b32 s2, exec_lo, s3
; %bb.675:
	v_cmp_ne_u32_e32 vcc_lo, 0, v213
	v_cndmask_b32_e32 v213, 33, v213, vcc_lo
; %bb.676:
	s_and_not1_saveexec_b32 s3, s2
	s_cbranch_execz .LBB98_682
; %bb.677:
	v_cmp_gt_f64_e32 vcc_lo, 0, v[200:201]
	v_cmp_gt_f64_e64 s2, 0, v[202:203]
	v_xor_b32_e32 v209, 0x80000000, v201
	v_xor_b32_e32 v217, 0x80000000, v203
	s_delay_alu instid0(VALU_DEP_2) | instskip(NEXT) | instid1(VALU_DEP_2)
	v_cndmask_b32_e32 v218, v201, v209, vcc_lo
	v_cndmask_b32_e64 v220, v203, v217, s2
	v_cndmask_b32_e32 v217, v200, v200, vcc_lo
	v_cndmask_b32_e64 v219, v202, v202, s2
	s_mov_b32 s2, exec_lo
	s_delay_alu instid0(VALU_DEP_1)
	v_cmpx_ngt_f64_e32 v[217:218], v[219:220]
	s_xor_b32 s2, exec_lo, s2
	s_cbranch_execz .LBB98_679
; %bb.678:
	v_div_scale_f64 v[217:218], null, v[202:203], v[202:203], v[200:201]
	v_div_scale_f64 v[223:224], vcc_lo, v[200:201], v[202:203], v[200:201]
	s_delay_alu instid0(VALU_DEP_2) | instskip(SKIP_2) | instid1(VALU_DEP_1)
	v_rcp_f64_e32 v[219:220], v[217:218]
	s_waitcnt_depctr 0xfff
	v_fma_f64 v[221:222], -v[217:218], v[219:220], 1.0
	v_fma_f64 v[219:220], v[219:220], v[221:222], v[219:220]
	s_delay_alu instid0(VALU_DEP_1) | instskip(NEXT) | instid1(VALU_DEP_1)
	v_fma_f64 v[221:222], -v[217:218], v[219:220], 1.0
	v_fma_f64 v[219:220], v[219:220], v[221:222], v[219:220]
	s_delay_alu instid0(VALU_DEP_1) | instskip(NEXT) | instid1(VALU_DEP_1)
	v_mul_f64 v[221:222], v[223:224], v[219:220]
	v_fma_f64 v[217:218], -v[217:218], v[221:222], v[223:224]
	s_delay_alu instid0(VALU_DEP_1) | instskip(NEXT) | instid1(VALU_DEP_1)
	v_div_fmas_f64 v[217:218], v[217:218], v[219:220], v[221:222]
	v_div_fixup_f64 v[217:218], v[217:218], v[202:203], v[200:201]
	s_delay_alu instid0(VALU_DEP_1) | instskip(NEXT) | instid1(VALU_DEP_1)
	v_fma_f64 v[200:201], v[200:201], v[217:218], v[202:203]
	v_div_scale_f64 v[202:203], null, v[200:201], v[200:201], 1.0
	s_delay_alu instid0(VALU_DEP_1) | instskip(SKIP_2) | instid1(VALU_DEP_1)
	v_rcp_f64_e32 v[219:220], v[202:203]
	s_waitcnt_depctr 0xfff
	v_fma_f64 v[221:222], -v[202:203], v[219:220], 1.0
	v_fma_f64 v[219:220], v[219:220], v[221:222], v[219:220]
	s_delay_alu instid0(VALU_DEP_1) | instskip(NEXT) | instid1(VALU_DEP_1)
	v_fma_f64 v[221:222], -v[202:203], v[219:220], 1.0
	v_fma_f64 v[219:220], v[219:220], v[221:222], v[219:220]
	v_div_scale_f64 v[221:222], vcc_lo, 1.0, v[200:201], 1.0
	s_delay_alu instid0(VALU_DEP_1) | instskip(NEXT) | instid1(VALU_DEP_1)
	v_mul_f64 v[223:224], v[221:222], v[219:220]
	v_fma_f64 v[202:203], -v[202:203], v[223:224], v[221:222]
	s_delay_alu instid0(VALU_DEP_1) | instskip(NEXT) | instid1(VALU_DEP_1)
	v_div_fmas_f64 v[202:203], v[202:203], v[219:220], v[223:224]
	v_div_fixup_f64 v[202:203], v[202:203], v[200:201], 1.0
	s_delay_alu instid0(VALU_DEP_1)
	v_mul_f64 v[200:201], v[217:218], v[202:203]
	v_xor_b32_e32 v203, 0x80000000, v203
.LBB98_679:
	s_and_not1_saveexec_b32 s2, s2
	s_cbranch_execz .LBB98_681
; %bb.680:
	s_delay_alu instid0(VALU_DEP_1) | instskip(SKIP_1) | instid1(VALU_DEP_2)
	v_div_scale_f64 v[217:218], null, v[200:201], v[200:201], v[202:203]
	v_div_scale_f64 v[223:224], vcc_lo, v[202:203], v[200:201], v[202:203]
	v_rcp_f64_e32 v[219:220], v[217:218]
	s_waitcnt_depctr 0xfff
	v_fma_f64 v[221:222], -v[217:218], v[219:220], 1.0
	s_delay_alu instid0(VALU_DEP_1) | instskip(NEXT) | instid1(VALU_DEP_1)
	v_fma_f64 v[219:220], v[219:220], v[221:222], v[219:220]
	v_fma_f64 v[221:222], -v[217:218], v[219:220], 1.0
	s_delay_alu instid0(VALU_DEP_1) | instskip(NEXT) | instid1(VALU_DEP_1)
	v_fma_f64 v[219:220], v[219:220], v[221:222], v[219:220]
	v_mul_f64 v[221:222], v[223:224], v[219:220]
	s_delay_alu instid0(VALU_DEP_1) | instskip(NEXT) | instid1(VALU_DEP_1)
	v_fma_f64 v[217:218], -v[217:218], v[221:222], v[223:224]
	v_div_fmas_f64 v[217:218], v[217:218], v[219:220], v[221:222]
	s_delay_alu instid0(VALU_DEP_1) | instskip(NEXT) | instid1(VALU_DEP_1)
	v_div_fixup_f64 v[217:218], v[217:218], v[200:201], v[202:203]
	v_fma_f64 v[200:201], v[202:203], v[217:218], v[200:201]
	s_delay_alu instid0(VALU_DEP_1) | instskip(NEXT) | instid1(VALU_DEP_1)
	v_div_scale_f64 v[202:203], null, v[200:201], v[200:201], 1.0
	v_rcp_f64_e32 v[219:220], v[202:203]
	s_waitcnt_depctr 0xfff
	v_fma_f64 v[221:222], -v[202:203], v[219:220], 1.0
	s_delay_alu instid0(VALU_DEP_1) | instskip(NEXT) | instid1(VALU_DEP_1)
	v_fma_f64 v[219:220], v[219:220], v[221:222], v[219:220]
	v_fma_f64 v[221:222], -v[202:203], v[219:220], 1.0
	s_delay_alu instid0(VALU_DEP_1) | instskip(SKIP_1) | instid1(VALU_DEP_1)
	v_fma_f64 v[219:220], v[219:220], v[221:222], v[219:220]
	v_div_scale_f64 v[221:222], vcc_lo, 1.0, v[200:201], 1.0
	v_mul_f64 v[223:224], v[221:222], v[219:220]
	s_delay_alu instid0(VALU_DEP_1) | instskip(NEXT) | instid1(VALU_DEP_1)
	v_fma_f64 v[202:203], -v[202:203], v[223:224], v[221:222]
	v_div_fmas_f64 v[202:203], v[202:203], v[219:220], v[223:224]
	s_delay_alu instid0(VALU_DEP_1) | instskip(NEXT) | instid1(VALU_DEP_1)
	v_div_fixup_f64 v[200:201], v[202:203], v[200:201], 1.0
	v_mul_f64 v[202:203], v[217:218], -v[200:201]
.LBB98_681:
	s_or_b32 exec_lo, exec_lo, s2
.LBB98_682:
	s_delay_alu instid0(SALU_CYCLE_1) | instskip(NEXT) | instid1(SALU_CYCLE_1)
	s_or_b32 exec_lo, exec_lo, s3
	s_mov_b32 s2, exec_lo
	v_cmpx_ne_u32_e64 v216, v208
	s_xor_b32 s2, exec_lo, s2
	s_cbranch_execz .LBB98_688
; %bb.683:
	s_mov_b32 s3, exec_lo
	v_cmpx_eq_u32_e32 32, v216
	s_cbranch_execz .LBB98_687
; %bb.684:
	v_cmp_ne_u32_e32 vcc_lo, 32, v208
	s_xor_b32 s6, s4, -1
	s_delay_alu instid0(SALU_CYCLE_1) | instskip(NEXT) | instid1(SALU_CYCLE_1)
	s_and_b32 s7, s6, vcc_lo
	s_and_saveexec_b32 s6, s7
	s_cbranch_execz .LBB98_686
; %bb.685:
	v_ashrrev_i32_e32 v209, 31, v208
	s_delay_alu instid0(VALU_DEP_1) | instskip(NEXT) | instid1(VALU_DEP_1)
	v_lshlrev_b64 v[215:216], 2, v[208:209]
	v_add_co_u32 v215, vcc_lo, v206, v215
	s_delay_alu instid0(VALU_DEP_2)
	v_add_co_ci_u32_e32 v216, vcc_lo, v207, v216, vcc_lo
	s_clause 0x1
	flat_load_b32 v209, v[215:216]
	flat_load_b32 v217, v[206:207] offset:128
	s_waitcnt vmcnt(1) lgkmcnt(1)
	flat_store_b32 v[206:207], v209 offset:128
	s_waitcnt vmcnt(0) lgkmcnt(1)
	flat_store_b32 v[215:216], v217
.LBB98_686:
	s_or_b32 exec_lo, exec_lo, s6
	v_mov_b32_e32 v216, v208
	v_mov_b32_e32 v215, v208
.LBB98_687:
	s_or_b32 exec_lo, exec_lo, s3
.LBB98_688:
	s_and_not1_saveexec_b32 s2, s2
	s_cbranch_execz .LBB98_690
; %bb.689:
	v_mov_b32_e32 v216, 32
	ds_store_2addr_b64 v210, v[64:65], v[66:67] offset0:66 offset1:67
	ds_store_2addr_b64 v210, v[60:61], v[62:63] offset0:68 offset1:69
	;; [unrolled: 1-line block ×17, first 2 shown]
.LBB98_690:
	s_or_b32 exec_lo, exec_lo, s2
	s_delay_alu instid0(SALU_CYCLE_1)
	s_mov_b32 s2, exec_lo
	s_waitcnt lgkmcnt(0)
	s_waitcnt_vscnt null, 0x0
	s_barrier
	buffer_gl0_inv
	v_cmpx_lt_i32_e32 32, v216
	s_cbranch_execz .LBB98_692
; %bb.691:
	v_mul_f64 v[208:209], v[202:203], v[70:71]
	v_mul_f64 v[70:71], v[200:201], v[70:71]
	s_delay_alu instid0(VALU_DEP_2) | instskip(NEXT) | instid1(VALU_DEP_2)
	v_fma_f64 v[208:209], v[200:201], v[68:69], -v[208:209]
	v_fma_f64 v[70:71], v[202:203], v[68:69], v[70:71]
	ds_load_2addr_b64 v[200:203], v210 offset0:66 offset1:67
	s_waitcnt lgkmcnt(0)
	v_mul_f64 v[68:69], v[202:203], v[70:71]
	s_delay_alu instid0(VALU_DEP_1) | instskip(SKIP_1) | instid1(VALU_DEP_2)
	v_fma_f64 v[68:69], v[200:201], v[208:209], -v[68:69]
	v_mul_f64 v[200:201], v[200:201], v[70:71]
	v_add_f64 v[64:65], v[64:65], -v[68:69]
	s_delay_alu instid0(VALU_DEP_2) | instskip(NEXT) | instid1(VALU_DEP_1)
	v_fma_f64 v[200:201], v[202:203], v[208:209], v[200:201]
	v_add_f64 v[66:67], v[66:67], -v[200:201]
	ds_load_2addr_b64 v[200:203], v210 offset0:68 offset1:69
	s_waitcnt lgkmcnt(0)
	v_mul_f64 v[68:69], v[202:203], v[70:71]
	s_delay_alu instid0(VALU_DEP_1) | instskip(SKIP_1) | instid1(VALU_DEP_2)
	v_fma_f64 v[68:69], v[200:201], v[208:209], -v[68:69]
	v_mul_f64 v[200:201], v[200:201], v[70:71]
	v_add_f64 v[60:61], v[60:61], -v[68:69]
	s_delay_alu instid0(VALU_DEP_2) | instskip(NEXT) | instid1(VALU_DEP_1)
	v_fma_f64 v[200:201], v[202:203], v[208:209], v[200:201]
	v_add_f64 v[62:63], v[62:63], -v[200:201]
	;; [unrolled: 10-line block ×16, first 2 shown]
	ds_load_2addr_b64 v[200:203], v210 offset0:98 offset1:99
	s_waitcnt lgkmcnt(0)
	v_mul_f64 v[68:69], v[202:203], v[70:71]
	s_delay_alu instid0(VALU_DEP_1) | instskip(SKIP_1) | instid1(VALU_DEP_2)
	v_fma_f64 v[68:69], v[200:201], v[208:209], -v[68:69]
	v_mul_f64 v[200:201], v[200:201], v[70:71]
	v_add_f64 v[0:1], v[0:1], -v[68:69]
	s_delay_alu instid0(VALU_DEP_2) | instskip(SKIP_1) | instid1(VALU_DEP_2)
	v_fma_f64 v[200:201], v[202:203], v[208:209], v[200:201]
	v_dual_mov_b32 v68, v208 :: v_dual_mov_b32 v69, v209
	v_add_f64 v[2:3], v[2:3], -v[200:201]
.LBB98_692:
	s_or_b32 exec_lo, exec_lo, s2
	v_lshl_add_u32 v200, v216, 4, v210
	s_barrier
	buffer_gl0_inv
	v_mov_b32_e32 v208, 33
	ds_store_2addr_b64 v200, v[64:65], v[66:67] offset1:1
	s_waitcnt lgkmcnt(0)
	s_barrier
	buffer_gl0_inv
	ds_load_2addr_b64 v[200:203], v210 offset0:66 offset1:67
	s_cmp_lt_i32 s5, 35
	s_cbranch_scc1 .LBB98_695
; %bb.693:
	v_add3_u32 v209, v214, 0, 0x220
	v_mov_b32_e32 v208, 33
	s_mov_b32 s6, 34
	s_set_inst_prefetch_distance 0x1
	.p2align	6
.LBB98_694:                             ; =>This Inner Loop Header: Depth=1
	ds_load_2addr_b64 v[217:220], v209 offset1:1
	s_waitcnt lgkmcnt(1)
	v_cmp_gt_f64_e32 vcc_lo, 0, v[200:201]
	v_xor_b32_e32 v221, 0x80000000, v201
	v_cmp_gt_f64_e64 s2, 0, v[202:203]
	v_xor_b32_e32 v223, 0x80000000, v203
	v_add_nc_u32_e32 v209, 16, v209
	s_waitcnt lgkmcnt(0)
	v_cmp_gt_f64_e64 s3, 0, v[217:218]
	v_mov_b32_e32 v225, v217
	v_dual_mov_b32 v227, v219 :: v_dual_cndmask_b32 v222, v201, v221
	v_xor_b32_e32 v221, 0x80000000, v218
	v_cndmask_b32_e64 v224, v203, v223, s2
	v_xor_b32_e32 v223, 0x80000000, v220
	s_delay_alu instid0(VALU_DEP_3) | instskip(SKIP_2) | instid1(VALU_DEP_2)
	v_cndmask_b32_e64 v226, v218, v221, s3
	v_cmp_gt_f64_e64 s3, 0, v[219:220]
	v_cndmask_b32_e32 v221, v200, v200, vcc_lo
	v_cndmask_b32_e64 v228, v220, v223, s3
	v_cndmask_b32_e64 v223, v202, v202, s2
	s_delay_alu instid0(VALU_DEP_2) | instskip(NEXT) | instid1(VALU_DEP_2)
	v_add_f64 v[225:226], v[225:226], v[227:228]
	v_add_f64 v[221:222], v[221:222], v[223:224]
	s_delay_alu instid0(VALU_DEP_1) | instskip(SKIP_4) | instid1(SALU_CYCLE_1)
	v_cmp_lt_f64_e32 vcc_lo, v[221:222], v[225:226]
	v_dual_cndmask_b32 v202, v202, v219 :: v_dual_cndmask_b32 v201, v201, v218
	v_dual_cndmask_b32 v200, v200, v217 :: v_dual_cndmask_b32 v203, v203, v220
	v_cndmask_b32_e64 v208, v208, s6, vcc_lo
	s_add_i32 s6, s6, 1
	s_cmp_lg_u32 s5, s6
	s_cbranch_scc1 .LBB98_694
.LBB98_695:
	s_set_inst_prefetch_distance 0x2
	s_waitcnt lgkmcnt(0)
	v_cmp_eq_f64_e32 vcc_lo, 0, v[200:201]
	v_cmp_eq_f64_e64 s2, 0, v[202:203]
	s_delay_alu instid0(VALU_DEP_1) | instskip(NEXT) | instid1(SALU_CYCLE_1)
	s_and_b32 s2, vcc_lo, s2
	s_and_saveexec_b32 s3, s2
	s_delay_alu instid0(SALU_CYCLE_1)
	s_xor_b32 s2, exec_lo, s3
; %bb.696:
	v_cmp_ne_u32_e32 vcc_lo, 0, v213
	v_cndmask_b32_e32 v213, 34, v213, vcc_lo
; %bb.697:
	s_and_not1_saveexec_b32 s3, s2
	s_cbranch_execz .LBB98_703
; %bb.698:
	v_cmp_gt_f64_e32 vcc_lo, 0, v[200:201]
	v_cmp_gt_f64_e64 s2, 0, v[202:203]
	v_xor_b32_e32 v209, 0x80000000, v201
	v_xor_b32_e32 v217, 0x80000000, v203
	s_delay_alu instid0(VALU_DEP_2) | instskip(NEXT) | instid1(VALU_DEP_2)
	v_cndmask_b32_e32 v218, v201, v209, vcc_lo
	v_cndmask_b32_e64 v220, v203, v217, s2
	v_cndmask_b32_e32 v217, v200, v200, vcc_lo
	v_cndmask_b32_e64 v219, v202, v202, s2
	s_mov_b32 s2, exec_lo
	s_delay_alu instid0(VALU_DEP_1)
	v_cmpx_ngt_f64_e32 v[217:218], v[219:220]
	s_xor_b32 s2, exec_lo, s2
	s_cbranch_execz .LBB98_700
; %bb.699:
	v_div_scale_f64 v[217:218], null, v[202:203], v[202:203], v[200:201]
	v_div_scale_f64 v[223:224], vcc_lo, v[200:201], v[202:203], v[200:201]
	s_delay_alu instid0(VALU_DEP_2) | instskip(SKIP_2) | instid1(VALU_DEP_1)
	v_rcp_f64_e32 v[219:220], v[217:218]
	s_waitcnt_depctr 0xfff
	v_fma_f64 v[221:222], -v[217:218], v[219:220], 1.0
	v_fma_f64 v[219:220], v[219:220], v[221:222], v[219:220]
	s_delay_alu instid0(VALU_DEP_1) | instskip(NEXT) | instid1(VALU_DEP_1)
	v_fma_f64 v[221:222], -v[217:218], v[219:220], 1.0
	v_fma_f64 v[219:220], v[219:220], v[221:222], v[219:220]
	s_delay_alu instid0(VALU_DEP_1) | instskip(NEXT) | instid1(VALU_DEP_1)
	v_mul_f64 v[221:222], v[223:224], v[219:220]
	v_fma_f64 v[217:218], -v[217:218], v[221:222], v[223:224]
	s_delay_alu instid0(VALU_DEP_1) | instskip(NEXT) | instid1(VALU_DEP_1)
	v_div_fmas_f64 v[217:218], v[217:218], v[219:220], v[221:222]
	v_div_fixup_f64 v[217:218], v[217:218], v[202:203], v[200:201]
	s_delay_alu instid0(VALU_DEP_1) | instskip(NEXT) | instid1(VALU_DEP_1)
	v_fma_f64 v[200:201], v[200:201], v[217:218], v[202:203]
	v_div_scale_f64 v[202:203], null, v[200:201], v[200:201], 1.0
	s_delay_alu instid0(VALU_DEP_1) | instskip(SKIP_2) | instid1(VALU_DEP_1)
	v_rcp_f64_e32 v[219:220], v[202:203]
	s_waitcnt_depctr 0xfff
	v_fma_f64 v[221:222], -v[202:203], v[219:220], 1.0
	v_fma_f64 v[219:220], v[219:220], v[221:222], v[219:220]
	s_delay_alu instid0(VALU_DEP_1) | instskip(NEXT) | instid1(VALU_DEP_1)
	v_fma_f64 v[221:222], -v[202:203], v[219:220], 1.0
	v_fma_f64 v[219:220], v[219:220], v[221:222], v[219:220]
	v_div_scale_f64 v[221:222], vcc_lo, 1.0, v[200:201], 1.0
	s_delay_alu instid0(VALU_DEP_1) | instskip(NEXT) | instid1(VALU_DEP_1)
	v_mul_f64 v[223:224], v[221:222], v[219:220]
	v_fma_f64 v[202:203], -v[202:203], v[223:224], v[221:222]
	s_delay_alu instid0(VALU_DEP_1) | instskip(NEXT) | instid1(VALU_DEP_1)
	v_div_fmas_f64 v[202:203], v[202:203], v[219:220], v[223:224]
	v_div_fixup_f64 v[202:203], v[202:203], v[200:201], 1.0
	s_delay_alu instid0(VALU_DEP_1)
	v_mul_f64 v[200:201], v[217:218], v[202:203]
	v_xor_b32_e32 v203, 0x80000000, v203
.LBB98_700:
	s_and_not1_saveexec_b32 s2, s2
	s_cbranch_execz .LBB98_702
; %bb.701:
	s_delay_alu instid0(VALU_DEP_1) | instskip(SKIP_1) | instid1(VALU_DEP_2)
	v_div_scale_f64 v[217:218], null, v[200:201], v[200:201], v[202:203]
	v_div_scale_f64 v[223:224], vcc_lo, v[202:203], v[200:201], v[202:203]
	v_rcp_f64_e32 v[219:220], v[217:218]
	s_waitcnt_depctr 0xfff
	v_fma_f64 v[221:222], -v[217:218], v[219:220], 1.0
	s_delay_alu instid0(VALU_DEP_1) | instskip(NEXT) | instid1(VALU_DEP_1)
	v_fma_f64 v[219:220], v[219:220], v[221:222], v[219:220]
	v_fma_f64 v[221:222], -v[217:218], v[219:220], 1.0
	s_delay_alu instid0(VALU_DEP_1) | instskip(NEXT) | instid1(VALU_DEP_1)
	v_fma_f64 v[219:220], v[219:220], v[221:222], v[219:220]
	v_mul_f64 v[221:222], v[223:224], v[219:220]
	s_delay_alu instid0(VALU_DEP_1) | instskip(NEXT) | instid1(VALU_DEP_1)
	v_fma_f64 v[217:218], -v[217:218], v[221:222], v[223:224]
	v_div_fmas_f64 v[217:218], v[217:218], v[219:220], v[221:222]
	s_delay_alu instid0(VALU_DEP_1) | instskip(NEXT) | instid1(VALU_DEP_1)
	v_div_fixup_f64 v[217:218], v[217:218], v[200:201], v[202:203]
	v_fma_f64 v[200:201], v[202:203], v[217:218], v[200:201]
	s_delay_alu instid0(VALU_DEP_1) | instskip(NEXT) | instid1(VALU_DEP_1)
	v_div_scale_f64 v[202:203], null, v[200:201], v[200:201], 1.0
	v_rcp_f64_e32 v[219:220], v[202:203]
	s_waitcnt_depctr 0xfff
	v_fma_f64 v[221:222], -v[202:203], v[219:220], 1.0
	s_delay_alu instid0(VALU_DEP_1) | instskip(NEXT) | instid1(VALU_DEP_1)
	v_fma_f64 v[219:220], v[219:220], v[221:222], v[219:220]
	v_fma_f64 v[221:222], -v[202:203], v[219:220], 1.0
	s_delay_alu instid0(VALU_DEP_1) | instskip(SKIP_1) | instid1(VALU_DEP_1)
	v_fma_f64 v[219:220], v[219:220], v[221:222], v[219:220]
	v_div_scale_f64 v[221:222], vcc_lo, 1.0, v[200:201], 1.0
	v_mul_f64 v[223:224], v[221:222], v[219:220]
	s_delay_alu instid0(VALU_DEP_1) | instskip(NEXT) | instid1(VALU_DEP_1)
	v_fma_f64 v[202:203], -v[202:203], v[223:224], v[221:222]
	v_div_fmas_f64 v[202:203], v[202:203], v[219:220], v[223:224]
	s_delay_alu instid0(VALU_DEP_1) | instskip(NEXT) | instid1(VALU_DEP_1)
	v_div_fixup_f64 v[200:201], v[202:203], v[200:201], 1.0
	v_mul_f64 v[202:203], v[217:218], -v[200:201]
.LBB98_702:
	s_or_b32 exec_lo, exec_lo, s2
.LBB98_703:
	s_delay_alu instid0(SALU_CYCLE_1) | instskip(NEXT) | instid1(SALU_CYCLE_1)
	s_or_b32 exec_lo, exec_lo, s3
	s_mov_b32 s2, exec_lo
	v_cmpx_ne_u32_e64 v216, v208
	s_xor_b32 s2, exec_lo, s2
	s_cbranch_execz .LBB98_709
; %bb.704:
	s_mov_b32 s3, exec_lo
	v_cmpx_eq_u32_e32 33, v216
	s_cbranch_execz .LBB98_708
; %bb.705:
	v_cmp_ne_u32_e32 vcc_lo, 33, v208
	s_xor_b32 s6, s4, -1
	s_delay_alu instid0(SALU_CYCLE_1) | instskip(NEXT) | instid1(SALU_CYCLE_1)
	s_and_b32 s7, s6, vcc_lo
	s_and_saveexec_b32 s6, s7
	s_cbranch_execz .LBB98_707
; %bb.706:
	v_ashrrev_i32_e32 v209, 31, v208
	s_delay_alu instid0(VALU_DEP_1) | instskip(NEXT) | instid1(VALU_DEP_1)
	v_lshlrev_b64 v[215:216], 2, v[208:209]
	v_add_co_u32 v215, vcc_lo, v206, v215
	s_delay_alu instid0(VALU_DEP_2)
	v_add_co_ci_u32_e32 v216, vcc_lo, v207, v216, vcc_lo
	s_clause 0x1
	flat_load_b32 v209, v[215:216]
	flat_load_b32 v217, v[206:207] offset:132
	s_waitcnt vmcnt(1) lgkmcnt(1)
	flat_store_b32 v[206:207], v209 offset:132
	s_waitcnt vmcnt(0) lgkmcnt(1)
	flat_store_b32 v[215:216], v217
.LBB98_707:
	s_or_b32 exec_lo, exec_lo, s6
	v_mov_b32_e32 v216, v208
	v_mov_b32_e32 v215, v208
.LBB98_708:
	s_or_b32 exec_lo, exec_lo, s3
.LBB98_709:
	s_and_not1_saveexec_b32 s2, s2
	s_cbranch_execz .LBB98_711
; %bb.710:
	v_mov_b32_e32 v216, 33
	ds_store_2addr_b64 v210, v[60:61], v[62:63] offset0:68 offset1:69
	ds_store_2addr_b64 v210, v[56:57], v[58:59] offset0:70 offset1:71
	;; [unrolled: 1-line block ×16, first 2 shown]
.LBB98_711:
	s_or_b32 exec_lo, exec_lo, s2
	s_delay_alu instid0(SALU_CYCLE_1)
	s_mov_b32 s2, exec_lo
	s_waitcnt lgkmcnt(0)
	s_waitcnt_vscnt null, 0x0
	s_barrier
	buffer_gl0_inv
	v_cmpx_lt_i32_e32 33, v216
	s_cbranch_execz .LBB98_713
; %bb.712:
	v_mul_f64 v[208:209], v[200:201], v[66:67]
	v_mul_f64 v[66:67], v[202:203], v[66:67]
	s_delay_alu instid0(VALU_DEP_2) | instskip(NEXT) | instid1(VALU_DEP_2)
	v_fma_f64 v[208:209], v[202:203], v[64:65], v[208:209]
	v_fma_f64 v[64:65], v[200:201], v[64:65], -v[66:67]
	ds_load_2addr_b64 v[200:203], v210 offset0:68 offset1:69
	s_waitcnt lgkmcnt(0)
	v_mul_f64 v[66:67], v[202:203], v[208:209]
	s_delay_alu instid0(VALU_DEP_1) | instskip(SKIP_1) | instid1(VALU_DEP_2)
	v_fma_f64 v[66:67], v[200:201], v[64:65], -v[66:67]
	v_mul_f64 v[200:201], v[200:201], v[208:209]
	v_add_f64 v[60:61], v[60:61], -v[66:67]
	s_delay_alu instid0(VALU_DEP_2) | instskip(NEXT) | instid1(VALU_DEP_1)
	v_fma_f64 v[200:201], v[202:203], v[64:65], v[200:201]
	v_add_f64 v[62:63], v[62:63], -v[200:201]
	ds_load_2addr_b64 v[200:203], v210 offset0:70 offset1:71
	s_waitcnt lgkmcnt(0)
	v_mul_f64 v[66:67], v[202:203], v[208:209]
	s_delay_alu instid0(VALU_DEP_1) | instskip(SKIP_1) | instid1(VALU_DEP_2)
	v_fma_f64 v[66:67], v[200:201], v[64:65], -v[66:67]
	v_mul_f64 v[200:201], v[200:201], v[208:209]
	v_add_f64 v[56:57], v[56:57], -v[66:67]
	s_delay_alu instid0(VALU_DEP_2) | instskip(NEXT) | instid1(VALU_DEP_1)
	v_fma_f64 v[200:201], v[202:203], v[64:65], v[200:201]
	v_add_f64 v[58:59], v[58:59], -v[200:201]
	;; [unrolled: 10-line block ×15, first 2 shown]
	ds_load_2addr_b64 v[200:203], v210 offset0:98 offset1:99
	s_waitcnt lgkmcnt(0)
	v_mul_f64 v[66:67], v[202:203], v[208:209]
	s_delay_alu instid0(VALU_DEP_1) | instskip(SKIP_1) | instid1(VALU_DEP_2)
	v_fma_f64 v[66:67], v[200:201], v[64:65], -v[66:67]
	v_mul_f64 v[200:201], v[200:201], v[208:209]
	v_add_f64 v[0:1], v[0:1], -v[66:67]
	s_delay_alu instid0(VALU_DEP_2) | instskip(SKIP_1) | instid1(VALU_DEP_2)
	v_fma_f64 v[200:201], v[202:203], v[64:65], v[200:201]
	v_dual_mov_b32 v66, v208 :: v_dual_mov_b32 v67, v209
	v_add_f64 v[2:3], v[2:3], -v[200:201]
.LBB98_713:
	s_or_b32 exec_lo, exec_lo, s2
	v_lshl_add_u32 v200, v216, 4, v210
	s_barrier
	buffer_gl0_inv
	v_mov_b32_e32 v208, 34
	ds_store_2addr_b64 v200, v[60:61], v[62:63] offset1:1
	s_waitcnt lgkmcnt(0)
	s_barrier
	buffer_gl0_inv
	ds_load_2addr_b64 v[200:203], v210 offset0:68 offset1:69
	s_cmp_lt_i32 s5, 36
	s_cbranch_scc1 .LBB98_716
; %bb.714:
	v_add3_u32 v209, v214, 0, 0x230
	v_mov_b32_e32 v208, 34
	s_mov_b32 s6, 35
	s_set_inst_prefetch_distance 0x1
	.p2align	6
.LBB98_715:                             ; =>This Inner Loop Header: Depth=1
	ds_load_2addr_b64 v[217:220], v209 offset1:1
	s_waitcnt lgkmcnt(1)
	v_cmp_gt_f64_e32 vcc_lo, 0, v[200:201]
	v_xor_b32_e32 v221, 0x80000000, v201
	v_cmp_gt_f64_e64 s2, 0, v[202:203]
	v_xor_b32_e32 v223, 0x80000000, v203
	v_add_nc_u32_e32 v209, 16, v209
	s_waitcnt lgkmcnt(0)
	v_cmp_gt_f64_e64 s3, 0, v[217:218]
	v_mov_b32_e32 v225, v217
	v_dual_mov_b32 v227, v219 :: v_dual_cndmask_b32 v222, v201, v221
	v_xor_b32_e32 v221, 0x80000000, v218
	v_cndmask_b32_e64 v224, v203, v223, s2
	v_xor_b32_e32 v223, 0x80000000, v220
	s_delay_alu instid0(VALU_DEP_3) | instskip(SKIP_2) | instid1(VALU_DEP_2)
	v_cndmask_b32_e64 v226, v218, v221, s3
	v_cmp_gt_f64_e64 s3, 0, v[219:220]
	v_cndmask_b32_e32 v221, v200, v200, vcc_lo
	v_cndmask_b32_e64 v228, v220, v223, s3
	v_cndmask_b32_e64 v223, v202, v202, s2
	s_delay_alu instid0(VALU_DEP_2) | instskip(NEXT) | instid1(VALU_DEP_2)
	v_add_f64 v[225:226], v[225:226], v[227:228]
	v_add_f64 v[221:222], v[221:222], v[223:224]
	s_delay_alu instid0(VALU_DEP_1) | instskip(SKIP_4) | instid1(SALU_CYCLE_1)
	v_cmp_lt_f64_e32 vcc_lo, v[221:222], v[225:226]
	v_dual_cndmask_b32 v202, v202, v219 :: v_dual_cndmask_b32 v201, v201, v218
	v_dual_cndmask_b32 v200, v200, v217 :: v_dual_cndmask_b32 v203, v203, v220
	v_cndmask_b32_e64 v208, v208, s6, vcc_lo
	s_add_i32 s6, s6, 1
	s_cmp_lg_u32 s5, s6
	s_cbranch_scc1 .LBB98_715
.LBB98_716:
	s_set_inst_prefetch_distance 0x2
	s_waitcnt lgkmcnt(0)
	v_cmp_eq_f64_e32 vcc_lo, 0, v[200:201]
	v_cmp_eq_f64_e64 s2, 0, v[202:203]
	s_delay_alu instid0(VALU_DEP_1) | instskip(NEXT) | instid1(SALU_CYCLE_1)
	s_and_b32 s2, vcc_lo, s2
	s_and_saveexec_b32 s3, s2
	s_delay_alu instid0(SALU_CYCLE_1)
	s_xor_b32 s2, exec_lo, s3
; %bb.717:
	v_cmp_ne_u32_e32 vcc_lo, 0, v213
	v_cndmask_b32_e32 v213, 35, v213, vcc_lo
; %bb.718:
	s_and_not1_saveexec_b32 s3, s2
	s_cbranch_execz .LBB98_724
; %bb.719:
	v_cmp_gt_f64_e32 vcc_lo, 0, v[200:201]
	v_cmp_gt_f64_e64 s2, 0, v[202:203]
	v_xor_b32_e32 v209, 0x80000000, v201
	v_xor_b32_e32 v217, 0x80000000, v203
	s_delay_alu instid0(VALU_DEP_2) | instskip(NEXT) | instid1(VALU_DEP_2)
	v_cndmask_b32_e32 v218, v201, v209, vcc_lo
	v_cndmask_b32_e64 v220, v203, v217, s2
	v_cndmask_b32_e32 v217, v200, v200, vcc_lo
	v_cndmask_b32_e64 v219, v202, v202, s2
	s_mov_b32 s2, exec_lo
	s_delay_alu instid0(VALU_DEP_1)
	v_cmpx_ngt_f64_e32 v[217:218], v[219:220]
	s_xor_b32 s2, exec_lo, s2
	s_cbranch_execz .LBB98_721
; %bb.720:
	v_div_scale_f64 v[217:218], null, v[202:203], v[202:203], v[200:201]
	v_div_scale_f64 v[223:224], vcc_lo, v[200:201], v[202:203], v[200:201]
	s_delay_alu instid0(VALU_DEP_2) | instskip(SKIP_2) | instid1(VALU_DEP_1)
	v_rcp_f64_e32 v[219:220], v[217:218]
	s_waitcnt_depctr 0xfff
	v_fma_f64 v[221:222], -v[217:218], v[219:220], 1.0
	v_fma_f64 v[219:220], v[219:220], v[221:222], v[219:220]
	s_delay_alu instid0(VALU_DEP_1) | instskip(NEXT) | instid1(VALU_DEP_1)
	v_fma_f64 v[221:222], -v[217:218], v[219:220], 1.0
	v_fma_f64 v[219:220], v[219:220], v[221:222], v[219:220]
	s_delay_alu instid0(VALU_DEP_1) | instskip(NEXT) | instid1(VALU_DEP_1)
	v_mul_f64 v[221:222], v[223:224], v[219:220]
	v_fma_f64 v[217:218], -v[217:218], v[221:222], v[223:224]
	s_delay_alu instid0(VALU_DEP_1) | instskip(NEXT) | instid1(VALU_DEP_1)
	v_div_fmas_f64 v[217:218], v[217:218], v[219:220], v[221:222]
	v_div_fixup_f64 v[217:218], v[217:218], v[202:203], v[200:201]
	s_delay_alu instid0(VALU_DEP_1) | instskip(NEXT) | instid1(VALU_DEP_1)
	v_fma_f64 v[200:201], v[200:201], v[217:218], v[202:203]
	v_div_scale_f64 v[202:203], null, v[200:201], v[200:201], 1.0
	s_delay_alu instid0(VALU_DEP_1) | instskip(SKIP_2) | instid1(VALU_DEP_1)
	v_rcp_f64_e32 v[219:220], v[202:203]
	s_waitcnt_depctr 0xfff
	v_fma_f64 v[221:222], -v[202:203], v[219:220], 1.0
	v_fma_f64 v[219:220], v[219:220], v[221:222], v[219:220]
	s_delay_alu instid0(VALU_DEP_1) | instskip(NEXT) | instid1(VALU_DEP_1)
	v_fma_f64 v[221:222], -v[202:203], v[219:220], 1.0
	v_fma_f64 v[219:220], v[219:220], v[221:222], v[219:220]
	v_div_scale_f64 v[221:222], vcc_lo, 1.0, v[200:201], 1.0
	s_delay_alu instid0(VALU_DEP_1) | instskip(NEXT) | instid1(VALU_DEP_1)
	v_mul_f64 v[223:224], v[221:222], v[219:220]
	v_fma_f64 v[202:203], -v[202:203], v[223:224], v[221:222]
	s_delay_alu instid0(VALU_DEP_1) | instskip(NEXT) | instid1(VALU_DEP_1)
	v_div_fmas_f64 v[202:203], v[202:203], v[219:220], v[223:224]
	v_div_fixup_f64 v[202:203], v[202:203], v[200:201], 1.0
	s_delay_alu instid0(VALU_DEP_1)
	v_mul_f64 v[200:201], v[217:218], v[202:203]
	v_xor_b32_e32 v203, 0x80000000, v203
.LBB98_721:
	s_and_not1_saveexec_b32 s2, s2
	s_cbranch_execz .LBB98_723
; %bb.722:
	s_delay_alu instid0(VALU_DEP_1) | instskip(SKIP_1) | instid1(VALU_DEP_2)
	v_div_scale_f64 v[217:218], null, v[200:201], v[200:201], v[202:203]
	v_div_scale_f64 v[223:224], vcc_lo, v[202:203], v[200:201], v[202:203]
	v_rcp_f64_e32 v[219:220], v[217:218]
	s_waitcnt_depctr 0xfff
	v_fma_f64 v[221:222], -v[217:218], v[219:220], 1.0
	s_delay_alu instid0(VALU_DEP_1) | instskip(NEXT) | instid1(VALU_DEP_1)
	v_fma_f64 v[219:220], v[219:220], v[221:222], v[219:220]
	v_fma_f64 v[221:222], -v[217:218], v[219:220], 1.0
	s_delay_alu instid0(VALU_DEP_1) | instskip(NEXT) | instid1(VALU_DEP_1)
	v_fma_f64 v[219:220], v[219:220], v[221:222], v[219:220]
	v_mul_f64 v[221:222], v[223:224], v[219:220]
	s_delay_alu instid0(VALU_DEP_1) | instskip(NEXT) | instid1(VALU_DEP_1)
	v_fma_f64 v[217:218], -v[217:218], v[221:222], v[223:224]
	v_div_fmas_f64 v[217:218], v[217:218], v[219:220], v[221:222]
	s_delay_alu instid0(VALU_DEP_1) | instskip(NEXT) | instid1(VALU_DEP_1)
	v_div_fixup_f64 v[217:218], v[217:218], v[200:201], v[202:203]
	v_fma_f64 v[200:201], v[202:203], v[217:218], v[200:201]
	s_delay_alu instid0(VALU_DEP_1) | instskip(NEXT) | instid1(VALU_DEP_1)
	v_div_scale_f64 v[202:203], null, v[200:201], v[200:201], 1.0
	v_rcp_f64_e32 v[219:220], v[202:203]
	s_waitcnt_depctr 0xfff
	v_fma_f64 v[221:222], -v[202:203], v[219:220], 1.0
	s_delay_alu instid0(VALU_DEP_1) | instskip(NEXT) | instid1(VALU_DEP_1)
	v_fma_f64 v[219:220], v[219:220], v[221:222], v[219:220]
	v_fma_f64 v[221:222], -v[202:203], v[219:220], 1.0
	s_delay_alu instid0(VALU_DEP_1) | instskip(SKIP_1) | instid1(VALU_DEP_1)
	v_fma_f64 v[219:220], v[219:220], v[221:222], v[219:220]
	v_div_scale_f64 v[221:222], vcc_lo, 1.0, v[200:201], 1.0
	v_mul_f64 v[223:224], v[221:222], v[219:220]
	s_delay_alu instid0(VALU_DEP_1) | instskip(NEXT) | instid1(VALU_DEP_1)
	v_fma_f64 v[202:203], -v[202:203], v[223:224], v[221:222]
	v_div_fmas_f64 v[202:203], v[202:203], v[219:220], v[223:224]
	s_delay_alu instid0(VALU_DEP_1) | instskip(NEXT) | instid1(VALU_DEP_1)
	v_div_fixup_f64 v[200:201], v[202:203], v[200:201], 1.0
	v_mul_f64 v[202:203], v[217:218], -v[200:201]
.LBB98_723:
	s_or_b32 exec_lo, exec_lo, s2
.LBB98_724:
	s_delay_alu instid0(SALU_CYCLE_1) | instskip(NEXT) | instid1(SALU_CYCLE_1)
	s_or_b32 exec_lo, exec_lo, s3
	s_mov_b32 s2, exec_lo
	v_cmpx_ne_u32_e64 v216, v208
	s_xor_b32 s2, exec_lo, s2
	s_cbranch_execz .LBB98_730
; %bb.725:
	s_mov_b32 s3, exec_lo
	v_cmpx_eq_u32_e32 34, v216
	s_cbranch_execz .LBB98_729
; %bb.726:
	v_cmp_ne_u32_e32 vcc_lo, 34, v208
	s_xor_b32 s6, s4, -1
	s_delay_alu instid0(SALU_CYCLE_1) | instskip(NEXT) | instid1(SALU_CYCLE_1)
	s_and_b32 s7, s6, vcc_lo
	s_and_saveexec_b32 s6, s7
	s_cbranch_execz .LBB98_728
; %bb.727:
	v_ashrrev_i32_e32 v209, 31, v208
	s_delay_alu instid0(VALU_DEP_1) | instskip(NEXT) | instid1(VALU_DEP_1)
	v_lshlrev_b64 v[215:216], 2, v[208:209]
	v_add_co_u32 v215, vcc_lo, v206, v215
	s_delay_alu instid0(VALU_DEP_2)
	v_add_co_ci_u32_e32 v216, vcc_lo, v207, v216, vcc_lo
	s_clause 0x1
	flat_load_b32 v209, v[215:216]
	flat_load_b32 v217, v[206:207] offset:136
	s_waitcnt vmcnt(1) lgkmcnt(1)
	flat_store_b32 v[206:207], v209 offset:136
	s_waitcnt vmcnt(0) lgkmcnt(1)
	flat_store_b32 v[215:216], v217
.LBB98_728:
	s_or_b32 exec_lo, exec_lo, s6
	v_mov_b32_e32 v216, v208
	v_mov_b32_e32 v215, v208
.LBB98_729:
	s_or_b32 exec_lo, exec_lo, s3
.LBB98_730:
	s_and_not1_saveexec_b32 s2, s2
	s_cbranch_execz .LBB98_732
; %bb.731:
	v_mov_b32_e32 v216, 34
	ds_store_2addr_b64 v210, v[56:57], v[58:59] offset0:70 offset1:71
	ds_store_2addr_b64 v210, v[52:53], v[54:55] offset0:72 offset1:73
	;; [unrolled: 1-line block ×15, first 2 shown]
.LBB98_732:
	s_or_b32 exec_lo, exec_lo, s2
	s_delay_alu instid0(SALU_CYCLE_1)
	s_mov_b32 s2, exec_lo
	s_waitcnt lgkmcnt(0)
	s_waitcnt_vscnt null, 0x0
	s_barrier
	buffer_gl0_inv
	v_cmpx_lt_i32_e32 34, v216
	s_cbranch_execz .LBB98_734
; %bb.733:
	v_mul_f64 v[208:209], v[200:201], v[62:63]
	v_mul_f64 v[62:63], v[202:203], v[62:63]
	s_delay_alu instid0(VALU_DEP_2) | instskip(NEXT) | instid1(VALU_DEP_2)
	v_fma_f64 v[208:209], v[202:203], v[60:61], v[208:209]
	v_fma_f64 v[60:61], v[200:201], v[60:61], -v[62:63]
	ds_load_2addr_b64 v[200:203], v210 offset0:70 offset1:71
	s_waitcnt lgkmcnt(0)
	v_mul_f64 v[62:63], v[202:203], v[208:209]
	s_delay_alu instid0(VALU_DEP_1) | instskip(SKIP_1) | instid1(VALU_DEP_2)
	v_fma_f64 v[62:63], v[200:201], v[60:61], -v[62:63]
	v_mul_f64 v[200:201], v[200:201], v[208:209]
	v_add_f64 v[56:57], v[56:57], -v[62:63]
	s_delay_alu instid0(VALU_DEP_2) | instskip(NEXT) | instid1(VALU_DEP_1)
	v_fma_f64 v[200:201], v[202:203], v[60:61], v[200:201]
	v_add_f64 v[58:59], v[58:59], -v[200:201]
	ds_load_2addr_b64 v[200:203], v210 offset0:72 offset1:73
	s_waitcnt lgkmcnt(0)
	v_mul_f64 v[62:63], v[202:203], v[208:209]
	s_delay_alu instid0(VALU_DEP_1) | instskip(SKIP_1) | instid1(VALU_DEP_2)
	v_fma_f64 v[62:63], v[200:201], v[60:61], -v[62:63]
	v_mul_f64 v[200:201], v[200:201], v[208:209]
	v_add_f64 v[52:53], v[52:53], -v[62:63]
	s_delay_alu instid0(VALU_DEP_2) | instskip(NEXT) | instid1(VALU_DEP_1)
	v_fma_f64 v[200:201], v[202:203], v[60:61], v[200:201]
	v_add_f64 v[54:55], v[54:55], -v[200:201]
	;; [unrolled: 10-line block ×14, first 2 shown]
	ds_load_2addr_b64 v[200:203], v210 offset0:98 offset1:99
	s_waitcnt lgkmcnt(0)
	v_mul_f64 v[62:63], v[202:203], v[208:209]
	s_delay_alu instid0(VALU_DEP_1) | instskip(SKIP_1) | instid1(VALU_DEP_2)
	v_fma_f64 v[62:63], v[200:201], v[60:61], -v[62:63]
	v_mul_f64 v[200:201], v[200:201], v[208:209]
	v_add_f64 v[0:1], v[0:1], -v[62:63]
	s_delay_alu instid0(VALU_DEP_2) | instskip(SKIP_1) | instid1(VALU_DEP_2)
	v_fma_f64 v[200:201], v[202:203], v[60:61], v[200:201]
	v_dual_mov_b32 v62, v208 :: v_dual_mov_b32 v63, v209
	v_add_f64 v[2:3], v[2:3], -v[200:201]
.LBB98_734:
	s_or_b32 exec_lo, exec_lo, s2
	v_lshl_add_u32 v200, v216, 4, v210
	s_barrier
	buffer_gl0_inv
	v_mov_b32_e32 v208, 35
	ds_store_2addr_b64 v200, v[56:57], v[58:59] offset1:1
	s_waitcnt lgkmcnt(0)
	s_barrier
	buffer_gl0_inv
	ds_load_2addr_b64 v[200:203], v210 offset0:70 offset1:71
	s_cmp_lt_i32 s5, 37
	s_cbranch_scc1 .LBB98_737
; %bb.735:
	v_add3_u32 v209, v214, 0, 0x240
	v_mov_b32_e32 v208, 35
	s_mov_b32 s6, 36
	s_set_inst_prefetch_distance 0x1
	.p2align	6
.LBB98_736:                             ; =>This Inner Loop Header: Depth=1
	ds_load_2addr_b64 v[217:220], v209 offset1:1
	s_waitcnt lgkmcnt(1)
	v_cmp_gt_f64_e32 vcc_lo, 0, v[200:201]
	v_xor_b32_e32 v221, 0x80000000, v201
	v_cmp_gt_f64_e64 s2, 0, v[202:203]
	v_xor_b32_e32 v223, 0x80000000, v203
	v_add_nc_u32_e32 v209, 16, v209
	s_waitcnt lgkmcnt(0)
	v_cmp_gt_f64_e64 s3, 0, v[217:218]
	v_mov_b32_e32 v225, v217
	v_dual_mov_b32 v227, v219 :: v_dual_cndmask_b32 v222, v201, v221
	v_xor_b32_e32 v221, 0x80000000, v218
	v_cndmask_b32_e64 v224, v203, v223, s2
	v_xor_b32_e32 v223, 0x80000000, v220
	s_delay_alu instid0(VALU_DEP_3) | instskip(SKIP_2) | instid1(VALU_DEP_2)
	v_cndmask_b32_e64 v226, v218, v221, s3
	v_cmp_gt_f64_e64 s3, 0, v[219:220]
	v_cndmask_b32_e32 v221, v200, v200, vcc_lo
	v_cndmask_b32_e64 v228, v220, v223, s3
	v_cndmask_b32_e64 v223, v202, v202, s2
	s_delay_alu instid0(VALU_DEP_2) | instskip(NEXT) | instid1(VALU_DEP_2)
	v_add_f64 v[225:226], v[225:226], v[227:228]
	v_add_f64 v[221:222], v[221:222], v[223:224]
	s_delay_alu instid0(VALU_DEP_1) | instskip(SKIP_4) | instid1(SALU_CYCLE_1)
	v_cmp_lt_f64_e32 vcc_lo, v[221:222], v[225:226]
	v_dual_cndmask_b32 v202, v202, v219 :: v_dual_cndmask_b32 v201, v201, v218
	v_dual_cndmask_b32 v200, v200, v217 :: v_dual_cndmask_b32 v203, v203, v220
	v_cndmask_b32_e64 v208, v208, s6, vcc_lo
	s_add_i32 s6, s6, 1
	s_cmp_lg_u32 s5, s6
	s_cbranch_scc1 .LBB98_736
.LBB98_737:
	s_set_inst_prefetch_distance 0x2
	s_waitcnt lgkmcnt(0)
	v_cmp_eq_f64_e32 vcc_lo, 0, v[200:201]
	v_cmp_eq_f64_e64 s2, 0, v[202:203]
	s_delay_alu instid0(VALU_DEP_1) | instskip(NEXT) | instid1(SALU_CYCLE_1)
	s_and_b32 s2, vcc_lo, s2
	s_and_saveexec_b32 s3, s2
	s_delay_alu instid0(SALU_CYCLE_1)
	s_xor_b32 s2, exec_lo, s3
; %bb.738:
	v_cmp_ne_u32_e32 vcc_lo, 0, v213
	v_cndmask_b32_e32 v213, 36, v213, vcc_lo
; %bb.739:
	s_and_not1_saveexec_b32 s3, s2
	s_cbranch_execz .LBB98_745
; %bb.740:
	v_cmp_gt_f64_e32 vcc_lo, 0, v[200:201]
	v_cmp_gt_f64_e64 s2, 0, v[202:203]
	v_xor_b32_e32 v209, 0x80000000, v201
	v_xor_b32_e32 v217, 0x80000000, v203
	s_delay_alu instid0(VALU_DEP_2) | instskip(NEXT) | instid1(VALU_DEP_2)
	v_cndmask_b32_e32 v218, v201, v209, vcc_lo
	v_cndmask_b32_e64 v220, v203, v217, s2
	v_cndmask_b32_e32 v217, v200, v200, vcc_lo
	v_cndmask_b32_e64 v219, v202, v202, s2
	s_mov_b32 s2, exec_lo
	s_delay_alu instid0(VALU_DEP_1)
	v_cmpx_ngt_f64_e32 v[217:218], v[219:220]
	s_xor_b32 s2, exec_lo, s2
	s_cbranch_execz .LBB98_742
; %bb.741:
	v_div_scale_f64 v[217:218], null, v[202:203], v[202:203], v[200:201]
	v_div_scale_f64 v[223:224], vcc_lo, v[200:201], v[202:203], v[200:201]
	s_delay_alu instid0(VALU_DEP_2) | instskip(SKIP_2) | instid1(VALU_DEP_1)
	v_rcp_f64_e32 v[219:220], v[217:218]
	s_waitcnt_depctr 0xfff
	v_fma_f64 v[221:222], -v[217:218], v[219:220], 1.0
	v_fma_f64 v[219:220], v[219:220], v[221:222], v[219:220]
	s_delay_alu instid0(VALU_DEP_1) | instskip(NEXT) | instid1(VALU_DEP_1)
	v_fma_f64 v[221:222], -v[217:218], v[219:220], 1.0
	v_fma_f64 v[219:220], v[219:220], v[221:222], v[219:220]
	s_delay_alu instid0(VALU_DEP_1) | instskip(NEXT) | instid1(VALU_DEP_1)
	v_mul_f64 v[221:222], v[223:224], v[219:220]
	v_fma_f64 v[217:218], -v[217:218], v[221:222], v[223:224]
	s_delay_alu instid0(VALU_DEP_1) | instskip(NEXT) | instid1(VALU_DEP_1)
	v_div_fmas_f64 v[217:218], v[217:218], v[219:220], v[221:222]
	v_div_fixup_f64 v[217:218], v[217:218], v[202:203], v[200:201]
	s_delay_alu instid0(VALU_DEP_1) | instskip(NEXT) | instid1(VALU_DEP_1)
	v_fma_f64 v[200:201], v[200:201], v[217:218], v[202:203]
	v_div_scale_f64 v[202:203], null, v[200:201], v[200:201], 1.0
	s_delay_alu instid0(VALU_DEP_1) | instskip(SKIP_2) | instid1(VALU_DEP_1)
	v_rcp_f64_e32 v[219:220], v[202:203]
	s_waitcnt_depctr 0xfff
	v_fma_f64 v[221:222], -v[202:203], v[219:220], 1.0
	v_fma_f64 v[219:220], v[219:220], v[221:222], v[219:220]
	s_delay_alu instid0(VALU_DEP_1) | instskip(NEXT) | instid1(VALU_DEP_1)
	v_fma_f64 v[221:222], -v[202:203], v[219:220], 1.0
	v_fma_f64 v[219:220], v[219:220], v[221:222], v[219:220]
	v_div_scale_f64 v[221:222], vcc_lo, 1.0, v[200:201], 1.0
	s_delay_alu instid0(VALU_DEP_1) | instskip(NEXT) | instid1(VALU_DEP_1)
	v_mul_f64 v[223:224], v[221:222], v[219:220]
	v_fma_f64 v[202:203], -v[202:203], v[223:224], v[221:222]
	s_delay_alu instid0(VALU_DEP_1) | instskip(NEXT) | instid1(VALU_DEP_1)
	v_div_fmas_f64 v[202:203], v[202:203], v[219:220], v[223:224]
	v_div_fixup_f64 v[202:203], v[202:203], v[200:201], 1.0
	s_delay_alu instid0(VALU_DEP_1)
	v_mul_f64 v[200:201], v[217:218], v[202:203]
	v_xor_b32_e32 v203, 0x80000000, v203
.LBB98_742:
	s_and_not1_saveexec_b32 s2, s2
	s_cbranch_execz .LBB98_744
; %bb.743:
	s_delay_alu instid0(VALU_DEP_1) | instskip(SKIP_1) | instid1(VALU_DEP_2)
	v_div_scale_f64 v[217:218], null, v[200:201], v[200:201], v[202:203]
	v_div_scale_f64 v[223:224], vcc_lo, v[202:203], v[200:201], v[202:203]
	v_rcp_f64_e32 v[219:220], v[217:218]
	s_waitcnt_depctr 0xfff
	v_fma_f64 v[221:222], -v[217:218], v[219:220], 1.0
	s_delay_alu instid0(VALU_DEP_1) | instskip(NEXT) | instid1(VALU_DEP_1)
	v_fma_f64 v[219:220], v[219:220], v[221:222], v[219:220]
	v_fma_f64 v[221:222], -v[217:218], v[219:220], 1.0
	s_delay_alu instid0(VALU_DEP_1) | instskip(NEXT) | instid1(VALU_DEP_1)
	v_fma_f64 v[219:220], v[219:220], v[221:222], v[219:220]
	v_mul_f64 v[221:222], v[223:224], v[219:220]
	s_delay_alu instid0(VALU_DEP_1) | instskip(NEXT) | instid1(VALU_DEP_1)
	v_fma_f64 v[217:218], -v[217:218], v[221:222], v[223:224]
	v_div_fmas_f64 v[217:218], v[217:218], v[219:220], v[221:222]
	s_delay_alu instid0(VALU_DEP_1) | instskip(NEXT) | instid1(VALU_DEP_1)
	v_div_fixup_f64 v[217:218], v[217:218], v[200:201], v[202:203]
	v_fma_f64 v[200:201], v[202:203], v[217:218], v[200:201]
	s_delay_alu instid0(VALU_DEP_1) | instskip(NEXT) | instid1(VALU_DEP_1)
	v_div_scale_f64 v[202:203], null, v[200:201], v[200:201], 1.0
	v_rcp_f64_e32 v[219:220], v[202:203]
	s_waitcnt_depctr 0xfff
	v_fma_f64 v[221:222], -v[202:203], v[219:220], 1.0
	s_delay_alu instid0(VALU_DEP_1) | instskip(NEXT) | instid1(VALU_DEP_1)
	v_fma_f64 v[219:220], v[219:220], v[221:222], v[219:220]
	v_fma_f64 v[221:222], -v[202:203], v[219:220], 1.0
	s_delay_alu instid0(VALU_DEP_1) | instskip(SKIP_1) | instid1(VALU_DEP_1)
	v_fma_f64 v[219:220], v[219:220], v[221:222], v[219:220]
	v_div_scale_f64 v[221:222], vcc_lo, 1.0, v[200:201], 1.0
	v_mul_f64 v[223:224], v[221:222], v[219:220]
	s_delay_alu instid0(VALU_DEP_1) | instskip(NEXT) | instid1(VALU_DEP_1)
	v_fma_f64 v[202:203], -v[202:203], v[223:224], v[221:222]
	v_div_fmas_f64 v[202:203], v[202:203], v[219:220], v[223:224]
	s_delay_alu instid0(VALU_DEP_1) | instskip(NEXT) | instid1(VALU_DEP_1)
	v_div_fixup_f64 v[200:201], v[202:203], v[200:201], 1.0
	v_mul_f64 v[202:203], v[217:218], -v[200:201]
.LBB98_744:
	s_or_b32 exec_lo, exec_lo, s2
.LBB98_745:
	s_delay_alu instid0(SALU_CYCLE_1) | instskip(NEXT) | instid1(SALU_CYCLE_1)
	s_or_b32 exec_lo, exec_lo, s3
	s_mov_b32 s2, exec_lo
	v_cmpx_ne_u32_e64 v216, v208
	s_xor_b32 s2, exec_lo, s2
	s_cbranch_execz .LBB98_751
; %bb.746:
	s_mov_b32 s3, exec_lo
	v_cmpx_eq_u32_e32 35, v216
	s_cbranch_execz .LBB98_750
; %bb.747:
	v_cmp_ne_u32_e32 vcc_lo, 35, v208
	s_xor_b32 s6, s4, -1
	s_delay_alu instid0(SALU_CYCLE_1) | instskip(NEXT) | instid1(SALU_CYCLE_1)
	s_and_b32 s7, s6, vcc_lo
	s_and_saveexec_b32 s6, s7
	s_cbranch_execz .LBB98_749
; %bb.748:
	v_ashrrev_i32_e32 v209, 31, v208
	s_delay_alu instid0(VALU_DEP_1) | instskip(NEXT) | instid1(VALU_DEP_1)
	v_lshlrev_b64 v[215:216], 2, v[208:209]
	v_add_co_u32 v215, vcc_lo, v206, v215
	s_delay_alu instid0(VALU_DEP_2)
	v_add_co_ci_u32_e32 v216, vcc_lo, v207, v216, vcc_lo
	s_clause 0x1
	flat_load_b32 v209, v[215:216]
	flat_load_b32 v217, v[206:207] offset:140
	s_waitcnt vmcnt(1) lgkmcnt(1)
	flat_store_b32 v[206:207], v209 offset:140
	s_waitcnt vmcnt(0) lgkmcnt(1)
	flat_store_b32 v[215:216], v217
.LBB98_749:
	s_or_b32 exec_lo, exec_lo, s6
	v_mov_b32_e32 v216, v208
	v_mov_b32_e32 v215, v208
.LBB98_750:
	s_or_b32 exec_lo, exec_lo, s3
.LBB98_751:
	s_and_not1_saveexec_b32 s2, s2
	s_cbranch_execz .LBB98_753
; %bb.752:
	v_mov_b32_e32 v216, 35
	ds_store_2addr_b64 v210, v[52:53], v[54:55] offset0:72 offset1:73
	ds_store_2addr_b64 v210, v[48:49], v[50:51] offset0:74 offset1:75
	;; [unrolled: 1-line block ×14, first 2 shown]
.LBB98_753:
	s_or_b32 exec_lo, exec_lo, s2
	s_delay_alu instid0(SALU_CYCLE_1)
	s_mov_b32 s2, exec_lo
	s_waitcnt lgkmcnt(0)
	s_waitcnt_vscnt null, 0x0
	s_barrier
	buffer_gl0_inv
	v_cmpx_lt_i32_e32 35, v216
	s_cbranch_execz .LBB98_755
; %bb.754:
	v_mul_f64 v[208:209], v[200:201], v[58:59]
	v_mul_f64 v[58:59], v[202:203], v[58:59]
	s_delay_alu instid0(VALU_DEP_2) | instskip(NEXT) | instid1(VALU_DEP_2)
	v_fma_f64 v[208:209], v[202:203], v[56:57], v[208:209]
	v_fma_f64 v[56:57], v[200:201], v[56:57], -v[58:59]
	ds_load_2addr_b64 v[200:203], v210 offset0:72 offset1:73
	s_waitcnt lgkmcnt(0)
	v_mul_f64 v[58:59], v[202:203], v[208:209]
	s_delay_alu instid0(VALU_DEP_1) | instskip(SKIP_1) | instid1(VALU_DEP_2)
	v_fma_f64 v[58:59], v[200:201], v[56:57], -v[58:59]
	v_mul_f64 v[200:201], v[200:201], v[208:209]
	v_add_f64 v[52:53], v[52:53], -v[58:59]
	s_delay_alu instid0(VALU_DEP_2) | instskip(NEXT) | instid1(VALU_DEP_1)
	v_fma_f64 v[200:201], v[202:203], v[56:57], v[200:201]
	v_add_f64 v[54:55], v[54:55], -v[200:201]
	ds_load_2addr_b64 v[200:203], v210 offset0:74 offset1:75
	s_waitcnt lgkmcnt(0)
	v_mul_f64 v[58:59], v[202:203], v[208:209]
	s_delay_alu instid0(VALU_DEP_1) | instskip(SKIP_1) | instid1(VALU_DEP_2)
	v_fma_f64 v[58:59], v[200:201], v[56:57], -v[58:59]
	v_mul_f64 v[200:201], v[200:201], v[208:209]
	v_add_f64 v[48:49], v[48:49], -v[58:59]
	s_delay_alu instid0(VALU_DEP_2) | instskip(NEXT) | instid1(VALU_DEP_1)
	v_fma_f64 v[200:201], v[202:203], v[56:57], v[200:201]
	v_add_f64 v[50:51], v[50:51], -v[200:201]
	;; [unrolled: 10-line block ×13, first 2 shown]
	ds_load_2addr_b64 v[200:203], v210 offset0:98 offset1:99
	s_waitcnt lgkmcnt(0)
	v_mul_f64 v[58:59], v[202:203], v[208:209]
	s_delay_alu instid0(VALU_DEP_1) | instskip(SKIP_1) | instid1(VALU_DEP_2)
	v_fma_f64 v[58:59], v[200:201], v[56:57], -v[58:59]
	v_mul_f64 v[200:201], v[200:201], v[208:209]
	v_add_f64 v[0:1], v[0:1], -v[58:59]
	s_delay_alu instid0(VALU_DEP_2) | instskip(SKIP_1) | instid1(VALU_DEP_2)
	v_fma_f64 v[200:201], v[202:203], v[56:57], v[200:201]
	v_dual_mov_b32 v58, v208 :: v_dual_mov_b32 v59, v209
	v_add_f64 v[2:3], v[2:3], -v[200:201]
.LBB98_755:
	s_or_b32 exec_lo, exec_lo, s2
	v_lshl_add_u32 v200, v216, 4, v210
	s_barrier
	buffer_gl0_inv
	v_mov_b32_e32 v208, 36
	ds_store_2addr_b64 v200, v[52:53], v[54:55] offset1:1
	s_waitcnt lgkmcnt(0)
	s_barrier
	buffer_gl0_inv
	ds_load_2addr_b64 v[200:203], v210 offset0:72 offset1:73
	s_cmp_lt_i32 s5, 38
	s_cbranch_scc1 .LBB98_758
; %bb.756:
	v_add3_u32 v209, v214, 0, 0x250
	v_mov_b32_e32 v208, 36
	s_mov_b32 s6, 37
	s_set_inst_prefetch_distance 0x1
	.p2align	6
.LBB98_757:                             ; =>This Inner Loop Header: Depth=1
	ds_load_2addr_b64 v[217:220], v209 offset1:1
	s_waitcnt lgkmcnt(1)
	v_cmp_gt_f64_e32 vcc_lo, 0, v[200:201]
	v_xor_b32_e32 v221, 0x80000000, v201
	v_cmp_gt_f64_e64 s2, 0, v[202:203]
	v_xor_b32_e32 v223, 0x80000000, v203
	v_add_nc_u32_e32 v209, 16, v209
	s_waitcnt lgkmcnt(0)
	v_cmp_gt_f64_e64 s3, 0, v[217:218]
	v_mov_b32_e32 v225, v217
	v_dual_mov_b32 v227, v219 :: v_dual_cndmask_b32 v222, v201, v221
	v_xor_b32_e32 v221, 0x80000000, v218
	v_cndmask_b32_e64 v224, v203, v223, s2
	v_xor_b32_e32 v223, 0x80000000, v220
	s_delay_alu instid0(VALU_DEP_3) | instskip(SKIP_2) | instid1(VALU_DEP_2)
	v_cndmask_b32_e64 v226, v218, v221, s3
	v_cmp_gt_f64_e64 s3, 0, v[219:220]
	v_cndmask_b32_e32 v221, v200, v200, vcc_lo
	v_cndmask_b32_e64 v228, v220, v223, s3
	v_cndmask_b32_e64 v223, v202, v202, s2
	s_delay_alu instid0(VALU_DEP_2) | instskip(NEXT) | instid1(VALU_DEP_2)
	v_add_f64 v[225:226], v[225:226], v[227:228]
	v_add_f64 v[221:222], v[221:222], v[223:224]
	s_delay_alu instid0(VALU_DEP_1) | instskip(SKIP_4) | instid1(SALU_CYCLE_1)
	v_cmp_lt_f64_e32 vcc_lo, v[221:222], v[225:226]
	v_dual_cndmask_b32 v202, v202, v219 :: v_dual_cndmask_b32 v201, v201, v218
	v_dual_cndmask_b32 v200, v200, v217 :: v_dual_cndmask_b32 v203, v203, v220
	v_cndmask_b32_e64 v208, v208, s6, vcc_lo
	s_add_i32 s6, s6, 1
	s_cmp_lg_u32 s5, s6
	s_cbranch_scc1 .LBB98_757
.LBB98_758:
	s_set_inst_prefetch_distance 0x2
	s_waitcnt lgkmcnt(0)
	v_cmp_eq_f64_e32 vcc_lo, 0, v[200:201]
	v_cmp_eq_f64_e64 s2, 0, v[202:203]
	s_delay_alu instid0(VALU_DEP_1) | instskip(NEXT) | instid1(SALU_CYCLE_1)
	s_and_b32 s2, vcc_lo, s2
	s_and_saveexec_b32 s3, s2
	s_delay_alu instid0(SALU_CYCLE_1)
	s_xor_b32 s2, exec_lo, s3
; %bb.759:
	v_cmp_ne_u32_e32 vcc_lo, 0, v213
	v_cndmask_b32_e32 v213, 37, v213, vcc_lo
; %bb.760:
	s_and_not1_saveexec_b32 s3, s2
	s_cbranch_execz .LBB98_766
; %bb.761:
	v_cmp_gt_f64_e32 vcc_lo, 0, v[200:201]
	v_cmp_gt_f64_e64 s2, 0, v[202:203]
	v_xor_b32_e32 v209, 0x80000000, v201
	v_xor_b32_e32 v217, 0x80000000, v203
	s_delay_alu instid0(VALU_DEP_2) | instskip(NEXT) | instid1(VALU_DEP_2)
	v_cndmask_b32_e32 v218, v201, v209, vcc_lo
	v_cndmask_b32_e64 v220, v203, v217, s2
	v_cndmask_b32_e32 v217, v200, v200, vcc_lo
	v_cndmask_b32_e64 v219, v202, v202, s2
	s_mov_b32 s2, exec_lo
	s_delay_alu instid0(VALU_DEP_1)
	v_cmpx_ngt_f64_e32 v[217:218], v[219:220]
	s_xor_b32 s2, exec_lo, s2
	s_cbranch_execz .LBB98_763
; %bb.762:
	v_div_scale_f64 v[217:218], null, v[202:203], v[202:203], v[200:201]
	v_div_scale_f64 v[223:224], vcc_lo, v[200:201], v[202:203], v[200:201]
	s_delay_alu instid0(VALU_DEP_2) | instskip(SKIP_2) | instid1(VALU_DEP_1)
	v_rcp_f64_e32 v[219:220], v[217:218]
	s_waitcnt_depctr 0xfff
	v_fma_f64 v[221:222], -v[217:218], v[219:220], 1.0
	v_fma_f64 v[219:220], v[219:220], v[221:222], v[219:220]
	s_delay_alu instid0(VALU_DEP_1) | instskip(NEXT) | instid1(VALU_DEP_1)
	v_fma_f64 v[221:222], -v[217:218], v[219:220], 1.0
	v_fma_f64 v[219:220], v[219:220], v[221:222], v[219:220]
	s_delay_alu instid0(VALU_DEP_1) | instskip(NEXT) | instid1(VALU_DEP_1)
	v_mul_f64 v[221:222], v[223:224], v[219:220]
	v_fma_f64 v[217:218], -v[217:218], v[221:222], v[223:224]
	s_delay_alu instid0(VALU_DEP_1) | instskip(NEXT) | instid1(VALU_DEP_1)
	v_div_fmas_f64 v[217:218], v[217:218], v[219:220], v[221:222]
	v_div_fixup_f64 v[217:218], v[217:218], v[202:203], v[200:201]
	s_delay_alu instid0(VALU_DEP_1) | instskip(NEXT) | instid1(VALU_DEP_1)
	v_fma_f64 v[200:201], v[200:201], v[217:218], v[202:203]
	v_div_scale_f64 v[202:203], null, v[200:201], v[200:201], 1.0
	s_delay_alu instid0(VALU_DEP_1) | instskip(SKIP_2) | instid1(VALU_DEP_1)
	v_rcp_f64_e32 v[219:220], v[202:203]
	s_waitcnt_depctr 0xfff
	v_fma_f64 v[221:222], -v[202:203], v[219:220], 1.0
	v_fma_f64 v[219:220], v[219:220], v[221:222], v[219:220]
	s_delay_alu instid0(VALU_DEP_1) | instskip(NEXT) | instid1(VALU_DEP_1)
	v_fma_f64 v[221:222], -v[202:203], v[219:220], 1.0
	v_fma_f64 v[219:220], v[219:220], v[221:222], v[219:220]
	v_div_scale_f64 v[221:222], vcc_lo, 1.0, v[200:201], 1.0
	s_delay_alu instid0(VALU_DEP_1) | instskip(NEXT) | instid1(VALU_DEP_1)
	v_mul_f64 v[223:224], v[221:222], v[219:220]
	v_fma_f64 v[202:203], -v[202:203], v[223:224], v[221:222]
	s_delay_alu instid0(VALU_DEP_1) | instskip(NEXT) | instid1(VALU_DEP_1)
	v_div_fmas_f64 v[202:203], v[202:203], v[219:220], v[223:224]
	v_div_fixup_f64 v[202:203], v[202:203], v[200:201], 1.0
	s_delay_alu instid0(VALU_DEP_1)
	v_mul_f64 v[200:201], v[217:218], v[202:203]
	v_xor_b32_e32 v203, 0x80000000, v203
.LBB98_763:
	s_and_not1_saveexec_b32 s2, s2
	s_cbranch_execz .LBB98_765
; %bb.764:
	s_delay_alu instid0(VALU_DEP_1) | instskip(SKIP_1) | instid1(VALU_DEP_2)
	v_div_scale_f64 v[217:218], null, v[200:201], v[200:201], v[202:203]
	v_div_scale_f64 v[223:224], vcc_lo, v[202:203], v[200:201], v[202:203]
	v_rcp_f64_e32 v[219:220], v[217:218]
	s_waitcnt_depctr 0xfff
	v_fma_f64 v[221:222], -v[217:218], v[219:220], 1.0
	s_delay_alu instid0(VALU_DEP_1) | instskip(NEXT) | instid1(VALU_DEP_1)
	v_fma_f64 v[219:220], v[219:220], v[221:222], v[219:220]
	v_fma_f64 v[221:222], -v[217:218], v[219:220], 1.0
	s_delay_alu instid0(VALU_DEP_1) | instskip(NEXT) | instid1(VALU_DEP_1)
	v_fma_f64 v[219:220], v[219:220], v[221:222], v[219:220]
	v_mul_f64 v[221:222], v[223:224], v[219:220]
	s_delay_alu instid0(VALU_DEP_1) | instskip(NEXT) | instid1(VALU_DEP_1)
	v_fma_f64 v[217:218], -v[217:218], v[221:222], v[223:224]
	v_div_fmas_f64 v[217:218], v[217:218], v[219:220], v[221:222]
	s_delay_alu instid0(VALU_DEP_1) | instskip(NEXT) | instid1(VALU_DEP_1)
	v_div_fixup_f64 v[217:218], v[217:218], v[200:201], v[202:203]
	v_fma_f64 v[200:201], v[202:203], v[217:218], v[200:201]
	s_delay_alu instid0(VALU_DEP_1) | instskip(NEXT) | instid1(VALU_DEP_1)
	v_div_scale_f64 v[202:203], null, v[200:201], v[200:201], 1.0
	v_rcp_f64_e32 v[219:220], v[202:203]
	s_waitcnt_depctr 0xfff
	v_fma_f64 v[221:222], -v[202:203], v[219:220], 1.0
	s_delay_alu instid0(VALU_DEP_1) | instskip(NEXT) | instid1(VALU_DEP_1)
	v_fma_f64 v[219:220], v[219:220], v[221:222], v[219:220]
	v_fma_f64 v[221:222], -v[202:203], v[219:220], 1.0
	s_delay_alu instid0(VALU_DEP_1) | instskip(SKIP_1) | instid1(VALU_DEP_1)
	v_fma_f64 v[219:220], v[219:220], v[221:222], v[219:220]
	v_div_scale_f64 v[221:222], vcc_lo, 1.0, v[200:201], 1.0
	v_mul_f64 v[223:224], v[221:222], v[219:220]
	s_delay_alu instid0(VALU_DEP_1) | instskip(NEXT) | instid1(VALU_DEP_1)
	v_fma_f64 v[202:203], -v[202:203], v[223:224], v[221:222]
	v_div_fmas_f64 v[202:203], v[202:203], v[219:220], v[223:224]
	s_delay_alu instid0(VALU_DEP_1) | instskip(NEXT) | instid1(VALU_DEP_1)
	v_div_fixup_f64 v[200:201], v[202:203], v[200:201], 1.0
	v_mul_f64 v[202:203], v[217:218], -v[200:201]
.LBB98_765:
	s_or_b32 exec_lo, exec_lo, s2
.LBB98_766:
	s_delay_alu instid0(SALU_CYCLE_1) | instskip(NEXT) | instid1(SALU_CYCLE_1)
	s_or_b32 exec_lo, exec_lo, s3
	s_mov_b32 s2, exec_lo
	v_cmpx_ne_u32_e64 v216, v208
	s_xor_b32 s2, exec_lo, s2
	s_cbranch_execz .LBB98_772
; %bb.767:
	s_mov_b32 s3, exec_lo
	v_cmpx_eq_u32_e32 36, v216
	s_cbranch_execz .LBB98_771
; %bb.768:
	v_cmp_ne_u32_e32 vcc_lo, 36, v208
	s_xor_b32 s6, s4, -1
	s_delay_alu instid0(SALU_CYCLE_1) | instskip(NEXT) | instid1(SALU_CYCLE_1)
	s_and_b32 s7, s6, vcc_lo
	s_and_saveexec_b32 s6, s7
	s_cbranch_execz .LBB98_770
; %bb.769:
	v_ashrrev_i32_e32 v209, 31, v208
	s_delay_alu instid0(VALU_DEP_1) | instskip(NEXT) | instid1(VALU_DEP_1)
	v_lshlrev_b64 v[215:216], 2, v[208:209]
	v_add_co_u32 v215, vcc_lo, v206, v215
	s_delay_alu instid0(VALU_DEP_2)
	v_add_co_ci_u32_e32 v216, vcc_lo, v207, v216, vcc_lo
	s_clause 0x1
	flat_load_b32 v209, v[215:216]
	flat_load_b32 v217, v[206:207] offset:144
	s_waitcnt vmcnt(1) lgkmcnt(1)
	flat_store_b32 v[206:207], v209 offset:144
	s_waitcnt vmcnt(0) lgkmcnt(1)
	flat_store_b32 v[215:216], v217
.LBB98_770:
	s_or_b32 exec_lo, exec_lo, s6
	v_mov_b32_e32 v216, v208
	v_mov_b32_e32 v215, v208
.LBB98_771:
	s_or_b32 exec_lo, exec_lo, s3
.LBB98_772:
	s_and_not1_saveexec_b32 s2, s2
	s_cbranch_execz .LBB98_774
; %bb.773:
	v_mov_b32_e32 v216, 36
	ds_store_2addr_b64 v210, v[48:49], v[50:51] offset0:74 offset1:75
	ds_store_2addr_b64 v210, v[44:45], v[46:47] offset0:76 offset1:77
	;; [unrolled: 1-line block ×13, first 2 shown]
.LBB98_774:
	s_or_b32 exec_lo, exec_lo, s2
	s_delay_alu instid0(SALU_CYCLE_1)
	s_mov_b32 s2, exec_lo
	s_waitcnt lgkmcnt(0)
	s_waitcnt_vscnt null, 0x0
	s_barrier
	buffer_gl0_inv
	v_cmpx_lt_i32_e32 36, v216
	s_cbranch_execz .LBB98_776
; %bb.775:
	v_mul_f64 v[208:209], v[200:201], v[54:55]
	v_mul_f64 v[54:55], v[202:203], v[54:55]
	s_delay_alu instid0(VALU_DEP_2) | instskip(NEXT) | instid1(VALU_DEP_2)
	v_fma_f64 v[208:209], v[202:203], v[52:53], v[208:209]
	v_fma_f64 v[52:53], v[200:201], v[52:53], -v[54:55]
	ds_load_2addr_b64 v[200:203], v210 offset0:74 offset1:75
	s_waitcnt lgkmcnt(0)
	v_mul_f64 v[54:55], v[202:203], v[208:209]
	s_delay_alu instid0(VALU_DEP_1) | instskip(SKIP_1) | instid1(VALU_DEP_2)
	v_fma_f64 v[54:55], v[200:201], v[52:53], -v[54:55]
	v_mul_f64 v[200:201], v[200:201], v[208:209]
	v_add_f64 v[48:49], v[48:49], -v[54:55]
	s_delay_alu instid0(VALU_DEP_2) | instskip(NEXT) | instid1(VALU_DEP_1)
	v_fma_f64 v[200:201], v[202:203], v[52:53], v[200:201]
	v_add_f64 v[50:51], v[50:51], -v[200:201]
	ds_load_2addr_b64 v[200:203], v210 offset0:76 offset1:77
	s_waitcnt lgkmcnt(0)
	v_mul_f64 v[54:55], v[202:203], v[208:209]
	s_delay_alu instid0(VALU_DEP_1) | instskip(SKIP_1) | instid1(VALU_DEP_2)
	v_fma_f64 v[54:55], v[200:201], v[52:53], -v[54:55]
	v_mul_f64 v[200:201], v[200:201], v[208:209]
	v_add_f64 v[44:45], v[44:45], -v[54:55]
	s_delay_alu instid0(VALU_DEP_2) | instskip(NEXT) | instid1(VALU_DEP_1)
	v_fma_f64 v[200:201], v[202:203], v[52:53], v[200:201]
	v_add_f64 v[46:47], v[46:47], -v[200:201]
	;; [unrolled: 10-line block ×12, first 2 shown]
	ds_load_2addr_b64 v[200:203], v210 offset0:98 offset1:99
	s_waitcnt lgkmcnt(0)
	v_mul_f64 v[54:55], v[202:203], v[208:209]
	s_delay_alu instid0(VALU_DEP_1) | instskip(SKIP_1) | instid1(VALU_DEP_2)
	v_fma_f64 v[54:55], v[200:201], v[52:53], -v[54:55]
	v_mul_f64 v[200:201], v[200:201], v[208:209]
	v_add_f64 v[0:1], v[0:1], -v[54:55]
	s_delay_alu instid0(VALU_DEP_2) | instskip(SKIP_1) | instid1(VALU_DEP_2)
	v_fma_f64 v[200:201], v[202:203], v[52:53], v[200:201]
	v_dual_mov_b32 v54, v208 :: v_dual_mov_b32 v55, v209
	v_add_f64 v[2:3], v[2:3], -v[200:201]
.LBB98_776:
	s_or_b32 exec_lo, exec_lo, s2
	v_lshl_add_u32 v200, v216, 4, v210
	s_barrier
	buffer_gl0_inv
	v_mov_b32_e32 v208, 37
	ds_store_2addr_b64 v200, v[48:49], v[50:51] offset1:1
	s_waitcnt lgkmcnt(0)
	s_barrier
	buffer_gl0_inv
	ds_load_2addr_b64 v[200:203], v210 offset0:74 offset1:75
	s_cmp_lt_i32 s5, 39
	s_cbranch_scc1 .LBB98_779
; %bb.777:
	v_add3_u32 v209, v214, 0, 0x260
	v_mov_b32_e32 v208, 37
	s_mov_b32 s6, 38
	s_set_inst_prefetch_distance 0x1
	.p2align	6
.LBB98_778:                             ; =>This Inner Loop Header: Depth=1
	ds_load_2addr_b64 v[217:220], v209 offset1:1
	s_waitcnt lgkmcnt(1)
	v_cmp_gt_f64_e32 vcc_lo, 0, v[200:201]
	v_xor_b32_e32 v221, 0x80000000, v201
	v_cmp_gt_f64_e64 s2, 0, v[202:203]
	v_xor_b32_e32 v223, 0x80000000, v203
	v_add_nc_u32_e32 v209, 16, v209
	s_waitcnt lgkmcnt(0)
	v_cmp_gt_f64_e64 s3, 0, v[217:218]
	v_mov_b32_e32 v225, v217
	v_dual_mov_b32 v227, v219 :: v_dual_cndmask_b32 v222, v201, v221
	v_xor_b32_e32 v221, 0x80000000, v218
	v_cndmask_b32_e64 v224, v203, v223, s2
	v_xor_b32_e32 v223, 0x80000000, v220
	s_delay_alu instid0(VALU_DEP_3) | instskip(SKIP_2) | instid1(VALU_DEP_2)
	v_cndmask_b32_e64 v226, v218, v221, s3
	v_cmp_gt_f64_e64 s3, 0, v[219:220]
	v_cndmask_b32_e32 v221, v200, v200, vcc_lo
	v_cndmask_b32_e64 v228, v220, v223, s3
	v_cndmask_b32_e64 v223, v202, v202, s2
	s_delay_alu instid0(VALU_DEP_2) | instskip(NEXT) | instid1(VALU_DEP_2)
	v_add_f64 v[225:226], v[225:226], v[227:228]
	v_add_f64 v[221:222], v[221:222], v[223:224]
	s_delay_alu instid0(VALU_DEP_1) | instskip(SKIP_4) | instid1(SALU_CYCLE_1)
	v_cmp_lt_f64_e32 vcc_lo, v[221:222], v[225:226]
	v_dual_cndmask_b32 v202, v202, v219 :: v_dual_cndmask_b32 v201, v201, v218
	v_dual_cndmask_b32 v200, v200, v217 :: v_dual_cndmask_b32 v203, v203, v220
	v_cndmask_b32_e64 v208, v208, s6, vcc_lo
	s_add_i32 s6, s6, 1
	s_cmp_lg_u32 s5, s6
	s_cbranch_scc1 .LBB98_778
.LBB98_779:
	s_set_inst_prefetch_distance 0x2
	s_waitcnt lgkmcnt(0)
	v_cmp_eq_f64_e32 vcc_lo, 0, v[200:201]
	v_cmp_eq_f64_e64 s2, 0, v[202:203]
	s_delay_alu instid0(VALU_DEP_1) | instskip(NEXT) | instid1(SALU_CYCLE_1)
	s_and_b32 s2, vcc_lo, s2
	s_and_saveexec_b32 s3, s2
	s_delay_alu instid0(SALU_CYCLE_1)
	s_xor_b32 s2, exec_lo, s3
; %bb.780:
	v_cmp_ne_u32_e32 vcc_lo, 0, v213
	v_cndmask_b32_e32 v213, 38, v213, vcc_lo
; %bb.781:
	s_and_not1_saveexec_b32 s3, s2
	s_cbranch_execz .LBB98_787
; %bb.782:
	v_cmp_gt_f64_e32 vcc_lo, 0, v[200:201]
	v_cmp_gt_f64_e64 s2, 0, v[202:203]
	v_xor_b32_e32 v209, 0x80000000, v201
	v_xor_b32_e32 v217, 0x80000000, v203
	s_delay_alu instid0(VALU_DEP_2) | instskip(NEXT) | instid1(VALU_DEP_2)
	v_cndmask_b32_e32 v218, v201, v209, vcc_lo
	v_cndmask_b32_e64 v220, v203, v217, s2
	v_cndmask_b32_e32 v217, v200, v200, vcc_lo
	v_cndmask_b32_e64 v219, v202, v202, s2
	s_mov_b32 s2, exec_lo
	s_delay_alu instid0(VALU_DEP_1)
	v_cmpx_ngt_f64_e32 v[217:218], v[219:220]
	s_xor_b32 s2, exec_lo, s2
	s_cbranch_execz .LBB98_784
; %bb.783:
	v_div_scale_f64 v[217:218], null, v[202:203], v[202:203], v[200:201]
	v_div_scale_f64 v[223:224], vcc_lo, v[200:201], v[202:203], v[200:201]
	s_delay_alu instid0(VALU_DEP_2) | instskip(SKIP_2) | instid1(VALU_DEP_1)
	v_rcp_f64_e32 v[219:220], v[217:218]
	s_waitcnt_depctr 0xfff
	v_fma_f64 v[221:222], -v[217:218], v[219:220], 1.0
	v_fma_f64 v[219:220], v[219:220], v[221:222], v[219:220]
	s_delay_alu instid0(VALU_DEP_1) | instskip(NEXT) | instid1(VALU_DEP_1)
	v_fma_f64 v[221:222], -v[217:218], v[219:220], 1.0
	v_fma_f64 v[219:220], v[219:220], v[221:222], v[219:220]
	s_delay_alu instid0(VALU_DEP_1) | instskip(NEXT) | instid1(VALU_DEP_1)
	v_mul_f64 v[221:222], v[223:224], v[219:220]
	v_fma_f64 v[217:218], -v[217:218], v[221:222], v[223:224]
	s_delay_alu instid0(VALU_DEP_1) | instskip(NEXT) | instid1(VALU_DEP_1)
	v_div_fmas_f64 v[217:218], v[217:218], v[219:220], v[221:222]
	v_div_fixup_f64 v[217:218], v[217:218], v[202:203], v[200:201]
	s_delay_alu instid0(VALU_DEP_1) | instskip(NEXT) | instid1(VALU_DEP_1)
	v_fma_f64 v[200:201], v[200:201], v[217:218], v[202:203]
	v_div_scale_f64 v[202:203], null, v[200:201], v[200:201], 1.0
	s_delay_alu instid0(VALU_DEP_1) | instskip(SKIP_2) | instid1(VALU_DEP_1)
	v_rcp_f64_e32 v[219:220], v[202:203]
	s_waitcnt_depctr 0xfff
	v_fma_f64 v[221:222], -v[202:203], v[219:220], 1.0
	v_fma_f64 v[219:220], v[219:220], v[221:222], v[219:220]
	s_delay_alu instid0(VALU_DEP_1) | instskip(NEXT) | instid1(VALU_DEP_1)
	v_fma_f64 v[221:222], -v[202:203], v[219:220], 1.0
	v_fma_f64 v[219:220], v[219:220], v[221:222], v[219:220]
	v_div_scale_f64 v[221:222], vcc_lo, 1.0, v[200:201], 1.0
	s_delay_alu instid0(VALU_DEP_1) | instskip(NEXT) | instid1(VALU_DEP_1)
	v_mul_f64 v[223:224], v[221:222], v[219:220]
	v_fma_f64 v[202:203], -v[202:203], v[223:224], v[221:222]
	s_delay_alu instid0(VALU_DEP_1) | instskip(NEXT) | instid1(VALU_DEP_1)
	v_div_fmas_f64 v[202:203], v[202:203], v[219:220], v[223:224]
	v_div_fixup_f64 v[202:203], v[202:203], v[200:201], 1.0
	s_delay_alu instid0(VALU_DEP_1)
	v_mul_f64 v[200:201], v[217:218], v[202:203]
	v_xor_b32_e32 v203, 0x80000000, v203
.LBB98_784:
	s_and_not1_saveexec_b32 s2, s2
	s_cbranch_execz .LBB98_786
; %bb.785:
	s_delay_alu instid0(VALU_DEP_1) | instskip(SKIP_1) | instid1(VALU_DEP_2)
	v_div_scale_f64 v[217:218], null, v[200:201], v[200:201], v[202:203]
	v_div_scale_f64 v[223:224], vcc_lo, v[202:203], v[200:201], v[202:203]
	v_rcp_f64_e32 v[219:220], v[217:218]
	s_waitcnt_depctr 0xfff
	v_fma_f64 v[221:222], -v[217:218], v[219:220], 1.0
	s_delay_alu instid0(VALU_DEP_1) | instskip(NEXT) | instid1(VALU_DEP_1)
	v_fma_f64 v[219:220], v[219:220], v[221:222], v[219:220]
	v_fma_f64 v[221:222], -v[217:218], v[219:220], 1.0
	s_delay_alu instid0(VALU_DEP_1) | instskip(NEXT) | instid1(VALU_DEP_1)
	v_fma_f64 v[219:220], v[219:220], v[221:222], v[219:220]
	v_mul_f64 v[221:222], v[223:224], v[219:220]
	s_delay_alu instid0(VALU_DEP_1) | instskip(NEXT) | instid1(VALU_DEP_1)
	v_fma_f64 v[217:218], -v[217:218], v[221:222], v[223:224]
	v_div_fmas_f64 v[217:218], v[217:218], v[219:220], v[221:222]
	s_delay_alu instid0(VALU_DEP_1) | instskip(NEXT) | instid1(VALU_DEP_1)
	v_div_fixup_f64 v[217:218], v[217:218], v[200:201], v[202:203]
	v_fma_f64 v[200:201], v[202:203], v[217:218], v[200:201]
	s_delay_alu instid0(VALU_DEP_1) | instskip(NEXT) | instid1(VALU_DEP_1)
	v_div_scale_f64 v[202:203], null, v[200:201], v[200:201], 1.0
	v_rcp_f64_e32 v[219:220], v[202:203]
	s_waitcnt_depctr 0xfff
	v_fma_f64 v[221:222], -v[202:203], v[219:220], 1.0
	s_delay_alu instid0(VALU_DEP_1) | instskip(NEXT) | instid1(VALU_DEP_1)
	v_fma_f64 v[219:220], v[219:220], v[221:222], v[219:220]
	v_fma_f64 v[221:222], -v[202:203], v[219:220], 1.0
	s_delay_alu instid0(VALU_DEP_1) | instskip(SKIP_1) | instid1(VALU_DEP_1)
	v_fma_f64 v[219:220], v[219:220], v[221:222], v[219:220]
	v_div_scale_f64 v[221:222], vcc_lo, 1.0, v[200:201], 1.0
	v_mul_f64 v[223:224], v[221:222], v[219:220]
	s_delay_alu instid0(VALU_DEP_1) | instskip(NEXT) | instid1(VALU_DEP_1)
	v_fma_f64 v[202:203], -v[202:203], v[223:224], v[221:222]
	v_div_fmas_f64 v[202:203], v[202:203], v[219:220], v[223:224]
	s_delay_alu instid0(VALU_DEP_1) | instskip(NEXT) | instid1(VALU_DEP_1)
	v_div_fixup_f64 v[200:201], v[202:203], v[200:201], 1.0
	v_mul_f64 v[202:203], v[217:218], -v[200:201]
.LBB98_786:
	s_or_b32 exec_lo, exec_lo, s2
.LBB98_787:
	s_delay_alu instid0(SALU_CYCLE_1) | instskip(NEXT) | instid1(SALU_CYCLE_1)
	s_or_b32 exec_lo, exec_lo, s3
	s_mov_b32 s2, exec_lo
	v_cmpx_ne_u32_e64 v216, v208
	s_xor_b32 s2, exec_lo, s2
	s_cbranch_execz .LBB98_793
; %bb.788:
	s_mov_b32 s3, exec_lo
	v_cmpx_eq_u32_e32 37, v216
	s_cbranch_execz .LBB98_792
; %bb.789:
	v_cmp_ne_u32_e32 vcc_lo, 37, v208
	s_xor_b32 s6, s4, -1
	s_delay_alu instid0(SALU_CYCLE_1) | instskip(NEXT) | instid1(SALU_CYCLE_1)
	s_and_b32 s7, s6, vcc_lo
	s_and_saveexec_b32 s6, s7
	s_cbranch_execz .LBB98_791
; %bb.790:
	v_ashrrev_i32_e32 v209, 31, v208
	s_delay_alu instid0(VALU_DEP_1) | instskip(NEXT) | instid1(VALU_DEP_1)
	v_lshlrev_b64 v[215:216], 2, v[208:209]
	v_add_co_u32 v215, vcc_lo, v206, v215
	s_delay_alu instid0(VALU_DEP_2)
	v_add_co_ci_u32_e32 v216, vcc_lo, v207, v216, vcc_lo
	s_clause 0x1
	flat_load_b32 v209, v[215:216]
	flat_load_b32 v217, v[206:207] offset:148
	s_waitcnt vmcnt(1) lgkmcnt(1)
	flat_store_b32 v[206:207], v209 offset:148
	s_waitcnt vmcnt(0) lgkmcnt(1)
	flat_store_b32 v[215:216], v217
.LBB98_791:
	s_or_b32 exec_lo, exec_lo, s6
	v_mov_b32_e32 v216, v208
	v_mov_b32_e32 v215, v208
.LBB98_792:
	s_or_b32 exec_lo, exec_lo, s3
.LBB98_793:
	s_and_not1_saveexec_b32 s2, s2
	s_cbranch_execz .LBB98_795
; %bb.794:
	v_mov_b32_e32 v216, 37
	ds_store_2addr_b64 v210, v[44:45], v[46:47] offset0:76 offset1:77
	ds_store_2addr_b64 v210, v[40:41], v[42:43] offset0:78 offset1:79
	;; [unrolled: 1-line block ×12, first 2 shown]
.LBB98_795:
	s_or_b32 exec_lo, exec_lo, s2
	s_delay_alu instid0(SALU_CYCLE_1)
	s_mov_b32 s2, exec_lo
	s_waitcnt lgkmcnt(0)
	s_waitcnt_vscnt null, 0x0
	s_barrier
	buffer_gl0_inv
	v_cmpx_lt_i32_e32 37, v216
	s_cbranch_execz .LBB98_797
; %bb.796:
	v_mul_f64 v[208:209], v[200:201], v[50:51]
	v_mul_f64 v[50:51], v[202:203], v[50:51]
	s_delay_alu instid0(VALU_DEP_2) | instskip(NEXT) | instid1(VALU_DEP_2)
	v_fma_f64 v[208:209], v[202:203], v[48:49], v[208:209]
	v_fma_f64 v[48:49], v[200:201], v[48:49], -v[50:51]
	ds_load_2addr_b64 v[200:203], v210 offset0:76 offset1:77
	s_waitcnt lgkmcnt(0)
	v_mul_f64 v[50:51], v[202:203], v[208:209]
	s_delay_alu instid0(VALU_DEP_1) | instskip(SKIP_1) | instid1(VALU_DEP_2)
	v_fma_f64 v[50:51], v[200:201], v[48:49], -v[50:51]
	v_mul_f64 v[200:201], v[200:201], v[208:209]
	v_add_f64 v[44:45], v[44:45], -v[50:51]
	s_delay_alu instid0(VALU_DEP_2) | instskip(NEXT) | instid1(VALU_DEP_1)
	v_fma_f64 v[200:201], v[202:203], v[48:49], v[200:201]
	v_add_f64 v[46:47], v[46:47], -v[200:201]
	ds_load_2addr_b64 v[200:203], v210 offset0:78 offset1:79
	s_waitcnt lgkmcnt(0)
	v_mul_f64 v[50:51], v[202:203], v[208:209]
	s_delay_alu instid0(VALU_DEP_1) | instskip(SKIP_1) | instid1(VALU_DEP_2)
	v_fma_f64 v[50:51], v[200:201], v[48:49], -v[50:51]
	v_mul_f64 v[200:201], v[200:201], v[208:209]
	v_add_f64 v[40:41], v[40:41], -v[50:51]
	s_delay_alu instid0(VALU_DEP_2) | instskip(NEXT) | instid1(VALU_DEP_1)
	v_fma_f64 v[200:201], v[202:203], v[48:49], v[200:201]
	v_add_f64 v[42:43], v[42:43], -v[200:201]
	;; [unrolled: 10-line block ×11, first 2 shown]
	ds_load_2addr_b64 v[200:203], v210 offset0:98 offset1:99
	s_waitcnt lgkmcnt(0)
	v_mul_f64 v[50:51], v[202:203], v[208:209]
	s_delay_alu instid0(VALU_DEP_1) | instskip(SKIP_1) | instid1(VALU_DEP_2)
	v_fma_f64 v[50:51], v[200:201], v[48:49], -v[50:51]
	v_mul_f64 v[200:201], v[200:201], v[208:209]
	v_add_f64 v[0:1], v[0:1], -v[50:51]
	s_delay_alu instid0(VALU_DEP_2) | instskip(SKIP_1) | instid1(VALU_DEP_2)
	v_fma_f64 v[200:201], v[202:203], v[48:49], v[200:201]
	v_dual_mov_b32 v50, v208 :: v_dual_mov_b32 v51, v209
	v_add_f64 v[2:3], v[2:3], -v[200:201]
.LBB98_797:
	s_or_b32 exec_lo, exec_lo, s2
	v_lshl_add_u32 v200, v216, 4, v210
	s_barrier
	buffer_gl0_inv
	v_mov_b32_e32 v208, 38
	ds_store_2addr_b64 v200, v[44:45], v[46:47] offset1:1
	s_waitcnt lgkmcnt(0)
	s_barrier
	buffer_gl0_inv
	ds_load_2addr_b64 v[200:203], v210 offset0:76 offset1:77
	s_cmp_lt_i32 s5, 40
	s_cbranch_scc1 .LBB98_800
; %bb.798:
	v_add3_u32 v209, v214, 0, 0x270
	v_mov_b32_e32 v208, 38
	s_mov_b32 s6, 39
	s_set_inst_prefetch_distance 0x1
	.p2align	6
.LBB98_799:                             ; =>This Inner Loop Header: Depth=1
	ds_load_2addr_b64 v[217:220], v209 offset1:1
	s_waitcnt lgkmcnt(1)
	v_cmp_gt_f64_e32 vcc_lo, 0, v[200:201]
	v_xor_b32_e32 v221, 0x80000000, v201
	v_cmp_gt_f64_e64 s2, 0, v[202:203]
	v_xor_b32_e32 v223, 0x80000000, v203
	v_add_nc_u32_e32 v209, 16, v209
	s_waitcnt lgkmcnt(0)
	v_cmp_gt_f64_e64 s3, 0, v[217:218]
	v_mov_b32_e32 v225, v217
	v_dual_mov_b32 v227, v219 :: v_dual_cndmask_b32 v222, v201, v221
	v_xor_b32_e32 v221, 0x80000000, v218
	v_cndmask_b32_e64 v224, v203, v223, s2
	v_xor_b32_e32 v223, 0x80000000, v220
	s_delay_alu instid0(VALU_DEP_3) | instskip(SKIP_2) | instid1(VALU_DEP_2)
	v_cndmask_b32_e64 v226, v218, v221, s3
	v_cmp_gt_f64_e64 s3, 0, v[219:220]
	v_cndmask_b32_e32 v221, v200, v200, vcc_lo
	v_cndmask_b32_e64 v228, v220, v223, s3
	v_cndmask_b32_e64 v223, v202, v202, s2
	s_delay_alu instid0(VALU_DEP_2) | instskip(NEXT) | instid1(VALU_DEP_2)
	v_add_f64 v[225:226], v[225:226], v[227:228]
	v_add_f64 v[221:222], v[221:222], v[223:224]
	s_delay_alu instid0(VALU_DEP_1) | instskip(SKIP_4) | instid1(SALU_CYCLE_1)
	v_cmp_lt_f64_e32 vcc_lo, v[221:222], v[225:226]
	v_dual_cndmask_b32 v202, v202, v219 :: v_dual_cndmask_b32 v201, v201, v218
	v_dual_cndmask_b32 v200, v200, v217 :: v_dual_cndmask_b32 v203, v203, v220
	v_cndmask_b32_e64 v208, v208, s6, vcc_lo
	s_add_i32 s6, s6, 1
	s_cmp_lg_u32 s5, s6
	s_cbranch_scc1 .LBB98_799
.LBB98_800:
	s_set_inst_prefetch_distance 0x2
	s_waitcnt lgkmcnt(0)
	v_cmp_eq_f64_e32 vcc_lo, 0, v[200:201]
	v_cmp_eq_f64_e64 s2, 0, v[202:203]
	s_delay_alu instid0(VALU_DEP_1) | instskip(NEXT) | instid1(SALU_CYCLE_1)
	s_and_b32 s2, vcc_lo, s2
	s_and_saveexec_b32 s3, s2
	s_delay_alu instid0(SALU_CYCLE_1)
	s_xor_b32 s2, exec_lo, s3
; %bb.801:
	v_cmp_ne_u32_e32 vcc_lo, 0, v213
	v_cndmask_b32_e32 v213, 39, v213, vcc_lo
; %bb.802:
	s_and_not1_saveexec_b32 s3, s2
	s_cbranch_execz .LBB98_808
; %bb.803:
	v_cmp_gt_f64_e32 vcc_lo, 0, v[200:201]
	v_cmp_gt_f64_e64 s2, 0, v[202:203]
	v_xor_b32_e32 v209, 0x80000000, v201
	v_xor_b32_e32 v217, 0x80000000, v203
	s_delay_alu instid0(VALU_DEP_2) | instskip(NEXT) | instid1(VALU_DEP_2)
	v_cndmask_b32_e32 v218, v201, v209, vcc_lo
	v_cndmask_b32_e64 v220, v203, v217, s2
	v_cndmask_b32_e32 v217, v200, v200, vcc_lo
	v_cndmask_b32_e64 v219, v202, v202, s2
	s_mov_b32 s2, exec_lo
	s_delay_alu instid0(VALU_DEP_1)
	v_cmpx_ngt_f64_e32 v[217:218], v[219:220]
	s_xor_b32 s2, exec_lo, s2
	s_cbranch_execz .LBB98_805
; %bb.804:
	v_div_scale_f64 v[217:218], null, v[202:203], v[202:203], v[200:201]
	v_div_scale_f64 v[223:224], vcc_lo, v[200:201], v[202:203], v[200:201]
	s_delay_alu instid0(VALU_DEP_2) | instskip(SKIP_2) | instid1(VALU_DEP_1)
	v_rcp_f64_e32 v[219:220], v[217:218]
	s_waitcnt_depctr 0xfff
	v_fma_f64 v[221:222], -v[217:218], v[219:220], 1.0
	v_fma_f64 v[219:220], v[219:220], v[221:222], v[219:220]
	s_delay_alu instid0(VALU_DEP_1) | instskip(NEXT) | instid1(VALU_DEP_1)
	v_fma_f64 v[221:222], -v[217:218], v[219:220], 1.0
	v_fma_f64 v[219:220], v[219:220], v[221:222], v[219:220]
	s_delay_alu instid0(VALU_DEP_1) | instskip(NEXT) | instid1(VALU_DEP_1)
	v_mul_f64 v[221:222], v[223:224], v[219:220]
	v_fma_f64 v[217:218], -v[217:218], v[221:222], v[223:224]
	s_delay_alu instid0(VALU_DEP_1) | instskip(NEXT) | instid1(VALU_DEP_1)
	v_div_fmas_f64 v[217:218], v[217:218], v[219:220], v[221:222]
	v_div_fixup_f64 v[217:218], v[217:218], v[202:203], v[200:201]
	s_delay_alu instid0(VALU_DEP_1) | instskip(NEXT) | instid1(VALU_DEP_1)
	v_fma_f64 v[200:201], v[200:201], v[217:218], v[202:203]
	v_div_scale_f64 v[202:203], null, v[200:201], v[200:201], 1.0
	s_delay_alu instid0(VALU_DEP_1) | instskip(SKIP_2) | instid1(VALU_DEP_1)
	v_rcp_f64_e32 v[219:220], v[202:203]
	s_waitcnt_depctr 0xfff
	v_fma_f64 v[221:222], -v[202:203], v[219:220], 1.0
	v_fma_f64 v[219:220], v[219:220], v[221:222], v[219:220]
	s_delay_alu instid0(VALU_DEP_1) | instskip(NEXT) | instid1(VALU_DEP_1)
	v_fma_f64 v[221:222], -v[202:203], v[219:220], 1.0
	v_fma_f64 v[219:220], v[219:220], v[221:222], v[219:220]
	v_div_scale_f64 v[221:222], vcc_lo, 1.0, v[200:201], 1.0
	s_delay_alu instid0(VALU_DEP_1) | instskip(NEXT) | instid1(VALU_DEP_1)
	v_mul_f64 v[223:224], v[221:222], v[219:220]
	v_fma_f64 v[202:203], -v[202:203], v[223:224], v[221:222]
	s_delay_alu instid0(VALU_DEP_1) | instskip(NEXT) | instid1(VALU_DEP_1)
	v_div_fmas_f64 v[202:203], v[202:203], v[219:220], v[223:224]
	v_div_fixup_f64 v[202:203], v[202:203], v[200:201], 1.0
	s_delay_alu instid0(VALU_DEP_1)
	v_mul_f64 v[200:201], v[217:218], v[202:203]
	v_xor_b32_e32 v203, 0x80000000, v203
.LBB98_805:
	s_and_not1_saveexec_b32 s2, s2
	s_cbranch_execz .LBB98_807
; %bb.806:
	s_delay_alu instid0(VALU_DEP_1) | instskip(SKIP_1) | instid1(VALU_DEP_2)
	v_div_scale_f64 v[217:218], null, v[200:201], v[200:201], v[202:203]
	v_div_scale_f64 v[223:224], vcc_lo, v[202:203], v[200:201], v[202:203]
	v_rcp_f64_e32 v[219:220], v[217:218]
	s_waitcnt_depctr 0xfff
	v_fma_f64 v[221:222], -v[217:218], v[219:220], 1.0
	s_delay_alu instid0(VALU_DEP_1) | instskip(NEXT) | instid1(VALU_DEP_1)
	v_fma_f64 v[219:220], v[219:220], v[221:222], v[219:220]
	v_fma_f64 v[221:222], -v[217:218], v[219:220], 1.0
	s_delay_alu instid0(VALU_DEP_1) | instskip(NEXT) | instid1(VALU_DEP_1)
	v_fma_f64 v[219:220], v[219:220], v[221:222], v[219:220]
	v_mul_f64 v[221:222], v[223:224], v[219:220]
	s_delay_alu instid0(VALU_DEP_1) | instskip(NEXT) | instid1(VALU_DEP_1)
	v_fma_f64 v[217:218], -v[217:218], v[221:222], v[223:224]
	v_div_fmas_f64 v[217:218], v[217:218], v[219:220], v[221:222]
	s_delay_alu instid0(VALU_DEP_1) | instskip(NEXT) | instid1(VALU_DEP_1)
	v_div_fixup_f64 v[217:218], v[217:218], v[200:201], v[202:203]
	v_fma_f64 v[200:201], v[202:203], v[217:218], v[200:201]
	s_delay_alu instid0(VALU_DEP_1) | instskip(NEXT) | instid1(VALU_DEP_1)
	v_div_scale_f64 v[202:203], null, v[200:201], v[200:201], 1.0
	v_rcp_f64_e32 v[219:220], v[202:203]
	s_waitcnt_depctr 0xfff
	v_fma_f64 v[221:222], -v[202:203], v[219:220], 1.0
	s_delay_alu instid0(VALU_DEP_1) | instskip(NEXT) | instid1(VALU_DEP_1)
	v_fma_f64 v[219:220], v[219:220], v[221:222], v[219:220]
	v_fma_f64 v[221:222], -v[202:203], v[219:220], 1.0
	s_delay_alu instid0(VALU_DEP_1) | instskip(SKIP_1) | instid1(VALU_DEP_1)
	v_fma_f64 v[219:220], v[219:220], v[221:222], v[219:220]
	v_div_scale_f64 v[221:222], vcc_lo, 1.0, v[200:201], 1.0
	v_mul_f64 v[223:224], v[221:222], v[219:220]
	s_delay_alu instid0(VALU_DEP_1) | instskip(NEXT) | instid1(VALU_DEP_1)
	v_fma_f64 v[202:203], -v[202:203], v[223:224], v[221:222]
	v_div_fmas_f64 v[202:203], v[202:203], v[219:220], v[223:224]
	s_delay_alu instid0(VALU_DEP_1) | instskip(NEXT) | instid1(VALU_DEP_1)
	v_div_fixup_f64 v[200:201], v[202:203], v[200:201], 1.0
	v_mul_f64 v[202:203], v[217:218], -v[200:201]
.LBB98_807:
	s_or_b32 exec_lo, exec_lo, s2
.LBB98_808:
	s_delay_alu instid0(SALU_CYCLE_1) | instskip(NEXT) | instid1(SALU_CYCLE_1)
	s_or_b32 exec_lo, exec_lo, s3
	s_mov_b32 s2, exec_lo
	v_cmpx_ne_u32_e64 v216, v208
	s_xor_b32 s2, exec_lo, s2
	s_cbranch_execz .LBB98_814
; %bb.809:
	s_mov_b32 s3, exec_lo
	v_cmpx_eq_u32_e32 38, v216
	s_cbranch_execz .LBB98_813
; %bb.810:
	v_cmp_ne_u32_e32 vcc_lo, 38, v208
	s_xor_b32 s6, s4, -1
	s_delay_alu instid0(SALU_CYCLE_1) | instskip(NEXT) | instid1(SALU_CYCLE_1)
	s_and_b32 s7, s6, vcc_lo
	s_and_saveexec_b32 s6, s7
	s_cbranch_execz .LBB98_812
; %bb.811:
	v_ashrrev_i32_e32 v209, 31, v208
	s_delay_alu instid0(VALU_DEP_1) | instskip(NEXT) | instid1(VALU_DEP_1)
	v_lshlrev_b64 v[215:216], 2, v[208:209]
	v_add_co_u32 v215, vcc_lo, v206, v215
	s_delay_alu instid0(VALU_DEP_2)
	v_add_co_ci_u32_e32 v216, vcc_lo, v207, v216, vcc_lo
	s_clause 0x1
	flat_load_b32 v209, v[215:216]
	flat_load_b32 v217, v[206:207] offset:152
	s_waitcnt vmcnt(1) lgkmcnt(1)
	flat_store_b32 v[206:207], v209 offset:152
	s_waitcnt vmcnt(0) lgkmcnt(1)
	flat_store_b32 v[215:216], v217
.LBB98_812:
	s_or_b32 exec_lo, exec_lo, s6
	v_mov_b32_e32 v216, v208
	v_mov_b32_e32 v215, v208
.LBB98_813:
	s_or_b32 exec_lo, exec_lo, s3
.LBB98_814:
	s_and_not1_saveexec_b32 s2, s2
	s_cbranch_execz .LBB98_816
; %bb.815:
	v_mov_b32_e32 v216, 38
	ds_store_2addr_b64 v210, v[40:41], v[42:43] offset0:78 offset1:79
	ds_store_2addr_b64 v210, v[36:37], v[38:39] offset0:80 offset1:81
	;; [unrolled: 1-line block ×11, first 2 shown]
.LBB98_816:
	s_or_b32 exec_lo, exec_lo, s2
	s_delay_alu instid0(SALU_CYCLE_1)
	s_mov_b32 s2, exec_lo
	s_waitcnt lgkmcnt(0)
	s_waitcnt_vscnt null, 0x0
	s_barrier
	buffer_gl0_inv
	v_cmpx_lt_i32_e32 38, v216
	s_cbranch_execz .LBB98_818
; %bb.817:
	v_mul_f64 v[208:209], v[200:201], v[46:47]
	v_mul_f64 v[46:47], v[202:203], v[46:47]
	s_delay_alu instid0(VALU_DEP_2) | instskip(NEXT) | instid1(VALU_DEP_2)
	v_fma_f64 v[208:209], v[202:203], v[44:45], v[208:209]
	v_fma_f64 v[44:45], v[200:201], v[44:45], -v[46:47]
	ds_load_2addr_b64 v[200:203], v210 offset0:78 offset1:79
	s_waitcnt lgkmcnt(0)
	v_mul_f64 v[46:47], v[202:203], v[208:209]
	s_delay_alu instid0(VALU_DEP_1) | instskip(SKIP_1) | instid1(VALU_DEP_2)
	v_fma_f64 v[46:47], v[200:201], v[44:45], -v[46:47]
	v_mul_f64 v[200:201], v[200:201], v[208:209]
	v_add_f64 v[40:41], v[40:41], -v[46:47]
	s_delay_alu instid0(VALU_DEP_2) | instskip(NEXT) | instid1(VALU_DEP_1)
	v_fma_f64 v[200:201], v[202:203], v[44:45], v[200:201]
	v_add_f64 v[42:43], v[42:43], -v[200:201]
	ds_load_2addr_b64 v[200:203], v210 offset0:80 offset1:81
	s_waitcnt lgkmcnt(0)
	v_mul_f64 v[46:47], v[202:203], v[208:209]
	s_delay_alu instid0(VALU_DEP_1) | instskip(SKIP_1) | instid1(VALU_DEP_2)
	v_fma_f64 v[46:47], v[200:201], v[44:45], -v[46:47]
	v_mul_f64 v[200:201], v[200:201], v[208:209]
	v_add_f64 v[36:37], v[36:37], -v[46:47]
	s_delay_alu instid0(VALU_DEP_2) | instskip(NEXT) | instid1(VALU_DEP_1)
	v_fma_f64 v[200:201], v[202:203], v[44:45], v[200:201]
	v_add_f64 v[38:39], v[38:39], -v[200:201]
	;; [unrolled: 10-line block ×10, first 2 shown]
	ds_load_2addr_b64 v[200:203], v210 offset0:98 offset1:99
	s_waitcnt lgkmcnt(0)
	v_mul_f64 v[46:47], v[202:203], v[208:209]
	s_delay_alu instid0(VALU_DEP_1) | instskip(SKIP_1) | instid1(VALU_DEP_2)
	v_fma_f64 v[46:47], v[200:201], v[44:45], -v[46:47]
	v_mul_f64 v[200:201], v[200:201], v[208:209]
	v_add_f64 v[0:1], v[0:1], -v[46:47]
	s_delay_alu instid0(VALU_DEP_2) | instskip(SKIP_1) | instid1(VALU_DEP_2)
	v_fma_f64 v[200:201], v[202:203], v[44:45], v[200:201]
	v_dual_mov_b32 v46, v208 :: v_dual_mov_b32 v47, v209
	v_add_f64 v[2:3], v[2:3], -v[200:201]
.LBB98_818:
	s_or_b32 exec_lo, exec_lo, s2
	v_lshl_add_u32 v200, v216, 4, v210
	s_barrier
	buffer_gl0_inv
	v_mov_b32_e32 v208, 39
	ds_store_2addr_b64 v200, v[40:41], v[42:43] offset1:1
	s_waitcnt lgkmcnt(0)
	s_barrier
	buffer_gl0_inv
	ds_load_2addr_b64 v[200:203], v210 offset0:78 offset1:79
	s_cmp_lt_i32 s5, 41
	s_cbranch_scc1 .LBB98_821
; %bb.819:
	v_add3_u32 v209, v214, 0, 0x280
	v_mov_b32_e32 v208, 39
	s_mov_b32 s6, 40
	s_set_inst_prefetch_distance 0x1
	.p2align	6
.LBB98_820:                             ; =>This Inner Loop Header: Depth=1
	ds_load_2addr_b64 v[217:220], v209 offset1:1
	s_waitcnt lgkmcnt(1)
	v_cmp_gt_f64_e32 vcc_lo, 0, v[200:201]
	v_xor_b32_e32 v221, 0x80000000, v201
	v_cmp_gt_f64_e64 s2, 0, v[202:203]
	v_xor_b32_e32 v223, 0x80000000, v203
	v_add_nc_u32_e32 v209, 16, v209
	s_waitcnt lgkmcnt(0)
	v_cmp_gt_f64_e64 s3, 0, v[217:218]
	v_mov_b32_e32 v225, v217
	v_dual_mov_b32 v227, v219 :: v_dual_cndmask_b32 v222, v201, v221
	v_xor_b32_e32 v221, 0x80000000, v218
	v_cndmask_b32_e64 v224, v203, v223, s2
	v_xor_b32_e32 v223, 0x80000000, v220
	s_delay_alu instid0(VALU_DEP_3) | instskip(SKIP_2) | instid1(VALU_DEP_2)
	v_cndmask_b32_e64 v226, v218, v221, s3
	v_cmp_gt_f64_e64 s3, 0, v[219:220]
	v_cndmask_b32_e32 v221, v200, v200, vcc_lo
	v_cndmask_b32_e64 v228, v220, v223, s3
	v_cndmask_b32_e64 v223, v202, v202, s2
	s_delay_alu instid0(VALU_DEP_2) | instskip(NEXT) | instid1(VALU_DEP_2)
	v_add_f64 v[225:226], v[225:226], v[227:228]
	v_add_f64 v[221:222], v[221:222], v[223:224]
	s_delay_alu instid0(VALU_DEP_1) | instskip(SKIP_4) | instid1(SALU_CYCLE_1)
	v_cmp_lt_f64_e32 vcc_lo, v[221:222], v[225:226]
	v_dual_cndmask_b32 v202, v202, v219 :: v_dual_cndmask_b32 v201, v201, v218
	v_dual_cndmask_b32 v200, v200, v217 :: v_dual_cndmask_b32 v203, v203, v220
	v_cndmask_b32_e64 v208, v208, s6, vcc_lo
	s_add_i32 s6, s6, 1
	s_cmp_lg_u32 s5, s6
	s_cbranch_scc1 .LBB98_820
.LBB98_821:
	s_set_inst_prefetch_distance 0x2
	s_waitcnt lgkmcnt(0)
	v_cmp_eq_f64_e32 vcc_lo, 0, v[200:201]
	v_cmp_eq_f64_e64 s2, 0, v[202:203]
	s_delay_alu instid0(VALU_DEP_1) | instskip(NEXT) | instid1(SALU_CYCLE_1)
	s_and_b32 s2, vcc_lo, s2
	s_and_saveexec_b32 s3, s2
	s_delay_alu instid0(SALU_CYCLE_1)
	s_xor_b32 s2, exec_lo, s3
; %bb.822:
	v_cmp_ne_u32_e32 vcc_lo, 0, v213
	v_cndmask_b32_e32 v213, 40, v213, vcc_lo
; %bb.823:
	s_and_not1_saveexec_b32 s3, s2
	s_cbranch_execz .LBB98_829
; %bb.824:
	v_cmp_gt_f64_e32 vcc_lo, 0, v[200:201]
	v_cmp_gt_f64_e64 s2, 0, v[202:203]
	v_xor_b32_e32 v209, 0x80000000, v201
	v_xor_b32_e32 v217, 0x80000000, v203
	s_delay_alu instid0(VALU_DEP_2) | instskip(NEXT) | instid1(VALU_DEP_2)
	v_cndmask_b32_e32 v218, v201, v209, vcc_lo
	v_cndmask_b32_e64 v220, v203, v217, s2
	v_cndmask_b32_e32 v217, v200, v200, vcc_lo
	v_cndmask_b32_e64 v219, v202, v202, s2
	s_mov_b32 s2, exec_lo
	s_delay_alu instid0(VALU_DEP_1)
	v_cmpx_ngt_f64_e32 v[217:218], v[219:220]
	s_xor_b32 s2, exec_lo, s2
	s_cbranch_execz .LBB98_826
; %bb.825:
	v_div_scale_f64 v[217:218], null, v[202:203], v[202:203], v[200:201]
	v_div_scale_f64 v[223:224], vcc_lo, v[200:201], v[202:203], v[200:201]
	s_delay_alu instid0(VALU_DEP_2) | instskip(SKIP_2) | instid1(VALU_DEP_1)
	v_rcp_f64_e32 v[219:220], v[217:218]
	s_waitcnt_depctr 0xfff
	v_fma_f64 v[221:222], -v[217:218], v[219:220], 1.0
	v_fma_f64 v[219:220], v[219:220], v[221:222], v[219:220]
	s_delay_alu instid0(VALU_DEP_1) | instskip(NEXT) | instid1(VALU_DEP_1)
	v_fma_f64 v[221:222], -v[217:218], v[219:220], 1.0
	v_fma_f64 v[219:220], v[219:220], v[221:222], v[219:220]
	s_delay_alu instid0(VALU_DEP_1) | instskip(NEXT) | instid1(VALU_DEP_1)
	v_mul_f64 v[221:222], v[223:224], v[219:220]
	v_fma_f64 v[217:218], -v[217:218], v[221:222], v[223:224]
	s_delay_alu instid0(VALU_DEP_1) | instskip(NEXT) | instid1(VALU_DEP_1)
	v_div_fmas_f64 v[217:218], v[217:218], v[219:220], v[221:222]
	v_div_fixup_f64 v[217:218], v[217:218], v[202:203], v[200:201]
	s_delay_alu instid0(VALU_DEP_1) | instskip(NEXT) | instid1(VALU_DEP_1)
	v_fma_f64 v[200:201], v[200:201], v[217:218], v[202:203]
	v_div_scale_f64 v[202:203], null, v[200:201], v[200:201], 1.0
	s_delay_alu instid0(VALU_DEP_1) | instskip(SKIP_2) | instid1(VALU_DEP_1)
	v_rcp_f64_e32 v[219:220], v[202:203]
	s_waitcnt_depctr 0xfff
	v_fma_f64 v[221:222], -v[202:203], v[219:220], 1.0
	v_fma_f64 v[219:220], v[219:220], v[221:222], v[219:220]
	s_delay_alu instid0(VALU_DEP_1) | instskip(NEXT) | instid1(VALU_DEP_1)
	v_fma_f64 v[221:222], -v[202:203], v[219:220], 1.0
	v_fma_f64 v[219:220], v[219:220], v[221:222], v[219:220]
	v_div_scale_f64 v[221:222], vcc_lo, 1.0, v[200:201], 1.0
	s_delay_alu instid0(VALU_DEP_1) | instskip(NEXT) | instid1(VALU_DEP_1)
	v_mul_f64 v[223:224], v[221:222], v[219:220]
	v_fma_f64 v[202:203], -v[202:203], v[223:224], v[221:222]
	s_delay_alu instid0(VALU_DEP_1) | instskip(NEXT) | instid1(VALU_DEP_1)
	v_div_fmas_f64 v[202:203], v[202:203], v[219:220], v[223:224]
	v_div_fixup_f64 v[202:203], v[202:203], v[200:201], 1.0
	s_delay_alu instid0(VALU_DEP_1)
	v_mul_f64 v[200:201], v[217:218], v[202:203]
	v_xor_b32_e32 v203, 0x80000000, v203
.LBB98_826:
	s_and_not1_saveexec_b32 s2, s2
	s_cbranch_execz .LBB98_828
; %bb.827:
	s_delay_alu instid0(VALU_DEP_1) | instskip(SKIP_1) | instid1(VALU_DEP_2)
	v_div_scale_f64 v[217:218], null, v[200:201], v[200:201], v[202:203]
	v_div_scale_f64 v[223:224], vcc_lo, v[202:203], v[200:201], v[202:203]
	v_rcp_f64_e32 v[219:220], v[217:218]
	s_waitcnt_depctr 0xfff
	v_fma_f64 v[221:222], -v[217:218], v[219:220], 1.0
	s_delay_alu instid0(VALU_DEP_1) | instskip(NEXT) | instid1(VALU_DEP_1)
	v_fma_f64 v[219:220], v[219:220], v[221:222], v[219:220]
	v_fma_f64 v[221:222], -v[217:218], v[219:220], 1.0
	s_delay_alu instid0(VALU_DEP_1) | instskip(NEXT) | instid1(VALU_DEP_1)
	v_fma_f64 v[219:220], v[219:220], v[221:222], v[219:220]
	v_mul_f64 v[221:222], v[223:224], v[219:220]
	s_delay_alu instid0(VALU_DEP_1) | instskip(NEXT) | instid1(VALU_DEP_1)
	v_fma_f64 v[217:218], -v[217:218], v[221:222], v[223:224]
	v_div_fmas_f64 v[217:218], v[217:218], v[219:220], v[221:222]
	s_delay_alu instid0(VALU_DEP_1) | instskip(NEXT) | instid1(VALU_DEP_1)
	v_div_fixup_f64 v[217:218], v[217:218], v[200:201], v[202:203]
	v_fma_f64 v[200:201], v[202:203], v[217:218], v[200:201]
	s_delay_alu instid0(VALU_DEP_1) | instskip(NEXT) | instid1(VALU_DEP_1)
	v_div_scale_f64 v[202:203], null, v[200:201], v[200:201], 1.0
	v_rcp_f64_e32 v[219:220], v[202:203]
	s_waitcnt_depctr 0xfff
	v_fma_f64 v[221:222], -v[202:203], v[219:220], 1.0
	s_delay_alu instid0(VALU_DEP_1) | instskip(NEXT) | instid1(VALU_DEP_1)
	v_fma_f64 v[219:220], v[219:220], v[221:222], v[219:220]
	v_fma_f64 v[221:222], -v[202:203], v[219:220], 1.0
	s_delay_alu instid0(VALU_DEP_1) | instskip(SKIP_1) | instid1(VALU_DEP_1)
	v_fma_f64 v[219:220], v[219:220], v[221:222], v[219:220]
	v_div_scale_f64 v[221:222], vcc_lo, 1.0, v[200:201], 1.0
	v_mul_f64 v[223:224], v[221:222], v[219:220]
	s_delay_alu instid0(VALU_DEP_1) | instskip(NEXT) | instid1(VALU_DEP_1)
	v_fma_f64 v[202:203], -v[202:203], v[223:224], v[221:222]
	v_div_fmas_f64 v[202:203], v[202:203], v[219:220], v[223:224]
	s_delay_alu instid0(VALU_DEP_1) | instskip(NEXT) | instid1(VALU_DEP_1)
	v_div_fixup_f64 v[200:201], v[202:203], v[200:201], 1.0
	v_mul_f64 v[202:203], v[217:218], -v[200:201]
.LBB98_828:
	s_or_b32 exec_lo, exec_lo, s2
.LBB98_829:
	s_delay_alu instid0(SALU_CYCLE_1) | instskip(NEXT) | instid1(SALU_CYCLE_1)
	s_or_b32 exec_lo, exec_lo, s3
	s_mov_b32 s2, exec_lo
	v_cmpx_ne_u32_e64 v216, v208
	s_xor_b32 s2, exec_lo, s2
	s_cbranch_execz .LBB98_835
; %bb.830:
	s_mov_b32 s3, exec_lo
	v_cmpx_eq_u32_e32 39, v216
	s_cbranch_execz .LBB98_834
; %bb.831:
	v_cmp_ne_u32_e32 vcc_lo, 39, v208
	s_xor_b32 s6, s4, -1
	s_delay_alu instid0(SALU_CYCLE_1) | instskip(NEXT) | instid1(SALU_CYCLE_1)
	s_and_b32 s7, s6, vcc_lo
	s_and_saveexec_b32 s6, s7
	s_cbranch_execz .LBB98_833
; %bb.832:
	v_ashrrev_i32_e32 v209, 31, v208
	s_delay_alu instid0(VALU_DEP_1) | instskip(NEXT) | instid1(VALU_DEP_1)
	v_lshlrev_b64 v[215:216], 2, v[208:209]
	v_add_co_u32 v215, vcc_lo, v206, v215
	s_delay_alu instid0(VALU_DEP_2)
	v_add_co_ci_u32_e32 v216, vcc_lo, v207, v216, vcc_lo
	s_clause 0x1
	flat_load_b32 v209, v[215:216]
	flat_load_b32 v217, v[206:207] offset:156
	s_waitcnt vmcnt(1) lgkmcnt(1)
	flat_store_b32 v[206:207], v209 offset:156
	s_waitcnt vmcnt(0) lgkmcnt(1)
	flat_store_b32 v[215:216], v217
.LBB98_833:
	s_or_b32 exec_lo, exec_lo, s6
	v_mov_b32_e32 v216, v208
	v_mov_b32_e32 v215, v208
.LBB98_834:
	s_or_b32 exec_lo, exec_lo, s3
.LBB98_835:
	s_and_not1_saveexec_b32 s2, s2
	s_cbranch_execz .LBB98_837
; %bb.836:
	v_mov_b32_e32 v216, 39
	ds_store_2addr_b64 v210, v[36:37], v[38:39] offset0:80 offset1:81
	ds_store_2addr_b64 v210, v[32:33], v[34:35] offset0:82 offset1:83
	;; [unrolled: 1-line block ×10, first 2 shown]
.LBB98_837:
	s_or_b32 exec_lo, exec_lo, s2
	s_delay_alu instid0(SALU_CYCLE_1)
	s_mov_b32 s2, exec_lo
	s_waitcnt lgkmcnt(0)
	s_waitcnt_vscnt null, 0x0
	s_barrier
	buffer_gl0_inv
	v_cmpx_lt_i32_e32 39, v216
	s_cbranch_execz .LBB98_839
; %bb.838:
	v_mul_f64 v[208:209], v[200:201], v[42:43]
	v_mul_f64 v[42:43], v[202:203], v[42:43]
	s_delay_alu instid0(VALU_DEP_2) | instskip(NEXT) | instid1(VALU_DEP_2)
	v_fma_f64 v[208:209], v[202:203], v[40:41], v[208:209]
	v_fma_f64 v[40:41], v[200:201], v[40:41], -v[42:43]
	ds_load_2addr_b64 v[200:203], v210 offset0:80 offset1:81
	s_waitcnt lgkmcnt(0)
	v_mul_f64 v[42:43], v[202:203], v[208:209]
	s_delay_alu instid0(VALU_DEP_1) | instskip(SKIP_1) | instid1(VALU_DEP_2)
	v_fma_f64 v[42:43], v[200:201], v[40:41], -v[42:43]
	v_mul_f64 v[200:201], v[200:201], v[208:209]
	v_add_f64 v[36:37], v[36:37], -v[42:43]
	s_delay_alu instid0(VALU_DEP_2) | instskip(NEXT) | instid1(VALU_DEP_1)
	v_fma_f64 v[200:201], v[202:203], v[40:41], v[200:201]
	v_add_f64 v[38:39], v[38:39], -v[200:201]
	ds_load_2addr_b64 v[200:203], v210 offset0:82 offset1:83
	s_waitcnt lgkmcnt(0)
	v_mul_f64 v[42:43], v[202:203], v[208:209]
	s_delay_alu instid0(VALU_DEP_1) | instskip(SKIP_1) | instid1(VALU_DEP_2)
	v_fma_f64 v[42:43], v[200:201], v[40:41], -v[42:43]
	v_mul_f64 v[200:201], v[200:201], v[208:209]
	v_add_f64 v[32:33], v[32:33], -v[42:43]
	s_delay_alu instid0(VALU_DEP_2) | instskip(NEXT) | instid1(VALU_DEP_1)
	v_fma_f64 v[200:201], v[202:203], v[40:41], v[200:201]
	v_add_f64 v[34:35], v[34:35], -v[200:201]
	ds_load_2addr_b64 v[200:203], v210 offset0:84 offset1:85
	s_waitcnt lgkmcnt(0)
	v_mul_f64 v[42:43], v[202:203], v[208:209]
	s_delay_alu instid0(VALU_DEP_1) | instskip(SKIP_1) | instid1(VALU_DEP_2)
	v_fma_f64 v[42:43], v[200:201], v[40:41], -v[42:43]
	v_mul_f64 v[200:201], v[200:201], v[208:209]
	v_add_f64 v[28:29], v[28:29], -v[42:43]
	s_delay_alu instid0(VALU_DEP_2) | instskip(NEXT) | instid1(VALU_DEP_1)
	v_fma_f64 v[200:201], v[202:203], v[40:41], v[200:201]
	v_add_f64 v[30:31], v[30:31], -v[200:201]
	ds_load_2addr_b64 v[200:203], v210 offset0:86 offset1:87
	s_waitcnt lgkmcnt(0)
	v_mul_f64 v[42:43], v[202:203], v[208:209]
	s_delay_alu instid0(VALU_DEP_1) | instskip(SKIP_1) | instid1(VALU_DEP_2)
	v_fma_f64 v[42:43], v[200:201], v[40:41], -v[42:43]
	v_mul_f64 v[200:201], v[200:201], v[208:209]
	v_add_f64 v[24:25], v[24:25], -v[42:43]
	s_delay_alu instid0(VALU_DEP_2) | instskip(NEXT) | instid1(VALU_DEP_1)
	v_fma_f64 v[200:201], v[202:203], v[40:41], v[200:201]
	v_add_f64 v[26:27], v[26:27], -v[200:201]
	ds_load_2addr_b64 v[200:203], v210 offset0:88 offset1:89
	s_waitcnt lgkmcnt(0)
	v_mul_f64 v[42:43], v[202:203], v[208:209]
	s_delay_alu instid0(VALU_DEP_1) | instskip(SKIP_1) | instid1(VALU_DEP_2)
	v_fma_f64 v[42:43], v[200:201], v[40:41], -v[42:43]
	v_mul_f64 v[200:201], v[200:201], v[208:209]
	v_add_f64 v[20:21], v[20:21], -v[42:43]
	s_delay_alu instid0(VALU_DEP_2) | instskip(NEXT) | instid1(VALU_DEP_1)
	v_fma_f64 v[200:201], v[202:203], v[40:41], v[200:201]
	v_add_f64 v[22:23], v[22:23], -v[200:201]
	ds_load_2addr_b64 v[200:203], v210 offset0:90 offset1:91
	s_waitcnt lgkmcnt(0)
	v_mul_f64 v[42:43], v[202:203], v[208:209]
	s_delay_alu instid0(VALU_DEP_1) | instskip(SKIP_1) | instid1(VALU_DEP_2)
	v_fma_f64 v[42:43], v[200:201], v[40:41], -v[42:43]
	v_mul_f64 v[200:201], v[200:201], v[208:209]
	v_add_f64 v[16:17], v[16:17], -v[42:43]
	s_delay_alu instid0(VALU_DEP_2) | instskip(NEXT) | instid1(VALU_DEP_1)
	v_fma_f64 v[200:201], v[202:203], v[40:41], v[200:201]
	v_add_f64 v[18:19], v[18:19], -v[200:201]
	ds_load_2addr_b64 v[200:203], v210 offset0:92 offset1:93
	s_waitcnt lgkmcnt(0)
	v_mul_f64 v[42:43], v[202:203], v[208:209]
	s_delay_alu instid0(VALU_DEP_1) | instskip(SKIP_1) | instid1(VALU_DEP_2)
	v_fma_f64 v[42:43], v[200:201], v[40:41], -v[42:43]
	v_mul_f64 v[200:201], v[200:201], v[208:209]
	v_add_f64 v[12:13], v[12:13], -v[42:43]
	s_delay_alu instid0(VALU_DEP_2) | instskip(NEXT) | instid1(VALU_DEP_1)
	v_fma_f64 v[200:201], v[202:203], v[40:41], v[200:201]
	v_add_f64 v[14:15], v[14:15], -v[200:201]
	ds_load_2addr_b64 v[200:203], v210 offset0:94 offset1:95
	s_waitcnt lgkmcnt(0)
	v_mul_f64 v[42:43], v[202:203], v[208:209]
	s_delay_alu instid0(VALU_DEP_1) | instskip(SKIP_1) | instid1(VALU_DEP_2)
	v_fma_f64 v[42:43], v[200:201], v[40:41], -v[42:43]
	v_mul_f64 v[200:201], v[200:201], v[208:209]
	v_add_f64 v[8:9], v[8:9], -v[42:43]
	s_delay_alu instid0(VALU_DEP_2) | instskip(NEXT) | instid1(VALU_DEP_1)
	v_fma_f64 v[200:201], v[202:203], v[40:41], v[200:201]
	v_add_f64 v[10:11], v[10:11], -v[200:201]
	ds_load_2addr_b64 v[200:203], v210 offset0:96 offset1:97
	s_waitcnt lgkmcnt(0)
	v_mul_f64 v[42:43], v[202:203], v[208:209]
	s_delay_alu instid0(VALU_DEP_1) | instskip(SKIP_1) | instid1(VALU_DEP_2)
	v_fma_f64 v[42:43], v[200:201], v[40:41], -v[42:43]
	v_mul_f64 v[200:201], v[200:201], v[208:209]
	v_add_f64 v[4:5], v[4:5], -v[42:43]
	s_delay_alu instid0(VALU_DEP_2) | instskip(NEXT) | instid1(VALU_DEP_1)
	v_fma_f64 v[200:201], v[202:203], v[40:41], v[200:201]
	v_add_f64 v[6:7], v[6:7], -v[200:201]
	ds_load_2addr_b64 v[200:203], v210 offset0:98 offset1:99
	s_waitcnt lgkmcnt(0)
	v_mul_f64 v[42:43], v[202:203], v[208:209]
	s_delay_alu instid0(VALU_DEP_1) | instskip(SKIP_1) | instid1(VALU_DEP_2)
	v_fma_f64 v[42:43], v[200:201], v[40:41], -v[42:43]
	v_mul_f64 v[200:201], v[200:201], v[208:209]
	v_add_f64 v[0:1], v[0:1], -v[42:43]
	s_delay_alu instid0(VALU_DEP_2) | instskip(SKIP_1) | instid1(VALU_DEP_2)
	v_fma_f64 v[200:201], v[202:203], v[40:41], v[200:201]
	v_dual_mov_b32 v42, v208 :: v_dual_mov_b32 v43, v209
	v_add_f64 v[2:3], v[2:3], -v[200:201]
.LBB98_839:
	s_or_b32 exec_lo, exec_lo, s2
	v_lshl_add_u32 v200, v216, 4, v210
	s_barrier
	buffer_gl0_inv
	v_mov_b32_e32 v208, 40
	ds_store_2addr_b64 v200, v[36:37], v[38:39] offset1:1
	s_waitcnt lgkmcnt(0)
	s_barrier
	buffer_gl0_inv
	ds_load_2addr_b64 v[200:203], v210 offset0:80 offset1:81
	s_cmp_lt_i32 s5, 42
	s_cbranch_scc1 .LBB98_842
; %bb.840:
	v_add3_u32 v209, v214, 0, 0x290
	v_mov_b32_e32 v208, 40
	s_mov_b32 s6, 41
	s_set_inst_prefetch_distance 0x1
	.p2align	6
.LBB98_841:                             ; =>This Inner Loop Header: Depth=1
	ds_load_2addr_b64 v[217:220], v209 offset1:1
	s_waitcnt lgkmcnt(1)
	v_cmp_gt_f64_e32 vcc_lo, 0, v[200:201]
	v_xor_b32_e32 v221, 0x80000000, v201
	v_cmp_gt_f64_e64 s2, 0, v[202:203]
	v_xor_b32_e32 v223, 0x80000000, v203
	v_add_nc_u32_e32 v209, 16, v209
	s_waitcnt lgkmcnt(0)
	v_cmp_gt_f64_e64 s3, 0, v[217:218]
	v_mov_b32_e32 v225, v217
	v_dual_mov_b32 v227, v219 :: v_dual_cndmask_b32 v222, v201, v221
	v_xor_b32_e32 v221, 0x80000000, v218
	v_cndmask_b32_e64 v224, v203, v223, s2
	v_xor_b32_e32 v223, 0x80000000, v220
	s_delay_alu instid0(VALU_DEP_3) | instskip(SKIP_2) | instid1(VALU_DEP_2)
	v_cndmask_b32_e64 v226, v218, v221, s3
	v_cmp_gt_f64_e64 s3, 0, v[219:220]
	v_cndmask_b32_e32 v221, v200, v200, vcc_lo
	v_cndmask_b32_e64 v228, v220, v223, s3
	v_cndmask_b32_e64 v223, v202, v202, s2
	s_delay_alu instid0(VALU_DEP_2) | instskip(NEXT) | instid1(VALU_DEP_2)
	v_add_f64 v[225:226], v[225:226], v[227:228]
	v_add_f64 v[221:222], v[221:222], v[223:224]
	s_delay_alu instid0(VALU_DEP_1) | instskip(SKIP_4) | instid1(SALU_CYCLE_1)
	v_cmp_lt_f64_e32 vcc_lo, v[221:222], v[225:226]
	v_dual_cndmask_b32 v202, v202, v219 :: v_dual_cndmask_b32 v201, v201, v218
	v_dual_cndmask_b32 v200, v200, v217 :: v_dual_cndmask_b32 v203, v203, v220
	v_cndmask_b32_e64 v208, v208, s6, vcc_lo
	s_add_i32 s6, s6, 1
	s_cmp_lg_u32 s5, s6
	s_cbranch_scc1 .LBB98_841
.LBB98_842:
	s_set_inst_prefetch_distance 0x2
	s_waitcnt lgkmcnt(0)
	v_cmp_eq_f64_e32 vcc_lo, 0, v[200:201]
	v_cmp_eq_f64_e64 s2, 0, v[202:203]
	s_delay_alu instid0(VALU_DEP_1) | instskip(NEXT) | instid1(SALU_CYCLE_1)
	s_and_b32 s2, vcc_lo, s2
	s_and_saveexec_b32 s3, s2
	s_delay_alu instid0(SALU_CYCLE_1)
	s_xor_b32 s2, exec_lo, s3
; %bb.843:
	v_cmp_ne_u32_e32 vcc_lo, 0, v213
	v_cndmask_b32_e32 v213, 41, v213, vcc_lo
; %bb.844:
	s_and_not1_saveexec_b32 s3, s2
	s_cbranch_execz .LBB98_850
; %bb.845:
	v_cmp_gt_f64_e32 vcc_lo, 0, v[200:201]
	v_cmp_gt_f64_e64 s2, 0, v[202:203]
	v_xor_b32_e32 v209, 0x80000000, v201
	v_xor_b32_e32 v217, 0x80000000, v203
	s_delay_alu instid0(VALU_DEP_2) | instskip(NEXT) | instid1(VALU_DEP_2)
	v_cndmask_b32_e32 v218, v201, v209, vcc_lo
	v_cndmask_b32_e64 v220, v203, v217, s2
	v_cndmask_b32_e32 v217, v200, v200, vcc_lo
	v_cndmask_b32_e64 v219, v202, v202, s2
	s_mov_b32 s2, exec_lo
	s_delay_alu instid0(VALU_DEP_1)
	v_cmpx_ngt_f64_e32 v[217:218], v[219:220]
	s_xor_b32 s2, exec_lo, s2
	s_cbranch_execz .LBB98_847
; %bb.846:
	v_div_scale_f64 v[217:218], null, v[202:203], v[202:203], v[200:201]
	v_div_scale_f64 v[223:224], vcc_lo, v[200:201], v[202:203], v[200:201]
	s_delay_alu instid0(VALU_DEP_2) | instskip(SKIP_2) | instid1(VALU_DEP_1)
	v_rcp_f64_e32 v[219:220], v[217:218]
	s_waitcnt_depctr 0xfff
	v_fma_f64 v[221:222], -v[217:218], v[219:220], 1.0
	v_fma_f64 v[219:220], v[219:220], v[221:222], v[219:220]
	s_delay_alu instid0(VALU_DEP_1) | instskip(NEXT) | instid1(VALU_DEP_1)
	v_fma_f64 v[221:222], -v[217:218], v[219:220], 1.0
	v_fma_f64 v[219:220], v[219:220], v[221:222], v[219:220]
	s_delay_alu instid0(VALU_DEP_1) | instskip(NEXT) | instid1(VALU_DEP_1)
	v_mul_f64 v[221:222], v[223:224], v[219:220]
	v_fma_f64 v[217:218], -v[217:218], v[221:222], v[223:224]
	s_delay_alu instid0(VALU_DEP_1) | instskip(NEXT) | instid1(VALU_DEP_1)
	v_div_fmas_f64 v[217:218], v[217:218], v[219:220], v[221:222]
	v_div_fixup_f64 v[217:218], v[217:218], v[202:203], v[200:201]
	s_delay_alu instid0(VALU_DEP_1) | instskip(NEXT) | instid1(VALU_DEP_1)
	v_fma_f64 v[200:201], v[200:201], v[217:218], v[202:203]
	v_div_scale_f64 v[202:203], null, v[200:201], v[200:201], 1.0
	s_delay_alu instid0(VALU_DEP_1) | instskip(SKIP_2) | instid1(VALU_DEP_1)
	v_rcp_f64_e32 v[219:220], v[202:203]
	s_waitcnt_depctr 0xfff
	v_fma_f64 v[221:222], -v[202:203], v[219:220], 1.0
	v_fma_f64 v[219:220], v[219:220], v[221:222], v[219:220]
	s_delay_alu instid0(VALU_DEP_1) | instskip(NEXT) | instid1(VALU_DEP_1)
	v_fma_f64 v[221:222], -v[202:203], v[219:220], 1.0
	v_fma_f64 v[219:220], v[219:220], v[221:222], v[219:220]
	v_div_scale_f64 v[221:222], vcc_lo, 1.0, v[200:201], 1.0
	s_delay_alu instid0(VALU_DEP_1) | instskip(NEXT) | instid1(VALU_DEP_1)
	v_mul_f64 v[223:224], v[221:222], v[219:220]
	v_fma_f64 v[202:203], -v[202:203], v[223:224], v[221:222]
	s_delay_alu instid0(VALU_DEP_1) | instskip(NEXT) | instid1(VALU_DEP_1)
	v_div_fmas_f64 v[202:203], v[202:203], v[219:220], v[223:224]
	v_div_fixup_f64 v[202:203], v[202:203], v[200:201], 1.0
	s_delay_alu instid0(VALU_DEP_1)
	v_mul_f64 v[200:201], v[217:218], v[202:203]
	v_xor_b32_e32 v203, 0x80000000, v203
.LBB98_847:
	s_and_not1_saveexec_b32 s2, s2
	s_cbranch_execz .LBB98_849
; %bb.848:
	s_delay_alu instid0(VALU_DEP_1) | instskip(SKIP_1) | instid1(VALU_DEP_2)
	v_div_scale_f64 v[217:218], null, v[200:201], v[200:201], v[202:203]
	v_div_scale_f64 v[223:224], vcc_lo, v[202:203], v[200:201], v[202:203]
	v_rcp_f64_e32 v[219:220], v[217:218]
	s_waitcnt_depctr 0xfff
	v_fma_f64 v[221:222], -v[217:218], v[219:220], 1.0
	s_delay_alu instid0(VALU_DEP_1) | instskip(NEXT) | instid1(VALU_DEP_1)
	v_fma_f64 v[219:220], v[219:220], v[221:222], v[219:220]
	v_fma_f64 v[221:222], -v[217:218], v[219:220], 1.0
	s_delay_alu instid0(VALU_DEP_1) | instskip(NEXT) | instid1(VALU_DEP_1)
	v_fma_f64 v[219:220], v[219:220], v[221:222], v[219:220]
	v_mul_f64 v[221:222], v[223:224], v[219:220]
	s_delay_alu instid0(VALU_DEP_1) | instskip(NEXT) | instid1(VALU_DEP_1)
	v_fma_f64 v[217:218], -v[217:218], v[221:222], v[223:224]
	v_div_fmas_f64 v[217:218], v[217:218], v[219:220], v[221:222]
	s_delay_alu instid0(VALU_DEP_1) | instskip(NEXT) | instid1(VALU_DEP_1)
	v_div_fixup_f64 v[217:218], v[217:218], v[200:201], v[202:203]
	v_fma_f64 v[200:201], v[202:203], v[217:218], v[200:201]
	s_delay_alu instid0(VALU_DEP_1) | instskip(NEXT) | instid1(VALU_DEP_1)
	v_div_scale_f64 v[202:203], null, v[200:201], v[200:201], 1.0
	v_rcp_f64_e32 v[219:220], v[202:203]
	s_waitcnt_depctr 0xfff
	v_fma_f64 v[221:222], -v[202:203], v[219:220], 1.0
	s_delay_alu instid0(VALU_DEP_1) | instskip(NEXT) | instid1(VALU_DEP_1)
	v_fma_f64 v[219:220], v[219:220], v[221:222], v[219:220]
	v_fma_f64 v[221:222], -v[202:203], v[219:220], 1.0
	s_delay_alu instid0(VALU_DEP_1) | instskip(SKIP_1) | instid1(VALU_DEP_1)
	v_fma_f64 v[219:220], v[219:220], v[221:222], v[219:220]
	v_div_scale_f64 v[221:222], vcc_lo, 1.0, v[200:201], 1.0
	v_mul_f64 v[223:224], v[221:222], v[219:220]
	s_delay_alu instid0(VALU_DEP_1) | instskip(NEXT) | instid1(VALU_DEP_1)
	v_fma_f64 v[202:203], -v[202:203], v[223:224], v[221:222]
	v_div_fmas_f64 v[202:203], v[202:203], v[219:220], v[223:224]
	s_delay_alu instid0(VALU_DEP_1) | instskip(NEXT) | instid1(VALU_DEP_1)
	v_div_fixup_f64 v[200:201], v[202:203], v[200:201], 1.0
	v_mul_f64 v[202:203], v[217:218], -v[200:201]
.LBB98_849:
	s_or_b32 exec_lo, exec_lo, s2
.LBB98_850:
	s_delay_alu instid0(SALU_CYCLE_1) | instskip(NEXT) | instid1(SALU_CYCLE_1)
	s_or_b32 exec_lo, exec_lo, s3
	s_mov_b32 s2, exec_lo
	v_cmpx_ne_u32_e64 v216, v208
	s_xor_b32 s2, exec_lo, s2
	s_cbranch_execz .LBB98_856
; %bb.851:
	s_mov_b32 s3, exec_lo
	v_cmpx_eq_u32_e32 40, v216
	s_cbranch_execz .LBB98_855
; %bb.852:
	v_cmp_ne_u32_e32 vcc_lo, 40, v208
	s_xor_b32 s6, s4, -1
	s_delay_alu instid0(SALU_CYCLE_1) | instskip(NEXT) | instid1(SALU_CYCLE_1)
	s_and_b32 s7, s6, vcc_lo
	s_and_saveexec_b32 s6, s7
	s_cbranch_execz .LBB98_854
; %bb.853:
	v_ashrrev_i32_e32 v209, 31, v208
	s_delay_alu instid0(VALU_DEP_1) | instskip(NEXT) | instid1(VALU_DEP_1)
	v_lshlrev_b64 v[215:216], 2, v[208:209]
	v_add_co_u32 v215, vcc_lo, v206, v215
	s_delay_alu instid0(VALU_DEP_2)
	v_add_co_ci_u32_e32 v216, vcc_lo, v207, v216, vcc_lo
	s_clause 0x1
	flat_load_b32 v209, v[215:216]
	flat_load_b32 v217, v[206:207] offset:160
	s_waitcnt vmcnt(1) lgkmcnt(1)
	flat_store_b32 v[206:207], v209 offset:160
	s_waitcnt vmcnt(0) lgkmcnt(1)
	flat_store_b32 v[215:216], v217
.LBB98_854:
	s_or_b32 exec_lo, exec_lo, s6
	v_mov_b32_e32 v216, v208
	v_mov_b32_e32 v215, v208
.LBB98_855:
	s_or_b32 exec_lo, exec_lo, s3
.LBB98_856:
	s_and_not1_saveexec_b32 s2, s2
	s_cbranch_execz .LBB98_858
; %bb.857:
	v_mov_b32_e32 v216, 40
	ds_store_2addr_b64 v210, v[32:33], v[34:35] offset0:82 offset1:83
	ds_store_2addr_b64 v210, v[28:29], v[30:31] offset0:84 offset1:85
	;; [unrolled: 1-line block ×9, first 2 shown]
.LBB98_858:
	s_or_b32 exec_lo, exec_lo, s2
	s_delay_alu instid0(SALU_CYCLE_1)
	s_mov_b32 s2, exec_lo
	s_waitcnt lgkmcnt(0)
	s_waitcnt_vscnt null, 0x0
	s_barrier
	buffer_gl0_inv
	v_cmpx_lt_i32_e32 40, v216
	s_cbranch_execz .LBB98_860
; %bb.859:
	v_mul_f64 v[208:209], v[200:201], v[38:39]
	v_mul_f64 v[38:39], v[202:203], v[38:39]
	s_delay_alu instid0(VALU_DEP_2) | instskip(NEXT) | instid1(VALU_DEP_2)
	v_fma_f64 v[208:209], v[202:203], v[36:37], v[208:209]
	v_fma_f64 v[36:37], v[200:201], v[36:37], -v[38:39]
	ds_load_2addr_b64 v[200:203], v210 offset0:82 offset1:83
	s_waitcnt lgkmcnt(0)
	v_mul_f64 v[38:39], v[202:203], v[208:209]
	s_delay_alu instid0(VALU_DEP_1) | instskip(SKIP_1) | instid1(VALU_DEP_2)
	v_fma_f64 v[38:39], v[200:201], v[36:37], -v[38:39]
	v_mul_f64 v[200:201], v[200:201], v[208:209]
	v_add_f64 v[32:33], v[32:33], -v[38:39]
	s_delay_alu instid0(VALU_DEP_2) | instskip(NEXT) | instid1(VALU_DEP_1)
	v_fma_f64 v[200:201], v[202:203], v[36:37], v[200:201]
	v_add_f64 v[34:35], v[34:35], -v[200:201]
	ds_load_2addr_b64 v[200:203], v210 offset0:84 offset1:85
	s_waitcnt lgkmcnt(0)
	v_mul_f64 v[38:39], v[202:203], v[208:209]
	s_delay_alu instid0(VALU_DEP_1) | instskip(SKIP_1) | instid1(VALU_DEP_2)
	v_fma_f64 v[38:39], v[200:201], v[36:37], -v[38:39]
	v_mul_f64 v[200:201], v[200:201], v[208:209]
	v_add_f64 v[28:29], v[28:29], -v[38:39]
	s_delay_alu instid0(VALU_DEP_2) | instskip(NEXT) | instid1(VALU_DEP_1)
	v_fma_f64 v[200:201], v[202:203], v[36:37], v[200:201]
	v_add_f64 v[30:31], v[30:31], -v[200:201]
	;; [unrolled: 10-line block ×8, first 2 shown]
	ds_load_2addr_b64 v[200:203], v210 offset0:98 offset1:99
	s_waitcnt lgkmcnt(0)
	v_mul_f64 v[38:39], v[202:203], v[208:209]
	s_delay_alu instid0(VALU_DEP_1) | instskip(SKIP_1) | instid1(VALU_DEP_2)
	v_fma_f64 v[38:39], v[200:201], v[36:37], -v[38:39]
	v_mul_f64 v[200:201], v[200:201], v[208:209]
	v_add_f64 v[0:1], v[0:1], -v[38:39]
	s_delay_alu instid0(VALU_DEP_2) | instskip(SKIP_1) | instid1(VALU_DEP_2)
	v_fma_f64 v[200:201], v[202:203], v[36:37], v[200:201]
	v_dual_mov_b32 v38, v208 :: v_dual_mov_b32 v39, v209
	v_add_f64 v[2:3], v[2:3], -v[200:201]
.LBB98_860:
	s_or_b32 exec_lo, exec_lo, s2
	v_lshl_add_u32 v200, v216, 4, v210
	s_barrier
	buffer_gl0_inv
	v_mov_b32_e32 v208, 41
	ds_store_2addr_b64 v200, v[32:33], v[34:35] offset1:1
	s_waitcnt lgkmcnt(0)
	s_barrier
	buffer_gl0_inv
	ds_load_2addr_b64 v[200:203], v210 offset0:82 offset1:83
	s_cmp_lt_i32 s5, 43
	s_cbranch_scc1 .LBB98_863
; %bb.861:
	v_add3_u32 v209, v214, 0, 0x2a0
	v_mov_b32_e32 v208, 41
	s_mov_b32 s6, 42
	s_set_inst_prefetch_distance 0x1
	.p2align	6
.LBB98_862:                             ; =>This Inner Loop Header: Depth=1
	ds_load_2addr_b64 v[217:220], v209 offset1:1
	s_waitcnt lgkmcnt(1)
	v_cmp_gt_f64_e32 vcc_lo, 0, v[200:201]
	v_xor_b32_e32 v221, 0x80000000, v201
	v_cmp_gt_f64_e64 s2, 0, v[202:203]
	v_xor_b32_e32 v223, 0x80000000, v203
	v_add_nc_u32_e32 v209, 16, v209
	s_waitcnt lgkmcnt(0)
	v_cmp_gt_f64_e64 s3, 0, v[217:218]
	v_mov_b32_e32 v225, v217
	v_dual_mov_b32 v227, v219 :: v_dual_cndmask_b32 v222, v201, v221
	v_xor_b32_e32 v221, 0x80000000, v218
	v_cndmask_b32_e64 v224, v203, v223, s2
	v_xor_b32_e32 v223, 0x80000000, v220
	s_delay_alu instid0(VALU_DEP_3) | instskip(SKIP_2) | instid1(VALU_DEP_2)
	v_cndmask_b32_e64 v226, v218, v221, s3
	v_cmp_gt_f64_e64 s3, 0, v[219:220]
	v_cndmask_b32_e32 v221, v200, v200, vcc_lo
	v_cndmask_b32_e64 v228, v220, v223, s3
	v_cndmask_b32_e64 v223, v202, v202, s2
	s_delay_alu instid0(VALU_DEP_2) | instskip(NEXT) | instid1(VALU_DEP_2)
	v_add_f64 v[225:226], v[225:226], v[227:228]
	v_add_f64 v[221:222], v[221:222], v[223:224]
	s_delay_alu instid0(VALU_DEP_1) | instskip(SKIP_4) | instid1(SALU_CYCLE_1)
	v_cmp_lt_f64_e32 vcc_lo, v[221:222], v[225:226]
	v_dual_cndmask_b32 v202, v202, v219 :: v_dual_cndmask_b32 v201, v201, v218
	v_dual_cndmask_b32 v200, v200, v217 :: v_dual_cndmask_b32 v203, v203, v220
	v_cndmask_b32_e64 v208, v208, s6, vcc_lo
	s_add_i32 s6, s6, 1
	s_cmp_lg_u32 s5, s6
	s_cbranch_scc1 .LBB98_862
.LBB98_863:
	s_set_inst_prefetch_distance 0x2
	s_waitcnt lgkmcnt(0)
	v_cmp_eq_f64_e32 vcc_lo, 0, v[200:201]
	v_cmp_eq_f64_e64 s2, 0, v[202:203]
	s_delay_alu instid0(VALU_DEP_1) | instskip(NEXT) | instid1(SALU_CYCLE_1)
	s_and_b32 s2, vcc_lo, s2
	s_and_saveexec_b32 s3, s2
	s_delay_alu instid0(SALU_CYCLE_1)
	s_xor_b32 s2, exec_lo, s3
; %bb.864:
	v_cmp_ne_u32_e32 vcc_lo, 0, v213
	v_cndmask_b32_e32 v213, 42, v213, vcc_lo
; %bb.865:
	s_and_not1_saveexec_b32 s3, s2
	s_cbranch_execz .LBB98_871
; %bb.866:
	v_cmp_gt_f64_e32 vcc_lo, 0, v[200:201]
	v_cmp_gt_f64_e64 s2, 0, v[202:203]
	v_xor_b32_e32 v209, 0x80000000, v201
	v_xor_b32_e32 v217, 0x80000000, v203
	s_delay_alu instid0(VALU_DEP_2) | instskip(NEXT) | instid1(VALU_DEP_2)
	v_cndmask_b32_e32 v218, v201, v209, vcc_lo
	v_cndmask_b32_e64 v220, v203, v217, s2
	v_cndmask_b32_e32 v217, v200, v200, vcc_lo
	v_cndmask_b32_e64 v219, v202, v202, s2
	s_mov_b32 s2, exec_lo
	s_delay_alu instid0(VALU_DEP_1)
	v_cmpx_ngt_f64_e32 v[217:218], v[219:220]
	s_xor_b32 s2, exec_lo, s2
	s_cbranch_execz .LBB98_868
; %bb.867:
	v_div_scale_f64 v[217:218], null, v[202:203], v[202:203], v[200:201]
	v_div_scale_f64 v[223:224], vcc_lo, v[200:201], v[202:203], v[200:201]
	s_delay_alu instid0(VALU_DEP_2) | instskip(SKIP_2) | instid1(VALU_DEP_1)
	v_rcp_f64_e32 v[219:220], v[217:218]
	s_waitcnt_depctr 0xfff
	v_fma_f64 v[221:222], -v[217:218], v[219:220], 1.0
	v_fma_f64 v[219:220], v[219:220], v[221:222], v[219:220]
	s_delay_alu instid0(VALU_DEP_1) | instskip(NEXT) | instid1(VALU_DEP_1)
	v_fma_f64 v[221:222], -v[217:218], v[219:220], 1.0
	v_fma_f64 v[219:220], v[219:220], v[221:222], v[219:220]
	s_delay_alu instid0(VALU_DEP_1) | instskip(NEXT) | instid1(VALU_DEP_1)
	v_mul_f64 v[221:222], v[223:224], v[219:220]
	v_fma_f64 v[217:218], -v[217:218], v[221:222], v[223:224]
	s_delay_alu instid0(VALU_DEP_1) | instskip(NEXT) | instid1(VALU_DEP_1)
	v_div_fmas_f64 v[217:218], v[217:218], v[219:220], v[221:222]
	v_div_fixup_f64 v[217:218], v[217:218], v[202:203], v[200:201]
	s_delay_alu instid0(VALU_DEP_1) | instskip(NEXT) | instid1(VALU_DEP_1)
	v_fma_f64 v[200:201], v[200:201], v[217:218], v[202:203]
	v_div_scale_f64 v[202:203], null, v[200:201], v[200:201], 1.0
	s_delay_alu instid0(VALU_DEP_1) | instskip(SKIP_2) | instid1(VALU_DEP_1)
	v_rcp_f64_e32 v[219:220], v[202:203]
	s_waitcnt_depctr 0xfff
	v_fma_f64 v[221:222], -v[202:203], v[219:220], 1.0
	v_fma_f64 v[219:220], v[219:220], v[221:222], v[219:220]
	s_delay_alu instid0(VALU_DEP_1) | instskip(NEXT) | instid1(VALU_DEP_1)
	v_fma_f64 v[221:222], -v[202:203], v[219:220], 1.0
	v_fma_f64 v[219:220], v[219:220], v[221:222], v[219:220]
	v_div_scale_f64 v[221:222], vcc_lo, 1.0, v[200:201], 1.0
	s_delay_alu instid0(VALU_DEP_1) | instskip(NEXT) | instid1(VALU_DEP_1)
	v_mul_f64 v[223:224], v[221:222], v[219:220]
	v_fma_f64 v[202:203], -v[202:203], v[223:224], v[221:222]
	s_delay_alu instid0(VALU_DEP_1) | instskip(NEXT) | instid1(VALU_DEP_1)
	v_div_fmas_f64 v[202:203], v[202:203], v[219:220], v[223:224]
	v_div_fixup_f64 v[202:203], v[202:203], v[200:201], 1.0
	s_delay_alu instid0(VALU_DEP_1)
	v_mul_f64 v[200:201], v[217:218], v[202:203]
	v_xor_b32_e32 v203, 0x80000000, v203
.LBB98_868:
	s_and_not1_saveexec_b32 s2, s2
	s_cbranch_execz .LBB98_870
; %bb.869:
	s_delay_alu instid0(VALU_DEP_1) | instskip(SKIP_1) | instid1(VALU_DEP_2)
	v_div_scale_f64 v[217:218], null, v[200:201], v[200:201], v[202:203]
	v_div_scale_f64 v[223:224], vcc_lo, v[202:203], v[200:201], v[202:203]
	v_rcp_f64_e32 v[219:220], v[217:218]
	s_waitcnt_depctr 0xfff
	v_fma_f64 v[221:222], -v[217:218], v[219:220], 1.0
	s_delay_alu instid0(VALU_DEP_1) | instskip(NEXT) | instid1(VALU_DEP_1)
	v_fma_f64 v[219:220], v[219:220], v[221:222], v[219:220]
	v_fma_f64 v[221:222], -v[217:218], v[219:220], 1.0
	s_delay_alu instid0(VALU_DEP_1) | instskip(NEXT) | instid1(VALU_DEP_1)
	v_fma_f64 v[219:220], v[219:220], v[221:222], v[219:220]
	v_mul_f64 v[221:222], v[223:224], v[219:220]
	s_delay_alu instid0(VALU_DEP_1) | instskip(NEXT) | instid1(VALU_DEP_1)
	v_fma_f64 v[217:218], -v[217:218], v[221:222], v[223:224]
	v_div_fmas_f64 v[217:218], v[217:218], v[219:220], v[221:222]
	s_delay_alu instid0(VALU_DEP_1) | instskip(NEXT) | instid1(VALU_DEP_1)
	v_div_fixup_f64 v[217:218], v[217:218], v[200:201], v[202:203]
	v_fma_f64 v[200:201], v[202:203], v[217:218], v[200:201]
	s_delay_alu instid0(VALU_DEP_1) | instskip(NEXT) | instid1(VALU_DEP_1)
	v_div_scale_f64 v[202:203], null, v[200:201], v[200:201], 1.0
	v_rcp_f64_e32 v[219:220], v[202:203]
	s_waitcnt_depctr 0xfff
	v_fma_f64 v[221:222], -v[202:203], v[219:220], 1.0
	s_delay_alu instid0(VALU_DEP_1) | instskip(NEXT) | instid1(VALU_DEP_1)
	v_fma_f64 v[219:220], v[219:220], v[221:222], v[219:220]
	v_fma_f64 v[221:222], -v[202:203], v[219:220], 1.0
	s_delay_alu instid0(VALU_DEP_1) | instskip(SKIP_1) | instid1(VALU_DEP_1)
	v_fma_f64 v[219:220], v[219:220], v[221:222], v[219:220]
	v_div_scale_f64 v[221:222], vcc_lo, 1.0, v[200:201], 1.0
	v_mul_f64 v[223:224], v[221:222], v[219:220]
	s_delay_alu instid0(VALU_DEP_1) | instskip(NEXT) | instid1(VALU_DEP_1)
	v_fma_f64 v[202:203], -v[202:203], v[223:224], v[221:222]
	v_div_fmas_f64 v[202:203], v[202:203], v[219:220], v[223:224]
	s_delay_alu instid0(VALU_DEP_1) | instskip(NEXT) | instid1(VALU_DEP_1)
	v_div_fixup_f64 v[200:201], v[202:203], v[200:201], 1.0
	v_mul_f64 v[202:203], v[217:218], -v[200:201]
.LBB98_870:
	s_or_b32 exec_lo, exec_lo, s2
.LBB98_871:
	s_delay_alu instid0(SALU_CYCLE_1) | instskip(NEXT) | instid1(SALU_CYCLE_1)
	s_or_b32 exec_lo, exec_lo, s3
	s_mov_b32 s2, exec_lo
	v_cmpx_ne_u32_e64 v216, v208
	s_xor_b32 s2, exec_lo, s2
	s_cbranch_execz .LBB98_877
; %bb.872:
	s_mov_b32 s3, exec_lo
	v_cmpx_eq_u32_e32 41, v216
	s_cbranch_execz .LBB98_876
; %bb.873:
	v_cmp_ne_u32_e32 vcc_lo, 41, v208
	s_xor_b32 s6, s4, -1
	s_delay_alu instid0(SALU_CYCLE_1) | instskip(NEXT) | instid1(SALU_CYCLE_1)
	s_and_b32 s7, s6, vcc_lo
	s_and_saveexec_b32 s6, s7
	s_cbranch_execz .LBB98_875
; %bb.874:
	v_ashrrev_i32_e32 v209, 31, v208
	s_delay_alu instid0(VALU_DEP_1) | instskip(NEXT) | instid1(VALU_DEP_1)
	v_lshlrev_b64 v[215:216], 2, v[208:209]
	v_add_co_u32 v215, vcc_lo, v206, v215
	s_delay_alu instid0(VALU_DEP_2)
	v_add_co_ci_u32_e32 v216, vcc_lo, v207, v216, vcc_lo
	s_clause 0x1
	flat_load_b32 v209, v[215:216]
	flat_load_b32 v217, v[206:207] offset:164
	s_waitcnt vmcnt(1) lgkmcnt(1)
	flat_store_b32 v[206:207], v209 offset:164
	s_waitcnt vmcnt(0) lgkmcnt(1)
	flat_store_b32 v[215:216], v217
.LBB98_875:
	s_or_b32 exec_lo, exec_lo, s6
	v_mov_b32_e32 v216, v208
	v_mov_b32_e32 v215, v208
.LBB98_876:
	s_or_b32 exec_lo, exec_lo, s3
.LBB98_877:
	s_and_not1_saveexec_b32 s2, s2
	s_cbranch_execz .LBB98_879
; %bb.878:
	v_mov_b32_e32 v216, 41
	ds_store_2addr_b64 v210, v[28:29], v[30:31] offset0:84 offset1:85
	ds_store_2addr_b64 v210, v[24:25], v[26:27] offset0:86 offset1:87
	;; [unrolled: 1-line block ×8, first 2 shown]
.LBB98_879:
	s_or_b32 exec_lo, exec_lo, s2
	s_delay_alu instid0(SALU_CYCLE_1)
	s_mov_b32 s2, exec_lo
	s_waitcnt lgkmcnt(0)
	s_waitcnt_vscnt null, 0x0
	s_barrier
	buffer_gl0_inv
	v_cmpx_lt_i32_e32 41, v216
	s_cbranch_execz .LBB98_881
; %bb.880:
	v_mul_f64 v[208:209], v[200:201], v[34:35]
	v_mul_f64 v[34:35], v[202:203], v[34:35]
	s_delay_alu instid0(VALU_DEP_2) | instskip(NEXT) | instid1(VALU_DEP_2)
	v_fma_f64 v[208:209], v[202:203], v[32:33], v[208:209]
	v_fma_f64 v[32:33], v[200:201], v[32:33], -v[34:35]
	ds_load_2addr_b64 v[200:203], v210 offset0:84 offset1:85
	s_waitcnt lgkmcnt(0)
	v_mul_f64 v[34:35], v[202:203], v[208:209]
	s_delay_alu instid0(VALU_DEP_1) | instskip(SKIP_1) | instid1(VALU_DEP_2)
	v_fma_f64 v[34:35], v[200:201], v[32:33], -v[34:35]
	v_mul_f64 v[200:201], v[200:201], v[208:209]
	v_add_f64 v[28:29], v[28:29], -v[34:35]
	s_delay_alu instid0(VALU_DEP_2) | instskip(NEXT) | instid1(VALU_DEP_1)
	v_fma_f64 v[200:201], v[202:203], v[32:33], v[200:201]
	v_add_f64 v[30:31], v[30:31], -v[200:201]
	ds_load_2addr_b64 v[200:203], v210 offset0:86 offset1:87
	s_waitcnt lgkmcnt(0)
	v_mul_f64 v[34:35], v[202:203], v[208:209]
	s_delay_alu instid0(VALU_DEP_1) | instskip(SKIP_1) | instid1(VALU_DEP_2)
	v_fma_f64 v[34:35], v[200:201], v[32:33], -v[34:35]
	v_mul_f64 v[200:201], v[200:201], v[208:209]
	v_add_f64 v[24:25], v[24:25], -v[34:35]
	s_delay_alu instid0(VALU_DEP_2) | instskip(NEXT) | instid1(VALU_DEP_1)
	v_fma_f64 v[200:201], v[202:203], v[32:33], v[200:201]
	v_add_f64 v[26:27], v[26:27], -v[200:201]
	;; [unrolled: 10-line block ×7, first 2 shown]
	ds_load_2addr_b64 v[200:203], v210 offset0:98 offset1:99
	s_waitcnt lgkmcnt(0)
	v_mul_f64 v[34:35], v[202:203], v[208:209]
	s_delay_alu instid0(VALU_DEP_1) | instskip(SKIP_1) | instid1(VALU_DEP_2)
	v_fma_f64 v[34:35], v[200:201], v[32:33], -v[34:35]
	v_mul_f64 v[200:201], v[200:201], v[208:209]
	v_add_f64 v[0:1], v[0:1], -v[34:35]
	s_delay_alu instid0(VALU_DEP_2) | instskip(SKIP_1) | instid1(VALU_DEP_2)
	v_fma_f64 v[200:201], v[202:203], v[32:33], v[200:201]
	v_dual_mov_b32 v34, v208 :: v_dual_mov_b32 v35, v209
	v_add_f64 v[2:3], v[2:3], -v[200:201]
.LBB98_881:
	s_or_b32 exec_lo, exec_lo, s2
	v_lshl_add_u32 v200, v216, 4, v210
	s_barrier
	buffer_gl0_inv
	v_mov_b32_e32 v208, 42
	ds_store_2addr_b64 v200, v[28:29], v[30:31] offset1:1
	s_waitcnt lgkmcnt(0)
	s_barrier
	buffer_gl0_inv
	ds_load_2addr_b64 v[200:203], v210 offset0:84 offset1:85
	s_cmp_lt_i32 s5, 44
	s_cbranch_scc1 .LBB98_884
; %bb.882:
	v_add3_u32 v209, v214, 0, 0x2b0
	v_mov_b32_e32 v208, 42
	s_mov_b32 s6, 43
	s_set_inst_prefetch_distance 0x1
	.p2align	6
.LBB98_883:                             ; =>This Inner Loop Header: Depth=1
	ds_load_2addr_b64 v[217:220], v209 offset1:1
	s_waitcnt lgkmcnt(1)
	v_cmp_gt_f64_e32 vcc_lo, 0, v[200:201]
	v_xor_b32_e32 v221, 0x80000000, v201
	v_cmp_gt_f64_e64 s2, 0, v[202:203]
	v_xor_b32_e32 v223, 0x80000000, v203
	v_add_nc_u32_e32 v209, 16, v209
	s_waitcnt lgkmcnt(0)
	v_cmp_gt_f64_e64 s3, 0, v[217:218]
	v_mov_b32_e32 v225, v217
	v_dual_mov_b32 v227, v219 :: v_dual_cndmask_b32 v222, v201, v221
	v_xor_b32_e32 v221, 0x80000000, v218
	v_cndmask_b32_e64 v224, v203, v223, s2
	v_xor_b32_e32 v223, 0x80000000, v220
	s_delay_alu instid0(VALU_DEP_3) | instskip(SKIP_2) | instid1(VALU_DEP_2)
	v_cndmask_b32_e64 v226, v218, v221, s3
	v_cmp_gt_f64_e64 s3, 0, v[219:220]
	v_cndmask_b32_e32 v221, v200, v200, vcc_lo
	v_cndmask_b32_e64 v228, v220, v223, s3
	v_cndmask_b32_e64 v223, v202, v202, s2
	s_delay_alu instid0(VALU_DEP_2) | instskip(NEXT) | instid1(VALU_DEP_2)
	v_add_f64 v[225:226], v[225:226], v[227:228]
	v_add_f64 v[221:222], v[221:222], v[223:224]
	s_delay_alu instid0(VALU_DEP_1) | instskip(SKIP_4) | instid1(SALU_CYCLE_1)
	v_cmp_lt_f64_e32 vcc_lo, v[221:222], v[225:226]
	v_dual_cndmask_b32 v202, v202, v219 :: v_dual_cndmask_b32 v201, v201, v218
	v_dual_cndmask_b32 v200, v200, v217 :: v_dual_cndmask_b32 v203, v203, v220
	v_cndmask_b32_e64 v208, v208, s6, vcc_lo
	s_add_i32 s6, s6, 1
	s_cmp_lg_u32 s5, s6
	s_cbranch_scc1 .LBB98_883
.LBB98_884:
	s_set_inst_prefetch_distance 0x2
	s_waitcnt lgkmcnt(0)
	v_cmp_eq_f64_e32 vcc_lo, 0, v[200:201]
	v_cmp_eq_f64_e64 s2, 0, v[202:203]
	s_delay_alu instid0(VALU_DEP_1) | instskip(NEXT) | instid1(SALU_CYCLE_1)
	s_and_b32 s2, vcc_lo, s2
	s_and_saveexec_b32 s3, s2
	s_delay_alu instid0(SALU_CYCLE_1)
	s_xor_b32 s2, exec_lo, s3
; %bb.885:
	v_cmp_ne_u32_e32 vcc_lo, 0, v213
	v_cndmask_b32_e32 v213, 43, v213, vcc_lo
; %bb.886:
	s_and_not1_saveexec_b32 s3, s2
	s_cbranch_execz .LBB98_892
; %bb.887:
	v_cmp_gt_f64_e32 vcc_lo, 0, v[200:201]
	v_cmp_gt_f64_e64 s2, 0, v[202:203]
	v_xor_b32_e32 v209, 0x80000000, v201
	v_xor_b32_e32 v217, 0x80000000, v203
	s_delay_alu instid0(VALU_DEP_2) | instskip(NEXT) | instid1(VALU_DEP_2)
	v_cndmask_b32_e32 v218, v201, v209, vcc_lo
	v_cndmask_b32_e64 v220, v203, v217, s2
	v_cndmask_b32_e32 v217, v200, v200, vcc_lo
	v_cndmask_b32_e64 v219, v202, v202, s2
	s_mov_b32 s2, exec_lo
	s_delay_alu instid0(VALU_DEP_1)
	v_cmpx_ngt_f64_e32 v[217:218], v[219:220]
	s_xor_b32 s2, exec_lo, s2
	s_cbranch_execz .LBB98_889
; %bb.888:
	v_div_scale_f64 v[217:218], null, v[202:203], v[202:203], v[200:201]
	v_div_scale_f64 v[223:224], vcc_lo, v[200:201], v[202:203], v[200:201]
	s_delay_alu instid0(VALU_DEP_2) | instskip(SKIP_2) | instid1(VALU_DEP_1)
	v_rcp_f64_e32 v[219:220], v[217:218]
	s_waitcnt_depctr 0xfff
	v_fma_f64 v[221:222], -v[217:218], v[219:220], 1.0
	v_fma_f64 v[219:220], v[219:220], v[221:222], v[219:220]
	s_delay_alu instid0(VALU_DEP_1) | instskip(NEXT) | instid1(VALU_DEP_1)
	v_fma_f64 v[221:222], -v[217:218], v[219:220], 1.0
	v_fma_f64 v[219:220], v[219:220], v[221:222], v[219:220]
	s_delay_alu instid0(VALU_DEP_1) | instskip(NEXT) | instid1(VALU_DEP_1)
	v_mul_f64 v[221:222], v[223:224], v[219:220]
	v_fma_f64 v[217:218], -v[217:218], v[221:222], v[223:224]
	s_delay_alu instid0(VALU_DEP_1) | instskip(NEXT) | instid1(VALU_DEP_1)
	v_div_fmas_f64 v[217:218], v[217:218], v[219:220], v[221:222]
	v_div_fixup_f64 v[217:218], v[217:218], v[202:203], v[200:201]
	s_delay_alu instid0(VALU_DEP_1) | instskip(NEXT) | instid1(VALU_DEP_1)
	v_fma_f64 v[200:201], v[200:201], v[217:218], v[202:203]
	v_div_scale_f64 v[202:203], null, v[200:201], v[200:201], 1.0
	s_delay_alu instid0(VALU_DEP_1) | instskip(SKIP_2) | instid1(VALU_DEP_1)
	v_rcp_f64_e32 v[219:220], v[202:203]
	s_waitcnt_depctr 0xfff
	v_fma_f64 v[221:222], -v[202:203], v[219:220], 1.0
	v_fma_f64 v[219:220], v[219:220], v[221:222], v[219:220]
	s_delay_alu instid0(VALU_DEP_1) | instskip(NEXT) | instid1(VALU_DEP_1)
	v_fma_f64 v[221:222], -v[202:203], v[219:220], 1.0
	v_fma_f64 v[219:220], v[219:220], v[221:222], v[219:220]
	v_div_scale_f64 v[221:222], vcc_lo, 1.0, v[200:201], 1.0
	s_delay_alu instid0(VALU_DEP_1) | instskip(NEXT) | instid1(VALU_DEP_1)
	v_mul_f64 v[223:224], v[221:222], v[219:220]
	v_fma_f64 v[202:203], -v[202:203], v[223:224], v[221:222]
	s_delay_alu instid0(VALU_DEP_1) | instskip(NEXT) | instid1(VALU_DEP_1)
	v_div_fmas_f64 v[202:203], v[202:203], v[219:220], v[223:224]
	v_div_fixup_f64 v[202:203], v[202:203], v[200:201], 1.0
	s_delay_alu instid0(VALU_DEP_1)
	v_mul_f64 v[200:201], v[217:218], v[202:203]
	v_xor_b32_e32 v203, 0x80000000, v203
.LBB98_889:
	s_and_not1_saveexec_b32 s2, s2
	s_cbranch_execz .LBB98_891
; %bb.890:
	s_delay_alu instid0(VALU_DEP_1) | instskip(SKIP_1) | instid1(VALU_DEP_2)
	v_div_scale_f64 v[217:218], null, v[200:201], v[200:201], v[202:203]
	v_div_scale_f64 v[223:224], vcc_lo, v[202:203], v[200:201], v[202:203]
	v_rcp_f64_e32 v[219:220], v[217:218]
	s_waitcnt_depctr 0xfff
	v_fma_f64 v[221:222], -v[217:218], v[219:220], 1.0
	s_delay_alu instid0(VALU_DEP_1) | instskip(NEXT) | instid1(VALU_DEP_1)
	v_fma_f64 v[219:220], v[219:220], v[221:222], v[219:220]
	v_fma_f64 v[221:222], -v[217:218], v[219:220], 1.0
	s_delay_alu instid0(VALU_DEP_1) | instskip(NEXT) | instid1(VALU_DEP_1)
	v_fma_f64 v[219:220], v[219:220], v[221:222], v[219:220]
	v_mul_f64 v[221:222], v[223:224], v[219:220]
	s_delay_alu instid0(VALU_DEP_1) | instskip(NEXT) | instid1(VALU_DEP_1)
	v_fma_f64 v[217:218], -v[217:218], v[221:222], v[223:224]
	v_div_fmas_f64 v[217:218], v[217:218], v[219:220], v[221:222]
	s_delay_alu instid0(VALU_DEP_1) | instskip(NEXT) | instid1(VALU_DEP_1)
	v_div_fixup_f64 v[217:218], v[217:218], v[200:201], v[202:203]
	v_fma_f64 v[200:201], v[202:203], v[217:218], v[200:201]
	s_delay_alu instid0(VALU_DEP_1) | instskip(NEXT) | instid1(VALU_DEP_1)
	v_div_scale_f64 v[202:203], null, v[200:201], v[200:201], 1.0
	v_rcp_f64_e32 v[219:220], v[202:203]
	s_waitcnt_depctr 0xfff
	v_fma_f64 v[221:222], -v[202:203], v[219:220], 1.0
	s_delay_alu instid0(VALU_DEP_1) | instskip(NEXT) | instid1(VALU_DEP_1)
	v_fma_f64 v[219:220], v[219:220], v[221:222], v[219:220]
	v_fma_f64 v[221:222], -v[202:203], v[219:220], 1.0
	s_delay_alu instid0(VALU_DEP_1) | instskip(SKIP_1) | instid1(VALU_DEP_1)
	v_fma_f64 v[219:220], v[219:220], v[221:222], v[219:220]
	v_div_scale_f64 v[221:222], vcc_lo, 1.0, v[200:201], 1.0
	v_mul_f64 v[223:224], v[221:222], v[219:220]
	s_delay_alu instid0(VALU_DEP_1) | instskip(NEXT) | instid1(VALU_DEP_1)
	v_fma_f64 v[202:203], -v[202:203], v[223:224], v[221:222]
	v_div_fmas_f64 v[202:203], v[202:203], v[219:220], v[223:224]
	s_delay_alu instid0(VALU_DEP_1) | instskip(NEXT) | instid1(VALU_DEP_1)
	v_div_fixup_f64 v[200:201], v[202:203], v[200:201], 1.0
	v_mul_f64 v[202:203], v[217:218], -v[200:201]
.LBB98_891:
	s_or_b32 exec_lo, exec_lo, s2
.LBB98_892:
	s_delay_alu instid0(SALU_CYCLE_1) | instskip(NEXT) | instid1(SALU_CYCLE_1)
	s_or_b32 exec_lo, exec_lo, s3
	s_mov_b32 s2, exec_lo
	v_cmpx_ne_u32_e64 v216, v208
	s_xor_b32 s2, exec_lo, s2
	s_cbranch_execz .LBB98_898
; %bb.893:
	s_mov_b32 s3, exec_lo
	v_cmpx_eq_u32_e32 42, v216
	s_cbranch_execz .LBB98_897
; %bb.894:
	v_cmp_ne_u32_e32 vcc_lo, 42, v208
	s_xor_b32 s6, s4, -1
	s_delay_alu instid0(SALU_CYCLE_1) | instskip(NEXT) | instid1(SALU_CYCLE_1)
	s_and_b32 s7, s6, vcc_lo
	s_and_saveexec_b32 s6, s7
	s_cbranch_execz .LBB98_896
; %bb.895:
	v_ashrrev_i32_e32 v209, 31, v208
	s_delay_alu instid0(VALU_DEP_1) | instskip(NEXT) | instid1(VALU_DEP_1)
	v_lshlrev_b64 v[215:216], 2, v[208:209]
	v_add_co_u32 v215, vcc_lo, v206, v215
	s_delay_alu instid0(VALU_DEP_2)
	v_add_co_ci_u32_e32 v216, vcc_lo, v207, v216, vcc_lo
	s_clause 0x1
	flat_load_b32 v209, v[215:216]
	flat_load_b32 v217, v[206:207] offset:168
	s_waitcnt vmcnt(1) lgkmcnt(1)
	flat_store_b32 v[206:207], v209 offset:168
	s_waitcnt vmcnt(0) lgkmcnt(1)
	flat_store_b32 v[215:216], v217
.LBB98_896:
	s_or_b32 exec_lo, exec_lo, s6
	v_mov_b32_e32 v216, v208
	v_mov_b32_e32 v215, v208
.LBB98_897:
	s_or_b32 exec_lo, exec_lo, s3
.LBB98_898:
	s_and_not1_saveexec_b32 s2, s2
	s_cbranch_execz .LBB98_900
; %bb.899:
	v_mov_b32_e32 v216, 42
	ds_store_2addr_b64 v210, v[24:25], v[26:27] offset0:86 offset1:87
	ds_store_2addr_b64 v210, v[20:21], v[22:23] offset0:88 offset1:89
	;; [unrolled: 1-line block ×7, first 2 shown]
.LBB98_900:
	s_or_b32 exec_lo, exec_lo, s2
	s_delay_alu instid0(SALU_CYCLE_1)
	s_mov_b32 s2, exec_lo
	s_waitcnt lgkmcnt(0)
	s_waitcnt_vscnt null, 0x0
	s_barrier
	buffer_gl0_inv
	v_cmpx_lt_i32_e32 42, v216
	s_cbranch_execz .LBB98_902
; %bb.901:
	v_mul_f64 v[208:209], v[200:201], v[30:31]
	v_mul_f64 v[30:31], v[202:203], v[30:31]
	s_delay_alu instid0(VALU_DEP_2) | instskip(NEXT) | instid1(VALU_DEP_2)
	v_fma_f64 v[208:209], v[202:203], v[28:29], v[208:209]
	v_fma_f64 v[28:29], v[200:201], v[28:29], -v[30:31]
	ds_load_2addr_b64 v[200:203], v210 offset0:86 offset1:87
	s_waitcnt lgkmcnt(0)
	v_mul_f64 v[30:31], v[202:203], v[208:209]
	s_delay_alu instid0(VALU_DEP_1) | instskip(SKIP_1) | instid1(VALU_DEP_2)
	v_fma_f64 v[30:31], v[200:201], v[28:29], -v[30:31]
	v_mul_f64 v[200:201], v[200:201], v[208:209]
	v_add_f64 v[24:25], v[24:25], -v[30:31]
	s_delay_alu instid0(VALU_DEP_2) | instskip(NEXT) | instid1(VALU_DEP_1)
	v_fma_f64 v[200:201], v[202:203], v[28:29], v[200:201]
	v_add_f64 v[26:27], v[26:27], -v[200:201]
	ds_load_2addr_b64 v[200:203], v210 offset0:88 offset1:89
	s_waitcnt lgkmcnt(0)
	v_mul_f64 v[30:31], v[202:203], v[208:209]
	s_delay_alu instid0(VALU_DEP_1) | instskip(SKIP_1) | instid1(VALU_DEP_2)
	v_fma_f64 v[30:31], v[200:201], v[28:29], -v[30:31]
	v_mul_f64 v[200:201], v[200:201], v[208:209]
	v_add_f64 v[20:21], v[20:21], -v[30:31]
	s_delay_alu instid0(VALU_DEP_2) | instskip(NEXT) | instid1(VALU_DEP_1)
	v_fma_f64 v[200:201], v[202:203], v[28:29], v[200:201]
	v_add_f64 v[22:23], v[22:23], -v[200:201]
	;; [unrolled: 10-line block ×6, first 2 shown]
	ds_load_2addr_b64 v[200:203], v210 offset0:98 offset1:99
	s_waitcnt lgkmcnt(0)
	v_mul_f64 v[30:31], v[202:203], v[208:209]
	s_delay_alu instid0(VALU_DEP_1) | instskip(SKIP_1) | instid1(VALU_DEP_2)
	v_fma_f64 v[30:31], v[200:201], v[28:29], -v[30:31]
	v_mul_f64 v[200:201], v[200:201], v[208:209]
	v_add_f64 v[0:1], v[0:1], -v[30:31]
	s_delay_alu instid0(VALU_DEP_2) | instskip(SKIP_1) | instid1(VALU_DEP_2)
	v_fma_f64 v[200:201], v[202:203], v[28:29], v[200:201]
	v_dual_mov_b32 v30, v208 :: v_dual_mov_b32 v31, v209
	v_add_f64 v[2:3], v[2:3], -v[200:201]
.LBB98_902:
	s_or_b32 exec_lo, exec_lo, s2
	v_lshl_add_u32 v200, v216, 4, v210
	s_barrier
	buffer_gl0_inv
	v_mov_b32_e32 v208, 43
	ds_store_2addr_b64 v200, v[24:25], v[26:27] offset1:1
	s_waitcnt lgkmcnt(0)
	s_barrier
	buffer_gl0_inv
	ds_load_2addr_b64 v[200:203], v210 offset0:86 offset1:87
	s_cmp_lt_i32 s5, 45
	s_cbranch_scc1 .LBB98_905
; %bb.903:
	v_add3_u32 v209, v214, 0, 0x2c0
	v_mov_b32_e32 v208, 43
	s_mov_b32 s6, 44
	s_set_inst_prefetch_distance 0x1
	.p2align	6
.LBB98_904:                             ; =>This Inner Loop Header: Depth=1
	ds_load_2addr_b64 v[217:220], v209 offset1:1
	s_waitcnt lgkmcnt(1)
	v_cmp_gt_f64_e32 vcc_lo, 0, v[200:201]
	v_xor_b32_e32 v221, 0x80000000, v201
	v_cmp_gt_f64_e64 s2, 0, v[202:203]
	v_xor_b32_e32 v223, 0x80000000, v203
	v_add_nc_u32_e32 v209, 16, v209
	s_waitcnt lgkmcnt(0)
	v_cmp_gt_f64_e64 s3, 0, v[217:218]
	v_mov_b32_e32 v225, v217
	v_dual_mov_b32 v227, v219 :: v_dual_cndmask_b32 v222, v201, v221
	v_xor_b32_e32 v221, 0x80000000, v218
	v_cndmask_b32_e64 v224, v203, v223, s2
	v_xor_b32_e32 v223, 0x80000000, v220
	s_delay_alu instid0(VALU_DEP_3) | instskip(SKIP_2) | instid1(VALU_DEP_2)
	v_cndmask_b32_e64 v226, v218, v221, s3
	v_cmp_gt_f64_e64 s3, 0, v[219:220]
	v_cndmask_b32_e32 v221, v200, v200, vcc_lo
	v_cndmask_b32_e64 v228, v220, v223, s3
	v_cndmask_b32_e64 v223, v202, v202, s2
	s_delay_alu instid0(VALU_DEP_2) | instskip(NEXT) | instid1(VALU_DEP_2)
	v_add_f64 v[225:226], v[225:226], v[227:228]
	v_add_f64 v[221:222], v[221:222], v[223:224]
	s_delay_alu instid0(VALU_DEP_1) | instskip(SKIP_4) | instid1(SALU_CYCLE_1)
	v_cmp_lt_f64_e32 vcc_lo, v[221:222], v[225:226]
	v_dual_cndmask_b32 v202, v202, v219 :: v_dual_cndmask_b32 v201, v201, v218
	v_dual_cndmask_b32 v200, v200, v217 :: v_dual_cndmask_b32 v203, v203, v220
	v_cndmask_b32_e64 v208, v208, s6, vcc_lo
	s_add_i32 s6, s6, 1
	s_cmp_lg_u32 s5, s6
	s_cbranch_scc1 .LBB98_904
.LBB98_905:
	s_set_inst_prefetch_distance 0x2
	s_waitcnt lgkmcnt(0)
	v_cmp_eq_f64_e32 vcc_lo, 0, v[200:201]
	v_cmp_eq_f64_e64 s2, 0, v[202:203]
	s_delay_alu instid0(VALU_DEP_1) | instskip(NEXT) | instid1(SALU_CYCLE_1)
	s_and_b32 s2, vcc_lo, s2
	s_and_saveexec_b32 s3, s2
	s_delay_alu instid0(SALU_CYCLE_1)
	s_xor_b32 s2, exec_lo, s3
; %bb.906:
	v_cmp_ne_u32_e32 vcc_lo, 0, v213
	v_cndmask_b32_e32 v213, 44, v213, vcc_lo
; %bb.907:
	s_and_not1_saveexec_b32 s3, s2
	s_cbranch_execz .LBB98_913
; %bb.908:
	v_cmp_gt_f64_e32 vcc_lo, 0, v[200:201]
	v_cmp_gt_f64_e64 s2, 0, v[202:203]
	v_xor_b32_e32 v209, 0x80000000, v201
	v_xor_b32_e32 v217, 0x80000000, v203
	s_delay_alu instid0(VALU_DEP_2) | instskip(NEXT) | instid1(VALU_DEP_2)
	v_cndmask_b32_e32 v218, v201, v209, vcc_lo
	v_cndmask_b32_e64 v220, v203, v217, s2
	v_cndmask_b32_e32 v217, v200, v200, vcc_lo
	v_cndmask_b32_e64 v219, v202, v202, s2
	s_mov_b32 s2, exec_lo
	s_delay_alu instid0(VALU_DEP_1)
	v_cmpx_ngt_f64_e32 v[217:218], v[219:220]
	s_xor_b32 s2, exec_lo, s2
	s_cbranch_execz .LBB98_910
; %bb.909:
	v_div_scale_f64 v[217:218], null, v[202:203], v[202:203], v[200:201]
	v_div_scale_f64 v[223:224], vcc_lo, v[200:201], v[202:203], v[200:201]
	s_delay_alu instid0(VALU_DEP_2) | instskip(SKIP_2) | instid1(VALU_DEP_1)
	v_rcp_f64_e32 v[219:220], v[217:218]
	s_waitcnt_depctr 0xfff
	v_fma_f64 v[221:222], -v[217:218], v[219:220], 1.0
	v_fma_f64 v[219:220], v[219:220], v[221:222], v[219:220]
	s_delay_alu instid0(VALU_DEP_1) | instskip(NEXT) | instid1(VALU_DEP_1)
	v_fma_f64 v[221:222], -v[217:218], v[219:220], 1.0
	v_fma_f64 v[219:220], v[219:220], v[221:222], v[219:220]
	s_delay_alu instid0(VALU_DEP_1) | instskip(NEXT) | instid1(VALU_DEP_1)
	v_mul_f64 v[221:222], v[223:224], v[219:220]
	v_fma_f64 v[217:218], -v[217:218], v[221:222], v[223:224]
	s_delay_alu instid0(VALU_DEP_1) | instskip(NEXT) | instid1(VALU_DEP_1)
	v_div_fmas_f64 v[217:218], v[217:218], v[219:220], v[221:222]
	v_div_fixup_f64 v[217:218], v[217:218], v[202:203], v[200:201]
	s_delay_alu instid0(VALU_DEP_1) | instskip(NEXT) | instid1(VALU_DEP_1)
	v_fma_f64 v[200:201], v[200:201], v[217:218], v[202:203]
	v_div_scale_f64 v[202:203], null, v[200:201], v[200:201], 1.0
	s_delay_alu instid0(VALU_DEP_1) | instskip(SKIP_2) | instid1(VALU_DEP_1)
	v_rcp_f64_e32 v[219:220], v[202:203]
	s_waitcnt_depctr 0xfff
	v_fma_f64 v[221:222], -v[202:203], v[219:220], 1.0
	v_fma_f64 v[219:220], v[219:220], v[221:222], v[219:220]
	s_delay_alu instid0(VALU_DEP_1) | instskip(NEXT) | instid1(VALU_DEP_1)
	v_fma_f64 v[221:222], -v[202:203], v[219:220], 1.0
	v_fma_f64 v[219:220], v[219:220], v[221:222], v[219:220]
	v_div_scale_f64 v[221:222], vcc_lo, 1.0, v[200:201], 1.0
	s_delay_alu instid0(VALU_DEP_1) | instskip(NEXT) | instid1(VALU_DEP_1)
	v_mul_f64 v[223:224], v[221:222], v[219:220]
	v_fma_f64 v[202:203], -v[202:203], v[223:224], v[221:222]
	s_delay_alu instid0(VALU_DEP_1) | instskip(NEXT) | instid1(VALU_DEP_1)
	v_div_fmas_f64 v[202:203], v[202:203], v[219:220], v[223:224]
	v_div_fixup_f64 v[202:203], v[202:203], v[200:201], 1.0
	s_delay_alu instid0(VALU_DEP_1)
	v_mul_f64 v[200:201], v[217:218], v[202:203]
	v_xor_b32_e32 v203, 0x80000000, v203
.LBB98_910:
	s_and_not1_saveexec_b32 s2, s2
	s_cbranch_execz .LBB98_912
; %bb.911:
	s_delay_alu instid0(VALU_DEP_1) | instskip(SKIP_1) | instid1(VALU_DEP_2)
	v_div_scale_f64 v[217:218], null, v[200:201], v[200:201], v[202:203]
	v_div_scale_f64 v[223:224], vcc_lo, v[202:203], v[200:201], v[202:203]
	v_rcp_f64_e32 v[219:220], v[217:218]
	s_waitcnt_depctr 0xfff
	v_fma_f64 v[221:222], -v[217:218], v[219:220], 1.0
	s_delay_alu instid0(VALU_DEP_1) | instskip(NEXT) | instid1(VALU_DEP_1)
	v_fma_f64 v[219:220], v[219:220], v[221:222], v[219:220]
	v_fma_f64 v[221:222], -v[217:218], v[219:220], 1.0
	s_delay_alu instid0(VALU_DEP_1) | instskip(NEXT) | instid1(VALU_DEP_1)
	v_fma_f64 v[219:220], v[219:220], v[221:222], v[219:220]
	v_mul_f64 v[221:222], v[223:224], v[219:220]
	s_delay_alu instid0(VALU_DEP_1) | instskip(NEXT) | instid1(VALU_DEP_1)
	v_fma_f64 v[217:218], -v[217:218], v[221:222], v[223:224]
	v_div_fmas_f64 v[217:218], v[217:218], v[219:220], v[221:222]
	s_delay_alu instid0(VALU_DEP_1) | instskip(NEXT) | instid1(VALU_DEP_1)
	v_div_fixup_f64 v[217:218], v[217:218], v[200:201], v[202:203]
	v_fma_f64 v[200:201], v[202:203], v[217:218], v[200:201]
	s_delay_alu instid0(VALU_DEP_1) | instskip(NEXT) | instid1(VALU_DEP_1)
	v_div_scale_f64 v[202:203], null, v[200:201], v[200:201], 1.0
	v_rcp_f64_e32 v[219:220], v[202:203]
	s_waitcnt_depctr 0xfff
	v_fma_f64 v[221:222], -v[202:203], v[219:220], 1.0
	s_delay_alu instid0(VALU_DEP_1) | instskip(NEXT) | instid1(VALU_DEP_1)
	v_fma_f64 v[219:220], v[219:220], v[221:222], v[219:220]
	v_fma_f64 v[221:222], -v[202:203], v[219:220], 1.0
	s_delay_alu instid0(VALU_DEP_1) | instskip(SKIP_1) | instid1(VALU_DEP_1)
	v_fma_f64 v[219:220], v[219:220], v[221:222], v[219:220]
	v_div_scale_f64 v[221:222], vcc_lo, 1.0, v[200:201], 1.0
	v_mul_f64 v[223:224], v[221:222], v[219:220]
	s_delay_alu instid0(VALU_DEP_1) | instskip(NEXT) | instid1(VALU_DEP_1)
	v_fma_f64 v[202:203], -v[202:203], v[223:224], v[221:222]
	v_div_fmas_f64 v[202:203], v[202:203], v[219:220], v[223:224]
	s_delay_alu instid0(VALU_DEP_1) | instskip(NEXT) | instid1(VALU_DEP_1)
	v_div_fixup_f64 v[200:201], v[202:203], v[200:201], 1.0
	v_mul_f64 v[202:203], v[217:218], -v[200:201]
.LBB98_912:
	s_or_b32 exec_lo, exec_lo, s2
.LBB98_913:
	s_delay_alu instid0(SALU_CYCLE_1) | instskip(NEXT) | instid1(SALU_CYCLE_1)
	s_or_b32 exec_lo, exec_lo, s3
	s_mov_b32 s2, exec_lo
	v_cmpx_ne_u32_e64 v216, v208
	s_xor_b32 s2, exec_lo, s2
	s_cbranch_execz .LBB98_919
; %bb.914:
	s_mov_b32 s3, exec_lo
	v_cmpx_eq_u32_e32 43, v216
	s_cbranch_execz .LBB98_918
; %bb.915:
	v_cmp_ne_u32_e32 vcc_lo, 43, v208
	s_xor_b32 s6, s4, -1
	s_delay_alu instid0(SALU_CYCLE_1) | instskip(NEXT) | instid1(SALU_CYCLE_1)
	s_and_b32 s7, s6, vcc_lo
	s_and_saveexec_b32 s6, s7
	s_cbranch_execz .LBB98_917
; %bb.916:
	v_ashrrev_i32_e32 v209, 31, v208
	s_delay_alu instid0(VALU_DEP_1) | instskip(NEXT) | instid1(VALU_DEP_1)
	v_lshlrev_b64 v[215:216], 2, v[208:209]
	v_add_co_u32 v215, vcc_lo, v206, v215
	s_delay_alu instid0(VALU_DEP_2)
	v_add_co_ci_u32_e32 v216, vcc_lo, v207, v216, vcc_lo
	s_clause 0x1
	flat_load_b32 v209, v[215:216]
	flat_load_b32 v217, v[206:207] offset:172
	s_waitcnt vmcnt(1) lgkmcnt(1)
	flat_store_b32 v[206:207], v209 offset:172
	s_waitcnt vmcnt(0) lgkmcnt(1)
	flat_store_b32 v[215:216], v217
.LBB98_917:
	s_or_b32 exec_lo, exec_lo, s6
	v_mov_b32_e32 v216, v208
	v_mov_b32_e32 v215, v208
.LBB98_918:
	s_or_b32 exec_lo, exec_lo, s3
.LBB98_919:
	s_and_not1_saveexec_b32 s2, s2
	s_cbranch_execz .LBB98_921
; %bb.920:
	v_mov_b32_e32 v216, 43
	ds_store_2addr_b64 v210, v[20:21], v[22:23] offset0:88 offset1:89
	ds_store_2addr_b64 v210, v[16:17], v[18:19] offset0:90 offset1:91
	;; [unrolled: 1-line block ×6, first 2 shown]
.LBB98_921:
	s_or_b32 exec_lo, exec_lo, s2
	s_delay_alu instid0(SALU_CYCLE_1)
	s_mov_b32 s2, exec_lo
	s_waitcnt lgkmcnt(0)
	s_waitcnt_vscnt null, 0x0
	s_barrier
	buffer_gl0_inv
	v_cmpx_lt_i32_e32 43, v216
	s_cbranch_execz .LBB98_923
; %bb.922:
	v_mul_f64 v[208:209], v[200:201], v[26:27]
	v_mul_f64 v[26:27], v[202:203], v[26:27]
	s_delay_alu instid0(VALU_DEP_2) | instskip(NEXT) | instid1(VALU_DEP_2)
	v_fma_f64 v[208:209], v[202:203], v[24:25], v[208:209]
	v_fma_f64 v[24:25], v[200:201], v[24:25], -v[26:27]
	ds_load_2addr_b64 v[200:203], v210 offset0:88 offset1:89
	s_waitcnt lgkmcnt(0)
	v_mul_f64 v[26:27], v[202:203], v[208:209]
	s_delay_alu instid0(VALU_DEP_1) | instskip(SKIP_1) | instid1(VALU_DEP_2)
	v_fma_f64 v[26:27], v[200:201], v[24:25], -v[26:27]
	v_mul_f64 v[200:201], v[200:201], v[208:209]
	v_add_f64 v[20:21], v[20:21], -v[26:27]
	s_delay_alu instid0(VALU_DEP_2) | instskip(NEXT) | instid1(VALU_DEP_1)
	v_fma_f64 v[200:201], v[202:203], v[24:25], v[200:201]
	v_add_f64 v[22:23], v[22:23], -v[200:201]
	ds_load_2addr_b64 v[200:203], v210 offset0:90 offset1:91
	s_waitcnt lgkmcnt(0)
	v_mul_f64 v[26:27], v[202:203], v[208:209]
	s_delay_alu instid0(VALU_DEP_1) | instskip(SKIP_1) | instid1(VALU_DEP_2)
	v_fma_f64 v[26:27], v[200:201], v[24:25], -v[26:27]
	v_mul_f64 v[200:201], v[200:201], v[208:209]
	v_add_f64 v[16:17], v[16:17], -v[26:27]
	s_delay_alu instid0(VALU_DEP_2) | instskip(NEXT) | instid1(VALU_DEP_1)
	v_fma_f64 v[200:201], v[202:203], v[24:25], v[200:201]
	v_add_f64 v[18:19], v[18:19], -v[200:201]
	;; [unrolled: 10-line block ×5, first 2 shown]
	ds_load_2addr_b64 v[200:203], v210 offset0:98 offset1:99
	s_waitcnt lgkmcnt(0)
	v_mul_f64 v[26:27], v[202:203], v[208:209]
	s_delay_alu instid0(VALU_DEP_1) | instskip(SKIP_1) | instid1(VALU_DEP_2)
	v_fma_f64 v[26:27], v[200:201], v[24:25], -v[26:27]
	v_mul_f64 v[200:201], v[200:201], v[208:209]
	v_add_f64 v[0:1], v[0:1], -v[26:27]
	s_delay_alu instid0(VALU_DEP_2) | instskip(SKIP_1) | instid1(VALU_DEP_2)
	v_fma_f64 v[200:201], v[202:203], v[24:25], v[200:201]
	v_dual_mov_b32 v26, v208 :: v_dual_mov_b32 v27, v209
	v_add_f64 v[2:3], v[2:3], -v[200:201]
.LBB98_923:
	s_or_b32 exec_lo, exec_lo, s2
	v_lshl_add_u32 v200, v216, 4, v210
	s_barrier
	buffer_gl0_inv
	v_mov_b32_e32 v208, 44
	ds_store_2addr_b64 v200, v[20:21], v[22:23] offset1:1
	s_waitcnt lgkmcnt(0)
	s_barrier
	buffer_gl0_inv
	ds_load_2addr_b64 v[200:203], v210 offset0:88 offset1:89
	s_cmp_lt_i32 s5, 46
	s_cbranch_scc1 .LBB98_926
; %bb.924:
	v_add3_u32 v209, v214, 0, 0x2d0
	v_mov_b32_e32 v208, 44
	s_mov_b32 s6, 45
	s_set_inst_prefetch_distance 0x1
	.p2align	6
.LBB98_925:                             ; =>This Inner Loop Header: Depth=1
	ds_load_2addr_b64 v[217:220], v209 offset1:1
	s_waitcnt lgkmcnt(1)
	v_cmp_gt_f64_e32 vcc_lo, 0, v[200:201]
	v_xor_b32_e32 v221, 0x80000000, v201
	v_cmp_gt_f64_e64 s2, 0, v[202:203]
	v_xor_b32_e32 v223, 0x80000000, v203
	v_add_nc_u32_e32 v209, 16, v209
	s_waitcnt lgkmcnt(0)
	v_cmp_gt_f64_e64 s3, 0, v[217:218]
	v_mov_b32_e32 v225, v217
	v_dual_mov_b32 v227, v219 :: v_dual_cndmask_b32 v222, v201, v221
	v_xor_b32_e32 v221, 0x80000000, v218
	v_cndmask_b32_e64 v224, v203, v223, s2
	v_xor_b32_e32 v223, 0x80000000, v220
	s_delay_alu instid0(VALU_DEP_3) | instskip(SKIP_2) | instid1(VALU_DEP_2)
	v_cndmask_b32_e64 v226, v218, v221, s3
	v_cmp_gt_f64_e64 s3, 0, v[219:220]
	v_cndmask_b32_e32 v221, v200, v200, vcc_lo
	v_cndmask_b32_e64 v228, v220, v223, s3
	v_cndmask_b32_e64 v223, v202, v202, s2
	s_delay_alu instid0(VALU_DEP_2) | instskip(NEXT) | instid1(VALU_DEP_2)
	v_add_f64 v[225:226], v[225:226], v[227:228]
	v_add_f64 v[221:222], v[221:222], v[223:224]
	s_delay_alu instid0(VALU_DEP_1) | instskip(SKIP_4) | instid1(SALU_CYCLE_1)
	v_cmp_lt_f64_e32 vcc_lo, v[221:222], v[225:226]
	v_dual_cndmask_b32 v202, v202, v219 :: v_dual_cndmask_b32 v201, v201, v218
	v_dual_cndmask_b32 v200, v200, v217 :: v_dual_cndmask_b32 v203, v203, v220
	v_cndmask_b32_e64 v208, v208, s6, vcc_lo
	s_add_i32 s6, s6, 1
	s_cmp_lg_u32 s5, s6
	s_cbranch_scc1 .LBB98_925
.LBB98_926:
	s_set_inst_prefetch_distance 0x2
	s_waitcnt lgkmcnt(0)
	v_cmp_eq_f64_e32 vcc_lo, 0, v[200:201]
	v_cmp_eq_f64_e64 s2, 0, v[202:203]
	s_delay_alu instid0(VALU_DEP_1) | instskip(NEXT) | instid1(SALU_CYCLE_1)
	s_and_b32 s2, vcc_lo, s2
	s_and_saveexec_b32 s3, s2
	s_delay_alu instid0(SALU_CYCLE_1)
	s_xor_b32 s2, exec_lo, s3
; %bb.927:
	v_cmp_ne_u32_e32 vcc_lo, 0, v213
	v_cndmask_b32_e32 v213, 45, v213, vcc_lo
; %bb.928:
	s_and_not1_saveexec_b32 s3, s2
	s_cbranch_execz .LBB98_934
; %bb.929:
	v_cmp_gt_f64_e32 vcc_lo, 0, v[200:201]
	v_cmp_gt_f64_e64 s2, 0, v[202:203]
	v_xor_b32_e32 v209, 0x80000000, v201
	v_xor_b32_e32 v217, 0x80000000, v203
	s_delay_alu instid0(VALU_DEP_2) | instskip(NEXT) | instid1(VALU_DEP_2)
	v_cndmask_b32_e32 v218, v201, v209, vcc_lo
	v_cndmask_b32_e64 v220, v203, v217, s2
	v_cndmask_b32_e32 v217, v200, v200, vcc_lo
	v_cndmask_b32_e64 v219, v202, v202, s2
	s_mov_b32 s2, exec_lo
	s_delay_alu instid0(VALU_DEP_1)
	v_cmpx_ngt_f64_e32 v[217:218], v[219:220]
	s_xor_b32 s2, exec_lo, s2
	s_cbranch_execz .LBB98_931
; %bb.930:
	v_div_scale_f64 v[217:218], null, v[202:203], v[202:203], v[200:201]
	v_div_scale_f64 v[223:224], vcc_lo, v[200:201], v[202:203], v[200:201]
	s_delay_alu instid0(VALU_DEP_2) | instskip(SKIP_2) | instid1(VALU_DEP_1)
	v_rcp_f64_e32 v[219:220], v[217:218]
	s_waitcnt_depctr 0xfff
	v_fma_f64 v[221:222], -v[217:218], v[219:220], 1.0
	v_fma_f64 v[219:220], v[219:220], v[221:222], v[219:220]
	s_delay_alu instid0(VALU_DEP_1) | instskip(NEXT) | instid1(VALU_DEP_1)
	v_fma_f64 v[221:222], -v[217:218], v[219:220], 1.0
	v_fma_f64 v[219:220], v[219:220], v[221:222], v[219:220]
	s_delay_alu instid0(VALU_DEP_1) | instskip(NEXT) | instid1(VALU_DEP_1)
	v_mul_f64 v[221:222], v[223:224], v[219:220]
	v_fma_f64 v[217:218], -v[217:218], v[221:222], v[223:224]
	s_delay_alu instid0(VALU_DEP_1) | instskip(NEXT) | instid1(VALU_DEP_1)
	v_div_fmas_f64 v[217:218], v[217:218], v[219:220], v[221:222]
	v_div_fixup_f64 v[217:218], v[217:218], v[202:203], v[200:201]
	s_delay_alu instid0(VALU_DEP_1) | instskip(NEXT) | instid1(VALU_DEP_1)
	v_fma_f64 v[200:201], v[200:201], v[217:218], v[202:203]
	v_div_scale_f64 v[202:203], null, v[200:201], v[200:201], 1.0
	s_delay_alu instid0(VALU_DEP_1) | instskip(SKIP_2) | instid1(VALU_DEP_1)
	v_rcp_f64_e32 v[219:220], v[202:203]
	s_waitcnt_depctr 0xfff
	v_fma_f64 v[221:222], -v[202:203], v[219:220], 1.0
	v_fma_f64 v[219:220], v[219:220], v[221:222], v[219:220]
	s_delay_alu instid0(VALU_DEP_1) | instskip(NEXT) | instid1(VALU_DEP_1)
	v_fma_f64 v[221:222], -v[202:203], v[219:220], 1.0
	v_fma_f64 v[219:220], v[219:220], v[221:222], v[219:220]
	v_div_scale_f64 v[221:222], vcc_lo, 1.0, v[200:201], 1.0
	s_delay_alu instid0(VALU_DEP_1) | instskip(NEXT) | instid1(VALU_DEP_1)
	v_mul_f64 v[223:224], v[221:222], v[219:220]
	v_fma_f64 v[202:203], -v[202:203], v[223:224], v[221:222]
	s_delay_alu instid0(VALU_DEP_1) | instskip(NEXT) | instid1(VALU_DEP_1)
	v_div_fmas_f64 v[202:203], v[202:203], v[219:220], v[223:224]
	v_div_fixup_f64 v[202:203], v[202:203], v[200:201], 1.0
	s_delay_alu instid0(VALU_DEP_1)
	v_mul_f64 v[200:201], v[217:218], v[202:203]
	v_xor_b32_e32 v203, 0x80000000, v203
.LBB98_931:
	s_and_not1_saveexec_b32 s2, s2
	s_cbranch_execz .LBB98_933
; %bb.932:
	s_delay_alu instid0(VALU_DEP_1) | instskip(SKIP_1) | instid1(VALU_DEP_2)
	v_div_scale_f64 v[217:218], null, v[200:201], v[200:201], v[202:203]
	v_div_scale_f64 v[223:224], vcc_lo, v[202:203], v[200:201], v[202:203]
	v_rcp_f64_e32 v[219:220], v[217:218]
	s_waitcnt_depctr 0xfff
	v_fma_f64 v[221:222], -v[217:218], v[219:220], 1.0
	s_delay_alu instid0(VALU_DEP_1) | instskip(NEXT) | instid1(VALU_DEP_1)
	v_fma_f64 v[219:220], v[219:220], v[221:222], v[219:220]
	v_fma_f64 v[221:222], -v[217:218], v[219:220], 1.0
	s_delay_alu instid0(VALU_DEP_1) | instskip(NEXT) | instid1(VALU_DEP_1)
	v_fma_f64 v[219:220], v[219:220], v[221:222], v[219:220]
	v_mul_f64 v[221:222], v[223:224], v[219:220]
	s_delay_alu instid0(VALU_DEP_1) | instskip(NEXT) | instid1(VALU_DEP_1)
	v_fma_f64 v[217:218], -v[217:218], v[221:222], v[223:224]
	v_div_fmas_f64 v[217:218], v[217:218], v[219:220], v[221:222]
	s_delay_alu instid0(VALU_DEP_1) | instskip(NEXT) | instid1(VALU_DEP_1)
	v_div_fixup_f64 v[217:218], v[217:218], v[200:201], v[202:203]
	v_fma_f64 v[200:201], v[202:203], v[217:218], v[200:201]
	s_delay_alu instid0(VALU_DEP_1) | instskip(NEXT) | instid1(VALU_DEP_1)
	v_div_scale_f64 v[202:203], null, v[200:201], v[200:201], 1.0
	v_rcp_f64_e32 v[219:220], v[202:203]
	s_waitcnt_depctr 0xfff
	v_fma_f64 v[221:222], -v[202:203], v[219:220], 1.0
	s_delay_alu instid0(VALU_DEP_1) | instskip(NEXT) | instid1(VALU_DEP_1)
	v_fma_f64 v[219:220], v[219:220], v[221:222], v[219:220]
	v_fma_f64 v[221:222], -v[202:203], v[219:220], 1.0
	s_delay_alu instid0(VALU_DEP_1) | instskip(SKIP_1) | instid1(VALU_DEP_1)
	v_fma_f64 v[219:220], v[219:220], v[221:222], v[219:220]
	v_div_scale_f64 v[221:222], vcc_lo, 1.0, v[200:201], 1.0
	v_mul_f64 v[223:224], v[221:222], v[219:220]
	s_delay_alu instid0(VALU_DEP_1) | instskip(NEXT) | instid1(VALU_DEP_1)
	v_fma_f64 v[202:203], -v[202:203], v[223:224], v[221:222]
	v_div_fmas_f64 v[202:203], v[202:203], v[219:220], v[223:224]
	s_delay_alu instid0(VALU_DEP_1) | instskip(NEXT) | instid1(VALU_DEP_1)
	v_div_fixup_f64 v[200:201], v[202:203], v[200:201], 1.0
	v_mul_f64 v[202:203], v[217:218], -v[200:201]
.LBB98_933:
	s_or_b32 exec_lo, exec_lo, s2
.LBB98_934:
	s_delay_alu instid0(SALU_CYCLE_1) | instskip(NEXT) | instid1(SALU_CYCLE_1)
	s_or_b32 exec_lo, exec_lo, s3
	s_mov_b32 s2, exec_lo
	v_cmpx_ne_u32_e64 v216, v208
	s_xor_b32 s2, exec_lo, s2
	s_cbranch_execz .LBB98_940
; %bb.935:
	s_mov_b32 s3, exec_lo
	v_cmpx_eq_u32_e32 44, v216
	s_cbranch_execz .LBB98_939
; %bb.936:
	v_cmp_ne_u32_e32 vcc_lo, 44, v208
	s_xor_b32 s6, s4, -1
	s_delay_alu instid0(SALU_CYCLE_1) | instskip(NEXT) | instid1(SALU_CYCLE_1)
	s_and_b32 s7, s6, vcc_lo
	s_and_saveexec_b32 s6, s7
	s_cbranch_execz .LBB98_938
; %bb.937:
	v_ashrrev_i32_e32 v209, 31, v208
	s_delay_alu instid0(VALU_DEP_1) | instskip(NEXT) | instid1(VALU_DEP_1)
	v_lshlrev_b64 v[215:216], 2, v[208:209]
	v_add_co_u32 v215, vcc_lo, v206, v215
	s_delay_alu instid0(VALU_DEP_2)
	v_add_co_ci_u32_e32 v216, vcc_lo, v207, v216, vcc_lo
	s_clause 0x1
	flat_load_b32 v209, v[215:216]
	flat_load_b32 v217, v[206:207] offset:176
	s_waitcnt vmcnt(1) lgkmcnt(1)
	flat_store_b32 v[206:207], v209 offset:176
	s_waitcnt vmcnt(0) lgkmcnt(1)
	flat_store_b32 v[215:216], v217
.LBB98_938:
	s_or_b32 exec_lo, exec_lo, s6
	v_mov_b32_e32 v216, v208
	v_mov_b32_e32 v215, v208
.LBB98_939:
	s_or_b32 exec_lo, exec_lo, s3
.LBB98_940:
	s_and_not1_saveexec_b32 s2, s2
	s_cbranch_execz .LBB98_942
; %bb.941:
	v_mov_b32_e32 v216, 44
	ds_store_2addr_b64 v210, v[16:17], v[18:19] offset0:90 offset1:91
	ds_store_2addr_b64 v210, v[12:13], v[14:15] offset0:92 offset1:93
	;; [unrolled: 1-line block ×5, first 2 shown]
.LBB98_942:
	s_or_b32 exec_lo, exec_lo, s2
	s_delay_alu instid0(SALU_CYCLE_1)
	s_mov_b32 s2, exec_lo
	s_waitcnt lgkmcnt(0)
	s_waitcnt_vscnt null, 0x0
	s_barrier
	buffer_gl0_inv
	v_cmpx_lt_i32_e32 44, v216
	s_cbranch_execz .LBB98_944
; %bb.943:
	v_mul_f64 v[208:209], v[200:201], v[22:23]
	v_mul_f64 v[22:23], v[202:203], v[22:23]
	ds_load_2addr_b64 v[217:220], v210 offset0:90 offset1:91
	ds_load_2addr_b64 v[221:224], v210 offset0:92 offset1:93
	;; [unrolled: 1-line block ×5, first 2 shown]
	v_fma_f64 v[202:203], v[202:203], v[20:21], v[208:209]
	v_fma_f64 v[20:21], v[200:201], v[20:21], -v[22:23]
	s_waitcnt lgkmcnt(4)
	s_delay_alu instid0(VALU_DEP_2)
	v_mul_f64 v[22:23], v[219:220], v[202:203]
	v_mul_f64 v[200:201], v[217:218], v[202:203]
	s_waitcnt lgkmcnt(3)
	v_mul_f64 v[208:209], v[223:224], v[202:203]
	v_mul_f64 v[237:238], v[221:222], v[202:203]
	s_waitcnt lgkmcnt(2)
	;; [unrolled: 3-line block ×4, first 2 shown]
	v_mul_f64 v[247:248], v[235:236], v[202:203]
	v_mul_f64 v[249:250], v[233:234], v[202:203]
	v_fma_f64 v[22:23], v[217:218], v[20:21], -v[22:23]
	v_fma_f64 v[200:201], v[219:220], v[20:21], v[200:201]
	v_fma_f64 v[208:209], v[221:222], v[20:21], -v[208:209]
	v_fma_f64 v[217:218], v[223:224], v[20:21], v[237:238]
	;; [unrolled: 2-line block ×5, first 2 shown]
	v_add_f64 v[16:17], v[16:17], -v[22:23]
	v_add_f64 v[18:19], v[18:19], -v[200:201]
	;; [unrolled: 1-line block ×10, first 2 shown]
	v_dual_mov_b32 v22, v202 :: v_dual_mov_b32 v23, v203
.LBB98_944:
	s_or_b32 exec_lo, exec_lo, s2
	v_lshl_add_u32 v200, v216, 4, v210
	s_barrier
	buffer_gl0_inv
	v_mov_b32_e32 v208, 45
	ds_store_2addr_b64 v200, v[16:17], v[18:19] offset1:1
	s_waitcnt lgkmcnt(0)
	s_barrier
	buffer_gl0_inv
	ds_load_2addr_b64 v[200:203], v210 offset0:90 offset1:91
	s_cmp_lt_i32 s5, 47
	s_cbranch_scc1 .LBB98_947
; %bb.945:
	v_add3_u32 v209, v214, 0, 0x2e0
	v_mov_b32_e32 v208, 45
	s_mov_b32 s6, 46
	s_set_inst_prefetch_distance 0x1
	.p2align	6
.LBB98_946:                             ; =>This Inner Loop Header: Depth=1
	ds_load_2addr_b64 v[217:220], v209 offset1:1
	s_waitcnt lgkmcnt(1)
	v_cmp_gt_f64_e32 vcc_lo, 0, v[200:201]
	v_xor_b32_e32 v221, 0x80000000, v201
	v_cmp_gt_f64_e64 s2, 0, v[202:203]
	v_xor_b32_e32 v223, 0x80000000, v203
	v_add_nc_u32_e32 v209, 16, v209
	s_waitcnt lgkmcnt(0)
	v_cmp_gt_f64_e64 s3, 0, v[217:218]
	v_mov_b32_e32 v225, v217
	v_dual_mov_b32 v227, v219 :: v_dual_cndmask_b32 v222, v201, v221
	v_xor_b32_e32 v221, 0x80000000, v218
	v_cndmask_b32_e64 v224, v203, v223, s2
	v_xor_b32_e32 v223, 0x80000000, v220
	s_delay_alu instid0(VALU_DEP_3) | instskip(SKIP_2) | instid1(VALU_DEP_2)
	v_cndmask_b32_e64 v226, v218, v221, s3
	v_cmp_gt_f64_e64 s3, 0, v[219:220]
	v_cndmask_b32_e32 v221, v200, v200, vcc_lo
	v_cndmask_b32_e64 v228, v220, v223, s3
	v_cndmask_b32_e64 v223, v202, v202, s2
	s_delay_alu instid0(VALU_DEP_2) | instskip(NEXT) | instid1(VALU_DEP_2)
	v_add_f64 v[225:226], v[225:226], v[227:228]
	v_add_f64 v[221:222], v[221:222], v[223:224]
	s_delay_alu instid0(VALU_DEP_1) | instskip(SKIP_4) | instid1(SALU_CYCLE_1)
	v_cmp_lt_f64_e32 vcc_lo, v[221:222], v[225:226]
	v_dual_cndmask_b32 v202, v202, v219 :: v_dual_cndmask_b32 v201, v201, v218
	v_dual_cndmask_b32 v200, v200, v217 :: v_dual_cndmask_b32 v203, v203, v220
	v_cndmask_b32_e64 v208, v208, s6, vcc_lo
	s_add_i32 s6, s6, 1
	s_cmp_lg_u32 s5, s6
	s_cbranch_scc1 .LBB98_946
.LBB98_947:
	s_set_inst_prefetch_distance 0x2
	s_waitcnt lgkmcnt(0)
	v_cmp_eq_f64_e32 vcc_lo, 0, v[200:201]
	v_cmp_eq_f64_e64 s2, 0, v[202:203]
	s_delay_alu instid0(VALU_DEP_1) | instskip(NEXT) | instid1(SALU_CYCLE_1)
	s_and_b32 s2, vcc_lo, s2
	s_and_saveexec_b32 s3, s2
	s_delay_alu instid0(SALU_CYCLE_1)
	s_xor_b32 s2, exec_lo, s3
; %bb.948:
	v_cmp_ne_u32_e32 vcc_lo, 0, v213
	v_cndmask_b32_e32 v213, 46, v213, vcc_lo
; %bb.949:
	s_and_not1_saveexec_b32 s3, s2
	s_cbranch_execz .LBB98_955
; %bb.950:
	v_cmp_gt_f64_e32 vcc_lo, 0, v[200:201]
	v_cmp_gt_f64_e64 s2, 0, v[202:203]
	v_xor_b32_e32 v209, 0x80000000, v201
	v_xor_b32_e32 v217, 0x80000000, v203
	s_delay_alu instid0(VALU_DEP_2) | instskip(NEXT) | instid1(VALU_DEP_2)
	v_cndmask_b32_e32 v218, v201, v209, vcc_lo
	v_cndmask_b32_e64 v220, v203, v217, s2
	v_cndmask_b32_e32 v217, v200, v200, vcc_lo
	v_cndmask_b32_e64 v219, v202, v202, s2
	s_mov_b32 s2, exec_lo
	s_delay_alu instid0(VALU_DEP_1)
	v_cmpx_ngt_f64_e32 v[217:218], v[219:220]
	s_xor_b32 s2, exec_lo, s2
	s_cbranch_execz .LBB98_952
; %bb.951:
	v_div_scale_f64 v[217:218], null, v[202:203], v[202:203], v[200:201]
	v_div_scale_f64 v[223:224], vcc_lo, v[200:201], v[202:203], v[200:201]
	s_delay_alu instid0(VALU_DEP_2) | instskip(SKIP_2) | instid1(VALU_DEP_1)
	v_rcp_f64_e32 v[219:220], v[217:218]
	s_waitcnt_depctr 0xfff
	v_fma_f64 v[221:222], -v[217:218], v[219:220], 1.0
	v_fma_f64 v[219:220], v[219:220], v[221:222], v[219:220]
	s_delay_alu instid0(VALU_DEP_1) | instskip(NEXT) | instid1(VALU_DEP_1)
	v_fma_f64 v[221:222], -v[217:218], v[219:220], 1.0
	v_fma_f64 v[219:220], v[219:220], v[221:222], v[219:220]
	s_delay_alu instid0(VALU_DEP_1) | instskip(NEXT) | instid1(VALU_DEP_1)
	v_mul_f64 v[221:222], v[223:224], v[219:220]
	v_fma_f64 v[217:218], -v[217:218], v[221:222], v[223:224]
	s_delay_alu instid0(VALU_DEP_1) | instskip(NEXT) | instid1(VALU_DEP_1)
	v_div_fmas_f64 v[217:218], v[217:218], v[219:220], v[221:222]
	v_div_fixup_f64 v[217:218], v[217:218], v[202:203], v[200:201]
	s_delay_alu instid0(VALU_DEP_1) | instskip(NEXT) | instid1(VALU_DEP_1)
	v_fma_f64 v[200:201], v[200:201], v[217:218], v[202:203]
	v_div_scale_f64 v[202:203], null, v[200:201], v[200:201], 1.0
	s_delay_alu instid0(VALU_DEP_1) | instskip(SKIP_2) | instid1(VALU_DEP_1)
	v_rcp_f64_e32 v[219:220], v[202:203]
	s_waitcnt_depctr 0xfff
	v_fma_f64 v[221:222], -v[202:203], v[219:220], 1.0
	v_fma_f64 v[219:220], v[219:220], v[221:222], v[219:220]
	s_delay_alu instid0(VALU_DEP_1) | instskip(NEXT) | instid1(VALU_DEP_1)
	v_fma_f64 v[221:222], -v[202:203], v[219:220], 1.0
	v_fma_f64 v[219:220], v[219:220], v[221:222], v[219:220]
	v_div_scale_f64 v[221:222], vcc_lo, 1.0, v[200:201], 1.0
	s_delay_alu instid0(VALU_DEP_1) | instskip(NEXT) | instid1(VALU_DEP_1)
	v_mul_f64 v[223:224], v[221:222], v[219:220]
	v_fma_f64 v[202:203], -v[202:203], v[223:224], v[221:222]
	s_delay_alu instid0(VALU_DEP_1) | instskip(NEXT) | instid1(VALU_DEP_1)
	v_div_fmas_f64 v[202:203], v[202:203], v[219:220], v[223:224]
	v_div_fixup_f64 v[202:203], v[202:203], v[200:201], 1.0
	s_delay_alu instid0(VALU_DEP_1)
	v_mul_f64 v[200:201], v[217:218], v[202:203]
	v_xor_b32_e32 v203, 0x80000000, v203
.LBB98_952:
	s_and_not1_saveexec_b32 s2, s2
	s_cbranch_execz .LBB98_954
; %bb.953:
	s_delay_alu instid0(VALU_DEP_1) | instskip(SKIP_1) | instid1(VALU_DEP_2)
	v_div_scale_f64 v[217:218], null, v[200:201], v[200:201], v[202:203]
	v_div_scale_f64 v[223:224], vcc_lo, v[202:203], v[200:201], v[202:203]
	v_rcp_f64_e32 v[219:220], v[217:218]
	s_waitcnt_depctr 0xfff
	v_fma_f64 v[221:222], -v[217:218], v[219:220], 1.0
	s_delay_alu instid0(VALU_DEP_1) | instskip(NEXT) | instid1(VALU_DEP_1)
	v_fma_f64 v[219:220], v[219:220], v[221:222], v[219:220]
	v_fma_f64 v[221:222], -v[217:218], v[219:220], 1.0
	s_delay_alu instid0(VALU_DEP_1) | instskip(NEXT) | instid1(VALU_DEP_1)
	v_fma_f64 v[219:220], v[219:220], v[221:222], v[219:220]
	v_mul_f64 v[221:222], v[223:224], v[219:220]
	s_delay_alu instid0(VALU_DEP_1) | instskip(NEXT) | instid1(VALU_DEP_1)
	v_fma_f64 v[217:218], -v[217:218], v[221:222], v[223:224]
	v_div_fmas_f64 v[217:218], v[217:218], v[219:220], v[221:222]
	s_delay_alu instid0(VALU_DEP_1) | instskip(NEXT) | instid1(VALU_DEP_1)
	v_div_fixup_f64 v[217:218], v[217:218], v[200:201], v[202:203]
	v_fma_f64 v[200:201], v[202:203], v[217:218], v[200:201]
	s_delay_alu instid0(VALU_DEP_1) | instskip(NEXT) | instid1(VALU_DEP_1)
	v_div_scale_f64 v[202:203], null, v[200:201], v[200:201], 1.0
	v_rcp_f64_e32 v[219:220], v[202:203]
	s_waitcnt_depctr 0xfff
	v_fma_f64 v[221:222], -v[202:203], v[219:220], 1.0
	s_delay_alu instid0(VALU_DEP_1) | instskip(NEXT) | instid1(VALU_DEP_1)
	v_fma_f64 v[219:220], v[219:220], v[221:222], v[219:220]
	v_fma_f64 v[221:222], -v[202:203], v[219:220], 1.0
	s_delay_alu instid0(VALU_DEP_1) | instskip(SKIP_1) | instid1(VALU_DEP_1)
	v_fma_f64 v[219:220], v[219:220], v[221:222], v[219:220]
	v_div_scale_f64 v[221:222], vcc_lo, 1.0, v[200:201], 1.0
	v_mul_f64 v[223:224], v[221:222], v[219:220]
	s_delay_alu instid0(VALU_DEP_1) | instskip(NEXT) | instid1(VALU_DEP_1)
	v_fma_f64 v[202:203], -v[202:203], v[223:224], v[221:222]
	v_div_fmas_f64 v[202:203], v[202:203], v[219:220], v[223:224]
	s_delay_alu instid0(VALU_DEP_1) | instskip(NEXT) | instid1(VALU_DEP_1)
	v_div_fixup_f64 v[200:201], v[202:203], v[200:201], 1.0
	v_mul_f64 v[202:203], v[217:218], -v[200:201]
.LBB98_954:
	s_or_b32 exec_lo, exec_lo, s2
.LBB98_955:
	s_delay_alu instid0(SALU_CYCLE_1) | instskip(NEXT) | instid1(SALU_CYCLE_1)
	s_or_b32 exec_lo, exec_lo, s3
	s_mov_b32 s2, exec_lo
	v_cmpx_ne_u32_e64 v216, v208
	s_xor_b32 s2, exec_lo, s2
	s_cbranch_execz .LBB98_961
; %bb.956:
	s_mov_b32 s3, exec_lo
	v_cmpx_eq_u32_e32 45, v216
	s_cbranch_execz .LBB98_960
; %bb.957:
	v_cmp_ne_u32_e32 vcc_lo, 45, v208
	s_xor_b32 s6, s4, -1
	s_delay_alu instid0(SALU_CYCLE_1) | instskip(NEXT) | instid1(SALU_CYCLE_1)
	s_and_b32 s7, s6, vcc_lo
	s_and_saveexec_b32 s6, s7
	s_cbranch_execz .LBB98_959
; %bb.958:
	v_ashrrev_i32_e32 v209, 31, v208
	s_delay_alu instid0(VALU_DEP_1) | instskip(NEXT) | instid1(VALU_DEP_1)
	v_lshlrev_b64 v[215:216], 2, v[208:209]
	v_add_co_u32 v215, vcc_lo, v206, v215
	s_delay_alu instid0(VALU_DEP_2)
	v_add_co_ci_u32_e32 v216, vcc_lo, v207, v216, vcc_lo
	s_clause 0x1
	flat_load_b32 v209, v[215:216]
	flat_load_b32 v217, v[206:207] offset:180
	s_waitcnt vmcnt(1) lgkmcnt(1)
	flat_store_b32 v[206:207], v209 offset:180
	s_waitcnt vmcnt(0) lgkmcnt(1)
	flat_store_b32 v[215:216], v217
.LBB98_959:
	s_or_b32 exec_lo, exec_lo, s6
	v_mov_b32_e32 v216, v208
	v_mov_b32_e32 v215, v208
.LBB98_960:
	s_or_b32 exec_lo, exec_lo, s3
.LBB98_961:
	s_and_not1_saveexec_b32 s2, s2
	s_cbranch_execz .LBB98_963
; %bb.962:
	v_mov_b32_e32 v216, 45
	ds_store_2addr_b64 v210, v[12:13], v[14:15] offset0:92 offset1:93
	ds_store_2addr_b64 v210, v[8:9], v[10:11] offset0:94 offset1:95
	;; [unrolled: 1-line block ×4, first 2 shown]
.LBB98_963:
	s_or_b32 exec_lo, exec_lo, s2
	s_delay_alu instid0(SALU_CYCLE_1)
	s_mov_b32 s2, exec_lo
	s_waitcnt lgkmcnt(0)
	s_waitcnt_vscnt null, 0x0
	s_barrier
	buffer_gl0_inv
	v_cmpx_lt_i32_e32 45, v216
	s_cbranch_execz .LBB98_965
; %bb.964:
	v_mul_f64 v[208:209], v[200:201], v[18:19]
	v_mul_f64 v[18:19], v[202:203], v[18:19]
	ds_load_2addr_b64 v[217:220], v210 offset0:92 offset1:93
	ds_load_2addr_b64 v[221:224], v210 offset0:94 offset1:95
	;; [unrolled: 1-line block ×4, first 2 shown]
	v_fma_f64 v[202:203], v[202:203], v[16:17], v[208:209]
	v_fma_f64 v[16:17], v[200:201], v[16:17], -v[18:19]
	s_waitcnt lgkmcnt(3)
	s_delay_alu instid0(VALU_DEP_2)
	v_mul_f64 v[18:19], v[219:220], v[202:203]
	v_mul_f64 v[200:201], v[217:218], v[202:203]
	s_waitcnt lgkmcnt(2)
	v_mul_f64 v[208:209], v[223:224], v[202:203]
	v_mul_f64 v[233:234], v[221:222], v[202:203]
	s_waitcnt lgkmcnt(1)
	;; [unrolled: 3-line block ×3, first 2 shown]
	v_mul_f64 v[239:240], v[231:232], v[202:203]
	v_mul_f64 v[241:242], v[229:230], v[202:203]
	v_fma_f64 v[18:19], v[217:218], v[16:17], -v[18:19]
	v_fma_f64 v[200:201], v[219:220], v[16:17], v[200:201]
	v_fma_f64 v[208:209], v[221:222], v[16:17], -v[208:209]
	v_fma_f64 v[217:218], v[223:224], v[16:17], v[233:234]
	;; [unrolled: 2-line block ×4, first 2 shown]
	v_add_f64 v[12:13], v[12:13], -v[18:19]
	v_add_f64 v[14:15], v[14:15], -v[200:201]
	;; [unrolled: 1-line block ×8, first 2 shown]
	v_dual_mov_b32 v18, v202 :: v_dual_mov_b32 v19, v203
.LBB98_965:
	s_or_b32 exec_lo, exec_lo, s2
	v_lshl_add_u32 v200, v216, 4, v210
	s_barrier
	buffer_gl0_inv
	v_mov_b32_e32 v208, 46
	ds_store_2addr_b64 v200, v[12:13], v[14:15] offset1:1
	s_waitcnt lgkmcnt(0)
	s_barrier
	buffer_gl0_inv
	ds_load_2addr_b64 v[200:203], v210 offset0:92 offset1:93
	s_cmp_lt_i32 s5, 48
	s_cbranch_scc1 .LBB98_968
; %bb.966:
	v_add3_u32 v209, v214, 0, 0x2f0
	v_mov_b32_e32 v208, 46
	s_mov_b32 s6, 47
	s_set_inst_prefetch_distance 0x1
	.p2align	6
.LBB98_967:                             ; =>This Inner Loop Header: Depth=1
	ds_load_2addr_b64 v[217:220], v209 offset1:1
	s_waitcnt lgkmcnt(1)
	v_cmp_gt_f64_e32 vcc_lo, 0, v[200:201]
	v_xor_b32_e32 v221, 0x80000000, v201
	v_cmp_gt_f64_e64 s2, 0, v[202:203]
	v_xor_b32_e32 v223, 0x80000000, v203
	v_add_nc_u32_e32 v209, 16, v209
	s_waitcnt lgkmcnt(0)
	v_cmp_gt_f64_e64 s3, 0, v[217:218]
	v_mov_b32_e32 v225, v217
	v_dual_mov_b32 v227, v219 :: v_dual_cndmask_b32 v222, v201, v221
	v_xor_b32_e32 v221, 0x80000000, v218
	v_cndmask_b32_e64 v224, v203, v223, s2
	v_xor_b32_e32 v223, 0x80000000, v220
	s_delay_alu instid0(VALU_DEP_3) | instskip(SKIP_2) | instid1(VALU_DEP_2)
	v_cndmask_b32_e64 v226, v218, v221, s3
	v_cmp_gt_f64_e64 s3, 0, v[219:220]
	v_cndmask_b32_e32 v221, v200, v200, vcc_lo
	v_cndmask_b32_e64 v228, v220, v223, s3
	v_cndmask_b32_e64 v223, v202, v202, s2
	s_delay_alu instid0(VALU_DEP_2) | instskip(NEXT) | instid1(VALU_DEP_2)
	v_add_f64 v[225:226], v[225:226], v[227:228]
	v_add_f64 v[221:222], v[221:222], v[223:224]
	s_delay_alu instid0(VALU_DEP_1) | instskip(SKIP_4) | instid1(SALU_CYCLE_1)
	v_cmp_lt_f64_e32 vcc_lo, v[221:222], v[225:226]
	v_dual_cndmask_b32 v202, v202, v219 :: v_dual_cndmask_b32 v201, v201, v218
	v_dual_cndmask_b32 v200, v200, v217 :: v_dual_cndmask_b32 v203, v203, v220
	v_cndmask_b32_e64 v208, v208, s6, vcc_lo
	s_add_i32 s6, s6, 1
	s_cmp_lg_u32 s5, s6
	s_cbranch_scc1 .LBB98_967
.LBB98_968:
	s_set_inst_prefetch_distance 0x2
	s_waitcnt lgkmcnt(0)
	v_cmp_eq_f64_e32 vcc_lo, 0, v[200:201]
	v_cmp_eq_f64_e64 s2, 0, v[202:203]
	s_delay_alu instid0(VALU_DEP_1) | instskip(NEXT) | instid1(SALU_CYCLE_1)
	s_and_b32 s2, vcc_lo, s2
	s_and_saveexec_b32 s3, s2
	s_delay_alu instid0(SALU_CYCLE_1)
	s_xor_b32 s2, exec_lo, s3
; %bb.969:
	v_cmp_ne_u32_e32 vcc_lo, 0, v213
	v_cndmask_b32_e32 v213, 47, v213, vcc_lo
; %bb.970:
	s_and_not1_saveexec_b32 s3, s2
	s_cbranch_execz .LBB98_976
; %bb.971:
	v_cmp_gt_f64_e32 vcc_lo, 0, v[200:201]
	v_cmp_gt_f64_e64 s2, 0, v[202:203]
	v_xor_b32_e32 v209, 0x80000000, v201
	v_xor_b32_e32 v217, 0x80000000, v203
	s_delay_alu instid0(VALU_DEP_2) | instskip(NEXT) | instid1(VALU_DEP_2)
	v_cndmask_b32_e32 v218, v201, v209, vcc_lo
	v_cndmask_b32_e64 v220, v203, v217, s2
	v_cndmask_b32_e32 v217, v200, v200, vcc_lo
	v_cndmask_b32_e64 v219, v202, v202, s2
	s_mov_b32 s2, exec_lo
	s_delay_alu instid0(VALU_DEP_1)
	v_cmpx_ngt_f64_e32 v[217:218], v[219:220]
	s_xor_b32 s2, exec_lo, s2
	s_cbranch_execz .LBB98_973
; %bb.972:
	v_div_scale_f64 v[217:218], null, v[202:203], v[202:203], v[200:201]
	v_div_scale_f64 v[223:224], vcc_lo, v[200:201], v[202:203], v[200:201]
	s_delay_alu instid0(VALU_DEP_2) | instskip(SKIP_2) | instid1(VALU_DEP_1)
	v_rcp_f64_e32 v[219:220], v[217:218]
	s_waitcnt_depctr 0xfff
	v_fma_f64 v[221:222], -v[217:218], v[219:220], 1.0
	v_fma_f64 v[219:220], v[219:220], v[221:222], v[219:220]
	s_delay_alu instid0(VALU_DEP_1) | instskip(NEXT) | instid1(VALU_DEP_1)
	v_fma_f64 v[221:222], -v[217:218], v[219:220], 1.0
	v_fma_f64 v[219:220], v[219:220], v[221:222], v[219:220]
	s_delay_alu instid0(VALU_DEP_1) | instskip(NEXT) | instid1(VALU_DEP_1)
	v_mul_f64 v[221:222], v[223:224], v[219:220]
	v_fma_f64 v[217:218], -v[217:218], v[221:222], v[223:224]
	s_delay_alu instid0(VALU_DEP_1) | instskip(NEXT) | instid1(VALU_DEP_1)
	v_div_fmas_f64 v[217:218], v[217:218], v[219:220], v[221:222]
	v_div_fixup_f64 v[217:218], v[217:218], v[202:203], v[200:201]
	s_delay_alu instid0(VALU_DEP_1) | instskip(NEXT) | instid1(VALU_DEP_1)
	v_fma_f64 v[200:201], v[200:201], v[217:218], v[202:203]
	v_div_scale_f64 v[202:203], null, v[200:201], v[200:201], 1.0
	s_delay_alu instid0(VALU_DEP_1) | instskip(SKIP_2) | instid1(VALU_DEP_1)
	v_rcp_f64_e32 v[219:220], v[202:203]
	s_waitcnt_depctr 0xfff
	v_fma_f64 v[221:222], -v[202:203], v[219:220], 1.0
	v_fma_f64 v[219:220], v[219:220], v[221:222], v[219:220]
	s_delay_alu instid0(VALU_DEP_1) | instskip(NEXT) | instid1(VALU_DEP_1)
	v_fma_f64 v[221:222], -v[202:203], v[219:220], 1.0
	v_fma_f64 v[219:220], v[219:220], v[221:222], v[219:220]
	v_div_scale_f64 v[221:222], vcc_lo, 1.0, v[200:201], 1.0
	s_delay_alu instid0(VALU_DEP_1) | instskip(NEXT) | instid1(VALU_DEP_1)
	v_mul_f64 v[223:224], v[221:222], v[219:220]
	v_fma_f64 v[202:203], -v[202:203], v[223:224], v[221:222]
	s_delay_alu instid0(VALU_DEP_1) | instskip(NEXT) | instid1(VALU_DEP_1)
	v_div_fmas_f64 v[202:203], v[202:203], v[219:220], v[223:224]
	v_div_fixup_f64 v[202:203], v[202:203], v[200:201], 1.0
	s_delay_alu instid0(VALU_DEP_1)
	v_mul_f64 v[200:201], v[217:218], v[202:203]
	v_xor_b32_e32 v203, 0x80000000, v203
.LBB98_973:
	s_and_not1_saveexec_b32 s2, s2
	s_cbranch_execz .LBB98_975
; %bb.974:
	s_delay_alu instid0(VALU_DEP_1) | instskip(SKIP_1) | instid1(VALU_DEP_2)
	v_div_scale_f64 v[217:218], null, v[200:201], v[200:201], v[202:203]
	v_div_scale_f64 v[223:224], vcc_lo, v[202:203], v[200:201], v[202:203]
	v_rcp_f64_e32 v[219:220], v[217:218]
	s_waitcnt_depctr 0xfff
	v_fma_f64 v[221:222], -v[217:218], v[219:220], 1.0
	s_delay_alu instid0(VALU_DEP_1) | instskip(NEXT) | instid1(VALU_DEP_1)
	v_fma_f64 v[219:220], v[219:220], v[221:222], v[219:220]
	v_fma_f64 v[221:222], -v[217:218], v[219:220], 1.0
	s_delay_alu instid0(VALU_DEP_1) | instskip(NEXT) | instid1(VALU_DEP_1)
	v_fma_f64 v[219:220], v[219:220], v[221:222], v[219:220]
	v_mul_f64 v[221:222], v[223:224], v[219:220]
	s_delay_alu instid0(VALU_DEP_1) | instskip(NEXT) | instid1(VALU_DEP_1)
	v_fma_f64 v[217:218], -v[217:218], v[221:222], v[223:224]
	v_div_fmas_f64 v[217:218], v[217:218], v[219:220], v[221:222]
	s_delay_alu instid0(VALU_DEP_1) | instskip(NEXT) | instid1(VALU_DEP_1)
	v_div_fixup_f64 v[217:218], v[217:218], v[200:201], v[202:203]
	v_fma_f64 v[200:201], v[202:203], v[217:218], v[200:201]
	s_delay_alu instid0(VALU_DEP_1) | instskip(NEXT) | instid1(VALU_DEP_1)
	v_div_scale_f64 v[202:203], null, v[200:201], v[200:201], 1.0
	v_rcp_f64_e32 v[219:220], v[202:203]
	s_waitcnt_depctr 0xfff
	v_fma_f64 v[221:222], -v[202:203], v[219:220], 1.0
	s_delay_alu instid0(VALU_DEP_1) | instskip(NEXT) | instid1(VALU_DEP_1)
	v_fma_f64 v[219:220], v[219:220], v[221:222], v[219:220]
	v_fma_f64 v[221:222], -v[202:203], v[219:220], 1.0
	s_delay_alu instid0(VALU_DEP_1) | instskip(SKIP_1) | instid1(VALU_DEP_1)
	v_fma_f64 v[219:220], v[219:220], v[221:222], v[219:220]
	v_div_scale_f64 v[221:222], vcc_lo, 1.0, v[200:201], 1.0
	v_mul_f64 v[223:224], v[221:222], v[219:220]
	s_delay_alu instid0(VALU_DEP_1) | instskip(NEXT) | instid1(VALU_DEP_1)
	v_fma_f64 v[202:203], -v[202:203], v[223:224], v[221:222]
	v_div_fmas_f64 v[202:203], v[202:203], v[219:220], v[223:224]
	s_delay_alu instid0(VALU_DEP_1) | instskip(NEXT) | instid1(VALU_DEP_1)
	v_div_fixup_f64 v[200:201], v[202:203], v[200:201], 1.0
	v_mul_f64 v[202:203], v[217:218], -v[200:201]
.LBB98_975:
	s_or_b32 exec_lo, exec_lo, s2
.LBB98_976:
	s_delay_alu instid0(SALU_CYCLE_1) | instskip(NEXT) | instid1(SALU_CYCLE_1)
	s_or_b32 exec_lo, exec_lo, s3
	s_mov_b32 s2, exec_lo
	v_cmpx_ne_u32_e64 v216, v208
	s_xor_b32 s2, exec_lo, s2
	s_cbranch_execz .LBB98_982
; %bb.977:
	s_mov_b32 s3, exec_lo
	v_cmpx_eq_u32_e32 46, v216
	s_cbranch_execz .LBB98_981
; %bb.978:
	v_cmp_ne_u32_e32 vcc_lo, 46, v208
	s_xor_b32 s6, s4, -1
	s_delay_alu instid0(SALU_CYCLE_1) | instskip(NEXT) | instid1(SALU_CYCLE_1)
	s_and_b32 s7, s6, vcc_lo
	s_and_saveexec_b32 s6, s7
	s_cbranch_execz .LBB98_980
; %bb.979:
	v_ashrrev_i32_e32 v209, 31, v208
	s_delay_alu instid0(VALU_DEP_1) | instskip(NEXT) | instid1(VALU_DEP_1)
	v_lshlrev_b64 v[215:216], 2, v[208:209]
	v_add_co_u32 v215, vcc_lo, v206, v215
	s_delay_alu instid0(VALU_DEP_2)
	v_add_co_ci_u32_e32 v216, vcc_lo, v207, v216, vcc_lo
	s_clause 0x1
	flat_load_b32 v209, v[215:216]
	flat_load_b32 v217, v[206:207] offset:184
	s_waitcnt vmcnt(1) lgkmcnt(1)
	flat_store_b32 v[206:207], v209 offset:184
	s_waitcnt vmcnt(0) lgkmcnt(1)
	flat_store_b32 v[215:216], v217
.LBB98_980:
	s_or_b32 exec_lo, exec_lo, s6
	v_mov_b32_e32 v216, v208
	v_mov_b32_e32 v215, v208
.LBB98_981:
	s_or_b32 exec_lo, exec_lo, s3
.LBB98_982:
	s_and_not1_saveexec_b32 s2, s2
	s_cbranch_execz .LBB98_984
; %bb.983:
	v_mov_b32_e32 v216, 46
	ds_store_2addr_b64 v210, v[8:9], v[10:11] offset0:94 offset1:95
	ds_store_2addr_b64 v210, v[4:5], v[6:7] offset0:96 offset1:97
	;; [unrolled: 1-line block ×3, first 2 shown]
.LBB98_984:
	s_or_b32 exec_lo, exec_lo, s2
	s_delay_alu instid0(SALU_CYCLE_1)
	s_mov_b32 s2, exec_lo
	s_waitcnt lgkmcnt(0)
	s_waitcnt_vscnt null, 0x0
	s_barrier
	buffer_gl0_inv
	v_cmpx_lt_i32_e32 46, v216
	s_cbranch_execz .LBB98_986
; %bb.985:
	v_mul_f64 v[208:209], v[200:201], v[14:15]
	v_mul_f64 v[14:15], v[202:203], v[14:15]
	ds_load_2addr_b64 v[217:220], v210 offset0:94 offset1:95
	ds_load_2addr_b64 v[221:224], v210 offset0:96 offset1:97
	;; [unrolled: 1-line block ×3, first 2 shown]
	v_fma_f64 v[202:203], v[202:203], v[12:13], v[208:209]
	v_fma_f64 v[12:13], v[200:201], v[12:13], -v[14:15]
	s_waitcnt lgkmcnt(2)
	s_delay_alu instid0(VALU_DEP_2)
	v_mul_f64 v[14:15], v[219:220], v[202:203]
	v_mul_f64 v[200:201], v[217:218], v[202:203]
	s_waitcnt lgkmcnt(1)
	v_mul_f64 v[208:209], v[223:224], v[202:203]
	v_mul_f64 v[229:230], v[221:222], v[202:203]
	s_waitcnt lgkmcnt(0)
	v_mul_f64 v[231:232], v[227:228], v[202:203]
	v_mul_f64 v[233:234], v[225:226], v[202:203]
	v_fma_f64 v[14:15], v[217:218], v[12:13], -v[14:15]
	v_fma_f64 v[200:201], v[219:220], v[12:13], v[200:201]
	v_fma_f64 v[208:209], v[221:222], v[12:13], -v[208:209]
	v_fma_f64 v[217:218], v[223:224], v[12:13], v[229:230]
	;; [unrolled: 2-line block ×3, first 2 shown]
	v_add_f64 v[8:9], v[8:9], -v[14:15]
	v_add_f64 v[10:11], v[10:11], -v[200:201]
	;; [unrolled: 1-line block ×6, first 2 shown]
	v_dual_mov_b32 v14, v202 :: v_dual_mov_b32 v15, v203
.LBB98_986:
	s_or_b32 exec_lo, exec_lo, s2
	v_lshl_add_u32 v200, v216, 4, v210
	s_barrier
	buffer_gl0_inv
	v_mov_b32_e32 v208, 47
	ds_store_2addr_b64 v200, v[8:9], v[10:11] offset1:1
	s_waitcnt lgkmcnt(0)
	s_barrier
	buffer_gl0_inv
	ds_load_2addr_b64 v[200:203], v210 offset0:94 offset1:95
	s_cmp_lt_i32 s5, 49
	s_cbranch_scc1 .LBB98_989
; %bb.987:
	v_add3_u32 v209, v214, 0, 0x300
	v_mov_b32_e32 v208, 47
	s_mov_b32 s6, 48
	s_set_inst_prefetch_distance 0x1
	.p2align	6
.LBB98_988:                             ; =>This Inner Loop Header: Depth=1
	ds_load_2addr_b64 v[217:220], v209 offset1:1
	s_waitcnt lgkmcnt(1)
	v_cmp_gt_f64_e32 vcc_lo, 0, v[200:201]
	v_xor_b32_e32 v221, 0x80000000, v201
	v_cmp_gt_f64_e64 s2, 0, v[202:203]
	v_xor_b32_e32 v223, 0x80000000, v203
	v_add_nc_u32_e32 v209, 16, v209
	s_waitcnt lgkmcnt(0)
	v_cmp_gt_f64_e64 s3, 0, v[217:218]
	v_mov_b32_e32 v225, v217
	v_dual_mov_b32 v227, v219 :: v_dual_cndmask_b32 v222, v201, v221
	v_xor_b32_e32 v221, 0x80000000, v218
	v_cndmask_b32_e64 v224, v203, v223, s2
	v_xor_b32_e32 v223, 0x80000000, v220
	s_delay_alu instid0(VALU_DEP_3) | instskip(SKIP_2) | instid1(VALU_DEP_2)
	v_cndmask_b32_e64 v226, v218, v221, s3
	v_cmp_gt_f64_e64 s3, 0, v[219:220]
	v_cndmask_b32_e32 v221, v200, v200, vcc_lo
	v_cndmask_b32_e64 v228, v220, v223, s3
	v_cndmask_b32_e64 v223, v202, v202, s2
	s_delay_alu instid0(VALU_DEP_2) | instskip(NEXT) | instid1(VALU_DEP_2)
	v_add_f64 v[225:226], v[225:226], v[227:228]
	v_add_f64 v[221:222], v[221:222], v[223:224]
	s_delay_alu instid0(VALU_DEP_1) | instskip(SKIP_4) | instid1(SALU_CYCLE_1)
	v_cmp_lt_f64_e32 vcc_lo, v[221:222], v[225:226]
	v_dual_cndmask_b32 v202, v202, v219 :: v_dual_cndmask_b32 v201, v201, v218
	v_dual_cndmask_b32 v200, v200, v217 :: v_dual_cndmask_b32 v203, v203, v220
	v_cndmask_b32_e64 v208, v208, s6, vcc_lo
	s_add_i32 s6, s6, 1
	s_cmp_lg_u32 s5, s6
	s_cbranch_scc1 .LBB98_988
.LBB98_989:
	s_set_inst_prefetch_distance 0x2
	s_waitcnt lgkmcnt(0)
	v_cmp_eq_f64_e32 vcc_lo, 0, v[200:201]
	v_cmp_eq_f64_e64 s2, 0, v[202:203]
	s_delay_alu instid0(VALU_DEP_1) | instskip(NEXT) | instid1(SALU_CYCLE_1)
	s_and_b32 s2, vcc_lo, s2
	s_and_saveexec_b32 s3, s2
	s_delay_alu instid0(SALU_CYCLE_1)
	s_xor_b32 s2, exec_lo, s3
; %bb.990:
	v_cmp_ne_u32_e32 vcc_lo, 0, v213
	v_cndmask_b32_e32 v213, 48, v213, vcc_lo
; %bb.991:
	s_and_not1_saveexec_b32 s3, s2
	s_cbranch_execz .LBB98_997
; %bb.992:
	v_cmp_gt_f64_e32 vcc_lo, 0, v[200:201]
	v_cmp_gt_f64_e64 s2, 0, v[202:203]
	v_xor_b32_e32 v209, 0x80000000, v201
	v_xor_b32_e32 v217, 0x80000000, v203
	s_delay_alu instid0(VALU_DEP_2) | instskip(NEXT) | instid1(VALU_DEP_2)
	v_cndmask_b32_e32 v218, v201, v209, vcc_lo
	v_cndmask_b32_e64 v220, v203, v217, s2
	v_cndmask_b32_e32 v217, v200, v200, vcc_lo
	v_cndmask_b32_e64 v219, v202, v202, s2
	s_mov_b32 s2, exec_lo
	s_delay_alu instid0(VALU_DEP_1)
	v_cmpx_ngt_f64_e32 v[217:218], v[219:220]
	s_xor_b32 s2, exec_lo, s2
	s_cbranch_execz .LBB98_994
; %bb.993:
	v_div_scale_f64 v[217:218], null, v[202:203], v[202:203], v[200:201]
	v_div_scale_f64 v[223:224], vcc_lo, v[200:201], v[202:203], v[200:201]
	s_delay_alu instid0(VALU_DEP_2) | instskip(SKIP_2) | instid1(VALU_DEP_1)
	v_rcp_f64_e32 v[219:220], v[217:218]
	s_waitcnt_depctr 0xfff
	v_fma_f64 v[221:222], -v[217:218], v[219:220], 1.0
	v_fma_f64 v[219:220], v[219:220], v[221:222], v[219:220]
	s_delay_alu instid0(VALU_DEP_1) | instskip(NEXT) | instid1(VALU_DEP_1)
	v_fma_f64 v[221:222], -v[217:218], v[219:220], 1.0
	v_fma_f64 v[219:220], v[219:220], v[221:222], v[219:220]
	s_delay_alu instid0(VALU_DEP_1) | instskip(NEXT) | instid1(VALU_DEP_1)
	v_mul_f64 v[221:222], v[223:224], v[219:220]
	v_fma_f64 v[217:218], -v[217:218], v[221:222], v[223:224]
	s_delay_alu instid0(VALU_DEP_1) | instskip(NEXT) | instid1(VALU_DEP_1)
	v_div_fmas_f64 v[217:218], v[217:218], v[219:220], v[221:222]
	v_div_fixup_f64 v[217:218], v[217:218], v[202:203], v[200:201]
	s_delay_alu instid0(VALU_DEP_1) | instskip(NEXT) | instid1(VALU_DEP_1)
	v_fma_f64 v[200:201], v[200:201], v[217:218], v[202:203]
	v_div_scale_f64 v[202:203], null, v[200:201], v[200:201], 1.0
	s_delay_alu instid0(VALU_DEP_1) | instskip(SKIP_2) | instid1(VALU_DEP_1)
	v_rcp_f64_e32 v[219:220], v[202:203]
	s_waitcnt_depctr 0xfff
	v_fma_f64 v[221:222], -v[202:203], v[219:220], 1.0
	v_fma_f64 v[219:220], v[219:220], v[221:222], v[219:220]
	s_delay_alu instid0(VALU_DEP_1) | instskip(NEXT) | instid1(VALU_DEP_1)
	v_fma_f64 v[221:222], -v[202:203], v[219:220], 1.0
	v_fma_f64 v[219:220], v[219:220], v[221:222], v[219:220]
	v_div_scale_f64 v[221:222], vcc_lo, 1.0, v[200:201], 1.0
	s_delay_alu instid0(VALU_DEP_1) | instskip(NEXT) | instid1(VALU_DEP_1)
	v_mul_f64 v[223:224], v[221:222], v[219:220]
	v_fma_f64 v[202:203], -v[202:203], v[223:224], v[221:222]
	s_delay_alu instid0(VALU_DEP_1) | instskip(NEXT) | instid1(VALU_DEP_1)
	v_div_fmas_f64 v[202:203], v[202:203], v[219:220], v[223:224]
	v_div_fixup_f64 v[202:203], v[202:203], v[200:201], 1.0
	s_delay_alu instid0(VALU_DEP_1)
	v_mul_f64 v[200:201], v[217:218], v[202:203]
	v_xor_b32_e32 v203, 0x80000000, v203
.LBB98_994:
	s_and_not1_saveexec_b32 s2, s2
	s_cbranch_execz .LBB98_996
; %bb.995:
	s_delay_alu instid0(VALU_DEP_1) | instskip(SKIP_1) | instid1(VALU_DEP_2)
	v_div_scale_f64 v[217:218], null, v[200:201], v[200:201], v[202:203]
	v_div_scale_f64 v[223:224], vcc_lo, v[202:203], v[200:201], v[202:203]
	v_rcp_f64_e32 v[219:220], v[217:218]
	s_waitcnt_depctr 0xfff
	v_fma_f64 v[221:222], -v[217:218], v[219:220], 1.0
	s_delay_alu instid0(VALU_DEP_1) | instskip(NEXT) | instid1(VALU_DEP_1)
	v_fma_f64 v[219:220], v[219:220], v[221:222], v[219:220]
	v_fma_f64 v[221:222], -v[217:218], v[219:220], 1.0
	s_delay_alu instid0(VALU_DEP_1) | instskip(NEXT) | instid1(VALU_DEP_1)
	v_fma_f64 v[219:220], v[219:220], v[221:222], v[219:220]
	v_mul_f64 v[221:222], v[223:224], v[219:220]
	s_delay_alu instid0(VALU_DEP_1) | instskip(NEXT) | instid1(VALU_DEP_1)
	v_fma_f64 v[217:218], -v[217:218], v[221:222], v[223:224]
	v_div_fmas_f64 v[217:218], v[217:218], v[219:220], v[221:222]
	s_delay_alu instid0(VALU_DEP_1) | instskip(NEXT) | instid1(VALU_DEP_1)
	v_div_fixup_f64 v[217:218], v[217:218], v[200:201], v[202:203]
	v_fma_f64 v[200:201], v[202:203], v[217:218], v[200:201]
	s_delay_alu instid0(VALU_DEP_1) | instskip(NEXT) | instid1(VALU_DEP_1)
	v_div_scale_f64 v[202:203], null, v[200:201], v[200:201], 1.0
	v_rcp_f64_e32 v[219:220], v[202:203]
	s_waitcnt_depctr 0xfff
	v_fma_f64 v[221:222], -v[202:203], v[219:220], 1.0
	s_delay_alu instid0(VALU_DEP_1) | instskip(NEXT) | instid1(VALU_DEP_1)
	v_fma_f64 v[219:220], v[219:220], v[221:222], v[219:220]
	v_fma_f64 v[221:222], -v[202:203], v[219:220], 1.0
	s_delay_alu instid0(VALU_DEP_1) | instskip(SKIP_1) | instid1(VALU_DEP_1)
	v_fma_f64 v[219:220], v[219:220], v[221:222], v[219:220]
	v_div_scale_f64 v[221:222], vcc_lo, 1.0, v[200:201], 1.0
	v_mul_f64 v[223:224], v[221:222], v[219:220]
	s_delay_alu instid0(VALU_DEP_1) | instskip(NEXT) | instid1(VALU_DEP_1)
	v_fma_f64 v[202:203], -v[202:203], v[223:224], v[221:222]
	v_div_fmas_f64 v[202:203], v[202:203], v[219:220], v[223:224]
	s_delay_alu instid0(VALU_DEP_1) | instskip(NEXT) | instid1(VALU_DEP_1)
	v_div_fixup_f64 v[200:201], v[202:203], v[200:201], 1.0
	v_mul_f64 v[202:203], v[217:218], -v[200:201]
.LBB98_996:
	s_or_b32 exec_lo, exec_lo, s2
.LBB98_997:
	s_delay_alu instid0(SALU_CYCLE_1) | instskip(NEXT) | instid1(SALU_CYCLE_1)
	s_or_b32 exec_lo, exec_lo, s3
	s_mov_b32 s2, exec_lo
	v_cmpx_ne_u32_e64 v216, v208
	s_xor_b32 s2, exec_lo, s2
	s_cbranch_execz .LBB98_1003
; %bb.998:
	s_mov_b32 s3, exec_lo
	v_cmpx_eq_u32_e32 47, v216
	s_cbranch_execz .LBB98_1002
; %bb.999:
	v_cmp_ne_u32_e32 vcc_lo, 47, v208
	s_xor_b32 s6, s4, -1
	s_delay_alu instid0(SALU_CYCLE_1) | instskip(NEXT) | instid1(SALU_CYCLE_1)
	s_and_b32 s7, s6, vcc_lo
	s_and_saveexec_b32 s6, s7
	s_cbranch_execz .LBB98_1001
; %bb.1000:
	v_ashrrev_i32_e32 v209, 31, v208
	s_delay_alu instid0(VALU_DEP_1) | instskip(NEXT) | instid1(VALU_DEP_1)
	v_lshlrev_b64 v[215:216], 2, v[208:209]
	v_add_co_u32 v215, vcc_lo, v206, v215
	s_delay_alu instid0(VALU_DEP_2)
	v_add_co_ci_u32_e32 v216, vcc_lo, v207, v216, vcc_lo
	s_clause 0x1
	flat_load_b32 v209, v[215:216]
	flat_load_b32 v217, v[206:207] offset:188
	s_waitcnt vmcnt(1) lgkmcnt(1)
	flat_store_b32 v[206:207], v209 offset:188
	s_waitcnt vmcnt(0) lgkmcnt(1)
	flat_store_b32 v[215:216], v217
.LBB98_1001:
	s_or_b32 exec_lo, exec_lo, s6
	v_mov_b32_e32 v216, v208
	v_mov_b32_e32 v215, v208
.LBB98_1002:
	s_or_b32 exec_lo, exec_lo, s3
.LBB98_1003:
	s_and_not1_saveexec_b32 s2, s2
	s_cbranch_execz .LBB98_1005
; %bb.1004:
	v_mov_b32_e32 v216, 47
	ds_store_2addr_b64 v210, v[4:5], v[6:7] offset0:96 offset1:97
	ds_store_2addr_b64 v210, v[0:1], v[2:3] offset0:98 offset1:99
.LBB98_1005:
	s_or_b32 exec_lo, exec_lo, s2
	s_delay_alu instid0(SALU_CYCLE_1)
	s_mov_b32 s2, exec_lo
	s_waitcnt lgkmcnt(0)
	s_waitcnt_vscnt null, 0x0
	s_barrier
	buffer_gl0_inv
	v_cmpx_lt_i32_e32 47, v216
	s_cbranch_execz .LBB98_1007
; %bb.1006:
	v_mul_f64 v[208:209], v[200:201], v[10:11]
	v_mul_f64 v[10:11], v[202:203], v[10:11]
	ds_load_2addr_b64 v[217:220], v210 offset0:96 offset1:97
	ds_load_2addr_b64 v[221:224], v210 offset0:98 offset1:99
	v_fma_f64 v[202:203], v[202:203], v[8:9], v[208:209]
	v_fma_f64 v[8:9], v[200:201], v[8:9], -v[10:11]
	s_waitcnt lgkmcnt(1)
	s_delay_alu instid0(VALU_DEP_2) | instskip(SKIP_4) | instid1(VALU_DEP_4)
	v_mul_f64 v[10:11], v[219:220], v[202:203]
	v_mul_f64 v[200:201], v[217:218], v[202:203]
	s_waitcnt lgkmcnt(0)
	v_mul_f64 v[208:209], v[223:224], v[202:203]
	v_mul_f64 v[225:226], v[221:222], v[202:203]
	v_fma_f64 v[10:11], v[217:218], v[8:9], -v[10:11]
	s_delay_alu instid0(VALU_DEP_4) | instskip(NEXT) | instid1(VALU_DEP_4)
	v_fma_f64 v[200:201], v[219:220], v[8:9], v[200:201]
	v_fma_f64 v[208:209], v[221:222], v[8:9], -v[208:209]
	s_delay_alu instid0(VALU_DEP_4) | instskip(NEXT) | instid1(VALU_DEP_4)
	v_fma_f64 v[217:218], v[223:224], v[8:9], v[225:226]
	v_add_f64 v[4:5], v[4:5], -v[10:11]
	s_delay_alu instid0(VALU_DEP_4) | instskip(NEXT) | instid1(VALU_DEP_4)
	v_add_f64 v[6:7], v[6:7], -v[200:201]
	v_add_f64 v[0:1], v[0:1], -v[208:209]
	s_delay_alu instid0(VALU_DEP_4)
	v_add_f64 v[2:3], v[2:3], -v[217:218]
	v_dual_mov_b32 v10, v202 :: v_dual_mov_b32 v11, v203
.LBB98_1007:
	s_or_b32 exec_lo, exec_lo, s2
	v_lshl_add_u32 v200, v216, 4, v210
	s_barrier
	buffer_gl0_inv
	v_mov_b32_e32 v208, 48
	ds_store_2addr_b64 v200, v[4:5], v[6:7] offset1:1
	s_waitcnt lgkmcnt(0)
	s_barrier
	buffer_gl0_inv
	ds_load_2addr_b64 v[200:203], v210 offset0:96 offset1:97
	s_cmp_lt_i32 s5, 50
	s_cbranch_scc1 .LBB98_1010
; %bb.1008:
	v_add3_u32 v209, v214, 0, 0x310
	v_mov_b32_e32 v208, 48
	s_mov_b32 s6, 49
	s_set_inst_prefetch_distance 0x1
	.p2align	6
.LBB98_1009:                            ; =>This Inner Loop Header: Depth=1
	ds_load_2addr_b64 v[217:220], v209 offset1:1
	s_waitcnt lgkmcnt(1)
	v_cmp_gt_f64_e32 vcc_lo, 0, v[200:201]
	v_xor_b32_e32 v221, 0x80000000, v201
	v_cmp_gt_f64_e64 s2, 0, v[202:203]
	v_xor_b32_e32 v223, 0x80000000, v203
	v_add_nc_u32_e32 v209, 16, v209
	s_waitcnt lgkmcnt(0)
	v_cmp_gt_f64_e64 s3, 0, v[217:218]
	v_mov_b32_e32 v225, v217
	v_dual_mov_b32 v227, v219 :: v_dual_cndmask_b32 v222, v201, v221
	v_xor_b32_e32 v221, 0x80000000, v218
	v_cndmask_b32_e64 v224, v203, v223, s2
	v_xor_b32_e32 v223, 0x80000000, v220
	s_delay_alu instid0(VALU_DEP_3) | instskip(SKIP_2) | instid1(VALU_DEP_2)
	v_cndmask_b32_e64 v226, v218, v221, s3
	v_cmp_gt_f64_e64 s3, 0, v[219:220]
	v_cndmask_b32_e32 v221, v200, v200, vcc_lo
	v_cndmask_b32_e64 v228, v220, v223, s3
	v_cndmask_b32_e64 v223, v202, v202, s2
	s_delay_alu instid0(VALU_DEP_2) | instskip(NEXT) | instid1(VALU_DEP_2)
	v_add_f64 v[225:226], v[225:226], v[227:228]
	v_add_f64 v[221:222], v[221:222], v[223:224]
	s_delay_alu instid0(VALU_DEP_1) | instskip(SKIP_4) | instid1(SALU_CYCLE_1)
	v_cmp_lt_f64_e32 vcc_lo, v[221:222], v[225:226]
	v_dual_cndmask_b32 v202, v202, v219 :: v_dual_cndmask_b32 v201, v201, v218
	v_dual_cndmask_b32 v200, v200, v217 :: v_dual_cndmask_b32 v203, v203, v220
	v_cndmask_b32_e64 v208, v208, s6, vcc_lo
	s_add_i32 s6, s6, 1
	s_cmp_lg_u32 s5, s6
	s_cbranch_scc1 .LBB98_1009
.LBB98_1010:
	s_set_inst_prefetch_distance 0x2
	s_waitcnt lgkmcnt(0)
	v_cmp_eq_f64_e32 vcc_lo, 0, v[200:201]
	v_cmp_eq_f64_e64 s2, 0, v[202:203]
	s_delay_alu instid0(VALU_DEP_1) | instskip(NEXT) | instid1(SALU_CYCLE_1)
	s_and_b32 s2, vcc_lo, s2
	s_and_saveexec_b32 s3, s2
	s_delay_alu instid0(SALU_CYCLE_1)
	s_xor_b32 s2, exec_lo, s3
; %bb.1011:
	v_cmp_ne_u32_e32 vcc_lo, 0, v213
	v_cndmask_b32_e32 v213, 49, v213, vcc_lo
; %bb.1012:
	s_and_not1_saveexec_b32 s3, s2
	s_cbranch_execz .LBB98_1018
; %bb.1013:
	v_cmp_gt_f64_e32 vcc_lo, 0, v[200:201]
	v_cmp_gt_f64_e64 s2, 0, v[202:203]
	v_xor_b32_e32 v209, 0x80000000, v201
	v_xor_b32_e32 v217, 0x80000000, v203
	s_delay_alu instid0(VALU_DEP_2) | instskip(NEXT) | instid1(VALU_DEP_2)
	v_cndmask_b32_e32 v218, v201, v209, vcc_lo
	v_cndmask_b32_e64 v220, v203, v217, s2
	v_cndmask_b32_e32 v217, v200, v200, vcc_lo
	v_cndmask_b32_e64 v219, v202, v202, s2
	s_mov_b32 s2, exec_lo
	s_delay_alu instid0(VALU_DEP_1)
	v_cmpx_ngt_f64_e32 v[217:218], v[219:220]
	s_xor_b32 s2, exec_lo, s2
	s_cbranch_execz .LBB98_1015
; %bb.1014:
	v_div_scale_f64 v[217:218], null, v[202:203], v[202:203], v[200:201]
	v_div_scale_f64 v[223:224], vcc_lo, v[200:201], v[202:203], v[200:201]
	s_delay_alu instid0(VALU_DEP_2) | instskip(SKIP_2) | instid1(VALU_DEP_1)
	v_rcp_f64_e32 v[219:220], v[217:218]
	s_waitcnt_depctr 0xfff
	v_fma_f64 v[221:222], -v[217:218], v[219:220], 1.0
	v_fma_f64 v[219:220], v[219:220], v[221:222], v[219:220]
	s_delay_alu instid0(VALU_DEP_1) | instskip(NEXT) | instid1(VALU_DEP_1)
	v_fma_f64 v[221:222], -v[217:218], v[219:220], 1.0
	v_fma_f64 v[219:220], v[219:220], v[221:222], v[219:220]
	s_delay_alu instid0(VALU_DEP_1) | instskip(NEXT) | instid1(VALU_DEP_1)
	v_mul_f64 v[221:222], v[223:224], v[219:220]
	v_fma_f64 v[217:218], -v[217:218], v[221:222], v[223:224]
	s_delay_alu instid0(VALU_DEP_1) | instskip(NEXT) | instid1(VALU_DEP_1)
	v_div_fmas_f64 v[217:218], v[217:218], v[219:220], v[221:222]
	v_div_fixup_f64 v[217:218], v[217:218], v[202:203], v[200:201]
	s_delay_alu instid0(VALU_DEP_1) | instskip(NEXT) | instid1(VALU_DEP_1)
	v_fma_f64 v[200:201], v[200:201], v[217:218], v[202:203]
	v_div_scale_f64 v[202:203], null, v[200:201], v[200:201], 1.0
	s_delay_alu instid0(VALU_DEP_1) | instskip(SKIP_2) | instid1(VALU_DEP_1)
	v_rcp_f64_e32 v[219:220], v[202:203]
	s_waitcnt_depctr 0xfff
	v_fma_f64 v[221:222], -v[202:203], v[219:220], 1.0
	v_fma_f64 v[219:220], v[219:220], v[221:222], v[219:220]
	s_delay_alu instid0(VALU_DEP_1) | instskip(NEXT) | instid1(VALU_DEP_1)
	v_fma_f64 v[221:222], -v[202:203], v[219:220], 1.0
	v_fma_f64 v[219:220], v[219:220], v[221:222], v[219:220]
	v_div_scale_f64 v[221:222], vcc_lo, 1.0, v[200:201], 1.0
	s_delay_alu instid0(VALU_DEP_1) | instskip(NEXT) | instid1(VALU_DEP_1)
	v_mul_f64 v[223:224], v[221:222], v[219:220]
	v_fma_f64 v[202:203], -v[202:203], v[223:224], v[221:222]
	s_delay_alu instid0(VALU_DEP_1) | instskip(NEXT) | instid1(VALU_DEP_1)
	v_div_fmas_f64 v[202:203], v[202:203], v[219:220], v[223:224]
	v_div_fixup_f64 v[202:203], v[202:203], v[200:201], 1.0
	s_delay_alu instid0(VALU_DEP_1)
	v_mul_f64 v[200:201], v[217:218], v[202:203]
	v_xor_b32_e32 v203, 0x80000000, v203
.LBB98_1015:
	s_and_not1_saveexec_b32 s2, s2
	s_cbranch_execz .LBB98_1017
; %bb.1016:
	s_delay_alu instid0(VALU_DEP_1) | instskip(SKIP_1) | instid1(VALU_DEP_2)
	v_div_scale_f64 v[217:218], null, v[200:201], v[200:201], v[202:203]
	v_div_scale_f64 v[223:224], vcc_lo, v[202:203], v[200:201], v[202:203]
	v_rcp_f64_e32 v[219:220], v[217:218]
	s_waitcnt_depctr 0xfff
	v_fma_f64 v[221:222], -v[217:218], v[219:220], 1.0
	s_delay_alu instid0(VALU_DEP_1) | instskip(NEXT) | instid1(VALU_DEP_1)
	v_fma_f64 v[219:220], v[219:220], v[221:222], v[219:220]
	v_fma_f64 v[221:222], -v[217:218], v[219:220], 1.0
	s_delay_alu instid0(VALU_DEP_1) | instskip(NEXT) | instid1(VALU_DEP_1)
	v_fma_f64 v[219:220], v[219:220], v[221:222], v[219:220]
	v_mul_f64 v[221:222], v[223:224], v[219:220]
	s_delay_alu instid0(VALU_DEP_1) | instskip(NEXT) | instid1(VALU_DEP_1)
	v_fma_f64 v[217:218], -v[217:218], v[221:222], v[223:224]
	v_div_fmas_f64 v[217:218], v[217:218], v[219:220], v[221:222]
	s_delay_alu instid0(VALU_DEP_1) | instskip(NEXT) | instid1(VALU_DEP_1)
	v_div_fixup_f64 v[217:218], v[217:218], v[200:201], v[202:203]
	v_fma_f64 v[200:201], v[202:203], v[217:218], v[200:201]
	s_delay_alu instid0(VALU_DEP_1) | instskip(NEXT) | instid1(VALU_DEP_1)
	v_div_scale_f64 v[202:203], null, v[200:201], v[200:201], 1.0
	v_rcp_f64_e32 v[219:220], v[202:203]
	s_waitcnt_depctr 0xfff
	v_fma_f64 v[221:222], -v[202:203], v[219:220], 1.0
	s_delay_alu instid0(VALU_DEP_1) | instskip(NEXT) | instid1(VALU_DEP_1)
	v_fma_f64 v[219:220], v[219:220], v[221:222], v[219:220]
	v_fma_f64 v[221:222], -v[202:203], v[219:220], 1.0
	s_delay_alu instid0(VALU_DEP_1) | instskip(SKIP_1) | instid1(VALU_DEP_1)
	v_fma_f64 v[219:220], v[219:220], v[221:222], v[219:220]
	v_div_scale_f64 v[221:222], vcc_lo, 1.0, v[200:201], 1.0
	v_mul_f64 v[223:224], v[221:222], v[219:220]
	s_delay_alu instid0(VALU_DEP_1) | instskip(NEXT) | instid1(VALU_DEP_1)
	v_fma_f64 v[202:203], -v[202:203], v[223:224], v[221:222]
	v_div_fmas_f64 v[202:203], v[202:203], v[219:220], v[223:224]
	s_delay_alu instid0(VALU_DEP_1) | instskip(NEXT) | instid1(VALU_DEP_1)
	v_div_fixup_f64 v[200:201], v[202:203], v[200:201], 1.0
	v_mul_f64 v[202:203], v[217:218], -v[200:201]
.LBB98_1017:
	s_or_b32 exec_lo, exec_lo, s2
.LBB98_1018:
	s_delay_alu instid0(SALU_CYCLE_1) | instskip(NEXT) | instid1(SALU_CYCLE_1)
	s_or_b32 exec_lo, exec_lo, s3
	s_mov_b32 s2, exec_lo
	v_cmpx_ne_u32_e64 v216, v208
	s_xor_b32 s2, exec_lo, s2
	s_cbranch_execz .LBB98_1024
; %bb.1019:
	s_mov_b32 s3, exec_lo
	v_cmpx_eq_u32_e32 48, v216
	s_cbranch_execz .LBB98_1023
; %bb.1020:
	v_cmp_ne_u32_e32 vcc_lo, 48, v208
	s_xor_b32 s6, s4, -1
	s_delay_alu instid0(SALU_CYCLE_1) | instskip(NEXT) | instid1(SALU_CYCLE_1)
	s_and_b32 s7, s6, vcc_lo
	s_and_saveexec_b32 s6, s7
	s_cbranch_execz .LBB98_1022
; %bb.1021:
	v_ashrrev_i32_e32 v209, 31, v208
	s_delay_alu instid0(VALU_DEP_1) | instskip(NEXT) | instid1(VALU_DEP_1)
	v_lshlrev_b64 v[215:216], 2, v[208:209]
	v_add_co_u32 v215, vcc_lo, v206, v215
	s_delay_alu instid0(VALU_DEP_2)
	v_add_co_ci_u32_e32 v216, vcc_lo, v207, v216, vcc_lo
	s_clause 0x1
	flat_load_b32 v209, v[215:216]
	flat_load_b32 v217, v[206:207] offset:192
	s_waitcnt vmcnt(1) lgkmcnt(1)
	flat_store_b32 v[206:207], v209 offset:192
	s_waitcnt vmcnt(0) lgkmcnt(1)
	flat_store_b32 v[215:216], v217
.LBB98_1022:
	s_or_b32 exec_lo, exec_lo, s6
	v_mov_b32_e32 v216, v208
	v_mov_b32_e32 v215, v208
.LBB98_1023:
	s_or_b32 exec_lo, exec_lo, s3
.LBB98_1024:
	s_and_not1_saveexec_b32 s2, s2
	s_cbranch_execz .LBB98_1026
; %bb.1025:
	v_mov_b32_e32 v216, 48
	ds_store_2addr_b64 v210, v[0:1], v[2:3] offset0:98 offset1:99
.LBB98_1026:
	s_or_b32 exec_lo, exec_lo, s2
	s_delay_alu instid0(SALU_CYCLE_1)
	s_mov_b32 s2, exec_lo
	s_waitcnt lgkmcnt(0)
	s_waitcnt_vscnt null, 0x0
	s_barrier
	buffer_gl0_inv
	v_cmpx_lt_i32_e32 48, v216
	s_cbranch_execz .LBB98_1028
; %bb.1027:
	v_mul_f64 v[208:209], v[200:201], v[6:7]
	v_mul_f64 v[6:7], v[202:203], v[6:7]
	ds_load_2addr_b64 v[217:220], v210 offset0:98 offset1:99
	v_fma_f64 v[202:203], v[202:203], v[4:5], v[208:209]
	v_fma_f64 v[4:5], v[200:201], v[4:5], -v[6:7]
	s_waitcnt lgkmcnt(0)
	s_delay_alu instid0(VALU_DEP_2) | instskip(SKIP_1) | instid1(VALU_DEP_2)
	v_mul_f64 v[6:7], v[219:220], v[202:203]
	v_mul_f64 v[200:201], v[217:218], v[202:203]
	v_fma_f64 v[6:7], v[217:218], v[4:5], -v[6:7]
	s_delay_alu instid0(VALU_DEP_2) | instskip(NEXT) | instid1(VALU_DEP_2)
	v_fma_f64 v[200:201], v[219:220], v[4:5], v[200:201]
	v_add_f64 v[0:1], v[0:1], -v[6:7]
	s_delay_alu instid0(VALU_DEP_2)
	v_add_f64 v[2:3], v[2:3], -v[200:201]
	v_dual_mov_b32 v6, v202 :: v_dual_mov_b32 v7, v203
.LBB98_1028:
	s_or_b32 exec_lo, exec_lo, s2
	v_lshl_add_u32 v200, v216, 4, v210
	s_barrier
	buffer_gl0_inv
	v_mov_b32_e32 v208, 49
	ds_store_2addr_b64 v200, v[0:1], v[2:3] offset1:1
	s_waitcnt lgkmcnt(0)
	s_barrier
	buffer_gl0_inv
	ds_load_2addr_b64 v[200:203], v210 offset0:98 offset1:99
	s_cmp_lt_i32 s5, 51
	s_cbranch_scc1 .LBB98_1031
; %bb.1029:
	v_add3_u32 v209, v214, 0, 0x320
	v_mov_b32_e32 v208, 49
	s_mov_b32 s6, 50
	s_set_inst_prefetch_distance 0x1
	.p2align	6
.LBB98_1030:                            ; =>This Inner Loop Header: Depth=1
	ds_load_2addr_b64 v[217:220], v209 offset1:1
	s_waitcnt lgkmcnt(1)
	v_cmp_gt_f64_e32 vcc_lo, 0, v[200:201]
	v_xor_b32_e32 v210, 0x80000000, v201
	v_cmp_gt_f64_e64 s2, 0, v[202:203]
	v_xor_b32_e32 v214, 0x80000000, v203
	v_add_nc_u32_e32 v209, 16, v209
	s_waitcnt lgkmcnt(0)
	v_cmp_gt_f64_e64 s3, 0, v[217:218]
	v_mov_b32_e32 v225, v217
	v_dual_mov_b32 v227, v219 :: v_dual_cndmask_b32 v222, v201, v210
	v_xor_b32_e32 v210, 0x80000000, v218
	v_cndmask_b32_e64 v224, v203, v214, s2
	v_xor_b32_e32 v214, 0x80000000, v220
	v_cndmask_b32_e32 v221, v200, v200, vcc_lo
	v_cndmask_b32_e64 v223, v202, v202, s2
	s_delay_alu instid0(VALU_DEP_1) | instskip(SKIP_2) | instid1(VALU_DEP_1)
	v_add_f64 v[221:222], v[221:222], v[223:224]
	v_cndmask_b32_e64 v226, v218, v210, s3
	v_cmp_gt_f64_e64 s3, 0, v[219:220]
	v_cndmask_b32_e64 v228, v220, v214, s3
	s_delay_alu instid0(VALU_DEP_1) | instskip(NEXT) | instid1(VALU_DEP_1)
	v_add_f64 v[225:226], v[225:226], v[227:228]
	v_cmp_lt_f64_e32 vcc_lo, v[221:222], v[225:226]
	v_dual_cndmask_b32 v202, v202, v219 :: v_dual_cndmask_b32 v201, v201, v218
	v_dual_cndmask_b32 v200, v200, v217 :: v_dual_cndmask_b32 v203, v203, v220
	v_cndmask_b32_e64 v208, v208, s6, vcc_lo
	s_add_i32 s6, s6, 1
	s_delay_alu instid0(SALU_CYCLE_1)
	s_cmp_lg_u32 s5, s6
	s_cbranch_scc1 .LBB98_1030
.LBB98_1031:
	s_set_inst_prefetch_distance 0x2
	s_waitcnt lgkmcnt(0)
	v_cmp_eq_f64_e32 vcc_lo, 0, v[200:201]
	v_cmp_eq_f64_e64 s2, 0, v[202:203]
	s_delay_alu instid0(VALU_DEP_1) | instskip(NEXT) | instid1(SALU_CYCLE_1)
	s_and_b32 s2, vcc_lo, s2
	s_and_saveexec_b32 s3, s2
	s_delay_alu instid0(SALU_CYCLE_1)
	s_xor_b32 s2, exec_lo, s3
; %bb.1032:
	v_cmp_ne_u32_e32 vcc_lo, 0, v213
	v_cndmask_b32_e32 v213, 50, v213, vcc_lo
; %bb.1033:
	s_and_not1_saveexec_b32 s3, s2
	s_cbranch_execz .LBB98_1039
; %bb.1034:
	v_cmp_gt_f64_e32 vcc_lo, 0, v[200:201]
	v_cmp_gt_f64_e64 s2, 0, v[202:203]
	v_xor_b32_e32 v209, 0x80000000, v201
	v_xor_b32_e32 v214, 0x80000000, v203
	s_delay_alu instid0(VALU_DEP_2) | instskip(NEXT) | instid1(VALU_DEP_2)
	v_dual_cndmask_b32 v210, v201, v209 :: v_dual_cndmask_b32 v209, v200, v200
	v_cndmask_b32_e64 v218, v203, v214, s2
	v_cndmask_b32_e64 v217, v202, v202, s2
	s_mov_b32 s2, exec_lo
	s_delay_alu instid0(VALU_DEP_1)
	v_cmpx_ngt_f64_e32 v[209:210], v[217:218]
	s_xor_b32 s2, exec_lo, s2
	s_cbranch_execz .LBB98_1036
; %bb.1035:
	v_div_scale_f64 v[209:210], null, v[202:203], v[202:203], v[200:201]
	v_div_scale_f64 v[221:222], vcc_lo, v[200:201], v[202:203], v[200:201]
	s_delay_alu instid0(VALU_DEP_2) | instskip(SKIP_2) | instid1(VALU_DEP_1)
	v_rcp_f64_e32 v[217:218], v[209:210]
	s_waitcnt_depctr 0xfff
	v_fma_f64 v[219:220], -v[209:210], v[217:218], 1.0
	v_fma_f64 v[217:218], v[217:218], v[219:220], v[217:218]
	s_delay_alu instid0(VALU_DEP_1) | instskip(NEXT) | instid1(VALU_DEP_1)
	v_fma_f64 v[219:220], -v[209:210], v[217:218], 1.0
	v_fma_f64 v[217:218], v[217:218], v[219:220], v[217:218]
	s_delay_alu instid0(VALU_DEP_1) | instskip(NEXT) | instid1(VALU_DEP_1)
	v_mul_f64 v[219:220], v[221:222], v[217:218]
	v_fma_f64 v[209:210], -v[209:210], v[219:220], v[221:222]
	s_delay_alu instid0(VALU_DEP_1) | instskip(NEXT) | instid1(VALU_DEP_1)
	v_div_fmas_f64 v[209:210], v[209:210], v[217:218], v[219:220]
	v_div_fixup_f64 v[209:210], v[209:210], v[202:203], v[200:201]
	s_delay_alu instid0(VALU_DEP_1) | instskip(NEXT) | instid1(VALU_DEP_1)
	v_fma_f64 v[200:201], v[200:201], v[209:210], v[202:203]
	v_div_scale_f64 v[202:203], null, v[200:201], v[200:201], 1.0
	s_delay_alu instid0(VALU_DEP_1) | instskip(SKIP_2) | instid1(VALU_DEP_1)
	v_rcp_f64_e32 v[217:218], v[202:203]
	s_waitcnt_depctr 0xfff
	v_fma_f64 v[219:220], -v[202:203], v[217:218], 1.0
	v_fma_f64 v[217:218], v[217:218], v[219:220], v[217:218]
	s_delay_alu instid0(VALU_DEP_1) | instskip(NEXT) | instid1(VALU_DEP_1)
	v_fma_f64 v[219:220], -v[202:203], v[217:218], 1.0
	v_fma_f64 v[217:218], v[217:218], v[219:220], v[217:218]
	v_div_scale_f64 v[219:220], vcc_lo, 1.0, v[200:201], 1.0
	s_delay_alu instid0(VALU_DEP_1) | instskip(NEXT) | instid1(VALU_DEP_1)
	v_mul_f64 v[221:222], v[219:220], v[217:218]
	v_fma_f64 v[202:203], -v[202:203], v[221:222], v[219:220]
	s_delay_alu instid0(VALU_DEP_1) | instskip(NEXT) | instid1(VALU_DEP_1)
	v_div_fmas_f64 v[202:203], v[202:203], v[217:218], v[221:222]
	v_div_fixup_f64 v[202:203], v[202:203], v[200:201], 1.0
	s_delay_alu instid0(VALU_DEP_1)
	v_mul_f64 v[200:201], v[209:210], v[202:203]
	v_xor_b32_e32 v203, 0x80000000, v203
.LBB98_1036:
	s_and_not1_saveexec_b32 s2, s2
	s_cbranch_execz .LBB98_1038
; %bb.1037:
	s_delay_alu instid0(VALU_DEP_1) | instskip(SKIP_1) | instid1(VALU_DEP_2)
	v_div_scale_f64 v[209:210], null, v[200:201], v[200:201], v[202:203]
	v_div_scale_f64 v[221:222], vcc_lo, v[202:203], v[200:201], v[202:203]
	v_rcp_f64_e32 v[217:218], v[209:210]
	s_waitcnt_depctr 0xfff
	v_fma_f64 v[219:220], -v[209:210], v[217:218], 1.0
	s_delay_alu instid0(VALU_DEP_1) | instskip(NEXT) | instid1(VALU_DEP_1)
	v_fma_f64 v[217:218], v[217:218], v[219:220], v[217:218]
	v_fma_f64 v[219:220], -v[209:210], v[217:218], 1.0
	s_delay_alu instid0(VALU_DEP_1) | instskip(NEXT) | instid1(VALU_DEP_1)
	v_fma_f64 v[217:218], v[217:218], v[219:220], v[217:218]
	v_mul_f64 v[219:220], v[221:222], v[217:218]
	s_delay_alu instid0(VALU_DEP_1) | instskip(NEXT) | instid1(VALU_DEP_1)
	v_fma_f64 v[209:210], -v[209:210], v[219:220], v[221:222]
	v_div_fmas_f64 v[209:210], v[209:210], v[217:218], v[219:220]
	s_delay_alu instid0(VALU_DEP_1) | instskip(NEXT) | instid1(VALU_DEP_1)
	v_div_fixup_f64 v[209:210], v[209:210], v[200:201], v[202:203]
	v_fma_f64 v[200:201], v[202:203], v[209:210], v[200:201]
	s_delay_alu instid0(VALU_DEP_1) | instskip(NEXT) | instid1(VALU_DEP_1)
	v_div_scale_f64 v[202:203], null, v[200:201], v[200:201], 1.0
	v_rcp_f64_e32 v[217:218], v[202:203]
	s_waitcnt_depctr 0xfff
	v_fma_f64 v[219:220], -v[202:203], v[217:218], 1.0
	s_delay_alu instid0(VALU_DEP_1) | instskip(NEXT) | instid1(VALU_DEP_1)
	v_fma_f64 v[217:218], v[217:218], v[219:220], v[217:218]
	v_fma_f64 v[219:220], -v[202:203], v[217:218], 1.0
	s_delay_alu instid0(VALU_DEP_1) | instskip(SKIP_1) | instid1(VALU_DEP_1)
	v_fma_f64 v[217:218], v[217:218], v[219:220], v[217:218]
	v_div_scale_f64 v[219:220], vcc_lo, 1.0, v[200:201], 1.0
	v_mul_f64 v[221:222], v[219:220], v[217:218]
	s_delay_alu instid0(VALU_DEP_1) | instskip(NEXT) | instid1(VALU_DEP_1)
	v_fma_f64 v[202:203], -v[202:203], v[221:222], v[219:220]
	v_div_fmas_f64 v[202:203], v[202:203], v[217:218], v[221:222]
	s_delay_alu instid0(VALU_DEP_1) | instskip(NEXT) | instid1(VALU_DEP_1)
	v_div_fixup_f64 v[200:201], v[202:203], v[200:201], 1.0
	v_mul_f64 v[202:203], v[209:210], -v[200:201]
.LBB98_1038:
	s_or_b32 exec_lo, exec_lo, s2
.LBB98_1039:
	s_delay_alu instid0(SALU_CYCLE_1)
	s_or_b32 exec_lo, exec_lo, s3
	v_mov_b32_e32 v209, 49
	s_mov_b32 s2, exec_lo
	v_cmpx_ne_u32_e64 v216, v208
	s_cbranch_execz .LBB98_1045
; %bb.1040:
	s_mov_b32 s3, exec_lo
	v_cmpx_eq_u32_e32 49, v216
	s_cbranch_execz .LBB98_1044
; %bb.1041:
	v_cmp_ne_u32_e32 vcc_lo, 49, v208
	s_xor_b32 s4, s4, -1
	s_delay_alu instid0(SALU_CYCLE_1) | instskip(NEXT) | instid1(SALU_CYCLE_1)
	s_and_b32 s5, s4, vcc_lo
	s_and_saveexec_b32 s4, s5
	s_cbranch_execz .LBB98_1043
; %bb.1042:
	v_ashrrev_i32_e32 v209, 31, v208
	s_delay_alu instid0(VALU_DEP_1) | instskip(NEXT) | instid1(VALU_DEP_1)
	v_lshlrev_b64 v[209:210], 2, v[208:209]
	v_add_co_u32 v209, vcc_lo, v206, v209
	s_delay_alu instid0(VALU_DEP_2)
	v_add_co_ci_u32_e32 v210, vcc_lo, v207, v210, vcc_lo
	s_clause 0x1
	flat_load_b32 v214, v[209:210]
	flat_load_b32 v215, v[206:207] offset:196
	s_waitcnt vmcnt(1) lgkmcnt(1)
	flat_store_b32 v[206:207], v214 offset:196
	s_waitcnt vmcnt(0) lgkmcnt(1)
	flat_store_b32 v[209:210], v215
.LBB98_1043:
	s_or_b32 exec_lo, exec_lo, s4
	v_mov_b32_e32 v216, v208
	v_mov_b32_e32 v215, v208
.LBB98_1044:
	s_or_b32 exec_lo, exec_lo, s3
	s_delay_alu instid0(VALU_DEP_2)
	v_mov_b32_e32 v209, v216
.LBB98_1045:
	s_or_b32 exec_lo, exec_lo, s2
	s_delay_alu instid0(SALU_CYCLE_1)
	s_mov_b32 s2, exec_lo
	s_waitcnt lgkmcnt(0)
	s_waitcnt_vscnt null, 0x0
	s_barrier
	buffer_gl0_inv
	v_cmpx_lt_i32_e32 49, v209
; %bb.1046:
	v_mul_f64 v[206:207], v[202:203], v[2:3]
	v_mul_f64 v[2:3], v[200:201], v[2:3]
	s_delay_alu instid0(VALU_DEP_2) | instskip(NEXT) | instid1(VALU_DEP_2)
	v_fma_f64 v[200:201], v[200:201], v[0:1], -v[206:207]
	v_fma_f64 v[2:3], v[202:203], v[0:1], v[2:3]
	s_delay_alu instid0(VALU_DEP_2)
	v_dual_mov_b32 v0, v200 :: v_dual_mov_b32 v1, v201
; %bb.1047:
	s_or_b32 exec_lo, exec_lo, s2
	s_load_b256 s[0:7], s[0:1], 0x28
	v_ashrrev_i32_e32 v210, 31, v209
	s_mov_b32 s9, exec_lo
	s_waitcnt lgkmcnt(0)
	s_barrier
	buffer_gl0_inv
	v_cmpx_gt_i32_e32 50, v209
	s_cbranch_execz .LBB98_1049
; %bb.1048:
	v_mul_lo_u32 v202, v205, s4
	v_mul_lo_u32 v203, v204, s5
	v_mad_u64_u32 v[200:201], null, v204, s4, 0
	s_lshl_b64 s[2:3], s[2:3], 2
	s_delay_alu instid0(SALU_CYCLE_1) | instskip(SKIP_1) | instid1(VALU_DEP_1)
	s_add_u32 s0, s2, s0
	s_addc_u32 s1, s3, s1
	v_add3_u32 v201, v201, v203, v202
	v_lshlrev_b64 v[202:203], 2, v[209:210]
	s_delay_alu instid0(VALU_DEP_2) | instskip(NEXT) | instid1(VALU_DEP_1)
	v_lshlrev_b64 v[200:201], 2, v[200:201]
	v_add_co_u32 v200, vcc_lo, s0, v200
	s_delay_alu instid0(VALU_DEP_2) | instskip(NEXT) | instid1(VALU_DEP_2)
	v_add_co_ci_u32_e32 v201, vcc_lo, s1, v201, vcc_lo
	v_add_co_u32 v200, vcc_lo, v200, v202
	s_delay_alu instid0(VALU_DEP_2)
	v_add_co_ci_u32_e32 v201, vcc_lo, v201, v203, vcc_lo
	v_add3_u32 v202, v215, s13, 1
	global_store_b32 v[200:201], v202, off
.LBB98_1049:
	s_or_b32 exec_lo, exec_lo, s9
	s_delay_alu instid0(SALU_CYCLE_1)
	s_mov_b32 s1, exec_lo
	v_cmpx_eq_u32_e32 0, v209
	s_cbranch_execz .LBB98_1052
; %bb.1050:
	v_lshlrev_b64 v[200:201], 2, v[204:205]
	v_cmp_lt_i32_e64 s0, 0, v213
	s_delay_alu instid0(VALU_DEP_2) | instskip(NEXT) | instid1(VALU_DEP_3)
	v_add_co_u32 v200, vcc_lo, s6, v200
	v_add_co_ci_u32_e32 v201, vcc_lo, s7, v201, vcc_lo
	global_load_b32 v202, v[200:201], off
	s_waitcnt vmcnt(0)
	v_cmp_eq_u32_e32 vcc_lo, 0, v202
	s_and_b32 s0, vcc_lo, s0
	s_delay_alu instid0(SALU_CYCLE_1)
	s_and_b32 exec_lo, exec_lo, s0
	s_cbranch_execz .LBB98_1052
; %bb.1051:
	v_add_nc_u32_e32 v202, s13, v213
	global_store_b32 v[200:201], v202, off
.LBB98_1052:
	s_or_b32 exec_lo, exec_lo, s1
	v_add3_u32 v200, s8, s8, v209
	v_lshlrev_b64 v[202:203], 4, v[209:210]
	s_delay_alu instid0(VALU_DEP_2) | instskip(SKIP_1) | instid1(VALU_DEP_3)
	v_ashrrev_i32_e32 v201, 31, v200
	v_add_nc_u32_e32 v204, s8, v200
	v_add_co_u32 v202, vcc_lo, v211, v202
	s_delay_alu instid0(VALU_DEP_4) | instskip(NEXT) | instid1(VALU_DEP_4)
	v_add_co_ci_u32_e32 v203, vcc_lo, v212, v203, vcc_lo
	v_lshlrev_b64 v[200:201], 4, v[200:201]
	s_delay_alu instid0(VALU_DEP_3) | instskip(NEXT) | instid1(VALU_DEP_3)
	v_add_co_u32 v208, vcc_lo, v202, s10
	v_add_co_ci_u32_e32 v209, vcc_lo, s11, v203, vcc_lo
	v_add_nc_u32_e32 v206, s8, v204
	s_delay_alu instid0(VALU_DEP_4) | instskip(SKIP_2) | instid1(VALU_DEP_4)
	v_add_co_u32 v200, vcc_lo, v211, v200
	v_add_co_ci_u32_e32 v201, vcc_lo, v212, v201, vcc_lo
	v_ashrrev_i32_e32 v205, 31, v204
	v_ashrrev_i32_e32 v207, 31, v206
	s_clause 0x2
	global_store_b128 v[202:203], v[192:195], off
	global_store_b128 v[208:209], v[188:191], off
	global_store_b128 v[200:201], v[196:199], off
	v_add_nc_u32_e32 v190, s8, v206
	v_lshlrev_b64 v[192:193], 4, v[204:205]
	v_lshlrev_b64 v[188:189], 4, v[206:207]
	s_delay_alu instid0(VALU_DEP_3) | instskip(SKIP_1) | instid1(VALU_DEP_4)
	v_add_nc_u32_e32 v194, s8, v190
	v_ashrrev_i32_e32 v191, 31, v190
	v_add_co_u32 v192, vcc_lo, v211, v192
	v_add_co_ci_u32_e32 v193, vcc_lo, v212, v193, vcc_lo
	s_delay_alu instid0(VALU_DEP_4)
	v_add_nc_u32_e32 v196, s8, v194
	v_add_co_u32 v188, vcc_lo, v211, v188
	v_ashrrev_i32_e32 v195, 31, v194
	v_add_co_ci_u32_e32 v189, vcc_lo, v212, v189, vcc_lo
	v_lshlrev_b64 v[190:191], 4, v[190:191]
	v_ashrrev_i32_e32 v197, 31, v196
	s_clause 0x1
	global_store_b128 v[192:193], v[184:187], off
	global_store_b128 v[188:189], v[180:183], off
	v_lshlrev_b64 v[180:181], 4, v[194:195]
	v_add_nc_u32_e32 v186, s8, v196
	v_add_co_u32 v182, vcc_lo, v211, v190
	v_lshlrev_b64 v[184:185], 4, v[196:197]
	v_add_co_ci_u32_e32 v183, vcc_lo, v212, v191, vcc_lo
	v_add_co_u32 v180, vcc_lo, v211, v180
	v_add_co_ci_u32_e32 v181, vcc_lo, v212, v181, vcc_lo
	s_delay_alu instid0(VALU_DEP_4)
	v_add_co_u32 v184, vcc_lo, v211, v184
	v_add_nc_u32_e32 v188, s8, v186
	v_add_co_ci_u32_e32 v185, vcc_lo, v212, v185, vcc_lo
	v_ashrrev_i32_e32 v187, 31, v186
	global_store_b128 v[182:183], v[176:179], off
	v_ashrrev_i32_e32 v189, 31, v188
	s_clause 0x1
	global_store_b128 v[180:181], v[172:175], off
	global_store_b128 v[184:185], v[168:171], off
	v_add_nc_u32_e32 v170, s8, v188
	v_lshlrev_b64 v[176:177], 4, v[186:187]
	v_lshlrev_b64 v[168:169], 4, v[188:189]
	s_delay_alu instid0(VALU_DEP_3) | instskip(SKIP_1) | instid1(VALU_DEP_4)
	v_add_nc_u32_e32 v174, s8, v170
	v_ashrrev_i32_e32 v171, 31, v170
	v_add_co_u32 v172, vcc_lo, v211, v176
	v_add_co_ci_u32_e32 v173, vcc_lo, v212, v177, vcc_lo
	s_delay_alu instid0(VALU_DEP_4)
	v_add_nc_u32_e32 v176, s8, v174
	v_add_co_u32 v168, vcc_lo, v211, v168
	v_ashrrev_i32_e32 v175, 31, v174
	v_add_co_ci_u32_e32 v169, vcc_lo, v212, v169, vcc_lo
	v_lshlrev_b64 v[170:171], 4, v[170:171]
	v_ashrrev_i32_e32 v177, 31, v176
	s_clause 0x1
	global_store_b128 v[172:173], v[164:167], off
	global_store_b128 v[168:169], v[160:163], off
	v_lshlrev_b64 v[160:161], 4, v[174:175]
	v_add_nc_u32_e32 v166, s8, v176
	v_add_co_u32 v162, vcc_lo, v211, v170
	v_lshlrev_b64 v[164:165], 4, v[176:177]
	v_add_co_ci_u32_e32 v163, vcc_lo, v212, v171, vcc_lo
	v_add_co_u32 v160, vcc_lo, v211, v160
	v_add_co_ci_u32_e32 v161, vcc_lo, v212, v161, vcc_lo
	s_delay_alu instid0(VALU_DEP_4)
	v_add_co_u32 v164, vcc_lo, v211, v164
	v_add_nc_u32_e32 v168, s8, v166
	v_add_co_ci_u32_e32 v165, vcc_lo, v212, v165, vcc_lo
	v_ashrrev_i32_e32 v167, 31, v166
	global_store_b128 v[162:163], v[156:159], off
	v_ashrrev_i32_e32 v169, 31, v168
	s_clause 0x1
	global_store_b128 v[160:161], v[152:155], off
	global_store_b128 v[164:165], v[148:151], off
	;; [unrolled: 35-line block ×7, first 2 shown]
	v_add_nc_u32_e32 v50, s8, v68
	v_lshlrev_b64 v[56:57], 4, v[66:67]
	v_lshlrev_b64 v[48:49], 4, v[68:69]
	s_delay_alu instid0(VALU_DEP_3) | instskip(SKIP_1) | instid1(VALU_DEP_4)
	v_add_nc_u32_e32 v54, s8, v50
	v_ashrrev_i32_e32 v51, 31, v50
	v_add_co_u32 v52, vcc_lo, v211, v56
	v_add_co_ci_u32_e32 v53, vcc_lo, v212, v57, vcc_lo
	s_delay_alu instid0(VALU_DEP_4)
	v_add_nc_u32_e32 v56, s8, v54
	v_add_co_u32 v48, vcc_lo, v211, v48
	v_ashrrev_i32_e32 v55, 31, v54
	v_add_co_ci_u32_e32 v49, vcc_lo, v212, v49, vcc_lo
	v_lshlrev_b64 v[50:51], 4, v[50:51]
	v_ashrrev_i32_e32 v57, 31, v56
	s_clause 0x1
	global_store_b128 v[52:53], v[44:47], off
	global_store_b128 v[48:49], v[40:43], off
	v_lshlrev_b64 v[40:41], 4, v[54:55]
	v_add_nc_u32_e32 v46, s8, v56
	v_add_co_u32 v42, vcc_lo, v211, v50
	v_lshlrev_b64 v[44:45], 4, v[56:57]
	v_add_co_ci_u32_e32 v43, vcc_lo, v212, v51, vcc_lo
	v_add_co_u32 v40, vcc_lo, v211, v40
	v_add_nc_u32_e32 v48, s8, v46
	v_add_co_ci_u32_e32 v41, vcc_lo, v212, v41, vcc_lo
	v_ashrrev_i32_e32 v47, 31, v46
	v_add_co_u32 v44, vcc_lo, v211, v44
	v_add_co_ci_u32_e32 v45, vcc_lo, v212, v45, vcc_lo
	v_ashrrev_i32_e32 v49, 31, v48
	global_store_b128 v[42:43], v[36:39], off
	v_lshlrev_b64 v[36:37], 4, v[46:47]
	s_clause 0x1
	global_store_b128 v[40:41], v[32:35], off
	global_store_b128 v[44:45], v[28:31], off
	v_add_nc_u32_e32 v30, s8, v48
	v_lshlrev_b64 v[28:29], 4, v[48:49]
	v_add_co_u32 v32, vcc_lo, v211, v36
	s_delay_alu instid0(VALU_DEP_3) | instskip(SKIP_1) | instid1(VALU_DEP_4)
	v_add_nc_u32_e32 v34, s8, v30
	v_add_co_ci_u32_e32 v33, vcc_lo, v212, v37, vcc_lo
	v_add_co_u32 v28, vcc_lo, v211, v28
	v_add_co_ci_u32_e32 v29, vcc_lo, v212, v29, vcc_lo
	s_delay_alu instid0(VALU_DEP_4)
	v_add_nc_u32_e32 v36, s8, v34
	v_ashrrev_i32_e32 v31, 31, v30
	s_clause 0x1
	global_store_b128 v[32:33], v[24:27], off
	global_store_b128 v[28:29], v[20:23], off
	v_ashrrev_i32_e32 v35, 31, v34
	v_add_nc_u32_e32 v22, s8, v36
	v_lshlrev_b64 v[24:25], 4, v[30:31]
	v_ashrrev_i32_e32 v37, 31, v36
	s_delay_alu instid0(VALU_DEP_4) | instskip(NEXT) | instid1(VALU_DEP_4)
	v_lshlrev_b64 v[20:21], 4, v[34:35]
	v_add_nc_u32_e32 v28, s8, v22
	v_ashrrev_i32_e32 v23, 31, v22
	v_add_co_u32 v24, vcc_lo, v211, v24
	v_lshlrev_b64 v[26:27], 4, v[36:37]
	s_delay_alu instid0(VALU_DEP_4)
	v_ashrrev_i32_e32 v29, 31, v28
	v_add_co_ci_u32_e32 v25, vcc_lo, v212, v25, vcc_lo
	v_add_co_u32 v20, vcc_lo, v211, v20
	v_lshlrev_b64 v[22:23], 4, v[22:23]
	v_add_co_ci_u32_e32 v21, vcc_lo, v212, v21, vcc_lo
	v_add_co_u32 v26, vcc_lo, v211, v26
	v_lshlrev_b64 v[28:29], 4, v[28:29]
	v_add_co_ci_u32_e32 v27, vcc_lo, v212, v27, vcc_lo
	v_add_co_u32 v22, vcc_lo, v211, v22
	v_add_co_ci_u32_e32 v23, vcc_lo, v212, v23, vcc_lo
	s_delay_alu instid0(VALU_DEP_4)
	v_add_co_u32 v28, vcc_lo, v211, v28
	v_add_co_ci_u32_e32 v29, vcc_lo, v212, v29, vcc_lo
	s_clause 0x4
	global_store_b128 v[24:25], v[16:19], off
	global_store_b128 v[20:21], v[12:15], off
	;; [unrolled: 1-line block ×5, first 2 shown]
.LBB98_1053:
	s_nop 0
	s_sendmsg sendmsg(MSG_DEALLOC_VGPRS)
	s_endpgm
	.section	.rodata,"a",@progbits
	.p2align	6, 0x0
	.amdhsa_kernel _ZN9rocsolver6v33100L18getf2_small_kernelILi50E19rocblas_complex_numIdEiiPKPS3_EEvT1_T3_lS7_lPS7_llPT2_S7_S7_S9_l
		.amdhsa_group_segment_fixed_size 0
		.amdhsa_private_segment_fixed_size 0
		.amdhsa_kernarg_size 352
		.amdhsa_user_sgpr_count 14
		.amdhsa_user_sgpr_dispatch_ptr 0
		.amdhsa_user_sgpr_queue_ptr 0
		.amdhsa_user_sgpr_kernarg_segment_ptr 1
		.amdhsa_user_sgpr_dispatch_id 0
		.amdhsa_user_sgpr_private_segment_size 0
		.amdhsa_wavefront_size32 1
		.amdhsa_uses_dynamic_stack 0
		.amdhsa_enable_private_segment 0
		.amdhsa_system_sgpr_workgroup_id_x 1
		.amdhsa_system_sgpr_workgroup_id_y 1
		.amdhsa_system_sgpr_workgroup_id_z 0
		.amdhsa_system_sgpr_workgroup_info 0
		.amdhsa_system_vgpr_workitem_id 1
		.amdhsa_next_free_vgpr 251
		.amdhsa_next_free_sgpr 18
		.amdhsa_reserve_vcc 1
		.amdhsa_float_round_mode_32 0
		.amdhsa_float_round_mode_16_64 0
		.amdhsa_float_denorm_mode_32 3
		.amdhsa_float_denorm_mode_16_64 3
		.amdhsa_dx10_clamp 1
		.amdhsa_ieee_mode 1
		.amdhsa_fp16_overflow 0
		.amdhsa_workgroup_processor_mode 1
		.amdhsa_memory_ordered 1
		.amdhsa_forward_progress 0
		.amdhsa_shared_vgpr_count 0
		.amdhsa_exception_fp_ieee_invalid_op 0
		.amdhsa_exception_fp_denorm_src 0
		.amdhsa_exception_fp_ieee_div_zero 0
		.amdhsa_exception_fp_ieee_overflow 0
		.amdhsa_exception_fp_ieee_underflow 0
		.amdhsa_exception_fp_ieee_inexact 0
		.amdhsa_exception_int_div_zero 0
	.end_amdhsa_kernel
	.section	.text._ZN9rocsolver6v33100L18getf2_small_kernelILi50E19rocblas_complex_numIdEiiPKPS3_EEvT1_T3_lS7_lPS7_llPT2_S7_S7_S9_l,"axG",@progbits,_ZN9rocsolver6v33100L18getf2_small_kernelILi50E19rocblas_complex_numIdEiiPKPS3_EEvT1_T3_lS7_lPS7_llPT2_S7_S7_S9_l,comdat
.Lfunc_end98:
	.size	_ZN9rocsolver6v33100L18getf2_small_kernelILi50E19rocblas_complex_numIdEiiPKPS3_EEvT1_T3_lS7_lPS7_llPT2_S7_S7_S9_l, .Lfunc_end98-_ZN9rocsolver6v33100L18getf2_small_kernelILi50E19rocblas_complex_numIdEiiPKPS3_EEvT1_T3_lS7_lPS7_llPT2_S7_S7_S9_l
                                        ; -- End function
	.section	.AMDGPU.csdata,"",@progbits
; Kernel info:
; codeLenInByte = 155264
; NumSgprs: 20
; NumVgprs: 251
; ScratchSize: 0
; MemoryBound: 0
; FloatMode: 240
; IeeeMode: 1
; LDSByteSize: 0 bytes/workgroup (compile time only)
; SGPRBlocks: 2
; VGPRBlocks: 31
; NumSGPRsForWavesPerEU: 20
; NumVGPRsForWavesPerEU: 251
; Occupancy: 5
; WaveLimiterHint : 1
; COMPUTE_PGM_RSRC2:SCRATCH_EN: 0
; COMPUTE_PGM_RSRC2:USER_SGPR: 14
; COMPUTE_PGM_RSRC2:TRAP_HANDLER: 0
; COMPUTE_PGM_RSRC2:TGID_X_EN: 1
; COMPUTE_PGM_RSRC2:TGID_Y_EN: 1
; COMPUTE_PGM_RSRC2:TGID_Z_EN: 0
; COMPUTE_PGM_RSRC2:TIDIG_COMP_CNT: 1
	.section	.text._ZN9rocsolver6v33100L23getf2_npvt_small_kernelILi50E19rocblas_complex_numIdEiiPKPS3_EEvT1_T3_lS7_lPT2_S7_S7_,"axG",@progbits,_ZN9rocsolver6v33100L23getf2_npvt_small_kernelILi50E19rocblas_complex_numIdEiiPKPS3_EEvT1_T3_lS7_lPT2_S7_S7_,comdat
	.globl	_ZN9rocsolver6v33100L23getf2_npvt_small_kernelILi50E19rocblas_complex_numIdEiiPKPS3_EEvT1_T3_lS7_lPT2_S7_S7_ ; -- Begin function _ZN9rocsolver6v33100L23getf2_npvt_small_kernelILi50E19rocblas_complex_numIdEiiPKPS3_EEvT1_T3_lS7_lPT2_S7_S7_
	.p2align	8
	.type	_ZN9rocsolver6v33100L23getf2_npvt_small_kernelILi50E19rocblas_complex_numIdEiiPKPS3_EEvT1_T3_lS7_lPT2_S7_S7_,@function
_ZN9rocsolver6v33100L23getf2_npvt_small_kernelILi50E19rocblas_complex_numIdEiiPKPS3_EEvT1_T3_lS7_lPT2_S7_S7_: ; @_ZN9rocsolver6v33100L23getf2_npvt_small_kernelILi50E19rocblas_complex_numIdEiiPKPS3_EEvT1_T3_lS7_lPT2_S7_S7_
; %bb.0:
	s_clause 0x1
	s_load_b32 s2, s[0:1], 0x44
	s_load_b64 s[10:11], s[0:1], 0x30
	v_bfe_u32 v1, v0, 10, 10
	s_waitcnt lgkmcnt(0)
	s_lshr_b32 s8, s2, 16
	s_mov_b32 s2, exec_lo
	s_delay_alu instid0(VALU_DEP_1) | instskip(NEXT) | instid1(VALU_DEP_1)
	v_mad_u64_u32 v[241:242], null, s15, s8, v[1:2]
	v_cmpx_gt_i32_e64 s10, v241
	s_cbranch_execnz .LBB99_1
; %bb.456:
	s_getpc_b64 s[0:1]
.Lpost_getpc7:
	s_add_u32 s0, s0, (.LBB99_455-.Lpost_getpc7)&4294967295
	s_addc_u32 s1, s1, (.LBB99_455-.Lpost_getpc7)>>32
	s_setpc_b64 s[0:1]
.LBB99_1:
	s_clause 0x1
	s_load_b128 s[4:7], s[0:1], 0x8
	s_load_b32 s2, s[0:1], 0x18
	v_ashrrev_i32_e32 v242, 31, v241
	v_and_b32_e32 v234, 0x3ff, v0
	s_mulk_i32 s8, 0x320
	v_mad_u32_u24 v236, 0x320, v1, 0
	s_delay_alu instid0(VALU_DEP_3) | instskip(NEXT) | instid1(VALU_DEP_3)
	v_lshlrev_b64 v[2:3], 3, v[241:242]
	v_lshlrev_b32_e32 v0, 4, v234
	s_waitcnt lgkmcnt(0)
	s_delay_alu instid0(VALU_DEP_2) | instskip(NEXT) | instid1(VALU_DEP_3)
	v_add_co_u32 v2, vcc_lo, s4, v2
	v_add_co_ci_u32_e32 v3, vcc_lo, s5, v3, vcc_lo
	v_add3_u32 v4, s2, s2, v234
	s_lshl_b64 s[4:5], s[6:7], 4
	s_ashr_i32 s3, s2, 31
	global_load_b64 v[2:3], v[2:3], off
	v_add_nc_u32_e32 v6, s2, v4
	v_ashrrev_i32_e32 v5, 31, v4
	s_delay_alu instid0(VALU_DEP_2) | instskip(SKIP_1) | instid1(VALU_DEP_3)
	v_add_nc_u32_e32 v8, s2, v6
	v_ashrrev_i32_e32 v7, 31, v6
	v_lshlrev_b64 v[4:5], 4, v[4:5]
	s_delay_alu instid0(VALU_DEP_3) | instskip(SKIP_1) | instid1(VALU_DEP_4)
	v_add_nc_u32_e32 v10, s2, v8
	v_ashrrev_i32_e32 v9, 31, v8
	v_lshlrev_b64 v[6:7], 4, v[6:7]
	s_delay_alu instid0(VALU_DEP_3) | instskip(SKIP_1) | instid1(VALU_DEP_4)
	;; [unrolled: 4-line block ×45, first 2 shown]
	v_add_nc_u32_e32 v98, s2, v96
	v_ashrrev_i32_e32 v97, 31, v96
	v_lshlrev_b64 v[94:95], 4, v[94:95]
	s_lshl_b64 s[2:3], s[2:3], 4
	s_delay_alu instid0(VALU_DEP_3) | instskip(NEXT) | instid1(VALU_DEP_3)
	v_ashrrev_i32_e32 v99, 31, v98
	v_lshlrev_b64 v[96:97], 4, v[96:97]
	s_waitcnt vmcnt(0)
	v_add_co_u32 v100, vcc_lo, v2, s4
	v_add_co_ci_u32_e32 v101, vcc_lo, s5, v3, vcc_lo
	v_lshlrev_b64 v[2:3], 4, v[98:99]
	s_delay_alu instid0(VALU_DEP_3) | instskip(NEXT) | instid1(VALU_DEP_3)
	v_add_co_u32 v138, vcc_lo, v100, v4
	v_add_co_ci_u32_e32 v139, vcc_lo, v101, v5, vcc_lo
	v_add_co_u32 v136, vcc_lo, v100, v6
	v_add_co_ci_u32_e32 v137, vcc_lo, v101, v7, vcc_lo
	;; [unrolled: 2-line block ×49, first 2 shown]
	v_lshlrev_b32_e32 v0, 4, v1
	s_delay_alu instid0(VALU_DEP_3) | instskip(NEXT) | instid1(VALU_DEP_3)
	v_add_co_u32 v48, vcc_lo, v2, s2
	v_add_co_ci_u32_e32 v49, vcc_lo, s3, v3, vcc_lo
	s_delay_alu instid0(VALU_DEP_3)
	v_add3_u32 v235, 0, s8, v0
	scratch_store_b64 off, v[2:3], off offset:368 ; 8-byte Folded Spill
	global_load_b128 v[0:3], v[2:3], off
	v_cmp_ne_u32_e64 s3, 0, v234
	v_cmp_eq_u32_e64 s2, 0, v234
	s_waitcnt vmcnt(0)
	s_clause 0x1
	scratch_store_b128 off, v[0:3], off offset:16
	scratch_store_b64 off, v[48:49], off offset:376
	global_load_b128 v[0:3], v[48:49], off
	s_waitcnt vmcnt(0)
	s_clause 0x1f
	scratch_store_b128 off, v[0:3], off
	scratch_store_b64 off, v[138:139], off offset:360
	scratch_store_b64 off, v[136:137], off offset:352
	;; [unrolled: 1-line block ×31, first 2 shown]
	s_clause 0x9
	scratch_store_b64 off, v[24:25], off offset:112
	scratch_store_b64 off, v[22:23], off offset:104
	;; [unrolled: 1-line block ×10, first 2 shown]
	s_clause 0x1f
	global_load_b128 v[188:191], v[138:139], off
	global_load_b128 v[184:187], v[136:137], off
	;; [unrolled: 1-line block ×32, first 2 shown]
	s_clause 0xb
	global_load_b128 v[60:63], v[22:23], off
	global_load_b128 v[56:59], v[20:21], off
	;; [unrolled: 1-line block ×12, first 2 shown]
	scratch_store_b64 off, v[4:5], off offset:32 ; 8-byte Folded Spill
	s_clause 0x3
	global_load_b128 v[12:15], v[4:5], off
	global_load_b128 v[8:11], v[243:244], off
	global_load_b128 v[4:7], v[245:246], off
	global_load_b128 v[0:3], v[192:193], off
	scratch_store_b64 off, v[192:193], off offset:768 ; 8-byte Folded Spill
	s_and_saveexec_b32 s5, s2
	s_cbranch_execz .LBB99_8
; %bb.2:
	scratch_load_b128 v[200:203], off, off offset:16 ; 16-byte Folded Reload
	s_waitcnt vmcnt(0)
	ds_store_2addr_b64 v235, v[200:201], v[202:203] offset1:1
	scratch_load_b128 v[200:203], off, off  ; 16-byte Folded Reload
	s_waitcnt vmcnt(0)
	ds_store_2addr_b64 v236, v[200:201], v[202:203] offset0:2 offset1:3
	ds_store_2addr_b64 v236, v[188:189], v[190:191] offset0:4 offset1:5
	;; [unrolled: 1-line block ×49, first 2 shown]
	ds_load_2addr_b64 v[200:203], v235 offset1:1
	s_waitcnt lgkmcnt(0)
	v_cmp_neq_f64_e32 vcc_lo, 0, v[200:201]
	v_cmp_neq_f64_e64 s4, 0, v[202:203]
	s_delay_alu instid0(VALU_DEP_1) | instskip(NEXT) | instid1(SALU_CYCLE_1)
	s_or_b32 s4, vcc_lo, s4
	s_and_b32 exec_lo, exec_lo, s4
	s_cbranch_execz .LBB99_8
; %bb.3:
	v_cmp_gt_f64_e32 vcc_lo, 0, v[200:201]
	v_xor_b32_e32 v204, 0x80000000, v201
	v_xor_b32_e32 v206, 0x80000000, v203
	s_mov_b32 s4, exec_lo
                                        ; implicit-def: $vgpr208_vgpr209
	s_delay_alu instid0(VALU_DEP_2) | instskip(SKIP_4) | instid1(VALU_DEP_1)
	v_cndmask_b32_e32 v205, v201, v204, vcc_lo
	v_cndmask_b32_e32 v204, v200, v200, vcc_lo
	v_cmp_gt_f64_e32 vcc_lo, 0, v[202:203]
	v_cndmask_b32_e32 v207, v203, v206, vcc_lo
	v_cndmask_b32_e32 v206, v202, v202, vcc_lo
	v_cmpx_ngt_f64_e32 v[204:205], v[206:207]
	s_xor_b32 s4, exec_lo, s4
                                        ; implicit-def: $vgpr204_vgpr205_vgpr206_vgpr207
	s_cbranch_execz .LBB99_5
; %bb.4:
	v_div_scale_f64 v[204:205], null, v[202:203], v[202:203], v[200:201]
	v_div_scale_f64 v[210:211], vcc_lo, v[200:201], v[202:203], v[200:201]
	s_delay_alu instid0(VALU_DEP_2) | instskip(SKIP_2) | instid1(VALU_DEP_1)
	v_rcp_f64_e32 v[206:207], v[204:205]
	s_waitcnt_depctr 0xfff
	v_fma_f64 v[208:209], -v[204:205], v[206:207], 1.0
	v_fma_f64 v[206:207], v[206:207], v[208:209], v[206:207]
	s_delay_alu instid0(VALU_DEP_1) | instskip(NEXT) | instid1(VALU_DEP_1)
	v_fma_f64 v[208:209], -v[204:205], v[206:207], 1.0
	v_fma_f64 v[206:207], v[206:207], v[208:209], v[206:207]
	s_delay_alu instid0(VALU_DEP_1) | instskip(NEXT) | instid1(VALU_DEP_1)
	v_mul_f64 v[208:209], v[210:211], v[206:207]
	v_fma_f64 v[204:205], -v[204:205], v[208:209], v[210:211]
	s_delay_alu instid0(VALU_DEP_1) | instskip(NEXT) | instid1(VALU_DEP_1)
	v_div_fmas_f64 v[204:205], v[204:205], v[206:207], v[208:209]
	v_div_fixup_f64 v[204:205], v[204:205], v[202:203], v[200:201]
	s_delay_alu instid0(VALU_DEP_1) | instskip(NEXT) | instid1(VALU_DEP_1)
	v_fma_f64 v[200:201], v[200:201], v[204:205], v[202:203]
	v_div_scale_f64 v[202:203], null, v[200:201], v[200:201], 1.0
	s_delay_alu instid0(VALU_DEP_1) | instskip(SKIP_2) | instid1(VALU_DEP_1)
	v_rcp_f64_e32 v[206:207], v[202:203]
	s_waitcnt_depctr 0xfff
	v_fma_f64 v[208:209], -v[202:203], v[206:207], 1.0
	v_fma_f64 v[206:207], v[206:207], v[208:209], v[206:207]
	s_delay_alu instid0(VALU_DEP_1) | instskip(NEXT) | instid1(VALU_DEP_1)
	v_fma_f64 v[208:209], -v[202:203], v[206:207], 1.0
	v_fma_f64 v[206:207], v[206:207], v[208:209], v[206:207]
	v_div_scale_f64 v[208:209], vcc_lo, 1.0, v[200:201], 1.0
	s_delay_alu instid0(VALU_DEP_1) | instskip(NEXT) | instid1(VALU_DEP_1)
	v_mul_f64 v[210:211], v[208:209], v[206:207]
	v_fma_f64 v[202:203], -v[202:203], v[210:211], v[208:209]
	s_delay_alu instid0(VALU_DEP_1) | instskip(NEXT) | instid1(VALU_DEP_1)
	v_div_fmas_f64 v[202:203], v[202:203], v[206:207], v[210:211]
	v_div_fixup_f64 v[206:207], v[202:203], v[200:201], 1.0
                                        ; implicit-def: $vgpr200_vgpr201
	s_delay_alu instid0(VALU_DEP_1)
	v_mul_f64 v[208:209], v[204:205], v[206:207]
	v_xor_b32_e32 v207, 0x80000000, v207
.LBB99_5:
	s_and_not1_saveexec_b32 s4, s4
	s_cbranch_execz .LBB99_7
; %bb.6:
	v_div_scale_f64 v[204:205], null, v[200:201], v[200:201], v[202:203]
	v_div_scale_f64 v[210:211], vcc_lo, v[202:203], v[200:201], v[202:203]
	s_delay_alu instid0(VALU_DEP_2) | instskip(SKIP_2) | instid1(VALU_DEP_1)
	v_rcp_f64_e32 v[206:207], v[204:205]
	s_waitcnt_depctr 0xfff
	v_fma_f64 v[208:209], -v[204:205], v[206:207], 1.0
	v_fma_f64 v[206:207], v[206:207], v[208:209], v[206:207]
	s_delay_alu instid0(VALU_DEP_1) | instskip(NEXT) | instid1(VALU_DEP_1)
	v_fma_f64 v[208:209], -v[204:205], v[206:207], 1.0
	v_fma_f64 v[206:207], v[206:207], v[208:209], v[206:207]
	s_delay_alu instid0(VALU_DEP_1) | instskip(NEXT) | instid1(VALU_DEP_1)
	v_mul_f64 v[208:209], v[210:211], v[206:207]
	v_fma_f64 v[204:205], -v[204:205], v[208:209], v[210:211]
	s_delay_alu instid0(VALU_DEP_1) | instskip(NEXT) | instid1(VALU_DEP_1)
	v_div_fmas_f64 v[204:205], v[204:205], v[206:207], v[208:209]
	v_div_fixup_f64 v[204:205], v[204:205], v[200:201], v[202:203]
	s_delay_alu instid0(VALU_DEP_1) | instskip(NEXT) | instid1(VALU_DEP_1)
	v_fma_f64 v[200:201], v[202:203], v[204:205], v[200:201]
	v_div_scale_f64 v[202:203], null, v[200:201], v[200:201], 1.0
	s_delay_alu instid0(VALU_DEP_1) | instskip(SKIP_2) | instid1(VALU_DEP_1)
	v_rcp_f64_e32 v[206:207], v[202:203]
	s_waitcnt_depctr 0xfff
	v_fma_f64 v[208:209], -v[202:203], v[206:207], 1.0
	v_fma_f64 v[206:207], v[206:207], v[208:209], v[206:207]
	s_delay_alu instid0(VALU_DEP_1) | instskip(NEXT) | instid1(VALU_DEP_1)
	v_fma_f64 v[208:209], -v[202:203], v[206:207], 1.0
	v_fma_f64 v[206:207], v[206:207], v[208:209], v[206:207]
	v_div_scale_f64 v[208:209], vcc_lo, 1.0, v[200:201], 1.0
	s_delay_alu instid0(VALU_DEP_1) | instskip(NEXT) | instid1(VALU_DEP_1)
	v_mul_f64 v[210:211], v[208:209], v[206:207]
	v_fma_f64 v[202:203], -v[202:203], v[210:211], v[208:209]
	s_delay_alu instid0(VALU_DEP_1) | instskip(NEXT) | instid1(VALU_DEP_1)
	v_div_fmas_f64 v[202:203], v[202:203], v[206:207], v[210:211]
	v_div_fixup_f64 v[208:209], v[202:203], v[200:201], 1.0
	s_delay_alu instid0(VALU_DEP_1)
	v_mul_f64 v[206:207], v[204:205], -v[208:209]
.LBB99_7:
	s_or_b32 exec_lo, exec_lo, s4
	ds_store_2addr_b64 v235, v[208:209], v[206:207] offset1:1
.LBB99_8:
	s_or_b32 exec_lo, exec_lo, s5
	s_waitcnt vmcnt(0) lgkmcnt(0)
	s_waitcnt_vscnt null, 0x0
	s_barrier
	buffer_gl0_inv
	ds_load_2addr_b64 v[200:203], v235 offset1:1
	s_waitcnt lgkmcnt(0)
	scratch_store_b128 off, v[200:203], off offset:384 ; 16-byte Folded Spill
	s_and_saveexec_b32 s4, s3
	s_cbranch_execz .LBB99_10
; %bb.9:
	s_clause 0x1
	scratch_load_b128 v[206:209], off, off offset:16
	scratch_load_b128 v[202:205], off, off offset:384
	v_dual_mov_b32 v192, v198 :: v_dual_mov_b32 v193, v199
	s_waitcnt vmcnt(0)
	v_mul_f64 v[198:199], v[202:203], v[208:209]
	v_mul_f64 v[200:201], v[204:205], v[208:209]
	s_delay_alu instid0(VALU_DEP_2) | instskip(NEXT) | instid1(VALU_DEP_2)
	v_fma_f64 v[208:209], v[204:205], v[206:207], v[198:199]
	v_fma_f64 v[200:201], v[202:203], v[206:207], -v[200:201]
	ds_load_2addr_b64 v[202:205], v236 offset0:2 offset1:3
	v_dual_mov_b32 v199, v193 :: v_dual_mov_b32 v198, v192
	s_waitcnt lgkmcnt(0)
	v_mul_f64 v[196:197], v[204:205], v[208:209]
	s_delay_alu instid0(VALU_DEP_1) | instskip(SKIP_1) | instid1(VALU_DEP_1)
	v_fma_f64 v[196:197], v[202:203], v[200:201], -v[196:197]
	v_mul_f64 v[202:203], v[202:203], v[208:209]
	v_fma_f64 v[202:203], v[204:205], v[200:201], v[202:203]
	scratch_load_b128 v[204:207], off, off  ; 16-byte Folded Reload
	s_waitcnt vmcnt(0)
	v_add_f64 v[204:205], v[204:205], -v[196:197]
	v_add_f64 v[206:207], v[206:207], -v[202:203]
	scratch_store_b128 off, v[204:207], off ; 16-byte Folded Spill
	ds_load_2addr_b64 v[202:205], v236 offset0:4 offset1:5
	v_dual_mov_b32 v207, v201 :: v_dual_mov_b32 v206, v200
	scratch_store_b128 off, v[206:209], off offset:16 ; 16-byte Folded Spill
	s_waitcnt lgkmcnt(0)
	v_mul_f64 v[196:197], v[204:205], v[208:209]
	s_delay_alu instid0(VALU_DEP_1) | instskip(SKIP_1) | instid1(VALU_DEP_2)
	v_fma_f64 v[196:197], v[202:203], v[200:201], -v[196:197]
	v_mul_f64 v[202:203], v[202:203], v[208:209]
	v_add_f64 v[188:189], v[188:189], -v[196:197]
	s_delay_alu instid0(VALU_DEP_2) | instskip(NEXT) | instid1(VALU_DEP_1)
	v_fma_f64 v[202:203], v[204:205], v[200:201], v[202:203]
	v_add_f64 v[190:191], v[190:191], -v[202:203]
	ds_load_2addr_b64 v[202:205], v236 offset0:6 offset1:7
	s_waitcnt lgkmcnt(0)
	v_mul_f64 v[196:197], v[204:205], v[208:209]
	s_delay_alu instid0(VALU_DEP_1) | instskip(SKIP_1) | instid1(VALU_DEP_2)
	v_fma_f64 v[196:197], v[202:203], v[200:201], -v[196:197]
	v_mul_f64 v[202:203], v[202:203], v[208:209]
	v_add_f64 v[184:185], v[184:185], -v[196:197]
	s_delay_alu instid0(VALU_DEP_2) | instskip(NEXT) | instid1(VALU_DEP_1)
	v_fma_f64 v[202:203], v[204:205], v[200:201], v[202:203]
	v_add_f64 v[186:187], v[186:187], -v[202:203]
	ds_load_2addr_b64 v[202:205], v236 offset0:8 offset1:9
	;; [unrolled: 10-line block ×47, first 2 shown]
	s_waitcnt lgkmcnt(0)
	v_mul_f64 v[196:197], v[204:205], v[208:209]
	s_delay_alu instid0(VALU_DEP_1) | instskip(SKIP_1) | instid1(VALU_DEP_2)
	v_fma_f64 v[196:197], v[202:203], v[200:201], -v[196:197]
	v_mul_f64 v[202:203], v[202:203], v[208:209]
	v_add_f64 v[0:1], v[0:1], -v[196:197]
	s_delay_alu instid0(VALU_DEP_2) | instskip(NEXT) | instid1(VALU_DEP_1)
	v_fma_f64 v[202:203], v[204:205], v[200:201], v[202:203]
	v_add_f64 v[2:3], v[2:3], -v[202:203]
.LBB99_10:
	s_or_b32 exec_lo, exec_lo, s4
	s_delay_alu instid0(SALU_CYCLE_1)
	s_mov_b32 s4, exec_lo
	s_waitcnt_vscnt null, 0x0
	s_barrier
	buffer_gl0_inv
	v_cmpx_eq_u32_e32 1, v234
	s_cbranch_execz .LBB99_17
; %bb.11:
	scratch_load_b128 v[200:203], off, off  ; 16-byte Folded Reload
	s_waitcnt vmcnt(0)
	ds_store_2addr_b64 v235, v[200:201], v[202:203] offset1:1
	ds_store_2addr_b64 v236, v[188:189], v[190:191] offset0:4 offset1:5
	ds_store_2addr_b64 v236, v[184:185], v[186:187] offset0:6 offset1:7
	;; [unrolled: 1-line block ×48, first 2 shown]
	ds_load_2addr_b64 v[200:203], v235 offset1:1
	s_waitcnt lgkmcnt(0)
	v_cmp_neq_f64_e32 vcc_lo, 0, v[200:201]
	v_cmp_neq_f64_e64 s3, 0, v[202:203]
	s_delay_alu instid0(VALU_DEP_1) | instskip(NEXT) | instid1(SALU_CYCLE_1)
	s_or_b32 s3, vcc_lo, s3
	s_and_b32 exec_lo, exec_lo, s3
	s_cbranch_execz .LBB99_17
; %bb.12:
	v_cmp_gt_f64_e32 vcc_lo, 0, v[200:201]
	v_xor_b32_e32 v204, 0x80000000, v201
	v_xor_b32_e32 v206, 0x80000000, v203
	s_mov_b32 s3, exec_lo
                                        ; implicit-def: $vgpr208_vgpr209
	s_delay_alu instid0(VALU_DEP_2) | instskip(SKIP_4) | instid1(VALU_DEP_1)
	v_cndmask_b32_e32 v205, v201, v204, vcc_lo
	v_cndmask_b32_e32 v204, v200, v200, vcc_lo
	v_cmp_gt_f64_e32 vcc_lo, 0, v[202:203]
	v_cndmask_b32_e32 v207, v203, v206, vcc_lo
	v_cndmask_b32_e32 v206, v202, v202, vcc_lo
	v_cmpx_ngt_f64_e32 v[204:205], v[206:207]
	s_xor_b32 s3, exec_lo, s3
                                        ; implicit-def: $vgpr204_vgpr205_vgpr206_vgpr207
	s_cbranch_execz .LBB99_14
; %bb.13:
	v_div_scale_f64 v[204:205], null, v[202:203], v[202:203], v[200:201]
	v_div_scale_f64 v[210:211], vcc_lo, v[200:201], v[202:203], v[200:201]
	s_delay_alu instid0(VALU_DEP_2) | instskip(SKIP_2) | instid1(VALU_DEP_1)
	v_rcp_f64_e32 v[206:207], v[204:205]
	s_waitcnt_depctr 0xfff
	v_fma_f64 v[208:209], -v[204:205], v[206:207], 1.0
	v_fma_f64 v[206:207], v[206:207], v[208:209], v[206:207]
	s_delay_alu instid0(VALU_DEP_1) | instskip(NEXT) | instid1(VALU_DEP_1)
	v_fma_f64 v[208:209], -v[204:205], v[206:207], 1.0
	v_fma_f64 v[206:207], v[206:207], v[208:209], v[206:207]
	s_delay_alu instid0(VALU_DEP_1) | instskip(NEXT) | instid1(VALU_DEP_1)
	v_mul_f64 v[208:209], v[210:211], v[206:207]
	v_fma_f64 v[204:205], -v[204:205], v[208:209], v[210:211]
	s_delay_alu instid0(VALU_DEP_1) | instskip(NEXT) | instid1(VALU_DEP_1)
	v_div_fmas_f64 v[204:205], v[204:205], v[206:207], v[208:209]
	v_div_fixup_f64 v[204:205], v[204:205], v[202:203], v[200:201]
	s_delay_alu instid0(VALU_DEP_1) | instskip(NEXT) | instid1(VALU_DEP_1)
	v_fma_f64 v[200:201], v[200:201], v[204:205], v[202:203]
	v_div_scale_f64 v[202:203], null, v[200:201], v[200:201], 1.0
	s_delay_alu instid0(VALU_DEP_1) | instskip(SKIP_2) | instid1(VALU_DEP_1)
	v_rcp_f64_e32 v[206:207], v[202:203]
	s_waitcnt_depctr 0xfff
	v_fma_f64 v[208:209], -v[202:203], v[206:207], 1.0
	v_fma_f64 v[206:207], v[206:207], v[208:209], v[206:207]
	s_delay_alu instid0(VALU_DEP_1) | instskip(NEXT) | instid1(VALU_DEP_1)
	v_fma_f64 v[208:209], -v[202:203], v[206:207], 1.0
	v_fma_f64 v[206:207], v[206:207], v[208:209], v[206:207]
	v_div_scale_f64 v[208:209], vcc_lo, 1.0, v[200:201], 1.0
	s_delay_alu instid0(VALU_DEP_1) | instskip(NEXT) | instid1(VALU_DEP_1)
	v_mul_f64 v[210:211], v[208:209], v[206:207]
	v_fma_f64 v[202:203], -v[202:203], v[210:211], v[208:209]
	s_delay_alu instid0(VALU_DEP_1) | instskip(NEXT) | instid1(VALU_DEP_1)
	v_div_fmas_f64 v[202:203], v[202:203], v[206:207], v[210:211]
	v_div_fixup_f64 v[206:207], v[202:203], v[200:201], 1.0
                                        ; implicit-def: $vgpr200_vgpr201
	s_delay_alu instid0(VALU_DEP_1)
	v_mul_f64 v[208:209], v[204:205], v[206:207]
	v_xor_b32_e32 v207, 0x80000000, v207
.LBB99_14:
	s_and_not1_saveexec_b32 s3, s3
	s_cbranch_execz .LBB99_16
; %bb.15:
	v_div_scale_f64 v[204:205], null, v[200:201], v[200:201], v[202:203]
	v_div_scale_f64 v[210:211], vcc_lo, v[202:203], v[200:201], v[202:203]
	s_delay_alu instid0(VALU_DEP_2) | instskip(SKIP_2) | instid1(VALU_DEP_1)
	v_rcp_f64_e32 v[206:207], v[204:205]
	s_waitcnt_depctr 0xfff
	v_fma_f64 v[208:209], -v[204:205], v[206:207], 1.0
	v_fma_f64 v[206:207], v[206:207], v[208:209], v[206:207]
	s_delay_alu instid0(VALU_DEP_1) | instskip(NEXT) | instid1(VALU_DEP_1)
	v_fma_f64 v[208:209], -v[204:205], v[206:207], 1.0
	v_fma_f64 v[206:207], v[206:207], v[208:209], v[206:207]
	s_delay_alu instid0(VALU_DEP_1) | instskip(NEXT) | instid1(VALU_DEP_1)
	v_mul_f64 v[208:209], v[210:211], v[206:207]
	v_fma_f64 v[204:205], -v[204:205], v[208:209], v[210:211]
	s_delay_alu instid0(VALU_DEP_1) | instskip(NEXT) | instid1(VALU_DEP_1)
	v_div_fmas_f64 v[204:205], v[204:205], v[206:207], v[208:209]
	v_div_fixup_f64 v[204:205], v[204:205], v[200:201], v[202:203]
	s_delay_alu instid0(VALU_DEP_1) | instskip(NEXT) | instid1(VALU_DEP_1)
	v_fma_f64 v[200:201], v[202:203], v[204:205], v[200:201]
	v_div_scale_f64 v[202:203], null, v[200:201], v[200:201], 1.0
	s_delay_alu instid0(VALU_DEP_1) | instskip(SKIP_2) | instid1(VALU_DEP_1)
	v_rcp_f64_e32 v[206:207], v[202:203]
	s_waitcnt_depctr 0xfff
	v_fma_f64 v[208:209], -v[202:203], v[206:207], 1.0
	v_fma_f64 v[206:207], v[206:207], v[208:209], v[206:207]
	s_delay_alu instid0(VALU_DEP_1) | instskip(NEXT) | instid1(VALU_DEP_1)
	v_fma_f64 v[208:209], -v[202:203], v[206:207], 1.0
	v_fma_f64 v[206:207], v[206:207], v[208:209], v[206:207]
	v_div_scale_f64 v[208:209], vcc_lo, 1.0, v[200:201], 1.0
	s_delay_alu instid0(VALU_DEP_1) | instskip(NEXT) | instid1(VALU_DEP_1)
	v_mul_f64 v[210:211], v[208:209], v[206:207]
	v_fma_f64 v[202:203], -v[202:203], v[210:211], v[208:209]
	s_delay_alu instid0(VALU_DEP_1) | instskip(NEXT) | instid1(VALU_DEP_1)
	v_div_fmas_f64 v[202:203], v[202:203], v[206:207], v[210:211]
	v_div_fixup_f64 v[208:209], v[202:203], v[200:201], 1.0
	s_delay_alu instid0(VALU_DEP_1)
	v_mul_f64 v[206:207], v[204:205], -v[208:209]
.LBB99_16:
	s_or_b32 exec_lo, exec_lo, s3
	ds_store_2addr_b64 v235, v[208:209], v[206:207] offset1:1
.LBB99_17:
	s_or_b32 exec_lo, exec_lo, s4
	s_waitcnt lgkmcnt(0)
	s_barrier
	buffer_gl0_inv
	ds_load_2addr_b64 v[200:203], v235 offset1:1
	s_mov_b32 s3, exec_lo
	s_waitcnt lgkmcnt(0)
	scratch_store_b128 off, v[200:203], off offset:400 ; 16-byte Folded Spill
	v_cmpx_lt_u32_e32 1, v234
	s_cbranch_execz .LBB99_19
; %bb.18:
	s_clause 0x1
	scratch_load_b128 v[204:207], off, off
	scratch_load_b128 v[208:211], off, off offset:400
	v_dual_mov_b32 v192, v194 :: v_dual_mov_b32 v193, v195
	s_waitcnt vmcnt(0)
	v_mul_f64 v[194:195], v[208:209], v[206:207]
	v_mul_f64 v[200:201], v[210:211], v[206:207]
	s_delay_alu instid0(VALU_DEP_2) | instskip(NEXT) | instid1(VALU_DEP_2)
	v_fma_f64 v[206:207], v[210:211], v[204:205], v[194:195]
	v_fma_f64 v[200:201], v[208:209], v[204:205], -v[200:201]
	ds_load_2addr_b64 v[202:205], v236 offset0:4 offset1:5
	v_dual_mov_b32 v195, v193 :: v_dual_mov_b32 v194, v192
	s_waitcnt lgkmcnt(0)
	v_mul_f64 v[192:193], v[204:205], v[206:207]
	s_delay_alu instid0(VALU_DEP_1) | instskip(SKIP_1) | instid1(VALU_DEP_2)
	v_fma_f64 v[192:193], v[202:203], v[200:201], -v[192:193]
	v_mul_f64 v[202:203], v[202:203], v[206:207]
	v_add_f64 v[188:189], v[188:189], -v[192:193]
	s_delay_alu instid0(VALU_DEP_2) | instskip(NEXT) | instid1(VALU_DEP_1)
	v_fma_f64 v[202:203], v[204:205], v[200:201], v[202:203]
	v_add_f64 v[190:191], v[190:191], -v[202:203]
	ds_load_2addr_b64 v[202:205], v236 offset0:6 offset1:7
	s_waitcnt lgkmcnt(0)
	v_mul_f64 v[192:193], v[204:205], v[206:207]
	s_delay_alu instid0(VALU_DEP_1) | instskip(SKIP_1) | instid1(VALU_DEP_2)
	v_fma_f64 v[192:193], v[202:203], v[200:201], -v[192:193]
	v_mul_f64 v[202:203], v[202:203], v[206:207]
	v_add_f64 v[184:185], v[184:185], -v[192:193]
	s_delay_alu instid0(VALU_DEP_2) | instskip(NEXT) | instid1(VALU_DEP_1)
	v_fma_f64 v[202:203], v[204:205], v[200:201], v[202:203]
	v_add_f64 v[186:187], v[186:187], -v[202:203]
	ds_load_2addr_b64 v[202:205], v236 offset0:8 offset1:9
	;; [unrolled: 10-line block ×47, first 2 shown]
	s_waitcnt lgkmcnt(0)
	v_mul_f64 v[192:193], v[204:205], v[206:207]
	s_delay_alu instid0(VALU_DEP_1) | instskip(SKIP_1) | instid1(VALU_DEP_2)
	v_fma_f64 v[192:193], v[202:203], v[200:201], -v[192:193]
	v_mul_f64 v[202:203], v[202:203], v[206:207]
	v_add_f64 v[0:1], v[0:1], -v[192:193]
	s_delay_alu instid0(VALU_DEP_2)
	v_fma_f64 v[202:203], v[204:205], v[200:201], v[202:203]
	v_dual_mov_b32 v205, v201 :: v_dual_mov_b32 v204, v200
	scratch_store_b128 off, v[204:207], off ; 16-byte Folded Spill
	v_add_f64 v[2:3], v[2:3], -v[202:203]
.LBB99_19:
	s_or_b32 exec_lo, exec_lo, s3
	s_delay_alu instid0(SALU_CYCLE_1)
	s_mov_b32 s4, exec_lo
	s_waitcnt_vscnt null, 0x0
	s_barrier
	buffer_gl0_inv
	v_cmpx_eq_u32_e32 2, v234
	s_cbranch_execz .LBB99_26
; %bb.20:
	ds_store_2addr_b64 v235, v[188:189], v[190:191] offset1:1
	ds_store_2addr_b64 v236, v[184:185], v[186:187] offset0:6 offset1:7
	ds_store_2addr_b64 v236, v[180:181], v[182:183] offset0:8 offset1:9
	;; [unrolled: 1-line block ×47, first 2 shown]
	ds_load_2addr_b64 v[200:203], v235 offset1:1
	s_waitcnt lgkmcnt(0)
	v_cmp_neq_f64_e32 vcc_lo, 0, v[200:201]
	v_cmp_neq_f64_e64 s3, 0, v[202:203]
	s_delay_alu instid0(VALU_DEP_1) | instskip(NEXT) | instid1(SALU_CYCLE_1)
	s_or_b32 s3, vcc_lo, s3
	s_and_b32 exec_lo, exec_lo, s3
	s_cbranch_execz .LBB99_26
; %bb.21:
	v_cmp_gt_f64_e32 vcc_lo, 0, v[200:201]
	v_xor_b32_e32 v204, 0x80000000, v201
	v_xor_b32_e32 v206, 0x80000000, v203
	s_mov_b32 s3, exec_lo
                                        ; implicit-def: $vgpr208_vgpr209
	s_delay_alu instid0(VALU_DEP_2) | instskip(SKIP_4) | instid1(VALU_DEP_1)
	v_cndmask_b32_e32 v205, v201, v204, vcc_lo
	v_cndmask_b32_e32 v204, v200, v200, vcc_lo
	v_cmp_gt_f64_e32 vcc_lo, 0, v[202:203]
	v_cndmask_b32_e32 v207, v203, v206, vcc_lo
	v_cndmask_b32_e32 v206, v202, v202, vcc_lo
	v_cmpx_ngt_f64_e32 v[204:205], v[206:207]
	s_xor_b32 s3, exec_lo, s3
                                        ; implicit-def: $vgpr204_vgpr205_vgpr206_vgpr207
	s_cbranch_execz .LBB99_23
; %bb.22:
	v_div_scale_f64 v[204:205], null, v[202:203], v[202:203], v[200:201]
	v_div_scale_f64 v[210:211], vcc_lo, v[200:201], v[202:203], v[200:201]
	s_delay_alu instid0(VALU_DEP_2) | instskip(SKIP_2) | instid1(VALU_DEP_1)
	v_rcp_f64_e32 v[206:207], v[204:205]
	s_waitcnt_depctr 0xfff
	v_fma_f64 v[208:209], -v[204:205], v[206:207], 1.0
	v_fma_f64 v[206:207], v[206:207], v[208:209], v[206:207]
	s_delay_alu instid0(VALU_DEP_1) | instskip(NEXT) | instid1(VALU_DEP_1)
	v_fma_f64 v[208:209], -v[204:205], v[206:207], 1.0
	v_fma_f64 v[206:207], v[206:207], v[208:209], v[206:207]
	s_delay_alu instid0(VALU_DEP_1) | instskip(NEXT) | instid1(VALU_DEP_1)
	v_mul_f64 v[208:209], v[210:211], v[206:207]
	v_fma_f64 v[204:205], -v[204:205], v[208:209], v[210:211]
	s_delay_alu instid0(VALU_DEP_1) | instskip(NEXT) | instid1(VALU_DEP_1)
	v_div_fmas_f64 v[204:205], v[204:205], v[206:207], v[208:209]
	v_div_fixup_f64 v[204:205], v[204:205], v[202:203], v[200:201]
	s_delay_alu instid0(VALU_DEP_1) | instskip(NEXT) | instid1(VALU_DEP_1)
	v_fma_f64 v[200:201], v[200:201], v[204:205], v[202:203]
	v_div_scale_f64 v[202:203], null, v[200:201], v[200:201], 1.0
	s_delay_alu instid0(VALU_DEP_1) | instskip(SKIP_2) | instid1(VALU_DEP_1)
	v_rcp_f64_e32 v[206:207], v[202:203]
	s_waitcnt_depctr 0xfff
	v_fma_f64 v[208:209], -v[202:203], v[206:207], 1.0
	v_fma_f64 v[206:207], v[206:207], v[208:209], v[206:207]
	s_delay_alu instid0(VALU_DEP_1) | instskip(NEXT) | instid1(VALU_DEP_1)
	v_fma_f64 v[208:209], -v[202:203], v[206:207], 1.0
	v_fma_f64 v[206:207], v[206:207], v[208:209], v[206:207]
	v_div_scale_f64 v[208:209], vcc_lo, 1.0, v[200:201], 1.0
	s_delay_alu instid0(VALU_DEP_1) | instskip(NEXT) | instid1(VALU_DEP_1)
	v_mul_f64 v[210:211], v[208:209], v[206:207]
	v_fma_f64 v[202:203], -v[202:203], v[210:211], v[208:209]
	s_delay_alu instid0(VALU_DEP_1) | instskip(NEXT) | instid1(VALU_DEP_1)
	v_div_fmas_f64 v[202:203], v[202:203], v[206:207], v[210:211]
	v_div_fixup_f64 v[206:207], v[202:203], v[200:201], 1.0
                                        ; implicit-def: $vgpr200_vgpr201
	s_delay_alu instid0(VALU_DEP_1)
	v_mul_f64 v[208:209], v[204:205], v[206:207]
	v_xor_b32_e32 v207, 0x80000000, v207
.LBB99_23:
	s_and_not1_saveexec_b32 s3, s3
	s_cbranch_execz .LBB99_25
; %bb.24:
	v_div_scale_f64 v[204:205], null, v[200:201], v[200:201], v[202:203]
	v_div_scale_f64 v[210:211], vcc_lo, v[202:203], v[200:201], v[202:203]
	s_delay_alu instid0(VALU_DEP_2) | instskip(SKIP_2) | instid1(VALU_DEP_1)
	v_rcp_f64_e32 v[206:207], v[204:205]
	s_waitcnt_depctr 0xfff
	v_fma_f64 v[208:209], -v[204:205], v[206:207], 1.0
	v_fma_f64 v[206:207], v[206:207], v[208:209], v[206:207]
	s_delay_alu instid0(VALU_DEP_1) | instskip(NEXT) | instid1(VALU_DEP_1)
	v_fma_f64 v[208:209], -v[204:205], v[206:207], 1.0
	v_fma_f64 v[206:207], v[206:207], v[208:209], v[206:207]
	s_delay_alu instid0(VALU_DEP_1) | instskip(NEXT) | instid1(VALU_DEP_1)
	v_mul_f64 v[208:209], v[210:211], v[206:207]
	v_fma_f64 v[204:205], -v[204:205], v[208:209], v[210:211]
	s_delay_alu instid0(VALU_DEP_1) | instskip(NEXT) | instid1(VALU_DEP_1)
	v_div_fmas_f64 v[204:205], v[204:205], v[206:207], v[208:209]
	v_div_fixup_f64 v[204:205], v[204:205], v[200:201], v[202:203]
	s_delay_alu instid0(VALU_DEP_1) | instskip(NEXT) | instid1(VALU_DEP_1)
	v_fma_f64 v[200:201], v[202:203], v[204:205], v[200:201]
	v_div_scale_f64 v[202:203], null, v[200:201], v[200:201], 1.0
	s_delay_alu instid0(VALU_DEP_1) | instskip(SKIP_2) | instid1(VALU_DEP_1)
	v_rcp_f64_e32 v[206:207], v[202:203]
	s_waitcnt_depctr 0xfff
	v_fma_f64 v[208:209], -v[202:203], v[206:207], 1.0
	v_fma_f64 v[206:207], v[206:207], v[208:209], v[206:207]
	s_delay_alu instid0(VALU_DEP_1) | instskip(NEXT) | instid1(VALU_DEP_1)
	v_fma_f64 v[208:209], -v[202:203], v[206:207], 1.0
	v_fma_f64 v[206:207], v[206:207], v[208:209], v[206:207]
	v_div_scale_f64 v[208:209], vcc_lo, 1.0, v[200:201], 1.0
	s_delay_alu instid0(VALU_DEP_1) | instskip(NEXT) | instid1(VALU_DEP_1)
	v_mul_f64 v[210:211], v[208:209], v[206:207]
	v_fma_f64 v[202:203], -v[202:203], v[210:211], v[208:209]
	s_delay_alu instid0(VALU_DEP_1) | instskip(NEXT) | instid1(VALU_DEP_1)
	v_div_fmas_f64 v[202:203], v[202:203], v[206:207], v[210:211]
	v_div_fixup_f64 v[208:209], v[202:203], v[200:201], 1.0
	s_delay_alu instid0(VALU_DEP_1)
	v_mul_f64 v[206:207], v[204:205], -v[208:209]
.LBB99_25:
	s_or_b32 exec_lo, exec_lo, s3
	ds_store_2addr_b64 v235, v[208:209], v[206:207] offset1:1
.LBB99_26:
	s_or_b32 exec_lo, exec_lo, s4
	s_waitcnt lgkmcnt(0)
	s_barrier
	buffer_gl0_inv
	ds_load_2addr_b64 v[200:203], v235 offset1:1
	s_mov_b32 s3, exec_lo
	s_waitcnt lgkmcnt(0)
	scratch_store_b128 off, v[200:203], off offset:416 ; 16-byte Folded Spill
	v_cmpx_lt_u32_e32 2, v234
	s_cbranch_execz .LBB99_28
; %bb.27:
	scratch_load_b128 v[202:205], off, off offset:416 ; 16-byte Folded Reload
	s_waitcnt vmcnt(0)
	v_mul_f64 v[200:201], v[204:205], v[190:191]
	v_mul_f64 v[190:191], v[202:203], v[190:191]
	s_delay_alu instid0(VALU_DEP_2) | instskip(NEXT) | instid1(VALU_DEP_2)
	v_fma_f64 v[200:201], v[202:203], v[188:189], -v[200:201]
	v_fma_f64 v[190:191], v[204:205], v[188:189], v[190:191]
	ds_load_2addr_b64 v[202:205], v236 offset0:6 offset1:7
	s_waitcnt lgkmcnt(0)
	v_mul_f64 v[188:189], v[204:205], v[190:191]
	s_delay_alu instid0(VALU_DEP_1) | instskip(SKIP_1) | instid1(VALU_DEP_2)
	v_fma_f64 v[188:189], v[202:203], v[200:201], -v[188:189]
	v_mul_f64 v[202:203], v[202:203], v[190:191]
	v_add_f64 v[184:185], v[184:185], -v[188:189]
	s_delay_alu instid0(VALU_DEP_2) | instskip(NEXT) | instid1(VALU_DEP_1)
	v_fma_f64 v[202:203], v[204:205], v[200:201], v[202:203]
	v_add_f64 v[186:187], v[186:187], -v[202:203]
	ds_load_2addr_b64 v[202:205], v236 offset0:8 offset1:9
	s_waitcnt lgkmcnt(0)
	v_mul_f64 v[188:189], v[204:205], v[190:191]
	s_delay_alu instid0(VALU_DEP_1) | instskip(SKIP_1) | instid1(VALU_DEP_2)
	v_fma_f64 v[188:189], v[202:203], v[200:201], -v[188:189]
	v_mul_f64 v[202:203], v[202:203], v[190:191]
	v_add_f64 v[180:181], v[180:181], -v[188:189]
	s_delay_alu instid0(VALU_DEP_2) | instskip(NEXT) | instid1(VALU_DEP_1)
	v_fma_f64 v[202:203], v[204:205], v[200:201], v[202:203]
	v_add_f64 v[182:183], v[182:183], -v[202:203]
	;; [unrolled: 10-line block ×46, first 2 shown]
	ds_load_2addr_b64 v[202:205], v236 offset0:98 offset1:99
	s_waitcnt lgkmcnt(0)
	v_mul_f64 v[188:189], v[204:205], v[190:191]
	s_delay_alu instid0(VALU_DEP_1) | instskip(SKIP_1) | instid1(VALU_DEP_2)
	v_fma_f64 v[188:189], v[202:203], v[200:201], -v[188:189]
	v_mul_f64 v[202:203], v[202:203], v[190:191]
	v_add_f64 v[0:1], v[0:1], -v[188:189]
	s_delay_alu instid0(VALU_DEP_2) | instskip(SKIP_1) | instid1(VALU_DEP_2)
	v_fma_f64 v[202:203], v[204:205], v[200:201], v[202:203]
	v_dual_mov_b32 v188, v200 :: v_dual_mov_b32 v189, v201
	v_add_f64 v[2:3], v[2:3], -v[202:203]
.LBB99_28:
	s_or_b32 exec_lo, exec_lo, s3
	s_delay_alu instid0(SALU_CYCLE_1)
	s_mov_b32 s4, exec_lo
	s_waitcnt_vscnt null, 0x0
	s_barrier
	buffer_gl0_inv
	v_cmpx_eq_u32_e32 3, v234
	s_cbranch_execz .LBB99_35
; %bb.29:
	ds_store_2addr_b64 v235, v[184:185], v[186:187] offset1:1
	ds_store_2addr_b64 v236, v[180:181], v[182:183] offset0:8 offset1:9
	ds_store_2addr_b64 v236, v[176:177], v[178:179] offset0:10 offset1:11
	;; [unrolled: 1-line block ×46, first 2 shown]
	ds_load_2addr_b64 v[200:203], v235 offset1:1
	s_waitcnt lgkmcnt(0)
	v_cmp_neq_f64_e32 vcc_lo, 0, v[200:201]
	v_cmp_neq_f64_e64 s3, 0, v[202:203]
	s_delay_alu instid0(VALU_DEP_1) | instskip(NEXT) | instid1(SALU_CYCLE_1)
	s_or_b32 s3, vcc_lo, s3
	s_and_b32 exec_lo, exec_lo, s3
	s_cbranch_execz .LBB99_35
; %bb.30:
	v_cmp_gt_f64_e32 vcc_lo, 0, v[200:201]
	v_xor_b32_e32 v204, 0x80000000, v201
	v_xor_b32_e32 v206, 0x80000000, v203
	s_mov_b32 s3, exec_lo
                                        ; implicit-def: $vgpr208_vgpr209
	s_delay_alu instid0(VALU_DEP_2) | instskip(SKIP_4) | instid1(VALU_DEP_1)
	v_cndmask_b32_e32 v205, v201, v204, vcc_lo
	v_cndmask_b32_e32 v204, v200, v200, vcc_lo
	v_cmp_gt_f64_e32 vcc_lo, 0, v[202:203]
	v_cndmask_b32_e32 v207, v203, v206, vcc_lo
	v_cndmask_b32_e32 v206, v202, v202, vcc_lo
	v_cmpx_ngt_f64_e32 v[204:205], v[206:207]
	s_xor_b32 s3, exec_lo, s3
                                        ; implicit-def: $vgpr204_vgpr205_vgpr206_vgpr207
	s_cbranch_execz .LBB99_32
; %bb.31:
	v_div_scale_f64 v[204:205], null, v[202:203], v[202:203], v[200:201]
	v_div_scale_f64 v[210:211], vcc_lo, v[200:201], v[202:203], v[200:201]
	s_delay_alu instid0(VALU_DEP_2) | instskip(SKIP_2) | instid1(VALU_DEP_1)
	v_rcp_f64_e32 v[206:207], v[204:205]
	s_waitcnt_depctr 0xfff
	v_fma_f64 v[208:209], -v[204:205], v[206:207], 1.0
	v_fma_f64 v[206:207], v[206:207], v[208:209], v[206:207]
	s_delay_alu instid0(VALU_DEP_1) | instskip(NEXT) | instid1(VALU_DEP_1)
	v_fma_f64 v[208:209], -v[204:205], v[206:207], 1.0
	v_fma_f64 v[206:207], v[206:207], v[208:209], v[206:207]
	s_delay_alu instid0(VALU_DEP_1) | instskip(NEXT) | instid1(VALU_DEP_1)
	v_mul_f64 v[208:209], v[210:211], v[206:207]
	v_fma_f64 v[204:205], -v[204:205], v[208:209], v[210:211]
	s_delay_alu instid0(VALU_DEP_1) | instskip(NEXT) | instid1(VALU_DEP_1)
	v_div_fmas_f64 v[204:205], v[204:205], v[206:207], v[208:209]
	v_div_fixup_f64 v[204:205], v[204:205], v[202:203], v[200:201]
	s_delay_alu instid0(VALU_DEP_1) | instskip(NEXT) | instid1(VALU_DEP_1)
	v_fma_f64 v[200:201], v[200:201], v[204:205], v[202:203]
	v_div_scale_f64 v[202:203], null, v[200:201], v[200:201], 1.0
	s_delay_alu instid0(VALU_DEP_1) | instskip(SKIP_2) | instid1(VALU_DEP_1)
	v_rcp_f64_e32 v[206:207], v[202:203]
	s_waitcnt_depctr 0xfff
	v_fma_f64 v[208:209], -v[202:203], v[206:207], 1.0
	v_fma_f64 v[206:207], v[206:207], v[208:209], v[206:207]
	s_delay_alu instid0(VALU_DEP_1) | instskip(NEXT) | instid1(VALU_DEP_1)
	v_fma_f64 v[208:209], -v[202:203], v[206:207], 1.0
	v_fma_f64 v[206:207], v[206:207], v[208:209], v[206:207]
	v_div_scale_f64 v[208:209], vcc_lo, 1.0, v[200:201], 1.0
	s_delay_alu instid0(VALU_DEP_1) | instskip(NEXT) | instid1(VALU_DEP_1)
	v_mul_f64 v[210:211], v[208:209], v[206:207]
	v_fma_f64 v[202:203], -v[202:203], v[210:211], v[208:209]
	s_delay_alu instid0(VALU_DEP_1) | instskip(NEXT) | instid1(VALU_DEP_1)
	v_div_fmas_f64 v[202:203], v[202:203], v[206:207], v[210:211]
	v_div_fixup_f64 v[206:207], v[202:203], v[200:201], 1.0
                                        ; implicit-def: $vgpr200_vgpr201
	s_delay_alu instid0(VALU_DEP_1)
	v_mul_f64 v[208:209], v[204:205], v[206:207]
	v_xor_b32_e32 v207, 0x80000000, v207
.LBB99_32:
	s_and_not1_saveexec_b32 s3, s3
	s_cbranch_execz .LBB99_34
; %bb.33:
	v_div_scale_f64 v[204:205], null, v[200:201], v[200:201], v[202:203]
	v_div_scale_f64 v[210:211], vcc_lo, v[202:203], v[200:201], v[202:203]
	s_delay_alu instid0(VALU_DEP_2) | instskip(SKIP_2) | instid1(VALU_DEP_1)
	v_rcp_f64_e32 v[206:207], v[204:205]
	s_waitcnt_depctr 0xfff
	v_fma_f64 v[208:209], -v[204:205], v[206:207], 1.0
	v_fma_f64 v[206:207], v[206:207], v[208:209], v[206:207]
	s_delay_alu instid0(VALU_DEP_1) | instskip(NEXT) | instid1(VALU_DEP_1)
	v_fma_f64 v[208:209], -v[204:205], v[206:207], 1.0
	v_fma_f64 v[206:207], v[206:207], v[208:209], v[206:207]
	s_delay_alu instid0(VALU_DEP_1) | instskip(NEXT) | instid1(VALU_DEP_1)
	v_mul_f64 v[208:209], v[210:211], v[206:207]
	v_fma_f64 v[204:205], -v[204:205], v[208:209], v[210:211]
	s_delay_alu instid0(VALU_DEP_1) | instskip(NEXT) | instid1(VALU_DEP_1)
	v_div_fmas_f64 v[204:205], v[204:205], v[206:207], v[208:209]
	v_div_fixup_f64 v[204:205], v[204:205], v[200:201], v[202:203]
	s_delay_alu instid0(VALU_DEP_1) | instskip(NEXT) | instid1(VALU_DEP_1)
	v_fma_f64 v[200:201], v[202:203], v[204:205], v[200:201]
	v_div_scale_f64 v[202:203], null, v[200:201], v[200:201], 1.0
	s_delay_alu instid0(VALU_DEP_1) | instskip(SKIP_2) | instid1(VALU_DEP_1)
	v_rcp_f64_e32 v[206:207], v[202:203]
	s_waitcnt_depctr 0xfff
	v_fma_f64 v[208:209], -v[202:203], v[206:207], 1.0
	v_fma_f64 v[206:207], v[206:207], v[208:209], v[206:207]
	s_delay_alu instid0(VALU_DEP_1) | instskip(NEXT) | instid1(VALU_DEP_1)
	v_fma_f64 v[208:209], -v[202:203], v[206:207], 1.0
	v_fma_f64 v[206:207], v[206:207], v[208:209], v[206:207]
	v_div_scale_f64 v[208:209], vcc_lo, 1.0, v[200:201], 1.0
	s_delay_alu instid0(VALU_DEP_1) | instskip(NEXT) | instid1(VALU_DEP_1)
	v_mul_f64 v[210:211], v[208:209], v[206:207]
	v_fma_f64 v[202:203], -v[202:203], v[210:211], v[208:209]
	s_delay_alu instid0(VALU_DEP_1) | instskip(NEXT) | instid1(VALU_DEP_1)
	v_div_fmas_f64 v[202:203], v[202:203], v[206:207], v[210:211]
	v_div_fixup_f64 v[208:209], v[202:203], v[200:201], 1.0
	s_delay_alu instid0(VALU_DEP_1)
	v_mul_f64 v[206:207], v[204:205], -v[208:209]
.LBB99_34:
	s_or_b32 exec_lo, exec_lo, s3
	ds_store_2addr_b64 v235, v[208:209], v[206:207] offset1:1
.LBB99_35:
	s_or_b32 exec_lo, exec_lo, s4
	s_waitcnt lgkmcnt(0)
	s_barrier
	buffer_gl0_inv
	ds_load_2addr_b64 v[200:203], v235 offset1:1
	s_mov_b32 s3, exec_lo
	s_waitcnt lgkmcnt(0)
	scratch_store_b128 off, v[200:203], off offset:432 ; 16-byte Folded Spill
	v_cmpx_lt_u32_e32 3, v234
	s_cbranch_execz .LBB99_37
; %bb.36:
	scratch_load_b128 v[202:205], off, off offset:432 ; 16-byte Folded Reload
	s_waitcnt vmcnt(0)
	v_mul_f64 v[200:201], v[204:205], v[186:187]
	v_mul_f64 v[186:187], v[202:203], v[186:187]
	s_delay_alu instid0(VALU_DEP_2) | instskip(NEXT) | instid1(VALU_DEP_2)
	v_fma_f64 v[200:201], v[202:203], v[184:185], -v[200:201]
	v_fma_f64 v[186:187], v[204:205], v[184:185], v[186:187]
	ds_load_2addr_b64 v[202:205], v236 offset0:8 offset1:9
	s_waitcnt lgkmcnt(0)
	v_mul_f64 v[184:185], v[204:205], v[186:187]
	s_delay_alu instid0(VALU_DEP_1) | instskip(SKIP_1) | instid1(VALU_DEP_2)
	v_fma_f64 v[184:185], v[202:203], v[200:201], -v[184:185]
	v_mul_f64 v[202:203], v[202:203], v[186:187]
	v_add_f64 v[180:181], v[180:181], -v[184:185]
	s_delay_alu instid0(VALU_DEP_2) | instskip(NEXT) | instid1(VALU_DEP_1)
	v_fma_f64 v[202:203], v[204:205], v[200:201], v[202:203]
	v_add_f64 v[182:183], v[182:183], -v[202:203]
	ds_load_2addr_b64 v[202:205], v236 offset0:10 offset1:11
	s_waitcnt lgkmcnt(0)
	v_mul_f64 v[184:185], v[204:205], v[186:187]
	s_delay_alu instid0(VALU_DEP_1) | instskip(SKIP_1) | instid1(VALU_DEP_2)
	v_fma_f64 v[184:185], v[202:203], v[200:201], -v[184:185]
	v_mul_f64 v[202:203], v[202:203], v[186:187]
	v_add_f64 v[176:177], v[176:177], -v[184:185]
	s_delay_alu instid0(VALU_DEP_2) | instskip(NEXT) | instid1(VALU_DEP_1)
	v_fma_f64 v[202:203], v[204:205], v[200:201], v[202:203]
	v_add_f64 v[178:179], v[178:179], -v[202:203]
	;; [unrolled: 10-line block ×45, first 2 shown]
	ds_load_2addr_b64 v[202:205], v236 offset0:98 offset1:99
	s_waitcnt lgkmcnt(0)
	v_mul_f64 v[184:185], v[204:205], v[186:187]
	s_delay_alu instid0(VALU_DEP_1) | instskip(SKIP_1) | instid1(VALU_DEP_2)
	v_fma_f64 v[184:185], v[202:203], v[200:201], -v[184:185]
	v_mul_f64 v[202:203], v[202:203], v[186:187]
	v_add_f64 v[0:1], v[0:1], -v[184:185]
	s_delay_alu instid0(VALU_DEP_2) | instskip(SKIP_1) | instid1(VALU_DEP_2)
	v_fma_f64 v[202:203], v[204:205], v[200:201], v[202:203]
	v_dual_mov_b32 v184, v200 :: v_dual_mov_b32 v185, v201
	v_add_f64 v[2:3], v[2:3], -v[202:203]
.LBB99_37:
	s_or_b32 exec_lo, exec_lo, s3
	s_delay_alu instid0(SALU_CYCLE_1)
	s_mov_b32 s4, exec_lo
	s_waitcnt_vscnt null, 0x0
	s_barrier
	buffer_gl0_inv
	v_cmpx_eq_u32_e32 4, v234
	s_cbranch_execz .LBB99_44
; %bb.38:
	ds_store_2addr_b64 v235, v[180:181], v[182:183] offset1:1
	ds_store_2addr_b64 v236, v[176:177], v[178:179] offset0:10 offset1:11
	ds_store_2addr_b64 v236, v[172:173], v[174:175] offset0:12 offset1:13
	;; [unrolled: 1-line block ×45, first 2 shown]
	ds_load_2addr_b64 v[200:203], v235 offset1:1
	s_waitcnt lgkmcnt(0)
	v_cmp_neq_f64_e32 vcc_lo, 0, v[200:201]
	v_cmp_neq_f64_e64 s3, 0, v[202:203]
	s_delay_alu instid0(VALU_DEP_1) | instskip(NEXT) | instid1(SALU_CYCLE_1)
	s_or_b32 s3, vcc_lo, s3
	s_and_b32 exec_lo, exec_lo, s3
	s_cbranch_execz .LBB99_44
; %bb.39:
	v_cmp_gt_f64_e32 vcc_lo, 0, v[200:201]
	v_xor_b32_e32 v204, 0x80000000, v201
	v_xor_b32_e32 v206, 0x80000000, v203
	s_mov_b32 s3, exec_lo
                                        ; implicit-def: $vgpr208_vgpr209
	s_delay_alu instid0(VALU_DEP_2) | instskip(SKIP_4) | instid1(VALU_DEP_1)
	v_cndmask_b32_e32 v205, v201, v204, vcc_lo
	v_cndmask_b32_e32 v204, v200, v200, vcc_lo
	v_cmp_gt_f64_e32 vcc_lo, 0, v[202:203]
	v_cndmask_b32_e32 v207, v203, v206, vcc_lo
	v_cndmask_b32_e32 v206, v202, v202, vcc_lo
	v_cmpx_ngt_f64_e32 v[204:205], v[206:207]
	s_xor_b32 s3, exec_lo, s3
                                        ; implicit-def: $vgpr204_vgpr205_vgpr206_vgpr207
	s_cbranch_execz .LBB99_41
; %bb.40:
	v_div_scale_f64 v[204:205], null, v[202:203], v[202:203], v[200:201]
	v_div_scale_f64 v[210:211], vcc_lo, v[200:201], v[202:203], v[200:201]
	s_delay_alu instid0(VALU_DEP_2) | instskip(SKIP_2) | instid1(VALU_DEP_1)
	v_rcp_f64_e32 v[206:207], v[204:205]
	s_waitcnt_depctr 0xfff
	v_fma_f64 v[208:209], -v[204:205], v[206:207], 1.0
	v_fma_f64 v[206:207], v[206:207], v[208:209], v[206:207]
	s_delay_alu instid0(VALU_DEP_1) | instskip(NEXT) | instid1(VALU_DEP_1)
	v_fma_f64 v[208:209], -v[204:205], v[206:207], 1.0
	v_fma_f64 v[206:207], v[206:207], v[208:209], v[206:207]
	s_delay_alu instid0(VALU_DEP_1) | instskip(NEXT) | instid1(VALU_DEP_1)
	v_mul_f64 v[208:209], v[210:211], v[206:207]
	v_fma_f64 v[204:205], -v[204:205], v[208:209], v[210:211]
	s_delay_alu instid0(VALU_DEP_1) | instskip(NEXT) | instid1(VALU_DEP_1)
	v_div_fmas_f64 v[204:205], v[204:205], v[206:207], v[208:209]
	v_div_fixup_f64 v[204:205], v[204:205], v[202:203], v[200:201]
	s_delay_alu instid0(VALU_DEP_1) | instskip(NEXT) | instid1(VALU_DEP_1)
	v_fma_f64 v[200:201], v[200:201], v[204:205], v[202:203]
	v_div_scale_f64 v[202:203], null, v[200:201], v[200:201], 1.0
	s_delay_alu instid0(VALU_DEP_1) | instskip(SKIP_2) | instid1(VALU_DEP_1)
	v_rcp_f64_e32 v[206:207], v[202:203]
	s_waitcnt_depctr 0xfff
	v_fma_f64 v[208:209], -v[202:203], v[206:207], 1.0
	v_fma_f64 v[206:207], v[206:207], v[208:209], v[206:207]
	s_delay_alu instid0(VALU_DEP_1) | instskip(NEXT) | instid1(VALU_DEP_1)
	v_fma_f64 v[208:209], -v[202:203], v[206:207], 1.0
	v_fma_f64 v[206:207], v[206:207], v[208:209], v[206:207]
	v_div_scale_f64 v[208:209], vcc_lo, 1.0, v[200:201], 1.0
	s_delay_alu instid0(VALU_DEP_1) | instskip(NEXT) | instid1(VALU_DEP_1)
	v_mul_f64 v[210:211], v[208:209], v[206:207]
	v_fma_f64 v[202:203], -v[202:203], v[210:211], v[208:209]
	s_delay_alu instid0(VALU_DEP_1) | instskip(NEXT) | instid1(VALU_DEP_1)
	v_div_fmas_f64 v[202:203], v[202:203], v[206:207], v[210:211]
	v_div_fixup_f64 v[206:207], v[202:203], v[200:201], 1.0
                                        ; implicit-def: $vgpr200_vgpr201
	s_delay_alu instid0(VALU_DEP_1)
	v_mul_f64 v[208:209], v[204:205], v[206:207]
	v_xor_b32_e32 v207, 0x80000000, v207
.LBB99_41:
	s_and_not1_saveexec_b32 s3, s3
	s_cbranch_execz .LBB99_43
; %bb.42:
	v_div_scale_f64 v[204:205], null, v[200:201], v[200:201], v[202:203]
	v_div_scale_f64 v[210:211], vcc_lo, v[202:203], v[200:201], v[202:203]
	s_delay_alu instid0(VALU_DEP_2) | instskip(SKIP_2) | instid1(VALU_DEP_1)
	v_rcp_f64_e32 v[206:207], v[204:205]
	s_waitcnt_depctr 0xfff
	v_fma_f64 v[208:209], -v[204:205], v[206:207], 1.0
	v_fma_f64 v[206:207], v[206:207], v[208:209], v[206:207]
	s_delay_alu instid0(VALU_DEP_1) | instskip(NEXT) | instid1(VALU_DEP_1)
	v_fma_f64 v[208:209], -v[204:205], v[206:207], 1.0
	v_fma_f64 v[206:207], v[206:207], v[208:209], v[206:207]
	s_delay_alu instid0(VALU_DEP_1) | instskip(NEXT) | instid1(VALU_DEP_1)
	v_mul_f64 v[208:209], v[210:211], v[206:207]
	v_fma_f64 v[204:205], -v[204:205], v[208:209], v[210:211]
	s_delay_alu instid0(VALU_DEP_1) | instskip(NEXT) | instid1(VALU_DEP_1)
	v_div_fmas_f64 v[204:205], v[204:205], v[206:207], v[208:209]
	v_div_fixup_f64 v[204:205], v[204:205], v[200:201], v[202:203]
	s_delay_alu instid0(VALU_DEP_1) | instskip(NEXT) | instid1(VALU_DEP_1)
	v_fma_f64 v[200:201], v[202:203], v[204:205], v[200:201]
	v_div_scale_f64 v[202:203], null, v[200:201], v[200:201], 1.0
	s_delay_alu instid0(VALU_DEP_1) | instskip(SKIP_2) | instid1(VALU_DEP_1)
	v_rcp_f64_e32 v[206:207], v[202:203]
	s_waitcnt_depctr 0xfff
	v_fma_f64 v[208:209], -v[202:203], v[206:207], 1.0
	v_fma_f64 v[206:207], v[206:207], v[208:209], v[206:207]
	s_delay_alu instid0(VALU_DEP_1) | instskip(NEXT) | instid1(VALU_DEP_1)
	v_fma_f64 v[208:209], -v[202:203], v[206:207], 1.0
	v_fma_f64 v[206:207], v[206:207], v[208:209], v[206:207]
	v_div_scale_f64 v[208:209], vcc_lo, 1.0, v[200:201], 1.0
	s_delay_alu instid0(VALU_DEP_1) | instskip(NEXT) | instid1(VALU_DEP_1)
	v_mul_f64 v[210:211], v[208:209], v[206:207]
	v_fma_f64 v[202:203], -v[202:203], v[210:211], v[208:209]
	s_delay_alu instid0(VALU_DEP_1) | instskip(NEXT) | instid1(VALU_DEP_1)
	v_div_fmas_f64 v[202:203], v[202:203], v[206:207], v[210:211]
	v_div_fixup_f64 v[208:209], v[202:203], v[200:201], 1.0
	s_delay_alu instid0(VALU_DEP_1)
	v_mul_f64 v[206:207], v[204:205], -v[208:209]
.LBB99_43:
	s_or_b32 exec_lo, exec_lo, s3
	ds_store_2addr_b64 v235, v[208:209], v[206:207] offset1:1
.LBB99_44:
	s_or_b32 exec_lo, exec_lo, s4
	s_waitcnt lgkmcnt(0)
	s_barrier
	buffer_gl0_inv
	ds_load_2addr_b64 v[200:203], v235 offset1:1
	s_mov_b32 s3, exec_lo
	s_waitcnt lgkmcnt(0)
	scratch_store_b128 off, v[200:203], off offset:448 ; 16-byte Folded Spill
	v_cmpx_lt_u32_e32 4, v234
	s_cbranch_execz .LBB99_46
; %bb.45:
	scratch_load_b128 v[202:205], off, off offset:448 ; 16-byte Folded Reload
	s_waitcnt vmcnt(0)
	v_mul_f64 v[200:201], v[204:205], v[182:183]
	v_mul_f64 v[182:183], v[202:203], v[182:183]
	s_delay_alu instid0(VALU_DEP_2) | instskip(NEXT) | instid1(VALU_DEP_2)
	v_fma_f64 v[200:201], v[202:203], v[180:181], -v[200:201]
	v_fma_f64 v[182:183], v[204:205], v[180:181], v[182:183]
	ds_load_2addr_b64 v[202:205], v236 offset0:10 offset1:11
	s_waitcnt lgkmcnt(0)
	v_mul_f64 v[180:181], v[204:205], v[182:183]
	s_delay_alu instid0(VALU_DEP_1) | instskip(SKIP_1) | instid1(VALU_DEP_2)
	v_fma_f64 v[180:181], v[202:203], v[200:201], -v[180:181]
	v_mul_f64 v[202:203], v[202:203], v[182:183]
	v_add_f64 v[176:177], v[176:177], -v[180:181]
	s_delay_alu instid0(VALU_DEP_2) | instskip(NEXT) | instid1(VALU_DEP_1)
	v_fma_f64 v[202:203], v[204:205], v[200:201], v[202:203]
	v_add_f64 v[178:179], v[178:179], -v[202:203]
	ds_load_2addr_b64 v[202:205], v236 offset0:12 offset1:13
	s_waitcnt lgkmcnt(0)
	v_mul_f64 v[180:181], v[204:205], v[182:183]
	s_delay_alu instid0(VALU_DEP_1) | instskip(SKIP_1) | instid1(VALU_DEP_2)
	v_fma_f64 v[180:181], v[202:203], v[200:201], -v[180:181]
	v_mul_f64 v[202:203], v[202:203], v[182:183]
	v_add_f64 v[172:173], v[172:173], -v[180:181]
	s_delay_alu instid0(VALU_DEP_2) | instskip(NEXT) | instid1(VALU_DEP_1)
	v_fma_f64 v[202:203], v[204:205], v[200:201], v[202:203]
	v_add_f64 v[174:175], v[174:175], -v[202:203]
	;; [unrolled: 10-line block ×44, first 2 shown]
	ds_load_2addr_b64 v[202:205], v236 offset0:98 offset1:99
	s_waitcnt lgkmcnt(0)
	v_mul_f64 v[180:181], v[204:205], v[182:183]
	s_delay_alu instid0(VALU_DEP_1) | instskip(SKIP_1) | instid1(VALU_DEP_2)
	v_fma_f64 v[180:181], v[202:203], v[200:201], -v[180:181]
	v_mul_f64 v[202:203], v[202:203], v[182:183]
	v_add_f64 v[0:1], v[0:1], -v[180:181]
	s_delay_alu instid0(VALU_DEP_2) | instskip(SKIP_1) | instid1(VALU_DEP_2)
	v_fma_f64 v[202:203], v[204:205], v[200:201], v[202:203]
	v_dual_mov_b32 v180, v200 :: v_dual_mov_b32 v181, v201
	v_add_f64 v[2:3], v[2:3], -v[202:203]
.LBB99_46:
	s_or_b32 exec_lo, exec_lo, s3
	s_delay_alu instid0(SALU_CYCLE_1)
	s_mov_b32 s4, exec_lo
	s_waitcnt_vscnt null, 0x0
	s_barrier
	buffer_gl0_inv
	v_cmpx_eq_u32_e32 5, v234
	s_cbranch_execz .LBB99_53
; %bb.47:
	ds_store_2addr_b64 v235, v[176:177], v[178:179] offset1:1
	ds_store_2addr_b64 v236, v[172:173], v[174:175] offset0:12 offset1:13
	ds_store_2addr_b64 v236, v[168:169], v[170:171] offset0:14 offset1:15
	;; [unrolled: 1-line block ×44, first 2 shown]
	ds_load_2addr_b64 v[200:203], v235 offset1:1
	s_waitcnt lgkmcnt(0)
	v_cmp_neq_f64_e32 vcc_lo, 0, v[200:201]
	v_cmp_neq_f64_e64 s3, 0, v[202:203]
	s_delay_alu instid0(VALU_DEP_1) | instskip(NEXT) | instid1(SALU_CYCLE_1)
	s_or_b32 s3, vcc_lo, s3
	s_and_b32 exec_lo, exec_lo, s3
	s_cbranch_execz .LBB99_53
; %bb.48:
	v_cmp_gt_f64_e32 vcc_lo, 0, v[200:201]
	v_xor_b32_e32 v204, 0x80000000, v201
	v_xor_b32_e32 v206, 0x80000000, v203
	s_mov_b32 s3, exec_lo
                                        ; implicit-def: $vgpr208_vgpr209
	s_delay_alu instid0(VALU_DEP_2) | instskip(SKIP_4) | instid1(VALU_DEP_1)
	v_cndmask_b32_e32 v205, v201, v204, vcc_lo
	v_cndmask_b32_e32 v204, v200, v200, vcc_lo
	v_cmp_gt_f64_e32 vcc_lo, 0, v[202:203]
	v_cndmask_b32_e32 v207, v203, v206, vcc_lo
	v_cndmask_b32_e32 v206, v202, v202, vcc_lo
	v_cmpx_ngt_f64_e32 v[204:205], v[206:207]
	s_xor_b32 s3, exec_lo, s3
                                        ; implicit-def: $vgpr204_vgpr205_vgpr206_vgpr207
	s_cbranch_execz .LBB99_50
; %bb.49:
	v_div_scale_f64 v[204:205], null, v[202:203], v[202:203], v[200:201]
	v_div_scale_f64 v[210:211], vcc_lo, v[200:201], v[202:203], v[200:201]
	s_delay_alu instid0(VALU_DEP_2) | instskip(SKIP_2) | instid1(VALU_DEP_1)
	v_rcp_f64_e32 v[206:207], v[204:205]
	s_waitcnt_depctr 0xfff
	v_fma_f64 v[208:209], -v[204:205], v[206:207], 1.0
	v_fma_f64 v[206:207], v[206:207], v[208:209], v[206:207]
	s_delay_alu instid0(VALU_DEP_1) | instskip(NEXT) | instid1(VALU_DEP_1)
	v_fma_f64 v[208:209], -v[204:205], v[206:207], 1.0
	v_fma_f64 v[206:207], v[206:207], v[208:209], v[206:207]
	s_delay_alu instid0(VALU_DEP_1) | instskip(NEXT) | instid1(VALU_DEP_1)
	v_mul_f64 v[208:209], v[210:211], v[206:207]
	v_fma_f64 v[204:205], -v[204:205], v[208:209], v[210:211]
	s_delay_alu instid0(VALU_DEP_1) | instskip(NEXT) | instid1(VALU_DEP_1)
	v_div_fmas_f64 v[204:205], v[204:205], v[206:207], v[208:209]
	v_div_fixup_f64 v[204:205], v[204:205], v[202:203], v[200:201]
	s_delay_alu instid0(VALU_DEP_1) | instskip(NEXT) | instid1(VALU_DEP_1)
	v_fma_f64 v[200:201], v[200:201], v[204:205], v[202:203]
	v_div_scale_f64 v[202:203], null, v[200:201], v[200:201], 1.0
	s_delay_alu instid0(VALU_DEP_1) | instskip(SKIP_2) | instid1(VALU_DEP_1)
	v_rcp_f64_e32 v[206:207], v[202:203]
	s_waitcnt_depctr 0xfff
	v_fma_f64 v[208:209], -v[202:203], v[206:207], 1.0
	v_fma_f64 v[206:207], v[206:207], v[208:209], v[206:207]
	s_delay_alu instid0(VALU_DEP_1) | instskip(NEXT) | instid1(VALU_DEP_1)
	v_fma_f64 v[208:209], -v[202:203], v[206:207], 1.0
	v_fma_f64 v[206:207], v[206:207], v[208:209], v[206:207]
	v_div_scale_f64 v[208:209], vcc_lo, 1.0, v[200:201], 1.0
	s_delay_alu instid0(VALU_DEP_1) | instskip(NEXT) | instid1(VALU_DEP_1)
	v_mul_f64 v[210:211], v[208:209], v[206:207]
	v_fma_f64 v[202:203], -v[202:203], v[210:211], v[208:209]
	s_delay_alu instid0(VALU_DEP_1) | instskip(NEXT) | instid1(VALU_DEP_1)
	v_div_fmas_f64 v[202:203], v[202:203], v[206:207], v[210:211]
	v_div_fixup_f64 v[206:207], v[202:203], v[200:201], 1.0
                                        ; implicit-def: $vgpr200_vgpr201
	s_delay_alu instid0(VALU_DEP_1)
	v_mul_f64 v[208:209], v[204:205], v[206:207]
	v_xor_b32_e32 v207, 0x80000000, v207
.LBB99_50:
	s_and_not1_saveexec_b32 s3, s3
	s_cbranch_execz .LBB99_52
; %bb.51:
	v_div_scale_f64 v[204:205], null, v[200:201], v[200:201], v[202:203]
	v_div_scale_f64 v[210:211], vcc_lo, v[202:203], v[200:201], v[202:203]
	s_delay_alu instid0(VALU_DEP_2) | instskip(SKIP_2) | instid1(VALU_DEP_1)
	v_rcp_f64_e32 v[206:207], v[204:205]
	s_waitcnt_depctr 0xfff
	v_fma_f64 v[208:209], -v[204:205], v[206:207], 1.0
	v_fma_f64 v[206:207], v[206:207], v[208:209], v[206:207]
	s_delay_alu instid0(VALU_DEP_1) | instskip(NEXT) | instid1(VALU_DEP_1)
	v_fma_f64 v[208:209], -v[204:205], v[206:207], 1.0
	v_fma_f64 v[206:207], v[206:207], v[208:209], v[206:207]
	s_delay_alu instid0(VALU_DEP_1) | instskip(NEXT) | instid1(VALU_DEP_1)
	v_mul_f64 v[208:209], v[210:211], v[206:207]
	v_fma_f64 v[204:205], -v[204:205], v[208:209], v[210:211]
	s_delay_alu instid0(VALU_DEP_1) | instskip(NEXT) | instid1(VALU_DEP_1)
	v_div_fmas_f64 v[204:205], v[204:205], v[206:207], v[208:209]
	v_div_fixup_f64 v[204:205], v[204:205], v[200:201], v[202:203]
	s_delay_alu instid0(VALU_DEP_1) | instskip(NEXT) | instid1(VALU_DEP_1)
	v_fma_f64 v[200:201], v[202:203], v[204:205], v[200:201]
	v_div_scale_f64 v[202:203], null, v[200:201], v[200:201], 1.0
	s_delay_alu instid0(VALU_DEP_1) | instskip(SKIP_2) | instid1(VALU_DEP_1)
	v_rcp_f64_e32 v[206:207], v[202:203]
	s_waitcnt_depctr 0xfff
	v_fma_f64 v[208:209], -v[202:203], v[206:207], 1.0
	v_fma_f64 v[206:207], v[206:207], v[208:209], v[206:207]
	s_delay_alu instid0(VALU_DEP_1) | instskip(NEXT) | instid1(VALU_DEP_1)
	v_fma_f64 v[208:209], -v[202:203], v[206:207], 1.0
	v_fma_f64 v[206:207], v[206:207], v[208:209], v[206:207]
	v_div_scale_f64 v[208:209], vcc_lo, 1.0, v[200:201], 1.0
	s_delay_alu instid0(VALU_DEP_1) | instskip(NEXT) | instid1(VALU_DEP_1)
	v_mul_f64 v[210:211], v[208:209], v[206:207]
	v_fma_f64 v[202:203], -v[202:203], v[210:211], v[208:209]
	s_delay_alu instid0(VALU_DEP_1) | instskip(NEXT) | instid1(VALU_DEP_1)
	v_div_fmas_f64 v[202:203], v[202:203], v[206:207], v[210:211]
	v_div_fixup_f64 v[208:209], v[202:203], v[200:201], 1.0
	s_delay_alu instid0(VALU_DEP_1)
	v_mul_f64 v[206:207], v[204:205], -v[208:209]
.LBB99_52:
	s_or_b32 exec_lo, exec_lo, s3
	ds_store_2addr_b64 v235, v[208:209], v[206:207] offset1:1
.LBB99_53:
	s_or_b32 exec_lo, exec_lo, s4
	s_waitcnt lgkmcnt(0)
	s_barrier
	buffer_gl0_inv
	ds_load_2addr_b64 v[200:203], v235 offset1:1
	s_mov_b32 s3, exec_lo
	s_waitcnt lgkmcnt(0)
	scratch_store_b128 off, v[200:203], off offset:464 ; 16-byte Folded Spill
	v_cmpx_lt_u32_e32 5, v234
	s_cbranch_execz .LBB99_55
; %bb.54:
	scratch_load_b128 v[202:205], off, off offset:464 ; 16-byte Folded Reload
	s_waitcnt vmcnt(0)
	v_mul_f64 v[200:201], v[204:205], v[178:179]
	v_mul_f64 v[178:179], v[202:203], v[178:179]
	s_delay_alu instid0(VALU_DEP_2) | instskip(NEXT) | instid1(VALU_DEP_2)
	v_fma_f64 v[200:201], v[202:203], v[176:177], -v[200:201]
	v_fma_f64 v[178:179], v[204:205], v[176:177], v[178:179]
	ds_load_2addr_b64 v[202:205], v236 offset0:12 offset1:13
	s_waitcnt lgkmcnt(0)
	v_mul_f64 v[176:177], v[204:205], v[178:179]
	s_delay_alu instid0(VALU_DEP_1) | instskip(SKIP_1) | instid1(VALU_DEP_2)
	v_fma_f64 v[176:177], v[202:203], v[200:201], -v[176:177]
	v_mul_f64 v[202:203], v[202:203], v[178:179]
	v_add_f64 v[172:173], v[172:173], -v[176:177]
	s_delay_alu instid0(VALU_DEP_2) | instskip(NEXT) | instid1(VALU_DEP_1)
	v_fma_f64 v[202:203], v[204:205], v[200:201], v[202:203]
	v_add_f64 v[174:175], v[174:175], -v[202:203]
	ds_load_2addr_b64 v[202:205], v236 offset0:14 offset1:15
	s_waitcnt lgkmcnt(0)
	v_mul_f64 v[176:177], v[204:205], v[178:179]
	s_delay_alu instid0(VALU_DEP_1) | instskip(SKIP_1) | instid1(VALU_DEP_2)
	v_fma_f64 v[176:177], v[202:203], v[200:201], -v[176:177]
	v_mul_f64 v[202:203], v[202:203], v[178:179]
	v_add_f64 v[168:169], v[168:169], -v[176:177]
	s_delay_alu instid0(VALU_DEP_2) | instskip(NEXT) | instid1(VALU_DEP_1)
	v_fma_f64 v[202:203], v[204:205], v[200:201], v[202:203]
	v_add_f64 v[170:171], v[170:171], -v[202:203]
	;; [unrolled: 10-line block ×43, first 2 shown]
	ds_load_2addr_b64 v[202:205], v236 offset0:98 offset1:99
	s_waitcnt lgkmcnt(0)
	v_mul_f64 v[176:177], v[204:205], v[178:179]
	s_delay_alu instid0(VALU_DEP_1) | instskip(SKIP_1) | instid1(VALU_DEP_2)
	v_fma_f64 v[176:177], v[202:203], v[200:201], -v[176:177]
	v_mul_f64 v[202:203], v[202:203], v[178:179]
	v_add_f64 v[0:1], v[0:1], -v[176:177]
	s_delay_alu instid0(VALU_DEP_2) | instskip(SKIP_1) | instid1(VALU_DEP_2)
	v_fma_f64 v[202:203], v[204:205], v[200:201], v[202:203]
	v_dual_mov_b32 v176, v200 :: v_dual_mov_b32 v177, v201
	v_add_f64 v[2:3], v[2:3], -v[202:203]
.LBB99_55:
	s_or_b32 exec_lo, exec_lo, s3
	s_delay_alu instid0(SALU_CYCLE_1)
	s_mov_b32 s4, exec_lo
	s_waitcnt_vscnt null, 0x0
	s_barrier
	buffer_gl0_inv
	v_cmpx_eq_u32_e32 6, v234
	s_cbranch_execz .LBB99_62
; %bb.56:
	ds_store_2addr_b64 v235, v[172:173], v[174:175] offset1:1
	ds_store_2addr_b64 v236, v[168:169], v[170:171] offset0:14 offset1:15
	ds_store_2addr_b64 v236, v[164:165], v[166:167] offset0:16 offset1:17
	;; [unrolled: 1-line block ×43, first 2 shown]
	ds_load_2addr_b64 v[200:203], v235 offset1:1
	s_waitcnt lgkmcnt(0)
	v_cmp_neq_f64_e32 vcc_lo, 0, v[200:201]
	v_cmp_neq_f64_e64 s3, 0, v[202:203]
	s_delay_alu instid0(VALU_DEP_1) | instskip(NEXT) | instid1(SALU_CYCLE_1)
	s_or_b32 s3, vcc_lo, s3
	s_and_b32 exec_lo, exec_lo, s3
	s_cbranch_execz .LBB99_62
; %bb.57:
	v_cmp_gt_f64_e32 vcc_lo, 0, v[200:201]
	v_xor_b32_e32 v204, 0x80000000, v201
	v_xor_b32_e32 v206, 0x80000000, v203
	s_mov_b32 s3, exec_lo
                                        ; implicit-def: $vgpr208_vgpr209
	s_delay_alu instid0(VALU_DEP_2) | instskip(SKIP_4) | instid1(VALU_DEP_1)
	v_cndmask_b32_e32 v205, v201, v204, vcc_lo
	v_cndmask_b32_e32 v204, v200, v200, vcc_lo
	v_cmp_gt_f64_e32 vcc_lo, 0, v[202:203]
	v_cndmask_b32_e32 v207, v203, v206, vcc_lo
	v_cndmask_b32_e32 v206, v202, v202, vcc_lo
	v_cmpx_ngt_f64_e32 v[204:205], v[206:207]
	s_xor_b32 s3, exec_lo, s3
                                        ; implicit-def: $vgpr204_vgpr205_vgpr206_vgpr207
	s_cbranch_execz .LBB99_59
; %bb.58:
	v_div_scale_f64 v[204:205], null, v[202:203], v[202:203], v[200:201]
	v_div_scale_f64 v[210:211], vcc_lo, v[200:201], v[202:203], v[200:201]
	s_delay_alu instid0(VALU_DEP_2) | instskip(SKIP_2) | instid1(VALU_DEP_1)
	v_rcp_f64_e32 v[206:207], v[204:205]
	s_waitcnt_depctr 0xfff
	v_fma_f64 v[208:209], -v[204:205], v[206:207], 1.0
	v_fma_f64 v[206:207], v[206:207], v[208:209], v[206:207]
	s_delay_alu instid0(VALU_DEP_1) | instskip(NEXT) | instid1(VALU_DEP_1)
	v_fma_f64 v[208:209], -v[204:205], v[206:207], 1.0
	v_fma_f64 v[206:207], v[206:207], v[208:209], v[206:207]
	s_delay_alu instid0(VALU_DEP_1) | instskip(NEXT) | instid1(VALU_DEP_1)
	v_mul_f64 v[208:209], v[210:211], v[206:207]
	v_fma_f64 v[204:205], -v[204:205], v[208:209], v[210:211]
	s_delay_alu instid0(VALU_DEP_1) | instskip(NEXT) | instid1(VALU_DEP_1)
	v_div_fmas_f64 v[204:205], v[204:205], v[206:207], v[208:209]
	v_div_fixup_f64 v[204:205], v[204:205], v[202:203], v[200:201]
	s_delay_alu instid0(VALU_DEP_1) | instskip(NEXT) | instid1(VALU_DEP_1)
	v_fma_f64 v[200:201], v[200:201], v[204:205], v[202:203]
	v_div_scale_f64 v[202:203], null, v[200:201], v[200:201], 1.0
	s_delay_alu instid0(VALU_DEP_1) | instskip(SKIP_2) | instid1(VALU_DEP_1)
	v_rcp_f64_e32 v[206:207], v[202:203]
	s_waitcnt_depctr 0xfff
	v_fma_f64 v[208:209], -v[202:203], v[206:207], 1.0
	v_fma_f64 v[206:207], v[206:207], v[208:209], v[206:207]
	s_delay_alu instid0(VALU_DEP_1) | instskip(NEXT) | instid1(VALU_DEP_1)
	v_fma_f64 v[208:209], -v[202:203], v[206:207], 1.0
	v_fma_f64 v[206:207], v[206:207], v[208:209], v[206:207]
	v_div_scale_f64 v[208:209], vcc_lo, 1.0, v[200:201], 1.0
	s_delay_alu instid0(VALU_DEP_1) | instskip(NEXT) | instid1(VALU_DEP_1)
	v_mul_f64 v[210:211], v[208:209], v[206:207]
	v_fma_f64 v[202:203], -v[202:203], v[210:211], v[208:209]
	s_delay_alu instid0(VALU_DEP_1) | instskip(NEXT) | instid1(VALU_DEP_1)
	v_div_fmas_f64 v[202:203], v[202:203], v[206:207], v[210:211]
	v_div_fixup_f64 v[206:207], v[202:203], v[200:201], 1.0
                                        ; implicit-def: $vgpr200_vgpr201
	s_delay_alu instid0(VALU_DEP_1)
	v_mul_f64 v[208:209], v[204:205], v[206:207]
	v_xor_b32_e32 v207, 0x80000000, v207
.LBB99_59:
	s_and_not1_saveexec_b32 s3, s3
	s_cbranch_execz .LBB99_61
; %bb.60:
	v_div_scale_f64 v[204:205], null, v[200:201], v[200:201], v[202:203]
	v_div_scale_f64 v[210:211], vcc_lo, v[202:203], v[200:201], v[202:203]
	s_delay_alu instid0(VALU_DEP_2) | instskip(SKIP_2) | instid1(VALU_DEP_1)
	v_rcp_f64_e32 v[206:207], v[204:205]
	s_waitcnt_depctr 0xfff
	v_fma_f64 v[208:209], -v[204:205], v[206:207], 1.0
	v_fma_f64 v[206:207], v[206:207], v[208:209], v[206:207]
	s_delay_alu instid0(VALU_DEP_1) | instskip(NEXT) | instid1(VALU_DEP_1)
	v_fma_f64 v[208:209], -v[204:205], v[206:207], 1.0
	v_fma_f64 v[206:207], v[206:207], v[208:209], v[206:207]
	s_delay_alu instid0(VALU_DEP_1) | instskip(NEXT) | instid1(VALU_DEP_1)
	v_mul_f64 v[208:209], v[210:211], v[206:207]
	v_fma_f64 v[204:205], -v[204:205], v[208:209], v[210:211]
	s_delay_alu instid0(VALU_DEP_1) | instskip(NEXT) | instid1(VALU_DEP_1)
	v_div_fmas_f64 v[204:205], v[204:205], v[206:207], v[208:209]
	v_div_fixup_f64 v[204:205], v[204:205], v[200:201], v[202:203]
	s_delay_alu instid0(VALU_DEP_1) | instskip(NEXT) | instid1(VALU_DEP_1)
	v_fma_f64 v[200:201], v[202:203], v[204:205], v[200:201]
	v_div_scale_f64 v[202:203], null, v[200:201], v[200:201], 1.0
	s_delay_alu instid0(VALU_DEP_1) | instskip(SKIP_2) | instid1(VALU_DEP_1)
	v_rcp_f64_e32 v[206:207], v[202:203]
	s_waitcnt_depctr 0xfff
	v_fma_f64 v[208:209], -v[202:203], v[206:207], 1.0
	v_fma_f64 v[206:207], v[206:207], v[208:209], v[206:207]
	s_delay_alu instid0(VALU_DEP_1) | instskip(NEXT) | instid1(VALU_DEP_1)
	v_fma_f64 v[208:209], -v[202:203], v[206:207], 1.0
	v_fma_f64 v[206:207], v[206:207], v[208:209], v[206:207]
	v_div_scale_f64 v[208:209], vcc_lo, 1.0, v[200:201], 1.0
	s_delay_alu instid0(VALU_DEP_1) | instskip(NEXT) | instid1(VALU_DEP_1)
	v_mul_f64 v[210:211], v[208:209], v[206:207]
	v_fma_f64 v[202:203], -v[202:203], v[210:211], v[208:209]
	s_delay_alu instid0(VALU_DEP_1) | instskip(NEXT) | instid1(VALU_DEP_1)
	v_div_fmas_f64 v[202:203], v[202:203], v[206:207], v[210:211]
	v_div_fixup_f64 v[208:209], v[202:203], v[200:201], 1.0
	s_delay_alu instid0(VALU_DEP_1)
	v_mul_f64 v[206:207], v[204:205], -v[208:209]
.LBB99_61:
	s_or_b32 exec_lo, exec_lo, s3
	ds_store_2addr_b64 v235, v[208:209], v[206:207] offset1:1
.LBB99_62:
	s_or_b32 exec_lo, exec_lo, s4
	s_waitcnt lgkmcnt(0)
	s_barrier
	buffer_gl0_inv
	ds_load_2addr_b64 v[200:203], v235 offset1:1
	s_mov_b32 s3, exec_lo
	s_waitcnt lgkmcnt(0)
	scratch_store_b128 off, v[200:203], off offset:480 ; 16-byte Folded Spill
	v_cmpx_lt_u32_e32 6, v234
	s_cbranch_execz .LBB99_64
; %bb.63:
	scratch_load_b128 v[202:205], off, off offset:480 ; 16-byte Folded Reload
	s_waitcnt vmcnt(0)
	v_mul_f64 v[200:201], v[204:205], v[174:175]
	v_mul_f64 v[174:175], v[202:203], v[174:175]
	s_delay_alu instid0(VALU_DEP_2) | instskip(NEXT) | instid1(VALU_DEP_2)
	v_fma_f64 v[200:201], v[202:203], v[172:173], -v[200:201]
	v_fma_f64 v[174:175], v[204:205], v[172:173], v[174:175]
	ds_load_2addr_b64 v[202:205], v236 offset0:14 offset1:15
	s_waitcnt lgkmcnt(0)
	v_mul_f64 v[172:173], v[204:205], v[174:175]
	s_delay_alu instid0(VALU_DEP_1) | instskip(SKIP_1) | instid1(VALU_DEP_2)
	v_fma_f64 v[172:173], v[202:203], v[200:201], -v[172:173]
	v_mul_f64 v[202:203], v[202:203], v[174:175]
	v_add_f64 v[168:169], v[168:169], -v[172:173]
	s_delay_alu instid0(VALU_DEP_2) | instskip(NEXT) | instid1(VALU_DEP_1)
	v_fma_f64 v[202:203], v[204:205], v[200:201], v[202:203]
	v_add_f64 v[170:171], v[170:171], -v[202:203]
	ds_load_2addr_b64 v[202:205], v236 offset0:16 offset1:17
	s_waitcnt lgkmcnt(0)
	v_mul_f64 v[172:173], v[204:205], v[174:175]
	s_delay_alu instid0(VALU_DEP_1) | instskip(SKIP_1) | instid1(VALU_DEP_2)
	v_fma_f64 v[172:173], v[202:203], v[200:201], -v[172:173]
	v_mul_f64 v[202:203], v[202:203], v[174:175]
	v_add_f64 v[164:165], v[164:165], -v[172:173]
	s_delay_alu instid0(VALU_DEP_2) | instskip(NEXT) | instid1(VALU_DEP_1)
	v_fma_f64 v[202:203], v[204:205], v[200:201], v[202:203]
	v_add_f64 v[166:167], v[166:167], -v[202:203]
	;; [unrolled: 10-line block ×42, first 2 shown]
	ds_load_2addr_b64 v[202:205], v236 offset0:98 offset1:99
	s_waitcnt lgkmcnt(0)
	v_mul_f64 v[172:173], v[204:205], v[174:175]
	s_delay_alu instid0(VALU_DEP_1) | instskip(SKIP_1) | instid1(VALU_DEP_2)
	v_fma_f64 v[172:173], v[202:203], v[200:201], -v[172:173]
	v_mul_f64 v[202:203], v[202:203], v[174:175]
	v_add_f64 v[0:1], v[0:1], -v[172:173]
	s_delay_alu instid0(VALU_DEP_2) | instskip(SKIP_1) | instid1(VALU_DEP_2)
	v_fma_f64 v[202:203], v[204:205], v[200:201], v[202:203]
	v_dual_mov_b32 v172, v200 :: v_dual_mov_b32 v173, v201
	v_add_f64 v[2:3], v[2:3], -v[202:203]
.LBB99_64:
	s_or_b32 exec_lo, exec_lo, s3
	s_delay_alu instid0(SALU_CYCLE_1)
	s_mov_b32 s4, exec_lo
	s_waitcnt_vscnt null, 0x0
	s_barrier
	buffer_gl0_inv
	v_cmpx_eq_u32_e32 7, v234
	s_cbranch_execz .LBB99_71
; %bb.65:
	ds_store_2addr_b64 v235, v[168:169], v[170:171] offset1:1
	ds_store_2addr_b64 v236, v[164:165], v[166:167] offset0:16 offset1:17
	ds_store_2addr_b64 v236, v[160:161], v[162:163] offset0:18 offset1:19
	;; [unrolled: 1-line block ×42, first 2 shown]
	ds_load_2addr_b64 v[200:203], v235 offset1:1
	s_waitcnt lgkmcnt(0)
	v_cmp_neq_f64_e32 vcc_lo, 0, v[200:201]
	v_cmp_neq_f64_e64 s3, 0, v[202:203]
	s_delay_alu instid0(VALU_DEP_1) | instskip(NEXT) | instid1(SALU_CYCLE_1)
	s_or_b32 s3, vcc_lo, s3
	s_and_b32 exec_lo, exec_lo, s3
	s_cbranch_execz .LBB99_71
; %bb.66:
	v_cmp_gt_f64_e32 vcc_lo, 0, v[200:201]
	v_xor_b32_e32 v204, 0x80000000, v201
	v_xor_b32_e32 v206, 0x80000000, v203
	s_mov_b32 s3, exec_lo
                                        ; implicit-def: $vgpr208_vgpr209
	s_delay_alu instid0(VALU_DEP_2) | instskip(SKIP_4) | instid1(VALU_DEP_1)
	v_cndmask_b32_e32 v205, v201, v204, vcc_lo
	v_cndmask_b32_e32 v204, v200, v200, vcc_lo
	v_cmp_gt_f64_e32 vcc_lo, 0, v[202:203]
	v_cndmask_b32_e32 v207, v203, v206, vcc_lo
	v_cndmask_b32_e32 v206, v202, v202, vcc_lo
	v_cmpx_ngt_f64_e32 v[204:205], v[206:207]
	s_xor_b32 s3, exec_lo, s3
                                        ; implicit-def: $vgpr204_vgpr205_vgpr206_vgpr207
	s_cbranch_execz .LBB99_68
; %bb.67:
	v_div_scale_f64 v[204:205], null, v[202:203], v[202:203], v[200:201]
	v_div_scale_f64 v[210:211], vcc_lo, v[200:201], v[202:203], v[200:201]
	s_delay_alu instid0(VALU_DEP_2) | instskip(SKIP_2) | instid1(VALU_DEP_1)
	v_rcp_f64_e32 v[206:207], v[204:205]
	s_waitcnt_depctr 0xfff
	v_fma_f64 v[208:209], -v[204:205], v[206:207], 1.0
	v_fma_f64 v[206:207], v[206:207], v[208:209], v[206:207]
	s_delay_alu instid0(VALU_DEP_1) | instskip(NEXT) | instid1(VALU_DEP_1)
	v_fma_f64 v[208:209], -v[204:205], v[206:207], 1.0
	v_fma_f64 v[206:207], v[206:207], v[208:209], v[206:207]
	s_delay_alu instid0(VALU_DEP_1) | instskip(NEXT) | instid1(VALU_DEP_1)
	v_mul_f64 v[208:209], v[210:211], v[206:207]
	v_fma_f64 v[204:205], -v[204:205], v[208:209], v[210:211]
	s_delay_alu instid0(VALU_DEP_1) | instskip(NEXT) | instid1(VALU_DEP_1)
	v_div_fmas_f64 v[204:205], v[204:205], v[206:207], v[208:209]
	v_div_fixup_f64 v[204:205], v[204:205], v[202:203], v[200:201]
	s_delay_alu instid0(VALU_DEP_1) | instskip(NEXT) | instid1(VALU_DEP_1)
	v_fma_f64 v[200:201], v[200:201], v[204:205], v[202:203]
	v_div_scale_f64 v[202:203], null, v[200:201], v[200:201], 1.0
	s_delay_alu instid0(VALU_DEP_1) | instskip(SKIP_2) | instid1(VALU_DEP_1)
	v_rcp_f64_e32 v[206:207], v[202:203]
	s_waitcnt_depctr 0xfff
	v_fma_f64 v[208:209], -v[202:203], v[206:207], 1.0
	v_fma_f64 v[206:207], v[206:207], v[208:209], v[206:207]
	s_delay_alu instid0(VALU_DEP_1) | instskip(NEXT) | instid1(VALU_DEP_1)
	v_fma_f64 v[208:209], -v[202:203], v[206:207], 1.0
	v_fma_f64 v[206:207], v[206:207], v[208:209], v[206:207]
	v_div_scale_f64 v[208:209], vcc_lo, 1.0, v[200:201], 1.0
	s_delay_alu instid0(VALU_DEP_1) | instskip(NEXT) | instid1(VALU_DEP_1)
	v_mul_f64 v[210:211], v[208:209], v[206:207]
	v_fma_f64 v[202:203], -v[202:203], v[210:211], v[208:209]
	s_delay_alu instid0(VALU_DEP_1) | instskip(NEXT) | instid1(VALU_DEP_1)
	v_div_fmas_f64 v[202:203], v[202:203], v[206:207], v[210:211]
	v_div_fixup_f64 v[206:207], v[202:203], v[200:201], 1.0
                                        ; implicit-def: $vgpr200_vgpr201
	s_delay_alu instid0(VALU_DEP_1)
	v_mul_f64 v[208:209], v[204:205], v[206:207]
	v_xor_b32_e32 v207, 0x80000000, v207
.LBB99_68:
	s_and_not1_saveexec_b32 s3, s3
	s_cbranch_execz .LBB99_70
; %bb.69:
	v_div_scale_f64 v[204:205], null, v[200:201], v[200:201], v[202:203]
	v_div_scale_f64 v[210:211], vcc_lo, v[202:203], v[200:201], v[202:203]
	s_delay_alu instid0(VALU_DEP_2) | instskip(SKIP_2) | instid1(VALU_DEP_1)
	v_rcp_f64_e32 v[206:207], v[204:205]
	s_waitcnt_depctr 0xfff
	v_fma_f64 v[208:209], -v[204:205], v[206:207], 1.0
	v_fma_f64 v[206:207], v[206:207], v[208:209], v[206:207]
	s_delay_alu instid0(VALU_DEP_1) | instskip(NEXT) | instid1(VALU_DEP_1)
	v_fma_f64 v[208:209], -v[204:205], v[206:207], 1.0
	v_fma_f64 v[206:207], v[206:207], v[208:209], v[206:207]
	s_delay_alu instid0(VALU_DEP_1) | instskip(NEXT) | instid1(VALU_DEP_1)
	v_mul_f64 v[208:209], v[210:211], v[206:207]
	v_fma_f64 v[204:205], -v[204:205], v[208:209], v[210:211]
	s_delay_alu instid0(VALU_DEP_1) | instskip(NEXT) | instid1(VALU_DEP_1)
	v_div_fmas_f64 v[204:205], v[204:205], v[206:207], v[208:209]
	v_div_fixup_f64 v[204:205], v[204:205], v[200:201], v[202:203]
	s_delay_alu instid0(VALU_DEP_1) | instskip(NEXT) | instid1(VALU_DEP_1)
	v_fma_f64 v[200:201], v[202:203], v[204:205], v[200:201]
	v_div_scale_f64 v[202:203], null, v[200:201], v[200:201], 1.0
	s_delay_alu instid0(VALU_DEP_1) | instskip(SKIP_2) | instid1(VALU_DEP_1)
	v_rcp_f64_e32 v[206:207], v[202:203]
	s_waitcnt_depctr 0xfff
	v_fma_f64 v[208:209], -v[202:203], v[206:207], 1.0
	v_fma_f64 v[206:207], v[206:207], v[208:209], v[206:207]
	s_delay_alu instid0(VALU_DEP_1) | instskip(NEXT) | instid1(VALU_DEP_1)
	v_fma_f64 v[208:209], -v[202:203], v[206:207], 1.0
	v_fma_f64 v[206:207], v[206:207], v[208:209], v[206:207]
	v_div_scale_f64 v[208:209], vcc_lo, 1.0, v[200:201], 1.0
	s_delay_alu instid0(VALU_DEP_1) | instskip(NEXT) | instid1(VALU_DEP_1)
	v_mul_f64 v[210:211], v[208:209], v[206:207]
	v_fma_f64 v[202:203], -v[202:203], v[210:211], v[208:209]
	s_delay_alu instid0(VALU_DEP_1) | instskip(NEXT) | instid1(VALU_DEP_1)
	v_div_fmas_f64 v[202:203], v[202:203], v[206:207], v[210:211]
	v_div_fixup_f64 v[208:209], v[202:203], v[200:201], 1.0
	s_delay_alu instid0(VALU_DEP_1)
	v_mul_f64 v[206:207], v[204:205], -v[208:209]
.LBB99_70:
	s_or_b32 exec_lo, exec_lo, s3
	ds_store_2addr_b64 v235, v[208:209], v[206:207] offset1:1
.LBB99_71:
	s_or_b32 exec_lo, exec_lo, s4
	s_waitcnt lgkmcnt(0)
	s_barrier
	buffer_gl0_inv
	ds_load_2addr_b64 v[200:203], v235 offset1:1
	s_mov_b32 s3, exec_lo
	s_waitcnt lgkmcnt(0)
	scratch_store_b128 off, v[200:203], off offset:496 ; 16-byte Folded Spill
	v_cmpx_lt_u32_e32 7, v234
	s_cbranch_execz .LBB99_73
; %bb.72:
	scratch_load_b128 v[202:205], off, off offset:496 ; 16-byte Folded Reload
	s_waitcnt vmcnt(0)
	v_mul_f64 v[200:201], v[204:205], v[170:171]
	v_mul_f64 v[170:171], v[202:203], v[170:171]
	s_delay_alu instid0(VALU_DEP_2) | instskip(NEXT) | instid1(VALU_DEP_2)
	v_fma_f64 v[200:201], v[202:203], v[168:169], -v[200:201]
	v_fma_f64 v[170:171], v[204:205], v[168:169], v[170:171]
	ds_load_2addr_b64 v[202:205], v236 offset0:16 offset1:17
	s_waitcnt lgkmcnt(0)
	v_mul_f64 v[168:169], v[204:205], v[170:171]
	s_delay_alu instid0(VALU_DEP_1) | instskip(SKIP_1) | instid1(VALU_DEP_2)
	v_fma_f64 v[168:169], v[202:203], v[200:201], -v[168:169]
	v_mul_f64 v[202:203], v[202:203], v[170:171]
	v_add_f64 v[164:165], v[164:165], -v[168:169]
	s_delay_alu instid0(VALU_DEP_2) | instskip(NEXT) | instid1(VALU_DEP_1)
	v_fma_f64 v[202:203], v[204:205], v[200:201], v[202:203]
	v_add_f64 v[166:167], v[166:167], -v[202:203]
	ds_load_2addr_b64 v[202:205], v236 offset0:18 offset1:19
	s_waitcnt lgkmcnt(0)
	v_mul_f64 v[168:169], v[204:205], v[170:171]
	s_delay_alu instid0(VALU_DEP_1) | instskip(SKIP_1) | instid1(VALU_DEP_2)
	v_fma_f64 v[168:169], v[202:203], v[200:201], -v[168:169]
	v_mul_f64 v[202:203], v[202:203], v[170:171]
	v_add_f64 v[160:161], v[160:161], -v[168:169]
	s_delay_alu instid0(VALU_DEP_2) | instskip(NEXT) | instid1(VALU_DEP_1)
	v_fma_f64 v[202:203], v[204:205], v[200:201], v[202:203]
	v_add_f64 v[162:163], v[162:163], -v[202:203]
	;; [unrolled: 10-line block ×41, first 2 shown]
	ds_load_2addr_b64 v[202:205], v236 offset0:98 offset1:99
	s_waitcnt lgkmcnt(0)
	v_mul_f64 v[168:169], v[204:205], v[170:171]
	s_delay_alu instid0(VALU_DEP_1) | instskip(SKIP_1) | instid1(VALU_DEP_2)
	v_fma_f64 v[168:169], v[202:203], v[200:201], -v[168:169]
	v_mul_f64 v[202:203], v[202:203], v[170:171]
	v_add_f64 v[0:1], v[0:1], -v[168:169]
	s_delay_alu instid0(VALU_DEP_2) | instskip(SKIP_1) | instid1(VALU_DEP_2)
	v_fma_f64 v[202:203], v[204:205], v[200:201], v[202:203]
	v_dual_mov_b32 v168, v200 :: v_dual_mov_b32 v169, v201
	v_add_f64 v[2:3], v[2:3], -v[202:203]
.LBB99_73:
	s_or_b32 exec_lo, exec_lo, s3
	s_delay_alu instid0(SALU_CYCLE_1)
	s_mov_b32 s4, exec_lo
	s_waitcnt_vscnt null, 0x0
	s_barrier
	buffer_gl0_inv
	v_cmpx_eq_u32_e32 8, v234
	s_cbranch_execz .LBB99_80
; %bb.74:
	ds_store_2addr_b64 v235, v[164:165], v[166:167] offset1:1
	ds_store_2addr_b64 v236, v[160:161], v[162:163] offset0:18 offset1:19
	ds_store_2addr_b64 v236, v[156:157], v[158:159] offset0:20 offset1:21
	ds_store_2addr_b64 v236, v[152:153], v[154:155] offset0:22 offset1:23
	ds_store_2addr_b64 v236, v[148:149], v[150:151] offset0:24 offset1:25
	ds_store_2addr_b64 v236, v[144:145], v[146:147] offset0:26 offset1:27
	ds_store_2addr_b64 v236, v[140:141], v[142:143] offset0:28 offset1:29
	ds_store_2addr_b64 v236, v[136:137], v[138:139] offset0:30 offset1:31
	ds_store_2addr_b64 v236, v[132:133], v[134:135] offset0:32 offset1:33
	ds_store_2addr_b64 v236, v[128:129], v[130:131] offset0:34 offset1:35
	ds_store_2addr_b64 v236, v[124:125], v[126:127] offset0:36 offset1:37
	ds_store_2addr_b64 v236, v[120:121], v[122:123] offset0:38 offset1:39
	ds_store_2addr_b64 v236, v[116:117], v[118:119] offset0:40 offset1:41
	ds_store_2addr_b64 v236, v[112:113], v[114:115] offset0:42 offset1:43
	ds_store_2addr_b64 v236, v[108:109], v[110:111] offset0:44 offset1:45
	ds_store_2addr_b64 v236, v[104:105], v[106:107] offset0:46 offset1:47
	ds_store_2addr_b64 v236, v[100:101], v[102:103] offset0:48 offset1:49
	ds_store_2addr_b64 v236, v[96:97], v[98:99] offset0:50 offset1:51
	ds_store_2addr_b64 v236, v[92:93], v[94:95] offset0:52 offset1:53
	ds_store_2addr_b64 v236, v[88:89], v[90:91] offset0:54 offset1:55
	ds_store_2addr_b64 v236, v[84:85], v[86:87] offset0:56 offset1:57
	ds_store_2addr_b64 v236, v[80:81], v[82:83] offset0:58 offset1:59
	ds_store_2addr_b64 v236, v[76:77], v[78:79] offset0:60 offset1:61
	ds_store_2addr_b64 v236, v[72:73], v[74:75] offset0:62 offset1:63
	ds_store_2addr_b64 v236, v[68:69], v[70:71] offset0:64 offset1:65
	ds_store_2addr_b64 v236, v[64:65], v[66:67] offset0:66 offset1:67
	ds_store_2addr_b64 v236, v[60:61], v[62:63] offset0:68 offset1:69
	ds_store_2addr_b64 v236, v[56:57], v[58:59] offset0:70 offset1:71
	ds_store_2addr_b64 v236, v[52:53], v[54:55] offset0:72 offset1:73
	ds_store_2addr_b64 v236, v[48:49], v[50:51] offset0:74 offset1:75
	ds_store_2addr_b64 v236, v[44:45], v[46:47] offset0:76 offset1:77
	ds_store_2addr_b64 v236, v[40:41], v[42:43] offset0:78 offset1:79
	ds_store_2addr_b64 v236, v[36:37], v[38:39] offset0:80 offset1:81
	ds_store_2addr_b64 v236, v[32:33], v[34:35] offset0:82 offset1:83
	ds_store_2addr_b64 v236, v[28:29], v[30:31] offset0:84 offset1:85
	ds_store_2addr_b64 v236, v[24:25], v[26:27] offset0:86 offset1:87
	ds_store_2addr_b64 v236, v[20:21], v[22:23] offset0:88 offset1:89
	ds_store_2addr_b64 v236, v[16:17], v[18:19] offset0:90 offset1:91
	ds_store_2addr_b64 v236, v[12:13], v[14:15] offset0:92 offset1:93
	ds_store_2addr_b64 v236, v[8:9], v[10:11] offset0:94 offset1:95
	ds_store_2addr_b64 v236, v[4:5], v[6:7] offset0:96 offset1:97
	ds_store_2addr_b64 v236, v[0:1], v[2:3] offset0:98 offset1:99
	ds_load_2addr_b64 v[200:203], v235 offset1:1
	s_waitcnt lgkmcnt(0)
	v_cmp_neq_f64_e32 vcc_lo, 0, v[200:201]
	v_cmp_neq_f64_e64 s3, 0, v[202:203]
	s_delay_alu instid0(VALU_DEP_1) | instskip(NEXT) | instid1(SALU_CYCLE_1)
	s_or_b32 s3, vcc_lo, s3
	s_and_b32 exec_lo, exec_lo, s3
	s_cbranch_execz .LBB99_80
; %bb.75:
	v_cmp_gt_f64_e32 vcc_lo, 0, v[200:201]
	v_xor_b32_e32 v204, 0x80000000, v201
	v_xor_b32_e32 v206, 0x80000000, v203
	s_mov_b32 s3, exec_lo
                                        ; implicit-def: $vgpr208_vgpr209
	s_delay_alu instid0(VALU_DEP_2) | instskip(SKIP_4) | instid1(VALU_DEP_1)
	v_cndmask_b32_e32 v205, v201, v204, vcc_lo
	v_cndmask_b32_e32 v204, v200, v200, vcc_lo
	v_cmp_gt_f64_e32 vcc_lo, 0, v[202:203]
	v_cndmask_b32_e32 v207, v203, v206, vcc_lo
	v_cndmask_b32_e32 v206, v202, v202, vcc_lo
	v_cmpx_ngt_f64_e32 v[204:205], v[206:207]
	s_xor_b32 s3, exec_lo, s3
                                        ; implicit-def: $vgpr204_vgpr205_vgpr206_vgpr207
	s_cbranch_execz .LBB99_77
; %bb.76:
	v_div_scale_f64 v[204:205], null, v[202:203], v[202:203], v[200:201]
	v_div_scale_f64 v[210:211], vcc_lo, v[200:201], v[202:203], v[200:201]
	s_delay_alu instid0(VALU_DEP_2) | instskip(SKIP_2) | instid1(VALU_DEP_1)
	v_rcp_f64_e32 v[206:207], v[204:205]
	s_waitcnt_depctr 0xfff
	v_fma_f64 v[208:209], -v[204:205], v[206:207], 1.0
	v_fma_f64 v[206:207], v[206:207], v[208:209], v[206:207]
	s_delay_alu instid0(VALU_DEP_1) | instskip(NEXT) | instid1(VALU_DEP_1)
	v_fma_f64 v[208:209], -v[204:205], v[206:207], 1.0
	v_fma_f64 v[206:207], v[206:207], v[208:209], v[206:207]
	s_delay_alu instid0(VALU_DEP_1) | instskip(NEXT) | instid1(VALU_DEP_1)
	v_mul_f64 v[208:209], v[210:211], v[206:207]
	v_fma_f64 v[204:205], -v[204:205], v[208:209], v[210:211]
	s_delay_alu instid0(VALU_DEP_1) | instskip(NEXT) | instid1(VALU_DEP_1)
	v_div_fmas_f64 v[204:205], v[204:205], v[206:207], v[208:209]
	v_div_fixup_f64 v[204:205], v[204:205], v[202:203], v[200:201]
	s_delay_alu instid0(VALU_DEP_1) | instskip(NEXT) | instid1(VALU_DEP_1)
	v_fma_f64 v[200:201], v[200:201], v[204:205], v[202:203]
	v_div_scale_f64 v[202:203], null, v[200:201], v[200:201], 1.0
	s_delay_alu instid0(VALU_DEP_1) | instskip(SKIP_2) | instid1(VALU_DEP_1)
	v_rcp_f64_e32 v[206:207], v[202:203]
	s_waitcnt_depctr 0xfff
	v_fma_f64 v[208:209], -v[202:203], v[206:207], 1.0
	v_fma_f64 v[206:207], v[206:207], v[208:209], v[206:207]
	s_delay_alu instid0(VALU_DEP_1) | instskip(NEXT) | instid1(VALU_DEP_1)
	v_fma_f64 v[208:209], -v[202:203], v[206:207], 1.0
	v_fma_f64 v[206:207], v[206:207], v[208:209], v[206:207]
	v_div_scale_f64 v[208:209], vcc_lo, 1.0, v[200:201], 1.0
	s_delay_alu instid0(VALU_DEP_1) | instskip(NEXT) | instid1(VALU_DEP_1)
	v_mul_f64 v[210:211], v[208:209], v[206:207]
	v_fma_f64 v[202:203], -v[202:203], v[210:211], v[208:209]
	s_delay_alu instid0(VALU_DEP_1) | instskip(NEXT) | instid1(VALU_DEP_1)
	v_div_fmas_f64 v[202:203], v[202:203], v[206:207], v[210:211]
	v_div_fixup_f64 v[206:207], v[202:203], v[200:201], 1.0
                                        ; implicit-def: $vgpr200_vgpr201
	s_delay_alu instid0(VALU_DEP_1)
	v_mul_f64 v[208:209], v[204:205], v[206:207]
	v_xor_b32_e32 v207, 0x80000000, v207
.LBB99_77:
	s_and_not1_saveexec_b32 s3, s3
	s_cbranch_execz .LBB99_79
; %bb.78:
	v_div_scale_f64 v[204:205], null, v[200:201], v[200:201], v[202:203]
	v_div_scale_f64 v[210:211], vcc_lo, v[202:203], v[200:201], v[202:203]
	s_delay_alu instid0(VALU_DEP_2) | instskip(SKIP_2) | instid1(VALU_DEP_1)
	v_rcp_f64_e32 v[206:207], v[204:205]
	s_waitcnt_depctr 0xfff
	v_fma_f64 v[208:209], -v[204:205], v[206:207], 1.0
	v_fma_f64 v[206:207], v[206:207], v[208:209], v[206:207]
	s_delay_alu instid0(VALU_DEP_1) | instskip(NEXT) | instid1(VALU_DEP_1)
	v_fma_f64 v[208:209], -v[204:205], v[206:207], 1.0
	v_fma_f64 v[206:207], v[206:207], v[208:209], v[206:207]
	s_delay_alu instid0(VALU_DEP_1) | instskip(NEXT) | instid1(VALU_DEP_1)
	v_mul_f64 v[208:209], v[210:211], v[206:207]
	v_fma_f64 v[204:205], -v[204:205], v[208:209], v[210:211]
	s_delay_alu instid0(VALU_DEP_1) | instskip(NEXT) | instid1(VALU_DEP_1)
	v_div_fmas_f64 v[204:205], v[204:205], v[206:207], v[208:209]
	v_div_fixup_f64 v[204:205], v[204:205], v[200:201], v[202:203]
	s_delay_alu instid0(VALU_DEP_1) | instskip(NEXT) | instid1(VALU_DEP_1)
	v_fma_f64 v[200:201], v[202:203], v[204:205], v[200:201]
	v_div_scale_f64 v[202:203], null, v[200:201], v[200:201], 1.0
	s_delay_alu instid0(VALU_DEP_1) | instskip(SKIP_2) | instid1(VALU_DEP_1)
	v_rcp_f64_e32 v[206:207], v[202:203]
	s_waitcnt_depctr 0xfff
	v_fma_f64 v[208:209], -v[202:203], v[206:207], 1.0
	v_fma_f64 v[206:207], v[206:207], v[208:209], v[206:207]
	s_delay_alu instid0(VALU_DEP_1) | instskip(NEXT) | instid1(VALU_DEP_1)
	v_fma_f64 v[208:209], -v[202:203], v[206:207], 1.0
	v_fma_f64 v[206:207], v[206:207], v[208:209], v[206:207]
	v_div_scale_f64 v[208:209], vcc_lo, 1.0, v[200:201], 1.0
	s_delay_alu instid0(VALU_DEP_1) | instskip(NEXT) | instid1(VALU_DEP_1)
	v_mul_f64 v[210:211], v[208:209], v[206:207]
	v_fma_f64 v[202:203], -v[202:203], v[210:211], v[208:209]
	s_delay_alu instid0(VALU_DEP_1) | instskip(NEXT) | instid1(VALU_DEP_1)
	v_div_fmas_f64 v[202:203], v[202:203], v[206:207], v[210:211]
	v_div_fixup_f64 v[208:209], v[202:203], v[200:201], 1.0
	s_delay_alu instid0(VALU_DEP_1)
	v_mul_f64 v[206:207], v[204:205], -v[208:209]
.LBB99_79:
	s_or_b32 exec_lo, exec_lo, s3
	ds_store_2addr_b64 v235, v[208:209], v[206:207] offset1:1
.LBB99_80:
	s_or_b32 exec_lo, exec_lo, s4
	s_waitcnt lgkmcnt(0)
	s_barrier
	buffer_gl0_inv
	ds_load_2addr_b64 v[200:203], v235 offset1:1
	s_mov_b32 s3, exec_lo
	s_waitcnt lgkmcnt(0)
	scratch_store_b128 off, v[200:203], off offset:512 ; 16-byte Folded Spill
	v_cmpx_lt_u32_e32 8, v234
	s_cbranch_execz .LBB99_82
; %bb.81:
	scratch_load_b128 v[202:205], off, off offset:512 ; 16-byte Folded Reload
	s_waitcnt vmcnt(0)
	v_mul_f64 v[200:201], v[204:205], v[166:167]
	v_mul_f64 v[166:167], v[202:203], v[166:167]
	s_delay_alu instid0(VALU_DEP_2) | instskip(NEXT) | instid1(VALU_DEP_2)
	v_fma_f64 v[200:201], v[202:203], v[164:165], -v[200:201]
	v_fma_f64 v[166:167], v[204:205], v[164:165], v[166:167]
	ds_load_2addr_b64 v[202:205], v236 offset0:18 offset1:19
	s_waitcnt lgkmcnt(0)
	v_mul_f64 v[164:165], v[204:205], v[166:167]
	s_delay_alu instid0(VALU_DEP_1) | instskip(SKIP_1) | instid1(VALU_DEP_2)
	v_fma_f64 v[164:165], v[202:203], v[200:201], -v[164:165]
	v_mul_f64 v[202:203], v[202:203], v[166:167]
	v_add_f64 v[160:161], v[160:161], -v[164:165]
	s_delay_alu instid0(VALU_DEP_2) | instskip(NEXT) | instid1(VALU_DEP_1)
	v_fma_f64 v[202:203], v[204:205], v[200:201], v[202:203]
	v_add_f64 v[162:163], v[162:163], -v[202:203]
	ds_load_2addr_b64 v[202:205], v236 offset0:20 offset1:21
	s_waitcnt lgkmcnt(0)
	v_mul_f64 v[164:165], v[204:205], v[166:167]
	s_delay_alu instid0(VALU_DEP_1) | instskip(SKIP_1) | instid1(VALU_DEP_2)
	v_fma_f64 v[164:165], v[202:203], v[200:201], -v[164:165]
	v_mul_f64 v[202:203], v[202:203], v[166:167]
	v_add_f64 v[156:157], v[156:157], -v[164:165]
	s_delay_alu instid0(VALU_DEP_2) | instskip(NEXT) | instid1(VALU_DEP_1)
	v_fma_f64 v[202:203], v[204:205], v[200:201], v[202:203]
	v_add_f64 v[158:159], v[158:159], -v[202:203]
	;; [unrolled: 10-line block ×40, first 2 shown]
	ds_load_2addr_b64 v[202:205], v236 offset0:98 offset1:99
	s_waitcnt lgkmcnt(0)
	v_mul_f64 v[164:165], v[204:205], v[166:167]
	s_delay_alu instid0(VALU_DEP_1) | instskip(SKIP_1) | instid1(VALU_DEP_2)
	v_fma_f64 v[164:165], v[202:203], v[200:201], -v[164:165]
	v_mul_f64 v[202:203], v[202:203], v[166:167]
	v_add_f64 v[0:1], v[0:1], -v[164:165]
	s_delay_alu instid0(VALU_DEP_2) | instskip(SKIP_1) | instid1(VALU_DEP_2)
	v_fma_f64 v[202:203], v[204:205], v[200:201], v[202:203]
	v_dual_mov_b32 v164, v200 :: v_dual_mov_b32 v165, v201
	v_add_f64 v[2:3], v[2:3], -v[202:203]
.LBB99_82:
	s_or_b32 exec_lo, exec_lo, s3
	s_delay_alu instid0(SALU_CYCLE_1)
	s_mov_b32 s4, exec_lo
	s_waitcnt_vscnt null, 0x0
	s_barrier
	buffer_gl0_inv
	v_cmpx_eq_u32_e32 9, v234
	s_cbranch_execz .LBB99_89
; %bb.83:
	ds_store_2addr_b64 v235, v[160:161], v[162:163] offset1:1
	ds_store_2addr_b64 v236, v[156:157], v[158:159] offset0:20 offset1:21
	ds_store_2addr_b64 v236, v[152:153], v[154:155] offset0:22 offset1:23
	;; [unrolled: 1-line block ×40, first 2 shown]
	ds_load_2addr_b64 v[200:203], v235 offset1:1
	s_waitcnt lgkmcnt(0)
	v_cmp_neq_f64_e32 vcc_lo, 0, v[200:201]
	v_cmp_neq_f64_e64 s3, 0, v[202:203]
	s_delay_alu instid0(VALU_DEP_1) | instskip(NEXT) | instid1(SALU_CYCLE_1)
	s_or_b32 s3, vcc_lo, s3
	s_and_b32 exec_lo, exec_lo, s3
	s_cbranch_execz .LBB99_89
; %bb.84:
	v_cmp_gt_f64_e32 vcc_lo, 0, v[200:201]
	v_xor_b32_e32 v204, 0x80000000, v201
	v_xor_b32_e32 v206, 0x80000000, v203
	s_mov_b32 s3, exec_lo
                                        ; implicit-def: $vgpr208_vgpr209
	s_delay_alu instid0(VALU_DEP_2) | instskip(SKIP_4) | instid1(VALU_DEP_1)
	v_cndmask_b32_e32 v205, v201, v204, vcc_lo
	v_cndmask_b32_e32 v204, v200, v200, vcc_lo
	v_cmp_gt_f64_e32 vcc_lo, 0, v[202:203]
	v_cndmask_b32_e32 v207, v203, v206, vcc_lo
	v_cndmask_b32_e32 v206, v202, v202, vcc_lo
	v_cmpx_ngt_f64_e32 v[204:205], v[206:207]
	s_xor_b32 s3, exec_lo, s3
                                        ; implicit-def: $vgpr204_vgpr205_vgpr206_vgpr207
	s_cbranch_execz .LBB99_86
; %bb.85:
	v_div_scale_f64 v[204:205], null, v[202:203], v[202:203], v[200:201]
	v_div_scale_f64 v[210:211], vcc_lo, v[200:201], v[202:203], v[200:201]
	s_delay_alu instid0(VALU_DEP_2) | instskip(SKIP_2) | instid1(VALU_DEP_1)
	v_rcp_f64_e32 v[206:207], v[204:205]
	s_waitcnt_depctr 0xfff
	v_fma_f64 v[208:209], -v[204:205], v[206:207], 1.0
	v_fma_f64 v[206:207], v[206:207], v[208:209], v[206:207]
	s_delay_alu instid0(VALU_DEP_1) | instskip(NEXT) | instid1(VALU_DEP_1)
	v_fma_f64 v[208:209], -v[204:205], v[206:207], 1.0
	v_fma_f64 v[206:207], v[206:207], v[208:209], v[206:207]
	s_delay_alu instid0(VALU_DEP_1) | instskip(NEXT) | instid1(VALU_DEP_1)
	v_mul_f64 v[208:209], v[210:211], v[206:207]
	v_fma_f64 v[204:205], -v[204:205], v[208:209], v[210:211]
	s_delay_alu instid0(VALU_DEP_1) | instskip(NEXT) | instid1(VALU_DEP_1)
	v_div_fmas_f64 v[204:205], v[204:205], v[206:207], v[208:209]
	v_div_fixup_f64 v[204:205], v[204:205], v[202:203], v[200:201]
	s_delay_alu instid0(VALU_DEP_1) | instskip(NEXT) | instid1(VALU_DEP_1)
	v_fma_f64 v[200:201], v[200:201], v[204:205], v[202:203]
	v_div_scale_f64 v[202:203], null, v[200:201], v[200:201], 1.0
	s_delay_alu instid0(VALU_DEP_1) | instskip(SKIP_2) | instid1(VALU_DEP_1)
	v_rcp_f64_e32 v[206:207], v[202:203]
	s_waitcnt_depctr 0xfff
	v_fma_f64 v[208:209], -v[202:203], v[206:207], 1.0
	v_fma_f64 v[206:207], v[206:207], v[208:209], v[206:207]
	s_delay_alu instid0(VALU_DEP_1) | instskip(NEXT) | instid1(VALU_DEP_1)
	v_fma_f64 v[208:209], -v[202:203], v[206:207], 1.0
	v_fma_f64 v[206:207], v[206:207], v[208:209], v[206:207]
	v_div_scale_f64 v[208:209], vcc_lo, 1.0, v[200:201], 1.0
	s_delay_alu instid0(VALU_DEP_1) | instskip(NEXT) | instid1(VALU_DEP_1)
	v_mul_f64 v[210:211], v[208:209], v[206:207]
	v_fma_f64 v[202:203], -v[202:203], v[210:211], v[208:209]
	s_delay_alu instid0(VALU_DEP_1) | instskip(NEXT) | instid1(VALU_DEP_1)
	v_div_fmas_f64 v[202:203], v[202:203], v[206:207], v[210:211]
	v_div_fixup_f64 v[206:207], v[202:203], v[200:201], 1.0
                                        ; implicit-def: $vgpr200_vgpr201
	s_delay_alu instid0(VALU_DEP_1)
	v_mul_f64 v[208:209], v[204:205], v[206:207]
	v_xor_b32_e32 v207, 0x80000000, v207
.LBB99_86:
	s_and_not1_saveexec_b32 s3, s3
	s_cbranch_execz .LBB99_88
; %bb.87:
	v_div_scale_f64 v[204:205], null, v[200:201], v[200:201], v[202:203]
	v_div_scale_f64 v[210:211], vcc_lo, v[202:203], v[200:201], v[202:203]
	s_delay_alu instid0(VALU_DEP_2) | instskip(SKIP_2) | instid1(VALU_DEP_1)
	v_rcp_f64_e32 v[206:207], v[204:205]
	s_waitcnt_depctr 0xfff
	v_fma_f64 v[208:209], -v[204:205], v[206:207], 1.0
	v_fma_f64 v[206:207], v[206:207], v[208:209], v[206:207]
	s_delay_alu instid0(VALU_DEP_1) | instskip(NEXT) | instid1(VALU_DEP_1)
	v_fma_f64 v[208:209], -v[204:205], v[206:207], 1.0
	v_fma_f64 v[206:207], v[206:207], v[208:209], v[206:207]
	s_delay_alu instid0(VALU_DEP_1) | instskip(NEXT) | instid1(VALU_DEP_1)
	v_mul_f64 v[208:209], v[210:211], v[206:207]
	v_fma_f64 v[204:205], -v[204:205], v[208:209], v[210:211]
	s_delay_alu instid0(VALU_DEP_1) | instskip(NEXT) | instid1(VALU_DEP_1)
	v_div_fmas_f64 v[204:205], v[204:205], v[206:207], v[208:209]
	v_div_fixup_f64 v[204:205], v[204:205], v[200:201], v[202:203]
	s_delay_alu instid0(VALU_DEP_1) | instskip(NEXT) | instid1(VALU_DEP_1)
	v_fma_f64 v[200:201], v[202:203], v[204:205], v[200:201]
	v_div_scale_f64 v[202:203], null, v[200:201], v[200:201], 1.0
	s_delay_alu instid0(VALU_DEP_1) | instskip(SKIP_2) | instid1(VALU_DEP_1)
	v_rcp_f64_e32 v[206:207], v[202:203]
	s_waitcnt_depctr 0xfff
	v_fma_f64 v[208:209], -v[202:203], v[206:207], 1.0
	v_fma_f64 v[206:207], v[206:207], v[208:209], v[206:207]
	s_delay_alu instid0(VALU_DEP_1) | instskip(NEXT) | instid1(VALU_DEP_1)
	v_fma_f64 v[208:209], -v[202:203], v[206:207], 1.0
	v_fma_f64 v[206:207], v[206:207], v[208:209], v[206:207]
	v_div_scale_f64 v[208:209], vcc_lo, 1.0, v[200:201], 1.0
	s_delay_alu instid0(VALU_DEP_1) | instskip(NEXT) | instid1(VALU_DEP_1)
	v_mul_f64 v[210:211], v[208:209], v[206:207]
	v_fma_f64 v[202:203], -v[202:203], v[210:211], v[208:209]
	s_delay_alu instid0(VALU_DEP_1) | instskip(NEXT) | instid1(VALU_DEP_1)
	v_div_fmas_f64 v[202:203], v[202:203], v[206:207], v[210:211]
	v_div_fixup_f64 v[208:209], v[202:203], v[200:201], 1.0
	s_delay_alu instid0(VALU_DEP_1)
	v_mul_f64 v[206:207], v[204:205], -v[208:209]
.LBB99_88:
	s_or_b32 exec_lo, exec_lo, s3
	ds_store_2addr_b64 v235, v[208:209], v[206:207] offset1:1
.LBB99_89:
	s_or_b32 exec_lo, exec_lo, s4
	s_waitcnt lgkmcnt(0)
	s_barrier
	buffer_gl0_inv
	ds_load_2addr_b64 v[200:203], v235 offset1:1
	s_mov_b32 s3, exec_lo
	s_waitcnt lgkmcnt(0)
	scratch_store_b128 off, v[200:203], off offset:528 ; 16-byte Folded Spill
	v_cmpx_lt_u32_e32 9, v234
	s_cbranch_execz .LBB99_91
; %bb.90:
	scratch_load_b128 v[202:205], off, off offset:528 ; 16-byte Folded Reload
	s_waitcnt vmcnt(0)
	v_mul_f64 v[200:201], v[204:205], v[162:163]
	v_mul_f64 v[162:163], v[202:203], v[162:163]
	s_delay_alu instid0(VALU_DEP_2) | instskip(NEXT) | instid1(VALU_DEP_2)
	v_fma_f64 v[200:201], v[202:203], v[160:161], -v[200:201]
	v_fma_f64 v[162:163], v[204:205], v[160:161], v[162:163]
	ds_load_2addr_b64 v[202:205], v236 offset0:20 offset1:21
	s_waitcnt lgkmcnt(0)
	v_mul_f64 v[160:161], v[204:205], v[162:163]
	s_delay_alu instid0(VALU_DEP_1) | instskip(SKIP_1) | instid1(VALU_DEP_2)
	v_fma_f64 v[160:161], v[202:203], v[200:201], -v[160:161]
	v_mul_f64 v[202:203], v[202:203], v[162:163]
	v_add_f64 v[156:157], v[156:157], -v[160:161]
	s_delay_alu instid0(VALU_DEP_2) | instskip(NEXT) | instid1(VALU_DEP_1)
	v_fma_f64 v[202:203], v[204:205], v[200:201], v[202:203]
	v_add_f64 v[158:159], v[158:159], -v[202:203]
	ds_load_2addr_b64 v[202:205], v236 offset0:22 offset1:23
	s_waitcnt lgkmcnt(0)
	v_mul_f64 v[160:161], v[204:205], v[162:163]
	s_delay_alu instid0(VALU_DEP_1) | instskip(SKIP_1) | instid1(VALU_DEP_2)
	v_fma_f64 v[160:161], v[202:203], v[200:201], -v[160:161]
	v_mul_f64 v[202:203], v[202:203], v[162:163]
	v_add_f64 v[152:153], v[152:153], -v[160:161]
	s_delay_alu instid0(VALU_DEP_2) | instskip(NEXT) | instid1(VALU_DEP_1)
	v_fma_f64 v[202:203], v[204:205], v[200:201], v[202:203]
	v_add_f64 v[154:155], v[154:155], -v[202:203]
	;; [unrolled: 10-line block ×39, first 2 shown]
	ds_load_2addr_b64 v[202:205], v236 offset0:98 offset1:99
	s_waitcnt lgkmcnt(0)
	v_mul_f64 v[160:161], v[204:205], v[162:163]
	s_delay_alu instid0(VALU_DEP_1) | instskip(SKIP_1) | instid1(VALU_DEP_2)
	v_fma_f64 v[160:161], v[202:203], v[200:201], -v[160:161]
	v_mul_f64 v[202:203], v[202:203], v[162:163]
	v_add_f64 v[0:1], v[0:1], -v[160:161]
	s_delay_alu instid0(VALU_DEP_2) | instskip(SKIP_1) | instid1(VALU_DEP_2)
	v_fma_f64 v[202:203], v[204:205], v[200:201], v[202:203]
	v_dual_mov_b32 v160, v200 :: v_dual_mov_b32 v161, v201
	v_add_f64 v[2:3], v[2:3], -v[202:203]
.LBB99_91:
	s_or_b32 exec_lo, exec_lo, s3
	s_delay_alu instid0(SALU_CYCLE_1)
	s_mov_b32 s4, exec_lo
	s_waitcnt_vscnt null, 0x0
	s_barrier
	buffer_gl0_inv
	v_cmpx_eq_u32_e32 10, v234
	s_cbranch_execz .LBB99_98
; %bb.92:
	ds_store_2addr_b64 v235, v[156:157], v[158:159] offset1:1
	ds_store_2addr_b64 v236, v[152:153], v[154:155] offset0:22 offset1:23
	ds_store_2addr_b64 v236, v[148:149], v[150:151] offset0:24 offset1:25
	;; [unrolled: 1-line block ×39, first 2 shown]
	ds_load_2addr_b64 v[200:203], v235 offset1:1
	s_waitcnt lgkmcnt(0)
	v_cmp_neq_f64_e32 vcc_lo, 0, v[200:201]
	v_cmp_neq_f64_e64 s3, 0, v[202:203]
	s_delay_alu instid0(VALU_DEP_1) | instskip(NEXT) | instid1(SALU_CYCLE_1)
	s_or_b32 s3, vcc_lo, s3
	s_and_b32 exec_lo, exec_lo, s3
	s_cbranch_execz .LBB99_98
; %bb.93:
	v_cmp_gt_f64_e32 vcc_lo, 0, v[200:201]
	v_xor_b32_e32 v204, 0x80000000, v201
	v_xor_b32_e32 v206, 0x80000000, v203
	s_mov_b32 s3, exec_lo
                                        ; implicit-def: $vgpr208_vgpr209
	s_delay_alu instid0(VALU_DEP_2) | instskip(SKIP_4) | instid1(VALU_DEP_1)
	v_cndmask_b32_e32 v205, v201, v204, vcc_lo
	v_cndmask_b32_e32 v204, v200, v200, vcc_lo
	v_cmp_gt_f64_e32 vcc_lo, 0, v[202:203]
	v_cndmask_b32_e32 v207, v203, v206, vcc_lo
	v_cndmask_b32_e32 v206, v202, v202, vcc_lo
	v_cmpx_ngt_f64_e32 v[204:205], v[206:207]
	s_xor_b32 s3, exec_lo, s3
                                        ; implicit-def: $vgpr204_vgpr205_vgpr206_vgpr207
	s_cbranch_execz .LBB99_95
; %bb.94:
	v_div_scale_f64 v[204:205], null, v[202:203], v[202:203], v[200:201]
	v_div_scale_f64 v[210:211], vcc_lo, v[200:201], v[202:203], v[200:201]
	s_delay_alu instid0(VALU_DEP_2) | instskip(SKIP_2) | instid1(VALU_DEP_1)
	v_rcp_f64_e32 v[206:207], v[204:205]
	s_waitcnt_depctr 0xfff
	v_fma_f64 v[208:209], -v[204:205], v[206:207], 1.0
	v_fma_f64 v[206:207], v[206:207], v[208:209], v[206:207]
	s_delay_alu instid0(VALU_DEP_1) | instskip(NEXT) | instid1(VALU_DEP_1)
	v_fma_f64 v[208:209], -v[204:205], v[206:207], 1.0
	v_fma_f64 v[206:207], v[206:207], v[208:209], v[206:207]
	s_delay_alu instid0(VALU_DEP_1) | instskip(NEXT) | instid1(VALU_DEP_1)
	v_mul_f64 v[208:209], v[210:211], v[206:207]
	v_fma_f64 v[204:205], -v[204:205], v[208:209], v[210:211]
	s_delay_alu instid0(VALU_DEP_1) | instskip(NEXT) | instid1(VALU_DEP_1)
	v_div_fmas_f64 v[204:205], v[204:205], v[206:207], v[208:209]
	v_div_fixup_f64 v[204:205], v[204:205], v[202:203], v[200:201]
	s_delay_alu instid0(VALU_DEP_1) | instskip(NEXT) | instid1(VALU_DEP_1)
	v_fma_f64 v[200:201], v[200:201], v[204:205], v[202:203]
	v_div_scale_f64 v[202:203], null, v[200:201], v[200:201], 1.0
	s_delay_alu instid0(VALU_DEP_1) | instskip(SKIP_2) | instid1(VALU_DEP_1)
	v_rcp_f64_e32 v[206:207], v[202:203]
	s_waitcnt_depctr 0xfff
	v_fma_f64 v[208:209], -v[202:203], v[206:207], 1.0
	v_fma_f64 v[206:207], v[206:207], v[208:209], v[206:207]
	s_delay_alu instid0(VALU_DEP_1) | instskip(NEXT) | instid1(VALU_DEP_1)
	v_fma_f64 v[208:209], -v[202:203], v[206:207], 1.0
	v_fma_f64 v[206:207], v[206:207], v[208:209], v[206:207]
	v_div_scale_f64 v[208:209], vcc_lo, 1.0, v[200:201], 1.0
	s_delay_alu instid0(VALU_DEP_1) | instskip(NEXT) | instid1(VALU_DEP_1)
	v_mul_f64 v[210:211], v[208:209], v[206:207]
	v_fma_f64 v[202:203], -v[202:203], v[210:211], v[208:209]
	s_delay_alu instid0(VALU_DEP_1) | instskip(NEXT) | instid1(VALU_DEP_1)
	v_div_fmas_f64 v[202:203], v[202:203], v[206:207], v[210:211]
	v_div_fixup_f64 v[206:207], v[202:203], v[200:201], 1.0
                                        ; implicit-def: $vgpr200_vgpr201
	s_delay_alu instid0(VALU_DEP_1)
	v_mul_f64 v[208:209], v[204:205], v[206:207]
	v_xor_b32_e32 v207, 0x80000000, v207
.LBB99_95:
	s_and_not1_saveexec_b32 s3, s3
	s_cbranch_execz .LBB99_97
; %bb.96:
	v_div_scale_f64 v[204:205], null, v[200:201], v[200:201], v[202:203]
	v_div_scale_f64 v[210:211], vcc_lo, v[202:203], v[200:201], v[202:203]
	s_delay_alu instid0(VALU_DEP_2) | instskip(SKIP_2) | instid1(VALU_DEP_1)
	v_rcp_f64_e32 v[206:207], v[204:205]
	s_waitcnt_depctr 0xfff
	v_fma_f64 v[208:209], -v[204:205], v[206:207], 1.0
	v_fma_f64 v[206:207], v[206:207], v[208:209], v[206:207]
	s_delay_alu instid0(VALU_DEP_1) | instskip(NEXT) | instid1(VALU_DEP_1)
	v_fma_f64 v[208:209], -v[204:205], v[206:207], 1.0
	v_fma_f64 v[206:207], v[206:207], v[208:209], v[206:207]
	s_delay_alu instid0(VALU_DEP_1) | instskip(NEXT) | instid1(VALU_DEP_1)
	v_mul_f64 v[208:209], v[210:211], v[206:207]
	v_fma_f64 v[204:205], -v[204:205], v[208:209], v[210:211]
	s_delay_alu instid0(VALU_DEP_1) | instskip(NEXT) | instid1(VALU_DEP_1)
	v_div_fmas_f64 v[204:205], v[204:205], v[206:207], v[208:209]
	v_div_fixup_f64 v[204:205], v[204:205], v[200:201], v[202:203]
	s_delay_alu instid0(VALU_DEP_1) | instskip(NEXT) | instid1(VALU_DEP_1)
	v_fma_f64 v[200:201], v[202:203], v[204:205], v[200:201]
	v_div_scale_f64 v[202:203], null, v[200:201], v[200:201], 1.0
	s_delay_alu instid0(VALU_DEP_1) | instskip(SKIP_2) | instid1(VALU_DEP_1)
	v_rcp_f64_e32 v[206:207], v[202:203]
	s_waitcnt_depctr 0xfff
	v_fma_f64 v[208:209], -v[202:203], v[206:207], 1.0
	v_fma_f64 v[206:207], v[206:207], v[208:209], v[206:207]
	s_delay_alu instid0(VALU_DEP_1) | instskip(NEXT) | instid1(VALU_DEP_1)
	v_fma_f64 v[208:209], -v[202:203], v[206:207], 1.0
	v_fma_f64 v[206:207], v[206:207], v[208:209], v[206:207]
	v_div_scale_f64 v[208:209], vcc_lo, 1.0, v[200:201], 1.0
	s_delay_alu instid0(VALU_DEP_1) | instskip(NEXT) | instid1(VALU_DEP_1)
	v_mul_f64 v[210:211], v[208:209], v[206:207]
	v_fma_f64 v[202:203], -v[202:203], v[210:211], v[208:209]
	s_delay_alu instid0(VALU_DEP_1) | instskip(NEXT) | instid1(VALU_DEP_1)
	v_div_fmas_f64 v[202:203], v[202:203], v[206:207], v[210:211]
	v_div_fixup_f64 v[208:209], v[202:203], v[200:201], 1.0
	s_delay_alu instid0(VALU_DEP_1)
	v_mul_f64 v[206:207], v[204:205], -v[208:209]
.LBB99_97:
	s_or_b32 exec_lo, exec_lo, s3
	ds_store_2addr_b64 v235, v[208:209], v[206:207] offset1:1
.LBB99_98:
	s_or_b32 exec_lo, exec_lo, s4
	s_waitcnt lgkmcnt(0)
	s_barrier
	buffer_gl0_inv
	ds_load_2addr_b64 v[200:203], v235 offset1:1
	s_mov_b32 s3, exec_lo
	s_waitcnt lgkmcnt(0)
	scratch_store_b128 off, v[200:203], off offset:544 ; 16-byte Folded Spill
	v_cmpx_lt_u32_e32 10, v234
	s_cbranch_execz .LBB99_100
; %bb.99:
	scratch_load_b128 v[202:205], off, off offset:544 ; 16-byte Folded Reload
	s_waitcnt vmcnt(0)
	v_mul_f64 v[200:201], v[204:205], v[158:159]
	v_mul_f64 v[158:159], v[202:203], v[158:159]
	s_delay_alu instid0(VALU_DEP_2) | instskip(NEXT) | instid1(VALU_DEP_2)
	v_fma_f64 v[200:201], v[202:203], v[156:157], -v[200:201]
	v_fma_f64 v[158:159], v[204:205], v[156:157], v[158:159]
	ds_load_2addr_b64 v[202:205], v236 offset0:22 offset1:23
	s_waitcnt lgkmcnt(0)
	v_mul_f64 v[156:157], v[204:205], v[158:159]
	s_delay_alu instid0(VALU_DEP_1) | instskip(SKIP_1) | instid1(VALU_DEP_2)
	v_fma_f64 v[156:157], v[202:203], v[200:201], -v[156:157]
	v_mul_f64 v[202:203], v[202:203], v[158:159]
	v_add_f64 v[152:153], v[152:153], -v[156:157]
	s_delay_alu instid0(VALU_DEP_2) | instskip(NEXT) | instid1(VALU_DEP_1)
	v_fma_f64 v[202:203], v[204:205], v[200:201], v[202:203]
	v_add_f64 v[154:155], v[154:155], -v[202:203]
	ds_load_2addr_b64 v[202:205], v236 offset0:24 offset1:25
	s_waitcnt lgkmcnt(0)
	v_mul_f64 v[156:157], v[204:205], v[158:159]
	s_delay_alu instid0(VALU_DEP_1) | instskip(SKIP_1) | instid1(VALU_DEP_2)
	v_fma_f64 v[156:157], v[202:203], v[200:201], -v[156:157]
	v_mul_f64 v[202:203], v[202:203], v[158:159]
	v_add_f64 v[148:149], v[148:149], -v[156:157]
	s_delay_alu instid0(VALU_DEP_2) | instskip(NEXT) | instid1(VALU_DEP_1)
	v_fma_f64 v[202:203], v[204:205], v[200:201], v[202:203]
	v_add_f64 v[150:151], v[150:151], -v[202:203]
	;; [unrolled: 10-line block ×38, first 2 shown]
	ds_load_2addr_b64 v[202:205], v236 offset0:98 offset1:99
	s_waitcnt lgkmcnt(0)
	v_mul_f64 v[156:157], v[204:205], v[158:159]
	s_delay_alu instid0(VALU_DEP_1) | instskip(SKIP_1) | instid1(VALU_DEP_2)
	v_fma_f64 v[156:157], v[202:203], v[200:201], -v[156:157]
	v_mul_f64 v[202:203], v[202:203], v[158:159]
	v_add_f64 v[0:1], v[0:1], -v[156:157]
	s_delay_alu instid0(VALU_DEP_2) | instskip(SKIP_1) | instid1(VALU_DEP_2)
	v_fma_f64 v[202:203], v[204:205], v[200:201], v[202:203]
	v_dual_mov_b32 v156, v200 :: v_dual_mov_b32 v157, v201
	v_add_f64 v[2:3], v[2:3], -v[202:203]
.LBB99_100:
	s_or_b32 exec_lo, exec_lo, s3
	s_delay_alu instid0(SALU_CYCLE_1)
	s_mov_b32 s4, exec_lo
	s_waitcnt_vscnt null, 0x0
	s_barrier
	buffer_gl0_inv
	v_cmpx_eq_u32_e32 11, v234
	s_cbranch_execz .LBB99_107
; %bb.101:
	ds_store_2addr_b64 v235, v[152:153], v[154:155] offset1:1
	ds_store_2addr_b64 v236, v[148:149], v[150:151] offset0:24 offset1:25
	ds_store_2addr_b64 v236, v[144:145], v[146:147] offset0:26 offset1:27
	;; [unrolled: 1-line block ×38, first 2 shown]
	ds_load_2addr_b64 v[200:203], v235 offset1:1
	s_waitcnt lgkmcnt(0)
	v_cmp_neq_f64_e32 vcc_lo, 0, v[200:201]
	v_cmp_neq_f64_e64 s3, 0, v[202:203]
	s_delay_alu instid0(VALU_DEP_1) | instskip(NEXT) | instid1(SALU_CYCLE_1)
	s_or_b32 s3, vcc_lo, s3
	s_and_b32 exec_lo, exec_lo, s3
	s_cbranch_execz .LBB99_107
; %bb.102:
	v_cmp_gt_f64_e32 vcc_lo, 0, v[200:201]
	v_xor_b32_e32 v204, 0x80000000, v201
	v_xor_b32_e32 v206, 0x80000000, v203
	s_mov_b32 s3, exec_lo
                                        ; implicit-def: $vgpr208_vgpr209
	s_delay_alu instid0(VALU_DEP_2) | instskip(SKIP_4) | instid1(VALU_DEP_1)
	v_cndmask_b32_e32 v205, v201, v204, vcc_lo
	v_cndmask_b32_e32 v204, v200, v200, vcc_lo
	v_cmp_gt_f64_e32 vcc_lo, 0, v[202:203]
	v_cndmask_b32_e32 v207, v203, v206, vcc_lo
	v_cndmask_b32_e32 v206, v202, v202, vcc_lo
	v_cmpx_ngt_f64_e32 v[204:205], v[206:207]
	s_xor_b32 s3, exec_lo, s3
                                        ; implicit-def: $vgpr204_vgpr205_vgpr206_vgpr207
	s_cbranch_execz .LBB99_104
; %bb.103:
	v_div_scale_f64 v[204:205], null, v[202:203], v[202:203], v[200:201]
	v_div_scale_f64 v[210:211], vcc_lo, v[200:201], v[202:203], v[200:201]
	s_delay_alu instid0(VALU_DEP_2) | instskip(SKIP_2) | instid1(VALU_DEP_1)
	v_rcp_f64_e32 v[206:207], v[204:205]
	s_waitcnt_depctr 0xfff
	v_fma_f64 v[208:209], -v[204:205], v[206:207], 1.0
	v_fma_f64 v[206:207], v[206:207], v[208:209], v[206:207]
	s_delay_alu instid0(VALU_DEP_1) | instskip(NEXT) | instid1(VALU_DEP_1)
	v_fma_f64 v[208:209], -v[204:205], v[206:207], 1.0
	v_fma_f64 v[206:207], v[206:207], v[208:209], v[206:207]
	s_delay_alu instid0(VALU_DEP_1) | instskip(NEXT) | instid1(VALU_DEP_1)
	v_mul_f64 v[208:209], v[210:211], v[206:207]
	v_fma_f64 v[204:205], -v[204:205], v[208:209], v[210:211]
	s_delay_alu instid0(VALU_DEP_1) | instskip(NEXT) | instid1(VALU_DEP_1)
	v_div_fmas_f64 v[204:205], v[204:205], v[206:207], v[208:209]
	v_div_fixup_f64 v[204:205], v[204:205], v[202:203], v[200:201]
	s_delay_alu instid0(VALU_DEP_1) | instskip(NEXT) | instid1(VALU_DEP_1)
	v_fma_f64 v[200:201], v[200:201], v[204:205], v[202:203]
	v_div_scale_f64 v[202:203], null, v[200:201], v[200:201], 1.0
	s_delay_alu instid0(VALU_DEP_1) | instskip(SKIP_2) | instid1(VALU_DEP_1)
	v_rcp_f64_e32 v[206:207], v[202:203]
	s_waitcnt_depctr 0xfff
	v_fma_f64 v[208:209], -v[202:203], v[206:207], 1.0
	v_fma_f64 v[206:207], v[206:207], v[208:209], v[206:207]
	s_delay_alu instid0(VALU_DEP_1) | instskip(NEXT) | instid1(VALU_DEP_1)
	v_fma_f64 v[208:209], -v[202:203], v[206:207], 1.0
	v_fma_f64 v[206:207], v[206:207], v[208:209], v[206:207]
	v_div_scale_f64 v[208:209], vcc_lo, 1.0, v[200:201], 1.0
	s_delay_alu instid0(VALU_DEP_1) | instskip(NEXT) | instid1(VALU_DEP_1)
	v_mul_f64 v[210:211], v[208:209], v[206:207]
	v_fma_f64 v[202:203], -v[202:203], v[210:211], v[208:209]
	s_delay_alu instid0(VALU_DEP_1) | instskip(NEXT) | instid1(VALU_DEP_1)
	v_div_fmas_f64 v[202:203], v[202:203], v[206:207], v[210:211]
	v_div_fixup_f64 v[206:207], v[202:203], v[200:201], 1.0
                                        ; implicit-def: $vgpr200_vgpr201
	s_delay_alu instid0(VALU_DEP_1)
	v_mul_f64 v[208:209], v[204:205], v[206:207]
	v_xor_b32_e32 v207, 0x80000000, v207
.LBB99_104:
	s_and_not1_saveexec_b32 s3, s3
	s_cbranch_execz .LBB99_106
; %bb.105:
	v_div_scale_f64 v[204:205], null, v[200:201], v[200:201], v[202:203]
	v_div_scale_f64 v[210:211], vcc_lo, v[202:203], v[200:201], v[202:203]
	s_delay_alu instid0(VALU_DEP_2) | instskip(SKIP_2) | instid1(VALU_DEP_1)
	v_rcp_f64_e32 v[206:207], v[204:205]
	s_waitcnt_depctr 0xfff
	v_fma_f64 v[208:209], -v[204:205], v[206:207], 1.0
	v_fma_f64 v[206:207], v[206:207], v[208:209], v[206:207]
	s_delay_alu instid0(VALU_DEP_1) | instskip(NEXT) | instid1(VALU_DEP_1)
	v_fma_f64 v[208:209], -v[204:205], v[206:207], 1.0
	v_fma_f64 v[206:207], v[206:207], v[208:209], v[206:207]
	s_delay_alu instid0(VALU_DEP_1) | instskip(NEXT) | instid1(VALU_DEP_1)
	v_mul_f64 v[208:209], v[210:211], v[206:207]
	v_fma_f64 v[204:205], -v[204:205], v[208:209], v[210:211]
	s_delay_alu instid0(VALU_DEP_1) | instskip(NEXT) | instid1(VALU_DEP_1)
	v_div_fmas_f64 v[204:205], v[204:205], v[206:207], v[208:209]
	v_div_fixup_f64 v[204:205], v[204:205], v[200:201], v[202:203]
	s_delay_alu instid0(VALU_DEP_1) | instskip(NEXT) | instid1(VALU_DEP_1)
	v_fma_f64 v[200:201], v[202:203], v[204:205], v[200:201]
	v_div_scale_f64 v[202:203], null, v[200:201], v[200:201], 1.0
	s_delay_alu instid0(VALU_DEP_1) | instskip(SKIP_2) | instid1(VALU_DEP_1)
	v_rcp_f64_e32 v[206:207], v[202:203]
	s_waitcnt_depctr 0xfff
	v_fma_f64 v[208:209], -v[202:203], v[206:207], 1.0
	v_fma_f64 v[206:207], v[206:207], v[208:209], v[206:207]
	s_delay_alu instid0(VALU_DEP_1) | instskip(NEXT) | instid1(VALU_DEP_1)
	v_fma_f64 v[208:209], -v[202:203], v[206:207], 1.0
	v_fma_f64 v[206:207], v[206:207], v[208:209], v[206:207]
	v_div_scale_f64 v[208:209], vcc_lo, 1.0, v[200:201], 1.0
	s_delay_alu instid0(VALU_DEP_1) | instskip(NEXT) | instid1(VALU_DEP_1)
	v_mul_f64 v[210:211], v[208:209], v[206:207]
	v_fma_f64 v[202:203], -v[202:203], v[210:211], v[208:209]
	s_delay_alu instid0(VALU_DEP_1) | instskip(NEXT) | instid1(VALU_DEP_1)
	v_div_fmas_f64 v[202:203], v[202:203], v[206:207], v[210:211]
	v_div_fixup_f64 v[208:209], v[202:203], v[200:201], 1.0
	s_delay_alu instid0(VALU_DEP_1)
	v_mul_f64 v[206:207], v[204:205], -v[208:209]
.LBB99_106:
	s_or_b32 exec_lo, exec_lo, s3
	ds_store_2addr_b64 v235, v[208:209], v[206:207] offset1:1
.LBB99_107:
	s_or_b32 exec_lo, exec_lo, s4
	s_waitcnt lgkmcnt(0)
	s_barrier
	buffer_gl0_inv
	ds_load_2addr_b64 v[200:203], v235 offset1:1
	s_mov_b32 s3, exec_lo
	s_waitcnt lgkmcnt(0)
	scratch_store_b128 off, v[200:203], off offset:560 ; 16-byte Folded Spill
	v_cmpx_lt_u32_e32 11, v234
	s_cbranch_execz .LBB99_109
; %bb.108:
	scratch_load_b128 v[202:205], off, off offset:560 ; 16-byte Folded Reload
	s_waitcnt vmcnt(0)
	v_mul_f64 v[200:201], v[204:205], v[154:155]
	v_mul_f64 v[154:155], v[202:203], v[154:155]
	s_delay_alu instid0(VALU_DEP_2) | instskip(NEXT) | instid1(VALU_DEP_2)
	v_fma_f64 v[200:201], v[202:203], v[152:153], -v[200:201]
	v_fma_f64 v[154:155], v[204:205], v[152:153], v[154:155]
	ds_load_2addr_b64 v[202:205], v236 offset0:24 offset1:25
	s_waitcnt lgkmcnt(0)
	v_mul_f64 v[152:153], v[204:205], v[154:155]
	s_delay_alu instid0(VALU_DEP_1) | instskip(SKIP_1) | instid1(VALU_DEP_2)
	v_fma_f64 v[152:153], v[202:203], v[200:201], -v[152:153]
	v_mul_f64 v[202:203], v[202:203], v[154:155]
	v_add_f64 v[148:149], v[148:149], -v[152:153]
	s_delay_alu instid0(VALU_DEP_2) | instskip(NEXT) | instid1(VALU_DEP_1)
	v_fma_f64 v[202:203], v[204:205], v[200:201], v[202:203]
	v_add_f64 v[150:151], v[150:151], -v[202:203]
	ds_load_2addr_b64 v[202:205], v236 offset0:26 offset1:27
	s_waitcnt lgkmcnt(0)
	v_mul_f64 v[152:153], v[204:205], v[154:155]
	s_delay_alu instid0(VALU_DEP_1) | instskip(SKIP_1) | instid1(VALU_DEP_2)
	v_fma_f64 v[152:153], v[202:203], v[200:201], -v[152:153]
	v_mul_f64 v[202:203], v[202:203], v[154:155]
	v_add_f64 v[144:145], v[144:145], -v[152:153]
	s_delay_alu instid0(VALU_DEP_2) | instskip(NEXT) | instid1(VALU_DEP_1)
	v_fma_f64 v[202:203], v[204:205], v[200:201], v[202:203]
	v_add_f64 v[146:147], v[146:147], -v[202:203]
	;; [unrolled: 10-line block ×37, first 2 shown]
	ds_load_2addr_b64 v[202:205], v236 offset0:98 offset1:99
	s_waitcnt lgkmcnt(0)
	v_mul_f64 v[152:153], v[204:205], v[154:155]
	s_delay_alu instid0(VALU_DEP_1) | instskip(SKIP_1) | instid1(VALU_DEP_2)
	v_fma_f64 v[152:153], v[202:203], v[200:201], -v[152:153]
	v_mul_f64 v[202:203], v[202:203], v[154:155]
	v_add_f64 v[0:1], v[0:1], -v[152:153]
	s_delay_alu instid0(VALU_DEP_2) | instskip(SKIP_1) | instid1(VALU_DEP_2)
	v_fma_f64 v[202:203], v[204:205], v[200:201], v[202:203]
	v_dual_mov_b32 v152, v200 :: v_dual_mov_b32 v153, v201
	v_add_f64 v[2:3], v[2:3], -v[202:203]
.LBB99_109:
	s_or_b32 exec_lo, exec_lo, s3
	s_delay_alu instid0(SALU_CYCLE_1)
	s_mov_b32 s4, exec_lo
	s_waitcnt_vscnt null, 0x0
	s_barrier
	buffer_gl0_inv
	v_cmpx_eq_u32_e32 12, v234
	s_cbranch_execz .LBB99_116
; %bb.110:
	ds_store_2addr_b64 v235, v[148:149], v[150:151] offset1:1
	ds_store_2addr_b64 v236, v[144:145], v[146:147] offset0:26 offset1:27
	ds_store_2addr_b64 v236, v[140:141], v[142:143] offset0:28 offset1:29
	;; [unrolled: 1-line block ×37, first 2 shown]
	ds_load_2addr_b64 v[200:203], v235 offset1:1
	s_waitcnt lgkmcnt(0)
	v_cmp_neq_f64_e32 vcc_lo, 0, v[200:201]
	v_cmp_neq_f64_e64 s3, 0, v[202:203]
	s_delay_alu instid0(VALU_DEP_1) | instskip(NEXT) | instid1(SALU_CYCLE_1)
	s_or_b32 s3, vcc_lo, s3
	s_and_b32 exec_lo, exec_lo, s3
	s_cbranch_execz .LBB99_116
; %bb.111:
	v_cmp_gt_f64_e32 vcc_lo, 0, v[200:201]
	v_xor_b32_e32 v204, 0x80000000, v201
	v_xor_b32_e32 v206, 0x80000000, v203
	s_mov_b32 s3, exec_lo
                                        ; implicit-def: $vgpr208_vgpr209
	s_delay_alu instid0(VALU_DEP_2) | instskip(SKIP_4) | instid1(VALU_DEP_1)
	v_cndmask_b32_e32 v205, v201, v204, vcc_lo
	v_cndmask_b32_e32 v204, v200, v200, vcc_lo
	v_cmp_gt_f64_e32 vcc_lo, 0, v[202:203]
	v_cndmask_b32_e32 v207, v203, v206, vcc_lo
	v_cndmask_b32_e32 v206, v202, v202, vcc_lo
	v_cmpx_ngt_f64_e32 v[204:205], v[206:207]
	s_xor_b32 s3, exec_lo, s3
                                        ; implicit-def: $vgpr204_vgpr205_vgpr206_vgpr207
	s_cbranch_execz .LBB99_113
; %bb.112:
	v_div_scale_f64 v[204:205], null, v[202:203], v[202:203], v[200:201]
	v_div_scale_f64 v[210:211], vcc_lo, v[200:201], v[202:203], v[200:201]
	s_delay_alu instid0(VALU_DEP_2) | instskip(SKIP_2) | instid1(VALU_DEP_1)
	v_rcp_f64_e32 v[206:207], v[204:205]
	s_waitcnt_depctr 0xfff
	v_fma_f64 v[208:209], -v[204:205], v[206:207], 1.0
	v_fma_f64 v[206:207], v[206:207], v[208:209], v[206:207]
	s_delay_alu instid0(VALU_DEP_1) | instskip(NEXT) | instid1(VALU_DEP_1)
	v_fma_f64 v[208:209], -v[204:205], v[206:207], 1.0
	v_fma_f64 v[206:207], v[206:207], v[208:209], v[206:207]
	s_delay_alu instid0(VALU_DEP_1) | instskip(NEXT) | instid1(VALU_DEP_1)
	v_mul_f64 v[208:209], v[210:211], v[206:207]
	v_fma_f64 v[204:205], -v[204:205], v[208:209], v[210:211]
	s_delay_alu instid0(VALU_DEP_1) | instskip(NEXT) | instid1(VALU_DEP_1)
	v_div_fmas_f64 v[204:205], v[204:205], v[206:207], v[208:209]
	v_div_fixup_f64 v[204:205], v[204:205], v[202:203], v[200:201]
	s_delay_alu instid0(VALU_DEP_1) | instskip(NEXT) | instid1(VALU_DEP_1)
	v_fma_f64 v[200:201], v[200:201], v[204:205], v[202:203]
	v_div_scale_f64 v[202:203], null, v[200:201], v[200:201], 1.0
	s_delay_alu instid0(VALU_DEP_1) | instskip(SKIP_2) | instid1(VALU_DEP_1)
	v_rcp_f64_e32 v[206:207], v[202:203]
	s_waitcnt_depctr 0xfff
	v_fma_f64 v[208:209], -v[202:203], v[206:207], 1.0
	v_fma_f64 v[206:207], v[206:207], v[208:209], v[206:207]
	s_delay_alu instid0(VALU_DEP_1) | instskip(NEXT) | instid1(VALU_DEP_1)
	v_fma_f64 v[208:209], -v[202:203], v[206:207], 1.0
	v_fma_f64 v[206:207], v[206:207], v[208:209], v[206:207]
	v_div_scale_f64 v[208:209], vcc_lo, 1.0, v[200:201], 1.0
	s_delay_alu instid0(VALU_DEP_1) | instskip(NEXT) | instid1(VALU_DEP_1)
	v_mul_f64 v[210:211], v[208:209], v[206:207]
	v_fma_f64 v[202:203], -v[202:203], v[210:211], v[208:209]
	s_delay_alu instid0(VALU_DEP_1) | instskip(NEXT) | instid1(VALU_DEP_1)
	v_div_fmas_f64 v[202:203], v[202:203], v[206:207], v[210:211]
	v_div_fixup_f64 v[206:207], v[202:203], v[200:201], 1.0
                                        ; implicit-def: $vgpr200_vgpr201
	s_delay_alu instid0(VALU_DEP_1)
	v_mul_f64 v[208:209], v[204:205], v[206:207]
	v_xor_b32_e32 v207, 0x80000000, v207
.LBB99_113:
	s_and_not1_saveexec_b32 s3, s3
	s_cbranch_execz .LBB99_115
; %bb.114:
	v_div_scale_f64 v[204:205], null, v[200:201], v[200:201], v[202:203]
	v_div_scale_f64 v[210:211], vcc_lo, v[202:203], v[200:201], v[202:203]
	s_delay_alu instid0(VALU_DEP_2) | instskip(SKIP_2) | instid1(VALU_DEP_1)
	v_rcp_f64_e32 v[206:207], v[204:205]
	s_waitcnt_depctr 0xfff
	v_fma_f64 v[208:209], -v[204:205], v[206:207], 1.0
	v_fma_f64 v[206:207], v[206:207], v[208:209], v[206:207]
	s_delay_alu instid0(VALU_DEP_1) | instskip(NEXT) | instid1(VALU_DEP_1)
	v_fma_f64 v[208:209], -v[204:205], v[206:207], 1.0
	v_fma_f64 v[206:207], v[206:207], v[208:209], v[206:207]
	s_delay_alu instid0(VALU_DEP_1) | instskip(NEXT) | instid1(VALU_DEP_1)
	v_mul_f64 v[208:209], v[210:211], v[206:207]
	v_fma_f64 v[204:205], -v[204:205], v[208:209], v[210:211]
	s_delay_alu instid0(VALU_DEP_1) | instskip(NEXT) | instid1(VALU_DEP_1)
	v_div_fmas_f64 v[204:205], v[204:205], v[206:207], v[208:209]
	v_div_fixup_f64 v[204:205], v[204:205], v[200:201], v[202:203]
	s_delay_alu instid0(VALU_DEP_1) | instskip(NEXT) | instid1(VALU_DEP_1)
	v_fma_f64 v[200:201], v[202:203], v[204:205], v[200:201]
	v_div_scale_f64 v[202:203], null, v[200:201], v[200:201], 1.0
	s_delay_alu instid0(VALU_DEP_1) | instskip(SKIP_2) | instid1(VALU_DEP_1)
	v_rcp_f64_e32 v[206:207], v[202:203]
	s_waitcnt_depctr 0xfff
	v_fma_f64 v[208:209], -v[202:203], v[206:207], 1.0
	v_fma_f64 v[206:207], v[206:207], v[208:209], v[206:207]
	s_delay_alu instid0(VALU_DEP_1) | instskip(NEXT) | instid1(VALU_DEP_1)
	v_fma_f64 v[208:209], -v[202:203], v[206:207], 1.0
	v_fma_f64 v[206:207], v[206:207], v[208:209], v[206:207]
	v_div_scale_f64 v[208:209], vcc_lo, 1.0, v[200:201], 1.0
	s_delay_alu instid0(VALU_DEP_1) | instskip(NEXT) | instid1(VALU_DEP_1)
	v_mul_f64 v[210:211], v[208:209], v[206:207]
	v_fma_f64 v[202:203], -v[202:203], v[210:211], v[208:209]
	s_delay_alu instid0(VALU_DEP_1) | instskip(NEXT) | instid1(VALU_DEP_1)
	v_div_fmas_f64 v[202:203], v[202:203], v[206:207], v[210:211]
	v_div_fixup_f64 v[208:209], v[202:203], v[200:201], 1.0
	s_delay_alu instid0(VALU_DEP_1)
	v_mul_f64 v[206:207], v[204:205], -v[208:209]
.LBB99_115:
	s_or_b32 exec_lo, exec_lo, s3
	ds_store_2addr_b64 v235, v[208:209], v[206:207] offset1:1
.LBB99_116:
	s_or_b32 exec_lo, exec_lo, s4
	s_waitcnt lgkmcnt(0)
	s_barrier
	buffer_gl0_inv
	ds_load_2addr_b64 v[200:203], v235 offset1:1
	s_mov_b32 s3, exec_lo
	s_waitcnt lgkmcnt(0)
	scratch_store_b128 off, v[200:203], off offset:576 ; 16-byte Folded Spill
	v_cmpx_lt_u32_e32 12, v234
	s_cbranch_execz .LBB99_118
; %bb.117:
	scratch_load_b128 v[202:205], off, off offset:576 ; 16-byte Folded Reload
	s_waitcnt vmcnt(0)
	v_mul_f64 v[200:201], v[204:205], v[150:151]
	v_mul_f64 v[150:151], v[202:203], v[150:151]
	s_delay_alu instid0(VALU_DEP_2) | instskip(NEXT) | instid1(VALU_DEP_2)
	v_fma_f64 v[200:201], v[202:203], v[148:149], -v[200:201]
	v_fma_f64 v[150:151], v[204:205], v[148:149], v[150:151]
	ds_load_2addr_b64 v[202:205], v236 offset0:26 offset1:27
	s_waitcnt lgkmcnt(0)
	v_mul_f64 v[148:149], v[204:205], v[150:151]
	s_delay_alu instid0(VALU_DEP_1) | instskip(SKIP_1) | instid1(VALU_DEP_2)
	v_fma_f64 v[148:149], v[202:203], v[200:201], -v[148:149]
	v_mul_f64 v[202:203], v[202:203], v[150:151]
	v_add_f64 v[144:145], v[144:145], -v[148:149]
	s_delay_alu instid0(VALU_DEP_2) | instskip(NEXT) | instid1(VALU_DEP_1)
	v_fma_f64 v[202:203], v[204:205], v[200:201], v[202:203]
	v_add_f64 v[146:147], v[146:147], -v[202:203]
	ds_load_2addr_b64 v[202:205], v236 offset0:28 offset1:29
	s_waitcnt lgkmcnt(0)
	v_mul_f64 v[148:149], v[204:205], v[150:151]
	s_delay_alu instid0(VALU_DEP_1) | instskip(SKIP_1) | instid1(VALU_DEP_2)
	v_fma_f64 v[148:149], v[202:203], v[200:201], -v[148:149]
	v_mul_f64 v[202:203], v[202:203], v[150:151]
	v_add_f64 v[140:141], v[140:141], -v[148:149]
	s_delay_alu instid0(VALU_DEP_2) | instskip(NEXT) | instid1(VALU_DEP_1)
	v_fma_f64 v[202:203], v[204:205], v[200:201], v[202:203]
	v_add_f64 v[142:143], v[142:143], -v[202:203]
	;; [unrolled: 10-line block ×36, first 2 shown]
	ds_load_2addr_b64 v[202:205], v236 offset0:98 offset1:99
	s_waitcnt lgkmcnt(0)
	v_mul_f64 v[148:149], v[204:205], v[150:151]
	s_delay_alu instid0(VALU_DEP_1) | instskip(SKIP_1) | instid1(VALU_DEP_2)
	v_fma_f64 v[148:149], v[202:203], v[200:201], -v[148:149]
	v_mul_f64 v[202:203], v[202:203], v[150:151]
	v_add_f64 v[0:1], v[0:1], -v[148:149]
	s_delay_alu instid0(VALU_DEP_2) | instskip(SKIP_1) | instid1(VALU_DEP_2)
	v_fma_f64 v[202:203], v[204:205], v[200:201], v[202:203]
	v_dual_mov_b32 v148, v200 :: v_dual_mov_b32 v149, v201
	v_add_f64 v[2:3], v[2:3], -v[202:203]
.LBB99_118:
	s_or_b32 exec_lo, exec_lo, s3
	s_delay_alu instid0(SALU_CYCLE_1)
	s_mov_b32 s4, exec_lo
	s_waitcnt_vscnt null, 0x0
	s_barrier
	buffer_gl0_inv
	v_cmpx_eq_u32_e32 13, v234
	s_cbranch_execz .LBB99_125
; %bb.119:
	ds_store_2addr_b64 v235, v[144:145], v[146:147] offset1:1
	ds_store_2addr_b64 v236, v[140:141], v[142:143] offset0:28 offset1:29
	ds_store_2addr_b64 v236, v[136:137], v[138:139] offset0:30 offset1:31
	;; [unrolled: 1-line block ×36, first 2 shown]
	ds_load_2addr_b64 v[200:203], v235 offset1:1
	s_waitcnt lgkmcnt(0)
	v_cmp_neq_f64_e32 vcc_lo, 0, v[200:201]
	v_cmp_neq_f64_e64 s3, 0, v[202:203]
	s_delay_alu instid0(VALU_DEP_1) | instskip(NEXT) | instid1(SALU_CYCLE_1)
	s_or_b32 s3, vcc_lo, s3
	s_and_b32 exec_lo, exec_lo, s3
	s_cbranch_execz .LBB99_125
; %bb.120:
	v_cmp_gt_f64_e32 vcc_lo, 0, v[200:201]
	v_xor_b32_e32 v204, 0x80000000, v201
	v_xor_b32_e32 v206, 0x80000000, v203
	s_mov_b32 s3, exec_lo
                                        ; implicit-def: $vgpr208_vgpr209
	s_delay_alu instid0(VALU_DEP_2) | instskip(SKIP_4) | instid1(VALU_DEP_1)
	v_cndmask_b32_e32 v205, v201, v204, vcc_lo
	v_cndmask_b32_e32 v204, v200, v200, vcc_lo
	v_cmp_gt_f64_e32 vcc_lo, 0, v[202:203]
	v_cndmask_b32_e32 v207, v203, v206, vcc_lo
	v_cndmask_b32_e32 v206, v202, v202, vcc_lo
	v_cmpx_ngt_f64_e32 v[204:205], v[206:207]
	s_xor_b32 s3, exec_lo, s3
                                        ; implicit-def: $vgpr204_vgpr205_vgpr206_vgpr207
	s_cbranch_execz .LBB99_122
; %bb.121:
	v_div_scale_f64 v[204:205], null, v[202:203], v[202:203], v[200:201]
	v_div_scale_f64 v[210:211], vcc_lo, v[200:201], v[202:203], v[200:201]
	s_delay_alu instid0(VALU_DEP_2) | instskip(SKIP_2) | instid1(VALU_DEP_1)
	v_rcp_f64_e32 v[206:207], v[204:205]
	s_waitcnt_depctr 0xfff
	v_fma_f64 v[208:209], -v[204:205], v[206:207], 1.0
	v_fma_f64 v[206:207], v[206:207], v[208:209], v[206:207]
	s_delay_alu instid0(VALU_DEP_1) | instskip(NEXT) | instid1(VALU_DEP_1)
	v_fma_f64 v[208:209], -v[204:205], v[206:207], 1.0
	v_fma_f64 v[206:207], v[206:207], v[208:209], v[206:207]
	s_delay_alu instid0(VALU_DEP_1) | instskip(NEXT) | instid1(VALU_DEP_1)
	v_mul_f64 v[208:209], v[210:211], v[206:207]
	v_fma_f64 v[204:205], -v[204:205], v[208:209], v[210:211]
	s_delay_alu instid0(VALU_DEP_1) | instskip(NEXT) | instid1(VALU_DEP_1)
	v_div_fmas_f64 v[204:205], v[204:205], v[206:207], v[208:209]
	v_div_fixup_f64 v[204:205], v[204:205], v[202:203], v[200:201]
	s_delay_alu instid0(VALU_DEP_1) | instskip(NEXT) | instid1(VALU_DEP_1)
	v_fma_f64 v[200:201], v[200:201], v[204:205], v[202:203]
	v_div_scale_f64 v[202:203], null, v[200:201], v[200:201], 1.0
	s_delay_alu instid0(VALU_DEP_1) | instskip(SKIP_2) | instid1(VALU_DEP_1)
	v_rcp_f64_e32 v[206:207], v[202:203]
	s_waitcnt_depctr 0xfff
	v_fma_f64 v[208:209], -v[202:203], v[206:207], 1.0
	v_fma_f64 v[206:207], v[206:207], v[208:209], v[206:207]
	s_delay_alu instid0(VALU_DEP_1) | instskip(NEXT) | instid1(VALU_DEP_1)
	v_fma_f64 v[208:209], -v[202:203], v[206:207], 1.0
	v_fma_f64 v[206:207], v[206:207], v[208:209], v[206:207]
	v_div_scale_f64 v[208:209], vcc_lo, 1.0, v[200:201], 1.0
	s_delay_alu instid0(VALU_DEP_1) | instskip(NEXT) | instid1(VALU_DEP_1)
	v_mul_f64 v[210:211], v[208:209], v[206:207]
	v_fma_f64 v[202:203], -v[202:203], v[210:211], v[208:209]
	s_delay_alu instid0(VALU_DEP_1) | instskip(NEXT) | instid1(VALU_DEP_1)
	v_div_fmas_f64 v[202:203], v[202:203], v[206:207], v[210:211]
	v_div_fixup_f64 v[206:207], v[202:203], v[200:201], 1.0
                                        ; implicit-def: $vgpr200_vgpr201
	s_delay_alu instid0(VALU_DEP_1)
	v_mul_f64 v[208:209], v[204:205], v[206:207]
	v_xor_b32_e32 v207, 0x80000000, v207
.LBB99_122:
	s_and_not1_saveexec_b32 s3, s3
	s_cbranch_execz .LBB99_124
; %bb.123:
	v_div_scale_f64 v[204:205], null, v[200:201], v[200:201], v[202:203]
	v_div_scale_f64 v[210:211], vcc_lo, v[202:203], v[200:201], v[202:203]
	s_delay_alu instid0(VALU_DEP_2) | instskip(SKIP_2) | instid1(VALU_DEP_1)
	v_rcp_f64_e32 v[206:207], v[204:205]
	s_waitcnt_depctr 0xfff
	v_fma_f64 v[208:209], -v[204:205], v[206:207], 1.0
	v_fma_f64 v[206:207], v[206:207], v[208:209], v[206:207]
	s_delay_alu instid0(VALU_DEP_1) | instskip(NEXT) | instid1(VALU_DEP_1)
	v_fma_f64 v[208:209], -v[204:205], v[206:207], 1.0
	v_fma_f64 v[206:207], v[206:207], v[208:209], v[206:207]
	s_delay_alu instid0(VALU_DEP_1) | instskip(NEXT) | instid1(VALU_DEP_1)
	v_mul_f64 v[208:209], v[210:211], v[206:207]
	v_fma_f64 v[204:205], -v[204:205], v[208:209], v[210:211]
	s_delay_alu instid0(VALU_DEP_1) | instskip(NEXT) | instid1(VALU_DEP_1)
	v_div_fmas_f64 v[204:205], v[204:205], v[206:207], v[208:209]
	v_div_fixup_f64 v[204:205], v[204:205], v[200:201], v[202:203]
	s_delay_alu instid0(VALU_DEP_1) | instskip(NEXT) | instid1(VALU_DEP_1)
	v_fma_f64 v[200:201], v[202:203], v[204:205], v[200:201]
	v_div_scale_f64 v[202:203], null, v[200:201], v[200:201], 1.0
	s_delay_alu instid0(VALU_DEP_1) | instskip(SKIP_2) | instid1(VALU_DEP_1)
	v_rcp_f64_e32 v[206:207], v[202:203]
	s_waitcnt_depctr 0xfff
	v_fma_f64 v[208:209], -v[202:203], v[206:207], 1.0
	v_fma_f64 v[206:207], v[206:207], v[208:209], v[206:207]
	s_delay_alu instid0(VALU_DEP_1) | instskip(NEXT) | instid1(VALU_DEP_1)
	v_fma_f64 v[208:209], -v[202:203], v[206:207], 1.0
	v_fma_f64 v[206:207], v[206:207], v[208:209], v[206:207]
	v_div_scale_f64 v[208:209], vcc_lo, 1.0, v[200:201], 1.0
	s_delay_alu instid0(VALU_DEP_1) | instskip(NEXT) | instid1(VALU_DEP_1)
	v_mul_f64 v[210:211], v[208:209], v[206:207]
	v_fma_f64 v[202:203], -v[202:203], v[210:211], v[208:209]
	s_delay_alu instid0(VALU_DEP_1) | instskip(NEXT) | instid1(VALU_DEP_1)
	v_div_fmas_f64 v[202:203], v[202:203], v[206:207], v[210:211]
	v_div_fixup_f64 v[208:209], v[202:203], v[200:201], 1.0
	s_delay_alu instid0(VALU_DEP_1)
	v_mul_f64 v[206:207], v[204:205], -v[208:209]
.LBB99_124:
	s_or_b32 exec_lo, exec_lo, s3
	ds_store_2addr_b64 v235, v[208:209], v[206:207] offset1:1
.LBB99_125:
	s_or_b32 exec_lo, exec_lo, s4
	s_waitcnt lgkmcnt(0)
	s_barrier
	buffer_gl0_inv
	ds_load_2addr_b64 v[200:203], v235 offset1:1
	s_mov_b32 s3, exec_lo
	s_waitcnt lgkmcnt(0)
	scratch_store_b128 off, v[200:203], off offset:592 ; 16-byte Folded Spill
	v_cmpx_lt_u32_e32 13, v234
	s_cbranch_execz .LBB99_127
; %bb.126:
	scratch_load_b128 v[202:205], off, off offset:592 ; 16-byte Folded Reload
	s_waitcnt vmcnt(0)
	v_mul_f64 v[200:201], v[204:205], v[146:147]
	v_mul_f64 v[146:147], v[202:203], v[146:147]
	s_delay_alu instid0(VALU_DEP_2) | instskip(NEXT) | instid1(VALU_DEP_2)
	v_fma_f64 v[200:201], v[202:203], v[144:145], -v[200:201]
	v_fma_f64 v[146:147], v[204:205], v[144:145], v[146:147]
	ds_load_2addr_b64 v[202:205], v236 offset0:28 offset1:29
	s_waitcnt lgkmcnt(0)
	v_mul_f64 v[144:145], v[204:205], v[146:147]
	s_delay_alu instid0(VALU_DEP_1) | instskip(SKIP_1) | instid1(VALU_DEP_2)
	v_fma_f64 v[144:145], v[202:203], v[200:201], -v[144:145]
	v_mul_f64 v[202:203], v[202:203], v[146:147]
	v_add_f64 v[140:141], v[140:141], -v[144:145]
	s_delay_alu instid0(VALU_DEP_2) | instskip(NEXT) | instid1(VALU_DEP_1)
	v_fma_f64 v[202:203], v[204:205], v[200:201], v[202:203]
	v_add_f64 v[142:143], v[142:143], -v[202:203]
	ds_load_2addr_b64 v[202:205], v236 offset0:30 offset1:31
	s_waitcnt lgkmcnt(0)
	v_mul_f64 v[144:145], v[204:205], v[146:147]
	s_delay_alu instid0(VALU_DEP_1) | instskip(SKIP_1) | instid1(VALU_DEP_2)
	v_fma_f64 v[144:145], v[202:203], v[200:201], -v[144:145]
	v_mul_f64 v[202:203], v[202:203], v[146:147]
	v_add_f64 v[136:137], v[136:137], -v[144:145]
	s_delay_alu instid0(VALU_DEP_2) | instskip(NEXT) | instid1(VALU_DEP_1)
	v_fma_f64 v[202:203], v[204:205], v[200:201], v[202:203]
	v_add_f64 v[138:139], v[138:139], -v[202:203]
	;; [unrolled: 10-line block ×35, first 2 shown]
	ds_load_2addr_b64 v[202:205], v236 offset0:98 offset1:99
	s_waitcnt lgkmcnt(0)
	v_mul_f64 v[144:145], v[204:205], v[146:147]
	s_delay_alu instid0(VALU_DEP_1) | instskip(SKIP_1) | instid1(VALU_DEP_2)
	v_fma_f64 v[144:145], v[202:203], v[200:201], -v[144:145]
	v_mul_f64 v[202:203], v[202:203], v[146:147]
	v_add_f64 v[0:1], v[0:1], -v[144:145]
	s_delay_alu instid0(VALU_DEP_2) | instskip(SKIP_1) | instid1(VALU_DEP_2)
	v_fma_f64 v[202:203], v[204:205], v[200:201], v[202:203]
	v_dual_mov_b32 v144, v200 :: v_dual_mov_b32 v145, v201
	v_add_f64 v[2:3], v[2:3], -v[202:203]
.LBB99_127:
	s_or_b32 exec_lo, exec_lo, s3
	s_delay_alu instid0(SALU_CYCLE_1)
	s_mov_b32 s4, exec_lo
	s_waitcnt_vscnt null, 0x0
	s_barrier
	buffer_gl0_inv
	v_cmpx_eq_u32_e32 14, v234
	s_cbranch_execz .LBB99_134
; %bb.128:
	ds_store_2addr_b64 v235, v[140:141], v[142:143] offset1:1
	ds_store_2addr_b64 v236, v[136:137], v[138:139] offset0:30 offset1:31
	ds_store_2addr_b64 v236, v[132:133], v[134:135] offset0:32 offset1:33
	;; [unrolled: 1-line block ×35, first 2 shown]
	ds_load_2addr_b64 v[200:203], v235 offset1:1
	s_waitcnt lgkmcnt(0)
	v_cmp_neq_f64_e32 vcc_lo, 0, v[200:201]
	v_cmp_neq_f64_e64 s3, 0, v[202:203]
	s_delay_alu instid0(VALU_DEP_1) | instskip(NEXT) | instid1(SALU_CYCLE_1)
	s_or_b32 s3, vcc_lo, s3
	s_and_b32 exec_lo, exec_lo, s3
	s_cbranch_execz .LBB99_134
; %bb.129:
	v_cmp_gt_f64_e32 vcc_lo, 0, v[200:201]
	v_xor_b32_e32 v204, 0x80000000, v201
	v_xor_b32_e32 v206, 0x80000000, v203
	s_mov_b32 s3, exec_lo
                                        ; implicit-def: $vgpr208_vgpr209
	s_delay_alu instid0(VALU_DEP_2) | instskip(SKIP_4) | instid1(VALU_DEP_1)
	v_cndmask_b32_e32 v205, v201, v204, vcc_lo
	v_cndmask_b32_e32 v204, v200, v200, vcc_lo
	v_cmp_gt_f64_e32 vcc_lo, 0, v[202:203]
	v_cndmask_b32_e32 v207, v203, v206, vcc_lo
	v_cndmask_b32_e32 v206, v202, v202, vcc_lo
	v_cmpx_ngt_f64_e32 v[204:205], v[206:207]
	s_xor_b32 s3, exec_lo, s3
                                        ; implicit-def: $vgpr204_vgpr205_vgpr206_vgpr207
	s_cbranch_execz .LBB99_131
; %bb.130:
	v_div_scale_f64 v[204:205], null, v[202:203], v[202:203], v[200:201]
	v_div_scale_f64 v[210:211], vcc_lo, v[200:201], v[202:203], v[200:201]
	s_delay_alu instid0(VALU_DEP_2) | instskip(SKIP_2) | instid1(VALU_DEP_1)
	v_rcp_f64_e32 v[206:207], v[204:205]
	s_waitcnt_depctr 0xfff
	v_fma_f64 v[208:209], -v[204:205], v[206:207], 1.0
	v_fma_f64 v[206:207], v[206:207], v[208:209], v[206:207]
	s_delay_alu instid0(VALU_DEP_1) | instskip(NEXT) | instid1(VALU_DEP_1)
	v_fma_f64 v[208:209], -v[204:205], v[206:207], 1.0
	v_fma_f64 v[206:207], v[206:207], v[208:209], v[206:207]
	s_delay_alu instid0(VALU_DEP_1) | instskip(NEXT) | instid1(VALU_DEP_1)
	v_mul_f64 v[208:209], v[210:211], v[206:207]
	v_fma_f64 v[204:205], -v[204:205], v[208:209], v[210:211]
	s_delay_alu instid0(VALU_DEP_1) | instskip(NEXT) | instid1(VALU_DEP_1)
	v_div_fmas_f64 v[204:205], v[204:205], v[206:207], v[208:209]
	v_div_fixup_f64 v[204:205], v[204:205], v[202:203], v[200:201]
	s_delay_alu instid0(VALU_DEP_1) | instskip(NEXT) | instid1(VALU_DEP_1)
	v_fma_f64 v[200:201], v[200:201], v[204:205], v[202:203]
	v_div_scale_f64 v[202:203], null, v[200:201], v[200:201], 1.0
	s_delay_alu instid0(VALU_DEP_1) | instskip(SKIP_2) | instid1(VALU_DEP_1)
	v_rcp_f64_e32 v[206:207], v[202:203]
	s_waitcnt_depctr 0xfff
	v_fma_f64 v[208:209], -v[202:203], v[206:207], 1.0
	v_fma_f64 v[206:207], v[206:207], v[208:209], v[206:207]
	s_delay_alu instid0(VALU_DEP_1) | instskip(NEXT) | instid1(VALU_DEP_1)
	v_fma_f64 v[208:209], -v[202:203], v[206:207], 1.0
	v_fma_f64 v[206:207], v[206:207], v[208:209], v[206:207]
	v_div_scale_f64 v[208:209], vcc_lo, 1.0, v[200:201], 1.0
	s_delay_alu instid0(VALU_DEP_1) | instskip(NEXT) | instid1(VALU_DEP_1)
	v_mul_f64 v[210:211], v[208:209], v[206:207]
	v_fma_f64 v[202:203], -v[202:203], v[210:211], v[208:209]
	s_delay_alu instid0(VALU_DEP_1) | instskip(NEXT) | instid1(VALU_DEP_1)
	v_div_fmas_f64 v[202:203], v[202:203], v[206:207], v[210:211]
	v_div_fixup_f64 v[206:207], v[202:203], v[200:201], 1.0
                                        ; implicit-def: $vgpr200_vgpr201
	s_delay_alu instid0(VALU_DEP_1)
	v_mul_f64 v[208:209], v[204:205], v[206:207]
	v_xor_b32_e32 v207, 0x80000000, v207
.LBB99_131:
	s_and_not1_saveexec_b32 s3, s3
	s_cbranch_execz .LBB99_133
; %bb.132:
	v_div_scale_f64 v[204:205], null, v[200:201], v[200:201], v[202:203]
	v_div_scale_f64 v[210:211], vcc_lo, v[202:203], v[200:201], v[202:203]
	s_delay_alu instid0(VALU_DEP_2) | instskip(SKIP_2) | instid1(VALU_DEP_1)
	v_rcp_f64_e32 v[206:207], v[204:205]
	s_waitcnt_depctr 0xfff
	v_fma_f64 v[208:209], -v[204:205], v[206:207], 1.0
	v_fma_f64 v[206:207], v[206:207], v[208:209], v[206:207]
	s_delay_alu instid0(VALU_DEP_1) | instskip(NEXT) | instid1(VALU_DEP_1)
	v_fma_f64 v[208:209], -v[204:205], v[206:207], 1.0
	v_fma_f64 v[206:207], v[206:207], v[208:209], v[206:207]
	s_delay_alu instid0(VALU_DEP_1) | instskip(NEXT) | instid1(VALU_DEP_1)
	v_mul_f64 v[208:209], v[210:211], v[206:207]
	v_fma_f64 v[204:205], -v[204:205], v[208:209], v[210:211]
	s_delay_alu instid0(VALU_DEP_1) | instskip(NEXT) | instid1(VALU_DEP_1)
	v_div_fmas_f64 v[204:205], v[204:205], v[206:207], v[208:209]
	v_div_fixup_f64 v[204:205], v[204:205], v[200:201], v[202:203]
	s_delay_alu instid0(VALU_DEP_1) | instskip(NEXT) | instid1(VALU_DEP_1)
	v_fma_f64 v[200:201], v[202:203], v[204:205], v[200:201]
	v_div_scale_f64 v[202:203], null, v[200:201], v[200:201], 1.0
	s_delay_alu instid0(VALU_DEP_1) | instskip(SKIP_2) | instid1(VALU_DEP_1)
	v_rcp_f64_e32 v[206:207], v[202:203]
	s_waitcnt_depctr 0xfff
	v_fma_f64 v[208:209], -v[202:203], v[206:207], 1.0
	v_fma_f64 v[206:207], v[206:207], v[208:209], v[206:207]
	s_delay_alu instid0(VALU_DEP_1) | instskip(NEXT) | instid1(VALU_DEP_1)
	v_fma_f64 v[208:209], -v[202:203], v[206:207], 1.0
	v_fma_f64 v[206:207], v[206:207], v[208:209], v[206:207]
	v_div_scale_f64 v[208:209], vcc_lo, 1.0, v[200:201], 1.0
	s_delay_alu instid0(VALU_DEP_1) | instskip(NEXT) | instid1(VALU_DEP_1)
	v_mul_f64 v[210:211], v[208:209], v[206:207]
	v_fma_f64 v[202:203], -v[202:203], v[210:211], v[208:209]
	s_delay_alu instid0(VALU_DEP_1) | instskip(NEXT) | instid1(VALU_DEP_1)
	v_div_fmas_f64 v[202:203], v[202:203], v[206:207], v[210:211]
	v_div_fixup_f64 v[208:209], v[202:203], v[200:201], 1.0
	s_delay_alu instid0(VALU_DEP_1)
	v_mul_f64 v[206:207], v[204:205], -v[208:209]
.LBB99_133:
	s_or_b32 exec_lo, exec_lo, s3
	ds_store_2addr_b64 v235, v[208:209], v[206:207] offset1:1
.LBB99_134:
	s_or_b32 exec_lo, exec_lo, s4
	s_waitcnt lgkmcnt(0)
	s_barrier
	buffer_gl0_inv
	ds_load_2addr_b64 v[200:203], v235 offset1:1
	s_mov_b32 s3, exec_lo
	s_waitcnt lgkmcnt(0)
	scratch_store_b128 off, v[200:203], off offset:608 ; 16-byte Folded Spill
	v_cmpx_lt_u32_e32 14, v234
	s_cbranch_execz .LBB99_136
; %bb.135:
	scratch_load_b128 v[202:205], off, off offset:608 ; 16-byte Folded Reload
	s_waitcnt vmcnt(0)
	v_mul_f64 v[200:201], v[204:205], v[142:143]
	v_mul_f64 v[142:143], v[202:203], v[142:143]
	s_delay_alu instid0(VALU_DEP_2) | instskip(NEXT) | instid1(VALU_DEP_2)
	v_fma_f64 v[200:201], v[202:203], v[140:141], -v[200:201]
	v_fma_f64 v[142:143], v[204:205], v[140:141], v[142:143]
	ds_load_2addr_b64 v[202:205], v236 offset0:30 offset1:31
	s_waitcnt lgkmcnt(0)
	v_mul_f64 v[140:141], v[204:205], v[142:143]
	s_delay_alu instid0(VALU_DEP_1) | instskip(SKIP_1) | instid1(VALU_DEP_2)
	v_fma_f64 v[140:141], v[202:203], v[200:201], -v[140:141]
	v_mul_f64 v[202:203], v[202:203], v[142:143]
	v_add_f64 v[136:137], v[136:137], -v[140:141]
	s_delay_alu instid0(VALU_DEP_2) | instskip(NEXT) | instid1(VALU_DEP_1)
	v_fma_f64 v[202:203], v[204:205], v[200:201], v[202:203]
	v_add_f64 v[138:139], v[138:139], -v[202:203]
	ds_load_2addr_b64 v[202:205], v236 offset0:32 offset1:33
	s_waitcnt lgkmcnt(0)
	v_mul_f64 v[140:141], v[204:205], v[142:143]
	s_delay_alu instid0(VALU_DEP_1) | instskip(SKIP_1) | instid1(VALU_DEP_2)
	v_fma_f64 v[140:141], v[202:203], v[200:201], -v[140:141]
	v_mul_f64 v[202:203], v[202:203], v[142:143]
	v_add_f64 v[132:133], v[132:133], -v[140:141]
	s_delay_alu instid0(VALU_DEP_2) | instskip(NEXT) | instid1(VALU_DEP_1)
	v_fma_f64 v[202:203], v[204:205], v[200:201], v[202:203]
	v_add_f64 v[134:135], v[134:135], -v[202:203]
	;; [unrolled: 10-line block ×34, first 2 shown]
	ds_load_2addr_b64 v[202:205], v236 offset0:98 offset1:99
	s_waitcnt lgkmcnt(0)
	v_mul_f64 v[140:141], v[204:205], v[142:143]
	s_delay_alu instid0(VALU_DEP_1) | instskip(SKIP_1) | instid1(VALU_DEP_2)
	v_fma_f64 v[140:141], v[202:203], v[200:201], -v[140:141]
	v_mul_f64 v[202:203], v[202:203], v[142:143]
	v_add_f64 v[0:1], v[0:1], -v[140:141]
	s_delay_alu instid0(VALU_DEP_2) | instskip(SKIP_1) | instid1(VALU_DEP_2)
	v_fma_f64 v[202:203], v[204:205], v[200:201], v[202:203]
	v_dual_mov_b32 v140, v200 :: v_dual_mov_b32 v141, v201
	v_add_f64 v[2:3], v[2:3], -v[202:203]
.LBB99_136:
	s_or_b32 exec_lo, exec_lo, s3
	s_delay_alu instid0(SALU_CYCLE_1)
	s_mov_b32 s4, exec_lo
	s_waitcnt_vscnt null, 0x0
	s_barrier
	buffer_gl0_inv
	v_cmpx_eq_u32_e32 15, v234
	s_cbranch_execz .LBB99_143
; %bb.137:
	ds_store_2addr_b64 v235, v[136:137], v[138:139] offset1:1
	ds_store_2addr_b64 v236, v[132:133], v[134:135] offset0:32 offset1:33
	ds_store_2addr_b64 v236, v[128:129], v[130:131] offset0:34 offset1:35
	ds_store_2addr_b64 v236, v[124:125], v[126:127] offset0:36 offset1:37
	ds_store_2addr_b64 v236, v[120:121], v[122:123] offset0:38 offset1:39
	ds_store_2addr_b64 v236, v[116:117], v[118:119] offset0:40 offset1:41
	ds_store_2addr_b64 v236, v[112:113], v[114:115] offset0:42 offset1:43
	ds_store_2addr_b64 v236, v[108:109], v[110:111] offset0:44 offset1:45
	ds_store_2addr_b64 v236, v[104:105], v[106:107] offset0:46 offset1:47
	ds_store_2addr_b64 v236, v[100:101], v[102:103] offset0:48 offset1:49
	ds_store_2addr_b64 v236, v[96:97], v[98:99] offset0:50 offset1:51
	ds_store_2addr_b64 v236, v[92:93], v[94:95] offset0:52 offset1:53
	ds_store_2addr_b64 v236, v[88:89], v[90:91] offset0:54 offset1:55
	ds_store_2addr_b64 v236, v[84:85], v[86:87] offset0:56 offset1:57
	ds_store_2addr_b64 v236, v[80:81], v[82:83] offset0:58 offset1:59
	ds_store_2addr_b64 v236, v[76:77], v[78:79] offset0:60 offset1:61
	ds_store_2addr_b64 v236, v[72:73], v[74:75] offset0:62 offset1:63
	ds_store_2addr_b64 v236, v[68:69], v[70:71] offset0:64 offset1:65
	ds_store_2addr_b64 v236, v[64:65], v[66:67] offset0:66 offset1:67
	ds_store_2addr_b64 v236, v[60:61], v[62:63] offset0:68 offset1:69
	ds_store_2addr_b64 v236, v[56:57], v[58:59] offset0:70 offset1:71
	ds_store_2addr_b64 v236, v[52:53], v[54:55] offset0:72 offset1:73
	ds_store_2addr_b64 v236, v[48:49], v[50:51] offset0:74 offset1:75
	ds_store_2addr_b64 v236, v[44:45], v[46:47] offset0:76 offset1:77
	ds_store_2addr_b64 v236, v[40:41], v[42:43] offset0:78 offset1:79
	ds_store_2addr_b64 v236, v[36:37], v[38:39] offset0:80 offset1:81
	ds_store_2addr_b64 v236, v[32:33], v[34:35] offset0:82 offset1:83
	ds_store_2addr_b64 v236, v[28:29], v[30:31] offset0:84 offset1:85
	ds_store_2addr_b64 v236, v[24:25], v[26:27] offset0:86 offset1:87
	ds_store_2addr_b64 v236, v[20:21], v[22:23] offset0:88 offset1:89
	ds_store_2addr_b64 v236, v[16:17], v[18:19] offset0:90 offset1:91
	ds_store_2addr_b64 v236, v[12:13], v[14:15] offset0:92 offset1:93
	ds_store_2addr_b64 v236, v[8:9], v[10:11] offset0:94 offset1:95
	ds_store_2addr_b64 v236, v[4:5], v[6:7] offset0:96 offset1:97
	ds_store_2addr_b64 v236, v[0:1], v[2:3] offset0:98 offset1:99
	ds_load_2addr_b64 v[200:203], v235 offset1:1
	s_waitcnt lgkmcnt(0)
	v_cmp_neq_f64_e32 vcc_lo, 0, v[200:201]
	v_cmp_neq_f64_e64 s3, 0, v[202:203]
	s_delay_alu instid0(VALU_DEP_1) | instskip(NEXT) | instid1(SALU_CYCLE_1)
	s_or_b32 s3, vcc_lo, s3
	s_and_b32 exec_lo, exec_lo, s3
	s_cbranch_execz .LBB99_143
; %bb.138:
	v_cmp_gt_f64_e32 vcc_lo, 0, v[200:201]
	v_xor_b32_e32 v204, 0x80000000, v201
	v_xor_b32_e32 v206, 0x80000000, v203
	s_mov_b32 s3, exec_lo
                                        ; implicit-def: $vgpr208_vgpr209
	s_delay_alu instid0(VALU_DEP_2) | instskip(SKIP_4) | instid1(VALU_DEP_1)
	v_cndmask_b32_e32 v205, v201, v204, vcc_lo
	v_cndmask_b32_e32 v204, v200, v200, vcc_lo
	v_cmp_gt_f64_e32 vcc_lo, 0, v[202:203]
	v_cndmask_b32_e32 v207, v203, v206, vcc_lo
	v_cndmask_b32_e32 v206, v202, v202, vcc_lo
	v_cmpx_ngt_f64_e32 v[204:205], v[206:207]
	s_xor_b32 s3, exec_lo, s3
                                        ; implicit-def: $vgpr204_vgpr205_vgpr206_vgpr207
	s_cbranch_execz .LBB99_140
; %bb.139:
	v_div_scale_f64 v[204:205], null, v[202:203], v[202:203], v[200:201]
	v_div_scale_f64 v[210:211], vcc_lo, v[200:201], v[202:203], v[200:201]
	s_delay_alu instid0(VALU_DEP_2) | instskip(SKIP_2) | instid1(VALU_DEP_1)
	v_rcp_f64_e32 v[206:207], v[204:205]
	s_waitcnt_depctr 0xfff
	v_fma_f64 v[208:209], -v[204:205], v[206:207], 1.0
	v_fma_f64 v[206:207], v[206:207], v[208:209], v[206:207]
	s_delay_alu instid0(VALU_DEP_1) | instskip(NEXT) | instid1(VALU_DEP_1)
	v_fma_f64 v[208:209], -v[204:205], v[206:207], 1.0
	v_fma_f64 v[206:207], v[206:207], v[208:209], v[206:207]
	s_delay_alu instid0(VALU_DEP_1) | instskip(NEXT) | instid1(VALU_DEP_1)
	v_mul_f64 v[208:209], v[210:211], v[206:207]
	v_fma_f64 v[204:205], -v[204:205], v[208:209], v[210:211]
	s_delay_alu instid0(VALU_DEP_1) | instskip(NEXT) | instid1(VALU_DEP_1)
	v_div_fmas_f64 v[204:205], v[204:205], v[206:207], v[208:209]
	v_div_fixup_f64 v[204:205], v[204:205], v[202:203], v[200:201]
	s_delay_alu instid0(VALU_DEP_1) | instskip(NEXT) | instid1(VALU_DEP_1)
	v_fma_f64 v[200:201], v[200:201], v[204:205], v[202:203]
	v_div_scale_f64 v[202:203], null, v[200:201], v[200:201], 1.0
	s_delay_alu instid0(VALU_DEP_1) | instskip(SKIP_2) | instid1(VALU_DEP_1)
	v_rcp_f64_e32 v[206:207], v[202:203]
	s_waitcnt_depctr 0xfff
	v_fma_f64 v[208:209], -v[202:203], v[206:207], 1.0
	v_fma_f64 v[206:207], v[206:207], v[208:209], v[206:207]
	s_delay_alu instid0(VALU_DEP_1) | instskip(NEXT) | instid1(VALU_DEP_1)
	v_fma_f64 v[208:209], -v[202:203], v[206:207], 1.0
	v_fma_f64 v[206:207], v[206:207], v[208:209], v[206:207]
	v_div_scale_f64 v[208:209], vcc_lo, 1.0, v[200:201], 1.0
	s_delay_alu instid0(VALU_DEP_1) | instskip(NEXT) | instid1(VALU_DEP_1)
	v_mul_f64 v[210:211], v[208:209], v[206:207]
	v_fma_f64 v[202:203], -v[202:203], v[210:211], v[208:209]
	s_delay_alu instid0(VALU_DEP_1) | instskip(NEXT) | instid1(VALU_DEP_1)
	v_div_fmas_f64 v[202:203], v[202:203], v[206:207], v[210:211]
	v_div_fixup_f64 v[206:207], v[202:203], v[200:201], 1.0
                                        ; implicit-def: $vgpr200_vgpr201
	s_delay_alu instid0(VALU_DEP_1)
	v_mul_f64 v[208:209], v[204:205], v[206:207]
	v_xor_b32_e32 v207, 0x80000000, v207
.LBB99_140:
	s_and_not1_saveexec_b32 s3, s3
	s_cbranch_execz .LBB99_142
; %bb.141:
	v_div_scale_f64 v[204:205], null, v[200:201], v[200:201], v[202:203]
	v_div_scale_f64 v[210:211], vcc_lo, v[202:203], v[200:201], v[202:203]
	s_delay_alu instid0(VALU_DEP_2) | instskip(SKIP_2) | instid1(VALU_DEP_1)
	v_rcp_f64_e32 v[206:207], v[204:205]
	s_waitcnt_depctr 0xfff
	v_fma_f64 v[208:209], -v[204:205], v[206:207], 1.0
	v_fma_f64 v[206:207], v[206:207], v[208:209], v[206:207]
	s_delay_alu instid0(VALU_DEP_1) | instskip(NEXT) | instid1(VALU_DEP_1)
	v_fma_f64 v[208:209], -v[204:205], v[206:207], 1.0
	v_fma_f64 v[206:207], v[206:207], v[208:209], v[206:207]
	s_delay_alu instid0(VALU_DEP_1) | instskip(NEXT) | instid1(VALU_DEP_1)
	v_mul_f64 v[208:209], v[210:211], v[206:207]
	v_fma_f64 v[204:205], -v[204:205], v[208:209], v[210:211]
	s_delay_alu instid0(VALU_DEP_1) | instskip(NEXT) | instid1(VALU_DEP_1)
	v_div_fmas_f64 v[204:205], v[204:205], v[206:207], v[208:209]
	v_div_fixup_f64 v[204:205], v[204:205], v[200:201], v[202:203]
	s_delay_alu instid0(VALU_DEP_1) | instskip(NEXT) | instid1(VALU_DEP_1)
	v_fma_f64 v[200:201], v[202:203], v[204:205], v[200:201]
	v_div_scale_f64 v[202:203], null, v[200:201], v[200:201], 1.0
	s_delay_alu instid0(VALU_DEP_1) | instskip(SKIP_2) | instid1(VALU_DEP_1)
	v_rcp_f64_e32 v[206:207], v[202:203]
	s_waitcnt_depctr 0xfff
	v_fma_f64 v[208:209], -v[202:203], v[206:207], 1.0
	v_fma_f64 v[206:207], v[206:207], v[208:209], v[206:207]
	s_delay_alu instid0(VALU_DEP_1) | instskip(NEXT) | instid1(VALU_DEP_1)
	v_fma_f64 v[208:209], -v[202:203], v[206:207], 1.0
	v_fma_f64 v[206:207], v[206:207], v[208:209], v[206:207]
	v_div_scale_f64 v[208:209], vcc_lo, 1.0, v[200:201], 1.0
	s_delay_alu instid0(VALU_DEP_1) | instskip(NEXT) | instid1(VALU_DEP_1)
	v_mul_f64 v[210:211], v[208:209], v[206:207]
	v_fma_f64 v[202:203], -v[202:203], v[210:211], v[208:209]
	s_delay_alu instid0(VALU_DEP_1) | instskip(NEXT) | instid1(VALU_DEP_1)
	v_div_fmas_f64 v[202:203], v[202:203], v[206:207], v[210:211]
	v_div_fixup_f64 v[208:209], v[202:203], v[200:201], 1.0
	s_delay_alu instid0(VALU_DEP_1)
	v_mul_f64 v[206:207], v[204:205], -v[208:209]
.LBB99_142:
	s_or_b32 exec_lo, exec_lo, s3
	ds_store_2addr_b64 v235, v[208:209], v[206:207] offset1:1
.LBB99_143:
	s_or_b32 exec_lo, exec_lo, s4
	s_waitcnt lgkmcnt(0)
	s_barrier
	buffer_gl0_inv
	ds_load_2addr_b64 v[200:203], v235 offset1:1
	s_mov_b32 s3, exec_lo
	s_waitcnt lgkmcnt(0)
	scratch_store_b128 off, v[200:203], off offset:624 ; 16-byte Folded Spill
	v_cmpx_lt_u32_e32 15, v234
	s_cbranch_execz .LBB99_145
; %bb.144:
	scratch_load_b128 v[202:205], off, off offset:624 ; 16-byte Folded Reload
	s_waitcnt vmcnt(0)
	v_mul_f64 v[200:201], v[204:205], v[138:139]
	v_mul_f64 v[138:139], v[202:203], v[138:139]
	s_delay_alu instid0(VALU_DEP_2) | instskip(NEXT) | instid1(VALU_DEP_2)
	v_fma_f64 v[200:201], v[202:203], v[136:137], -v[200:201]
	v_fma_f64 v[138:139], v[204:205], v[136:137], v[138:139]
	ds_load_2addr_b64 v[202:205], v236 offset0:32 offset1:33
	s_waitcnt lgkmcnt(0)
	v_mul_f64 v[136:137], v[204:205], v[138:139]
	s_delay_alu instid0(VALU_DEP_1) | instskip(SKIP_1) | instid1(VALU_DEP_2)
	v_fma_f64 v[136:137], v[202:203], v[200:201], -v[136:137]
	v_mul_f64 v[202:203], v[202:203], v[138:139]
	v_add_f64 v[132:133], v[132:133], -v[136:137]
	s_delay_alu instid0(VALU_DEP_2) | instskip(NEXT) | instid1(VALU_DEP_1)
	v_fma_f64 v[202:203], v[204:205], v[200:201], v[202:203]
	v_add_f64 v[134:135], v[134:135], -v[202:203]
	ds_load_2addr_b64 v[202:205], v236 offset0:34 offset1:35
	s_waitcnt lgkmcnt(0)
	v_mul_f64 v[136:137], v[204:205], v[138:139]
	s_delay_alu instid0(VALU_DEP_1) | instskip(SKIP_1) | instid1(VALU_DEP_2)
	v_fma_f64 v[136:137], v[202:203], v[200:201], -v[136:137]
	v_mul_f64 v[202:203], v[202:203], v[138:139]
	v_add_f64 v[128:129], v[128:129], -v[136:137]
	s_delay_alu instid0(VALU_DEP_2) | instskip(NEXT) | instid1(VALU_DEP_1)
	v_fma_f64 v[202:203], v[204:205], v[200:201], v[202:203]
	v_add_f64 v[130:131], v[130:131], -v[202:203]
	;; [unrolled: 10-line block ×33, first 2 shown]
	ds_load_2addr_b64 v[202:205], v236 offset0:98 offset1:99
	s_waitcnt lgkmcnt(0)
	v_mul_f64 v[136:137], v[204:205], v[138:139]
	s_delay_alu instid0(VALU_DEP_1) | instskip(SKIP_1) | instid1(VALU_DEP_2)
	v_fma_f64 v[136:137], v[202:203], v[200:201], -v[136:137]
	v_mul_f64 v[202:203], v[202:203], v[138:139]
	v_add_f64 v[0:1], v[0:1], -v[136:137]
	s_delay_alu instid0(VALU_DEP_2) | instskip(SKIP_1) | instid1(VALU_DEP_2)
	v_fma_f64 v[202:203], v[204:205], v[200:201], v[202:203]
	v_dual_mov_b32 v136, v200 :: v_dual_mov_b32 v137, v201
	v_add_f64 v[2:3], v[2:3], -v[202:203]
.LBB99_145:
	s_or_b32 exec_lo, exec_lo, s3
	s_delay_alu instid0(SALU_CYCLE_1)
	s_mov_b32 s4, exec_lo
	s_waitcnt_vscnt null, 0x0
	s_barrier
	buffer_gl0_inv
	v_cmpx_eq_u32_e32 16, v234
	s_cbranch_execz .LBB99_152
; %bb.146:
	ds_store_2addr_b64 v235, v[132:133], v[134:135] offset1:1
	ds_store_2addr_b64 v236, v[128:129], v[130:131] offset0:34 offset1:35
	ds_store_2addr_b64 v236, v[124:125], v[126:127] offset0:36 offset1:37
	;; [unrolled: 1-line block ×33, first 2 shown]
	ds_load_2addr_b64 v[200:203], v235 offset1:1
	s_waitcnt lgkmcnt(0)
	v_cmp_neq_f64_e32 vcc_lo, 0, v[200:201]
	v_cmp_neq_f64_e64 s3, 0, v[202:203]
	s_delay_alu instid0(VALU_DEP_1) | instskip(NEXT) | instid1(SALU_CYCLE_1)
	s_or_b32 s3, vcc_lo, s3
	s_and_b32 exec_lo, exec_lo, s3
	s_cbranch_execz .LBB99_152
; %bb.147:
	v_cmp_gt_f64_e32 vcc_lo, 0, v[200:201]
	v_xor_b32_e32 v204, 0x80000000, v201
	v_xor_b32_e32 v206, 0x80000000, v203
	s_mov_b32 s3, exec_lo
                                        ; implicit-def: $vgpr208_vgpr209
	s_delay_alu instid0(VALU_DEP_2) | instskip(SKIP_4) | instid1(VALU_DEP_1)
	v_cndmask_b32_e32 v205, v201, v204, vcc_lo
	v_cndmask_b32_e32 v204, v200, v200, vcc_lo
	v_cmp_gt_f64_e32 vcc_lo, 0, v[202:203]
	v_cndmask_b32_e32 v207, v203, v206, vcc_lo
	v_cndmask_b32_e32 v206, v202, v202, vcc_lo
	v_cmpx_ngt_f64_e32 v[204:205], v[206:207]
	s_xor_b32 s3, exec_lo, s3
                                        ; implicit-def: $vgpr204_vgpr205_vgpr206_vgpr207
	s_cbranch_execz .LBB99_149
; %bb.148:
	v_div_scale_f64 v[204:205], null, v[202:203], v[202:203], v[200:201]
	v_div_scale_f64 v[210:211], vcc_lo, v[200:201], v[202:203], v[200:201]
	s_delay_alu instid0(VALU_DEP_2) | instskip(SKIP_2) | instid1(VALU_DEP_1)
	v_rcp_f64_e32 v[206:207], v[204:205]
	s_waitcnt_depctr 0xfff
	v_fma_f64 v[208:209], -v[204:205], v[206:207], 1.0
	v_fma_f64 v[206:207], v[206:207], v[208:209], v[206:207]
	s_delay_alu instid0(VALU_DEP_1) | instskip(NEXT) | instid1(VALU_DEP_1)
	v_fma_f64 v[208:209], -v[204:205], v[206:207], 1.0
	v_fma_f64 v[206:207], v[206:207], v[208:209], v[206:207]
	s_delay_alu instid0(VALU_DEP_1) | instskip(NEXT) | instid1(VALU_DEP_1)
	v_mul_f64 v[208:209], v[210:211], v[206:207]
	v_fma_f64 v[204:205], -v[204:205], v[208:209], v[210:211]
	s_delay_alu instid0(VALU_DEP_1) | instskip(NEXT) | instid1(VALU_DEP_1)
	v_div_fmas_f64 v[204:205], v[204:205], v[206:207], v[208:209]
	v_div_fixup_f64 v[204:205], v[204:205], v[202:203], v[200:201]
	s_delay_alu instid0(VALU_DEP_1) | instskip(NEXT) | instid1(VALU_DEP_1)
	v_fma_f64 v[200:201], v[200:201], v[204:205], v[202:203]
	v_div_scale_f64 v[202:203], null, v[200:201], v[200:201], 1.0
	s_delay_alu instid0(VALU_DEP_1) | instskip(SKIP_2) | instid1(VALU_DEP_1)
	v_rcp_f64_e32 v[206:207], v[202:203]
	s_waitcnt_depctr 0xfff
	v_fma_f64 v[208:209], -v[202:203], v[206:207], 1.0
	v_fma_f64 v[206:207], v[206:207], v[208:209], v[206:207]
	s_delay_alu instid0(VALU_DEP_1) | instskip(NEXT) | instid1(VALU_DEP_1)
	v_fma_f64 v[208:209], -v[202:203], v[206:207], 1.0
	v_fma_f64 v[206:207], v[206:207], v[208:209], v[206:207]
	v_div_scale_f64 v[208:209], vcc_lo, 1.0, v[200:201], 1.0
	s_delay_alu instid0(VALU_DEP_1) | instskip(NEXT) | instid1(VALU_DEP_1)
	v_mul_f64 v[210:211], v[208:209], v[206:207]
	v_fma_f64 v[202:203], -v[202:203], v[210:211], v[208:209]
	s_delay_alu instid0(VALU_DEP_1) | instskip(NEXT) | instid1(VALU_DEP_1)
	v_div_fmas_f64 v[202:203], v[202:203], v[206:207], v[210:211]
	v_div_fixup_f64 v[206:207], v[202:203], v[200:201], 1.0
                                        ; implicit-def: $vgpr200_vgpr201
	s_delay_alu instid0(VALU_DEP_1)
	v_mul_f64 v[208:209], v[204:205], v[206:207]
	v_xor_b32_e32 v207, 0x80000000, v207
.LBB99_149:
	s_and_not1_saveexec_b32 s3, s3
	s_cbranch_execz .LBB99_151
; %bb.150:
	v_div_scale_f64 v[204:205], null, v[200:201], v[200:201], v[202:203]
	v_div_scale_f64 v[210:211], vcc_lo, v[202:203], v[200:201], v[202:203]
	s_delay_alu instid0(VALU_DEP_2) | instskip(SKIP_2) | instid1(VALU_DEP_1)
	v_rcp_f64_e32 v[206:207], v[204:205]
	s_waitcnt_depctr 0xfff
	v_fma_f64 v[208:209], -v[204:205], v[206:207], 1.0
	v_fma_f64 v[206:207], v[206:207], v[208:209], v[206:207]
	s_delay_alu instid0(VALU_DEP_1) | instskip(NEXT) | instid1(VALU_DEP_1)
	v_fma_f64 v[208:209], -v[204:205], v[206:207], 1.0
	v_fma_f64 v[206:207], v[206:207], v[208:209], v[206:207]
	s_delay_alu instid0(VALU_DEP_1) | instskip(NEXT) | instid1(VALU_DEP_1)
	v_mul_f64 v[208:209], v[210:211], v[206:207]
	v_fma_f64 v[204:205], -v[204:205], v[208:209], v[210:211]
	s_delay_alu instid0(VALU_DEP_1) | instskip(NEXT) | instid1(VALU_DEP_1)
	v_div_fmas_f64 v[204:205], v[204:205], v[206:207], v[208:209]
	v_div_fixup_f64 v[204:205], v[204:205], v[200:201], v[202:203]
	s_delay_alu instid0(VALU_DEP_1) | instskip(NEXT) | instid1(VALU_DEP_1)
	v_fma_f64 v[200:201], v[202:203], v[204:205], v[200:201]
	v_div_scale_f64 v[202:203], null, v[200:201], v[200:201], 1.0
	s_delay_alu instid0(VALU_DEP_1) | instskip(SKIP_2) | instid1(VALU_DEP_1)
	v_rcp_f64_e32 v[206:207], v[202:203]
	s_waitcnt_depctr 0xfff
	v_fma_f64 v[208:209], -v[202:203], v[206:207], 1.0
	v_fma_f64 v[206:207], v[206:207], v[208:209], v[206:207]
	s_delay_alu instid0(VALU_DEP_1) | instskip(NEXT) | instid1(VALU_DEP_1)
	v_fma_f64 v[208:209], -v[202:203], v[206:207], 1.0
	v_fma_f64 v[206:207], v[206:207], v[208:209], v[206:207]
	v_div_scale_f64 v[208:209], vcc_lo, 1.0, v[200:201], 1.0
	s_delay_alu instid0(VALU_DEP_1) | instskip(NEXT) | instid1(VALU_DEP_1)
	v_mul_f64 v[210:211], v[208:209], v[206:207]
	v_fma_f64 v[202:203], -v[202:203], v[210:211], v[208:209]
	s_delay_alu instid0(VALU_DEP_1) | instskip(NEXT) | instid1(VALU_DEP_1)
	v_div_fmas_f64 v[202:203], v[202:203], v[206:207], v[210:211]
	v_div_fixup_f64 v[208:209], v[202:203], v[200:201], 1.0
	s_delay_alu instid0(VALU_DEP_1)
	v_mul_f64 v[206:207], v[204:205], -v[208:209]
.LBB99_151:
	s_or_b32 exec_lo, exec_lo, s3
	ds_store_2addr_b64 v235, v[208:209], v[206:207] offset1:1
.LBB99_152:
	s_or_b32 exec_lo, exec_lo, s4
	s_waitcnt lgkmcnt(0)
	s_barrier
	buffer_gl0_inv
	ds_load_2addr_b64 v[200:203], v235 offset1:1
	s_mov_b32 s3, exec_lo
	s_waitcnt lgkmcnt(0)
	scratch_store_b128 off, v[200:203], off offset:640 ; 16-byte Folded Spill
	v_cmpx_lt_u32_e32 16, v234
	s_cbranch_execz .LBB99_154
; %bb.153:
	scratch_load_b128 v[202:205], off, off offset:640 ; 16-byte Folded Reload
	s_waitcnt vmcnt(0)
	v_mul_f64 v[200:201], v[204:205], v[134:135]
	v_mul_f64 v[134:135], v[202:203], v[134:135]
	s_delay_alu instid0(VALU_DEP_2) | instskip(NEXT) | instid1(VALU_DEP_2)
	v_fma_f64 v[200:201], v[202:203], v[132:133], -v[200:201]
	v_fma_f64 v[134:135], v[204:205], v[132:133], v[134:135]
	ds_load_2addr_b64 v[202:205], v236 offset0:34 offset1:35
	s_waitcnt lgkmcnt(0)
	v_mul_f64 v[132:133], v[204:205], v[134:135]
	s_delay_alu instid0(VALU_DEP_1) | instskip(SKIP_1) | instid1(VALU_DEP_2)
	v_fma_f64 v[132:133], v[202:203], v[200:201], -v[132:133]
	v_mul_f64 v[202:203], v[202:203], v[134:135]
	v_add_f64 v[128:129], v[128:129], -v[132:133]
	s_delay_alu instid0(VALU_DEP_2) | instskip(NEXT) | instid1(VALU_DEP_1)
	v_fma_f64 v[202:203], v[204:205], v[200:201], v[202:203]
	v_add_f64 v[130:131], v[130:131], -v[202:203]
	ds_load_2addr_b64 v[202:205], v236 offset0:36 offset1:37
	s_waitcnt lgkmcnt(0)
	v_mul_f64 v[132:133], v[204:205], v[134:135]
	s_delay_alu instid0(VALU_DEP_1) | instskip(SKIP_1) | instid1(VALU_DEP_2)
	v_fma_f64 v[132:133], v[202:203], v[200:201], -v[132:133]
	v_mul_f64 v[202:203], v[202:203], v[134:135]
	v_add_f64 v[124:125], v[124:125], -v[132:133]
	s_delay_alu instid0(VALU_DEP_2) | instskip(NEXT) | instid1(VALU_DEP_1)
	v_fma_f64 v[202:203], v[204:205], v[200:201], v[202:203]
	v_add_f64 v[126:127], v[126:127], -v[202:203]
	ds_load_2addr_b64 v[202:205], v236 offset0:38 offset1:39
	s_waitcnt lgkmcnt(0)
	v_mul_f64 v[132:133], v[204:205], v[134:135]
	s_delay_alu instid0(VALU_DEP_1) | instskip(SKIP_1) | instid1(VALU_DEP_2)
	v_fma_f64 v[132:133], v[202:203], v[200:201], -v[132:133]
	v_mul_f64 v[202:203], v[202:203], v[134:135]
	v_add_f64 v[120:121], v[120:121], -v[132:133]
	s_delay_alu instid0(VALU_DEP_2) | instskip(NEXT) | instid1(VALU_DEP_1)
	v_fma_f64 v[202:203], v[204:205], v[200:201], v[202:203]
	v_add_f64 v[122:123], v[122:123], -v[202:203]
	ds_load_2addr_b64 v[202:205], v236 offset0:40 offset1:41
	s_waitcnt lgkmcnt(0)
	v_mul_f64 v[132:133], v[204:205], v[134:135]
	s_delay_alu instid0(VALU_DEP_1) | instskip(SKIP_1) | instid1(VALU_DEP_2)
	v_fma_f64 v[132:133], v[202:203], v[200:201], -v[132:133]
	v_mul_f64 v[202:203], v[202:203], v[134:135]
	v_add_f64 v[116:117], v[116:117], -v[132:133]
	s_delay_alu instid0(VALU_DEP_2) | instskip(NEXT) | instid1(VALU_DEP_1)
	v_fma_f64 v[202:203], v[204:205], v[200:201], v[202:203]
	v_add_f64 v[118:119], v[118:119], -v[202:203]
	ds_load_2addr_b64 v[202:205], v236 offset0:42 offset1:43
	s_waitcnt lgkmcnt(0)
	v_mul_f64 v[132:133], v[204:205], v[134:135]
	s_delay_alu instid0(VALU_DEP_1) | instskip(SKIP_1) | instid1(VALU_DEP_2)
	v_fma_f64 v[132:133], v[202:203], v[200:201], -v[132:133]
	v_mul_f64 v[202:203], v[202:203], v[134:135]
	v_add_f64 v[112:113], v[112:113], -v[132:133]
	s_delay_alu instid0(VALU_DEP_2) | instskip(NEXT) | instid1(VALU_DEP_1)
	v_fma_f64 v[202:203], v[204:205], v[200:201], v[202:203]
	v_add_f64 v[114:115], v[114:115], -v[202:203]
	ds_load_2addr_b64 v[202:205], v236 offset0:44 offset1:45
	s_waitcnt lgkmcnt(0)
	v_mul_f64 v[132:133], v[204:205], v[134:135]
	s_delay_alu instid0(VALU_DEP_1) | instskip(SKIP_1) | instid1(VALU_DEP_2)
	v_fma_f64 v[132:133], v[202:203], v[200:201], -v[132:133]
	v_mul_f64 v[202:203], v[202:203], v[134:135]
	v_add_f64 v[108:109], v[108:109], -v[132:133]
	s_delay_alu instid0(VALU_DEP_2) | instskip(NEXT) | instid1(VALU_DEP_1)
	v_fma_f64 v[202:203], v[204:205], v[200:201], v[202:203]
	v_add_f64 v[110:111], v[110:111], -v[202:203]
	ds_load_2addr_b64 v[202:205], v236 offset0:46 offset1:47
	s_waitcnt lgkmcnt(0)
	v_mul_f64 v[132:133], v[204:205], v[134:135]
	s_delay_alu instid0(VALU_DEP_1) | instskip(SKIP_1) | instid1(VALU_DEP_2)
	v_fma_f64 v[132:133], v[202:203], v[200:201], -v[132:133]
	v_mul_f64 v[202:203], v[202:203], v[134:135]
	v_add_f64 v[104:105], v[104:105], -v[132:133]
	s_delay_alu instid0(VALU_DEP_2) | instskip(NEXT) | instid1(VALU_DEP_1)
	v_fma_f64 v[202:203], v[204:205], v[200:201], v[202:203]
	v_add_f64 v[106:107], v[106:107], -v[202:203]
	ds_load_2addr_b64 v[202:205], v236 offset0:48 offset1:49
	s_waitcnt lgkmcnt(0)
	v_mul_f64 v[132:133], v[204:205], v[134:135]
	s_delay_alu instid0(VALU_DEP_1) | instskip(SKIP_1) | instid1(VALU_DEP_2)
	v_fma_f64 v[132:133], v[202:203], v[200:201], -v[132:133]
	v_mul_f64 v[202:203], v[202:203], v[134:135]
	v_add_f64 v[100:101], v[100:101], -v[132:133]
	s_delay_alu instid0(VALU_DEP_2) | instskip(NEXT) | instid1(VALU_DEP_1)
	v_fma_f64 v[202:203], v[204:205], v[200:201], v[202:203]
	v_add_f64 v[102:103], v[102:103], -v[202:203]
	ds_load_2addr_b64 v[202:205], v236 offset0:50 offset1:51
	s_waitcnt lgkmcnt(0)
	v_mul_f64 v[132:133], v[204:205], v[134:135]
	s_delay_alu instid0(VALU_DEP_1) | instskip(SKIP_1) | instid1(VALU_DEP_2)
	v_fma_f64 v[132:133], v[202:203], v[200:201], -v[132:133]
	v_mul_f64 v[202:203], v[202:203], v[134:135]
	v_add_f64 v[96:97], v[96:97], -v[132:133]
	s_delay_alu instid0(VALU_DEP_2) | instskip(NEXT) | instid1(VALU_DEP_1)
	v_fma_f64 v[202:203], v[204:205], v[200:201], v[202:203]
	v_add_f64 v[98:99], v[98:99], -v[202:203]
	ds_load_2addr_b64 v[202:205], v236 offset0:52 offset1:53
	s_waitcnt lgkmcnt(0)
	v_mul_f64 v[132:133], v[204:205], v[134:135]
	s_delay_alu instid0(VALU_DEP_1) | instskip(SKIP_1) | instid1(VALU_DEP_2)
	v_fma_f64 v[132:133], v[202:203], v[200:201], -v[132:133]
	v_mul_f64 v[202:203], v[202:203], v[134:135]
	v_add_f64 v[92:93], v[92:93], -v[132:133]
	s_delay_alu instid0(VALU_DEP_2) | instskip(NEXT) | instid1(VALU_DEP_1)
	v_fma_f64 v[202:203], v[204:205], v[200:201], v[202:203]
	v_add_f64 v[94:95], v[94:95], -v[202:203]
	ds_load_2addr_b64 v[202:205], v236 offset0:54 offset1:55
	s_waitcnt lgkmcnt(0)
	v_mul_f64 v[132:133], v[204:205], v[134:135]
	s_delay_alu instid0(VALU_DEP_1) | instskip(SKIP_1) | instid1(VALU_DEP_2)
	v_fma_f64 v[132:133], v[202:203], v[200:201], -v[132:133]
	v_mul_f64 v[202:203], v[202:203], v[134:135]
	v_add_f64 v[88:89], v[88:89], -v[132:133]
	s_delay_alu instid0(VALU_DEP_2) | instskip(NEXT) | instid1(VALU_DEP_1)
	v_fma_f64 v[202:203], v[204:205], v[200:201], v[202:203]
	v_add_f64 v[90:91], v[90:91], -v[202:203]
	ds_load_2addr_b64 v[202:205], v236 offset0:56 offset1:57
	s_waitcnt lgkmcnt(0)
	v_mul_f64 v[132:133], v[204:205], v[134:135]
	s_delay_alu instid0(VALU_DEP_1) | instskip(SKIP_1) | instid1(VALU_DEP_2)
	v_fma_f64 v[132:133], v[202:203], v[200:201], -v[132:133]
	v_mul_f64 v[202:203], v[202:203], v[134:135]
	v_add_f64 v[84:85], v[84:85], -v[132:133]
	s_delay_alu instid0(VALU_DEP_2) | instskip(NEXT) | instid1(VALU_DEP_1)
	v_fma_f64 v[202:203], v[204:205], v[200:201], v[202:203]
	v_add_f64 v[86:87], v[86:87], -v[202:203]
	ds_load_2addr_b64 v[202:205], v236 offset0:58 offset1:59
	s_waitcnt lgkmcnt(0)
	v_mul_f64 v[132:133], v[204:205], v[134:135]
	s_delay_alu instid0(VALU_DEP_1) | instskip(SKIP_1) | instid1(VALU_DEP_2)
	v_fma_f64 v[132:133], v[202:203], v[200:201], -v[132:133]
	v_mul_f64 v[202:203], v[202:203], v[134:135]
	v_add_f64 v[80:81], v[80:81], -v[132:133]
	s_delay_alu instid0(VALU_DEP_2) | instskip(NEXT) | instid1(VALU_DEP_1)
	v_fma_f64 v[202:203], v[204:205], v[200:201], v[202:203]
	v_add_f64 v[82:83], v[82:83], -v[202:203]
	ds_load_2addr_b64 v[202:205], v236 offset0:60 offset1:61
	s_waitcnt lgkmcnt(0)
	v_mul_f64 v[132:133], v[204:205], v[134:135]
	s_delay_alu instid0(VALU_DEP_1) | instskip(SKIP_1) | instid1(VALU_DEP_2)
	v_fma_f64 v[132:133], v[202:203], v[200:201], -v[132:133]
	v_mul_f64 v[202:203], v[202:203], v[134:135]
	v_add_f64 v[76:77], v[76:77], -v[132:133]
	s_delay_alu instid0(VALU_DEP_2) | instskip(NEXT) | instid1(VALU_DEP_1)
	v_fma_f64 v[202:203], v[204:205], v[200:201], v[202:203]
	v_add_f64 v[78:79], v[78:79], -v[202:203]
	ds_load_2addr_b64 v[202:205], v236 offset0:62 offset1:63
	s_waitcnt lgkmcnt(0)
	v_mul_f64 v[132:133], v[204:205], v[134:135]
	s_delay_alu instid0(VALU_DEP_1) | instskip(SKIP_1) | instid1(VALU_DEP_2)
	v_fma_f64 v[132:133], v[202:203], v[200:201], -v[132:133]
	v_mul_f64 v[202:203], v[202:203], v[134:135]
	v_add_f64 v[72:73], v[72:73], -v[132:133]
	s_delay_alu instid0(VALU_DEP_2) | instskip(NEXT) | instid1(VALU_DEP_1)
	v_fma_f64 v[202:203], v[204:205], v[200:201], v[202:203]
	v_add_f64 v[74:75], v[74:75], -v[202:203]
	ds_load_2addr_b64 v[202:205], v236 offset0:64 offset1:65
	s_waitcnt lgkmcnt(0)
	v_mul_f64 v[132:133], v[204:205], v[134:135]
	s_delay_alu instid0(VALU_DEP_1) | instskip(SKIP_1) | instid1(VALU_DEP_2)
	v_fma_f64 v[132:133], v[202:203], v[200:201], -v[132:133]
	v_mul_f64 v[202:203], v[202:203], v[134:135]
	v_add_f64 v[68:69], v[68:69], -v[132:133]
	s_delay_alu instid0(VALU_DEP_2) | instskip(NEXT) | instid1(VALU_DEP_1)
	v_fma_f64 v[202:203], v[204:205], v[200:201], v[202:203]
	v_add_f64 v[70:71], v[70:71], -v[202:203]
	ds_load_2addr_b64 v[202:205], v236 offset0:66 offset1:67
	s_waitcnt lgkmcnt(0)
	v_mul_f64 v[132:133], v[204:205], v[134:135]
	s_delay_alu instid0(VALU_DEP_1) | instskip(SKIP_1) | instid1(VALU_DEP_2)
	v_fma_f64 v[132:133], v[202:203], v[200:201], -v[132:133]
	v_mul_f64 v[202:203], v[202:203], v[134:135]
	v_add_f64 v[64:65], v[64:65], -v[132:133]
	s_delay_alu instid0(VALU_DEP_2) | instskip(NEXT) | instid1(VALU_DEP_1)
	v_fma_f64 v[202:203], v[204:205], v[200:201], v[202:203]
	v_add_f64 v[66:67], v[66:67], -v[202:203]
	ds_load_2addr_b64 v[202:205], v236 offset0:68 offset1:69
	s_waitcnt lgkmcnt(0)
	v_mul_f64 v[132:133], v[204:205], v[134:135]
	s_delay_alu instid0(VALU_DEP_1) | instskip(SKIP_1) | instid1(VALU_DEP_2)
	v_fma_f64 v[132:133], v[202:203], v[200:201], -v[132:133]
	v_mul_f64 v[202:203], v[202:203], v[134:135]
	v_add_f64 v[60:61], v[60:61], -v[132:133]
	s_delay_alu instid0(VALU_DEP_2) | instskip(NEXT) | instid1(VALU_DEP_1)
	v_fma_f64 v[202:203], v[204:205], v[200:201], v[202:203]
	v_add_f64 v[62:63], v[62:63], -v[202:203]
	ds_load_2addr_b64 v[202:205], v236 offset0:70 offset1:71
	s_waitcnt lgkmcnt(0)
	v_mul_f64 v[132:133], v[204:205], v[134:135]
	s_delay_alu instid0(VALU_DEP_1) | instskip(SKIP_1) | instid1(VALU_DEP_2)
	v_fma_f64 v[132:133], v[202:203], v[200:201], -v[132:133]
	v_mul_f64 v[202:203], v[202:203], v[134:135]
	v_add_f64 v[56:57], v[56:57], -v[132:133]
	s_delay_alu instid0(VALU_DEP_2) | instskip(NEXT) | instid1(VALU_DEP_1)
	v_fma_f64 v[202:203], v[204:205], v[200:201], v[202:203]
	v_add_f64 v[58:59], v[58:59], -v[202:203]
	ds_load_2addr_b64 v[202:205], v236 offset0:72 offset1:73
	s_waitcnt lgkmcnt(0)
	v_mul_f64 v[132:133], v[204:205], v[134:135]
	s_delay_alu instid0(VALU_DEP_1) | instskip(SKIP_1) | instid1(VALU_DEP_2)
	v_fma_f64 v[132:133], v[202:203], v[200:201], -v[132:133]
	v_mul_f64 v[202:203], v[202:203], v[134:135]
	v_add_f64 v[52:53], v[52:53], -v[132:133]
	s_delay_alu instid0(VALU_DEP_2) | instskip(NEXT) | instid1(VALU_DEP_1)
	v_fma_f64 v[202:203], v[204:205], v[200:201], v[202:203]
	v_add_f64 v[54:55], v[54:55], -v[202:203]
	ds_load_2addr_b64 v[202:205], v236 offset0:74 offset1:75
	s_waitcnt lgkmcnt(0)
	v_mul_f64 v[132:133], v[204:205], v[134:135]
	s_delay_alu instid0(VALU_DEP_1) | instskip(SKIP_1) | instid1(VALU_DEP_2)
	v_fma_f64 v[132:133], v[202:203], v[200:201], -v[132:133]
	v_mul_f64 v[202:203], v[202:203], v[134:135]
	v_add_f64 v[48:49], v[48:49], -v[132:133]
	s_delay_alu instid0(VALU_DEP_2) | instskip(NEXT) | instid1(VALU_DEP_1)
	v_fma_f64 v[202:203], v[204:205], v[200:201], v[202:203]
	v_add_f64 v[50:51], v[50:51], -v[202:203]
	ds_load_2addr_b64 v[202:205], v236 offset0:76 offset1:77
	s_waitcnt lgkmcnt(0)
	v_mul_f64 v[132:133], v[204:205], v[134:135]
	s_delay_alu instid0(VALU_DEP_1) | instskip(SKIP_1) | instid1(VALU_DEP_2)
	v_fma_f64 v[132:133], v[202:203], v[200:201], -v[132:133]
	v_mul_f64 v[202:203], v[202:203], v[134:135]
	v_add_f64 v[44:45], v[44:45], -v[132:133]
	s_delay_alu instid0(VALU_DEP_2) | instskip(NEXT) | instid1(VALU_DEP_1)
	v_fma_f64 v[202:203], v[204:205], v[200:201], v[202:203]
	v_add_f64 v[46:47], v[46:47], -v[202:203]
	ds_load_2addr_b64 v[202:205], v236 offset0:78 offset1:79
	s_waitcnt lgkmcnt(0)
	v_mul_f64 v[132:133], v[204:205], v[134:135]
	s_delay_alu instid0(VALU_DEP_1) | instskip(SKIP_1) | instid1(VALU_DEP_2)
	v_fma_f64 v[132:133], v[202:203], v[200:201], -v[132:133]
	v_mul_f64 v[202:203], v[202:203], v[134:135]
	v_add_f64 v[40:41], v[40:41], -v[132:133]
	s_delay_alu instid0(VALU_DEP_2) | instskip(NEXT) | instid1(VALU_DEP_1)
	v_fma_f64 v[202:203], v[204:205], v[200:201], v[202:203]
	v_add_f64 v[42:43], v[42:43], -v[202:203]
	ds_load_2addr_b64 v[202:205], v236 offset0:80 offset1:81
	s_waitcnt lgkmcnt(0)
	v_mul_f64 v[132:133], v[204:205], v[134:135]
	s_delay_alu instid0(VALU_DEP_1) | instskip(SKIP_1) | instid1(VALU_DEP_2)
	v_fma_f64 v[132:133], v[202:203], v[200:201], -v[132:133]
	v_mul_f64 v[202:203], v[202:203], v[134:135]
	v_add_f64 v[36:37], v[36:37], -v[132:133]
	s_delay_alu instid0(VALU_DEP_2) | instskip(NEXT) | instid1(VALU_DEP_1)
	v_fma_f64 v[202:203], v[204:205], v[200:201], v[202:203]
	v_add_f64 v[38:39], v[38:39], -v[202:203]
	ds_load_2addr_b64 v[202:205], v236 offset0:82 offset1:83
	s_waitcnt lgkmcnt(0)
	v_mul_f64 v[132:133], v[204:205], v[134:135]
	s_delay_alu instid0(VALU_DEP_1) | instskip(SKIP_1) | instid1(VALU_DEP_2)
	v_fma_f64 v[132:133], v[202:203], v[200:201], -v[132:133]
	v_mul_f64 v[202:203], v[202:203], v[134:135]
	v_add_f64 v[32:33], v[32:33], -v[132:133]
	s_delay_alu instid0(VALU_DEP_2) | instskip(NEXT) | instid1(VALU_DEP_1)
	v_fma_f64 v[202:203], v[204:205], v[200:201], v[202:203]
	v_add_f64 v[34:35], v[34:35], -v[202:203]
	ds_load_2addr_b64 v[202:205], v236 offset0:84 offset1:85
	s_waitcnt lgkmcnt(0)
	v_mul_f64 v[132:133], v[204:205], v[134:135]
	s_delay_alu instid0(VALU_DEP_1) | instskip(SKIP_1) | instid1(VALU_DEP_2)
	v_fma_f64 v[132:133], v[202:203], v[200:201], -v[132:133]
	v_mul_f64 v[202:203], v[202:203], v[134:135]
	v_add_f64 v[28:29], v[28:29], -v[132:133]
	s_delay_alu instid0(VALU_DEP_2) | instskip(NEXT) | instid1(VALU_DEP_1)
	v_fma_f64 v[202:203], v[204:205], v[200:201], v[202:203]
	v_add_f64 v[30:31], v[30:31], -v[202:203]
	ds_load_2addr_b64 v[202:205], v236 offset0:86 offset1:87
	s_waitcnt lgkmcnt(0)
	v_mul_f64 v[132:133], v[204:205], v[134:135]
	s_delay_alu instid0(VALU_DEP_1) | instskip(SKIP_1) | instid1(VALU_DEP_2)
	v_fma_f64 v[132:133], v[202:203], v[200:201], -v[132:133]
	v_mul_f64 v[202:203], v[202:203], v[134:135]
	v_add_f64 v[24:25], v[24:25], -v[132:133]
	s_delay_alu instid0(VALU_DEP_2) | instskip(NEXT) | instid1(VALU_DEP_1)
	v_fma_f64 v[202:203], v[204:205], v[200:201], v[202:203]
	v_add_f64 v[26:27], v[26:27], -v[202:203]
	ds_load_2addr_b64 v[202:205], v236 offset0:88 offset1:89
	s_waitcnt lgkmcnt(0)
	v_mul_f64 v[132:133], v[204:205], v[134:135]
	s_delay_alu instid0(VALU_DEP_1) | instskip(SKIP_1) | instid1(VALU_DEP_2)
	v_fma_f64 v[132:133], v[202:203], v[200:201], -v[132:133]
	v_mul_f64 v[202:203], v[202:203], v[134:135]
	v_add_f64 v[20:21], v[20:21], -v[132:133]
	s_delay_alu instid0(VALU_DEP_2) | instskip(NEXT) | instid1(VALU_DEP_1)
	v_fma_f64 v[202:203], v[204:205], v[200:201], v[202:203]
	v_add_f64 v[22:23], v[22:23], -v[202:203]
	ds_load_2addr_b64 v[202:205], v236 offset0:90 offset1:91
	s_waitcnt lgkmcnt(0)
	v_mul_f64 v[132:133], v[204:205], v[134:135]
	s_delay_alu instid0(VALU_DEP_1) | instskip(SKIP_1) | instid1(VALU_DEP_2)
	v_fma_f64 v[132:133], v[202:203], v[200:201], -v[132:133]
	v_mul_f64 v[202:203], v[202:203], v[134:135]
	v_add_f64 v[16:17], v[16:17], -v[132:133]
	s_delay_alu instid0(VALU_DEP_2) | instskip(NEXT) | instid1(VALU_DEP_1)
	v_fma_f64 v[202:203], v[204:205], v[200:201], v[202:203]
	v_add_f64 v[18:19], v[18:19], -v[202:203]
	ds_load_2addr_b64 v[202:205], v236 offset0:92 offset1:93
	s_waitcnt lgkmcnt(0)
	v_mul_f64 v[132:133], v[204:205], v[134:135]
	s_delay_alu instid0(VALU_DEP_1) | instskip(SKIP_1) | instid1(VALU_DEP_2)
	v_fma_f64 v[132:133], v[202:203], v[200:201], -v[132:133]
	v_mul_f64 v[202:203], v[202:203], v[134:135]
	v_add_f64 v[12:13], v[12:13], -v[132:133]
	s_delay_alu instid0(VALU_DEP_2) | instskip(NEXT) | instid1(VALU_DEP_1)
	v_fma_f64 v[202:203], v[204:205], v[200:201], v[202:203]
	v_add_f64 v[14:15], v[14:15], -v[202:203]
	ds_load_2addr_b64 v[202:205], v236 offset0:94 offset1:95
	s_waitcnt lgkmcnt(0)
	v_mul_f64 v[132:133], v[204:205], v[134:135]
	s_delay_alu instid0(VALU_DEP_1) | instskip(SKIP_1) | instid1(VALU_DEP_2)
	v_fma_f64 v[132:133], v[202:203], v[200:201], -v[132:133]
	v_mul_f64 v[202:203], v[202:203], v[134:135]
	v_add_f64 v[8:9], v[8:9], -v[132:133]
	s_delay_alu instid0(VALU_DEP_2) | instskip(NEXT) | instid1(VALU_DEP_1)
	v_fma_f64 v[202:203], v[204:205], v[200:201], v[202:203]
	v_add_f64 v[10:11], v[10:11], -v[202:203]
	ds_load_2addr_b64 v[202:205], v236 offset0:96 offset1:97
	s_waitcnt lgkmcnt(0)
	v_mul_f64 v[132:133], v[204:205], v[134:135]
	s_delay_alu instid0(VALU_DEP_1) | instskip(SKIP_1) | instid1(VALU_DEP_2)
	v_fma_f64 v[132:133], v[202:203], v[200:201], -v[132:133]
	v_mul_f64 v[202:203], v[202:203], v[134:135]
	v_add_f64 v[4:5], v[4:5], -v[132:133]
	s_delay_alu instid0(VALU_DEP_2) | instskip(NEXT) | instid1(VALU_DEP_1)
	v_fma_f64 v[202:203], v[204:205], v[200:201], v[202:203]
	v_add_f64 v[6:7], v[6:7], -v[202:203]
	ds_load_2addr_b64 v[202:205], v236 offset0:98 offset1:99
	s_waitcnt lgkmcnt(0)
	v_mul_f64 v[132:133], v[204:205], v[134:135]
	s_delay_alu instid0(VALU_DEP_1) | instskip(SKIP_1) | instid1(VALU_DEP_2)
	v_fma_f64 v[132:133], v[202:203], v[200:201], -v[132:133]
	v_mul_f64 v[202:203], v[202:203], v[134:135]
	v_add_f64 v[0:1], v[0:1], -v[132:133]
	s_delay_alu instid0(VALU_DEP_2) | instskip(SKIP_1) | instid1(VALU_DEP_2)
	v_fma_f64 v[202:203], v[204:205], v[200:201], v[202:203]
	v_dual_mov_b32 v132, v200 :: v_dual_mov_b32 v133, v201
	v_add_f64 v[2:3], v[2:3], -v[202:203]
.LBB99_154:
	s_or_b32 exec_lo, exec_lo, s3
	s_delay_alu instid0(SALU_CYCLE_1)
	s_mov_b32 s4, exec_lo
	s_waitcnt_vscnt null, 0x0
	s_barrier
	buffer_gl0_inv
	v_cmpx_eq_u32_e32 17, v234
	s_cbranch_execz .LBB99_161
; %bb.155:
	ds_store_2addr_b64 v235, v[128:129], v[130:131] offset1:1
	ds_store_2addr_b64 v236, v[124:125], v[126:127] offset0:36 offset1:37
	ds_store_2addr_b64 v236, v[120:121], v[122:123] offset0:38 offset1:39
	;; [unrolled: 1-line block ×32, first 2 shown]
	ds_load_2addr_b64 v[200:203], v235 offset1:1
	s_waitcnt lgkmcnt(0)
	v_cmp_neq_f64_e32 vcc_lo, 0, v[200:201]
	v_cmp_neq_f64_e64 s3, 0, v[202:203]
	s_delay_alu instid0(VALU_DEP_1) | instskip(NEXT) | instid1(SALU_CYCLE_1)
	s_or_b32 s3, vcc_lo, s3
	s_and_b32 exec_lo, exec_lo, s3
	s_cbranch_execz .LBB99_161
; %bb.156:
	v_cmp_gt_f64_e32 vcc_lo, 0, v[200:201]
	v_xor_b32_e32 v204, 0x80000000, v201
	v_xor_b32_e32 v206, 0x80000000, v203
	s_mov_b32 s3, exec_lo
                                        ; implicit-def: $vgpr208_vgpr209
	s_delay_alu instid0(VALU_DEP_2) | instskip(SKIP_4) | instid1(VALU_DEP_1)
	v_cndmask_b32_e32 v205, v201, v204, vcc_lo
	v_cndmask_b32_e32 v204, v200, v200, vcc_lo
	v_cmp_gt_f64_e32 vcc_lo, 0, v[202:203]
	v_cndmask_b32_e32 v207, v203, v206, vcc_lo
	v_cndmask_b32_e32 v206, v202, v202, vcc_lo
	v_cmpx_ngt_f64_e32 v[204:205], v[206:207]
	s_xor_b32 s3, exec_lo, s3
                                        ; implicit-def: $vgpr204_vgpr205_vgpr206_vgpr207
	s_cbranch_execz .LBB99_158
; %bb.157:
	v_div_scale_f64 v[204:205], null, v[202:203], v[202:203], v[200:201]
	v_div_scale_f64 v[210:211], vcc_lo, v[200:201], v[202:203], v[200:201]
	s_delay_alu instid0(VALU_DEP_2) | instskip(SKIP_2) | instid1(VALU_DEP_1)
	v_rcp_f64_e32 v[206:207], v[204:205]
	s_waitcnt_depctr 0xfff
	v_fma_f64 v[208:209], -v[204:205], v[206:207], 1.0
	v_fma_f64 v[206:207], v[206:207], v[208:209], v[206:207]
	s_delay_alu instid0(VALU_DEP_1) | instskip(NEXT) | instid1(VALU_DEP_1)
	v_fma_f64 v[208:209], -v[204:205], v[206:207], 1.0
	v_fma_f64 v[206:207], v[206:207], v[208:209], v[206:207]
	s_delay_alu instid0(VALU_DEP_1) | instskip(NEXT) | instid1(VALU_DEP_1)
	v_mul_f64 v[208:209], v[210:211], v[206:207]
	v_fma_f64 v[204:205], -v[204:205], v[208:209], v[210:211]
	s_delay_alu instid0(VALU_DEP_1) | instskip(NEXT) | instid1(VALU_DEP_1)
	v_div_fmas_f64 v[204:205], v[204:205], v[206:207], v[208:209]
	v_div_fixup_f64 v[204:205], v[204:205], v[202:203], v[200:201]
	s_delay_alu instid0(VALU_DEP_1) | instskip(NEXT) | instid1(VALU_DEP_1)
	v_fma_f64 v[200:201], v[200:201], v[204:205], v[202:203]
	v_div_scale_f64 v[202:203], null, v[200:201], v[200:201], 1.0
	s_delay_alu instid0(VALU_DEP_1) | instskip(SKIP_2) | instid1(VALU_DEP_1)
	v_rcp_f64_e32 v[206:207], v[202:203]
	s_waitcnt_depctr 0xfff
	v_fma_f64 v[208:209], -v[202:203], v[206:207], 1.0
	v_fma_f64 v[206:207], v[206:207], v[208:209], v[206:207]
	s_delay_alu instid0(VALU_DEP_1) | instskip(NEXT) | instid1(VALU_DEP_1)
	v_fma_f64 v[208:209], -v[202:203], v[206:207], 1.0
	v_fma_f64 v[206:207], v[206:207], v[208:209], v[206:207]
	v_div_scale_f64 v[208:209], vcc_lo, 1.0, v[200:201], 1.0
	s_delay_alu instid0(VALU_DEP_1) | instskip(NEXT) | instid1(VALU_DEP_1)
	v_mul_f64 v[210:211], v[208:209], v[206:207]
	v_fma_f64 v[202:203], -v[202:203], v[210:211], v[208:209]
	s_delay_alu instid0(VALU_DEP_1) | instskip(NEXT) | instid1(VALU_DEP_1)
	v_div_fmas_f64 v[202:203], v[202:203], v[206:207], v[210:211]
	v_div_fixup_f64 v[206:207], v[202:203], v[200:201], 1.0
                                        ; implicit-def: $vgpr200_vgpr201
	s_delay_alu instid0(VALU_DEP_1)
	v_mul_f64 v[208:209], v[204:205], v[206:207]
	v_xor_b32_e32 v207, 0x80000000, v207
.LBB99_158:
	s_and_not1_saveexec_b32 s3, s3
	s_cbranch_execz .LBB99_160
; %bb.159:
	v_div_scale_f64 v[204:205], null, v[200:201], v[200:201], v[202:203]
	v_div_scale_f64 v[210:211], vcc_lo, v[202:203], v[200:201], v[202:203]
	s_delay_alu instid0(VALU_DEP_2) | instskip(SKIP_2) | instid1(VALU_DEP_1)
	v_rcp_f64_e32 v[206:207], v[204:205]
	s_waitcnt_depctr 0xfff
	v_fma_f64 v[208:209], -v[204:205], v[206:207], 1.0
	v_fma_f64 v[206:207], v[206:207], v[208:209], v[206:207]
	s_delay_alu instid0(VALU_DEP_1) | instskip(NEXT) | instid1(VALU_DEP_1)
	v_fma_f64 v[208:209], -v[204:205], v[206:207], 1.0
	v_fma_f64 v[206:207], v[206:207], v[208:209], v[206:207]
	s_delay_alu instid0(VALU_DEP_1) | instskip(NEXT) | instid1(VALU_DEP_1)
	v_mul_f64 v[208:209], v[210:211], v[206:207]
	v_fma_f64 v[204:205], -v[204:205], v[208:209], v[210:211]
	s_delay_alu instid0(VALU_DEP_1) | instskip(NEXT) | instid1(VALU_DEP_1)
	v_div_fmas_f64 v[204:205], v[204:205], v[206:207], v[208:209]
	v_div_fixup_f64 v[204:205], v[204:205], v[200:201], v[202:203]
	s_delay_alu instid0(VALU_DEP_1) | instskip(NEXT) | instid1(VALU_DEP_1)
	v_fma_f64 v[200:201], v[202:203], v[204:205], v[200:201]
	v_div_scale_f64 v[202:203], null, v[200:201], v[200:201], 1.0
	s_delay_alu instid0(VALU_DEP_1) | instskip(SKIP_2) | instid1(VALU_DEP_1)
	v_rcp_f64_e32 v[206:207], v[202:203]
	s_waitcnt_depctr 0xfff
	v_fma_f64 v[208:209], -v[202:203], v[206:207], 1.0
	v_fma_f64 v[206:207], v[206:207], v[208:209], v[206:207]
	s_delay_alu instid0(VALU_DEP_1) | instskip(NEXT) | instid1(VALU_DEP_1)
	v_fma_f64 v[208:209], -v[202:203], v[206:207], 1.0
	v_fma_f64 v[206:207], v[206:207], v[208:209], v[206:207]
	v_div_scale_f64 v[208:209], vcc_lo, 1.0, v[200:201], 1.0
	s_delay_alu instid0(VALU_DEP_1) | instskip(NEXT) | instid1(VALU_DEP_1)
	v_mul_f64 v[210:211], v[208:209], v[206:207]
	v_fma_f64 v[202:203], -v[202:203], v[210:211], v[208:209]
	s_delay_alu instid0(VALU_DEP_1) | instskip(NEXT) | instid1(VALU_DEP_1)
	v_div_fmas_f64 v[202:203], v[202:203], v[206:207], v[210:211]
	v_div_fixup_f64 v[208:209], v[202:203], v[200:201], 1.0
	s_delay_alu instid0(VALU_DEP_1)
	v_mul_f64 v[206:207], v[204:205], -v[208:209]
.LBB99_160:
	s_or_b32 exec_lo, exec_lo, s3
	ds_store_2addr_b64 v235, v[208:209], v[206:207] offset1:1
.LBB99_161:
	s_or_b32 exec_lo, exec_lo, s4
	s_waitcnt lgkmcnt(0)
	s_barrier
	buffer_gl0_inv
	ds_load_2addr_b64 v[200:203], v235 offset1:1
	s_mov_b32 s3, exec_lo
	s_waitcnt lgkmcnt(0)
	scratch_store_b128 off, v[200:203], off offset:656 ; 16-byte Folded Spill
	v_cmpx_lt_u32_e32 17, v234
	s_cbranch_execz .LBB99_163
; %bb.162:
	scratch_load_b128 v[202:205], off, off offset:656 ; 16-byte Folded Reload
	s_waitcnt vmcnt(0)
	v_mul_f64 v[200:201], v[204:205], v[130:131]
	v_mul_f64 v[130:131], v[202:203], v[130:131]
	s_delay_alu instid0(VALU_DEP_2) | instskip(NEXT) | instid1(VALU_DEP_2)
	v_fma_f64 v[200:201], v[202:203], v[128:129], -v[200:201]
	v_fma_f64 v[130:131], v[204:205], v[128:129], v[130:131]
	ds_load_2addr_b64 v[202:205], v236 offset0:36 offset1:37
	s_waitcnt lgkmcnt(0)
	v_mul_f64 v[128:129], v[204:205], v[130:131]
	s_delay_alu instid0(VALU_DEP_1) | instskip(SKIP_1) | instid1(VALU_DEP_2)
	v_fma_f64 v[128:129], v[202:203], v[200:201], -v[128:129]
	v_mul_f64 v[202:203], v[202:203], v[130:131]
	v_add_f64 v[124:125], v[124:125], -v[128:129]
	s_delay_alu instid0(VALU_DEP_2) | instskip(NEXT) | instid1(VALU_DEP_1)
	v_fma_f64 v[202:203], v[204:205], v[200:201], v[202:203]
	v_add_f64 v[126:127], v[126:127], -v[202:203]
	ds_load_2addr_b64 v[202:205], v236 offset0:38 offset1:39
	s_waitcnt lgkmcnt(0)
	v_mul_f64 v[128:129], v[204:205], v[130:131]
	s_delay_alu instid0(VALU_DEP_1) | instskip(SKIP_1) | instid1(VALU_DEP_2)
	v_fma_f64 v[128:129], v[202:203], v[200:201], -v[128:129]
	v_mul_f64 v[202:203], v[202:203], v[130:131]
	v_add_f64 v[120:121], v[120:121], -v[128:129]
	s_delay_alu instid0(VALU_DEP_2) | instskip(NEXT) | instid1(VALU_DEP_1)
	v_fma_f64 v[202:203], v[204:205], v[200:201], v[202:203]
	v_add_f64 v[122:123], v[122:123], -v[202:203]
	;; [unrolled: 10-line block ×31, first 2 shown]
	ds_load_2addr_b64 v[202:205], v236 offset0:98 offset1:99
	s_waitcnt lgkmcnt(0)
	v_mul_f64 v[128:129], v[204:205], v[130:131]
	s_delay_alu instid0(VALU_DEP_1) | instskip(SKIP_1) | instid1(VALU_DEP_2)
	v_fma_f64 v[128:129], v[202:203], v[200:201], -v[128:129]
	v_mul_f64 v[202:203], v[202:203], v[130:131]
	v_add_f64 v[0:1], v[0:1], -v[128:129]
	s_delay_alu instid0(VALU_DEP_2) | instskip(SKIP_1) | instid1(VALU_DEP_2)
	v_fma_f64 v[202:203], v[204:205], v[200:201], v[202:203]
	v_dual_mov_b32 v128, v200 :: v_dual_mov_b32 v129, v201
	v_add_f64 v[2:3], v[2:3], -v[202:203]
.LBB99_163:
	s_or_b32 exec_lo, exec_lo, s3
	s_delay_alu instid0(SALU_CYCLE_1)
	s_mov_b32 s4, exec_lo
	s_waitcnt_vscnt null, 0x0
	s_barrier
	buffer_gl0_inv
	v_cmpx_eq_u32_e32 18, v234
	s_cbranch_execz .LBB99_170
; %bb.164:
	ds_store_2addr_b64 v235, v[124:125], v[126:127] offset1:1
	ds_store_2addr_b64 v236, v[120:121], v[122:123] offset0:38 offset1:39
	ds_store_2addr_b64 v236, v[116:117], v[118:119] offset0:40 offset1:41
	;; [unrolled: 1-line block ×31, first 2 shown]
	ds_load_2addr_b64 v[200:203], v235 offset1:1
	s_waitcnt lgkmcnt(0)
	v_cmp_neq_f64_e32 vcc_lo, 0, v[200:201]
	v_cmp_neq_f64_e64 s3, 0, v[202:203]
	s_delay_alu instid0(VALU_DEP_1) | instskip(NEXT) | instid1(SALU_CYCLE_1)
	s_or_b32 s3, vcc_lo, s3
	s_and_b32 exec_lo, exec_lo, s3
	s_cbranch_execz .LBB99_170
; %bb.165:
	v_cmp_gt_f64_e32 vcc_lo, 0, v[200:201]
	v_xor_b32_e32 v204, 0x80000000, v201
	v_xor_b32_e32 v206, 0x80000000, v203
	s_mov_b32 s3, exec_lo
                                        ; implicit-def: $vgpr208_vgpr209
	s_delay_alu instid0(VALU_DEP_2) | instskip(SKIP_4) | instid1(VALU_DEP_1)
	v_cndmask_b32_e32 v205, v201, v204, vcc_lo
	v_cndmask_b32_e32 v204, v200, v200, vcc_lo
	v_cmp_gt_f64_e32 vcc_lo, 0, v[202:203]
	v_cndmask_b32_e32 v207, v203, v206, vcc_lo
	v_cndmask_b32_e32 v206, v202, v202, vcc_lo
	v_cmpx_ngt_f64_e32 v[204:205], v[206:207]
	s_xor_b32 s3, exec_lo, s3
                                        ; implicit-def: $vgpr204_vgpr205_vgpr206_vgpr207
	s_cbranch_execz .LBB99_167
; %bb.166:
	v_div_scale_f64 v[204:205], null, v[202:203], v[202:203], v[200:201]
	v_div_scale_f64 v[210:211], vcc_lo, v[200:201], v[202:203], v[200:201]
	s_delay_alu instid0(VALU_DEP_2) | instskip(SKIP_2) | instid1(VALU_DEP_1)
	v_rcp_f64_e32 v[206:207], v[204:205]
	s_waitcnt_depctr 0xfff
	v_fma_f64 v[208:209], -v[204:205], v[206:207], 1.0
	v_fma_f64 v[206:207], v[206:207], v[208:209], v[206:207]
	s_delay_alu instid0(VALU_DEP_1) | instskip(NEXT) | instid1(VALU_DEP_1)
	v_fma_f64 v[208:209], -v[204:205], v[206:207], 1.0
	v_fma_f64 v[206:207], v[206:207], v[208:209], v[206:207]
	s_delay_alu instid0(VALU_DEP_1) | instskip(NEXT) | instid1(VALU_DEP_1)
	v_mul_f64 v[208:209], v[210:211], v[206:207]
	v_fma_f64 v[204:205], -v[204:205], v[208:209], v[210:211]
	s_delay_alu instid0(VALU_DEP_1) | instskip(NEXT) | instid1(VALU_DEP_1)
	v_div_fmas_f64 v[204:205], v[204:205], v[206:207], v[208:209]
	v_div_fixup_f64 v[204:205], v[204:205], v[202:203], v[200:201]
	s_delay_alu instid0(VALU_DEP_1) | instskip(NEXT) | instid1(VALU_DEP_1)
	v_fma_f64 v[200:201], v[200:201], v[204:205], v[202:203]
	v_div_scale_f64 v[202:203], null, v[200:201], v[200:201], 1.0
	s_delay_alu instid0(VALU_DEP_1) | instskip(SKIP_2) | instid1(VALU_DEP_1)
	v_rcp_f64_e32 v[206:207], v[202:203]
	s_waitcnt_depctr 0xfff
	v_fma_f64 v[208:209], -v[202:203], v[206:207], 1.0
	v_fma_f64 v[206:207], v[206:207], v[208:209], v[206:207]
	s_delay_alu instid0(VALU_DEP_1) | instskip(NEXT) | instid1(VALU_DEP_1)
	v_fma_f64 v[208:209], -v[202:203], v[206:207], 1.0
	v_fma_f64 v[206:207], v[206:207], v[208:209], v[206:207]
	v_div_scale_f64 v[208:209], vcc_lo, 1.0, v[200:201], 1.0
	s_delay_alu instid0(VALU_DEP_1) | instskip(NEXT) | instid1(VALU_DEP_1)
	v_mul_f64 v[210:211], v[208:209], v[206:207]
	v_fma_f64 v[202:203], -v[202:203], v[210:211], v[208:209]
	s_delay_alu instid0(VALU_DEP_1) | instskip(NEXT) | instid1(VALU_DEP_1)
	v_div_fmas_f64 v[202:203], v[202:203], v[206:207], v[210:211]
	v_div_fixup_f64 v[206:207], v[202:203], v[200:201], 1.0
                                        ; implicit-def: $vgpr200_vgpr201
	s_delay_alu instid0(VALU_DEP_1)
	v_mul_f64 v[208:209], v[204:205], v[206:207]
	v_xor_b32_e32 v207, 0x80000000, v207
.LBB99_167:
	s_and_not1_saveexec_b32 s3, s3
	s_cbranch_execz .LBB99_169
; %bb.168:
	v_div_scale_f64 v[204:205], null, v[200:201], v[200:201], v[202:203]
	v_div_scale_f64 v[210:211], vcc_lo, v[202:203], v[200:201], v[202:203]
	s_delay_alu instid0(VALU_DEP_2) | instskip(SKIP_2) | instid1(VALU_DEP_1)
	v_rcp_f64_e32 v[206:207], v[204:205]
	s_waitcnt_depctr 0xfff
	v_fma_f64 v[208:209], -v[204:205], v[206:207], 1.0
	v_fma_f64 v[206:207], v[206:207], v[208:209], v[206:207]
	s_delay_alu instid0(VALU_DEP_1) | instskip(NEXT) | instid1(VALU_DEP_1)
	v_fma_f64 v[208:209], -v[204:205], v[206:207], 1.0
	v_fma_f64 v[206:207], v[206:207], v[208:209], v[206:207]
	s_delay_alu instid0(VALU_DEP_1) | instskip(NEXT) | instid1(VALU_DEP_1)
	v_mul_f64 v[208:209], v[210:211], v[206:207]
	v_fma_f64 v[204:205], -v[204:205], v[208:209], v[210:211]
	s_delay_alu instid0(VALU_DEP_1) | instskip(NEXT) | instid1(VALU_DEP_1)
	v_div_fmas_f64 v[204:205], v[204:205], v[206:207], v[208:209]
	v_div_fixup_f64 v[204:205], v[204:205], v[200:201], v[202:203]
	s_delay_alu instid0(VALU_DEP_1) | instskip(NEXT) | instid1(VALU_DEP_1)
	v_fma_f64 v[200:201], v[202:203], v[204:205], v[200:201]
	v_div_scale_f64 v[202:203], null, v[200:201], v[200:201], 1.0
	s_delay_alu instid0(VALU_DEP_1) | instskip(SKIP_2) | instid1(VALU_DEP_1)
	v_rcp_f64_e32 v[206:207], v[202:203]
	s_waitcnt_depctr 0xfff
	v_fma_f64 v[208:209], -v[202:203], v[206:207], 1.0
	v_fma_f64 v[206:207], v[206:207], v[208:209], v[206:207]
	s_delay_alu instid0(VALU_DEP_1) | instskip(NEXT) | instid1(VALU_DEP_1)
	v_fma_f64 v[208:209], -v[202:203], v[206:207], 1.0
	v_fma_f64 v[206:207], v[206:207], v[208:209], v[206:207]
	v_div_scale_f64 v[208:209], vcc_lo, 1.0, v[200:201], 1.0
	s_delay_alu instid0(VALU_DEP_1) | instskip(NEXT) | instid1(VALU_DEP_1)
	v_mul_f64 v[210:211], v[208:209], v[206:207]
	v_fma_f64 v[202:203], -v[202:203], v[210:211], v[208:209]
	s_delay_alu instid0(VALU_DEP_1) | instskip(NEXT) | instid1(VALU_DEP_1)
	v_div_fmas_f64 v[202:203], v[202:203], v[206:207], v[210:211]
	v_div_fixup_f64 v[208:209], v[202:203], v[200:201], 1.0
	s_delay_alu instid0(VALU_DEP_1)
	v_mul_f64 v[206:207], v[204:205], -v[208:209]
.LBB99_169:
	s_or_b32 exec_lo, exec_lo, s3
	ds_store_2addr_b64 v235, v[208:209], v[206:207] offset1:1
.LBB99_170:
	s_or_b32 exec_lo, exec_lo, s4
	s_waitcnt lgkmcnt(0)
	s_barrier
	buffer_gl0_inv
	ds_load_2addr_b64 v[200:203], v235 offset1:1
	s_mov_b32 s3, exec_lo
	s_waitcnt lgkmcnt(0)
	scratch_store_b128 off, v[200:203], off offset:672 ; 16-byte Folded Spill
	v_cmpx_lt_u32_e32 18, v234
	s_cbranch_execz .LBB99_172
; %bb.171:
	scratch_load_b128 v[202:205], off, off offset:672 ; 16-byte Folded Reload
	s_waitcnt vmcnt(0)
	v_mul_f64 v[200:201], v[204:205], v[126:127]
	v_mul_f64 v[126:127], v[202:203], v[126:127]
	s_delay_alu instid0(VALU_DEP_2) | instskip(NEXT) | instid1(VALU_DEP_2)
	v_fma_f64 v[200:201], v[202:203], v[124:125], -v[200:201]
	v_fma_f64 v[126:127], v[204:205], v[124:125], v[126:127]
	ds_load_2addr_b64 v[202:205], v236 offset0:38 offset1:39
	s_waitcnt lgkmcnt(0)
	v_mul_f64 v[124:125], v[204:205], v[126:127]
	s_delay_alu instid0(VALU_DEP_1) | instskip(SKIP_1) | instid1(VALU_DEP_2)
	v_fma_f64 v[124:125], v[202:203], v[200:201], -v[124:125]
	v_mul_f64 v[202:203], v[202:203], v[126:127]
	v_add_f64 v[120:121], v[120:121], -v[124:125]
	s_delay_alu instid0(VALU_DEP_2) | instskip(NEXT) | instid1(VALU_DEP_1)
	v_fma_f64 v[202:203], v[204:205], v[200:201], v[202:203]
	v_add_f64 v[122:123], v[122:123], -v[202:203]
	ds_load_2addr_b64 v[202:205], v236 offset0:40 offset1:41
	s_waitcnt lgkmcnt(0)
	v_mul_f64 v[124:125], v[204:205], v[126:127]
	s_delay_alu instid0(VALU_DEP_1) | instskip(SKIP_1) | instid1(VALU_DEP_2)
	v_fma_f64 v[124:125], v[202:203], v[200:201], -v[124:125]
	v_mul_f64 v[202:203], v[202:203], v[126:127]
	v_add_f64 v[116:117], v[116:117], -v[124:125]
	s_delay_alu instid0(VALU_DEP_2) | instskip(NEXT) | instid1(VALU_DEP_1)
	v_fma_f64 v[202:203], v[204:205], v[200:201], v[202:203]
	v_add_f64 v[118:119], v[118:119], -v[202:203]
	;; [unrolled: 10-line block ×30, first 2 shown]
	ds_load_2addr_b64 v[202:205], v236 offset0:98 offset1:99
	s_waitcnt lgkmcnt(0)
	v_mul_f64 v[124:125], v[204:205], v[126:127]
	s_delay_alu instid0(VALU_DEP_1) | instskip(SKIP_1) | instid1(VALU_DEP_2)
	v_fma_f64 v[124:125], v[202:203], v[200:201], -v[124:125]
	v_mul_f64 v[202:203], v[202:203], v[126:127]
	v_add_f64 v[0:1], v[0:1], -v[124:125]
	s_delay_alu instid0(VALU_DEP_2) | instskip(SKIP_1) | instid1(VALU_DEP_2)
	v_fma_f64 v[202:203], v[204:205], v[200:201], v[202:203]
	v_dual_mov_b32 v124, v200 :: v_dual_mov_b32 v125, v201
	v_add_f64 v[2:3], v[2:3], -v[202:203]
.LBB99_172:
	s_or_b32 exec_lo, exec_lo, s3
	s_delay_alu instid0(SALU_CYCLE_1)
	s_mov_b32 s4, exec_lo
	s_waitcnt_vscnt null, 0x0
	s_barrier
	buffer_gl0_inv
	v_cmpx_eq_u32_e32 19, v234
	s_cbranch_execz .LBB99_179
; %bb.173:
	ds_store_2addr_b64 v235, v[120:121], v[122:123] offset1:1
	ds_store_2addr_b64 v236, v[116:117], v[118:119] offset0:40 offset1:41
	ds_store_2addr_b64 v236, v[112:113], v[114:115] offset0:42 offset1:43
	ds_store_2addr_b64 v236, v[108:109], v[110:111] offset0:44 offset1:45
	ds_store_2addr_b64 v236, v[104:105], v[106:107] offset0:46 offset1:47
	ds_store_2addr_b64 v236, v[100:101], v[102:103] offset0:48 offset1:49
	ds_store_2addr_b64 v236, v[96:97], v[98:99] offset0:50 offset1:51
	ds_store_2addr_b64 v236, v[92:93], v[94:95] offset0:52 offset1:53
	ds_store_2addr_b64 v236, v[88:89], v[90:91] offset0:54 offset1:55
	ds_store_2addr_b64 v236, v[84:85], v[86:87] offset0:56 offset1:57
	ds_store_2addr_b64 v236, v[80:81], v[82:83] offset0:58 offset1:59
	ds_store_2addr_b64 v236, v[76:77], v[78:79] offset0:60 offset1:61
	ds_store_2addr_b64 v236, v[72:73], v[74:75] offset0:62 offset1:63
	ds_store_2addr_b64 v236, v[68:69], v[70:71] offset0:64 offset1:65
	ds_store_2addr_b64 v236, v[64:65], v[66:67] offset0:66 offset1:67
	ds_store_2addr_b64 v236, v[60:61], v[62:63] offset0:68 offset1:69
	ds_store_2addr_b64 v236, v[56:57], v[58:59] offset0:70 offset1:71
	ds_store_2addr_b64 v236, v[52:53], v[54:55] offset0:72 offset1:73
	ds_store_2addr_b64 v236, v[48:49], v[50:51] offset0:74 offset1:75
	ds_store_2addr_b64 v236, v[44:45], v[46:47] offset0:76 offset1:77
	ds_store_2addr_b64 v236, v[40:41], v[42:43] offset0:78 offset1:79
	ds_store_2addr_b64 v236, v[36:37], v[38:39] offset0:80 offset1:81
	ds_store_2addr_b64 v236, v[32:33], v[34:35] offset0:82 offset1:83
	ds_store_2addr_b64 v236, v[28:29], v[30:31] offset0:84 offset1:85
	ds_store_2addr_b64 v236, v[24:25], v[26:27] offset0:86 offset1:87
	ds_store_2addr_b64 v236, v[20:21], v[22:23] offset0:88 offset1:89
	ds_store_2addr_b64 v236, v[16:17], v[18:19] offset0:90 offset1:91
	ds_store_2addr_b64 v236, v[12:13], v[14:15] offset0:92 offset1:93
	ds_store_2addr_b64 v236, v[8:9], v[10:11] offset0:94 offset1:95
	ds_store_2addr_b64 v236, v[4:5], v[6:7] offset0:96 offset1:97
	ds_store_2addr_b64 v236, v[0:1], v[2:3] offset0:98 offset1:99
	ds_load_2addr_b64 v[200:203], v235 offset1:1
	s_waitcnt lgkmcnt(0)
	v_cmp_neq_f64_e32 vcc_lo, 0, v[200:201]
	v_cmp_neq_f64_e64 s3, 0, v[202:203]
	s_delay_alu instid0(VALU_DEP_1) | instskip(NEXT) | instid1(SALU_CYCLE_1)
	s_or_b32 s3, vcc_lo, s3
	s_and_b32 exec_lo, exec_lo, s3
	s_cbranch_execz .LBB99_179
; %bb.174:
	v_cmp_gt_f64_e32 vcc_lo, 0, v[200:201]
	v_xor_b32_e32 v204, 0x80000000, v201
	v_xor_b32_e32 v206, 0x80000000, v203
	s_mov_b32 s3, exec_lo
                                        ; implicit-def: $vgpr208_vgpr209
	s_delay_alu instid0(VALU_DEP_2) | instskip(SKIP_4) | instid1(VALU_DEP_1)
	v_cndmask_b32_e32 v205, v201, v204, vcc_lo
	v_cndmask_b32_e32 v204, v200, v200, vcc_lo
	v_cmp_gt_f64_e32 vcc_lo, 0, v[202:203]
	v_cndmask_b32_e32 v207, v203, v206, vcc_lo
	v_cndmask_b32_e32 v206, v202, v202, vcc_lo
	v_cmpx_ngt_f64_e32 v[204:205], v[206:207]
	s_xor_b32 s3, exec_lo, s3
                                        ; implicit-def: $vgpr204_vgpr205_vgpr206_vgpr207
	s_cbranch_execz .LBB99_176
; %bb.175:
	v_div_scale_f64 v[204:205], null, v[202:203], v[202:203], v[200:201]
	v_div_scale_f64 v[210:211], vcc_lo, v[200:201], v[202:203], v[200:201]
	s_delay_alu instid0(VALU_DEP_2) | instskip(SKIP_2) | instid1(VALU_DEP_1)
	v_rcp_f64_e32 v[206:207], v[204:205]
	s_waitcnt_depctr 0xfff
	v_fma_f64 v[208:209], -v[204:205], v[206:207], 1.0
	v_fma_f64 v[206:207], v[206:207], v[208:209], v[206:207]
	s_delay_alu instid0(VALU_DEP_1) | instskip(NEXT) | instid1(VALU_DEP_1)
	v_fma_f64 v[208:209], -v[204:205], v[206:207], 1.0
	v_fma_f64 v[206:207], v[206:207], v[208:209], v[206:207]
	s_delay_alu instid0(VALU_DEP_1) | instskip(NEXT) | instid1(VALU_DEP_1)
	v_mul_f64 v[208:209], v[210:211], v[206:207]
	v_fma_f64 v[204:205], -v[204:205], v[208:209], v[210:211]
	s_delay_alu instid0(VALU_DEP_1) | instskip(NEXT) | instid1(VALU_DEP_1)
	v_div_fmas_f64 v[204:205], v[204:205], v[206:207], v[208:209]
	v_div_fixup_f64 v[204:205], v[204:205], v[202:203], v[200:201]
	s_delay_alu instid0(VALU_DEP_1) | instskip(NEXT) | instid1(VALU_DEP_1)
	v_fma_f64 v[200:201], v[200:201], v[204:205], v[202:203]
	v_div_scale_f64 v[202:203], null, v[200:201], v[200:201], 1.0
	s_delay_alu instid0(VALU_DEP_1) | instskip(SKIP_2) | instid1(VALU_DEP_1)
	v_rcp_f64_e32 v[206:207], v[202:203]
	s_waitcnt_depctr 0xfff
	v_fma_f64 v[208:209], -v[202:203], v[206:207], 1.0
	v_fma_f64 v[206:207], v[206:207], v[208:209], v[206:207]
	s_delay_alu instid0(VALU_DEP_1) | instskip(NEXT) | instid1(VALU_DEP_1)
	v_fma_f64 v[208:209], -v[202:203], v[206:207], 1.0
	v_fma_f64 v[206:207], v[206:207], v[208:209], v[206:207]
	v_div_scale_f64 v[208:209], vcc_lo, 1.0, v[200:201], 1.0
	s_delay_alu instid0(VALU_DEP_1) | instskip(NEXT) | instid1(VALU_DEP_1)
	v_mul_f64 v[210:211], v[208:209], v[206:207]
	v_fma_f64 v[202:203], -v[202:203], v[210:211], v[208:209]
	s_delay_alu instid0(VALU_DEP_1) | instskip(NEXT) | instid1(VALU_DEP_1)
	v_div_fmas_f64 v[202:203], v[202:203], v[206:207], v[210:211]
	v_div_fixup_f64 v[206:207], v[202:203], v[200:201], 1.0
                                        ; implicit-def: $vgpr200_vgpr201
	s_delay_alu instid0(VALU_DEP_1)
	v_mul_f64 v[208:209], v[204:205], v[206:207]
	v_xor_b32_e32 v207, 0x80000000, v207
.LBB99_176:
	s_and_not1_saveexec_b32 s3, s3
	s_cbranch_execz .LBB99_178
; %bb.177:
	v_div_scale_f64 v[204:205], null, v[200:201], v[200:201], v[202:203]
	v_div_scale_f64 v[210:211], vcc_lo, v[202:203], v[200:201], v[202:203]
	s_delay_alu instid0(VALU_DEP_2) | instskip(SKIP_2) | instid1(VALU_DEP_1)
	v_rcp_f64_e32 v[206:207], v[204:205]
	s_waitcnt_depctr 0xfff
	v_fma_f64 v[208:209], -v[204:205], v[206:207], 1.0
	v_fma_f64 v[206:207], v[206:207], v[208:209], v[206:207]
	s_delay_alu instid0(VALU_DEP_1) | instskip(NEXT) | instid1(VALU_DEP_1)
	v_fma_f64 v[208:209], -v[204:205], v[206:207], 1.0
	v_fma_f64 v[206:207], v[206:207], v[208:209], v[206:207]
	s_delay_alu instid0(VALU_DEP_1) | instskip(NEXT) | instid1(VALU_DEP_1)
	v_mul_f64 v[208:209], v[210:211], v[206:207]
	v_fma_f64 v[204:205], -v[204:205], v[208:209], v[210:211]
	s_delay_alu instid0(VALU_DEP_1) | instskip(NEXT) | instid1(VALU_DEP_1)
	v_div_fmas_f64 v[204:205], v[204:205], v[206:207], v[208:209]
	v_div_fixup_f64 v[204:205], v[204:205], v[200:201], v[202:203]
	s_delay_alu instid0(VALU_DEP_1) | instskip(NEXT) | instid1(VALU_DEP_1)
	v_fma_f64 v[200:201], v[202:203], v[204:205], v[200:201]
	v_div_scale_f64 v[202:203], null, v[200:201], v[200:201], 1.0
	s_delay_alu instid0(VALU_DEP_1) | instskip(SKIP_2) | instid1(VALU_DEP_1)
	v_rcp_f64_e32 v[206:207], v[202:203]
	s_waitcnt_depctr 0xfff
	v_fma_f64 v[208:209], -v[202:203], v[206:207], 1.0
	v_fma_f64 v[206:207], v[206:207], v[208:209], v[206:207]
	s_delay_alu instid0(VALU_DEP_1) | instskip(NEXT) | instid1(VALU_DEP_1)
	v_fma_f64 v[208:209], -v[202:203], v[206:207], 1.0
	v_fma_f64 v[206:207], v[206:207], v[208:209], v[206:207]
	v_div_scale_f64 v[208:209], vcc_lo, 1.0, v[200:201], 1.0
	s_delay_alu instid0(VALU_DEP_1) | instskip(NEXT) | instid1(VALU_DEP_1)
	v_mul_f64 v[210:211], v[208:209], v[206:207]
	v_fma_f64 v[202:203], -v[202:203], v[210:211], v[208:209]
	s_delay_alu instid0(VALU_DEP_1) | instskip(NEXT) | instid1(VALU_DEP_1)
	v_div_fmas_f64 v[202:203], v[202:203], v[206:207], v[210:211]
	v_div_fixup_f64 v[208:209], v[202:203], v[200:201], 1.0
	s_delay_alu instid0(VALU_DEP_1)
	v_mul_f64 v[206:207], v[204:205], -v[208:209]
.LBB99_178:
	s_or_b32 exec_lo, exec_lo, s3
	ds_store_2addr_b64 v235, v[208:209], v[206:207] offset1:1
.LBB99_179:
	s_or_b32 exec_lo, exec_lo, s4
	s_waitcnt lgkmcnt(0)
	s_barrier
	buffer_gl0_inv
	ds_load_2addr_b64 v[200:203], v235 offset1:1
	s_mov_b32 s3, exec_lo
	s_waitcnt lgkmcnt(0)
	scratch_store_b128 off, v[200:203], off offset:688 ; 16-byte Folded Spill
	v_cmpx_lt_u32_e32 19, v234
	s_cbranch_execz .LBB99_181
; %bb.180:
	scratch_load_b128 v[202:205], off, off offset:688 ; 16-byte Folded Reload
	s_waitcnt vmcnt(0)
	v_mul_f64 v[200:201], v[204:205], v[122:123]
	v_mul_f64 v[122:123], v[202:203], v[122:123]
	s_delay_alu instid0(VALU_DEP_2) | instskip(NEXT) | instid1(VALU_DEP_2)
	v_fma_f64 v[200:201], v[202:203], v[120:121], -v[200:201]
	v_fma_f64 v[122:123], v[204:205], v[120:121], v[122:123]
	ds_load_2addr_b64 v[202:205], v236 offset0:40 offset1:41
	s_waitcnt lgkmcnt(0)
	v_mul_f64 v[120:121], v[204:205], v[122:123]
	s_delay_alu instid0(VALU_DEP_1) | instskip(SKIP_1) | instid1(VALU_DEP_2)
	v_fma_f64 v[120:121], v[202:203], v[200:201], -v[120:121]
	v_mul_f64 v[202:203], v[202:203], v[122:123]
	v_add_f64 v[116:117], v[116:117], -v[120:121]
	s_delay_alu instid0(VALU_DEP_2) | instskip(NEXT) | instid1(VALU_DEP_1)
	v_fma_f64 v[202:203], v[204:205], v[200:201], v[202:203]
	v_add_f64 v[118:119], v[118:119], -v[202:203]
	ds_load_2addr_b64 v[202:205], v236 offset0:42 offset1:43
	s_waitcnt lgkmcnt(0)
	v_mul_f64 v[120:121], v[204:205], v[122:123]
	s_delay_alu instid0(VALU_DEP_1) | instskip(SKIP_1) | instid1(VALU_DEP_2)
	v_fma_f64 v[120:121], v[202:203], v[200:201], -v[120:121]
	v_mul_f64 v[202:203], v[202:203], v[122:123]
	v_add_f64 v[112:113], v[112:113], -v[120:121]
	s_delay_alu instid0(VALU_DEP_2) | instskip(NEXT) | instid1(VALU_DEP_1)
	v_fma_f64 v[202:203], v[204:205], v[200:201], v[202:203]
	v_add_f64 v[114:115], v[114:115], -v[202:203]
	;; [unrolled: 10-line block ×29, first 2 shown]
	ds_load_2addr_b64 v[202:205], v236 offset0:98 offset1:99
	s_waitcnt lgkmcnt(0)
	v_mul_f64 v[120:121], v[204:205], v[122:123]
	s_delay_alu instid0(VALU_DEP_1) | instskip(SKIP_1) | instid1(VALU_DEP_2)
	v_fma_f64 v[120:121], v[202:203], v[200:201], -v[120:121]
	v_mul_f64 v[202:203], v[202:203], v[122:123]
	v_add_f64 v[0:1], v[0:1], -v[120:121]
	s_delay_alu instid0(VALU_DEP_2) | instskip(SKIP_1) | instid1(VALU_DEP_2)
	v_fma_f64 v[202:203], v[204:205], v[200:201], v[202:203]
	v_dual_mov_b32 v120, v200 :: v_dual_mov_b32 v121, v201
	v_add_f64 v[2:3], v[2:3], -v[202:203]
.LBB99_181:
	s_or_b32 exec_lo, exec_lo, s3
	s_delay_alu instid0(SALU_CYCLE_1)
	s_mov_b32 s4, exec_lo
	s_waitcnt_vscnt null, 0x0
	s_barrier
	buffer_gl0_inv
	v_cmpx_eq_u32_e32 20, v234
	s_cbranch_execz .LBB99_188
; %bb.182:
	ds_store_2addr_b64 v235, v[116:117], v[118:119] offset1:1
	ds_store_2addr_b64 v236, v[112:113], v[114:115] offset0:42 offset1:43
	ds_store_2addr_b64 v236, v[108:109], v[110:111] offset0:44 offset1:45
	ds_store_2addr_b64 v236, v[104:105], v[106:107] offset0:46 offset1:47
	ds_store_2addr_b64 v236, v[100:101], v[102:103] offset0:48 offset1:49
	ds_store_2addr_b64 v236, v[96:97], v[98:99] offset0:50 offset1:51
	ds_store_2addr_b64 v236, v[92:93], v[94:95] offset0:52 offset1:53
	ds_store_2addr_b64 v236, v[88:89], v[90:91] offset0:54 offset1:55
	ds_store_2addr_b64 v236, v[84:85], v[86:87] offset0:56 offset1:57
	ds_store_2addr_b64 v236, v[80:81], v[82:83] offset0:58 offset1:59
	ds_store_2addr_b64 v236, v[76:77], v[78:79] offset0:60 offset1:61
	ds_store_2addr_b64 v236, v[72:73], v[74:75] offset0:62 offset1:63
	ds_store_2addr_b64 v236, v[68:69], v[70:71] offset0:64 offset1:65
	ds_store_2addr_b64 v236, v[64:65], v[66:67] offset0:66 offset1:67
	ds_store_2addr_b64 v236, v[60:61], v[62:63] offset0:68 offset1:69
	ds_store_2addr_b64 v236, v[56:57], v[58:59] offset0:70 offset1:71
	ds_store_2addr_b64 v236, v[52:53], v[54:55] offset0:72 offset1:73
	ds_store_2addr_b64 v236, v[48:49], v[50:51] offset0:74 offset1:75
	ds_store_2addr_b64 v236, v[44:45], v[46:47] offset0:76 offset1:77
	ds_store_2addr_b64 v236, v[40:41], v[42:43] offset0:78 offset1:79
	ds_store_2addr_b64 v236, v[36:37], v[38:39] offset0:80 offset1:81
	ds_store_2addr_b64 v236, v[32:33], v[34:35] offset0:82 offset1:83
	ds_store_2addr_b64 v236, v[28:29], v[30:31] offset0:84 offset1:85
	ds_store_2addr_b64 v236, v[24:25], v[26:27] offset0:86 offset1:87
	ds_store_2addr_b64 v236, v[20:21], v[22:23] offset0:88 offset1:89
	ds_store_2addr_b64 v236, v[16:17], v[18:19] offset0:90 offset1:91
	ds_store_2addr_b64 v236, v[12:13], v[14:15] offset0:92 offset1:93
	ds_store_2addr_b64 v236, v[8:9], v[10:11] offset0:94 offset1:95
	ds_store_2addr_b64 v236, v[4:5], v[6:7] offset0:96 offset1:97
	ds_store_2addr_b64 v236, v[0:1], v[2:3] offset0:98 offset1:99
	ds_load_2addr_b64 v[200:203], v235 offset1:1
	s_waitcnt lgkmcnt(0)
	v_cmp_neq_f64_e32 vcc_lo, 0, v[200:201]
	v_cmp_neq_f64_e64 s3, 0, v[202:203]
	s_delay_alu instid0(VALU_DEP_1) | instskip(NEXT) | instid1(SALU_CYCLE_1)
	s_or_b32 s3, vcc_lo, s3
	s_and_b32 exec_lo, exec_lo, s3
	s_cbranch_execz .LBB99_188
; %bb.183:
	v_cmp_gt_f64_e32 vcc_lo, 0, v[200:201]
	v_xor_b32_e32 v204, 0x80000000, v201
	v_xor_b32_e32 v206, 0x80000000, v203
	s_mov_b32 s3, exec_lo
                                        ; implicit-def: $vgpr208_vgpr209
	s_delay_alu instid0(VALU_DEP_2) | instskip(SKIP_4) | instid1(VALU_DEP_1)
	v_cndmask_b32_e32 v205, v201, v204, vcc_lo
	v_cndmask_b32_e32 v204, v200, v200, vcc_lo
	v_cmp_gt_f64_e32 vcc_lo, 0, v[202:203]
	v_cndmask_b32_e32 v207, v203, v206, vcc_lo
	v_cndmask_b32_e32 v206, v202, v202, vcc_lo
	v_cmpx_ngt_f64_e32 v[204:205], v[206:207]
	s_xor_b32 s3, exec_lo, s3
                                        ; implicit-def: $vgpr204_vgpr205_vgpr206_vgpr207
	s_cbranch_execz .LBB99_185
; %bb.184:
	v_div_scale_f64 v[204:205], null, v[202:203], v[202:203], v[200:201]
	v_div_scale_f64 v[210:211], vcc_lo, v[200:201], v[202:203], v[200:201]
	s_delay_alu instid0(VALU_DEP_2) | instskip(SKIP_2) | instid1(VALU_DEP_1)
	v_rcp_f64_e32 v[206:207], v[204:205]
	s_waitcnt_depctr 0xfff
	v_fma_f64 v[208:209], -v[204:205], v[206:207], 1.0
	v_fma_f64 v[206:207], v[206:207], v[208:209], v[206:207]
	s_delay_alu instid0(VALU_DEP_1) | instskip(NEXT) | instid1(VALU_DEP_1)
	v_fma_f64 v[208:209], -v[204:205], v[206:207], 1.0
	v_fma_f64 v[206:207], v[206:207], v[208:209], v[206:207]
	s_delay_alu instid0(VALU_DEP_1) | instskip(NEXT) | instid1(VALU_DEP_1)
	v_mul_f64 v[208:209], v[210:211], v[206:207]
	v_fma_f64 v[204:205], -v[204:205], v[208:209], v[210:211]
	s_delay_alu instid0(VALU_DEP_1) | instskip(NEXT) | instid1(VALU_DEP_1)
	v_div_fmas_f64 v[204:205], v[204:205], v[206:207], v[208:209]
	v_div_fixup_f64 v[204:205], v[204:205], v[202:203], v[200:201]
	s_delay_alu instid0(VALU_DEP_1) | instskip(NEXT) | instid1(VALU_DEP_1)
	v_fma_f64 v[200:201], v[200:201], v[204:205], v[202:203]
	v_div_scale_f64 v[202:203], null, v[200:201], v[200:201], 1.0
	s_delay_alu instid0(VALU_DEP_1) | instskip(SKIP_2) | instid1(VALU_DEP_1)
	v_rcp_f64_e32 v[206:207], v[202:203]
	s_waitcnt_depctr 0xfff
	v_fma_f64 v[208:209], -v[202:203], v[206:207], 1.0
	v_fma_f64 v[206:207], v[206:207], v[208:209], v[206:207]
	s_delay_alu instid0(VALU_DEP_1) | instskip(NEXT) | instid1(VALU_DEP_1)
	v_fma_f64 v[208:209], -v[202:203], v[206:207], 1.0
	v_fma_f64 v[206:207], v[206:207], v[208:209], v[206:207]
	v_div_scale_f64 v[208:209], vcc_lo, 1.0, v[200:201], 1.0
	s_delay_alu instid0(VALU_DEP_1) | instskip(NEXT) | instid1(VALU_DEP_1)
	v_mul_f64 v[210:211], v[208:209], v[206:207]
	v_fma_f64 v[202:203], -v[202:203], v[210:211], v[208:209]
	s_delay_alu instid0(VALU_DEP_1) | instskip(NEXT) | instid1(VALU_DEP_1)
	v_div_fmas_f64 v[202:203], v[202:203], v[206:207], v[210:211]
	v_div_fixup_f64 v[206:207], v[202:203], v[200:201], 1.0
                                        ; implicit-def: $vgpr200_vgpr201
	s_delay_alu instid0(VALU_DEP_1)
	v_mul_f64 v[208:209], v[204:205], v[206:207]
	v_xor_b32_e32 v207, 0x80000000, v207
.LBB99_185:
	s_and_not1_saveexec_b32 s3, s3
	s_cbranch_execz .LBB99_187
; %bb.186:
	v_div_scale_f64 v[204:205], null, v[200:201], v[200:201], v[202:203]
	v_div_scale_f64 v[210:211], vcc_lo, v[202:203], v[200:201], v[202:203]
	s_delay_alu instid0(VALU_DEP_2) | instskip(SKIP_2) | instid1(VALU_DEP_1)
	v_rcp_f64_e32 v[206:207], v[204:205]
	s_waitcnt_depctr 0xfff
	v_fma_f64 v[208:209], -v[204:205], v[206:207], 1.0
	v_fma_f64 v[206:207], v[206:207], v[208:209], v[206:207]
	s_delay_alu instid0(VALU_DEP_1) | instskip(NEXT) | instid1(VALU_DEP_1)
	v_fma_f64 v[208:209], -v[204:205], v[206:207], 1.0
	v_fma_f64 v[206:207], v[206:207], v[208:209], v[206:207]
	s_delay_alu instid0(VALU_DEP_1) | instskip(NEXT) | instid1(VALU_DEP_1)
	v_mul_f64 v[208:209], v[210:211], v[206:207]
	v_fma_f64 v[204:205], -v[204:205], v[208:209], v[210:211]
	s_delay_alu instid0(VALU_DEP_1) | instskip(NEXT) | instid1(VALU_DEP_1)
	v_div_fmas_f64 v[204:205], v[204:205], v[206:207], v[208:209]
	v_div_fixup_f64 v[204:205], v[204:205], v[200:201], v[202:203]
	s_delay_alu instid0(VALU_DEP_1) | instskip(NEXT) | instid1(VALU_DEP_1)
	v_fma_f64 v[200:201], v[202:203], v[204:205], v[200:201]
	v_div_scale_f64 v[202:203], null, v[200:201], v[200:201], 1.0
	s_delay_alu instid0(VALU_DEP_1) | instskip(SKIP_2) | instid1(VALU_DEP_1)
	v_rcp_f64_e32 v[206:207], v[202:203]
	s_waitcnt_depctr 0xfff
	v_fma_f64 v[208:209], -v[202:203], v[206:207], 1.0
	v_fma_f64 v[206:207], v[206:207], v[208:209], v[206:207]
	s_delay_alu instid0(VALU_DEP_1) | instskip(NEXT) | instid1(VALU_DEP_1)
	v_fma_f64 v[208:209], -v[202:203], v[206:207], 1.0
	v_fma_f64 v[206:207], v[206:207], v[208:209], v[206:207]
	v_div_scale_f64 v[208:209], vcc_lo, 1.0, v[200:201], 1.0
	s_delay_alu instid0(VALU_DEP_1) | instskip(NEXT) | instid1(VALU_DEP_1)
	v_mul_f64 v[210:211], v[208:209], v[206:207]
	v_fma_f64 v[202:203], -v[202:203], v[210:211], v[208:209]
	s_delay_alu instid0(VALU_DEP_1) | instskip(NEXT) | instid1(VALU_DEP_1)
	v_div_fmas_f64 v[202:203], v[202:203], v[206:207], v[210:211]
	v_div_fixup_f64 v[208:209], v[202:203], v[200:201], 1.0
	s_delay_alu instid0(VALU_DEP_1)
	v_mul_f64 v[206:207], v[204:205], -v[208:209]
.LBB99_187:
	s_or_b32 exec_lo, exec_lo, s3
	ds_store_2addr_b64 v235, v[208:209], v[206:207] offset1:1
.LBB99_188:
	s_or_b32 exec_lo, exec_lo, s4
	s_waitcnt lgkmcnt(0)
	s_barrier
	buffer_gl0_inv
	ds_load_2addr_b64 v[200:203], v235 offset1:1
	s_mov_b32 s3, exec_lo
	s_waitcnt lgkmcnt(0)
	scratch_store_b128 off, v[200:203], off offset:704 ; 16-byte Folded Spill
	v_cmpx_lt_u32_e32 20, v234
	s_cbranch_execz .LBB99_190
; %bb.189:
	scratch_load_b128 v[202:205], off, off offset:704 ; 16-byte Folded Reload
	s_waitcnt vmcnt(0)
	v_mul_f64 v[200:201], v[204:205], v[118:119]
	v_mul_f64 v[118:119], v[202:203], v[118:119]
	s_delay_alu instid0(VALU_DEP_2) | instskip(NEXT) | instid1(VALU_DEP_2)
	v_fma_f64 v[200:201], v[202:203], v[116:117], -v[200:201]
	v_fma_f64 v[118:119], v[204:205], v[116:117], v[118:119]
	ds_load_2addr_b64 v[202:205], v236 offset0:42 offset1:43
	s_waitcnt lgkmcnt(0)
	v_mul_f64 v[116:117], v[204:205], v[118:119]
	s_delay_alu instid0(VALU_DEP_1) | instskip(SKIP_1) | instid1(VALU_DEP_2)
	v_fma_f64 v[116:117], v[202:203], v[200:201], -v[116:117]
	v_mul_f64 v[202:203], v[202:203], v[118:119]
	v_add_f64 v[112:113], v[112:113], -v[116:117]
	s_delay_alu instid0(VALU_DEP_2) | instskip(NEXT) | instid1(VALU_DEP_1)
	v_fma_f64 v[202:203], v[204:205], v[200:201], v[202:203]
	v_add_f64 v[114:115], v[114:115], -v[202:203]
	ds_load_2addr_b64 v[202:205], v236 offset0:44 offset1:45
	s_waitcnt lgkmcnt(0)
	v_mul_f64 v[116:117], v[204:205], v[118:119]
	s_delay_alu instid0(VALU_DEP_1) | instskip(SKIP_1) | instid1(VALU_DEP_2)
	v_fma_f64 v[116:117], v[202:203], v[200:201], -v[116:117]
	v_mul_f64 v[202:203], v[202:203], v[118:119]
	v_add_f64 v[108:109], v[108:109], -v[116:117]
	s_delay_alu instid0(VALU_DEP_2) | instskip(NEXT) | instid1(VALU_DEP_1)
	v_fma_f64 v[202:203], v[204:205], v[200:201], v[202:203]
	v_add_f64 v[110:111], v[110:111], -v[202:203]
	;; [unrolled: 10-line block ×28, first 2 shown]
	ds_load_2addr_b64 v[202:205], v236 offset0:98 offset1:99
	s_waitcnt lgkmcnt(0)
	v_mul_f64 v[116:117], v[204:205], v[118:119]
	s_delay_alu instid0(VALU_DEP_1) | instskip(SKIP_1) | instid1(VALU_DEP_2)
	v_fma_f64 v[116:117], v[202:203], v[200:201], -v[116:117]
	v_mul_f64 v[202:203], v[202:203], v[118:119]
	v_add_f64 v[0:1], v[0:1], -v[116:117]
	s_delay_alu instid0(VALU_DEP_2) | instskip(SKIP_1) | instid1(VALU_DEP_2)
	v_fma_f64 v[202:203], v[204:205], v[200:201], v[202:203]
	v_dual_mov_b32 v116, v200 :: v_dual_mov_b32 v117, v201
	v_add_f64 v[2:3], v[2:3], -v[202:203]
.LBB99_190:
	s_or_b32 exec_lo, exec_lo, s3
	s_delay_alu instid0(SALU_CYCLE_1)
	s_mov_b32 s4, exec_lo
	s_waitcnt_vscnt null, 0x0
	s_barrier
	buffer_gl0_inv
	v_cmpx_eq_u32_e32 21, v234
	s_cbranch_execz .LBB99_197
; %bb.191:
	ds_store_2addr_b64 v235, v[112:113], v[114:115] offset1:1
	ds_store_2addr_b64 v236, v[108:109], v[110:111] offset0:44 offset1:45
	ds_store_2addr_b64 v236, v[104:105], v[106:107] offset0:46 offset1:47
	;; [unrolled: 1-line block ×28, first 2 shown]
	ds_load_2addr_b64 v[200:203], v235 offset1:1
	s_waitcnt lgkmcnt(0)
	v_cmp_neq_f64_e32 vcc_lo, 0, v[200:201]
	v_cmp_neq_f64_e64 s3, 0, v[202:203]
	s_delay_alu instid0(VALU_DEP_1) | instskip(NEXT) | instid1(SALU_CYCLE_1)
	s_or_b32 s3, vcc_lo, s3
	s_and_b32 exec_lo, exec_lo, s3
	s_cbranch_execz .LBB99_197
; %bb.192:
	v_cmp_gt_f64_e32 vcc_lo, 0, v[200:201]
	v_xor_b32_e32 v204, 0x80000000, v201
	v_xor_b32_e32 v206, 0x80000000, v203
	s_mov_b32 s3, exec_lo
                                        ; implicit-def: $vgpr208_vgpr209
	s_delay_alu instid0(VALU_DEP_2) | instskip(SKIP_4) | instid1(VALU_DEP_1)
	v_cndmask_b32_e32 v205, v201, v204, vcc_lo
	v_cndmask_b32_e32 v204, v200, v200, vcc_lo
	v_cmp_gt_f64_e32 vcc_lo, 0, v[202:203]
	v_cndmask_b32_e32 v207, v203, v206, vcc_lo
	v_cndmask_b32_e32 v206, v202, v202, vcc_lo
	v_cmpx_ngt_f64_e32 v[204:205], v[206:207]
	s_xor_b32 s3, exec_lo, s3
                                        ; implicit-def: $vgpr204_vgpr205_vgpr206_vgpr207
	s_cbranch_execz .LBB99_194
; %bb.193:
	v_div_scale_f64 v[204:205], null, v[202:203], v[202:203], v[200:201]
	v_div_scale_f64 v[210:211], vcc_lo, v[200:201], v[202:203], v[200:201]
	s_delay_alu instid0(VALU_DEP_2) | instskip(SKIP_2) | instid1(VALU_DEP_1)
	v_rcp_f64_e32 v[206:207], v[204:205]
	s_waitcnt_depctr 0xfff
	v_fma_f64 v[208:209], -v[204:205], v[206:207], 1.0
	v_fma_f64 v[206:207], v[206:207], v[208:209], v[206:207]
	s_delay_alu instid0(VALU_DEP_1) | instskip(NEXT) | instid1(VALU_DEP_1)
	v_fma_f64 v[208:209], -v[204:205], v[206:207], 1.0
	v_fma_f64 v[206:207], v[206:207], v[208:209], v[206:207]
	s_delay_alu instid0(VALU_DEP_1) | instskip(NEXT) | instid1(VALU_DEP_1)
	v_mul_f64 v[208:209], v[210:211], v[206:207]
	v_fma_f64 v[204:205], -v[204:205], v[208:209], v[210:211]
	s_delay_alu instid0(VALU_DEP_1) | instskip(NEXT) | instid1(VALU_DEP_1)
	v_div_fmas_f64 v[204:205], v[204:205], v[206:207], v[208:209]
	v_div_fixup_f64 v[204:205], v[204:205], v[202:203], v[200:201]
	s_delay_alu instid0(VALU_DEP_1) | instskip(NEXT) | instid1(VALU_DEP_1)
	v_fma_f64 v[200:201], v[200:201], v[204:205], v[202:203]
	v_div_scale_f64 v[202:203], null, v[200:201], v[200:201], 1.0
	s_delay_alu instid0(VALU_DEP_1) | instskip(SKIP_2) | instid1(VALU_DEP_1)
	v_rcp_f64_e32 v[206:207], v[202:203]
	s_waitcnt_depctr 0xfff
	v_fma_f64 v[208:209], -v[202:203], v[206:207], 1.0
	v_fma_f64 v[206:207], v[206:207], v[208:209], v[206:207]
	s_delay_alu instid0(VALU_DEP_1) | instskip(NEXT) | instid1(VALU_DEP_1)
	v_fma_f64 v[208:209], -v[202:203], v[206:207], 1.0
	v_fma_f64 v[206:207], v[206:207], v[208:209], v[206:207]
	v_div_scale_f64 v[208:209], vcc_lo, 1.0, v[200:201], 1.0
	s_delay_alu instid0(VALU_DEP_1) | instskip(NEXT) | instid1(VALU_DEP_1)
	v_mul_f64 v[210:211], v[208:209], v[206:207]
	v_fma_f64 v[202:203], -v[202:203], v[210:211], v[208:209]
	s_delay_alu instid0(VALU_DEP_1) | instskip(NEXT) | instid1(VALU_DEP_1)
	v_div_fmas_f64 v[202:203], v[202:203], v[206:207], v[210:211]
	v_div_fixup_f64 v[206:207], v[202:203], v[200:201], 1.0
                                        ; implicit-def: $vgpr200_vgpr201
	s_delay_alu instid0(VALU_DEP_1)
	v_mul_f64 v[208:209], v[204:205], v[206:207]
	v_xor_b32_e32 v207, 0x80000000, v207
.LBB99_194:
	s_and_not1_saveexec_b32 s3, s3
	s_cbranch_execz .LBB99_196
; %bb.195:
	v_div_scale_f64 v[204:205], null, v[200:201], v[200:201], v[202:203]
	v_div_scale_f64 v[210:211], vcc_lo, v[202:203], v[200:201], v[202:203]
	s_delay_alu instid0(VALU_DEP_2) | instskip(SKIP_2) | instid1(VALU_DEP_1)
	v_rcp_f64_e32 v[206:207], v[204:205]
	s_waitcnt_depctr 0xfff
	v_fma_f64 v[208:209], -v[204:205], v[206:207], 1.0
	v_fma_f64 v[206:207], v[206:207], v[208:209], v[206:207]
	s_delay_alu instid0(VALU_DEP_1) | instskip(NEXT) | instid1(VALU_DEP_1)
	v_fma_f64 v[208:209], -v[204:205], v[206:207], 1.0
	v_fma_f64 v[206:207], v[206:207], v[208:209], v[206:207]
	s_delay_alu instid0(VALU_DEP_1) | instskip(NEXT) | instid1(VALU_DEP_1)
	v_mul_f64 v[208:209], v[210:211], v[206:207]
	v_fma_f64 v[204:205], -v[204:205], v[208:209], v[210:211]
	s_delay_alu instid0(VALU_DEP_1) | instskip(NEXT) | instid1(VALU_DEP_1)
	v_div_fmas_f64 v[204:205], v[204:205], v[206:207], v[208:209]
	v_div_fixup_f64 v[204:205], v[204:205], v[200:201], v[202:203]
	s_delay_alu instid0(VALU_DEP_1) | instskip(NEXT) | instid1(VALU_DEP_1)
	v_fma_f64 v[200:201], v[202:203], v[204:205], v[200:201]
	v_div_scale_f64 v[202:203], null, v[200:201], v[200:201], 1.0
	s_delay_alu instid0(VALU_DEP_1) | instskip(SKIP_2) | instid1(VALU_DEP_1)
	v_rcp_f64_e32 v[206:207], v[202:203]
	s_waitcnt_depctr 0xfff
	v_fma_f64 v[208:209], -v[202:203], v[206:207], 1.0
	v_fma_f64 v[206:207], v[206:207], v[208:209], v[206:207]
	s_delay_alu instid0(VALU_DEP_1) | instskip(NEXT) | instid1(VALU_DEP_1)
	v_fma_f64 v[208:209], -v[202:203], v[206:207], 1.0
	v_fma_f64 v[206:207], v[206:207], v[208:209], v[206:207]
	v_div_scale_f64 v[208:209], vcc_lo, 1.0, v[200:201], 1.0
	s_delay_alu instid0(VALU_DEP_1) | instskip(NEXT) | instid1(VALU_DEP_1)
	v_mul_f64 v[210:211], v[208:209], v[206:207]
	v_fma_f64 v[202:203], -v[202:203], v[210:211], v[208:209]
	s_delay_alu instid0(VALU_DEP_1) | instskip(NEXT) | instid1(VALU_DEP_1)
	v_div_fmas_f64 v[202:203], v[202:203], v[206:207], v[210:211]
	v_div_fixup_f64 v[208:209], v[202:203], v[200:201], 1.0
	s_delay_alu instid0(VALU_DEP_1)
	v_mul_f64 v[206:207], v[204:205], -v[208:209]
.LBB99_196:
	s_or_b32 exec_lo, exec_lo, s3
	ds_store_2addr_b64 v235, v[208:209], v[206:207] offset1:1
.LBB99_197:
	s_or_b32 exec_lo, exec_lo, s4
	s_waitcnt lgkmcnt(0)
	s_barrier
	buffer_gl0_inv
	ds_load_2addr_b64 v[200:203], v235 offset1:1
	s_mov_b32 s3, exec_lo
	s_waitcnt lgkmcnt(0)
	scratch_store_b128 off, v[200:203], off offset:720 ; 16-byte Folded Spill
	v_cmpx_lt_u32_e32 21, v234
	s_cbranch_execz .LBB99_199
; %bb.198:
	scratch_load_b128 v[202:205], off, off offset:720 ; 16-byte Folded Reload
	s_waitcnt vmcnt(0)
	v_mul_f64 v[200:201], v[204:205], v[114:115]
	v_mul_f64 v[114:115], v[202:203], v[114:115]
	s_delay_alu instid0(VALU_DEP_2) | instskip(NEXT) | instid1(VALU_DEP_2)
	v_fma_f64 v[200:201], v[202:203], v[112:113], -v[200:201]
	v_fma_f64 v[114:115], v[204:205], v[112:113], v[114:115]
	ds_load_2addr_b64 v[202:205], v236 offset0:44 offset1:45
	s_waitcnt lgkmcnt(0)
	v_mul_f64 v[112:113], v[204:205], v[114:115]
	s_delay_alu instid0(VALU_DEP_1) | instskip(SKIP_1) | instid1(VALU_DEP_2)
	v_fma_f64 v[112:113], v[202:203], v[200:201], -v[112:113]
	v_mul_f64 v[202:203], v[202:203], v[114:115]
	v_add_f64 v[108:109], v[108:109], -v[112:113]
	s_delay_alu instid0(VALU_DEP_2) | instskip(NEXT) | instid1(VALU_DEP_1)
	v_fma_f64 v[202:203], v[204:205], v[200:201], v[202:203]
	v_add_f64 v[110:111], v[110:111], -v[202:203]
	ds_load_2addr_b64 v[202:205], v236 offset0:46 offset1:47
	s_waitcnt lgkmcnt(0)
	v_mul_f64 v[112:113], v[204:205], v[114:115]
	s_delay_alu instid0(VALU_DEP_1) | instskip(SKIP_1) | instid1(VALU_DEP_2)
	v_fma_f64 v[112:113], v[202:203], v[200:201], -v[112:113]
	v_mul_f64 v[202:203], v[202:203], v[114:115]
	v_add_f64 v[104:105], v[104:105], -v[112:113]
	s_delay_alu instid0(VALU_DEP_2) | instskip(NEXT) | instid1(VALU_DEP_1)
	v_fma_f64 v[202:203], v[204:205], v[200:201], v[202:203]
	v_add_f64 v[106:107], v[106:107], -v[202:203]
	;; [unrolled: 10-line block ×27, first 2 shown]
	ds_load_2addr_b64 v[202:205], v236 offset0:98 offset1:99
	s_waitcnt lgkmcnt(0)
	v_mul_f64 v[112:113], v[204:205], v[114:115]
	s_delay_alu instid0(VALU_DEP_1) | instskip(SKIP_1) | instid1(VALU_DEP_2)
	v_fma_f64 v[112:113], v[202:203], v[200:201], -v[112:113]
	v_mul_f64 v[202:203], v[202:203], v[114:115]
	v_add_f64 v[0:1], v[0:1], -v[112:113]
	s_delay_alu instid0(VALU_DEP_2) | instskip(SKIP_1) | instid1(VALU_DEP_2)
	v_fma_f64 v[202:203], v[204:205], v[200:201], v[202:203]
	v_dual_mov_b32 v112, v200 :: v_dual_mov_b32 v113, v201
	v_add_f64 v[2:3], v[2:3], -v[202:203]
.LBB99_199:
	s_or_b32 exec_lo, exec_lo, s3
	s_delay_alu instid0(SALU_CYCLE_1)
	s_mov_b32 s4, exec_lo
	s_waitcnt_vscnt null, 0x0
	s_barrier
	buffer_gl0_inv
	v_cmpx_eq_u32_e32 22, v234
	s_cbranch_execz .LBB99_206
; %bb.200:
	ds_store_2addr_b64 v235, v[108:109], v[110:111] offset1:1
	ds_store_2addr_b64 v236, v[104:105], v[106:107] offset0:46 offset1:47
	ds_store_2addr_b64 v236, v[100:101], v[102:103] offset0:48 offset1:49
	;; [unrolled: 1-line block ×27, first 2 shown]
	ds_load_2addr_b64 v[200:203], v235 offset1:1
	s_waitcnt lgkmcnt(0)
	v_cmp_neq_f64_e32 vcc_lo, 0, v[200:201]
	v_cmp_neq_f64_e64 s3, 0, v[202:203]
	s_delay_alu instid0(VALU_DEP_1) | instskip(NEXT) | instid1(SALU_CYCLE_1)
	s_or_b32 s3, vcc_lo, s3
	s_and_b32 exec_lo, exec_lo, s3
	s_cbranch_execz .LBB99_206
; %bb.201:
	v_cmp_gt_f64_e32 vcc_lo, 0, v[200:201]
	v_xor_b32_e32 v204, 0x80000000, v201
	v_xor_b32_e32 v206, 0x80000000, v203
	s_mov_b32 s3, exec_lo
                                        ; implicit-def: $vgpr208_vgpr209
	s_delay_alu instid0(VALU_DEP_2) | instskip(SKIP_4) | instid1(VALU_DEP_1)
	v_cndmask_b32_e32 v205, v201, v204, vcc_lo
	v_cndmask_b32_e32 v204, v200, v200, vcc_lo
	v_cmp_gt_f64_e32 vcc_lo, 0, v[202:203]
	v_cndmask_b32_e32 v207, v203, v206, vcc_lo
	v_cndmask_b32_e32 v206, v202, v202, vcc_lo
	v_cmpx_ngt_f64_e32 v[204:205], v[206:207]
	s_xor_b32 s3, exec_lo, s3
                                        ; implicit-def: $vgpr204_vgpr205_vgpr206_vgpr207
	s_cbranch_execz .LBB99_203
; %bb.202:
	v_div_scale_f64 v[204:205], null, v[202:203], v[202:203], v[200:201]
	v_div_scale_f64 v[210:211], vcc_lo, v[200:201], v[202:203], v[200:201]
	s_delay_alu instid0(VALU_DEP_2) | instskip(SKIP_2) | instid1(VALU_DEP_1)
	v_rcp_f64_e32 v[206:207], v[204:205]
	s_waitcnt_depctr 0xfff
	v_fma_f64 v[208:209], -v[204:205], v[206:207], 1.0
	v_fma_f64 v[206:207], v[206:207], v[208:209], v[206:207]
	s_delay_alu instid0(VALU_DEP_1) | instskip(NEXT) | instid1(VALU_DEP_1)
	v_fma_f64 v[208:209], -v[204:205], v[206:207], 1.0
	v_fma_f64 v[206:207], v[206:207], v[208:209], v[206:207]
	s_delay_alu instid0(VALU_DEP_1) | instskip(NEXT) | instid1(VALU_DEP_1)
	v_mul_f64 v[208:209], v[210:211], v[206:207]
	v_fma_f64 v[204:205], -v[204:205], v[208:209], v[210:211]
	s_delay_alu instid0(VALU_DEP_1) | instskip(NEXT) | instid1(VALU_DEP_1)
	v_div_fmas_f64 v[204:205], v[204:205], v[206:207], v[208:209]
	v_div_fixup_f64 v[204:205], v[204:205], v[202:203], v[200:201]
	s_delay_alu instid0(VALU_DEP_1) | instskip(NEXT) | instid1(VALU_DEP_1)
	v_fma_f64 v[200:201], v[200:201], v[204:205], v[202:203]
	v_div_scale_f64 v[202:203], null, v[200:201], v[200:201], 1.0
	s_delay_alu instid0(VALU_DEP_1) | instskip(SKIP_2) | instid1(VALU_DEP_1)
	v_rcp_f64_e32 v[206:207], v[202:203]
	s_waitcnt_depctr 0xfff
	v_fma_f64 v[208:209], -v[202:203], v[206:207], 1.0
	v_fma_f64 v[206:207], v[206:207], v[208:209], v[206:207]
	s_delay_alu instid0(VALU_DEP_1) | instskip(NEXT) | instid1(VALU_DEP_1)
	v_fma_f64 v[208:209], -v[202:203], v[206:207], 1.0
	v_fma_f64 v[206:207], v[206:207], v[208:209], v[206:207]
	v_div_scale_f64 v[208:209], vcc_lo, 1.0, v[200:201], 1.0
	s_delay_alu instid0(VALU_DEP_1) | instskip(NEXT) | instid1(VALU_DEP_1)
	v_mul_f64 v[210:211], v[208:209], v[206:207]
	v_fma_f64 v[202:203], -v[202:203], v[210:211], v[208:209]
	s_delay_alu instid0(VALU_DEP_1) | instskip(NEXT) | instid1(VALU_DEP_1)
	v_div_fmas_f64 v[202:203], v[202:203], v[206:207], v[210:211]
	v_div_fixup_f64 v[206:207], v[202:203], v[200:201], 1.0
                                        ; implicit-def: $vgpr200_vgpr201
	s_delay_alu instid0(VALU_DEP_1)
	v_mul_f64 v[208:209], v[204:205], v[206:207]
	v_xor_b32_e32 v207, 0x80000000, v207
.LBB99_203:
	s_and_not1_saveexec_b32 s3, s3
	s_cbranch_execz .LBB99_205
; %bb.204:
	v_div_scale_f64 v[204:205], null, v[200:201], v[200:201], v[202:203]
	v_div_scale_f64 v[210:211], vcc_lo, v[202:203], v[200:201], v[202:203]
	s_delay_alu instid0(VALU_DEP_2) | instskip(SKIP_2) | instid1(VALU_DEP_1)
	v_rcp_f64_e32 v[206:207], v[204:205]
	s_waitcnt_depctr 0xfff
	v_fma_f64 v[208:209], -v[204:205], v[206:207], 1.0
	v_fma_f64 v[206:207], v[206:207], v[208:209], v[206:207]
	s_delay_alu instid0(VALU_DEP_1) | instskip(NEXT) | instid1(VALU_DEP_1)
	v_fma_f64 v[208:209], -v[204:205], v[206:207], 1.0
	v_fma_f64 v[206:207], v[206:207], v[208:209], v[206:207]
	s_delay_alu instid0(VALU_DEP_1) | instskip(NEXT) | instid1(VALU_DEP_1)
	v_mul_f64 v[208:209], v[210:211], v[206:207]
	v_fma_f64 v[204:205], -v[204:205], v[208:209], v[210:211]
	s_delay_alu instid0(VALU_DEP_1) | instskip(NEXT) | instid1(VALU_DEP_1)
	v_div_fmas_f64 v[204:205], v[204:205], v[206:207], v[208:209]
	v_div_fixup_f64 v[204:205], v[204:205], v[200:201], v[202:203]
	s_delay_alu instid0(VALU_DEP_1) | instskip(NEXT) | instid1(VALU_DEP_1)
	v_fma_f64 v[200:201], v[202:203], v[204:205], v[200:201]
	v_div_scale_f64 v[202:203], null, v[200:201], v[200:201], 1.0
	s_delay_alu instid0(VALU_DEP_1) | instskip(SKIP_2) | instid1(VALU_DEP_1)
	v_rcp_f64_e32 v[206:207], v[202:203]
	s_waitcnt_depctr 0xfff
	v_fma_f64 v[208:209], -v[202:203], v[206:207], 1.0
	v_fma_f64 v[206:207], v[206:207], v[208:209], v[206:207]
	s_delay_alu instid0(VALU_DEP_1) | instskip(NEXT) | instid1(VALU_DEP_1)
	v_fma_f64 v[208:209], -v[202:203], v[206:207], 1.0
	v_fma_f64 v[206:207], v[206:207], v[208:209], v[206:207]
	v_div_scale_f64 v[208:209], vcc_lo, 1.0, v[200:201], 1.0
	s_delay_alu instid0(VALU_DEP_1) | instskip(NEXT) | instid1(VALU_DEP_1)
	v_mul_f64 v[210:211], v[208:209], v[206:207]
	v_fma_f64 v[202:203], -v[202:203], v[210:211], v[208:209]
	s_delay_alu instid0(VALU_DEP_1) | instskip(NEXT) | instid1(VALU_DEP_1)
	v_div_fmas_f64 v[202:203], v[202:203], v[206:207], v[210:211]
	v_div_fixup_f64 v[208:209], v[202:203], v[200:201], 1.0
	s_delay_alu instid0(VALU_DEP_1)
	v_mul_f64 v[206:207], v[204:205], -v[208:209]
.LBB99_205:
	s_or_b32 exec_lo, exec_lo, s3
	ds_store_2addr_b64 v235, v[208:209], v[206:207] offset1:1
.LBB99_206:
	s_or_b32 exec_lo, exec_lo, s4
	s_waitcnt lgkmcnt(0)
	s_barrier
	buffer_gl0_inv
	ds_load_2addr_b64 v[200:203], v235 offset1:1
	s_mov_b32 s3, exec_lo
	s_waitcnt lgkmcnt(0)
	scratch_store_b128 off, v[200:203], off offset:736 ; 16-byte Folded Spill
	v_cmpx_lt_u32_e32 22, v234
	s_cbranch_execz .LBB99_208
; %bb.207:
	scratch_load_b128 v[202:205], off, off offset:736 ; 16-byte Folded Reload
	s_waitcnt vmcnt(0)
	v_mul_f64 v[200:201], v[204:205], v[110:111]
	v_mul_f64 v[110:111], v[202:203], v[110:111]
	s_delay_alu instid0(VALU_DEP_2) | instskip(NEXT) | instid1(VALU_DEP_2)
	v_fma_f64 v[200:201], v[202:203], v[108:109], -v[200:201]
	v_fma_f64 v[110:111], v[204:205], v[108:109], v[110:111]
	ds_load_2addr_b64 v[202:205], v236 offset0:46 offset1:47
	s_waitcnt lgkmcnt(0)
	v_mul_f64 v[108:109], v[204:205], v[110:111]
	s_delay_alu instid0(VALU_DEP_1) | instskip(SKIP_1) | instid1(VALU_DEP_2)
	v_fma_f64 v[108:109], v[202:203], v[200:201], -v[108:109]
	v_mul_f64 v[202:203], v[202:203], v[110:111]
	v_add_f64 v[104:105], v[104:105], -v[108:109]
	s_delay_alu instid0(VALU_DEP_2) | instskip(NEXT) | instid1(VALU_DEP_1)
	v_fma_f64 v[202:203], v[204:205], v[200:201], v[202:203]
	v_add_f64 v[106:107], v[106:107], -v[202:203]
	ds_load_2addr_b64 v[202:205], v236 offset0:48 offset1:49
	s_waitcnt lgkmcnt(0)
	v_mul_f64 v[108:109], v[204:205], v[110:111]
	s_delay_alu instid0(VALU_DEP_1) | instskip(SKIP_1) | instid1(VALU_DEP_2)
	v_fma_f64 v[108:109], v[202:203], v[200:201], -v[108:109]
	v_mul_f64 v[202:203], v[202:203], v[110:111]
	v_add_f64 v[100:101], v[100:101], -v[108:109]
	s_delay_alu instid0(VALU_DEP_2) | instskip(NEXT) | instid1(VALU_DEP_1)
	v_fma_f64 v[202:203], v[204:205], v[200:201], v[202:203]
	v_add_f64 v[102:103], v[102:103], -v[202:203]
	;; [unrolled: 10-line block ×26, first 2 shown]
	ds_load_2addr_b64 v[202:205], v236 offset0:98 offset1:99
	s_waitcnt lgkmcnt(0)
	v_mul_f64 v[108:109], v[204:205], v[110:111]
	s_delay_alu instid0(VALU_DEP_1) | instskip(SKIP_1) | instid1(VALU_DEP_2)
	v_fma_f64 v[108:109], v[202:203], v[200:201], -v[108:109]
	v_mul_f64 v[202:203], v[202:203], v[110:111]
	v_add_f64 v[0:1], v[0:1], -v[108:109]
	s_delay_alu instid0(VALU_DEP_2) | instskip(SKIP_1) | instid1(VALU_DEP_2)
	v_fma_f64 v[202:203], v[204:205], v[200:201], v[202:203]
	v_dual_mov_b32 v108, v200 :: v_dual_mov_b32 v109, v201
	v_add_f64 v[2:3], v[2:3], -v[202:203]
.LBB99_208:
	s_or_b32 exec_lo, exec_lo, s3
	s_delay_alu instid0(SALU_CYCLE_1)
	s_mov_b32 s4, exec_lo
	s_waitcnt_vscnt null, 0x0
	s_barrier
	buffer_gl0_inv
	v_cmpx_eq_u32_e32 23, v234
	s_cbranch_execz .LBB99_215
; %bb.209:
	ds_store_2addr_b64 v235, v[104:105], v[106:107] offset1:1
	ds_store_2addr_b64 v236, v[100:101], v[102:103] offset0:48 offset1:49
	ds_store_2addr_b64 v236, v[96:97], v[98:99] offset0:50 offset1:51
	;; [unrolled: 1-line block ×26, first 2 shown]
	ds_load_2addr_b64 v[200:203], v235 offset1:1
	s_waitcnt lgkmcnt(0)
	v_cmp_neq_f64_e32 vcc_lo, 0, v[200:201]
	v_cmp_neq_f64_e64 s3, 0, v[202:203]
	s_delay_alu instid0(VALU_DEP_1) | instskip(NEXT) | instid1(SALU_CYCLE_1)
	s_or_b32 s3, vcc_lo, s3
	s_and_b32 exec_lo, exec_lo, s3
	s_cbranch_execz .LBB99_215
; %bb.210:
	v_cmp_gt_f64_e32 vcc_lo, 0, v[200:201]
	v_xor_b32_e32 v204, 0x80000000, v201
	v_xor_b32_e32 v206, 0x80000000, v203
	s_mov_b32 s3, exec_lo
                                        ; implicit-def: $vgpr208_vgpr209
	s_delay_alu instid0(VALU_DEP_2) | instskip(SKIP_4) | instid1(VALU_DEP_1)
	v_cndmask_b32_e32 v205, v201, v204, vcc_lo
	v_cndmask_b32_e32 v204, v200, v200, vcc_lo
	v_cmp_gt_f64_e32 vcc_lo, 0, v[202:203]
	v_cndmask_b32_e32 v207, v203, v206, vcc_lo
	v_cndmask_b32_e32 v206, v202, v202, vcc_lo
	v_cmpx_ngt_f64_e32 v[204:205], v[206:207]
	s_xor_b32 s3, exec_lo, s3
                                        ; implicit-def: $vgpr204_vgpr205_vgpr206_vgpr207
	s_cbranch_execz .LBB99_212
; %bb.211:
	v_div_scale_f64 v[204:205], null, v[202:203], v[202:203], v[200:201]
	v_div_scale_f64 v[210:211], vcc_lo, v[200:201], v[202:203], v[200:201]
	s_delay_alu instid0(VALU_DEP_2) | instskip(SKIP_2) | instid1(VALU_DEP_1)
	v_rcp_f64_e32 v[206:207], v[204:205]
	s_waitcnt_depctr 0xfff
	v_fma_f64 v[208:209], -v[204:205], v[206:207], 1.0
	v_fma_f64 v[206:207], v[206:207], v[208:209], v[206:207]
	s_delay_alu instid0(VALU_DEP_1) | instskip(NEXT) | instid1(VALU_DEP_1)
	v_fma_f64 v[208:209], -v[204:205], v[206:207], 1.0
	v_fma_f64 v[206:207], v[206:207], v[208:209], v[206:207]
	s_delay_alu instid0(VALU_DEP_1) | instskip(NEXT) | instid1(VALU_DEP_1)
	v_mul_f64 v[208:209], v[210:211], v[206:207]
	v_fma_f64 v[204:205], -v[204:205], v[208:209], v[210:211]
	s_delay_alu instid0(VALU_DEP_1) | instskip(NEXT) | instid1(VALU_DEP_1)
	v_div_fmas_f64 v[204:205], v[204:205], v[206:207], v[208:209]
	v_div_fixup_f64 v[204:205], v[204:205], v[202:203], v[200:201]
	s_delay_alu instid0(VALU_DEP_1) | instskip(NEXT) | instid1(VALU_DEP_1)
	v_fma_f64 v[200:201], v[200:201], v[204:205], v[202:203]
	v_div_scale_f64 v[202:203], null, v[200:201], v[200:201], 1.0
	s_delay_alu instid0(VALU_DEP_1) | instskip(SKIP_2) | instid1(VALU_DEP_1)
	v_rcp_f64_e32 v[206:207], v[202:203]
	s_waitcnt_depctr 0xfff
	v_fma_f64 v[208:209], -v[202:203], v[206:207], 1.0
	v_fma_f64 v[206:207], v[206:207], v[208:209], v[206:207]
	s_delay_alu instid0(VALU_DEP_1) | instskip(NEXT) | instid1(VALU_DEP_1)
	v_fma_f64 v[208:209], -v[202:203], v[206:207], 1.0
	v_fma_f64 v[206:207], v[206:207], v[208:209], v[206:207]
	v_div_scale_f64 v[208:209], vcc_lo, 1.0, v[200:201], 1.0
	s_delay_alu instid0(VALU_DEP_1) | instskip(NEXT) | instid1(VALU_DEP_1)
	v_mul_f64 v[210:211], v[208:209], v[206:207]
	v_fma_f64 v[202:203], -v[202:203], v[210:211], v[208:209]
	s_delay_alu instid0(VALU_DEP_1) | instskip(NEXT) | instid1(VALU_DEP_1)
	v_div_fmas_f64 v[202:203], v[202:203], v[206:207], v[210:211]
	v_div_fixup_f64 v[206:207], v[202:203], v[200:201], 1.0
                                        ; implicit-def: $vgpr200_vgpr201
	s_delay_alu instid0(VALU_DEP_1)
	v_mul_f64 v[208:209], v[204:205], v[206:207]
	v_xor_b32_e32 v207, 0x80000000, v207
.LBB99_212:
	s_and_not1_saveexec_b32 s3, s3
	s_cbranch_execz .LBB99_214
; %bb.213:
	v_div_scale_f64 v[204:205], null, v[200:201], v[200:201], v[202:203]
	v_div_scale_f64 v[210:211], vcc_lo, v[202:203], v[200:201], v[202:203]
	s_delay_alu instid0(VALU_DEP_2) | instskip(SKIP_2) | instid1(VALU_DEP_1)
	v_rcp_f64_e32 v[206:207], v[204:205]
	s_waitcnt_depctr 0xfff
	v_fma_f64 v[208:209], -v[204:205], v[206:207], 1.0
	v_fma_f64 v[206:207], v[206:207], v[208:209], v[206:207]
	s_delay_alu instid0(VALU_DEP_1) | instskip(NEXT) | instid1(VALU_DEP_1)
	v_fma_f64 v[208:209], -v[204:205], v[206:207], 1.0
	v_fma_f64 v[206:207], v[206:207], v[208:209], v[206:207]
	s_delay_alu instid0(VALU_DEP_1) | instskip(NEXT) | instid1(VALU_DEP_1)
	v_mul_f64 v[208:209], v[210:211], v[206:207]
	v_fma_f64 v[204:205], -v[204:205], v[208:209], v[210:211]
	s_delay_alu instid0(VALU_DEP_1) | instskip(NEXT) | instid1(VALU_DEP_1)
	v_div_fmas_f64 v[204:205], v[204:205], v[206:207], v[208:209]
	v_div_fixup_f64 v[204:205], v[204:205], v[200:201], v[202:203]
	s_delay_alu instid0(VALU_DEP_1) | instskip(NEXT) | instid1(VALU_DEP_1)
	v_fma_f64 v[200:201], v[202:203], v[204:205], v[200:201]
	v_div_scale_f64 v[202:203], null, v[200:201], v[200:201], 1.0
	s_delay_alu instid0(VALU_DEP_1) | instskip(SKIP_2) | instid1(VALU_DEP_1)
	v_rcp_f64_e32 v[206:207], v[202:203]
	s_waitcnt_depctr 0xfff
	v_fma_f64 v[208:209], -v[202:203], v[206:207], 1.0
	v_fma_f64 v[206:207], v[206:207], v[208:209], v[206:207]
	s_delay_alu instid0(VALU_DEP_1) | instskip(NEXT) | instid1(VALU_DEP_1)
	v_fma_f64 v[208:209], -v[202:203], v[206:207], 1.0
	v_fma_f64 v[206:207], v[206:207], v[208:209], v[206:207]
	v_div_scale_f64 v[208:209], vcc_lo, 1.0, v[200:201], 1.0
	s_delay_alu instid0(VALU_DEP_1) | instskip(NEXT) | instid1(VALU_DEP_1)
	v_mul_f64 v[210:211], v[208:209], v[206:207]
	v_fma_f64 v[202:203], -v[202:203], v[210:211], v[208:209]
	s_delay_alu instid0(VALU_DEP_1) | instskip(NEXT) | instid1(VALU_DEP_1)
	v_div_fmas_f64 v[202:203], v[202:203], v[206:207], v[210:211]
	v_div_fixup_f64 v[208:209], v[202:203], v[200:201], 1.0
	s_delay_alu instid0(VALU_DEP_1)
	v_mul_f64 v[206:207], v[204:205], -v[208:209]
.LBB99_214:
	s_or_b32 exec_lo, exec_lo, s3
	ds_store_2addr_b64 v235, v[208:209], v[206:207] offset1:1
.LBB99_215:
	s_or_b32 exec_lo, exec_lo, s4
	s_waitcnt lgkmcnt(0)
	s_barrier
	buffer_gl0_inv
	ds_load_2addr_b64 v[200:203], v235 offset1:1
	s_mov_b32 s3, exec_lo
	s_waitcnt lgkmcnt(0)
	scratch_store_b128 off, v[200:203], off offset:752 ; 16-byte Folded Spill
	v_cmpx_lt_u32_e32 23, v234
	s_cbranch_execz .LBB99_217
; %bb.216:
	scratch_load_b128 v[202:205], off, off offset:752 ; 16-byte Folded Reload
	s_waitcnt vmcnt(0)
	v_mul_f64 v[200:201], v[204:205], v[106:107]
	v_mul_f64 v[106:107], v[202:203], v[106:107]
	s_delay_alu instid0(VALU_DEP_2) | instskip(NEXT) | instid1(VALU_DEP_2)
	v_fma_f64 v[200:201], v[202:203], v[104:105], -v[200:201]
	v_fma_f64 v[106:107], v[204:205], v[104:105], v[106:107]
	ds_load_2addr_b64 v[202:205], v236 offset0:48 offset1:49
	s_waitcnt lgkmcnt(0)
	v_mul_f64 v[104:105], v[204:205], v[106:107]
	s_delay_alu instid0(VALU_DEP_1) | instskip(SKIP_1) | instid1(VALU_DEP_2)
	v_fma_f64 v[104:105], v[202:203], v[200:201], -v[104:105]
	v_mul_f64 v[202:203], v[202:203], v[106:107]
	v_add_f64 v[100:101], v[100:101], -v[104:105]
	s_delay_alu instid0(VALU_DEP_2) | instskip(NEXT) | instid1(VALU_DEP_1)
	v_fma_f64 v[202:203], v[204:205], v[200:201], v[202:203]
	v_add_f64 v[102:103], v[102:103], -v[202:203]
	ds_load_2addr_b64 v[202:205], v236 offset0:50 offset1:51
	s_waitcnt lgkmcnt(0)
	v_mul_f64 v[104:105], v[204:205], v[106:107]
	s_delay_alu instid0(VALU_DEP_1) | instskip(SKIP_1) | instid1(VALU_DEP_2)
	v_fma_f64 v[104:105], v[202:203], v[200:201], -v[104:105]
	v_mul_f64 v[202:203], v[202:203], v[106:107]
	v_add_f64 v[96:97], v[96:97], -v[104:105]
	s_delay_alu instid0(VALU_DEP_2) | instskip(NEXT) | instid1(VALU_DEP_1)
	v_fma_f64 v[202:203], v[204:205], v[200:201], v[202:203]
	v_add_f64 v[98:99], v[98:99], -v[202:203]
	;; [unrolled: 10-line block ×25, first 2 shown]
	ds_load_2addr_b64 v[202:205], v236 offset0:98 offset1:99
	s_waitcnt lgkmcnt(0)
	v_mul_f64 v[104:105], v[204:205], v[106:107]
	s_delay_alu instid0(VALU_DEP_1) | instskip(SKIP_1) | instid1(VALU_DEP_2)
	v_fma_f64 v[104:105], v[202:203], v[200:201], -v[104:105]
	v_mul_f64 v[202:203], v[202:203], v[106:107]
	v_add_f64 v[0:1], v[0:1], -v[104:105]
	s_delay_alu instid0(VALU_DEP_2) | instskip(SKIP_1) | instid1(VALU_DEP_2)
	v_fma_f64 v[202:203], v[204:205], v[200:201], v[202:203]
	v_dual_mov_b32 v104, v200 :: v_dual_mov_b32 v105, v201
	v_add_f64 v[2:3], v[2:3], -v[202:203]
.LBB99_217:
	s_or_b32 exec_lo, exec_lo, s3
	s_delay_alu instid0(SALU_CYCLE_1)
	s_mov_b32 s4, exec_lo
	s_waitcnt_vscnt null, 0x0
	s_barrier
	buffer_gl0_inv
	v_cmpx_eq_u32_e32 24, v234
	s_cbranch_execz .LBB99_224
; %bb.218:
	ds_store_2addr_b64 v235, v[100:101], v[102:103] offset1:1
	ds_store_2addr_b64 v236, v[96:97], v[98:99] offset0:50 offset1:51
	ds_store_2addr_b64 v236, v[92:93], v[94:95] offset0:52 offset1:53
	;; [unrolled: 1-line block ×25, first 2 shown]
	ds_load_2addr_b64 v[200:203], v235 offset1:1
	s_waitcnt lgkmcnt(0)
	v_cmp_neq_f64_e32 vcc_lo, 0, v[200:201]
	v_cmp_neq_f64_e64 s3, 0, v[202:203]
	s_delay_alu instid0(VALU_DEP_1) | instskip(NEXT) | instid1(SALU_CYCLE_1)
	s_or_b32 s3, vcc_lo, s3
	s_and_b32 exec_lo, exec_lo, s3
	s_cbranch_execz .LBB99_224
; %bb.219:
	v_cmp_gt_f64_e32 vcc_lo, 0, v[200:201]
	v_xor_b32_e32 v204, 0x80000000, v201
	v_xor_b32_e32 v206, 0x80000000, v203
	s_mov_b32 s3, exec_lo
                                        ; implicit-def: $vgpr208_vgpr209
	s_delay_alu instid0(VALU_DEP_2) | instskip(SKIP_4) | instid1(VALU_DEP_1)
	v_cndmask_b32_e32 v205, v201, v204, vcc_lo
	v_cndmask_b32_e32 v204, v200, v200, vcc_lo
	v_cmp_gt_f64_e32 vcc_lo, 0, v[202:203]
	v_cndmask_b32_e32 v207, v203, v206, vcc_lo
	v_cndmask_b32_e32 v206, v202, v202, vcc_lo
	v_cmpx_ngt_f64_e32 v[204:205], v[206:207]
	s_xor_b32 s3, exec_lo, s3
                                        ; implicit-def: $vgpr204_vgpr205_vgpr206_vgpr207
	s_cbranch_execz .LBB99_221
; %bb.220:
	v_div_scale_f64 v[204:205], null, v[202:203], v[202:203], v[200:201]
	v_div_scale_f64 v[210:211], vcc_lo, v[200:201], v[202:203], v[200:201]
	s_delay_alu instid0(VALU_DEP_2) | instskip(SKIP_2) | instid1(VALU_DEP_1)
	v_rcp_f64_e32 v[206:207], v[204:205]
	s_waitcnt_depctr 0xfff
	v_fma_f64 v[208:209], -v[204:205], v[206:207], 1.0
	v_fma_f64 v[206:207], v[206:207], v[208:209], v[206:207]
	s_delay_alu instid0(VALU_DEP_1) | instskip(NEXT) | instid1(VALU_DEP_1)
	v_fma_f64 v[208:209], -v[204:205], v[206:207], 1.0
	v_fma_f64 v[206:207], v[206:207], v[208:209], v[206:207]
	s_delay_alu instid0(VALU_DEP_1) | instskip(NEXT) | instid1(VALU_DEP_1)
	v_mul_f64 v[208:209], v[210:211], v[206:207]
	v_fma_f64 v[204:205], -v[204:205], v[208:209], v[210:211]
	s_delay_alu instid0(VALU_DEP_1) | instskip(NEXT) | instid1(VALU_DEP_1)
	v_div_fmas_f64 v[204:205], v[204:205], v[206:207], v[208:209]
	v_div_fixup_f64 v[204:205], v[204:205], v[202:203], v[200:201]
	s_delay_alu instid0(VALU_DEP_1) | instskip(NEXT) | instid1(VALU_DEP_1)
	v_fma_f64 v[200:201], v[200:201], v[204:205], v[202:203]
	v_div_scale_f64 v[202:203], null, v[200:201], v[200:201], 1.0
	s_delay_alu instid0(VALU_DEP_1) | instskip(SKIP_2) | instid1(VALU_DEP_1)
	v_rcp_f64_e32 v[206:207], v[202:203]
	s_waitcnt_depctr 0xfff
	v_fma_f64 v[208:209], -v[202:203], v[206:207], 1.0
	v_fma_f64 v[206:207], v[206:207], v[208:209], v[206:207]
	s_delay_alu instid0(VALU_DEP_1) | instskip(NEXT) | instid1(VALU_DEP_1)
	v_fma_f64 v[208:209], -v[202:203], v[206:207], 1.0
	v_fma_f64 v[206:207], v[206:207], v[208:209], v[206:207]
	v_div_scale_f64 v[208:209], vcc_lo, 1.0, v[200:201], 1.0
	s_delay_alu instid0(VALU_DEP_1) | instskip(NEXT) | instid1(VALU_DEP_1)
	v_mul_f64 v[210:211], v[208:209], v[206:207]
	v_fma_f64 v[202:203], -v[202:203], v[210:211], v[208:209]
	s_delay_alu instid0(VALU_DEP_1) | instskip(NEXT) | instid1(VALU_DEP_1)
	v_div_fmas_f64 v[202:203], v[202:203], v[206:207], v[210:211]
	v_div_fixup_f64 v[206:207], v[202:203], v[200:201], 1.0
                                        ; implicit-def: $vgpr200_vgpr201
	s_delay_alu instid0(VALU_DEP_1)
	v_mul_f64 v[208:209], v[204:205], v[206:207]
	v_xor_b32_e32 v207, 0x80000000, v207
.LBB99_221:
	s_and_not1_saveexec_b32 s3, s3
	s_cbranch_execz .LBB99_223
; %bb.222:
	v_div_scale_f64 v[204:205], null, v[200:201], v[200:201], v[202:203]
	v_div_scale_f64 v[210:211], vcc_lo, v[202:203], v[200:201], v[202:203]
	s_delay_alu instid0(VALU_DEP_2) | instskip(SKIP_2) | instid1(VALU_DEP_1)
	v_rcp_f64_e32 v[206:207], v[204:205]
	s_waitcnt_depctr 0xfff
	v_fma_f64 v[208:209], -v[204:205], v[206:207], 1.0
	v_fma_f64 v[206:207], v[206:207], v[208:209], v[206:207]
	s_delay_alu instid0(VALU_DEP_1) | instskip(NEXT) | instid1(VALU_DEP_1)
	v_fma_f64 v[208:209], -v[204:205], v[206:207], 1.0
	v_fma_f64 v[206:207], v[206:207], v[208:209], v[206:207]
	s_delay_alu instid0(VALU_DEP_1) | instskip(NEXT) | instid1(VALU_DEP_1)
	v_mul_f64 v[208:209], v[210:211], v[206:207]
	v_fma_f64 v[204:205], -v[204:205], v[208:209], v[210:211]
	s_delay_alu instid0(VALU_DEP_1) | instskip(NEXT) | instid1(VALU_DEP_1)
	v_div_fmas_f64 v[204:205], v[204:205], v[206:207], v[208:209]
	v_div_fixup_f64 v[204:205], v[204:205], v[200:201], v[202:203]
	s_delay_alu instid0(VALU_DEP_1) | instskip(NEXT) | instid1(VALU_DEP_1)
	v_fma_f64 v[200:201], v[202:203], v[204:205], v[200:201]
	v_div_scale_f64 v[202:203], null, v[200:201], v[200:201], 1.0
	s_delay_alu instid0(VALU_DEP_1) | instskip(SKIP_2) | instid1(VALU_DEP_1)
	v_rcp_f64_e32 v[206:207], v[202:203]
	s_waitcnt_depctr 0xfff
	v_fma_f64 v[208:209], -v[202:203], v[206:207], 1.0
	v_fma_f64 v[206:207], v[206:207], v[208:209], v[206:207]
	s_delay_alu instid0(VALU_DEP_1) | instskip(NEXT) | instid1(VALU_DEP_1)
	v_fma_f64 v[208:209], -v[202:203], v[206:207], 1.0
	v_fma_f64 v[206:207], v[206:207], v[208:209], v[206:207]
	v_div_scale_f64 v[208:209], vcc_lo, 1.0, v[200:201], 1.0
	s_delay_alu instid0(VALU_DEP_1) | instskip(NEXT) | instid1(VALU_DEP_1)
	v_mul_f64 v[210:211], v[208:209], v[206:207]
	v_fma_f64 v[202:203], -v[202:203], v[210:211], v[208:209]
	s_delay_alu instid0(VALU_DEP_1) | instskip(NEXT) | instid1(VALU_DEP_1)
	v_div_fmas_f64 v[202:203], v[202:203], v[206:207], v[210:211]
	v_div_fixup_f64 v[208:209], v[202:203], v[200:201], 1.0
	s_delay_alu instid0(VALU_DEP_1)
	v_mul_f64 v[206:207], v[204:205], -v[208:209]
.LBB99_223:
	s_or_b32 exec_lo, exec_lo, s3
	ds_store_2addr_b64 v235, v[208:209], v[206:207] offset1:1
.LBB99_224:
	s_or_b32 exec_lo, exec_lo, s4
	s_waitcnt lgkmcnt(0)
	s_barrier
	buffer_gl0_inv
	ds_load_2addr_b64 v[200:203], v235 offset1:1
	s_mov_b32 s3, exec_lo
	s_waitcnt lgkmcnt(0)
	scratch_store_b128 off, v[200:203], off offset:776 ; 16-byte Folded Spill
	v_cmpx_lt_u32_e32 24, v234
	s_cbranch_execz .LBB99_226
; %bb.225:
	scratch_load_b128 v[202:205], off, off offset:776 ; 16-byte Folded Reload
	s_waitcnt vmcnt(0)
	v_mul_f64 v[200:201], v[204:205], v[102:103]
	v_mul_f64 v[102:103], v[202:203], v[102:103]
	s_delay_alu instid0(VALU_DEP_2) | instskip(NEXT) | instid1(VALU_DEP_2)
	v_fma_f64 v[200:201], v[202:203], v[100:101], -v[200:201]
	v_fma_f64 v[102:103], v[204:205], v[100:101], v[102:103]
	ds_load_2addr_b64 v[202:205], v236 offset0:50 offset1:51
	s_waitcnt lgkmcnt(0)
	v_mul_f64 v[100:101], v[204:205], v[102:103]
	s_delay_alu instid0(VALU_DEP_1) | instskip(SKIP_1) | instid1(VALU_DEP_2)
	v_fma_f64 v[100:101], v[202:203], v[200:201], -v[100:101]
	v_mul_f64 v[202:203], v[202:203], v[102:103]
	v_add_f64 v[96:97], v[96:97], -v[100:101]
	s_delay_alu instid0(VALU_DEP_2) | instskip(NEXT) | instid1(VALU_DEP_1)
	v_fma_f64 v[202:203], v[204:205], v[200:201], v[202:203]
	v_add_f64 v[98:99], v[98:99], -v[202:203]
	ds_load_2addr_b64 v[202:205], v236 offset0:52 offset1:53
	s_waitcnt lgkmcnt(0)
	v_mul_f64 v[100:101], v[204:205], v[102:103]
	s_delay_alu instid0(VALU_DEP_1) | instskip(SKIP_1) | instid1(VALU_DEP_2)
	v_fma_f64 v[100:101], v[202:203], v[200:201], -v[100:101]
	v_mul_f64 v[202:203], v[202:203], v[102:103]
	v_add_f64 v[92:93], v[92:93], -v[100:101]
	s_delay_alu instid0(VALU_DEP_2) | instskip(NEXT) | instid1(VALU_DEP_1)
	v_fma_f64 v[202:203], v[204:205], v[200:201], v[202:203]
	v_add_f64 v[94:95], v[94:95], -v[202:203]
	;; [unrolled: 10-line block ×24, first 2 shown]
	ds_load_2addr_b64 v[202:205], v236 offset0:98 offset1:99
	s_waitcnt lgkmcnt(0)
	v_mul_f64 v[100:101], v[204:205], v[102:103]
	s_delay_alu instid0(VALU_DEP_1) | instskip(SKIP_1) | instid1(VALU_DEP_2)
	v_fma_f64 v[100:101], v[202:203], v[200:201], -v[100:101]
	v_mul_f64 v[202:203], v[202:203], v[102:103]
	v_add_f64 v[0:1], v[0:1], -v[100:101]
	s_delay_alu instid0(VALU_DEP_2) | instskip(SKIP_1) | instid1(VALU_DEP_2)
	v_fma_f64 v[202:203], v[204:205], v[200:201], v[202:203]
	v_dual_mov_b32 v100, v200 :: v_dual_mov_b32 v101, v201
	v_add_f64 v[2:3], v[2:3], -v[202:203]
.LBB99_226:
	s_or_b32 exec_lo, exec_lo, s3
	s_delay_alu instid0(SALU_CYCLE_1)
	s_mov_b32 s4, exec_lo
	s_waitcnt_vscnt null, 0x0
	s_barrier
	buffer_gl0_inv
	v_cmpx_eq_u32_e32 25, v234
	s_cbranch_execz .LBB99_233
; %bb.227:
	ds_store_2addr_b64 v235, v[96:97], v[98:99] offset1:1
	ds_store_2addr_b64 v236, v[92:93], v[94:95] offset0:52 offset1:53
	ds_store_2addr_b64 v236, v[88:89], v[90:91] offset0:54 offset1:55
	;; [unrolled: 1-line block ×24, first 2 shown]
	ds_load_2addr_b64 v[200:203], v235 offset1:1
	s_waitcnt lgkmcnt(0)
	v_cmp_neq_f64_e32 vcc_lo, 0, v[200:201]
	v_cmp_neq_f64_e64 s3, 0, v[202:203]
	s_delay_alu instid0(VALU_DEP_1) | instskip(NEXT) | instid1(SALU_CYCLE_1)
	s_or_b32 s3, vcc_lo, s3
	s_and_b32 exec_lo, exec_lo, s3
	s_cbranch_execz .LBB99_233
; %bb.228:
	v_cmp_gt_f64_e32 vcc_lo, 0, v[200:201]
	v_xor_b32_e32 v204, 0x80000000, v201
	v_xor_b32_e32 v206, 0x80000000, v203
	s_mov_b32 s3, exec_lo
                                        ; implicit-def: $vgpr208_vgpr209
	s_delay_alu instid0(VALU_DEP_2) | instskip(SKIP_4) | instid1(VALU_DEP_1)
	v_cndmask_b32_e32 v205, v201, v204, vcc_lo
	v_cndmask_b32_e32 v204, v200, v200, vcc_lo
	v_cmp_gt_f64_e32 vcc_lo, 0, v[202:203]
	v_cndmask_b32_e32 v207, v203, v206, vcc_lo
	v_cndmask_b32_e32 v206, v202, v202, vcc_lo
	v_cmpx_ngt_f64_e32 v[204:205], v[206:207]
	s_xor_b32 s3, exec_lo, s3
                                        ; implicit-def: $vgpr204_vgpr205_vgpr206_vgpr207
	s_cbranch_execz .LBB99_230
; %bb.229:
	v_div_scale_f64 v[204:205], null, v[202:203], v[202:203], v[200:201]
	v_div_scale_f64 v[210:211], vcc_lo, v[200:201], v[202:203], v[200:201]
	s_delay_alu instid0(VALU_DEP_2) | instskip(SKIP_2) | instid1(VALU_DEP_1)
	v_rcp_f64_e32 v[206:207], v[204:205]
	s_waitcnt_depctr 0xfff
	v_fma_f64 v[208:209], -v[204:205], v[206:207], 1.0
	v_fma_f64 v[206:207], v[206:207], v[208:209], v[206:207]
	s_delay_alu instid0(VALU_DEP_1) | instskip(NEXT) | instid1(VALU_DEP_1)
	v_fma_f64 v[208:209], -v[204:205], v[206:207], 1.0
	v_fma_f64 v[206:207], v[206:207], v[208:209], v[206:207]
	s_delay_alu instid0(VALU_DEP_1) | instskip(NEXT) | instid1(VALU_DEP_1)
	v_mul_f64 v[208:209], v[210:211], v[206:207]
	v_fma_f64 v[204:205], -v[204:205], v[208:209], v[210:211]
	s_delay_alu instid0(VALU_DEP_1) | instskip(NEXT) | instid1(VALU_DEP_1)
	v_div_fmas_f64 v[204:205], v[204:205], v[206:207], v[208:209]
	v_div_fixup_f64 v[204:205], v[204:205], v[202:203], v[200:201]
	s_delay_alu instid0(VALU_DEP_1) | instskip(NEXT) | instid1(VALU_DEP_1)
	v_fma_f64 v[200:201], v[200:201], v[204:205], v[202:203]
	v_div_scale_f64 v[202:203], null, v[200:201], v[200:201], 1.0
	s_delay_alu instid0(VALU_DEP_1) | instskip(SKIP_2) | instid1(VALU_DEP_1)
	v_rcp_f64_e32 v[206:207], v[202:203]
	s_waitcnt_depctr 0xfff
	v_fma_f64 v[208:209], -v[202:203], v[206:207], 1.0
	v_fma_f64 v[206:207], v[206:207], v[208:209], v[206:207]
	s_delay_alu instid0(VALU_DEP_1) | instskip(NEXT) | instid1(VALU_DEP_1)
	v_fma_f64 v[208:209], -v[202:203], v[206:207], 1.0
	v_fma_f64 v[206:207], v[206:207], v[208:209], v[206:207]
	v_div_scale_f64 v[208:209], vcc_lo, 1.0, v[200:201], 1.0
	s_delay_alu instid0(VALU_DEP_1) | instskip(NEXT) | instid1(VALU_DEP_1)
	v_mul_f64 v[210:211], v[208:209], v[206:207]
	v_fma_f64 v[202:203], -v[202:203], v[210:211], v[208:209]
	s_delay_alu instid0(VALU_DEP_1) | instskip(NEXT) | instid1(VALU_DEP_1)
	v_div_fmas_f64 v[202:203], v[202:203], v[206:207], v[210:211]
	v_div_fixup_f64 v[206:207], v[202:203], v[200:201], 1.0
                                        ; implicit-def: $vgpr200_vgpr201
	s_delay_alu instid0(VALU_DEP_1)
	v_mul_f64 v[208:209], v[204:205], v[206:207]
	v_xor_b32_e32 v207, 0x80000000, v207
.LBB99_230:
	s_and_not1_saveexec_b32 s3, s3
	s_cbranch_execz .LBB99_232
; %bb.231:
	v_div_scale_f64 v[204:205], null, v[200:201], v[200:201], v[202:203]
	v_div_scale_f64 v[210:211], vcc_lo, v[202:203], v[200:201], v[202:203]
	s_delay_alu instid0(VALU_DEP_2) | instskip(SKIP_2) | instid1(VALU_DEP_1)
	v_rcp_f64_e32 v[206:207], v[204:205]
	s_waitcnt_depctr 0xfff
	v_fma_f64 v[208:209], -v[204:205], v[206:207], 1.0
	v_fma_f64 v[206:207], v[206:207], v[208:209], v[206:207]
	s_delay_alu instid0(VALU_DEP_1) | instskip(NEXT) | instid1(VALU_DEP_1)
	v_fma_f64 v[208:209], -v[204:205], v[206:207], 1.0
	v_fma_f64 v[206:207], v[206:207], v[208:209], v[206:207]
	s_delay_alu instid0(VALU_DEP_1) | instskip(NEXT) | instid1(VALU_DEP_1)
	v_mul_f64 v[208:209], v[210:211], v[206:207]
	v_fma_f64 v[204:205], -v[204:205], v[208:209], v[210:211]
	s_delay_alu instid0(VALU_DEP_1) | instskip(NEXT) | instid1(VALU_DEP_1)
	v_div_fmas_f64 v[204:205], v[204:205], v[206:207], v[208:209]
	v_div_fixup_f64 v[204:205], v[204:205], v[200:201], v[202:203]
	s_delay_alu instid0(VALU_DEP_1) | instskip(NEXT) | instid1(VALU_DEP_1)
	v_fma_f64 v[200:201], v[202:203], v[204:205], v[200:201]
	v_div_scale_f64 v[202:203], null, v[200:201], v[200:201], 1.0
	s_delay_alu instid0(VALU_DEP_1) | instskip(SKIP_2) | instid1(VALU_DEP_1)
	v_rcp_f64_e32 v[206:207], v[202:203]
	s_waitcnt_depctr 0xfff
	v_fma_f64 v[208:209], -v[202:203], v[206:207], 1.0
	v_fma_f64 v[206:207], v[206:207], v[208:209], v[206:207]
	s_delay_alu instid0(VALU_DEP_1) | instskip(NEXT) | instid1(VALU_DEP_1)
	v_fma_f64 v[208:209], -v[202:203], v[206:207], 1.0
	v_fma_f64 v[206:207], v[206:207], v[208:209], v[206:207]
	v_div_scale_f64 v[208:209], vcc_lo, 1.0, v[200:201], 1.0
	s_delay_alu instid0(VALU_DEP_1) | instskip(NEXT) | instid1(VALU_DEP_1)
	v_mul_f64 v[210:211], v[208:209], v[206:207]
	v_fma_f64 v[202:203], -v[202:203], v[210:211], v[208:209]
	s_delay_alu instid0(VALU_DEP_1) | instskip(NEXT) | instid1(VALU_DEP_1)
	v_div_fmas_f64 v[202:203], v[202:203], v[206:207], v[210:211]
	v_div_fixup_f64 v[208:209], v[202:203], v[200:201], 1.0
	s_delay_alu instid0(VALU_DEP_1)
	v_mul_f64 v[206:207], v[204:205], -v[208:209]
.LBB99_232:
	s_or_b32 exec_lo, exec_lo, s3
	ds_store_2addr_b64 v235, v[208:209], v[206:207] offset1:1
.LBB99_233:
	s_or_b32 exec_lo, exec_lo, s4
	s_waitcnt lgkmcnt(0)
	s_barrier
	buffer_gl0_inv
	ds_load_2addr_b64 v[200:203], v235 offset1:1
	s_mov_b32 s3, exec_lo
	s_waitcnt lgkmcnt(0)
	scratch_store_b128 off, v[200:203], off offset:792 ; 16-byte Folded Spill
	v_cmpx_lt_u32_e32 25, v234
	s_cbranch_execz .LBB99_235
; %bb.234:
	scratch_load_b128 v[202:205], off, off offset:792 ; 16-byte Folded Reload
	s_waitcnt vmcnt(0)
	v_mul_f64 v[200:201], v[204:205], v[98:99]
	v_mul_f64 v[98:99], v[202:203], v[98:99]
	s_delay_alu instid0(VALU_DEP_2) | instskip(NEXT) | instid1(VALU_DEP_2)
	v_fma_f64 v[200:201], v[202:203], v[96:97], -v[200:201]
	v_fma_f64 v[98:99], v[204:205], v[96:97], v[98:99]
	ds_load_2addr_b64 v[202:205], v236 offset0:52 offset1:53
	s_waitcnt lgkmcnt(0)
	v_mul_f64 v[96:97], v[204:205], v[98:99]
	s_delay_alu instid0(VALU_DEP_1) | instskip(SKIP_1) | instid1(VALU_DEP_2)
	v_fma_f64 v[96:97], v[202:203], v[200:201], -v[96:97]
	v_mul_f64 v[202:203], v[202:203], v[98:99]
	v_add_f64 v[92:93], v[92:93], -v[96:97]
	s_delay_alu instid0(VALU_DEP_2) | instskip(NEXT) | instid1(VALU_DEP_1)
	v_fma_f64 v[202:203], v[204:205], v[200:201], v[202:203]
	v_add_f64 v[94:95], v[94:95], -v[202:203]
	ds_load_2addr_b64 v[202:205], v236 offset0:54 offset1:55
	s_waitcnt lgkmcnt(0)
	v_mul_f64 v[96:97], v[204:205], v[98:99]
	s_delay_alu instid0(VALU_DEP_1) | instskip(SKIP_1) | instid1(VALU_DEP_2)
	v_fma_f64 v[96:97], v[202:203], v[200:201], -v[96:97]
	v_mul_f64 v[202:203], v[202:203], v[98:99]
	v_add_f64 v[88:89], v[88:89], -v[96:97]
	s_delay_alu instid0(VALU_DEP_2) | instskip(NEXT) | instid1(VALU_DEP_1)
	v_fma_f64 v[202:203], v[204:205], v[200:201], v[202:203]
	v_add_f64 v[90:91], v[90:91], -v[202:203]
	;; [unrolled: 10-line block ×23, first 2 shown]
	ds_load_2addr_b64 v[202:205], v236 offset0:98 offset1:99
	s_waitcnt lgkmcnt(0)
	v_mul_f64 v[96:97], v[204:205], v[98:99]
	s_delay_alu instid0(VALU_DEP_1) | instskip(SKIP_1) | instid1(VALU_DEP_2)
	v_fma_f64 v[96:97], v[202:203], v[200:201], -v[96:97]
	v_mul_f64 v[202:203], v[202:203], v[98:99]
	v_add_f64 v[0:1], v[0:1], -v[96:97]
	s_delay_alu instid0(VALU_DEP_2) | instskip(SKIP_1) | instid1(VALU_DEP_2)
	v_fma_f64 v[202:203], v[204:205], v[200:201], v[202:203]
	v_dual_mov_b32 v96, v200 :: v_dual_mov_b32 v97, v201
	v_add_f64 v[2:3], v[2:3], -v[202:203]
.LBB99_235:
	s_or_b32 exec_lo, exec_lo, s3
	s_delay_alu instid0(SALU_CYCLE_1)
	s_mov_b32 s4, exec_lo
	s_waitcnt_vscnt null, 0x0
	s_barrier
	buffer_gl0_inv
	v_cmpx_eq_u32_e32 26, v234
	s_cbranch_execz .LBB99_242
; %bb.236:
	ds_store_2addr_b64 v235, v[92:93], v[94:95] offset1:1
	ds_store_2addr_b64 v236, v[88:89], v[90:91] offset0:54 offset1:55
	ds_store_2addr_b64 v236, v[84:85], v[86:87] offset0:56 offset1:57
	ds_store_2addr_b64 v236, v[80:81], v[82:83] offset0:58 offset1:59
	ds_store_2addr_b64 v236, v[76:77], v[78:79] offset0:60 offset1:61
	ds_store_2addr_b64 v236, v[72:73], v[74:75] offset0:62 offset1:63
	ds_store_2addr_b64 v236, v[68:69], v[70:71] offset0:64 offset1:65
	ds_store_2addr_b64 v236, v[64:65], v[66:67] offset0:66 offset1:67
	ds_store_2addr_b64 v236, v[60:61], v[62:63] offset0:68 offset1:69
	ds_store_2addr_b64 v236, v[56:57], v[58:59] offset0:70 offset1:71
	ds_store_2addr_b64 v236, v[52:53], v[54:55] offset0:72 offset1:73
	ds_store_2addr_b64 v236, v[48:49], v[50:51] offset0:74 offset1:75
	ds_store_2addr_b64 v236, v[44:45], v[46:47] offset0:76 offset1:77
	ds_store_2addr_b64 v236, v[40:41], v[42:43] offset0:78 offset1:79
	ds_store_2addr_b64 v236, v[36:37], v[38:39] offset0:80 offset1:81
	ds_store_2addr_b64 v236, v[32:33], v[34:35] offset0:82 offset1:83
	ds_store_2addr_b64 v236, v[28:29], v[30:31] offset0:84 offset1:85
	ds_store_2addr_b64 v236, v[24:25], v[26:27] offset0:86 offset1:87
	ds_store_2addr_b64 v236, v[20:21], v[22:23] offset0:88 offset1:89
	ds_store_2addr_b64 v236, v[16:17], v[18:19] offset0:90 offset1:91
	ds_store_2addr_b64 v236, v[12:13], v[14:15] offset0:92 offset1:93
	ds_store_2addr_b64 v236, v[8:9], v[10:11] offset0:94 offset1:95
	ds_store_2addr_b64 v236, v[4:5], v[6:7] offset0:96 offset1:97
	ds_store_2addr_b64 v236, v[0:1], v[2:3] offset0:98 offset1:99
	ds_load_2addr_b64 v[200:203], v235 offset1:1
	s_waitcnt lgkmcnt(0)
	v_cmp_neq_f64_e32 vcc_lo, 0, v[200:201]
	v_cmp_neq_f64_e64 s3, 0, v[202:203]
	s_delay_alu instid0(VALU_DEP_1) | instskip(NEXT) | instid1(SALU_CYCLE_1)
	s_or_b32 s3, vcc_lo, s3
	s_and_b32 exec_lo, exec_lo, s3
	s_cbranch_execz .LBB99_242
; %bb.237:
	v_cmp_gt_f64_e32 vcc_lo, 0, v[200:201]
	v_xor_b32_e32 v204, 0x80000000, v201
	v_xor_b32_e32 v206, 0x80000000, v203
	s_mov_b32 s3, exec_lo
                                        ; implicit-def: $vgpr208_vgpr209
	s_delay_alu instid0(VALU_DEP_2) | instskip(SKIP_4) | instid1(VALU_DEP_1)
	v_cndmask_b32_e32 v205, v201, v204, vcc_lo
	v_cndmask_b32_e32 v204, v200, v200, vcc_lo
	v_cmp_gt_f64_e32 vcc_lo, 0, v[202:203]
	v_cndmask_b32_e32 v207, v203, v206, vcc_lo
	v_cndmask_b32_e32 v206, v202, v202, vcc_lo
	v_cmpx_ngt_f64_e32 v[204:205], v[206:207]
	s_xor_b32 s3, exec_lo, s3
                                        ; implicit-def: $vgpr204_vgpr205_vgpr206_vgpr207
	s_cbranch_execz .LBB99_239
; %bb.238:
	v_div_scale_f64 v[204:205], null, v[202:203], v[202:203], v[200:201]
	v_div_scale_f64 v[210:211], vcc_lo, v[200:201], v[202:203], v[200:201]
	s_delay_alu instid0(VALU_DEP_2) | instskip(SKIP_2) | instid1(VALU_DEP_1)
	v_rcp_f64_e32 v[206:207], v[204:205]
	s_waitcnt_depctr 0xfff
	v_fma_f64 v[208:209], -v[204:205], v[206:207], 1.0
	v_fma_f64 v[206:207], v[206:207], v[208:209], v[206:207]
	s_delay_alu instid0(VALU_DEP_1) | instskip(NEXT) | instid1(VALU_DEP_1)
	v_fma_f64 v[208:209], -v[204:205], v[206:207], 1.0
	v_fma_f64 v[206:207], v[206:207], v[208:209], v[206:207]
	s_delay_alu instid0(VALU_DEP_1) | instskip(NEXT) | instid1(VALU_DEP_1)
	v_mul_f64 v[208:209], v[210:211], v[206:207]
	v_fma_f64 v[204:205], -v[204:205], v[208:209], v[210:211]
	s_delay_alu instid0(VALU_DEP_1) | instskip(NEXT) | instid1(VALU_DEP_1)
	v_div_fmas_f64 v[204:205], v[204:205], v[206:207], v[208:209]
	v_div_fixup_f64 v[204:205], v[204:205], v[202:203], v[200:201]
	s_delay_alu instid0(VALU_DEP_1) | instskip(NEXT) | instid1(VALU_DEP_1)
	v_fma_f64 v[200:201], v[200:201], v[204:205], v[202:203]
	v_div_scale_f64 v[202:203], null, v[200:201], v[200:201], 1.0
	s_delay_alu instid0(VALU_DEP_1) | instskip(SKIP_2) | instid1(VALU_DEP_1)
	v_rcp_f64_e32 v[206:207], v[202:203]
	s_waitcnt_depctr 0xfff
	v_fma_f64 v[208:209], -v[202:203], v[206:207], 1.0
	v_fma_f64 v[206:207], v[206:207], v[208:209], v[206:207]
	s_delay_alu instid0(VALU_DEP_1) | instskip(NEXT) | instid1(VALU_DEP_1)
	v_fma_f64 v[208:209], -v[202:203], v[206:207], 1.0
	v_fma_f64 v[206:207], v[206:207], v[208:209], v[206:207]
	v_div_scale_f64 v[208:209], vcc_lo, 1.0, v[200:201], 1.0
	s_delay_alu instid0(VALU_DEP_1) | instskip(NEXT) | instid1(VALU_DEP_1)
	v_mul_f64 v[210:211], v[208:209], v[206:207]
	v_fma_f64 v[202:203], -v[202:203], v[210:211], v[208:209]
	s_delay_alu instid0(VALU_DEP_1) | instskip(NEXT) | instid1(VALU_DEP_1)
	v_div_fmas_f64 v[202:203], v[202:203], v[206:207], v[210:211]
	v_div_fixup_f64 v[206:207], v[202:203], v[200:201], 1.0
                                        ; implicit-def: $vgpr200_vgpr201
	s_delay_alu instid0(VALU_DEP_1)
	v_mul_f64 v[208:209], v[204:205], v[206:207]
	v_xor_b32_e32 v207, 0x80000000, v207
.LBB99_239:
	s_and_not1_saveexec_b32 s3, s3
	s_cbranch_execz .LBB99_241
; %bb.240:
	v_div_scale_f64 v[204:205], null, v[200:201], v[200:201], v[202:203]
	v_div_scale_f64 v[210:211], vcc_lo, v[202:203], v[200:201], v[202:203]
	s_delay_alu instid0(VALU_DEP_2) | instskip(SKIP_2) | instid1(VALU_DEP_1)
	v_rcp_f64_e32 v[206:207], v[204:205]
	s_waitcnt_depctr 0xfff
	v_fma_f64 v[208:209], -v[204:205], v[206:207], 1.0
	v_fma_f64 v[206:207], v[206:207], v[208:209], v[206:207]
	s_delay_alu instid0(VALU_DEP_1) | instskip(NEXT) | instid1(VALU_DEP_1)
	v_fma_f64 v[208:209], -v[204:205], v[206:207], 1.0
	v_fma_f64 v[206:207], v[206:207], v[208:209], v[206:207]
	s_delay_alu instid0(VALU_DEP_1) | instskip(NEXT) | instid1(VALU_DEP_1)
	v_mul_f64 v[208:209], v[210:211], v[206:207]
	v_fma_f64 v[204:205], -v[204:205], v[208:209], v[210:211]
	s_delay_alu instid0(VALU_DEP_1) | instskip(NEXT) | instid1(VALU_DEP_1)
	v_div_fmas_f64 v[204:205], v[204:205], v[206:207], v[208:209]
	v_div_fixup_f64 v[204:205], v[204:205], v[200:201], v[202:203]
	s_delay_alu instid0(VALU_DEP_1) | instskip(NEXT) | instid1(VALU_DEP_1)
	v_fma_f64 v[200:201], v[202:203], v[204:205], v[200:201]
	v_div_scale_f64 v[202:203], null, v[200:201], v[200:201], 1.0
	s_delay_alu instid0(VALU_DEP_1) | instskip(SKIP_2) | instid1(VALU_DEP_1)
	v_rcp_f64_e32 v[206:207], v[202:203]
	s_waitcnt_depctr 0xfff
	v_fma_f64 v[208:209], -v[202:203], v[206:207], 1.0
	v_fma_f64 v[206:207], v[206:207], v[208:209], v[206:207]
	s_delay_alu instid0(VALU_DEP_1) | instskip(NEXT) | instid1(VALU_DEP_1)
	v_fma_f64 v[208:209], -v[202:203], v[206:207], 1.0
	v_fma_f64 v[206:207], v[206:207], v[208:209], v[206:207]
	v_div_scale_f64 v[208:209], vcc_lo, 1.0, v[200:201], 1.0
	s_delay_alu instid0(VALU_DEP_1) | instskip(NEXT) | instid1(VALU_DEP_1)
	v_mul_f64 v[210:211], v[208:209], v[206:207]
	v_fma_f64 v[202:203], -v[202:203], v[210:211], v[208:209]
	s_delay_alu instid0(VALU_DEP_1) | instskip(NEXT) | instid1(VALU_DEP_1)
	v_div_fmas_f64 v[202:203], v[202:203], v[206:207], v[210:211]
	v_div_fixup_f64 v[208:209], v[202:203], v[200:201], 1.0
	s_delay_alu instid0(VALU_DEP_1)
	v_mul_f64 v[206:207], v[204:205], -v[208:209]
.LBB99_241:
	s_or_b32 exec_lo, exec_lo, s3
	ds_store_2addr_b64 v235, v[208:209], v[206:207] offset1:1
.LBB99_242:
	s_or_b32 exec_lo, exec_lo, s4
	s_waitcnt lgkmcnt(0)
	s_barrier
	buffer_gl0_inv
	ds_load_2addr_b64 v[200:203], v235 offset1:1
	s_mov_b32 s3, exec_lo
	s_waitcnt lgkmcnt(0)
	scratch_store_b128 off, v[200:203], off offset:808 ; 16-byte Folded Spill
	v_cmpx_lt_u32_e32 26, v234
	s_cbranch_execz .LBB99_244
; %bb.243:
	scratch_load_b128 v[202:205], off, off offset:808 ; 16-byte Folded Reload
	s_waitcnt vmcnt(0)
	v_mul_f64 v[200:201], v[204:205], v[94:95]
	v_mul_f64 v[94:95], v[202:203], v[94:95]
	s_delay_alu instid0(VALU_DEP_2) | instskip(NEXT) | instid1(VALU_DEP_2)
	v_fma_f64 v[200:201], v[202:203], v[92:93], -v[200:201]
	v_fma_f64 v[94:95], v[204:205], v[92:93], v[94:95]
	ds_load_2addr_b64 v[202:205], v236 offset0:54 offset1:55
	s_waitcnt lgkmcnt(0)
	v_mul_f64 v[92:93], v[204:205], v[94:95]
	s_delay_alu instid0(VALU_DEP_1) | instskip(SKIP_1) | instid1(VALU_DEP_2)
	v_fma_f64 v[92:93], v[202:203], v[200:201], -v[92:93]
	v_mul_f64 v[202:203], v[202:203], v[94:95]
	v_add_f64 v[88:89], v[88:89], -v[92:93]
	s_delay_alu instid0(VALU_DEP_2) | instskip(NEXT) | instid1(VALU_DEP_1)
	v_fma_f64 v[202:203], v[204:205], v[200:201], v[202:203]
	v_add_f64 v[90:91], v[90:91], -v[202:203]
	ds_load_2addr_b64 v[202:205], v236 offset0:56 offset1:57
	s_waitcnt lgkmcnt(0)
	v_mul_f64 v[92:93], v[204:205], v[94:95]
	s_delay_alu instid0(VALU_DEP_1) | instskip(SKIP_1) | instid1(VALU_DEP_2)
	v_fma_f64 v[92:93], v[202:203], v[200:201], -v[92:93]
	v_mul_f64 v[202:203], v[202:203], v[94:95]
	v_add_f64 v[84:85], v[84:85], -v[92:93]
	s_delay_alu instid0(VALU_DEP_2) | instskip(NEXT) | instid1(VALU_DEP_1)
	v_fma_f64 v[202:203], v[204:205], v[200:201], v[202:203]
	v_add_f64 v[86:87], v[86:87], -v[202:203]
	;; [unrolled: 10-line block ×22, first 2 shown]
	ds_load_2addr_b64 v[202:205], v236 offset0:98 offset1:99
	s_waitcnt lgkmcnt(0)
	v_mul_f64 v[92:93], v[204:205], v[94:95]
	s_delay_alu instid0(VALU_DEP_1) | instskip(SKIP_1) | instid1(VALU_DEP_2)
	v_fma_f64 v[92:93], v[202:203], v[200:201], -v[92:93]
	v_mul_f64 v[202:203], v[202:203], v[94:95]
	v_add_f64 v[0:1], v[0:1], -v[92:93]
	s_delay_alu instid0(VALU_DEP_2) | instskip(SKIP_1) | instid1(VALU_DEP_2)
	v_fma_f64 v[202:203], v[204:205], v[200:201], v[202:203]
	v_dual_mov_b32 v92, v200 :: v_dual_mov_b32 v93, v201
	v_add_f64 v[2:3], v[2:3], -v[202:203]
.LBB99_244:
	s_or_b32 exec_lo, exec_lo, s3
	s_delay_alu instid0(SALU_CYCLE_1)
	s_mov_b32 s4, exec_lo
	s_waitcnt_vscnt null, 0x0
	s_barrier
	buffer_gl0_inv
	v_cmpx_eq_u32_e32 27, v234
	s_cbranch_execz .LBB99_251
; %bb.245:
	ds_store_2addr_b64 v235, v[88:89], v[90:91] offset1:1
	ds_store_2addr_b64 v236, v[84:85], v[86:87] offset0:56 offset1:57
	ds_store_2addr_b64 v236, v[80:81], v[82:83] offset0:58 offset1:59
	;; [unrolled: 1-line block ×22, first 2 shown]
	ds_load_2addr_b64 v[200:203], v235 offset1:1
	s_waitcnt lgkmcnt(0)
	v_cmp_neq_f64_e32 vcc_lo, 0, v[200:201]
	v_cmp_neq_f64_e64 s3, 0, v[202:203]
	s_delay_alu instid0(VALU_DEP_1) | instskip(NEXT) | instid1(SALU_CYCLE_1)
	s_or_b32 s3, vcc_lo, s3
	s_and_b32 exec_lo, exec_lo, s3
	s_cbranch_execz .LBB99_251
; %bb.246:
	v_cmp_gt_f64_e32 vcc_lo, 0, v[200:201]
	v_xor_b32_e32 v204, 0x80000000, v201
	v_xor_b32_e32 v206, 0x80000000, v203
	s_mov_b32 s3, exec_lo
                                        ; implicit-def: $vgpr208_vgpr209
	s_delay_alu instid0(VALU_DEP_2) | instskip(SKIP_4) | instid1(VALU_DEP_1)
	v_cndmask_b32_e32 v205, v201, v204, vcc_lo
	v_cndmask_b32_e32 v204, v200, v200, vcc_lo
	v_cmp_gt_f64_e32 vcc_lo, 0, v[202:203]
	v_cndmask_b32_e32 v207, v203, v206, vcc_lo
	v_cndmask_b32_e32 v206, v202, v202, vcc_lo
	v_cmpx_ngt_f64_e32 v[204:205], v[206:207]
	s_xor_b32 s3, exec_lo, s3
                                        ; implicit-def: $vgpr204_vgpr205_vgpr206_vgpr207
	s_cbranch_execz .LBB99_248
; %bb.247:
	v_div_scale_f64 v[204:205], null, v[202:203], v[202:203], v[200:201]
	v_div_scale_f64 v[210:211], vcc_lo, v[200:201], v[202:203], v[200:201]
	s_delay_alu instid0(VALU_DEP_2) | instskip(SKIP_2) | instid1(VALU_DEP_1)
	v_rcp_f64_e32 v[206:207], v[204:205]
	s_waitcnt_depctr 0xfff
	v_fma_f64 v[208:209], -v[204:205], v[206:207], 1.0
	v_fma_f64 v[206:207], v[206:207], v[208:209], v[206:207]
	s_delay_alu instid0(VALU_DEP_1) | instskip(NEXT) | instid1(VALU_DEP_1)
	v_fma_f64 v[208:209], -v[204:205], v[206:207], 1.0
	v_fma_f64 v[206:207], v[206:207], v[208:209], v[206:207]
	s_delay_alu instid0(VALU_DEP_1) | instskip(NEXT) | instid1(VALU_DEP_1)
	v_mul_f64 v[208:209], v[210:211], v[206:207]
	v_fma_f64 v[204:205], -v[204:205], v[208:209], v[210:211]
	s_delay_alu instid0(VALU_DEP_1) | instskip(NEXT) | instid1(VALU_DEP_1)
	v_div_fmas_f64 v[204:205], v[204:205], v[206:207], v[208:209]
	v_div_fixup_f64 v[204:205], v[204:205], v[202:203], v[200:201]
	s_delay_alu instid0(VALU_DEP_1) | instskip(NEXT) | instid1(VALU_DEP_1)
	v_fma_f64 v[200:201], v[200:201], v[204:205], v[202:203]
	v_div_scale_f64 v[202:203], null, v[200:201], v[200:201], 1.0
	s_delay_alu instid0(VALU_DEP_1) | instskip(SKIP_2) | instid1(VALU_DEP_1)
	v_rcp_f64_e32 v[206:207], v[202:203]
	s_waitcnt_depctr 0xfff
	v_fma_f64 v[208:209], -v[202:203], v[206:207], 1.0
	v_fma_f64 v[206:207], v[206:207], v[208:209], v[206:207]
	s_delay_alu instid0(VALU_DEP_1) | instskip(NEXT) | instid1(VALU_DEP_1)
	v_fma_f64 v[208:209], -v[202:203], v[206:207], 1.0
	v_fma_f64 v[206:207], v[206:207], v[208:209], v[206:207]
	v_div_scale_f64 v[208:209], vcc_lo, 1.0, v[200:201], 1.0
	s_delay_alu instid0(VALU_DEP_1) | instskip(NEXT) | instid1(VALU_DEP_1)
	v_mul_f64 v[210:211], v[208:209], v[206:207]
	v_fma_f64 v[202:203], -v[202:203], v[210:211], v[208:209]
	s_delay_alu instid0(VALU_DEP_1) | instskip(NEXT) | instid1(VALU_DEP_1)
	v_div_fmas_f64 v[202:203], v[202:203], v[206:207], v[210:211]
	v_div_fixup_f64 v[206:207], v[202:203], v[200:201], 1.0
                                        ; implicit-def: $vgpr200_vgpr201
	s_delay_alu instid0(VALU_DEP_1)
	v_mul_f64 v[208:209], v[204:205], v[206:207]
	v_xor_b32_e32 v207, 0x80000000, v207
.LBB99_248:
	s_and_not1_saveexec_b32 s3, s3
	s_cbranch_execz .LBB99_250
; %bb.249:
	v_div_scale_f64 v[204:205], null, v[200:201], v[200:201], v[202:203]
	v_div_scale_f64 v[210:211], vcc_lo, v[202:203], v[200:201], v[202:203]
	s_delay_alu instid0(VALU_DEP_2) | instskip(SKIP_2) | instid1(VALU_DEP_1)
	v_rcp_f64_e32 v[206:207], v[204:205]
	s_waitcnt_depctr 0xfff
	v_fma_f64 v[208:209], -v[204:205], v[206:207], 1.0
	v_fma_f64 v[206:207], v[206:207], v[208:209], v[206:207]
	s_delay_alu instid0(VALU_DEP_1) | instskip(NEXT) | instid1(VALU_DEP_1)
	v_fma_f64 v[208:209], -v[204:205], v[206:207], 1.0
	v_fma_f64 v[206:207], v[206:207], v[208:209], v[206:207]
	s_delay_alu instid0(VALU_DEP_1) | instskip(NEXT) | instid1(VALU_DEP_1)
	v_mul_f64 v[208:209], v[210:211], v[206:207]
	v_fma_f64 v[204:205], -v[204:205], v[208:209], v[210:211]
	s_delay_alu instid0(VALU_DEP_1) | instskip(NEXT) | instid1(VALU_DEP_1)
	v_div_fmas_f64 v[204:205], v[204:205], v[206:207], v[208:209]
	v_div_fixup_f64 v[204:205], v[204:205], v[200:201], v[202:203]
	s_delay_alu instid0(VALU_DEP_1) | instskip(NEXT) | instid1(VALU_DEP_1)
	v_fma_f64 v[200:201], v[202:203], v[204:205], v[200:201]
	v_div_scale_f64 v[202:203], null, v[200:201], v[200:201], 1.0
	s_delay_alu instid0(VALU_DEP_1) | instskip(SKIP_2) | instid1(VALU_DEP_1)
	v_rcp_f64_e32 v[206:207], v[202:203]
	s_waitcnt_depctr 0xfff
	v_fma_f64 v[208:209], -v[202:203], v[206:207], 1.0
	v_fma_f64 v[206:207], v[206:207], v[208:209], v[206:207]
	s_delay_alu instid0(VALU_DEP_1) | instskip(NEXT) | instid1(VALU_DEP_1)
	v_fma_f64 v[208:209], -v[202:203], v[206:207], 1.0
	v_fma_f64 v[206:207], v[206:207], v[208:209], v[206:207]
	v_div_scale_f64 v[208:209], vcc_lo, 1.0, v[200:201], 1.0
	s_delay_alu instid0(VALU_DEP_1) | instskip(NEXT) | instid1(VALU_DEP_1)
	v_mul_f64 v[210:211], v[208:209], v[206:207]
	v_fma_f64 v[202:203], -v[202:203], v[210:211], v[208:209]
	s_delay_alu instid0(VALU_DEP_1) | instskip(NEXT) | instid1(VALU_DEP_1)
	v_div_fmas_f64 v[202:203], v[202:203], v[206:207], v[210:211]
	v_div_fixup_f64 v[208:209], v[202:203], v[200:201], 1.0
	s_delay_alu instid0(VALU_DEP_1)
	v_mul_f64 v[206:207], v[204:205], -v[208:209]
.LBB99_250:
	s_or_b32 exec_lo, exec_lo, s3
	ds_store_2addr_b64 v235, v[208:209], v[206:207] offset1:1
.LBB99_251:
	s_or_b32 exec_lo, exec_lo, s4
	s_waitcnt lgkmcnt(0)
	s_barrier
	buffer_gl0_inv
	ds_load_2addr_b64 v[200:203], v235 offset1:1
	s_mov_b32 s3, exec_lo
	s_waitcnt lgkmcnt(0)
	scratch_store_b128 off, v[200:203], off offset:824 ; 16-byte Folded Spill
	v_cmpx_lt_u32_e32 27, v234
	s_cbranch_execz .LBB99_253
; %bb.252:
	scratch_load_b128 v[202:205], off, off offset:824 ; 16-byte Folded Reload
	s_waitcnt vmcnt(0)
	v_mul_f64 v[200:201], v[204:205], v[90:91]
	v_mul_f64 v[90:91], v[202:203], v[90:91]
	s_delay_alu instid0(VALU_DEP_2) | instskip(NEXT) | instid1(VALU_DEP_2)
	v_fma_f64 v[200:201], v[202:203], v[88:89], -v[200:201]
	v_fma_f64 v[90:91], v[204:205], v[88:89], v[90:91]
	ds_load_2addr_b64 v[202:205], v236 offset0:56 offset1:57
	s_waitcnt lgkmcnt(0)
	v_mul_f64 v[88:89], v[204:205], v[90:91]
	s_delay_alu instid0(VALU_DEP_1) | instskip(SKIP_1) | instid1(VALU_DEP_2)
	v_fma_f64 v[88:89], v[202:203], v[200:201], -v[88:89]
	v_mul_f64 v[202:203], v[202:203], v[90:91]
	v_add_f64 v[84:85], v[84:85], -v[88:89]
	s_delay_alu instid0(VALU_DEP_2) | instskip(NEXT) | instid1(VALU_DEP_1)
	v_fma_f64 v[202:203], v[204:205], v[200:201], v[202:203]
	v_add_f64 v[86:87], v[86:87], -v[202:203]
	ds_load_2addr_b64 v[202:205], v236 offset0:58 offset1:59
	s_waitcnt lgkmcnt(0)
	v_mul_f64 v[88:89], v[204:205], v[90:91]
	s_delay_alu instid0(VALU_DEP_1) | instskip(SKIP_1) | instid1(VALU_DEP_2)
	v_fma_f64 v[88:89], v[202:203], v[200:201], -v[88:89]
	v_mul_f64 v[202:203], v[202:203], v[90:91]
	v_add_f64 v[80:81], v[80:81], -v[88:89]
	s_delay_alu instid0(VALU_DEP_2) | instskip(NEXT) | instid1(VALU_DEP_1)
	v_fma_f64 v[202:203], v[204:205], v[200:201], v[202:203]
	v_add_f64 v[82:83], v[82:83], -v[202:203]
	;; [unrolled: 10-line block ×21, first 2 shown]
	ds_load_2addr_b64 v[202:205], v236 offset0:98 offset1:99
	s_waitcnt lgkmcnt(0)
	v_mul_f64 v[88:89], v[204:205], v[90:91]
	s_delay_alu instid0(VALU_DEP_1) | instskip(SKIP_1) | instid1(VALU_DEP_2)
	v_fma_f64 v[88:89], v[202:203], v[200:201], -v[88:89]
	v_mul_f64 v[202:203], v[202:203], v[90:91]
	v_add_f64 v[0:1], v[0:1], -v[88:89]
	s_delay_alu instid0(VALU_DEP_2) | instskip(SKIP_1) | instid1(VALU_DEP_2)
	v_fma_f64 v[202:203], v[204:205], v[200:201], v[202:203]
	v_dual_mov_b32 v88, v200 :: v_dual_mov_b32 v89, v201
	v_add_f64 v[2:3], v[2:3], -v[202:203]
.LBB99_253:
	s_or_b32 exec_lo, exec_lo, s3
	s_delay_alu instid0(SALU_CYCLE_1)
	s_mov_b32 s4, exec_lo
	s_waitcnt_vscnt null, 0x0
	s_barrier
	buffer_gl0_inv
	v_cmpx_eq_u32_e32 28, v234
	s_cbranch_execz .LBB99_260
; %bb.254:
	ds_store_2addr_b64 v235, v[84:85], v[86:87] offset1:1
	ds_store_2addr_b64 v236, v[80:81], v[82:83] offset0:58 offset1:59
	ds_store_2addr_b64 v236, v[76:77], v[78:79] offset0:60 offset1:61
	;; [unrolled: 1-line block ×21, first 2 shown]
	ds_load_2addr_b64 v[200:203], v235 offset1:1
	s_waitcnt lgkmcnt(0)
	v_cmp_neq_f64_e32 vcc_lo, 0, v[200:201]
	v_cmp_neq_f64_e64 s3, 0, v[202:203]
	s_delay_alu instid0(VALU_DEP_1) | instskip(NEXT) | instid1(SALU_CYCLE_1)
	s_or_b32 s3, vcc_lo, s3
	s_and_b32 exec_lo, exec_lo, s3
	s_cbranch_execz .LBB99_260
; %bb.255:
	v_cmp_gt_f64_e32 vcc_lo, 0, v[200:201]
	v_xor_b32_e32 v204, 0x80000000, v201
	v_xor_b32_e32 v206, 0x80000000, v203
	s_mov_b32 s3, exec_lo
                                        ; implicit-def: $vgpr208_vgpr209
	s_delay_alu instid0(VALU_DEP_2) | instskip(SKIP_4) | instid1(VALU_DEP_1)
	v_cndmask_b32_e32 v205, v201, v204, vcc_lo
	v_cndmask_b32_e32 v204, v200, v200, vcc_lo
	v_cmp_gt_f64_e32 vcc_lo, 0, v[202:203]
	v_cndmask_b32_e32 v207, v203, v206, vcc_lo
	v_cndmask_b32_e32 v206, v202, v202, vcc_lo
	v_cmpx_ngt_f64_e32 v[204:205], v[206:207]
	s_xor_b32 s3, exec_lo, s3
                                        ; implicit-def: $vgpr204_vgpr205_vgpr206_vgpr207
	s_cbranch_execz .LBB99_257
; %bb.256:
	v_div_scale_f64 v[204:205], null, v[202:203], v[202:203], v[200:201]
	v_div_scale_f64 v[210:211], vcc_lo, v[200:201], v[202:203], v[200:201]
	s_delay_alu instid0(VALU_DEP_2) | instskip(SKIP_2) | instid1(VALU_DEP_1)
	v_rcp_f64_e32 v[206:207], v[204:205]
	s_waitcnt_depctr 0xfff
	v_fma_f64 v[208:209], -v[204:205], v[206:207], 1.0
	v_fma_f64 v[206:207], v[206:207], v[208:209], v[206:207]
	s_delay_alu instid0(VALU_DEP_1) | instskip(NEXT) | instid1(VALU_DEP_1)
	v_fma_f64 v[208:209], -v[204:205], v[206:207], 1.0
	v_fma_f64 v[206:207], v[206:207], v[208:209], v[206:207]
	s_delay_alu instid0(VALU_DEP_1) | instskip(NEXT) | instid1(VALU_DEP_1)
	v_mul_f64 v[208:209], v[210:211], v[206:207]
	v_fma_f64 v[204:205], -v[204:205], v[208:209], v[210:211]
	s_delay_alu instid0(VALU_DEP_1) | instskip(NEXT) | instid1(VALU_DEP_1)
	v_div_fmas_f64 v[204:205], v[204:205], v[206:207], v[208:209]
	v_div_fixup_f64 v[204:205], v[204:205], v[202:203], v[200:201]
	s_delay_alu instid0(VALU_DEP_1) | instskip(NEXT) | instid1(VALU_DEP_1)
	v_fma_f64 v[200:201], v[200:201], v[204:205], v[202:203]
	v_div_scale_f64 v[202:203], null, v[200:201], v[200:201], 1.0
	s_delay_alu instid0(VALU_DEP_1) | instskip(SKIP_2) | instid1(VALU_DEP_1)
	v_rcp_f64_e32 v[206:207], v[202:203]
	s_waitcnt_depctr 0xfff
	v_fma_f64 v[208:209], -v[202:203], v[206:207], 1.0
	v_fma_f64 v[206:207], v[206:207], v[208:209], v[206:207]
	s_delay_alu instid0(VALU_DEP_1) | instskip(NEXT) | instid1(VALU_DEP_1)
	v_fma_f64 v[208:209], -v[202:203], v[206:207], 1.0
	v_fma_f64 v[206:207], v[206:207], v[208:209], v[206:207]
	v_div_scale_f64 v[208:209], vcc_lo, 1.0, v[200:201], 1.0
	s_delay_alu instid0(VALU_DEP_1) | instskip(NEXT) | instid1(VALU_DEP_1)
	v_mul_f64 v[210:211], v[208:209], v[206:207]
	v_fma_f64 v[202:203], -v[202:203], v[210:211], v[208:209]
	s_delay_alu instid0(VALU_DEP_1) | instskip(NEXT) | instid1(VALU_DEP_1)
	v_div_fmas_f64 v[202:203], v[202:203], v[206:207], v[210:211]
	v_div_fixup_f64 v[206:207], v[202:203], v[200:201], 1.0
                                        ; implicit-def: $vgpr200_vgpr201
	s_delay_alu instid0(VALU_DEP_1)
	v_mul_f64 v[208:209], v[204:205], v[206:207]
	v_xor_b32_e32 v207, 0x80000000, v207
.LBB99_257:
	s_and_not1_saveexec_b32 s3, s3
	s_cbranch_execz .LBB99_259
; %bb.258:
	v_div_scale_f64 v[204:205], null, v[200:201], v[200:201], v[202:203]
	v_div_scale_f64 v[210:211], vcc_lo, v[202:203], v[200:201], v[202:203]
	s_delay_alu instid0(VALU_DEP_2) | instskip(SKIP_2) | instid1(VALU_DEP_1)
	v_rcp_f64_e32 v[206:207], v[204:205]
	s_waitcnt_depctr 0xfff
	v_fma_f64 v[208:209], -v[204:205], v[206:207], 1.0
	v_fma_f64 v[206:207], v[206:207], v[208:209], v[206:207]
	s_delay_alu instid0(VALU_DEP_1) | instskip(NEXT) | instid1(VALU_DEP_1)
	v_fma_f64 v[208:209], -v[204:205], v[206:207], 1.0
	v_fma_f64 v[206:207], v[206:207], v[208:209], v[206:207]
	s_delay_alu instid0(VALU_DEP_1) | instskip(NEXT) | instid1(VALU_DEP_1)
	v_mul_f64 v[208:209], v[210:211], v[206:207]
	v_fma_f64 v[204:205], -v[204:205], v[208:209], v[210:211]
	s_delay_alu instid0(VALU_DEP_1) | instskip(NEXT) | instid1(VALU_DEP_1)
	v_div_fmas_f64 v[204:205], v[204:205], v[206:207], v[208:209]
	v_div_fixup_f64 v[204:205], v[204:205], v[200:201], v[202:203]
	s_delay_alu instid0(VALU_DEP_1) | instskip(NEXT) | instid1(VALU_DEP_1)
	v_fma_f64 v[200:201], v[202:203], v[204:205], v[200:201]
	v_div_scale_f64 v[202:203], null, v[200:201], v[200:201], 1.0
	s_delay_alu instid0(VALU_DEP_1) | instskip(SKIP_2) | instid1(VALU_DEP_1)
	v_rcp_f64_e32 v[206:207], v[202:203]
	s_waitcnt_depctr 0xfff
	v_fma_f64 v[208:209], -v[202:203], v[206:207], 1.0
	v_fma_f64 v[206:207], v[206:207], v[208:209], v[206:207]
	s_delay_alu instid0(VALU_DEP_1) | instskip(NEXT) | instid1(VALU_DEP_1)
	v_fma_f64 v[208:209], -v[202:203], v[206:207], 1.0
	v_fma_f64 v[206:207], v[206:207], v[208:209], v[206:207]
	v_div_scale_f64 v[208:209], vcc_lo, 1.0, v[200:201], 1.0
	s_delay_alu instid0(VALU_DEP_1) | instskip(NEXT) | instid1(VALU_DEP_1)
	v_mul_f64 v[210:211], v[208:209], v[206:207]
	v_fma_f64 v[202:203], -v[202:203], v[210:211], v[208:209]
	s_delay_alu instid0(VALU_DEP_1) | instskip(NEXT) | instid1(VALU_DEP_1)
	v_div_fmas_f64 v[202:203], v[202:203], v[206:207], v[210:211]
	v_div_fixup_f64 v[208:209], v[202:203], v[200:201], 1.0
	s_delay_alu instid0(VALU_DEP_1)
	v_mul_f64 v[206:207], v[204:205], -v[208:209]
.LBB99_259:
	s_or_b32 exec_lo, exec_lo, s3
	ds_store_2addr_b64 v235, v[208:209], v[206:207] offset1:1
.LBB99_260:
	s_or_b32 exec_lo, exec_lo, s4
	s_waitcnt lgkmcnt(0)
	s_barrier
	buffer_gl0_inv
	ds_load_2addr_b64 v[200:203], v235 offset1:1
	s_mov_b32 s3, exec_lo
	s_waitcnt lgkmcnt(0)
	scratch_store_b128 off, v[200:203], off offset:840 ; 16-byte Folded Spill
	v_cmpx_lt_u32_e32 28, v234
	s_cbranch_execz .LBB99_262
; %bb.261:
	scratch_load_b128 v[202:205], off, off offset:840 ; 16-byte Folded Reload
	s_waitcnt vmcnt(0)
	v_mul_f64 v[200:201], v[204:205], v[86:87]
	v_mul_f64 v[86:87], v[202:203], v[86:87]
	s_delay_alu instid0(VALU_DEP_2) | instskip(NEXT) | instid1(VALU_DEP_2)
	v_fma_f64 v[200:201], v[202:203], v[84:85], -v[200:201]
	v_fma_f64 v[86:87], v[204:205], v[84:85], v[86:87]
	ds_load_2addr_b64 v[202:205], v236 offset0:58 offset1:59
	s_waitcnt lgkmcnt(0)
	v_mul_f64 v[84:85], v[204:205], v[86:87]
	s_delay_alu instid0(VALU_DEP_1) | instskip(SKIP_1) | instid1(VALU_DEP_2)
	v_fma_f64 v[84:85], v[202:203], v[200:201], -v[84:85]
	v_mul_f64 v[202:203], v[202:203], v[86:87]
	v_add_f64 v[80:81], v[80:81], -v[84:85]
	s_delay_alu instid0(VALU_DEP_2) | instskip(NEXT) | instid1(VALU_DEP_1)
	v_fma_f64 v[202:203], v[204:205], v[200:201], v[202:203]
	v_add_f64 v[82:83], v[82:83], -v[202:203]
	ds_load_2addr_b64 v[202:205], v236 offset0:60 offset1:61
	s_waitcnt lgkmcnt(0)
	v_mul_f64 v[84:85], v[204:205], v[86:87]
	s_delay_alu instid0(VALU_DEP_1) | instskip(SKIP_1) | instid1(VALU_DEP_2)
	v_fma_f64 v[84:85], v[202:203], v[200:201], -v[84:85]
	v_mul_f64 v[202:203], v[202:203], v[86:87]
	v_add_f64 v[76:77], v[76:77], -v[84:85]
	s_delay_alu instid0(VALU_DEP_2) | instskip(NEXT) | instid1(VALU_DEP_1)
	v_fma_f64 v[202:203], v[204:205], v[200:201], v[202:203]
	v_add_f64 v[78:79], v[78:79], -v[202:203]
	;; [unrolled: 10-line block ×20, first 2 shown]
	ds_load_2addr_b64 v[202:205], v236 offset0:98 offset1:99
	s_waitcnt lgkmcnt(0)
	v_mul_f64 v[84:85], v[204:205], v[86:87]
	s_delay_alu instid0(VALU_DEP_1) | instskip(SKIP_1) | instid1(VALU_DEP_2)
	v_fma_f64 v[84:85], v[202:203], v[200:201], -v[84:85]
	v_mul_f64 v[202:203], v[202:203], v[86:87]
	v_add_f64 v[0:1], v[0:1], -v[84:85]
	s_delay_alu instid0(VALU_DEP_2) | instskip(SKIP_1) | instid1(VALU_DEP_2)
	v_fma_f64 v[202:203], v[204:205], v[200:201], v[202:203]
	v_dual_mov_b32 v84, v200 :: v_dual_mov_b32 v85, v201
	v_add_f64 v[2:3], v[2:3], -v[202:203]
.LBB99_262:
	s_or_b32 exec_lo, exec_lo, s3
	s_delay_alu instid0(SALU_CYCLE_1)
	s_mov_b32 s4, exec_lo
	s_waitcnt_vscnt null, 0x0
	s_barrier
	buffer_gl0_inv
	v_cmpx_eq_u32_e32 29, v234
	s_cbranch_execz .LBB99_269
; %bb.263:
	ds_store_2addr_b64 v235, v[80:81], v[82:83] offset1:1
	ds_store_2addr_b64 v236, v[76:77], v[78:79] offset0:60 offset1:61
	ds_store_2addr_b64 v236, v[72:73], v[74:75] offset0:62 offset1:63
	;; [unrolled: 1-line block ×20, first 2 shown]
	ds_load_2addr_b64 v[200:203], v235 offset1:1
	s_waitcnt lgkmcnt(0)
	v_cmp_neq_f64_e32 vcc_lo, 0, v[200:201]
	v_cmp_neq_f64_e64 s3, 0, v[202:203]
	s_delay_alu instid0(VALU_DEP_1) | instskip(NEXT) | instid1(SALU_CYCLE_1)
	s_or_b32 s3, vcc_lo, s3
	s_and_b32 exec_lo, exec_lo, s3
	s_cbranch_execz .LBB99_269
; %bb.264:
	v_cmp_gt_f64_e32 vcc_lo, 0, v[200:201]
	v_xor_b32_e32 v204, 0x80000000, v201
	v_xor_b32_e32 v206, 0x80000000, v203
	s_mov_b32 s3, exec_lo
                                        ; implicit-def: $vgpr208_vgpr209
	s_delay_alu instid0(VALU_DEP_2) | instskip(SKIP_4) | instid1(VALU_DEP_1)
	v_cndmask_b32_e32 v205, v201, v204, vcc_lo
	v_cndmask_b32_e32 v204, v200, v200, vcc_lo
	v_cmp_gt_f64_e32 vcc_lo, 0, v[202:203]
	v_cndmask_b32_e32 v207, v203, v206, vcc_lo
	v_cndmask_b32_e32 v206, v202, v202, vcc_lo
	v_cmpx_ngt_f64_e32 v[204:205], v[206:207]
	s_xor_b32 s3, exec_lo, s3
                                        ; implicit-def: $vgpr204_vgpr205_vgpr206_vgpr207
	s_cbranch_execz .LBB99_266
; %bb.265:
	v_div_scale_f64 v[204:205], null, v[202:203], v[202:203], v[200:201]
	v_div_scale_f64 v[210:211], vcc_lo, v[200:201], v[202:203], v[200:201]
	s_delay_alu instid0(VALU_DEP_2) | instskip(SKIP_2) | instid1(VALU_DEP_1)
	v_rcp_f64_e32 v[206:207], v[204:205]
	s_waitcnt_depctr 0xfff
	v_fma_f64 v[208:209], -v[204:205], v[206:207], 1.0
	v_fma_f64 v[206:207], v[206:207], v[208:209], v[206:207]
	s_delay_alu instid0(VALU_DEP_1) | instskip(NEXT) | instid1(VALU_DEP_1)
	v_fma_f64 v[208:209], -v[204:205], v[206:207], 1.0
	v_fma_f64 v[206:207], v[206:207], v[208:209], v[206:207]
	s_delay_alu instid0(VALU_DEP_1) | instskip(NEXT) | instid1(VALU_DEP_1)
	v_mul_f64 v[208:209], v[210:211], v[206:207]
	v_fma_f64 v[204:205], -v[204:205], v[208:209], v[210:211]
	s_delay_alu instid0(VALU_DEP_1) | instskip(NEXT) | instid1(VALU_DEP_1)
	v_div_fmas_f64 v[204:205], v[204:205], v[206:207], v[208:209]
	v_div_fixup_f64 v[204:205], v[204:205], v[202:203], v[200:201]
	s_delay_alu instid0(VALU_DEP_1) | instskip(NEXT) | instid1(VALU_DEP_1)
	v_fma_f64 v[200:201], v[200:201], v[204:205], v[202:203]
	v_div_scale_f64 v[202:203], null, v[200:201], v[200:201], 1.0
	s_delay_alu instid0(VALU_DEP_1) | instskip(SKIP_2) | instid1(VALU_DEP_1)
	v_rcp_f64_e32 v[206:207], v[202:203]
	s_waitcnt_depctr 0xfff
	v_fma_f64 v[208:209], -v[202:203], v[206:207], 1.0
	v_fma_f64 v[206:207], v[206:207], v[208:209], v[206:207]
	s_delay_alu instid0(VALU_DEP_1) | instskip(NEXT) | instid1(VALU_DEP_1)
	v_fma_f64 v[208:209], -v[202:203], v[206:207], 1.0
	v_fma_f64 v[206:207], v[206:207], v[208:209], v[206:207]
	v_div_scale_f64 v[208:209], vcc_lo, 1.0, v[200:201], 1.0
	s_delay_alu instid0(VALU_DEP_1) | instskip(NEXT) | instid1(VALU_DEP_1)
	v_mul_f64 v[210:211], v[208:209], v[206:207]
	v_fma_f64 v[202:203], -v[202:203], v[210:211], v[208:209]
	s_delay_alu instid0(VALU_DEP_1) | instskip(NEXT) | instid1(VALU_DEP_1)
	v_div_fmas_f64 v[202:203], v[202:203], v[206:207], v[210:211]
	v_div_fixup_f64 v[206:207], v[202:203], v[200:201], 1.0
                                        ; implicit-def: $vgpr200_vgpr201
	s_delay_alu instid0(VALU_DEP_1)
	v_mul_f64 v[208:209], v[204:205], v[206:207]
	v_xor_b32_e32 v207, 0x80000000, v207
.LBB99_266:
	s_and_not1_saveexec_b32 s3, s3
	s_cbranch_execz .LBB99_268
; %bb.267:
	v_div_scale_f64 v[204:205], null, v[200:201], v[200:201], v[202:203]
	v_div_scale_f64 v[210:211], vcc_lo, v[202:203], v[200:201], v[202:203]
	s_delay_alu instid0(VALU_DEP_2) | instskip(SKIP_2) | instid1(VALU_DEP_1)
	v_rcp_f64_e32 v[206:207], v[204:205]
	s_waitcnt_depctr 0xfff
	v_fma_f64 v[208:209], -v[204:205], v[206:207], 1.0
	v_fma_f64 v[206:207], v[206:207], v[208:209], v[206:207]
	s_delay_alu instid0(VALU_DEP_1) | instskip(NEXT) | instid1(VALU_DEP_1)
	v_fma_f64 v[208:209], -v[204:205], v[206:207], 1.0
	v_fma_f64 v[206:207], v[206:207], v[208:209], v[206:207]
	s_delay_alu instid0(VALU_DEP_1) | instskip(NEXT) | instid1(VALU_DEP_1)
	v_mul_f64 v[208:209], v[210:211], v[206:207]
	v_fma_f64 v[204:205], -v[204:205], v[208:209], v[210:211]
	s_delay_alu instid0(VALU_DEP_1) | instskip(NEXT) | instid1(VALU_DEP_1)
	v_div_fmas_f64 v[204:205], v[204:205], v[206:207], v[208:209]
	v_div_fixup_f64 v[204:205], v[204:205], v[200:201], v[202:203]
	s_delay_alu instid0(VALU_DEP_1) | instskip(NEXT) | instid1(VALU_DEP_1)
	v_fma_f64 v[200:201], v[202:203], v[204:205], v[200:201]
	v_div_scale_f64 v[202:203], null, v[200:201], v[200:201], 1.0
	s_delay_alu instid0(VALU_DEP_1) | instskip(SKIP_2) | instid1(VALU_DEP_1)
	v_rcp_f64_e32 v[206:207], v[202:203]
	s_waitcnt_depctr 0xfff
	v_fma_f64 v[208:209], -v[202:203], v[206:207], 1.0
	v_fma_f64 v[206:207], v[206:207], v[208:209], v[206:207]
	s_delay_alu instid0(VALU_DEP_1) | instskip(NEXT) | instid1(VALU_DEP_1)
	v_fma_f64 v[208:209], -v[202:203], v[206:207], 1.0
	v_fma_f64 v[206:207], v[206:207], v[208:209], v[206:207]
	v_div_scale_f64 v[208:209], vcc_lo, 1.0, v[200:201], 1.0
	s_delay_alu instid0(VALU_DEP_1) | instskip(NEXT) | instid1(VALU_DEP_1)
	v_mul_f64 v[210:211], v[208:209], v[206:207]
	v_fma_f64 v[202:203], -v[202:203], v[210:211], v[208:209]
	s_delay_alu instid0(VALU_DEP_1) | instskip(NEXT) | instid1(VALU_DEP_1)
	v_div_fmas_f64 v[202:203], v[202:203], v[206:207], v[210:211]
	v_div_fixup_f64 v[208:209], v[202:203], v[200:201], 1.0
	s_delay_alu instid0(VALU_DEP_1)
	v_mul_f64 v[206:207], v[204:205], -v[208:209]
.LBB99_268:
	s_or_b32 exec_lo, exec_lo, s3
	ds_store_2addr_b64 v235, v[208:209], v[206:207] offset1:1
.LBB99_269:
	s_or_b32 exec_lo, exec_lo, s4
	s_waitcnt lgkmcnt(0)
	s_barrier
	buffer_gl0_inv
	ds_load_2addr_b64 v[200:203], v235 offset1:1
	s_mov_b32 s3, exec_lo
	s_waitcnt lgkmcnt(0)
	scratch_store_b128 off, v[200:203], off offset:856 ; 16-byte Folded Spill
	v_cmpx_lt_u32_e32 29, v234
	s_cbranch_execz .LBB99_271
; %bb.270:
	scratch_load_b128 v[202:205], off, off offset:856 ; 16-byte Folded Reload
	s_waitcnt vmcnt(0)
	v_mul_f64 v[200:201], v[204:205], v[82:83]
	v_mul_f64 v[82:83], v[202:203], v[82:83]
	s_delay_alu instid0(VALU_DEP_2) | instskip(NEXT) | instid1(VALU_DEP_2)
	v_fma_f64 v[200:201], v[202:203], v[80:81], -v[200:201]
	v_fma_f64 v[82:83], v[204:205], v[80:81], v[82:83]
	ds_load_2addr_b64 v[202:205], v236 offset0:60 offset1:61
	s_waitcnt lgkmcnt(0)
	v_mul_f64 v[80:81], v[204:205], v[82:83]
	s_delay_alu instid0(VALU_DEP_1) | instskip(SKIP_1) | instid1(VALU_DEP_2)
	v_fma_f64 v[80:81], v[202:203], v[200:201], -v[80:81]
	v_mul_f64 v[202:203], v[202:203], v[82:83]
	v_add_f64 v[76:77], v[76:77], -v[80:81]
	s_delay_alu instid0(VALU_DEP_2) | instskip(NEXT) | instid1(VALU_DEP_1)
	v_fma_f64 v[202:203], v[204:205], v[200:201], v[202:203]
	v_add_f64 v[78:79], v[78:79], -v[202:203]
	ds_load_2addr_b64 v[202:205], v236 offset0:62 offset1:63
	s_waitcnt lgkmcnt(0)
	v_mul_f64 v[80:81], v[204:205], v[82:83]
	s_delay_alu instid0(VALU_DEP_1) | instskip(SKIP_1) | instid1(VALU_DEP_2)
	v_fma_f64 v[80:81], v[202:203], v[200:201], -v[80:81]
	v_mul_f64 v[202:203], v[202:203], v[82:83]
	v_add_f64 v[72:73], v[72:73], -v[80:81]
	s_delay_alu instid0(VALU_DEP_2) | instskip(NEXT) | instid1(VALU_DEP_1)
	v_fma_f64 v[202:203], v[204:205], v[200:201], v[202:203]
	v_add_f64 v[74:75], v[74:75], -v[202:203]
	;; [unrolled: 10-line block ×19, first 2 shown]
	ds_load_2addr_b64 v[202:205], v236 offset0:98 offset1:99
	s_waitcnt lgkmcnt(0)
	v_mul_f64 v[80:81], v[204:205], v[82:83]
	s_delay_alu instid0(VALU_DEP_1) | instskip(SKIP_1) | instid1(VALU_DEP_2)
	v_fma_f64 v[80:81], v[202:203], v[200:201], -v[80:81]
	v_mul_f64 v[202:203], v[202:203], v[82:83]
	v_add_f64 v[0:1], v[0:1], -v[80:81]
	s_delay_alu instid0(VALU_DEP_2) | instskip(SKIP_1) | instid1(VALU_DEP_2)
	v_fma_f64 v[202:203], v[204:205], v[200:201], v[202:203]
	v_dual_mov_b32 v80, v200 :: v_dual_mov_b32 v81, v201
	v_add_f64 v[2:3], v[2:3], -v[202:203]
.LBB99_271:
	s_or_b32 exec_lo, exec_lo, s3
	s_delay_alu instid0(SALU_CYCLE_1)
	s_mov_b32 s4, exec_lo
	s_waitcnt_vscnt null, 0x0
	s_barrier
	buffer_gl0_inv
	v_cmpx_eq_u32_e32 30, v234
	s_cbranch_execz .LBB99_278
; %bb.272:
	ds_store_2addr_b64 v235, v[76:77], v[78:79] offset1:1
	ds_store_2addr_b64 v236, v[72:73], v[74:75] offset0:62 offset1:63
	ds_store_2addr_b64 v236, v[68:69], v[70:71] offset0:64 offset1:65
	;; [unrolled: 1-line block ×19, first 2 shown]
	ds_load_2addr_b64 v[200:203], v235 offset1:1
	s_waitcnt lgkmcnt(0)
	v_cmp_neq_f64_e32 vcc_lo, 0, v[200:201]
	v_cmp_neq_f64_e64 s3, 0, v[202:203]
	s_delay_alu instid0(VALU_DEP_1) | instskip(NEXT) | instid1(SALU_CYCLE_1)
	s_or_b32 s3, vcc_lo, s3
	s_and_b32 exec_lo, exec_lo, s3
	s_cbranch_execz .LBB99_278
; %bb.273:
	v_cmp_gt_f64_e32 vcc_lo, 0, v[200:201]
	v_xor_b32_e32 v204, 0x80000000, v201
	v_xor_b32_e32 v206, 0x80000000, v203
	s_mov_b32 s3, exec_lo
                                        ; implicit-def: $vgpr208_vgpr209
	s_delay_alu instid0(VALU_DEP_2) | instskip(SKIP_4) | instid1(VALU_DEP_1)
	v_cndmask_b32_e32 v205, v201, v204, vcc_lo
	v_cndmask_b32_e32 v204, v200, v200, vcc_lo
	v_cmp_gt_f64_e32 vcc_lo, 0, v[202:203]
	v_cndmask_b32_e32 v207, v203, v206, vcc_lo
	v_cndmask_b32_e32 v206, v202, v202, vcc_lo
	v_cmpx_ngt_f64_e32 v[204:205], v[206:207]
	s_xor_b32 s3, exec_lo, s3
                                        ; implicit-def: $vgpr204_vgpr205_vgpr206_vgpr207
	s_cbranch_execz .LBB99_275
; %bb.274:
	v_div_scale_f64 v[204:205], null, v[202:203], v[202:203], v[200:201]
	v_div_scale_f64 v[210:211], vcc_lo, v[200:201], v[202:203], v[200:201]
	s_delay_alu instid0(VALU_DEP_2) | instskip(SKIP_2) | instid1(VALU_DEP_1)
	v_rcp_f64_e32 v[206:207], v[204:205]
	s_waitcnt_depctr 0xfff
	v_fma_f64 v[208:209], -v[204:205], v[206:207], 1.0
	v_fma_f64 v[206:207], v[206:207], v[208:209], v[206:207]
	s_delay_alu instid0(VALU_DEP_1) | instskip(NEXT) | instid1(VALU_DEP_1)
	v_fma_f64 v[208:209], -v[204:205], v[206:207], 1.0
	v_fma_f64 v[206:207], v[206:207], v[208:209], v[206:207]
	s_delay_alu instid0(VALU_DEP_1) | instskip(NEXT) | instid1(VALU_DEP_1)
	v_mul_f64 v[208:209], v[210:211], v[206:207]
	v_fma_f64 v[204:205], -v[204:205], v[208:209], v[210:211]
	s_delay_alu instid0(VALU_DEP_1) | instskip(NEXT) | instid1(VALU_DEP_1)
	v_div_fmas_f64 v[204:205], v[204:205], v[206:207], v[208:209]
	v_div_fixup_f64 v[204:205], v[204:205], v[202:203], v[200:201]
	s_delay_alu instid0(VALU_DEP_1) | instskip(NEXT) | instid1(VALU_DEP_1)
	v_fma_f64 v[200:201], v[200:201], v[204:205], v[202:203]
	v_div_scale_f64 v[202:203], null, v[200:201], v[200:201], 1.0
	s_delay_alu instid0(VALU_DEP_1) | instskip(SKIP_2) | instid1(VALU_DEP_1)
	v_rcp_f64_e32 v[206:207], v[202:203]
	s_waitcnt_depctr 0xfff
	v_fma_f64 v[208:209], -v[202:203], v[206:207], 1.0
	v_fma_f64 v[206:207], v[206:207], v[208:209], v[206:207]
	s_delay_alu instid0(VALU_DEP_1) | instskip(NEXT) | instid1(VALU_DEP_1)
	v_fma_f64 v[208:209], -v[202:203], v[206:207], 1.0
	v_fma_f64 v[206:207], v[206:207], v[208:209], v[206:207]
	v_div_scale_f64 v[208:209], vcc_lo, 1.0, v[200:201], 1.0
	s_delay_alu instid0(VALU_DEP_1) | instskip(NEXT) | instid1(VALU_DEP_1)
	v_mul_f64 v[210:211], v[208:209], v[206:207]
	v_fma_f64 v[202:203], -v[202:203], v[210:211], v[208:209]
	s_delay_alu instid0(VALU_DEP_1) | instskip(NEXT) | instid1(VALU_DEP_1)
	v_div_fmas_f64 v[202:203], v[202:203], v[206:207], v[210:211]
	v_div_fixup_f64 v[206:207], v[202:203], v[200:201], 1.0
                                        ; implicit-def: $vgpr200_vgpr201
	s_delay_alu instid0(VALU_DEP_1)
	v_mul_f64 v[208:209], v[204:205], v[206:207]
	v_xor_b32_e32 v207, 0x80000000, v207
.LBB99_275:
	s_and_not1_saveexec_b32 s3, s3
	s_cbranch_execz .LBB99_277
; %bb.276:
	v_div_scale_f64 v[204:205], null, v[200:201], v[200:201], v[202:203]
	v_div_scale_f64 v[210:211], vcc_lo, v[202:203], v[200:201], v[202:203]
	s_delay_alu instid0(VALU_DEP_2) | instskip(SKIP_2) | instid1(VALU_DEP_1)
	v_rcp_f64_e32 v[206:207], v[204:205]
	s_waitcnt_depctr 0xfff
	v_fma_f64 v[208:209], -v[204:205], v[206:207], 1.0
	v_fma_f64 v[206:207], v[206:207], v[208:209], v[206:207]
	s_delay_alu instid0(VALU_DEP_1) | instskip(NEXT) | instid1(VALU_DEP_1)
	v_fma_f64 v[208:209], -v[204:205], v[206:207], 1.0
	v_fma_f64 v[206:207], v[206:207], v[208:209], v[206:207]
	s_delay_alu instid0(VALU_DEP_1) | instskip(NEXT) | instid1(VALU_DEP_1)
	v_mul_f64 v[208:209], v[210:211], v[206:207]
	v_fma_f64 v[204:205], -v[204:205], v[208:209], v[210:211]
	s_delay_alu instid0(VALU_DEP_1) | instskip(NEXT) | instid1(VALU_DEP_1)
	v_div_fmas_f64 v[204:205], v[204:205], v[206:207], v[208:209]
	v_div_fixup_f64 v[204:205], v[204:205], v[200:201], v[202:203]
	s_delay_alu instid0(VALU_DEP_1) | instskip(NEXT) | instid1(VALU_DEP_1)
	v_fma_f64 v[200:201], v[202:203], v[204:205], v[200:201]
	v_div_scale_f64 v[202:203], null, v[200:201], v[200:201], 1.0
	s_delay_alu instid0(VALU_DEP_1) | instskip(SKIP_2) | instid1(VALU_DEP_1)
	v_rcp_f64_e32 v[206:207], v[202:203]
	s_waitcnt_depctr 0xfff
	v_fma_f64 v[208:209], -v[202:203], v[206:207], 1.0
	v_fma_f64 v[206:207], v[206:207], v[208:209], v[206:207]
	s_delay_alu instid0(VALU_DEP_1) | instskip(NEXT) | instid1(VALU_DEP_1)
	v_fma_f64 v[208:209], -v[202:203], v[206:207], 1.0
	v_fma_f64 v[206:207], v[206:207], v[208:209], v[206:207]
	v_div_scale_f64 v[208:209], vcc_lo, 1.0, v[200:201], 1.0
	s_delay_alu instid0(VALU_DEP_1) | instskip(NEXT) | instid1(VALU_DEP_1)
	v_mul_f64 v[210:211], v[208:209], v[206:207]
	v_fma_f64 v[202:203], -v[202:203], v[210:211], v[208:209]
	s_delay_alu instid0(VALU_DEP_1) | instskip(NEXT) | instid1(VALU_DEP_1)
	v_div_fmas_f64 v[202:203], v[202:203], v[206:207], v[210:211]
	v_div_fixup_f64 v[208:209], v[202:203], v[200:201], 1.0
	s_delay_alu instid0(VALU_DEP_1)
	v_mul_f64 v[206:207], v[204:205], -v[208:209]
.LBB99_277:
	s_or_b32 exec_lo, exec_lo, s3
	ds_store_2addr_b64 v235, v[208:209], v[206:207] offset1:1
.LBB99_278:
	s_or_b32 exec_lo, exec_lo, s4
	s_waitcnt lgkmcnt(0)
	s_barrier
	buffer_gl0_inv
	ds_load_2addr_b64 v[200:203], v235 offset1:1
	s_mov_b32 s3, exec_lo
	s_waitcnt lgkmcnt(0)
	scratch_store_b128 off, v[200:203], off offset:872 ; 16-byte Folded Spill
	v_cmpx_lt_u32_e32 30, v234
	s_cbranch_execz .LBB99_280
; %bb.279:
	scratch_load_b128 v[202:205], off, off offset:872 ; 16-byte Folded Reload
	s_waitcnt vmcnt(0)
	v_mul_f64 v[200:201], v[204:205], v[78:79]
	v_mul_f64 v[78:79], v[202:203], v[78:79]
	s_delay_alu instid0(VALU_DEP_2) | instskip(NEXT) | instid1(VALU_DEP_2)
	v_fma_f64 v[200:201], v[202:203], v[76:77], -v[200:201]
	v_fma_f64 v[78:79], v[204:205], v[76:77], v[78:79]
	ds_load_2addr_b64 v[202:205], v236 offset0:62 offset1:63
	s_waitcnt lgkmcnt(0)
	v_mul_f64 v[76:77], v[204:205], v[78:79]
	s_delay_alu instid0(VALU_DEP_1) | instskip(SKIP_1) | instid1(VALU_DEP_2)
	v_fma_f64 v[76:77], v[202:203], v[200:201], -v[76:77]
	v_mul_f64 v[202:203], v[202:203], v[78:79]
	v_add_f64 v[72:73], v[72:73], -v[76:77]
	s_delay_alu instid0(VALU_DEP_2) | instskip(NEXT) | instid1(VALU_DEP_1)
	v_fma_f64 v[202:203], v[204:205], v[200:201], v[202:203]
	v_add_f64 v[74:75], v[74:75], -v[202:203]
	ds_load_2addr_b64 v[202:205], v236 offset0:64 offset1:65
	s_waitcnt lgkmcnt(0)
	v_mul_f64 v[76:77], v[204:205], v[78:79]
	s_delay_alu instid0(VALU_DEP_1) | instskip(SKIP_1) | instid1(VALU_DEP_2)
	v_fma_f64 v[76:77], v[202:203], v[200:201], -v[76:77]
	v_mul_f64 v[202:203], v[202:203], v[78:79]
	v_add_f64 v[68:69], v[68:69], -v[76:77]
	s_delay_alu instid0(VALU_DEP_2) | instskip(NEXT) | instid1(VALU_DEP_1)
	v_fma_f64 v[202:203], v[204:205], v[200:201], v[202:203]
	v_add_f64 v[70:71], v[70:71], -v[202:203]
	;; [unrolled: 10-line block ×18, first 2 shown]
	ds_load_2addr_b64 v[202:205], v236 offset0:98 offset1:99
	s_waitcnt lgkmcnt(0)
	v_mul_f64 v[76:77], v[204:205], v[78:79]
	s_delay_alu instid0(VALU_DEP_1) | instskip(SKIP_1) | instid1(VALU_DEP_2)
	v_fma_f64 v[76:77], v[202:203], v[200:201], -v[76:77]
	v_mul_f64 v[202:203], v[202:203], v[78:79]
	v_add_f64 v[0:1], v[0:1], -v[76:77]
	s_delay_alu instid0(VALU_DEP_2) | instskip(SKIP_1) | instid1(VALU_DEP_2)
	v_fma_f64 v[202:203], v[204:205], v[200:201], v[202:203]
	v_dual_mov_b32 v76, v200 :: v_dual_mov_b32 v77, v201
	v_add_f64 v[2:3], v[2:3], -v[202:203]
.LBB99_280:
	s_or_b32 exec_lo, exec_lo, s3
	s_delay_alu instid0(SALU_CYCLE_1)
	s_mov_b32 s4, exec_lo
	s_waitcnt_vscnt null, 0x0
	s_barrier
	buffer_gl0_inv
	v_cmpx_eq_u32_e32 31, v234
	s_cbranch_execz .LBB99_287
; %bb.281:
	ds_store_2addr_b64 v235, v[72:73], v[74:75] offset1:1
	ds_store_2addr_b64 v236, v[68:69], v[70:71] offset0:64 offset1:65
	ds_store_2addr_b64 v236, v[64:65], v[66:67] offset0:66 offset1:67
	;; [unrolled: 1-line block ×18, first 2 shown]
	ds_load_2addr_b64 v[200:203], v235 offset1:1
	s_waitcnt lgkmcnt(0)
	v_cmp_neq_f64_e32 vcc_lo, 0, v[200:201]
	v_cmp_neq_f64_e64 s3, 0, v[202:203]
	s_delay_alu instid0(VALU_DEP_1) | instskip(NEXT) | instid1(SALU_CYCLE_1)
	s_or_b32 s3, vcc_lo, s3
	s_and_b32 exec_lo, exec_lo, s3
	s_cbranch_execz .LBB99_287
; %bb.282:
	v_cmp_gt_f64_e32 vcc_lo, 0, v[200:201]
	v_xor_b32_e32 v204, 0x80000000, v201
	v_xor_b32_e32 v206, 0x80000000, v203
	s_mov_b32 s3, exec_lo
                                        ; implicit-def: $vgpr208_vgpr209
	s_delay_alu instid0(VALU_DEP_2) | instskip(SKIP_4) | instid1(VALU_DEP_1)
	v_cndmask_b32_e32 v205, v201, v204, vcc_lo
	v_cndmask_b32_e32 v204, v200, v200, vcc_lo
	v_cmp_gt_f64_e32 vcc_lo, 0, v[202:203]
	v_cndmask_b32_e32 v207, v203, v206, vcc_lo
	v_cndmask_b32_e32 v206, v202, v202, vcc_lo
	v_cmpx_ngt_f64_e32 v[204:205], v[206:207]
	s_xor_b32 s3, exec_lo, s3
                                        ; implicit-def: $vgpr204_vgpr205_vgpr206_vgpr207
	s_cbranch_execz .LBB99_284
; %bb.283:
	v_div_scale_f64 v[204:205], null, v[202:203], v[202:203], v[200:201]
	v_div_scale_f64 v[210:211], vcc_lo, v[200:201], v[202:203], v[200:201]
	s_delay_alu instid0(VALU_DEP_2) | instskip(SKIP_2) | instid1(VALU_DEP_1)
	v_rcp_f64_e32 v[206:207], v[204:205]
	s_waitcnt_depctr 0xfff
	v_fma_f64 v[208:209], -v[204:205], v[206:207], 1.0
	v_fma_f64 v[206:207], v[206:207], v[208:209], v[206:207]
	s_delay_alu instid0(VALU_DEP_1) | instskip(NEXT) | instid1(VALU_DEP_1)
	v_fma_f64 v[208:209], -v[204:205], v[206:207], 1.0
	v_fma_f64 v[206:207], v[206:207], v[208:209], v[206:207]
	s_delay_alu instid0(VALU_DEP_1) | instskip(NEXT) | instid1(VALU_DEP_1)
	v_mul_f64 v[208:209], v[210:211], v[206:207]
	v_fma_f64 v[204:205], -v[204:205], v[208:209], v[210:211]
	s_delay_alu instid0(VALU_DEP_1) | instskip(NEXT) | instid1(VALU_DEP_1)
	v_div_fmas_f64 v[204:205], v[204:205], v[206:207], v[208:209]
	v_div_fixup_f64 v[204:205], v[204:205], v[202:203], v[200:201]
	s_delay_alu instid0(VALU_DEP_1) | instskip(NEXT) | instid1(VALU_DEP_1)
	v_fma_f64 v[200:201], v[200:201], v[204:205], v[202:203]
	v_div_scale_f64 v[202:203], null, v[200:201], v[200:201], 1.0
	s_delay_alu instid0(VALU_DEP_1) | instskip(SKIP_2) | instid1(VALU_DEP_1)
	v_rcp_f64_e32 v[206:207], v[202:203]
	s_waitcnt_depctr 0xfff
	v_fma_f64 v[208:209], -v[202:203], v[206:207], 1.0
	v_fma_f64 v[206:207], v[206:207], v[208:209], v[206:207]
	s_delay_alu instid0(VALU_DEP_1) | instskip(NEXT) | instid1(VALU_DEP_1)
	v_fma_f64 v[208:209], -v[202:203], v[206:207], 1.0
	v_fma_f64 v[206:207], v[206:207], v[208:209], v[206:207]
	v_div_scale_f64 v[208:209], vcc_lo, 1.0, v[200:201], 1.0
	s_delay_alu instid0(VALU_DEP_1) | instskip(NEXT) | instid1(VALU_DEP_1)
	v_mul_f64 v[210:211], v[208:209], v[206:207]
	v_fma_f64 v[202:203], -v[202:203], v[210:211], v[208:209]
	s_delay_alu instid0(VALU_DEP_1) | instskip(NEXT) | instid1(VALU_DEP_1)
	v_div_fmas_f64 v[202:203], v[202:203], v[206:207], v[210:211]
	v_div_fixup_f64 v[206:207], v[202:203], v[200:201], 1.0
                                        ; implicit-def: $vgpr200_vgpr201
	s_delay_alu instid0(VALU_DEP_1)
	v_mul_f64 v[208:209], v[204:205], v[206:207]
	v_xor_b32_e32 v207, 0x80000000, v207
.LBB99_284:
	s_and_not1_saveexec_b32 s3, s3
	s_cbranch_execz .LBB99_286
; %bb.285:
	v_div_scale_f64 v[204:205], null, v[200:201], v[200:201], v[202:203]
	v_div_scale_f64 v[210:211], vcc_lo, v[202:203], v[200:201], v[202:203]
	s_delay_alu instid0(VALU_DEP_2) | instskip(SKIP_2) | instid1(VALU_DEP_1)
	v_rcp_f64_e32 v[206:207], v[204:205]
	s_waitcnt_depctr 0xfff
	v_fma_f64 v[208:209], -v[204:205], v[206:207], 1.0
	v_fma_f64 v[206:207], v[206:207], v[208:209], v[206:207]
	s_delay_alu instid0(VALU_DEP_1) | instskip(NEXT) | instid1(VALU_DEP_1)
	v_fma_f64 v[208:209], -v[204:205], v[206:207], 1.0
	v_fma_f64 v[206:207], v[206:207], v[208:209], v[206:207]
	s_delay_alu instid0(VALU_DEP_1) | instskip(NEXT) | instid1(VALU_DEP_1)
	v_mul_f64 v[208:209], v[210:211], v[206:207]
	v_fma_f64 v[204:205], -v[204:205], v[208:209], v[210:211]
	s_delay_alu instid0(VALU_DEP_1) | instskip(NEXT) | instid1(VALU_DEP_1)
	v_div_fmas_f64 v[204:205], v[204:205], v[206:207], v[208:209]
	v_div_fixup_f64 v[204:205], v[204:205], v[200:201], v[202:203]
	s_delay_alu instid0(VALU_DEP_1) | instskip(NEXT) | instid1(VALU_DEP_1)
	v_fma_f64 v[200:201], v[202:203], v[204:205], v[200:201]
	v_div_scale_f64 v[202:203], null, v[200:201], v[200:201], 1.0
	s_delay_alu instid0(VALU_DEP_1) | instskip(SKIP_2) | instid1(VALU_DEP_1)
	v_rcp_f64_e32 v[206:207], v[202:203]
	s_waitcnt_depctr 0xfff
	v_fma_f64 v[208:209], -v[202:203], v[206:207], 1.0
	v_fma_f64 v[206:207], v[206:207], v[208:209], v[206:207]
	s_delay_alu instid0(VALU_DEP_1) | instskip(NEXT) | instid1(VALU_DEP_1)
	v_fma_f64 v[208:209], -v[202:203], v[206:207], 1.0
	v_fma_f64 v[206:207], v[206:207], v[208:209], v[206:207]
	v_div_scale_f64 v[208:209], vcc_lo, 1.0, v[200:201], 1.0
	s_delay_alu instid0(VALU_DEP_1) | instskip(NEXT) | instid1(VALU_DEP_1)
	v_mul_f64 v[210:211], v[208:209], v[206:207]
	v_fma_f64 v[202:203], -v[202:203], v[210:211], v[208:209]
	s_delay_alu instid0(VALU_DEP_1) | instskip(NEXT) | instid1(VALU_DEP_1)
	v_div_fmas_f64 v[202:203], v[202:203], v[206:207], v[210:211]
	v_div_fixup_f64 v[208:209], v[202:203], v[200:201], 1.0
	s_delay_alu instid0(VALU_DEP_1)
	v_mul_f64 v[206:207], v[204:205], -v[208:209]
.LBB99_286:
	s_or_b32 exec_lo, exec_lo, s3
	ds_store_2addr_b64 v235, v[208:209], v[206:207] offset1:1
.LBB99_287:
	s_or_b32 exec_lo, exec_lo, s4
	s_waitcnt lgkmcnt(0)
	s_barrier
	buffer_gl0_inv
	ds_load_2addr_b64 v[200:203], v235 offset1:1
	s_mov_b32 s3, exec_lo
	s_waitcnt lgkmcnt(0)
	scratch_store_b128 off, v[200:203], off offset:888 ; 16-byte Folded Spill
	v_cmpx_lt_u32_e32 31, v234
	s_cbranch_execz .LBB99_289
; %bb.288:
	scratch_load_b128 v[202:205], off, off offset:888 ; 16-byte Folded Reload
	s_waitcnt vmcnt(0)
	v_mul_f64 v[200:201], v[204:205], v[74:75]
	v_mul_f64 v[74:75], v[202:203], v[74:75]
	s_delay_alu instid0(VALU_DEP_2) | instskip(NEXT) | instid1(VALU_DEP_2)
	v_fma_f64 v[200:201], v[202:203], v[72:73], -v[200:201]
	v_fma_f64 v[74:75], v[204:205], v[72:73], v[74:75]
	ds_load_2addr_b64 v[202:205], v236 offset0:64 offset1:65
	s_waitcnt lgkmcnt(0)
	v_mul_f64 v[72:73], v[204:205], v[74:75]
	s_delay_alu instid0(VALU_DEP_1) | instskip(SKIP_1) | instid1(VALU_DEP_2)
	v_fma_f64 v[72:73], v[202:203], v[200:201], -v[72:73]
	v_mul_f64 v[202:203], v[202:203], v[74:75]
	v_add_f64 v[68:69], v[68:69], -v[72:73]
	s_delay_alu instid0(VALU_DEP_2) | instskip(NEXT) | instid1(VALU_DEP_1)
	v_fma_f64 v[202:203], v[204:205], v[200:201], v[202:203]
	v_add_f64 v[70:71], v[70:71], -v[202:203]
	ds_load_2addr_b64 v[202:205], v236 offset0:66 offset1:67
	s_waitcnt lgkmcnt(0)
	v_mul_f64 v[72:73], v[204:205], v[74:75]
	s_delay_alu instid0(VALU_DEP_1) | instskip(SKIP_1) | instid1(VALU_DEP_2)
	v_fma_f64 v[72:73], v[202:203], v[200:201], -v[72:73]
	v_mul_f64 v[202:203], v[202:203], v[74:75]
	v_add_f64 v[64:65], v[64:65], -v[72:73]
	s_delay_alu instid0(VALU_DEP_2) | instskip(NEXT) | instid1(VALU_DEP_1)
	v_fma_f64 v[202:203], v[204:205], v[200:201], v[202:203]
	v_add_f64 v[66:67], v[66:67], -v[202:203]
	;; [unrolled: 10-line block ×17, first 2 shown]
	ds_load_2addr_b64 v[202:205], v236 offset0:98 offset1:99
	s_waitcnt lgkmcnt(0)
	v_mul_f64 v[72:73], v[204:205], v[74:75]
	s_delay_alu instid0(VALU_DEP_1) | instskip(SKIP_1) | instid1(VALU_DEP_2)
	v_fma_f64 v[72:73], v[202:203], v[200:201], -v[72:73]
	v_mul_f64 v[202:203], v[202:203], v[74:75]
	v_add_f64 v[0:1], v[0:1], -v[72:73]
	s_delay_alu instid0(VALU_DEP_2) | instskip(SKIP_1) | instid1(VALU_DEP_2)
	v_fma_f64 v[202:203], v[204:205], v[200:201], v[202:203]
	v_dual_mov_b32 v72, v200 :: v_dual_mov_b32 v73, v201
	v_add_f64 v[2:3], v[2:3], -v[202:203]
.LBB99_289:
	s_or_b32 exec_lo, exec_lo, s3
	s_delay_alu instid0(SALU_CYCLE_1)
	s_mov_b32 s4, exec_lo
	s_waitcnt_vscnt null, 0x0
	s_barrier
	buffer_gl0_inv
	v_cmpx_eq_u32_e32 32, v234
	s_cbranch_execz .LBB99_296
; %bb.290:
	ds_store_2addr_b64 v235, v[68:69], v[70:71] offset1:1
	ds_store_2addr_b64 v236, v[64:65], v[66:67] offset0:66 offset1:67
	ds_store_2addr_b64 v236, v[60:61], v[62:63] offset0:68 offset1:69
	;; [unrolled: 1-line block ×17, first 2 shown]
	ds_load_2addr_b64 v[200:203], v235 offset1:1
	s_waitcnt lgkmcnt(0)
	v_cmp_neq_f64_e32 vcc_lo, 0, v[200:201]
	v_cmp_neq_f64_e64 s3, 0, v[202:203]
	s_delay_alu instid0(VALU_DEP_1) | instskip(NEXT) | instid1(SALU_CYCLE_1)
	s_or_b32 s3, vcc_lo, s3
	s_and_b32 exec_lo, exec_lo, s3
	s_cbranch_execz .LBB99_296
; %bb.291:
	v_cmp_gt_f64_e32 vcc_lo, 0, v[200:201]
	v_xor_b32_e32 v204, 0x80000000, v201
	v_xor_b32_e32 v206, 0x80000000, v203
	s_mov_b32 s3, exec_lo
                                        ; implicit-def: $vgpr208_vgpr209
	s_delay_alu instid0(VALU_DEP_2) | instskip(SKIP_4) | instid1(VALU_DEP_1)
	v_cndmask_b32_e32 v205, v201, v204, vcc_lo
	v_cndmask_b32_e32 v204, v200, v200, vcc_lo
	v_cmp_gt_f64_e32 vcc_lo, 0, v[202:203]
	v_cndmask_b32_e32 v207, v203, v206, vcc_lo
	v_cndmask_b32_e32 v206, v202, v202, vcc_lo
	v_cmpx_ngt_f64_e32 v[204:205], v[206:207]
	s_xor_b32 s3, exec_lo, s3
                                        ; implicit-def: $vgpr204_vgpr205_vgpr206_vgpr207
	s_cbranch_execz .LBB99_293
; %bb.292:
	v_div_scale_f64 v[204:205], null, v[202:203], v[202:203], v[200:201]
	v_div_scale_f64 v[210:211], vcc_lo, v[200:201], v[202:203], v[200:201]
	s_delay_alu instid0(VALU_DEP_2) | instskip(SKIP_2) | instid1(VALU_DEP_1)
	v_rcp_f64_e32 v[206:207], v[204:205]
	s_waitcnt_depctr 0xfff
	v_fma_f64 v[208:209], -v[204:205], v[206:207], 1.0
	v_fma_f64 v[206:207], v[206:207], v[208:209], v[206:207]
	s_delay_alu instid0(VALU_DEP_1) | instskip(NEXT) | instid1(VALU_DEP_1)
	v_fma_f64 v[208:209], -v[204:205], v[206:207], 1.0
	v_fma_f64 v[206:207], v[206:207], v[208:209], v[206:207]
	s_delay_alu instid0(VALU_DEP_1) | instskip(NEXT) | instid1(VALU_DEP_1)
	v_mul_f64 v[208:209], v[210:211], v[206:207]
	v_fma_f64 v[204:205], -v[204:205], v[208:209], v[210:211]
	s_delay_alu instid0(VALU_DEP_1) | instskip(NEXT) | instid1(VALU_DEP_1)
	v_div_fmas_f64 v[204:205], v[204:205], v[206:207], v[208:209]
	v_div_fixup_f64 v[204:205], v[204:205], v[202:203], v[200:201]
	s_delay_alu instid0(VALU_DEP_1) | instskip(NEXT) | instid1(VALU_DEP_1)
	v_fma_f64 v[200:201], v[200:201], v[204:205], v[202:203]
	v_div_scale_f64 v[202:203], null, v[200:201], v[200:201], 1.0
	s_delay_alu instid0(VALU_DEP_1) | instskip(SKIP_2) | instid1(VALU_DEP_1)
	v_rcp_f64_e32 v[206:207], v[202:203]
	s_waitcnt_depctr 0xfff
	v_fma_f64 v[208:209], -v[202:203], v[206:207], 1.0
	v_fma_f64 v[206:207], v[206:207], v[208:209], v[206:207]
	s_delay_alu instid0(VALU_DEP_1) | instskip(NEXT) | instid1(VALU_DEP_1)
	v_fma_f64 v[208:209], -v[202:203], v[206:207], 1.0
	v_fma_f64 v[206:207], v[206:207], v[208:209], v[206:207]
	v_div_scale_f64 v[208:209], vcc_lo, 1.0, v[200:201], 1.0
	s_delay_alu instid0(VALU_DEP_1) | instskip(NEXT) | instid1(VALU_DEP_1)
	v_mul_f64 v[210:211], v[208:209], v[206:207]
	v_fma_f64 v[202:203], -v[202:203], v[210:211], v[208:209]
	s_delay_alu instid0(VALU_DEP_1) | instskip(NEXT) | instid1(VALU_DEP_1)
	v_div_fmas_f64 v[202:203], v[202:203], v[206:207], v[210:211]
	v_div_fixup_f64 v[206:207], v[202:203], v[200:201], 1.0
                                        ; implicit-def: $vgpr200_vgpr201
	s_delay_alu instid0(VALU_DEP_1)
	v_mul_f64 v[208:209], v[204:205], v[206:207]
	v_xor_b32_e32 v207, 0x80000000, v207
.LBB99_293:
	s_and_not1_saveexec_b32 s3, s3
	s_cbranch_execz .LBB99_295
; %bb.294:
	v_div_scale_f64 v[204:205], null, v[200:201], v[200:201], v[202:203]
	v_div_scale_f64 v[210:211], vcc_lo, v[202:203], v[200:201], v[202:203]
	s_delay_alu instid0(VALU_DEP_2) | instskip(SKIP_2) | instid1(VALU_DEP_1)
	v_rcp_f64_e32 v[206:207], v[204:205]
	s_waitcnt_depctr 0xfff
	v_fma_f64 v[208:209], -v[204:205], v[206:207], 1.0
	v_fma_f64 v[206:207], v[206:207], v[208:209], v[206:207]
	s_delay_alu instid0(VALU_DEP_1) | instskip(NEXT) | instid1(VALU_DEP_1)
	v_fma_f64 v[208:209], -v[204:205], v[206:207], 1.0
	v_fma_f64 v[206:207], v[206:207], v[208:209], v[206:207]
	s_delay_alu instid0(VALU_DEP_1) | instskip(NEXT) | instid1(VALU_DEP_1)
	v_mul_f64 v[208:209], v[210:211], v[206:207]
	v_fma_f64 v[204:205], -v[204:205], v[208:209], v[210:211]
	s_delay_alu instid0(VALU_DEP_1) | instskip(NEXT) | instid1(VALU_DEP_1)
	v_div_fmas_f64 v[204:205], v[204:205], v[206:207], v[208:209]
	v_div_fixup_f64 v[204:205], v[204:205], v[200:201], v[202:203]
	s_delay_alu instid0(VALU_DEP_1) | instskip(NEXT) | instid1(VALU_DEP_1)
	v_fma_f64 v[200:201], v[202:203], v[204:205], v[200:201]
	v_div_scale_f64 v[202:203], null, v[200:201], v[200:201], 1.0
	s_delay_alu instid0(VALU_DEP_1) | instskip(SKIP_2) | instid1(VALU_DEP_1)
	v_rcp_f64_e32 v[206:207], v[202:203]
	s_waitcnt_depctr 0xfff
	v_fma_f64 v[208:209], -v[202:203], v[206:207], 1.0
	v_fma_f64 v[206:207], v[206:207], v[208:209], v[206:207]
	s_delay_alu instid0(VALU_DEP_1) | instskip(NEXT) | instid1(VALU_DEP_1)
	v_fma_f64 v[208:209], -v[202:203], v[206:207], 1.0
	v_fma_f64 v[206:207], v[206:207], v[208:209], v[206:207]
	v_div_scale_f64 v[208:209], vcc_lo, 1.0, v[200:201], 1.0
	s_delay_alu instid0(VALU_DEP_1) | instskip(NEXT) | instid1(VALU_DEP_1)
	v_mul_f64 v[210:211], v[208:209], v[206:207]
	v_fma_f64 v[202:203], -v[202:203], v[210:211], v[208:209]
	s_delay_alu instid0(VALU_DEP_1) | instskip(NEXT) | instid1(VALU_DEP_1)
	v_div_fmas_f64 v[202:203], v[202:203], v[206:207], v[210:211]
	v_div_fixup_f64 v[208:209], v[202:203], v[200:201], 1.0
	s_delay_alu instid0(VALU_DEP_1)
	v_mul_f64 v[206:207], v[204:205], -v[208:209]
.LBB99_295:
	s_or_b32 exec_lo, exec_lo, s3
	ds_store_2addr_b64 v235, v[208:209], v[206:207] offset1:1
.LBB99_296:
	s_or_b32 exec_lo, exec_lo, s4
	s_waitcnt lgkmcnt(0)
	s_barrier
	buffer_gl0_inv
	ds_load_2addr_b64 v[200:203], v235 offset1:1
	s_mov_b32 s3, exec_lo
	s_waitcnt lgkmcnt(0)
	scratch_store_b128 off, v[200:203], off offset:904 ; 16-byte Folded Spill
	v_cmpx_lt_u32_e32 32, v234
	s_cbranch_execz .LBB99_298
; %bb.297:
	scratch_load_b128 v[202:205], off, off offset:904 ; 16-byte Folded Reload
	s_waitcnt vmcnt(0)
	v_mul_f64 v[200:201], v[204:205], v[70:71]
	v_mul_f64 v[70:71], v[202:203], v[70:71]
	s_delay_alu instid0(VALU_DEP_2) | instskip(NEXT) | instid1(VALU_DEP_2)
	v_fma_f64 v[200:201], v[202:203], v[68:69], -v[200:201]
	v_fma_f64 v[70:71], v[204:205], v[68:69], v[70:71]
	ds_load_2addr_b64 v[202:205], v236 offset0:66 offset1:67
	s_waitcnt lgkmcnt(0)
	v_mul_f64 v[68:69], v[204:205], v[70:71]
	s_delay_alu instid0(VALU_DEP_1) | instskip(SKIP_1) | instid1(VALU_DEP_2)
	v_fma_f64 v[68:69], v[202:203], v[200:201], -v[68:69]
	v_mul_f64 v[202:203], v[202:203], v[70:71]
	v_add_f64 v[64:65], v[64:65], -v[68:69]
	s_delay_alu instid0(VALU_DEP_2) | instskip(NEXT) | instid1(VALU_DEP_1)
	v_fma_f64 v[202:203], v[204:205], v[200:201], v[202:203]
	v_add_f64 v[66:67], v[66:67], -v[202:203]
	ds_load_2addr_b64 v[202:205], v236 offset0:68 offset1:69
	s_waitcnt lgkmcnt(0)
	v_mul_f64 v[68:69], v[204:205], v[70:71]
	s_delay_alu instid0(VALU_DEP_1) | instskip(SKIP_1) | instid1(VALU_DEP_2)
	v_fma_f64 v[68:69], v[202:203], v[200:201], -v[68:69]
	v_mul_f64 v[202:203], v[202:203], v[70:71]
	v_add_f64 v[60:61], v[60:61], -v[68:69]
	s_delay_alu instid0(VALU_DEP_2) | instskip(NEXT) | instid1(VALU_DEP_1)
	v_fma_f64 v[202:203], v[204:205], v[200:201], v[202:203]
	v_add_f64 v[62:63], v[62:63], -v[202:203]
	;; [unrolled: 10-line block ×16, first 2 shown]
	ds_load_2addr_b64 v[202:205], v236 offset0:98 offset1:99
	s_waitcnt lgkmcnt(0)
	v_mul_f64 v[68:69], v[204:205], v[70:71]
	s_delay_alu instid0(VALU_DEP_1) | instskip(SKIP_1) | instid1(VALU_DEP_2)
	v_fma_f64 v[68:69], v[202:203], v[200:201], -v[68:69]
	v_mul_f64 v[202:203], v[202:203], v[70:71]
	v_add_f64 v[0:1], v[0:1], -v[68:69]
	s_delay_alu instid0(VALU_DEP_2) | instskip(SKIP_1) | instid1(VALU_DEP_2)
	v_fma_f64 v[202:203], v[204:205], v[200:201], v[202:203]
	v_dual_mov_b32 v68, v200 :: v_dual_mov_b32 v69, v201
	v_add_f64 v[2:3], v[2:3], -v[202:203]
.LBB99_298:
	s_or_b32 exec_lo, exec_lo, s3
	s_delay_alu instid0(SALU_CYCLE_1)
	s_mov_b32 s4, exec_lo
	s_waitcnt_vscnt null, 0x0
	s_barrier
	buffer_gl0_inv
	v_cmpx_eq_u32_e32 33, v234
	s_cbranch_execz .LBB99_305
; %bb.299:
	ds_store_2addr_b64 v235, v[64:65], v[66:67] offset1:1
	ds_store_2addr_b64 v236, v[60:61], v[62:63] offset0:68 offset1:69
	ds_store_2addr_b64 v236, v[56:57], v[58:59] offset0:70 offset1:71
	;; [unrolled: 1-line block ×16, first 2 shown]
	ds_load_2addr_b64 v[200:203], v235 offset1:1
	s_waitcnt lgkmcnt(0)
	v_cmp_neq_f64_e32 vcc_lo, 0, v[200:201]
	v_cmp_neq_f64_e64 s3, 0, v[202:203]
	s_delay_alu instid0(VALU_DEP_1) | instskip(NEXT) | instid1(SALU_CYCLE_1)
	s_or_b32 s3, vcc_lo, s3
	s_and_b32 exec_lo, exec_lo, s3
	s_cbranch_execz .LBB99_305
; %bb.300:
	v_cmp_gt_f64_e32 vcc_lo, 0, v[200:201]
	v_xor_b32_e32 v204, 0x80000000, v201
	v_xor_b32_e32 v206, 0x80000000, v203
	s_mov_b32 s3, exec_lo
                                        ; implicit-def: $vgpr208_vgpr209
	s_delay_alu instid0(VALU_DEP_2) | instskip(SKIP_4) | instid1(VALU_DEP_1)
	v_cndmask_b32_e32 v205, v201, v204, vcc_lo
	v_cndmask_b32_e32 v204, v200, v200, vcc_lo
	v_cmp_gt_f64_e32 vcc_lo, 0, v[202:203]
	v_cndmask_b32_e32 v207, v203, v206, vcc_lo
	v_cndmask_b32_e32 v206, v202, v202, vcc_lo
	v_cmpx_ngt_f64_e32 v[204:205], v[206:207]
	s_xor_b32 s3, exec_lo, s3
                                        ; implicit-def: $vgpr204_vgpr205_vgpr206_vgpr207
	s_cbranch_execz .LBB99_302
; %bb.301:
	v_div_scale_f64 v[204:205], null, v[202:203], v[202:203], v[200:201]
	v_div_scale_f64 v[210:211], vcc_lo, v[200:201], v[202:203], v[200:201]
	s_delay_alu instid0(VALU_DEP_2) | instskip(SKIP_2) | instid1(VALU_DEP_1)
	v_rcp_f64_e32 v[206:207], v[204:205]
	s_waitcnt_depctr 0xfff
	v_fma_f64 v[208:209], -v[204:205], v[206:207], 1.0
	v_fma_f64 v[206:207], v[206:207], v[208:209], v[206:207]
	s_delay_alu instid0(VALU_DEP_1) | instskip(NEXT) | instid1(VALU_DEP_1)
	v_fma_f64 v[208:209], -v[204:205], v[206:207], 1.0
	v_fma_f64 v[206:207], v[206:207], v[208:209], v[206:207]
	s_delay_alu instid0(VALU_DEP_1) | instskip(NEXT) | instid1(VALU_DEP_1)
	v_mul_f64 v[208:209], v[210:211], v[206:207]
	v_fma_f64 v[204:205], -v[204:205], v[208:209], v[210:211]
	s_delay_alu instid0(VALU_DEP_1) | instskip(NEXT) | instid1(VALU_DEP_1)
	v_div_fmas_f64 v[204:205], v[204:205], v[206:207], v[208:209]
	v_div_fixup_f64 v[204:205], v[204:205], v[202:203], v[200:201]
	s_delay_alu instid0(VALU_DEP_1) | instskip(NEXT) | instid1(VALU_DEP_1)
	v_fma_f64 v[200:201], v[200:201], v[204:205], v[202:203]
	v_div_scale_f64 v[202:203], null, v[200:201], v[200:201], 1.0
	s_delay_alu instid0(VALU_DEP_1) | instskip(SKIP_2) | instid1(VALU_DEP_1)
	v_rcp_f64_e32 v[206:207], v[202:203]
	s_waitcnt_depctr 0xfff
	v_fma_f64 v[208:209], -v[202:203], v[206:207], 1.0
	v_fma_f64 v[206:207], v[206:207], v[208:209], v[206:207]
	s_delay_alu instid0(VALU_DEP_1) | instskip(NEXT) | instid1(VALU_DEP_1)
	v_fma_f64 v[208:209], -v[202:203], v[206:207], 1.0
	v_fma_f64 v[206:207], v[206:207], v[208:209], v[206:207]
	v_div_scale_f64 v[208:209], vcc_lo, 1.0, v[200:201], 1.0
	s_delay_alu instid0(VALU_DEP_1) | instskip(NEXT) | instid1(VALU_DEP_1)
	v_mul_f64 v[210:211], v[208:209], v[206:207]
	v_fma_f64 v[202:203], -v[202:203], v[210:211], v[208:209]
	s_delay_alu instid0(VALU_DEP_1) | instskip(NEXT) | instid1(VALU_DEP_1)
	v_div_fmas_f64 v[202:203], v[202:203], v[206:207], v[210:211]
	v_div_fixup_f64 v[206:207], v[202:203], v[200:201], 1.0
                                        ; implicit-def: $vgpr200_vgpr201
	s_delay_alu instid0(VALU_DEP_1)
	v_mul_f64 v[208:209], v[204:205], v[206:207]
	v_xor_b32_e32 v207, 0x80000000, v207
.LBB99_302:
	s_and_not1_saveexec_b32 s3, s3
	s_cbranch_execz .LBB99_304
; %bb.303:
	v_div_scale_f64 v[204:205], null, v[200:201], v[200:201], v[202:203]
	v_div_scale_f64 v[210:211], vcc_lo, v[202:203], v[200:201], v[202:203]
	s_delay_alu instid0(VALU_DEP_2) | instskip(SKIP_2) | instid1(VALU_DEP_1)
	v_rcp_f64_e32 v[206:207], v[204:205]
	s_waitcnt_depctr 0xfff
	v_fma_f64 v[208:209], -v[204:205], v[206:207], 1.0
	v_fma_f64 v[206:207], v[206:207], v[208:209], v[206:207]
	s_delay_alu instid0(VALU_DEP_1) | instskip(NEXT) | instid1(VALU_DEP_1)
	v_fma_f64 v[208:209], -v[204:205], v[206:207], 1.0
	v_fma_f64 v[206:207], v[206:207], v[208:209], v[206:207]
	s_delay_alu instid0(VALU_DEP_1) | instskip(NEXT) | instid1(VALU_DEP_1)
	v_mul_f64 v[208:209], v[210:211], v[206:207]
	v_fma_f64 v[204:205], -v[204:205], v[208:209], v[210:211]
	s_delay_alu instid0(VALU_DEP_1) | instskip(NEXT) | instid1(VALU_DEP_1)
	v_div_fmas_f64 v[204:205], v[204:205], v[206:207], v[208:209]
	v_div_fixup_f64 v[204:205], v[204:205], v[200:201], v[202:203]
	s_delay_alu instid0(VALU_DEP_1) | instskip(NEXT) | instid1(VALU_DEP_1)
	v_fma_f64 v[200:201], v[202:203], v[204:205], v[200:201]
	v_div_scale_f64 v[202:203], null, v[200:201], v[200:201], 1.0
	s_delay_alu instid0(VALU_DEP_1) | instskip(SKIP_2) | instid1(VALU_DEP_1)
	v_rcp_f64_e32 v[206:207], v[202:203]
	s_waitcnt_depctr 0xfff
	v_fma_f64 v[208:209], -v[202:203], v[206:207], 1.0
	v_fma_f64 v[206:207], v[206:207], v[208:209], v[206:207]
	s_delay_alu instid0(VALU_DEP_1) | instskip(NEXT) | instid1(VALU_DEP_1)
	v_fma_f64 v[208:209], -v[202:203], v[206:207], 1.0
	v_fma_f64 v[206:207], v[206:207], v[208:209], v[206:207]
	v_div_scale_f64 v[208:209], vcc_lo, 1.0, v[200:201], 1.0
	s_delay_alu instid0(VALU_DEP_1) | instskip(NEXT) | instid1(VALU_DEP_1)
	v_mul_f64 v[210:211], v[208:209], v[206:207]
	v_fma_f64 v[202:203], -v[202:203], v[210:211], v[208:209]
	s_delay_alu instid0(VALU_DEP_1) | instskip(NEXT) | instid1(VALU_DEP_1)
	v_div_fmas_f64 v[202:203], v[202:203], v[206:207], v[210:211]
	v_div_fixup_f64 v[208:209], v[202:203], v[200:201], 1.0
	s_delay_alu instid0(VALU_DEP_1)
	v_mul_f64 v[206:207], v[204:205], -v[208:209]
.LBB99_304:
	s_or_b32 exec_lo, exec_lo, s3
	ds_store_2addr_b64 v235, v[208:209], v[206:207] offset1:1
.LBB99_305:
	s_or_b32 exec_lo, exec_lo, s4
	s_waitcnt lgkmcnt(0)
	s_barrier
	buffer_gl0_inv
	ds_load_2addr_b64 v[200:203], v235 offset1:1
	s_mov_b32 s3, exec_lo
	s_waitcnt lgkmcnt(0)
	scratch_store_b128 off, v[200:203], off offset:920 ; 16-byte Folded Spill
	v_cmpx_lt_u32_e32 33, v234
	s_cbranch_execz .LBB99_307
; %bb.306:
	scratch_load_b128 v[202:205], off, off offset:920 ; 16-byte Folded Reload
	s_waitcnt vmcnt(0)
	v_mul_f64 v[200:201], v[202:203], v[66:67]
	v_mul_f64 v[66:67], v[204:205], v[66:67]
	s_delay_alu instid0(VALU_DEP_2) | instskip(NEXT) | instid1(VALU_DEP_2)
	v_fma_f64 v[200:201], v[204:205], v[64:65], v[200:201]
	v_fma_f64 v[64:65], v[202:203], v[64:65], -v[66:67]
	ds_load_2addr_b64 v[202:205], v236 offset0:68 offset1:69
	s_waitcnt lgkmcnt(0)
	v_mul_f64 v[66:67], v[204:205], v[200:201]
	s_delay_alu instid0(VALU_DEP_1) | instskip(SKIP_1) | instid1(VALU_DEP_2)
	v_fma_f64 v[66:67], v[202:203], v[64:65], -v[66:67]
	v_mul_f64 v[202:203], v[202:203], v[200:201]
	v_add_f64 v[60:61], v[60:61], -v[66:67]
	s_delay_alu instid0(VALU_DEP_2) | instskip(NEXT) | instid1(VALU_DEP_1)
	v_fma_f64 v[202:203], v[204:205], v[64:65], v[202:203]
	v_add_f64 v[62:63], v[62:63], -v[202:203]
	ds_load_2addr_b64 v[202:205], v236 offset0:70 offset1:71
	s_waitcnt lgkmcnt(0)
	v_mul_f64 v[66:67], v[204:205], v[200:201]
	s_delay_alu instid0(VALU_DEP_1) | instskip(SKIP_1) | instid1(VALU_DEP_2)
	v_fma_f64 v[66:67], v[202:203], v[64:65], -v[66:67]
	v_mul_f64 v[202:203], v[202:203], v[200:201]
	v_add_f64 v[56:57], v[56:57], -v[66:67]
	s_delay_alu instid0(VALU_DEP_2) | instskip(NEXT) | instid1(VALU_DEP_1)
	v_fma_f64 v[202:203], v[204:205], v[64:65], v[202:203]
	v_add_f64 v[58:59], v[58:59], -v[202:203]
	;; [unrolled: 10-line block ×15, first 2 shown]
	ds_load_2addr_b64 v[202:205], v236 offset0:98 offset1:99
	s_waitcnt lgkmcnt(0)
	v_mul_f64 v[66:67], v[204:205], v[200:201]
	s_delay_alu instid0(VALU_DEP_1) | instskip(SKIP_1) | instid1(VALU_DEP_2)
	v_fma_f64 v[66:67], v[202:203], v[64:65], -v[66:67]
	v_mul_f64 v[202:203], v[202:203], v[200:201]
	v_add_f64 v[0:1], v[0:1], -v[66:67]
	s_delay_alu instid0(VALU_DEP_2) | instskip(SKIP_1) | instid1(VALU_DEP_2)
	v_fma_f64 v[202:203], v[204:205], v[64:65], v[202:203]
	v_dual_mov_b32 v66, v200 :: v_dual_mov_b32 v67, v201
	v_add_f64 v[2:3], v[2:3], -v[202:203]
.LBB99_307:
	s_or_b32 exec_lo, exec_lo, s3
	s_delay_alu instid0(SALU_CYCLE_1)
	s_mov_b32 s4, exec_lo
	s_waitcnt_vscnt null, 0x0
	s_barrier
	buffer_gl0_inv
	v_cmpx_eq_u32_e32 34, v234
	s_cbranch_execz .LBB99_314
; %bb.308:
	ds_store_2addr_b64 v235, v[60:61], v[62:63] offset1:1
	ds_store_2addr_b64 v236, v[56:57], v[58:59] offset0:70 offset1:71
	ds_store_2addr_b64 v236, v[52:53], v[54:55] offset0:72 offset1:73
	;; [unrolled: 1-line block ×15, first 2 shown]
	ds_load_2addr_b64 v[200:203], v235 offset1:1
	s_waitcnt lgkmcnt(0)
	v_cmp_neq_f64_e32 vcc_lo, 0, v[200:201]
	v_cmp_neq_f64_e64 s3, 0, v[202:203]
	s_delay_alu instid0(VALU_DEP_1) | instskip(NEXT) | instid1(SALU_CYCLE_1)
	s_or_b32 s3, vcc_lo, s3
	s_and_b32 exec_lo, exec_lo, s3
	s_cbranch_execz .LBB99_314
; %bb.309:
	v_cmp_gt_f64_e32 vcc_lo, 0, v[200:201]
	v_xor_b32_e32 v204, 0x80000000, v201
	v_xor_b32_e32 v206, 0x80000000, v203
	s_mov_b32 s3, exec_lo
                                        ; implicit-def: $vgpr208_vgpr209
	s_delay_alu instid0(VALU_DEP_2) | instskip(SKIP_4) | instid1(VALU_DEP_1)
	v_cndmask_b32_e32 v205, v201, v204, vcc_lo
	v_cndmask_b32_e32 v204, v200, v200, vcc_lo
	v_cmp_gt_f64_e32 vcc_lo, 0, v[202:203]
	v_cndmask_b32_e32 v207, v203, v206, vcc_lo
	v_cndmask_b32_e32 v206, v202, v202, vcc_lo
	v_cmpx_ngt_f64_e32 v[204:205], v[206:207]
	s_xor_b32 s3, exec_lo, s3
                                        ; implicit-def: $vgpr204_vgpr205_vgpr206_vgpr207
	s_cbranch_execz .LBB99_311
; %bb.310:
	v_div_scale_f64 v[204:205], null, v[202:203], v[202:203], v[200:201]
	v_div_scale_f64 v[210:211], vcc_lo, v[200:201], v[202:203], v[200:201]
	s_delay_alu instid0(VALU_DEP_2) | instskip(SKIP_2) | instid1(VALU_DEP_1)
	v_rcp_f64_e32 v[206:207], v[204:205]
	s_waitcnt_depctr 0xfff
	v_fma_f64 v[208:209], -v[204:205], v[206:207], 1.0
	v_fma_f64 v[206:207], v[206:207], v[208:209], v[206:207]
	s_delay_alu instid0(VALU_DEP_1) | instskip(NEXT) | instid1(VALU_DEP_1)
	v_fma_f64 v[208:209], -v[204:205], v[206:207], 1.0
	v_fma_f64 v[206:207], v[206:207], v[208:209], v[206:207]
	s_delay_alu instid0(VALU_DEP_1) | instskip(NEXT) | instid1(VALU_DEP_1)
	v_mul_f64 v[208:209], v[210:211], v[206:207]
	v_fma_f64 v[204:205], -v[204:205], v[208:209], v[210:211]
	s_delay_alu instid0(VALU_DEP_1) | instskip(NEXT) | instid1(VALU_DEP_1)
	v_div_fmas_f64 v[204:205], v[204:205], v[206:207], v[208:209]
	v_div_fixup_f64 v[204:205], v[204:205], v[202:203], v[200:201]
	s_delay_alu instid0(VALU_DEP_1) | instskip(NEXT) | instid1(VALU_DEP_1)
	v_fma_f64 v[200:201], v[200:201], v[204:205], v[202:203]
	v_div_scale_f64 v[202:203], null, v[200:201], v[200:201], 1.0
	s_delay_alu instid0(VALU_DEP_1) | instskip(SKIP_2) | instid1(VALU_DEP_1)
	v_rcp_f64_e32 v[206:207], v[202:203]
	s_waitcnt_depctr 0xfff
	v_fma_f64 v[208:209], -v[202:203], v[206:207], 1.0
	v_fma_f64 v[206:207], v[206:207], v[208:209], v[206:207]
	s_delay_alu instid0(VALU_DEP_1) | instskip(NEXT) | instid1(VALU_DEP_1)
	v_fma_f64 v[208:209], -v[202:203], v[206:207], 1.0
	v_fma_f64 v[206:207], v[206:207], v[208:209], v[206:207]
	v_div_scale_f64 v[208:209], vcc_lo, 1.0, v[200:201], 1.0
	s_delay_alu instid0(VALU_DEP_1) | instskip(NEXT) | instid1(VALU_DEP_1)
	v_mul_f64 v[210:211], v[208:209], v[206:207]
	v_fma_f64 v[202:203], -v[202:203], v[210:211], v[208:209]
	s_delay_alu instid0(VALU_DEP_1) | instskip(NEXT) | instid1(VALU_DEP_1)
	v_div_fmas_f64 v[202:203], v[202:203], v[206:207], v[210:211]
	v_div_fixup_f64 v[206:207], v[202:203], v[200:201], 1.0
                                        ; implicit-def: $vgpr200_vgpr201
	s_delay_alu instid0(VALU_DEP_1)
	v_mul_f64 v[208:209], v[204:205], v[206:207]
	v_xor_b32_e32 v207, 0x80000000, v207
.LBB99_311:
	s_and_not1_saveexec_b32 s3, s3
	s_cbranch_execz .LBB99_313
; %bb.312:
	v_div_scale_f64 v[204:205], null, v[200:201], v[200:201], v[202:203]
	v_div_scale_f64 v[210:211], vcc_lo, v[202:203], v[200:201], v[202:203]
	s_delay_alu instid0(VALU_DEP_2) | instskip(SKIP_2) | instid1(VALU_DEP_1)
	v_rcp_f64_e32 v[206:207], v[204:205]
	s_waitcnt_depctr 0xfff
	v_fma_f64 v[208:209], -v[204:205], v[206:207], 1.0
	v_fma_f64 v[206:207], v[206:207], v[208:209], v[206:207]
	s_delay_alu instid0(VALU_DEP_1) | instskip(NEXT) | instid1(VALU_DEP_1)
	v_fma_f64 v[208:209], -v[204:205], v[206:207], 1.0
	v_fma_f64 v[206:207], v[206:207], v[208:209], v[206:207]
	s_delay_alu instid0(VALU_DEP_1) | instskip(NEXT) | instid1(VALU_DEP_1)
	v_mul_f64 v[208:209], v[210:211], v[206:207]
	v_fma_f64 v[204:205], -v[204:205], v[208:209], v[210:211]
	s_delay_alu instid0(VALU_DEP_1) | instskip(NEXT) | instid1(VALU_DEP_1)
	v_div_fmas_f64 v[204:205], v[204:205], v[206:207], v[208:209]
	v_div_fixup_f64 v[204:205], v[204:205], v[200:201], v[202:203]
	s_delay_alu instid0(VALU_DEP_1) | instskip(NEXT) | instid1(VALU_DEP_1)
	v_fma_f64 v[200:201], v[202:203], v[204:205], v[200:201]
	v_div_scale_f64 v[202:203], null, v[200:201], v[200:201], 1.0
	s_delay_alu instid0(VALU_DEP_1) | instskip(SKIP_2) | instid1(VALU_DEP_1)
	v_rcp_f64_e32 v[206:207], v[202:203]
	s_waitcnt_depctr 0xfff
	v_fma_f64 v[208:209], -v[202:203], v[206:207], 1.0
	v_fma_f64 v[206:207], v[206:207], v[208:209], v[206:207]
	s_delay_alu instid0(VALU_DEP_1) | instskip(NEXT) | instid1(VALU_DEP_1)
	v_fma_f64 v[208:209], -v[202:203], v[206:207], 1.0
	v_fma_f64 v[206:207], v[206:207], v[208:209], v[206:207]
	v_div_scale_f64 v[208:209], vcc_lo, 1.0, v[200:201], 1.0
	s_delay_alu instid0(VALU_DEP_1) | instskip(NEXT) | instid1(VALU_DEP_1)
	v_mul_f64 v[210:211], v[208:209], v[206:207]
	v_fma_f64 v[202:203], -v[202:203], v[210:211], v[208:209]
	s_delay_alu instid0(VALU_DEP_1) | instskip(NEXT) | instid1(VALU_DEP_1)
	v_div_fmas_f64 v[202:203], v[202:203], v[206:207], v[210:211]
	v_div_fixup_f64 v[208:209], v[202:203], v[200:201], 1.0
	s_delay_alu instid0(VALU_DEP_1)
	v_mul_f64 v[206:207], v[204:205], -v[208:209]
.LBB99_313:
	s_or_b32 exec_lo, exec_lo, s3
	ds_store_2addr_b64 v235, v[208:209], v[206:207] offset1:1
.LBB99_314:
	s_or_b32 exec_lo, exec_lo, s4
	s_waitcnt lgkmcnt(0)
	s_barrier
	buffer_gl0_inv
	ds_load_2addr_b64 v[200:203], v235 offset1:1
	s_mov_b32 s3, exec_lo
	s_waitcnt lgkmcnt(0)
	scratch_store_b128 off, v[200:203], off offset:936 ; 16-byte Folded Spill
	v_cmpx_lt_u32_e32 34, v234
	s_cbranch_execz .LBB99_316
; %bb.315:
	scratch_load_b128 v[202:205], off, off offset:936 ; 16-byte Folded Reload
	s_waitcnt vmcnt(0)
	v_mul_f64 v[200:201], v[202:203], v[62:63]
	v_mul_f64 v[62:63], v[204:205], v[62:63]
	s_delay_alu instid0(VALU_DEP_2) | instskip(NEXT) | instid1(VALU_DEP_2)
	v_fma_f64 v[200:201], v[204:205], v[60:61], v[200:201]
	v_fma_f64 v[60:61], v[202:203], v[60:61], -v[62:63]
	ds_load_2addr_b64 v[202:205], v236 offset0:70 offset1:71
	s_waitcnt lgkmcnt(0)
	v_mul_f64 v[62:63], v[204:205], v[200:201]
	s_delay_alu instid0(VALU_DEP_1) | instskip(SKIP_1) | instid1(VALU_DEP_2)
	v_fma_f64 v[62:63], v[202:203], v[60:61], -v[62:63]
	v_mul_f64 v[202:203], v[202:203], v[200:201]
	v_add_f64 v[56:57], v[56:57], -v[62:63]
	s_delay_alu instid0(VALU_DEP_2) | instskip(NEXT) | instid1(VALU_DEP_1)
	v_fma_f64 v[202:203], v[204:205], v[60:61], v[202:203]
	v_add_f64 v[58:59], v[58:59], -v[202:203]
	ds_load_2addr_b64 v[202:205], v236 offset0:72 offset1:73
	s_waitcnt lgkmcnt(0)
	v_mul_f64 v[62:63], v[204:205], v[200:201]
	s_delay_alu instid0(VALU_DEP_1) | instskip(SKIP_1) | instid1(VALU_DEP_2)
	v_fma_f64 v[62:63], v[202:203], v[60:61], -v[62:63]
	v_mul_f64 v[202:203], v[202:203], v[200:201]
	v_add_f64 v[52:53], v[52:53], -v[62:63]
	s_delay_alu instid0(VALU_DEP_2) | instskip(NEXT) | instid1(VALU_DEP_1)
	v_fma_f64 v[202:203], v[204:205], v[60:61], v[202:203]
	v_add_f64 v[54:55], v[54:55], -v[202:203]
	;; [unrolled: 10-line block ×14, first 2 shown]
	ds_load_2addr_b64 v[202:205], v236 offset0:98 offset1:99
	s_waitcnt lgkmcnt(0)
	v_mul_f64 v[62:63], v[204:205], v[200:201]
	s_delay_alu instid0(VALU_DEP_1) | instskip(SKIP_1) | instid1(VALU_DEP_2)
	v_fma_f64 v[62:63], v[202:203], v[60:61], -v[62:63]
	v_mul_f64 v[202:203], v[202:203], v[200:201]
	v_add_f64 v[0:1], v[0:1], -v[62:63]
	s_delay_alu instid0(VALU_DEP_2) | instskip(SKIP_1) | instid1(VALU_DEP_2)
	v_fma_f64 v[202:203], v[204:205], v[60:61], v[202:203]
	v_dual_mov_b32 v62, v200 :: v_dual_mov_b32 v63, v201
	v_add_f64 v[2:3], v[2:3], -v[202:203]
.LBB99_316:
	s_or_b32 exec_lo, exec_lo, s3
	s_delay_alu instid0(SALU_CYCLE_1)
	s_mov_b32 s4, exec_lo
	s_waitcnt_vscnt null, 0x0
	s_barrier
	buffer_gl0_inv
	v_cmpx_eq_u32_e32 35, v234
	s_cbranch_execz .LBB99_323
; %bb.317:
	ds_store_2addr_b64 v235, v[56:57], v[58:59] offset1:1
	ds_store_2addr_b64 v236, v[52:53], v[54:55] offset0:72 offset1:73
	ds_store_2addr_b64 v236, v[48:49], v[50:51] offset0:74 offset1:75
	;; [unrolled: 1-line block ×14, first 2 shown]
	ds_load_2addr_b64 v[200:203], v235 offset1:1
	s_waitcnt lgkmcnt(0)
	v_cmp_neq_f64_e32 vcc_lo, 0, v[200:201]
	v_cmp_neq_f64_e64 s3, 0, v[202:203]
	s_delay_alu instid0(VALU_DEP_1) | instskip(NEXT) | instid1(SALU_CYCLE_1)
	s_or_b32 s3, vcc_lo, s3
	s_and_b32 exec_lo, exec_lo, s3
	s_cbranch_execz .LBB99_323
; %bb.318:
	v_cmp_gt_f64_e32 vcc_lo, 0, v[200:201]
	v_xor_b32_e32 v204, 0x80000000, v201
	v_xor_b32_e32 v206, 0x80000000, v203
	s_mov_b32 s3, exec_lo
                                        ; implicit-def: $vgpr208_vgpr209
	s_delay_alu instid0(VALU_DEP_2) | instskip(SKIP_4) | instid1(VALU_DEP_1)
	v_cndmask_b32_e32 v205, v201, v204, vcc_lo
	v_cndmask_b32_e32 v204, v200, v200, vcc_lo
	v_cmp_gt_f64_e32 vcc_lo, 0, v[202:203]
	v_cndmask_b32_e32 v207, v203, v206, vcc_lo
	v_cndmask_b32_e32 v206, v202, v202, vcc_lo
	v_cmpx_ngt_f64_e32 v[204:205], v[206:207]
	s_xor_b32 s3, exec_lo, s3
                                        ; implicit-def: $vgpr204_vgpr205_vgpr206_vgpr207
	s_cbranch_execz .LBB99_320
; %bb.319:
	v_div_scale_f64 v[204:205], null, v[202:203], v[202:203], v[200:201]
	v_div_scale_f64 v[210:211], vcc_lo, v[200:201], v[202:203], v[200:201]
	s_delay_alu instid0(VALU_DEP_2) | instskip(SKIP_2) | instid1(VALU_DEP_1)
	v_rcp_f64_e32 v[206:207], v[204:205]
	s_waitcnt_depctr 0xfff
	v_fma_f64 v[208:209], -v[204:205], v[206:207], 1.0
	v_fma_f64 v[206:207], v[206:207], v[208:209], v[206:207]
	s_delay_alu instid0(VALU_DEP_1) | instskip(NEXT) | instid1(VALU_DEP_1)
	v_fma_f64 v[208:209], -v[204:205], v[206:207], 1.0
	v_fma_f64 v[206:207], v[206:207], v[208:209], v[206:207]
	s_delay_alu instid0(VALU_DEP_1) | instskip(NEXT) | instid1(VALU_DEP_1)
	v_mul_f64 v[208:209], v[210:211], v[206:207]
	v_fma_f64 v[204:205], -v[204:205], v[208:209], v[210:211]
	s_delay_alu instid0(VALU_DEP_1) | instskip(NEXT) | instid1(VALU_DEP_1)
	v_div_fmas_f64 v[204:205], v[204:205], v[206:207], v[208:209]
	v_div_fixup_f64 v[204:205], v[204:205], v[202:203], v[200:201]
	s_delay_alu instid0(VALU_DEP_1) | instskip(NEXT) | instid1(VALU_DEP_1)
	v_fma_f64 v[200:201], v[200:201], v[204:205], v[202:203]
	v_div_scale_f64 v[202:203], null, v[200:201], v[200:201], 1.0
	s_delay_alu instid0(VALU_DEP_1) | instskip(SKIP_2) | instid1(VALU_DEP_1)
	v_rcp_f64_e32 v[206:207], v[202:203]
	s_waitcnt_depctr 0xfff
	v_fma_f64 v[208:209], -v[202:203], v[206:207], 1.0
	v_fma_f64 v[206:207], v[206:207], v[208:209], v[206:207]
	s_delay_alu instid0(VALU_DEP_1) | instskip(NEXT) | instid1(VALU_DEP_1)
	v_fma_f64 v[208:209], -v[202:203], v[206:207], 1.0
	v_fma_f64 v[206:207], v[206:207], v[208:209], v[206:207]
	v_div_scale_f64 v[208:209], vcc_lo, 1.0, v[200:201], 1.0
	s_delay_alu instid0(VALU_DEP_1) | instskip(NEXT) | instid1(VALU_DEP_1)
	v_mul_f64 v[210:211], v[208:209], v[206:207]
	v_fma_f64 v[202:203], -v[202:203], v[210:211], v[208:209]
	s_delay_alu instid0(VALU_DEP_1) | instskip(NEXT) | instid1(VALU_DEP_1)
	v_div_fmas_f64 v[202:203], v[202:203], v[206:207], v[210:211]
	v_div_fixup_f64 v[206:207], v[202:203], v[200:201], 1.0
                                        ; implicit-def: $vgpr200_vgpr201
	s_delay_alu instid0(VALU_DEP_1)
	v_mul_f64 v[208:209], v[204:205], v[206:207]
	v_xor_b32_e32 v207, 0x80000000, v207
.LBB99_320:
	s_and_not1_saveexec_b32 s3, s3
	s_cbranch_execz .LBB99_322
; %bb.321:
	v_div_scale_f64 v[204:205], null, v[200:201], v[200:201], v[202:203]
	v_div_scale_f64 v[210:211], vcc_lo, v[202:203], v[200:201], v[202:203]
	s_delay_alu instid0(VALU_DEP_2) | instskip(SKIP_2) | instid1(VALU_DEP_1)
	v_rcp_f64_e32 v[206:207], v[204:205]
	s_waitcnt_depctr 0xfff
	v_fma_f64 v[208:209], -v[204:205], v[206:207], 1.0
	v_fma_f64 v[206:207], v[206:207], v[208:209], v[206:207]
	s_delay_alu instid0(VALU_DEP_1) | instskip(NEXT) | instid1(VALU_DEP_1)
	v_fma_f64 v[208:209], -v[204:205], v[206:207], 1.0
	v_fma_f64 v[206:207], v[206:207], v[208:209], v[206:207]
	s_delay_alu instid0(VALU_DEP_1) | instskip(NEXT) | instid1(VALU_DEP_1)
	v_mul_f64 v[208:209], v[210:211], v[206:207]
	v_fma_f64 v[204:205], -v[204:205], v[208:209], v[210:211]
	s_delay_alu instid0(VALU_DEP_1) | instskip(NEXT) | instid1(VALU_DEP_1)
	v_div_fmas_f64 v[204:205], v[204:205], v[206:207], v[208:209]
	v_div_fixup_f64 v[204:205], v[204:205], v[200:201], v[202:203]
	s_delay_alu instid0(VALU_DEP_1) | instskip(NEXT) | instid1(VALU_DEP_1)
	v_fma_f64 v[200:201], v[202:203], v[204:205], v[200:201]
	v_div_scale_f64 v[202:203], null, v[200:201], v[200:201], 1.0
	s_delay_alu instid0(VALU_DEP_1) | instskip(SKIP_2) | instid1(VALU_DEP_1)
	v_rcp_f64_e32 v[206:207], v[202:203]
	s_waitcnt_depctr 0xfff
	v_fma_f64 v[208:209], -v[202:203], v[206:207], 1.0
	v_fma_f64 v[206:207], v[206:207], v[208:209], v[206:207]
	s_delay_alu instid0(VALU_DEP_1) | instskip(NEXT) | instid1(VALU_DEP_1)
	v_fma_f64 v[208:209], -v[202:203], v[206:207], 1.0
	v_fma_f64 v[206:207], v[206:207], v[208:209], v[206:207]
	v_div_scale_f64 v[208:209], vcc_lo, 1.0, v[200:201], 1.0
	s_delay_alu instid0(VALU_DEP_1) | instskip(NEXT) | instid1(VALU_DEP_1)
	v_mul_f64 v[210:211], v[208:209], v[206:207]
	v_fma_f64 v[202:203], -v[202:203], v[210:211], v[208:209]
	s_delay_alu instid0(VALU_DEP_1) | instskip(NEXT) | instid1(VALU_DEP_1)
	v_div_fmas_f64 v[202:203], v[202:203], v[206:207], v[210:211]
	v_div_fixup_f64 v[208:209], v[202:203], v[200:201], 1.0
	s_delay_alu instid0(VALU_DEP_1)
	v_mul_f64 v[206:207], v[204:205], -v[208:209]
.LBB99_322:
	s_or_b32 exec_lo, exec_lo, s3
	ds_store_2addr_b64 v235, v[208:209], v[206:207] offset1:1
.LBB99_323:
	s_or_b32 exec_lo, exec_lo, s4
	s_waitcnt lgkmcnt(0)
	s_barrier
	buffer_gl0_inv
	ds_load_2addr_b64 v[200:203], v235 offset1:1
	s_mov_b32 s3, exec_lo
	s_waitcnt lgkmcnt(0)
	scratch_store_b128 off, v[200:203], off offset:952 ; 16-byte Folded Spill
	v_cmpx_lt_u32_e32 35, v234
	s_cbranch_execz .LBB99_325
; %bb.324:
	scratch_load_b128 v[202:205], off, off offset:952 ; 16-byte Folded Reload
	s_waitcnt vmcnt(0)
	v_mul_f64 v[200:201], v[202:203], v[58:59]
	v_mul_f64 v[58:59], v[204:205], v[58:59]
	s_delay_alu instid0(VALU_DEP_2) | instskip(NEXT) | instid1(VALU_DEP_2)
	v_fma_f64 v[200:201], v[204:205], v[56:57], v[200:201]
	v_fma_f64 v[56:57], v[202:203], v[56:57], -v[58:59]
	ds_load_2addr_b64 v[202:205], v236 offset0:72 offset1:73
	s_waitcnt lgkmcnt(0)
	v_mul_f64 v[58:59], v[204:205], v[200:201]
	s_delay_alu instid0(VALU_DEP_1) | instskip(SKIP_1) | instid1(VALU_DEP_2)
	v_fma_f64 v[58:59], v[202:203], v[56:57], -v[58:59]
	v_mul_f64 v[202:203], v[202:203], v[200:201]
	v_add_f64 v[52:53], v[52:53], -v[58:59]
	s_delay_alu instid0(VALU_DEP_2) | instskip(NEXT) | instid1(VALU_DEP_1)
	v_fma_f64 v[202:203], v[204:205], v[56:57], v[202:203]
	v_add_f64 v[54:55], v[54:55], -v[202:203]
	ds_load_2addr_b64 v[202:205], v236 offset0:74 offset1:75
	s_waitcnt lgkmcnt(0)
	v_mul_f64 v[58:59], v[204:205], v[200:201]
	s_delay_alu instid0(VALU_DEP_1) | instskip(SKIP_1) | instid1(VALU_DEP_2)
	v_fma_f64 v[58:59], v[202:203], v[56:57], -v[58:59]
	v_mul_f64 v[202:203], v[202:203], v[200:201]
	v_add_f64 v[48:49], v[48:49], -v[58:59]
	s_delay_alu instid0(VALU_DEP_2) | instskip(NEXT) | instid1(VALU_DEP_1)
	v_fma_f64 v[202:203], v[204:205], v[56:57], v[202:203]
	v_add_f64 v[50:51], v[50:51], -v[202:203]
	;; [unrolled: 10-line block ×13, first 2 shown]
	ds_load_2addr_b64 v[202:205], v236 offset0:98 offset1:99
	s_waitcnt lgkmcnt(0)
	v_mul_f64 v[58:59], v[204:205], v[200:201]
	s_delay_alu instid0(VALU_DEP_1) | instskip(SKIP_1) | instid1(VALU_DEP_2)
	v_fma_f64 v[58:59], v[202:203], v[56:57], -v[58:59]
	v_mul_f64 v[202:203], v[202:203], v[200:201]
	v_add_f64 v[0:1], v[0:1], -v[58:59]
	s_delay_alu instid0(VALU_DEP_2) | instskip(SKIP_1) | instid1(VALU_DEP_2)
	v_fma_f64 v[202:203], v[204:205], v[56:57], v[202:203]
	v_dual_mov_b32 v58, v200 :: v_dual_mov_b32 v59, v201
	v_add_f64 v[2:3], v[2:3], -v[202:203]
.LBB99_325:
	s_or_b32 exec_lo, exec_lo, s3
	s_delay_alu instid0(SALU_CYCLE_1)
	s_mov_b32 s4, exec_lo
	s_waitcnt_vscnt null, 0x0
	s_barrier
	buffer_gl0_inv
	v_cmpx_eq_u32_e32 36, v234
	s_cbranch_execz .LBB99_332
; %bb.326:
	ds_store_2addr_b64 v235, v[52:53], v[54:55] offset1:1
	ds_store_2addr_b64 v236, v[48:49], v[50:51] offset0:74 offset1:75
	ds_store_2addr_b64 v236, v[44:45], v[46:47] offset0:76 offset1:77
	ds_store_2addr_b64 v236, v[40:41], v[42:43] offset0:78 offset1:79
	ds_store_2addr_b64 v236, v[36:37], v[38:39] offset0:80 offset1:81
	ds_store_2addr_b64 v236, v[32:33], v[34:35] offset0:82 offset1:83
	ds_store_2addr_b64 v236, v[28:29], v[30:31] offset0:84 offset1:85
	ds_store_2addr_b64 v236, v[24:25], v[26:27] offset0:86 offset1:87
	ds_store_2addr_b64 v236, v[20:21], v[22:23] offset0:88 offset1:89
	ds_store_2addr_b64 v236, v[16:17], v[18:19] offset0:90 offset1:91
	ds_store_2addr_b64 v236, v[12:13], v[14:15] offset0:92 offset1:93
	ds_store_2addr_b64 v236, v[8:9], v[10:11] offset0:94 offset1:95
	ds_store_2addr_b64 v236, v[4:5], v[6:7] offset0:96 offset1:97
	ds_store_2addr_b64 v236, v[0:1], v[2:3] offset0:98 offset1:99
	ds_load_2addr_b64 v[200:203], v235 offset1:1
	s_waitcnt lgkmcnt(0)
	v_cmp_neq_f64_e32 vcc_lo, 0, v[200:201]
	v_cmp_neq_f64_e64 s3, 0, v[202:203]
	s_delay_alu instid0(VALU_DEP_1) | instskip(NEXT) | instid1(SALU_CYCLE_1)
	s_or_b32 s3, vcc_lo, s3
	s_and_b32 exec_lo, exec_lo, s3
	s_cbranch_execz .LBB99_332
; %bb.327:
	v_cmp_gt_f64_e32 vcc_lo, 0, v[200:201]
	v_xor_b32_e32 v204, 0x80000000, v201
	v_xor_b32_e32 v206, 0x80000000, v203
	s_mov_b32 s3, exec_lo
                                        ; implicit-def: $vgpr208_vgpr209
	s_delay_alu instid0(VALU_DEP_2) | instskip(SKIP_4) | instid1(VALU_DEP_1)
	v_cndmask_b32_e32 v205, v201, v204, vcc_lo
	v_cndmask_b32_e32 v204, v200, v200, vcc_lo
	v_cmp_gt_f64_e32 vcc_lo, 0, v[202:203]
	v_cndmask_b32_e32 v207, v203, v206, vcc_lo
	v_cndmask_b32_e32 v206, v202, v202, vcc_lo
	v_cmpx_ngt_f64_e32 v[204:205], v[206:207]
	s_xor_b32 s3, exec_lo, s3
                                        ; implicit-def: $vgpr204_vgpr205_vgpr206_vgpr207
	s_cbranch_execz .LBB99_329
; %bb.328:
	v_div_scale_f64 v[204:205], null, v[202:203], v[202:203], v[200:201]
	v_div_scale_f64 v[210:211], vcc_lo, v[200:201], v[202:203], v[200:201]
	s_delay_alu instid0(VALU_DEP_2) | instskip(SKIP_2) | instid1(VALU_DEP_1)
	v_rcp_f64_e32 v[206:207], v[204:205]
	s_waitcnt_depctr 0xfff
	v_fma_f64 v[208:209], -v[204:205], v[206:207], 1.0
	v_fma_f64 v[206:207], v[206:207], v[208:209], v[206:207]
	s_delay_alu instid0(VALU_DEP_1) | instskip(NEXT) | instid1(VALU_DEP_1)
	v_fma_f64 v[208:209], -v[204:205], v[206:207], 1.0
	v_fma_f64 v[206:207], v[206:207], v[208:209], v[206:207]
	s_delay_alu instid0(VALU_DEP_1) | instskip(NEXT) | instid1(VALU_DEP_1)
	v_mul_f64 v[208:209], v[210:211], v[206:207]
	v_fma_f64 v[204:205], -v[204:205], v[208:209], v[210:211]
	s_delay_alu instid0(VALU_DEP_1) | instskip(NEXT) | instid1(VALU_DEP_1)
	v_div_fmas_f64 v[204:205], v[204:205], v[206:207], v[208:209]
	v_div_fixup_f64 v[204:205], v[204:205], v[202:203], v[200:201]
	s_delay_alu instid0(VALU_DEP_1) | instskip(NEXT) | instid1(VALU_DEP_1)
	v_fma_f64 v[200:201], v[200:201], v[204:205], v[202:203]
	v_div_scale_f64 v[202:203], null, v[200:201], v[200:201], 1.0
	s_delay_alu instid0(VALU_DEP_1) | instskip(SKIP_2) | instid1(VALU_DEP_1)
	v_rcp_f64_e32 v[206:207], v[202:203]
	s_waitcnt_depctr 0xfff
	v_fma_f64 v[208:209], -v[202:203], v[206:207], 1.0
	v_fma_f64 v[206:207], v[206:207], v[208:209], v[206:207]
	s_delay_alu instid0(VALU_DEP_1) | instskip(NEXT) | instid1(VALU_DEP_1)
	v_fma_f64 v[208:209], -v[202:203], v[206:207], 1.0
	v_fma_f64 v[206:207], v[206:207], v[208:209], v[206:207]
	v_div_scale_f64 v[208:209], vcc_lo, 1.0, v[200:201], 1.0
	s_delay_alu instid0(VALU_DEP_1) | instskip(NEXT) | instid1(VALU_DEP_1)
	v_mul_f64 v[210:211], v[208:209], v[206:207]
	v_fma_f64 v[202:203], -v[202:203], v[210:211], v[208:209]
	s_delay_alu instid0(VALU_DEP_1) | instskip(NEXT) | instid1(VALU_DEP_1)
	v_div_fmas_f64 v[202:203], v[202:203], v[206:207], v[210:211]
	v_div_fixup_f64 v[206:207], v[202:203], v[200:201], 1.0
                                        ; implicit-def: $vgpr200_vgpr201
	s_delay_alu instid0(VALU_DEP_1)
	v_mul_f64 v[208:209], v[204:205], v[206:207]
	v_xor_b32_e32 v207, 0x80000000, v207
.LBB99_329:
	s_and_not1_saveexec_b32 s3, s3
	s_cbranch_execz .LBB99_331
; %bb.330:
	v_div_scale_f64 v[204:205], null, v[200:201], v[200:201], v[202:203]
	v_div_scale_f64 v[210:211], vcc_lo, v[202:203], v[200:201], v[202:203]
	s_delay_alu instid0(VALU_DEP_2) | instskip(SKIP_2) | instid1(VALU_DEP_1)
	v_rcp_f64_e32 v[206:207], v[204:205]
	s_waitcnt_depctr 0xfff
	v_fma_f64 v[208:209], -v[204:205], v[206:207], 1.0
	v_fma_f64 v[206:207], v[206:207], v[208:209], v[206:207]
	s_delay_alu instid0(VALU_DEP_1) | instskip(NEXT) | instid1(VALU_DEP_1)
	v_fma_f64 v[208:209], -v[204:205], v[206:207], 1.0
	v_fma_f64 v[206:207], v[206:207], v[208:209], v[206:207]
	s_delay_alu instid0(VALU_DEP_1) | instskip(NEXT) | instid1(VALU_DEP_1)
	v_mul_f64 v[208:209], v[210:211], v[206:207]
	v_fma_f64 v[204:205], -v[204:205], v[208:209], v[210:211]
	s_delay_alu instid0(VALU_DEP_1) | instskip(NEXT) | instid1(VALU_DEP_1)
	v_div_fmas_f64 v[204:205], v[204:205], v[206:207], v[208:209]
	v_div_fixup_f64 v[204:205], v[204:205], v[200:201], v[202:203]
	s_delay_alu instid0(VALU_DEP_1) | instskip(NEXT) | instid1(VALU_DEP_1)
	v_fma_f64 v[200:201], v[202:203], v[204:205], v[200:201]
	v_div_scale_f64 v[202:203], null, v[200:201], v[200:201], 1.0
	s_delay_alu instid0(VALU_DEP_1) | instskip(SKIP_2) | instid1(VALU_DEP_1)
	v_rcp_f64_e32 v[206:207], v[202:203]
	s_waitcnt_depctr 0xfff
	v_fma_f64 v[208:209], -v[202:203], v[206:207], 1.0
	v_fma_f64 v[206:207], v[206:207], v[208:209], v[206:207]
	s_delay_alu instid0(VALU_DEP_1) | instskip(NEXT) | instid1(VALU_DEP_1)
	v_fma_f64 v[208:209], -v[202:203], v[206:207], 1.0
	v_fma_f64 v[206:207], v[206:207], v[208:209], v[206:207]
	v_div_scale_f64 v[208:209], vcc_lo, 1.0, v[200:201], 1.0
	s_delay_alu instid0(VALU_DEP_1) | instskip(NEXT) | instid1(VALU_DEP_1)
	v_mul_f64 v[210:211], v[208:209], v[206:207]
	v_fma_f64 v[202:203], -v[202:203], v[210:211], v[208:209]
	s_delay_alu instid0(VALU_DEP_1) | instskip(NEXT) | instid1(VALU_DEP_1)
	v_div_fmas_f64 v[202:203], v[202:203], v[206:207], v[210:211]
	v_div_fixup_f64 v[208:209], v[202:203], v[200:201], 1.0
	s_delay_alu instid0(VALU_DEP_1)
	v_mul_f64 v[206:207], v[204:205], -v[208:209]
.LBB99_331:
	s_or_b32 exec_lo, exec_lo, s3
	ds_store_2addr_b64 v235, v[208:209], v[206:207] offset1:1
.LBB99_332:
	s_or_b32 exec_lo, exec_lo, s4
	s_waitcnt lgkmcnt(0)
	s_barrier
	buffer_gl0_inv
	ds_load_2addr_b64 v[200:203], v235 offset1:1
	s_mov_b32 s3, exec_lo
	s_waitcnt lgkmcnt(0)
	scratch_store_b128 off, v[200:203], off offset:968 ; 16-byte Folded Spill
	v_cmpx_lt_u32_e32 36, v234
	s_cbranch_execz .LBB99_334
; %bb.333:
	scratch_load_b128 v[202:205], off, off offset:968 ; 16-byte Folded Reload
	s_waitcnt vmcnt(0)
	v_mul_f64 v[200:201], v[202:203], v[54:55]
	v_mul_f64 v[54:55], v[204:205], v[54:55]
	s_delay_alu instid0(VALU_DEP_2) | instskip(NEXT) | instid1(VALU_DEP_2)
	v_fma_f64 v[200:201], v[204:205], v[52:53], v[200:201]
	v_fma_f64 v[52:53], v[202:203], v[52:53], -v[54:55]
	ds_load_2addr_b64 v[202:205], v236 offset0:74 offset1:75
	s_waitcnt lgkmcnt(0)
	v_mul_f64 v[54:55], v[204:205], v[200:201]
	s_delay_alu instid0(VALU_DEP_1) | instskip(SKIP_1) | instid1(VALU_DEP_2)
	v_fma_f64 v[54:55], v[202:203], v[52:53], -v[54:55]
	v_mul_f64 v[202:203], v[202:203], v[200:201]
	v_add_f64 v[48:49], v[48:49], -v[54:55]
	s_delay_alu instid0(VALU_DEP_2) | instskip(NEXT) | instid1(VALU_DEP_1)
	v_fma_f64 v[202:203], v[204:205], v[52:53], v[202:203]
	v_add_f64 v[50:51], v[50:51], -v[202:203]
	ds_load_2addr_b64 v[202:205], v236 offset0:76 offset1:77
	s_waitcnt lgkmcnt(0)
	v_mul_f64 v[54:55], v[204:205], v[200:201]
	s_delay_alu instid0(VALU_DEP_1) | instskip(SKIP_1) | instid1(VALU_DEP_2)
	v_fma_f64 v[54:55], v[202:203], v[52:53], -v[54:55]
	v_mul_f64 v[202:203], v[202:203], v[200:201]
	v_add_f64 v[44:45], v[44:45], -v[54:55]
	s_delay_alu instid0(VALU_DEP_2) | instskip(NEXT) | instid1(VALU_DEP_1)
	v_fma_f64 v[202:203], v[204:205], v[52:53], v[202:203]
	v_add_f64 v[46:47], v[46:47], -v[202:203]
	;; [unrolled: 10-line block ×12, first 2 shown]
	ds_load_2addr_b64 v[202:205], v236 offset0:98 offset1:99
	s_waitcnt lgkmcnt(0)
	v_mul_f64 v[54:55], v[204:205], v[200:201]
	s_delay_alu instid0(VALU_DEP_1) | instskip(SKIP_1) | instid1(VALU_DEP_2)
	v_fma_f64 v[54:55], v[202:203], v[52:53], -v[54:55]
	v_mul_f64 v[202:203], v[202:203], v[200:201]
	v_add_f64 v[0:1], v[0:1], -v[54:55]
	s_delay_alu instid0(VALU_DEP_2) | instskip(SKIP_1) | instid1(VALU_DEP_2)
	v_fma_f64 v[202:203], v[204:205], v[52:53], v[202:203]
	v_dual_mov_b32 v54, v200 :: v_dual_mov_b32 v55, v201
	v_add_f64 v[2:3], v[2:3], -v[202:203]
.LBB99_334:
	s_or_b32 exec_lo, exec_lo, s3
	s_delay_alu instid0(SALU_CYCLE_1)
	s_mov_b32 s4, exec_lo
	s_waitcnt_vscnt null, 0x0
	s_barrier
	buffer_gl0_inv
	v_cmpx_eq_u32_e32 37, v234
	s_cbranch_execz .LBB99_341
; %bb.335:
	ds_store_2addr_b64 v235, v[48:49], v[50:51] offset1:1
	ds_store_2addr_b64 v236, v[44:45], v[46:47] offset0:76 offset1:77
	ds_store_2addr_b64 v236, v[40:41], v[42:43] offset0:78 offset1:79
	;; [unrolled: 1-line block ×12, first 2 shown]
	ds_load_2addr_b64 v[200:203], v235 offset1:1
	s_waitcnt lgkmcnt(0)
	v_cmp_neq_f64_e32 vcc_lo, 0, v[200:201]
	v_cmp_neq_f64_e64 s3, 0, v[202:203]
	s_delay_alu instid0(VALU_DEP_1) | instskip(NEXT) | instid1(SALU_CYCLE_1)
	s_or_b32 s3, vcc_lo, s3
	s_and_b32 exec_lo, exec_lo, s3
	s_cbranch_execz .LBB99_341
; %bb.336:
	v_cmp_gt_f64_e32 vcc_lo, 0, v[200:201]
	v_xor_b32_e32 v204, 0x80000000, v201
	v_xor_b32_e32 v206, 0x80000000, v203
	s_mov_b32 s3, exec_lo
                                        ; implicit-def: $vgpr208_vgpr209
	s_delay_alu instid0(VALU_DEP_2) | instskip(SKIP_4) | instid1(VALU_DEP_1)
	v_cndmask_b32_e32 v205, v201, v204, vcc_lo
	v_cndmask_b32_e32 v204, v200, v200, vcc_lo
	v_cmp_gt_f64_e32 vcc_lo, 0, v[202:203]
	v_cndmask_b32_e32 v207, v203, v206, vcc_lo
	v_cndmask_b32_e32 v206, v202, v202, vcc_lo
	v_cmpx_ngt_f64_e32 v[204:205], v[206:207]
	s_xor_b32 s3, exec_lo, s3
                                        ; implicit-def: $vgpr204_vgpr205_vgpr206_vgpr207
	s_cbranch_execz .LBB99_338
; %bb.337:
	v_div_scale_f64 v[204:205], null, v[202:203], v[202:203], v[200:201]
	v_div_scale_f64 v[210:211], vcc_lo, v[200:201], v[202:203], v[200:201]
	s_delay_alu instid0(VALU_DEP_2) | instskip(SKIP_2) | instid1(VALU_DEP_1)
	v_rcp_f64_e32 v[206:207], v[204:205]
	s_waitcnt_depctr 0xfff
	v_fma_f64 v[208:209], -v[204:205], v[206:207], 1.0
	v_fma_f64 v[206:207], v[206:207], v[208:209], v[206:207]
	s_delay_alu instid0(VALU_DEP_1) | instskip(NEXT) | instid1(VALU_DEP_1)
	v_fma_f64 v[208:209], -v[204:205], v[206:207], 1.0
	v_fma_f64 v[206:207], v[206:207], v[208:209], v[206:207]
	s_delay_alu instid0(VALU_DEP_1) | instskip(NEXT) | instid1(VALU_DEP_1)
	v_mul_f64 v[208:209], v[210:211], v[206:207]
	v_fma_f64 v[204:205], -v[204:205], v[208:209], v[210:211]
	s_delay_alu instid0(VALU_DEP_1) | instskip(NEXT) | instid1(VALU_DEP_1)
	v_div_fmas_f64 v[204:205], v[204:205], v[206:207], v[208:209]
	v_div_fixup_f64 v[204:205], v[204:205], v[202:203], v[200:201]
	s_delay_alu instid0(VALU_DEP_1) | instskip(NEXT) | instid1(VALU_DEP_1)
	v_fma_f64 v[200:201], v[200:201], v[204:205], v[202:203]
	v_div_scale_f64 v[202:203], null, v[200:201], v[200:201], 1.0
	s_delay_alu instid0(VALU_DEP_1) | instskip(SKIP_2) | instid1(VALU_DEP_1)
	v_rcp_f64_e32 v[206:207], v[202:203]
	s_waitcnt_depctr 0xfff
	v_fma_f64 v[208:209], -v[202:203], v[206:207], 1.0
	v_fma_f64 v[206:207], v[206:207], v[208:209], v[206:207]
	s_delay_alu instid0(VALU_DEP_1) | instskip(NEXT) | instid1(VALU_DEP_1)
	v_fma_f64 v[208:209], -v[202:203], v[206:207], 1.0
	v_fma_f64 v[206:207], v[206:207], v[208:209], v[206:207]
	v_div_scale_f64 v[208:209], vcc_lo, 1.0, v[200:201], 1.0
	s_delay_alu instid0(VALU_DEP_1) | instskip(NEXT) | instid1(VALU_DEP_1)
	v_mul_f64 v[210:211], v[208:209], v[206:207]
	v_fma_f64 v[202:203], -v[202:203], v[210:211], v[208:209]
	s_delay_alu instid0(VALU_DEP_1) | instskip(NEXT) | instid1(VALU_DEP_1)
	v_div_fmas_f64 v[202:203], v[202:203], v[206:207], v[210:211]
	v_div_fixup_f64 v[206:207], v[202:203], v[200:201], 1.0
                                        ; implicit-def: $vgpr200_vgpr201
	s_delay_alu instid0(VALU_DEP_1)
	v_mul_f64 v[208:209], v[204:205], v[206:207]
	v_xor_b32_e32 v207, 0x80000000, v207
.LBB99_338:
	s_and_not1_saveexec_b32 s3, s3
	s_cbranch_execz .LBB99_340
; %bb.339:
	v_div_scale_f64 v[204:205], null, v[200:201], v[200:201], v[202:203]
	v_div_scale_f64 v[210:211], vcc_lo, v[202:203], v[200:201], v[202:203]
	s_delay_alu instid0(VALU_DEP_2) | instskip(SKIP_2) | instid1(VALU_DEP_1)
	v_rcp_f64_e32 v[206:207], v[204:205]
	s_waitcnt_depctr 0xfff
	v_fma_f64 v[208:209], -v[204:205], v[206:207], 1.0
	v_fma_f64 v[206:207], v[206:207], v[208:209], v[206:207]
	s_delay_alu instid0(VALU_DEP_1) | instskip(NEXT) | instid1(VALU_DEP_1)
	v_fma_f64 v[208:209], -v[204:205], v[206:207], 1.0
	v_fma_f64 v[206:207], v[206:207], v[208:209], v[206:207]
	s_delay_alu instid0(VALU_DEP_1) | instskip(NEXT) | instid1(VALU_DEP_1)
	v_mul_f64 v[208:209], v[210:211], v[206:207]
	v_fma_f64 v[204:205], -v[204:205], v[208:209], v[210:211]
	s_delay_alu instid0(VALU_DEP_1) | instskip(NEXT) | instid1(VALU_DEP_1)
	v_div_fmas_f64 v[204:205], v[204:205], v[206:207], v[208:209]
	v_div_fixup_f64 v[204:205], v[204:205], v[200:201], v[202:203]
	s_delay_alu instid0(VALU_DEP_1) | instskip(NEXT) | instid1(VALU_DEP_1)
	v_fma_f64 v[200:201], v[202:203], v[204:205], v[200:201]
	v_div_scale_f64 v[202:203], null, v[200:201], v[200:201], 1.0
	s_delay_alu instid0(VALU_DEP_1) | instskip(SKIP_2) | instid1(VALU_DEP_1)
	v_rcp_f64_e32 v[206:207], v[202:203]
	s_waitcnt_depctr 0xfff
	v_fma_f64 v[208:209], -v[202:203], v[206:207], 1.0
	v_fma_f64 v[206:207], v[206:207], v[208:209], v[206:207]
	s_delay_alu instid0(VALU_DEP_1) | instskip(NEXT) | instid1(VALU_DEP_1)
	v_fma_f64 v[208:209], -v[202:203], v[206:207], 1.0
	v_fma_f64 v[206:207], v[206:207], v[208:209], v[206:207]
	v_div_scale_f64 v[208:209], vcc_lo, 1.0, v[200:201], 1.0
	s_delay_alu instid0(VALU_DEP_1) | instskip(NEXT) | instid1(VALU_DEP_1)
	v_mul_f64 v[210:211], v[208:209], v[206:207]
	v_fma_f64 v[202:203], -v[202:203], v[210:211], v[208:209]
	s_delay_alu instid0(VALU_DEP_1) | instskip(NEXT) | instid1(VALU_DEP_1)
	v_div_fmas_f64 v[202:203], v[202:203], v[206:207], v[210:211]
	v_div_fixup_f64 v[208:209], v[202:203], v[200:201], 1.0
	s_delay_alu instid0(VALU_DEP_1)
	v_mul_f64 v[206:207], v[204:205], -v[208:209]
.LBB99_340:
	s_or_b32 exec_lo, exec_lo, s3
	ds_store_2addr_b64 v235, v[208:209], v[206:207] offset1:1
.LBB99_341:
	s_or_b32 exec_lo, exec_lo, s4
	s_waitcnt lgkmcnt(0)
	s_barrier
	buffer_gl0_inv
	ds_load_2addr_b64 v[200:203], v235 offset1:1
	s_mov_b32 s3, exec_lo
	s_waitcnt lgkmcnt(0)
	scratch_store_b128 off, v[200:203], off offset:984 ; 16-byte Folded Spill
	v_cmpx_lt_u32_e32 37, v234
	s_cbranch_execz .LBB99_343
; %bb.342:
	scratch_load_b128 v[202:205], off, off offset:984 ; 16-byte Folded Reload
	s_waitcnt vmcnt(0)
	v_mul_f64 v[200:201], v[202:203], v[50:51]
	v_mul_f64 v[50:51], v[204:205], v[50:51]
	s_delay_alu instid0(VALU_DEP_2) | instskip(NEXT) | instid1(VALU_DEP_2)
	v_fma_f64 v[200:201], v[204:205], v[48:49], v[200:201]
	v_fma_f64 v[48:49], v[202:203], v[48:49], -v[50:51]
	ds_load_2addr_b64 v[202:205], v236 offset0:76 offset1:77
	s_waitcnt lgkmcnt(0)
	v_mul_f64 v[50:51], v[204:205], v[200:201]
	s_delay_alu instid0(VALU_DEP_1) | instskip(SKIP_1) | instid1(VALU_DEP_2)
	v_fma_f64 v[50:51], v[202:203], v[48:49], -v[50:51]
	v_mul_f64 v[202:203], v[202:203], v[200:201]
	v_add_f64 v[44:45], v[44:45], -v[50:51]
	s_delay_alu instid0(VALU_DEP_2) | instskip(NEXT) | instid1(VALU_DEP_1)
	v_fma_f64 v[202:203], v[204:205], v[48:49], v[202:203]
	v_add_f64 v[46:47], v[46:47], -v[202:203]
	ds_load_2addr_b64 v[202:205], v236 offset0:78 offset1:79
	s_waitcnt lgkmcnt(0)
	v_mul_f64 v[50:51], v[204:205], v[200:201]
	s_delay_alu instid0(VALU_DEP_1) | instskip(SKIP_1) | instid1(VALU_DEP_2)
	v_fma_f64 v[50:51], v[202:203], v[48:49], -v[50:51]
	v_mul_f64 v[202:203], v[202:203], v[200:201]
	v_add_f64 v[40:41], v[40:41], -v[50:51]
	s_delay_alu instid0(VALU_DEP_2) | instskip(NEXT) | instid1(VALU_DEP_1)
	v_fma_f64 v[202:203], v[204:205], v[48:49], v[202:203]
	v_add_f64 v[42:43], v[42:43], -v[202:203]
	;; [unrolled: 10-line block ×11, first 2 shown]
	ds_load_2addr_b64 v[202:205], v236 offset0:98 offset1:99
	s_waitcnt lgkmcnt(0)
	v_mul_f64 v[50:51], v[204:205], v[200:201]
	s_delay_alu instid0(VALU_DEP_1) | instskip(SKIP_1) | instid1(VALU_DEP_2)
	v_fma_f64 v[50:51], v[202:203], v[48:49], -v[50:51]
	v_mul_f64 v[202:203], v[202:203], v[200:201]
	v_add_f64 v[0:1], v[0:1], -v[50:51]
	s_delay_alu instid0(VALU_DEP_2) | instskip(SKIP_1) | instid1(VALU_DEP_2)
	v_fma_f64 v[202:203], v[204:205], v[48:49], v[202:203]
	v_dual_mov_b32 v50, v200 :: v_dual_mov_b32 v51, v201
	v_add_f64 v[2:3], v[2:3], -v[202:203]
.LBB99_343:
	s_or_b32 exec_lo, exec_lo, s3
	s_delay_alu instid0(SALU_CYCLE_1)
	s_mov_b32 s4, exec_lo
	s_waitcnt_vscnt null, 0x0
	s_barrier
	buffer_gl0_inv
	v_cmpx_eq_u32_e32 38, v234
	s_cbranch_execz .LBB99_350
; %bb.344:
	ds_store_2addr_b64 v235, v[44:45], v[46:47] offset1:1
	ds_store_2addr_b64 v236, v[40:41], v[42:43] offset0:78 offset1:79
	ds_store_2addr_b64 v236, v[36:37], v[38:39] offset0:80 offset1:81
	;; [unrolled: 1-line block ×11, first 2 shown]
	ds_load_2addr_b64 v[200:203], v235 offset1:1
	s_waitcnt lgkmcnt(0)
	v_cmp_neq_f64_e32 vcc_lo, 0, v[200:201]
	v_cmp_neq_f64_e64 s3, 0, v[202:203]
	s_delay_alu instid0(VALU_DEP_1) | instskip(NEXT) | instid1(SALU_CYCLE_1)
	s_or_b32 s3, vcc_lo, s3
	s_and_b32 exec_lo, exec_lo, s3
	s_cbranch_execz .LBB99_350
; %bb.345:
	v_cmp_gt_f64_e32 vcc_lo, 0, v[200:201]
	v_xor_b32_e32 v204, 0x80000000, v201
	v_xor_b32_e32 v206, 0x80000000, v203
	s_mov_b32 s3, exec_lo
                                        ; implicit-def: $vgpr208_vgpr209
	s_delay_alu instid0(VALU_DEP_2) | instskip(SKIP_4) | instid1(VALU_DEP_1)
	v_cndmask_b32_e32 v205, v201, v204, vcc_lo
	v_cndmask_b32_e32 v204, v200, v200, vcc_lo
	v_cmp_gt_f64_e32 vcc_lo, 0, v[202:203]
	v_cndmask_b32_e32 v207, v203, v206, vcc_lo
	v_cndmask_b32_e32 v206, v202, v202, vcc_lo
	v_cmpx_ngt_f64_e32 v[204:205], v[206:207]
	s_xor_b32 s3, exec_lo, s3
                                        ; implicit-def: $vgpr204_vgpr205_vgpr206_vgpr207
	s_cbranch_execz .LBB99_347
; %bb.346:
	v_div_scale_f64 v[204:205], null, v[202:203], v[202:203], v[200:201]
	v_div_scale_f64 v[210:211], vcc_lo, v[200:201], v[202:203], v[200:201]
	s_delay_alu instid0(VALU_DEP_2) | instskip(SKIP_2) | instid1(VALU_DEP_1)
	v_rcp_f64_e32 v[206:207], v[204:205]
	s_waitcnt_depctr 0xfff
	v_fma_f64 v[208:209], -v[204:205], v[206:207], 1.0
	v_fma_f64 v[206:207], v[206:207], v[208:209], v[206:207]
	s_delay_alu instid0(VALU_DEP_1) | instskip(NEXT) | instid1(VALU_DEP_1)
	v_fma_f64 v[208:209], -v[204:205], v[206:207], 1.0
	v_fma_f64 v[206:207], v[206:207], v[208:209], v[206:207]
	s_delay_alu instid0(VALU_DEP_1) | instskip(NEXT) | instid1(VALU_DEP_1)
	v_mul_f64 v[208:209], v[210:211], v[206:207]
	v_fma_f64 v[204:205], -v[204:205], v[208:209], v[210:211]
	s_delay_alu instid0(VALU_DEP_1) | instskip(NEXT) | instid1(VALU_DEP_1)
	v_div_fmas_f64 v[204:205], v[204:205], v[206:207], v[208:209]
	v_div_fixup_f64 v[204:205], v[204:205], v[202:203], v[200:201]
	s_delay_alu instid0(VALU_DEP_1) | instskip(NEXT) | instid1(VALU_DEP_1)
	v_fma_f64 v[200:201], v[200:201], v[204:205], v[202:203]
	v_div_scale_f64 v[202:203], null, v[200:201], v[200:201], 1.0
	s_delay_alu instid0(VALU_DEP_1) | instskip(SKIP_2) | instid1(VALU_DEP_1)
	v_rcp_f64_e32 v[206:207], v[202:203]
	s_waitcnt_depctr 0xfff
	v_fma_f64 v[208:209], -v[202:203], v[206:207], 1.0
	v_fma_f64 v[206:207], v[206:207], v[208:209], v[206:207]
	s_delay_alu instid0(VALU_DEP_1) | instskip(NEXT) | instid1(VALU_DEP_1)
	v_fma_f64 v[208:209], -v[202:203], v[206:207], 1.0
	v_fma_f64 v[206:207], v[206:207], v[208:209], v[206:207]
	v_div_scale_f64 v[208:209], vcc_lo, 1.0, v[200:201], 1.0
	s_delay_alu instid0(VALU_DEP_1) | instskip(NEXT) | instid1(VALU_DEP_1)
	v_mul_f64 v[210:211], v[208:209], v[206:207]
	v_fma_f64 v[202:203], -v[202:203], v[210:211], v[208:209]
	s_delay_alu instid0(VALU_DEP_1) | instskip(NEXT) | instid1(VALU_DEP_1)
	v_div_fmas_f64 v[202:203], v[202:203], v[206:207], v[210:211]
	v_div_fixup_f64 v[206:207], v[202:203], v[200:201], 1.0
                                        ; implicit-def: $vgpr200_vgpr201
	s_delay_alu instid0(VALU_DEP_1)
	v_mul_f64 v[208:209], v[204:205], v[206:207]
	v_xor_b32_e32 v207, 0x80000000, v207
.LBB99_347:
	s_and_not1_saveexec_b32 s3, s3
	s_cbranch_execz .LBB99_349
; %bb.348:
	v_div_scale_f64 v[204:205], null, v[200:201], v[200:201], v[202:203]
	v_div_scale_f64 v[210:211], vcc_lo, v[202:203], v[200:201], v[202:203]
	s_delay_alu instid0(VALU_DEP_2) | instskip(SKIP_2) | instid1(VALU_DEP_1)
	v_rcp_f64_e32 v[206:207], v[204:205]
	s_waitcnt_depctr 0xfff
	v_fma_f64 v[208:209], -v[204:205], v[206:207], 1.0
	v_fma_f64 v[206:207], v[206:207], v[208:209], v[206:207]
	s_delay_alu instid0(VALU_DEP_1) | instskip(NEXT) | instid1(VALU_DEP_1)
	v_fma_f64 v[208:209], -v[204:205], v[206:207], 1.0
	v_fma_f64 v[206:207], v[206:207], v[208:209], v[206:207]
	s_delay_alu instid0(VALU_DEP_1) | instskip(NEXT) | instid1(VALU_DEP_1)
	v_mul_f64 v[208:209], v[210:211], v[206:207]
	v_fma_f64 v[204:205], -v[204:205], v[208:209], v[210:211]
	s_delay_alu instid0(VALU_DEP_1) | instskip(NEXT) | instid1(VALU_DEP_1)
	v_div_fmas_f64 v[204:205], v[204:205], v[206:207], v[208:209]
	v_div_fixup_f64 v[204:205], v[204:205], v[200:201], v[202:203]
	s_delay_alu instid0(VALU_DEP_1) | instskip(NEXT) | instid1(VALU_DEP_1)
	v_fma_f64 v[200:201], v[202:203], v[204:205], v[200:201]
	v_div_scale_f64 v[202:203], null, v[200:201], v[200:201], 1.0
	s_delay_alu instid0(VALU_DEP_1) | instskip(SKIP_2) | instid1(VALU_DEP_1)
	v_rcp_f64_e32 v[206:207], v[202:203]
	s_waitcnt_depctr 0xfff
	v_fma_f64 v[208:209], -v[202:203], v[206:207], 1.0
	v_fma_f64 v[206:207], v[206:207], v[208:209], v[206:207]
	s_delay_alu instid0(VALU_DEP_1) | instskip(NEXT) | instid1(VALU_DEP_1)
	v_fma_f64 v[208:209], -v[202:203], v[206:207], 1.0
	v_fma_f64 v[206:207], v[206:207], v[208:209], v[206:207]
	v_div_scale_f64 v[208:209], vcc_lo, 1.0, v[200:201], 1.0
	s_delay_alu instid0(VALU_DEP_1) | instskip(NEXT) | instid1(VALU_DEP_1)
	v_mul_f64 v[210:211], v[208:209], v[206:207]
	v_fma_f64 v[202:203], -v[202:203], v[210:211], v[208:209]
	s_delay_alu instid0(VALU_DEP_1) | instskip(NEXT) | instid1(VALU_DEP_1)
	v_div_fmas_f64 v[202:203], v[202:203], v[206:207], v[210:211]
	v_div_fixup_f64 v[208:209], v[202:203], v[200:201], 1.0
	s_delay_alu instid0(VALU_DEP_1)
	v_mul_f64 v[206:207], v[204:205], -v[208:209]
.LBB99_349:
	s_or_b32 exec_lo, exec_lo, s3
	ds_store_2addr_b64 v235, v[208:209], v[206:207] offset1:1
.LBB99_350:
	s_or_b32 exec_lo, exec_lo, s4
	s_waitcnt lgkmcnt(0)
	s_barrier
	buffer_gl0_inv
	ds_load_2addr_b64 v[200:203], v235 offset1:1
	s_mov_b32 s3, exec_lo
	s_waitcnt lgkmcnt(0)
	scratch_store_b128 off, v[200:203], off offset:1000 ; 16-byte Folded Spill
	v_cmpx_lt_u32_e32 38, v234
	s_cbranch_execz .LBB99_352
; %bb.351:
	scratch_load_b128 v[206:209], off, off offset:1000 ; 16-byte Folded Reload
	s_waitcnt vmcnt(0)
	v_mul_f64 v[200:201], v[206:207], v[46:47]
	v_mul_f64 v[46:47], v[208:209], v[46:47]
	s_delay_alu instid0(VALU_DEP_2) | instskip(SKIP_4) | instid1(VALU_DEP_1)
	v_fma_f64 v[204:205], v[208:209], v[44:45], v[200:201]
	ds_load_2addr_b64 v[200:203], v236 offset0:78 offset1:79
	v_fma_f64 v[44:45], v[206:207], v[44:45], -v[46:47]
	s_waitcnt lgkmcnt(0)
	v_mul_f64 v[46:47], v[202:203], v[204:205]
	v_fma_f64 v[46:47], v[200:201], v[44:45], -v[46:47]
	v_mul_f64 v[200:201], v[200:201], v[204:205]
	s_delay_alu instid0(VALU_DEP_2) | instskip(NEXT) | instid1(VALU_DEP_2)
	v_add_f64 v[40:41], v[40:41], -v[46:47]
	v_fma_f64 v[200:201], v[202:203], v[44:45], v[200:201]
	s_delay_alu instid0(VALU_DEP_1) | instskip(SKIP_3) | instid1(VALU_DEP_1)
	v_add_f64 v[42:43], v[42:43], -v[200:201]
	ds_load_2addr_b64 v[200:203], v236 offset0:80 offset1:81
	s_waitcnt lgkmcnt(0)
	v_mul_f64 v[46:47], v[202:203], v[204:205]
	v_fma_f64 v[46:47], v[200:201], v[44:45], -v[46:47]
	v_mul_f64 v[200:201], v[200:201], v[204:205]
	s_delay_alu instid0(VALU_DEP_2) | instskip(NEXT) | instid1(VALU_DEP_2)
	v_add_f64 v[36:37], v[36:37], -v[46:47]
	v_fma_f64 v[200:201], v[202:203], v[44:45], v[200:201]
	s_delay_alu instid0(VALU_DEP_1) | instskip(SKIP_3) | instid1(VALU_DEP_1)
	v_add_f64 v[38:39], v[38:39], -v[200:201]
	ds_load_2addr_b64 v[200:203], v236 offset0:82 offset1:83
	;; [unrolled: 10-line block ×10, first 2 shown]
	s_waitcnt lgkmcnt(0)
	v_mul_f64 v[46:47], v[202:203], v[204:205]
	v_fma_f64 v[46:47], v[200:201], v[44:45], -v[46:47]
	v_mul_f64 v[200:201], v[200:201], v[204:205]
	s_delay_alu instid0(VALU_DEP_2) | instskip(NEXT) | instid1(VALU_DEP_2)
	v_add_f64 v[0:1], v[0:1], -v[46:47]
	v_fma_f64 v[200:201], v[202:203], v[44:45], v[200:201]
	v_dual_mov_b32 v46, v204 :: v_dual_mov_b32 v47, v205
	s_delay_alu instid0(VALU_DEP_2)
	v_add_f64 v[2:3], v[2:3], -v[200:201]
.LBB99_352:
	s_or_b32 exec_lo, exec_lo, s3
	s_delay_alu instid0(SALU_CYCLE_1)
	s_mov_b32 s4, exec_lo
	s_waitcnt_vscnt null, 0x0
	s_barrier
	buffer_gl0_inv
	v_cmpx_eq_u32_e32 39, v234
	s_cbranch_execz .LBB99_359
; %bb.353:
	ds_store_2addr_b64 v235, v[40:41], v[42:43] offset1:1
	ds_store_2addr_b64 v236, v[36:37], v[38:39] offset0:80 offset1:81
	ds_store_2addr_b64 v236, v[32:33], v[34:35] offset0:82 offset1:83
	;; [unrolled: 1-line block ×10, first 2 shown]
	ds_load_2addr_b64 v[200:203], v235 offset1:1
	s_waitcnt lgkmcnt(0)
	v_cmp_neq_f64_e32 vcc_lo, 0, v[200:201]
	v_cmp_neq_f64_e64 s3, 0, v[202:203]
	s_delay_alu instid0(VALU_DEP_1) | instskip(NEXT) | instid1(SALU_CYCLE_1)
	s_or_b32 s3, vcc_lo, s3
	s_and_b32 exec_lo, exec_lo, s3
	s_cbranch_execz .LBB99_359
; %bb.354:
	v_cmp_gt_f64_e32 vcc_lo, 0, v[200:201]
	v_xor_b32_e32 v204, 0x80000000, v201
	v_xor_b32_e32 v206, 0x80000000, v203
	s_mov_b32 s3, exec_lo
                                        ; implicit-def: $vgpr208_vgpr209
	s_delay_alu instid0(VALU_DEP_2) | instskip(SKIP_4) | instid1(VALU_DEP_1)
	v_cndmask_b32_e32 v205, v201, v204, vcc_lo
	v_cndmask_b32_e32 v204, v200, v200, vcc_lo
	v_cmp_gt_f64_e32 vcc_lo, 0, v[202:203]
	v_cndmask_b32_e32 v207, v203, v206, vcc_lo
	v_cndmask_b32_e32 v206, v202, v202, vcc_lo
	v_cmpx_ngt_f64_e32 v[204:205], v[206:207]
	s_xor_b32 s3, exec_lo, s3
                                        ; implicit-def: $vgpr204_vgpr205_vgpr206_vgpr207
	s_cbranch_execz .LBB99_356
; %bb.355:
	v_div_scale_f64 v[204:205], null, v[202:203], v[202:203], v[200:201]
	v_div_scale_f64 v[210:211], vcc_lo, v[200:201], v[202:203], v[200:201]
	s_delay_alu instid0(VALU_DEP_2) | instskip(SKIP_2) | instid1(VALU_DEP_1)
	v_rcp_f64_e32 v[206:207], v[204:205]
	s_waitcnt_depctr 0xfff
	v_fma_f64 v[208:209], -v[204:205], v[206:207], 1.0
	v_fma_f64 v[206:207], v[206:207], v[208:209], v[206:207]
	s_delay_alu instid0(VALU_DEP_1) | instskip(NEXT) | instid1(VALU_DEP_1)
	v_fma_f64 v[208:209], -v[204:205], v[206:207], 1.0
	v_fma_f64 v[206:207], v[206:207], v[208:209], v[206:207]
	s_delay_alu instid0(VALU_DEP_1) | instskip(NEXT) | instid1(VALU_DEP_1)
	v_mul_f64 v[208:209], v[210:211], v[206:207]
	v_fma_f64 v[204:205], -v[204:205], v[208:209], v[210:211]
	s_delay_alu instid0(VALU_DEP_1) | instskip(NEXT) | instid1(VALU_DEP_1)
	v_div_fmas_f64 v[204:205], v[204:205], v[206:207], v[208:209]
	v_div_fixup_f64 v[204:205], v[204:205], v[202:203], v[200:201]
	s_delay_alu instid0(VALU_DEP_1) | instskip(NEXT) | instid1(VALU_DEP_1)
	v_fma_f64 v[200:201], v[200:201], v[204:205], v[202:203]
	v_div_scale_f64 v[202:203], null, v[200:201], v[200:201], 1.0
	s_delay_alu instid0(VALU_DEP_1) | instskip(SKIP_2) | instid1(VALU_DEP_1)
	v_rcp_f64_e32 v[206:207], v[202:203]
	s_waitcnt_depctr 0xfff
	v_fma_f64 v[208:209], -v[202:203], v[206:207], 1.0
	v_fma_f64 v[206:207], v[206:207], v[208:209], v[206:207]
	s_delay_alu instid0(VALU_DEP_1) | instskip(NEXT) | instid1(VALU_DEP_1)
	v_fma_f64 v[208:209], -v[202:203], v[206:207], 1.0
	v_fma_f64 v[206:207], v[206:207], v[208:209], v[206:207]
	v_div_scale_f64 v[208:209], vcc_lo, 1.0, v[200:201], 1.0
	s_delay_alu instid0(VALU_DEP_1) | instskip(NEXT) | instid1(VALU_DEP_1)
	v_mul_f64 v[210:211], v[208:209], v[206:207]
	v_fma_f64 v[202:203], -v[202:203], v[210:211], v[208:209]
	s_delay_alu instid0(VALU_DEP_1) | instskip(NEXT) | instid1(VALU_DEP_1)
	v_div_fmas_f64 v[202:203], v[202:203], v[206:207], v[210:211]
	v_div_fixup_f64 v[206:207], v[202:203], v[200:201], 1.0
                                        ; implicit-def: $vgpr200_vgpr201
	s_delay_alu instid0(VALU_DEP_1)
	v_mul_f64 v[208:209], v[204:205], v[206:207]
	v_xor_b32_e32 v207, 0x80000000, v207
.LBB99_356:
	s_and_not1_saveexec_b32 s3, s3
	s_cbranch_execz .LBB99_358
; %bb.357:
	v_div_scale_f64 v[204:205], null, v[200:201], v[200:201], v[202:203]
	v_div_scale_f64 v[210:211], vcc_lo, v[202:203], v[200:201], v[202:203]
	s_delay_alu instid0(VALU_DEP_2) | instskip(SKIP_2) | instid1(VALU_DEP_1)
	v_rcp_f64_e32 v[206:207], v[204:205]
	s_waitcnt_depctr 0xfff
	v_fma_f64 v[208:209], -v[204:205], v[206:207], 1.0
	v_fma_f64 v[206:207], v[206:207], v[208:209], v[206:207]
	s_delay_alu instid0(VALU_DEP_1) | instskip(NEXT) | instid1(VALU_DEP_1)
	v_fma_f64 v[208:209], -v[204:205], v[206:207], 1.0
	v_fma_f64 v[206:207], v[206:207], v[208:209], v[206:207]
	s_delay_alu instid0(VALU_DEP_1) | instskip(NEXT) | instid1(VALU_DEP_1)
	v_mul_f64 v[208:209], v[210:211], v[206:207]
	v_fma_f64 v[204:205], -v[204:205], v[208:209], v[210:211]
	s_delay_alu instid0(VALU_DEP_1) | instskip(NEXT) | instid1(VALU_DEP_1)
	v_div_fmas_f64 v[204:205], v[204:205], v[206:207], v[208:209]
	v_div_fixup_f64 v[204:205], v[204:205], v[200:201], v[202:203]
	s_delay_alu instid0(VALU_DEP_1) | instskip(NEXT) | instid1(VALU_DEP_1)
	v_fma_f64 v[200:201], v[202:203], v[204:205], v[200:201]
	v_div_scale_f64 v[202:203], null, v[200:201], v[200:201], 1.0
	s_delay_alu instid0(VALU_DEP_1) | instskip(SKIP_2) | instid1(VALU_DEP_1)
	v_rcp_f64_e32 v[206:207], v[202:203]
	s_waitcnt_depctr 0xfff
	v_fma_f64 v[208:209], -v[202:203], v[206:207], 1.0
	v_fma_f64 v[206:207], v[206:207], v[208:209], v[206:207]
	s_delay_alu instid0(VALU_DEP_1) | instskip(NEXT) | instid1(VALU_DEP_1)
	v_fma_f64 v[208:209], -v[202:203], v[206:207], 1.0
	v_fma_f64 v[206:207], v[206:207], v[208:209], v[206:207]
	v_div_scale_f64 v[208:209], vcc_lo, 1.0, v[200:201], 1.0
	s_delay_alu instid0(VALU_DEP_1) | instskip(NEXT) | instid1(VALU_DEP_1)
	v_mul_f64 v[210:211], v[208:209], v[206:207]
	v_fma_f64 v[202:203], -v[202:203], v[210:211], v[208:209]
	s_delay_alu instid0(VALU_DEP_1) | instskip(NEXT) | instid1(VALU_DEP_1)
	v_div_fmas_f64 v[202:203], v[202:203], v[206:207], v[210:211]
	v_div_fixup_f64 v[208:209], v[202:203], v[200:201], 1.0
	s_delay_alu instid0(VALU_DEP_1)
	v_mul_f64 v[206:207], v[204:205], -v[208:209]
.LBB99_358:
	s_or_b32 exec_lo, exec_lo, s3
	ds_store_2addr_b64 v235, v[208:209], v[206:207] offset1:1
.LBB99_359:
	s_or_b32 exec_lo, exec_lo, s4
	s_waitcnt lgkmcnt(0)
	s_barrier
	buffer_gl0_inv
	ds_load_2addr_b64 v[200:203], v235 offset1:1
	s_mov_b32 s3, exec_lo
	s_waitcnt lgkmcnt(0)
	scratch_store_b128 off, v[200:203], off offset:1016 ; 16-byte Folded Spill
	v_cmpx_lt_u32_e32 39, v234
	s_cbranch_execz .LBB99_361
; %bb.360:
	scratch_load_b128 v[206:209], off, off offset:1016 ; 16-byte Folded Reload
	s_waitcnt vmcnt(0)
	v_mul_f64 v[200:201], v[206:207], v[42:43]
	v_mul_f64 v[42:43], v[208:209], v[42:43]
	s_delay_alu instid0(VALU_DEP_2) | instskip(SKIP_4) | instid1(VALU_DEP_1)
	v_fma_f64 v[204:205], v[208:209], v[40:41], v[200:201]
	ds_load_2addr_b64 v[200:203], v236 offset0:80 offset1:81
	v_fma_f64 v[40:41], v[206:207], v[40:41], -v[42:43]
	s_waitcnt lgkmcnt(0)
	v_mul_f64 v[42:43], v[202:203], v[204:205]
	v_fma_f64 v[42:43], v[200:201], v[40:41], -v[42:43]
	v_mul_f64 v[200:201], v[200:201], v[204:205]
	s_delay_alu instid0(VALU_DEP_2) | instskip(NEXT) | instid1(VALU_DEP_2)
	v_add_f64 v[36:37], v[36:37], -v[42:43]
	v_fma_f64 v[200:201], v[202:203], v[40:41], v[200:201]
	s_delay_alu instid0(VALU_DEP_1) | instskip(SKIP_3) | instid1(VALU_DEP_1)
	v_add_f64 v[38:39], v[38:39], -v[200:201]
	ds_load_2addr_b64 v[200:203], v236 offset0:82 offset1:83
	s_waitcnt lgkmcnt(0)
	v_mul_f64 v[42:43], v[202:203], v[204:205]
	v_fma_f64 v[42:43], v[200:201], v[40:41], -v[42:43]
	v_mul_f64 v[200:201], v[200:201], v[204:205]
	s_delay_alu instid0(VALU_DEP_2) | instskip(NEXT) | instid1(VALU_DEP_2)
	v_add_f64 v[32:33], v[32:33], -v[42:43]
	v_fma_f64 v[200:201], v[202:203], v[40:41], v[200:201]
	s_delay_alu instid0(VALU_DEP_1) | instskip(SKIP_3) | instid1(VALU_DEP_1)
	v_add_f64 v[34:35], v[34:35], -v[200:201]
	ds_load_2addr_b64 v[200:203], v236 offset0:84 offset1:85
	;; [unrolled: 10-line block ×9, first 2 shown]
	s_waitcnt lgkmcnt(0)
	v_mul_f64 v[42:43], v[202:203], v[204:205]
	v_fma_f64 v[42:43], v[200:201], v[40:41], -v[42:43]
	v_mul_f64 v[200:201], v[200:201], v[204:205]
	s_delay_alu instid0(VALU_DEP_2) | instskip(NEXT) | instid1(VALU_DEP_2)
	v_add_f64 v[0:1], v[0:1], -v[42:43]
	v_fma_f64 v[200:201], v[202:203], v[40:41], v[200:201]
	v_dual_mov_b32 v42, v204 :: v_dual_mov_b32 v43, v205
	s_delay_alu instid0(VALU_DEP_2)
	v_add_f64 v[2:3], v[2:3], -v[200:201]
.LBB99_361:
	s_or_b32 exec_lo, exec_lo, s3
	s_delay_alu instid0(SALU_CYCLE_1)
	s_mov_b32 s4, exec_lo
	s_waitcnt_vscnt null, 0x0
	s_barrier
	buffer_gl0_inv
	v_cmpx_eq_u32_e32 40, v234
	s_cbranch_execz .LBB99_368
; %bb.362:
	ds_store_2addr_b64 v235, v[36:37], v[38:39] offset1:1
	ds_store_2addr_b64 v236, v[32:33], v[34:35] offset0:82 offset1:83
	ds_store_2addr_b64 v236, v[28:29], v[30:31] offset0:84 offset1:85
	;; [unrolled: 1-line block ×9, first 2 shown]
	ds_load_2addr_b64 v[200:203], v235 offset1:1
	s_waitcnt lgkmcnt(0)
	v_cmp_neq_f64_e32 vcc_lo, 0, v[200:201]
	v_cmp_neq_f64_e64 s3, 0, v[202:203]
	s_delay_alu instid0(VALU_DEP_1) | instskip(NEXT) | instid1(SALU_CYCLE_1)
	s_or_b32 s3, vcc_lo, s3
	s_and_b32 exec_lo, exec_lo, s3
	s_cbranch_execz .LBB99_368
; %bb.363:
	v_cmp_gt_f64_e32 vcc_lo, 0, v[200:201]
	v_xor_b32_e32 v204, 0x80000000, v201
	v_xor_b32_e32 v206, 0x80000000, v203
	s_mov_b32 s3, exec_lo
                                        ; implicit-def: $vgpr208_vgpr209
	s_delay_alu instid0(VALU_DEP_2) | instskip(SKIP_4) | instid1(VALU_DEP_1)
	v_cndmask_b32_e32 v205, v201, v204, vcc_lo
	v_cndmask_b32_e32 v204, v200, v200, vcc_lo
	v_cmp_gt_f64_e32 vcc_lo, 0, v[202:203]
	v_cndmask_b32_e32 v207, v203, v206, vcc_lo
	v_cndmask_b32_e32 v206, v202, v202, vcc_lo
	v_cmpx_ngt_f64_e32 v[204:205], v[206:207]
	s_xor_b32 s3, exec_lo, s3
                                        ; implicit-def: $vgpr204_vgpr205_vgpr206_vgpr207
	s_cbranch_execz .LBB99_365
; %bb.364:
	v_div_scale_f64 v[204:205], null, v[202:203], v[202:203], v[200:201]
	v_div_scale_f64 v[210:211], vcc_lo, v[200:201], v[202:203], v[200:201]
	s_delay_alu instid0(VALU_DEP_2) | instskip(SKIP_2) | instid1(VALU_DEP_1)
	v_rcp_f64_e32 v[206:207], v[204:205]
	s_waitcnt_depctr 0xfff
	v_fma_f64 v[208:209], -v[204:205], v[206:207], 1.0
	v_fma_f64 v[206:207], v[206:207], v[208:209], v[206:207]
	s_delay_alu instid0(VALU_DEP_1) | instskip(NEXT) | instid1(VALU_DEP_1)
	v_fma_f64 v[208:209], -v[204:205], v[206:207], 1.0
	v_fma_f64 v[206:207], v[206:207], v[208:209], v[206:207]
	s_delay_alu instid0(VALU_DEP_1) | instskip(NEXT) | instid1(VALU_DEP_1)
	v_mul_f64 v[208:209], v[210:211], v[206:207]
	v_fma_f64 v[204:205], -v[204:205], v[208:209], v[210:211]
	s_delay_alu instid0(VALU_DEP_1) | instskip(NEXT) | instid1(VALU_DEP_1)
	v_div_fmas_f64 v[204:205], v[204:205], v[206:207], v[208:209]
	v_div_fixup_f64 v[204:205], v[204:205], v[202:203], v[200:201]
	s_delay_alu instid0(VALU_DEP_1) | instskip(NEXT) | instid1(VALU_DEP_1)
	v_fma_f64 v[200:201], v[200:201], v[204:205], v[202:203]
	v_div_scale_f64 v[202:203], null, v[200:201], v[200:201], 1.0
	s_delay_alu instid0(VALU_DEP_1) | instskip(SKIP_2) | instid1(VALU_DEP_1)
	v_rcp_f64_e32 v[206:207], v[202:203]
	s_waitcnt_depctr 0xfff
	v_fma_f64 v[208:209], -v[202:203], v[206:207], 1.0
	v_fma_f64 v[206:207], v[206:207], v[208:209], v[206:207]
	s_delay_alu instid0(VALU_DEP_1) | instskip(NEXT) | instid1(VALU_DEP_1)
	v_fma_f64 v[208:209], -v[202:203], v[206:207], 1.0
	v_fma_f64 v[206:207], v[206:207], v[208:209], v[206:207]
	v_div_scale_f64 v[208:209], vcc_lo, 1.0, v[200:201], 1.0
	s_delay_alu instid0(VALU_DEP_1) | instskip(NEXT) | instid1(VALU_DEP_1)
	v_mul_f64 v[210:211], v[208:209], v[206:207]
	v_fma_f64 v[202:203], -v[202:203], v[210:211], v[208:209]
	s_delay_alu instid0(VALU_DEP_1) | instskip(NEXT) | instid1(VALU_DEP_1)
	v_div_fmas_f64 v[202:203], v[202:203], v[206:207], v[210:211]
	v_div_fixup_f64 v[206:207], v[202:203], v[200:201], 1.0
                                        ; implicit-def: $vgpr200_vgpr201
	s_delay_alu instid0(VALU_DEP_1)
	v_mul_f64 v[208:209], v[204:205], v[206:207]
	v_xor_b32_e32 v207, 0x80000000, v207
.LBB99_365:
	s_and_not1_saveexec_b32 s3, s3
	s_cbranch_execz .LBB99_367
; %bb.366:
	v_div_scale_f64 v[204:205], null, v[200:201], v[200:201], v[202:203]
	v_div_scale_f64 v[210:211], vcc_lo, v[202:203], v[200:201], v[202:203]
	s_delay_alu instid0(VALU_DEP_2) | instskip(SKIP_2) | instid1(VALU_DEP_1)
	v_rcp_f64_e32 v[206:207], v[204:205]
	s_waitcnt_depctr 0xfff
	v_fma_f64 v[208:209], -v[204:205], v[206:207], 1.0
	v_fma_f64 v[206:207], v[206:207], v[208:209], v[206:207]
	s_delay_alu instid0(VALU_DEP_1) | instskip(NEXT) | instid1(VALU_DEP_1)
	v_fma_f64 v[208:209], -v[204:205], v[206:207], 1.0
	v_fma_f64 v[206:207], v[206:207], v[208:209], v[206:207]
	s_delay_alu instid0(VALU_DEP_1) | instskip(NEXT) | instid1(VALU_DEP_1)
	v_mul_f64 v[208:209], v[210:211], v[206:207]
	v_fma_f64 v[204:205], -v[204:205], v[208:209], v[210:211]
	s_delay_alu instid0(VALU_DEP_1) | instskip(NEXT) | instid1(VALU_DEP_1)
	v_div_fmas_f64 v[204:205], v[204:205], v[206:207], v[208:209]
	v_div_fixup_f64 v[204:205], v[204:205], v[200:201], v[202:203]
	s_delay_alu instid0(VALU_DEP_1) | instskip(NEXT) | instid1(VALU_DEP_1)
	v_fma_f64 v[200:201], v[202:203], v[204:205], v[200:201]
	v_div_scale_f64 v[202:203], null, v[200:201], v[200:201], 1.0
	s_delay_alu instid0(VALU_DEP_1) | instskip(SKIP_2) | instid1(VALU_DEP_1)
	v_rcp_f64_e32 v[206:207], v[202:203]
	s_waitcnt_depctr 0xfff
	v_fma_f64 v[208:209], -v[202:203], v[206:207], 1.0
	v_fma_f64 v[206:207], v[206:207], v[208:209], v[206:207]
	s_delay_alu instid0(VALU_DEP_1) | instskip(NEXT) | instid1(VALU_DEP_1)
	v_fma_f64 v[208:209], -v[202:203], v[206:207], 1.0
	v_fma_f64 v[206:207], v[206:207], v[208:209], v[206:207]
	v_div_scale_f64 v[208:209], vcc_lo, 1.0, v[200:201], 1.0
	s_delay_alu instid0(VALU_DEP_1) | instskip(NEXT) | instid1(VALU_DEP_1)
	v_mul_f64 v[210:211], v[208:209], v[206:207]
	v_fma_f64 v[202:203], -v[202:203], v[210:211], v[208:209]
	s_delay_alu instid0(VALU_DEP_1) | instskip(NEXT) | instid1(VALU_DEP_1)
	v_div_fmas_f64 v[202:203], v[202:203], v[206:207], v[210:211]
	v_div_fixup_f64 v[208:209], v[202:203], v[200:201], 1.0
	s_delay_alu instid0(VALU_DEP_1)
	v_mul_f64 v[206:207], v[204:205], -v[208:209]
.LBB99_367:
	s_or_b32 exec_lo, exec_lo, s3
	ds_store_2addr_b64 v235, v[208:209], v[206:207] offset1:1
.LBB99_368:
	s_or_b32 exec_lo, exec_lo, s4
	s_waitcnt lgkmcnt(0)
	s_barrier
	buffer_gl0_inv
	ds_load_2addr_b64 v[248:251], v235 offset1:1
	s_mov_b32 s3, exec_lo
	v_cmpx_lt_u32_e32 40, v234
	s_cbranch_execz .LBB99_370
; %bb.369:
	s_waitcnt lgkmcnt(0)
	v_mul_f64 v[200:201], v[248:249], v[38:39]
	v_mul_f64 v[38:39], v[250:251], v[38:39]
	s_delay_alu instid0(VALU_DEP_2) | instskip(SKIP_4) | instid1(VALU_DEP_1)
	v_fma_f64 v[204:205], v[250:251], v[36:37], v[200:201]
	ds_load_2addr_b64 v[200:203], v236 offset0:82 offset1:83
	v_fma_f64 v[36:37], v[248:249], v[36:37], -v[38:39]
	s_waitcnt lgkmcnt(0)
	v_mul_f64 v[38:39], v[202:203], v[204:205]
	v_fma_f64 v[38:39], v[200:201], v[36:37], -v[38:39]
	v_mul_f64 v[200:201], v[200:201], v[204:205]
	s_delay_alu instid0(VALU_DEP_2) | instskip(NEXT) | instid1(VALU_DEP_2)
	v_add_f64 v[32:33], v[32:33], -v[38:39]
	v_fma_f64 v[200:201], v[202:203], v[36:37], v[200:201]
	s_delay_alu instid0(VALU_DEP_1) | instskip(SKIP_3) | instid1(VALU_DEP_1)
	v_add_f64 v[34:35], v[34:35], -v[200:201]
	ds_load_2addr_b64 v[200:203], v236 offset0:84 offset1:85
	s_waitcnt lgkmcnt(0)
	v_mul_f64 v[38:39], v[202:203], v[204:205]
	v_fma_f64 v[38:39], v[200:201], v[36:37], -v[38:39]
	v_mul_f64 v[200:201], v[200:201], v[204:205]
	s_delay_alu instid0(VALU_DEP_2) | instskip(NEXT) | instid1(VALU_DEP_2)
	v_add_f64 v[28:29], v[28:29], -v[38:39]
	v_fma_f64 v[200:201], v[202:203], v[36:37], v[200:201]
	s_delay_alu instid0(VALU_DEP_1) | instskip(SKIP_3) | instid1(VALU_DEP_1)
	v_add_f64 v[30:31], v[30:31], -v[200:201]
	ds_load_2addr_b64 v[200:203], v236 offset0:86 offset1:87
	;; [unrolled: 10-line block ×8, first 2 shown]
	s_waitcnt lgkmcnt(0)
	v_mul_f64 v[38:39], v[202:203], v[204:205]
	v_fma_f64 v[38:39], v[200:201], v[36:37], -v[38:39]
	v_mul_f64 v[200:201], v[200:201], v[204:205]
	s_delay_alu instid0(VALU_DEP_2) | instskip(NEXT) | instid1(VALU_DEP_2)
	v_add_f64 v[0:1], v[0:1], -v[38:39]
	v_fma_f64 v[200:201], v[202:203], v[36:37], v[200:201]
	v_dual_mov_b32 v38, v204 :: v_dual_mov_b32 v39, v205
	s_delay_alu instid0(VALU_DEP_2)
	v_add_f64 v[2:3], v[2:3], -v[200:201]
.LBB99_370:
	s_or_b32 exec_lo, exec_lo, s3
	s_delay_alu instid0(SALU_CYCLE_1)
	s_mov_b32 s4, exec_lo
	s_waitcnt lgkmcnt(0)
	s_barrier
	buffer_gl0_inv
	v_cmpx_eq_u32_e32 41, v234
	s_cbranch_execz .LBB99_377
; %bb.371:
	ds_store_2addr_b64 v235, v[32:33], v[34:35] offset1:1
	ds_store_2addr_b64 v236, v[28:29], v[30:31] offset0:84 offset1:85
	ds_store_2addr_b64 v236, v[24:25], v[26:27] offset0:86 offset1:87
	;; [unrolled: 1-line block ×8, first 2 shown]
	ds_load_2addr_b64 v[200:203], v235 offset1:1
	s_waitcnt lgkmcnt(0)
	v_cmp_neq_f64_e32 vcc_lo, 0, v[200:201]
	v_cmp_neq_f64_e64 s3, 0, v[202:203]
	s_delay_alu instid0(VALU_DEP_1) | instskip(NEXT) | instid1(SALU_CYCLE_1)
	s_or_b32 s3, vcc_lo, s3
	s_and_b32 exec_lo, exec_lo, s3
	s_cbranch_execz .LBB99_377
; %bb.372:
	v_cmp_gt_f64_e32 vcc_lo, 0, v[200:201]
	v_xor_b32_e32 v204, 0x80000000, v201
	v_xor_b32_e32 v206, 0x80000000, v203
	s_mov_b32 s3, exec_lo
                                        ; implicit-def: $vgpr208_vgpr209
	s_delay_alu instid0(VALU_DEP_2) | instskip(SKIP_4) | instid1(VALU_DEP_1)
	v_cndmask_b32_e32 v205, v201, v204, vcc_lo
	v_cndmask_b32_e32 v204, v200, v200, vcc_lo
	v_cmp_gt_f64_e32 vcc_lo, 0, v[202:203]
	v_cndmask_b32_e32 v207, v203, v206, vcc_lo
	v_cndmask_b32_e32 v206, v202, v202, vcc_lo
	v_cmpx_ngt_f64_e32 v[204:205], v[206:207]
	s_xor_b32 s3, exec_lo, s3
                                        ; implicit-def: $vgpr204_vgpr205_vgpr206_vgpr207
	s_cbranch_execz .LBB99_374
; %bb.373:
	v_div_scale_f64 v[204:205], null, v[202:203], v[202:203], v[200:201]
	v_div_scale_f64 v[210:211], vcc_lo, v[200:201], v[202:203], v[200:201]
	s_delay_alu instid0(VALU_DEP_2) | instskip(SKIP_2) | instid1(VALU_DEP_1)
	v_rcp_f64_e32 v[206:207], v[204:205]
	s_waitcnt_depctr 0xfff
	v_fma_f64 v[208:209], -v[204:205], v[206:207], 1.0
	v_fma_f64 v[206:207], v[206:207], v[208:209], v[206:207]
	s_delay_alu instid0(VALU_DEP_1) | instskip(NEXT) | instid1(VALU_DEP_1)
	v_fma_f64 v[208:209], -v[204:205], v[206:207], 1.0
	v_fma_f64 v[206:207], v[206:207], v[208:209], v[206:207]
	s_delay_alu instid0(VALU_DEP_1) | instskip(NEXT) | instid1(VALU_DEP_1)
	v_mul_f64 v[208:209], v[210:211], v[206:207]
	v_fma_f64 v[204:205], -v[204:205], v[208:209], v[210:211]
	s_delay_alu instid0(VALU_DEP_1) | instskip(NEXT) | instid1(VALU_DEP_1)
	v_div_fmas_f64 v[204:205], v[204:205], v[206:207], v[208:209]
	v_div_fixup_f64 v[204:205], v[204:205], v[202:203], v[200:201]
	s_delay_alu instid0(VALU_DEP_1) | instskip(NEXT) | instid1(VALU_DEP_1)
	v_fma_f64 v[200:201], v[200:201], v[204:205], v[202:203]
	v_div_scale_f64 v[202:203], null, v[200:201], v[200:201], 1.0
	s_delay_alu instid0(VALU_DEP_1) | instskip(SKIP_2) | instid1(VALU_DEP_1)
	v_rcp_f64_e32 v[206:207], v[202:203]
	s_waitcnt_depctr 0xfff
	v_fma_f64 v[208:209], -v[202:203], v[206:207], 1.0
	v_fma_f64 v[206:207], v[206:207], v[208:209], v[206:207]
	s_delay_alu instid0(VALU_DEP_1) | instskip(NEXT) | instid1(VALU_DEP_1)
	v_fma_f64 v[208:209], -v[202:203], v[206:207], 1.0
	v_fma_f64 v[206:207], v[206:207], v[208:209], v[206:207]
	v_div_scale_f64 v[208:209], vcc_lo, 1.0, v[200:201], 1.0
	s_delay_alu instid0(VALU_DEP_1) | instskip(NEXT) | instid1(VALU_DEP_1)
	v_mul_f64 v[210:211], v[208:209], v[206:207]
	v_fma_f64 v[202:203], -v[202:203], v[210:211], v[208:209]
	s_delay_alu instid0(VALU_DEP_1) | instskip(NEXT) | instid1(VALU_DEP_1)
	v_div_fmas_f64 v[202:203], v[202:203], v[206:207], v[210:211]
	v_div_fixup_f64 v[206:207], v[202:203], v[200:201], 1.0
                                        ; implicit-def: $vgpr200_vgpr201
	s_delay_alu instid0(VALU_DEP_1)
	v_mul_f64 v[208:209], v[204:205], v[206:207]
	v_xor_b32_e32 v207, 0x80000000, v207
.LBB99_374:
	s_and_not1_saveexec_b32 s3, s3
	s_cbranch_execz .LBB99_376
; %bb.375:
	v_div_scale_f64 v[204:205], null, v[200:201], v[200:201], v[202:203]
	v_div_scale_f64 v[210:211], vcc_lo, v[202:203], v[200:201], v[202:203]
	s_delay_alu instid0(VALU_DEP_2) | instskip(SKIP_2) | instid1(VALU_DEP_1)
	v_rcp_f64_e32 v[206:207], v[204:205]
	s_waitcnt_depctr 0xfff
	v_fma_f64 v[208:209], -v[204:205], v[206:207], 1.0
	v_fma_f64 v[206:207], v[206:207], v[208:209], v[206:207]
	s_delay_alu instid0(VALU_DEP_1) | instskip(NEXT) | instid1(VALU_DEP_1)
	v_fma_f64 v[208:209], -v[204:205], v[206:207], 1.0
	v_fma_f64 v[206:207], v[206:207], v[208:209], v[206:207]
	s_delay_alu instid0(VALU_DEP_1) | instskip(NEXT) | instid1(VALU_DEP_1)
	v_mul_f64 v[208:209], v[210:211], v[206:207]
	v_fma_f64 v[204:205], -v[204:205], v[208:209], v[210:211]
	s_delay_alu instid0(VALU_DEP_1) | instskip(NEXT) | instid1(VALU_DEP_1)
	v_div_fmas_f64 v[204:205], v[204:205], v[206:207], v[208:209]
	v_div_fixup_f64 v[204:205], v[204:205], v[200:201], v[202:203]
	s_delay_alu instid0(VALU_DEP_1) | instskip(NEXT) | instid1(VALU_DEP_1)
	v_fma_f64 v[200:201], v[202:203], v[204:205], v[200:201]
	v_div_scale_f64 v[202:203], null, v[200:201], v[200:201], 1.0
	s_delay_alu instid0(VALU_DEP_1) | instskip(SKIP_2) | instid1(VALU_DEP_1)
	v_rcp_f64_e32 v[206:207], v[202:203]
	s_waitcnt_depctr 0xfff
	v_fma_f64 v[208:209], -v[202:203], v[206:207], 1.0
	v_fma_f64 v[206:207], v[206:207], v[208:209], v[206:207]
	s_delay_alu instid0(VALU_DEP_1) | instskip(NEXT) | instid1(VALU_DEP_1)
	v_fma_f64 v[208:209], -v[202:203], v[206:207], 1.0
	v_fma_f64 v[206:207], v[206:207], v[208:209], v[206:207]
	v_div_scale_f64 v[208:209], vcc_lo, 1.0, v[200:201], 1.0
	s_delay_alu instid0(VALU_DEP_1) | instskip(NEXT) | instid1(VALU_DEP_1)
	v_mul_f64 v[210:211], v[208:209], v[206:207]
	v_fma_f64 v[202:203], -v[202:203], v[210:211], v[208:209]
	s_delay_alu instid0(VALU_DEP_1) | instskip(NEXT) | instid1(VALU_DEP_1)
	v_div_fmas_f64 v[202:203], v[202:203], v[206:207], v[210:211]
	v_div_fixup_f64 v[208:209], v[202:203], v[200:201], 1.0
	s_delay_alu instid0(VALU_DEP_1)
	v_mul_f64 v[206:207], v[204:205], -v[208:209]
.LBB99_376:
	s_or_b32 exec_lo, exec_lo, s3
	ds_store_2addr_b64 v235, v[208:209], v[206:207] offset1:1
.LBB99_377:
	s_or_b32 exec_lo, exec_lo, s4
	s_waitcnt lgkmcnt(0)
	s_barrier
	buffer_gl0_inv
	ds_load_2addr_b64 v[252:255], v235 offset1:1
	s_mov_b32 s3, exec_lo
	v_cmpx_lt_u32_e32 41, v234
	s_cbranch_execz .LBB99_379
; %bb.378:
	s_waitcnt lgkmcnt(0)
	v_mul_f64 v[200:201], v[252:253], v[34:35]
	v_mul_f64 v[34:35], v[254:255], v[34:35]
	s_delay_alu instid0(VALU_DEP_2) | instskip(SKIP_4) | instid1(VALU_DEP_1)
	v_fma_f64 v[204:205], v[254:255], v[32:33], v[200:201]
	ds_load_2addr_b64 v[200:203], v236 offset0:84 offset1:85
	v_fma_f64 v[32:33], v[252:253], v[32:33], -v[34:35]
	s_waitcnt lgkmcnt(0)
	v_mul_f64 v[34:35], v[202:203], v[204:205]
	v_fma_f64 v[34:35], v[200:201], v[32:33], -v[34:35]
	v_mul_f64 v[200:201], v[200:201], v[204:205]
	s_delay_alu instid0(VALU_DEP_2) | instskip(NEXT) | instid1(VALU_DEP_2)
	v_add_f64 v[28:29], v[28:29], -v[34:35]
	v_fma_f64 v[200:201], v[202:203], v[32:33], v[200:201]
	s_delay_alu instid0(VALU_DEP_1) | instskip(SKIP_3) | instid1(VALU_DEP_1)
	v_add_f64 v[30:31], v[30:31], -v[200:201]
	ds_load_2addr_b64 v[200:203], v236 offset0:86 offset1:87
	s_waitcnt lgkmcnt(0)
	v_mul_f64 v[34:35], v[202:203], v[204:205]
	v_fma_f64 v[34:35], v[200:201], v[32:33], -v[34:35]
	v_mul_f64 v[200:201], v[200:201], v[204:205]
	s_delay_alu instid0(VALU_DEP_2) | instskip(NEXT) | instid1(VALU_DEP_2)
	v_add_f64 v[24:25], v[24:25], -v[34:35]
	v_fma_f64 v[200:201], v[202:203], v[32:33], v[200:201]
	s_delay_alu instid0(VALU_DEP_1) | instskip(SKIP_3) | instid1(VALU_DEP_1)
	v_add_f64 v[26:27], v[26:27], -v[200:201]
	ds_load_2addr_b64 v[200:203], v236 offset0:88 offset1:89
	;; [unrolled: 10-line block ×7, first 2 shown]
	s_waitcnt lgkmcnt(0)
	v_mul_f64 v[34:35], v[202:203], v[204:205]
	v_fma_f64 v[34:35], v[200:201], v[32:33], -v[34:35]
	v_mul_f64 v[200:201], v[200:201], v[204:205]
	s_delay_alu instid0(VALU_DEP_2) | instskip(NEXT) | instid1(VALU_DEP_2)
	v_add_f64 v[0:1], v[0:1], -v[34:35]
	v_fma_f64 v[200:201], v[202:203], v[32:33], v[200:201]
	v_dual_mov_b32 v34, v204 :: v_dual_mov_b32 v35, v205
	s_delay_alu instid0(VALU_DEP_2)
	v_add_f64 v[2:3], v[2:3], -v[200:201]
.LBB99_379:
	s_or_b32 exec_lo, exec_lo, s3
	s_delay_alu instid0(SALU_CYCLE_1)
	s_mov_b32 s4, exec_lo
	s_waitcnt lgkmcnt(0)
	s_barrier
	buffer_gl0_inv
	v_cmpx_eq_u32_e32 42, v234
	s_cbranch_execz .LBB99_386
; %bb.380:
	ds_store_2addr_b64 v235, v[28:29], v[30:31] offset1:1
	ds_store_2addr_b64 v236, v[24:25], v[26:27] offset0:86 offset1:87
	ds_store_2addr_b64 v236, v[20:21], v[22:23] offset0:88 offset1:89
	;; [unrolled: 1-line block ×7, first 2 shown]
	ds_load_2addr_b64 v[200:203], v235 offset1:1
	s_waitcnt lgkmcnt(0)
	v_cmp_neq_f64_e32 vcc_lo, 0, v[200:201]
	v_cmp_neq_f64_e64 s3, 0, v[202:203]
	s_delay_alu instid0(VALU_DEP_1) | instskip(NEXT) | instid1(SALU_CYCLE_1)
	s_or_b32 s3, vcc_lo, s3
	s_and_b32 exec_lo, exec_lo, s3
	s_cbranch_execz .LBB99_386
; %bb.381:
	v_cmp_gt_f64_e32 vcc_lo, 0, v[200:201]
	v_xor_b32_e32 v204, 0x80000000, v201
	v_xor_b32_e32 v206, 0x80000000, v203
	s_mov_b32 s3, exec_lo
                                        ; implicit-def: $vgpr208_vgpr209
	s_delay_alu instid0(VALU_DEP_2) | instskip(SKIP_4) | instid1(VALU_DEP_1)
	v_cndmask_b32_e32 v205, v201, v204, vcc_lo
	v_cndmask_b32_e32 v204, v200, v200, vcc_lo
	v_cmp_gt_f64_e32 vcc_lo, 0, v[202:203]
	v_cndmask_b32_e32 v207, v203, v206, vcc_lo
	v_cndmask_b32_e32 v206, v202, v202, vcc_lo
	v_cmpx_ngt_f64_e32 v[204:205], v[206:207]
	s_xor_b32 s3, exec_lo, s3
                                        ; implicit-def: $vgpr204_vgpr205_vgpr206_vgpr207
	s_cbranch_execz .LBB99_383
; %bb.382:
	v_div_scale_f64 v[204:205], null, v[202:203], v[202:203], v[200:201]
	v_div_scale_f64 v[210:211], vcc_lo, v[200:201], v[202:203], v[200:201]
	s_delay_alu instid0(VALU_DEP_2) | instskip(SKIP_2) | instid1(VALU_DEP_1)
	v_rcp_f64_e32 v[206:207], v[204:205]
	s_waitcnt_depctr 0xfff
	v_fma_f64 v[208:209], -v[204:205], v[206:207], 1.0
	v_fma_f64 v[206:207], v[206:207], v[208:209], v[206:207]
	s_delay_alu instid0(VALU_DEP_1) | instskip(NEXT) | instid1(VALU_DEP_1)
	v_fma_f64 v[208:209], -v[204:205], v[206:207], 1.0
	v_fma_f64 v[206:207], v[206:207], v[208:209], v[206:207]
	s_delay_alu instid0(VALU_DEP_1) | instskip(NEXT) | instid1(VALU_DEP_1)
	v_mul_f64 v[208:209], v[210:211], v[206:207]
	v_fma_f64 v[204:205], -v[204:205], v[208:209], v[210:211]
	s_delay_alu instid0(VALU_DEP_1) | instskip(NEXT) | instid1(VALU_DEP_1)
	v_div_fmas_f64 v[204:205], v[204:205], v[206:207], v[208:209]
	v_div_fixup_f64 v[204:205], v[204:205], v[202:203], v[200:201]
	s_delay_alu instid0(VALU_DEP_1) | instskip(NEXT) | instid1(VALU_DEP_1)
	v_fma_f64 v[200:201], v[200:201], v[204:205], v[202:203]
	v_div_scale_f64 v[202:203], null, v[200:201], v[200:201], 1.0
	s_delay_alu instid0(VALU_DEP_1) | instskip(SKIP_2) | instid1(VALU_DEP_1)
	v_rcp_f64_e32 v[206:207], v[202:203]
	s_waitcnt_depctr 0xfff
	v_fma_f64 v[208:209], -v[202:203], v[206:207], 1.0
	v_fma_f64 v[206:207], v[206:207], v[208:209], v[206:207]
	s_delay_alu instid0(VALU_DEP_1) | instskip(NEXT) | instid1(VALU_DEP_1)
	v_fma_f64 v[208:209], -v[202:203], v[206:207], 1.0
	v_fma_f64 v[206:207], v[206:207], v[208:209], v[206:207]
	v_div_scale_f64 v[208:209], vcc_lo, 1.0, v[200:201], 1.0
	s_delay_alu instid0(VALU_DEP_1) | instskip(NEXT) | instid1(VALU_DEP_1)
	v_mul_f64 v[210:211], v[208:209], v[206:207]
	v_fma_f64 v[202:203], -v[202:203], v[210:211], v[208:209]
	s_delay_alu instid0(VALU_DEP_1) | instskip(NEXT) | instid1(VALU_DEP_1)
	v_div_fmas_f64 v[202:203], v[202:203], v[206:207], v[210:211]
	v_div_fixup_f64 v[206:207], v[202:203], v[200:201], 1.0
                                        ; implicit-def: $vgpr200_vgpr201
	s_delay_alu instid0(VALU_DEP_1)
	v_mul_f64 v[208:209], v[204:205], v[206:207]
	v_xor_b32_e32 v207, 0x80000000, v207
.LBB99_383:
	s_and_not1_saveexec_b32 s3, s3
	s_cbranch_execz .LBB99_385
; %bb.384:
	v_div_scale_f64 v[204:205], null, v[200:201], v[200:201], v[202:203]
	v_div_scale_f64 v[210:211], vcc_lo, v[202:203], v[200:201], v[202:203]
	s_delay_alu instid0(VALU_DEP_2) | instskip(SKIP_2) | instid1(VALU_DEP_1)
	v_rcp_f64_e32 v[206:207], v[204:205]
	s_waitcnt_depctr 0xfff
	v_fma_f64 v[208:209], -v[204:205], v[206:207], 1.0
	v_fma_f64 v[206:207], v[206:207], v[208:209], v[206:207]
	s_delay_alu instid0(VALU_DEP_1) | instskip(NEXT) | instid1(VALU_DEP_1)
	v_fma_f64 v[208:209], -v[204:205], v[206:207], 1.0
	v_fma_f64 v[206:207], v[206:207], v[208:209], v[206:207]
	s_delay_alu instid0(VALU_DEP_1) | instskip(NEXT) | instid1(VALU_DEP_1)
	v_mul_f64 v[208:209], v[210:211], v[206:207]
	v_fma_f64 v[204:205], -v[204:205], v[208:209], v[210:211]
	s_delay_alu instid0(VALU_DEP_1) | instskip(NEXT) | instid1(VALU_DEP_1)
	v_div_fmas_f64 v[204:205], v[204:205], v[206:207], v[208:209]
	v_div_fixup_f64 v[204:205], v[204:205], v[200:201], v[202:203]
	s_delay_alu instid0(VALU_DEP_1) | instskip(NEXT) | instid1(VALU_DEP_1)
	v_fma_f64 v[200:201], v[202:203], v[204:205], v[200:201]
	v_div_scale_f64 v[202:203], null, v[200:201], v[200:201], 1.0
	s_delay_alu instid0(VALU_DEP_1) | instskip(SKIP_2) | instid1(VALU_DEP_1)
	v_rcp_f64_e32 v[206:207], v[202:203]
	s_waitcnt_depctr 0xfff
	v_fma_f64 v[208:209], -v[202:203], v[206:207], 1.0
	v_fma_f64 v[206:207], v[206:207], v[208:209], v[206:207]
	s_delay_alu instid0(VALU_DEP_1) | instskip(NEXT) | instid1(VALU_DEP_1)
	v_fma_f64 v[208:209], -v[202:203], v[206:207], 1.0
	v_fma_f64 v[206:207], v[206:207], v[208:209], v[206:207]
	v_div_scale_f64 v[208:209], vcc_lo, 1.0, v[200:201], 1.0
	s_delay_alu instid0(VALU_DEP_1) | instskip(NEXT) | instid1(VALU_DEP_1)
	v_mul_f64 v[210:211], v[208:209], v[206:207]
	v_fma_f64 v[202:203], -v[202:203], v[210:211], v[208:209]
	s_delay_alu instid0(VALU_DEP_1) | instskip(NEXT) | instid1(VALU_DEP_1)
	v_div_fmas_f64 v[202:203], v[202:203], v[206:207], v[210:211]
	v_div_fixup_f64 v[208:209], v[202:203], v[200:201], 1.0
	s_delay_alu instid0(VALU_DEP_1)
	v_mul_f64 v[206:207], v[204:205], -v[208:209]
.LBB99_385:
	s_or_b32 exec_lo, exec_lo, s3
	ds_store_2addr_b64 v235, v[208:209], v[206:207] offset1:1
.LBB99_386:
	s_or_b32 exec_lo, exec_lo, s4
	s_waitcnt lgkmcnt(0)
	s_barrier
	buffer_gl0_inv
	ds_load_2addr_b64 v[200:203], v235 offset1:1
	s_mov_b32 s3, exec_lo
	v_cmpx_lt_u32_e32 42, v234
	s_cbranch_execz .LBB99_388
; %bb.387:
	s_waitcnt lgkmcnt(0)
	v_mul_f64 v[204:205], v[200:201], v[30:31]
	v_mul_f64 v[30:31], v[202:203], v[30:31]
	s_delay_alu instid0(VALU_DEP_2) | instskip(SKIP_4) | instid1(VALU_DEP_1)
	v_fma_f64 v[208:209], v[202:203], v[28:29], v[204:205]
	ds_load_2addr_b64 v[204:207], v236 offset0:86 offset1:87
	v_fma_f64 v[28:29], v[200:201], v[28:29], -v[30:31]
	s_waitcnt lgkmcnt(0)
	v_mul_f64 v[30:31], v[206:207], v[208:209]
	v_fma_f64 v[30:31], v[204:205], v[28:29], -v[30:31]
	v_mul_f64 v[204:205], v[204:205], v[208:209]
	s_delay_alu instid0(VALU_DEP_2) | instskip(NEXT) | instid1(VALU_DEP_2)
	v_add_f64 v[24:25], v[24:25], -v[30:31]
	v_fma_f64 v[204:205], v[206:207], v[28:29], v[204:205]
	s_delay_alu instid0(VALU_DEP_1) | instskip(SKIP_3) | instid1(VALU_DEP_1)
	v_add_f64 v[26:27], v[26:27], -v[204:205]
	ds_load_2addr_b64 v[204:207], v236 offset0:88 offset1:89
	s_waitcnt lgkmcnt(0)
	v_mul_f64 v[30:31], v[206:207], v[208:209]
	v_fma_f64 v[30:31], v[204:205], v[28:29], -v[30:31]
	v_mul_f64 v[204:205], v[204:205], v[208:209]
	s_delay_alu instid0(VALU_DEP_2) | instskip(NEXT) | instid1(VALU_DEP_2)
	v_add_f64 v[20:21], v[20:21], -v[30:31]
	v_fma_f64 v[204:205], v[206:207], v[28:29], v[204:205]
	s_delay_alu instid0(VALU_DEP_1) | instskip(SKIP_3) | instid1(VALU_DEP_1)
	v_add_f64 v[22:23], v[22:23], -v[204:205]
	ds_load_2addr_b64 v[204:207], v236 offset0:90 offset1:91
	;; [unrolled: 10-line block ×6, first 2 shown]
	s_waitcnt lgkmcnt(0)
	v_mul_f64 v[30:31], v[206:207], v[208:209]
	v_fma_f64 v[30:31], v[204:205], v[28:29], -v[30:31]
	v_mul_f64 v[204:205], v[204:205], v[208:209]
	s_delay_alu instid0(VALU_DEP_2) | instskip(NEXT) | instid1(VALU_DEP_2)
	v_add_f64 v[0:1], v[0:1], -v[30:31]
	v_fma_f64 v[204:205], v[206:207], v[28:29], v[204:205]
	v_dual_mov_b32 v30, v208 :: v_dual_mov_b32 v31, v209
	s_delay_alu instid0(VALU_DEP_2)
	v_add_f64 v[2:3], v[2:3], -v[204:205]
.LBB99_388:
	s_or_b32 exec_lo, exec_lo, s3
	s_delay_alu instid0(SALU_CYCLE_1)
	s_mov_b32 s4, exec_lo
	s_waitcnt lgkmcnt(0)
	s_barrier
	buffer_gl0_inv
	v_cmpx_eq_u32_e32 43, v234
	s_cbranch_execz .LBB99_395
; %bb.389:
	ds_store_2addr_b64 v235, v[24:25], v[26:27] offset1:1
	ds_store_2addr_b64 v236, v[20:21], v[22:23] offset0:88 offset1:89
	ds_store_2addr_b64 v236, v[16:17], v[18:19] offset0:90 offset1:91
	;; [unrolled: 1-line block ×6, first 2 shown]
	ds_load_2addr_b64 v[204:207], v235 offset1:1
	s_waitcnt lgkmcnt(0)
	v_cmp_neq_f64_e32 vcc_lo, 0, v[204:205]
	v_cmp_neq_f64_e64 s3, 0, v[206:207]
	s_delay_alu instid0(VALU_DEP_1) | instskip(NEXT) | instid1(SALU_CYCLE_1)
	s_or_b32 s3, vcc_lo, s3
	s_and_b32 exec_lo, exec_lo, s3
	s_cbranch_execz .LBB99_395
; %bb.390:
	v_cmp_gt_f64_e32 vcc_lo, 0, v[204:205]
	v_xor_b32_e32 v208, 0x80000000, v205
	v_xor_b32_e32 v210, 0x80000000, v207
	s_mov_b32 s3, exec_lo
                                        ; implicit-def: $vgpr212_vgpr213
	s_delay_alu instid0(VALU_DEP_2) | instskip(SKIP_4) | instid1(VALU_DEP_1)
	v_cndmask_b32_e32 v209, v205, v208, vcc_lo
	v_cndmask_b32_e32 v208, v204, v204, vcc_lo
	v_cmp_gt_f64_e32 vcc_lo, 0, v[206:207]
	v_cndmask_b32_e32 v211, v207, v210, vcc_lo
	v_cndmask_b32_e32 v210, v206, v206, vcc_lo
	v_cmpx_ngt_f64_e32 v[208:209], v[210:211]
	s_xor_b32 s3, exec_lo, s3
                                        ; implicit-def: $vgpr208_vgpr209_vgpr210_vgpr211
	s_cbranch_execz .LBB99_392
; %bb.391:
	v_div_scale_f64 v[208:209], null, v[206:207], v[206:207], v[204:205]
	v_div_scale_f64 v[214:215], vcc_lo, v[204:205], v[206:207], v[204:205]
	s_delay_alu instid0(VALU_DEP_2) | instskip(SKIP_2) | instid1(VALU_DEP_1)
	v_rcp_f64_e32 v[210:211], v[208:209]
	s_waitcnt_depctr 0xfff
	v_fma_f64 v[212:213], -v[208:209], v[210:211], 1.0
	v_fma_f64 v[210:211], v[210:211], v[212:213], v[210:211]
	s_delay_alu instid0(VALU_DEP_1) | instskip(NEXT) | instid1(VALU_DEP_1)
	v_fma_f64 v[212:213], -v[208:209], v[210:211], 1.0
	v_fma_f64 v[210:211], v[210:211], v[212:213], v[210:211]
	s_delay_alu instid0(VALU_DEP_1) | instskip(NEXT) | instid1(VALU_DEP_1)
	v_mul_f64 v[212:213], v[214:215], v[210:211]
	v_fma_f64 v[208:209], -v[208:209], v[212:213], v[214:215]
	s_delay_alu instid0(VALU_DEP_1) | instskip(NEXT) | instid1(VALU_DEP_1)
	v_div_fmas_f64 v[208:209], v[208:209], v[210:211], v[212:213]
	v_div_fixup_f64 v[208:209], v[208:209], v[206:207], v[204:205]
	s_delay_alu instid0(VALU_DEP_1) | instskip(NEXT) | instid1(VALU_DEP_1)
	v_fma_f64 v[204:205], v[204:205], v[208:209], v[206:207]
	v_div_scale_f64 v[206:207], null, v[204:205], v[204:205], 1.0
	s_delay_alu instid0(VALU_DEP_1) | instskip(SKIP_2) | instid1(VALU_DEP_1)
	v_rcp_f64_e32 v[210:211], v[206:207]
	s_waitcnt_depctr 0xfff
	v_fma_f64 v[212:213], -v[206:207], v[210:211], 1.0
	v_fma_f64 v[210:211], v[210:211], v[212:213], v[210:211]
	s_delay_alu instid0(VALU_DEP_1) | instskip(NEXT) | instid1(VALU_DEP_1)
	v_fma_f64 v[212:213], -v[206:207], v[210:211], 1.0
	v_fma_f64 v[210:211], v[210:211], v[212:213], v[210:211]
	v_div_scale_f64 v[212:213], vcc_lo, 1.0, v[204:205], 1.0
	s_delay_alu instid0(VALU_DEP_1) | instskip(NEXT) | instid1(VALU_DEP_1)
	v_mul_f64 v[214:215], v[212:213], v[210:211]
	v_fma_f64 v[206:207], -v[206:207], v[214:215], v[212:213]
	s_delay_alu instid0(VALU_DEP_1) | instskip(NEXT) | instid1(VALU_DEP_1)
	v_div_fmas_f64 v[206:207], v[206:207], v[210:211], v[214:215]
	v_div_fixup_f64 v[210:211], v[206:207], v[204:205], 1.0
                                        ; implicit-def: $vgpr204_vgpr205
	s_delay_alu instid0(VALU_DEP_1)
	v_mul_f64 v[212:213], v[208:209], v[210:211]
	v_xor_b32_e32 v211, 0x80000000, v211
.LBB99_392:
	s_and_not1_saveexec_b32 s3, s3
	s_cbranch_execz .LBB99_394
; %bb.393:
	v_div_scale_f64 v[208:209], null, v[204:205], v[204:205], v[206:207]
	v_div_scale_f64 v[214:215], vcc_lo, v[206:207], v[204:205], v[206:207]
	s_delay_alu instid0(VALU_DEP_2) | instskip(SKIP_2) | instid1(VALU_DEP_1)
	v_rcp_f64_e32 v[210:211], v[208:209]
	s_waitcnt_depctr 0xfff
	v_fma_f64 v[212:213], -v[208:209], v[210:211], 1.0
	v_fma_f64 v[210:211], v[210:211], v[212:213], v[210:211]
	s_delay_alu instid0(VALU_DEP_1) | instskip(NEXT) | instid1(VALU_DEP_1)
	v_fma_f64 v[212:213], -v[208:209], v[210:211], 1.0
	v_fma_f64 v[210:211], v[210:211], v[212:213], v[210:211]
	s_delay_alu instid0(VALU_DEP_1) | instskip(NEXT) | instid1(VALU_DEP_1)
	v_mul_f64 v[212:213], v[214:215], v[210:211]
	v_fma_f64 v[208:209], -v[208:209], v[212:213], v[214:215]
	s_delay_alu instid0(VALU_DEP_1) | instskip(NEXT) | instid1(VALU_DEP_1)
	v_div_fmas_f64 v[208:209], v[208:209], v[210:211], v[212:213]
	v_div_fixup_f64 v[208:209], v[208:209], v[204:205], v[206:207]
	s_delay_alu instid0(VALU_DEP_1) | instskip(NEXT) | instid1(VALU_DEP_1)
	v_fma_f64 v[204:205], v[206:207], v[208:209], v[204:205]
	v_div_scale_f64 v[206:207], null, v[204:205], v[204:205], 1.0
	s_delay_alu instid0(VALU_DEP_1) | instskip(SKIP_2) | instid1(VALU_DEP_1)
	v_rcp_f64_e32 v[210:211], v[206:207]
	s_waitcnt_depctr 0xfff
	v_fma_f64 v[212:213], -v[206:207], v[210:211], 1.0
	v_fma_f64 v[210:211], v[210:211], v[212:213], v[210:211]
	s_delay_alu instid0(VALU_DEP_1) | instskip(NEXT) | instid1(VALU_DEP_1)
	v_fma_f64 v[212:213], -v[206:207], v[210:211], 1.0
	v_fma_f64 v[210:211], v[210:211], v[212:213], v[210:211]
	v_div_scale_f64 v[212:213], vcc_lo, 1.0, v[204:205], 1.0
	s_delay_alu instid0(VALU_DEP_1) | instskip(NEXT) | instid1(VALU_DEP_1)
	v_mul_f64 v[214:215], v[212:213], v[210:211]
	v_fma_f64 v[206:207], -v[206:207], v[214:215], v[212:213]
	s_delay_alu instid0(VALU_DEP_1) | instskip(NEXT) | instid1(VALU_DEP_1)
	v_div_fmas_f64 v[206:207], v[206:207], v[210:211], v[214:215]
	v_div_fixup_f64 v[212:213], v[206:207], v[204:205], 1.0
	s_delay_alu instid0(VALU_DEP_1)
	v_mul_f64 v[210:211], v[208:209], -v[212:213]
.LBB99_394:
	s_or_b32 exec_lo, exec_lo, s3
	ds_store_2addr_b64 v235, v[212:213], v[210:211] offset1:1
.LBB99_395:
	s_or_b32 exec_lo, exec_lo, s4
	s_waitcnt lgkmcnt(0)
	s_barrier
	buffer_gl0_inv
	ds_load_2addr_b64 v[204:207], v235 offset1:1
	s_mov_b32 s3, exec_lo
	v_cmpx_lt_u32_e32 43, v234
	s_cbranch_execz .LBB99_397
; %bb.396:
	s_waitcnt lgkmcnt(0)
	v_mul_f64 v[208:209], v[204:205], v[26:27]
	v_mul_f64 v[26:27], v[206:207], v[26:27]
	s_delay_alu instid0(VALU_DEP_2) | instskip(SKIP_4) | instid1(VALU_DEP_1)
	v_fma_f64 v[212:213], v[206:207], v[24:25], v[208:209]
	ds_load_2addr_b64 v[208:211], v236 offset0:88 offset1:89
	v_fma_f64 v[24:25], v[204:205], v[24:25], -v[26:27]
	s_waitcnt lgkmcnt(0)
	v_mul_f64 v[26:27], v[210:211], v[212:213]
	v_fma_f64 v[26:27], v[208:209], v[24:25], -v[26:27]
	v_mul_f64 v[208:209], v[208:209], v[212:213]
	s_delay_alu instid0(VALU_DEP_2) | instskip(NEXT) | instid1(VALU_DEP_2)
	v_add_f64 v[20:21], v[20:21], -v[26:27]
	v_fma_f64 v[208:209], v[210:211], v[24:25], v[208:209]
	s_delay_alu instid0(VALU_DEP_1) | instskip(SKIP_3) | instid1(VALU_DEP_1)
	v_add_f64 v[22:23], v[22:23], -v[208:209]
	ds_load_2addr_b64 v[208:211], v236 offset0:90 offset1:91
	s_waitcnt lgkmcnt(0)
	v_mul_f64 v[26:27], v[210:211], v[212:213]
	v_fma_f64 v[26:27], v[208:209], v[24:25], -v[26:27]
	v_mul_f64 v[208:209], v[208:209], v[212:213]
	s_delay_alu instid0(VALU_DEP_2) | instskip(NEXT) | instid1(VALU_DEP_2)
	v_add_f64 v[16:17], v[16:17], -v[26:27]
	v_fma_f64 v[208:209], v[210:211], v[24:25], v[208:209]
	s_delay_alu instid0(VALU_DEP_1) | instskip(SKIP_3) | instid1(VALU_DEP_1)
	v_add_f64 v[18:19], v[18:19], -v[208:209]
	ds_load_2addr_b64 v[208:211], v236 offset0:92 offset1:93
	;; [unrolled: 10-line block ×5, first 2 shown]
	s_waitcnt lgkmcnt(0)
	v_mul_f64 v[26:27], v[210:211], v[212:213]
	v_fma_f64 v[26:27], v[208:209], v[24:25], -v[26:27]
	v_mul_f64 v[208:209], v[208:209], v[212:213]
	s_delay_alu instid0(VALU_DEP_2) | instskip(NEXT) | instid1(VALU_DEP_2)
	v_add_f64 v[0:1], v[0:1], -v[26:27]
	v_fma_f64 v[208:209], v[210:211], v[24:25], v[208:209]
	v_dual_mov_b32 v26, v212 :: v_dual_mov_b32 v27, v213
	s_delay_alu instid0(VALU_DEP_2)
	v_add_f64 v[2:3], v[2:3], -v[208:209]
.LBB99_397:
	s_or_b32 exec_lo, exec_lo, s3
	s_delay_alu instid0(SALU_CYCLE_1)
	s_mov_b32 s4, exec_lo
	s_waitcnt lgkmcnt(0)
	s_barrier
	buffer_gl0_inv
	v_cmpx_eq_u32_e32 44, v234
	s_cbranch_execz .LBB99_404
; %bb.398:
	ds_store_2addr_b64 v235, v[20:21], v[22:23] offset1:1
	ds_store_2addr_b64 v236, v[16:17], v[18:19] offset0:90 offset1:91
	ds_store_2addr_b64 v236, v[12:13], v[14:15] offset0:92 offset1:93
	;; [unrolled: 1-line block ×5, first 2 shown]
	ds_load_2addr_b64 v[208:211], v235 offset1:1
	s_waitcnt lgkmcnt(0)
	v_cmp_neq_f64_e32 vcc_lo, 0, v[208:209]
	v_cmp_neq_f64_e64 s3, 0, v[210:211]
	s_delay_alu instid0(VALU_DEP_1) | instskip(NEXT) | instid1(SALU_CYCLE_1)
	s_or_b32 s3, vcc_lo, s3
	s_and_b32 exec_lo, exec_lo, s3
	s_cbranch_execz .LBB99_404
; %bb.399:
	v_cmp_gt_f64_e32 vcc_lo, 0, v[208:209]
	v_xor_b32_e32 v212, 0x80000000, v209
	v_xor_b32_e32 v214, 0x80000000, v211
	s_mov_b32 s3, exec_lo
                                        ; implicit-def: $vgpr216_vgpr217
	s_delay_alu instid0(VALU_DEP_2) | instskip(SKIP_4) | instid1(VALU_DEP_1)
	v_cndmask_b32_e32 v213, v209, v212, vcc_lo
	v_cndmask_b32_e32 v212, v208, v208, vcc_lo
	v_cmp_gt_f64_e32 vcc_lo, 0, v[210:211]
	v_cndmask_b32_e32 v215, v211, v214, vcc_lo
	v_cndmask_b32_e32 v214, v210, v210, vcc_lo
	v_cmpx_ngt_f64_e32 v[212:213], v[214:215]
	s_xor_b32 s3, exec_lo, s3
                                        ; implicit-def: $vgpr212_vgpr213_vgpr214_vgpr215
	s_cbranch_execz .LBB99_401
; %bb.400:
	v_div_scale_f64 v[212:213], null, v[210:211], v[210:211], v[208:209]
	v_div_scale_f64 v[218:219], vcc_lo, v[208:209], v[210:211], v[208:209]
	s_delay_alu instid0(VALU_DEP_2) | instskip(SKIP_2) | instid1(VALU_DEP_1)
	v_rcp_f64_e32 v[214:215], v[212:213]
	s_waitcnt_depctr 0xfff
	v_fma_f64 v[216:217], -v[212:213], v[214:215], 1.0
	v_fma_f64 v[214:215], v[214:215], v[216:217], v[214:215]
	s_delay_alu instid0(VALU_DEP_1) | instskip(NEXT) | instid1(VALU_DEP_1)
	v_fma_f64 v[216:217], -v[212:213], v[214:215], 1.0
	v_fma_f64 v[214:215], v[214:215], v[216:217], v[214:215]
	s_delay_alu instid0(VALU_DEP_1) | instskip(NEXT) | instid1(VALU_DEP_1)
	v_mul_f64 v[216:217], v[218:219], v[214:215]
	v_fma_f64 v[212:213], -v[212:213], v[216:217], v[218:219]
	s_delay_alu instid0(VALU_DEP_1) | instskip(NEXT) | instid1(VALU_DEP_1)
	v_div_fmas_f64 v[212:213], v[212:213], v[214:215], v[216:217]
	v_div_fixup_f64 v[212:213], v[212:213], v[210:211], v[208:209]
	s_delay_alu instid0(VALU_DEP_1) | instskip(NEXT) | instid1(VALU_DEP_1)
	v_fma_f64 v[208:209], v[208:209], v[212:213], v[210:211]
	v_div_scale_f64 v[210:211], null, v[208:209], v[208:209], 1.0
	s_delay_alu instid0(VALU_DEP_1) | instskip(SKIP_2) | instid1(VALU_DEP_1)
	v_rcp_f64_e32 v[214:215], v[210:211]
	s_waitcnt_depctr 0xfff
	v_fma_f64 v[216:217], -v[210:211], v[214:215], 1.0
	v_fma_f64 v[214:215], v[214:215], v[216:217], v[214:215]
	s_delay_alu instid0(VALU_DEP_1) | instskip(NEXT) | instid1(VALU_DEP_1)
	v_fma_f64 v[216:217], -v[210:211], v[214:215], 1.0
	v_fma_f64 v[214:215], v[214:215], v[216:217], v[214:215]
	v_div_scale_f64 v[216:217], vcc_lo, 1.0, v[208:209], 1.0
	s_delay_alu instid0(VALU_DEP_1) | instskip(NEXT) | instid1(VALU_DEP_1)
	v_mul_f64 v[218:219], v[216:217], v[214:215]
	v_fma_f64 v[210:211], -v[210:211], v[218:219], v[216:217]
	s_delay_alu instid0(VALU_DEP_1) | instskip(NEXT) | instid1(VALU_DEP_1)
	v_div_fmas_f64 v[210:211], v[210:211], v[214:215], v[218:219]
	v_div_fixup_f64 v[214:215], v[210:211], v[208:209], 1.0
                                        ; implicit-def: $vgpr208_vgpr209
	s_delay_alu instid0(VALU_DEP_1)
	v_mul_f64 v[216:217], v[212:213], v[214:215]
	v_xor_b32_e32 v215, 0x80000000, v215
.LBB99_401:
	s_and_not1_saveexec_b32 s3, s3
	s_cbranch_execz .LBB99_403
; %bb.402:
	v_div_scale_f64 v[212:213], null, v[208:209], v[208:209], v[210:211]
	v_div_scale_f64 v[218:219], vcc_lo, v[210:211], v[208:209], v[210:211]
	s_delay_alu instid0(VALU_DEP_2) | instskip(SKIP_2) | instid1(VALU_DEP_1)
	v_rcp_f64_e32 v[214:215], v[212:213]
	s_waitcnt_depctr 0xfff
	v_fma_f64 v[216:217], -v[212:213], v[214:215], 1.0
	v_fma_f64 v[214:215], v[214:215], v[216:217], v[214:215]
	s_delay_alu instid0(VALU_DEP_1) | instskip(NEXT) | instid1(VALU_DEP_1)
	v_fma_f64 v[216:217], -v[212:213], v[214:215], 1.0
	v_fma_f64 v[214:215], v[214:215], v[216:217], v[214:215]
	s_delay_alu instid0(VALU_DEP_1) | instskip(NEXT) | instid1(VALU_DEP_1)
	v_mul_f64 v[216:217], v[218:219], v[214:215]
	v_fma_f64 v[212:213], -v[212:213], v[216:217], v[218:219]
	s_delay_alu instid0(VALU_DEP_1) | instskip(NEXT) | instid1(VALU_DEP_1)
	v_div_fmas_f64 v[212:213], v[212:213], v[214:215], v[216:217]
	v_div_fixup_f64 v[212:213], v[212:213], v[208:209], v[210:211]
	s_delay_alu instid0(VALU_DEP_1) | instskip(NEXT) | instid1(VALU_DEP_1)
	v_fma_f64 v[208:209], v[210:211], v[212:213], v[208:209]
	v_div_scale_f64 v[210:211], null, v[208:209], v[208:209], 1.0
	s_delay_alu instid0(VALU_DEP_1) | instskip(SKIP_2) | instid1(VALU_DEP_1)
	v_rcp_f64_e32 v[214:215], v[210:211]
	s_waitcnt_depctr 0xfff
	v_fma_f64 v[216:217], -v[210:211], v[214:215], 1.0
	v_fma_f64 v[214:215], v[214:215], v[216:217], v[214:215]
	s_delay_alu instid0(VALU_DEP_1) | instskip(NEXT) | instid1(VALU_DEP_1)
	v_fma_f64 v[216:217], -v[210:211], v[214:215], 1.0
	v_fma_f64 v[214:215], v[214:215], v[216:217], v[214:215]
	v_div_scale_f64 v[216:217], vcc_lo, 1.0, v[208:209], 1.0
	s_delay_alu instid0(VALU_DEP_1) | instskip(NEXT) | instid1(VALU_DEP_1)
	v_mul_f64 v[218:219], v[216:217], v[214:215]
	v_fma_f64 v[210:211], -v[210:211], v[218:219], v[216:217]
	s_delay_alu instid0(VALU_DEP_1) | instskip(NEXT) | instid1(VALU_DEP_1)
	v_div_fmas_f64 v[210:211], v[210:211], v[214:215], v[218:219]
	v_div_fixup_f64 v[216:217], v[210:211], v[208:209], 1.0
	s_delay_alu instid0(VALU_DEP_1)
	v_mul_f64 v[214:215], v[212:213], -v[216:217]
.LBB99_403:
	s_or_b32 exec_lo, exec_lo, s3
	ds_store_2addr_b64 v235, v[216:217], v[214:215] offset1:1
.LBB99_404:
	s_or_b32 exec_lo, exec_lo, s4
	s_waitcnt lgkmcnt(0)
	s_barrier
	buffer_gl0_inv
	ds_load_2addr_b64 v[208:211], v235 offset1:1
	s_mov_b32 s3, exec_lo
	v_cmpx_lt_u32_e32 44, v234
	s_cbranch_execz .LBB99_406
; %bb.405:
	s_waitcnt lgkmcnt(0)
	v_mul_f64 v[212:213], v[208:209], v[22:23]
	v_mul_f64 v[22:23], v[210:211], v[22:23]
	s_delay_alu instid0(VALU_DEP_2) | instskip(SKIP_4) | instid1(VALU_DEP_1)
	v_fma_f64 v[216:217], v[210:211], v[20:21], v[212:213]
	ds_load_2addr_b64 v[212:215], v236 offset0:90 offset1:91
	v_fma_f64 v[20:21], v[208:209], v[20:21], -v[22:23]
	s_waitcnt lgkmcnt(0)
	v_mul_f64 v[22:23], v[214:215], v[216:217]
	v_fma_f64 v[22:23], v[212:213], v[20:21], -v[22:23]
	v_mul_f64 v[212:213], v[212:213], v[216:217]
	s_delay_alu instid0(VALU_DEP_2) | instskip(NEXT) | instid1(VALU_DEP_2)
	v_add_f64 v[16:17], v[16:17], -v[22:23]
	v_fma_f64 v[212:213], v[214:215], v[20:21], v[212:213]
	s_delay_alu instid0(VALU_DEP_1) | instskip(SKIP_3) | instid1(VALU_DEP_1)
	v_add_f64 v[18:19], v[18:19], -v[212:213]
	ds_load_2addr_b64 v[212:215], v236 offset0:92 offset1:93
	s_waitcnt lgkmcnt(0)
	v_mul_f64 v[22:23], v[214:215], v[216:217]
	v_fma_f64 v[22:23], v[212:213], v[20:21], -v[22:23]
	v_mul_f64 v[212:213], v[212:213], v[216:217]
	s_delay_alu instid0(VALU_DEP_2) | instskip(NEXT) | instid1(VALU_DEP_2)
	v_add_f64 v[12:13], v[12:13], -v[22:23]
	v_fma_f64 v[212:213], v[214:215], v[20:21], v[212:213]
	s_delay_alu instid0(VALU_DEP_1) | instskip(SKIP_3) | instid1(VALU_DEP_1)
	v_add_f64 v[14:15], v[14:15], -v[212:213]
	ds_load_2addr_b64 v[212:215], v236 offset0:94 offset1:95
	;; [unrolled: 10-line block ×4, first 2 shown]
	s_waitcnt lgkmcnt(0)
	v_mul_f64 v[22:23], v[214:215], v[216:217]
	v_fma_f64 v[22:23], v[212:213], v[20:21], -v[22:23]
	v_mul_f64 v[212:213], v[212:213], v[216:217]
	s_delay_alu instid0(VALU_DEP_2) | instskip(NEXT) | instid1(VALU_DEP_2)
	v_add_f64 v[0:1], v[0:1], -v[22:23]
	v_fma_f64 v[212:213], v[214:215], v[20:21], v[212:213]
	v_dual_mov_b32 v22, v216 :: v_dual_mov_b32 v23, v217
	s_delay_alu instid0(VALU_DEP_2)
	v_add_f64 v[2:3], v[2:3], -v[212:213]
.LBB99_406:
	s_or_b32 exec_lo, exec_lo, s3
	s_delay_alu instid0(SALU_CYCLE_1)
	s_mov_b32 s4, exec_lo
	s_waitcnt lgkmcnt(0)
	s_barrier
	buffer_gl0_inv
	v_cmpx_eq_u32_e32 45, v234
	s_cbranch_execz .LBB99_413
; %bb.407:
	ds_store_2addr_b64 v235, v[16:17], v[18:19] offset1:1
	ds_store_2addr_b64 v236, v[12:13], v[14:15] offset0:92 offset1:93
	ds_store_2addr_b64 v236, v[8:9], v[10:11] offset0:94 offset1:95
	;; [unrolled: 1-line block ×4, first 2 shown]
	ds_load_2addr_b64 v[212:215], v235 offset1:1
	s_waitcnt lgkmcnt(0)
	v_cmp_neq_f64_e32 vcc_lo, 0, v[212:213]
	v_cmp_neq_f64_e64 s3, 0, v[214:215]
	s_delay_alu instid0(VALU_DEP_1) | instskip(NEXT) | instid1(SALU_CYCLE_1)
	s_or_b32 s3, vcc_lo, s3
	s_and_b32 exec_lo, exec_lo, s3
	s_cbranch_execz .LBB99_413
; %bb.408:
	v_cmp_gt_f64_e32 vcc_lo, 0, v[212:213]
	v_xor_b32_e32 v216, 0x80000000, v213
	v_xor_b32_e32 v218, 0x80000000, v215
	s_mov_b32 s3, exec_lo
                                        ; implicit-def: $vgpr220_vgpr221
	s_delay_alu instid0(VALU_DEP_2) | instskip(SKIP_4) | instid1(VALU_DEP_1)
	v_cndmask_b32_e32 v217, v213, v216, vcc_lo
	v_cndmask_b32_e32 v216, v212, v212, vcc_lo
	v_cmp_gt_f64_e32 vcc_lo, 0, v[214:215]
	v_cndmask_b32_e32 v219, v215, v218, vcc_lo
	v_cndmask_b32_e32 v218, v214, v214, vcc_lo
	v_cmpx_ngt_f64_e32 v[216:217], v[218:219]
	s_xor_b32 s3, exec_lo, s3
                                        ; implicit-def: $vgpr216_vgpr217_vgpr218_vgpr219
	s_cbranch_execz .LBB99_410
; %bb.409:
	v_div_scale_f64 v[216:217], null, v[214:215], v[214:215], v[212:213]
	v_div_scale_f64 v[222:223], vcc_lo, v[212:213], v[214:215], v[212:213]
	s_delay_alu instid0(VALU_DEP_2) | instskip(SKIP_2) | instid1(VALU_DEP_1)
	v_rcp_f64_e32 v[218:219], v[216:217]
	s_waitcnt_depctr 0xfff
	v_fma_f64 v[220:221], -v[216:217], v[218:219], 1.0
	v_fma_f64 v[218:219], v[218:219], v[220:221], v[218:219]
	s_delay_alu instid0(VALU_DEP_1) | instskip(NEXT) | instid1(VALU_DEP_1)
	v_fma_f64 v[220:221], -v[216:217], v[218:219], 1.0
	v_fma_f64 v[218:219], v[218:219], v[220:221], v[218:219]
	s_delay_alu instid0(VALU_DEP_1) | instskip(NEXT) | instid1(VALU_DEP_1)
	v_mul_f64 v[220:221], v[222:223], v[218:219]
	v_fma_f64 v[216:217], -v[216:217], v[220:221], v[222:223]
	s_delay_alu instid0(VALU_DEP_1) | instskip(NEXT) | instid1(VALU_DEP_1)
	v_div_fmas_f64 v[216:217], v[216:217], v[218:219], v[220:221]
	v_div_fixup_f64 v[216:217], v[216:217], v[214:215], v[212:213]
	s_delay_alu instid0(VALU_DEP_1) | instskip(NEXT) | instid1(VALU_DEP_1)
	v_fma_f64 v[212:213], v[212:213], v[216:217], v[214:215]
	v_div_scale_f64 v[214:215], null, v[212:213], v[212:213], 1.0
	s_delay_alu instid0(VALU_DEP_1) | instskip(SKIP_2) | instid1(VALU_DEP_1)
	v_rcp_f64_e32 v[218:219], v[214:215]
	s_waitcnt_depctr 0xfff
	v_fma_f64 v[220:221], -v[214:215], v[218:219], 1.0
	v_fma_f64 v[218:219], v[218:219], v[220:221], v[218:219]
	s_delay_alu instid0(VALU_DEP_1) | instskip(NEXT) | instid1(VALU_DEP_1)
	v_fma_f64 v[220:221], -v[214:215], v[218:219], 1.0
	v_fma_f64 v[218:219], v[218:219], v[220:221], v[218:219]
	v_div_scale_f64 v[220:221], vcc_lo, 1.0, v[212:213], 1.0
	s_delay_alu instid0(VALU_DEP_1) | instskip(NEXT) | instid1(VALU_DEP_1)
	v_mul_f64 v[222:223], v[220:221], v[218:219]
	v_fma_f64 v[214:215], -v[214:215], v[222:223], v[220:221]
	s_delay_alu instid0(VALU_DEP_1) | instskip(NEXT) | instid1(VALU_DEP_1)
	v_div_fmas_f64 v[214:215], v[214:215], v[218:219], v[222:223]
	v_div_fixup_f64 v[218:219], v[214:215], v[212:213], 1.0
                                        ; implicit-def: $vgpr212_vgpr213
	s_delay_alu instid0(VALU_DEP_1)
	v_mul_f64 v[220:221], v[216:217], v[218:219]
	v_xor_b32_e32 v219, 0x80000000, v219
.LBB99_410:
	s_and_not1_saveexec_b32 s3, s3
	s_cbranch_execz .LBB99_412
; %bb.411:
	v_div_scale_f64 v[216:217], null, v[212:213], v[212:213], v[214:215]
	v_div_scale_f64 v[222:223], vcc_lo, v[214:215], v[212:213], v[214:215]
	s_delay_alu instid0(VALU_DEP_2) | instskip(SKIP_2) | instid1(VALU_DEP_1)
	v_rcp_f64_e32 v[218:219], v[216:217]
	s_waitcnt_depctr 0xfff
	v_fma_f64 v[220:221], -v[216:217], v[218:219], 1.0
	v_fma_f64 v[218:219], v[218:219], v[220:221], v[218:219]
	s_delay_alu instid0(VALU_DEP_1) | instskip(NEXT) | instid1(VALU_DEP_1)
	v_fma_f64 v[220:221], -v[216:217], v[218:219], 1.0
	v_fma_f64 v[218:219], v[218:219], v[220:221], v[218:219]
	s_delay_alu instid0(VALU_DEP_1) | instskip(NEXT) | instid1(VALU_DEP_1)
	v_mul_f64 v[220:221], v[222:223], v[218:219]
	v_fma_f64 v[216:217], -v[216:217], v[220:221], v[222:223]
	s_delay_alu instid0(VALU_DEP_1) | instskip(NEXT) | instid1(VALU_DEP_1)
	v_div_fmas_f64 v[216:217], v[216:217], v[218:219], v[220:221]
	v_div_fixup_f64 v[216:217], v[216:217], v[212:213], v[214:215]
	s_delay_alu instid0(VALU_DEP_1) | instskip(NEXT) | instid1(VALU_DEP_1)
	v_fma_f64 v[212:213], v[214:215], v[216:217], v[212:213]
	v_div_scale_f64 v[214:215], null, v[212:213], v[212:213], 1.0
	s_delay_alu instid0(VALU_DEP_1) | instskip(SKIP_2) | instid1(VALU_DEP_1)
	v_rcp_f64_e32 v[218:219], v[214:215]
	s_waitcnt_depctr 0xfff
	v_fma_f64 v[220:221], -v[214:215], v[218:219], 1.0
	v_fma_f64 v[218:219], v[218:219], v[220:221], v[218:219]
	s_delay_alu instid0(VALU_DEP_1) | instskip(NEXT) | instid1(VALU_DEP_1)
	v_fma_f64 v[220:221], -v[214:215], v[218:219], 1.0
	v_fma_f64 v[218:219], v[218:219], v[220:221], v[218:219]
	v_div_scale_f64 v[220:221], vcc_lo, 1.0, v[212:213], 1.0
	s_delay_alu instid0(VALU_DEP_1) | instskip(NEXT) | instid1(VALU_DEP_1)
	v_mul_f64 v[222:223], v[220:221], v[218:219]
	v_fma_f64 v[214:215], -v[214:215], v[222:223], v[220:221]
	s_delay_alu instid0(VALU_DEP_1) | instskip(NEXT) | instid1(VALU_DEP_1)
	v_div_fmas_f64 v[214:215], v[214:215], v[218:219], v[222:223]
	v_div_fixup_f64 v[220:221], v[214:215], v[212:213], 1.0
	s_delay_alu instid0(VALU_DEP_1)
	v_mul_f64 v[218:219], v[216:217], -v[220:221]
.LBB99_412:
	s_or_b32 exec_lo, exec_lo, s3
	ds_store_2addr_b64 v235, v[220:221], v[218:219] offset1:1
.LBB99_413:
	s_or_b32 exec_lo, exec_lo, s4
	s_waitcnt lgkmcnt(0)
	s_barrier
	buffer_gl0_inv
	ds_load_2addr_b64 v[212:215], v235 offset1:1
	s_mov_b32 s3, exec_lo
	v_cmpx_lt_u32_e32 45, v234
	s_cbranch_execz .LBB99_415
; %bb.414:
	s_waitcnt lgkmcnt(0)
	v_mul_f64 v[216:217], v[212:213], v[18:19]
	v_mul_f64 v[18:19], v[214:215], v[18:19]
	s_delay_alu instid0(VALU_DEP_2) | instskip(SKIP_4) | instid1(VALU_DEP_1)
	v_fma_f64 v[220:221], v[214:215], v[16:17], v[216:217]
	ds_load_2addr_b64 v[216:219], v236 offset0:92 offset1:93
	v_fma_f64 v[16:17], v[212:213], v[16:17], -v[18:19]
	s_waitcnt lgkmcnt(0)
	v_mul_f64 v[18:19], v[218:219], v[220:221]
	v_fma_f64 v[18:19], v[216:217], v[16:17], -v[18:19]
	v_mul_f64 v[216:217], v[216:217], v[220:221]
	s_delay_alu instid0(VALU_DEP_2) | instskip(NEXT) | instid1(VALU_DEP_2)
	v_add_f64 v[12:13], v[12:13], -v[18:19]
	v_fma_f64 v[216:217], v[218:219], v[16:17], v[216:217]
	s_delay_alu instid0(VALU_DEP_1) | instskip(SKIP_3) | instid1(VALU_DEP_1)
	v_add_f64 v[14:15], v[14:15], -v[216:217]
	ds_load_2addr_b64 v[216:219], v236 offset0:94 offset1:95
	s_waitcnt lgkmcnt(0)
	v_mul_f64 v[18:19], v[218:219], v[220:221]
	v_fma_f64 v[18:19], v[216:217], v[16:17], -v[18:19]
	v_mul_f64 v[216:217], v[216:217], v[220:221]
	s_delay_alu instid0(VALU_DEP_2) | instskip(NEXT) | instid1(VALU_DEP_2)
	v_add_f64 v[8:9], v[8:9], -v[18:19]
	v_fma_f64 v[216:217], v[218:219], v[16:17], v[216:217]
	s_delay_alu instid0(VALU_DEP_1) | instskip(SKIP_3) | instid1(VALU_DEP_1)
	v_add_f64 v[10:11], v[10:11], -v[216:217]
	ds_load_2addr_b64 v[216:219], v236 offset0:96 offset1:97
	;; [unrolled: 10-line block ×3, first 2 shown]
	s_waitcnt lgkmcnt(0)
	v_mul_f64 v[18:19], v[218:219], v[220:221]
	v_fma_f64 v[18:19], v[216:217], v[16:17], -v[18:19]
	v_mul_f64 v[216:217], v[216:217], v[220:221]
	s_delay_alu instid0(VALU_DEP_2) | instskip(NEXT) | instid1(VALU_DEP_2)
	v_add_f64 v[0:1], v[0:1], -v[18:19]
	v_fma_f64 v[216:217], v[218:219], v[16:17], v[216:217]
	v_dual_mov_b32 v18, v220 :: v_dual_mov_b32 v19, v221
	s_delay_alu instid0(VALU_DEP_2)
	v_add_f64 v[2:3], v[2:3], -v[216:217]
.LBB99_415:
	s_or_b32 exec_lo, exec_lo, s3
	s_delay_alu instid0(SALU_CYCLE_1)
	s_mov_b32 s4, exec_lo
	s_waitcnt lgkmcnt(0)
	s_barrier
	buffer_gl0_inv
	v_cmpx_eq_u32_e32 46, v234
	s_cbranch_execz .LBB99_422
; %bb.416:
	ds_store_2addr_b64 v235, v[12:13], v[14:15] offset1:1
	ds_store_2addr_b64 v236, v[8:9], v[10:11] offset0:94 offset1:95
	ds_store_2addr_b64 v236, v[4:5], v[6:7] offset0:96 offset1:97
	;; [unrolled: 1-line block ×3, first 2 shown]
	ds_load_2addr_b64 v[216:219], v235 offset1:1
	s_waitcnt lgkmcnt(0)
	v_cmp_neq_f64_e32 vcc_lo, 0, v[216:217]
	v_cmp_neq_f64_e64 s3, 0, v[218:219]
	s_delay_alu instid0(VALU_DEP_1) | instskip(NEXT) | instid1(SALU_CYCLE_1)
	s_or_b32 s3, vcc_lo, s3
	s_and_b32 exec_lo, exec_lo, s3
	s_cbranch_execz .LBB99_422
; %bb.417:
	v_cmp_gt_f64_e32 vcc_lo, 0, v[216:217]
	v_xor_b32_e32 v220, 0x80000000, v217
	v_xor_b32_e32 v222, 0x80000000, v219
	s_mov_b32 s3, exec_lo
                                        ; implicit-def: $vgpr224_vgpr225
	s_delay_alu instid0(VALU_DEP_2) | instskip(SKIP_4) | instid1(VALU_DEP_1)
	v_cndmask_b32_e32 v221, v217, v220, vcc_lo
	v_cndmask_b32_e32 v220, v216, v216, vcc_lo
	v_cmp_gt_f64_e32 vcc_lo, 0, v[218:219]
	v_cndmask_b32_e32 v223, v219, v222, vcc_lo
	v_cndmask_b32_e32 v222, v218, v218, vcc_lo
	v_cmpx_ngt_f64_e32 v[220:221], v[222:223]
	s_xor_b32 s3, exec_lo, s3
                                        ; implicit-def: $vgpr220_vgpr221_vgpr222_vgpr223
	s_cbranch_execz .LBB99_419
; %bb.418:
	v_div_scale_f64 v[220:221], null, v[218:219], v[218:219], v[216:217]
	v_div_scale_f64 v[226:227], vcc_lo, v[216:217], v[218:219], v[216:217]
	s_delay_alu instid0(VALU_DEP_2) | instskip(SKIP_2) | instid1(VALU_DEP_1)
	v_rcp_f64_e32 v[222:223], v[220:221]
	s_waitcnt_depctr 0xfff
	v_fma_f64 v[224:225], -v[220:221], v[222:223], 1.0
	v_fma_f64 v[222:223], v[222:223], v[224:225], v[222:223]
	s_delay_alu instid0(VALU_DEP_1) | instskip(NEXT) | instid1(VALU_DEP_1)
	v_fma_f64 v[224:225], -v[220:221], v[222:223], 1.0
	v_fma_f64 v[222:223], v[222:223], v[224:225], v[222:223]
	s_delay_alu instid0(VALU_DEP_1) | instskip(NEXT) | instid1(VALU_DEP_1)
	v_mul_f64 v[224:225], v[226:227], v[222:223]
	v_fma_f64 v[220:221], -v[220:221], v[224:225], v[226:227]
	s_delay_alu instid0(VALU_DEP_1) | instskip(NEXT) | instid1(VALU_DEP_1)
	v_div_fmas_f64 v[220:221], v[220:221], v[222:223], v[224:225]
	v_div_fixup_f64 v[220:221], v[220:221], v[218:219], v[216:217]
	s_delay_alu instid0(VALU_DEP_1) | instskip(NEXT) | instid1(VALU_DEP_1)
	v_fma_f64 v[216:217], v[216:217], v[220:221], v[218:219]
	v_div_scale_f64 v[218:219], null, v[216:217], v[216:217], 1.0
	s_delay_alu instid0(VALU_DEP_1) | instskip(SKIP_2) | instid1(VALU_DEP_1)
	v_rcp_f64_e32 v[222:223], v[218:219]
	s_waitcnt_depctr 0xfff
	v_fma_f64 v[224:225], -v[218:219], v[222:223], 1.0
	v_fma_f64 v[222:223], v[222:223], v[224:225], v[222:223]
	s_delay_alu instid0(VALU_DEP_1) | instskip(NEXT) | instid1(VALU_DEP_1)
	v_fma_f64 v[224:225], -v[218:219], v[222:223], 1.0
	v_fma_f64 v[222:223], v[222:223], v[224:225], v[222:223]
	v_div_scale_f64 v[224:225], vcc_lo, 1.0, v[216:217], 1.0
	s_delay_alu instid0(VALU_DEP_1) | instskip(NEXT) | instid1(VALU_DEP_1)
	v_mul_f64 v[226:227], v[224:225], v[222:223]
	v_fma_f64 v[218:219], -v[218:219], v[226:227], v[224:225]
	s_delay_alu instid0(VALU_DEP_1) | instskip(NEXT) | instid1(VALU_DEP_1)
	v_div_fmas_f64 v[218:219], v[218:219], v[222:223], v[226:227]
	v_div_fixup_f64 v[222:223], v[218:219], v[216:217], 1.0
                                        ; implicit-def: $vgpr216_vgpr217
	s_delay_alu instid0(VALU_DEP_1)
	v_mul_f64 v[224:225], v[220:221], v[222:223]
	v_xor_b32_e32 v223, 0x80000000, v223
.LBB99_419:
	s_and_not1_saveexec_b32 s3, s3
	s_cbranch_execz .LBB99_421
; %bb.420:
	v_div_scale_f64 v[220:221], null, v[216:217], v[216:217], v[218:219]
	v_div_scale_f64 v[226:227], vcc_lo, v[218:219], v[216:217], v[218:219]
	s_delay_alu instid0(VALU_DEP_2) | instskip(SKIP_2) | instid1(VALU_DEP_1)
	v_rcp_f64_e32 v[222:223], v[220:221]
	s_waitcnt_depctr 0xfff
	v_fma_f64 v[224:225], -v[220:221], v[222:223], 1.0
	v_fma_f64 v[222:223], v[222:223], v[224:225], v[222:223]
	s_delay_alu instid0(VALU_DEP_1) | instskip(NEXT) | instid1(VALU_DEP_1)
	v_fma_f64 v[224:225], -v[220:221], v[222:223], 1.0
	v_fma_f64 v[222:223], v[222:223], v[224:225], v[222:223]
	s_delay_alu instid0(VALU_DEP_1) | instskip(NEXT) | instid1(VALU_DEP_1)
	v_mul_f64 v[224:225], v[226:227], v[222:223]
	v_fma_f64 v[220:221], -v[220:221], v[224:225], v[226:227]
	s_delay_alu instid0(VALU_DEP_1) | instskip(NEXT) | instid1(VALU_DEP_1)
	v_div_fmas_f64 v[220:221], v[220:221], v[222:223], v[224:225]
	v_div_fixup_f64 v[220:221], v[220:221], v[216:217], v[218:219]
	s_delay_alu instid0(VALU_DEP_1) | instskip(NEXT) | instid1(VALU_DEP_1)
	v_fma_f64 v[216:217], v[218:219], v[220:221], v[216:217]
	v_div_scale_f64 v[218:219], null, v[216:217], v[216:217], 1.0
	s_delay_alu instid0(VALU_DEP_1) | instskip(SKIP_2) | instid1(VALU_DEP_1)
	v_rcp_f64_e32 v[222:223], v[218:219]
	s_waitcnt_depctr 0xfff
	v_fma_f64 v[224:225], -v[218:219], v[222:223], 1.0
	v_fma_f64 v[222:223], v[222:223], v[224:225], v[222:223]
	s_delay_alu instid0(VALU_DEP_1) | instskip(NEXT) | instid1(VALU_DEP_1)
	v_fma_f64 v[224:225], -v[218:219], v[222:223], 1.0
	v_fma_f64 v[222:223], v[222:223], v[224:225], v[222:223]
	v_div_scale_f64 v[224:225], vcc_lo, 1.0, v[216:217], 1.0
	s_delay_alu instid0(VALU_DEP_1) | instskip(NEXT) | instid1(VALU_DEP_1)
	v_mul_f64 v[226:227], v[224:225], v[222:223]
	v_fma_f64 v[218:219], -v[218:219], v[226:227], v[224:225]
	s_delay_alu instid0(VALU_DEP_1) | instskip(NEXT) | instid1(VALU_DEP_1)
	v_div_fmas_f64 v[218:219], v[218:219], v[222:223], v[226:227]
	v_div_fixup_f64 v[224:225], v[218:219], v[216:217], 1.0
	s_delay_alu instid0(VALU_DEP_1)
	v_mul_f64 v[222:223], v[220:221], -v[224:225]
.LBB99_421:
	s_or_b32 exec_lo, exec_lo, s3
	ds_store_2addr_b64 v235, v[224:225], v[222:223] offset1:1
.LBB99_422:
	s_or_b32 exec_lo, exec_lo, s4
	s_waitcnt lgkmcnt(0)
	s_barrier
	buffer_gl0_inv
	ds_load_2addr_b64 v[216:219], v235 offset1:1
	s_mov_b32 s3, exec_lo
	v_cmpx_lt_u32_e32 46, v234
	s_cbranch_execz .LBB99_424
; %bb.423:
	s_waitcnt lgkmcnt(0)
	v_mul_f64 v[220:221], v[216:217], v[14:15]
	v_mul_f64 v[14:15], v[218:219], v[14:15]
	s_delay_alu instid0(VALU_DEP_2) | instskip(SKIP_4) | instid1(VALU_DEP_1)
	v_fma_f64 v[224:225], v[218:219], v[12:13], v[220:221]
	ds_load_2addr_b64 v[220:223], v236 offset0:94 offset1:95
	v_fma_f64 v[12:13], v[216:217], v[12:13], -v[14:15]
	s_waitcnt lgkmcnt(0)
	v_mul_f64 v[14:15], v[222:223], v[224:225]
	v_fma_f64 v[14:15], v[220:221], v[12:13], -v[14:15]
	v_mul_f64 v[220:221], v[220:221], v[224:225]
	s_delay_alu instid0(VALU_DEP_2) | instskip(NEXT) | instid1(VALU_DEP_2)
	v_add_f64 v[8:9], v[8:9], -v[14:15]
	v_fma_f64 v[220:221], v[222:223], v[12:13], v[220:221]
	s_delay_alu instid0(VALU_DEP_1) | instskip(SKIP_3) | instid1(VALU_DEP_1)
	v_add_f64 v[10:11], v[10:11], -v[220:221]
	ds_load_2addr_b64 v[220:223], v236 offset0:96 offset1:97
	s_waitcnt lgkmcnt(0)
	v_mul_f64 v[14:15], v[222:223], v[224:225]
	v_fma_f64 v[14:15], v[220:221], v[12:13], -v[14:15]
	v_mul_f64 v[220:221], v[220:221], v[224:225]
	s_delay_alu instid0(VALU_DEP_2) | instskip(NEXT) | instid1(VALU_DEP_2)
	v_add_f64 v[4:5], v[4:5], -v[14:15]
	v_fma_f64 v[220:221], v[222:223], v[12:13], v[220:221]
	s_delay_alu instid0(VALU_DEP_1) | instskip(SKIP_3) | instid1(VALU_DEP_1)
	v_add_f64 v[6:7], v[6:7], -v[220:221]
	ds_load_2addr_b64 v[220:223], v236 offset0:98 offset1:99
	s_waitcnt lgkmcnt(0)
	v_mul_f64 v[14:15], v[222:223], v[224:225]
	v_fma_f64 v[14:15], v[220:221], v[12:13], -v[14:15]
	v_mul_f64 v[220:221], v[220:221], v[224:225]
	s_delay_alu instid0(VALU_DEP_2) | instskip(NEXT) | instid1(VALU_DEP_2)
	v_add_f64 v[0:1], v[0:1], -v[14:15]
	v_fma_f64 v[220:221], v[222:223], v[12:13], v[220:221]
	v_dual_mov_b32 v14, v224 :: v_dual_mov_b32 v15, v225
	s_delay_alu instid0(VALU_DEP_2)
	v_add_f64 v[2:3], v[2:3], -v[220:221]
.LBB99_424:
	s_or_b32 exec_lo, exec_lo, s3
	s_delay_alu instid0(SALU_CYCLE_1)
	s_mov_b32 s4, exec_lo
	s_waitcnt lgkmcnt(0)
	s_barrier
	buffer_gl0_inv
	v_cmpx_eq_u32_e32 47, v234
	s_cbranch_execz .LBB99_431
; %bb.425:
	ds_store_2addr_b64 v235, v[8:9], v[10:11] offset1:1
	ds_store_2addr_b64 v236, v[4:5], v[6:7] offset0:96 offset1:97
	ds_store_2addr_b64 v236, v[0:1], v[2:3] offset0:98 offset1:99
	ds_load_2addr_b64 v[220:223], v235 offset1:1
	s_waitcnt lgkmcnt(0)
	v_cmp_neq_f64_e32 vcc_lo, 0, v[220:221]
	v_cmp_neq_f64_e64 s3, 0, v[222:223]
	s_delay_alu instid0(VALU_DEP_1) | instskip(NEXT) | instid1(SALU_CYCLE_1)
	s_or_b32 s3, vcc_lo, s3
	s_and_b32 exec_lo, exec_lo, s3
	s_cbranch_execz .LBB99_431
; %bb.426:
	v_cmp_gt_f64_e32 vcc_lo, 0, v[220:221]
	v_xor_b32_e32 v224, 0x80000000, v221
	v_xor_b32_e32 v226, 0x80000000, v223
	s_mov_b32 s3, exec_lo
                                        ; implicit-def: $vgpr228_vgpr229
	s_delay_alu instid0(VALU_DEP_2) | instskip(SKIP_4) | instid1(VALU_DEP_1)
	v_cndmask_b32_e32 v225, v221, v224, vcc_lo
	v_cndmask_b32_e32 v224, v220, v220, vcc_lo
	v_cmp_gt_f64_e32 vcc_lo, 0, v[222:223]
	v_cndmask_b32_e32 v227, v223, v226, vcc_lo
	v_cndmask_b32_e32 v226, v222, v222, vcc_lo
	v_cmpx_ngt_f64_e32 v[224:225], v[226:227]
	s_xor_b32 s3, exec_lo, s3
                                        ; implicit-def: $vgpr224_vgpr225_vgpr226_vgpr227
	s_cbranch_execz .LBB99_428
; %bb.427:
	v_div_scale_f64 v[224:225], null, v[222:223], v[222:223], v[220:221]
	v_div_scale_f64 v[230:231], vcc_lo, v[220:221], v[222:223], v[220:221]
	s_delay_alu instid0(VALU_DEP_2) | instskip(SKIP_2) | instid1(VALU_DEP_1)
	v_rcp_f64_e32 v[226:227], v[224:225]
	s_waitcnt_depctr 0xfff
	v_fma_f64 v[228:229], -v[224:225], v[226:227], 1.0
	v_fma_f64 v[226:227], v[226:227], v[228:229], v[226:227]
	s_delay_alu instid0(VALU_DEP_1) | instskip(NEXT) | instid1(VALU_DEP_1)
	v_fma_f64 v[228:229], -v[224:225], v[226:227], 1.0
	v_fma_f64 v[226:227], v[226:227], v[228:229], v[226:227]
	s_delay_alu instid0(VALU_DEP_1) | instskip(NEXT) | instid1(VALU_DEP_1)
	v_mul_f64 v[228:229], v[230:231], v[226:227]
	v_fma_f64 v[224:225], -v[224:225], v[228:229], v[230:231]
	s_delay_alu instid0(VALU_DEP_1) | instskip(NEXT) | instid1(VALU_DEP_1)
	v_div_fmas_f64 v[224:225], v[224:225], v[226:227], v[228:229]
	v_div_fixup_f64 v[224:225], v[224:225], v[222:223], v[220:221]
	s_delay_alu instid0(VALU_DEP_1) | instskip(NEXT) | instid1(VALU_DEP_1)
	v_fma_f64 v[220:221], v[220:221], v[224:225], v[222:223]
	v_div_scale_f64 v[222:223], null, v[220:221], v[220:221], 1.0
	s_delay_alu instid0(VALU_DEP_1) | instskip(SKIP_2) | instid1(VALU_DEP_1)
	v_rcp_f64_e32 v[226:227], v[222:223]
	s_waitcnt_depctr 0xfff
	v_fma_f64 v[228:229], -v[222:223], v[226:227], 1.0
	v_fma_f64 v[226:227], v[226:227], v[228:229], v[226:227]
	s_delay_alu instid0(VALU_DEP_1) | instskip(NEXT) | instid1(VALU_DEP_1)
	v_fma_f64 v[228:229], -v[222:223], v[226:227], 1.0
	v_fma_f64 v[226:227], v[226:227], v[228:229], v[226:227]
	v_div_scale_f64 v[228:229], vcc_lo, 1.0, v[220:221], 1.0
	s_delay_alu instid0(VALU_DEP_1) | instskip(NEXT) | instid1(VALU_DEP_1)
	v_mul_f64 v[230:231], v[228:229], v[226:227]
	v_fma_f64 v[222:223], -v[222:223], v[230:231], v[228:229]
	s_delay_alu instid0(VALU_DEP_1) | instskip(NEXT) | instid1(VALU_DEP_1)
	v_div_fmas_f64 v[222:223], v[222:223], v[226:227], v[230:231]
	v_div_fixup_f64 v[226:227], v[222:223], v[220:221], 1.0
                                        ; implicit-def: $vgpr220_vgpr221
	s_delay_alu instid0(VALU_DEP_1)
	v_mul_f64 v[228:229], v[224:225], v[226:227]
	v_xor_b32_e32 v227, 0x80000000, v227
.LBB99_428:
	s_and_not1_saveexec_b32 s3, s3
	s_cbranch_execz .LBB99_430
; %bb.429:
	v_div_scale_f64 v[224:225], null, v[220:221], v[220:221], v[222:223]
	v_div_scale_f64 v[230:231], vcc_lo, v[222:223], v[220:221], v[222:223]
	s_delay_alu instid0(VALU_DEP_2) | instskip(SKIP_2) | instid1(VALU_DEP_1)
	v_rcp_f64_e32 v[226:227], v[224:225]
	s_waitcnt_depctr 0xfff
	v_fma_f64 v[228:229], -v[224:225], v[226:227], 1.0
	v_fma_f64 v[226:227], v[226:227], v[228:229], v[226:227]
	s_delay_alu instid0(VALU_DEP_1) | instskip(NEXT) | instid1(VALU_DEP_1)
	v_fma_f64 v[228:229], -v[224:225], v[226:227], 1.0
	v_fma_f64 v[226:227], v[226:227], v[228:229], v[226:227]
	s_delay_alu instid0(VALU_DEP_1) | instskip(NEXT) | instid1(VALU_DEP_1)
	v_mul_f64 v[228:229], v[230:231], v[226:227]
	v_fma_f64 v[224:225], -v[224:225], v[228:229], v[230:231]
	s_delay_alu instid0(VALU_DEP_1) | instskip(NEXT) | instid1(VALU_DEP_1)
	v_div_fmas_f64 v[224:225], v[224:225], v[226:227], v[228:229]
	v_div_fixup_f64 v[224:225], v[224:225], v[220:221], v[222:223]
	s_delay_alu instid0(VALU_DEP_1) | instskip(NEXT) | instid1(VALU_DEP_1)
	v_fma_f64 v[220:221], v[222:223], v[224:225], v[220:221]
	v_div_scale_f64 v[222:223], null, v[220:221], v[220:221], 1.0
	s_delay_alu instid0(VALU_DEP_1) | instskip(SKIP_2) | instid1(VALU_DEP_1)
	v_rcp_f64_e32 v[226:227], v[222:223]
	s_waitcnt_depctr 0xfff
	v_fma_f64 v[228:229], -v[222:223], v[226:227], 1.0
	v_fma_f64 v[226:227], v[226:227], v[228:229], v[226:227]
	s_delay_alu instid0(VALU_DEP_1) | instskip(NEXT) | instid1(VALU_DEP_1)
	v_fma_f64 v[228:229], -v[222:223], v[226:227], 1.0
	v_fma_f64 v[226:227], v[226:227], v[228:229], v[226:227]
	v_div_scale_f64 v[228:229], vcc_lo, 1.0, v[220:221], 1.0
	s_delay_alu instid0(VALU_DEP_1) | instskip(NEXT) | instid1(VALU_DEP_1)
	v_mul_f64 v[230:231], v[228:229], v[226:227]
	v_fma_f64 v[222:223], -v[222:223], v[230:231], v[228:229]
	s_delay_alu instid0(VALU_DEP_1) | instskip(NEXT) | instid1(VALU_DEP_1)
	v_div_fmas_f64 v[222:223], v[222:223], v[226:227], v[230:231]
	v_div_fixup_f64 v[228:229], v[222:223], v[220:221], 1.0
	s_delay_alu instid0(VALU_DEP_1)
	v_mul_f64 v[226:227], v[224:225], -v[228:229]
.LBB99_430:
	s_or_b32 exec_lo, exec_lo, s3
	ds_store_2addr_b64 v235, v[228:229], v[226:227] offset1:1
.LBB99_431:
	s_or_b32 exec_lo, exec_lo, s4
	s_waitcnt lgkmcnt(0)
	s_barrier
	buffer_gl0_inv
	ds_load_2addr_b64 v[220:223], v235 offset1:1
	s_mov_b32 s3, exec_lo
	v_cmpx_lt_u32_e32 47, v234
	s_cbranch_execz .LBB99_433
; %bb.432:
	s_waitcnt lgkmcnt(0)
	v_mul_f64 v[224:225], v[220:221], v[10:11]
	v_mul_f64 v[10:11], v[222:223], v[10:11]
	s_delay_alu instid0(VALU_DEP_2) | instskip(SKIP_4) | instid1(VALU_DEP_1)
	v_fma_f64 v[228:229], v[222:223], v[8:9], v[224:225]
	ds_load_2addr_b64 v[224:227], v236 offset0:96 offset1:97
	v_fma_f64 v[8:9], v[220:221], v[8:9], -v[10:11]
	s_waitcnt lgkmcnt(0)
	v_mul_f64 v[10:11], v[226:227], v[228:229]
	v_fma_f64 v[10:11], v[224:225], v[8:9], -v[10:11]
	v_mul_f64 v[224:225], v[224:225], v[228:229]
	s_delay_alu instid0(VALU_DEP_2) | instskip(NEXT) | instid1(VALU_DEP_2)
	v_add_f64 v[4:5], v[4:5], -v[10:11]
	v_fma_f64 v[224:225], v[226:227], v[8:9], v[224:225]
	s_delay_alu instid0(VALU_DEP_1) | instskip(SKIP_3) | instid1(VALU_DEP_1)
	v_add_f64 v[6:7], v[6:7], -v[224:225]
	ds_load_2addr_b64 v[224:227], v236 offset0:98 offset1:99
	s_waitcnt lgkmcnt(0)
	v_mul_f64 v[10:11], v[226:227], v[228:229]
	v_fma_f64 v[10:11], v[224:225], v[8:9], -v[10:11]
	v_mul_f64 v[224:225], v[224:225], v[228:229]
	s_delay_alu instid0(VALU_DEP_2) | instskip(NEXT) | instid1(VALU_DEP_2)
	v_add_f64 v[0:1], v[0:1], -v[10:11]
	v_fma_f64 v[224:225], v[226:227], v[8:9], v[224:225]
	v_dual_mov_b32 v10, v228 :: v_dual_mov_b32 v11, v229
	s_delay_alu instid0(VALU_DEP_2)
	v_add_f64 v[2:3], v[2:3], -v[224:225]
.LBB99_433:
	s_or_b32 exec_lo, exec_lo, s3
	s_delay_alu instid0(SALU_CYCLE_1)
	s_mov_b32 s4, exec_lo
	s_waitcnt lgkmcnt(0)
	s_barrier
	buffer_gl0_inv
	v_cmpx_eq_u32_e32 48, v234
	s_cbranch_execz .LBB99_440
; %bb.434:
	ds_store_2addr_b64 v235, v[4:5], v[6:7] offset1:1
	ds_store_2addr_b64 v236, v[0:1], v[2:3] offset0:98 offset1:99
	ds_load_2addr_b64 v[224:227], v235 offset1:1
	s_waitcnt lgkmcnt(0)
	v_cmp_neq_f64_e32 vcc_lo, 0, v[224:225]
	v_cmp_neq_f64_e64 s3, 0, v[226:227]
	s_delay_alu instid0(VALU_DEP_1) | instskip(NEXT) | instid1(SALU_CYCLE_1)
	s_or_b32 s3, vcc_lo, s3
	s_and_b32 exec_lo, exec_lo, s3
	s_cbranch_execz .LBB99_440
; %bb.435:
	v_cmp_gt_f64_e32 vcc_lo, 0, v[224:225]
	v_xor_b32_e32 v228, 0x80000000, v225
	v_xor_b32_e32 v230, 0x80000000, v227
	s_mov_b32 s3, exec_lo
                                        ; implicit-def: $vgpr232_vgpr233
	s_delay_alu instid0(VALU_DEP_2) | instskip(SKIP_4) | instid1(VALU_DEP_1)
	v_cndmask_b32_e32 v229, v225, v228, vcc_lo
	v_cndmask_b32_e32 v228, v224, v224, vcc_lo
	v_cmp_gt_f64_e32 vcc_lo, 0, v[226:227]
	v_cndmask_b32_e32 v231, v227, v230, vcc_lo
	v_cndmask_b32_e32 v230, v226, v226, vcc_lo
	v_cmpx_ngt_f64_e32 v[228:229], v[230:231]
	s_xor_b32 s3, exec_lo, s3
                                        ; implicit-def: $vgpr228_vgpr229_vgpr230_vgpr231
	s_cbranch_execz .LBB99_437
; %bb.436:
	v_div_scale_f64 v[228:229], null, v[226:227], v[226:227], v[224:225]
	v_dual_mov_b32 v196, v237 :: v_dual_mov_b32 v197, v238
	v_div_scale_f64 v[237:238], vcc_lo, v[224:225], v[226:227], v[224:225]
	s_delay_alu instid0(VALU_DEP_3) | instskip(SKIP_2) | instid1(VALU_DEP_1)
	v_rcp_f64_e32 v[230:231], v[228:229]
	s_waitcnt_depctr 0xfff
	v_fma_f64 v[232:233], -v[228:229], v[230:231], 1.0
	v_fma_f64 v[230:231], v[230:231], v[232:233], v[230:231]
	s_delay_alu instid0(VALU_DEP_1) | instskip(NEXT) | instid1(VALU_DEP_1)
	v_fma_f64 v[232:233], -v[228:229], v[230:231], 1.0
	v_fma_f64 v[230:231], v[230:231], v[232:233], v[230:231]
	s_delay_alu instid0(VALU_DEP_1) | instskip(NEXT) | instid1(VALU_DEP_1)
	v_mul_f64 v[232:233], v[237:238], v[230:231]
	v_fma_f64 v[228:229], -v[228:229], v[232:233], v[237:238]
	s_delay_alu instid0(VALU_DEP_1) | instskip(NEXT) | instid1(VALU_DEP_1)
	v_div_fmas_f64 v[228:229], v[228:229], v[230:231], v[232:233]
	v_div_fixup_f64 v[228:229], v[228:229], v[226:227], v[224:225]
	s_delay_alu instid0(VALU_DEP_1) | instskip(NEXT) | instid1(VALU_DEP_1)
	v_fma_f64 v[224:225], v[224:225], v[228:229], v[226:227]
	v_div_scale_f64 v[226:227], null, v[224:225], v[224:225], 1.0
	s_delay_alu instid0(VALU_DEP_1) | instskip(SKIP_2) | instid1(VALU_DEP_1)
	v_rcp_f64_e32 v[230:231], v[226:227]
	s_waitcnt_depctr 0xfff
	v_fma_f64 v[232:233], -v[226:227], v[230:231], 1.0
	v_fma_f64 v[230:231], v[230:231], v[232:233], v[230:231]
	s_delay_alu instid0(VALU_DEP_1) | instskip(NEXT) | instid1(VALU_DEP_1)
	v_fma_f64 v[232:233], -v[226:227], v[230:231], 1.0
	v_fma_f64 v[230:231], v[230:231], v[232:233], v[230:231]
	v_div_scale_f64 v[232:233], vcc_lo, 1.0, v[224:225], 1.0
	s_delay_alu instid0(VALU_DEP_1) | instskip(NEXT) | instid1(VALU_DEP_1)
	v_mul_f64 v[237:238], v[232:233], v[230:231]
	v_fma_f64 v[226:227], -v[226:227], v[237:238], v[232:233]
	s_delay_alu instid0(VALU_DEP_1) | instskip(SKIP_1) | instid1(VALU_DEP_2)
	v_div_fmas_f64 v[226:227], v[226:227], v[230:231], v[237:238]
	v_dual_mov_b32 v238, v197 :: v_dual_mov_b32 v237, v196
	v_div_fixup_f64 v[230:231], v[226:227], v[224:225], 1.0
                                        ; implicit-def: $vgpr224_vgpr225
	s_delay_alu instid0(VALU_DEP_1)
	v_mul_f64 v[232:233], v[228:229], v[230:231]
	v_xor_b32_e32 v231, 0x80000000, v231
.LBB99_437:
	s_and_not1_saveexec_b32 s3, s3
	s_cbranch_execz .LBB99_439
; %bb.438:
	v_div_scale_f64 v[228:229], null, v[224:225], v[224:225], v[226:227]
	v_dual_mov_b32 v196, v237 :: v_dual_mov_b32 v197, v238
	v_div_scale_f64 v[237:238], vcc_lo, v[226:227], v[224:225], v[226:227]
	s_delay_alu instid0(VALU_DEP_3) | instskip(SKIP_2) | instid1(VALU_DEP_1)
	v_rcp_f64_e32 v[230:231], v[228:229]
	s_waitcnt_depctr 0xfff
	v_fma_f64 v[232:233], -v[228:229], v[230:231], 1.0
	v_fma_f64 v[230:231], v[230:231], v[232:233], v[230:231]
	s_delay_alu instid0(VALU_DEP_1) | instskip(NEXT) | instid1(VALU_DEP_1)
	v_fma_f64 v[232:233], -v[228:229], v[230:231], 1.0
	v_fma_f64 v[230:231], v[230:231], v[232:233], v[230:231]
	s_delay_alu instid0(VALU_DEP_1) | instskip(NEXT) | instid1(VALU_DEP_1)
	v_mul_f64 v[232:233], v[237:238], v[230:231]
	v_fma_f64 v[228:229], -v[228:229], v[232:233], v[237:238]
	s_delay_alu instid0(VALU_DEP_1) | instskip(NEXT) | instid1(VALU_DEP_1)
	v_div_fmas_f64 v[228:229], v[228:229], v[230:231], v[232:233]
	v_div_fixup_f64 v[228:229], v[228:229], v[224:225], v[226:227]
	s_delay_alu instid0(VALU_DEP_1) | instskip(NEXT) | instid1(VALU_DEP_1)
	v_fma_f64 v[224:225], v[226:227], v[228:229], v[224:225]
	v_div_scale_f64 v[226:227], null, v[224:225], v[224:225], 1.0
	s_delay_alu instid0(VALU_DEP_1) | instskip(SKIP_2) | instid1(VALU_DEP_1)
	v_rcp_f64_e32 v[230:231], v[226:227]
	s_waitcnt_depctr 0xfff
	v_fma_f64 v[232:233], -v[226:227], v[230:231], 1.0
	v_fma_f64 v[230:231], v[230:231], v[232:233], v[230:231]
	s_delay_alu instid0(VALU_DEP_1) | instskip(NEXT) | instid1(VALU_DEP_1)
	v_fma_f64 v[232:233], -v[226:227], v[230:231], 1.0
	v_fma_f64 v[230:231], v[230:231], v[232:233], v[230:231]
	v_div_scale_f64 v[232:233], vcc_lo, 1.0, v[224:225], 1.0
	s_delay_alu instid0(VALU_DEP_1) | instskip(NEXT) | instid1(VALU_DEP_1)
	v_mul_f64 v[237:238], v[232:233], v[230:231]
	v_fma_f64 v[226:227], -v[226:227], v[237:238], v[232:233]
	s_delay_alu instid0(VALU_DEP_1) | instskip(SKIP_1) | instid1(VALU_DEP_2)
	v_div_fmas_f64 v[226:227], v[226:227], v[230:231], v[237:238]
	v_dual_mov_b32 v238, v197 :: v_dual_mov_b32 v237, v196
	v_div_fixup_f64 v[232:233], v[226:227], v[224:225], 1.0
	s_delay_alu instid0(VALU_DEP_1)
	v_mul_f64 v[230:231], v[228:229], -v[232:233]
.LBB99_439:
	s_or_b32 exec_lo, exec_lo, s3
	ds_store_2addr_b64 v235, v[232:233], v[230:231] offset1:1
.LBB99_440:
	s_or_b32 exec_lo, exec_lo, s4
	s_waitcnt lgkmcnt(0)
	s_barrier
	buffer_gl0_inv
	ds_load_2addr_b64 v[224:227], v235 offset1:1
	s_mov_b32 s3, exec_lo
	v_cmpx_lt_u32_e32 48, v234
	s_cbranch_execz .LBB99_442
; %bb.441:
	s_waitcnt lgkmcnt(0)
	v_mul_f64 v[228:229], v[224:225], v[6:7]
	v_mul_f64 v[6:7], v[226:227], v[6:7]
	s_delay_alu instid0(VALU_DEP_2) | instskip(SKIP_4) | instid1(VALU_DEP_1)
	v_fma_f64 v[232:233], v[226:227], v[4:5], v[228:229]
	ds_load_2addr_b64 v[228:231], v236 offset0:98 offset1:99
	v_fma_f64 v[4:5], v[224:225], v[4:5], -v[6:7]
	s_waitcnt lgkmcnt(0)
	v_mul_f64 v[6:7], v[230:231], v[232:233]
	v_fma_f64 v[6:7], v[228:229], v[4:5], -v[6:7]
	v_mul_f64 v[228:229], v[228:229], v[232:233]
	s_delay_alu instid0(VALU_DEP_2) | instskip(NEXT) | instid1(VALU_DEP_2)
	v_add_f64 v[0:1], v[0:1], -v[6:7]
	v_fma_f64 v[228:229], v[230:231], v[4:5], v[228:229]
	v_dual_mov_b32 v6, v232 :: v_dual_mov_b32 v7, v233
	s_delay_alu instid0(VALU_DEP_2)
	v_add_f64 v[2:3], v[2:3], -v[228:229]
.LBB99_442:
	s_or_b32 exec_lo, exec_lo, s3
	s_delay_alu instid0(SALU_CYCLE_1)
	s_mov_b32 s4, exec_lo
	s_waitcnt lgkmcnt(0)
	s_barrier
	buffer_gl0_inv
	v_cmpx_eq_u32_e32 49, v234
	s_cbranch_execz .LBB99_449
; %bb.443:
	v_cmp_neq_f64_e32 vcc_lo, 0, v[0:1]
	v_cmp_neq_f64_e64 s3, 0, v[2:3]
	ds_store_2addr_b64 v235, v[0:1], v[2:3] offset1:1
	s_or_b32 s3, vcc_lo, s3
	s_delay_alu instid0(SALU_CYCLE_1)
	s_and_b32 exec_lo, exec_lo, s3
	s_cbranch_execz .LBB99_449
; %bb.444:
	v_cmp_gt_f64_e32 vcc_lo, 0, v[0:1]
	v_xor_b32_e32 v228, 0x80000000, v1
	v_xor_b32_e32 v230, 0x80000000, v3
	s_mov_b32 s3, exec_lo
                                        ; implicit-def: $vgpr232_vgpr233
	s_delay_alu instid0(VALU_DEP_2) | instskip(SKIP_4) | instid1(VALU_DEP_1)
	v_cndmask_b32_e32 v229, v1, v228, vcc_lo
	v_cndmask_b32_e32 v228, v0, v0, vcc_lo
	v_cmp_gt_f64_e32 vcc_lo, 0, v[2:3]
	v_cndmask_b32_e32 v231, v3, v230, vcc_lo
	v_cndmask_b32_e32 v230, v2, v2, vcc_lo
	v_cmpx_ngt_f64_e32 v[228:229], v[230:231]
	s_xor_b32 s3, exec_lo, s3
                                        ; implicit-def: $vgpr228_vgpr229_vgpr230_vgpr231
	s_cbranch_execz .LBB99_446
; %bb.445:
	v_div_scale_f64 v[228:229], null, v[2:3], v[2:3], v[0:1]
	v_dual_mov_b32 v192, v198 :: v_dual_mov_b32 v193, v199
	v_dual_mov_b32 v198, v237 :: v_dual_mov_b32 v199, v238
	v_div_scale_f64 v[236:237], vcc_lo, v[0:1], v[2:3], v[0:1]
	v_dual_mov_b32 v196, v245 :: v_dual_mov_b32 v197, v246
	v_dual_mov_b32 v247, v244 :: v_dual_mov_b32 v246, v243
	;; [unrolled: 1-line block ×3, first 2 shown]
	v_rcp_f64_e32 v[230:231], v[228:229]
	s_waitcnt_depctr 0xfff
	v_fma_f64 v[232:233], -v[228:229], v[230:231], 1.0
	s_delay_alu instid0(VALU_DEP_1) | instskip(NEXT) | instid1(VALU_DEP_1)
	v_fma_f64 v[230:231], v[230:231], v[232:233], v[230:231]
	v_fma_f64 v[232:233], -v[228:229], v[230:231], 1.0
	s_delay_alu instid0(VALU_DEP_1) | instskip(NEXT) | instid1(VALU_DEP_1)
	v_fma_f64 v[230:231], v[230:231], v[232:233], v[230:231]
	v_mul_f64 v[232:233], v[236:237], v[230:231]
	s_delay_alu instid0(VALU_DEP_1) | instskip(NEXT) | instid1(VALU_DEP_1)
	v_fma_f64 v[228:229], -v[228:229], v[232:233], v[236:237]
	v_div_fmas_f64 v[228:229], v[228:229], v[230:231], v[232:233]
	s_delay_alu instid0(VALU_DEP_1) | instskip(NEXT) | instid1(VALU_DEP_1)
	v_div_fixup_f64 v[228:229], v[228:229], v[2:3], v[0:1]
	v_fma_f64 v[230:231], v[0:1], v[228:229], v[2:3]
	s_delay_alu instid0(VALU_DEP_1) | instskip(NEXT) | instid1(VALU_DEP_1)
	v_div_scale_f64 v[232:233], null, v[230:231], v[230:231], 1.0
	v_rcp_f64_e32 v[236:237], v[232:233]
	s_waitcnt_depctr 0xfff
	v_fma_f64 v[238:239], -v[232:233], v[236:237], 1.0
	s_delay_alu instid0(VALU_DEP_1) | instskip(NEXT) | instid1(VALU_DEP_1)
	v_fma_f64 v[236:237], v[236:237], v[238:239], v[236:237]
	v_fma_f64 v[238:239], -v[232:233], v[236:237], 1.0
	s_delay_alu instid0(VALU_DEP_1) | instskip(SKIP_1) | instid1(VALU_DEP_1)
	v_fma_f64 v[236:237], v[236:237], v[238:239], v[236:237]
	v_div_scale_f64 v[238:239], vcc_lo, 1.0, v[230:231], 1.0
	v_mul_f64 v[240:241], v[238:239], v[236:237]
	s_delay_alu instid0(VALU_DEP_1) | instskip(NEXT) | instid1(VALU_DEP_1)
	v_fma_f64 v[232:233], -v[232:233], v[240:241], v[238:239]
	v_div_fmas_f64 v[232:233], v[232:233], v[236:237], v[240:241]
	v_dual_mov_b32 v238, v199 :: v_dual_mov_b32 v237, v198
	v_dual_mov_b32 v199, v193 :: v_dual_mov_b32 v198, v192
	;; [unrolled: 1-line block ×5, first 2 shown]
	v_div_fixup_f64 v[230:231], v[232:233], v[230:231], 1.0
	s_delay_alu instid0(VALU_DEP_1)
	v_mul_f64 v[232:233], v[228:229], v[230:231]
	v_xor_b32_e32 v231, 0x80000000, v231
.LBB99_446:
	s_and_not1_saveexec_b32 s3, s3
	s_cbranch_execz .LBB99_448
; %bb.447:
	v_div_scale_f64 v[228:229], null, v[0:1], v[0:1], v[2:3]
	v_dual_mov_b32 v192, v198 :: v_dual_mov_b32 v193, v199
	v_dual_mov_b32 v198, v237 :: v_dual_mov_b32 v199, v238
	v_div_scale_f64 v[236:237], vcc_lo, v[2:3], v[0:1], v[2:3]
	v_dual_mov_b32 v196, v245 :: v_dual_mov_b32 v197, v246
	v_dual_mov_b32 v247, v244 :: v_dual_mov_b32 v246, v243
	v_dual_mov_b32 v245, v242 :: v_dual_mov_b32 v244, v241
	v_rcp_f64_e32 v[230:231], v[228:229]
	s_waitcnt_depctr 0xfff
	v_fma_f64 v[232:233], -v[228:229], v[230:231], 1.0
	s_delay_alu instid0(VALU_DEP_1) | instskip(NEXT) | instid1(VALU_DEP_1)
	v_fma_f64 v[230:231], v[230:231], v[232:233], v[230:231]
	v_fma_f64 v[232:233], -v[228:229], v[230:231], 1.0
	s_delay_alu instid0(VALU_DEP_1) | instskip(NEXT) | instid1(VALU_DEP_1)
	v_fma_f64 v[230:231], v[230:231], v[232:233], v[230:231]
	v_mul_f64 v[232:233], v[236:237], v[230:231]
	s_delay_alu instid0(VALU_DEP_1) | instskip(NEXT) | instid1(VALU_DEP_1)
	v_fma_f64 v[228:229], -v[228:229], v[232:233], v[236:237]
	v_div_fmas_f64 v[228:229], v[228:229], v[230:231], v[232:233]
	s_delay_alu instid0(VALU_DEP_1) | instskip(NEXT) | instid1(VALU_DEP_1)
	v_div_fixup_f64 v[228:229], v[228:229], v[0:1], v[2:3]
	v_fma_f64 v[230:231], v[2:3], v[228:229], v[0:1]
	s_delay_alu instid0(VALU_DEP_1) | instskip(NEXT) | instid1(VALU_DEP_1)
	v_div_scale_f64 v[232:233], null, v[230:231], v[230:231], 1.0
	v_rcp_f64_e32 v[236:237], v[232:233]
	s_waitcnt_depctr 0xfff
	v_fma_f64 v[238:239], -v[232:233], v[236:237], 1.0
	s_delay_alu instid0(VALU_DEP_1) | instskip(NEXT) | instid1(VALU_DEP_1)
	v_fma_f64 v[236:237], v[236:237], v[238:239], v[236:237]
	v_fma_f64 v[238:239], -v[232:233], v[236:237], 1.0
	s_delay_alu instid0(VALU_DEP_1) | instskip(SKIP_1) | instid1(VALU_DEP_1)
	v_fma_f64 v[236:237], v[236:237], v[238:239], v[236:237]
	v_div_scale_f64 v[238:239], vcc_lo, 1.0, v[230:231], 1.0
	v_mul_f64 v[240:241], v[238:239], v[236:237]
	s_delay_alu instid0(VALU_DEP_1) | instskip(NEXT) | instid1(VALU_DEP_1)
	v_fma_f64 v[232:233], -v[232:233], v[240:241], v[238:239]
	v_div_fmas_f64 v[232:233], v[232:233], v[236:237], v[240:241]
	v_dual_mov_b32 v238, v199 :: v_dual_mov_b32 v237, v198
	v_dual_mov_b32 v199, v193 :: v_dual_mov_b32 v198, v192
	;; [unrolled: 1-line block ×5, first 2 shown]
	v_div_fixup_f64 v[232:233], v[232:233], v[230:231], 1.0
	s_delay_alu instid0(VALU_DEP_1)
	v_mul_f64 v[230:231], v[228:229], -v[232:233]
.LBB99_448:
	s_or_b32 exec_lo, exec_lo, s3
	ds_store_2addr_b64 v235, v[232:233], v[230:231] offset1:1
.LBB99_449:
	s_or_b32 exec_lo, exec_lo, s4
	s_waitcnt lgkmcnt(0)
	s_barrier
	buffer_gl0_inv
	ds_load_2addr_b64 v[228:231], v235 offset1:1
	s_mov_b32 s3, exec_lo
	v_cmpx_lt_u32_e32 49, v234
	s_cbranch_execz .LBB99_451
; %bb.450:
	s_waitcnt lgkmcnt(0)
	v_mul_f64 v[232:233], v[230:231], v[2:3]
	v_mul_f64 v[2:3], v[228:229], v[2:3]
	s_delay_alu instid0(VALU_DEP_2) | instskip(NEXT) | instid1(VALU_DEP_2)
	v_fma_f64 v[232:233], v[228:229], v[0:1], -v[232:233]
	v_fma_f64 v[2:3], v[230:231], v[0:1], v[2:3]
	s_delay_alu instid0(VALU_DEP_2)
	v_dual_mov_b32 v0, v232 :: v_dual_mov_b32 v1, v233
.LBB99_451:
	s_or_b32 exec_lo, exec_lo, s3
	s_waitcnt lgkmcnt(0)
	s_barrier
	buffer_gl0_inv
	s_and_saveexec_b32 s14, s2
	s_cbranch_execz .LBB99_454
; %bb.452:
	scratch_load_b128 v[232:235], off, off offset:384 ; 16-byte Folded Reload
	s_load_b64 s[12:13], s[0:1], 0x28
	s_waitcnt vmcnt(0)
	v_cmp_eq_f64_e32 vcc_lo, 0, v[232:233]
	v_cmp_eq_f64_e64 s2, 0, v[234:235]
	scratch_load_b128 v[232:235], off, off offset:400 ; 16-byte Folded Reload
	s_and_b32 s2, vcc_lo, s2
	s_waitcnt vmcnt(0)
	v_cmp_neq_f64_e64 s3, 0, v[232:233]
	v_cmp_neq_f64_e64 s4, 0, v[234:235]
	scratch_load_b128 v[232:235], off, off offset:416 ; 16-byte Folded Reload
	s_or_b32 s3, s3, s4
	s_delay_alu instid0(SALU_CYCLE_1)
	s_or_b32 vcc_lo, s3, s2
	s_waitcnt vmcnt(0)
	v_cmp_eq_f64_e64 s5, 0, v[232:233]
	v_cmp_eq_f64_e64 s6, 0, v[234:235]
	scratch_load_b128 v[232:235], off, off offset:432 ; 16-byte Folded Reload
	s_and_b32 s4, s5, s6
	s_waitcnt vmcnt(0)
	v_cmp_eq_f64_e64 s7, 0, v[232:233]
	v_cmp_eq_f64_e64 s8, 0, v[234:235]
	scratch_load_b128 v[232:235], off, off offset:448 ; 16-byte Folded Reload
	s_and_b32 s6, s7, s8
	s_waitcnt vmcnt(0)
	v_cmp_eq_f64_e64 s9, 0, v[232:233]
	v_cmp_eq_f64_e64 s10, 0, v[234:235]
	scratch_load_b128 v[233:236], off, off offset:464 ; 16-byte Folded Reload
	v_cndmask_b32_e64 v232, 0, 1, s2
	s_delay_alu instid0(VALU_DEP_1) | instskip(NEXT) | instid1(VALU_DEP_1)
	v_cndmask_b32_e32 v232, 2, v232, vcc_lo
	v_cmp_eq_u32_e64 s3, 0, v232
	s_delay_alu instid0(VALU_DEP_1) | instskip(NEXT) | instid1(SALU_CYCLE_1)
	s_and_b32 s3, s4, s3
	v_cndmask_b32_e64 v232, v232, 3, s3
	s_delay_alu instid0(VALU_DEP_1) | instskip(NEXT) | instid1(VALU_DEP_1)
	v_cmp_eq_u32_e64 s5, 0, v232
	s_and_b32 s5, s6, s5
	s_delay_alu instid0(SALU_CYCLE_1) | instskip(NEXT) | instid1(VALU_DEP_1)
	v_cndmask_b32_e64 v232, v232, 4, s5
	v_cmp_eq_u32_e64 s7, 0, v232
	s_and_b32 s8, s9, s10
	s_delay_alu instid0(VALU_DEP_1) | instid1(SALU_CYCLE_1)
	s_and_b32 s7, s8, s7
	s_delay_alu instid0(SALU_CYCLE_1) | instskip(NEXT) | instid1(VALU_DEP_1)
	v_cndmask_b32_e64 v232, v232, 5, s7
	v_cmp_eq_u32_e64 s9, 0, v232
	s_waitcnt vmcnt(0)
	v_cmp_eq_f64_e32 vcc_lo, 0, v[233:234]
	v_cmp_eq_f64_e64 s2, 0, v[235:236]
	scratch_load_b128 v[233:236], off, off offset:480 ; 16-byte Folded Reload
	s_and_b32 s2, vcc_lo, s2
	s_delay_alu instid0(SALU_CYCLE_1) | instskip(NEXT) | instid1(SALU_CYCLE_1)
	s_and_b32 s2, s2, s9
	v_cndmask_b32_e64 v232, v232, 6, s2
	s_delay_alu instid0(VALU_DEP_1)
	v_cmp_eq_u32_e64 s9, 0, v232
	s_waitcnt vmcnt(0)
	v_cmp_eq_f64_e64 s3, 0, v[233:234]
	v_cmp_eq_f64_e64 s4, 0, v[235:236]
	scratch_load_b128 v[233:236], off, off offset:496 ; 16-byte Folded Reload
	s_and_b32 s3, s3, s4
	s_delay_alu instid0(SALU_CYCLE_1) | instskip(NEXT) | instid1(SALU_CYCLE_1)
	s_and_b32 s3, s3, s9
	v_cndmask_b32_e64 v232, v232, 7, s3
	s_delay_alu instid0(VALU_DEP_1)
	v_cmp_eq_u32_e64 s9, 0, v232
	s_waitcnt vmcnt(0)
	v_cmp_eq_f64_e64 s5, 0, v[233:234]
	v_cmp_eq_f64_e64 s6, 0, v[235:236]
	scratch_load_b128 v[233:236], off, off offset:512 ; 16-byte Folded Reload
	s_and_b32 s5, s5, s6
	s_delay_alu instid0(SALU_CYCLE_1) | instskip(NEXT) | instid1(SALU_CYCLE_1)
	s_and_b32 s5, s5, s9
	v_cndmask_b32_e64 v232, v232, 8, s5
	s_delay_alu instid0(VALU_DEP_1)
	v_cmp_eq_u32_e64 s9, 0, v232
	s_waitcnt vmcnt(0)
	v_cmp_eq_f64_e64 s7, 0, v[233:234]
	v_cmp_eq_f64_e64 s8, 0, v[235:236]
	scratch_load_b128 v[233:236], off, off offset:528 ; 16-byte Folded Reload
	s_and_b32 s7, s7, s8
	s_delay_alu instid0(SALU_CYCLE_1) | instskip(NEXT) | instid1(SALU_CYCLE_1)
	s_and_b32 s7, s7, s9
	v_cndmask_b32_e64 v232, v232, 9, s7
	s_delay_alu instid0(VALU_DEP_1)
	v_cmp_eq_u32_e64 s9, 0, v232
	s_waitcnt vmcnt(0)
	v_cmp_eq_f64_e32 vcc_lo, 0, v[233:234]
	v_cmp_eq_f64_e64 s2, 0, v[235:236]
	scratch_load_b128 v[233:236], off, off offset:544 ; 16-byte Folded Reload
	s_and_b32 s2, vcc_lo, s2
	s_delay_alu instid0(SALU_CYCLE_1) | instskip(NEXT) | instid1(SALU_CYCLE_1)
	s_and_b32 s2, s2, s9
	v_cndmask_b32_e64 v232, v232, 10, s2
	s_delay_alu instid0(VALU_DEP_1)
	v_cmp_eq_u32_e64 s9, 0, v232
	s_waitcnt vmcnt(0)
	v_cmp_eq_f64_e64 s3, 0, v[233:234]
	v_cmp_eq_f64_e64 s4, 0, v[235:236]
	scratch_load_b128 v[233:236], off, off offset:560 ; 16-byte Folded Reload
	s_and_b32 s3, s3, s4
	s_delay_alu instid0(SALU_CYCLE_1) | instskip(NEXT) | instid1(SALU_CYCLE_1)
	s_and_b32 s3, s3, s9
	v_cndmask_b32_e64 v232, v232, 11, s3
	s_delay_alu instid0(VALU_DEP_1)
	v_cmp_eq_u32_e64 s9, 0, v232
	s_waitcnt vmcnt(0)
	v_cmp_eq_f64_e64 s5, 0, v[233:234]
	v_cmp_eq_f64_e64 s6, 0, v[235:236]
	scratch_load_b128 v[233:236], off, off offset:576 ; 16-byte Folded Reload
	s_and_b32 s5, s5, s6
	s_delay_alu instid0(SALU_CYCLE_1) | instskip(NEXT) | instid1(SALU_CYCLE_1)
	s_and_b32 s5, s5, s9
	v_cndmask_b32_e64 v232, v232, 12, s5
	s_delay_alu instid0(VALU_DEP_1)
	v_cmp_eq_u32_e64 s9, 0, v232
	s_waitcnt vmcnt(0)
	v_cmp_eq_f64_e64 s7, 0, v[233:234]
	v_cmp_eq_f64_e64 s8, 0, v[235:236]
	scratch_load_b128 v[233:236], off, off offset:592 ; 16-byte Folded Reload
	s_and_b32 s7, s7, s8
	s_delay_alu instid0(SALU_CYCLE_1) | instskip(NEXT) | instid1(SALU_CYCLE_1)
	s_and_b32 s7, s7, s9
	v_cndmask_b32_e64 v232, v232, 13, s7
	s_delay_alu instid0(VALU_DEP_1)
	v_cmp_eq_u32_e64 s9, 0, v232
	s_waitcnt vmcnt(0)
	v_cmp_eq_f64_e32 vcc_lo, 0, v[233:234]
	v_cmp_eq_f64_e64 s2, 0, v[235:236]
	scratch_load_b128 v[233:236], off, off offset:608 ; 16-byte Folded Reload
	s_and_b32 s2, vcc_lo, s2
	s_delay_alu instid0(SALU_CYCLE_1) | instskip(NEXT) | instid1(SALU_CYCLE_1)
	s_and_b32 s2, s2, s9
	v_cndmask_b32_e64 v232, v232, 14, s2
	s_delay_alu instid0(VALU_DEP_1)
	v_cmp_eq_u32_e64 s9, 0, v232
	s_waitcnt vmcnt(0)
	v_cmp_eq_f64_e64 s3, 0, v[233:234]
	v_cmp_eq_f64_e64 s4, 0, v[235:236]
	scratch_load_b128 v[233:236], off, off offset:624 ; 16-byte Folded Reload
	s_and_b32 s3, s3, s4
	s_delay_alu instid0(SALU_CYCLE_1) | instskip(NEXT) | instid1(SALU_CYCLE_1)
	s_and_b32 s3, s3, s9
	v_cndmask_b32_e64 v232, v232, 15, s3
	s_delay_alu instid0(VALU_DEP_1)
	v_cmp_eq_u32_e64 s9, 0, v232
	s_waitcnt vmcnt(0)
	v_cmp_eq_f64_e64 s5, 0, v[233:234]
	v_cmp_eq_f64_e64 s6, 0, v[235:236]
	scratch_load_b128 v[233:236], off, off offset:640 ; 16-byte Folded Reload
	s_and_b32 s5, s5, s6
	s_delay_alu instid0(SALU_CYCLE_1) | instskip(NEXT) | instid1(SALU_CYCLE_1)
	s_and_b32 s5, s5, s9
	v_cndmask_b32_e64 v232, v232, 16, s5
	s_delay_alu instid0(VALU_DEP_1)
	v_cmp_eq_u32_e64 s9, 0, v232
	s_waitcnt vmcnt(0)
	v_cmp_eq_f64_e64 s7, 0, v[233:234]
	v_cmp_eq_f64_e64 s8, 0, v[235:236]
	scratch_load_b128 v[233:236], off, off offset:656 ; 16-byte Folded Reload
	s_and_b32 s8, s7, s8
	s_delay_alu instid0(SALU_CYCLE_1) | instskip(NEXT) | instid1(SALU_CYCLE_1)
	s_and_b32 s8, s8, s9
	v_cndmask_b32_e64 v232, v232, 17, s8
	s_delay_alu instid0(VALU_DEP_1)
	v_cmp_eq_u32_e64 s8, 0, v232
	s_waitcnt vmcnt(0)
	v_cmp_eq_f64_e32 vcc_lo, 0, v[233:234]
	v_cmp_eq_f64_e64 s2, 0, v[235:236]
	scratch_load_b128 v[233:236], off, off offset:672 ; 16-byte Folded Reload
	s_and_b32 s2, vcc_lo, s2
	s_delay_alu instid0(SALU_CYCLE_1) | instskip(NEXT) | instid1(SALU_CYCLE_1)
	s_and_b32 s2, s2, s8
	v_cndmask_b32_e64 v232, v232, 18, s2
	s_delay_alu instid0(VALU_DEP_1)
	v_cmp_eq_u32_e64 s8, 0, v232
	s_waitcnt vmcnt(0)
	v_cmp_eq_f64_e64 s3, 0, v[233:234]
	v_cmp_eq_f64_e64 s4, 0, v[235:236]
	scratch_load_b128 v[233:236], off, off offset:688 ; 16-byte Folded Reload
	s_and_b32 s3, s3, s4
	s_delay_alu instid0(SALU_CYCLE_1) | instskip(NEXT) | instid1(SALU_CYCLE_1)
	s_and_b32 s0, s3, s8
	v_cndmask_b32_e64 v232, v232, 19, s0
	s_delay_alu instid0(VALU_DEP_1)
	v_cmp_eq_u32_e64 s3, 0, v232
	s_waitcnt vmcnt(0)
	v_cmp_eq_f64_e64 s5, 0, v[233:234]
	v_cmp_eq_f64_e64 s6, 0, v[235:236]
	scratch_load_b128 v[233:236], off, off offset:704 ; 16-byte Folded Reload
	s_and_b32 s4, s5, s6
	s_delay_alu instid0(SALU_CYCLE_1)
	s_and_b32 s3, s4, s3
	s_waitcnt vmcnt(0)
	v_cmp_eq_f64_e64 s10, 0, v[233:234]
	v_cmp_eq_f64_e64 s7, 0, v[235:236]
	scratch_load_b128 v[233:236], off, off offset:720 ; 16-byte Folded Reload
	s_and_b32 s7, s10, s7
	s_waitcnt vmcnt(0)
	v_cmp_eq_f64_e32 vcc_lo, 0, v[233:234]
	v_cmp_eq_f64_e64 s2, 0, v[235:236]
	scratch_load_b128 v[233:236], off, off offset:736 ; 16-byte Folded Reload
	s_and_b32 s2, vcc_lo, s2
	s_waitcnt vmcnt(0)
	v_cmp_eq_f64_e64 s0, 0, v[233:234]
	v_cndmask_b32_e64 v234, v232, 20, s3
	v_lshlrev_b64 v[232:233], 2, v[241:242]
	scratch_load_b128 v[239:242], off, off offset:752 ; 16-byte Folded Reload
	v_cmp_eq_f64_e64 s1, 0, v[235:236]
	v_cmp_eq_u32_e64 s5, 0, v234
	s_waitcnt lgkmcnt(0)
	v_add_co_u32 v232, s6, s12, v232
	s_delay_alu instid0(VALU_DEP_1) | instskip(NEXT) | instid1(VALU_DEP_3)
	v_add_co_ci_u32_e64 v233, s6, s13, v233, s6
	s_and_b32 s5, s7, s5
	s_delay_alu instid0(SALU_CYCLE_1) | instskip(SKIP_2) | instid1(VALU_DEP_1)
	v_cndmask_b32_e64 v234, v234, 21, s5
	global_load_b32 v235, v[232:233], off
	v_cmp_eq_u32_e64 s7, 0, v234
	s_and_b32 s2, s2, s7
	s_delay_alu instid0(SALU_CYCLE_1) | instskip(NEXT) | instid1(VALU_DEP_1)
	v_cndmask_b32_e64 v234, v234, 22, s2
	v_cmp_eq_u32_e64 s7, 0, v234
	s_and_b32 s0, s0, s1
	s_delay_alu instid0(VALU_DEP_1) | instid1(SALU_CYCLE_1)
	s_and_b32 s0, s0, s7
	s_delay_alu instid0(SALU_CYCLE_1) | instskip(NEXT) | instid1(VALU_DEP_1)
	v_cndmask_b32_e64 v234, v234, 23, s0
	v_cmp_eq_u32_e64 s7, 0, v234
	s_waitcnt vmcnt(1)
	v_cmp_eq_f64_e64 s3, 0, v[239:240]
	v_cmp_eq_f64_e64 s4, 0, v[241:242]
	scratch_load_b128 v[239:242], off, off offset:776 ; 16-byte Folded Reload
	s_and_b32 s3, s3, s4
	s_delay_alu instid0(SALU_CYCLE_1) | instskip(NEXT) | instid1(SALU_CYCLE_1)
	s_and_b32 s3, s3, s7
	v_cndmask_b32_e64 v234, v234, 24, s3
	s_delay_alu instid0(VALU_DEP_1)
	v_cmp_eq_u32_e64 s7, 0, v234
	s_waitcnt vmcnt(0)
	v_cmp_eq_f64_e64 s5, 0, v[239:240]
	v_cmp_eq_f64_e64 s6, 0, v[241:242]
	scratch_load_b128 v[239:242], off, off offset:792 ; 16-byte Folded Reload
	s_and_b32 s5, s5, s6
	s_delay_alu instid0(SALU_CYCLE_1) | instskip(NEXT) | instid1(SALU_CYCLE_1)
	s_and_b32 s5, s5, s7
	v_cndmask_b32_e64 v234, v234, 25, s5
	s_delay_alu instid0(VALU_DEP_1)
	v_cmp_eq_u32_e64 s7, 0, v234
	s_waitcnt vmcnt(0)
	v_cmp_eq_f64_e32 vcc_lo, 0, v[239:240]
	v_cmp_eq_f64_e64 s2, 0, v[241:242]
	scratch_load_b128 v[239:242], off, off offset:808 ; 16-byte Folded Reload
	s_and_b32 s2, vcc_lo, s2
	s_delay_alu instid0(SALU_CYCLE_1) | instskip(NEXT) | instid1(SALU_CYCLE_1)
	s_and_b32 s2, s2, s7
	v_cndmask_b32_e64 v234, v234, 26, s2
	s_delay_alu instid0(VALU_DEP_1)
	v_cmp_eq_u32_e64 s7, 0, v234
	s_waitcnt vmcnt(0)
	v_cmp_eq_f64_e64 s0, 0, v[239:240]
	v_cmp_eq_f64_e64 s1, 0, v[241:242]
	scratch_load_b128 v[239:242], off, off offset:824 ; 16-byte Folded Reload
	s_and_b32 s0, s0, s1
	s_delay_alu instid0(SALU_CYCLE_1) | instskip(NEXT) | instid1(SALU_CYCLE_1)
	s_and_b32 s0, s0, s7
	v_cndmask_b32_e64 v234, v234, 27, s0
	s_delay_alu instid0(VALU_DEP_1)
	v_cmp_eq_u32_e64 s7, 0, v234
	s_waitcnt vmcnt(0)
	v_cmp_eq_f64_e64 s3, 0, v[239:240]
	v_cmp_eq_f64_e64 s4, 0, v[241:242]
	scratch_load_b128 v[239:242], off, off offset:840 ; 16-byte Folded Reload
	s_and_b32 s3, s3, s4
	s_delay_alu instid0(SALU_CYCLE_1) | instskip(NEXT) | instid1(SALU_CYCLE_1)
	s_and_b32 s3, s3, s7
	v_cndmask_b32_e64 v234, v234, 28, s3
	s_delay_alu instid0(VALU_DEP_1)
	v_cmp_eq_u32_e64 s7, 0, v234
	s_waitcnt vmcnt(0)
	v_cmp_eq_f64_e64 s5, 0, v[239:240]
	v_cmp_eq_f64_e64 s6, 0, v[241:242]
	scratch_load_b128 v[239:242], off, off offset:856 ; 16-byte Folded Reload
	s_and_b32 s5, s5, s6
	s_delay_alu instid0(SALU_CYCLE_1) | instskip(NEXT) | instid1(SALU_CYCLE_1)
	s_and_b32 s5, s5, s7
	v_cndmask_b32_e64 v234, v234, 29, s5
	s_delay_alu instid0(VALU_DEP_1)
	v_cmp_eq_u32_e64 s7, 0, v234
	s_waitcnt vmcnt(0)
	v_cmp_eq_f64_e32 vcc_lo, 0, v[239:240]
	v_cmp_eq_f64_e64 s2, 0, v[241:242]
	scratch_load_b128 v[239:242], off, off offset:872 ; 16-byte Folded Reload
	s_and_b32 s2, vcc_lo, s2
	s_delay_alu instid0(SALU_CYCLE_1) | instskip(NEXT) | instid1(SALU_CYCLE_1)
	s_and_b32 s2, s2, s7
	v_cndmask_b32_e64 v234, v234, 30, s2
	s_delay_alu instid0(VALU_DEP_1)
	v_cmp_eq_u32_e64 s7, 0, v234
	s_waitcnt vmcnt(0)
	v_cmp_eq_f64_e64 s0, 0, v[239:240]
	v_cmp_eq_f64_e64 s1, 0, v[241:242]
	scratch_load_b128 v[239:242], off, off offset:888 ; 16-byte Folded Reload
	s_and_b32 s0, s0, s1
	s_delay_alu instid0(SALU_CYCLE_1) | instskip(NEXT) | instid1(SALU_CYCLE_1)
	s_and_b32 s0, s0, s7
	v_cndmask_b32_e64 v234, v234, 31, s0
	s_delay_alu instid0(VALU_DEP_1)
	;; [unrolled: 40-line block ×3, first 2 shown]
	v_cmp_eq_u32_e64 s7, 0, v234
	s_waitcnt vmcnt(0)
	v_cmp_eq_f64_e64 s3, 0, v[239:240]
	v_cmp_eq_f64_e64 s4, 0, v[241:242]
	scratch_load_b128 v[239:242], off, off offset:968 ; 16-byte Folded Reload
	s_and_b32 s3, s3, s4
	s_delay_alu instid0(SALU_CYCLE_1) | instskip(NEXT) | instid1(SALU_CYCLE_1)
	s_and_b32 s3, s3, s7
	v_cndmask_b32_e64 v234, v234, 36, s3
	s_delay_alu instid0(VALU_DEP_1)
	v_cmp_eq_u32_e64 s7, 0, v234
	s_waitcnt vmcnt(0)
	v_cmp_eq_f64_e64 s5, 0, v[239:240]
	v_cmp_eq_f64_e64 s6, 0, v[241:242]
	scratch_load_b128 v[239:242], off, off offset:984 ; 16-byte Folded Reload
	s_and_b32 s5, s5, s6
	v_cmp_eq_f64_e64 s6, 0, v[250:251]
	s_and_b32 s5, s5, s7
	s_delay_alu instid0(SALU_CYCLE_1) | instskip(SKIP_1) | instid1(VALU_DEP_2)
	v_cndmask_b32_e64 v234, v234, 37, s5
	v_cmp_eq_f64_e64 s5, 0, v[248:249]
	v_cmp_eq_u32_e64 s7, 0, v234
	s_delay_alu instid0(VALU_DEP_2)
	s_and_b32 s5, s5, s6
	v_cmp_eq_f64_e64 s6, 0, v[210:211]
	s_waitcnt vmcnt(0)
	v_cmp_eq_f64_e32 vcc_lo, 0, v[239:240]
	v_cmp_eq_f64_e64 s2, 0, v[241:242]
	scratch_load_b128 v[239:242], off, off offset:1000 ; 16-byte Folded Reload
	s_and_b32 s2, vcc_lo, s2
	v_cmp_eq_f64_e32 vcc_lo, 0, v[252:253]
	s_and_b32 s2, s2, s7
	s_delay_alu instid0(SALU_CYCLE_1) | instskip(SKIP_1) | instid1(VALU_DEP_2)
	v_cndmask_b32_e64 v234, v234, 38, s2
	v_cmp_eq_f64_e64 s2, 0, v[254:255]
	v_cmp_eq_u32_e64 s7, 0, v234
	s_delay_alu instid0(VALU_DEP_2)
	s_and_b32 s2, vcc_lo, s2
	v_cmp_eq_f64_e32 vcc_lo, 0, v[212:213]
	s_waitcnt vmcnt(0)
	v_cmp_eq_f64_e64 s0, 0, v[239:240]
	v_cmp_eq_f64_e64 s1, 0, v[241:242]
	scratch_load_b128 v[239:242], off, off offset:1016 ; 16-byte Folded Reload
	s_and_b32 s0, s0, s1
	v_cmp_eq_f64_e64 s1, 0, v[202:203]
	s_and_b32 s0, s0, s7
	s_delay_alu instid0(SALU_CYCLE_1) | instskip(SKIP_1) | instid1(VALU_DEP_2)
	v_cndmask_b32_e64 v234, v234, 39, s0
	v_cmp_eq_f64_e64 s0, 0, v[200:201]
	v_cmp_eq_u32_e64 s7, 0, v234
	s_delay_alu instid0(VALU_DEP_2) | instskip(SKIP_4) | instid1(VALU_DEP_1)
	s_and_b32 s0, s0, s1
	v_cmp_eq_f64_e64 s1, 0, v[218:219]
	s_waitcnt vmcnt(0)
	v_cmp_eq_f64_e64 s3, 0, v[239:240]
	v_cmp_eq_f64_e64 s4, 0, v[241:242]
	s_and_b32 s3, s3, s4
	v_cmp_eq_f64_e64 s4, 0, v[206:207]
	s_and_b32 s3, s3, s7
	s_delay_alu instid0(SALU_CYCLE_1) | instskip(SKIP_1) | instid1(VALU_DEP_2)
	v_cndmask_b32_e64 v200, v234, 40, s3
	v_cmp_eq_f64_e64 s3, 0, v[204:205]
	v_cmp_eq_u32_e64 s7, 0, v200
	s_delay_alu instid0(VALU_DEP_1) | instskip(NEXT) | instid1(SALU_CYCLE_1)
	s_and_b32 s5, s5, s7
	v_cndmask_b32_e64 v200, v200, 41, s5
	v_cmp_eq_f64_e64 s5, 0, v[208:209]
	s_delay_alu instid0(VALU_DEP_2) | instskip(NEXT) | instid1(VALU_DEP_1)
	v_cmp_eq_u32_e64 s7, 0, v200
	s_and_b32 s2, s2, s7
	s_delay_alu instid0(SALU_CYCLE_1) | instskip(SKIP_1) | instid1(VALU_DEP_2)
	v_cndmask_b32_e64 v200, v200, 42, s2
	v_cmp_eq_f64_e64 s2, 0, v[214:215]
	v_cmp_eq_u32_e64 s7, 0, v200
	s_delay_alu instid0(VALU_DEP_1) | instskip(NEXT) | instid1(SALU_CYCLE_1)
	s_and_b32 s0, s0, s7
	v_cndmask_b32_e64 v200, v200, 43, s0
	v_cmp_eq_f64_e64 s0, 0, v[216:217]
	s_and_b32 s3, s3, s4
	v_cmp_eq_f64_e64 s4, 0, v[222:223]
	s_delay_alu instid0(VALU_DEP_3) | instskip(NEXT) | instid1(VALU_DEP_1)
	v_cmp_eq_u32_e64 s7, 0, v200
	s_and_b32 s3, s3, s7
	s_delay_alu instid0(SALU_CYCLE_1) | instskip(SKIP_3) | instid1(VALU_DEP_3)
	v_cndmask_b32_e64 v200, v200, 44, s3
	v_cmp_eq_f64_e64 s3, 0, v[220:221]
	s_and_b32 s5, s5, s6
	v_cmp_eq_f64_e64 s6, 0, v[226:227]
	v_cmp_eq_u32_e64 s7, 0, v200
	s_delay_alu instid0(VALU_DEP_1) | instskip(NEXT) | instid1(SALU_CYCLE_1)
	s_and_b32 s5, s5, s7
	v_cndmask_b32_e64 v200, v200, 45, s5
	v_cmp_eq_f64_e64 s5, 0, v[224:225]
	s_and_b32 s2, vcc_lo, s2
	v_cmp_eq_f64_e32 vcc_lo, 0, v[228:229]
	s_delay_alu instid0(VALU_DEP_3) | instskip(NEXT) | instid1(VALU_DEP_1)
	v_cmp_eq_u32_e64 s7, 0, v200
	s_and_b32 s2, s2, s7
	s_delay_alu instid0(SALU_CYCLE_1) | instskip(SKIP_2) | instid1(VALU_DEP_2)
	v_cndmask_b32_e64 v200, v200, 46, s2
	v_cmp_eq_f64_e64 s2, 0, v[230:231]
	s_and_b32 s0, s0, s1
	v_cmp_eq_u32_e64 s7, 0, v200
	s_delay_alu instid0(VALU_DEP_1) | instskip(NEXT) | instid1(SALU_CYCLE_1)
	s_and_b32 s0, s0, s7
	v_cndmask_b32_e64 v200, v200, 47, s0
	s_and_b32 s1, s3, s4
	s_delay_alu instid0(VALU_DEP_1) | instskip(NEXT) | instid1(VALU_DEP_1)
	v_cmp_eq_u32_e64 s0, 0, v200
	s_and_b32 s0, s1, s0
	s_delay_alu instid0(SALU_CYCLE_1) | instskip(SKIP_1) | instid1(VALU_DEP_1)
	v_cndmask_b32_e64 v200, v200, 48, s0
	s_and_b32 s1, s5, s6
	v_cmp_eq_u32_e64 s0, 0, v200
	s_delay_alu instid0(VALU_DEP_1) | instskip(NEXT) | instid1(SALU_CYCLE_1)
	s_and_b32 s0, s1, s0
	v_cndmask_b32_e64 v200, v200, 49, s0
	s_and_b32 s1, vcc_lo, s2
	v_cmp_eq_u32_e32 vcc_lo, 0, v235
	s_delay_alu instid0(VALU_DEP_2) | instskip(NEXT) | instid1(VALU_DEP_1)
	v_cmp_eq_u32_e64 s0, 0, v200
	s_and_b32 s0, s1, s0
	s_delay_alu instid0(SALU_CYCLE_1) | instskip(NEXT) | instid1(VALU_DEP_1)
	v_cndmask_b32_e64 v200, v200, 50, s0
	v_cmp_ne_u32_e64 s0, 0, v200
	s_delay_alu instid0(VALU_DEP_1) | instskip(NEXT) | instid1(SALU_CYCLE_1)
	s_and_b32 s0, vcc_lo, s0
	s_and_b32 exec_lo, exec_lo, s0
	s_cbranch_execz .LBB99_454
; %bb.453:
	v_add_nc_u32_e32 v200, s11, v200
	global_store_b32 v[232:233], v200, off
.LBB99_454:
	s_or_b32 exec_lo, exec_lo, s14
	s_clause 0x1
	scratch_load_b64 v[192:193], off, off offset:368
	scratch_load_b128 v[200:203], off, off offset:16
	s_waitcnt vmcnt(0)
	global_store_b128 v[192:193], v[200:203], off
	s_clause 0x1
	scratch_load_b64 v[192:193], off, off offset:376
	scratch_load_b128 v[200:203], off, off
	s_waitcnt vmcnt(0)
	global_store_b128 v[192:193], v[200:203], off
	scratch_load_b64 v[192:193], off, off offset:360 ; 8-byte Folded Reload
	s_waitcnt vmcnt(0)
	global_store_b128 v[192:193], v[188:191], off
	scratch_load_b64 v[188:189], off, off offset:352 ; 8-byte Folded Reload
	;; [unrolled: 3-line block ×41, first 2 shown]
	s_waitcnt vmcnt(0)
	s_clause 0x3
	global_store_b128 v[32:33], v[28:31], off
	global_store_b128 v[194:195], v[24:27], off
	;; [unrolled: 1-line block ×4, first 2 shown]
	scratch_load_b64 v[16:17], off, off offset:32 ; 8-byte Folded Reload
	s_waitcnt vmcnt(0)
	s_clause 0x2
	global_store_b128 v[16:17], v[12:15], off
	global_store_b128 v[243:244], v[8:11], off
	;; [unrolled: 1-line block ×3, first 2 shown]
	scratch_load_b64 v[4:5], off, off offset:768 ; 8-byte Folded Reload
	s_waitcnt vmcnt(0)
	global_store_b128 v[4:5], v[0:3], off
.LBB99_455:
	s_nop 0
	s_sendmsg sendmsg(MSG_DEALLOC_VGPRS)
	s_endpgm
	.section	.rodata,"a",@progbits
	.p2align	6, 0x0
	.amdhsa_kernel _ZN9rocsolver6v33100L23getf2_npvt_small_kernelILi50E19rocblas_complex_numIdEiiPKPS3_EEvT1_T3_lS7_lPT2_S7_S7_
		.amdhsa_group_segment_fixed_size 0
		.amdhsa_private_segment_fixed_size 1036
		.amdhsa_kernarg_size 312
		.amdhsa_user_sgpr_count 14
		.amdhsa_user_sgpr_dispatch_ptr 0
		.amdhsa_user_sgpr_queue_ptr 0
		.amdhsa_user_sgpr_kernarg_segment_ptr 1
		.amdhsa_user_sgpr_dispatch_id 0
		.amdhsa_user_sgpr_private_segment_size 0
		.amdhsa_wavefront_size32 1
		.amdhsa_uses_dynamic_stack 0
		.amdhsa_enable_private_segment 1
		.amdhsa_system_sgpr_workgroup_id_x 1
		.amdhsa_system_sgpr_workgroup_id_y 1
		.amdhsa_system_sgpr_workgroup_id_z 0
		.amdhsa_system_sgpr_workgroup_info 0
		.amdhsa_system_vgpr_workitem_id 1
		.amdhsa_next_free_vgpr 256
		.amdhsa_next_free_sgpr 16
		.amdhsa_reserve_vcc 1
		.amdhsa_float_round_mode_32 0
		.amdhsa_float_round_mode_16_64 0
		.amdhsa_float_denorm_mode_32 3
		.amdhsa_float_denorm_mode_16_64 3
		.amdhsa_dx10_clamp 1
		.amdhsa_ieee_mode 1
		.amdhsa_fp16_overflow 0
		.amdhsa_workgroup_processor_mode 1
		.amdhsa_memory_ordered 1
		.amdhsa_forward_progress 0
		.amdhsa_shared_vgpr_count 0
		.amdhsa_exception_fp_ieee_invalid_op 0
		.amdhsa_exception_fp_denorm_src 0
		.amdhsa_exception_fp_ieee_div_zero 0
		.amdhsa_exception_fp_ieee_overflow 0
		.amdhsa_exception_fp_ieee_underflow 0
		.amdhsa_exception_fp_ieee_inexact 0
		.amdhsa_exception_int_div_zero 0
	.end_amdhsa_kernel
	.section	.text._ZN9rocsolver6v33100L23getf2_npvt_small_kernelILi50E19rocblas_complex_numIdEiiPKPS3_EEvT1_T3_lS7_lPT2_S7_S7_,"axG",@progbits,_ZN9rocsolver6v33100L23getf2_npvt_small_kernelILi50E19rocblas_complex_numIdEiiPKPS3_EEvT1_T3_lS7_lPT2_S7_S7_,comdat
.Lfunc_end99:
	.size	_ZN9rocsolver6v33100L23getf2_npvt_small_kernelILi50E19rocblas_complex_numIdEiiPKPS3_EEvT1_T3_lS7_lPT2_S7_S7_, .Lfunc_end99-_ZN9rocsolver6v33100L23getf2_npvt_small_kernelILi50E19rocblas_complex_numIdEiiPKPS3_EEvT1_T3_lS7_lPT2_S7_S7_
                                        ; -- End function
	.section	.AMDGPU.csdata,"",@progbits
; Kernel info:
; codeLenInByte = 136848
; NumSgprs: 18
; NumVgprs: 256
; ScratchSize: 1036
; MemoryBound: 1
; FloatMode: 240
; IeeeMode: 1
; LDSByteSize: 0 bytes/workgroup (compile time only)
; SGPRBlocks: 2
; VGPRBlocks: 31
; NumSGPRsForWavesPerEU: 18
; NumVGPRsForWavesPerEU: 256
; Occupancy: 5
; WaveLimiterHint : 1
; COMPUTE_PGM_RSRC2:SCRATCH_EN: 1
; COMPUTE_PGM_RSRC2:USER_SGPR: 14
; COMPUTE_PGM_RSRC2:TRAP_HANDLER: 0
; COMPUTE_PGM_RSRC2:TGID_X_EN: 1
; COMPUTE_PGM_RSRC2:TGID_Y_EN: 1
; COMPUTE_PGM_RSRC2:TGID_Z_EN: 0
; COMPUTE_PGM_RSRC2:TIDIG_COMP_CNT: 1
	.section	.text._ZN9rocsolver6v33100L18getf2_small_kernelILi51E19rocblas_complex_numIdEiiPKPS3_EEvT1_T3_lS7_lPS7_llPT2_S7_S7_S9_l,"axG",@progbits,_ZN9rocsolver6v33100L18getf2_small_kernelILi51E19rocblas_complex_numIdEiiPKPS3_EEvT1_T3_lS7_lPS7_llPT2_S7_S7_S9_l,comdat
	.globl	_ZN9rocsolver6v33100L18getf2_small_kernelILi51E19rocblas_complex_numIdEiiPKPS3_EEvT1_T3_lS7_lPS7_llPT2_S7_S7_S9_l ; -- Begin function _ZN9rocsolver6v33100L18getf2_small_kernelILi51E19rocblas_complex_numIdEiiPKPS3_EEvT1_T3_lS7_lPS7_llPT2_S7_S7_S9_l
	.p2align	8
	.type	_ZN9rocsolver6v33100L18getf2_small_kernelILi51E19rocblas_complex_numIdEiiPKPS3_EEvT1_T3_lS7_lPS7_llPT2_S7_S7_S9_l,@function
_ZN9rocsolver6v33100L18getf2_small_kernelILi51E19rocblas_complex_numIdEiiPKPS3_EEvT1_T3_lS7_lPS7_llPT2_S7_S7_S9_l: ; @_ZN9rocsolver6v33100L18getf2_small_kernelILi51E19rocblas_complex_numIdEiiPKPS3_EEvT1_T3_lS7_lPS7_llPT2_S7_S7_S9_l
; %bb.0:
	s_clause 0x1
	s_load_b32 s2, s[0:1], 0x6c
	s_load_b64 s[12:13], s[0:1], 0x48
	v_bfe_u32 v204, v0, 10, 10
	s_waitcnt lgkmcnt(0)
	s_lshr_b32 s2, s2, 16
	s_delay_alu instid0(VALU_DEP_1) | instid1(SALU_CYCLE_1)
	v_mad_u64_u32 v[208:209], null, s15, s2, v[204:205]
	s_mov_b32 s2, exec_lo
	s_delay_alu instid0(VALU_DEP_1)
	v_cmpx_gt_i32_e64 s12, v208
	s_cbranch_execnz .LBB100_1
; %bb.1075:
	s_getpc_b64 s[16:17]
.Lpost_getpc8:
	s_add_u32 s16, s16, (.LBB100_1074-.Lpost_getpc8)&4294967295
	s_addc_u32 s17, s17, (.LBB100_1074-.Lpost_getpc8)>>32
	s_setpc_b64 s[16:17]
.LBB100_1:
	s_clause 0x1
	s_load_b128 s[4:7], s[0:1], 0x8
	s_load_b128 s[8:11], s[0:1], 0x50
	v_ashrrev_i32_e32 v209, 31, v208
	v_mov_b32_e32 v210, 0
	v_mov_b32_e32 v211, 0
	s_delay_alu instid0(VALU_DEP_3) | instskip(SKIP_1) | instid1(VALU_DEP_1)
	v_lshlrev_b64 v[1:2], 3, v[208:209]
	s_waitcnt lgkmcnt(0)
	v_add_co_u32 v1, vcc_lo, s4, v1
	s_delay_alu instid0(VALU_DEP_2)
	v_add_co_ci_u32_e32 v2, vcc_lo, s5, v2, vcc_lo
	s_cmp_eq_u64 s[8:9], 0
	s_cselect_b32 s4, -1, 0
	global_load_b64 v[1:2], v[1:2], off
	s_and_b32 vcc_lo, exec_lo, s4
	s_cbranch_vccnz .LBB100_3
; %bb.2:
	v_mul_lo_u32 v5, v209, s10
	v_mul_lo_u32 v6, v208, s11
	v_mad_u64_u32 v[3:4], null, v208, s10, 0
	s_delay_alu instid0(VALU_DEP_1) | instskip(NEXT) | instid1(VALU_DEP_1)
	v_add3_u32 v4, v4, v6, v5
	v_lshlrev_b64 v[3:4], 2, v[3:4]
	s_delay_alu instid0(VALU_DEP_1) | instskip(NEXT) | instid1(VALU_DEP_2)
	v_add_co_u32 v210, vcc_lo, s8, v3
	v_add_co_ci_u32_e32 v211, vcc_lo, s9, v4, vcc_lo
.LBB100_3:
	s_clause 0x1
	s_load_b32 s8, s[0:1], 0x18
	s_load_b32 s5, s[0:1], 0x0
	v_and_b32_e32 v219, 0x3ff, v0
	s_lshl_b64 s[2:3], s[6:7], 4
	s_waitcnt vmcnt(0)
	v_add_co_u32 v215, vcc_lo, v1, s2
	v_add_co_ci_u32_e32 v216, vcc_lo, s3, v2, vcc_lo
	v_lshlrev_b32_e32 v207, 4, v219
	s_waitcnt lgkmcnt(0)
	v_add3_u32 v3, s8, s8, v219
	s_ashr_i32 s9, s8, 31
	s_max_i32 s2, s5, 51
	s_lshl_b64 s[10:11], s[8:9], 4
	s_cmp_lt_i32 s5, 2
	v_add_nc_u32_e32 v5, s8, v3
	v_ashrrev_i32_e32 v4, 31, v3
	s_delay_alu instid0(VALU_DEP_2) | instskip(NEXT) | instid1(VALU_DEP_2)
	v_add_nc_u32_e32 v0, s8, v5
	v_lshlrev_b64 v[3:4], 4, v[3:4]
	v_ashrrev_i32_e32 v6, 31, v5
	s_delay_alu instid0(VALU_DEP_3) | instskip(SKIP_1) | instid1(VALU_DEP_4)
	v_add_nc_u32_e32 v2, s8, v0
	v_ashrrev_i32_e32 v1, 31, v0
	v_add_co_u32 v7, vcc_lo, v215, v3
	v_add_co_ci_u32_e32 v8, vcc_lo, v216, v4, vcc_lo
	s_delay_alu instid0(VALU_DEP_4) | instskip(SKIP_3) | instid1(VALU_DEP_4)
	v_add_nc_u32_e32 v4, s8, v2
	v_lshlrev_b64 v[5:6], 4, v[5:6]
	v_ashrrev_i32_e32 v3, 31, v2
	v_lshlrev_b64 v[0:1], 4, v[0:1]
	v_add_nc_u32_e32 v11, s8, v4
	s_delay_alu instid0(VALU_DEP_4) | instskip(SKIP_1) | instid1(VALU_DEP_3)
	v_add_co_u32 v9, vcc_lo, v215, v5
	v_ashrrev_i32_e32 v5, 31, v4
	v_add_nc_u32_e32 v13, s8, v11
	v_lshlrev_b64 v[2:3], 4, v[2:3]
	v_ashrrev_i32_e32 v12, 31, v11
	v_add_co_ci_u32_e32 v10, vcc_lo, v216, v6, vcc_lo
	s_delay_alu instid0(VALU_DEP_4) | instskip(SKIP_3) | instid1(VALU_DEP_4)
	v_add_nc_u32_e32 v15, s8, v13
	v_add_co_u32 v0, vcc_lo, v215, v0
	v_lshlrev_b64 v[4:5], 4, v[4:5]
	v_ashrrev_i32_e32 v14, 31, v13
	v_add_nc_u32_e32 v17, s8, v15
	v_add_co_ci_u32_e32 v1, vcc_lo, v216, v1, vcc_lo
	v_add_co_u32 v2, vcc_lo, v215, v2
	s_delay_alu instid0(VALU_DEP_3) | instskip(SKIP_3) | instid1(VALU_DEP_4)
	v_add_nc_u32_e32 v19, s8, v17
	v_lshlrev_b64 v[11:12], 4, v[11:12]
	v_ashrrev_i32_e32 v16, 31, v15
	v_add_co_ci_u32_e32 v3, vcc_lo, v216, v3, vcc_lo
	v_add_nc_u32_e32 v21, s8, v19
	v_add_co_u32 v4, vcc_lo, v215, v4
	v_lshlrev_b64 v[13:14], 4, v[13:14]
	v_ashrrev_i32_e32 v18, 31, v17
	s_delay_alu instid0(VALU_DEP_4) | instskip(SKIP_2) | instid1(VALU_DEP_3)
	v_add_nc_u32_e32 v23, s8, v21
	v_add_co_ci_u32_e32 v5, vcc_lo, v216, v5, vcc_lo
	v_add_co_u32 v11, vcc_lo, v215, v11
	v_add_nc_u32_e32 v25, s8, v23
	v_lshlrev_b64 v[15:16], 4, v[15:16]
	v_ashrrev_i32_e32 v20, 31, v19
	v_add_co_ci_u32_e32 v12, vcc_lo, v216, v12, vcc_lo
	s_delay_alu instid0(VALU_DEP_4) | instskip(SKIP_3) | instid1(VALU_DEP_4)
	v_add_nc_u32_e32 v27, s8, v25
	v_add_co_u32 v13, vcc_lo, v215, v13
	v_lshlrev_b64 v[17:18], 4, v[17:18]
	v_ashrrev_i32_e32 v22, 31, v21
	v_add_nc_u32_e32 v29, s8, v27
	v_add_co_ci_u32_e32 v14, vcc_lo, v216, v14, vcc_lo
	v_add_co_u32 v15, vcc_lo, v215, v15
	s_delay_alu instid0(VALU_DEP_3) | instskip(SKIP_3) | instid1(VALU_DEP_4)
	v_add_nc_u32_e32 v31, s8, v29
	v_lshlrev_b64 v[19:20], 4, v[19:20]
	v_ashrrev_i32_e32 v24, 31, v23
	v_add_co_ci_u32_e32 v16, vcc_lo, v216, v16, vcc_lo
	v_add_nc_u32_e32 v33, s8, v31
	v_add_co_u32 v17, vcc_lo, v215, v17
	v_lshlrev_b64 v[21:22], 4, v[21:22]
	v_ashrrev_i32_e32 v26, 31, v25
	s_delay_alu instid0(VALU_DEP_4) | instskip(SKIP_2) | instid1(VALU_DEP_3)
	v_add_nc_u32_e32 v35, s8, v33
	v_add_co_ci_u32_e32 v18, vcc_lo, v216, v18, vcc_lo
	v_add_co_u32 v19, vcc_lo, v215, v19
	v_add_nc_u32_e32 v37, s8, v35
	v_lshlrev_b64 v[23:24], 4, v[23:24]
	v_ashrrev_i32_e32 v28, 31, v27
	v_add_co_ci_u32_e32 v20, vcc_lo, v216, v20, vcc_lo
	s_delay_alu instid0(VALU_DEP_4) | instskip(SKIP_3) | instid1(VALU_DEP_4)
	v_add_nc_u32_e32 v39, s8, v37
	v_add_co_u32 v21, vcc_lo, v215, v21
	v_lshlrev_b64 v[25:26], 4, v[25:26]
	v_ashrrev_i32_e32 v30, 31, v29
	v_add_nc_u32_e32 v41, s8, v39
	v_add_co_ci_u32_e32 v22, vcc_lo, v216, v22, vcc_lo
	v_add_co_u32 v23, vcc_lo, v215, v23
	s_delay_alu instid0(VALU_DEP_3) | instskip(SKIP_3) | instid1(VALU_DEP_4)
	v_add_nc_u32_e32 v43, s8, v41
	v_lshlrev_b64 v[27:28], 4, v[27:28]
	v_ashrrev_i32_e32 v32, 31, v31
	v_add_co_ci_u32_e32 v24, vcc_lo, v216, v24, vcc_lo
	v_add_nc_u32_e32 v45, s8, v43
	v_add_co_u32 v25, vcc_lo, v215, v25
	v_lshlrev_b64 v[29:30], 4, v[29:30]
	v_ashrrev_i32_e32 v34, 31, v33
	s_delay_alu instid0(VALU_DEP_4) | instskip(SKIP_2) | instid1(VALU_DEP_3)
	v_add_nc_u32_e32 v47, s8, v45
	v_add_co_ci_u32_e32 v26, vcc_lo, v216, v26, vcc_lo
	v_add_co_u32 v27, vcc_lo, v215, v27
	v_add_nc_u32_e32 v49, s8, v47
	v_lshlrev_b64 v[31:32], 4, v[31:32]
	v_ashrrev_i32_e32 v36, 31, v35
	v_add_co_ci_u32_e32 v28, vcc_lo, v216, v28, vcc_lo
	s_delay_alu instid0(VALU_DEP_4)
	v_add_nc_u32_e32 v51, s8, v49
	v_add_co_u32 v29, vcc_lo, v215, v29
	v_lshlrev_b64 v[33:34], 4, v[33:34]
	v_ashrrev_i32_e32 v38, 31, v37
	v_add_co_ci_u32_e32 v30, vcc_lo, v216, v30, vcc_lo
	v_add_co_u32 v31, vcc_lo, v215, v31
	v_lshlrev_b64 v[35:36], 4, v[35:36]
	v_ashrrev_i32_e32 v40, 31, v39
	v_add_nc_u32_e32 v53, s8, v51
	v_add_co_ci_u32_e32 v32, vcc_lo, v216, v32, vcc_lo
	v_add_co_u32 v33, vcc_lo, v215, v33
	v_lshlrev_b64 v[37:38], 4, v[37:38]
	v_ashrrev_i32_e32 v42, 31, v41
	v_add_co_ci_u32_e32 v34, vcc_lo, v216, v34, vcc_lo
	v_add_co_u32 v35, vcc_lo, v215, v35
	v_lshlrev_b64 v[39:40], 4, v[39:40]
	v_add_nc_u32_e32 v55, s8, v53
	v_ashrrev_i32_e32 v44, 31, v43
	v_add_co_ci_u32_e32 v36, vcc_lo, v216, v36, vcc_lo
	v_add_co_u32 v37, vcc_lo, v215, v37
	v_lshlrev_b64 v[41:42], 4, v[41:42]
	v_ashrrev_i32_e32 v46, 31, v45
	v_add_co_ci_u32_e32 v38, vcc_lo, v216, v38, vcc_lo
	v_add_nc_u32_e32 v57, s8, v55
	v_add_co_u32 v39, vcc_lo, v215, v39
	v_lshlrev_b64 v[43:44], 4, v[43:44]
	v_ashrrev_i32_e32 v48, 31, v47
	v_add_co_ci_u32_e32 v40, vcc_lo, v216, v40, vcc_lo
	v_add_co_u32 v41, vcc_lo, v215, v41
	v_lshlrev_b64 v[45:46], 4, v[45:46]
	v_ashrrev_i32_e32 v50, 31, v49
	v_add_nc_u32_e32 v59, s8, v57
	v_add_co_ci_u32_e32 v42, vcc_lo, v216, v42, vcc_lo
	v_add_co_u32 v43, vcc_lo, v215, v43
	v_lshlrev_b64 v[47:48], 4, v[47:48]
	v_ashrrev_i32_e32 v52, 31, v51
	v_add_co_ci_u32_e32 v44, vcc_lo, v216, v44, vcc_lo
	v_add_co_u32 v45, vcc_lo, v215, v45
	v_lshlrev_b64 v[49:50], 4, v[49:50]
	v_add_nc_u32_e32 v61, s8, v59
	v_ashrrev_i32_e32 v54, 31, v53
	v_add_co_ci_u32_e32 v46, vcc_lo, v216, v46, vcc_lo
	v_add_co_u32 v47, vcc_lo, v215, v47
	v_lshlrev_b64 v[51:52], 4, v[51:52]
	v_ashrrev_i32_e32 v56, 31, v55
	v_add_co_ci_u32_e32 v48, vcc_lo, v216, v48, vcc_lo
	;; [unrolled: 23-line block ×3, first 2 shown]
	v_add_nc_u32_e32 v69, s8, v67
	v_add_co_u32 v59, vcc_lo, v215, v59
	v_lshlrev_b64 v[63:64], 4, v[63:64]
	v_ashrrev_i32_e32 v68, 31, v67
	v_add_co_ci_u32_e32 v60, vcc_lo, v216, v60, vcc_lo
	v_add_co_u32 v61, vcc_lo, v215, v61
	v_lshlrev_b64 v[65:66], 4, v[65:66]
	v_add_nc_u32_e32 v71, s8, v69
	v_add_co_ci_u32_e32 v62, vcc_lo, v216, v62, vcc_lo
	v_add_co_u32 v63, vcc_lo, v215, v63
	v_lshlrev_b64 v[67:68], 4, v[67:68]
	v_ashrrev_i32_e32 v70, 31, v69
	v_add_co_ci_u32_e32 v64, vcc_lo, v216, v64, vcc_lo
	v_add_co_u32 v65, vcc_lo, v215, v65
	v_ashrrev_i32_e32 v72, 31, v71
	v_add_nc_u32_e32 v73, s8, v71
	v_add_co_ci_u32_e32 v66, vcc_lo, v216, v66, vcc_lo
	v_lshlrev_b64 v[69:70], 4, v[69:70]
	v_add_co_u32 v205, vcc_lo, v215, v67
	v_add_co_ci_u32_e32 v206, vcc_lo, v216, v68, vcc_lo
	v_lshlrev_b64 v[67:68], 4, v[71:72]
	v_ashrrev_i32_e32 v74, 31, v73
	v_add_nc_u32_e32 v71, s8, v73
	v_add_co_u32 v212, vcc_lo, v215, v69
	v_add_co_ci_u32_e32 v213, vcc_lo, v216, v70, vcc_lo
	s_delay_alu instid0(VALU_DEP_4) | instskip(NEXT) | instid1(VALU_DEP_4)
	v_lshlrev_b64 v[69:70], 4, v[73:74]
	v_ashrrev_i32_e32 v72, 31, v71
	v_add_nc_u32_e32 v73, s8, v71
	v_add_co_u32 v217, vcc_lo, v215, v67
	v_add_co_ci_u32_e32 v218, vcc_lo, v216, v68, vcc_lo
	s_delay_alu instid0(VALU_DEP_4) | instskip(NEXT) | instid1(VALU_DEP_4)
	;; [unrolled: 6-line block ×10, first 2 shown]
	v_lshlrev_b64 v[67:68], 4, v[71:72]
	v_add_nc_u32_e32 v71, s8, v73
	v_ashrrev_i32_e32 v74, 31, v73
	v_add_co_u32 v236, vcc_lo, v215, v69
	v_add_co_ci_u32_e32 v237, vcc_lo, v216, v70, vcc_lo
	s_delay_alu instid0(VALU_DEP_4) | instskip(NEXT) | instid1(VALU_DEP_4)
	v_ashrrev_i32_e32 v72, 31, v71
	v_lshlrev_b64 v[69:70], 4, v[73:74]
	v_add_co_u32 v238, vcc_lo, v215, v67
	v_add_co_ci_u32_e32 v239, vcc_lo, v216, v68, vcc_lo
	s_delay_alu instid0(VALU_DEP_4) | instskip(SKIP_3) | instid1(VALU_DEP_4)
	v_lshlrev_b64 v[67:68], 4, v[71:72]
	v_add_nc_u32_e32 v71, s8, v71
	v_add_co_u32 v240, vcc_lo, v215, v69
	v_add_co_ci_u32_e32 v241, vcc_lo, v216, v70, vcc_lo
	v_add_co_u32 v242, vcc_lo, v215, v67
	s_delay_alu instid0(VALU_DEP_4) | instskip(SKIP_3) | instid1(VALU_DEP_4)
	v_ashrrev_i32_e32 v72, 31, v71
	v_add_co_ci_u32_e32 v243, vcc_lo, v216, v68, vcc_lo
	v_add_co_u32 v69, vcc_lo, v215, v207
	v_add_co_ci_u32_e32 v70, vcc_lo, 0, v216, vcc_lo
	v_lshlrev_b64 v[67:68], 4, v[71:72]
	s_delay_alu instid0(VALU_DEP_3) | instskip(NEXT) | instid1(VALU_DEP_3)
	v_add_co_u32 v71, vcc_lo, v69, s10
	v_add_co_ci_u32_e32 v72, vcc_lo, s11, v70, vcc_lo
	s_delay_alu instid0(VALU_DEP_3) | instskip(NEXT) | instid1(VALU_DEP_4)
	v_add_co_u32 v244, vcc_lo, v215, v67
	v_add_co_ci_u32_e32 v245, vcc_lo, v216, v68, vcc_lo
	s_clause 0x1f
	global_load_b128 v[200:203], v[69:70], off
	global_load_b128 v[196:199], v[71:72], off
	;; [unrolled: 1-line block ×32, first 2 shown]
	s_clause 0x12
	global_load_b128 v[72:75], v[61:62], off
	global_load_b128 v[68:71], v[63:64], off
	global_load_b128 v[64:67], v[65:66], off
	global_load_b128 v[60:63], v[205:206], off
	global_load_b128 v[56:59], v[212:213], off
	global_load_b128 v[52:55], v[217:218], off
	global_load_b128 v[48:51], v[220:221], off
	global_load_b128 v[44:47], v[222:223], off
	global_load_b128 v[40:43], v[224:225], off
	global_load_b128 v[36:39], v[226:227], off
	global_load_b128 v[32:35], v[228:229], off
	global_load_b128 v[28:31], v[230:231], off
	global_load_b128 v[24:27], v[232:233], off
	global_load_b128 v[20:23], v[234:235], off
	global_load_b128 v[16:19], v[236:237], off
	global_load_b128 v[12:15], v[238:239], off
	global_load_b128 v[8:11], v[240:241], off
	global_load_b128 v[4:7], v[242:243], off
	global_load_b128 v[0:3], v[244:245], off
	v_mul_lo_u32 v212, s2, v204
	s_delay_alu instid0(VALU_DEP_1) | instskip(SKIP_2) | instid1(VALU_DEP_3)
	v_lshl_add_u32 v214, v212, 4, 0
	v_lshlrev_b32_e32 v218, 4, v212
	v_mov_b32_e32 v212, 0
	v_add_nc_u32_e32 v204, v214, v207
	s_waitcnt vmcnt(50)
	ds_store_2addr_b64 v204, v[200:201], v[202:203] offset1:1
	s_waitcnt vmcnt(0) lgkmcnt(0)
	s_barrier
	buffer_gl0_inv
	ds_load_2addr_b64 v[204:207], v214 offset1:1
	s_cbranch_scc1 .LBB100_6
; %bb.4:
	v_add3_u32 v213, v218, 0, 16
	v_mov_b32_e32 v212, 0
	s_mov_b32 s6, 1
	s_set_inst_prefetch_distance 0x1
	.p2align	6
.LBB100_5:                              ; =>This Inner Loop Header: Depth=1
	ds_load_2addr_b64 v[220:223], v213 offset1:1
	s_waitcnt lgkmcnt(1)
	v_cmp_gt_f64_e32 vcc_lo, 0, v[204:205]
	v_xor_b32_e32 v217, 0x80000000, v205
	v_cmp_gt_f64_e64 s2, 0, v[206:207]
	v_xor_b32_e32 v224, 0x80000000, v207
	v_add_nc_u32_e32 v213, 16, v213
	s_waitcnt lgkmcnt(0)
	v_cmp_gt_f64_e64 s3, 0, v[220:221]
	v_mov_b32_e32 v228, v220
	v_dual_mov_b32 v230, v222 :: v_dual_cndmask_b32 v225, v205, v217
	v_xor_b32_e32 v217, 0x80000000, v221
	v_cndmask_b32_e64 v227, v207, v224, s2
	v_xor_b32_e32 v224, 0x80000000, v223
	v_cndmask_b32_e64 v226, v206, v206, s2
	s_delay_alu instid0(VALU_DEP_4) | instskip(SKIP_1) | instid1(VALU_DEP_1)
	v_cndmask_b32_e64 v229, v221, v217, s3
	v_cmp_gt_f64_e64 s3, 0, v[222:223]
	v_cndmask_b32_e64 v231, v223, v224, s3
	v_cndmask_b32_e32 v224, v204, v204, vcc_lo
	s_delay_alu instid0(VALU_DEP_2) | instskip(NEXT) | instid1(VALU_DEP_2)
	v_add_f64 v[228:229], v[228:229], v[230:231]
	v_add_f64 v[224:225], v[224:225], v[226:227]
	s_delay_alu instid0(VALU_DEP_1)
	v_cmp_lt_f64_e32 vcc_lo, v[224:225], v[228:229]
	v_cndmask_b32_e32 v207, v207, v223, vcc_lo
	v_dual_cndmask_b32 v205, v205, v221 :: v_dual_cndmask_b32 v204, v204, v220
	v_cndmask_b32_e32 v206, v206, v222, vcc_lo
	v_cndmask_b32_e64 v212, v212, s6, vcc_lo
	s_add_i32 s6, s6, 1
	s_delay_alu instid0(SALU_CYCLE_1)
	s_cmp_eq_u32 s5, s6
	s_cbranch_scc0 .LBB100_5
.LBB100_6:
	s_set_inst_prefetch_distance 0x2
	s_waitcnt lgkmcnt(0)
	v_cmp_neq_f64_e32 vcc_lo, 0, v[204:205]
	v_cmp_neq_f64_e64 s2, 0, v[206:207]
	v_mov_b32_e32 v217, 1
	v_mov_b32_e32 v221, 1
	s_delay_alu instid0(VALU_DEP_3) | instskip(NEXT) | instid1(SALU_CYCLE_1)
	s_or_b32 s2, vcc_lo, s2
	s_and_saveexec_b32 s3, s2
	s_cbranch_execz .LBB100_12
; %bb.7:
	v_cmp_gt_f64_e32 vcc_lo, 0, v[204:205]
	v_cmp_gt_f64_e64 s2, 0, v[206:207]
	v_xor_b32_e32 v213, 0x80000000, v205
	v_xor_b32_e32 v217, 0x80000000, v207
                                        ; implicit-def: $sgpr6
                                        ; implicit-def: $sgpr7
	s_delay_alu instid0(VALU_DEP_2) | instskip(NEXT) | instid1(VALU_DEP_2)
	v_dual_cndmask_b32 v221, v205, v213 :: v_dual_cndmask_b32 v220, v204, v204
	v_cndmask_b32_e64 v223, v207, v217, s2
	v_cndmask_b32_e64 v222, v206, v206, s2
	s_mov_b32 s2, exec_lo
	s_delay_alu instid0(VALU_DEP_1)
	v_cmpx_ngt_f64_e32 v[220:221], v[222:223]
	s_xor_b32 s2, exec_lo, s2
	s_cbranch_execz .LBB100_9
; %bb.8:
	v_div_scale_f64 v[220:221], null, v[206:207], v[206:207], v[204:205]
	v_div_scale_f64 v[226:227], vcc_lo, v[204:205], v[206:207], v[204:205]
	s_mov_b32 s7, 2
	s_mov_b32 s6, 0
	s_delay_alu instid0(VALU_DEP_2) | instskip(SKIP_2) | instid1(VALU_DEP_1)
	v_rcp_f64_e32 v[222:223], v[220:221]
	s_waitcnt_depctr 0xfff
	v_fma_f64 v[224:225], -v[220:221], v[222:223], 1.0
	v_fma_f64 v[222:223], v[222:223], v[224:225], v[222:223]
	s_delay_alu instid0(VALU_DEP_1) | instskip(NEXT) | instid1(VALU_DEP_1)
	v_fma_f64 v[224:225], -v[220:221], v[222:223], 1.0
	v_fma_f64 v[222:223], v[222:223], v[224:225], v[222:223]
	s_delay_alu instid0(VALU_DEP_1) | instskip(NEXT) | instid1(VALU_DEP_1)
	v_mul_f64 v[224:225], v[226:227], v[222:223]
	v_fma_f64 v[220:221], -v[220:221], v[224:225], v[226:227]
	s_delay_alu instid0(VALU_DEP_1) | instskip(NEXT) | instid1(VALU_DEP_1)
	v_div_fmas_f64 v[220:221], v[220:221], v[222:223], v[224:225]
	v_div_fixup_f64 v[220:221], v[220:221], v[206:207], v[204:205]
	s_delay_alu instid0(VALU_DEP_1) | instskip(NEXT) | instid1(VALU_DEP_1)
	v_fma_f64 v[204:205], v[204:205], v[220:221], v[206:207]
	v_div_scale_f64 v[206:207], null, v[204:205], v[204:205], 1.0
	s_delay_alu instid0(VALU_DEP_1) | instskip(SKIP_2) | instid1(VALU_DEP_1)
	v_rcp_f64_e32 v[222:223], v[206:207]
	s_waitcnt_depctr 0xfff
	v_fma_f64 v[224:225], -v[206:207], v[222:223], 1.0
	v_fma_f64 v[222:223], v[222:223], v[224:225], v[222:223]
	s_delay_alu instid0(VALU_DEP_1) | instskip(NEXT) | instid1(VALU_DEP_1)
	v_fma_f64 v[224:225], -v[206:207], v[222:223], 1.0
	v_fma_f64 v[222:223], v[222:223], v[224:225], v[222:223]
	v_div_scale_f64 v[224:225], vcc_lo, 1.0, v[204:205], 1.0
	s_delay_alu instid0(VALU_DEP_1) | instskip(NEXT) | instid1(VALU_DEP_1)
	v_mul_f64 v[226:227], v[224:225], v[222:223]
	v_fma_f64 v[206:207], -v[206:207], v[226:227], v[224:225]
	s_delay_alu instid0(VALU_DEP_1) | instskip(NEXT) | instid1(VALU_DEP_1)
	v_div_fmas_f64 v[206:207], v[206:207], v[222:223], v[226:227]
	v_div_fixup_f64 v[206:207], v[206:207], v[204:205], 1.0
	s_delay_alu instid0(VALU_DEP_1)
	v_mul_f64 v[204:205], v[220:221], v[206:207]
	v_xor_b32_e32 v207, 0x80000000, v207
.LBB100_9:
	s_or_saveexec_b32 s2, s2
	v_mov_b32_e32 v221, s6
	v_mov_b32_e32 v217, s7
	s_xor_b32 exec_lo, exec_lo, s2
	s_cbranch_execz .LBB100_11
; %bb.10:
	s_delay_alu instid0(VALU_DEP_4) | instskip(SKIP_2) | instid1(VALU_DEP_3)
	v_div_scale_f64 v[220:221], null, v[204:205], v[204:205], v[206:207]
	v_div_scale_f64 v[226:227], vcc_lo, v[206:207], v[204:205], v[206:207]
	v_mov_b32_e32 v217, 2
	v_rcp_f64_e32 v[222:223], v[220:221]
	s_waitcnt_depctr 0xfff
	v_fma_f64 v[224:225], -v[220:221], v[222:223], 1.0
	s_delay_alu instid0(VALU_DEP_1) | instskip(NEXT) | instid1(VALU_DEP_1)
	v_fma_f64 v[222:223], v[222:223], v[224:225], v[222:223]
	v_fma_f64 v[224:225], -v[220:221], v[222:223], 1.0
	s_delay_alu instid0(VALU_DEP_1) | instskip(NEXT) | instid1(VALU_DEP_1)
	v_fma_f64 v[222:223], v[222:223], v[224:225], v[222:223]
	v_mul_f64 v[224:225], v[226:227], v[222:223]
	s_delay_alu instid0(VALU_DEP_1) | instskip(NEXT) | instid1(VALU_DEP_1)
	v_fma_f64 v[220:221], -v[220:221], v[224:225], v[226:227]
	v_div_fmas_f64 v[220:221], v[220:221], v[222:223], v[224:225]
	s_delay_alu instid0(VALU_DEP_1) | instskip(NEXT) | instid1(VALU_DEP_1)
	v_div_fixup_f64 v[220:221], v[220:221], v[204:205], v[206:207]
	v_fma_f64 v[204:205], v[206:207], v[220:221], v[204:205]
	s_delay_alu instid0(VALU_DEP_1) | instskip(NEXT) | instid1(VALU_DEP_1)
	v_div_scale_f64 v[206:207], null, v[204:205], v[204:205], 1.0
	v_rcp_f64_e32 v[222:223], v[206:207]
	s_waitcnt_depctr 0xfff
	v_fma_f64 v[224:225], -v[206:207], v[222:223], 1.0
	s_delay_alu instid0(VALU_DEP_1) | instskip(NEXT) | instid1(VALU_DEP_1)
	v_fma_f64 v[222:223], v[222:223], v[224:225], v[222:223]
	v_fma_f64 v[224:225], -v[206:207], v[222:223], 1.0
	s_delay_alu instid0(VALU_DEP_1) | instskip(SKIP_1) | instid1(VALU_DEP_1)
	v_fma_f64 v[222:223], v[222:223], v[224:225], v[222:223]
	v_div_scale_f64 v[224:225], vcc_lo, 1.0, v[204:205], 1.0
	v_mul_f64 v[226:227], v[224:225], v[222:223]
	s_delay_alu instid0(VALU_DEP_1) | instskip(NEXT) | instid1(VALU_DEP_1)
	v_fma_f64 v[206:207], -v[206:207], v[226:227], v[224:225]
	v_div_fmas_f64 v[206:207], v[206:207], v[222:223], v[226:227]
	s_delay_alu instid0(VALU_DEP_1) | instskip(NEXT) | instid1(VALU_DEP_1)
	v_div_fixup_f64 v[204:205], v[206:207], v[204:205], 1.0
	v_mul_f64 v[206:207], v[220:221], -v[204:205]
	v_mov_b32_e32 v221, 0
.LBB100_11:
	s_or_b32 exec_lo, exec_lo, s2
.LBB100_12:
	s_delay_alu instid0(SALU_CYCLE_1) | instskip(NEXT) | instid1(SALU_CYCLE_1)
	s_or_b32 exec_lo, exec_lo, s3
	s_mov_b32 s2, exec_lo
	v_cmpx_ne_u32_e64 v219, v212
	s_xor_b32 s2, exec_lo, s2
	s_cbranch_execz .LBB100_18
; %bb.13:
	s_mov_b32 s3, exec_lo
	v_cmpx_eq_u32_e32 0, v219
	s_cbranch_execz .LBB100_17
; %bb.14:
	v_cmp_ne_u32_e32 vcc_lo, 0, v212
	s_xor_b32 s6, s4, -1
	s_delay_alu instid0(SALU_CYCLE_1) | instskip(NEXT) | instid1(SALU_CYCLE_1)
	s_and_b32 s7, s6, vcc_lo
	s_and_saveexec_b32 s6, s7
	s_cbranch_execz .LBB100_16
; %bb.15:
	v_ashrrev_i32_e32 v213, 31, v212
	s_delay_alu instid0(VALU_DEP_1) | instskip(NEXT) | instid1(VALU_DEP_1)
	v_lshlrev_b64 v[219:220], 2, v[212:213]
	v_add_co_u32 v219, vcc_lo, v210, v219
	s_delay_alu instid0(VALU_DEP_2)
	v_add_co_ci_u32_e32 v220, vcc_lo, v211, v220, vcc_lo
	s_clause 0x1
	flat_load_b32 v213, v[219:220]
	flat_load_b32 v222, v[210:211]
	s_waitcnt vmcnt(1) lgkmcnt(1)
	flat_store_b32 v[210:211], v213
	s_waitcnt vmcnt(0) lgkmcnt(1)
	flat_store_b32 v[219:220], v222
.LBB100_16:
	s_or_b32 exec_lo, exec_lo, s6
	v_mov_b32_e32 v219, v212
.LBB100_17:
	s_or_b32 exec_lo, exec_lo, s3
.LBB100_18:
	s_or_saveexec_b32 s2, s2
	s_delay_alu instid0(VALU_DEP_1)
	v_mov_b32_e32 v220, v219
	s_xor_b32 exec_lo, exec_lo, s2
	s_cbranch_execz .LBB100_20
; %bb.19:
	v_mov_b32_e32 v220, 0
	ds_store_2addr_b64 v214, v[196:197], v[198:199] offset0:2 offset1:3
	ds_store_2addr_b64 v214, v[192:193], v[194:195] offset0:4 offset1:5
	;; [unrolled: 1-line block ×50, first 2 shown]
.LBB100_20:
	s_or_b32 exec_lo, exec_lo, s2
	s_delay_alu instid0(SALU_CYCLE_1)
	s_mov_b32 s2, exec_lo
	s_waitcnt lgkmcnt(0)
	s_waitcnt_vscnt null, 0x0
	s_barrier
	buffer_gl0_inv
	v_cmpx_lt_i32_e32 0, v220
	s_cbranch_execz .LBB100_22
; %bb.21:
	v_mul_f64 v[212:213], v[206:207], v[202:203]
	v_mul_f64 v[202:203], v[204:205], v[202:203]
	s_delay_alu instid0(VALU_DEP_2) | instskip(NEXT) | instid1(VALU_DEP_2)
	v_fma_f64 v[212:213], v[204:205], v[200:201], -v[212:213]
	v_fma_f64 v[202:203], v[206:207], v[200:201], v[202:203]
	ds_load_2addr_b64 v[204:207], v214 offset0:2 offset1:3
	s_waitcnt lgkmcnt(0)
	v_mul_f64 v[200:201], v[206:207], v[202:203]
	s_delay_alu instid0(VALU_DEP_1) | instskip(SKIP_1) | instid1(VALU_DEP_2)
	v_fma_f64 v[200:201], v[204:205], v[212:213], -v[200:201]
	v_mul_f64 v[204:205], v[204:205], v[202:203]
	v_add_f64 v[196:197], v[196:197], -v[200:201]
	s_delay_alu instid0(VALU_DEP_2) | instskip(NEXT) | instid1(VALU_DEP_1)
	v_fma_f64 v[204:205], v[206:207], v[212:213], v[204:205]
	v_add_f64 v[198:199], v[198:199], -v[204:205]
	ds_load_2addr_b64 v[204:207], v214 offset0:4 offset1:5
	s_waitcnt lgkmcnt(0)
	v_mul_f64 v[200:201], v[206:207], v[202:203]
	s_delay_alu instid0(VALU_DEP_1) | instskip(SKIP_1) | instid1(VALU_DEP_2)
	v_fma_f64 v[200:201], v[204:205], v[212:213], -v[200:201]
	v_mul_f64 v[204:205], v[204:205], v[202:203]
	v_add_f64 v[192:193], v[192:193], -v[200:201]
	s_delay_alu instid0(VALU_DEP_2) | instskip(NEXT) | instid1(VALU_DEP_1)
	v_fma_f64 v[204:205], v[206:207], v[212:213], v[204:205]
	v_add_f64 v[194:195], v[194:195], -v[204:205]
	;; [unrolled: 10-line block ×49, first 2 shown]
	ds_load_2addr_b64 v[204:207], v214 offset0:100 offset1:101
	s_waitcnt lgkmcnt(0)
	v_mul_f64 v[200:201], v[206:207], v[202:203]
	s_delay_alu instid0(VALU_DEP_1) | instskip(SKIP_1) | instid1(VALU_DEP_2)
	v_fma_f64 v[200:201], v[204:205], v[212:213], -v[200:201]
	v_mul_f64 v[204:205], v[204:205], v[202:203]
	v_add_f64 v[0:1], v[0:1], -v[200:201]
	s_delay_alu instid0(VALU_DEP_2) | instskip(SKIP_1) | instid1(VALU_DEP_2)
	v_fma_f64 v[204:205], v[206:207], v[212:213], v[204:205]
	v_dual_mov_b32 v200, v212 :: v_dual_mov_b32 v201, v213
	v_add_f64 v[2:3], v[2:3], -v[204:205]
.LBB100_22:
	s_or_b32 exec_lo, exec_lo, s2
	v_lshl_add_u32 v204, v220, 4, v214
	s_barrier
	buffer_gl0_inv
	v_mov_b32_e32 v212, 1
	ds_store_2addr_b64 v204, v[196:197], v[198:199] offset1:1
	s_waitcnt lgkmcnt(0)
	s_barrier
	buffer_gl0_inv
	ds_load_2addr_b64 v[204:207], v214 offset0:2 offset1:3
	s_cmp_lt_i32 s5, 3
	s_cbranch_scc1 .LBB100_25
; %bb.23:
	v_add3_u32 v213, v218, 0, 32
	v_mov_b32_e32 v212, 1
	s_mov_b32 s6, 2
	s_set_inst_prefetch_distance 0x1
	.p2align	6
.LBB100_24:                             ; =>This Inner Loop Header: Depth=1
	ds_load_2addr_b64 v[222:225], v213 offset1:1
	s_waitcnt lgkmcnt(1)
	v_cmp_gt_f64_e32 vcc_lo, 0, v[204:205]
	v_xor_b32_e32 v226, 0x80000000, v205
	v_cmp_gt_f64_e64 s2, 0, v[206:207]
	v_xor_b32_e32 v228, 0x80000000, v207
	v_add_nc_u32_e32 v213, 16, v213
	s_waitcnt lgkmcnt(0)
	v_cmp_gt_f64_e64 s3, 0, v[222:223]
	v_mov_b32_e32 v230, v222
	v_dual_mov_b32 v232, v224 :: v_dual_cndmask_b32 v227, v205, v226
	v_xor_b32_e32 v226, 0x80000000, v223
	v_cndmask_b32_e64 v229, v207, v228, s2
	v_xor_b32_e32 v228, 0x80000000, v225
	s_delay_alu instid0(VALU_DEP_3) | instskip(SKIP_2) | instid1(VALU_DEP_2)
	v_cndmask_b32_e64 v231, v223, v226, s3
	v_cmp_gt_f64_e64 s3, 0, v[224:225]
	v_cndmask_b32_e32 v226, v204, v204, vcc_lo
	v_cndmask_b32_e64 v233, v225, v228, s3
	v_cndmask_b32_e64 v228, v206, v206, s2
	s_delay_alu instid0(VALU_DEP_2) | instskip(NEXT) | instid1(VALU_DEP_2)
	v_add_f64 v[230:231], v[230:231], v[232:233]
	v_add_f64 v[226:227], v[226:227], v[228:229]
	s_delay_alu instid0(VALU_DEP_1)
	v_cmp_lt_f64_e32 vcc_lo, v[226:227], v[230:231]
	v_cndmask_b32_e32 v207, v207, v225, vcc_lo
	v_dual_cndmask_b32 v205, v205, v223 :: v_dual_cndmask_b32 v204, v204, v222
	v_cndmask_b32_e32 v206, v206, v224, vcc_lo
	v_cndmask_b32_e64 v212, v212, s6, vcc_lo
	s_add_i32 s6, s6, 1
	s_delay_alu instid0(SALU_CYCLE_1)
	s_cmp_lg_u32 s5, s6
	s_cbranch_scc1 .LBB100_24
.LBB100_25:
	s_set_inst_prefetch_distance 0x2
	s_waitcnt lgkmcnt(0)
	v_cmp_neq_f64_e32 vcc_lo, 0, v[204:205]
	v_cmp_neq_f64_e64 s2, 0, v[206:207]
	s_delay_alu instid0(VALU_DEP_1) | instskip(NEXT) | instid1(SALU_CYCLE_1)
	s_or_b32 s2, vcc_lo, s2
	s_and_saveexec_b32 s3, s2
	s_cbranch_execz .LBB100_31
; %bb.26:
	v_cmp_gt_f64_e32 vcc_lo, 0, v[204:205]
	v_cmp_gt_f64_e64 s2, 0, v[206:207]
	v_xor_b32_e32 v213, 0x80000000, v205
	v_xor_b32_e32 v217, 0x80000000, v207
	s_delay_alu instid0(VALU_DEP_2) | instskip(NEXT) | instid1(VALU_DEP_2)
	v_dual_cndmask_b32 v223, v205, v213 :: v_dual_cndmask_b32 v222, v204, v204
	v_cndmask_b32_e64 v225, v207, v217, s2
	v_cndmask_b32_e64 v224, v206, v206, s2
	s_mov_b32 s2, exec_lo
	s_delay_alu instid0(VALU_DEP_1)
	v_cmpx_ngt_f64_e32 v[222:223], v[224:225]
	s_xor_b32 s2, exec_lo, s2
	s_cbranch_execz .LBB100_28
; %bb.27:
	v_div_scale_f64 v[222:223], null, v[206:207], v[206:207], v[204:205]
	v_div_scale_f64 v[228:229], vcc_lo, v[204:205], v[206:207], v[204:205]
	s_delay_alu instid0(VALU_DEP_2) | instskip(SKIP_2) | instid1(VALU_DEP_1)
	v_rcp_f64_e32 v[224:225], v[222:223]
	s_waitcnt_depctr 0xfff
	v_fma_f64 v[226:227], -v[222:223], v[224:225], 1.0
	v_fma_f64 v[224:225], v[224:225], v[226:227], v[224:225]
	s_delay_alu instid0(VALU_DEP_1) | instskip(NEXT) | instid1(VALU_DEP_1)
	v_fma_f64 v[226:227], -v[222:223], v[224:225], 1.0
	v_fma_f64 v[224:225], v[224:225], v[226:227], v[224:225]
	s_delay_alu instid0(VALU_DEP_1) | instskip(NEXT) | instid1(VALU_DEP_1)
	v_mul_f64 v[226:227], v[228:229], v[224:225]
	v_fma_f64 v[222:223], -v[222:223], v[226:227], v[228:229]
	s_delay_alu instid0(VALU_DEP_1) | instskip(NEXT) | instid1(VALU_DEP_1)
	v_div_fmas_f64 v[222:223], v[222:223], v[224:225], v[226:227]
	v_div_fixup_f64 v[222:223], v[222:223], v[206:207], v[204:205]
	s_delay_alu instid0(VALU_DEP_1) | instskip(NEXT) | instid1(VALU_DEP_1)
	v_fma_f64 v[204:205], v[204:205], v[222:223], v[206:207]
	v_div_scale_f64 v[206:207], null, v[204:205], v[204:205], 1.0
	s_delay_alu instid0(VALU_DEP_1) | instskip(SKIP_2) | instid1(VALU_DEP_1)
	v_rcp_f64_e32 v[224:225], v[206:207]
	s_waitcnt_depctr 0xfff
	v_fma_f64 v[226:227], -v[206:207], v[224:225], 1.0
	v_fma_f64 v[224:225], v[224:225], v[226:227], v[224:225]
	s_delay_alu instid0(VALU_DEP_1) | instskip(NEXT) | instid1(VALU_DEP_1)
	v_fma_f64 v[226:227], -v[206:207], v[224:225], 1.0
	v_fma_f64 v[224:225], v[224:225], v[226:227], v[224:225]
	v_div_scale_f64 v[226:227], vcc_lo, 1.0, v[204:205], 1.0
	s_delay_alu instid0(VALU_DEP_1) | instskip(NEXT) | instid1(VALU_DEP_1)
	v_mul_f64 v[228:229], v[226:227], v[224:225]
	v_fma_f64 v[206:207], -v[206:207], v[228:229], v[226:227]
	s_delay_alu instid0(VALU_DEP_1) | instskip(NEXT) | instid1(VALU_DEP_1)
	v_div_fmas_f64 v[206:207], v[206:207], v[224:225], v[228:229]
	v_div_fixup_f64 v[206:207], v[206:207], v[204:205], 1.0
	s_delay_alu instid0(VALU_DEP_1)
	v_mul_f64 v[204:205], v[222:223], v[206:207]
	v_xor_b32_e32 v207, 0x80000000, v207
.LBB100_28:
	s_and_not1_saveexec_b32 s2, s2
	s_cbranch_execz .LBB100_30
; %bb.29:
	s_delay_alu instid0(VALU_DEP_1) | instskip(SKIP_1) | instid1(VALU_DEP_2)
	v_div_scale_f64 v[222:223], null, v[204:205], v[204:205], v[206:207]
	v_div_scale_f64 v[228:229], vcc_lo, v[206:207], v[204:205], v[206:207]
	v_rcp_f64_e32 v[224:225], v[222:223]
	s_waitcnt_depctr 0xfff
	v_fma_f64 v[226:227], -v[222:223], v[224:225], 1.0
	s_delay_alu instid0(VALU_DEP_1) | instskip(NEXT) | instid1(VALU_DEP_1)
	v_fma_f64 v[224:225], v[224:225], v[226:227], v[224:225]
	v_fma_f64 v[226:227], -v[222:223], v[224:225], 1.0
	s_delay_alu instid0(VALU_DEP_1) | instskip(NEXT) | instid1(VALU_DEP_1)
	v_fma_f64 v[224:225], v[224:225], v[226:227], v[224:225]
	v_mul_f64 v[226:227], v[228:229], v[224:225]
	s_delay_alu instid0(VALU_DEP_1) | instskip(NEXT) | instid1(VALU_DEP_1)
	v_fma_f64 v[222:223], -v[222:223], v[226:227], v[228:229]
	v_div_fmas_f64 v[222:223], v[222:223], v[224:225], v[226:227]
	s_delay_alu instid0(VALU_DEP_1) | instskip(NEXT) | instid1(VALU_DEP_1)
	v_div_fixup_f64 v[222:223], v[222:223], v[204:205], v[206:207]
	v_fma_f64 v[204:205], v[206:207], v[222:223], v[204:205]
	s_delay_alu instid0(VALU_DEP_1) | instskip(NEXT) | instid1(VALU_DEP_1)
	v_div_scale_f64 v[206:207], null, v[204:205], v[204:205], 1.0
	v_rcp_f64_e32 v[224:225], v[206:207]
	s_waitcnt_depctr 0xfff
	v_fma_f64 v[226:227], -v[206:207], v[224:225], 1.0
	s_delay_alu instid0(VALU_DEP_1) | instskip(NEXT) | instid1(VALU_DEP_1)
	v_fma_f64 v[224:225], v[224:225], v[226:227], v[224:225]
	v_fma_f64 v[226:227], -v[206:207], v[224:225], 1.0
	s_delay_alu instid0(VALU_DEP_1) | instskip(SKIP_1) | instid1(VALU_DEP_1)
	v_fma_f64 v[224:225], v[224:225], v[226:227], v[224:225]
	v_div_scale_f64 v[226:227], vcc_lo, 1.0, v[204:205], 1.0
	v_mul_f64 v[228:229], v[226:227], v[224:225]
	s_delay_alu instid0(VALU_DEP_1) | instskip(NEXT) | instid1(VALU_DEP_1)
	v_fma_f64 v[206:207], -v[206:207], v[228:229], v[226:227]
	v_div_fmas_f64 v[206:207], v[206:207], v[224:225], v[228:229]
	s_delay_alu instid0(VALU_DEP_1) | instskip(NEXT) | instid1(VALU_DEP_1)
	v_div_fixup_f64 v[204:205], v[206:207], v[204:205], 1.0
	v_mul_f64 v[206:207], v[222:223], -v[204:205]
.LBB100_30:
	s_or_b32 exec_lo, exec_lo, s2
	v_mov_b32_e32 v217, v221
.LBB100_31:
	s_or_b32 exec_lo, exec_lo, s3
	s_delay_alu instid0(SALU_CYCLE_1)
	s_mov_b32 s2, exec_lo
	v_cmpx_ne_u32_e64 v220, v212
	s_xor_b32 s2, exec_lo, s2
	s_cbranch_execz .LBB100_37
; %bb.32:
	s_mov_b32 s3, exec_lo
	v_cmpx_eq_u32_e32 1, v220
	s_cbranch_execz .LBB100_36
; %bb.33:
	v_cmp_ne_u32_e32 vcc_lo, 1, v212
	s_xor_b32 s6, s4, -1
	s_delay_alu instid0(SALU_CYCLE_1) | instskip(NEXT) | instid1(SALU_CYCLE_1)
	s_and_b32 s7, s6, vcc_lo
	s_and_saveexec_b32 s6, s7
	s_cbranch_execz .LBB100_35
; %bb.34:
	v_ashrrev_i32_e32 v213, 31, v212
	s_delay_alu instid0(VALU_DEP_1) | instskip(NEXT) | instid1(VALU_DEP_1)
	v_lshlrev_b64 v[219:220], 2, v[212:213]
	v_add_co_u32 v219, vcc_lo, v210, v219
	s_delay_alu instid0(VALU_DEP_2)
	v_add_co_ci_u32_e32 v220, vcc_lo, v211, v220, vcc_lo
	s_clause 0x1
	flat_load_b32 v213, v[219:220]
	flat_load_b32 v221, v[210:211] offset:4
	s_waitcnt vmcnt(1) lgkmcnt(1)
	flat_store_b32 v[210:211], v213 offset:4
	s_waitcnt vmcnt(0) lgkmcnt(1)
	flat_store_b32 v[219:220], v221
.LBB100_35:
	s_or_b32 exec_lo, exec_lo, s6
	v_mov_b32_e32 v220, v212
	v_mov_b32_e32 v219, v212
.LBB100_36:
	s_or_b32 exec_lo, exec_lo, s3
.LBB100_37:
	s_and_not1_saveexec_b32 s2, s2
	s_cbranch_execz .LBB100_39
; %bb.38:
	v_mov_b32_e32 v220, 1
	ds_store_2addr_b64 v214, v[192:193], v[194:195] offset0:4 offset1:5
	ds_store_2addr_b64 v214, v[188:189], v[190:191] offset0:6 offset1:7
	;; [unrolled: 1-line block ×49, first 2 shown]
.LBB100_39:
	s_or_b32 exec_lo, exec_lo, s2
	s_delay_alu instid0(SALU_CYCLE_1)
	s_mov_b32 s2, exec_lo
	s_waitcnt lgkmcnt(0)
	s_waitcnt_vscnt null, 0x0
	s_barrier
	buffer_gl0_inv
	v_cmpx_lt_i32_e32 1, v220
	s_cbranch_execz .LBB100_41
; %bb.40:
	v_mul_f64 v[212:213], v[206:207], v[198:199]
	v_mul_f64 v[198:199], v[204:205], v[198:199]
	s_delay_alu instid0(VALU_DEP_2) | instskip(NEXT) | instid1(VALU_DEP_2)
	v_fma_f64 v[212:213], v[204:205], v[196:197], -v[212:213]
	v_fma_f64 v[198:199], v[206:207], v[196:197], v[198:199]
	ds_load_2addr_b64 v[204:207], v214 offset0:4 offset1:5
	s_waitcnt lgkmcnt(0)
	v_mul_f64 v[196:197], v[206:207], v[198:199]
	s_delay_alu instid0(VALU_DEP_1) | instskip(SKIP_1) | instid1(VALU_DEP_2)
	v_fma_f64 v[196:197], v[204:205], v[212:213], -v[196:197]
	v_mul_f64 v[204:205], v[204:205], v[198:199]
	v_add_f64 v[192:193], v[192:193], -v[196:197]
	s_delay_alu instid0(VALU_DEP_2) | instskip(NEXT) | instid1(VALU_DEP_1)
	v_fma_f64 v[204:205], v[206:207], v[212:213], v[204:205]
	v_add_f64 v[194:195], v[194:195], -v[204:205]
	ds_load_2addr_b64 v[204:207], v214 offset0:6 offset1:7
	s_waitcnt lgkmcnt(0)
	v_mul_f64 v[196:197], v[206:207], v[198:199]
	s_delay_alu instid0(VALU_DEP_1) | instskip(SKIP_1) | instid1(VALU_DEP_2)
	v_fma_f64 v[196:197], v[204:205], v[212:213], -v[196:197]
	v_mul_f64 v[204:205], v[204:205], v[198:199]
	v_add_f64 v[188:189], v[188:189], -v[196:197]
	s_delay_alu instid0(VALU_DEP_2) | instskip(NEXT) | instid1(VALU_DEP_1)
	v_fma_f64 v[204:205], v[206:207], v[212:213], v[204:205]
	v_add_f64 v[190:191], v[190:191], -v[204:205]
	;; [unrolled: 10-line block ×48, first 2 shown]
	ds_load_2addr_b64 v[204:207], v214 offset0:100 offset1:101
	s_waitcnt lgkmcnt(0)
	v_mul_f64 v[196:197], v[206:207], v[198:199]
	s_delay_alu instid0(VALU_DEP_1) | instskip(SKIP_1) | instid1(VALU_DEP_2)
	v_fma_f64 v[196:197], v[204:205], v[212:213], -v[196:197]
	v_mul_f64 v[204:205], v[204:205], v[198:199]
	v_add_f64 v[0:1], v[0:1], -v[196:197]
	s_delay_alu instid0(VALU_DEP_2) | instskip(SKIP_1) | instid1(VALU_DEP_2)
	v_fma_f64 v[204:205], v[206:207], v[212:213], v[204:205]
	v_dual_mov_b32 v196, v212 :: v_dual_mov_b32 v197, v213
	v_add_f64 v[2:3], v[2:3], -v[204:205]
.LBB100_41:
	s_or_b32 exec_lo, exec_lo, s2
	v_lshl_add_u32 v204, v220, 4, v214
	s_barrier
	buffer_gl0_inv
	v_mov_b32_e32 v212, 2
	ds_store_2addr_b64 v204, v[192:193], v[194:195] offset1:1
	s_waitcnt lgkmcnt(0)
	s_barrier
	buffer_gl0_inv
	ds_load_2addr_b64 v[204:207], v214 offset0:4 offset1:5
	s_cmp_lt_i32 s5, 4
	s_cbranch_scc1 .LBB100_44
; %bb.42:
	v_add3_u32 v213, v218, 0, 48
	v_mov_b32_e32 v212, 2
	s_mov_b32 s6, 3
	s_set_inst_prefetch_distance 0x1
	.p2align	6
.LBB100_43:                             ; =>This Inner Loop Header: Depth=1
	ds_load_2addr_b64 v[221:224], v213 offset1:1
	s_waitcnt lgkmcnt(1)
	v_cmp_gt_f64_e32 vcc_lo, 0, v[204:205]
	v_xor_b32_e32 v225, 0x80000000, v205
	v_cmp_gt_f64_e64 s2, 0, v[206:207]
	v_xor_b32_e32 v227, 0x80000000, v207
	v_add_nc_u32_e32 v213, 16, v213
	s_waitcnt lgkmcnt(0)
	v_cmp_gt_f64_e64 s3, 0, v[221:222]
	v_mov_b32_e32 v229, v221
	v_dual_mov_b32 v231, v223 :: v_dual_cndmask_b32 v226, v205, v225
	v_xor_b32_e32 v225, 0x80000000, v222
	v_cndmask_b32_e64 v228, v207, v227, s2
	v_xor_b32_e32 v227, 0x80000000, v224
	s_delay_alu instid0(VALU_DEP_3) | instskip(SKIP_2) | instid1(VALU_DEP_2)
	v_cndmask_b32_e64 v230, v222, v225, s3
	v_cmp_gt_f64_e64 s3, 0, v[223:224]
	v_cndmask_b32_e32 v225, v204, v204, vcc_lo
	v_cndmask_b32_e64 v232, v224, v227, s3
	v_cndmask_b32_e64 v227, v206, v206, s2
	s_delay_alu instid0(VALU_DEP_2) | instskip(NEXT) | instid1(VALU_DEP_2)
	v_add_f64 v[229:230], v[229:230], v[231:232]
	v_add_f64 v[225:226], v[225:226], v[227:228]
	s_delay_alu instid0(VALU_DEP_1) | instskip(SKIP_4) | instid1(SALU_CYCLE_1)
	v_cmp_lt_f64_e32 vcc_lo, v[225:226], v[229:230]
	v_dual_cndmask_b32 v206, v206, v223 :: v_dual_cndmask_b32 v205, v205, v222
	v_dual_cndmask_b32 v204, v204, v221 :: v_dual_cndmask_b32 v207, v207, v224
	v_cndmask_b32_e64 v212, v212, s6, vcc_lo
	s_add_i32 s6, s6, 1
	s_cmp_lg_u32 s5, s6
	s_cbranch_scc1 .LBB100_43
.LBB100_44:
	s_set_inst_prefetch_distance 0x2
	s_waitcnt lgkmcnt(0)
	v_cmp_eq_f64_e32 vcc_lo, 0, v[204:205]
	v_cmp_eq_f64_e64 s2, 0, v[206:207]
	s_delay_alu instid0(VALU_DEP_1) | instskip(NEXT) | instid1(SALU_CYCLE_1)
	s_and_b32 s2, vcc_lo, s2
	s_and_saveexec_b32 s3, s2
	s_delay_alu instid0(SALU_CYCLE_1)
	s_xor_b32 s2, exec_lo, s3
; %bb.45:
	v_cmp_ne_u32_e32 vcc_lo, 0, v217
	v_cndmask_b32_e32 v217, 3, v217, vcc_lo
; %bb.46:
	s_and_not1_saveexec_b32 s3, s2
	s_cbranch_execz .LBB100_52
; %bb.47:
	v_cmp_gt_f64_e32 vcc_lo, 0, v[204:205]
	v_cmp_gt_f64_e64 s2, 0, v[206:207]
	v_xor_b32_e32 v213, 0x80000000, v205
	v_xor_b32_e32 v221, 0x80000000, v207
	s_delay_alu instid0(VALU_DEP_2) | instskip(NEXT) | instid1(VALU_DEP_2)
	v_cndmask_b32_e32 v222, v205, v213, vcc_lo
	v_cndmask_b32_e64 v224, v207, v221, s2
	v_cndmask_b32_e32 v221, v204, v204, vcc_lo
	v_cndmask_b32_e64 v223, v206, v206, s2
	s_mov_b32 s2, exec_lo
	s_delay_alu instid0(VALU_DEP_1)
	v_cmpx_ngt_f64_e32 v[221:222], v[223:224]
	s_xor_b32 s2, exec_lo, s2
	s_cbranch_execz .LBB100_49
; %bb.48:
	v_div_scale_f64 v[221:222], null, v[206:207], v[206:207], v[204:205]
	v_div_scale_f64 v[227:228], vcc_lo, v[204:205], v[206:207], v[204:205]
	s_delay_alu instid0(VALU_DEP_2) | instskip(SKIP_2) | instid1(VALU_DEP_1)
	v_rcp_f64_e32 v[223:224], v[221:222]
	s_waitcnt_depctr 0xfff
	v_fma_f64 v[225:226], -v[221:222], v[223:224], 1.0
	v_fma_f64 v[223:224], v[223:224], v[225:226], v[223:224]
	s_delay_alu instid0(VALU_DEP_1) | instskip(NEXT) | instid1(VALU_DEP_1)
	v_fma_f64 v[225:226], -v[221:222], v[223:224], 1.0
	v_fma_f64 v[223:224], v[223:224], v[225:226], v[223:224]
	s_delay_alu instid0(VALU_DEP_1) | instskip(NEXT) | instid1(VALU_DEP_1)
	v_mul_f64 v[225:226], v[227:228], v[223:224]
	v_fma_f64 v[221:222], -v[221:222], v[225:226], v[227:228]
	s_delay_alu instid0(VALU_DEP_1) | instskip(NEXT) | instid1(VALU_DEP_1)
	v_div_fmas_f64 v[221:222], v[221:222], v[223:224], v[225:226]
	v_div_fixup_f64 v[221:222], v[221:222], v[206:207], v[204:205]
	s_delay_alu instid0(VALU_DEP_1) | instskip(NEXT) | instid1(VALU_DEP_1)
	v_fma_f64 v[204:205], v[204:205], v[221:222], v[206:207]
	v_div_scale_f64 v[206:207], null, v[204:205], v[204:205], 1.0
	s_delay_alu instid0(VALU_DEP_1) | instskip(SKIP_2) | instid1(VALU_DEP_1)
	v_rcp_f64_e32 v[223:224], v[206:207]
	s_waitcnt_depctr 0xfff
	v_fma_f64 v[225:226], -v[206:207], v[223:224], 1.0
	v_fma_f64 v[223:224], v[223:224], v[225:226], v[223:224]
	s_delay_alu instid0(VALU_DEP_1) | instskip(NEXT) | instid1(VALU_DEP_1)
	v_fma_f64 v[225:226], -v[206:207], v[223:224], 1.0
	v_fma_f64 v[223:224], v[223:224], v[225:226], v[223:224]
	v_div_scale_f64 v[225:226], vcc_lo, 1.0, v[204:205], 1.0
	s_delay_alu instid0(VALU_DEP_1) | instskip(NEXT) | instid1(VALU_DEP_1)
	v_mul_f64 v[227:228], v[225:226], v[223:224]
	v_fma_f64 v[206:207], -v[206:207], v[227:228], v[225:226]
	s_delay_alu instid0(VALU_DEP_1) | instskip(NEXT) | instid1(VALU_DEP_1)
	v_div_fmas_f64 v[206:207], v[206:207], v[223:224], v[227:228]
	v_div_fixup_f64 v[206:207], v[206:207], v[204:205], 1.0
	s_delay_alu instid0(VALU_DEP_1)
	v_mul_f64 v[204:205], v[221:222], v[206:207]
	v_xor_b32_e32 v207, 0x80000000, v207
.LBB100_49:
	s_and_not1_saveexec_b32 s2, s2
	s_cbranch_execz .LBB100_51
; %bb.50:
	s_delay_alu instid0(VALU_DEP_1) | instskip(SKIP_1) | instid1(VALU_DEP_2)
	v_div_scale_f64 v[221:222], null, v[204:205], v[204:205], v[206:207]
	v_div_scale_f64 v[227:228], vcc_lo, v[206:207], v[204:205], v[206:207]
	v_rcp_f64_e32 v[223:224], v[221:222]
	s_waitcnt_depctr 0xfff
	v_fma_f64 v[225:226], -v[221:222], v[223:224], 1.0
	s_delay_alu instid0(VALU_DEP_1) | instskip(NEXT) | instid1(VALU_DEP_1)
	v_fma_f64 v[223:224], v[223:224], v[225:226], v[223:224]
	v_fma_f64 v[225:226], -v[221:222], v[223:224], 1.0
	s_delay_alu instid0(VALU_DEP_1) | instskip(NEXT) | instid1(VALU_DEP_1)
	v_fma_f64 v[223:224], v[223:224], v[225:226], v[223:224]
	v_mul_f64 v[225:226], v[227:228], v[223:224]
	s_delay_alu instid0(VALU_DEP_1) | instskip(NEXT) | instid1(VALU_DEP_1)
	v_fma_f64 v[221:222], -v[221:222], v[225:226], v[227:228]
	v_div_fmas_f64 v[221:222], v[221:222], v[223:224], v[225:226]
	s_delay_alu instid0(VALU_DEP_1) | instskip(NEXT) | instid1(VALU_DEP_1)
	v_div_fixup_f64 v[221:222], v[221:222], v[204:205], v[206:207]
	v_fma_f64 v[204:205], v[206:207], v[221:222], v[204:205]
	s_delay_alu instid0(VALU_DEP_1) | instskip(NEXT) | instid1(VALU_DEP_1)
	v_div_scale_f64 v[206:207], null, v[204:205], v[204:205], 1.0
	v_rcp_f64_e32 v[223:224], v[206:207]
	s_waitcnt_depctr 0xfff
	v_fma_f64 v[225:226], -v[206:207], v[223:224], 1.0
	s_delay_alu instid0(VALU_DEP_1) | instskip(NEXT) | instid1(VALU_DEP_1)
	v_fma_f64 v[223:224], v[223:224], v[225:226], v[223:224]
	v_fma_f64 v[225:226], -v[206:207], v[223:224], 1.0
	s_delay_alu instid0(VALU_DEP_1) | instskip(SKIP_1) | instid1(VALU_DEP_1)
	v_fma_f64 v[223:224], v[223:224], v[225:226], v[223:224]
	v_div_scale_f64 v[225:226], vcc_lo, 1.0, v[204:205], 1.0
	v_mul_f64 v[227:228], v[225:226], v[223:224]
	s_delay_alu instid0(VALU_DEP_1) | instskip(NEXT) | instid1(VALU_DEP_1)
	v_fma_f64 v[206:207], -v[206:207], v[227:228], v[225:226]
	v_div_fmas_f64 v[206:207], v[206:207], v[223:224], v[227:228]
	s_delay_alu instid0(VALU_DEP_1) | instskip(NEXT) | instid1(VALU_DEP_1)
	v_div_fixup_f64 v[204:205], v[206:207], v[204:205], 1.0
	v_mul_f64 v[206:207], v[221:222], -v[204:205]
.LBB100_51:
	s_or_b32 exec_lo, exec_lo, s2
.LBB100_52:
	s_delay_alu instid0(SALU_CYCLE_1) | instskip(NEXT) | instid1(SALU_CYCLE_1)
	s_or_b32 exec_lo, exec_lo, s3
	s_mov_b32 s2, exec_lo
	v_cmpx_ne_u32_e64 v220, v212
	s_xor_b32 s2, exec_lo, s2
	s_cbranch_execz .LBB100_58
; %bb.53:
	s_mov_b32 s3, exec_lo
	v_cmpx_eq_u32_e32 2, v220
	s_cbranch_execz .LBB100_57
; %bb.54:
	v_cmp_ne_u32_e32 vcc_lo, 2, v212
	s_xor_b32 s6, s4, -1
	s_delay_alu instid0(SALU_CYCLE_1) | instskip(NEXT) | instid1(SALU_CYCLE_1)
	s_and_b32 s7, s6, vcc_lo
	s_and_saveexec_b32 s6, s7
	s_cbranch_execz .LBB100_56
; %bb.55:
	v_ashrrev_i32_e32 v213, 31, v212
	s_delay_alu instid0(VALU_DEP_1) | instskip(NEXT) | instid1(VALU_DEP_1)
	v_lshlrev_b64 v[219:220], 2, v[212:213]
	v_add_co_u32 v219, vcc_lo, v210, v219
	s_delay_alu instid0(VALU_DEP_2)
	v_add_co_ci_u32_e32 v220, vcc_lo, v211, v220, vcc_lo
	s_clause 0x1
	flat_load_b32 v213, v[219:220]
	flat_load_b32 v221, v[210:211] offset:8
	s_waitcnt vmcnt(1) lgkmcnt(1)
	flat_store_b32 v[210:211], v213 offset:8
	s_waitcnt vmcnt(0) lgkmcnt(1)
	flat_store_b32 v[219:220], v221
.LBB100_56:
	s_or_b32 exec_lo, exec_lo, s6
	v_mov_b32_e32 v220, v212
	v_mov_b32_e32 v219, v212
.LBB100_57:
	s_or_b32 exec_lo, exec_lo, s3
.LBB100_58:
	s_and_not1_saveexec_b32 s2, s2
	s_cbranch_execz .LBB100_60
; %bb.59:
	v_mov_b32_e32 v220, 2
	ds_store_2addr_b64 v214, v[188:189], v[190:191] offset0:6 offset1:7
	ds_store_2addr_b64 v214, v[184:185], v[186:187] offset0:8 offset1:9
	;; [unrolled: 1-line block ×48, first 2 shown]
.LBB100_60:
	s_or_b32 exec_lo, exec_lo, s2
	s_delay_alu instid0(SALU_CYCLE_1)
	s_mov_b32 s2, exec_lo
	s_waitcnt lgkmcnt(0)
	s_waitcnt_vscnt null, 0x0
	s_barrier
	buffer_gl0_inv
	v_cmpx_lt_i32_e32 2, v220
	s_cbranch_execz .LBB100_62
; %bb.61:
	v_mul_f64 v[212:213], v[206:207], v[194:195]
	v_mul_f64 v[194:195], v[204:205], v[194:195]
	s_delay_alu instid0(VALU_DEP_2) | instskip(NEXT) | instid1(VALU_DEP_2)
	v_fma_f64 v[212:213], v[204:205], v[192:193], -v[212:213]
	v_fma_f64 v[194:195], v[206:207], v[192:193], v[194:195]
	ds_load_2addr_b64 v[204:207], v214 offset0:6 offset1:7
	s_waitcnt lgkmcnt(0)
	v_mul_f64 v[192:193], v[206:207], v[194:195]
	s_delay_alu instid0(VALU_DEP_1) | instskip(SKIP_1) | instid1(VALU_DEP_2)
	v_fma_f64 v[192:193], v[204:205], v[212:213], -v[192:193]
	v_mul_f64 v[204:205], v[204:205], v[194:195]
	v_add_f64 v[188:189], v[188:189], -v[192:193]
	s_delay_alu instid0(VALU_DEP_2) | instskip(NEXT) | instid1(VALU_DEP_1)
	v_fma_f64 v[204:205], v[206:207], v[212:213], v[204:205]
	v_add_f64 v[190:191], v[190:191], -v[204:205]
	ds_load_2addr_b64 v[204:207], v214 offset0:8 offset1:9
	s_waitcnt lgkmcnt(0)
	v_mul_f64 v[192:193], v[206:207], v[194:195]
	s_delay_alu instid0(VALU_DEP_1) | instskip(SKIP_1) | instid1(VALU_DEP_2)
	v_fma_f64 v[192:193], v[204:205], v[212:213], -v[192:193]
	v_mul_f64 v[204:205], v[204:205], v[194:195]
	v_add_f64 v[184:185], v[184:185], -v[192:193]
	s_delay_alu instid0(VALU_DEP_2) | instskip(NEXT) | instid1(VALU_DEP_1)
	v_fma_f64 v[204:205], v[206:207], v[212:213], v[204:205]
	v_add_f64 v[186:187], v[186:187], -v[204:205]
	;; [unrolled: 10-line block ×47, first 2 shown]
	ds_load_2addr_b64 v[204:207], v214 offset0:100 offset1:101
	s_waitcnt lgkmcnt(0)
	v_mul_f64 v[192:193], v[206:207], v[194:195]
	s_delay_alu instid0(VALU_DEP_1) | instskip(SKIP_1) | instid1(VALU_DEP_2)
	v_fma_f64 v[192:193], v[204:205], v[212:213], -v[192:193]
	v_mul_f64 v[204:205], v[204:205], v[194:195]
	v_add_f64 v[0:1], v[0:1], -v[192:193]
	s_delay_alu instid0(VALU_DEP_2) | instskip(SKIP_1) | instid1(VALU_DEP_2)
	v_fma_f64 v[204:205], v[206:207], v[212:213], v[204:205]
	v_dual_mov_b32 v192, v212 :: v_dual_mov_b32 v193, v213
	v_add_f64 v[2:3], v[2:3], -v[204:205]
.LBB100_62:
	s_or_b32 exec_lo, exec_lo, s2
	v_lshl_add_u32 v204, v220, 4, v214
	s_barrier
	buffer_gl0_inv
	v_mov_b32_e32 v212, 3
	ds_store_2addr_b64 v204, v[188:189], v[190:191] offset1:1
	s_waitcnt lgkmcnt(0)
	s_barrier
	buffer_gl0_inv
	ds_load_2addr_b64 v[204:207], v214 offset0:6 offset1:7
	s_cmp_lt_i32 s5, 5
	s_mov_b32 s6, 4
	s_cbranch_scc1 .LBB100_65
; %bb.63:
	v_add3_u32 v213, v218, 0, 64
	v_mov_b32_e32 v212, 3
	s_set_inst_prefetch_distance 0x1
	.p2align	6
.LBB100_64:                             ; =>This Inner Loop Header: Depth=1
	ds_load_2addr_b64 v[221:224], v213 offset1:1
	s_waitcnt lgkmcnt(1)
	v_cmp_gt_f64_e32 vcc_lo, 0, v[204:205]
	v_xor_b32_e32 v225, 0x80000000, v205
	v_cmp_gt_f64_e64 s2, 0, v[206:207]
	v_xor_b32_e32 v227, 0x80000000, v207
	v_add_nc_u32_e32 v213, 16, v213
	s_waitcnt lgkmcnt(0)
	v_cmp_gt_f64_e64 s3, 0, v[221:222]
	v_mov_b32_e32 v229, v221
	v_dual_mov_b32 v231, v223 :: v_dual_cndmask_b32 v226, v205, v225
	v_xor_b32_e32 v225, 0x80000000, v222
	v_cndmask_b32_e64 v228, v207, v227, s2
	v_xor_b32_e32 v227, 0x80000000, v224
	s_delay_alu instid0(VALU_DEP_3) | instskip(SKIP_2) | instid1(VALU_DEP_2)
	v_cndmask_b32_e64 v230, v222, v225, s3
	v_cmp_gt_f64_e64 s3, 0, v[223:224]
	v_cndmask_b32_e32 v225, v204, v204, vcc_lo
	v_cndmask_b32_e64 v232, v224, v227, s3
	v_cndmask_b32_e64 v227, v206, v206, s2
	s_delay_alu instid0(VALU_DEP_2) | instskip(NEXT) | instid1(VALU_DEP_2)
	v_add_f64 v[229:230], v[229:230], v[231:232]
	v_add_f64 v[225:226], v[225:226], v[227:228]
	s_delay_alu instid0(VALU_DEP_1) | instskip(SKIP_4) | instid1(SALU_CYCLE_1)
	v_cmp_lt_f64_e32 vcc_lo, v[225:226], v[229:230]
	v_dual_cndmask_b32 v206, v206, v223 :: v_dual_cndmask_b32 v205, v205, v222
	v_dual_cndmask_b32 v204, v204, v221 :: v_dual_cndmask_b32 v207, v207, v224
	v_cndmask_b32_e64 v212, v212, s6, vcc_lo
	s_add_i32 s6, s6, 1
	s_cmp_lg_u32 s5, s6
	s_cbranch_scc1 .LBB100_64
.LBB100_65:
	s_set_inst_prefetch_distance 0x2
	s_waitcnt lgkmcnt(0)
	v_cmp_eq_f64_e32 vcc_lo, 0, v[204:205]
	v_cmp_eq_f64_e64 s2, 0, v[206:207]
	s_delay_alu instid0(VALU_DEP_1) | instskip(NEXT) | instid1(SALU_CYCLE_1)
	s_and_b32 s2, vcc_lo, s2
	s_and_saveexec_b32 s3, s2
	s_delay_alu instid0(SALU_CYCLE_1)
	s_xor_b32 s2, exec_lo, s3
; %bb.66:
	v_cmp_ne_u32_e32 vcc_lo, 0, v217
	v_cndmask_b32_e32 v217, 4, v217, vcc_lo
; %bb.67:
	s_and_not1_saveexec_b32 s3, s2
	s_cbranch_execz .LBB100_73
; %bb.68:
	v_cmp_gt_f64_e32 vcc_lo, 0, v[204:205]
	v_cmp_gt_f64_e64 s2, 0, v[206:207]
	v_xor_b32_e32 v213, 0x80000000, v205
	v_xor_b32_e32 v221, 0x80000000, v207
	s_delay_alu instid0(VALU_DEP_2) | instskip(NEXT) | instid1(VALU_DEP_2)
	v_cndmask_b32_e32 v222, v205, v213, vcc_lo
	v_cndmask_b32_e64 v224, v207, v221, s2
	v_cndmask_b32_e32 v221, v204, v204, vcc_lo
	v_cndmask_b32_e64 v223, v206, v206, s2
	s_mov_b32 s2, exec_lo
	s_delay_alu instid0(VALU_DEP_1)
	v_cmpx_ngt_f64_e32 v[221:222], v[223:224]
	s_xor_b32 s2, exec_lo, s2
	s_cbranch_execz .LBB100_70
; %bb.69:
	v_div_scale_f64 v[221:222], null, v[206:207], v[206:207], v[204:205]
	v_div_scale_f64 v[227:228], vcc_lo, v[204:205], v[206:207], v[204:205]
	s_delay_alu instid0(VALU_DEP_2) | instskip(SKIP_2) | instid1(VALU_DEP_1)
	v_rcp_f64_e32 v[223:224], v[221:222]
	s_waitcnt_depctr 0xfff
	v_fma_f64 v[225:226], -v[221:222], v[223:224], 1.0
	v_fma_f64 v[223:224], v[223:224], v[225:226], v[223:224]
	s_delay_alu instid0(VALU_DEP_1) | instskip(NEXT) | instid1(VALU_DEP_1)
	v_fma_f64 v[225:226], -v[221:222], v[223:224], 1.0
	v_fma_f64 v[223:224], v[223:224], v[225:226], v[223:224]
	s_delay_alu instid0(VALU_DEP_1) | instskip(NEXT) | instid1(VALU_DEP_1)
	v_mul_f64 v[225:226], v[227:228], v[223:224]
	v_fma_f64 v[221:222], -v[221:222], v[225:226], v[227:228]
	s_delay_alu instid0(VALU_DEP_1) | instskip(NEXT) | instid1(VALU_DEP_1)
	v_div_fmas_f64 v[221:222], v[221:222], v[223:224], v[225:226]
	v_div_fixup_f64 v[221:222], v[221:222], v[206:207], v[204:205]
	s_delay_alu instid0(VALU_DEP_1) | instskip(NEXT) | instid1(VALU_DEP_1)
	v_fma_f64 v[204:205], v[204:205], v[221:222], v[206:207]
	v_div_scale_f64 v[206:207], null, v[204:205], v[204:205], 1.0
	s_delay_alu instid0(VALU_DEP_1) | instskip(SKIP_2) | instid1(VALU_DEP_1)
	v_rcp_f64_e32 v[223:224], v[206:207]
	s_waitcnt_depctr 0xfff
	v_fma_f64 v[225:226], -v[206:207], v[223:224], 1.0
	v_fma_f64 v[223:224], v[223:224], v[225:226], v[223:224]
	s_delay_alu instid0(VALU_DEP_1) | instskip(NEXT) | instid1(VALU_DEP_1)
	v_fma_f64 v[225:226], -v[206:207], v[223:224], 1.0
	v_fma_f64 v[223:224], v[223:224], v[225:226], v[223:224]
	v_div_scale_f64 v[225:226], vcc_lo, 1.0, v[204:205], 1.0
	s_delay_alu instid0(VALU_DEP_1) | instskip(NEXT) | instid1(VALU_DEP_1)
	v_mul_f64 v[227:228], v[225:226], v[223:224]
	v_fma_f64 v[206:207], -v[206:207], v[227:228], v[225:226]
	s_delay_alu instid0(VALU_DEP_1) | instskip(NEXT) | instid1(VALU_DEP_1)
	v_div_fmas_f64 v[206:207], v[206:207], v[223:224], v[227:228]
	v_div_fixup_f64 v[206:207], v[206:207], v[204:205], 1.0
	s_delay_alu instid0(VALU_DEP_1)
	v_mul_f64 v[204:205], v[221:222], v[206:207]
	v_xor_b32_e32 v207, 0x80000000, v207
.LBB100_70:
	s_and_not1_saveexec_b32 s2, s2
	s_cbranch_execz .LBB100_72
; %bb.71:
	s_delay_alu instid0(VALU_DEP_1) | instskip(SKIP_1) | instid1(VALU_DEP_2)
	v_div_scale_f64 v[221:222], null, v[204:205], v[204:205], v[206:207]
	v_div_scale_f64 v[227:228], vcc_lo, v[206:207], v[204:205], v[206:207]
	v_rcp_f64_e32 v[223:224], v[221:222]
	s_waitcnt_depctr 0xfff
	v_fma_f64 v[225:226], -v[221:222], v[223:224], 1.0
	s_delay_alu instid0(VALU_DEP_1) | instskip(NEXT) | instid1(VALU_DEP_1)
	v_fma_f64 v[223:224], v[223:224], v[225:226], v[223:224]
	v_fma_f64 v[225:226], -v[221:222], v[223:224], 1.0
	s_delay_alu instid0(VALU_DEP_1) | instskip(NEXT) | instid1(VALU_DEP_1)
	v_fma_f64 v[223:224], v[223:224], v[225:226], v[223:224]
	v_mul_f64 v[225:226], v[227:228], v[223:224]
	s_delay_alu instid0(VALU_DEP_1) | instskip(NEXT) | instid1(VALU_DEP_1)
	v_fma_f64 v[221:222], -v[221:222], v[225:226], v[227:228]
	v_div_fmas_f64 v[221:222], v[221:222], v[223:224], v[225:226]
	s_delay_alu instid0(VALU_DEP_1) | instskip(NEXT) | instid1(VALU_DEP_1)
	v_div_fixup_f64 v[221:222], v[221:222], v[204:205], v[206:207]
	v_fma_f64 v[204:205], v[206:207], v[221:222], v[204:205]
	s_delay_alu instid0(VALU_DEP_1) | instskip(NEXT) | instid1(VALU_DEP_1)
	v_div_scale_f64 v[206:207], null, v[204:205], v[204:205], 1.0
	v_rcp_f64_e32 v[223:224], v[206:207]
	s_waitcnt_depctr 0xfff
	v_fma_f64 v[225:226], -v[206:207], v[223:224], 1.0
	s_delay_alu instid0(VALU_DEP_1) | instskip(NEXT) | instid1(VALU_DEP_1)
	v_fma_f64 v[223:224], v[223:224], v[225:226], v[223:224]
	v_fma_f64 v[225:226], -v[206:207], v[223:224], 1.0
	s_delay_alu instid0(VALU_DEP_1) | instskip(SKIP_1) | instid1(VALU_DEP_1)
	v_fma_f64 v[223:224], v[223:224], v[225:226], v[223:224]
	v_div_scale_f64 v[225:226], vcc_lo, 1.0, v[204:205], 1.0
	v_mul_f64 v[227:228], v[225:226], v[223:224]
	s_delay_alu instid0(VALU_DEP_1) | instskip(NEXT) | instid1(VALU_DEP_1)
	v_fma_f64 v[206:207], -v[206:207], v[227:228], v[225:226]
	v_div_fmas_f64 v[206:207], v[206:207], v[223:224], v[227:228]
	s_delay_alu instid0(VALU_DEP_1) | instskip(NEXT) | instid1(VALU_DEP_1)
	v_div_fixup_f64 v[204:205], v[206:207], v[204:205], 1.0
	v_mul_f64 v[206:207], v[221:222], -v[204:205]
.LBB100_72:
	s_or_b32 exec_lo, exec_lo, s2
.LBB100_73:
	s_delay_alu instid0(SALU_CYCLE_1) | instskip(NEXT) | instid1(SALU_CYCLE_1)
	s_or_b32 exec_lo, exec_lo, s3
	s_mov_b32 s2, exec_lo
	v_cmpx_ne_u32_e64 v220, v212
	s_xor_b32 s2, exec_lo, s2
	s_cbranch_execz .LBB100_79
; %bb.74:
	s_mov_b32 s3, exec_lo
	v_cmpx_eq_u32_e32 3, v220
	s_cbranch_execz .LBB100_78
; %bb.75:
	v_cmp_ne_u32_e32 vcc_lo, 3, v212
	s_xor_b32 s6, s4, -1
	s_delay_alu instid0(SALU_CYCLE_1) | instskip(NEXT) | instid1(SALU_CYCLE_1)
	s_and_b32 s7, s6, vcc_lo
	s_and_saveexec_b32 s6, s7
	s_cbranch_execz .LBB100_77
; %bb.76:
	v_ashrrev_i32_e32 v213, 31, v212
	s_delay_alu instid0(VALU_DEP_1) | instskip(NEXT) | instid1(VALU_DEP_1)
	v_lshlrev_b64 v[219:220], 2, v[212:213]
	v_add_co_u32 v219, vcc_lo, v210, v219
	s_delay_alu instid0(VALU_DEP_2)
	v_add_co_ci_u32_e32 v220, vcc_lo, v211, v220, vcc_lo
	s_clause 0x1
	flat_load_b32 v213, v[219:220]
	flat_load_b32 v221, v[210:211] offset:12
	s_waitcnt vmcnt(1) lgkmcnt(1)
	flat_store_b32 v[210:211], v213 offset:12
	s_waitcnt vmcnt(0) lgkmcnt(1)
	flat_store_b32 v[219:220], v221
.LBB100_77:
	s_or_b32 exec_lo, exec_lo, s6
	v_mov_b32_e32 v220, v212
	v_mov_b32_e32 v219, v212
.LBB100_78:
	s_or_b32 exec_lo, exec_lo, s3
.LBB100_79:
	s_and_not1_saveexec_b32 s2, s2
	s_cbranch_execz .LBB100_81
; %bb.80:
	v_mov_b32_e32 v220, 3
	ds_store_2addr_b64 v214, v[184:185], v[186:187] offset0:8 offset1:9
	ds_store_2addr_b64 v214, v[180:181], v[182:183] offset0:10 offset1:11
	;; [unrolled: 1-line block ×47, first 2 shown]
.LBB100_81:
	s_or_b32 exec_lo, exec_lo, s2
	s_delay_alu instid0(SALU_CYCLE_1)
	s_mov_b32 s2, exec_lo
	s_waitcnt lgkmcnt(0)
	s_waitcnt_vscnt null, 0x0
	s_barrier
	buffer_gl0_inv
	v_cmpx_lt_i32_e32 3, v220
	s_cbranch_execz .LBB100_83
; %bb.82:
	v_mul_f64 v[212:213], v[206:207], v[190:191]
	v_mul_f64 v[190:191], v[204:205], v[190:191]
	s_delay_alu instid0(VALU_DEP_2) | instskip(NEXT) | instid1(VALU_DEP_2)
	v_fma_f64 v[212:213], v[204:205], v[188:189], -v[212:213]
	v_fma_f64 v[190:191], v[206:207], v[188:189], v[190:191]
	ds_load_2addr_b64 v[204:207], v214 offset0:8 offset1:9
	s_waitcnt lgkmcnt(0)
	v_mul_f64 v[188:189], v[206:207], v[190:191]
	s_delay_alu instid0(VALU_DEP_1) | instskip(SKIP_1) | instid1(VALU_DEP_2)
	v_fma_f64 v[188:189], v[204:205], v[212:213], -v[188:189]
	v_mul_f64 v[204:205], v[204:205], v[190:191]
	v_add_f64 v[184:185], v[184:185], -v[188:189]
	s_delay_alu instid0(VALU_DEP_2) | instskip(NEXT) | instid1(VALU_DEP_1)
	v_fma_f64 v[204:205], v[206:207], v[212:213], v[204:205]
	v_add_f64 v[186:187], v[186:187], -v[204:205]
	ds_load_2addr_b64 v[204:207], v214 offset0:10 offset1:11
	s_waitcnt lgkmcnt(0)
	v_mul_f64 v[188:189], v[206:207], v[190:191]
	s_delay_alu instid0(VALU_DEP_1) | instskip(SKIP_1) | instid1(VALU_DEP_2)
	v_fma_f64 v[188:189], v[204:205], v[212:213], -v[188:189]
	v_mul_f64 v[204:205], v[204:205], v[190:191]
	v_add_f64 v[180:181], v[180:181], -v[188:189]
	s_delay_alu instid0(VALU_DEP_2) | instskip(NEXT) | instid1(VALU_DEP_1)
	v_fma_f64 v[204:205], v[206:207], v[212:213], v[204:205]
	v_add_f64 v[182:183], v[182:183], -v[204:205]
	;; [unrolled: 10-line block ×46, first 2 shown]
	ds_load_2addr_b64 v[204:207], v214 offset0:100 offset1:101
	s_waitcnt lgkmcnt(0)
	v_mul_f64 v[188:189], v[206:207], v[190:191]
	s_delay_alu instid0(VALU_DEP_1) | instskip(SKIP_1) | instid1(VALU_DEP_2)
	v_fma_f64 v[188:189], v[204:205], v[212:213], -v[188:189]
	v_mul_f64 v[204:205], v[204:205], v[190:191]
	v_add_f64 v[0:1], v[0:1], -v[188:189]
	s_delay_alu instid0(VALU_DEP_2) | instskip(SKIP_1) | instid1(VALU_DEP_2)
	v_fma_f64 v[204:205], v[206:207], v[212:213], v[204:205]
	v_dual_mov_b32 v188, v212 :: v_dual_mov_b32 v189, v213
	v_add_f64 v[2:3], v[2:3], -v[204:205]
.LBB100_83:
	s_or_b32 exec_lo, exec_lo, s2
	v_lshl_add_u32 v204, v220, 4, v214
	s_barrier
	buffer_gl0_inv
	v_mov_b32_e32 v212, 4
	ds_store_2addr_b64 v204, v[184:185], v[186:187] offset1:1
	s_waitcnt lgkmcnt(0)
	s_barrier
	buffer_gl0_inv
	ds_load_2addr_b64 v[204:207], v214 offset0:8 offset1:9
	s_cmp_lt_i32 s5, 6
	s_cbranch_scc1 .LBB100_86
; %bb.84:
	v_add3_u32 v213, v218, 0, 0x50
	v_mov_b32_e32 v212, 4
	s_mov_b32 s6, 5
	s_set_inst_prefetch_distance 0x1
	.p2align	6
.LBB100_85:                             ; =>This Inner Loop Header: Depth=1
	ds_load_2addr_b64 v[221:224], v213 offset1:1
	s_waitcnt lgkmcnt(1)
	v_cmp_gt_f64_e32 vcc_lo, 0, v[204:205]
	v_xor_b32_e32 v225, 0x80000000, v205
	v_cmp_gt_f64_e64 s2, 0, v[206:207]
	v_xor_b32_e32 v227, 0x80000000, v207
	v_add_nc_u32_e32 v213, 16, v213
	s_waitcnt lgkmcnt(0)
	v_cmp_gt_f64_e64 s3, 0, v[221:222]
	v_mov_b32_e32 v229, v221
	v_dual_mov_b32 v231, v223 :: v_dual_cndmask_b32 v226, v205, v225
	v_xor_b32_e32 v225, 0x80000000, v222
	v_cndmask_b32_e64 v228, v207, v227, s2
	v_xor_b32_e32 v227, 0x80000000, v224
	s_delay_alu instid0(VALU_DEP_3) | instskip(SKIP_2) | instid1(VALU_DEP_2)
	v_cndmask_b32_e64 v230, v222, v225, s3
	v_cmp_gt_f64_e64 s3, 0, v[223:224]
	v_cndmask_b32_e32 v225, v204, v204, vcc_lo
	v_cndmask_b32_e64 v232, v224, v227, s3
	v_cndmask_b32_e64 v227, v206, v206, s2
	s_delay_alu instid0(VALU_DEP_2) | instskip(NEXT) | instid1(VALU_DEP_2)
	v_add_f64 v[229:230], v[229:230], v[231:232]
	v_add_f64 v[225:226], v[225:226], v[227:228]
	s_delay_alu instid0(VALU_DEP_1) | instskip(SKIP_4) | instid1(SALU_CYCLE_1)
	v_cmp_lt_f64_e32 vcc_lo, v[225:226], v[229:230]
	v_dual_cndmask_b32 v206, v206, v223 :: v_dual_cndmask_b32 v205, v205, v222
	v_dual_cndmask_b32 v204, v204, v221 :: v_dual_cndmask_b32 v207, v207, v224
	v_cndmask_b32_e64 v212, v212, s6, vcc_lo
	s_add_i32 s6, s6, 1
	s_cmp_lg_u32 s5, s6
	s_cbranch_scc1 .LBB100_85
.LBB100_86:
	s_set_inst_prefetch_distance 0x2
	s_waitcnt lgkmcnt(0)
	v_cmp_eq_f64_e32 vcc_lo, 0, v[204:205]
	v_cmp_eq_f64_e64 s2, 0, v[206:207]
	s_delay_alu instid0(VALU_DEP_1) | instskip(NEXT) | instid1(SALU_CYCLE_1)
	s_and_b32 s2, vcc_lo, s2
	s_and_saveexec_b32 s3, s2
	s_delay_alu instid0(SALU_CYCLE_1)
	s_xor_b32 s2, exec_lo, s3
; %bb.87:
	v_cmp_ne_u32_e32 vcc_lo, 0, v217
	v_cndmask_b32_e32 v217, 5, v217, vcc_lo
; %bb.88:
	s_and_not1_saveexec_b32 s3, s2
	s_cbranch_execz .LBB100_94
; %bb.89:
	v_cmp_gt_f64_e32 vcc_lo, 0, v[204:205]
	v_cmp_gt_f64_e64 s2, 0, v[206:207]
	v_xor_b32_e32 v213, 0x80000000, v205
	v_xor_b32_e32 v221, 0x80000000, v207
	s_delay_alu instid0(VALU_DEP_2) | instskip(NEXT) | instid1(VALU_DEP_2)
	v_cndmask_b32_e32 v222, v205, v213, vcc_lo
	v_cndmask_b32_e64 v224, v207, v221, s2
	v_cndmask_b32_e32 v221, v204, v204, vcc_lo
	v_cndmask_b32_e64 v223, v206, v206, s2
	s_mov_b32 s2, exec_lo
	s_delay_alu instid0(VALU_DEP_1)
	v_cmpx_ngt_f64_e32 v[221:222], v[223:224]
	s_xor_b32 s2, exec_lo, s2
	s_cbranch_execz .LBB100_91
; %bb.90:
	v_div_scale_f64 v[221:222], null, v[206:207], v[206:207], v[204:205]
	v_div_scale_f64 v[227:228], vcc_lo, v[204:205], v[206:207], v[204:205]
	s_delay_alu instid0(VALU_DEP_2) | instskip(SKIP_2) | instid1(VALU_DEP_1)
	v_rcp_f64_e32 v[223:224], v[221:222]
	s_waitcnt_depctr 0xfff
	v_fma_f64 v[225:226], -v[221:222], v[223:224], 1.0
	v_fma_f64 v[223:224], v[223:224], v[225:226], v[223:224]
	s_delay_alu instid0(VALU_DEP_1) | instskip(NEXT) | instid1(VALU_DEP_1)
	v_fma_f64 v[225:226], -v[221:222], v[223:224], 1.0
	v_fma_f64 v[223:224], v[223:224], v[225:226], v[223:224]
	s_delay_alu instid0(VALU_DEP_1) | instskip(NEXT) | instid1(VALU_DEP_1)
	v_mul_f64 v[225:226], v[227:228], v[223:224]
	v_fma_f64 v[221:222], -v[221:222], v[225:226], v[227:228]
	s_delay_alu instid0(VALU_DEP_1) | instskip(NEXT) | instid1(VALU_DEP_1)
	v_div_fmas_f64 v[221:222], v[221:222], v[223:224], v[225:226]
	v_div_fixup_f64 v[221:222], v[221:222], v[206:207], v[204:205]
	s_delay_alu instid0(VALU_DEP_1) | instskip(NEXT) | instid1(VALU_DEP_1)
	v_fma_f64 v[204:205], v[204:205], v[221:222], v[206:207]
	v_div_scale_f64 v[206:207], null, v[204:205], v[204:205], 1.0
	s_delay_alu instid0(VALU_DEP_1) | instskip(SKIP_2) | instid1(VALU_DEP_1)
	v_rcp_f64_e32 v[223:224], v[206:207]
	s_waitcnt_depctr 0xfff
	v_fma_f64 v[225:226], -v[206:207], v[223:224], 1.0
	v_fma_f64 v[223:224], v[223:224], v[225:226], v[223:224]
	s_delay_alu instid0(VALU_DEP_1) | instskip(NEXT) | instid1(VALU_DEP_1)
	v_fma_f64 v[225:226], -v[206:207], v[223:224], 1.0
	v_fma_f64 v[223:224], v[223:224], v[225:226], v[223:224]
	v_div_scale_f64 v[225:226], vcc_lo, 1.0, v[204:205], 1.0
	s_delay_alu instid0(VALU_DEP_1) | instskip(NEXT) | instid1(VALU_DEP_1)
	v_mul_f64 v[227:228], v[225:226], v[223:224]
	v_fma_f64 v[206:207], -v[206:207], v[227:228], v[225:226]
	s_delay_alu instid0(VALU_DEP_1) | instskip(NEXT) | instid1(VALU_DEP_1)
	v_div_fmas_f64 v[206:207], v[206:207], v[223:224], v[227:228]
	v_div_fixup_f64 v[206:207], v[206:207], v[204:205], 1.0
	s_delay_alu instid0(VALU_DEP_1)
	v_mul_f64 v[204:205], v[221:222], v[206:207]
	v_xor_b32_e32 v207, 0x80000000, v207
.LBB100_91:
	s_and_not1_saveexec_b32 s2, s2
	s_cbranch_execz .LBB100_93
; %bb.92:
	s_delay_alu instid0(VALU_DEP_1) | instskip(SKIP_1) | instid1(VALU_DEP_2)
	v_div_scale_f64 v[221:222], null, v[204:205], v[204:205], v[206:207]
	v_div_scale_f64 v[227:228], vcc_lo, v[206:207], v[204:205], v[206:207]
	v_rcp_f64_e32 v[223:224], v[221:222]
	s_waitcnt_depctr 0xfff
	v_fma_f64 v[225:226], -v[221:222], v[223:224], 1.0
	s_delay_alu instid0(VALU_DEP_1) | instskip(NEXT) | instid1(VALU_DEP_1)
	v_fma_f64 v[223:224], v[223:224], v[225:226], v[223:224]
	v_fma_f64 v[225:226], -v[221:222], v[223:224], 1.0
	s_delay_alu instid0(VALU_DEP_1) | instskip(NEXT) | instid1(VALU_DEP_1)
	v_fma_f64 v[223:224], v[223:224], v[225:226], v[223:224]
	v_mul_f64 v[225:226], v[227:228], v[223:224]
	s_delay_alu instid0(VALU_DEP_1) | instskip(NEXT) | instid1(VALU_DEP_1)
	v_fma_f64 v[221:222], -v[221:222], v[225:226], v[227:228]
	v_div_fmas_f64 v[221:222], v[221:222], v[223:224], v[225:226]
	s_delay_alu instid0(VALU_DEP_1) | instskip(NEXT) | instid1(VALU_DEP_1)
	v_div_fixup_f64 v[221:222], v[221:222], v[204:205], v[206:207]
	v_fma_f64 v[204:205], v[206:207], v[221:222], v[204:205]
	s_delay_alu instid0(VALU_DEP_1) | instskip(NEXT) | instid1(VALU_DEP_1)
	v_div_scale_f64 v[206:207], null, v[204:205], v[204:205], 1.0
	v_rcp_f64_e32 v[223:224], v[206:207]
	s_waitcnt_depctr 0xfff
	v_fma_f64 v[225:226], -v[206:207], v[223:224], 1.0
	s_delay_alu instid0(VALU_DEP_1) | instskip(NEXT) | instid1(VALU_DEP_1)
	v_fma_f64 v[223:224], v[223:224], v[225:226], v[223:224]
	v_fma_f64 v[225:226], -v[206:207], v[223:224], 1.0
	s_delay_alu instid0(VALU_DEP_1) | instskip(SKIP_1) | instid1(VALU_DEP_1)
	v_fma_f64 v[223:224], v[223:224], v[225:226], v[223:224]
	v_div_scale_f64 v[225:226], vcc_lo, 1.0, v[204:205], 1.0
	v_mul_f64 v[227:228], v[225:226], v[223:224]
	s_delay_alu instid0(VALU_DEP_1) | instskip(NEXT) | instid1(VALU_DEP_1)
	v_fma_f64 v[206:207], -v[206:207], v[227:228], v[225:226]
	v_div_fmas_f64 v[206:207], v[206:207], v[223:224], v[227:228]
	s_delay_alu instid0(VALU_DEP_1) | instskip(NEXT) | instid1(VALU_DEP_1)
	v_div_fixup_f64 v[204:205], v[206:207], v[204:205], 1.0
	v_mul_f64 v[206:207], v[221:222], -v[204:205]
.LBB100_93:
	s_or_b32 exec_lo, exec_lo, s2
.LBB100_94:
	s_delay_alu instid0(SALU_CYCLE_1) | instskip(NEXT) | instid1(SALU_CYCLE_1)
	s_or_b32 exec_lo, exec_lo, s3
	s_mov_b32 s2, exec_lo
	v_cmpx_ne_u32_e64 v220, v212
	s_xor_b32 s2, exec_lo, s2
	s_cbranch_execz .LBB100_100
; %bb.95:
	s_mov_b32 s3, exec_lo
	v_cmpx_eq_u32_e32 4, v220
	s_cbranch_execz .LBB100_99
; %bb.96:
	v_cmp_ne_u32_e32 vcc_lo, 4, v212
	s_xor_b32 s6, s4, -1
	s_delay_alu instid0(SALU_CYCLE_1) | instskip(NEXT) | instid1(SALU_CYCLE_1)
	s_and_b32 s7, s6, vcc_lo
	s_and_saveexec_b32 s6, s7
	s_cbranch_execz .LBB100_98
; %bb.97:
	v_ashrrev_i32_e32 v213, 31, v212
	s_delay_alu instid0(VALU_DEP_1) | instskip(NEXT) | instid1(VALU_DEP_1)
	v_lshlrev_b64 v[219:220], 2, v[212:213]
	v_add_co_u32 v219, vcc_lo, v210, v219
	s_delay_alu instid0(VALU_DEP_2)
	v_add_co_ci_u32_e32 v220, vcc_lo, v211, v220, vcc_lo
	s_clause 0x1
	flat_load_b32 v213, v[219:220]
	flat_load_b32 v221, v[210:211] offset:16
	s_waitcnt vmcnt(1) lgkmcnt(1)
	flat_store_b32 v[210:211], v213 offset:16
	s_waitcnt vmcnt(0) lgkmcnt(1)
	flat_store_b32 v[219:220], v221
.LBB100_98:
	s_or_b32 exec_lo, exec_lo, s6
	v_mov_b32_e32 v220, v212
	v_mov_b32_e32 v219, v212
.LBB100_99:
	s_or_b32 exec_lo, exec_lo, s3
.LBB100_100:
	s_and_not1_saveexec_b32 s2, s2
	s_cbranch_execz .LBB100_102
; %bb.101:
	v_mov_b32_e32 v220, 4
	ds_store_2addr_b64 v214, v[180:181], v[182:183] offset0:10 offset1:11
	ds_store_2addr_b64 v214, v[176:177], v[178:179] offset0:12 offset1:13
	;; [unrolled: 1-line block ×46, first 2 shown]
.LBB100_102:
	s_or_b32 exec_lo, exec_lo, s2
	s_delay_alu instid0(SALU_CYCLE_1)
	s_mov_b32 s2, exec_lo
	s_waitcnt lgkmcnt(0)
	s_waitcnt_vscnt null, 0x0
	s_barrier
	buffer_gl0_inv
	v_cmpx_lt_i32_e32 4, v220
	s_cbranch_execz .LBB100_104
; %bb.103:
	v_mul_f64 v[212:213], v[206:207], v[186:187]
	v_mul_f64 v[186:187], v[204:205], v[186:187]
	s_delay_alu instid0(VALU_DEP_2) | instskip(NEXT) | instid1(VALU_DEP_2)
	v_fma_f64 v[212:213], v[204:205], v[184:185], -v[212:213]
	v_fma_f64 v[186:187], v[206:207], v[184:185], v[186:187]
	ds_load_2addr_b64 v[204:207], v214 offset0:10 offset1:11
	s_waitcnt lgkmcnt(0)
	v_mul_f64 v[184:185], v[206:207], v[186:187]
	s_delay_alu instid0(VALU_DEP_1) | instskip(SKIP_1) | instid1(VALU_DEP_2)
	v_fma_f64 v[184:185], v[204:205], v[212:213], -v[184:185]
	v_mul_f64 v[204:205], v[204:205], v[186:187]
	v_add_f64 v[180:181], v[180:181], -v[184:185]
	s_delay_alu instid0(VALU_DEP_2) | instskip(NEXT) | instid1(VALU_DEP_1)
	v_fma_f64 v[204:205], v[206:207], v[212:213], v[204:205]
	v_add_f64 v[182:183], v[182:183], -v[204:205]
	ds_load_2addr_b64 v[204:207], v214 offset0:12 offset1:13
	s_waitcnt lgkmcnt(0)
	v_mul_f64 v[184:185], v[206:207], v[186:187]
	s_delay_alu instid0(VALU_DEP_1) | instskip(SKIP_1) | instid1(VALU_DEP_2)
	v_fma_f64 v[184:185], v[204:205], v[212:213], -v[184:185]
	v_mul_f64 v[204:205], v[204:205], v[186:187]
	v_add_f64 v[176:177], v[176:177], -v[184:185]
	s_delay_alu instid0(VALU_DEP_2) | instskip(NEXT) | instid1(VALU_DEP_1)
	v_fma_f64 v[204:205], v[206:207], v[212:213], v[204:205]
	v_add_f64 v[178:179], v[178:179], -v[204:205]
	ds_load_2addr_b64 v[204:207], v214 offset0:14 offset1:15
	s_waitcnt lgkmcnt(0)
	v_mul_f64 v[184:185], v[206:207], v[186:187]
	s_delay_alu instid0(VALU_DEP_1) | instskip(SKIP_1) | instid1(VALU_DEP_2)
	v_fma_f64 v[184:185], v[204:205], v[212:213], -v[184:185]
	v_mul_f64 v[204:205], v[204:205], v[186:187]
	v_add_f64 v[172:173], v[172:173], -v[184:185]
	s_delay_alu instid0(VALU_DEP_2) | instskip(NEXT) | instid1(VALU_DEP_1)
	v_fma_f64 v[204:205], v[206:207], v[212:213], v[204:205]
	v_add_f64 v[174:175], v[174:175], -v[204:205]
	ds_load_2addr_b64 v[204:207], v214 offset0:16 offset1:17
	s_waitcnt lgkmcnt(0)
	v_mul_f64 v[184:185], v[206:207], v[186:187]
	s_delay_alu instid0(VALU_DEP_1) | instskip(SKIP_1) | instid1(VALU_DEP_2)
	v_fma_f64 v[184:185], v[204:205], v[212:213], -v[184:185]
	v_mul_f64 v[204:205], v[204:205], v[186:187]
	v_add_f64 v[168:169], v[168:169], -v[184:185]
	s_delay_alu instid0(VALU_DEP_2) | instskip(NEXT) | instid1(VALU_DEP_1)
	v_fma_f64 v[204:205], v[206:207], v[212:213], v[204:205]
	v_add_f64 v[170:171], v[170:171], -v[204:205]
	ds_load_2addr_b64 v[204:207], v214 offset0:18 offset1:19
	s_waitcnt lgkmcnt(0)
	v_mul_f64 v[184:185], v[206:207], v[186:187]
	s_delay_alu instid0(VALU_DEP_1) | instskip(SKIP_1) | instid1(VALU_DEP_2)
	v_fma_f64 v[184:185], v[204:205], v[212:213], -v[184:185]
	v_mul_f64 v[204:205], v[204:205], v[186:187]
	v_add_f64 v[164:165], v[164:165], -v[184:185]
	s_delay_alu instid0(VALU_DEP_2) | instskip(NEXT) | instid1(VALU_DEP_1)
	v_fma_f64 v[204:205], v[206:207], v[212:213], v[204:205]
	v_add_f64 v[166:167], v[166:167], -v[204:205]
	ds_load_2addr_b64 v[204:207], v214 offset0:20 offset1:21
	s_waitcnt lgkmcnt(0)
	v_mul_f64 v[184:185], v[206:207], v[186:187]
	s_delay_alu instid0(VALU_DEP_1) | instskip(SKIP_1) | instid1(VALU_DEP_2)
	v_fma_f64 v[184:185], v[204:205], v[212:213], -v[184:185]
	v_mul_f64 v[204:205], v[204:205], v[186:187]
	v_add_f64 v[160:161], v[160:161], -v[184:185]
	s_delay_alu instid0(VALU_DEP_2) | instskip(NEXT) | instid1(VALU_DEP_1)
	v_fma_f64 v[204:205], v[206:207], v[212:213], v[204:205]
	v_add_f64 v[162:163], v[162:163], -v[204:205]
	ds_load_2addr_b64 v[204:207], v214 offset0:22 offset1:23
	s_waitcnt lgkmcnt(0)
	v_mul_f64 v[184:185], v[206:207], v[186:187]
	s_delay_alu instid0(VALU_DEP_1) | instskip(SKIP_1) | instid1(VALU_DEP_2)
	v_fma_f64 v[184:185], v[204:205], v[212:213], -v[184:185]
	v_mul_f64 v[204:205], v[204:205], v[186:187]
	v_add_f64 v[156:157], v[156:157], -v[184:185]
	s_delay_alu instid0(VALU_DEP_2) | instskip(NEXT) | instid1(VALU_DEP_1)
	v_fma_f64 v[204:205], v[206:207], v[212:213], v[204:205]
	v_add_f64 v[158:159], v[158:159], -v[204:205]
	ds_load_2addr_b64 v[204:207], v214 offset0:24 offset1:25
	s_waitcnt lgkmcnt(0)
	v_mul_f64 v[184:185], v[206:207], v[186:187]
	s_delay_alu instid0(VALU_DEP_1) | instskip(SKIP_1) | instid1(VALU_DEP_2)
	v_fma_f64 v[184:185], v[204:205], v[212:213], -v[184:185]
	v_mul_f64 v[204:205], v[204:205], v[186:187]
	v_add_f64 v[152:153], v[152:153], -v[184:185]
	s_delay_alu instid0(VALU_DEP_2) | instskip(NEXT) | instid1(VALU_DEP_1)
	v_fma_f64 v[204:205], v[206:207], v[212:213], v[204:205]
	v_add_f64 v[154:155], v[154:155], -v[204:205]
	ds_load_2addr_b64 v[204:207], v214 offset0:26 offset1:27
	s_waitcnt lgkmcnt(0)
	v_mul_f64 v[184:185], v[206:207], v[186:187]
	s_delay_alu instid0(VALU_DEP_1) | instskip(SKIP_1) | instid1(VALU_DEP_2)
	v_fma_f64 v[184:185], v[204:205], v[212:213], -v[184:185]
	v_mul_f64 v[204:205], v[204:205], v[186:187]
	v_add_f64 v[148:149], v[148:149], -v[184:185]
	s_delay_alu instid0(VALU_DEP_2) | instskip(NEXT) | instid1(VALU_DEP_1)
	v_fma_f64 v[204:205], v[206:207], v[212:213], v[204:205]
	v_add_f64 v[150:151], v[150:151], -v[204:205]
	ds_load_2addr_b64 v[204:207], v214 offset0:28 offset1:29
	s_waitcnt lgkmcnt(0)
	v_mul_f64 v[184:185], v[206:207], v[186:187]
	s_delay_alu instid0(VALU_DEP_1) | instskip(SKIP_1) | instid1(VALU_DEP_2)
	v_fma_f64 v[184:185], v[204:205], v[212:213], -v[184:185]
	v_mul_f64 v[204:205], v[204:205], v[186:187]
	v_add_f64 v[144:145], v[144:145], -v[184:185]
	s_delay_alu instid0(VALU_DEP_2) | instskip(NEXT) | instid1(VALU_DEP_1)
	v_fma_f64 v[204:205], v[206:207], v[212:213], v[204:205]
	v_add_f64 v[146:147], v[146:147], -v[204:205]
	ds_load_2addr_b64 v[204:207], v214 offset0:30 offset1:31
	s_waitcnt lgkmcnt(0)
	v_mul_f64 v[184:185], v[206:207], v[186:187]
	s_delay_alu instid0(VALU_DEP_1) | instskip(SKIP_1) | instid1(VALU_DEP_2)
	v_fma_f64 v[184:185], v[204:205], v[212:213], -v[184:185]
	v_mul_f64 v[204:205], v[204:205], v[186:187]
	v_add_f64 v[140:141], v[140:141], -v[184:185]
	s_delay_alu instid0(VALU_DEP_2) | instskip(NEXT) | instid1(VALU_DEP_1)
	v_fma_f64 v[204:205], v[206:207], v[212:213], v[204:205]
	v_add_f64 v[142:143], v[142:143], -v[204:205]
	ds_load_2addr_b64 v[204:207], v214 offset0:32 offset1:33
	s_waitcnt lgkmcnt(0)
	v_mul_f64 v[184:185], v[206:207], v[186:187]
	s_delay_alu instid0(VALU_DEP_1) | instskip(SKIP_1) | instid1(VALU_DEP_2)
	v_fma_f64 v[184:185], v[204:205], v[212:213], -v[184:185]
	v_mul_f64 v[204:205], v[204:205], v[186:187]
	v_add_f64 v[136:137], v[136:137], -v[184:185]
	s_delay_alu instid0(VALU_DEP_2) | instskip(NEXT) | instid1(VALU_DEP_1)
	v_fma_f64 v[204:205], v[206:207], v[212:213], v[204:205]
	v_add_f64 v[138:139], v[138:139], -v[204:205]
	ds_load_2addr_b64 v[204:207], v214 offset0:34 offset1:35
	s_waitcnt lgkmcnt(0)
	v_mul_f64 v[184:185], v[206:207], v[186:187]
	s_delay_alu instid0(VALU_DEP_1) | instskip(SKIP_1) | instid1(VALU_DEP_2)
	v_fma_f64 v[184:185], v[204:205], v[212:213], -v[184:185]
	v_mul_f64 v[204:205], v[204:205], v[186:187]
	v_add_f64 v[132:133], v[132:133], -v[184:185]
	s_delay_alu instid0(VALU_DEP_2) | instskip(NEXT) | instid1(VALU_DEP_1)
	v_fma_f64 v[204:205], v[206:207], v[212:213], v[204:205]
	v_add_f64 v[134:135], v[134:135], -v[204:205]
	ds_load_2addr_b64 v[204:207], v214 offset0:36 offset1:37
	s_waitcnt lgkmcnt(0)
	v_mul_f64 v[184:185], v[206:207], v[186:187]
	s_delay_alu instid0(VALU_DEP_1) | instskip(SKIP_1) | instid1(VALU_DEP_2)
	v_fma_f64 v[184:185], v[204:205], v[212:213], -v[184:185]
	v_mul_f64 v[204:205], v[204:205], v[186:187]
	v_add_f64 v[128:129], v[128:129], -v[184:185]
	s_delay_alu instid0(VALU_DEP_2) | instskip(NEXT) | instid1(VALU_DEP_1)
	v_fma_f64 v[204:205], v[206:207], v[212:213], v[204:205]
	v_add_f64 v[130:131], v[130:131], -v[204:205]
	ds_load_2addr_b64 v[204:207], v214 offset0:38 offset1:39
	s_waitcnt lgkmcnt(0)
	v_mul_f64 v[184:185], v[206:207], v[186:187]
	s_delay_alu instid0(VALU_DEP_1) | instskip(SKIP_1) | instid1(VALU_DEP_2)
	v_fma_f64 v[184:185], v[204:205], v[212:213], -v[184:185]
	v_mul_f64 v[204:205], v[204:205], v[186:187]
	v_add_f64 v[124:125], v[124:125], -v[184:185]
	s_delay_alu instid0(VALU_DEP_2) | instskip(NEXT) | instid1(VALU_DEP_1)
	v_fma_f64 v[204:205], v[206:207], v[212:213], v[204:205]
	v_add_f64 v[126:127], v[126:127], -v[204:205]
	ds_load_2addr_b64 v[204:207], v214 offset0:40 offset1:41
	s_waitcnt lgkmcnt(0)
	v_mul_f64 v[184:185], v[206:207], v[186:187]
	s_delay_alu instid0(VALU_DEP_1) | instskip(SKIP_1) | instid1(VALU_DEP_2)
	v_fma_f64 v[184:185], v[204:205], v[212:213], -v[184:185]
	v_mul_f64 v[204:205], v[204:205], v[186:187]
	v_add_f64 v[120:121], v[120:121], -v[184:185]
	s_delay_alu instid0(VALU_DEP_2) | instskip(NEXT) | instid1(VALU_DEP_1)
	v_fma_f64 v[204:205], v[206:207], v[212:213], v[204:205]
	v_add_f64 v[122:123], v[122:123], -v[204:205]
	ds_load_2addr_b64 v[204:207], v214 offset0:42 offset1:43
	s_waitcnt lgkmcnt(0)
	v_mul_f64 v[184:185], v[206:207], v[186:187]
	s_delay_alu instid0(VALU_DEP_1) | instskip(SKIP_1) | instid1(VALU_DEP_2)
	v_fma_f64 v[184:185], v[204:205], v[212:213], -v[184:185]
	v_mul_f64 v[204:205], v[204:205], v[186:187]
	v_add_f64 v[116:117], v[116:117], -v[184:185]
	s_delay_alu instid0(VALU_DEP_2) | instskip(NEXT) | instid1(VALU_DEP_1)
	v_fma_f64 v[204:205], v[206:207], v[212:213], v[204:205]
	v_add_f64 v[118:119], v[118:119], -v[204:205]
	ds_load_2addr_b64 v[204:207], v214 offset0:44 offset1:45
	s_waitcnt lgkmcnt(0)
	v_mul_f64 v[184:185], v[206:207], v[186:187]
	s_delay_alu instid0(VALU_DEP_1) | instskip(SKIP_1) | instid1(VALU_DEP_2)
	v_fma_f64 v[184:185], v[204:205], v[212:213], -v[184:185]
	v_mul_f64 v[204:205], v[204:205], v[186:187]
	v_add_f64 v[112:113], v[112:113], -v[184:185]
	s_delay_alu instid0(VALU_DEP_2) | instskip(NEXT) | instid1(VALU_DEP_1)
	v_fma_f64 v[204:205], v[206:207], v[212:213], v[204:205]
	v_add_f64 v[114:115], v[114:115], -v[204:205]
	ds_load_2addr_b64 v[204:207], v214 offset0:46 offset1:47
	s_waitcnt lgkmcnt(0)
	v_mul_f64 v[184:185], v[206:207], v[186:187]
	s_delay_alu instid0(VALU_DEP_1) | instskip(SKIP_1) | instid1(VALU_DEP_2)
	v_fma_f64 v[184:185], v[204:205], v[212:213], -v[184:185]
	v_mul_f64 v[204:205], v[204:205], v[186:187]
	v_add_f64 v[108:109], v[108:109], -v[184:185]
	s_delay_alu instid0(VALU_DEP_2) | instskip(NEXT) | instid1(VALU_DEP_1)
	v_fma_f64 v[204:205], v[206:207], v[212:213], v[204:205]
	v_add_f64 v[110:111], v[110:111], -v[204:205]
	ds_load_2addr_b64 v[204:207], v214 offset0:48 offset1:49
	s_waitcnt lgkmcnt(0)
	v_mul_f64 v[184:185], v[206:207], v[186:187]
	s_delay_alu instid0(VALU_DEP_1) | instskip(SKIP_1) | instid1(VALU_DEP_2)
	v_fma_f64 v[184:185], v[204:205], v[212:213], -v[184:185]
	v_mul_f64 v[204:205], v[204:205], v[186:187]
	v_add_f64 v[104:105], v[104:105], -v[184:185]
	s_delay_alu instid0(VALU_DEP_2) | instskip(NEXT) | instid1(VALU_DEP_1)
	v_fma_f64 v[204:205], v[206:207], v[212:213], v[204:205]
	v_add_f64 v[106:107], v[106:107], -v[204:205]
	ds_load_2addr_b64 v[204:207], v214 offset0:50 offset1:51
	s_waitcnt lgkmcnt(0)
	v_mul_f64 v[184:185], v[206:207], v[186:187]
	s_delay_alu instid0(VALU_DEP_1) | instskip(SKIP_1) | instid1(VALU_DEP_2)
	v_fma_f64 v[184:185], v[204:205], v[212:213], -v[184:185]
	v_mul_f64 v[204:205], v[204:205], v[186:187]
	v_add_f64 v[100:101], v[100:101], -v[184:185]
	s_delay_alu instid0(VALU_DEP_2) | instskip(NEXT) | instid1(VALU_DEP_1)
	v_fma_f64 v[204:205], v[206:207], v[212:213], v[204:205]
	v_add_f64 v[102:103], v[102:103], -v[204:205]
	ds_load_2addr_b64 v[204:207], v214 offset0:52 offset1:53
	s_waitcnt lgkmcnt(0)
	v_mul_f64 v[184:185], v[206:207], v[186:187]
	s_delay_alu instid0(VALU_DEP_1) | instskip(SKIP_1) | instid1(VALU_DEP_2)
	v_fma_f64 v[184:185], v[204:205], v[212:213], -v[184:185]
	v_mul_f64 v[204:205], v[204:205], v[186:187]
	v_add_f64 v[96:97], v[96:97], -v[184:185]
	s_delay_alu instid0(VALU_DEP_2) | instskip(NEXT) | instid1(VALU_DEP_1)
	v_fma_f64 v[204:205], v[206:207], v[212:213], v[204:205]
	v_add_f64 v[98:99], v[98:99], -v[204:205]
	ds_load_2addr_b64 v[204:207], v214 offset0:54 offset1:55
	s_waitcnt lgkmcnt(0)
	v_mul_f64 v[184:185], v[206:207], v[186:187]
	s_delay_alu instid0(VALU_DEP_1) | instskip(SKIP_1) | instid1(VALU_DEP_2)
	v_fma_f64 v[184:185], v[204:205], v[212:213], -v[184:185]
	v_mul_f64 v[204:205], v[204:205], v[186:187]
	v_add_f64 v[92:93], v[92:93], -v[184:185]
	s_delay_alu instid0(VALU_DEP_2) | instskip(NEXT) | instid1(VALU_DEP_1)
	v_fma_f64 v[204:205], v[206:207], v[212:213], v[204:205]
	v_add_f64 v[94:95], v[94:95], -v[204:205]
	ds_load_2addr_b64 v[204:207], v214 offset0:56 offset1:57
	s_waitcnt lgkmcnt(0)
	v_mul_f64 v[184:185], v[206:207], v[186:187]
	s_delay_alu instid0(VALU_DEP_1) | instskip(SKIP_1) | instid1(VALU_DEP_2)
	v_fma_f64 v[184:185], v[204:205], v[212:213], -v[184:185]
	v_mul_f64 v[204:205], v[204:205], v[186:187]
	v_add_f64 v[88:89], v[88:89], -v[184:185]
	s_delay_alu instid0(VALU_DEP_2) | instskip(NEXT) | instid1(VALU_DEP_1)
	v_fma_f64 v[204:205], v[206:207], v[212:213], v[204:205]
	v_add_f64 v[90:91], v[90:91], -v[204:205]
	ds_load_2addr_b64 v[204:207], v214 offset0:58 offset1:59
	s_waitcnt lgkmcnt(0)
	v_mul_f64 v[184:185], v[206:207], v[186:187]
	s_delay_alu instid0(VALU_DEP_1) | instskip(SKIP_1) | instid1(VALU_DEP_2)
	v_fma_f64 v[184:185], v[204:205], v[212:213], -v[184:185]
	v_mul_f64 v[204:205], v[204:205], v[186:187]
	v_add_f64 v[84:85], v[84:85], -v[184:185]
	s_delay_alu instid0(VALU_DEP_2) | instskip(NEXT) | instid1(VALU_DEP_1)
	v_fma_f64 v[204:205], v[206:207], v[212:213], v[204:205]
	v_add_f64 v[86:87], v[86:87], -v[204:205]
	ds_load_2addr_b64 v[204:207], v214 offset0:60 offset1:61
	s_waitcnt lgkmcnt(0)
	v_mul_f64 v[184:185], v[206:207], v[186:187]
	s_delay_alu instid0(VALU_DEP_1) | instskip(SKIP_1) | instid1(VALU_DEP_2)
	v_fma_f64 v[184:185], v[204:205], v[212:213], -v[184:185]
	v_mul_f64 v[204:205], v[204:205], v[186:187]
	v_add_f64 v[80:81], v[80:81], -v[184:185]
	s_delay_alu instid0(VALU_DEP_2) | instskip(NEXT) | instid1(VALU_DEP_1)
	v_fma_f64 v[204:205], v[206:207], v[212:213], v[204:205]
	v_add_f64 v[82:83], v[82:83], -v[204:205]
	ds_load_2addr_b64 v[204:207], v214 offset0:62 offset1:63
	s_waitcnt lgkmcnt(0)
	v_mul_f64 v[184:185], v[206:207], v[186:187]
	s_delay_alu instid0(VALU_DEP_1) | instskip(SKIP_1) | instid1(VALU_DEP_2)
	v_fma_f64 v[184:185], v[204:205], v[212:213], -v[184:185]
	v_mul_f64 v[204:205], v[204:205], v[186:187]
	v_add_f64 v[76:77], v[76:77], -v[184:185]
	s_delay_alu instid0(VALU_DEP_2) | instskip(NEXT) | instid1(VALU_DEP_1)
	v_fma_f64 v[204:205], v[206:207], v[212:213], v[204:205]
	v_add_f64 v[78:79], v[78:79], -v[204:205]
	ds_load_2addr_b64 v[204:207], v214 offset0:64 offset1:65
	s_waitcnt lgkmcnt(0)
	v_mul_f64 v[184:185], v[206:207], v[186:187]
	s_delay_alu instid0(VALU_DEP_1) | instskip(SKIP_1) | instid1(VALU_DEP_2)
	v_fma_f64 v[184:185], v[204:205], v[212:213], -v[184:185]
	v_mul_f64 v[204:205], v[204:205], v[186:187]
	v_add_f64 v[72:73], v[72:73], -v[184:185]
	s_delay_alu instid0(VALU_DEP_2) | instskip(NEXT) | instid1(VALU_DEP_1)
	v_fma_f64 v[204:205], v[206:207], v[212:213], v[204:205]
	v_add_f64 v[74:75], v[74:75], -v[204:205]
	ds_load_2addr_b64 v[204:207], v214 offset0:66 offset1:67
	s_waitcnt lgkmcnt(0)
	v_mul_f64 v[184:185], v[206:207], v[186:187]
	s_delay_alu instid0(VALU_DEP_1) | instskip(SKIP_1) | instid1(VALU_DEP_2)
	v_fma_f64 v[184:185], v[204:205], v[212:213], -v[184:185]
	v_mul_f64 v[204:205], v[204:205], v[186:187]
	v_add_f64 v[68:69], v[68:69], -v[184:185]
	s_delay_alu instid0(VALU_DEP_2) | instskip(NEXT) | instid1(VALU_DEP_1)
	v_fma_f64 v[204:205], v[206:207], v[212:213], v[204:205]
	v_add_f64 v[70:71], v[70:71], -v[204:205]
	ds_load_2addr_b64 v[204:207], v214 offset0:68 offset1:69
	s_waitcnt lgkmcnt(0)
	v_mul_f64 v[184:185], v[206:207], v[186:187]
	s_delay_alu instid0(VALU_DEP_1) | instskip(SKIP_1) | instid1(VALU_DEP_2)
	v_fma_f64 v[184:185], v[204:205], v[212:213], -v[184:185]
	v_mul_f64 v[204:205], v[204:205], v[186:187]
	v_add_f64 v[64:65], v[64:65], -v[184:185]
	s_delay_alu instid0(VALU_DEP_2) | instskip(NEXT) | instid1(VALU_DEP_1)
	v_fma_f64 v[204:205], v[206:207], v[212:213], v[204:205]
	v_add_f64 v[66:67], v[66:67], -v[204:205]
	ds_load_2addr_b64 v[204:207], v214 offset0:70 offset1:71
	s_waitcnt lgkmcnt(0)
	v_mul_f64 v[184:185], v[206:207], v[186:187]
	s_delay_alu instid0(VALU_DEP_1) | instskip(SKIP_1) | instid1(VALU_DEP_2)
	v_fma_f64 v[184:185], v[204:205], v[212:213], -v[184:185]
	v_mul_f64 v[204:205], v[204:205], v[186:187]
	v_add_f64 v[60:61], v[60:61], -v[184:185]
	s_delay_alu instid0(VALU_DEP_2) | instskip(NEXT) | instid1(VALU_DEP_1)
	v_fma_f64 v[204:205], v[206:207], v[212:213], v[204:205]
	v_add_f64 v[62:63], v[62:63], -v[204:205]
	ds_load_2addr_b64 v[204:207], v214 offset0:72 offset1:73
	s_waitcnt lgkmcnt(0)
	v_mul_f64 v[184:185], v[206:207], v[186:187]
	s_delay_alu instid0(VALU_DEP_1) | instskip(SKIP_1) | instid1(VALU_DEP_2)
	v_fma_f64 v[184:185], v[204:205], v[212:213], -v[184:185]
	v_mul_f64 v[204:205], v[204:205], v[186:187]
	v_add_f64 v[56:57], v[56:57], -v[184:185]
	s_delay_alu instid0(VALU_DEP_2) | instskip(NEXT) | instid1(VALU_DEP_1)
	v_fma_f64 v[204:205], v[206:207], v[212:213], v[204:205]
	v_add_f64 v[58:59], v[58:59], -v[204:205]
	ds_load_2addr_b64 v[204:207], v214 offset0:74 offset1:75
	s_waitcnt lgkmcnt(0)
	v_mul_f64 v[184:185], v[206:207], v[186:187]
	s_delay_alu instid0(VALU_DEP_1) | instskip(SKIP_1) | instid1(VALU_DEP_2)
	v_fma_f64 v[184:185], v[204:205], v[212:213], -v[184:185]
	v_mul_f64 v[204:205], v[204:205], v[186:187]
	v_add_f64 v[52:53], v[52:53], -v[184:185]
	s_delay_alu instid0(VALU_DEP_2) | instskip(NEXT) | instid1(VALU_DEP_1)
	v_fma_f64 v[204:205], v[206:207], v[212:213], v[204:205]
	v_add_f64 v[54:55], v[54:55], -v[204:205]
	ds_load_2addr_b64 v[204:207], v214 offset0:76 offset1:77
	s_waitcnt lgkmcnt(0)
	v_mul_f64 v[184:185], v[206:207], v[186:187]
	s_delay_alu instid0(VALU_DEP_1) | instskip(SKIP_1) | instid1(VALU_DEP_2)
	v_fma_f64 v[184:185], v[204:205], v[212:213], -v[184:185]
	v_mul_f64 v[204:205], v[204:205], v[186:187]
	v_add_f64 v[48:49], v[48:49], -v[184:185]
	s_delay_alu instid0(VALU_DEP_2) | instskip(NEXT) | instid1(VALU_DEP_1)
	v_fma_f64 v[204:205], v[206:207], v[212:213], v[204:205]
	v_add_f64 v[50:51], v[50:51], -v[204:205]
	ds_load_2addr_b64 v[204:207], v214 offset0:78 offset1:79
	s_waitcnt lgkmcnt(0)
	v_mul_f64 v[184:185], v[206:207], v[186:187]
	s_delay_alu instid0(VALU_DEP_1) | instskip(SKIP_1) | instid1(VALU_DEP_2)
	v_fma_f64 v[184:185], v[204:205], v[212:213], -v[184:185]
	v_mul_f64 v[204:205], v[204:205], v[186:187]
	v_add_f64 v[44:45], v[44:45], -v[184:185]
	s_delay_alu instid0(VALU_DEP_2) | instskip(NEXT) | instid1(VALU_DEP_1)
	v_fma_f64 v[204:205], v[206:207], v[212:213], v[204:205]
	v_add_f64 v[46:47], v[46:47], -v[204:205]
	ds_load_2addr_b64 v[204:207], v214 offset0:80 offset1:81
	s_waitcnt lgkmcnt(0)
	v_mul_f64 v[184:185], v[206:207], v[186:187]
	s_delay_alu instid0(VALU_DEP_1) | instskip(SKIP_1) | instid1(VALU_DEP_2)
	v_fma_f64 v[184:185], v[204:205], v[212:213], -v[184:185]
	v_mul_f64 v[204:205], v[204:205], v[186:187]
	v_add_f64 v[40:41], v[40:41], -v[184:185]
	s_delay_alu instid0(VALU_DEP_2) | instskip(NEXT) | instid1(VALU_DEP_1)
	v_fma_f64 v[204:205], v[206:207], v[212:213], v[204:205]
	v_add_f64 v[42:43], v[42:43], -v[204:205]
	ds_load_2addr_b64 v[204:207], v214 offset0:82 offset1:83
	s_waitcnt lgkmcnt(0)
	v_mul_f64 v[184:185], v[206:207], v[186:187]
	s_delay_alu instid0(VALU_DEP_1) | instskip(SKIP_1) | instid1(VALU_DEP_2)
	v_fma_f64 v[184:185], v[204:205], v[212:213], -v[184:185]
	v_mul_f64 v[204:205], v[204:205], v[186:187]
	v_add_f64 v[36:37], v[36:37], -v[184:185]
	s_delay_alu instid0(VALU_DEP_2) | instskip(NEXT) | instid1(VALU_DEP_1)
	v_fma_f64 v[204:205], v[206:207], v[212:213], v[204:205]
	v_add_f64 v[38:39], v[38:39], -v[204:205]
	ds_load_2addr_b64 v[204:207], v214 offset0:84 offset1:85
	s_waitcnt lgkmcnt(0)
	v_mul_f64 v[184:185], v[206:207], v[186:187]
	s_delay_alu instid0(VALU_DEP_1) | instskip(SKIP_1) | instid1(VALU_DEP_2)
	v_fma_f64 v[184:185], v[204:205], v[212:213], -v[184:185]
	v_mul_f64 v[204:205], v[204:205], v[186:187]
	v_add_f64 v[32:33], v[32:33], -v[184:185]
	s_delay_alu instid0(VALU_DEP_2) | instskip(NEXT) | instid1(VALU_DEP_1)
	v_fma_f64 v[204:205], v[206:207], v[212:213], v[204:205]
	v_add_f64 v[34:35], v[34:35], -v[204:205]
	ds_load_2addr_b64 v[204:207], v214 offset0:86 offset1:87
	s_waitcnt lgkmcnt(0)
	v_mul_f64 v[184:185], v[206:207], v[186:187]
	s_delay_alu instid0(VALU_DEP_1) | instskip(SKIP_1) | instid1(VALU_DEP_2)
	v_fma_f64 v[184:185], v[204:205], v[212:213], -v[184:185]
	v_mul_f64 v[204:205], v[204:205], v[186:187]
	v_add_f64 v[28:29], v[28:29], -v[184:185]
	s_delay_alu instid0(VALU_DEP_2) | instskip(NEXT) | instid1(VALU_DEP_1)
	v_fma_f64 v[204:205], v[206:207], v[212:213], v[204:205]
	v_add_f64 v[30:31], v[30:31], -v[204:205]
	ds_load_2addr_b64 v[204:207], v214 offset0:88 offset1:89
	s_waitcnt lgkmcnt(0)
	v_mul_f64 v[184:185], v[206:207], v[186:187]
	s_delay_alu instid0(VALU_DEP_1) | instskip(SKIP_1) | instid1(VALU_DEP_2)
	v_fma_f64 v[184:185], v[204:205], v[212:213], -v[184:185]
	v_mul_f64 v[204:205], v[204:205], v[186:187]
	v_add_f64 v[24:25], v[24:25], -v[184:185]
	s_delay_alu instid0(VALU_DEP_2) | instskip(NEXT) | instid1(VALU_DEP_1)
	v_fma_f64 v[204:205], v[206:207], v[212:213], v[204:205]
	v_add_f64 v[26:27], v[26:27], -v[204:205]
	ds_load_2addr_b64 v[204:207], v214 offset0:90 offset1:91
	s_waitcnt lgkmcnt(0)
	v_mul_f64 v[184:185], v[206:207], v[186:187]
	s_delay_alu instid0(VALU_DEP_1) | instskip(SKIP_1) | instid1(VALU_DEP_2)
	v_fma_f64 v[184:185], v[204:205], v[212:213], -v[184:185]
	v_mul_f64 v[204:205], v[204:205], v[186:187]
	v_add_f64 v[20:21], v[20:21], -v[184:185]
	s_delay_alu instid0(VALU_DEP_2) | instskip(NEXT) | instid1(VALU_DEP_1)
	v_fma_f64 v[204:205], v[206:207], v[212:213], v[204:205]
	v_add_f64 v[22:23], v[22:23], -v[204:205]
	ds_load_2addr_b64 v[204:207], v214 offset0:92 offset1:93
	s_waitcnt lgkmcnt(0)
	v_mul_f64 v[184:185], v[206:207], v[186:187]
	s_delay_alu instid0(VALU_DEP_1) | instskip(SKIP_1) | instid1(VALU_DEP_2)
	v_fma_f64 v[184:185], v[204:205], v[212:213], -v[184:185]
	v_mul_f64 v[204:205], v[204:205], v[186:187]
	v_add_f64 v[16:17], v[16:17], -v[184:185]
	s_delay_alu instid0(VALU_DEP_2) | instskip(NEXT) | instid1(VALU_DEP_1)
	v_fma_f64 v[204:205], v[206:207], v[212:213], v[204:205]
	v_add_f64 v[18:19], v[18:19], -v[204:205]
	ds_load_2addr_b64 v[204:207], v214 offset0:94 offset1:95
	s_waitcnt lgkmcnt(0)
	v_mul_f64 v[184:185], v[206:207], v[186:187]
	s_delay_alu instid0(VALU_DEP_1) | instskip(SKIP_1) | instid1(VALU_DEP_2)
	v_fma_f64 v[184:185], v[204:205], v[212:213], -v[184:185]
	v_mul_f64 v[204:205], v[204:205], v[186:187]
	v_add_f64 v[12:13], v[12:13], -v[184:185]
	s_delay_alu instid0(VALU_DEP_2) | instskip(NEXT) | instid1(VALU_DEP_1)
	v_fma_f64 v[204:205], v[206:207], v[212:213], v[204:205]
	v_add_f64 v[14:15], v[14:15], -v[204:205]
	ds_load_2addr_b64 v[204:207], v214 offset0:96 offset1:97
	s_waitcnt lgkmcnt(0)
	v_mul_f64 v[184:185], v[206:207], v[186:187]
	s_delay_alu instid0(VALU_DEP_1) | instskip(SKIP_1) | instid1(VALU_DEP_2)
	v_fma_f64 v[184:185], v[204:205], v[212:213], -v[184:185]
	v_mul_f64 v[204:205], v[204:205], v[186:187]
	v_add_f64 v[8:9], v[8:9], -v[184:185]
	s_delay_alu instid0(VALU_DEP_2) | instskip(NEXT) | instid1(VALU_DEP_1)
	v_fma_f64 v[204:205], v[206:207], v[212:213], v[204:205]
	v_add_f64 v[10:11], v[10:11], -v[204:205]
	ds_load_2addr_b64 v[204:207], v214 offset0:98 offset1:99
	s_waitcnt lgkmcnt(0)
	v_mul_f64 v[184:185], v[206:207], v[186:187]
	s_delay_alu instid0(VALU_DEP_1) | instskip(SKIP_1) | instid1(VALU_DEP_2)
	v_fma_f64 v[184:185], v[204:205], v[212:213], -v[184:185]
	v_mul_f64 v[204:205], v[204:205], v[186:187]
	v_add_f64 v[4:5], v[4:5], -v[184:185]
	s_delay_alu instid0(VALU_DEP_2) | instskip(NEXT) | instid1(VALU_DEP_1)
	v_fma_f64 v[204:205], v[206:207], v[212:213], v[204:205]
	v_add_f64 v[6:7], v[6:7], -v[204:205]
	ds_load_2addr_b64 v[204:207], v214 offset0:100 offset1:101
	s_waitcnt lgkmcnt(0)
	v_mul_f64 v[184:185], v[206:207], v[186:187]
	s_delay_alu instid0(VALU_DEP_1) | instskip(SKIP_1) | instid1(VALU_DEP_2)
	v_fma_f64 v[184:185], v[204:205], v[212:213], -v[184:185]
	v_mul_f64 v[204:205], v[204:205], v[186:187]
	v_add_f64 v[0:1], v[0:1], -v[184:185]
	s_delay_alu instid0(VALU_DEP_2) | instskip(SKIP_1) | instid1(VALU_DEP_2)
	v_fma_f64 v[204:205], v[206:207], v[212:213], v[204:205]
	v_dual_mov_b32 v184, v212 :: v_dual_mov_b32 v185, v213
	v_add_f64 v[2:3], v[2:3], -v[204:205]
.LBB100_104:
	s_or_b32 exec_lo, exec_lo, s2
	v_lshl_add_u32 v204, v220, 4, v214
	s_barrier
	buffer_gl0_inv
	v_mov_b32_e32 v212, 5
	ds_store_2addr_b64 v204, v[180:181], v[182:183] offset1:1
	s_waitcnt lgkmcnt(0)
	s_barrier
	buffer_gl0_inv
	ds_load_2addr_b64 v[204:207], v214 offset0:10 offset1:11
	s_cmp_lt_i32 s5, 7
	s_cbranch_scc1 .LBB100_107
; %bb.105:
	v_add3_u32 v213, v218, 0, 0x60
	v_mov_b32_e32 v212, 5
	s_mov_b32 s6, 6
	s_set_inst_prefetch_distance 0x1
	.p2align	6
.LBB100_106:                            ; =>This Inner Loop Header: Depth=1
	ds_load_2addr_b64 v[221:224], v213 offset1:1
	s_waitcnt lgkmcnt(1)
	v_cmp_gt_f64_e32 vcc_lo, 0, v[204:205]
	v_xor_b32_e32 v225, 0x80000000, v205
	v_cmp_gt_f64_e64 s2, 0, v[206:207]
	v_xor_b32_e32 v227, 0x80000000, v207
	v_add_nc_u32_e32 v213, 16, v213
	s_waitcnt lgkmcnt(0)
	v_cmp_gt_f64_e64 s3, 0, v[221:222]
	v_mov_b32_e32 v229, v221
	v_dual_mov_b32 v231, v223 :: v_dual_cndmask_b32 v226, v205, v225
	v_xor_b32_e32 v225, 0x80000000, v222
	v_cndmask_b32_e64 v228, v207, v227, s2
	v_xor_b32_e32 v227, 0x80000000, v224
	s_delay_alu instid0(VALU_DEP_3) | instskip(SKIP_2) | instid1(VALU_DEP_2)
	v_cndmask_b32_e64 v230, v222, v225, s3
	v_cmp_gt_f64_e64 s3, 0, v[223:224]
	v_cndmask_b32_e32 v225, v204, v204, vcc_lo
	v_cndmask_b32_e64 v232, v224, v227, s3
	v_cndmask_b32_e64 v227, v206, v206, s2
	s_delay_alu instid0(VALU_DEP_2) | instskip(NEXT) | instid1(VALU_DEP_2)
	v_add_f64 v[229:230], v[229:230], v[231:232]
	v_add_f64 v[225:226], v[225:226], v[227:228]
	s_delay_alu instid0(VALU_DEP_1) | instskip(SKIP_4) | instid1(SALU_CYCLE_1)
	v_cmp_lt_f64_e32 vcc_lo, v[225:226], v[229:230]
	v_dual_cndmask_b32 v206, v206, v223 :: v_dual_cndmask_b32 v205, v205, v222
	v_dual_cndmask_b32 v204, v204, v221 :: v_dual_cndmask_b32 v207, v207, v224
	v_cndmask_b32_e64 v212, v212, s6, vcc_lo
	s_add_i32 s6, s6, 1
	s_cmp_lg_u32 s5, s6
	s_cbranch_scc1 .LBB100_106
.LBB100_107:
	s_set_inst_prefetch_distance 0x2
	s_waitcnt lgkmcnt(0)
	v_cmp_eq_f64_e32 vcc_lo, 0, v[204:205]
	v_cmp_eq_f64_e64 s2, 0, v[206:207]
	s_delay_alu instid0(VALU_DEP_1) | instskip(NEXT) | instid1(SALU_CYCLE_1)
	s_and_b32 s2, vcc_lo, s2
	s_and_saveexec_b32 s3, s2
	s_delay_alu instid0(SALU_CYCLE_1)
	s_xor_b32 s2, exec_lo, s3
; %bb.108:
	v_cmp_ne_u32_e32 vcc_lo, 0, v217
	v_cndmask_b32_e32 v217, 6, v217, vcc_lo
; %bb.109:
	s_and_not1_saveexec_b32 s3, s2
	s_cbranch_execz .LBB100_115
; %bb.110:
	v_cmp_gt_f64_e32 vcc_lo, 0, v[204:205]
	v_cmp_gt_f64_e64 s2, 0, v[206:207]
	v_xor_b32_e32 v213, 0x80000000, v205
	v_xor_b32_e32 v221, 0x80000000, v207
	s_delay_alu instid0(VALU_DEP_2) | instskip(NEXT) | instid1(VALU_DEP_2)
	v_cndmask_b32_e32 v222, v205, v213, vcc_lo
	v_cndmask_b32_e64 v224, v207, v221, s2
	v_cndmask_b32_e32 v221, v204, v204, vcc_lo
	v_cndmask_b32_e64 v223, v206, v206, s2
	s_mov_b32 s2, exec_lo
	s_delay_alu instid0(VALU_DEP_1)
	v_cmpx_ngt_f64_e32 v[221:222], v[223:224]
	s_xor_b32 s2, exec_lo, s2
	s_cbranch_execz .LBB100_112
; %bb.111:
	v_div_scale_f64 v[221:222], null, v[206:207], v[206:207], v[204:205]
	v_div_scale_f64 v[227:228], vcc_lo, v[204:205], v[206:207], v[204:205]
	s_delay_alu instid0(VALU_DEP_2) | instskip(SKIP_2) | instid1(VALU_DEP_1)
	v_rcp_f64_e32 v[223:224], v[221:222]
	s_waitcnt_depctr 0xfff
	v_fma_f64 v[225:226], -v[221:222], v[223:224], 1.0
	v_fma_f64 v[223:224], v[223:224], v[225:226], v[223:224]
	s_delay_alu instid0(VALU_DEP_1) | instskip(NEXT) | instid1(VALU_DEP_1)
	v_fma_f64 v[225:226], -v[221:222], v[223:224], 1.0
	v_fma_f64 v[223:224], v[223:224], v[225:226], v[223:224]
	s_delay_alu instid0(VALU_DEP_1) | instskip(NEXT) | instid1(VALU_DEP_1)
	v_mul_f64 v[225:226], v[227:228], v[223:224]
	v_fma_f64 v[221:222], -v[221:222], v[225:226], v[227:228]
	s_delay_alu instid0(VALU_DEP_1) | instskip(NEXT) | instid1(VALU_DEP_1)
	v_div_fmas_f64 v[221:222], v[221:222], v[223:224], v[225:226]
	v_div_fixup_f64 v[221:222], v[221:222], v[206:207], v[204:205]
	s_delay_alu instid0(VALU_DEP_1) | instskip(NEXT) | instid1(VALU_DEP_1)
	v_fma_f64 v[204:205], v[204:205], v[221:222], v[206:207]
	v_div_scale_f64 v[206:207], null, v[204:205], v[204:205], 1.0
	s_delay_alu instid0(VALU_DEP_1) | instskip(SKIP_2) | instid1(VALU_DEP_1)
	v_rcp_f64_e32 v[223:224], v[206:207]
	s_waitcnt_depctr 0xfff
	v_fma_f64 v[225:226], -v[206:207], v[223:224], 1.0
	v_fma_f64 v[223:224], v[223:224], v[225:226], v[223:224]
	s_delay_alu instid0(VALU_DEP_1) | instskip(NEXT) | instid1(VALU_DEP_1)
	v_fma_f64 v[225:226], -v[206:207], v[223:224], 1.0
	v_fma_f64 v[223:224], v[223:224], v[225:226], v[223:224]
	v_div_scale_f64 v[225:226], vcc_lo, 1.0, v[204:205], 1.0
	s_delay_alu instid0(VALU_DEP_1) | instskip(NEXT) | instid1(VALU_DEP_1)
	v_mul_f64 v[227:228], v[225:226], v[223:224]
	v_fma_f64 v[206:207], -v[206:207], v[227:228], v[225:226]
	s_delay_alu instid0(VALU_DEP_1) | instskip(NEXT) | instid1(VALU_DEP_1)
	v_div_fmas_f64 v[206:207], v[206:207], v[223:224], v[227:228]
	v_div_fixup_f64 v[206:207], v[206:207], v[204:205], 1.0
	s_delay_alu instid0(VALU_DEP_1)
	v_mul_f64 v[204:205], v[221:222], v[206:207]
	v_xor_b32_e32 v207, 0x80000000, v207
.LBB100_112:
	s_and_not1_saveexec_b32 s2, s2
	s_cbranch_execz .LBB100_114
; %bb.113:
	s_delay_alu instid0(VALU_DEP_1) | instskip(SKIP_1) | instid1(VALU_DEP_2)
	v_div_scale_f64 v[221:222], null, v[204:205], v[204:205], v[206:207]
	v_div_scale_f64 v[227:228], vcc_lo, v[206:207], v[204:205], v[206:207]
	v_rcp_f64_e32 v[223:224], v[221:222]
	s_waitcnt_depctr 0xfff
	v_fma_f64 v[225:226], -v[221:222], v[223:224], 1.0
	s_delay_alu instid0(VALU_DEP_1) | instskip(NEXT) | instid1(VALU_DEP_1)
	v_fma_f64 v[223:224], v[223:224], v[225:226], v[223:224]
	v_fma_f64 v[225:226], -v[221:222], v[223:224], 1.0
	s_delay_alu instid0(VALU_DEP_1) | instskip(NEXT) | instid1(VALU_DEP_1)
	v_fma_f64 v[223:224], v[223:224], v[225:226], v[223:224]
	v_mul_f64 v[225:226], v[227:228], v[223:224]
	s_delay_alu instid0(VALU_DEP_1) | instskip(NEXT) | instid1(VALU_DEP_1)
	v_fma_f64 v[221:222], -v[221:222], v[225:226], v[227:228]
	v_div_fmas_f64 v[221:222], v[221:222], v[223:224], v[225:226]
	s_delay_alu instid0(VALU_DEP_1) | instskip(NEXT) | instid1(VALU_DEP_1)
	v_div_fixup_f64 v[221:222], v[221:222], v[204:205], v[206:207]
	v_fma_f64 v[204:205], v[206:207], v[221:222], v[204:205]
	s_delay_alu instid0(VALU_DEP_1) | instskip(NEXT) | instid1(VALU_DEP_1)
	v_div_scale_f64 v[206:207], null, v[204:205], v[204:205], 1.0
	v_rcp_f64_e32 v[223:224], v[206:207]
	s_waitcnt_depctr 0xfff
	v_fma_f64 v[225:226], -v[206:207], v[223:224], 1.0
	s_delay_alu instid0(VALU_DEP_1) | instskip(NEXT) | instid1(VALU_DEP_1)
	v_fma_f64 v[223:224], v[223:224], v[225:226], v[223:224]
	v_fma_f64 v[225:226], -v[206:207], v[223:224], 1.0
	s_delay_alu instid0(VALU_DEP_1) | instskip(SKIP_1) | instid1(VALU_DEP_1)
	v_fma_f64 v[223:224], v[223:224], v[225:226], v[223:224]
	v_div_scale_f64 v[225:226], vcc_lo, 1.0, v[204:205], 1.0
	v_mul_f64 v[227:228], v[225:226], v[223:224]
	s_delay_alu instid0(VALU_DEP_1) | instskip(NEXT) | instid1(VALU_DEP_1)
	v_fma_f64 v[206:207], -v[206:207], v[227:228], v[225:226]
	v_div_fmas_f64 v[206:207], v[206:207], v[223:224], v[227:228]
	s_delay_alu instid0(VALU_DEP_1) | instskip(NEXT) | instid1(VALU_DEP_1)
	v_div_fixup_f64 v[204:205], v[206:207], v[204:205], 1.0
	v_mul_f64 v[206:207], v[221:222], -v[204:205]
.LBB100_114:
	s_or_b32 exec_lo, exec_lo, s2
.LBB100_115:
	s_delay_alu instid0(SALU_CYCLE_1) | instskip(NEXT) | instid1(SALU_CYCLE_1)
	s_or_b32 exec_lo, exec_lo, s3
	s_mov_b32 s2, exec_lo
	v_cmpx_ne_u32_e64 v220, v212
	s_xor_b32 s2, exec_lo, s2
	s_cbranch_execz .LBB100_121
; %bb.116:
	s_mov_b32 s3, exec_lo
	v_cmpx_eq_u32_e32 5, v220
	s_cbranch_execz .LBB100_120
; %bb.117:
	v_cmp_ne_u32_e32 vcc_lo, 5, v212
	s_xor_b32 s6, s4, -1
	s_delay_alu instid0(SALU_CYCLE_1) | instskip(NEXT) | instid1(SALU_CYCLE_1)
	s_and_b32 s7, s6, vcc_lo
	s_and_saveexec_b32 s6, s7
	s_cbranch_execz .LBB100_119
; %bb.118:
	v_ashrrev_i32_e32 v213, 31, v212
	s_delay_alu instid0(VALU_DEP_1) | instskip(NEXT) | instid1(VALU_DEP_1)
	v_lshlrev_b64 v[219:220], 2, v[212:213]
	v_add_co_u32 v219, vcc_lo, v210, v219
	s_delay_alu instid0(VALU_DEP_2)
	v_add_co_ci_u32_e32 v220, vcc_lo, v211, v220, vcc_lo
	s_clause 0x1
	flat_load_b32 v213, v[219:220]
	flat_load_b32 v221, v[210:211] offset:20
	s_waitcnt vmcnt(1) lgkmcnt(1)
	flat_store_b32 v[210:211], v213 offset:20
	s_waitcnt vmcnt(0) lgkmcnt(1)
	flat_store_b32 v[219:220], v221
.LBB100_119:
	s_or_b32 exec_lo, exec_lo, s6
	v_mov_b32_e32 v220, v212
	v_mov_b32_e32 v219, v212
.LBB100_120:
	s_or_b32 exec_lo, exec_lo, s3
.LBB100_121:
	s_and_not1_saveexec_b32 s2, s2
	s_cbranch_execz .LBB100_123
; %bb.122:
	v_mov_b32_e32 v220, 5
	ds_store_2addr_b64 v214, v[176:177], v[178:179] offset0:12 offset1:13
	ds_store_2addr_b64 v214, v[172:173], v[174:175] offset0:14 offset1:15
	;; [unrolled: 1-line block ×45, first 2 shown]
.LBB100_123:
	s_or_b32 exec_lo, exec_lo, s2
	s_delay_alu instid0(SALU_CYCLE_1)
	s_mov_b32 s2, exec_lo
	s_waitcnt lgkmcnt(0)
	s_waitcnt_vscnt null, 0x0
	s_barrier
	buffer_gl0_inv
	v_cmpx_lt_i32_e32 5, v220
	s_cbranch_execz .LBB100_125
; %bb.124:
	v_mul_f64 v[212:213], v[206:207], v[182:183]
	v_mul_f64 v[182:183], v[204:205], v[182:183]
	s_delay_alu instid0(VALU_DEP_2) | instskip(NEXT) | instid1(VALU_DEP_2)
	v_fma_f64 v[212:213], v[204:205], v[180:181], -v[212:213]
	v_fma_f64 v[182:183], v[206:207], v[180:181], v[182:183]
	ds_load_2addr_b64 v[204:207], v214 offset0:12 offset1:13
	s_waitcnt lgkmcnt(0)
	v_mul_f64 v[180:181], v[206:207], v[182:183]
	s_delay_alu instid0(VALU_DEP_1) | instskip(SKIP_1) | instid1(VALU_DEP_2)
	v_fma_f64 v[180:181], v[204:205], v[212:213], -v[180:181]
	v_mul_f64 v[204:205], v[204:205], v[182:183]
	v_add_f64 v[176:177], v[176:177], -v[180:181]
	s_delay_alu instid0(VALU_DEP_2) | instskip(NEXT) | instid1(VALU_DEP_1)
	v_fma_f64 v[204:205], v[206:207], v[212:213], v[204:205]
	v_add_f64 v[178:179], v[178:179], -v[204:205]
	ds_load_2addr_b64 v[204:207], v214 offset0:14 offset1:15
	s_waitcnt lgkmcnt(0)
	v_mul_f64 v[180:181], v[206:207], v[182:183]
	s_delay_alu instid0(VALU_DEP_1) | instskip(SKIP_1) | instid1(VALU_DEP_2)
	v_fma_f64 v[180:181], v[204:205], v[212:213], -v[180:181]
	v_mul_f64 v[204:205], v[204:205], v[182:183]
	v_add_f64 v[172:173], v[172:173], -v[180:181]
	s_delay_alu instid0(VALU_DEP_2) | instskip(NEXT) | instid1(VALU_DEP_1)
	v_fma_f64 v[204:205], v[206:207], v[212:213], v[204:205]
	v_add_f64 v[174:175], v[174:175], -v[204:205]
	;; [unrolled: 10-line block ×44, first 2 shown]
	ds_load_2addr_b64 v[204:207], v214 offset0:100 offset1:101
	s_waitcnt lgkmcnt(0)
	v_mul_f64 v[180:181], v[206:207], v[182:183]
	s_delay_alu instid0(VALU_DEP_1) | instskip(SKIP_1) | instid1(VALU_DEP_2)
	v_fma_f64 v[180:181], v[204:205], v[212:213], -v[180:181]
	v_mul_f64 v[204:205], v[204:205], v[182:183]
	v_add_f64 v[0:1], v[0:1], -v[180:181]
	s_delay_alu instid0(VALU_DEP_2) | instskip(SKIP_1) | instid1(VALU_DEP_2)
	v_fma_f64 v[204:205], v[206:207], v[212:213], v[204:205]
	v_dual_mov_b32 v180, v212 :: v_dual_mov_b32 v181, v213
	v_add_f64 v[2:3], v[2:3], -v[204:205]
.LBB100_125:
	s_or_b32 exec_lo, exec_lo, s2
	v_lshl_add_u32 v204, v220, 4, v214
	s_barrier
	buffer_gl0_inv
	v_mov_b32_e32 v212, 6
	ds_store_2addr_b64 v204, v[176:177], v[178:179] offset1:1
	s_waitcnt lgkmcnt(0)
	s_barrier
	buffer_gl0_inv
	ds_load_2addr_b64 v[204:207], v214 offset0:12 offset1:13
	s_cmp_lt_i32 s5, 8
	s_cbranch_scc1 .LBB100_128
; %bb.126:
	v_add3_u32 v213, v218, 0, 0x70
	v_mov_b32_e32 v212, 6
	s_mov_b32 s6, 7
	s_set_inst_prefetch_distance 0x1
	.p2align	6
.LBB100_127:                            ; =>This Inner Loop Header: Depth=1
	ds_load_2addr_b64 v[221:224], v213 offset1:1
	s_waitcnt lgkmcnt(1)
	v_cmp_gt_f64_e32 vcc_lo, 0, v[204:205]
	v_xor_b32_e32 v225, 0x80000000, v205
	v_cmp_gt_f64_e64 s2, 0, v[206:207]
	v_xor_b32_e32 v227, 0x80000000, v207
	v_add_nc_u32_e32 v213, 16, v213
	s_waitcnt lgkmcnt(0)
	v_cmp_gt_f64_e64 s3, 0, v[221:222]
	v_mov_b32_e32 v229, v221
	v_dual_mov_b32 v231, v223 :: v_dual_cndmask_b32 v226, v205, v225
	v_xor_b32_e32 v225, 0x80000000, v222
	v_cndmask_b32_e64 v228, v207, v227, s2
	v_xor_b32_e32 v227, 0x80000000, v224
	s_delay_alu instid0(VALU_DEP_3) | instskip(SKIP_2) | instid1(VALU_DEP_2)
	v_cndmask_b32_e64 v230, v222, v225, s3
	v_cmp_gt_f64_e64 s3, 0, v[223:224]
	v_cndmask_b32_e32 v225, v204, v204, vcc_lo
	v_cndmask_b32_e64 v232, v224, v227, s3
	v_cndmask_b32_e64 v227, v206, v206, s2
	s_delay_alu instid0(VALU_DEP_2) | instskip(NEXT) | instid1(VALU_DEP_2)
	v_add_f64 v[229:230], v[229:230], v[231:232]
	v_add_f64 v[225:226], v[225:226], v[227:228]
	s_delay_alu instid0(VALU_DEP_1) | instskip(SKIP_4) | instid1(SALU_CYCLE_1)
	v_cmp_lt_f64_e32 vcc_lo, v[225:226], v[229:230]
	v_dual_cndmask_b32 v206, v206, v223 :: v_dual_cndmask_b32 v205, v205, v222
	v_dual_cndmask_b32 v204, v204, v221 :: v_dual_cndmask_b32 v207, v207, v224
	v_cndmask_b32_e64 v212, v212, s6, vcc_lo
	s_add_i32 s6, s6, 1
	s_cmp_lg_u32 s5, s6
	s_cbranch_scc1 .LBB100_127
.LBB100_128:
	s_set_inst_prefetch_distance 0x2
	s_waitcnt lgkmcnt(0)
	v_cmp_eq_f64_e32 vcc_lo, 0, v[204:205]
	v_cmp_eq_f64_e64 s2, 0, v[206:207]
	s_delay_alu instid0(VALU_DEP_1) | instskip(NEXT) | instid1(SALU_CYCLE_1)
	s_and_b32 s2, vcc_lo, s2
	s_and_saveexec_b32 s3, s2
	s_delay_alu instid0(SALU_CYCLE_1)
	s_xor_b32 s2, exec_lo, s3
; %bb.129:
	v_cmp_ne_u32_e32 vcc_lo, 0, v217
	v_cndmask_b32_e32 v217, 7, v217, vcc_lo
; %bb.130:
	s_and_not1_saveexec_b32 s3, s2
	s_cbranch_execz .LBB100_136
; %bb.131:
	v_cmp_gt_f64_e32 vcc_lo, 0, v[204:205]
	v_cmp_gt_f64_e64 s2, 0, v[206:207]
	v_xor_b32_e32 v213, 0x80000000, v205
	v_xor_b32_e32 v221, 0x80000000, v207
	s_delay_alu instid0(VALU_DEP_2) | instskip(NEXT) | instid1(VALU_DEP_2)
	v_cndmask_b32_e32 v222, v205, v213, vcc_lo
	v_cndmask_b32_e64 v224, v207, v221, s2
	v_cndmask_b32_e32 v221, v204, v204, vcc_lo
	v_cndmask_b32_e64 v223, v206, v206, s2
	s_mov_b32 s2, exec_lo
	s_delay_alu instid0(VALU_DEP_1)
	v_cmpx_ngt_f64_e32 v[221:222], v[223:224]
	s_xor_b32 s2, exec_lo, s2
	s_cbranch_execz .LBB100_133
; %bb.132:
	v_div_scale_f64 v[221:222], null, v[206:207], v[206:207], v[204:205]
	v_div_scale_f64 v[227:228], vcc_lo, v[204:205], v[206:207], v[204:205]
	s_delay_alu instid0(VALU_DEP_2) | instskip(SKIP_2) | instid1(VALU_DEP_1)
	v_rcp_f64_e32 v[223:224], v[221:222]
	s_waitcnt_depctr 0xfff
	v_fma_f64 v[225:226], -v[221:222], v[223:224], 1.0
	v_fma_f64 v[223:224], v[223:224], v[225:226], v[223:224]
	s_delay_alu instid0(VALU_DEP_1) | instskip(NEXT) | instid1(VALU_DEP_1)
	v_fma_f64 v[225:226], -v[221:222], v[223:224], 1.0
	v_fma_f64 v[223:224], v[223:224], v[225:226], v[223:224]
	s_delay_alu instid0(VALU_DEP_1) | instskip(NEXT) | instid1(VALU_DEP_1)
	v_mul_f64 v[225:226], v[227:228], v[223:224]
	v_fma_f64 v[221:222], -v[221:222], v[225:226], v[227:228]
	s_delay_alu instid0(VALU_DEP_1) | instskip(NEXT) | instid1(VALU_DEP_1)
	v_div_fmas_f64 v[221:222], v[221:222], v[223:224], v[225:226]
	v_div_fixup_f64 v[221:222], v[221:222], v[206:207], v[204:205]
	s_delay_alu instid0(VALU_DEP_1) | instskip(NEXT) | instid1(VALU_DEP_1)
	v_fma_f64 v[204:205], v[204:205], v[221:222], v[206:207]
	v_div_scale_f64 v[206:207], null, v[204:205], v[204:205], 1.0
	s_delay_alu instid0(VALU_DEP_1) | instskip(SKIP_2) | instid1(VALU_DEP_1)
	v_rcp_f64_e32 v[223:224], v[206:207]
	s_waitcnt_depctr 0xfff
	v_fma_f64 v[225:226], -v[206:207], v[223:224], 1.0
	v_fma_f64 v[223:224], v[223:224], v[225:226], v[223:224]
	s_delay_alu instid0(VALU_DEP_1) | instskip(NEXT) | instid1(VALU_DEP_1)
	v_fma_f64 v[225:226], -v[206:207], v[223:224], 1.0
	v_fma_f64 v[223:224], v[223:224], v[225:226], v[223:224]
	v_div_scale_f64 v[225:226], vcc_lo, 1.0, v[204:205], 1.0
	s_delay_alu instid0(VALU_DEP_1) | instskip(NEXT) | instid1(VALU_DEP_1)
	v_mul_f64 v[227:228], v[225:226], v[223:224]
	v_fma_f64 v[206:207], -v[206:207], v[227:228], v[225:226]
	s_delay_alu instid0(VALU_DEP_1) | instskip(NEXT) | instid1(VALU_DEP_1)
	v_div_fmas_f64 v[206:207], v[206:207], v[223:224], v[227:228]
	v_div_fixup_f64 v[206:207], v[206:207], v[204:205], 1.0
	s_delay_alu instid0(VALU_DEP_1)
	v_mul_f64 v[204:205], v[221:222], v[206:207]
	v_xor_b32_e32 v207, 0x80000000, v207
.LBB100_133:
	s_and_not1_saveexec_b32 s2, s2
	s_cbranch_execz .LBB100_135
; %bb.134:
	s_delay_alu instid0(VALU_DEP_1) | instskip(SKIP_1) | instid1(VALU_DEP_2)
	v_div_scale_f64 v[221:222], null, v[204:205], v[204:205], v[206:207]
	v_div_scale_f64 v[227:228], vcc_lo, v[206:207], v[204:205], v[206:207]
	v_rcp_f64_e32 v[223:224], v[221:222]
	s_waitcnt_depctr 0xfff
	v_fma_f64 v[225:226], -v[221:222], v[223:224], 1.0
	s_delay_alu instid0(VALU_DEP_1) | instskip(NEXT) | instid1(VALU_DEP_1)
	v_fma_f64 v[223:224], v[223:224], v[225:226], v[223:224]
	v_fma_f64 v[225:226], -v[221:222], v[223:224], 1.0
	s_delay_alu instid0(VALU_DEP_1) | instskip(NEXT) | instid1(VALU_DEP_1)
	v_fma_f64 v[223:224], v[223:224], v[225:226], v[223:224]
	v_mul_f64 v[225:226], v[227:228], v[223:224]
	s_delay_alu instid0(VALU_DEP_1) | instskip(NEXT) | instid1(VALU_DEP_1)
	v_fma_f64 v[221:222], -v[221:222], v[225:226], v[227:228]
	v_div_fmas_f64 v[221:222], v[221:222], v[223:224], v[225:226]
	s_delay_alu instid0(VALU_DEP_1) | instskip(NEXT) | instid1(VALU_DEP_1)
	v_div_fixup_f64 v[221:222], v[221:222], v[204:205], v[206:207]
	v_fma_f64 v[204:205], v[206:207], v[221:222], v[204:205]
	s_delay_alu instid0(VALU_DEP_1) | instskip(NEXT) | instid1(VALU_DEP_1)
	v_div_scale_f64 v[206:207], null, v[204:205], v[204:205], 1.0
	v_rcp_f64_e32 v[223:224], v[206:207]
	s_waitcnt_depctr 0xfff
	v_fma_f64 v[225:226], -v[206:207], v[223:224], 1.0
	s_delay_alu instid0(VALU_DEP_1) | instskip(NEXT) | instid1(VALU_DEP_1)
	v_fma_f64 v[223:224], v[223:224], v[225:226], v[223:224]
	v_fma_f64 v[225:226], -v[206:207], v[223:224], 1.0
	s_delay_alu instid0(VALU_DEP_1) | instskip(SKIP_1) | instid1(VALU_DEP_1)
	v_fma_f64 v[223:224], v[223:224], v[225:226], v[223:224]
	v_div_scale_f64 v[225:226], vcc_lo, 1.0, v[204:205], 1.0
	v_mul_f64 v[227:228], v[225:226], v[223:224]
	s_delay_alu instid0(VALU_DEP_1) | instskip(NEXT) | instid1(VALU_DEP_1)
	v_fma_f64 v[206:207], -v[206:207], v[227:228], v[225:226]
	v_div_fmas_f64 v[206:207], v[206:207], v[223:224], v[227:228]
	s_delay_alu instid0(VALU_DEP_1) | instskip(NEXT) | instid1(VALU_DEP_1)
	v_div_fixup_f64 v[204:205], v[206:207], v[204:205], 1.0
	v_mul_f64 v[206:207], v[221:222], -v[204:205]
.LBB100_135:
	s_or_b32 exec_lo, exec_lo, s2
.LBB100_136:
	s_delay_alu instid0(SALU_CYCLE_1) | instskip(NEXT) | instid1(SALU_CYCLE_1)
	s_or_b32 exec_lo, exec_lo, s3
	s_mov_b32 s2, exec_lo
	v_cmpx_ne_u32_e64 v220, v212
	s_xor_b32 s2, exec_lo, s2
	s_cbranch_execz .LBB100_142
; %bb.137:
	s_mov_b32 s3, exec_lo
	v_cmpx_eq_u32_e32 6, v220
	s_cbranch_execz .LBB100_141
; %bb.138:
	v_cmp_ne_u32_e32 vcc_lo, 6, v212
	s_xor_b32 s6, s4, -1
	s_delay_alu instid0(SALU_CYCLE_1) | instskip(NEXT) | instid1(SALU_CYCLE_1)
	s_and_b32 s7, s6, vcc_lo
	s_and_saveexec_b32 s6, s7
	s_cbranch_execz .LBB100_140
; %bb.139:
	v_ashrrev_i32_e32 v213, 31, v212
	s_delay_alu instid0(VALU_DEP_1) | instskip(NEXT) | instid1(VALU_DEP_1)
	v_lshlrev_b64 v[219:220], 2, v[212:213]
	v_add_co_u32 v219, vcc_lo, v210, v219
	s_delay_alu instid0(VALU_DEP_2)
	v_add_co_ci_u32_e32 v220, vcc_lo, v211, v220, vcc_lo
	s_clause 0x1
	flat_load_b32 v213, v[219:220]
	flat_load_b32 v221, v[210:211] offset:24
	s_waitcnt vmcnt(1) lgkmcnt(1)
	flat_store_b32 v[210:211], v213 offset:24
	s_waitcnt vmcnt(0) lgkmcnt(1)
	flat_store_b32 v[219:220], v221
.LBB100_140:
	s_or_b32 exec_lo, exec_lo, s6
	v_mov_b32_e32 v220, v212
	v_mov_b32_e32 v219, v212
.LBB100_141:
	s_or_b32 exec_lo, exec_lo, s3
.LBB100_142:
	s_and_not1_saveexec_b32 s2, s2
	s_cbranch_execz .LBB100_144
; %bb.143:
	v_mov_b32_e32 v220, 6
	ds_store_2addr_b64 v214, v[172:173], v[174:175] offset0:14 offset1:15
	ds_store_2addr_b64 v214, v[168:169], v[170:171] offset0:16 offset1:17
	ds_store_2addr_b64 v214, v[164:165], v[166:167] offset0:18 offset1:19
	ds_store_2addr_b64 v214, v[160:161], v[162:163] offset0:20 offset1:21
	ds_store_2addr_b64 v214, v[156:157], v[158:159] offset0:22 offset1:23
	ds_store_2addr_b64 v214, v[152:153], v[154:155] offset0:24 offset1:25
	ds_store_2addr_b64 v214, v[148:149], v[150:151] offset0:26 offset1:27
	ds_store_2addr_b64 v214, v[144:145], v[146:147] offset0:28 offset1:29
	ds_store_2addr_b64 v214, v[140:141], v[142:143] offset0:30 offset1:31
	ds_store_2addr_b64 v214, v[136:137], v[138:139] offset0:32 offset1:33
	ds_store_2addr_b64 v214, v[132:133], v[134:135] offset0:34 offset1:35
	ds_store_2addr_b64 v214, v[128:129], v[130:131] offset0:36 offset1:37
	ds_store_2addr_b64 v214, v[124:125], v[126:127] offset0:38 offset1:39
	ds_store_2addr_b64 v214, v[120:121], v[122:123] offset0:40 offset1:41
	ds_store_2addr_b64 v214, v[116:117], v[118:119] offset0:42 offset1:43
	ds_store_2addr_b64 v214, v[112:113], v[114:115] offset0:44 offset1:45
	ds_store_2addr_b64 v214, v[108:109], v[110:111] offset0:46 offset1:47
	ds_store_2addr_b64 v214, v[104:105], v[106:107] offset0:48 offset1:49
	ds_store_2addr_b64 v214, v[100:101], v[102:103] offset0:50 offset1:51
	ds_store_2addr_b64 v214, v[96:97], v[98:99] offset0:52 offset1:53
	ds_store_2addr_b64 v214, v[92:93], v[94:95] offset0:54 offset1:55
	ds_store_2addr_b64 v214, v[88:89], v[90:91] offset0:56 offset1:57
	ds_store_2addr_b64 v214, v[84:85], v[86:87] offset0:58 offset1:59
	ds_store_2addr_b64 v214, v[80:81], v[82:83] offset0:60 offset1:61
	ds_store_2addr_b64 v214, v[76:77], v[78:79] offset0:62 offset1:63
	ds_store_2addr_b64 v214, v[72:73], v[74:75] offset0:64 offset1:65
	ds_store_2addr_b64 v214, v[68:69], v[70:71] offset0:66 offset1:67
	ds_store_2addr_b64 v214, v[64:65], v[66:67] offset0:68 offset1:69
	ds_store_2addr_b64 v214, v[60:61], v[62:63] offset0:70 offset1:71
	ds_store_2addr_b64 v214, v[56:57], v[58:59] offset0:72 offset1:73
	ds_store_2addr_b64 v214, v[52:53], v[54:55] offset0:74 offset1:75
	ds_store_2addr_b64 v214, v[48:49], v[50:51] offset0:76 offset1:77
	ds_store_2addr_b64 v214, v[44:45], v[46:47] offset0:78 offset1:79
	ds_store_2addr_b64 v214, v[40:41], v[42:43] offset0:80 offset1:81
	ds_store_2addr_b64 v214, v[36:37], v[38:39] offset0:82 offset1:83
	ds_store_2addr_b64 v214, v[32:33], v[34:35] offset0:84 offset1:85
	ds_store_2addr_b64 v214, v[28:29], v[30:31] offset0:86 offset1:87
	ds_store_2addr_b64 v214, v[24:25], v[26:27] offset0:88 offset1:89
	ds_store_2addr_b64 v214, v[20:21], v[22:23] offset0:90 offset1:91
	ds_store_2addr_b64 v214, v[16:17], v[18:19] offset0:92 offset1:93
	ds_store_2addr_b64 v214, v[12:13], v[14:15] offset0:94 offset1:95
	ds_store_2addr_b64 v214, v[8:9], v[10:11] offset0:96 offset1:97
	ds_store_2addr_b64 v214, v[4:5], v[6:7] offset0:98 offset1:99
	ds_store_2addr_b64 v214, v[0:1], v[2:3] offset0:100 offset1:101
.LBB100_144:
	s_or_b32 exec_lo, exec_lo, s2
	s_delay_alu instid0(SALU_CYCLE_1)
	s_mov_b32 s2, exec_lo
	s_waitcnt lgkmcnt(0)
	s_waitcnt_vscnt null, 0x0
	s_barrier
	buffer_gl0_inv
	v_cmpx_lt_i32_e32 6, v220
	s_cbranch_execz .LBB100_146
; %bb.145:
	v_mul_f64 v[212:213], v[206:207], v[178:179]
	v_mul_f64 v[178:179], v[204:205], v[178:179]
	s_delay_alu instid0(VALU_DEP_2) | instskip(NEXT) | instid1(VALU_DEP_2)
	v_fma_f64 v[212:213], v[204:205], v[176:177], -v[212:213]
	v_fma_f64 v[178:179], v[206:207], v[176:177], v[178:179]
	ds_load_2addr_b64 v[204:207], v214 offset0:14 offset1:15
	s_waitcnt lgkmcnt(0)
	v_mul_f64 v[176:177], v[206:207], v[178:179]
	s_delay_alu instid0(VALU_DEP_1) | instskip(SKIP_1) | instid1(VALU_DEP_2)
	v_fma_f64 v[176:177], v[204:205], v[212:213], -v[176:177]
	v_mul_f64 v[204:205], v[204:205], v[178:179]
	v_add_f64 v[172:173], v[172:173], -v[176:177]
	s_delay_alu instid0(VALU_DEP_2) | instskip(NEXT) | instid1(VALU_DEP_1)
	v_fma_f64 v[204:205], v[206:207], v[212:213], v[204:205]
	v_add_f64 v[174:175], v[174:175], -v[204:205]
	ds_load_2addr_b64 v[204:207], v214 offset0:16 offset1:17
	s_waitcnt lgkmcnt(0)
	v_mul_f64 v[176:177], v[206:207], v[178:179]
	s_delay_alu instid0(VALU_DEP_1) | instskip(SKIP_1) | instid1(VALU_DEP_2)
	v_fma_f64 v[176:177], v[204:205], v[212:213], -v[176:177]
	v_mul_f64 v[204:205], v[204:205], v[178:179]
	v_add_f64 v[168:169], v[168:169], -v[176:177]
	s_delay_alu instid0(VALU_DEP_2) | instskip(NEXT) | instid1(VALU_DEP_1)
	v_fma_f64 v[204:205], v[206:207], v[212:213], v[204:205]
	v_add_f64 v[170:171], v[170:171], -v[204:205]
	;; [unrolled: 10-line block ×43, first 2 shown]
	ds_load_2addr_b64 v[204:207], v214 offset0:100 offset1:101
	s_waitcnt lgkmcnt(0)
	v_mul_f64 v[176:177], v[206:207], v[178:179]
	s_delay_alu instid0(VALU_DEP_1) | instskip(SKIP_1) | instid1(VALU_DEP_2)
	v_fma_f64 v[176:177], v[204:205], v[212:213], -v[176:177]
	v_mul_f64 v[204:205], v[204:205], v[178:179]
	v_add_f64 v[0:1], v[0:1], -v[176:177]
	s_delay_alu instid0(VALU_DEP_2) | instskip(SKIP_1) | instid1(VALU_DEP_2)
	v_fma_f64 v[204:205], v[206:207], v[212:213], v[204:205]
	v_dual_mov_b32 v176, v212 :: v_dual_mov_b32 v177, v213
	v_add_f64 v[2:3], v[2:3], -v[204:205]
.LBB100_146:
	s_or_b32 exec_lo, exec_lo, s2
	v_lshl_add_u32 v204, v220, 4, v214
	s_barrier
	buffer_gl0_inv
	v_mov_b32_e32 v212, 7
	ds_store_2addr_b64 v204, v[172:173], v[174:175] offset1:1
	s_waitcnt lgkmcnt(0)
	s_barrier
	buffer_gl0_inv
	ds_load_2addr_b64 v[204:207], v214 offset0:14 offset1:15
	s_cmp_lt_i32 s5, 9
	s_cbranch_scc1 .LBB100_149
; %bb.147:
	v_add3_u32 v213, v218, 0, 0x80
	v_mov_b32_e32 v212, 7
	s_mov_b32 s6, 8
	s_set_inst_prefetch_distance 0x1
	.p2align	6
.LBB100_148:                            ; =>This Inner Loop Header: Depth=1
	ds_load_2addr_b64 v[221:224], v213 offset1:1
	s_waitcnt lgkmcnt(1)
	v_cmp_gt_f64_e32 vcc_lo, 0, v[204:205]
	v_xor_b32_e32 v225, 0x80000000, v205
	v_cmp_gt_f64_e64 s2, 0, v[206:207]
	v_xor_b32_e32 v227, 0x80000000, v207
	v_add_nc_u32_e32 v213, 16, v213
	s_waitcnt lgkmcnt(0)
	v_cmp_gt_f64_e64 s3, 0, v[221:222]
	v_mov_b32_e32 v229, v221
	v_dual_mov_b32 v231, v223 :: v_dual_cndmask_b32 v226, v205, v225
	v_xor_b32_e32 v225, 0x80000000, v222
	v_cndmask_b32_e64 v228, v207, v227, s2
	v_xor_b32_e32 v227, 0x80000000, v224
	s_delay_alu instid0(VALU_DEP_3) | instskip(SKIP_2) | instid1(VALU_DEP_2)
	v_cndmask_b32_e64 v230, v222, v225, s3
	v_cmp_gt_f64_e64 s3, 0, v[223:224]
	v_cndmask_b32_e32 v225, v204, v204, vcc_lo
	v_cndmask_b32_e64 v232, v224, v227, s3
	v_cndmask_b32_e64 v227, v206, v206, s2
	s_delay_alu instid0(VALU_DEP_2) | instskip(NEXT) | instid1(VALU_DEP_2)
	v_add_f64 v[229:230], v[229:230], v[231:232]
	v_add_f64 v[225:226], v[225:226], v[227:228]
	s_delay_alu instid0(VALU_DEP_1) | instskip(SKIP_4) | instid1(SALU_CYCLE_1)
	v_cmp_lt_f64_e32 vcc_lo, v[225:226], v[229:230]
	v_dual_cndmask_b32 v206, v206, v223 :: v_dual_cndmask_b32 v205, v205, v222
	v_dual_cndmask_b32 v204, v204, v221 :: v_dual_cndmask_b32 v207, v207, v224
	v_cndmask_b32_e64 v212, v212, s6, vcc_lo
	s_add_i32 s6, s6, 1
	s_cmp_lg_u32 s5, s6
	s_cbranch_scc1 .LBB100_148
.LBB100_149:
	s_set_inst_prefetch_distance 0x2
	s_waitcnt lgkmcnt(0)
	v_cmp_eq_f64_e32 vcc_lo, 0, v[204:205]
	v_cmp_eq_f64_e64 s2, 0, v[206:207]
	s_delay_alu instid0(VALU_DEP_1) | instskip(NEXT) | instid1(SALU_CYCLE_1)
	s_and_b32 s2, vcc_lo, s2
	s_and_saveexec_b32 s3, s2
	s_delay_alu instid0(SALU_CYCLE_1)
	s_xor_b32 s2, exec_lo, s3
; %bb.150:
	v_cmp_ne_u32_e32 vcc_lo, 0, v217
	v_cndmask_b32_e32 v217, 8, v217, vcc_lo
; %bb.151:
	s_and_not1_saveexec_b32 s3, s2
	s_cbranch_execz .LBB100_157
; %bb.152:
	v_cmp_gt_f64_e32 vcc_lo, 0, v[204:205]
	v_cmp_gt_f64_e64 s2, 0, v[206:207]
	v_xor_b32_e32 v213, 0x80000000, v205
	v_xor_b32_e32 v221, 0x80000000, v207
	s_delay_alu instid0(VALU_DEP_2) | instskip(NEXT) | instid1(VALU_DEP_2)
	v_cndmask_b32_e32 v222, v205, v213, vcc_lo
	v_cndmask_b32_e64 v224, v207, v221, s2
	v_cndmask_b32_e32 v221, v204, v204, vcc_lo
	v_cndmask_b32_e64 v223, v206, v206, s2
	s_mov_b32 s2, exec_lo
	s_delay_alu instid0(VALU_DEP_1)
	v_cmpx_ngt_f64_e32 v[221:222], v[223:224]
	s_xor_b32 s2, exec_lo, s2
	s_cbranch_execz .LBB100_154
; %bb.153:
	v_div_scale_f64 v[221:222], null, v[206:207], v[206:207], v[204:205]
	v_div_scale_f64 v[227:228], vcc_lo, v[204:205], v[206:207], v[204:205]
	s_delay_alu instid0(VALU_DEP_2) | instskip(SKIP_2) | instid1(VALU_DEP_1)
	v_rcp_f64_e32 v[223:224], v[221:222]
	s_waitcnt_depctr 0xfff
	v_fma_f64 v[225:226], -v[221:222], v[223:224], 1.0
	v_fma_f64 v[223:224], v[223:224], v[225:226], v[223:224]
	s_delay_alu instid0(VALU_DEP_1) | instskip(NEXT) | instid1(VALU_DEP_1)
	v_fma_f64 v[225:226], -v[221:222], v[223:224], 1.0
	v_fma_f64 v[223:224], v[223:224], v[225:226], v[223:224]
	s_delay_alu instid0(VALU_DEP_1) | instskip(NEXT) | instid1(VALU_DEP_1)
	v_mul_f64 v[225:226], v[227:228], v[223:224]
	v_fma_f64 v[221:222], -v[221:222], v[225:226], v[227:228]
	s_delay_alu instid0(VALU_DEP_1) | instskip(NEXT) | instid1(VALU_DEP_1)
	v_div_fmas_f64 v[221:222], v[221:222], v[223:224], v[225:226]
	v_div_fixup_f64 v[221:222], v[221:222], v[206:207], v[204:205]
	s_delay_alu instid0(VALU_DEP_1) | instskip(NEXT) | instid1(VALU_DEP_1)
	v_fma_f64 v[204:205], v[204:205], v[221:222], v[206:207]
	v_div_scale_f64 v[206:207], null, v[204:205], v[204:205], 1.0
	s_delay_alu instid0(VALU_DEP_1) | instskip(SKIP_2) | instid1(VALU_DEP_1)
	v_rcp_f64_e32 v[223:224], v[206:207]
	s_waitcnt_depctr 0xfff
	v_fma_f64 v[225:226], -v[206:207], v[223:224], 1.0
	v_fma_f64 v[223:224], v[223:224], v[225:226], v[223:224]
	s_delay_alu instid0(VALU_DEP_1) | instskip(NEXT) | instid1(VALU_DEP_1)
	v_fma_f64 v[225:226], -v[206:207], v[223:224], 1.0
	v_fma_f64 v[223:224], v[223:224], v[225:226], v[223:224]
	v_div_scale_f64 v[225:226], vcc_lo, 1.0, v[204:205], 1.0
	s_delay_alu instid0(VALU_DEP_1) | instskip(NEXT) | instid1(VALU_DEP_1)
	v_mul_f64 v[227:228], v[225:226], v[223:224]
	v_fma_f64 v[206:207], -v[206:207], v[227:228], v[225:226]
	s_delay_alu instid0(VALU_DEP_1) | instskip(NEXT) | instid1(VALU_DEP_1)
	v_div_fmas_f64 v[206:207], v[206:207], v[223:224], v[227:228]
	v_div_fixup_f64 v[206:207], v[206:207], v[204:205], 1.0
	s_delay_alu instid0(VALU_DEP_1)
	v_mul_f64 v[204:205], v[221:222], v[206:207]
	v_xor_b32_e32 v207, 0x80000000, v207
.LBB100_154:
	s_and_not1_saveexec_b32 s2, s2
	s_cbranch_execz .LBB100_156
; %bb.155:
	s_delay_alu instid0(VALU_DEP_1) | instskip(SKIP_1) | instid1(VALU_DEP_2)
	v_div_scale_f64 v[221:222], null, v[204:205], v[204:205], v[206:207]
	v_div_scale_f64 v[227:228], vcc_lo, v[206:207], v[204:205], v[206:207]
	v_rcp_f64_e32 v[223:224], v[221:222]
	s_waitcnt_depctr 0xfff
	v_fma_f64 v[225:226], -v[221:222], v[223:224], 1.0
	s_delay_alu instid0(VALU_DEP_1) | instskip(NEXT) | instid1(VALU_DEP_1)
	v_fma_f64 v[223:224], v[223:224], v[225:226], v[223:224]
	v_fma_f64 v[225:226], -v[221:222], v[223:224], 1.0
	s_delay_alu instid0(VALU_DEP_1) | instskip(NEXT) | instid1(VALU_DEP_1)
	v_fma_f64 v[223:224], v[223:224], v[225:226], v[223:224]
	v_mul_f64 v[225:226], v[227:228], v[223:224]
	s_delay_alu instid0(VALU_DEP_1) | instskip(NEXT) | instid1(VALU_DEP_1)
	v_fma_f64 v[221:222], -v[221:222], v[225:226], v[227:228]
	v_div_fmas_f64 v[221:222], v[221:222], v[223:224], v[225:226]
	s_delay_alu instid0(VALU_DEP_1) | instskip(NEXT) | instid1(VALU_DEP_1)
	v_div_fixup_f64 v[221:222], v[221:222], v[204:205], v[206:207]
	v_fma_f64 v[204:205], v[206:207], v[221:222], v[204:205]
	s_delay_alu instid0(VALU_DEP_1) | instskip(NEXT) | instid1(VALU_DEP_1)
	v_div_scale_f64 v[206:207], null, v[204:205], v[204:205], 1.0
	v_rcp_f64_e32 v[223:224], v[206:207]
	s_waitcnt_depctr 0xfff
	v_fma_f64 v[225:226], -v[206:207], v[223:224], 1.0
	s_delay_alu instid0(VALU_DEP_1) | instskip(NEXT) | instid1(VALU_DEP_1)
	v_fma_f64 v[223:224], v[223:224], v[225:226], v[223:224]
	v_fma_f64 v[225:226], -v[206:207], v[223:224], 1.0
	s_delay_alu instid0(VALU_DEP_1) | instskip(SKIP_1) | instid1(VALU_DEP_1)
	v_fma_f64 v[223:224], v[223:224], v[225:226], v[223:224]
	v_div_scale_f64 v[225:226], vcc_lo, 1.0, v[204:205], 1.0
	v_mul_f64 v[227:228], v[225:226], v[223:224]
	s_delay_alu instid0(VALU_DEP_1) | instskip(NEXT) | instid1(VALU_DEP_1)
	v_fma_f64 v[206:207], -v[206:207], v[227:228], v[225:226]
	v_div_fmas_f64 v[206:207], v[206:207], v[223:224], v[227:228]
	s_delay_alu instid0(VALU_DEP_1) | instskip(NEXT) | instid1(VALU_DEP_1)
	v_div_fixup_f64 v[204:205], v[206:207], v[204:205], 1.0
	v_mul_f64 v[206:207], v[221:222], -v[204:205]
.LBB100_156:
	s_or_b32 exec_lo, exec_lo, s2
.LBB100_157:
	s_delay_alu instid0(SALU_CYCLE_1) | instskip(NEXT) | instid1(SALU_CYCLE_1)
	s_or_b32 exec_lo, exec_lo, s3
	s_mov_b32 s2, exec_lo
	v_cmpx_ne_u32_e64 v220, v212
	s_xor_b32 s2, exec_lo, s2
	s_cbranch_execz .LBB100_163
; %bb.158:
	s_mov_b32 s3, exec_lo
	v_cmpx_eq_u32_e32 7, v220
	s_cbranch_execz .LBB100_162
; %bb.159:
	v_cmp_ne_u32_e32 vcc_lo, 7, v212
	s_xor_b32 s6, s4, -1
	s_delay_alu instid0(SALU_CYCLE_1) | instskip(NEXT) | instid1(SALU_CYCLE_1)
	s_and_b32 s7, s6, vcc_lo
	s_and_saveexec_b32 s6, s7
	s_cbranch_execz .LBB100_161
; %bb.160:
	v_ashrrev_i32_e32 v213, 31, v212
	s_delay_alu instid0(VALU_DEP_1) | instskip(NEXT) | instid1(VALU_DEP_1)
	v_lshlrev_b64 v[219:220], 2, v[212:213]
	v_add_co_u32 v219, vcc_lo, v210, v219
	s_delay_alu instid0(VALU_DEP_2)
	v_add_co_ci_u32_e32 v220, vcc_lo, v211, v220, vcc_lo
	s_clause 0x1
	flat_load_b32 v213, v[219:220]
	flat_load_b32 v221, v[210:211] offset:28
	s_waitcnt vmcnt(1) lgkmcnt(1)
	flat_store_b32 v[210:211], v213 offset:28
	s_waitcnt vmcnt(0) lgkmcnt(1)
	flat_store_b32 v[219:220], v221
.LBB100_161:
	s_or_b32 exec_lo, exec_lo, s6
	v_mov_b32_e32 v220, v212
	v_mov_b32_e32 v219, v212
.LBB100_162:
	s_or_b32 exec_lo, exec_lo, s3
.LBB100_163:
	s_and_not1_saveexec_b32 s2, s2
	s_cbranch_execz .LBB100_165
; %bb.164:
	v_mov_b32_e32 v220, 7
	ds_store_2addr_b64 v214, v[168:169], v[170:171] offset0:16 offset1:17
	ds_store_2addr_b64 v214, v[164:165], v[166:167] offset0:18 offset1:19
	;; [unrolled: 1-line block ×43, first 2 shown]
.LBB100_165:
	s_or_b32 exec_lo, exec_lo, s2
	s_delay_alu instid0(SALU_CYCLE_1)
	s_mov_b32 s2, exec_lo
	s_waitcnt lgkmcnt(0)
	s_waitcnt_vscnt null, 0x0
	s_barrier
	buffer_gl0_inv
	v_cmpx_lt_i32_e32 7, v220
	s_cbranch_execz .LBB100_167
; %bb.166:
	v_mul_f64 v[212:213], v[206:207], v[174:175]
	v_mul_f64 v[174:175], v[204:205], v[174:175]
	s_delay_alu instid0(VALU_DEP_2) | instskip(NEXT) | instid1(VALU_DEP_2)
	v_fma_f64 v[212:213], v[204:205], v[172:173], -v[212:213]
	v_fma_f64 v[174:175], v[206:207], v[172:173], v[174:175]
	ds_load_2addr_b64 v[204:207], v214 offset0:16 offset1:17
	s_waitcnt lgkmcnt(0)
	v_mul_f64 v[172:173], v[206:207], v[174:175]
	s_delay_alu instid0(VALU_DEP_1) | instskip(SKIP_1) | instid1(VALU_DEP_2)
	v_fma_f64 v[172:173], v[204:205], v[212:213], -v[172:173]
	v_mul_f64 v[204:205], v[204:205], v[174:175]
	v_add_f64 v[168:169], v[168:169], -v[172:173]
	s_delay_alu instid0(VALU_DEP_2) | instskip(NEXT) | instid1(VALU_DEP_1)
	v_fma_f64 v[204:205], v[206:207], v[212:213], v[204:205]
	v_add_f64 v[170:171], v[170:171], -v[204:205]
	ds_load_2addr_b64 v[204:207], v214 offset0:18 offset1:19
	s_waitcnt lgkmcnt(0)
	v_mul_f64 v[172:173], v[206:207], v[174:175]
	s_delay_alu instid0(VALU_DEP_1) | instskip(SKIP_1) | instid1(VALU_DEP_2)
	v_fma_f64 v[172:173], v[204:205], v[212:213], -v[172:173]
	v_mul_f64 v[204:205], v[204:205], v[174:175]
	v_add_f64 v[164:165], v[164:165], -v[172:173]
	s_delay_alu instid0(VALU_DEP_2) | instskip(NEXT) | instid1(VALU_DEP_1)
	v_fma_f64 v[204:205], v[206:207], v[212:213], v[204:205]
	v_add_f64 v[166:167], v[166:167], -v[204:205]
	;; [unrolled: 10-line block ×42, first 2 shown]
	ds_load_2addr_b64 v[204:207], v214 offset0:100 offset1:101
	s_waitcnt lgkmcnt(0)
	v_mul_f64 v[172:173], v[206:207], v[174:175]
	s_delay_alu instid0(VALU_DEP_1) | instskip(SKIP_1) | instid1(VALU_DEP_2)
	v_fma_f64 v[172:173], v[204:205], v[212:213], -v[172:173]
	v_mul_f64 v[204:205], v[204:205], v[174:175]
	v_add_f64 v[0:1], v[0:1], -v[172:173]
	s_delay_alu instid0(VALU_DEP_2) | instskip(SKIP_1) | instid1(VALU_DEP_2)
	v_fma_f64 v[204:205], v[206:207], v[212:213], v[204:205]
	v_dual_mov_b32 v172, v212 :: v_dual_mov_b32 v173, v213
	v_add_f64 v[2:3], v[2:3], -v[204:205]
.LBB100_167:
	s_or_b32 exec_lo, exec_lo, s2
	v_lshl_add_u32 v204, v220, 4, v214
	s_barrier
	buffer_gl0_inv
	v_mov_b32_e32 v212, 8
	ds_store_2addr_b64 v204, v[168:169], v[170:171] offset1:1
	s_waitcnt lgkmcnt(0)
	s_barrier
	buffer_gl0_inv
	ds_load_2addr_b64 v[204:207], v214 offset0:16 offset1:17
	s_cmp_lt_i32 s5, 10
	s_cbranch_scc1 .LBB100_170
; %bb.168:
	v_add3_u32 v213, v218, 0, 0x90
	v_mov_b32_e32 v212, 8
	s_mov_b32 s6, 9
	s_set_inst_prefetch_distance 0x1
	.p2align	6
.LBB100_169:                            ; =>This Inner Loop Header: Depth=1
	ds_load_2addr_b64 v[221:224], v213 offset1:1
	s_waitcnt lgkmcnt(1)
	v_cmp_gt_f64_e32 vcc_lo, 0, v[204:205]
	v_xor_b32_e32 v225, 0x80000000, v205
	v_cmp_gt_f64_e64 s2, 0, v[206:207]
	v_xor_b32_e32 v227, 0x80000000, v207
	v_add_nc_u32_e32 v213, 16, v213
	s_waitcnt lgkmcnt(0)
	v_cmp_gt_f64_e64 s3, 0, v[221:222]
	v_mov_b32_e32 v229, v221
	v_dual_mov_b32 v231, v223 :: v_dual_cndmask_b32 v226, v205, v225
	v_xor_b32_e32 v225, 0x80000000, v222
	v_cndmask_b32_e64 v228, v207, v227, s2
	v_xor_b32_e32 v227, 0x80000000, v224
	s_delay_alu instid0(VALU_DEP_3) | instskip(SKIP_2) | instid1(VALU_DEP_2)
	v_cndmask_b32_e64 v230, v222, v225, s3
	v_cmp_gt_f64_e64 s3, 0, v[223:224]
	v_cndmask_b32_e32 v225, v204, v204, vcc_lo
	v_cndmask_b32_e64 v232, v224, v227, s3
	v_cndmask_b32_e64 v227, v206, v206, s2
	s_delay_alu instid0(VALU_DEP_2) | instskip(NEXT) | instid1(VALU_DEP_2)
	v_add_f64 v[229:230], v[229:230], v[231:232]
	v_add_f64 v[225:226], v[225:226], v[227:228]
	s_delay_alu instid0(VALU_DEP_1) | instskip(SKIP_4) | instid1(SALU_CYCLE_1)
	v_cmp_lt_f64_e32 vcc_lo, v[225:226], v[229:230]
	v_dual_cndmask_b32 v206, v206, v223 :: v_dual_cndmask_b32 v205, v205, v222
	v_dual_cndmask_b32 v204, v204, v221 :: v_dual_cndmask_b32 v207, v207, v224
	v_cndmask_b32_e64 v212, v212, s6, vcc_lo
	s_add_i32 s6, s6, 1
	s_cmp_lg_u32 s5, s6
	s_cbranch_scc1 .LBB100_169
.LBB100_170:
	s_set_inst_prefetch_distance 0x2
	s_waitcnt lgkmcnt(0)
	v_cmp_eq_f64_e32 vcc_lo, 0, v[204:205]
	v_cmp_eq_f64_e64 s2, 0, v[206:207]
	s_delay_alu instid0(VALU_DEP_1) | instskip(NEXT) | instid1(SALU_CYCLE_1)
	s_and_b32 s2, vcc_lo, s2
	s_and_saveexec_b32 s3, s2
	s_delay_alu instid0(SALU_CYCLE_1)
	s_xor_b32 s2, exec_lo, s3
; %bb.171:
	v_cmp_ne_u32_e32 vcc_lo, 0, v217
	v_cndmask_b32_e32 v217, 9, v217, vcc_lo
; %bb.172:
	s_and_not1_saveexec_b32 s3, s2
	s_cbranch_execz .LBB100_178
; %bb.173:
	v_cmp_gt_f64_e32 vcc_lo, 0, v[204:205]
	v_cmp_gt_f64_e64 s2, 0, v[206:207]
	v_xor_b32_e32 v213, 0x80000000, v205
	v_xor_b32_e32 v221, 0x80000000, v207
	s_delay_alu instid0(VALU_DEP_2) | instskip(NEXT) | instid1(VALU_DEP_2)
	v_cndmask_b32_e32 v222, v205, v213, vcc_lo
	v_cndmask_b32_e64 v224, v207, v221, s2
	v_cndmask_b32_e32 v221, v204, v204, vcc_lo
	v_cndmask_b32_e64 v223, v206, v206, s2
	s_mov_b32 s2, exec_lo
	s_delay_alu instid0(VALU_DEP_1)
	v_cmpx_ngt_f64_e32 v[221:222], v[223:224]
	s_xor_b32 s2, exec_lo, s2
	s_cbranch_execz .LBB100_175
; %bb.174:
	v_div_scale_f64 v[221:222], null, v[206:207], v[206:207], v[204:205]
	v_div_scale_f64 v[227:228], vcc_lo, v[204:205], v[206:207], v[204:205]
	s_delay_alu instid0(VALU_DEP_2) | instskip(SKIP_2) | instid1(VALU_DEP_1)
	v_rcp_f64_e32 v[223:224], v[221:222]
	s_waitcnt_depctr 0xfff
	v_fma_f64 v[225:226], -v[221:222], v[223:224], 1.0
	v_fma_f64 v[223:224], v[223:224], v[225:226], v[223:224]
	s_delay_alu instid0(VALU_DEP_1) | instskip(NEXT) | instid1(VALU_DEP_1)
	v_fma_f64 v[225:226], -v[221:222], v[223:224], 1.0
	v_fma_f64 v[223:224], v[223:224], v[225:226], v[223:224]
	s_delay_alu instid0(VALU_DEP_1) | instskip(NEXT) | instid1(VALU_DEP_1)
	v_mul_f64 v[225:226], v[227:228], v[223:224]
	v_fma_f64 v[221:222], -v[221:222], v[225:226], v[227:228]
	s_delay_alu instid0(VALU_DEP_1) | instskip(NEXT) | instid1(VALU_DEP_1)
	v_div_fmas_f64 v[221:222], v[221:222], v[223:224], v[225:226]
	v_div_fixup_f64 v[221:222], v[221:222], v[206:207], v[204:205]
	s_delay_alu instid0(VALU_DEP_1) | instskip(NEXT) | instid1(VALU_DEP_1)
	v_fma_f64 v[204:205], v[204:205], v[221:222], v[206:207]
	v_div_scale_f64 v[206:207], null, v[204:205], v[204:205], 1.0
	s_delay_alu instid0(VALU_DEP_1) | instskip(SKIP_2) | instid1(VALU_DEP_1)
	v_rcp_f64_e32 v[223:224], v[206:207]
	s_waitcnt_depctr 0xfff
	v_fma_f64 v[225:226], -v[206:207], v[223:224], 1.0
	v_fma_f64 v[223:224], v[223:224], v[225:226], v[223:224]
	s_delay_alu instid0(VALU_DEP_1) | instskip(NEXT) | instid1(VALU_DEP_1)
	v_fma_f64 v[225:226], -v[206:207], v[223:224], 1.0
	v_fma_f64 v[223:224], v[223:224], v[225:226], v[223:224]
	v_div_scale_f64 v[225:226], vcc_lo, 1.0, v[204:205], 1.0
	s_delay_alu instid0(VALU_DEP_1) | instskip(NEXT) | instid1(VALU_DEP_1)
	v_mul_f64 v[227:228], v[225:226], v[223:224]
	v_fma_f64 v[206:207], -v[206:207], v[227:228], v[225:226]
	s_delay_alu instid0(VALU_DEP_1) | instskip(NEXT) | instid1(VALU_DEP_1)
	v_div_fmas_f64 v[206:207], v[206:207], v[223:224], v[227:228]
	v_div_fixup_f64 v[206:207], v[206:207], v[204:205], 1.0
	s_delay_alu instid0(VALU_DEP_1)
	v_mul_f64 v[204:205], v[221:222], v[206:207]
	v_xor_b32_e32 v207, 0x80000000, v207
.LBB100_175:
	s_and_not1_saveexec_b32 s2, s2
	s_cbranch_execz .LBB100_177
; %bb.176:
	s_delay_alu instid0(VALU_DEP_1) | instskip(SKIP_1) | instid1(VALU_DEP_2)
	v_div_scale_f64 v[221:222], null, v[204:205], v[204:205], v[206:207]
	v_div_scale_f64 v[227:228], vcc_lo, v[206:207], v[204:205], v[206:207]
	v_rcp_f64_e32 v[223:224], v[221:222]
	s_waitcnt_depctr 0xfff
	v_fma_f64 v[225:226], -v[221:222], v[223:224], 1.0
	s_delay_alu instid0(VALU_DEP_1) | instskip(NEXT) | instid1(VALU_DEP_1)
	v_fma_f64 v[223:224], v[223:224], v[225:226], v[223:224]
	v_fma_f64 v[225:226], -v[221:222], v[223:224], 1.0
	s_delay_alu instid0(VALU_DEP_1) | instskip(NEXT) | instid1(VALU_DEP_1)
	v_fma_f64 v[223:224], v[223:224], v[225:226], v[223:224]
	v_mul_f64 v[225:226], v[227:228], v[223:224]
	s_delay_alu instid0(VALU_DEP_1) | instskip(NEXT) | instid1(VALU_DEP_1)
	v_fma_f64 v[221:222], -v[221:222], v[225:226], v[227:228]
	v_div_fmas_f64 v[221:222], v[221:222], v[223:224], v[225:226]
	s_delay_alu instid0(VALU_DEP_1) | instskip(NEXT) | instid1(VALU_DEP_1)
	v_div_fixup_f64 v[221:222], v[221:222], v[204:205], v[206:207]
	v_fma_f64 v[204:205], v[206:207], v[221:222], v[204:205]
	s_delay_alu instid0(VALU_DEP_1) | instskip(NEXT) | instid1(VALU_DEP_1)
	v_div_scale_f64 v[206:207], null, v[204:205], v[204:205], 1.0
	v_rcp_f64_e32 v[223:224], v[206:207]
	s_waitcnt_depctr 0xfff
	v_fma_f64 v[225:226], -v[206:207], v[223:224], 1.0
	s_delay_alu instid0(VALU_DEP_1) | instskip(NEXT) | instid1(VALU_DEP_1)
	v_fma_f64 v[223:224], v[223:224], v[225:226], v[223:224]
	v_fma_f64 v[225:226], -v[206:207], v[223:224], 1.0
	s_delay_alu instid0(VALU_DEP_1) | instskip(SKIP_1) | instid1(VALU_DEP_1)
	v_fma_f64 v[223:224], v[223:224], v[225:226], v[223:224]
	v_div_scale_f64 v[225:226], vcc_lo, 1.0, v[204:205], 1.0
	v_mul_f64 v[227:228], v[225:226], v[223:224]
	s_delay_alu instid0(VALU_DEP_1) | instskip(NEXT) | instid1(VALU_DEP_1)
	v_fma_f64 v[206:207], -v[206:207], v[227:228], v[225:226]
	v_div_fmas_f64 v[206:207], v[206:207], v[223:224], v[227:228]
	s_delay_alu instid0(VALU_DEP_1) | instskip(NEXT) | instid1(VALU_DEP_1)
	v_div_fixup_f64 v[204:205], v[206:207], v[204:205], 1.0
	v_mul_f64 v[206:207], v[221:222], -v[204:205]
.LBB100_177:
	s_or_b32 exec_lo, exec_lo, s2
.LBB100_178:
	s_delay_alu instid0(SALU_CYCLE_1) | instskip(NEXT) | instid1(SALU_CYCLE_1)
	s_or_b32 exec_lo, exec_lo, s3
	s_mov_b32 s2, exec_lo
	v_cmpx_ne_u32_e64 v220, v212
	s_xor_b32 s2, exec_lo, s2
	s_cbranch_execz .LBB100_184
; %bb.179:
	s_mov_b32 s3, exec_lo
	v_cmpx_eq_u32_e32 8, v220
	s_cbranch_execz .LBB100_183
; %bb.180:
	v_cmp_ne_u32_e32 vcc_lo, 8, v212
	s_xor_b32 s6, s4, -1
	s_delay_alu instid0(SALU_CYCLE_1) | instskip(NEXT) | instid1(SALU_CYCLE_1)
	s_and_b32 s7, s6, vcc_lo
	s_and_saveexec_b32 s6, s7
	s_cbranch_execz .LBB100_182
; %bb.181:
	v_ashrrev_i32_e32 v213, 31, v212
	s_delay_alu instid0(VALU_DEP_1) | instskip(NEXT) | instid1(VALU_DEP_1)
	v_lshlrev_b64 v[219:220], 2, v[212:213]
	v_add_co_u32 v219, vcc_lo, v210, v219
	s_delay_alu instid0(VALU_DEP_2)
	v_add_co_ci_u32_e32 v220, vcc_lo, v211, v220, vcc_lo
	s_clause 0x1
	flat_load_b32 v213, v[219:220]
	flat_load_b32 v221, v[210:211] offset:32
	s_waitcnt vmcnt(1) lgkmcnt(1)
	flat_store_b32 v[210:211], v213 offset:32
	s_waitcnt vmcnt(0) lgkmcnt(1)
	flat_store_b32 v[219:220], v221
.LBB100_182:
	s_or_b32 exec_lo, exec_lo, s6
	v_mov_b32_e32 v220, v212
	v_mov_b32_e32 v219, v212
.LBB100_183:
	s_or_b32 exec_lo, exec_lo, s3
.LBB100_184:
	s_and_not1_saveexec_b32 s2, s2
	s_cbranch_execz .LBB100_186
; %bb.185:
	v_mov_b32_e32 v220, 8
	ds_store_2addr_b64 v214, v[164:165], v[166:167] offset0:18 offset1:19
	ds_store_2addr_b64 v214, v[160:161], v[162:163] offset0:20 offset1:21
	;; [unrolled: 1-line block ×42, first 2 shown]
.LBB100_186:
	s_or_b32 exec_lo, exec_lo, s2
	s_delay_alu instid0(SALU_CYCLE_1)
	s_mov_b32 s2, exec_lo
	s_waitcnt lgkmcnt(0)
	s_waitcnt_vscnt null, 0x0
	s_barrier
	buffer_gl0_inv
	v_cmpx_lt_i32_e32 8, v220
	s_cbranch_execz .LBB100_188
; %bb.187:
	v_mul_f64 v[212:213], v[206:207], v[170:171]
	v_mul_f64 v[170:171], v[204:205], v[170:171]
	s_delay_alu instid0(VALU_DEP_2) | instskip(NEXT) | instid1(VALU_DEP_2)
	v_fma_f64 v[212:213], v[204:205], v[168:169], -v[212:213]
	v_fma_f64 v[170:171], v[206:207], v[168:169], v[170:171]
	ds_load_2addr_b64 v[204:207], v214 offset0:18 offset1:19
	s_waitcnt lgkmcnt(0)
	v_mul_f64 v[168:169], v[206:207], v[170:171]
	s_delay_alu instid0(VALU_DEP_1) | instskip(SKIP_1) | instid1(VALU_DEP_2)
	v_fma_f64 v[168:169], v[204:205], v[212:213], -v[168:169]
	v_mul_f64 v[204:205], v[204:205], v[170:171]
	v_add_f64 v[164:165], v[164:165], -v[168:169]
	s_delay_alu instid0(VALU_DEP_2) | instskip(NEXT) | instid1(VALU_DEP_1)
	v_fma_f64 v[204:205], v[206:207], v[212:213], v[204:205]
	v_add_f64 v[166:167], v[166:167], -v[204:205]
	ds_load_2addr_b64 v[204:207], v214 offset0:20 offset1:21
	s_waitcnt lgkmcnt(0)
	v_mul_f64 v[168:169], v[206:207], v[170:171]
	s_delay_alu instid0(VALU_DEP_1) | instskip(SKIP_1) | instid1(VALU_DEP_2)
	v_fma_f64 v[168:169], v[204:205], v[212:213], -v[168:169]
	v_mul_f64 v[204:205], v[204:205], v[170:171]
	v_add_f64 v[160:161], v[160:161], -v[168:169]
	s_delay_alu instid0(VALU_DEP_2) | instskip(NEXT) | instid1(VALU_DEP_1)
	v_fma_f64 v[204:205], v[206:207], v[212:213], v[204:205]
	v_add_f64 v[162:163], v[162:163], -v[204:205]
	;; [unrolled: 10-line block ×41, first 2 shown]
	ds_load_2addr_b64 v[204:207], v214 offset0:100 offset1:101
	s_waitcnt lgkmcnt(0)
	v_mul_f64 v[168:169], v[206:207], v[170:171]
	s_delay_alu instid0(VALU_DEP_1) | instskip(SKIP_1) | instid1(VALU_DEP_2)
	v_fma_f64 v[168:169], v[204:205], v[212:213], -v[168:169]
	v_mul_f64 v[204:205], v[204:205], v[170:171]
	v_add_f64 v[0:1], v[0:1], -v[168:169]
	s_delay_alu instid0(VALU_DEP_2) | instskip(SKIP_1) | instid1(VALU_DEP_2)
	v_fma_f64 v[204:205], v[206:207], v[212:213], v[204:205]
	v_dual_mov_b32 v168, v212 :: v_dual_mov_b32 v169, v213
	v_add_f64 v[2:3], v[2:3], -v[204:205]
.LBB100_188:
	s_or_b32 exec_lo, exec_lo, s2
	v_lshl_add_u32 v204, v220, 4, v214
	s_barrier
	buffer_gl0_inv
	v_mov_b32_e32 v212, 9
	ds_store_2addr_b64 v204, v[164:165], v[166:167] offset1:1
	s_waitcnt lgkmcnt(0)
	s_barrier
	buffer_gl0_inv
	ds_load_2addr_b64 v[204:207], v214 offset0:18 offset1:19
	s_cmp_lt_i32 s5, 11
	s_cbranch_scc1 .LBB100_191
; %bb.189:
	v_add3_u32 v213, v218, 0, 0xa0
	v_mov_b32_e32 v212, 9
	s_mov_b32 s6, 10
	s_set_inst_prefetch_distance 0x1
	.p2align	6
.LBB100_190:                            ; =>This Inner Loop Header: Depth=1
	ds_load_2addr_b64 v[221:224], v213 offset1:1
	s_waitcnt lgkmcnt(1)
	v_cmp_gt_f64_e32 vcc_lo, 0, v[204:205]
	v_xor_b32_e32 v225, 0x80000000, v205
	v_cmp_gt_f64_e64 s2, 0, v[206:207]
	v_xor_b32_e32 v227, 0x80000000, v207
	v_add_nc_u32_e32 v213, 16, v213
	s_waitcnt lgkmcnt(0)
	v_cmp_gt_f64_e64 s3, 0, v[221:222]
	v_mov_b32_e32 v229, v221
	v_dual_mov_b32 v231, v223 :: v_dual_cndmask_b32 v226, v205, v225
	v_xor_b32_e32 v225, 0x80000000, v222
	v_cndmask_b32_e64 v228, v207, v227, s2
	v_xor_b32_e32 v227, 0x80000000, v224
	s_delay_alu instid0(VALU_DEP_3) | instskip(SKIP_2) | instid1(VALU_DEP_2)
	v_cndmask_b32_e64 v230, v222, v225, s3
	v_cmp_gt_f64_e64 s3, 0, v[223:224]
	v_cndmask_b32_e32 v225, v204, v204, vcc_lo
	v_cndmask_b32_e64 v232, v224, v227, s3
	v_cndmask_b32_e64 v227, v206, v206, s2
	s_delay_alu instid0(VALU_DEP_2) | instskip(NEXT) | instid1(VALU_DEP_2)
	v_add_f64 v[229:230], v[229:230], v[231:232]
	v_add_f64 v[225:226], v[225:226], v[227:228]
	s_delay_alu instid0(VALU_DEP_1) | instskip(SKIP_4) | instid1(SALU_CYCLE_1)
	v_cmp_lt_f64_e32 vcc_lo, v[225:226], v[229:230]
	v_dual_cndmask_b32 v206, v206, v223 :: v_dual_cndmask_b32 v205, v205, v222
	v_dual_cndmask_b32 v204, v204, v221 :: v_dual_cndmask_b32 v207, v207, v224
	v_cndmask_b32_e64 v212, v212, s6, vcc_lo
	s_add_i32 s6, s6, 1
	s_cmp_lg_u32 s5, s6
	s_cbranch_scc1 .LBB100_190
.LBB100_191:
	s_set_inst_prefetch_distance 0x2
	s_waitcnt lgkmcnt(0)
	v_cmp_eq_f64_e32 vcc_lo, 0, v[204:205]
	v_cmp_eq_f64_e64 s2, 0, v[206:207]
	s_delay_alu instid0(VALU_DEP_1) | instskip(NEXT) | instid1(SALU_CYCLE_1)
	s_and_b32 s2, vcc_lo, s2
	s_and_saveexec_b32 s3, s2
	s_delay_alu instid0(SALU_CYCLE_1)
	s_xor_b32 s2, exec_lo, s3
; %bb.192:
	v_cmp_ne_u32_e32 vcc_lo, 0, v217
	v_cndmask_b32_e32 v217, 10, v217, vcc_lo
; %bb.193:
	s_and_not1_saveexec_b32 s3, s2
	s_cbranch_execz .LBB100_199
; %bb.194:
	v_cmp_gt_f64_e32 vcc_lo, 0, v[204:205]
	v_cmp_gt_f64_e64 s2, 0, v[206:207]
	v_xor_b32_e32 v213, 0x80000000, v205
	v_xor_b32_e32 v221, 0x80000000, v207
	s_delay_alu instid0(VALU_DEP_2) | instskip(NEXT) | instid1(VALU_DEP_2)
	v_cndmask_b32_e32 v222, v205, v213, vcc_lo
	v_cndmask_b32_e64 v224, v207, v221, s2
	v_cndmask_b32_e32 v221, v204, v204, vcc_lo
	v_cndmask_b32_e64 v223, v206, v206, s2
	s_mov_b32 s2, exec_lo
	s_delay_alu instid0(VALU_DEP_1)
	v_cmpx_ngt_f64_e32 v[221:222], v[223:224]
	s_xor_b32 s2, exec_lo, s2
	s_cbranch_execz .LBB100_196
; %bb.195:
	v_div_scale_f64 v[221:222], null, v[206:207], v[206:207], v[204:205]
	v_div_scale_f64 v[227:228], vcc_lo, v[204:205], v[206:207], v[204:205]
	s_delay_alu instid0(VALU_DEP_2) | instskip(SKIP_2) | instid1(VALU_DEP_1)
	v_rcp_f64_e32 v[223:224], v[221:222]
	s_waitcnt_depctr 0xfff
	v_fma_f64 v[225:226], -v[221:222], v[223:224], 1.0
	v_fma_f64 v[223:224], v[223:224], v[225:226], v[223:224]
	s_delay_alu instid0(VALU_DEP_1) | instskip(NEXT) | instid1(VALU_DEP_1)
	v_fma_f64 v[225:226], -v[221:222], v[223:224], 1.0
	v_fma_f64 v[223:224], v[223:224], v[225:226], v[223:224]
	s_delay_alu instid0(VALU_DEP_1) | instskip(NEXT) | instid1(VALU_DEP_1)
	v_mul_f64 v[225:226], v[227:228], v[223:224]
	v_fma_f64 v[221:222], -v[221:222], v[225:226], v[227:228]
	s_delay_alu instid0(VALU_DEP_1) | instskip(NEXT) | instid1(VALU_DEP_1)
	v_div_fmas_f64 v[221:222], v[221:222], v[223:224], v[225:226]
	v_div_fixup_f64 v[221:222], v[221:222], v[206:207], v[204:205]
	s_delay_alu instid0(VALU_DEP_1) | instskip(NEXT) | instid1(VALU_DEP_1)
	v_fma_f64 v[204:205], v[204:205], v[221:222], v[206:207]
	v_div_scale_f64 v[206:207], null, v[204:205], v[204:205], 1.0
	s_delay_alu instid0(VALU_DEP_1) | instskip(SKIP_2) | instid1(VALU_DEP_1)
	v_rcp_f64_e32 v[223:224], v[206:207]
	s_waitcnt_depctr 0xfff
	v_fma_f64 v[225:226], -v[206:207], v[223:224], 1.0
	v_fma_f64 v[223:224], v[223:224], v[225:226], v[223:224]
	s_delay_alu instid0(VALU_DEP_1) | instskip(NEXT) | instid1(VALU_DEP_1)
	v_fma_f64 v[225:226], -v[206:207], v[223:224], 1.0
	v_fma_f64 v[223:224], v[223:224], v[225:226], v[223:224]
	v_div_scale_f64 v[225:226], vcc_lo, 1.0, v[204:205], 1.0
	s_delay_alu instid0(VALU_DEP_1) | instskip(NEXT) | instid1(VALU_DEP_1)
	v_mul_f64 v[227:228], v[225:226], v[223:224]
	v_fma_f64 v[206:207], -v[206:207], v[227:228], v[225:226]
	s_delay_alu instid0(VALU_DEP_1) | instskip(NEXT) | instid1(VALU_DEP_1)
	v_div_fmas_f64 v[206:207], v[206:207], v[223:224], v[227:228]
	v_div_fixup_f64 v[206:207], v[206:207], v[204:205], 1.0
	s_delay_alu instid0(VALU_DEP_1)
	v_mul_f64 v[204:205], v[221:222], v[206:207]
	v_xor_b32_e32 v207, 0x80000000, v207
.LBB100_196:
	s_and_not1_saveexec_b32 s2, s2
	s_cbranch_execz .LBB100_198
; %bb.197:
	s_delay_alu instid0(VALU_DEP_1) | instskip(SKIP_1) | instid1(VALU_DEP_2)
	v_div_scale_f64 v[221:222], null, v[204:205], v[204:205], v[206:207]
	v_div_scale_f64 v[227:228], vcc_lo, v[206:207], v[204:205], v[206:207]
	v_rcp_f64_e32 v[223:224], v[221:222]
	s_waitcnt_depctr 0xfff
	v_fma_f64 v[225:226], -v[221:222], v[223:224], 1.0
	s_delay_alu instid0(VALU_DEP_1) | instskip(NEXT) | instid1(VALU_DEP_1)
	v_fma_f64 v[223:224], v[223:224], v[225:226], v[223:224]
	v_fma_f64 v[225:226], -v[221:222], v[223:224], 1.0
	s_delay_alu instid0(VALU_DEP_1) | instskip(NEXT) | instid1(VALU_DEP_1)
	v_fma_f64 v[223:224], v[223:224], v[225:226], v[223:224]
	v_mul_f64 v[225:226], v[227:228], v[223:224]
	s_delay_alu instid0(VALU_DEP_1) | instskip(NEXT) | instid1(VALU_DEP_1)
	v_fma_f64 v[221:222], -v[221:222], v[225:226], v[227:228]
	v_div_fmas_f64 v[221:222], v[221:222], v[223:224], v[225:226]
	s_delay_alu instid0(VALU_DEP_1) | instskip(NEXT) | instid1(VALU_DEP_1)
	v_div_fixup_f64 v[221:222], v[221:222], v[204:205], v[206:207]
	v_fma_f64 v[204:205], v[206:207], v[221:222], v[204:205]
	s_delay_alu instid0(VALU_DEP_1) | instskip(NEXT) | instid1(VALU_DEP_1)
	v_div_scale_f64 v[206:207], null, v[204:205], v[204:205], 1.0
	v_rcp_f64_e32 v[223:224], v[206:207]
	s_waitcnt_depctr 0xfff
	v_fma_f64 v[225:226], -v[206:207], v[223:224], 1.0
	s_delay_alu instid0(VALU_DEP_1) | instskip(NEXT) | instid1(VALU_DEP_1)
	v_fma_f64 v[223:224], v[223:224], v[225:226], v[223:224]
	v_fma_f64 v[225:226], -v[206:207], v[223:224], 1.0
	s_delay_alu instid0(VALU_DEP_1) | instskip(SKIP_1) | instid1(VALU_DEP_1)
	v_fma_f64 v[223:224], v[223:224], v[225:226], v[223:224]
	v_div_scale_f64 v[225:226], vcc_lo, 1.0, v[204:205], 1.0
	v_mul_f64 v[227:228], v[225:226], v[223:224]
	s_delay_alu instid0(VALU_DEP_1) | instskip(NEXT) | instid1(VALU_DEP_1)
	v_fma_f64 v[206:207], -v[206:207], v[227:228], v[225:226]
	v_div_fmas_f64 v[206:207], v[206:207], v[223:224], v[227:228]
	s_delay_alu instid0(VALU_DEP_1) | instskip(NEXT) | instid1(VALU_DEP_1)
	v_div_fixup_f64 v[204:205], v[206:207], v[204:205], 1.0
	v_mul_f64 v[206:207], v[221:222], -v[204:205]
.LBB100_198:
	s_or_b32 exec_lo, exec_lo, s2
.LBB100_199:
	s_delay_alu instid0(SALU_CYCLE_1) | instskip(NEXT) | instid1(SALU_CYCLE_1)
	s_or_b32 exec_lo, exec_lo, s3
	s_mov_b32 s2, exec_lo
	v_cmpx_ne_u32_e64 v220, v212
	s_xor_b32 s2, exec_lo, s2
	s_cbranch_execz .LBB100_205
; %bb.200:
	s_mov_b32 s3, exec_lo
	v_cmpx_eq_u32_e32 9, v220
	s_cbranch_execz .LBB100_204
; %bb.201:
	v_cmp_ne_u32_e32 vcc_lo, 9, v212
	s_xor_b32 s6, s4, -1
	s_delay_alu instid0(SALU_CYCLE_1) | instskip(NEXT) | instid1(SALU_CYCLE_1)
	s_and_b32 s7, s6, vcc_lo
	s_and_saveexec_b32 s6, s7
	s_cbranch_execz .LBB100_203
; %bb.202:
	v_ashrrev_i32_e32 v213, 31, v212
	s_delay_alu instid0(VALU_DEP_1) | instskip(NEXT) | instid1(VALU_DEP_1)
	v_lshlrev_b64 v[219:220], 2, v[212:213]
	v_add_co_u32 v219, vcc_lo, v210, v219
	s_delay_alu instid0(VALU_DEP_2)
	v_add_co_ci_u32_e32 v220, vcc_lo, v211, v220, vcc_lo
	s_clause 0x1
	flat_load_b32 v213, v[219:220]
	flat_load_b32 v221, v[210:211] offset:36
	s_waitcnt vmcnt(1) lgkmcnt(1)
	flat_store_b32 v[210:211], v213 offset:36
	s_waitcnt vmcnt(0) lgkmcnt(1)
	flat_store_b32 v[219:220], v221
.LBB100_203:
	s_or_b32 exec_lo, exec_lo, s6
	v_mov_b32_e32 v220, v212
	v_mov_b32_e32 v219, v212
.LBB100_204:
	s_or_b32 exec_lo, exec_lo, s3
.LBB100_205:
	s_and_not1_saveexec_b32 s2, s2
	s_cbranch_execz .LBB100_207
; %bb.206:
	v_mov_b32_e32 v220, 9
	ds_store_2addr_b64 v214, v[160:161], v[162:163] offset0:20 offset1:21
	ds_store_2addr_b64 v214, v[156:157], v[158:159] offset0:22 offset1:23
	;; [unrolled: 1-line block ×41, first 2 shown]
.LBB100_207:
	s_or_b32 exec_lo, exec_lo, s2
	s_delay_alu instid0(SALU_CYCLE_1)
	s_mov_b32 s2, exec_lo
	s_waitcnt lgkmcnt(0)
	s_waitcnt_vscnt null, 0x0
	s_barrier
	buffer_gl0_inv
	v_cmpx_lt_i32_e32 9, v220
	s_cbranch_execz .LBB100_209
; %bb.208:
	v_mul_f64 v[212:213], v[206:207], v[166:167]
	v_mul_f64 v[166:167], v[204:205], v[166:167]
	s_delay_alu instid0(VALU_DEP_2) | instskip(NEXT) | instid1(VALU_DEP_2)
	v_fma_f64 v[212:213], v[204:205], v[164:165], -v[212:213]
	v_fma_f64 v[166:167], v[206:207], v[164:165], v[166:167]
	ds_load_2addr_b64 v[204:207], v214 offset0:20 offset1:21
	s_waitcnt lgkmcnt(0)
	v_mul_f64 v[164:165], v[206:207], v[166:167]
	s_delay_alu instid0(VALU_DEP_1) | instskip(SKIP_1) | instid1(VALU_DEP_2)
	v_fma_f64 v[164:165], v[204:205], v[212:213], -v[164:165]
	v_mul_f64 v[204:205], v[204:205], v[166:167]
	v_add_f64 v[160:161], v[160:161], -v[164:165]
	s_delay_alu instid0(VALU_DEP_2) | instskip(NEXT) | instid1(VALU_DEP_1)
	v_fma_f64 v[204:205], v[206:207], v[212:213], v[204:205]
	v_add_f64 v[162:163], v[162:163], -v[204:205]
	ds_load_2addr_b64 v[204:207], v214 offset0:22 offset1:23
	s_waitcnt lgkmcnt(0)
	v_mul_f64 v[164:165], v[206:207], v[166:167]
	s_delay_alu instid0(VALU_DEP_1) | instskip(SKIP_1) | instid1(VALU_DEP_2)
	v_fma_f64 v[164:165], v[204:205], v[212:213], -v[164:165]
	v_mul_f64 v[204:205], v[204:205], v[166:167]
	v_add_f64 v[156:157], v[156:157], -v[164:165]
	s_delay_alu instid0(VALU_DEP_2) | instskip(NEXT) | instid1(VALU_DEP_1)
	v_fma_f64 v[204:205], v[206:207], v[212:213], v[204:205]
	v_add_f64 v[158:159], v[158:159], -v[204:205]
	;; [unrolled: 10-line block ×40, first 2 shown]
	ds_load_2addr_b64 v[204:207], v214 offset0:100 offset1:101
	s_waitcnt lgkmcnt(0)
	v_mul_f64 v[164:165], v[206:207], v[166:167]
	s_delay_alu instid0(VALU_DEP_1) | instskip(SKIP_1) | instid1(VALU_DEP_2)
	v_fma_f64 v[164:165], v[204:205], v[212:213], -v[164:165]
	v_mul_f64 v[204:205], v[204:205], v[166:167]
	v_add_f64 v[0:1], v[0:1], -v[164:165]
	s_delay_alu instid0(VALU_DEP_2) | instskip(SKIP_1) | instid1(VALU_DEP_2)
	v_fma_f64 v[204:205], v[206:207], v[212:213], v[204:205]
	v_dual_mov_b32 v164, v212 :: v_dual_mov_b32 v165, v213
	v_add_f64 v[2:3], v[2:3], -v[204:205]
.LBB100_209:
	s_or_b32 exec_lo, exec_lo, s2
	v_lshl_add_u32 v204, v220, 4, v214
	s_barrier
	buffer_gl0_inv
	v_mov_b32_e32 v212, 10
	ds_store_2addr_b64 v204, v[160:161], v[162:163] offset1:1
	s_waitcnt lgkmcnt(0)
	s_barrier
	buffer_gl0_inv
	ds_load_2addr_b64 v[204:207], v214 offset0:20 offset1:21
	s_cmp_lt_i32 s5, 12
	s_cbranch_scc1 .LBB100_212
; %bb.210:
	v_add3_u32 v213, v218, 0, 0xb0
	v_mov_b32_e32 v212, 10
	s_mov_b32 s6, 11
	s_set_inst_prefetch_distance 0x1
	.p2align	6
.LBB100_211:                            ; =>This Inner Loop Header: Depth=1
	ds_load_2addr_b64 v[221:224], v213 offset1:1
	s_waitcnt lgkmcnt(1)
	v_cmp_gt_f64_e32 vcc_lo, 0, v[204:205]
	v_xor_b32_e32 v225, 0x80000000, v205
	v_cmp_gt_f64_e64 s2, 0, v[206:207]
	v_xor_b32_e32 v227, 0x80000000, v207
	v_add_nc_u32_e32 v213, 16, v213
	s_waitcnt lgkmcnt(0)
	v_cmp_gt_f64_e64 s3, 0, v[221:222]
	v_mov_b32_e32 v229, v221
	v_dual_mov_b32 v231, v223 :: v_dual_cndmask_b32 v226, v205, v225
	v_xor_b32_e32 v225, 0x80000000, v222
	v_cndmask_b32_e64 v228, v207, v227, s2
	v_xor_b32_e32 v227, 0x80000000, v224
	s_delay_alu instid0(VALU_DEP_3) | instskip(SKIP_2) | instid1(VALU_DEP_2)
	v_cndmask_b32_e64 v230, v222, v225, s3
	v_cmp_gt_f64_e64 s3, 0, v[223:224]
	v_cndmask_b32_e32 v225, v204, v204, vcc_lo
	v_cndmask_b32_e64 v232, v224, v227, s3
	v_cndmask_b32_e64 v227, v206, v206, s2
	s_delay_alu instid0(VALU_DEP_2) | instskip(NEXT) | instid1(VALU_DEP_2)
	v_add_f64 v[229:230], v[229:230], v[231:232]
	v_add_f64 v[225:226], v[225:226], v[227:228]
	s_delay_alu instid0(VALU_DEP_1) | instskip(SKIP_4) | instid1(SALU_CYCLE_1)
	v_cmp_lt_f64_e32 vcc_lo, v[225:226], v[229:230]
	v_dual_cndmask_b32 v206, v206, v223 :: v_dual_cndmask_b32 v205, v205, v222
	v_dual_cndmask_b32 v204, v204, v221 :: v_dual_cndmask_b32 v207, v207, v224
	v_cndmask_b32_e64 v212, v212, s6, vcc_lo
	s_add_i32 s6, s6, 1
	s_cmp_lg_u32 s5, s6
	s_cbranch_scc1 .LBB100_211
.LBB100_212:
	s_set_inst_prefetch_distance 0x2
	s_waitcnt lgkmcnt(0)
	v_cmp_eq_f64_e32 vcc_lo, 0, v[204:205]
	v_cmp_eq_f64_e64 s2, 0, v[206:207]
	s_delay_alu instid0(VALU_DEP_1) | instskip(NEXT) | instid1(SALU_CYCLE_1)
	s_and_b32 s2, vcc_lo, s2
	s_and_saveexec_b32 s3, s2
	s_delay_alu instid0(SALU_CYCLE_1)
	s_xor_b32 s2, exec_lo, s3
; %bb.213:
	v_cmp_ne_u32_e32 vcc_lo, 0, v217
	v_cndmask_b32_e32 v217, 11, v217, vcc_lo
; %bb.214:
	s_and_not1_saveexec_b32 s3, s2
	s_cbranch_execz .LBB100_220
; %bb.215:
	v_cmp_gt_f64_e32 vcc_lo, 0, v[204:205]
	v_cmp_gt_f64_e64 s2, 0, v[206:207]
	v_xor_b32_e32 v213, 0x80000000, v205
	v_xor_b32_e32 v221, 0x80000000, v207
	s_delay_alu instid0(VALU_DEP_2) | instskip(NEXT) | instid1(VALU_DEP_2)
	v_cndmask_b32_e32 v222, v205, v213, vcc_lo
	v_cndmask_b32_e64 v224, v207, v221, s2
	v_cndmask_b32_e32 v221, v204, v204, vcc_lo
	v_cndmask_b32_e64 v223, v206, v206, s2
	s_mov_b32 s2, exec_lo
	s_delay_alu instid0(VALU_DEP_1)
	v_cmpx_ngt_f64_e32 v[221:222], v[223:224]
	s_xor_b32 s2, exec_lo, s2
	s_cbranch_execz .LBB100_217
; %bb.216:
	v_div_scale_f64 v[221:222], null, v[206:207], v[206:207], v[204:205]
	v_div_scale_f64 v[227:228], vcc_lo, v[204:205], v[206:207], v[204:205]
	s_delay_alu instid0(VALU_DEP_2) | instskip(SKIP_2) | instid1(VALU_DEP_1)
	v_rcp_f64_e32 v[223:224], v[221:222]
	s_waitcnt_depctr 0xfff
	v_fma_f64 v[225:226], -v[221:222], v[223:224], 1.0
	v_fma_f64 v[223:224], v[223:224], v[225:226], v[223:224]
	s_delay_alu instid0(VALU_DEP_1) | instskip(NEXT) | instid1(VALU_DEP_1)
	v_fma_f64 v[225:226], -v[221:222], v[223:224], 1.0
	v_fma_f64 v[223:224], v[223:224], v[225:226], v[223:224]
	s_delay_alu instid0(VALU_DEP_1) | instskip(NEXT) | instid1(VALU_DEP_1)
	v_mul_f64 v[225:226], v[227:228], v[223:224]
	v_fma_f64 v[221:222], -v[221:222], v[225:226], v[227:228]
	s_delay_alu instid0(VALU_DEP_1) | instskip(NEXT) | instid1(VALU_DEP_1)
	v_div_fmas_f64 v[221:222], v[221:222], v[223:224], v[225:226]
	v_div_fixup_f64 v[221:222], v[221:222], v[206:207], v[204:205]
	s_delay_alu instid0(VALU_DEP_1) | instskip(NEXT) | instid1(VALU_DEP_1)
	v_fma_f64 v[204:205], v[204:205], v[221:222], v[206:207]
	v_div_scale_f64 v[206:207], null, v[204:205], v[204:205], 1.0
	s_delay_alu instid0(VALU_DEP_1) | instskip(SKIP_2) | instid1(VALU_DEP_1)
	v_rcp_f64_e32 v[223:224], v[206:207]
	s_waitcnt_depctr 0xfff
	v_fma_f64 v[225:226], -v[206:207], v[223:224], 1.0
	v_fma_f64 v[223:224], v[223:224], v[225:226], v[223:224]
	s_delay_alu instid0(VALU_DEP_1) | instskip(NEXT) | instid1(VALU_DEP_1)
	v_fma_f64 v[225:226], -v[206:207], v[223:224], 1.0
	v_fma_f64 v[223:224], v[223:224], v[225:226], v[223:224]
	v_div_scale_f64 v[225:226], vcc_lo, 1.0, v[204:205], 1.0
	s_delay_alu instid0(VALU_DEP_1) | instskip(NEXT) | instid1(VALU_DEP_1)
	v_mul_f64 v[227:228], v[225:226], v[223:224]
	v_fma_f64 v[206:207], -v[206:207], v[227:228], v[225:226]
	s_delay_alu instid0(VALU_DEP_1) | instskip(NEXT) | instid1(VALU_DEP_1)
	v_div_fmas_f64 v[206:207], v[206:207], v[223:224], v[227:228]
	v_div_fixup_f64 v[206:207], v[206:207], v[204:205], 1.0
	s_delay_alu instid0(VALU_DEP_1)
	v_mul_f64 v[204:205], v[221:222], v[206:207]
	v_xor_b32_e32 v207, 0x80000000, v207
.LBB100_217:
	s_and_not1_saveexec_b32 s2, s2
	s_cbranch_execz .LBB100_219
; %bb.218:
	s_delay_alu instid0(VALU_DEP_1) | instskip(SKIP_1) | instid1(VALU_DEP_2)
	v_div_scale_f64 v[221:222], null, v[204:205], v[204:205], v[206:207]
	v_div_scale_f64 v[227:228], vcc_lo, v[206:207], v[204:205], v[206:207]
	v_rcp_f64_e32 v[223:224], v[221:222]
	s_waitcnt_depctr 0xfff
	v_fma_f64 v[225:226], -v[221:222], v[223:224], 1.0
	s_delay_alu instid0(VALU_DEP_1) | instskip(NEXT) | instid1(VALU_DEP_1)
	v_fma_f64 v[223:224], v[223:224], v[225:226], v[223:224]
	v_fma_f64 v[225:226], -v[221:222], v[223:224], 1.0
	s_delay_alu instid0(VALU_DEP_1) | instskip(NEXT) | instid1(VALU_DEP_1)
	v_fma_f64 v[223:224], v[223:224], v[225:226], v[223:224]
	v_mul_f64 v[225:226], v[227:228], v[223:224]
	s_delay_alu instid0(VALU_DEP_1) | instskip(NEXT) | instid1(VALU_DEP_1)
	v_fma_f64 v[221:222], -v[221:222], v[225:226], v[227:228]
	v_div_fmas_f64 v[221:222], v[221:222], v[223:224], v[225:226]
	s_delay_alu instid0(VALU_DEP_1) | instskip(NEXT) | instid1(VALU_DEP_1)
	v_div_fixup_f64 v[221:222], v[221:222], v[204:205], v[206:207]
	v_fma_f64 v[204:205], v[206:207], v[221:222], v[204:205]
	s_delay_alu instid0(VALU_DEP_1) | instskip(NEXT) | instid1(VALU_DEP_1)
	v_div_scale_f64 v[206:207], null, v[204:205], v[204:205], 1.0
	v_rcp_f64_e32 v[223:224], v[206:207]
	s_waitcnt_depctr 0xfff
	v_fma_f64 v[225:226], -v[206:207], v[223:224], 1.0
	s_delay_alu instid0(VALU_DEP_1) | instskip(NEXT) | instid1(VALU_DEP_1)
	v_fma_f64 v[223:224], v[223:224], v[225:226], v[223:224]
	v_fma_f64 v[225:226], -v[206:207], v[223:224], 1.0
	s_delay_alu instid0(VALU_DEP_1) | instskip(SKIP_1) | instid1(VALU_DEP_1)
	v_fma_f64 v[223:224], v[223:224], v[225:226], v[223:224]
	v_div_scale_f64 v[225:226], vcc_lo, 1.0, v[204:205], 1.0
	v_mul_f64 v[227:228], v[225:226], v[223:224]
	s_delay_alu instid0(VALU_DEP_1) | instskip(NEXT) | instid1(VALU_DEP_1)
	v_fma_f64 v[206:207], -v[206:207], v[227:228], v[225:226]
	v_div_fmas_f64 v[206:207], v[206:207], v[223:224], v[227:228]
	s_delay_alu instid0(VALU_DEP_1) | instskip(NEXT) | instid1(VALU_DEP_1)
	v_div_fixup_f64 v[204:205], v[206:207], v[204:205], 1.0
	v_mul_f64 v[206:207], v[221:222], -v[204:205]
.LBB100_219:
	s_or_b32 exec_lo, exec_lo, s2
.LBB100_220:
	s_delay_alu instid0(SALU_CYCLE_1) | instskip(NEXT) | instid1(SALU_CYCLE_1)
	s_or_b32 exec_lo, exec_lo, s3
	s_mov_b32 s2, exec_lo
	v_cmpx_ne_u32_e64 v220, v212
	s_xor_b32 s2, exec_lo, s2
	s_cbranch_execz .LBB100_226
; %bb.221:
	s_mov_b32 s3, exec_lo
	v_cmpx_eq_u32_e32 10, v220
	s_cbranch_execz .LBB100_225
; %bb.222:
	v_cmp_ne_u32_e32 vcc_lo, 10, v212
	s_xor_b32 s6, s4, -1
	s_delay_alu instid0(SALU_CYCLE_1) | instskip(NEXT) | instid1(SALU_CYCLE_1)
	s_and_b32 s7, s6, vcc_lo
	s_and_saveexec_b32 s6, s7
	s_cbranch_execz .LBB100_224
; %bb.223:
	v_ashrrev_i32_e32 v213, 31, v212
	s_delay_alu instid0(VALU_DEP_1) | instskip(NEXT) | instid1(VALU_DEP_1)
	v_lshlrev_b64 v[219:220], 2, v[212:213]
	v_add_co_u32 v219, vcc_lo, v210, v219
	s_delay_alu instid0(VALU_DEP_2)
	v_add_co_ci_u32_e32 v220, vcc_lo, v211, v220, vcc_lo
	s_clause 0x1
	flat_load_b32 v213, v[219:220]
	flat_load_b32 v221, v[210:211] offset:40
	s_waitcnt vmcnt(1) lgkmcnt(1)
	flat_store_b32 v[210:211], v213 offset:40
	s_waitcnt vmcnt(0) lgkmcnt(1)
	flat_store_b32 v[219:220], v221
.LBB100_224:
	s_or_b32 exec_lo, exec_lo, s6
	v_mov_b32_e32 v220, v212
	v_mov_b32_e32 v219, v212
.LBB100_225:
	s_or_b32 exec_lo, exec_lo, s3
.LBB100_226:
	s_and_not1_saveexec_b32 s2, s2
	s_cbranch_execz .LBB100_228
; %bb.227:
	v_mov_b32_e32 v220, 10
	ds_store_2addr_b64 v214, v[156:157], v[158:159] offset0:22 offset1:23
	ds_store_2addr_b64 v214, v[152:153], v[154:155] offset0:24 offset1:25
	;; [unrolled: 1-line block ×40, first 2 shown]
.LBB100_228:
	s_or_b32 exec_lo, exec_lo, s2
	s_delay_alu instid0(SALU_CYCLE_1)
	s_mov_b32 s2, exec_lo
	s_waitcnt lgkmcnt(0)
	s_waitcnt_vscnt null, 0x0
	s_barrier
	buffer_gl0_inv
	v_cmpx_lt_i32_e32 10, v220
	s_cbranch_execz .LBB100_230
; %bb.229:
	v_mul_f64 v[212:213], v[206:207], v[162:163]
	v_mul_f64 v[162:163], v[204:205], v[162:163]
	s_delay_alu instid0(VALU_DEP_2) | instskip(NEXT) | instid1(VALU_DEP_2)
	v_fma_f64 v[212:213], v[204:205], v[160:161], -v[212:213]
	v_fma_f64 v[162:163], v[206:207], v[160:161], v[162:163]
	ds_load_2addr_b64 v[204:207], v214 offset0:22 offset1:23
	s_waitcnt lgkmcnt(0)
	v_mul_f64 v[160:161], v[206:207], v[162:163]
	s_delay_alu instid0(VALU_DEP_1) | instskip(SKIP_1) | instid1(VALU_DEP_2)
	v_fma_f64 v[160:161], v[204:205], v[212:213], -v[160:161]
	v_mul_f64 v[204:205], v[204:205], v[162:163]
	v_add_f64 v[156:157], v[156:157], -v[160:161]
	s_delay_alu instid0(VALU_DEP_2) | instskip(NEXT) | instid1(VALU_DEP_1)
	v_fma_f64 v[204:205], v[206:207], v[212:213], v[204:205]
	v_add_f64 v[158:159], v[158:159], -v[204:205]
	ds_load_2addr_b64 v[204:207], v214 offset0:24 offset1:25
	s_waitcnt lgkmcnt(0)
	v_mul_f64 v[160:161], v[206:207], v[162:163]
	s_delay_alu instid0(VALU_DEP_1) | instskip(SKIP_1) | instid1(VALU_DEP_2)
	v_fma_f64 v[160:161], v[204:205], v[212:213], -v[160:161]
	v_mul_f64 v[204:205], v[204:205], v[162:163]
	v_add_f64 v[152:153], v[152:153], -v[160:161]
	s_delay_alu instid0(VALU_DEP_2) | instskip(NEXT) | instid1(VALU_DEP_1)
	v_fma_f64 v[204:205], v[206:207], v[212:213], v[204:205]
	v_add_f64 v[154:155], v[154:155], -v[204:205]
	;; [unrolled: 10-line block ×39, first 2 shown]
	ds_load_2addr_b64 v[204:207], v214 offset0:100 offset1:101
	s_waitcnt lgkmcnt(0)
	v_mul_f64 v[160:161], v[206:207], v[162:163]
	s_delay_alu instid0(VALU_DEP_1) | instskip(SKIP_1) | instid1(VALU_DEP_2)
	v_fma_f64 v[160:161], v[204:205], v[212:213], -v[160:161]
	v_mul_f64 v[204:205], v[204:205], v[162:163]
	v_add_f64 v[0:1], v[0:1], -v[160:161]
	s_delay_alu instid0(VALU_DEP_2) | instskip(SKIP_1) | instid1(VALU_DEP_2)
	v_fma_f64 v[204:205], v[206:207], v[212:213], v[204:205]
	v_dual_mov_b32 v160, v212 :: v_dual_mov_b32 v161, v213
	v_add_f64 v[2:3], v[2:3], -v[204:205]
.LBB100_230:
	s_or_b32 exec_lo, exec_lo, s2
	v_lshl_add_u32 v204, v220, 4, v214
	s_barrier
	buffer_gl0_inv
	v_mov_b32_e32 v212, 11
	ds_store_2addr_b64 v204, v[156:157], v[158:159] offset1:1
	s_waitcnt lgkmcnt(0)
	s_barrier
	buffer_gl0_inv
	ds_load_2addr_b64 v[204:207], v214 offset0:22 offset1:23
	s_cmp_lt_i32 s5, 13
	s_cbranch_scc1 .LBB100_233
; %bb.231:
	v_add3_u32 v213, v218, 0, 0xc0
	v_mov_b32_e32 v212, 11
	s_mov_b32 s6, 12
	s_set_inst_prefetch_distance 0x1
	.p2align	6
.LBB100_232:                            ; =>This Inner Loop Header: Depth=1
	ds_load_2addr_b64 v[221:224], v213 offset1:1
	s_waitcnt lgkmcnt(1)
	v_cmp_gt_f64_e32 vcc_lo, 0, v[204:205]
	v_xor_b32_e32 v225, 0x80000000, v205
	v_cmp_gt_f64_e64 s2, 0, v[206:207]
	v_xor_b32_e32 v227, 0x80000000, v207
	v_add_nc_u32_e32 v213, 16, v213
	s_waitcnt lgkmcnt(0)
	v_cmp_gt_f64_e64 s3, 0, v[221:222]
	v_mov_b32_e32 v229, v221
	v_dual_mov_b32 v231, v223 :: v_dual_cndmask_b32 v226, v205, v225
	v_xor_b32_e32 v225, 0x80000000, v222
	v_cndmask_b32_e64 v228, v207, v227, s2
	v_xor_b32_e32 v227, 0x80000000, v224
	s_delay_alu instid0(VALU_DEP_3) | instskip(SKIP_2) | instid1(VALU_DEP_2)
	v_cndmask_b32_e64 v230, v222, v225, s3
	v_cmp_gt_f64_e64 s3, 0, v[223:224]
	v_cndmask_b32_e32 v225, v204, v204, vcc_lo
	v_cndmask_b32_e64 v232, v224, v227, s3
	v_cndmask_b32_e64 v227, v206, v206, s2
	s_delay_alu instid0(VALU_DEP_2) | instskip(NEXT) | instid1(VALU_DEP_2)
	v_add_f64 v[229:230], v[229:230], v[231:232]
	v_add_f64 v[225:226], v[225:226], v[227:228]
	s_delay_alu instid0(VALU_DEP_1) | instskip(SKIP_4) | instid1(SALU_CYCLE_1)
	v_cmp_lt_f64_e32 vcc_lo, v[225:226], v[229:230]
	v_dual_cndmask_b32 v206, v206, v223 :: v_dual_cndmask_b32 v205, v205, v222
	v_dual_cndmask_b32 v204, v204, v221 :: v_dual_cndmask_b32 v207, v207, v224
	v_cndmask_b32_e64 v212, v212, s6, vcc_lo
	s_add_i32 s6, s6, 1
	s_cmp_lg_u32 s5, s6
	s_cbranch_scc1 .LBB100_232
.LBB100_233:
	s_set_inst_prefetch_distance 0x2
	s_waitcnt lgkmcnt(0)
	v_cmp_eq_f64_e32 vcc_lo, 0, v[204:205]
	v_cmp_eq_f64_e64 s2, 0, v[206:207]
	s_delay_alu instid0(VALU_DEP_1) | instskip(NEXT) | instid1(SALU_CYCLE_1)
	s_and_b32 s2, vcc_lo, s2
	s_and_saveexec_b32 s3, s2
	s_delay_alu instid0(SALU_CYCLE_1)
	s_xor_b32 s2, exec_lo, s3
; %bb.234:
	v_cmp_ne_u32_e32 vcc_lo, 0, v217
	v_cndmask_b32_e32 v217, 12, v217, vcc_lo
; %bb.235:
	s_and_not1_saveexec_b32 s3, s2
	s_cbranch_execz .LBB100_241
; %bb.236:
	v_cmp_gt_f64_e32 vcc_lo, 0, v[204:205]
	v_cmp_gt_f64_e64 s2, 0, v[206:207]
	v_xor_b32_e32 v213, 0x80000000, v205
	v_xor_b32_e32 v221, 0x80000000, v207
	s_delay_alu instid0(VALU_DEP_2) | instskip(NEXT) | instid1(VALU_DEP_2)
	v_cndmask_b32_e32 v222, v205, v213, vcc_lo
	v_cndmask_b32_e64 v224, v207, v221, s2
	v_cndmask_b32_e32 v221, v204, v204, vcc_lo
	v_cndmask_b32_e64 v223, v206, v206, s2
	s_mov_b32 s2, exec_lo
	s_delay_alu instid0(VALU_DEP_1)
	v_cmpx_ngt_f64_e32 v[221:222], v[223:224]
	s_xor_b32 s2, exec_lo, s2
	s_cbranch_execz .LBB100_238
; %bb.237:
	v_div_scale_f64 v[221:222], null, v[206:207], v[206:207], v[204:205]
	v_div_scale_f64 v[227:228], vcc_lo, v[204:205], v[206:207], v[204:205]
	s_delay_alu instid0(VALU_DEP_2) | instskip(SKIP_2) | instid1(VALU_DEP_1)
	v_rcp_f64_e32 v[223:224], v[221:222]
	s_waitcnt_depctr 0xfff
	v_fma_f64 v[225:226], -v[221:222], v[223:224], 1.0
	v_fma_f64 v[223:224], v[223:224], v[225:226], v[223:224]
	s_delay_alu instid0(VALU_DEP_1) | instskip(NEXT) | instid1(VALU_DEP_1)
	v_fma_f64 v[225:226], -v[221:222], v[223:224], 1.0
	v_fma_f64 v[223:224], v[223:224], v[225:226], v[223:224]
	s_delay_alu instid0(VALU_DEP_1) | instskip(NEXT) | instid1(VALU_DEP_1)
	v_mul_f64 v[225:226], v[227:228], v[223:224]
	v_fma_f64 v[221:222], -v[221:222], v[225:226], v[227:228]
	s_delay_alu instid0(VALU_DEP_1) | instskip(NEXT) | instid1(VALU_DEP_1)
	v_div_fmas_f64 v[221:222], v[221:222], v[223:224], v[225:226]
	v_div_fixup_f64 v[221:222], v[221:222], v[206:207], v[204:205]
	s_delay_alu instid0(VALU_DEP_1) | instskip(NEXT) | instid1(VALU_DEP_1)
	v_fma_f64 v[204:205], v[204:205], v[221:222], v[206:207]
	v_div_scale_f64 v[206:207], null, v[204:205], v[204:205], 1.0
	s_delay_alu instid0(VALU_DEP_1) | instskip(SKIP_2) | instid1(VALU_DEP_1)
	v_rcp_f64_e32 v[223:224], v[206:207]
	s_waitcnt_depctr 0xfff
	v_fma_f64 v[225:226], -v[206:207], v[223:224], 1.0
	v_fma_f64 v[223:224], v[223:224], v[225:226], v[223:224]
	s_delay_alu instid0(VALU_DEP_1) | instskip(NEXT) | instid1(VALU_DEP_1)
	v_fma_f64 v[225:226], -v[206:207], v[223:224], 1.0
	v_fma_f64 v[223:224], v[223:224], v[225:226], v[223:224]
	v_div_scale_f64 v[225:226], vcc_lo, 1.0, v[204:205], 1.0
	s_delay_alu instid0(VALU_DEP_1) | instskip(NEXT) | instid1(VALU_DEP_1)
	v_mul_f64 v[227:228], v[225:226], v[223:224]
	v_fma_f64 v[206:207], -v[206:207], v[227:228], v[225:226]
	s_delay_alu instid0(VALU_DEP_1) | instskip(NEXT) | instid1(VALU_DEP_1)
	v_div_fmas_f64 v[206:207], v[206:207], v[223:224], v[227:228]
	v_div_fixup_f64 v[206:207], v[206:207], v[204:205], 1.0
	s_delay_alu instid0(VALU_DEP_1)
	v_mul_f64 v[204:205], v[221:222], v[206:207]
	v_xor_b32_e32 v207, 0x80000000, v207
.LBB100_238:
	s_and_not1_saveexec_b32 s2, s2
	s_cbranch_execz .LBB100_240
; %bb.239:
	s_delay_alu instid0(VALU_DEP_1) | instskip(SKIP_1) | instid1(VALU_DEP_2)
	v_div_scale_f64 v[221:222], null, v[204:205], v[204:205], v[206:207]
	v_div_scale_f64 v[227:228], vcc_lo, v[206:207], v[204:205], v[206:207]
	v_rcp_f64_e32 v[223:224], v[221:222]
	s_waitcnt_depctr 0xfff
	v_fma_f64 v[225:226], -v[221:222], v[223:224], 1.0
	s_delay_alu instid0(VALU_DEP_1) | instskip(NEXT) | instid1(VALU_DEP_1)
	v_fma_f64 v[223:224], v[223:224], v[225:226], v[223:224]
	v_fma_f64 v[225:226], -v[221:222], v[223:224], 1.0
	s_delay_alu instid0(VALU_DEP_1) | instskip(NEXT) | instid1(VALU_DEP_1)
	v_fma_f64 v[223:224], v[223:224], v[225:226], v[223:224]
	v_mul_f64 v[225:226], v[227:228], v[223:224]
	s_delay_alu instid0(VALU_DEP_1) | instskip(NEXT) | instid1(VALU_DEP_1)
	v_fma_f64 v[221:222], -v[221:222], v[225:226], v[227:228]
	v_div_fmas_f64 v[221:222], v[221:222], v[223:224], v[225:226]
	s_delay_alu instid0(VALU_DEP_1) | instskip(NEXT) | instid1(VALU_DEP_1)
	v_div_fixup_f64 v[221:222], v[221:222], v[204:205], v[206:207]
	v_fma_f64 v[204:205], v[206:207], v[221:222], v[204:205]
	s_delay_alu instid0(VALU_DEP_1) | instskip(NEXT) | instid1(VALU_DEP_1)
	v_div_scale_f64 v[206:207], null, v[204:205], v[204:205], 1.0
	v_rcp_f64_e32 v[223:224], v[206:207]
	s_waitcnt_depctr 0xfff
	v_fma_f64 v[225:226], -v[206:207], v[223:224], 1.0
	s_delay_alu instid0(VALU_DEP_1) | instskip(NEXT) | instid1(VALU_DEP_1)
	v_fma_f64 v[223:224], v[223:224], v[225:226], v[223:224]
	v_fma_f64 v[225:226], -v[206:207], v[223:224], 1.0
	s_delay_alu instid0(VALU_DEP_1) | instskip(SKIP_1) | instid1(VALU_DEP_1)
	v_fma_f64 v[223:224], v[223:224], v[225:226], v[223:224]
	v_div_scale_f64 v[225:226], vcc_lo, 1.0, v[204:205], 1.0
	v_mul_f64 v[227:228], v[225:226], v[223:224]
	s_delay_alu instid0(VALU_DEP_1) | instskip(NEXT) | instid1(VALU_DEP_1)
	v_fma_f64 v[206:207], -v[206:207], v[227:228], v[225:226]
	v_div_fmas_f64 v[206:207], v[206:207], v[223:224], v[227:228]
	s_delay_alu instid0(VALU_DEP_1) | instskip(NEXT) | instid1(VALU_DEP_1)
	v_div_fixup_f64 v[204:205], v[206:207], v[204:205], 1.0
	v_mul_f64 v[206:207], v[221:222], -v[204:205]
.LBB100_240:
	s_or_b32 exec_lo, exec_lo, s2
.LBB100_241:
	s_delay_alu instid0(SALU_CYCLE_1) | instskip(NEXT) | instid1(SALU_CYCLE_1)
	s_or_b32 exec_lo, exec_lo, s3
	s_mov_b32 s2, exec_lo
	v_cmpx_ne_u32_e64 v220, v212
	s_xor_b32 s2, exec_lo, s2
	s_cbranch_execz .LBB100_247
; %bb.242:
	s_mov_b32 s3, exec_lo
	v_cmpx_eq_u32_e32 11, v220
	s_cbranch_execz .LBB100_246
; %bb.243:
	v_cmp_ne_u32_e32 vcc_lo, 11, v212
	s_xor_b32 s6, s4, -1
	s_delay_alu instid0(SALU_CYCLE_1) | instskip(NEXT) | instid1(SALU_CYCLE_1)
	s_and_b32 s7, s6, vcc_lo
	s_and_saveexec_b32 s6, s7
	s_cbranch_execz .LBB100_245
; %bb.244:
	v_ashrrev_i32_e32 v213, 31, v212
	s_delay_alu instid0(VALU_DEP_1) | instskip(NEXT) | instid1(VALU_DEP_1)
	v_lshlrev_b64 v[219:220], 2, v[212:213]
	v_add_co_u32 v219, vcc_lo, v210, v219
	s_delay_alu instid0(VALU_DEP_2)
	v_add_co_ci_u32_e32 v220, vcc_lo, v211, v220, vcc_lo
	s_clause 0x1
	flat_load_b32 v213, v[219:220]
	flat_load_b32 v221, v[210:211] offset:44
	s_waitcnt vmcnt(1) lgkmcnt(1)
	flat_store_b32 v[210:211], v213 offset:44
	s_waitcnt vmcnt(0) lgkmcnt(1)
	flat_store_b32 v[219:220], v221
.LBB100_245:
	s_or_b32 exec_lo, exec_lo, s6
	v_mov_b32_e32 v220, v212
	v_mov_b32_e32 v219, v212
.LBB100_246:
	s_or_b32 exec_lo, exec_lo, s3
.LBB100_247:
	s_and_not1_saveexec_b32 s2, s2
	s_cbranch_execz .LBB100_249
; %bb.248:
	v_mov_b32_e32 v220, 11
	ds_store_2addr_b64 v214, v[152:153], v[154:155] offset0:24 offset1:25
	ds_store_2addr_b64 v214, v[148:149], v[150:151] offset0:26 offset1:27
	;; [unrolled: 1-line block ×39, first 2 shown]
.LBB100_249:
	s_or_b32 exec_lo, exec_lo, s2
	s_delay_alu instid0(SALU_CYCLE_1)
	s_mov_b32 s2, exec_lo
	s_waitcnt lgkmcnt(0)
	s_waitcnt_vscnt null, 0x0
	s_barrier
	buffer_gl0_inv
	v_cmpx_lt_i32_e32 11, v220
	s_cbranch_execz .LBB100_251
; %bb.250:
	v_mul_f64 v[212:213], v[206:207], v[158:159]
	v_mul_f64 v[158:159], v[204:205], v[158:159]
	s_delay_alu instid0(VALU_DEP_2) | instskip(NEXT) | instid1(VALU_DEP_2)
	v_fma_f64 v[212:213], v[204:205], v[156:157], -v[212:213]
	v_fma_f64 v[158:159], v[206:207], v[156:157], v[158:159]
	ds_load_2addr_b64 v[204:207], v214 offset0:24 offset1:25
	s_waitcnt lgkmcnt(0)
	v_mul_f64 v[156:157], v[206:207], v[158:159]
	s_delay_alu instid0(VALU_DEP_1) | instskip(SKIP_1) | instid1(VALU_DEP_2)
	v_fma_f64 v[156:157], v[204:205], v[212:213], -v[156:157]
	v_mul_f64 v[204:205], v[204:205], v[158:159]
	v_add_f64 v[152:153], v[152:153], -v[156:157]
	s_delay_alu instid0(VALU_DEP_2) | instskip(NEXT) | instid1(VALU_DEP_1)
	v_fma_f64 v[204:205], v[206:207], v[212:213], v[204:205]
	v_add_f64 v[154:155], v[154:155], -v[204:205]
	ds_load_2addr_b64 v[204:207], v214 offset0:26 offset1:27
	s_waitcnt lgkmcnt(0)
	v_mul_f64 v[156:157], v[206:207], v[158:159]
	s_delay_alu instid0(VALU_DEP_1) | instskip(SKIP_1) | instid1(VALU_DEP_2)
	v_fma_f64 v[156:157], v[204:205], v[212:213], -v[156:157]
	v_mul_f64 v[204:205], v[204:205], v[158:159]
	v_add_f64 v[148:149], v[148:149], -v[156:157]
	s_delay_alu instid0(VALU_DEP_2) | instskip(NEXT) | instid1(VALU_DEP_1)
	v_fma_f64 v[204:205], v[206:207], v[212:213], v[204:205]
	v_add_f64 v[150:151], v[150:151], -v[204:205]
	;; [unrolled: 10-line block ×38, first 2 shown]
	ds_load_2addr_b64 v[204:207], v214 offset0:100 offset1:101
	s_waitcnt lgkmcnt(0)
	v_mul_f64 v[156:157], v[206:207], v[158:159]
	s_delay_alu instid0(VALU_DEP_1) | instskip(SKIP_1) | instid1(VALU_DEP_2)
	v_fma_f64 v[156:157], v[204:205], v[212:213], -v[156:157]
	v_mul_f64 v[204:205], v[204:205], v[158:159]
	v_add_f64 v[0:1], v[0:1], -v[156:157]
	s_delay_alu instid0(VALU_DEP_2) | instskip(SKIP_1) | instid1(VALU_DEP_2)
	v_fma_f64 v[204:205], v[206:207], v[212:213], v[204:205]
	v_dual_mov_b32 v156, v212 :: v_dual_mov_b32 v157, v213
	v_add_f64 v[2:3], v[2:3], -v[204:205]
.LBB100_251:
	s_or_b32 exec_lo, exec_lo, s2
	v_lshl_add_u32 v204, v220, 4, v214
	s_barrier
	buffer_gl0_inv
	v_mov_b32_e32 v212, 12
	ds_store_2addr_b64 v204, v[152:153], v[154:155] offset1:1
	s_waitcnt lgkmcnt(0)
	s_barrier
	buffer_gl0_inv
	ds_load_2addr_b64 v[204:207], v214 offset0:24 offset1:25
	s_cmp_lt_i32 s5, 14
	s_cbranch_scc1 .LBB100_254
; %bb.252:
	v_add3_u32 v213, v218, 0, 0xd0
	v_mov_b32_e32 v212, 12
	s_mov_b32 s6, 13
	s_set_inst_prefetch_distance 0x1
	.p2align	6
.LBB100_253:                            ; =>This Inner Loop Header: Depth=1
	ds_load_2addr_b64 v[221:224], v213 offset1:1
	s_waitcnt lgkmcnt(1)
	v_cmp_gt_f64_e32 vcc_lo, 0, v[204:205]
	v_xor_b32_e32 v225, 0x80000000, v205
	v_cmp_gt_f64_e64 s2, 0, v[206:207]
	v_xor_b32_e32 v227, 0x80000000, v207
	v_add_nc_u32_e32 v213, 16, v213
	s_waitcnt lgkmcnt(0)
	v_cmp_gt_f64_e64 s3, 0, v[221:222]
	v_mov_b32_e32 v229, v221
	v_dual_mov_b32 v231, v223 :: v_dual_cndmask_b32 v226, v205, v225
	v_xor_b32_e32 v225, 0x80000000, v222
	v_cndmask_b32_e64 v228, v207, v227, s2
	v_xor_b32_e32 v227, 0x80000000, v224
	s_delay_alu instid0(VALU_DEP_3) | instskip(SKIP_2) | instid1(VALU_DEP_2)
	v_cndmask_b32_e64 v230, v222, v225, s3
	v_cmp_gt_f64_e64 s3, 0, v[223:224]
	v_cndmask_b32_e32 v225, v204, v204, vcc_lo
	v_cndmask_b32_e64 v232, v224, v227, s3
	v_cndmask_b32_e64 v227, v206, v206, s2
	s_delay_alu instid0(VALU_DEP_2) | instskip(NEXT) | instid1(VALU_DEP_2)
	v_add_f64 v[229:230], v[229:230], v[231:232]
	v_add_f64 v[225:226], v[225:226], v[227:228]
	s_delay_alu instid0(VALU_DEP_1) | instskip(SKIP_4) | instid1(SALU_CYCLE_1)
	v_cmp_lt_f64_e32 vcc_lo, v[225:226], v[229:230]
	v_dual_cndmask_b32 v206, v206, v223 :: v_dual_cndmask_b32 v205, v205, v222
	v_dual_cndmask_b32 v204, v204, v221 :: v_dual_cndmask_b32 v207, v207, v224
	v_cndmask_b32_e64 v212, v212, s6, vcc_lo
	s_add_i32 s6, s6, 1
	s_cmp_lg_u32 s5, s6
	s_cbranch_scc1 .LBB100_253
.LBB100_254:
	s_set_inst_prefetch_distance 0x2
	s_waitcnt lgkmcnt(0)
	v_cmp_eq_f64_e32 vcc_lo, 0, v[204:205]
	v_cmp_eq_f64_e64 s2, 0, v[206:207]
	s_delay_alu instid0(VALU_DEP_1) | instskip(NEXT) | instid1(SALU_CYCLE_1)
	s_and_b32 s2, vcc_lo, s2
	s_and_saveexec_b32 s3, s2
	s_delay_alu instid0(SALU_CYCLE_1)
	s_xor_b32 s2, exec_lo, s3
; %bb.255:
	v_cmp_ne_u32_e32 vcc_lo, 0, v217
	v_cndmask_b32_e32 v217, 13, v217, vcc_lo
; %bb.256:
	s_and_not1_saveexec_b32 s3, s2
	s_cbranch_execz .LBB100_262
; %bb.257:
	v_cmp_gt_f64_e32 vcc_lo, 0, v[204:205]
	v_cmp_gt_f64_e64 s2, 0, v[206:207]
	v_xor_b32_e32 v213, 0x80000000, v205
	v_xor_b32_e32 v221, 0x80000000, v207
	s_delay_alu instid0(VALU_DEP_2) | instskip(NEXT) | instid1(VALU_DEP_2)
	v_cndmask_b32_e32 v222, v205, v213, vcc_lo
	v_cndmask_b32_e64 v224, v207, v221, s2
	v_cndmask_b32_e32 v221, v204, v204, vcc_lo
	v_cndmask_b32_e64 v223, v206, v206, s2
	s_mov_b32 s2, exec_lo
	s_delay_alu instid0(VALU_DEP_1)
	v_cmpx_ngt_f64_e32 v[221:222], v[223:224]
	s_xor_b32 s2, exec_lo, s2
	s_cbranch_execz .LBB100_259
; %bb.258:
	v_div_scale_f64 v[221:222], null, v[206:207], v[206:207], v[204:205]
	v_div_scale_f64 v[227:228], vcc_lo, v[204:205], v[206:207], v[204:205]
	s_delay_alu instid0(VALU_DEP_2) | instskip(SKIP_2) | instid1(VALU_DEP_1)
	v_rcp_f64_e32 v[223:224], v[221:222]
	s_waitcnt_depctr 0xfff
	v_fma_f64 v[225:226], -v[221:222], v[223:224], 1.0
	v_fma_f64 v[223:224], v[223:224], v[225:226], v[223:224]
	s_delay_alu instid0(VALU_DEP_1) | instskip(NEXT) | instid1(VALU_DEP_1)
	v_fma_f64 v[225:226], -v[221:222], v[223:224], 1.0
	v_fma_f64 v[223:224], v[223:224], v[225:226], v[223:224]
	s_delay_alu instid0(VALU_DEP_1) | instskip(NEXT) | instid1(VALU_DEP_1)
	v_mul_f64 v[225:226], v[227:228], v[223:224]
	v_fma_f64 v[221:222], -v[221:222], v[225:226], v[227:228]
	s_delay_alu instid0(VALU_DEP_1) | instskip(NEXT) | instid1(VALU_DEP_1)
	v_div_fmas_f64 v[221:222], v[221:222], v[223:224], v[225:226]
	v_div_fixup_f64 v[221:222], v[221:222], v[206:207], v[204:205]
	s_delay_alu instid0(VALU_DEP_1) | instskip(NEXT) | instid1(VALU_DEP_1)
	v_fma_f64 v[204:205], v[204:205], v[221:222], v[206:207]
	v_div_scale_f64 v[206:207], null, v[204:205], v[204:205], 1.0
	s_delay_alu instid0(VALU_DEP_1) | instskip(SKIP_2) | instid1(VALU_DEP_1)
	v_rcp_f64_e32 v[223:224], v[206:207]
	s_waitcnt_depctr 0xfff
	v_fma_f64 v[225:226], -v[206:207], v[223:224], 1.0
	v_fma_f64 v[223:224], v[223:224], v[225:226], v[223:224]
	s_delay_alu instid0(VALU_DEP_1) | instskip(NEXT) | instid1(VALU_DEP_1)
	v_fma_f64 v[225:226], -v[206:207], v[223:224], 1.0
	v_fma_f64 v[223:224], v[223:224], v[225:226], v[223:224]
	v_div_scale_f64 v[225:226], vcc_lo, 1.0, v[204:205], 1.0
	s_delay_alu instid0(VALU_DEP_1) | instskip(NEXT) | instid1(VALU_DEP_1)
	v_mul_f64 v[227:228], v[225:226], v[223:224]
	v_fma_f64 v[206:207], -v[206:207], v[227:228], v[225:226]
	s_delay_alu instid0(VALU_DEP_1) | instskip(NEXT) | instid1(VALU_DEP_1)
	v_div_fmas_f64 v[206:207], v[206:207], v[223:224], v[227:228]
	v_div_fixup_f64 v[206:207], v[206:207], v[204:205], 1.0
	s_delay_alu instid0(VALU_DEP_1)
	v_mul_f64 v[204:205], v[221:222], v[206:207]
	v_xor_b32_e32 v207, 0x80000000, v207
.LBB100_259:
	s_and_not1_saveexec_b32 s2, s2
	s_cbranch_execz .LBB100_261
; %bb.260:
	s_delay_alu instid0(VALU_DEP_1) | instskip(SKIP_1) | instid1(VALU_DEP_2)
	v_div_scale_f64 v[221:222], null, v[204:205], v[204:205], v[206:207]
	v_div_scale_f64 v[227:228], vcc_lo, v[206:207], v[204:205], v[206:207]
	v_rcp_f64_e32 v[223:224], v[221:222]
	s_waitcnt_depctr 0xfff
	v_fma_f64 v[225:226], -v[221:222], v[223:224], 1.0
	s_delay_alu instid0(VALU_DEP_1) | instskip(NEXT) | instid1(VALU_DEP_1)
	v_fma_f64 v[223:224], v[223:224], v[225:226], v[223:224]
	v_fma_f64 v[225:226], -v[221:222], v[223:224], 1.0
	s_delay_alu instid0(VALU_DEP_1) | instskip(NEXT) | instid1(VALU_DEP_1)
	v_fma_f64 v[223:224], v[223:224], v[225:226], v[223:224]
	v_mul_f64 v[225:226], v[227:228], v[223:224]
	s_delay_alu instid0(VALU_DEP_1) | instskip(NEXT) | instid1(VALU_DEP_1)
	v_fma_f64 v[221:222], -v[221:222], v[225:226], v[227:228]
	v_div_fmas_f64 v[221:222], v[221:222], v[223:224], v[225:226]
	s_delay_alu instid0(VALU_DEP_1) | instskip(NEXT) | instid1(VALU_DEP_1)
	v_div_fixup_f64 v[221:222], v[221:222], v[204:205], v[206:207]
	v_fma_f64 v[204:205], v[206:207], v[221:222], v[204:205]
	s_delay_alu instid0(VALU_DEP_1) | instskip(NEXT) | instid1(VALU_DEP_1)
	v_div_scale_f64 v[206:207], null, v[204:205], v[204:205], 1.0
	v_rcp_f64_e32 v[223:224], v[206:207]
	s_waitcnt_depctr 0xfff
	v_fma_f64 v[225:226], -v[206:207], v[223:224], 1.0
	s_delay_alu instid0(VALU_DEP_1) | instskip(NEXT) | instid1(VALU_DEP_1)
	v_fma_f64 v[223:224], v[223:224], v[225:226], v[223:224]
	v_fma_f64 v[225:226], -v[206:207], v[223:224], 1.0
	s_delay_alu instid0(VALU_DEP_1) | instskip(SKIP_1) | instid1(VALU_DEP_1)
	v_fma_f64 v[223:224], v[223:224], v[225:226], v[223:224]
	v_div_scale_f64 v[225:226], vcc_lo, 1.0, v[204:205], 1.0
	v_mul_f64 v[227:228], v[225:226], v[223:224]
	s_delay_alu instid0(VALU_DEP_1) | instskip(NEXT) | instid1(VALU_DEP_1)
	v_fma_f64 v[206:207], -v[206:207], v[227:228], v[225:226]
	v_div_fmas_f64 v[206:207], v[206:207], v[223:224], v[227:228]
	s_delay_alu instid0(VALU_DEP_1) | instskip(NEXT) | instid1(VALU_DEP_1)
	v_div_fixup_f64 v[204:205], v[206:207], v[204:205], 1.0
	v_mul_f64 v[206:207], v[221:222], -v[204:205]
.LBB100_261:
	s_or_b32 exec_lo, exec_lo, s2
.LBB100_262:
	s_delay_alu instid0(SALU_CYCLE_1) | instskip(NEXT) | instid1(SALU_CYCLE_1)
	s_or_b32 exec_lo, exec_lo, s3
	s_mov_b32 s2, exec_lo
	v_cmpx_ne_u32_e64 v220, v212
	s_xor_b32 s2, exec_lo, s2
	s_cbranch_execz .LBB100_268
; %bb.263:
	s_mov_b32 s3, exec_lo
	v_cmpx_eq_u32_e32 12, v220
	s_cbranch_execz .LBB100_267
; %bb.264:
	v_cmp_ne_u32_e32 vcc_lo, 12, v212
	s_xor_b32 s6, s4, -1
	s_delay_alu instid0(SALU_CYCLE_1) | instskip(NEXT) | instid1(SALU_CYCLE_1)
	s_and_b32 s7, s6, vcc_lo
	s_and_saveexec_b32 s6, s7
	s_cbranch_execz .LBB100_266
; %bb.265:
	v_ashrrev_i32_e32 v213, 31, v212
	s_delay_alu instid0(VALU_DEP_1) | instskip(NEXT) | instid1(VALU_DEP_1)
	v_lshlrev_b64 v[219:220], 2, v[212:213]
	v_add_co_u32 v219, vcc_lo, v210, v219
	s_delay_alu instid0(VALU_DEP_2)
	v_add_co_ci_u32_e32 v220, vcc_lo, v211, v220, vcc_lo
	s_clause 0x1
	flat_load_b32 v213, v[219:220]
	flat_load_b32 v221, v[210:211] offset:48
	s_waitcnt vmcnt(1) lgkmcnt(1)
	flat_store_b32 v[210:211], v213 offset:48
	s_waitcnt vmcnt(0) lgkmcnt(1)
	flat_store_b32 v[219:220], v221
.LBB100_266:
	s_or_b32 exec_lo, exec_lo, s6
	v_mov_b32_e32 v220, v212
	v_mov_b32_e32 v219, v212
.LBB100_267:
	s_or_b32 exec_lo, exec_lo, s3
.LBB100_268:
	s_and_not1_saveexec_b32 s2, s2
	s_cbranch_execz .LBB100_270
; %bb.269:
	v_mov_b32_e32 v220, 12
	ds_store_2addr_b64 v214, v[148:149], v[150:151] offset0:26 offset1:27
	ds_store_2addr_b64 v214, v[144:145], v[146:147] offset0:28 offset1:29
	;; [unrolled: 1-line block ×38, first 2 shown]
.LBB100_270:
	s_or_b32 exec_lo, exec_lo, s2
	s_delay_alu instid0(SALU_CYCLE_1)
	s_mov_b32 s2, exec_lo
	s_waitcnt lgkmcnt(0)
	s_waitcnt_vscnt null, 0x0
	s_barrier
	buffer_gl0_inv
	v_cmpx_lt_i32_e32 12, v220
	s_cbranch_execz .LBB100_272
; %bb.271:
	v_mul_f64 v[212:213], v[206:207], v[154:155]
	v_mul_f64 v[154:155], v[204:205], v[154:155]
	s_delay_alu instid0(VALU_DEP_2) | instskip(NEXT) | instid1(VALU_DEP_2)
	v_fma_f64 v[212:213], v[204:205], v[152:153], -v[212:213]
	v_fma_f64 v[154:155], v[206:207], v[152:153], v[154:155]
	ds_load_2addr_b64 v[204:207], v214 offset0:26 offset1:27
	s_waitcnt lgkmcnt(0)
	v_mul_f64 v[152:153], v[206:207], v[154:155]
	s_delay_alu instid0(VALU_DEP_1) | instskip(SKIP_1) | instid1(VALU_DEP_2)
	v_fma_f64 v[152:153], v[204:205], v[212:213], -v[152:153]
	v_mul_f64 v[204:205], v[204:205], v[154:155]
	v_add_f64 v[148:149], v[148:149], -v[152:153]
	s_delay_alu instid0(VALU_DEP_2) | instskip(NEXT) | instid1(VALU_DEP_1)
	v_fma_f64 v[204:205], v[206:207], v[212:213], v[204:205]
	v_add_f64 v[150:151], v[150:151], -v[204:205]
	ds_load_2addr_b64 v[204:207], v214 offset0:28 offset1:29
	s_waitcnt lgkmcnt(0)
	v_mul_f64 v[152:153], v[206:207], v[154:155]
	s_delay_alu instid0(VALU_DEP_1) | instskip(SKIP_1) | instid1(VALU_DEP_2)
	v_fma_f64 v[152:153], v[204:205], v[212:213], -v[152:153]
	v_mul_f64 v[204:205], v[204:205], v[154:155]
	v_add_f64 v[144:145], v[144:145], -v[152:153]
	s_delay_alu instid0(VALU_DEP_2) | instskip(NEXT) | instid1(VALU_DEP_1)
	v_fma_f64 v[204:205], v[206:207], v[212:213], v[204:205]
	v_add_f64 v[146:147], v[146:147], -v[204:205]
	;; [unrolled: 10-line block ×37, first 2 shown]
	ds_load_2addr_b64 v[204:207], v214 offset0:100 offset1:101
	s_waitcnt lgkmcnt(0)
	v_mul_f64 v[152:153], v[206:207], v[154:155]
	s_delay_alu instid0(VALU_DEP_1) | instskip(SKIP_1) | instid1(VALU_DEP_2)
	v_fma_f64 v[152:153], v[204:205], v[212:213], -v[152:153]
	v_mul_f64 v[204:205], v[204:205], v[154:155]
	v_add_f64 v[0:1], v[0:1], -v[152:153]
	s_delay_alu instid0(VALU_DEP_2) | instskip(SKIP_1) | instid1(VALU_DEP_2)
	v_fma_f64 v[204:205], v[206:207], v[212:213], v[204:205]
	v_dual_mov_b32 v152, v212 :: v_dual_mov_b32 v153, v213
	v_add_f64 v[2:3], v[2:3], -v[204:205]
.LBB100_272:
	s_or_b32 exec_lo, exec_lo, s2
	v_lshl_add_u32 v204, v220, 4, v214
	s_barrier
	buffer_gl0_inv
	v_mov_b32_e32 v212, 13
	ds_store_2addr_b64 v204, v[148:149], v[150:151] offset1:1
	s_waitcnt lgkmcnt(0)
	s_barrier
	buffer_gl0_inv
	ds_load_2addr_b64 v[204:207], v214 offset0:26 offset1:27
	s_cmp_lt_i32 s5, 15
	s_cbranch_scc1 .LBB100_275
; %bb.273:
	v_add3_u32 v213, v218, 0, 0xe0
	v_mov_b32_e32 v212, 13
	s_mov_b32 s6, 14
	s_set_inst_prefetch_distance 0x1
	.p2align	6
.LBB100_274:                            ; =>This Inner Loop Header: Depth=1
	ds_load_2addr_b64 v[221:224], v213 offset1:1
	s_waitcnt lgkmcnt(1)
	v_cmp_gt_f64_e32 vcc_lo, 0, v[204:205]
	v_xor_b32_e32 v225, 0x80000000, v205
	v_cmp_gt_f64_e64 s2, 0, v[206:207]
	v_xor_b32_e32 v227, 0x80000000, v207
	v_add_nc_u32_e32 v213, 16, v213
	s_waitcnt lgkmcnt(0)
	v_cmp_gt_f64_e64 s3, 0, v[221:222]
	v_mov_b32_e32 v229, v221
	v_dual_mov_b32 v231, v223 :: v_dual_cndmask_b32 v226, v205, v225
	v_xor_b32_e32 v225, 0x80000000, v222
	v_cndmask_b32_e64 v228, v207, v227, s2
	v_xor_b32_e32 v227, 0x80000000, v224
	s_delay_alu instid0(VALU_DEP_3) | instskip(SKIP_2) | instid1(VALU_DEP_2)
	v_cndmask_b32_e64 v230, v222, v225, s3
	v_cmp_gt_f64_e64 s3, 0, v[223:224]
	v_cndmask_b32_e32 v225, v204, v204, vcc_lo
	v_cndmask_b32_e64 v232, v224, v227, s3
	v_cndmask_b32_e64 v227, v206, v206, s2
	s_delay_alu instid0(VALU_DEP_2) | instskip(NEXT) | instid1(VALU_DEP_2)
	v_add_f64 v[229:230], v[229:230], v[231:232]
	v_add_f64 v[225:226], v[225:226], v[227:228]
	s_delay_alu instid0(VALU_DEP_1) | instskip(SKIP_4) | instid1(SALU_CYCLE_1)
	v_cmp_lt_f64_e32 vcc_lo, v[225:226], v[229:230]
	v_dual_cndmask_b32 v206, v206, v223 :: v_dual_cndmask_b32 v205, v205, v222
	v_dual_cndmask_b32 v204, v204, v221 :: v_dual_cndmask_b32 v207, v207, v224
	v_cndmask_b32_e64 v212, v212, s6, vcc_lo
	s_add_i32 s6, s6, 1
	s_cmp_lg_u32 s5, s6
	s_cbranch_scc1 .LBB100_274
.LBB100_275:
	s_set_inst_prefetch_distance 0x2
	s_waitcnt lgkmcnt(0)
	v_cmp_eq_f64_e32 vcc_lo, 0, v[204:205]
	v_cmp_eq_f64_e64 s2, 0, v[206:207]
	s_delay_alu instid0(VALU_DEP_1) | instskip(NEXT) | instid1(SALU_CYCLE_1)
	s_and_b32 s2, vcc_lo, s2
	s_and_saveexec_b32 s3, s2
	s_delay_alu instid0(SALU_CYCLE_1)
	s_xor_b32 s2, exec_lo, s3
; %bb.276:
	v_cmp_ne_u32_e32 vcc_lo, 0, v217
	v_cndmask_b32_e32 v217, 14, v217, vcc_lo
; %bb.277:
	s_and_not1_saveexec_b32 s3, s2
	s_cbranch_execz .LBB100_283
; %bb.278:
	v_cmp_gt_f64_e32 vcc_lo, 0, v[204:205]
	v_cmp_gt_f64_e64 s2, 0, v[206:207]
	v_xor_b32_e32 v213, 0x80000000, v205
	v_xor_b32_e32 v221, 0x80000000, v207
	s_delay_alu instid0(VALU_DEP_2) | instskip(NEXT) | instid1(VALU_DEP_2)
	v_cndmask_b32_e32 v222, v205, v213, vcc_lo
	v_cndmask_b32_e64 v224, v207, v221, s2
	v_cndmask_b32_e32 v221, v204, v204, vcc_lo
	v_cndmask_b32_e64 v223, v206, v206, s2
	s_mov_b32 s2, exec_lo
	s_delay_alu instid0(VALU_DEP_1)
	v_cmpx_ngt_f64_e32 v[221:222], v[223:224]
	s_xor_b32 s2, exec_lo, s2
	s_cbranch_execz .LBB100_280
; %bb.279:
	v_div_scale_f64 v[221:222], null, v[206:207], v[206:207], v[204:205]
	v_div_scale_f64 v[227:228], vcc_lo, v[204:205], v[206:207], v[204:205]
	s_delay_alu instid0(VALU_DEP_2) | instskip(SKIP_2) | instid1(VALU_DEP_1)
	v_rcp_f64_e32 v[223:224], v[221:222]
	s_waitcnt_depctr 0xfff
	v_fma_f64 v[225:226], -v[221:222], v[223:224], 1.0
	v_fma_f64 v[223:224], v[223:224], v[225:226], v[223:224]
	s_delay_alu instid0(VALU_DEP_1) | instskip(NEXT) | instid1(VALU_DEP_1)
	v_fma_f64 v[225:226], -v[221:222], v[223:224], 1.0
	v_fma_f64 v[223:224], v[223:224], v[225:226], v[223:224]
	s_delay_alu instid0(VALU_DEP_1) | instskip(NEXT) | instid1(VALU_DEP_1)
	v_mul_f64 v[225:226], v[227:228], v[223:224]
	v_fma_f64 v[221:222], -v[221:222], v[225:226], v[227:228]
	s_delay_alu instid0(VALU_DEP_1) | instskip(NEXT) | instid1(VALU_DEP_1)
	v_div_fmas_f64 v[221:222], v[221:222], v[223:224], v[225:226]
	v_div_fixup_f64 v[221:222], v[221:222], v[206:207], v[204:205]
	s_delay_alu instid0(VALU_DEP_1) | instskip(NEXT) | instid1(VALU_DEP_1)
	v_fma_f64 v[204:205], v[204:205], v[221:222], v[206:207]
	v_div_scale_f64 v[206:207], null, v[204:205], v[204:205], 1.0
	s_delay_alu instid0(VALU_DEP_1) | instskip(SKIP_2) | instid1(VALU_DEP_1)
	v_rcp_f64_e32 v[223:224], v[206:207]
	s_waitcnt_depctr 0xfff
	v_fma_f64 v[225:226], -v[206:207], v[223:224], 1.0
	v_fma_f64 v[223:224], v[223:224], v[225:226], v[223:224]
	s_delay_alu instid0(VALU_DEP_1) | instskip(NEXT) | instid1(VALU_DEP_1)
	v_fma_f64 v[225:226], -v[206:207], v[223:224], 1.0
	v_fma_f64 v[223:224], v[223:224], v[225:226], v[223:224]
	v_div_scale_f64 v[225:226], vcc_lo, 1.0, v[204:205], 1.0
	s_delay_alu instid0(VALU_DEP_1) | instskip(NEXT) | instid1(VALU_DEP_1)
	v_mul_f64 v[227:228], v[225:226], v[223:224]
	v_fma_f64 v[206:207], -v[206:207], v[227:228], v[225:226]
	s_delay_alu instid0(VALU_DEP_1) | instskip(NEXT) | instid1(VALU_DEP_1)
	v_div_fmas_f64 v[206:207], v[206:207], v[223:224], v[227:228]
	v_div_fixup_f64 v[206:207], v[206:207], v[204:205], 1.0
	s_delay_alu instid0(VALU_DEP_1)
	v_mul_f64 v[204:205], v[221:222], v[206:207]
	v_xor_b32_e32 v207, 0x80000000, v207
.LBB100_280:
	s_and_not1_saveexec_b32 s2, s2
	s_cbranch_execz .LBB100_282
; %bb.281:
	s_delay_alu instid0(VALU_DEP_1) | instskip(SKIP_1) | instid1(VALU_DEP_2)
	v_div_scale_f64 v[221:222], null, v[204:205], v[204:205], v[206:207]
	v_div_scale_f64 v[227:228], vcc_lo, v[206:207], v[204:205], v[206:207]
	v_rcp_f64_e32 v[223:224], v[221:222]
	s_waitcnt_depctr 0xfff
	v_fma_f64 v[225:226], -v[221:222], v[223:224], 1.0
	s_delay_alu instid0(VALU_DEP_1) | instskip(NEXT) | instid1(VALU_DEP_1)
	v_fma_f64 v[223:224], v[223:224], v[225:226], v[223:224]
	v_fma_f64 v[225:226], -v[221:222], v[223:224], 1.0
	s_delay_alu instid0(VALU_DEP_1) | instskip(NEXT) | instid1(VALU_DEP_1)
	v_fma_f64 v[223:224], v[223:224], v[225:226], v[223:224]
	v_mul_f64 v[225:226], v[227:228], v[223:224]
	s_delay_alu instid0(VALU_DEP_1) | instskip(NEXT) | instid1(VALU_DEP_1)
	v_fma_f64 v[221:222], -v[221:222], v[225:226], v[227:228]
	v_div_fmas_f64 v[221:222], v[221:222], v[223:224], v[225:226]
	s_delay_alu instid0(VALU_DEP_1) | instskip(NEXT) | instid1(VALU_DEP_1)
	v_div_fixup_f64 v[221:222], v[221:222], v[204:205], v[206:207]
	v_fma_f64 v[204:205], v[206:207], v[221:222], v[204:205]
	s_delay_alu instid0(VALU_DEP_1) | instskip(NEXT) | instid1(VALU_DEP_1)
	v_div_scale_f64 v[206:207], null, v[204:205], v[204:205], 1.0
	v_rcp_f64_e32 v[223:224], v[206:207]
	s_waitcnt_depctr 0xfff
	v_fma_f64 v[225:226], -v[206:207], v[223:224], 1.0
	s_delay_alu instid0(VALU_DEP_1) | instskip(NEXT) | instid1(VALU_DEP_1)
	v_fma_f64 v[223:224], v[223:224], v[225:226], v[223:224]
	v_fma_f64 v[225:226], -v[206:207], v[223:224], 1.0
	s_delay_alu instid0(VALU_DEP_1) | instskip(SKIP_1) | instid1(VALU_DEP_1)
	v_fma_f64 v[223:224], v[223:224], v[225:226], v[223:224]
	v_div_scale_f64 v[225:226], vcc_lo, 1.0, v[204:205], 1.0
	v_mul_f64 v[227:228], v[225:226], v[223:224]
	s_delay_alu instid0(VALU_DEP_1) | instskip(NEXT) | instid1(VALU_DEP_1)
	v_fma_f64 v[206:207], -v[206:207], v[227:228], v[225:226]
	v_div_fmas_f64 v[206:207], v[206:207], v[223:224], v[227:228]
	s_delay_alu instid0(VALU_DEP_1) | instskip(NEXT) | instid1(VALU_DEP_1)
	v_div_fixup_f64 v[204:205], v[206:207], v[204:205], 1.0
	v_mul_f64 v[206:207], v[221:222], -v[204:205]
.LBB100_282:
	s_or_b32 exec_lo, exec_lo, s2
.LBB100_283:
	s_delay_alu instid0(SALU_CYCLE_1) | instskip(NEXT) | instid1(SALU_CYCLE_1)
	s_or_b32 exec_lo, exec_lo, s3
	s_mov_b32 s2, exec_lo
	v_cmpx_ne_u32_e64 v220, v212
	s_xor_b32 s2, exec_lo, s2
	s_cbranch_execz .LBB100_289
; %bb.284:
	s_mov_b32 s3, exec_lo
	v_cmpx_eq_u32_e32 13, v220
	s_cbranch_execz .LBB100_288
; %bb.285:
	v_cmp_ne_u32_e32 vcc_lo, 13, v212
	s_xor_b32 s6, s4, -1
	s_delay_alu instid0(SALU_CYCLE_1) | instskip(NEXT) | instid1(SALU_CYCLE_1)
	s_and_b32 s7, s6, vcc_lo
	s_and_saveexec_b32 s6, s7
	s_cbranch_execz .LBB100_287
; %bb.286:
	v_ashrrev_i32_e32 v213, 31, v212
	s_delay_alu instid0(VALU_DEP_1) | instskip(NEXT) | instid1(VALU_DEP_1)
	v_lshlrev_b64 v[219:220], 2, v[212:213]
	v_add_co_u32 v219, vcc_lo, v210, v219
	s_delay_alu instid0(VALU_DEP_2)
	v_add_co_ci_u32_e32 v220, vcc_lo, v211, v220, vcc_lo
	s_clause 0x1
	flat_load_b32 v213, v[219:220]
	flat_load_b32 v221, v[210:211] offset:52
	s_waitcnt vmcnt(1) lgkmcnt(1)
	flat_store_b32 v[210:211], v213 offset:52
	s_waitcnt vmcnt(0) lgkmcnt(1)
	flat_store_b32 v[219:220], v221
.LBB100_287:
	s_or_b32 exec_lo, exec_lo, s6
	v_mov_b32_e32 v220, v212
	v_mov_b32_e32 v219, v212
.LBB100_288:
	s_or_b32 exec_lo, exec_lo, s3
.LBB100_289:
	s_and_not1_saveexec_b32 s2, s2
	s_cbranch_execz .LBB100_291
; %bb.290:
	v_mov_b32_e32 v220, 13
	ds_store_2addr_b64 v214, v[144:145], v[146:147] offset0:28 offset1:29
	ds_store_2addr_b64 v214, v[140:141], v[142:143] offset0:30 offset1:31
	;; [unrolled: 1-line block ×37, first 2 shown]
.LBB100_291:
	s_or_b32 exec_lo, exec_lo, s2
	s_delay_alu instid0(SALU_CYCLE_1)
	s_mov_b32 s2, exec_lo
	s_waitcnt lgkmcnt(0)
	s_waitcnt_vscnt null, 0x0
	s_barrier
	buffer_gl0_inv
	v_cmpx_lt_i32_e32 13, v220
	s_cbranch_execz .LBB100_293
; %bb.292:
	v_mul_f64 v[212:213], v[206:207], v[150:151]
	v_mul_f64 v[150:151], v[204:205], v[150:151]
	s_delay_alu instid0(VALU_DEP_2) | instskip(NEXT) | instid1(VALU_DEP_2)
	v_fma_f64 v[212:213], v[204:205], v[148:149], -v[212:213]
	v_fma_f64 v[150:151], v[206:207], v[148:149], v[150:151]
	ds_load_2addr_b64 v[204:207], v214 offset0:28 offset1:29
	s_waitcnt lgkmcnt(0)
	v_mul_f64 v[148:149], v[206:207], v[150:151]
	s_delay_alu instid0(VALU_DEP_1) | instskip(SKIP_1) | instid1(VALU_DEP_2)
	v_fma_f64 v[148:149], v[204:205], v[212:213], -v[148:149]
	v_mul_f64 v[204:205], v[204:205], v[150:151]
	v_add_f64 v[144:145], v[144:145], -v[148:149]
	s_delay_alu instid0(VALU_DEP_2) | instskip(NEXT) | instid1(VALU_DEP_1)
	v_fma_f64 v[204:205], v[206:207], v[212:213], v[204:205]
	v_add_f64 v[146:147], v[146:147], -v[204:205]
	ds_load_2addr_b64 v[204:207], v214 offset0:30 offset1:31
	s_waitcnt lgkmcnt(0)
	v_mul_f64 v[148:149], v[206:207], v[150:151]
	s_delay_alu instid0(VALU_DEP_1) | instskip(SKIP_1) | instid1(VALU_DEP_2)
	v_fma_f64 v[148:149], v[204:205], v[212:213], -v[148:149]
	v_mul_f64 v[204:205], v[204:205], v[150:151]
	v_add_f64 v[140:141], v[140:141], -v[148:149]
	s_delay_alu instid0(VALU_DEP_2) | instskip(NEXT) | instid1(VALU_DEP_1)
	v_fma_f64 v[204:205], v[206:207], v[212:213], v[204:205]
	v_add_f64 v[142:143], v[142:143], -v[204:205]
	;; [unrolled: 10-line block ×36, first 2 shown]
	ds_load_2addr_b64 v[204:207], v214 offset0:100 offset1:101
	s_waitcnt lgkmcnt(0)
	v_mul_f64 v[148:149], v[206:207], v[150:151]
	s_delay_alu instid0(VALU_DEP_1) | instskip(SKIP_1) | instid1(VALU_DEP_2)
	v_fma_f64 v[148:149], v[204:205], v[212:213], -v[148:149]
	v_mul_f64 v[204:205], v[204:205], v[150:151]
	v_add_f64 v[0:1], v[0:1], -v[148:149]
	s_delay_alu instid0(VALU_DEP_2) | instskip(SKIP_1) | instid1(VALU_DEP_2)
	v_fma_f64 v[204:205], v[206:207], v[212:213], v[204:205]
	v_dual_mov_b32 v148, v212 :: v_dual_mov_b32 v149, v213
	v_add_f64 v[2:3], v[2:3], -v[204:205]
.LBB100_293:
	s_or_b32 exec_lo, exec_lo, s2
	v_lshl_add_u32 v204, v220, 4, v214
	s_barrier
	buffer_gl0_inv
	v_mov_b32_e32 v212, 14
	ds_store_2addr_b64 v204, v[144:145], v[146:147] offset1:1
	s_waitcnt lgkmcnt(0)
	s_barrier
	buffer_gl0_inv
	ds_load_2addr_b64 v[204:207], v214 offset0:28 offset1:29
	s_cmp_lt_i32 s5, 16
	s_cbranch_scc1 .LBB100_296
; %bb.294:
	v_add3_u32 v213, v218, 0, 0xf0
	v_mov_b32_e32 v212, 14
	s_mov_b32 s6, 15
	s_set_inst_prefetch_distance 0x1
	.p2align	6
.LBB100_295:                            ; =>This Inner Loop Header: Depth=1
	ds_load_2addr_b64 v[221:224], v213 offset1:1
	s_waitcnt lgkmcnt(1)
	v_cmp_gt_f64_e32 vcc_lo, 0, v[204:205]
	v_xor_b32_e32 v225, 0x80000000, v205
	v_cmp_gt_f64_e64 s2, 0, v[206:207]
	v_xor_b32_e32 v227, 0x80000000, v207
	v_add_nc_u32_e32 v213, 16, v213
	s_waitcnt lgkmcnt(0)
	v_cmp_gt_f64_e64 s3, 0, v[221:222]
	v_mov_b32_e32 v229, v221
	v_dual_mov_b32 v231, v223 :: v_dual_cndmask_b32 v226, v205, v225
	v_xor_b32_e32 v225, 0x80000000, v222
	v_cndmask_b32_e64 v228, v207, v227, s2
	v_xor_b32_e32 v227, 0x80000000, v224
	s_delay_alu instid0(VALU_DEP_3) | instskip(SKIP_2) | instid1(VALU_DEP_2)
	v_cndmask_b32_e64 v230, v222, v225, s3
	v_cmp_gt_f64_e64 s3, 0, v[223:224]
	v_cndmask_b32_e32 v225, v204, v204, vcc_lo
	v_cndmask_b32_e64 v232, v224, v227, s3
	v_cndmask_b32_e64 v227, v206, v206, s2
	s_delay_alu instid0(VALU_DEP_2) | instskip(NEXT) | instid1(VALU_DEP_2)
	v_add_f64 v[229:230], v[229:230], v[231:232]
	v_add_f64 v[225:226], v[225:226], v[227:228]
	s_delay_alu instid0(VALU_DEP_1) | instskip(SKIP_4) | instid1(SALU_CYCLE_1)
	v_cmp_lt_f64_e32 vcc_lo, v[225:226], v[229:230]
	v_dual_cndmask_b32 v206, v206, v223 :: v_dual_cndmask_b32 v205, v205, v222
	v_dual_cndmask_b32 v204, v204, v221 :: v_dual_cndmask_b32 v207, v207, v224
	v_cndmask_b32_e64 v212, v212, s6, vcc_lo
	s_add_i32 s6, s6, 1
	s_cmp_lg_u32 s5, s6
	s_cbranch_scc1 .LBB100_295
.LBB100_296:
	s_set_inst_prefetch_distance 0x2
	s_waitcnt lgkmcnt(0)
	v_cmp_eq_f64_e32 vcc_lo, 0, v[204:205]
	v_cmp_eq_f64_e64 s2, 0, v[206:207]
	s_delay_alu instid0(VALU_DEP_1) | instskip(NEXT) | instid1(SALU_CYCLE_1)
	s_and_b32 s2, vcc_lo, s2
	s_and_saveexec_b32 s3, s2
	s_delay_alu instid0(SALU_CYCLE_1)
	s_xor_b32 s2, exec_lo, s3
; %bb.297:
	v_cmp_ne_u32_e32 vcc_lo, 0, v217
	v_cndmask_b32_e32 v217, 15, v217, vcc_lo
; %bb.298:
	s_and_not1_saveexec_b32 s3, s2
	s_cbranch_execz .LBB100_304
; %bb.299:
	v_cmp_gt_f64_e32 vcc_lo, 0, v[204:205]
	v_cmp_gt_f64_e64 s2, 0, v[206:207]
	v_xor_b32_e32 v213, 0x80000000, v205
	v_xor_b32_e32 v221, 0x80000000, v207
	s_delay_alu instid0(VALU_DEP_2) | instskip(NEXT) | instid1(VALU_DEP_2)
	v_cndmask_b32_e32 v222, v205, v213, vcc_lo
	v_cndmask_b32_e64 v224, v207, v221, s2
	v_cndmask_b32_e32 v221, v204, v204, vcc_lo
	v_cndmask_b32_e64 v223, v206, v206, s2
	s_mov_b32 s2, exec_lo
	s_delay_alu instid0(VALU_DEP_1)
	v_cmpx_ngt_f64_e32 v[221:222], v[223:224]
	s_xor_b32 s2, exec_lo, s2
	s_cbranch_execz .LBB100_301
; %bb.300:
	v_div_scale_f64 v[221:222], null, v[206:207], v[206:207], v[204:205]
	v_div_scale_f64 v[227:228], vcc_lo, v[204:205], v[206:207], v[204:205]
	s_delay_alu instid0(VALU_DEP_2) | instskip(SKIP_2) | instid1(VALU_DEP_1)
	v_rcp_f64_e32 v[223:224], v[221:222]
	s_waitcnt_depctr 0xfff
	v_fma_f64 v[225:226], -v[221:222], v[223:224], 1.0
	v_fma_f64 v[223:224], v[223:224], v[225:226], v[223:224]
	s_delay_alu instid0(VALU_DEP_1) | instskip(NEXT) | instid1(VALU_DEP_1)
	v_fma_f64 v[225:226], -v[221:222], v[223:224], 1.0
	v_fma_f64 v[223:224], v[223:224], v[225:226], v[223:224]
	s_delay_alu instid0(VALU_DEP_1) | instskip(NEXT) | instid1(VALU_DEP_1)
	v_mul_f64 v[225:226], v[227:228], v[223:224]
	v_fma_f64 v[221:222], -v[221:222], v[225:226], v[227:228]
	s_delay_alu instid0(VALU_DEP_1) | instskip(NEXT) | instid1(VALU_DEP_1)
	v_div_fmas_f64 v[221:222], v[221:222], v[223:224], v[225:226]
	v_div_fixup_f64 v[221:222], v[221:222], v[206:207], v[204:205]
	s_delay_alu instid0(VALU_DEP_1) | instskip(NEXT) | instid1(VALU_DEP_1)
	v_fma_f64 v[204:205], v[204:205], v[221:222], v[206:207]
	v_div_scale_f64 v[206:207], null, v[204:205], v[204:205], 1.0
	s_delay_alu instid0(VALU_DEP_1) | instskip(SKIP_2) | instid1(VALU_DEP_1)
	v_rcp_f64_e32 v[223:224], v[206:207]
	s_waitcnt_depctr 0xfff
	v_fma_f64 v[225:226], -v[206:207], v[223:224], 1.0
	v_fma_f64 v[223:224], v[223:224], v[225:226], v[223:224]
	s_delay_alu instid0(VALU_DEP_1) | instskip(NEXT) | instid1(VALU_DEP_1)
	v_fma_f64 v[225:226], -v[206:207], v[223:224], 1.0
	v_fma_f64 v[223:224], v[223:224], v[225:226], v[223:224]
	v_div_scale_f64 v[225:226], vcc_lo, 1.0, v[204:205], 1.0
	s_delay_alu instid0(VALU_DEP_1) | instskip(NEXT) | instid1(VALU_DEP_1)
	v_mul_f64 v[227:228], v[225:226], v[223:224]
	v_fma_f64 v[206:207], -v[206:207], v[227:228], v[225:226]
	s_delay_alu instid0(VALU_DEP_1) | instskip(NEXT) | instid1(VALU_DEP_1)
	v_div_fmas_f64 v[206:207], v[206:207], v[223:224], v[227:228]
	v_div_fixup_f64 v[206:207], v[206:207], v[204:205], 1.0
	s_delay_alu instid0(VALU_DEP_1)
	v_mul_f64 v[204:205], v[221:222], v[206:207]
	v_xor_b32_e32 v207, 0x80000000, v207
.LBB100_301:
	s_and_not1_saveexec_b32 s2, s2
	s_cbranch_execz .LBB100_303
; %bb.302:
	s_delay_alu instid0(VALU_DEP_1) | instskip(SKIP_1) | instid1(VALU_DEP_2)
	v_div_scale_f64 v[221:222], null, v[204:205], v[204:205], v[206:207]
	v_div_scale_f64 v[227:228], vcc_lo, v[206:207], v[204:205], v[206:207]
	v_rcp_f64_e32 v[223:224], v[221:222]
	s_waitcnt_depctr 0xfff
	v_fma_f64 v[225:226], -v[221:222], v[223:224], 1.0
	s_delay_alu instid0(VALU_DEP_1) | instskip(NEXT) | instid1(VALU_DEP_1)
	v_fma_f64 v[223:224], v[223:224], v[225:226], v[223:224]
	v_fma_f64 v[225:226], -v[221:222], v[223:224], 1.0
	s_delay_alu instid0(VALU_DEP_1) | instskip(NEXT) | instid1(VALU_DEP_1)
	v_fma_f64 v[223:224], v[223:224], v[225:226], v[223:224]
	v_mul_f64 v[225:226], v[227:228], v[223:224]
	s_delay_alu instid0(VALU_DEP_1) | instskip(NEXT) | instid1(VALU_DEP_1)
	v_fma_f64 v[221:222], -v[221:222], v[225:226], v[227:228]
	v_div_fmas_f64 v[221:222], v[221:222], v[223:224], v[225:226]
	s_delay_alu instid0(VALU_DEP_1) | instskip(NEXT) | instid1(VALU_DEP_1)
	v_div_fixup_f64 v[221:222], v[221:222], v[204:205], v[206:207]
	v_fma_f64 v[204:205], v[206:207], v[221:222], v[204:205]
	s_delay_alu instid0(VALU_DEP_1) | instskip(NEXT) | instid1(VALU_DEP_1)
	v_div_scale_f64 v[206:207], null, v[204:205], v[204:205], 1.0
	v_rcp_f64_e32 v[223:224], v[206:207]
	s_waitcnt_depctr 0xfff
	v_fma_f64 v[225:226], -v[206:207], v[223:224], 1.0
	s_delay_alu instid0(VALU_DEP_1) | instskip(NEXT) | instid1(VALU_DEP_1)
	v_fma_f64 v[223:224], v[223:224], v[225:226], v[223:224]
	v_fma_f64 v[225:226], -v[206:207], v[223:224], 1.0
	s_delay_alu instid0(VALU_DEP_1) | instskip(SKIP_1) | instid1(VALU_DEP_1)
	v_fma_f64 v[223:224], v[223:224], v[225:226], v[223:224]
	v_div_scale_f64 v[225:226], vcc_lo, 1.0, v[204:205], 1.0
	v_mul_f64 v[227:228], v[225:226], v[223:224]
	s_delay_alu instid0(VALU_DEP_1) | instskip(NEXT) | instid1(VALU_DEP_1)
	v_fma_f64 v[206:207], -v[206:207], v[227:228], v[225:226]
	v_div_fmas_f64 v[206:207], v[206:207], v[223:224], v[227:228]
	s_delay_alu instid0(VALU_DEP_1) | instskip(NEXT) | instid1(VALU_DEP_1)
	v_div_fixup_f64 v[204:205], v[206:207], v[204:205], 1.0
	v_mul_f64 v[206:207], v[221:222], -v[204:205]
.LBB100_303:
	s_or_b32 exec_lo, exec_lo, s2
.LBB100_304:
	s_delay_alu instid0(SALU_CYCLE_1) | instskip(NEXT) | instid1(SALU_CYCLE_1)
	s_or_b32 exec_lo, exec_lo, s3
	s_mov_b32 s2, exec_lo
	v_cmpx_ne_u32_e64 v220, v212
	s_xor_b32 s2, exec_lo, s2
	s_cbranch_execz .LBB100_310
; %bb.305:
	s_mov_b32 s3, exec_lo
	v_cmpx_eq_u32_e32 14, v220
	s_cbranch_execz .LBB100_309
; %bb.306:
	v_cmp_ne_u32_e32 vcc_lo, 14, v212
	s_xor_b32 s6, s4, -1
	s_delay_alu instid0(SALU_CYCLE_1) | instskip(NEXT) | instid1(SALU_CYCLE_1)
	s_and_b32 s7, s6, vcc_lo
	s_and_saveexec_b32 s6, s7
	s_cbranch_execz .LBB100_308
; %bb.307:
	v_ashrrev_i32_e32 v213, 31, v212
	s_delay_alu instid0(VALU_DEP_1) | instskip(NEXT) | instid1(VALU_DEP_1)
	v_lshlrev_b64 v[219:220], 2, v[212:213]
	v_add_co_u32 v219, vcc_lo, v210, v219
	s_delay_alu instid0(VALU_DEP_2)
	v_add_co_ci_u32_e32 v220, vcc_lo, v211, v220, vcc_lo
	s_clause 0x1
	flat_load_b32 v213, v[219:220]
	flat_load_b32 v221, v[210:211] offset:56
	s_waitcnt vmcnt(1) lgkmcnt(1)
	flat_store_b32 v[210:211], v213 offset:56
	s_waitcnt vmcnt(0) lgkmcnt(1)
	flat_store_b32 v[219:220], v221
.LBB100_308:
	s_or_b32 exec_lo, exec_lo, s6
	v_mov_b32_e32 v220, v212
	v_mov_b32_e32 v219, v212
.LBB100_309:
	s_or_b32 exec_lo, exec_lo, s3
.LBB100_310:
	s_and_not1_saveexec_b32 s2, s2
	s_cbranch_execz .LBB100_312
; %bb.311:
	v_mov_b32_e32 v220, 14
	ds_store_2addr_b64 v214, v[140:141], v[142:143] offset0:30 offset1:31
	ds_store_2addr_b64 v214, v[136:137], v[138:139] offset0:32 offset1:33
	;; [unrolled: 1-line block ×36, first 2 shown]
.LBB100_312:
	s_or_b32 exec_lo, exec_lo, s2
	s_delay_alu instid0(SALU_CYCLE_1)
	s_mov_b32 s2, exec_lo
	s_waitcnt lgkmcnt(0)
	s_waitcnt_vscnt null, 0x0
	s_barrier
	buffer_gl0_inv
	v_cmpx_lt_i32_e32 14, v220
	s_cbranch_execz .LBB100_314
; %bb.313:
	v_mul_f64 v[212:213], v[206:207], v[146:147]
	v_mul_f64 v[146:147], v[204:205], v[146:147]
	s_delay_alu instid0(VALU_DEP_2) | instskip(NEXT) | instid1(VALU_DEP_2)
	v_fma_f64 v[212:213], v[204:205], v[144:145], -v[212:213]
	v_fma_f64 v[146:147], v[206:207], v[144:145], v[146:147]
	ds_load_2addr_b64 v[204:207], v214 offset0:30 offset1:31
	s_waitcnt lgkmcnt(0)
	v_mul_f64 v[144:145], v[206:207], v[146:147]
	s_delay_alu instid0(VALU_DEP_1) | instskip(SKIP_1) | instid1(VALU_DEP_2)
	v_fma_f64 v[144:145], v[204:205], v[212:213], -v[144:145]
	v_mul_f64 v[204:205], v[204:205], v[146:147]
	v_add_f64 v[140:141], v[140:141], -v[144:145]
	s_delay_alu instid0(VALU_DEP_2) | instskip(NEXT) | instid1(VALU_DEP_1)
	v_fma_f64 v[204:205], v[206:207], v[212:213], v[204:205]
	v_add_f64 v[142:143], v[142:143], -v[204:205]
	ds_load_2addr_b64 v[204:207], v214 offset0:32 offset1:33
	s_waitcnt lgkmcnt(0)
	v_mul_f64 v[144:145], v[206:207], v[146:147]
	s_delay_alu instid0(VALU_DEP_1) | instskip(SKIP_1) | instid1(VALU_DEP_2)
	v_fma_f64 v[144:145], v[204:205], v[212:213], -v[144:145]
	v_mul_f64 v[204:205], v[204:205], v[146:147]
	v_add_f64 v[136:137], v[136:137], -v[144:145]
	s_delay_alu instid0(VALU_DEP_2) | instskip(NEXT) | instid1(VALU_DEP_1)
	v_fma_f64 v[204:205], v[206:207], v[212:213], v[204:205]
	v_add_f64 v[138:139], v[138:139], -v[204:205]
	;; [unrolled: 10-line block ×35, first 2 shown]
	ds_load_2addr_b64 v[204:207], v214 offset0:100 offset1:101
	s_waitcnt lgkmcnt(0)
	v_mul_f64 v[144:145], v[206:207], v[146:147]
	s_delay_alu instid0(VALU_DEP_1) | instskip(SKIP_1) | instid1(VALU_DEP_2)
	v_fma_f64 v[144:145], v[204:205], v[212:213], -v[144:145]
	v_mul_f64 v[204:205], v[204:205], v[146:147]
	v_add_f64 v[0:1], v[0:1], -v[144:145]
	s_delay_alu instid0(VALU_DEP_2) | instskip(SKIP_1) | instid1(VALU_DEP_2)
	v_fma_f64 v[204:205], v[206:207], v[212:213], v[204:205]
	v_dual_mov_b32 v144, v212 :: v_dual_mov_b32 v145, v213
	v_add_f64 v[2:3], v[2:3], -v[204:205]
.LBB100_314:
	s_or_b32 exec_lo, exec_lo, s2
	v_lshl_add_u32 v204, v220, 4, v214
	s_barrier
	buffer_gl0_inv
	v_mov_b32_e32 v212, 15
	ds_store_2addr_b64 v204, v[140:141], v[142:143] offset1:1
	s_waitcnt lgkmcnt(0)
	s_barrier
	buffer_gl0_inv
	ds_load_2addr_b64 v[204:207], v214 offset0:30 offset1:31
	s_cmp_lt_i32 s5, 17
	s_cbranch_scc1 .LBB100_317
; %bb.315:
	v_add3_u32 v213, v218, 0, 0x100
	v_mov_b32_e32 v212, 15
	s_mov_b32 s6, 16
	s_set_inst_prefetch_distance 0x1
	.p2align	6
.LBB100_316:                            ; =>This Inner Loop Header: Depth=1
	ds_load_2addr_b64 v[221:224], v213 offset1:1
	s_waitcnt lgkmcnt(1)
	v_cmp_gt_f64_e32 vcc_lo, 0, v[204:205]
	v_xor_b32_e32 v225, 0x80000000, v205
	v_cmp_gt_f64_e64 s2, 0, v[206:207]
	v_xor_b32_e32 v227, 0x80000000, v207
	v_add_nc_u32_e32 v213, 16, v213
	s_waitcnt lgkmcnt(0)
	v_cmp_gt_f64_e64 s3, 0, v[221:222]
	v_mov_b32_e32 v229, v221
	v_dual_mov_b32 v231, v223 :: v_dual_cndmask_b32 v226, v205, v225
	v_xor_b32_e32 v225, 0x80000000, v222
	v_cndmask_b32_e64 v228, v207, v227, s2
	v_xor_b32_e32 v227, 0x80000000, v224
	s_delay_alu instid0(VALU_DEP_3) | instskip(SKIP_2) | instid1(VALU_DEP_2)
	v_cndmask_b32_e64 v230, v222, v225, s3
	v_cmp_gt_f64_e64 s3, 0, v[223:224]
	v_cndmask_b32_e32 v225, v204, v204, vcc_lo
	v_cndmask_b32_e64 v232, v224, v227, s3
	v_cndmask_b32_e64 v227, v206, v206, s2
	s_delay_alu instid0(VALU_DEP_2) | instskip(NEXT) | instid1(VALU_DEP_2)
	v_add_f64 v[229:230], v[229:230], v[231:232]
	v_add_f64 v[225:226], v[225:226], v[227:228]
	s_delay_alu instid0(VALU_DEP_1) | instskip(SKIP_4) | instid1(SALU_CYCLE_1)
	v_cmp_lt_f64_e32 vcc_lo, v[225:226], v[229:230]
	v_dual_cndmask_b32 v206, v206, v223 :: v_dual_cndmask_b32 v205, v205, v222
	v_dual_cndmask_b32 v204, v204, v221 :: v_dual_cndmask_b32 v207, v207, v224
	v_cndmask_b32_e64 v212, v212, s6, vcc_lo
	s_add_i32 s6, s6, 1
	s_cmp_lg_u32 s5, s6
	s_cbranch_scc1 .LBB100_316
.LBB100_317:
	s_set_inst_prefetch_distance 0x2
	s_waitcnt lgkmcnt(0)
	v_cmp_eq_f64_e32 vcc_lo, 0, v[204:205]
	v_cmp_eq_f64_e64 s2, 0, v[206:207]
	s_delay_alu instid0(VALU_DEP_1) | instskip(NEXT) | instid1(SALU_CYCLE_1)
	s_and_b32 s2, vcc_lo, s2
	s_and_saveexec_b32 s3, s2
	s_delay_alu instid0(SALU_CYCLE_1)
	s_xor_b32 s2, exec_lo, s3
; %bb.318:
	v_cmp_ne_u32_e32 vcc_lo, 0, v217
	v_cndmask_b32_e32 v217, 16, v217, vcc_lo
; %bb.319:
	s_and_not1_saveexec_b32 s3, s2
	s_cbranch_execz .LBB100_325
; %bb.320:
	v_cmp_gt_f64_e32 vcc_lo, 0, v[204:205]
	v_cmp_gt_f64_e64 s2, 0, v[206:207]
	v_xor_b32_e32 v213, 0x80000000, v205
	v_xor_b32_e32 v221, 0x80000000, v207
	s_delay_alu instid0(VALU_DEP_2) | instskip(NEXT) | instid1(VALU_DEP_2)
	v_cndmask_b32_e32 v222, v205, v213, vcc_lo
	v_cndmask_b32_e64 v224, v207, v221, s2
	v_cndmask_b32_e32 v221, v204, v204, vcc_lo
	v_cndmask_b32_e64 v223, v206, v206, s2
	s_mov_b32 s2, exec_lo
	s_delay_alu instid0(VALU_DEP_1)
	v_cmpx_ngt_f64_e32 v[221:222], v[223:224]
	s_xor_b32 s2, exec_lo, s2
	s_cbranch_execz .LBB100_322
; %bb.321:
	v_div_scale_f64 v[221:222], null, v[206:207], v[206:207], v[204:205]
	v_div_scale_f64 v[227:228], vcc_lo, v[204:205], v[206:207], v[204:205]
	s_delay_alu instid0(VALU_DEP_2) | instskip(SKIP_2) | instid1(VALU_DEP_1)
	v_rcp_f64_e32 v[223:224], v[221:222]
	s_waitcnt_depctr 0xfff
	v_fma_f64 v[225:226], -v[221:222], v[223:224], 1.0
	v_fma_f64 v[223:224], v[223:224], v[225:226], v[223:224]
	s_delay_alu instid0(VALU_DEP_1) | instskip(NEXT) | instid1(VALU_DEP_1)
	v_fma_f64 v[225:226], -v[221:222], v[223:224], 1.0
	v_fma_f64 v[223:224], v[223:224], v[225:226], v[223:224]
	s_delay_alu instid0(VALU_DEP_1) | instskip(NEXT) | instid1(VALU_DEP_1)
	v_mul_f64 v[225:226], v[227:228], v[223:224]
	v_fma_f64 v[221:222], -v[221:222], v[225:226], v[227:228]
	s_delay_alu instid0(VALU_DEP_1) | instskip(NEXT) | instid1(VALU_DEP_1)
	v_div_fmas_f64 v[221:222], v[221:222], v[223:224], v[225:226]
	v_div_fixup_f64 v[221:222], v[221:222], v[206:207], v[204:205]
	s_delay_alu instid0(VALU_DEP_1) | instskip(NEXT) | instid1(VALU_DEP_1)
	v_fma_f64 v[204:205], v[204:205], v[221:222], v[206:207]
	v_div_scale_f64 v[206:207], null, v[204:205], v[204:205], 1.0
	s_delay_alu instid0(VALU_DEP_1) | instskip(SKIP_2) | instid1(VALU_DEP_1)
	v_rcp_f64_e32 v[223:224], v[206:207]
	s_waitcnt_depctr 0xfff
	v_fma_f64 v[225:226], -v[206:207], v[223:224], 1.0
	v_fma_f64 v[223:224], v[223:224], v[225:226], v[223:224]
	s_delay_alu instid0(VALU_DEP_1) | instskip(NEXT) | instid1(VALU_DEP_1)
	v_fma_f64 v[225:226], -v[206:207], v[223:224], 1.0
	v_fma_f64 v[223:224], v[223:224], v[225:226], v[223:224]
	v_div_scale_f64 v[225:226], vcc_lo, 1.0, v[204:205], 1.0
	s_delay_alu instid0(VALU_DEP_1) | instskip(NEXT) | instid1(VALU_DEP_1)
	v_mul_f64 v[227:228], v[225:226], v[223:224]
	v_fma_f64 v[206:207], -v[206:207], v[227:228], v[225:226]
	s_delay_alu instid0(VALU_DEP_1) | instskip(NEXT) | instid1(VALU_DEP_1)
	v_div_fmas_f64 v[206:207], v[206:207], v[223:224], v[227:228]
	v_div_fixup_f64 v[206:207], v[206:207], v[204:205], 1.0
	s_delay_alu instid0(VALU_DEP_1)
	v_mul_f64 v[204:205], v[221:222], v[206:207]
	v_xor_b32_e32 v207, 0x80000000, v207
.LBB100_322:
	s_and_not1_saveexec_b32 s2, s2
	s_cbranch_execz .LBB100_324
; %bb.323:
	s_delay_alu instid0(VALU_DEP_1) | instskip(SKIP_1) | instid1(VALU_DEP_2)
	v_div_scale_f64 v[221:222], null, v[204:205], v[204:205], v[206:207]
	v_div_scale_f64 v[227:228], vcc_lo, v[206:207], v[204:205], v[206:207]
	v_rcp_f64_e32 v[223:224], v[221:222]
	s_waitcnt_depctr 0xfff
	v_fma_f64 v[225:226], -v[221:222], v[223:224], 1.0
	s_delay_alu instid0(VALU_DEP_1) | instskip(NEXT) | instid1(VALU_DEP_1)
	v_fma_f64 v[223:224], v[223:224], v[225:226], v[223:224]
	v_fma_f64 v[225:226], -v[221:222], v[223:224], 1.0
	s_delay_alu instid0(VALU_DEP_1) | instskip(NEXT) | instid1(VALU_DEP_1)
	v_fma_f64 v[223:224], v[223:224], v[225:226], v[223:224]
	v_mul_f64 v[225:226], v[227:228], v[223:224]
	s_delay_alu instid0(VALU_DEP_1) | instskip(NEXT) | instid1(VALU_DEP_1)
	v_fma_f64 v[221:222], -v[221:222], v[225:226], v[227:228]
	v_div_fmas_f64 v[221:222], v[221:222], v[223:224], v[225:226]
	s_delay_alu instid0(VALU_DEP_1) | instskip(NEXT) | instid1(VALU_DEP_1)
	v_div_fixup_f64 v[221:222], v[221:222], v[204:205], v[206:207]
	v_fma_f64 v[204:205], v[206:207], v[221:222], v[204:205]
	s_delay_alu instid0(VALU_DEP_1) | instskip(NEXT) | instid1(VALU_DEP_1)
	v_div_scale_f64 v[206:207], null, v[204:205], v[204:205], 1.0
	v_rcp_f64_e32 v[223:224], v[206:207]
	s_waitcnt_depctr 0xfff
	v_fma_f64 v[225:226], -v[206:207], v[223:224], 1.0
	s_delay_alu instid0(VALU_DEP_1) | instskip(NEXT) | instid1(VALU_DEP_1)
	v_fma_f64 v[223:224], v[223:224], v[225:226], v[223:224]
	v_fma_f64 v[225:226], -v[206:207], v[223:224], 1.0
	s_delay_alu instid0(VALU_DEP_1) | instskip(SKIP_1) | instid1(VALU_DEP_1)
	v_fma_f64 v[223:224], v[223:224], v[225:226], v[223:224]
	v_div_scale_f64 v[225:226], vcc_lo, 1.0, v[204:205], 1.0
	v_mul_f64 v[227:228], v[225:226], v[223:224]
	s_delay_alu instid0(VALU_DEP_1) | instskip(NEXT) | instid1(VALU_DEP_1)
	v_fma_f64 v[206:207], -v[206:207], v[227:228], v[225:226]
	v_div_fmas_f64 v[206:207], v[206:207], v[223:224], v[227:228]
	s_delay_alu instid0(VALU_DEP_1) | instskip(NEXT) | instid1(VALU_DEP_1)
	v_div_fixup_f64 v[204:205], v[206:207], v[204:205], 1.0
	v_mul_f64 v[206:207], v[221:222], -v[204:205]
.LBB100_324:
	s_or_b32 exec_lo, exec_lo, s2
.LBB100_325:
	s_delay_alu instid0(SALU_CYCLE_1) | instskip(NEXT) | instid1(SALU_CYCLE_1)
	s_or_b32 exec_lo, exec_lo, s3
	s_mov_b32 s2, exec_lo
	v_cmpx_ne_u32_e64 v220, v212
	s_xor_b32 s2, exec_lo, s2
	s_cbranch_execz .LBB100_331
; %bb.326:
	s_mov_b32 s3, exec_lo
	v_cmpx_eq_u32_e32 15, v220
	s_cbranch_execz .LBB100_330
; %bb.327:
	v_cmp_ne_u32_e32 vcc_lo, 15, v212
	s_xor_b32 s6, s4, -1
	s_delay_alu instid0(SALU_CYCLE_1) | instskip(NEXT) | instid1(SALU_CYCLE_1)
	s_and_b32 s7, s6, vcc_lo
	s_and_saveexec_b32 s6, s7
	s_cbranch_execz .LBB100_329
; %bb.328:
	v_ashrrev_i32_e32 v213, 31, v212
	s_delay_alu instid0(VALU_DEP_1) | instskip(NEXT) | instid1(VALU_DEP_1)
	v_lshlrev_b64 v[219:220], 2, v[212:213]
	v_add_co_u32 v219, vcc_lo, v210, v219
	s_delay_alu instid0(VALU_DEP_2)
	v_add_co_ci_u32_e32 v220, vcc_lo, v211, v220, vcc_lo
	s_clause 0x1
	flat_load_b32 v213, v[219:220]
	flat_load_b32 v221, v[210:211] offset:60
	s_waitcnt vmcnt(1) lgkmcnt(1)
	flat_store_b32 v[210:211], v213 offset:60
	s_waitcnt vmcnt(0) lgkmcnt(1)
	flat_store_b32 v[219:220], v221
.LBB100_329:
	s_or_b32 exec_lo, exec_lo, s6
	v_mov_b32_e32 v220, v212
	v_mov_b32_e32 v219, v212
.LBB100_330:
	s_or_b32 exec_lo, exec_lo, s3
.LBB100_331:
	s_and_not1_saveexec_b32 s2, s2
	s_cbranch_execz .LBB100_333
; %bb.332:
	v_mov_b32_e32 v220, 15
	ds_store_2addr_b64 v214, v[136:137], v[138:139] offset0:32 offset1:33
	ds_store_2addr_b64 v214, v[132:133], v[134:135] offset0:34 offset1:35
	ds_store_2addr_b64 v214, v[128:129], v[130:131] offset0:36 offset1:37
	ds_store_2addr_b64 v214, v[124:125], v[126:127] offset0:38 offset1:39
	ds_store_2addr_b64 v214, v[120:121], v[122:123] offset0:40 offset1:41
	ds_store_2addr_b64 v214, v[116:117], v[118:119] offset0:42 offset1:43
	ds_store_2addr_b64 v214, v[112:113], v[114:115] offset0:44 offset1:45
	ds_store_2addr_b64 v214, v[108:109], v[110:111] offset0:46 offset1:47
	ds_store_2addr_b64 v214, v[104:105], v[106:107] offset0:48 offset1:49
	ds_store_2addr_b64 v214, v[100:101], v[102:103] offset0:50 offset1:51
	ds_store_2addr_b64 v214, v[96:97], v[98:99] offset0:52 offset1:53
	ds_store_2addr_b64 v214, v[92:93], v[94:95] offset0:54 offset1:55
	ds_store_2addr_b64 v214, v[88:89], v[90:91] offset0:56 offset1:57
	ds_store_2addr_b64 v214, v[84:85], v[86:87] offset0:58 offset1:59
	ds_store_2addr_b64 v214, v[80:81], v[82:83] offset0:60 offset1:61
	ds_store_2addr_b64 v214, v[76:77], v[78:79] offset0:62 offset1:63
	ds_store_2addr_b64 v214, v[72:73], v[74:75] offset0:64 offset1:65
	ds_store_2addr_b64 v214, v[68:69], v[70:71] offset0:66 offset1:67
	ds_store_2addr_b64 v214, v[64:65], v[66:67] offset0:68 offset1:69
	ds_store_2addr_b64 v214, v[60:61], v[62:63] offset0:70 offset1:71
	ds_store_2addr_b64 v214, v[56:57], v[58:59] offset0:72 offset1:73
	ds_store_2addr_b64 v214, v[52:53], v[54:55] offset0:74 offset1:75
	ds_store_2addr_b64 v214, v[48:49], v[50:51] offset0:76 offset1:77
	ds_store_2addr_b64 v214, v[44:45], v[46:47] offset0:78 offset1:79
	ds_store_2addr_b64 v214, v[40:41], v[42:43] offset0:80 offset1:81
	ds_store_2addr_b64 v214, v[36:37], v[38:39] offset0:82 offset1:83
	ds_store_2addr_b64 v214, v[32:33], v[34:35] offset0:84 offset1:85
	ds_store_2addr_b64 v214, v[28:29], v[30:31] offset0:86 offset1:87
	ds_store_2addr_b64 v214, v[24:25], v[26:27] offset0:88 offset1:89
	ds_store_2addr_b64 v214, v[20:21], v[22:23] offset0:90 offset1:91
	ds_store_2addr_b64 v214, v[16:17], v[18:19] offset0:92 offset1:93
	ds_store_2addr_b64 v214, v[12:13], v[14:15] offset0:94 offset1:95
	ds_store_2addr_b64 v214, v[8:9], v[10:11] offset0:96 offset1:97
	ds_store_2addr_b64 v214, v[4:5], v[6:7] offset0:98 offset1:99
	ds_store_2addr_b64 v214, v[0:1], v[2:3] offset0:100 offset1:101
.LBB100_333:
	s_or_b32 exec_lo, exec_lo, s2
	s_delay_alu instid0(SALU_CYCLE_1)
	s_mov_b32 s2, exec_lo
	s_waitcnt lgkmcnt(0)
	s_waitcnt_vscnt null, 0x0
	s_barrier
	buffer_gl0_inv
	v_cmpx_lt_i32_e32 15, v220
	s_cbranch_execz .LBB100_335
; %bb.334:
	v_mul_f64 v[212:213], v[206:207], v[142:143]
	v_mul_f64 v[142:143], v[204:205], v[142:143]
	s_delay_alu instid0(VALU_DEP_2) | instskip(NEXT) | instid1(VALU_DEP_2)
	v_fma_f64 v[212:213], v[204:205], v[140:141], -v[212:213]
	v_fma_f64 v[142:143], v[206:207], v[140:141], v[142:143]
	ds_load_2addr_b64 v[204:207], v214 offset0:32 offset1:33
	s_waitcnt lgkmcnt(0)
	v_mul_f64 v[140:141], v[206:207], v[142:143]
	s_delay_alu instid0(VALU_DEP_1) | instskip(SKIP_1) | instid1(VALU_DEP_2)
	v_fma_f64 v[140:141], v[204:205], v[212:213], -v[140:141]
	v_mul_f64 v[204:205], v[204:205], v[142:143]
	v_add_f64 v[136:137], v[136:137], -v[140:141]
	s_delay_alu instid0(VALU_DEP_2) | instskip(NEXT) | instid1(VALU_DEP_1)
	v_fma_f64 v[204:205], v[206:207], v[212:213], v[204:205]
	v_add_f64 v[138:139], v[138:139], -v[204:205]
	ds_load_2addr_b64 v[204:207], v214 offset0:34 offset1:35
	s_waitcnt lgkmcnt(0)
	v_mul_f64 v[140:141], v[206:207], v[142:143]
	s_delay_alu instid0(VALU_DEP_1) | instskip(SKIP_1) | instid1(VALU_DEP_2)
	v_fma_f64 v[140:141], v[204:205], v[212:213], -v[140:141]
	v_mul_f64 v[204:205], v[204:205], v[142:143]
	v_add_f64 v[132:133], v[132:133], -v[140:141]
	s_delay_alu instid0(VALU_DEP_2) | instskip(NEXT) | instid1(VALU_DEP_1)
	v_fma_f64 v[204:205], v[206:207], v[212:213], v[204:205]
	v_add_f64 v[134:135], v[134:135], -v[204:205]
	;; [unrolled: 10-line block ×34, first 2 shown]
	ds_load_2addr_b64 v[204:207], v214 offset0:100 offset1:101
	s_waitcnt lgkmcnt(0)
	v_mul_f64 v[140:141], v[206:207], v[142:143]
	s_delay_alu instid0(VALU_DEP_1) | instskip(SKIP_1) | instid1(VALU_DEP_2)
	v_fma_f64 v[140:141], v[204:205], v[212:213], -v[140:141]
	v_mul_f64 v[204:205], v[204:205], v[142:143]
	v_add_f64 v[0:1], v[0:1], -v[140:141]
	s_delay_alu instid0(VALU_DEP_2) | instskip(SKIP_1) | instid1(VALU_DEP_2)
	v_fma_f64 v[204:205], v[206:207], v[212:213], v[204:205]
	v_dual_mov_b32 v140, v212 :: v_dual_mov_b32 v141, v213
	v_add_f64 v[2:3], v[2:3], -v[204:205]
.LBB100_335:
	s_or_b32 exec_lo, exec_lo, s2
	v_lshl_add_u32 v204, v220, 4, v214
	s_barrier
	buffer_gl0_inv
	v_mov_b32_e32 v212, 16
	ds_store_2addr_b64 v204, v[136:137], v[138:139] offset1:1
	s_waitcnt lgkmcnt(0)
	s_barrier
	buffer_gl0_inv
	ds_load_2addr_b64 v[204:207], v214 offset0:32 offset1:33
	s_cmp_lt_i32 s5, 18
	s_cbranch_scc1 .LBB100_338
; %bb.336:
	v_add3_u32 v213, v218, 0, 0x110
	v_mov_b32_e32 v212, 16
	s_mov_b32 s6, 17
	s_set_inst_prefetch_distance 0x1
	.p2align	6
.LBB100_337:                            ; =>This Inner Loop Header: Depth=1
	ds_load_2addr_b64 v[221:224], v213 offset1:1
	s_waitcnt lgkmcnt(1)
	v_cmp_gt_f64_e32 vcc_lo, 0, v[204:205]
	v_xor_b32_e32 v225, 0x80000000, v205
	v_cmp_gt_f64_e64 s2, 0, v[206:207]
	v_xor_b32_e32 v227, 0x80000000, v207
	v_add_nc_u32_e32 v213, 16, v213
	s_waitcnt lgkmcnt(0)
	v_cmp_gt_f64_e64 s3, 0, v[221:222]
	v_mov_b32_e32 v229, v221
	v_dual_mov_b32 v231, v223 :: v_dual_cndmask_b32 v226, v205, v225
	v_xor_b32_e32 v225, 0x80000000, v222
	v_cndmask_b32_e64 v228, v207, v227, s2
	v_xor_b32_e32 v227, 0x80000000, v224
	s_delay_alu instid0(VALU_DEP_3) | instskip(SKIP_2) | instid1(VALU_DEP_2)
	v_cndmask_b32_e64 v230, v222, v225, s3
	v_cmp_gt_f64_e64 s3, 0, v[223:224]
	v_cndmask_b32_e32 v225, v204, v204, vcc_lo
	v_cndmask_b32_e64 v232, v224, v227, s3
	v_cndmask_b32_e64 v227, v206, v206, s2
	s_delay_alu instid0(VALU_DEP_2) | instskip(NEXT) | instid1(VALU_DEP_2)
	v_add_f64 v[229:230], v[229:230], v[231:232]
	v_add_f64 v[225:226], v[225:226], v[227:228]
	s_delay_alu instid0(VALU_DEP_1) | instskip(SKIP_4) | instid1(SALU_CYCLE_1)
	v_cmp_lt_f64_e32 vcc_lo, v[225:226], v[229:230]
	v_dual_cndmask_b32 v206, v206, v223 :: v_dual_cndmask_b32 v205, v205, v222
	v_dual_cndmask_b32 v204, v204, v221 :: v_dual_cndmask_b32 v207, v207, v224
	v_cndmask_b32_e64 v212, v212, s6, vcc_lo
	s_add_i32 s6, s6, 1
	s_cmp_lg_u32 s5, s6
	s_cbranch_scc1 .LBB100_337
.LBB100_338:
	s_set_inst_prefetch_distance 0x2
	s_waitcnt lgkmcnt(0)
	v_cmp_eq_f64_e32 vcc_lo, 0, v[204:205]
	v_cmp_eq_f64_e64 s2, 0, v[206:207]
	s_delay_alu instid0(VALU_DEP_1) | instskip(NEXT) | instid1(SALU_CYCLE_1)
	s_and_b32 s2, vcc_lo, s2
	s_and_saveexec_b32 s3, s2
	s_delay_alu instid0(SALU_CYCLE_1)
	s_xor_b32 s2, exec_lo, s3
; %bb.339:
	v_cmp_ne_u32_e32 vcc_lo, 0, v217
	v_cndmask_b32_e32 v217, 17, v217, vcc_lo
; %bb.340:
	s_and_not1_saveexec_b32 s3, s2
	s_cbranch_execz .LBB100_346
; %bb.341:
	v_cmp_gt_f64_e32 vcc_lo, 0, v[204:205]
	v_cmp_gt_f64_e64 s2, 0, v[206:207]
	v_xor_b32_e32 v213, 0x80000000, v205
	v_xor_b32_e32 v221, 0x80000000, v207
	s_delay_alu instid0(VALU_DEP_2) | instskip(NEXT) | instid1(VALU_DEP_2)
	v_cndmask_b32_e32 v222, v205, v213, vcc_lo
	v_cndmask_b32_e64 v224, v207, v221, s2
	v_cndmask_b32_e32 v221, v204, v204, vcc_lo
	v_cndmask_b32_e64 v223, v206, v206, s2
	s_mov_b32 s2, exec_lo
	s_delay_alu instid0(VALU_DEP_1)
	v_cmpx_ngt_f64_e32 v[221:222], v[223:224]
	s_xor_b32 s2, exec_lo, s2
	s_cbranch_execz .LBB100_343
; %bb.342:
	v_div_scale_f64 v[221:222], null, v[206:207], v[206:207], v[204:205]
	v_div_scale_f64 v[227:228], vcc_lo, v[204:205], v[206:207], v[204:205]
	s_delay_alu instid0(VALU_DEP_2) | instskip(SKIP_2) | instid1(VALU_DEP_1)
	v_rcp_f64_e32 v[223:224], v[221:222]
	s_waitcnt_depctr 0xfff
	v_fma_f64 v[225:226], -v[221:222], v[223:224], 1.0
	v_fma_f64 v[223:224], v[223:224], v[225:226], v[223:224]
	s_delay_alu instid0(VALU_DEP_1) | instskip(NEXT) | instid1(VALU_DEP_1)
	v_fma_f64 v[225:226], -v[221:222], v[223:224], 1.0
	v_fma_f64 v[223:224], v[223:224], v[225:226], v[223:224]
	s_delay_alu instid0(VALU_DEP_1) | instskip(NEXT) | instid1(VALU_DEP_1)
	v_mul_f64 v[225:226], v[227:228], v[223:224]
	v_fma_f64 v[221:222], -v[221:222], v[225:226], v[227:228]
	s_delay_alu instid0(VALU_DEP_1) | instskip(NEXT) | instid1(VALU_DEP_1)
	v_div_fmas_f64 v[221:222], v[221:222], v[223:224], v[225:226]
	v_div_fixup_f64 v[221:222], v[221:222], v[206:207], v[204:205]
	s_delay_alu instid0(VALU_DEP_1) | instskip(NEXT) | instid1(VALU_DEP_1)
	v_fma_f64 v[204:205], v[204:205], v[221:222], v[206:207]
	v_div_scale_f64 v[206:207], null, v[204:205], v[204:205], 1.0
	s_delay_alu instid0(VALU_DEP_1) | instskip(SKIP_2) | instid1(VALU_DEP_1)
	v_rcp_f64_e32 v[223:224], v[206:207]
	s_waitcnt_depctr 0xfff
	v_fma_f64 v[225:226], -v[206:207], v[223:224], 1.0
	v_fma_f64 v[223:224], v[223:224], v[225:226], v[223:224]
	s_delay_alu instid0(VALU_DEP_1) | instskip(NEXT) | instid1(VALU_DEP_1)
	v_fma_f64 v[225:226], -v[206:207], v[223:224], 1.0
	v_fma_f64 v[223:224], v[223:224], v[225:226], v[223:224]
	v_div_scale_f64 v[225:226], vcc_lo, 1.0, v[204:205], 1.0
	s_delay_alu instid0(VALU_DEP_1) | instskip(NEXT) | instid1(VALU_DEP_1)
	v_mul_f64 v[227:228], v[225:226], v[223:224]
	v_fma_f64 v[206:207], -v[206:207], v[227:228], v[225:226]
	s_delay_alu instid0(VALU_DEP_1) | instskip(NEXT) | instid1(VALU_DEP_1)
	v_div_fmas_f64 v[206:207], v[206:207], v[223:224], v[227:228]
	v_div_fixup_f64 v[206:207], v[206:207], v[204:205], 1.0
	s_delay_alu instid0(VALU_DEP_1)
	v_mul_f64 v[204:205], v[221:222], v[206:207]
	v_xor_b32_e32 v207, 0x80000000, v207
.LBB100_343:
	s_and_not1_saveexec_b32 s2, s2
	s_cbranch_execz .LBB100_345
; %bb.344:
	s_delay_alu instid0(VALU_DEP_1) | instskip(SKIP_1) | instid1(VALU_DEP_2)
	v_div_scale_f64 v[221:222], null, v[204:205], v[204:205], v[206:207]
	v_div_scale_f64 v[227:228], vcc_lo, v[206:207], v[204:205], v[206:207]
	v_rcp_f64_e32 v[223:224], v[221:222]
	s_waitcnt_depctr 0xfff
	v_fma_f64 v[225:226], -v[221:222], v[223:224], 1.0
	s_delay_alu instid0(VALU_DEP_1) | instskip(NEXT) | instid1(VALU_DEP_1)
	v_fma_f64 v[223:224], v[223:224], v[225:226], v[223:224]
	v_fma_f64 v[225:226], -v[221:222], v[223:224], 1.0
	s_delay_alu instid0(VALU_DEP_1) | instskip(NEXT) | instid1(VALU_DEP_1)
	v_fma_f64 v[223:224], v[223:224], v[225:226], v[223:224]
	v_mul_f64 v[225:226], v[227:228], v[223:224]
	s_delay_alu instid0(VALU_DEP_1) | instskip(NEXT) | instid1(VALU_DEP_1)
	v_fma_f64 v[221:222], -v[221:222], v[225:226], v[227:228]
	v_div_fmas_f64 v[221:222], v[221:222], v[223:224], v[225:226]
	s_delay_alu instid0(VALU_DEP_1) | instskip(NEXT) | instid1(VALU_DEP_1)
	v_div_fixup_f64 v[221:222], v[221:222], v[204:205], v[206:207]
	v_fma_f64 v[204:205], v[206:207], v[221:222], v[204:205]
	s_delay_alu instid0(VALU_DEP_1) | instskip(NEXT) | instid1(VALU_DEP_1)
	v_div_scale_f64 v[206:207], null, v[204:205], v[204:205], 1.0
	v_rcp_f64_e32 v[223:224], v[206:207]
	s_waitcnt_depctr 0xfff
	v_fma_f64 v[225:226], -v[206:207], v[223:224], 1.0
	s_delay_alu instid0(VALU_DEP_1) | instskip(NEXT) | instid1(VALU_DEP_1)
	v_fma_f64 v[223:224], v[223:224], v[225:226], v[223:224]
	v_fma_f64 v[225:226], -v[206:207], v[223:224], 1.0
	s_delay_alu instid0(VALU_DEP_1) | instskip(SKIP_1) | instid1(VALU_DEP_1)
	v_fma_f64 v[223:224], v[223:224], v[225:226], v[223:224]
	v_div_scale_f64 v[225:226], vcc_lo, 1.0, v[204:205], 1.0
	v_mul_f64 v[227:228], v[225:226], v[223:224]
	s_delay_alu instid0(VALU_DEP_1) | instskip(NEXT) | instid1(VALU_DEP_1)
	v_fma_f64 v[206:207], -v[206:207], v[227:228], v[225:226]
	v_div_fmas_f64 v[206:207], v[206:207], v[223:224], v[227:228]
	s_delay_alu instid0(VALU_DEP_1) | instskip(NEXT) | instid1(VALU_DEP_1)
	v_div_fixup_f64 v[204:205], v[206:207], v[204:205], 1.0
	v_mul_f64 v[206:207], v[221:222], -v[204:205]
.LBB100_345:
	s_or_b32 exec_lo, exec_lo, s2
.LBB100_346:
	s_delay_alu instid0(SALU_CYCLE_1) | instskip(NEXT) | instid1(SALU_CYCLE_1)
	s_or_b32 exec_lo, exec_lo, s3
	s_mov_b32 s2, exec_lo
	v_cmpx_ne_u32_e64 v220, v212
	s_xor_b32 s2, exec_lo, s2
	s_cbranch_execz .LBB100_352
; %bb.347:
	s_mov_b32 s3, exec_lo
	v_cmpx_eq_u32_e32 16, v220
	s_cbranch_execz .LBB100_351
; %bb.348:
	v_cmp_ne_u32_e32 vcc_lo, 16, v212
	s_xor_b32 s6, s4, -1
	s_delay_alu instid0(SALU_CYCLE_1) | instskip(NEXT) | instid1(SALU_CYCLE_1)
	s_and_b32 s7, s6, vcc_lo
	s_and_saveexec_b32 s6, s7
	s_cbranch_execz .LBB100_350
; %bb.349:
	v_ashrrev_i32_e32 v213, 31, v212
	s_delay_alu instid0(VALU_DEP_1) | instskip(NEXT) | instid1(VALU_DEP_1)
	v_lshlrev_b64 v[219:220], 2, v[212:213]
	v_add_co_u32 v219, vcc_lo, v210, v219
	s_delay_alu instid0(VALU_DEP_2)
	v_add_co_ci_u32_e32 v220, vcc_lo, v211, v220, vcc_lo
	s_clause 0x1
	flat_load_b32 v213, v[219:220]
	flat_load_b32 v221, v[210:211] offset:64
	s_waitcnt vmcnt(1) lgkmcnt(1)
	flat_store_b32 v[210:211], v213 offset:64
	s_waitcnt vmcnt(0) lgkmcnt(1)
	flat_store_b32 v[219:220], v221
.LBB100_350:
	s_or_b32 exec_lo, exec_lo, s6
	v_mov_b32_e32 v220, v212
	v_mov_b32_e32 v219, v212
.LBB100_351:
	s_or_b32 exec_lo, exec_lo, s3
.LBB100_352:
	s_and_not1_saveexec_b32 s2, s2
	s_cbranch_execz .LBB100_354
; %bb.353:
	v_mov_b32_e32 v220, 16
	ds_store_2addr_b64 v214, v[132:133], v[134:135] offset0:34 offset1:35
	ds_store_2addr_b64 v214, v[128:129], v[130:131] offset0:36 offset1:37
	;; [unrolled: 1-line block ×34, first 2 shown]
.LBB100_354:
	s_or_b32 exec_lo, exec_lo, s2
	s_delay_alu instid0(SALU_CYCLE_1)
	s_mov_b32 s2, exec_lo
	s_waitcnt lgkmcnt(0)
	s_waitcnt_vscnt null, 0x0
	s_barrier
	buffer_gl0_inv
	v_cmpx_lt_i32_e32 16, v220
	s_cbranch_execz .LBB100_356
; %bb.355:
	v_mul_f64 v[212:213], v[206:207], v[138:139]
	v_mul_f64 v[138:139], v[204:205], v[138:139]
	s_delay_alu instid0(VALU_DEP_2) | instskip(NEXT) | instid1(VALU_DEP_2)
	v_fma_f64 v[212:213], v[204:205], v[136:137], -v[212:213]
	v_fma_f64 v[138:139], v[206:207], v[136:137], v[138:139]
	ds_load_2addr_b64 v[204:207], v214 offset0:34 offset1:35
	s_waitcnt lgkmcnt(0)
	v_mul_f64 v[136:137], v[206:207], v[138:139]
	s_delay_alu instid0(VALU_DEP_1) | instskip(SKIP_1) | instid1(VALU_DEP_2)
	v_fma_f64 v[136:137], v[204:205], v[212:213], -v[136:137]
	v_mul_f64 v[204:205], v[204:205], v[138:139]
	v_add_f64 v[132:133], v[132:133], -v[136:137]
	s_delay_alu instid0(VALU_DEP_2) | instskip(NEXT) | instid1(VALU_DEP_1)
	v_fma_f64 v[204:205], v[206:207], v[212:213], v[204:205]
	v_add_f64 v[134:135], v[134:135], -v[204:205]
	ds_load_2addr_b64 v[204:207], v214 offset0:36 offset1:37
	s_waitcnt lgkmcnt(0)
	v_mul_f64 v[136:137], v[206:207], v[138:139]
	s_delay_alu instid0(VALU_DEP_1) | instskip(SKIP_1) | instid1(VALU_DEP_2)
	v_fma_f64 v[136:137], v[204:205], v[212:213], -v[136:137]
	v_mul_f64 v[204:205], v[204:205], v[138:139]
	v_add_f64 v[128:129], v[128:129], -v[136:137]
	s_delay_alu instid0(VALU_DEP_2) | instskip(NEXT) | instid1(VALU_DEP_1)
	v_fma_f64 v[204:205], v[206:207], v[212:213], v[204:205]
	v_add_f64 v[130:131], v[130:131], -v[204:205]
	;; [unrolled: 10-line block ×33, first 2 shown]
	ds_load_2addr_b64 v[204:207], v214 offset0:100 offset1:101
	s_waitcnt lgkmcnt(0)
	v_mul_f64 v[136:137], v[206:207], v[138:139]
	s_delay_alu instid0(VALU_DEP_1) | instskip(SKIP_1) | instid1(VALU_DEP_2)
	v_fma_f64 v[136:137], v[204:205], v[212:213], -v[136:137]
	v_mul_f64 v[204:205], v[204:205], v[138:139]
	v_add_f64 v[0:1], v[0:1], -v[136:137]
	s_delay_alu instid0(VALU_DEP_2) | instskip(SKIP_1) | instid1(VALU_DEP_2)
	v_fma_f64 v[204:205], v[206:207], v[212:213], v[204:205]
	v_dual_mov_b32 v136, v212 :: v_dual_mov_b32 v137, v213
	v_add_f64 v[2:3], v[2:3], -v[204:205]
.LBB100_356:
	s_or_b32 exec_lo, exec_lo, s2
	v_lshl_add_u32 v204, v220, 4, v214
	s_barrier
	buffer_gl0_inv
	v_mov_b32_e32 v212, 17
	ds_store_2addr_b64 v204, v[132:133], v[134:135] offset1:1
	s_waitcnt lgkmcnt(0)
	s_barrier
	buffer_gl0_inv
	ds_load_2addr_b64 v[204:207], v214 offset0:34 offset1:35
	s_cmp_lt_i32 s5, 19
	s_cbranch_scc1 .LBB100_359
; %bb.357:
	v_add3_u32 v213, v218, 0, 0x120
	v_mov_b32_e32 v212, 17
	s_mov_b32 s6, 18
	s_set_inst_prefetch_distance 0x1
	.p2align	6
.LBB100_358:                            ; =>This Inner Loop Header: Depth=1
	ds_load_2addr_b64 v[221:224], v213 offset1:1
	s_waitcnt lgkmcnt(1)
	v_cmp_gt_f64_e32 vcc_lo, 0, v[204:205]
	v_xor_b32_e32 v225, 0x80000000, v205
	v_cmp_gt_f64_e64 s2, 0, v[206:207]
	v_xor_b32_e32 v227, 0x80000000, v207
	v_add_nc_u32_e32 v213, 16, v213
	s_waitcnt lgkmcnt(0)
	v_cmp_gt_f64_e64 s3, 0, v[221:222]
	v_mov_b32_e32 v229, v221
	v_dual_mov_b32 v231, v223 :: v_dual_cndmask_b32 v226, v205, v225
	v_xor_b32_e32 v225, 0x80000000, v222
	v_cndmask_b32_e64 v228, v207, v227, s2
	v_xor_b32_e32 v227, 0x80000000, v224
	s_delay_alu instid0(VALU_DEP_3) | instskip(SKIP_2) | instid1(VALU_DEP_2)
	v_cndmask_b32_e64 v230, v222, v225, s3
	v_cmp_gt_f64_e64 s3, 0, v[223:224]
	v_cndmask_b32_e32 v225, v204, v204, vcc_lo
	v_cndmask_b32_e64 v232, v224, v227, s3
	v_cndmask_b32_e64 v227, v206, v206, s2
	s_delay_alu instid0(VALU_DEP_2) | instskip(NEXT) | instid1(VALU_DEP_2)
	v_add_f64 v[229:230], v[229:230], v[231:232]
	v_add_f64 v[225:226], v[225:226], v[227:228]
	s_delay_alu instid0(VALU_DEP_1) | instskip(SKIP_4) | instid1(SALU_CYCLE_1)
	v_cmp_lt_f64_e32 vcc_lo, v[225:226], v[229:230]
	v_dual_cndmask_b32 v206, v206, v223 :: v_dual_cndmask_b32 v205, v205, v222
	v_dual_cndmask_b32 v204, v204, v221 :: v_dual_cndmask_b32 v207, v207, v224
	v_cndmask_b32_e64 v212, v212, s6, vcc_lo
	s_add_i32 s6, s6, 1
	s_cmp_lg_u32 s5, s6
	s_cbranch_scc1 .LBB100_358
.LBB100_359:
	s_set_inst_prefetch_distance 0x2
	s_waitcnt lgkmcnt(0)
	v_cmp_eq_f64_e32 vcc_lo, 0, v[204:205]
	v_cmp_eq_f64_e64 s2, 0, v[206:207]
	s_delay_alu instid0(VALU_DEP_1) | instskip(NEXT) | instid1(SALU_CYCLE_1)
	s_and_b32 s2, vcc_lo, s2
	s_and_saveexec_b32 s3, s2
	s_delay_alu instid0(SALU_CYCLE_1)
	s_xor_b32 s2, exec_lo, s3
; %bb.360:
	v_cmp_ne_u32_e32 vcc_lo, 0, v217
	v_cndmask_b32_e32 v217, 18, v217, vcc_lo
; %bb.361:
	s_and_not1_saveexec_b32 s3, s2
	s_cbranch_execz .LBB100_367
; %bb.362:
	v_cmp_gt_f64_e32 vcc_lo, 0, v[204:205]
	v_cmp_gt_f64_e64 s2, 0, v[206:207]
	v_xor_b32_e32 v213, 0x80000000, v205
	v_xor_b32_e32 v221, 0x80000000, v207
	s_delay_alu instid0(VALU_DEP_2) | instskip(NEXT) | instid1(VALU_DEP_2)
	v_cndmask_b32_e32 v222, v205, v213, vcc_lo
	v_cndmask_b32_e64 v224, v207, v221, s2
	v_cndmask_b32_e32 v221, v204, v204, vcc_lo
	v_cndmask_b32_e64 v223, v206, v206, s2
	s_mov_b32 s2, exec_lo
	s_delay_alu instid0(VALU_DEP_1)
	v_cmpx_ngt_f64_e32 v[221:222], v[223:224]
	s_xor_b32 s2, exec_lo, s2
	s_cbranch_execz .LBB100_364
; %bb.363:
	v_div_scale_f64 v[221:222], null, v[206:207], v[206:207], v[204:205]
	v_div_scale_f64 v[227:228], vcc_lo, v[204:205], v[206:207], v[204:205]
	s_delay_alu instid0(VALU_DEP_2) | instskip(SKIP_2) | instid1(VALU_DEP_1)
	v_rcp_f64_e32 v[223:224], v[221:222]
	s_waitcnt_depctr 0xfff
	v_fma_f64 v[225:226], -v[221:222], v[223:224], 1.0
	v_fma_f64 v[223:224], v[223:224], v[225:226], v[223:224]
	s_delay_alu instid0(VALU_DEP_1) | instskip(NEXT) | instid1(VALU_DEP_1)
	v_fma_f64 v[225:226], -v[221:222], v[223:224], 1.0
	v_fma_f64 v[223:224], v[223:224], v[225:226], v[223:224]
	s_delay_alu instid0(VALU_DEP_1) | instskip(NEXT) | instid1(VALU_DEP_1)
	v_mul_f64 v[225:226], v[227:228], v[223:224]
	v_fma_f64 v[221:222], -v[221:222], v[225:226], v[227:228]
	s_delay_alu instid0(VALU_DEP_1) | instskip(NEXT) | instid1(VALU_DEP_1)
	v_div_fmas_f64 v[221:222], v[221:222], v[223:224], v[225:226]
	v_div_fixup_f64 v[221:222], v[221:222], v[206:207], v[204:205]
	s_delay_alu instid0(VALU_DEP_1) | instskip(NEXT) | instid1(VALU_DEP_1)
	v_fma_f64 v[204:205], v[204:205], v[221:222], v[206:207]
	v_div_scale_f64 v[206:207], null, v[204:205], v[204:205], 1.0
	s_delay_alu instid0(VALU_DEP_1) | instskip(SKIP_2) | instid1(VALU_DEP_1)
	v_rcp_f64_e32 v[223:224], v[206:207]
	s_waitcnt_depctr 0xfff
	v_fma_f64 v[225:226], -v[206:207], v[223:224], 1.0
	v_fma_f64 v[223:224], v[223:224], v[225:226], v[223:224]
	s_delay_alu instid0(VALU_DEP_1) | instskip(NEXT) | instid1(VALU_DEP_1)
	v_fma_f64 v[225:226], -v[206:207], v[223:224], 1.0
	v_fma_f64 v[223:224], v[223:224], v[225:226], v[223:224]
	v_div_scale_f64 v[225:226], vcc_lo, 1.0, v[204:205], 1.0
	s_delay_alu instid0(VALU_DEP_1) | instskip(NEXT) | instid1(VALU_DEP_1)
	v_mul_f64 v[227:228], v[225:226], v[223:224]
	v_fma_f64 v[206:207], -v[206:207], v[227:228], v[225:226]
	s_delay_alu instid0(VALU_DEP_1) | instskip(NEXT) | instid1(VALU_DEP_1)
	v_div_fmas_f64 v[206:207], v[206:207], v[223:224], v[227:228]
	v_div_fixup_f64 v[206:207], v[206:207], v[204:205], 1.0
	s_delay_alu instid0(VALU_DEP_1)
	v_mul_f64 v[204:205], v[221:222], v[206:207]
	v_xor_b32_e32 v207, 0x80000000, v207
.LBB100_364:
	s_and_not1_saveexec_b32 s2, s2
	s_cbranch_execz .LBB100_366
; %bb.365:
	s_delay_alu instid0(VALU_DEP_1) | instskip(SKIP_1) | instid1(VALU_DEP_2)
	v_div_scale_f64 v[221:222], null, v[204:205], v[204:205], v[206:207]
	v_div_scale_f64 v[227:228], vcc_lo, v[206:207], v[204:205], v[206:207]
	v_rcp_f64_e32 v[223:224], v[221:222]
	s_waitcnt_depctr 0xfff
	v_fma_f64 v[225:226], -v[221:222], v[223:224], 1.0
	s_delay_alu instid0(VALU_DEP_1) | instskip(NEXT) | instid1(VALU_DEP_1)
	v_fma_f64 v[223:224], v[223:224], v[225:226], v[223:224]
	v_fma_f64 v[225:226], -v[221:222], v[223:224], 1.0
	s_delay_alu instid0(VALU_DEP_1) | instskip(NEXT) | instid1(VALU_DEP_1)
	v_fma_f64 v[223:224], v[223:224], v[225:226], v[223:224]
	v_mul_f64 v[225:226], v[227:228], v[223:224]
	s_delay_alu instid0(VALU_DEP_1) | instskip(NEXT) | instid1(VALU_DEP_1)
	v_fma_f64 v[221:222], -v[221:222], v[225:226], v[227:228]
	v_div_fmas_f64 v[221:222], v[221:222], v[223:224], v[225:226]
	s_delay_alu instid0(VALU_DEP_1) | instskip(NEXT) | instid1(VALU_DEP_1)
	v_div_fixup_f64 v[221:222], v[221:222], v[204:205], v[206:207]
	v_fma_f64 v[204:205], v[206:207], v[221:222], v[204:205]
	s_delay_alu instid0(VALU_DEP_1) | instskip(NEXT) | instid1(VALU_DEP_1)
	v_div_scale_f64 v[206:207], null, v[204:205], v[204:205], 1.0
	v_rcp_f64_e32 v[223:224], v[206:207]
	s_waitcnt_depctr 0xfff
	v_fma_f64 v[225:226], -v[206:207], v[223:224], 1.0
	s_delay_alu instid0(VALU_DEP_1) | instskip(NEXT) | instid1(VALU_DEP_1)
	v_fma_f64 v[223:224], v[223:224], v[225:226], v[223:224]
	v_fma_f64 v[225:226], -v[206:207], v[223:224], 1.0
	s_delay_alu instid0(VALU_DEP_1) | instskip(SKIP_1) | instid1(VALU_DEP_1)
	v_fma_f64 v[223:224], v[223:224], v[225:226], v[223:224]
	v_div_scale_f64 v[225:226], vcc_lo, 1.0, v[204:205], 1.0
	v_mul_f64 v[227:228], v[225:226], v[223:224]
	s_delay_alu instid0(VALU_DEP_1) | instskip(NEXT) | instid1(VALU_DEP_1)
	v_fma_f64 v[206:207], -v[206:207], v[227:228], v[225:226]
	v_div_fmas_f64 v[206:207], v[206:207], v[223:224], v[227:228]
	s_delay_alu instid0(VALU_DEP_1) | instskip(NEXT) | instid1(VALU_DEP_1)
	v_div_fixup_f64 v[204:205], v[206:207], v[204:205], 1.0
	v_mul_f64 v[206:207], v[221:222], -v[204:205]
.LBB100_366:
	s_or_b32 exec_lo, exec_lo, s2
.LBB100_367:
	s_delay_alu instid0(SALU_CYCLE_1) | instskip(NEXT) | instid1(SALU_CYCLE_1)
	s_or_b32 exec_lo, exec_lo, s3
	s_mov_b32 s2, exec_lo
	v_cmpx_ne_u32_e64 v220, v212
	s_xor_b32 s2, exec_lo, s2
	s_cbranch_execz .LBB100_373
; %bb.368:
	s_mov_b32 s3, exec_lo
	v_cmpx_eq_u32_e32 17, v220
	s_cbranch_execz .LBB100_372
; %bb.369:
	v_cmp_ne_u32_e32 vcc_lo, 17, v212
	s_xor_b32 s6, s4, -1
	s_delay_alu instid0(SALU_CYCLE_1) | instskip(NEXT) | instid1(SALU_CYCLE_1)
	s_and_b32 s7, s6, vcc_lo
	s_and_saveexec_b32 s6, s7
	s_cbranch_execz .LBB100_371
; %bb.370:
	v_ashrrev_i32_e32 v213, 31, v212
	s_delay_alu instid0(VALU_DEP_1) | instskip(NEXT) | instid1(VALU_DEP_1)
	v_lshlrev_b64 v[219:220], 2, v[212:213]
	v_add_co_u32 v219, vcc_lo, v210, v219
	s_delay_alu instid0(VALU_DEP_2)
	v_add_co_ci_u32_e32 v220, vcc_lo, v211, v220, vcc_lo
	s_clause 0x1
	flat_load_b32 v213, v[219:220]
	flat_load_b32 v221, v[210:211] offset:68
	s_waitcnt vmcnt(1) lgkmcnt(1)
	flat_store_b32 v[210:211], v213 offset:68
	s_waitcnt vmcnt(0) lgkmcnt(1)
	flat_store_b32 v[219:220], v221
.LBB100_371:
	s_or_b32 exec_lo, exec_lo, s6
	v_mov_b32_e32 v220, v212
	v_mov_b32_e32 v219, v212
.LBB100_372:
	s_or_b32 exec_lo, exec_lo, s3
.LBB100_373:
	s_and_not1_saveexec_b32 s2, s2
	s_cbranch_execz .LBB100_375
; %bb.374:
	v_mov_b32_e32 v220, 17
	ds_store_2addr_b64 v214, v[128:129], v[130:131] offset0:36 offset1:37
	ds_store_2addr_b64 v214, v[124:125], v[126:127] offset0:38 offset1:39
	;; [unrolled: 1-line block ×33, first 2 shown]
.LBB100_375:
	s_or_b32 exec_lo, exec_lo, s2
	s_delay_alu instid0(SALU_CYCLE_1)
	s_mov_b32 s2, exec_lo
	s_waitcnt lgkmcnt(0)
	s_waitcnt_vscnt null, 0x0
	s_barrier
	buffer_gl0_inv
	v_cmpx_lt_i32_e32 17, v220
	s_cbranch_execz .LBB100_377
; %bb.376:
	v_mul_f64 v[212:213], v[206:207], v[134:135]
	v_mul_f64 v[134:135], v[204:205], v[134:135]
	s_delay_alu instid0(VALU_DEP_2) | instskip(NEXT) | instid1(VALU_DEP_2)
	v_fma_f64 v[212:213], v[204:205], v[132:133], -v[212:213]
	v_fma_f64 v[134:135], v[206:207], v[132:133], v[134:135]
	ds_load_2addr_b64 v[204:207], v214 offset0:36 offset1:37
	s_waitcnt lgkmcnt(0)
	v_mul_f64 v[132:133], v[206:207], v[134:135]
	s_delay_alu instid0(VALU_DEP_1) | instskip(SKIP_1) | instid1(VALU_DEP_2)
	v_fma_f64 v[132:133], v[204:205], v[212:213], -v[132:133]
	v_mul_f64 v[204:205], v[204:205], v[134:135]
	v_add_f64 v[128:129], v[128:129], -v[132:133]
	s_delay_alu instid0(VALU_DEP_2) | instskip(NEXT) | instid1(VALU_DEP_1)
	v_fma_f64 v[204:205], v[206:207], v[212:213], v[204:205]
	v_add_f64 v[130:131], v[130:131], -v[204:205]
	ds_load_2addr_b64 v[204:207], v214 offset0:38 offset1:39
	s_waitcnt lgkmcnt(0)
	v_mul_f64 v[132:133], v[206:207], v[134:135]
	s_delay_alu instid0(VALU_DEP_1) | instskip(SKIP_1) | instid1(VALU_DEP_2)
	v_fma_f64 v[132:133], v[204:205], v[212:213], -v[132:133]
	v_mul_f64 v[204:205], v[204:205], v[134:135]
	v_add_f64 v[124:125], v[124:125], -v[132:133]
	s_delay_alu instid0(VALU_DEP_2) | instskip(NEXT) | instid1(VALU_DEP_1)
	v_fma_f64 v[204:205], v[206:207], v[212:213], v[204:205]
	v_add_f64 v[126:127], v[126:127], -v[204:205]
	ds_load_2addr_b64 v[204:207], v214 offset0:40 offset1:41
	s_waitcnt lgkmcnt(0)
	v_mul_f64 v[132:133], v[206:207], v[134:135]
	s_delay_alu instid0(VALU_DEP_1) | instskip(SKIP_1) | instid1(VALU_DEP_2)
	v_fma_f64 v[132:133], v[204:205], v[212:213], -v[132:133]
	v_mul_f64 v[204:205], v[204:205], v[134:135]
	v_add_f64 v[120:121], v[120:121], -v[132:133]
	s_delay_alu instid0(VALU_DEP_2) | instskip(NEXT) | instid1(VALU_DEP_1)
	v_fma_f64 v[204:205], v[206:207], v[212:213], v[204:205]
	v_add_f64 v[122:123], v[122:123], -v[204:205]
	ds_load_2addr_b64 v[204:207], v214 offset0:42 offset1:43
	s_waitcnt lgkmcnt(0)
	v_mul_f64 v[132:133], v[206:207], v[134:135]
	s_delay_alu instid0(VALU_DEP_1) | instskip(SKIP_1) | instid1(VALU_DEP_2)
	v_fma_f64 v[132:133], v[204:205], v[212:213], -v[132:133]
	v_mul_f64 v[204:205], v[204:205], v[134:135]
	v_add_f64 v[116:117], v[116:117], -v[132:133]
	s_delay_alu instid0(VALU_DEP_2) | instskip(NEXT) | instid1(VALU_DEP_1)
	v_fma_f64 v[204:205], v[206:207], v[212:213], v[204:205]
	v_add_f64 v[118:119], v[118:119], -v[204:205]
	ds_load_2addr_b64 v[204:207], v214 offset0:44 offset1:45
	s_waitcnt lgkmcnt(0)
	v_mul_f64 v[132:133], v[206:207], v[134:135]
	s_delay_alu instid0(VALU_DEP_1) | instskip(SKIP_1) | instid1(VALU_DEP_2)
	v_fma_f64 v[132:133], v[204:205], v[212:213], -v[132:133]
	v_mul_f64 v[204:205], v[204:205], v[134:135]
	v_add_f64 v[112:113], v[112:113], -v[132:133]
	s_delay_alu instid0(VALU_DEP_2) | instskip(NEXT) | instid1(VALU_DEP_1)
	v_fma_f64 v[204:205], v[206:207], v[212:213], v[204:205]
	v_add_f64 v[114:115], v[114:115], -v[204:205]
	ds_load_2addr_b64 v[204:207], v214 offset0:46 offset1:47
	s_waitcnt lgkmcnt(0)
	v_mul_f64 v[132:133], v[206:207], v[134:135]
	s_delay_alu instid0(VALU_DEP_1) | instskip(SKIP_1) | instid1(VALU_DEP_2)
	v_fma_f64 v[132:133], v[204:205], v[212:213], -v[132:133]
	v_mul_f64 v[204:205], v[204:205], v[134:135]
	v_add_f64 v[108:109], v[108:109], -v[132:133]
	s_delay_alu instid0(VALU_DEP_2) | instskip(NEXT) | instid1(VALU_DEP_1)
	v_fma_f64 v[204:205], v[206:207], v[212:213], v[204:205]
	v_add_f64 v[110:111], v[110:111], -v[204:205]
	ds_load_2addr_b64 v[204:207], v214 offset0:48 offset1:49
	s_waitcnt lgkmcnt(0)
	v_mul_f64 v[132:133], v[206:207], v[134:135]
	s_delay_alu instid0(VALU_DEP_1) | instskip(SKIP_1) | instid1(VALU_DEP_2)
	v_fma_f64 v[132:133], v[204:205], v[212:213], -v[132:133]
	v_mul_f64 v[204:205], v[204:205], v[134:135]
	v_add_f64 v[104:105], v[104:105], -v[132:133]
	s_delay_alu instid0(VALU_DEP_2) | instskip(NEXT) | instid1(VALU_DEP_1)
	v_fma_f64 v[204:205], v[206:207], v[212:213], v[204:205]
	v_add_f64 v[106:107], v[106:107], -v[204:205]
	ds_load_2addr_b64 v[204:207], v214 offset0:50 offset1:51
	s_waitcnt lgkmcnt(0)
	v_mul_f64 v[132:133], v[206:207], v[134:135]
	s_delay_alu instid0(VALU_DEP_1) | instskip(SKIP_1) | instid1(VALU_DEP_2)
	v_fma_f64 v[132:133], v[204:205], v[212:213], -v[132:133]
	v_mul_f64 v[204:205], v[204:205], v[134:135]
	v_add_f64 v[100:101], v[100:101], -v[132:133]
	s_delay_alu instid0(VALU_DEP_2) | instskip(NEXT) | instid1(VALU_DEP_1)
	v_fma_f64 v[204:205], v[206:207], v[212:213], v[204:205]
	v_add_f64 v[102:103], v[102:103], -v[204:205]
	ds_load_2addr_b64 v[204:207], v214 offset0:52 offset1:53
	s_waitcnt lgkmcnt(0)
	v_mul_f64 v[132:133], v[206:207], v[134:135]
	s_delay_alu instid0(VALU_DEP_1) | instskip(SKIP_1) | instid1(VALU_DEP_2)
	v_fma_f64 v[132:133], v[204:205], v[212:213], -v[132:133]
	v_mul_f64 v[204:205], v[204:205], v[134:135]
	v_add_f64 v[96:97], v[96:97], -v[132:133]
	s_delay_alu instid0(VALU_DEP_2) | instskip(NEXT) | instid1(VALU_DEP_1)
	v_fma_f64 v[204:205], v[206:207], v[212:213], v[204:205]
	v_add_f64 v[98:99], v[98:99], -v[204:205]
	ds_load_2addr_b64 v[204:207], v214 offset0:54 offset1:55
	s_waitcnt lgkmcnt(0)
	v_mul_f64 v[132:133], v[206:207], v[134:135]
	s_delay_alu instid0(VALU_DEP_1) | instskip(SKIP_1) | instid1(VALU_DEP_2)
	v_fma_f64 v[132:133], v[204:205], v[212:213], -v[132:133]
	v_mul_f64 v[204:205], v[204:205], v[134:135]
	v_add_f64 v[92:93], v[92:93], -v[132:133]
	s_delay_alu instid0(VALU_DEP_2) | instskip(NEXT) | instid1(VALU_DEP_1)
	v_fma_f64 v[204:205], v[206:207], v[212:213], v[204:205]
	v_add_f64 v[94:95], v[94:95], -v[204:205]
	ds_load_2addr_b64 v[204:207], v214 offset0:56 offset1:57
	s_waitcnt lgkmcnt(0)
	v_mul_f64 v[132:133], v[206:207], v[134:135]
	s_delay_alu instid0(VALU_DEP_1) | instskip(SKIP_1) | instid1(VALU_DEP_2)
	v_fma_f64 v[132:133], v[204:205], v[212:213], -v[132:133]
	v_mul_f64 v[204:205], v[204:205], v[134:135]
	v_add_f64 v[88:89], v[88:89], -v[132:133]
	s_delay_alu instid0(VALU_DEP_2) | instskip(NEXT) | instid1(VALU_DEP_1)
	v_fma_f64 v[204:205], v[206:207], v[212:213], v[204:205]
	v_add_f64 v[90:91], v[90:91], -v[204:205]
	ds_load_2addr_b64 v[204:207], v214 offset0:58 offset1:59
	s_waitcnt lgkmcnt(0)
	v_mul_f64 v[132:133], v[206:207], v[134:135]
	s_delay_alu instid0(VALU_DEP_1) | instskip(SKIP_1) | instid1(VALU_DEP_2)
	v_fma_f64 v[132:133], v[204:205], v[212:213], -v[132:133]
	v_mul_f64 v[204:205], v[204:205], v[134:135]
	v_add_f64 v[84:85], v[84:85], -v[132:133]
	s_delay_alu instid0(VALU_DEP_2) | instskip(NEXT) | instid1(VALU_DEP_1)
	v_fma_f64 v[204:205], v[206:207], v[212:213], v[204:205]
	v_add_f64 v[86:87], v[86:87], -v[204:205]
	ds_load_2addr_b64 v[204:207], v214 offset0:60 offset1:61
	s_waitcnt lgkmcnt(0)
	v_mul_f64 v[132:133], v[206:207], v[134:135]
	s_delay_alu instid0(VALU_DEP_1) | instskip(SKIP_1) | instid1(VALU_DEP_2)
	v_fma_f64 v[132:133], v[204:205], v[212:213], -v[132:133]
	v_mul_f64 v[204:205], v[204:205], v[134:135]
	v_add_f64 v[80:81], v[80:81], -v[132:133]
	s_delay_alu instid0(VALU_DEP_2) | instskip(NEXT) | instid1(VALU_DEP_1)
	v_fma_f64 v[204:205], v[206:207], v[212:213], v[204:205]
	v_add_f64 v[82:83], v[82:83], -v[204:205]
	ds_load_2addr_b64 v[204:207], v214 offset0:62 offset1:63
	s_waitcnt lgkmcnt(0)
	v_mul_f64 v[132:133], v[206:207], v[134:135]
	s_delay_alu instid0(VALU_DEP_1) | instskip(SKIP_1) | instid1(VALU_DEP_2)
	v_fma_f64 v[132:133], v[204:205], v[212:213], -v[132:133]
	v_mul_f64 v[204:205], v[204:205], v[134:135]
	v_add_f64 v[76:77], v[76:77], -v[132:133]
	s_delay_alu instid0(VALU_DEP_2) | instskip(NEXT) | instid1(VALU_DEP_1)
	v_fma_f64 v[204:205], v[206:207], v[212:213], v[204:205]
	v_add_f64 v[78:79], v[78:79], -v[204:205]
	ds_load_2addr_b64 v[204:207], v214 offset0:64 offset1:65
	s_waitcnt lgkmcnt(0)
	v_mul_f64 v[132:133], v[206:207], v[134:135]
	s_delay_alu instid0(VALU_DEP_1) | instskip(SKIP_1) | instid1(VALU_DEP_2)
	v_fma_f64 v[132:133], v[204:205], v[212:213], -v[132:133]
	v_mul_f64 v[204:205], v[204:205], v[134:135]
	v_add_f64 v[72:73], v[72:73], -v[132:133]
	s_delay_alu instid0(VALU_DEP_2) | instskip(NEXT) | instid1(VALU_DEP_1)
	v_fma_f64 v[204:205], v[206:207], v[212:213], v[204:205]
	v_add_f64 v[74:75], v[74:75], -v[204:205]
	ds_load_2addr_b64 v[204:207], v214 offset0:66 offset1:67
	s_waitcnt lgkmcnt(0)
	v_mul_f64 v[132:133], v[206:207], v[134:135]
	s_delay_alu instid0(VALU_DEP_1) | instskip(SKIP_1) | instid1(VALU_DEP_2)
	v_fma_f64 v[132:133], v[204:205], v[212:213], -v[132:133]
	v_mul_f64 v[204:205], v[204:205], v[134:135]
	v_add_f64 v[68:69], v[68:69], -v[132:133]
	s_delay_alu instid0(VALU_DEP_2) | instskip(NEXT) | instid1(VALU_DEP_1)
	v_fma_f64 v[204:205], v[206:207], v[212:213], v[204:205]
	v_add_f64 v[70:71], v[70:71], -v[204:205]
	ds_load_2addr_b64 v[204:207], v214 offset0:68 offset1:69
	s_waitcnt lgkmcnt(0)
	v_mul_f64 v[132:133], v[206:207], v[134:135]
	s_delay_alu instid0(VALU_DEP_1) | instskip(SKIP_1) | instid1(VALU_DEP_2)
	v_fma_f64 v[132:133], v[204:205], v[212:213], -v[132:133]
	v_mul_f64 v[204:205], v[204:205], v[134:135]
	v_add_f64 v[64:65], v[64:65], -v[132:133]
	s_delay_alu instid0(VALU_DEP_2) | instskip(NEXT) | instid1(VALU_DEP_1)
	v_fma_f64 v[204:205], v[206:207], v[212:213], v[204:205]
	v_add_f64 v[66:67], v[66:67], -v[204:205]
	ds_load_2addr_b64 v[204:207], v214 offset0:70 offset1:71
	s_waitcnt lgkmcnt(0)
	v_mul_f64 v[132:133], v[206:207], v[134:135]
	s_delay_alu instid0(VALU_DEP_1) | instskip(SKIP_1) | instid1(VALU_DEP_2)
	v_fma_f64 v[132:133], v[204:205], v[212:213], -v[132:133]
	v_mul_f64 v[204:205], v[204:205], v[134:135]
	v_add_f64 v[60:61], v[60:61], -v[132:133]
	s_delay_alu instid0(VALU_DEP_2) | instskip(NEXT) | instid1(VALU_DEP_1)
	v_fma_f64 v[204:205], v[206:207], v[212:213], v[204:205]
	v_add_f64 v[62:63], v[62:63], -v[204:205]
	ds_load_2addr_b64 v[204:207], v214 offset0:72 offset1:73
	s_waitcnt lgkmcnt(0)
	v_mul_f64 v[132:133], v[206:207], v[134:135]
	s_delay_alu instid0(VALU_DEP_1) | instskip(SKIP_1) | instid1(VALU_DEP_2)
	v_fma_f64 v[132:133], v[204:205], v[212:213], -v[132:133]
	v_mul_f64 v[204:205], v[204:205], v[134:135]
	v_add_f64 v[56:57], v[56:57], -v[132:133]
	s_delay_alu instid0(VALU_DEP_2) | instskip(NEXT) | instid1(VALU_DEP_1)
	v_fma_f64 v[204:205], v[206:207], v[212:213], v[204:205]
	v_add_f64 v[58:59], v[58:59], -v[204:205]
	ds_load_2addr_b64 v[204:207], v214 offset0:74 offset1:75
	s_waitcnt lgkmcnt(0)
	v_mul_f64 v[132:133], v[206:207], v[134:135]
	s_delay_alu instid0(VALU_DEP_1) | instskip(SKIP_1) | instid1(VALU_DEP_2)
	v_fma_f64 v[132:133], v[204:205], v[212:213], -v[132:133]
	v_mul_f64 v[204:205], v[204:205], v[134:135]
	v_add_f64 v[52:53], v[52:53], -v[132:133]
	s_delay_alu instid0(VALU_DEP_2) | instskip(NEXT) | instid1(VALU_DEP_1)
	v_fma_f64 v[204:205], v[206:207], v[212:213], v[204:205]
	v_add_f64 v[54:55], v[54:55], -v[204:205]
	ds_load_2addr_b64 v[204:207], v214 offset0:76 offset1:77
	s_waitcnt lgkmcnt(0)
	v_mul_f64 v[132:133], v[206:207], v[134:135]
	s_delay_alu instid0(VALU_DEP_1) | instskip(SKIP_1) | instid1(VALU_DEP_2)
	v_fma_f64 v[132:133], v[204:205], v[212:213], -v[132:133]
	v_mul_f64 v[204:205], v[204:205], v[134:135]
	v_add_f64 v[48:49], v[48:49], -v[132:133]
	s_delay_alu instid0(VALU_DEP_2) | instskip(NEXT) | instid1(VALU_DEP_1)
	v_fma_f64 v[204:205], v[206:207], v[212:213], v[204:205]
	v_add_f64 v[50:51], v[50:51], -v[204:205]
	ds_load_2addr_b64 v[204:207], v214 offset0:78 offset1:79
	s_waitcnt lgkmcnt(0)
	v_mul_f64 v[132:133], v[206:207], v[134:135]
	s_delay_alu instid0(VALU_DEP_1) | instskip(SKIP_1) | instid1(VALU_DEP_2)
	v_fma_f64 v[132:133], v[204:205], v[212:213], -v[132:133]
	v_mul_f64 v[204:205], v[204:205], v[134:135]
	v_add_f64 v[44:45], v[44:45], -v[132:133]
	s_delay_alu instid0(VALU_DEP_2) | instskip(NEXT) | instid1(VALU_DEP_1)
	v_fma_f64 v[204:205], v[206:207], v[212:213], v[204:205]
	v_add_f64 v[46:47], v[46:47], -v[204:205]
	ds_load_2addr_b64 v[204:207], v214 offset0:80 offset1:81
	s_waitcnt lgkmcnt(0)
	v_mul_f64 v[132:133], v[206:207], v[134:135]
	s_delay_alu instid0(VALU_DEP_1) | instskip(SKIP_1) | instid1(VALU_DEP_2)
	v_fma_f64 v[132:133], v[204:205], v[212:213], -v[132:133]
	v_mul_f64 v[204:205], v[204:205], v[134:135]
	v_add_f64 v[40:41], v[40:41], -v[132:133]
	s_delay_alu instid0(VALU_DEP_2) | instskip(NEXT) | instid1(VALU_DEP_1)
	v_fma_f64 v[204:205], v[206:207], v[212:213], v[204:205]
	v_add_f64 v[42:43], v[42:43], -v[204:205]
	ds_load_2addr_b64 v[204:207], v214 offset0:82 offset1:83
	s_waitcnt lgkmcnt(0)
	v_mul_f64 v[132:133], v[206:207], v[134:135]
	s_delay_alu instid0(VALU_DEP_1) | instskip(SKIP_1) | instid1(VALU_DEP_2)
	v_fma_f64 v[132:133], v[204:205], v[212:213], -v[132:133]
	v_mul_f64 v[204:205], v[204:205], v[134:135]
	v_add_f64 v[36:37], v[36:37], -v[132:133]
	s_delay_alu instid0(VALU_DEP_2) | instskip(NEXT) | instid1(VALU_DEP_1)
	v_fma_f64 v[204:205], v[206:207], v[212:213], v[204:205]
	v_add_f64 v[38:39], v[38:39], -v[204:205]
	ds_load_2addr_b64 v[204:207], v214 offset0:84 offset1:85
	s_waitcnt lgkmcnt(0)
	v_mul_f64 v[132:133], v[206:207], v[134:135]
	s_delay_alu instid0(VALU_DEP_1) | instskip(SKIP_1) | instid1(VALU_DEP_2)
	v_fma_f64 v[132:133], v[204:205], v[212:213], -v[132:133]
	v_mul_f64 v[204:205], v[204:205], v[134:135]
	v_add_f64 v[32:33], v[32:33], -v[132:133]
	s_delay_alu instid0(VALU_DEP_2) | instskip(NEXT) | instid1(VALU_DEP_1)
	v_fma_f64 v[204:205], v[206:207], v[212:213], v[204:205]
	v_add_f64 v[34:35], v[34:35], -v[204:205]
	ds_load_2addr_b64 v[204:207], v214 offset0:86 offset1:87
	s_waitcnt lgkmcnt(0)
	v_mul_f64 v[132:133], v[206:207], v[134:135]
	s_delay_alu instid0(VALU_DEP_1) | instskip(SKIP_1) | instid1(VALU_DEP_2)
	v_fma_f64 v[132:133], v[204:205], v[212:213], -v[132:133]
	v_mul_f64 v[204:205], v[204:205], v[134:135]
	v_add_f64 v[28:29], v[28:29], -v[132:133]
	s_delay_alu instid0(VALU_DEP_2) | instskip(NEXT) | instid1(VALU_DEP_1)
	v_fma_f64 v[204:205], v[206:207], v[212:213], v[204:205]
	v_add_f64 v[30:31], v[30:31], -v[204:205]
	ds_load_2addr_b64 v[204:207], v214 offset0:88 offset1:89
	s_waitcnt lgkmcnt(0)
	v_mul_f64 v[132:133], v[206:207], v[134:135]
	s_delay_alu instid0(VALU_DEP_1) | instskip(SKIP_1) | instid1(VALU_DEP_2)
	v_fma_f64 v[132:133], v[204:205], v[212:213], -v[132:133]
	v_mul_f64 v[204:205], v[204:205], v[134:135]
	v_add_f64 v[24:25], v[24:25], -v[132:133]
	s_delay_alu instid0(VALU_DEP_2) | instskip(NEXT) | instid1(VALU_DEP_1)
	v_fma_f64 v[204:205], v[206:207], v[212:213], v[204:205]
	v_add_f64 v[26:27], v[26:27], -v[204:205]
	ds_load_2addr_b64 v[204:207], v214 offset0:90 offset1:91
	s_waitcnt lgkmcnt(0)
	v_mul_f64 v[132:133], v[206:207], v[134:135]
	s_delay_alu instid0(VALU_DEP_1) | instskip(SKIP_1) | instid1(VALU_DEP_2)
	v_fma_f64 v[132:133], v[204:205], v[212:213], -v[132:133]
	v_mul_f64 v[204:205], v[204:205], v[134:135]
	v_add_f64 v[20:21], v[20:21], -v[132:133]
	s_delay_alu instid0(VALU_DEP_2) | instskip(NEXT) | instid1(VALU_DEP_1)
	v_fma_f64 v[204:205], v[206:207], v[212:213], v[204:205]
	v_add_f64 v[22:23], v[22:23], -v[204:205]
	ds_load_2addr_b64 v[204:207], v214 offset0:92 offset1:93
	s_waitcnt lgkmcnt(0)
	v_mul_f64 v[132:133], v[206:207], v[134:135]
	s_delay_alu instid0(VALU_DEP_1) | instskip(SKIP_1) | instid1(VALU_DEP_2)
	v_fma_f64 v[132:133], v[204:205], v[212:213], -v[132:133]
	v_mul_f64 v[204:205], v[204:205], v[134:135]
	v_add_f64 v[16:17], v[16:17], -v[132:133]
	s_delay_alu instid0(VALU_DEP_2) | instskip(NEXT) | instid1(VALU_DEP_1)
	v_fma_f64 v[204:205], v[206:207], v[212:213], v[204:205]
	v_add_f64 v[18:19], v[18:19], -v[204:205]
	ds_load_2addr_b64 v[204:207], v214 offset0:94 offset1:95
	s_waitcnt lgkmcnt(0)
	v_mul_f64 v[132:133], v[206:207], v[134:135]
	s_delay_alu instid0(VALU_DEP_1) | instskip(SKIP_1) | instid1(VALU_DEP_2)
	v_fma_f64 v[132:133], v[204:205], v[212:213], -v[132:133]
	v_mul_f64 v[204:205], v[204:205], v[134:135]
	v_add_f64 v[12:13], v[12:13], -v[132:133]
	s_delay_alu instid0(VALU_DEP_2) | instskip(NEXT) | instid1(VALU_DEP_1)
	v_fma_f64 v[204:205], v[206:207], v[212:213], v[204:205]
	v_add_f64 v[14:15], v[14:15], -v[204:205]
	ds_load_2addr_b64 v[204:207], v214 offset0:96 offset1:97
	s_waitcnt lgkmcnt(0)
	v_mul_f64 v[132:133], v[206:207], v[134:135]
	s_delay_alu instid0(VALU_DEP_1) | instskip(SKIP_1) | instid1(VALU_DEP_2)
	v_fma_f64 v[132:133], v[204:205], v[212:213], -v[132:133]
	v_mul_f64 v[204:205], v[204:205], v[134:135]
	v_add_f64 v[8:9], v[8:9], -v[132:133]
	s_delay_alu instid0(VALU_DEP_2) | instskip(NEXT) | instid1(VALU_DEP_1)
	v_fma_f64 v[204:205], v[206:207], v[212:213], v[204:205]
	v_add_f64 v[10:11], v[10:11], -v[204:205]
	ds_load_2addr_b64 v[204:207], v214 offset0:98 offset1:99
	s_waitcnt lgkmcnt(0)
	v_mul_f64 v[132:133], v[206:207], v[134:135]
	s_delay_alu instid0(VALU_DEP_1) | instskip(SKIP_1) | instid1(VALU_DEP_2)
	v_fma_f64 v[132:133], v[204:205], v[212:213], -v[132:133]
	v_mul_f64 v[204:205], v[204:205], v[134:135]
	v_add_f64 v[4:5], v[4:5], -v[132:133]
	s_delay_alu instid0(VALU_DEP_2) | instskip(NEXT) | instid1(VALU_DEP_1)
	v_fma_f64 v[204:205], v[206:207], v[212:213], v[204:205]
	v_add_f64 v[6:7], v[6:7], -v[204:205]
	ds_load_2addr_b64 v[204:207], v214 offset0:100 offset1:101
	s_waitcnt lgkmcnt(0)
	v_mul_f64 v[132:133], v[206:207], v[134:135]
	s_delay_alu instid0(VALU_DEP_1) | instskip(SKIP_1) | instid1(VALU_DEP_2)
	v_fma_f64 v[132:133], v[204:205], v[212:213], -v[132:133]
	v_mul_f64 v[204:205], v[204:205], v[134:135]
	v_add_f64 v[0:1], v[0:1], -v[132:133]
	s_delay_alu instid0(VALU_DEP_2) | instskip(SKIP_1) | instid1(VALU_DEP_2)
	v_fma_f64 v[204:205], v[206:207], v[212:213], v[204:205]
	v_dual_mov_b32 v132, v212 :: v_dual_mov_b32 v133, v213
	v_add_f64 v[2:3], v[2:3], -v[204:205]
.LBB100_377:
	s_or_b32 exec_lo, exec_lo, s2
	v_lshl_add_u32 v204, v220, 4, v214
	s_barrier
	buffer_gl0_inv
	v_mov_b32_e32 v212, 18
	ds_store_2addr_b64 v204, v[128:129], v[130:131] offset1:1
	s_waitcnt lgkmcnt(0)
	s_barrier
	buffer_gl0_inv
	ds_load_2addr_b64 v[204:207], v214 offset0:36 offset1:37
	s_cmp_lt_i32 s5, 20
	s_cbranch_scc1 .LBB100_380
; %bb.378:
	v_add3_u32 v213, v218, 0, 0x130
	v_mov_b32_e32 v212, 18
	s_mov_b32 s6, 19
	s_set_inst_prefetch_distance 0x1
	.p2align	6
.LBB100_379:                            ; =>This Inner Loop Header: Depth=1
	ds_load_2addr_b64 v[221:224], v213 offset1:1
	s_waitcnt lgkmcnt(1)
	v_cmp_gt_f64_e32 vcc_lo, 0, v[204:205]
	v_xor_b32_e32 v225, 0x80000000, v205
	v_cmp_gt_f64_e64 s2, 0, v[206:207]
	v_xor_b32_e32 v227, 0x80000000, v207
	v_add_nc_u32_e32 v213, 16, v213
	s_waitcnt lgkmcnt(0)
	v_cmp_gt_f64_e64 s3, 0, v[221:222]
	v_mov_b32_e32 v229, v221
	v_dual_mov_b32 v231, v223 :: v_dual_cndmask_b32 v226, v205, v225
	v_xor_b32_e32 v225, 0x80000000, v222
	v_cndmask_b32_e64 v228, v207, v227, s2
	v_xor_b32_e32 v227, 0x80000000, v224
	s_delay_alu instid0(VALU_DEP_3) | instskip(SKIP_2) | instid1(VALU_DEP_2)
	v_cndmask_b32_e64 v230, v222, v225, s3
	v_cmp_gt_f64_e64 s3, 0, v[223:224]
	v_cndmask_b32_e32 v225, v204, v204, vcc_lo
	v_cndmask_b32_e64 v232, v224, v227, s3
	v_cndmask_b32_e64 v227, v206, v206, s2
	s_delay_alu instid0(VALU_DEP_2) | instskip(NEXT) | instid1(VALU_DEP_2)
	v_add_f64 v[229:230], v[229:230], v[231:232]
	v_add_f64 v[225:226], v[225:226], v[227:228]
	s_delay_alu instid0(VALU_DEP_1) | instskip(SKIP_4) | instid1(SALU_CYCLE_1)
	v_cmp_lt_f64_e32 vcc_lo, v[225:226], v[229:230]
	v_dual_cndmask_b32 v206, v206, v223 :: v_dual_cndmask_b32 v205, v205, v222
	v_dual_cndmask_b32 v204, v204, v221 :: v_dual_cndmask_b32 v207, v207, v224
	v_cndmask_b32_e64 v212, v212, s6, vcc_lo
	s_add_i32 s6, s6, 1
	s_cmp_lg_u32 s5, s6
	s_cbranch_scc1 .LBB100_379
.LBB100_380:
	s_set_inst_prefetch_distance 0x2
	s_waitcnt lgkmcnt(0)
	v_cmp_eq_f64_e32 vcc_lo, 0, v[204:205]
	v_cmp_eq_f64_e64 s2, 0, v[206:207]
	s_delay_alu instid0(VALU_DEP_1) | instskip(NEXT) | instid1(SALU_CYCLE_1)
	s_and_b32 s2, vcc_lo, s2
	s_and_saveexec_b32 s3, s2
	s_delay_alu instid0(SALU_CYCLE_1)
	s_xor_b32 s2, exec_lo, s3
; %bb.381:
	v_cmp_ne_u32_e32 vcc_lo, 0, v217
	v_cndmask_b32_e32 v217, 19, v217, vcc_lo
; %bb.382:
	s_and_not1_saveexec_b32 s3, s2
	s_cbranch_execz .LBB100_388
; %bb.383:
	v_cmp_gt_f64_e32 vcc_lo, 0, v[204:205]
	v_cmp_gt_f64_e64 s2, 0, v[206:207]
	v_xor_b32_e32 v213, 0x80000000, v205
	v_xor_b32_e32 v221, 0x80000000, v207
	s_delay_alu instid0(VALU_DEP_2) | instskip(NEXT) | instid1(VALU_DEP_2)
	v_cndmask_b32_e32 v222, v205, v213, vcc_lo
	v_cndmask_b32_e64 v224, v207, v221, s2
	v_cndmask_b32_e32 v221, v204, v204, vcc_lo
	v_cndmask_b32_e64 v223, v206, v206, s2
	s_mov_b32 s2, exec_lo
	s_delay_alu instid0(VALU_DEP_1)
	v_cmpx_ngt_f64_e32 v[221:222], v[223:224]
	s_xor_b32 s2, exec_lo, s2
	s_cbranch_execz .LBB100_385
; %bb.384:
	v_div_scale_f64 v[221:222], null, v[206:207], v[206:207], v[204:205]
	v_div_scale_f64 v[227:228], vcc_lo, v[204:205], v[206:207], v[204:205]
	s_delay_alu instid0(VALU_DEP_2) | instskip(SKIP_2) | instid1(VALU_DEP_1)
	v_rcp_f64_e32 v[223:224], v[221:222]
	s_waitcnt_depctr 0xfff
	v_fma_f64 v[225:226], -v[221:222], v[223:224], 1.0
	v_fma_f64 v[223:224], v[223:224], v[225:226], v[223:224]
	s_delay_alu instid0(VALU_DEP_1) | instskip(NEXT) | instid1(VALU_DEP_1)
	v_fma_f64 v[225:226], -v[221:222], v[223:224], 1.0
	v_fma_f64 v[223:224], v[223:224], v[225:226], v[223:224]
	s_delay_alu instid0(VALU_DEP_1) | instskip(NEXT) | instid1(VALU_DEP_1)
	v_mul_f64 v[225:226], v[227:228], v[223:224]
	v_fma_f64 v[221:222], -v[221:222], v[225:226], v[227:228]
	s_delay_alu instid0(VALU_DEP_1) | instskip(NEXT) | instid1(VALU_DEP_1)
	v_div_fmas_f64 v[221:222], v[221:222], v[223:224], v[225:226]
	v_div_fixup_f64 v[221:222], v[221:222], v[206:207], v[204:205]
	s_delay_alu instid0(VALU_DEP_1) | instskip(NEXT) | instid1(VALU_DEP_1)
	v_fma_f64 v[204:205], v[204:205], v[221:222], v[206:207]
	v_div_scale_f64 v[206:207], null, v[204:205], v[204:205], 1.0
	s_delay_alu instid0(VALU_DEP_1) | instskip(SKIP_2) | instid1(VALU_DEP_1)
	v_rcp_f64_e32 v[223:224], v[206:207]
	s_waitcnt_depctr 0xfff
	v_fma_f64 v[225:226], -v[206:207], v[223:224], 1.0
	v_fma_f64 v[223:224], v[223:224], v[225:226], v[223:224]
	s_delay_alu instid0(VALU_DEP_1) | instskip(NEXT) | instid1(VALU_DEP_1)
	v_fma_f64 v[225:226], -v[206:207], v[223:224], 1.0
	v_fma_f64 v[223:224], v[223:224], v[225:226], v[223:224]
	v_div_scale_f64 v[225:226], vcc_lo, 1.0, v[204:205], 1.0
	s_delay_alu instid0(VALU_DEP_1) | instskip(NEXT) | instid1(VALU_DEP_1)
	v_mul_f64 v[227:228], v[225:226], v[223:224]
	v_fma_f64 v[206:207], -v[206:207], v[227:228], v[225:226]
	s_delay_alu instid0(VALU_DEP_1) | instskip(NEXT) | instid1(VALU_DEP_1)
	v_div_fmas_f64 v[206:207], v[206:207], v[223:224], v[227:228]
	v_div_fixup_f64 v[206:207], v[206:207], v[204:205], 1.0
	s_delay_alu instid0(VALU_DEP_1)
	v_mul_f64 v[204:205], v[221:222], v[206:207]
	v_xor_b32_e32 v207, 0x80000000, v207
.LBB100_385:
	s_and_not1_saveexec_b32 s2, s2
	s_cbranch_execz .LBB100_387
; %bb.386:
	s_delay_alu instid0(VALU_DEP_1) | instskip(SKIP_1) | instid1(VALU_DEP_2)
	v_div_scale_f64 v[221:222], null, v[204:205], v[204:205], v[206:207]
	v_div_scale_f64 v[227:228], vcc_lo, v[206:207], v[204:205], v[206:207]
	v_rcp_f64_e32 v[223:224], v[221:222]
	s_waitcnt_depctr 0xfff
	v_fma_f64 v[225:226], -v[221:222], v[223:224], 1.0
	s_delay_alu instid0(VALU_DEP_1) | instskip(NEXT) | instid1(VALU_DEP_1)
	v_fma_f64 v[223:224], v[223:224], v[225:226], v[223:224]
	v_fma_f64 v[225:226], -v[221:222], v[223:224], 1.0
	s_delay_alu instid0(VALU_DEP_1) | instskip(NEXT) | instid1(VALU_DEP_1)
	v_fma_f64 v[223:224], v[223:224], v[225:226], v[223:224]
	v_mul_f64 v[225:226], v[227:228], v[223:224]
	s_delay_alu instid0(VALU_DEP_1) | instskip(NEXT) | instid1(VALU_DEP_1)
	v_fma_f64 v[221:222], -v[221:222], v[225:226], v[227:228]
	v_div_fmas_f64 v[221:222], v[221:222], v[223:224], v[225:226]
	s_delay_alu instid0(VALU_DEP_1) | instskip(NEXT) | instid1(VALU_DEP_1)
	v_div_fixup_f64 v[221:222], v[221:222], v[204:205], v[206:207]
	v_fma_f64 v[204:205], v[206:207], v[221:222], v[204:205]
	s_delay_alu instid0(VALU_DEP_1) | instskip(NEXT) | instid1(VALU_DEP_1)
	v_div_scale_f64 v[206:207], null, v[204:205], v[204:205], 1.0
	v_rcp_f64_e32 v[223:224], v[206:207]
	s_waitcnt_depctr 0xfff
	v_fma_f64 v[225:226], -v[206:207], v[223:224], 1.0
	s_delay_alu instid0(VALU_DEP_1) | instskip(NEXT) | instid1(VALU_DEP_1)
	v_fma_f64 v[223:224], v[223:224], v[225:226], v[223:224]
	v_fma_f64 v[225:226], -v[206:207], v[223:224], 1.0
	s_delay_alu instid0(VALU_DEP_1) | instskip(SKIP_1) | instid1(VALU_DEP_1)
	v_fma_f64 v[223:224], v[223:224], v[225:226], v[223:224]
	v_div_scale_f64 v[225:226], vcc_lo, 1.0, v[204:205], 1.0
	v_mul_f64 v[227:228], v[225:226], v[223:224]
	s_delay_alu instid0(VALU_DEP_1) | instskip(NEXT) | instid1(VALU_DEP_1)
	v_fma_f64 v[206:207], -v[206:207], v[227:228], v[225:226]
	v_div_fmas_f64 v[206:207], v[206:207], v[223:224], v[227:228]
	s_delay_alu instid0(VALU_DEP_1) | instskip(NEXT) | instid1(VALU_DEP_1)
	v_div_fixup_f64 v[204:205], v[206:207], v[204:205], 1.0
	v_mul_f64 v[206:207], v[221:222], -v[204:205]
.LBB100_387:
	s_or_b32 exec_lo, exec_lo, s2
.LBB100_388:
	s_delay_alu instid0(SALU_CYCLE_1) | instskip(NEXT) | instid1(SALU_CYCLE_1)
	s_or_b32 exec_lo, exec_lo, s3
	s_mov_b32 s2, exec_lo
	v_cmpx_ne_u32_e64 v220, v212
	s_xor_b32 s2, exec_lo, s2
	s_cbranch_execz .LBB100_394
; %bb.389:
	s_mov_b32 s3, exec_lo
	v_cmpx_eq_u32_e32 18, v220
	s_cbranch_execz .LBB100_393
; %bb.390:
	v_cmp_ne_u32_e32 vcc_lo, 18, v212
	s_xor_b32 s6, s4, -1
	s_delay_alu instid0(SALU_CYCLE_1) | instskip(NEXT) | instid1(SALU_CYCLE_1)
	s_and_b32 s7, s6, vcc_lo
	s_and_saveexec_b32 s6, s7
	s_cbranch_execz .LBB100_392
; %bb.391:
	v_ashrrev_i32_e32 v213, 31, v212
	s_delay_alu instid0(VALU_DEP_1) | instskip(NEXT) | instid1(VALU_DEP_1)
	v_lshlrev_b64 v[219:220], 2, v[212:213]
	v_add_co_u32 v219, vcc_lo, v210, v219
	s_delay_alu instid0(VALU_DEP_2)
	v_add_co_ci_u32_e32 v220, vcc_lo, v211, v220, vcc_lo
	s_clause 0x1
	flat_load_b32 v213, v[219:220]
	flat_load_b32 v221, v[210:211] offset:72
	s_waitcnt vmcnt(1) lgkmcnt(1)
	flat_store_b32 v[210:211], v213 offset:72
	s_waitcnt vmcnt(0) lgkmcnt(1)
	flat_store_b32 v[219:220], v221
.LBB100_392:
	s_or_b32 exec_lo, exec_lo, s6
	v_mov_b32_e32 v220, v212
	v_mov_b32_e32 v219, v212
.LBB100_393:
	s_or_b32 exec_lo, exec_lo, s3
.LBB100_394:
	s_and_not1_saveexec_b32 s2, s2
	s_cbranch_execz .LBB100_396
; %bb.395:
	v_mov_b32_e32 v220, 18
	ds_store_2addr_b64 v214, v[124:125], v[126:127] offset0:38 offset1:39
	ds_store_2addr_b64 v214, v[120:121], v[122:123] offset0:40 offset1:41
	;; [unrolled: 1-line block ×32, first 2 shown]
.LBB100_396:
	s_or_b32 exec_lo, exec_lo, s2
	s_delay_alu instid0(SALU_CYCLE_1)
	s_mov_b32 s2, exec_lo
	s_waitcnt lgkmcnt(0)
	s_waitcnt_vscnt null, 0x0
	s_barrier
	buffer_gl0_inv
	v_cmpx_lt_i32_e32 18, v220
	s_cbranch_execz .LBB100_398
; %bb.397:
	v_mul_f64 v[212:213], v[206:207], v[130:131]
	v_mul_f64 v[130:131], v[204:205], v[130:131]
	s_delay_alu instid0(VALU_DEP_2) | instskip(NEXT) | instid1(VALU_DEP_2)
	v_fma_f64 v[212:213], v[204:205], v[128:129], -v[212:213]
	v_fma_f64 v[130:131], v[206:207], v[128:129], v[130:131]
	ds_load_2addr_b64 v[204:207], v214 offset0:38 offset1:39
	s_waitcnt lgkmcnt(0)
	v_mul_f64 v[128:129], v[206:207], v[130:131]
	s_delay_alu instid0(VALU_DEP_1) | instskip(SKIP_1) | instid1(VALU_DEP_2)
	v_fma_f64 v[128:129], v[204:205], v[212:213], -v[128:129]
	v_mul_f64 v[204:205], v[204:205], v[130:131]
	v_add_f64 v[124:125], v[124:125], -v[128:129]
	s_delay_alu instid0(VALU_DEP_2) | instskip(NEXT) | instid1(VALU_DEP_1)
	v_fma_f64 v[204:205], v[206:207], v[212:213], v[204:205]
	v_add_f64 v[126:127], v[126:127], -v[204:205]
	ds_load_2addr_b64 v[204:207], v214 offset0:40 offset1:41
	s_waitcnt lgkmcnt(0)
	v_mul_f64 v[128:129], v[206:207], v[130:131]
	s_delay_alu instid0(VALU_DEP_1) | instskip(SKIP_1) | instid1(VALU_DEP_2)
	v_fma_f64 v[128:129], v[204:205], v[212:213], -v[128:129]
	v_mul_f64 v[204:205], v[204:205], v[130:131]
	v_add_f64 v[120:121], v[120:121], -v[128:129]
	s_delay_alu instid0(VALU_DEP_2) | instskip(NEXT) | instid1(VALU_DEP_1)
	v_fma_f64 v[204:205], v[206:207], v[212:213], v[204:205]
	v_add_f64 v[122:123], v[122:123], -v[204:205]
	;; [unrolled: 10-line block ×31, first 2 shown]
	ds_load_2addr_b64 v[204:207], v214 offset0:100 offset1:101
	s_waitcnt lgkmcnt(0)
	v_mul_f64 v[128:129], v[206:207], v[130:131]
	s_delay_alu instid0(VALU_DEP_1) | instskip(SKIP_1) | instid1(VALU_DEP_2)
	v_fma_f64 v[128:129], v[204:205], v[212:213], -v[128:129]
	v_mul_f64 v[204:205], v[204:205], v[130:131]
	v_add_f64 v[0:1], v[0:1], -v[128:129]
	s_delay_alu instid0(VALU_DEP_2) | instskip(SKIP_1) | instid1(VALU_DEP_2)
	v_fma_f64 v[204:205], v[206:207], v[212:213], v[204:205]
	v_dual_mov_b32 v128, v212 :: v_dual_mov_b32 v129, v213
	v_add_f64 v[2:3], v[2:3], -v[204:205]
.LBB100_398:
	s_or_b32 exec_lo, exec_lo, s2
	v_lshl_add_u32 v204, v220, 4, v214
	s_barrier
	buffer_gl0_inv
	v_mov_b32_e32 v212, 19
	ds_store_2addr_b64 v204, v[124:125], v[126:127] offset1:1
	s_waitcnt lgkmcnt(0)
	s_barrier
	buffer_gl0_inv
	ds_load_2addr_b64 v[204:207], v214 offset0:38 offset1:39
	s_cmp_lt_i32 s5, 21
	s_cbranch_scc1 .LBB100_401
; %bb.399:
	v_add3_u32 v213, v218, 0, 0x140
	v_mov_b32_e32 v212, 19
	s_mov_b32 s6, 20
	s_set_inst_prefetch_distance 0x1
	.p2align	6
.LBB100_400:                            ; =>This Inner Loop Header: Depth=1
	ds_load_2addr_b64 v[221:224], v213 offset1:1
	s_waitcnt lgkmcnt(1)
	v_cmp_gt_f64_e32 vcc_lo, 0, v[204:205]
	v_xor_b32_e32 v225, 0x80000000, v205
	v_cmp_gt_f64_e64 s2, 0, v[206:207]
	v_xor_b32_e32 v227, 0x80000000, v207
	v_add_nc_u32_e32 v213, 16, v213
	s_waitcnt lgkmcnt(0)
	v_cmp_gt_f64_e64 s3, 0, v[221:222]
	v_mov_b32_e32 v229, v221
	v_dual_mov_b32 v231, v223 :: v_dual_cndmask_b32 v226, v205, v225
	v_xor_b32_e32 v225, 0x80000000, v222
	v_cndmask_b32_e64 v228, v207, v227, s2
	v_xor_b32_e32 v227, 0x80000000, v224
	s_delay_alu instid0(VALU_DEP_3) | instskip(SKIP_2) | instid1(VALU_DEP_2)
	v_cndmask_b32_e64 v230, v222, v225, s3
	v_cmp_gt_f64_e64 s3, 0, v[223:224]
	v_cndmask_b32_e32 v225, v204, v204, vcc_lo
	v_cndmask_b32_e64 v232, v224, v227, s3
	v_cndmask_b32_e64 v227, v206, v206, s2
	s_delay_alu instid0(VALU_DEP_2) | instskip(NEXT) | instid1(VALU_DEP_2)
	v_add_f64 v[229:230], v[229:230], v[231:232]
	v_add_f64 v[225:226], v[225:226], v[227:228]
	s_delay_alu instid0(VALU_DEP_1) | instskip(SKIP_4) | instid1(SALU_CYCLE_1)
	v_cmp_lt_f64_e32 vcc_lo, v[225:226], v[229:230]
	v_dual_cndmask_b32 v206, v206, v223 :: v_dual_cndmask_b32 v205, v205, v222
	v_dual_cndmask_b32 v204, v204, v221 :: v_dual_cndmask_b32 v207, v207, v224
	v_cndmask_b32_e64 v212, v212, s6, vcc_lo
	s_add_i32 s6, s6, 1
	s_cmp_lg_u32 s5, s6
	s_cbranch_scc1 .LBB100_400
.LBB100_401:
	s_set_inst_prefetch_distance 0x2
	s_waitcnt lgkmcnt(0)
	v_cmp_eq_f64_e32 vcc_lo, 0, v[204:205]
	v_cmp_eq_f64_e64 s2, 0, v[206:207]
	s_delay_alu instid0(VALU_DEP_1) | instskip(NEXT) | instid1(SALU_CYCLE_1)
	s_and_b32 s2, vcc_lo, s2
	s_and_saveexec_b32 s3, s2
	s_delay_alu instid0(SALU_CYCLE_1)
	s_xor_b32 s2, exec_lo, s3
; %bb.402:
	v_cmp_ne_u32_e32 vcc_lo, 0, v217
	v_cndmask_b32_e32 v217, 20, v217, vcc_lo
; %bb.403:
	s_and_not1_saveexec_b32 s3, s2
	s_cbranch_execz .LBB100_409
; %bb.404:
	v_cmp_gt_f64_e32 vcc_lo, 0, v[204:205]
	v_cmp_gt_f64_e64 s2, 0, v[206:207]
	v_xor_b32_e32 v213, 0x80000000, v205
	v_xor_b32_e32 v221, 0x80000000, v207
	s_delay_alu instid0(VALU_DEP_2) | instskip(NEXT) | instid1(VALU_DEP_2)
	v_cndmask_b32_e32 v222, v205, v213, vcc_lo
	v_cndmask_b32_e64 v224, v207, v221, s2
	v_cndmask_b32_e32 v221, v204, v204, vcc_lo
	v_cndmask_b32_e64 v223, v206, v206, s2
	s_mov_b32 s2, exec_lo
	s_delay_alu instid0(VALU_DEP_1)
	v_cmpx_ngt_f64_e32 v[221:222], v[223:224]
	s_xor_b32 s2, exec_lo, s2
	s_cbranch_execz .LBB100_406
; %bb.405:
	v_div_scale_f64 v[221:222], null, v[206:207], v[206:207], v[204:205]
	v_div_scale_f64 v[227:228], vcc_lo, v[204:205], v[206:207], v[204:205]
	s_delay_alu instid0(VALU_DEP_2) | instskip(SKIP_2) | instid1(VALU_DEP_1)
	v_rcp_f64_e32 v[223:224], v[221:222]
	s_waitcnt_depctr 0xfff
	v_fma_f64 v[225:226], -v[221:222], v[223:224], 1.0
	v_fma_f64 v[223:224], v[223:224], v[225:226], v[223:224]
	s_delay_alu instid0(VALU_DEP_1) | instskip(NEXT) | instid1(VALU_DEP_1)
	v_fma_f64 v[225:226], -v[221:222], v[223:224], 1.0
	v_fma_f64 v[223:224], v[223:224], v[225:226], v[223:224]
	s_delay_alu instid0(VALU_DEP_1) | instskip(NEXT) | instid1(VALU_DEP_1)
	v_mul_f64 v[225:226], v[227:228], v[223:224]
	v_fma_f64 v[221:222], -v[221:222], v[225:226], v[227:228]
	s_delay_alu instid0(VALU_DEP_1) | instskip(NEXT) | instid1(VALU_DEP_1)
	v_div_fmas_f64 v[221:222], v[221:222], v[223:224], v[225:226]
	v_div_fixup_f64 v[221:222], v[221:222], v[206:207], v[204:205]
	s_delay_alu instid0(VALU_DEP_1) | instskip(NEXT) | instid1(VALU_DEP_1)
	v_fma_f64 v[204:205], v[204:205], v[221:222], v[206:207]
	v_div_scale_f64 v[206:207], null, v[204:205], v[204:205], 1.0
	s_delay_alu instid0(VALU_DEP_1) | instskip(SKIP_2) | instid1(VALU_DEP_1)
	v_rcp_f64_e32 v[223:224], v[206:207]
	s_waitcnt_depctr 0xfff
	v_fma_f64 v[225:226], -v[206:207], v[223:224], 1.0
	v_fma_f64 v[223:224], v[223:224], v[225:226], v[223:224]
	s_delay_alu instid0(VALU_DEP_1) | instskip(NEXT) | instid1(VALU_DEP_1)
	v_fma_f64 v[225:226], -v[206:207], v[223:224], 1.0
	v_fma_f64 v[223:224], v[223:224], v[225:226], v[223:224]
	v_div_scale_f64 v[225:226], vcc_lo, 1.0, v[204:205], 1.0
	s_delay_alu instid0(VALU_DEP_1) | instskip(NEXT) | instid1(VALU_DEP_1)
	v_mul_f64 v[227:228], v[225:226], v[223:224]
	v_fma_f64 v[206:207], -v[206:207], v[227:228], v[225:226]
	s_delay_alu instid0(VALU_DEP_1) | instskip(NEXT) | instid1(VALU_DEP_1)
	v_div_fmas_f64 v[206:207], v[206:207], v[223:224], v[227:228]
	v_div_fixup_f64 v[206:207], v[206:207], v[204:205], 1.0
	s_delay_alu instid0(VALU_DEP_1)
	v_mul_f64 v[204:205], v[221:222], v[206:207]
	v_xor_b32_e32 v207, 0x80000000, v207
.LBB100_406:
	s_and_not1_saveexec_b32 s2, s2
	s_cbranch_execz .LBB100_408
; %bb.407:
	s_delay_alu instid0(VALU_DEP_1) | instskip(SKIP_1) | instid1(VALU_DEP_2)
	v_div_scale_f64 v[221:222], null, v[204:205], v[204:205], v[206:207]
	v_div_scale_f64 v[227:228], vcc_lo, v[206:207], v[204:205], v[206:207]
	v_rcp_f64_e32 v[223:224], v[221:222]
	s_waitcnt_depctr 0xfff
	v_fma_f64 v[225:226], -v[221:222], v[223:224], 1.0
	s_delay_alu instid0(VALU_DEP_1) | instskip(NEXT) | instid1(VALU_DEP_1)
	v_fma_f64 v[223:224], v[223:224], v[225:226], v[223:224]
	v_fma_f64 v[225:226], -v[221:222], v[223:224], 1.0
	s_delay_alu instid0(VALU_DEP_1) | instskip(NEXT) | instid1(VALU_DEP_1)
	v_fma_f64 v[223:224], v[223:224], v[225:226], v[223:224]
	v_mul_f64 v[225:226], v[227:228], v[223:224]
	s_delay_alu instid0(VALU_DEP_1) | instskip(NEXT) | instid1(VALU_DEP_1)
	v_fma_f64 v[221:222], -v[221:222], v[225:226], v[227:228]
	v_div_fmas_f64 v[221:222], v[221:222], v[223:224], v[225:226]
	s_delay_alu instid0(VALU_DEP_1) | instskip(NEXT) | instid1(VALU_DEP_1)
	v_div_fixup_f64 v[221:222], v[221:222], v[204:205], v[206:207]
	v_fma_f64 v[204:205], v[206:207], v[221:222], v[204:205]
	s_delay_alu instid0(VALU_DEP_1) | instskip(NEXT) | instid1(VALU_DEP_1)
	v_div_scale_f64 v[206:207], null, v[204:205], v[204:205], 1.0
	v_rcp_f64_e32 v[223:224], v[206:207]
	s_waitcnt_depctr 0xfff
	v_fma_f64 v[225:226], -v[206:207], v[223:224], 1.0
	s_delay_alu instid0(VALU_DEP_1) | instskip(NEXT) | instid1(VALU_DEP_1)
	v_fma_f64 v[223:224], v[223:224], v[225:226], v[223:224]
	v_fma_f64 v[225:226], -v[206:207], v[223:224], 1.0
	s_delay_alu instid0(VALU_DEP_1) | instskip(SKIP_1) | instid1(VALU_DEP_1)
	v_fma_f64 v[223:224], v[223:224], v[225:226], v[223:224]
	v_div_scale_f64 v[225:226], vcc_lo, 1.0, v[204:205], 1.0
	v_mul_f64 v[227:228], v[225:226], v[223:224]
	s_delay_alu instid0(VALU_DEP_1) | instskip(NEXT) | instid1(VALU_DEP_1)
	v_fma_f64 v[206:207], -v[206:207], v[227:228], v[225:226]
	v_div_fmas_f64 v[206:207], v[206:207], v[223:224], v[227:228]
	s_delay_alu instid0(VALU_DEP_1) | instskip(NEXT) | instid1(VALU_DEP_1)
	v_div_fixup_f64 v[204:205], v[206:207], v[204:205], 1.0
	v_mul_f64 v[206:207], v[221:222], -v[204:205]
.LBB100_408:
	s_or_b32 exec_lo, exec_lo, s2
.LBB100_409:
	s_delay_alu instid0(SALU_CYCLE_1) | instskip(NEXT) | instid1(SALU_CYCLE_1)
	s_or_b32 exec_lo, exec_lo, s3
	s_mov_b32 s2, exec_lo
	v_cmpx_ne_u32_e64 v220, v212
	s_xor_b32 s2, exec_lo, s2
	s_cbranch_execz .LBB100_415
; %bb.410:
	s_mov_b32 s3, exec_lo
	v_cmpx_eq_u32_e32 19, v220
	s_cbranch_execz .LBB100_414
; %bb.411:
	v_cmp_ne_u32_e32 vcc_lo, 19, v212
	s_xor_b32 s6, s4, -1
	s_delay_alu instid0(SALU_CYCLE_1) | instskip(NEXT) | instid1(SALU_CYCLE_1)
	s_and_b32 s7, s6, vcc_lo
	s_and_saveexec_b32 s6, s7
	s_cbranch_execz .LBB100_413
; %bb.412:
	v_ashrrev_i32_e32 v213, 31, v212
	s_delay_alu instid0(VALU_DEP_1) | instskip(NEXT) | instid1(VALU_DEP_1)
	v_lshlrev_b64 v[219:220], 2, v[212:213]
	v_add_co_u32 v219, vcc_lo, v210, v219
	s_delay_alu instid0(VALU_DEP_2)
	v_add_co_ci_u32_e32 v220, vcc_lo, v211, v220, vcc_lo
	s_clause 0x1
	flat_load_b32 v213, v[219:220]
	flat_load_b32 v221, v[210:211] offset:76
	s_waitcnt vmcnt(1) lgkmcnt(1)
	flat_store_b32 v[210:211], v213 offset:76
	s_waitcnt vmcnt(0) lgkmcnt(1)
	flat_store_b32 v[219:220], v221
.LBB100_413:
	s_or_b32 exec_lo, exec_lo, s6
	v_mov_b32_e32 v220, v212
	v_mov_b32_e32 v219, v212
.LBB100_414:
	s_or_b32 exec_lo, exec_lo, s3
.LBB100_415:
	s_and_not1_saveexec_b32 s2, s2
	s_cbranch_execz .LBB100_417
; %bb.416:
	v_mov_b32_e32 v220, 19
	ds_store_2addr_b64 v214, v[120:121], v[122:123] offset0:40 offset1:41
	ds_store_2addr_b64 v214, v[116:117], v[118:119] offset0:42 offset1:43
	;; [unrolled: 1-line block ×31, first 2 shown]
.LBB100_417:
	s_or_b32 exec_lo, exec_lo, s2
	s_delay_alu instid0(SALU_CYCLE_1)
	s_mov_b32 s2, exec_lo
	s_waitcnt lgkmcnt(0)
	s_waitcnt_vscnt null, 0x0
	s_barrier
	buffer_gl0_inv
	v_cmpx_lt_i32_e32 19, v220
	s_cbranch_execz .LBB100_419
; %bb.418:
	v_mul_f64 v[212:213], v[206:207], v[126:127]
	v_mul_f64 v[126:127], v[204:205], v[126:127]
	s_delay_alu instid0(VALU_DEP_2) | instskip(NEXT) | instid1(VALU_DEP_2)
	v_fma_f64 v[212:213], v[204:205], v[124:125], -v[212:213]
	v_fma_f64 v[126:127], v[206:207], v[124:125], v[126:127]
	ds_load_2addr_b64 v[204:207], v214 offset0:40 offset1:41
	s_waitcnt lgkmcnt(0)
	v_mul_f64 v[124:125], v[206:207], v[126:127]
	s_delay_alu instid0(VALU_DEP_1) | instskip(SKIP_1) | instid1(VALU_DEP_2)
	v_fma_f64 v[124:125], v[204:205], v[212:213], -v[124:125]
	v_mul_f64 v[204:205], v[204:205], v[126:127]
	v_add_f64 v[120:121], v[120:121], -v[124:125]
	s_delay_alu instid0(VALU_DEP_2) | instskip(NEXT) | instid1(VALU_DEP_1)
	v_fma_f64 v[204:205], v[206:207], v[212:213], v[204:205]
	v_add_f64 v[122:123], v[122:123], -v[204:205]
	ds_load_2addr_b64 v[204:207], v214 offset0:42 offset1:43
	s_waitcnt lgkmcnt(0)
	v_mul_f64 v[124:125], v[206:207], v[126:127]
	s_delay_alu instid0(VALU_DEP_1) | instskip(SKIP_1) | instid1(VALU_DEP_2)
	v_fma_f64 v[124:125], v[204:205], v[212:213], -v[124:125]
	v_mul_f64 v[204:205], v[204:205], v[126:127]
	v_add_f64 v[116:117], v[116:117], -v[124:125]
	s_delay_alu instid0(VALU_DEP_2) | instskip(NEXT) | instid1(VALU_DEP_1)
	v_fma_f64 v[204:205], v[206:207], v[212:213], v[204:205]
	v_add_f64 v[118:119], v[118:119], -v[204:205]
	ds_load_2addr_b64 v[204:207], v214 offset0:44 offset1:45
	s_waitcnt lgkmcnt(0)
	v_mul_f64 v[124:125], v[206:207], v[126:127]
	s_delay_alu instid0(VALU_DEP_1) | instskip(SKIP_1) | instid1(VALU_DEP_2)
	v_fma_f64 v[124:125], v[204:205], v[212:213], -v[124:125]
	v_mul_f64 v[204:205], v[204:205], v[126:127]
	v_add_f64 v[112:113], v[112:113], -v[124:125]
	s_delay_alu instid0(VALU_DEP_2) | instskip(NEXT) | instid1(VALU_DEP_1)
	v_fma_f64 v[204:205], v[206:207], v[212:213], v[204:205]
	v_add_f64 v[114:115], v[114:115], -v[204:205]
	ds_load_2addr_b64 v[204:207], v214 offset0:46 offset1:47
	s_waitcnt lgkmcnt(0)
	v_mul_f64 v[124:125], v[206:207], v[126:127]
	s_delay_alu instid0(VALU_DEP_1) | instskip(SKIP_1) | instid1(VALU_DEP_2)
	v_fma_f64 v[124:125], v[204:205], v[212:213], -v[124:125]
	v_mul_f64 v[204:205], v[204:205], v[126:127]
	v_add_f64 v[108:109], v[108:109], -v[124:125]
	s_delay_alu instid0(VALU_DEP_2) | instskip(NEXT) | instid1(VALU_DEP_1)
	v_fma_f64 v[204:205], v[206:207], v[212:213], v[204:205]
	v_add_f64 v[110:111], v[110:111], -v[204:205]
	ds_load_2addr_b64 v[204:207], v214 offset0:48 offset1:49
	s_waitcnt lgkmcnt(0)
	v_mul_f64 v[124:125], v[206:207], v[126:127]
	s_delay_alu instid0(VALU_DEP_1) | instskip(SKIP_1) | instid1(VALU_DEP_2)
	v_fma_f64 v[124:125], v[204:205], v[212:213], -v[124:125]
	v_mul_f64 v[204:205], v[204:205], v[126:127]
	v_add_f64 v[104:105], v[104:105], -v[124:125]
	s_delay_alu instid0(VALU_DEP_2) | instskip(NEXT) | instid1(VALU_DEP_1)
	v_fma_f64 v[204:205], v[206:207], v[212:213], v[204:205]
	v_add_f64 v[106:107], v[106:107], -v[204:205]
	ds_load_2addr_b64 v[204:207], v214 offset0:50 offset1:51
	s_waitcnt lgkmcnt(0)
	v_mul_f64 v[124:125], v[206:207], v[126:127]
	s_delay_alu instid0(VALU_DEP_1) | instskip(SKIP_1) | instid1(VALU_DEP_2)
	v_fma_f64 v[124:125], v[204:205], v[212:213], -v[124:125]
	v_mul_f64 v[204:205], v[204:205], v[126:127]
	v_add_f64 v[100:101], v[100:101], -v[124:125]
	s_delay_alu instid0(VALU_DEP_2) | instskip(NEXT) | instid1(VALU_DEP_1)
	v_fma_f64 v[204:205], v[206:207], v[212:213], v[204:205]
	v_add_f64 v[102:103], v[102:103], -v[204:205]
	ds_load_2addr_b64 v[204:207], v214 offset0:52 offset1:53
	s_waitcnt lgkmcnt(0)
	v_mul_f64 v[124:125], v[206:207], v[126:127]
	s_delay_alu instid0(VALU_DEP_1) | instskip(SKIP_1) | instid1(VALU_DEP_2)
	v_fma_f64 v[124:125], v[204:205], v[212:213], -v[124:125]
	v_mul_f64 v[204:205], v[204:205], v[126:127]
	v_add_f64 v[96:97], v[96:97], -v[124:125]
	s_delay_alu instid0(VALU_DEP_2) | instskip(NEXT) | instid1(VALU_DEP_1)
	v_fma_f64 v[204:205], v[206:207], v[212:213], v[204:205]
	v_add_f64 v[98:99], v[98:99], -v[204:205]
	ds_load_2addr_b64 v[204:207], v214 offset0:54 offset1:55
	s_waitcnt lgkmcnt(0)
	v_mul_f64 v[124:125], v[206:207], v[126:127]
	s_delay_alu instid0(VALU_DEP_1) | instskip(SKIP_1) | instid1(VALU_DEP_2)
	v_fma_f64 v[124:125], v[204:205], v[212:213], -v[124:125]
	v_mul_f64 v[204:205], v[204:205], v[126:127]
	v_add_f64 v[92:93], v[92:93], -v[124:125]
	s_delay_alu instid0(VALU_DEP_2) | instskip(NEXT) | instid1(VALU_DEP_1)
	v_fma_f64 v[204:205], v[206:207], v[212:213], v[204:205]
	v_add_f64 v[94:95], v[94:95], -v[204:205]
	ds_load_2addr_b64 v[204:207], v214 offset0:56 offset1:57
	s_waitcnt lgkmcnt(0)
	v_mul_f64 v[124:125], v[206:207], v[126:127]
	s_delay_alu instid0(VALU_DEP_1) | instskip(SKIP_1) | instid1(VALU_DEP_2)
	v_fma_f64 v[124:125], v[204:205], v[212:213], -v[124:125]
	v_mul_f64 v[204:205], v[204:205], v[126:127]
	v_add_f64 v[88:89], v[88:89], -v[124:125]
	s_delay_alu instid0(VALU_DEP_2) | instskip(NEXT) | instid1(VALU_DEP_1)
	v_fma_f64 v[204:205], v[206:207], v[212:213], v[204:205]
	v_add_f64 v[90:91], v[90:91], -v[204:205]
	ds_load_2addr_b64 v[204:207], v214 offset0:58 offset1:59
	s_waitcnt lgkmcnt(0)
	v_mul_f64 v[124:125], v[206:207], v[126:127]
	s_delay_alu instid0(VALU_DEP_1) | instskip(SKIP_1) | instid1(VALU_DEP_2)
	v_fma_f64 v[124:125], v[204:205], v[212:213], -v[124:125]
	v_mul_f64 v[204:205], v[204:205], v[126:127]
	v_add_f64 v[84:85], v[84:85], -v[124:125]
	s_delay_alu instid0(VALU_DEP_2) | instskip(NEXT) | instid1(VALU_DEP_1)
	v_fma_f64 v[204:205], v[206:207], v[212:213], v[204:205]
	v_add_f64 v[86:87], v[86:87], -v[204:205]
	ds_load_2addr_b64 v[204:207], v214 offset0:60 offset1:61
	s_waitcnt lgkmcnt(0)
	v_mul_f64 v[124:125], v[206:207], v[126:127]
	s_delay_alu instid0(VALU_DEP_1) | instskip(SKIP_1) | instid1(VALU_DEP_2)
	v_fma_f64 v[124:125], v[204:205], v[212:213], -v[124:125]
	v_mul_f64 v[204:205], v[204:205], v[126:127]
	v_add_f64 v[80:81], v[80:81], -v[124:125]
	s_delay_alu instid0(VALU_DEP_2) | instskip(NEXT) | instid1(VALU_DEP_1)
	v_fma_f64 v[204:205], v[206:207], v[212:213], v[204:205]
	v_add_f64 v[82:83], v[82:83], -v[204:205]
	ds_load_2addr_b64 v[204:207], v214 offset0:62 offset1:63
	s_waitcnt lgkmcnt(0)
	v_mul_f64 v[124:125], v[206:207], v[126:127]
	s_delay_alu instid0(VALU_DEP_1) | instskip(SKIP_1) | instid1(VALU_DEP_2)
	v_fma_f64 v[124:125], v[204:205], v[212:213], -v[124:125]
	v_mul_f64 v[204:205], v[204:205], v[126:127]
	v_add_f64 v[76:77], v[76:77], -v[124:125]
	s_delay_alu instid0(VALU_DEP_2) | instskip(NEXT) | instid1(VALU_DEP_1)
	v_fma_f64 v[204:205], v[206:207], v[212:213], v[204:205]
	v_add_f64 v[78:79], v[78:79], -v[204:205]
	ds_load_2addr_b64 v[204:207], v214 offset0:64 offset1:65
	s_waitcnt lgkmcnt(0)
	v_mul_f64 v[124:125], v[206:207], v[126:127]
	s_delay_alu instid0(VALU_DEP_1) | instskip(SKIP_1) | instid1(VALU_DEP_2)
	v_fma_f64 v[124:125], v[204:205], v[212:213], -v[124:125]
	v_mul_f64 v[204:205], v[204:205], v[126:127]
	v_add_f64 v[72:73], v[72:73], -v[124:125]
	s_delay_alu instid0(VALU_DEP_2) | instskip(NEXT) | instid1(VALU_DEP_1)
	v_fma_f64 v[204:205], v[206:207], v[212:213], v[204:205]
	v_add_f64 v[74:75], v[74:75], -v[204:205]
	ds_load_2addr_b64 v[204:207], v214 offset0:66 offset1:67
	s_waitcnt lgkmcnt(0)
	v_mul_f64 v[124:125], v[206:207], v[126:127]
	s_delay_alu instid0(VALU_DEP_1) | instskip(SKIP_1) | instid1(VALU_DEP_2)
	v_fma_f64 v[124:125], v[204:205], v[212:213], -v[124:125]
	v_mul_f64 v[204:205], v[204:205], v[126:127]
	v_add_f64 v[68:69], v[68:69], -v[124:125]
	s_delay_alu instid0(VALU_DEP_2) | instskip(NEXT) | instid1(VALU_DEP_1)
	v_fma_f64 v[204:205], v[206:207], v[212:213], v[204:205]
	v_add_f64 v[70:71], v[70:71], -v[204:205]
	ds_load_2addr_b64 v[204:207], v214 offset0:68 offset1:69
	s_waitcnt lgkmcnt(0)
	v_mul_f64 v[124:125], v[206:207], v[126:127]
	s_delay_alu instid0(VALU_DEP_1) | instskip(SKIP_1) | instid1(VALU_DEP_2)
	v_fma_f64 v[124:125], v[204:205], v[212:213], -v[124:125]
	v_mul_f64 v[204:205], v[204:205], v[126:127]
	v_add_f64 v[64:65], v[64:65], -v[124:125]
	s_delay_alu instid0(VALU_DEP_2) | instskip(NEXT) | instid1(VALU_DEP_1)
	v_fma_f64 v[204:205], v[206:207], v[212:213], v[204:205]
	v_add_f64 v[66:67], v[66:67], -v[204:205]
	ds_load_2addr_b64 v[204:207], v214 offset0:70 offset1:71
	s_waitcnt lgkmcnt(0)
	v_mul_f64 v[124:125], v[206:207], v[126:127]
	s_delay_alu instid0(VALU_DEP_1) | instskip(SKIP_1) | instid1(VALU_DEP_2)
	v_fma_f64 v[124:125], v[204:205], v[212:213], -v[124:125]
	v_mul_f64 v[204:205], v[204:205], v[126:127]
	v_add_f64 v[60:61], v[60:61], -v[124:125]
	s_delay_alu instid0(VALU_DEP_2) | instskip(NEXT) | instid1(VALU_DEP_1)
	v_fma_f64 v[204:205], v[206:207], v[212:213], v[204:205]
	v_add_f64 v[62:63], v[62:63], -v[204:205]
	ds_load_2addr_b64 v[204:207], v214 offset0:72 offset1:73
	s_waitcnt lgkmcnt(0)
	v_mul_f64 v[124:125], v[206:207], v[126:127]
	s_delay_alu instid0(VALU_DEP_1) | instskip(SKIP_1) | instid1(VALU_DEP_2)
	v_fma_f64 v[124:125], v[204:205], v[212:213], -v[124:125]
	v_mul_f64 v[204:205], v[204:205], v[126:127]
	v_add_f64 v[56:57], v[56:57], -v[124:125]
	s_delay_alu instid0(VALU_DEP_2) | instskip(NEXT) | instid1(VALU_DEP_1)
	v_fma_f64 v[204:205], v[206:207], v[212:213], v[204:205]
	v_add_f64 v[58:59], v[58:59], -v[204:205]
	ds_load_2addr_b64 v[204:207], v214 offset0:74 offset1:75
	s_waitcnt lgkmcnt(0)
	v_mul_f64 v[124:125], v[206:207], v[126:127]
	s_delay_alu instid0(VALU_DEP_1) | instskip(SKIP_1) | instid1(VALU_DEP_2)
	v_fma_f64 v[124:125], v[204:205], v[212:213], -v[124:125]
	v_mul_f64 v[204:205], v[204:205], v[126:127]
	v_add_f64 v[52:53], v[52:53], -v[124:125]
	s_delay_alu instid0(VALU_DEP_2) | instskip(NEXT) | instid1(VALU_DEP_1)
	v_fma_f64 v[204:205], v[206:207], v[212:213], v[204:205]
	v_add_f64 v[54:55], v[54:55], -v[204:205]
	ds_load_2addr_b64 v[204:207], v214 offset0:76 offset1:77
	s_waitcnt lgkmcnt(0)
	v_mul_f64 v[124:125], v[206:207], v[126:127]
	s_delay_alu instid0(VALU_DEP_1) | instskip(SKIP_1) | instid1(VALU_DEP_2)
	v_fma_f64 v[124:125], v[204:205], v[212:213], -v[124:125]
	v_mul_f64 v[204:205], v[204:205], v[126:127]
	v_add_f64 v[48:49], v[48:49], -v[124:125]
	s_delay_alu instid0(VALU_DEP_2) | instskip(NEXT) | instid1(VALU_DEP_1)
	v_fma_f64 v[204:205], v[206:207], v[212:213], v[204:205]
	v_add_f64 v[50:51], v[50:51], -v[204:205]
	ds_load_2addr_b64 v[204:207], v214 offset0:78 offset1:79
	s_waitcnt lgkmcnt(0)
	v_mul_f64 v[124:125], v[206:207], v[126:127]
	s_delay_alu instid0(VALU_DEP_1) | instskip(SKIP_1) | instid1(VALU_DEP_2)
	v_fma_f64 v[124:125], v[204:205], v[212:213], -v[124:125]
	v_mul_f64 v[204:205], v[204:205], v[126:127]
	v_add_f64 v[44:45], v[44:45], -v[124:125]
	s_delay_alu instid0(VALU_DEP_2) | instskip(NEXT) | instid1(VALU_DEP_1)
	v_fma_f64 v[204:205], v[206:207], v[212:213], v[204:205]
	v_add_f64 v[46:47], v[46:47], -v[204:205]
	ds_load_2addr_b64 v[204:207], v214 offset0:80 offset1:81
	s_waitcnt lgkmcnt(0)
	v_mul_f64 v[124:125], v[206:207], v[126:127]
	s_delay_alu instid0(VALU_DEP_1) | instskip(SKIP_1) | instid1(VALU_DEP_2)
	v_fma_f64 v[124:125], v[204:205], v[212:213], -v[124:125]
	v_mul_f64 v[204:205], v[204:205], v[126:127]
	v_add_f64 v[40:41], v[40:41], -v[124:125]
	s_delay_alu instid0(VALU_DEP_2) | instskip(NEXT) | instid1(VALU_DEP_1)
	v_fma_f64 v[204:205], v[206:207], v[212:213], v[204:205]
	v_add_f64 v[42:43], v[42:43], -v[204:205]
	ds_load_2addr_b64 v[204:207], v214 offset0:82 offset1:83
	s_waitcnt lgkmcnt(0)
	v_mul_f64 v[124:125], v[206:207], v[126:127]
	s_delay_alu instid0(VALU_DEP_1) | instskip(SKIP_1) | instid1(VALU_DEP_2)
	v_fma_f64 v[124:125], v[204:205], v[212:213], -v[124:125]
	v_mul_f64 v[204:205], v[204:205], v[126:127]
	v_add_f64 v[36:37], v[36:37], -v[124:125]
	s_delay_alu instid0(VALU_DEP_2) | instskip(NEXT) | instid1(VALU_DEP_1)
	v_fma_f64 v[204:205], v[206:207], v[212:213], v[204:205]
	v_add_f64 v[38:39], v[38:39], -v[204:205]
	ds_load_2addr_b64 v[204:207], v214 offset0:84 offset1:85
	s_waitcnt lgkmcnt(0)
	v_mul_f64 v[124:125], v[206:207], v[126:127]
	s_delay_alu instid0(VALU_DEP_1) | instskip(SKIP_1) | instid1(VALU_DEP_2)
	v_fma_f64 v[124:125], v[204:205], v[212:213], -v[124:125]
	v_mul_f64 v[204:205], v[204:205], v[126:127]
	v_add_f64 v[32:33], v[32:33], -v[124:125]
	s_delay_alu instid0(VALU_DEP_2) | instskip(NEXT) | instid1(VALU_DEP_1)
	v_fma_f64 v[204:205], v[206:207], v[212:213], v[204:205]
	v_add_f64 v[34:35], v[34:35], -v[204:205]
	ds_load_2addr_b64 v[204:207], v214 offset0:86 offset1:87
	s_waitcnt lgkmcnt(0)
	v_mul_f64 v[124:125], v[206:207], v[126:127]
	s_delay_alu instid0(VALU_DEP_1) | instskip(SKIP_1) | instid1(VALU_DEP_2)
	v_fma_f64 v[124:125], v[204:205], v[212:213], -v[124:125]
	v_mul_f64 v[204:205], v[204:205], v[126:127]
	v_add_f64 v[28:29], v[28:29], -v[124:125]
	s_delay_alu instid0(VALU_DEP_2) | instskip(NEXT) | instid1(VALU_DEP_1)
	v_fma_f64 v[204:205], v[206:207], v[212:213], v[204:205]
	v_add_f64 v[30:31], v[30:31], -v[204:205]
	ds_load_2addr_b64 v[204:207], v214 offset0:88 offset1:89
	s_waitcnt lgkmcnt(0)
	v_mul_f64 v[124:125], v[206:207], v[126:127]
	s_delay_alu instid0(VALU_DEP_1) | instskip(SKIP_1) | instid1(VALU_DEP_2)
	v_fma_f64 v[124:125], v[204:205], v[212:213], -v[124:125]
	v_mul_f64 v[204:205], v[204:205], v[126:127]
	v_add_f64 v[24:25], v[24:25], -v[124:125]
	s_delay_alu instid0(VALU_DEP_2) | instskip(NEXT) | instid1(VALU_DEP_1)
	v_fma_f64 v[204:205], v[206:207], v[212:213], v[204:205]
	v_add_f64 v[26:27], v[26:27], -v[204:205]
	ds_load_2addr_b64 v[204:207], v214 offset0:90 offset1:91
	s_waitcnt lgkmcnt(0)
	v_mul_f64 v[124:125], v[206:207], v[126:127]
	s_delay_alu instid0(VALU_DEP_1) | instskip(SKIP_1) | instid1(VALU_DEP_2)
	v_fma_f64 v[124:125], v[204:205], v[212:213], -v[124:125]
	v_mul_f64 v[204:205], v[204:205], v[126:127]
	v_add_f64 v[20:21], v[20:21], -v[124:125]
	s_delay_alu instid0(VALU_DEP_2) | instskip(NEXT) | instid1(VALU_DEP_1)
	v_fma_f64 v[204:205], v[206:207], v[212:213], v[204:205]
	v_add_f64 v[22:23], v[22:23], -v[204:205]
	ds_load_2addr_b64 v[204:207], v214 offset0:92 offset1:93
	s_waitcnt lgkmcnt(0)
	v_mul_f64 v[124:125], v[206:207], v[126:127]
	s_delay_alu instid0(VALU_DEP_1) | instskip(SKIP_1) | instid1(VALU_DEP_2)
	v_fma_f64 v[124:125], v[204:205], v[212:213], -v[124:125]
	v_mul_f64 v[204:205], v[204:205], v[126:127]
	v_add_f64 v[16:17], v[16:17], -v[124:125]
	s_delay_alu instid0(VALU_DEP_2) | instskip(NEXT) | instid1(VALU_DEP_1)
	v_fma_f64 v[204:205], v[206:207], v[212:213], v[204:205]
	v_add_f64 v[18:19], v[18:19], -v[204:205]
	ds_load_2addr_b64 v[204:207], v214 offset0:94 offset1:95
	s_waitcnt lgkmcnt(0)
	v_mul_f64 v[124:125], v[206:207], v[126:127]
	s_delay_alu instid0(VALU_DEP_1) | instskip(SKIP_1) | instid1(VALU_DEP_2)
	v_fma_f64 v[124:125], v[204:205], v[212:213], -v[124:125]
	v_mul_f64 v[204:205], v[204:205], v[126:127]
	v_add_f64 v[12:13], v[12:13], -v[124:125]
	s_delay_alu instid0(VALU_DEP_2) | instskip(NEXT) | instid1(VALU_DEP_1)
	v_fma_f64 v[204:205], v[206:207], v[212:213], v[204:205]
	v_add_f64 v[14:15], v[14:15], -v[204:205]
	ds_load_2addr_b64 v[204:207], v214 offset0:96 offset1:97
	s_waitcnt lgkmcnt(0)
	v_mul_f64 v[124:125], v[206:207], v[126:127]
	s_delay_alu instid0(VALU_DEP_1) | instskip(SKIP_1) | instid1(VALU_DEP_2)
	v_fma_f64 v[124:125], v[204:205], v[212:213], -v[124:125]
	v_mul_f64 v[204:205], v[204:205], v[126:127]
	v_add_f64 v[8:9], v[8:9], -v[124:125]
	s_delay_alu instid0(VALU_DEP_2) | instskip(NEXT) | instid1(VALU_DEP_1)
	v_fma_f64 v[204:205], v[206:207], v[212:213], v[204:205]
	v_add_f64 v[10:11], v[10:11], -v[204:205]
	ds_load_2addr_b64 v[204:207], v214 offset0:98 offset1:99
	s_waitcnt lgkmcnt(0)
	v_mul_f64 v[124:125], v[206:207], v[126:127]
	s_delay_alu instid0(VALU_DEP_1) | instskip(SKIP_1) | instid1(VALU_DEP_2)
	v_fma_f64 v[124:125], v[204:205], v[212:213], -v[124:125]
	v_mul_f64 v[204:205], v[204:205], v[126:127]
	v_add_f64 v[4:5], v[4:5], -v[124:125]
	s_delay_alu instid0(VALU_DEP_2) | instskip(NEXT) | instid1(VALU_DEP_1)
	v_fma_f64 v[204:205], v[206:207], v[212:213], v[204:205]
	v_add_f64 v[6:7], v[6:7], -v[204:205]
	ds_load_2addr_b64 v[204:207], v214 offset0:100 offset1:101
	s_waitcnt lgkmcnt(0)
	v_mul_f64 v[124:125], v[206:207], v[126:127]
	s_delay_alu instid0(VALU_DEP_1) | instskip(SKIP_1) | instid1(VALU_DEP_2)
	v_fma_f64 v[124:125], v[204:205], v[212:213], -v[124:125]
	v_mul_f64 v[204:205], v[204:205], v[126:127]
	v_add_f64 v[0:1], v[0:1], -v[124:125]
	s_delay_alu instid0(VALU_DEP_2) | instskip(SKIP_1) | instid1(VALU_DEP_2)
	v_fma_f64 v[204:205], v[206:207], v[212:213], v[204:205]
	v_dual_mov_b32 v124, v212 :: v_dual_mov_b32 v125, v213
	v_add_f64 v[2:3], v[2:3], -v[204:205]
.LBB100_419:
	s_or_b32 exec_lo, exec_lo, s2
	v_lshl_add_u32 v204, v220, 4, v214
	s_barrier
	buffer_gl0_inv
	v_mov_b32_e32 v212, 20
	ds_store_2addr_b64 v204, v[120:121], v[122:123] offset1:1
	s_waitcnt lgkmcnt(0)
	s_barrier
	buffer_gl0_inv
	ds_load_2addr_b64 v[204:207], v214 offset0:40 offset1:41
	s_cmp_lt_i32 s5, 22
	s_cbranch_scc1 .LBB100_422
; %bb.420:
	v_add3_u32 v213, v218, 0, 0x150
	v_mov_b32_e32 v212, 20
	s_mov_b32 s6, 21
	s_set_inst_prefetch_distance 0x1
	.p2align	6
.LBB100_421:                            ; =>This Inner Loop Header: Depth=1
	ds_load_2addr_b64 v[221:224], v213 offset1:1
	s_waitcnt lgkmcnt(1)
	v_cmp_gt_f64_e32 vcc_lo, 0, v[204:205]
	v_xor_b32_e32 v225, 0x80000000, v205
	v_cmp_gt_f64_e64 s2, 0, v[206:207]
	v_xor_b32_e32 v227, 0x80000000, v207
	v_add_nc_u32_e32 v213, 16, v213
	s_waitcnt lgkmcnt(0)
	v_cmp_gt_f64_e64 s3, 0, v[221:222]
	v_mov_b32_e32 v229, v221
	v_dual_mov_b32 v231, v223 :: v_dual_cndmask_b32 v226, v205, v225
	v_xor_b32_e32 v225, 0x80000000, v222
	v_cndmask_b32_e64 v228, v207, v227, s2
	v_xor_b32_e32 v227, 0x80000000, v224
	s_delay_alu instid0(VALU_DEP_3) | instskip(SKIP_2) | instid1(VALU_DEP_2)
	v_cndmask_b32_e64 v230, v222, v225, s3
	v_cmp_gt_f64_e64 s3, 0, v[223:224]
	v_cndmask_b32_e32 v225, v204, v204, vcc_lo
	v_cndmask_b32_e64 v232, v224, v227, s3
	v_cndmask_b32_e64 v227, v206, v206, s2
	s_delay_alu instid0(VALU_DEP_2) | instskip(NEXT) | instid1(VALU_DEP_2)
	v_add_f64 v[229:230], v[229:230], v[231:232]
	v_add_f64 v[225:226], v[225:226], v[227:228]
	s_delay_alu instid0(VALU_DEP_1) | instskip(SKIP_4) | instid1(SALU_CYCLE_1)
	v_cmp_lt_f64_e32 vcc_lo, v[225:226], v[229:230]
	v_dual_cndmask_b32 v206, v206, v223 :: v_dual_cndmask_b32 v205, v205, v222
	v_dual_cndmask_b32 v204, v204, v221 :: v_dual_cndmask_b32 v207, v207, v224
	v_cndmask_b32_e64 v212, v212, s6, vcc_lo
	s_add_i32 s6, s6, 1
	s_cmp_lg_u32 s5, s6
	s_cbranch_scc1 .LBB100_421
.LBB100_422:
	s_set_inst_prefetch_distance 0x2
	s_waitcnt lgkmcnt(0)
	v_cmp_eq_f64_e32 vcc_lo, 0, v[204:205]
	v_cmp_eq_f64_e64 s2, 0, v[206:207]
	s_delay_alu instid0(VALU_DEP_1) | instskip(NEXT) | instid1(SALU_CYCLE_1)
	s_and_b32 s2, vcc_lo, s2
	s_and_saveexec_b32 s3, s2
	s_delay_alu instid0(SALU_CYCLE_1)
	s_xor_b32 s2, exec_lo, s3
; %bb.423:
	v_cmp_ne_u32_e32 vcc_lo, 0, v217
	v_cndmask_b32_e32 v217, 21, v217, vcc_lo
; %bb.424:
	s_and_not1_saveexec_b32 s3, s2
	s_cbranch_execz .LBB100_430
; %bb.425:
	v_cmp_gt_f64_e32 vcc_lo, 0, v[204:205]
	v_cmp_gt_f64_e64 s2, 0, v[206:207]
	v_xor_b32_e32 v213, 0x80000000, v205
	v_xor_b32_e32 v221, 0x80000000, v207
	s_delay_alu instid0(VALU_DEP_2) | instskip(NEXT) | instid1(VALU_DEP_2)
	v_cndmask_b32_e32 v222, v205, v213, vcc_lo
	v_cndmask_b32_e64 v224, v207, v221, s2
	v_cndmask_b32_e32 v221, v204, v204, vcc_lo
	v_cndmask_b32_e64 v223, v206, v206, s2
	s_mov_b32 s2, exec_lo
	s_delay_alu instid0(VALU_DEP_1)
	v_cmpx_ngt_f64_e32 v[221:222], v[223:224]
	s_xor_b32 s2, exec_lo, s2
	s_cbranch_execz .LBB100_427
; %bb.426:
	v_div_scale_f64 v[221:222], null, v[206:207], v[206:207], v[204:205]
	v_div_scale_f64 v[227:228], vcc_lo, v[204:205], v[206:207], v[204:205]
	s_delay_alu instid0(VALU_DEP_2) | instskip(SKIP_2) | instid1(VALU_DEP_1)
	v_rcp_f64_e32 v[223:224], v[221:222]
	s_waitcnt_depctr 0xfff
	v_fma_f64 v[225:226], -v[221:222], v[223:224], 1.0
	v_fma_f64 v[223:224], v[223:224], v[225:226], v[223:224]
	s_delay_alu instid0(VALU_DEP_1) | instskip(NEXT) | instid1(VALU_DEP_1)
	v_fma_f64 v[225:226], -v[221:222], v[223:224], 1.0
	v_fma_f64 v[223:224], v[223:224], v[225:226], v[223:224]
	s_delay_alu instid0(VALU_DEP_1) | instskip(NEXT) | instid1(VALU_DEP_1)
	v_mul_f64 v[225:226], v[227:228], v[223:224]
	v_fma_f64 v[221:222], -v[221:222], v[225:226], v[227:228]
	s_delay_alu instid0(VALU_DEP_1) | instskip(NEXT) | instid1(VALU_DEP_1)
	v_div_fmas_f64 v[221:222], v[221:222], v[223:224], v[225:226]
	v_div_fixup_f64 v[221:222], v[221:222], v[206:207], v[204:205]
	s_delay_alu instid0(VALU_DEP_1) | instskip(NEXT) | instid1(VALU_DEP_1)
	v_fma_f64 v[204:205], v[204:205], v[221:222], v[206:207]
	v_div_scale_f64 v[206:207], null, v[204:205], v[204:205], 1.0
	s_delay_alu instid0(VALU_DEP_1) | instskip(SKIP_2) | instid1(VALU_DEP_1)
	v_rcp_f64_e32 v[223:224], v[206:207]
	s_waitcnt_depctr 0xfff
	v_fma_f64 v[225:226], -v[206:207], v[223:224], 1.0
	v_fma_f64 v[223:224], v[223:224], v[225:226], v[223:224]
	s_delay_alu instid0(VALU_DEP_1) | instskip(NEXT) | instid1(VALU_DEP_1)
	v_fma_f64 v[225:226], -v[206:207], v[223:224], 1.0
	v_fma_f64 v[223:224], v[223:224], v[225:226], v[223:224]
	v_div_scale_f64 v[225:226], vcc_lo, 1.0, v[204:205], 1.0
	s_delay_alu instid0(VALU_DEP_1) | instskip(NEXT) | instid1(VALU_DEP_1)
	v_mul_f64 v[227:228], v[225:226], v[223:224]
	v_fma_f64 v[206:207], -v[206:207], v[227:228], v[225:226]
	s_delay_alu instid0(VALU_DEP_1) | instskip(NEXT) | instid1(VALU_DEP_1)
	v_div_fmas_f64 v[206:207], v[206:207], v[223:224], v[227:228]
	v_div_fixup_f64 v[206:207], v[206:207], v[204:205], 1.0
	s_delay_alu instid0(VALU_DEP_1)
	v_mul_f64 v[204:205], v[221:222], v[206:207]
	v_xor_b32_e32 v207, 0x80000000, v207
.LBB100_427:
	s_and_not1_saveexec_b32 s2, s2
	s_cbranch_execz .LBB100_429
; %bb.428:
	s_delay_alu instid0(VALU_DEP_1) | instskip(SKIP_1) | instid1(VALU_DEP_2)
	v_div_scale_f64 v[221:222], null, v[204:205], v[204:205], v[206:207]
	v_div_scale_f64 v[227:228], vcc_lo, v[206:207], v[204:205], v[206:207]
	v_rcp_f64_e32 v[223:224], v[221:222]
	s_waitcnt_depctr 0xfff
	v_fma_f64 v[225:226], -v[221:222], v[223:224], 1.0
	s_delay_alu instid0(VALU_DEP_1) | instskip(NEXT) | instid1(VALU_DEP_1)
	v_fma_f64 v[223:224], v[223:224], v[225:226], v[223:224]
	v_fma_f64 v[225:226], -v[221:222], v[223:224], 1.0
	s_delay_alu instid0(VALU_DEP_1) | instskip(NEXT) | instid1(VALU_DEP_1)
	v_fma_f64 v[223:224], v[223:224], v[225:226], v[223:224]
	v_mul_f64 v[225:226], v[227:228], v[223:224]
	s_delay_alu instid0(VALU_DEP_1) | instskip(NEXT) | instid1(VALU_DEP_1)
	v_fma_f64 v[221:222], -v[221:222], v[225:226], v[227:228]
	v_div_fmas_f64 v[221:222], v[221:222], v[223:224], v[225:226]
	s_delay_alu instid0(VALU_DEP_1) | instskip(NEXT) | instid1(VALU_DEP_1)
	v_div_fixup_f64 v[221:222], v[221:222], v[204:205], v[206:207]
	v_fma_f64 v[204:205], v[206:207], v[221:222], v[204:205]
	s_delay_alu instid0(VALU_DEP_1) | instskip(NEXT) | instid1(VALU_DEP_1)
	v_div_scale_f64 v[206:207], null, v[204:205], v[204:205], 1.0
	v_rcp_f64_e32 v[223:224], v[206:207]
	s_waitcnt_depctr 0xfff
	v_fma_f64 v[225:226], -v[206:207], v[223:224], 1.0
	s_delay_alu instid0(VALU_DEP_1) | instskip(NEXT) | instid1(VALU_DEP_1)
	v_fma_f64 v[223:224], v[223:224], v[225:226], v[223:224]
	v_fma_f64 v[225:226], -v[206:207], v[223:224], 1.0
	s_delay_alu instid0(VALU_DEP_1) | instskip(SKIP_1) | instid1(VALU_DEP_1)
	v_fma_f64 v[223:224], v[223:224], v[225:226], v[223:224]
	v_div_scale_f64 v[225:226], vcc_lo, 1.0, v[204:205], 1.0
	v_mul_f64 v[227:228], v[225:226], v[223:224]
	s_delay_alu instid0(VALU_DEP_1) | instskip(NEXT) | instid1(VALU_DEP_1)
	v_fma_f64 v[206:207], -v[206:207], v[227:228], v[225:226]
	v_div_fmas_f64 v[206:207], v[206:207], v[223:224], v[227:228]
	s_delay_alu instid0(VALU_DEP_1) | instskip(NEXT) | instid1(VALU_DEP_1)
	v_div_fixup_f64 v[204:205], v[206:207], v[204:205], 1.0
	v_mul_f64 v[206:207], v[221:222], -v[204:205]
.LBB100_429:
	s_or_b32 exec_lo, exec_lo, s2
.LBB100_430:
	s_delay_alu instid0(SALU_CYCLE_1) | instskip(NEXT) | instid1(SALU_CYCLE_1)
	s_or_b32 exec_lo, exec_lo, s3
	s_mov_b32 s2, exec_lo
	v_cmpx_ne_u32_e64 v220, v212
	s_xor_b32 s2, exec_lo, s2
	s_cbranch_execz .LBB100_436
; %bb.431:
	s_mov_b32 s3, exec_lo
	v_cmpx_eq_u32_e32 20, v220
	s_cbranch_execz .LBB100_435
; %bb.432:
	v_cmp_ne_u32_e32 vcc_lo, 20, v212
	s_xor_b32 s6, s4, -1
	s_delay_alu instid0(SALU_CYCLE_1) | instskip(NEXT) | instid1(SALU_CYCLE_1)
	s_and_b32 s7, s6, vcc_lo
	s_and_saveexec_b32 s6, s7
	s_cbranch_execz .LBB100_434
; %bb.433:
	v_ashrrev_i32_e32 v213, 31, v212
	s_delay_alu instid0(VALU_DEP_1) | instskip(NEXT) | instid1(VALU_DEP_1)
	v_lshlrev_b64 v[219:220], 2, v[212:213]
	v_add_co_u32 v219, vcc_lo, v210, v219
	s_delay_alu instid0(VALU_DEP_2)
	v_add_co_ci_u32_e32 v220, vcc_lo, v211, v220, vcc_lo
	s_clause 0x1
	flat_load_b32 v213, v[219:220]
	flat_load_b32 v221, v[210:211] offset:80
	s_waitcnt vmcnt(1) lgkmcnt(1)
	flat_store_b32 v[210:211], v213 offset:80
	s_waitcnt vmcnt(0) lgkmcnt(1)
	flat_store_b32 v[219:220], v221
.LBB100_434:
	s_or_b32 exec_lo, exec_lo, s6
	v_mov_b32_e32 v220, v212
	v_mov_b32_e32 v219, v212
.LBB100_435:
	s_or_b32 exec_lo, exec_lo, s3
.LBB100_436:
	s_and_not1_saveexec_b32 s2, s2
	s_cbranch_execz .LBB100_438
; %bb.437:
	v_mov_b32_e32 v220, 20
	ds_store_2addr_b64 v214, v[116:117], v[118:119] offset0:42 offset1:43
	ds_store_2addr_b64 v214, v[112:113], v[114:115] offset0:44 offset1:45
	;; [unrolled: 1-line block ×30, first 2 shown]
.LBB100_438:
	s_or_b32 exec_lo, exec_lo, s2
	s_delay_alu instid0(SALU_CYCLE_1)
	s_mov_b32 s2, exec_lo
	s_waitcnt lgkmcnt(0)
	s_waitcnt_vscnt null, 0x0
	s_barrier
	buffer_gl0_inv
	v_cmpx_lt_i32_e32 20, v220
	s_cbranch_execz .LBB100_440
; %bb.439:
	v_mul_f64 v[212:213], v[206:207], v[122:123]
	v_mul_f64 v[122:123], v[204:205], v[122:123]
	s_delay_alu instid0(VALU_DEP_2) | instskip(NEXT) | instid1(VALU_DEP_2)
	v_fma_f64 v[212:213], v[204:205], v[120:121], -v[212:213]
	v_fma_f64 v[122:123], v[206:207], v[120:121], v[122:123]
	ds_load_2addr_b64 v[204:207], v214 offset0:42 offset1:43
	s_waitcnt lgkmcnt(0)
	v_mul_f64 v[120:121], v[206:207], v[122:123]
	s_delay_alu instid0(VALU_DEP_1) | instskip(SKIP_1) | instid1(VALU_DEP_2)
	v_fma_f64 v[120:121], v[204:205], v[212:213], -v[120:121]
	v_mul_f64 v[204:205], v[204:205], v[122:123]
	v_add_f64 v[116:117], v[116:117], -v[120:121]
	s_delay_alu instid0(VALU_DEP_2) | instskip(NEXT) | instid1(VALU_DEP_1)
	v_fma_f64 v[204:205], v[206:207], v[212:213], v[204:205]
	v_add_f64 v[118:119], v[118:119], -v[204:205]
	ds_load_2addr_b64 v[204:207], v214 offset0:44 offset1:45
	s_waitcnt lgkmcnt(0)
	v_mul_f64 v[120:121], v[206:207], v[122:123]
	s_delay_alu instid0(VALU_DEP_1) | instskip(SKIP_1) | instid1(VALU_DEP_2)
	v_fma_f64 v[120:121], v[204:205], v[212:213], -v[120:121]
	v_mul_f64 v[204:205], v[204:205], v[122:123]
	v_add_f64 v[112:113], v[112:113], -v[120:121]
	s_delay_alu instid0(VALU_DEP_2) | instskip(NEXT) | instid1(VALU_DEP_1)
	v_fma_f64 v[204:205], v[206:207], v[212:213], v[204:205]
	v_add_f64 v[114:115], v[114:115], -v[204:205]
	;; [unrolled: 10-line block ×29, first 2 shown]
	ds_load_2addr_b64 v[204:207], v214 offset0:100 offset1:101
	s_waitcnt lgkmcnt(0)
	v_mul_f64 v[120:121], v[206:207], v[122:123]
	s_delay_alu instid0(VALU_DEP_1) | instskip(SKIP_1) | instid1(VALU_DEP_2)
	v_fma_f64 v[120:121], v[204:205], v[212:213], -v[120:121]
	v_mul_f64 v[204:205], v[204:205], v[122:123]
	v_add_f64 v[0:1], v[0:1], -v[120:121]
	s_delay_alu instid0(VALU_DEP_2) | instskip(SKIP_1) | instid1(VALU_DEP_2)
	v_fma_f64 v[204:205], v[206:207], v[212:213], v[204:205]
	v_dual_mov_b32 v120, v212 :: v_dual_mov_b32 v121, v213
	v_add_f64 v[2:3], v[2:3], -v[204:205]
.LBB100_440:
	s_or_b32 exec_lo, exec_lo, s2
	v_lshl_add_u32 v204, v220, 4, v214
	s_barrier
	buffer_gl0_inv
	v_mov_b32_e32 v212, 21
	ds_store_2addr_b64 v204, v[116:117], v[118:119] offset1:1
	s_waitcnt lgkmcnt(0)
	s_barrier
	buffer_gl0_inv
	ds_load_2addr_b64 v[204:207], v214 offset0:42 offset1:43
	s_cmp_lt_i32 s5, 23
	s_cbranch_scc1 .LBB100_443
; %bb.441:
	v_add3_u32 v213, v218, 0, 0x160
	v_mov_b32_e32 v212, 21
	s_mov_b32 s6, 22
	s_set_inst_prefetch_distance 0x1
	.p2align	6
.LBB100_442:                            ; =>This Inner Loop Header: Depth=1
	ds_load_2addr_b64 v[221:224], v213 offset1:1
	s_waitcnt lgkmcnt(1)
	v_cmp_gt_f64_e32 vcc_lo, 0, v[204:205]
	v_xor_b32_e32 v225, 0x80000000, v205
	v_cmp_gt_f64_e64 s2, 0, v[206:207]
	v_xor_b32_e32 v227, 0x80000000, v207
	v_add_nc_u32_e32 v213, 16, v213
	s_waitcnt lgkmcnt(0)
	v_cmp_gt_f64_e64 s3, 0, v[221:222]
	v_mov_b32_e32 v229, v221
	v_dual_mov_b32 v231, v223 :: v_dual_cndmask_b32 v226, v205, v225
	v_xor_b32_e32 v225, 0x80000000, v222
	v_cndmask_b32_e64 v228, v207, v227, s2
	v_xor_b32_e32 v227, 0x80000000, v224
	s_delay_alu instid0(VALU_DEP_3) | instskip(SKIP_2) | instid1(VALU_DEP_2)
	v_cndmask_b32_e64 v230, v222, v225, s3
	v_cmp_gt_f64_e64 s3, 0, v[223:224]
	v_cndmask_b32_e32 v225, v204, v204, vcc_lo
	v_cndmask_b32_e64 v232, v224, v227, s3
	v_cndmask_b32_e64 v227, v206, v206, s2
	s_delay_alu instid0(VALU_DEP_2) | instskip(NEXT) | instid1(VALU_DEP_2)
	v_add_f64 v[229:230], v[229:230], v[231:232]
	v_add_f64 v[225:226], v[225:226], v[227:228]
	s_delay_alu instid0(VALU_DEP_1) | instskip(SKIP_4) | instid1(SALU_CYCLE_1)
	v_cmp_lt_f64_e32 vcc_lo, v[225:226], v[229:230]
	v_dual_cndmask_b32 v206, v206, v223 :: v_dual_cndmask_b32 v205, v205, v222
	v_dual_cndmask_b32 v204, v204, v221 :: v_dual_cndmask_b32 v207, v207, v224
	v_cndmask_b32_e64 v212, v212, s6, vcc_lo
	s_add_i32 s6, s6, 1
	s_cmp_lg_u32 s5, s6
	s_cbranch_scc1 .LBB100_442
.LBB100_443:
	s_set_inst_prefetch_distance 0x2
	s_waitcnt lgkmcnt(0)
	v_cmp_eq_f64_e32 vcc_lo, 0, v[204:205]
	v_cmp_eq_f64_e64 s2, 0, v[206:207]
	s_delay_alu instid0(VALU_DEP_1) | instskip(NEXT) | instid1(SALU_CYCLE_1)
	s_and_b32 s2, vcc_lo, s2
	s_and_saveexec_b32 s3, s2
	s_delay_alu instid0(SALU_CYCLE_1)
	s_xor_b32 s2, exec_lo, s3
; %bb.444:
	v_cmp_ne_u32_e32 vcc_lo, 0, v217
	v_cndmask_b32_e32 v217, 22, v217, vcc_lo
; %bb.445:
	s_and_not1_saveexec_b32 s3, s2
	s_cbranch_execz .LBB100_451
; %bb.446:
	v_cmp_gt_f64_e32 vcc_lo, 0, v[204:205]
	v_cmp_gt_f64_e64 s2, 0, v[206:207]
	v_xor_b32_e32 v213, 0x80000000, v205
	v_xor_b32_e32 v221, 0x80000000, v207
	s_delay_alu instid0(VALU_DEP_2) | instskip(NEXT) | instid1(VALU_DEP_2)
	v_cndmask_b32_e32 v222, v205, v213, vcc_lo
	v_cndmask_b32_e64 v224, v207, v221, s2
	v_cndmask_b32_e32 v221, v204, v204, vcc_lo
	v_cndmask_b32_e64 v223, v206, v206, s2
	s_mov_b32 s2, exec_lo
	s_delay_alu instid0(VALU_DEP_1)
	v_cmpx_ngt_f64_e32 v[221:222], v[223:224]
	s_xor_b32 s2, exec_lo, s2
	s_cbranch_execz .LBB100_448
; %bb.447:
	v_div_scale_f64 v[221:222], null, v[206:207], v[206:207], v[204:205]
	v_div_scale_f64 v[227:228], vcc_lo, v[204:205], v[206:207], v[204:205]
	s_delay_alu instid0(VALU_DEP_2) | instskip(SKIP_2) | instid1(VALU_DEP_1)
	v_rcp_f64_e32 v[223:224], v[221:222]
	s_waitcnt_depctr 0xfff
	v_fma_f64 v[225:226], -v[221:222], v[223:224], 1.0
	v_fma_f64 v[223:224], v[223:224], v[225:226], v[223:224]
	s_delay_alu instid0(VALU_DEP_1) | instskip(NEXT) | instid1(VALU_DEP_1)
	v_fma_f64 v[225:226], -v[221:222], v[223:224], 1.0
	v_fma_f64 v[223:224], v[223:224], v[225:226], v[223:224]
	s_delay_alu instid0(VALU_DEP_1) | instskip(NEXT) | instid1(VALU_DEP_1)
	v_mul_f64 v[225:226], v[227:228], v[223:224]
	v_fma_f64 v[221:222], -v[221:222], v[225:226], v[227:228]
	s_delay_alu instid0(VALU_DEP_1) | instskip(NEXT) | instid1(VALU_DEP_1)
	v_div_fmas_f64 v[221:222], v[221:222], v[223:224], v[225:226]
	v_div_fixup_f64 v[221:222], v[221:222], v[206:207], v[204:205]
	s_delay_alu instid0(VALU_DEP_1) | instskip(NEXT) | instid1(VALU_DEP_1)
	v_fma_f64 v[204:205], v[204:205], v[221:222], v[206:207]
	v_div_scale_f64 v[206:207], null, v[204:205], v[204:205], 1.0
	s_delay_alu instid0(VALU_DEP_1) | instskip(SKIP_2) | instid1(VALU_DEP_1)
	v_rcp_f64_e32 v[223:224], v[206:207]
	s_waitcnt_depctr 0xfff
	v_fma_f64 v[225:226], -v[206:207], v[223:224], 1.0
	v_fma_f64 v[223:224], v[223:224], v[225:226], v[223:224]
	s_delay_alu instid0(VALU_DEP_1) | instskip(NEXT) | instid1(VALU_DEP_1)
	v_fma_f64 v[225:226], -v[206:207], v[223:224], 1.0
	v_fma_f64 v[223:224], v[223:224], v[225:226], v[223:224]
	v_div_scale_f64 v[225:226], vcc_lo, 1.0, v[204:205], 1.0
	s_delay_alu instid0(VALU_DEP_1) | instskip(NEXT) | instid1(VALU_DEP_1)
	v_mul_f64 v[227:228], v[225:226], v[223:224]
	v_fma_f64 v[206:207], -v[206:207], v[227:228], v[225:226]
	s_delay_alu instid0(VALU_DEP_1) | instskip(NEXT) | instid1(VALU_DEP_1)
	v_div_fmas_f64 v[206:207], v[206:207], v[223:224], v[227:228]
	v_div_fixup_f64 v[206:207], v[206:207], v[204:205], 1.0
	s_delay_alu instid0(VALU_DEP_1)
	v_mul_f64 v[204:205], v[221:222], v[206:207]
	v_xor_b32_e32 v207, 0x80000000, v207
.LBB100_448:
	s_and_not1_saveexec_b32 s2, s2
	s_cbranch_execz .LBB100_450
; %bb.449:
	s_delay_alu instid0(VALU_DEP_1) | instskip(SKIP_1) | instid1(VALU_DEP_2)
	v_div_scale_f64 v[221:222], null, v[204:205], v[204:205], v[206:207]
	v_div_scale_f64 v[227:228], vcc_lo, v[206:207], v[204:205], v[206:207]
	v_rcp_f64_e32 v[223:224], v[221:222]
	s_waitcnt_depctr 0xfff
	v_fma_f64 v[225:226], -v[221:222], v[223:224], 1.0
	s_delay_alu instid0(VALU_DEP_1) | instskip(NEXT) | instid1(VALU_DEP_1)
	v_fma_f64 v[223:224], v[223:224], v[225:226], v[223:224]
	v_fma_f64 v[225:226], -v[221:222], v[223:224], 1.0
	s_delay_alu instid0(VALU_DEP_1) | instskip(NEXT) | instid1(VALU_DEP_1)
	v_fma_f64 v[223:224], v[223:224], v[225:226], v[223:224]
	v_mul_f64 v[225:226], v[227:228], v[223:224]
	s_delay_alu instid0(VALU_DEP_1) | instskip(NEXT) | instid1(VALU_DEP_1)
	v_fma_f64 v[221:222], -v[221:222], v[225:226], v[227:228]
	v_div_fmas_f64 v[221:222], v[221:222], v[223:224], v[225:226]
	s_delay_alu instid0(VALU_DEP_1) | instskip(NEXT) | instid1(VALU_DEP_1)
	v_div_fixup_f64 v[221:222], v[221:222], v[204:205], v[206:207]
	v_fma_f64 v[204:205], v[206:207], v[221:222], v[204:205]
	s_delay_alu instid0(VALU_DEP_1) | instskip(NEXT) | instid1(VALU_DEP_1)
	v_div_scale_f64 v[206:207], null, v[204:205], v[204:205], 1.0
	v_rcp_f64_e32 v[223:224], v[206:207]
	s_waitcnt_depctr 0xfff
	v_fma_f64 v[225:226], -v[206:207], v[223:224], 1.0
	s_delay_alu instid0(VALU_DEP_1) | instskip(NEXT) | instid1(VALU_DEP_1)
	v_fma_f64 v[223:224], v[223:224], v[225:226], v[223:224]
	v_fma_f64 v[225:226], -v[206:207], v[223:224], 1.0
	s_delay_alu instid0(VALU_DEP_1) | instskip(SKIP_1) | instid1(VALU_DEP_1)
	v_fma_f64 v[223:224], v[223:224], v[225:226], v[223:224]
	v_div_scale_f64 v[225:226], vcc_lo, 1.0, v[204:205], 1.0
	v_mul_f64 v[227:228], v[225:226], v[223:224]
	s_delay_alu instid0(VALU_DEP_1) | instskip(NEXT) | instid1(VALU_DEP_1)
	v_fma_f64 v[206:207], -v[206:207], v[227:228], v[225:226]
	v_div_fmas_f64 v[206:207], v[206:207], v[223:224], v[227:228]
	s_delay_alu instid0(VALU_DEP_1) | instskip(NEXT) | instid1(VALU_DEP_1)
	v_div_fixup_f64 v[204:205], v[206:207], v[204:205], 1.0
	v_mul_f64 v[206:207], v[221:222], -v[204:205]
.LBB100_450:
	s_or_b32 exec_lo, exec_lo, s2
.LBB100_451:
	s_delay_alu instid0(SALU_CYCLE_1) | instskip(NEXT) | instid1(SALU_CYCLE_1)
	s_or_b32 exec_lo, exec_lo, s3
	s_mov_b32 s2, exec_lo
	v_cmpx_ne_u32_e64 v220, v212
	s_xor_b32 s2, exec_lo, s2
	s_cbranch_execz .LBB100_457
; %bb.452:
	s_mov_b32 s3, exec_lo
	v_cmpx_eq_u32_e32 21, v220
	s_cbranch_execz .LBB100_456
; %bb.453:
	v_cmp_ne_u32_e32 vcc_lo, 21, v212
	s_xor_b32 s6, s4, -1
	s_delay_alu instid0(SALU_CYCLE_1) | instskip(NEXT) | instid1(SALU_CYCLE_1)
	s_and_b32 s7, s6, vcc_lo
	s_and_saveexec_b32 s6, s7
	s_cbranch_execz .LBB100_455
; %bb.454:
	v_ashrrev_i32_e32 v213, 31, v212
	s_delay_alu instid0(VALU_DEP_1) | instskip(NEXT) | instid1(VALU_DEP_1)
	v_lshlrev_b64 v[219:220], 2, v[212:213]
	v_add_co_u32 v219, vcc_lo, v210, v219
	s_delay_alu instid0(VALU_DEP_2)
	v_add_co_ci_u32_e32 v220, vcc_lo, v211, v220, vcc_lo
	s_clause 0x1
	flat_load_b32 v213, v[219:220]
	flat_load_b32 v221, v[210:211] offset:84
	s_waitcnt vmcnt(1) lgkmcnt(1)
	flat_store_b32 v[210:211], v213 offset:84
	s_waitcnt vmcnt(0) lgkmcnt(1)
	flat_store_b32 v[219:220], v221
.LBB100_455:
	s_or_b32 exec_lo, exec_lo, s6
	v_mov_b32_e32 v220, v212
	v_mov_b32_e32 v219, v212
.LBB100_456:
	s_or_b32 exec_lo, exec_lo, s3
.LBB100_457:
	s_and_not1_saveexec_b32 s2, s2
	s_cbranch_execz .LBB100_459
; %bb.458:
	v_mov_b32_e32 v220, 21
	ds_store_2addr_b64 v214, v[112:113], v[114:115] offset0:44 offset1:45
	ds_store_2addr_b64 v214, v[108:109], v[110:111] offset0:46 offset1:47
	;; [unrolled: 1-line block ×29, first 2 shown]
.LBB100_459:
	s_or_b32 exec_lo, exec_lo, s2
	s_delay_alu instid0(SALU_CYCLE_1)
	s_mov_b32 s2, exec_lo
	s_waitcnt lgkmcnt(0)
	s_waitcnt_vscnt null, 0x0
	s_barrier
	buffer_gl0_inv
	v_cmpx_lt_i32_e32 21, v220
	s_cbranch_execz .LBB100_461
; %bb.460:
	v_mul_f64 v[212:213], v[206:207], v[118:119]
	v_mul_f64 v[118:119], v[204:205], v[118:119]
	s_delay_alu instid0(VALU_DEP_2) | instskip(NEXT) | instid1(VALU_DEP_2)
	v_fma_f64 v[212:213], v[204:205], v[116:117], -v[212:213]
	v_fma_f64 v[118:119], v[206:207], v[116:117], v[118:119]
	ds_load_2addr_b64 v[204:207], v214 offset0:44 offset1:45
	s_waitcnt lgkmcnt(0)
	v_mul_f64 v[116:117], v[206:207], v[118:119]
	s_delay_alu instid0(VALU_DEP_1) | instskip(SKIP_1) | instid1(VALU_DEP_2)
	v_fma_f64 v[116:117], v[204:205], v[212:213], -v[116:117]
	v_mul_f64 v[204:205], v[204:205], v[118:119]
	v_add_f64 v[112:113], v[112:113], -v[116:117]
	s_delay_alu instid0(VALU_DEP_2) | instskip(NEXT) | instid1(VALU_DEP_1)
	v_fma_f64 v[204:205], v[206:207], v[212:213], v[204:205]
	v_add_f64 v[114:115], v[114:115], -v[204:205]
	ds_load_2addr_b64 v[204:207], v214 offset0:46 offset1:47
	s_waitcnt lgkmcnt(0)
	v_mul_f64 v[116:117], v[206:207], v[118:119]
	s_delay_alu instid0(VALU_DEP_1) | instskip(SKIP_1) | instid1(VALU_DEP_2)
	v_fma_f64 v[116:117], v[204:205], v[212:213], -v[116:117]
	v_mul_f64 v[204:205], v[204:205], v[118:119]
	v_add_f64 v[108:109], v[108:109], -v[116:117]
	s_delay_alu instid0(VALU_DEP_2) | instskip(NEXT) | instid1(VALU_DEP_1)
	v_fma_f64 v[204:205], v[206:207], v[212:213], v[204:205]
	v_add_f64 v[110:111], v[110:111], -v[204:205]
	;; [unrolled: 10-line block ×28, first 2 shown]
	ds_load_2addr_b64 v[204:207], v214 offset0:100 offset1:101
	s_waitcnt lgkmcnt(0)
	v_mul_f64 v[116:117], v[206:207], v[118:119]
	s_delay_alu instid0(VALU_DEP_1) | instskip(SKIP_1) | instid1(VALU_DEP_2)
	v_fma_f64 v[116:117], v[204:205], v[212:213], -v[116:117]
	v_mul_f64 v[204:205], v[204:205], v[118:119]
	v_add_f64 v[0:1], v[0:1], -v[116:117]
	s_delay_alu instid0(VALU_DEP_2) | instskip(SKIP_1) | instid1(VALU_DEP_2)
	v_fma_f64 v[204:205], v[206:207], v[212:213], v[204:205]
	v_dual_mov_b32 v116, v212 :: v_dual_mov_b32 v117, v213
	v_add_f64 v[2:3], v[2:3], -v[204:205]
.LBB100_461:
	s_or_b32 exec_lo, exec_lo, s2
	v_lshl_add_u32 v204, v220, 4, v214
	s_barrier
	buffer_gl0_inv
	v_mov_b32_e32 v212, 22
	ds_store_2addr_b64 v204, v[112:113], v[114:115] offset1:1
	s_waitcnt lgkmcnt(0)
	s_barrier
	buffer_gl0_inv
	ds_load_2addr_b64 v[204:207], v214 offset0:44 offset1:45
	s_cmp_lt_i32 s5, 24
	s_cbranch_scc1 .LBB100_464
; %bb.462:
	v_add3_u32 v213, v218, 0, 0x170
	v_mov_b32_e32 v212, 22
	s_mov_b32 s6, 23
	s_set_inst_prefetch_distance 0x1
	.p2align	6
.LBB100_463:                            ; =>This Inner Loop Header: Depth=1
	ds_load_2addr_b64 v[221:224], v213 offset1:1
	s_waitcnt lgkmcnt(1)
	v_cmp_gt_f64_e32 vcc_lo, 0, v[204:205]
	v_xor_b32_e32 v225, 0x80000000, v205
	v_cmp_gt_f64_e64 s2, 0, v[206:207]
	v_xor_b32_e32 v227, 0x80000000, v207
	v_add_nc_u32_e32 v213, 16, v213
	s_waitcnt lgkmcnt(0)
	v_cmp_gt_f64_e64 s3, 0, v[221:222]
	v_mov_b32_e32 v229, v221
	v_dual_mov_b32 v231, v223 :: v_dual_cndmask_b32 v226, v205, v225
	v_xor_b32_e32 v225, 0x80000000, v222
	v_cndmask_b32_e64 v228, v207, v227, s2
	v_xor_b32_e32 v227, 0x80000000, v224
	s_delay_alu instid0(VALU_DEP_3) | instskip(SKIP_2) | instid1(VALU_DEP_2)
	v_cndmask_b32_e64 v230, v222, v225, s3
	v_cmp_gt_f64_e64 s3, 0, v[223:224]
	v_cndmask_b32_e32 v225, v204, v204, vcc_lo
	v_cndmask_b32_e64 v232, v224, v227, s3
	v_cndmask_b32_e64 v227, v206, v206, s2
	s_delay_alu instid0(VALU_DEP_2) | instskip(NEXT) | instid1(VALU_DEP_2)
	v_add_f64 v[229:230], v[229:230], v[231:232]
	v_add_f64 v[225:226], v[225:226], v[227:228]
	s_delay_alu instid0(VALU_DEP_1) | instskip(SKIP_4) | instid1(SALU_CYCLE_1)
	v_cmp_lt_f64_e32 vcc_lo, v[225:226], v[229:230]
	v_dual_cndmask_b32 v206, v206, v223 :: v_dual_cndmask_b32 v205, v205, v222
	v_dual_cndmask_b32 v204, v204, v221 :: v_dual_cndmask_b32 v207, v207, v224
	v_cndmask_b32_e64 v212, v212, s6, vcc_lo
	s_add_i32 s6, s6, 1
	s_cmp_lg_u32 s5, s6
	s_cbranch_scc1 .LBB100_463
.LBB100_464:
	s_set_inst_prefetch_distance 0x2
	s_waitcnt lgkmcnt(0)
	v_cmp_eq_f64_e32 vcc_lo, 0, v[204:205]
	v_cmp_eq_f64_e64 s2, 0, v[206:207]
	s_delay_alu instid0(VALU_DEP_1) | instskip(NEXT) | instid1(SALU_CYCLE_1)
	s_and_b32 s2, vcc_lo, s2
	s_and_saveexec_b32 s3, s2
	s_delay_alu instid0(SALU_CYCLE_1)
	s_xor_b32 s2, exec_lo, s3
; %bb.465:
	v_cmp_ne_u32_e32 vcc_lo, 0, v217
	v_cndmask_b32_e32 v217, 23, v217, vcc_lo
; %bb.466:
	s_and_not1_saveexec_b32 s3, s2
	s_cbranch_execz .LBB100_472
; %bb.467:
	v_cmp_gt_f64_e32 vcc_lo, 0, v[204:205]
	v_cmp_gt_f64_e64 s2, 0, v[206:207]
	v_xor_b32_e32 v213, 0x80000000, v205
	v_xor_b32_e32 v221, 0x80000000, v207
	s_delay_alu instid0(VALU_DEP_2) | instskip(NEXT) | instid1(VALU_DEP_2)
	v_cndmask_b32_e32 v222, v205, v213, vcc_lo
	v_cndmask_b32_e64 v224, v207, v221, s2
	v_cndmask_b32_e32 v221, v204, v204, vcc_lo
	v_cndmask_b32_e64 v223, v206, v206, s2
	s_mov_b32 s2, exec_lo
	s_delay_alu instid0(VALU_DEP_1)
	v_cmpx_ngt_f64_e32 v[221:222], v[223:224]
	s_xor_b32 s2, exec_lo, s2
	s_cbranch_execz .LBB100_469
; %bb.468:
	v_div_scale_f64 v[221:222], null, v[206:207], v[206:207], v[204:205]
	v_div_scale_f64 v[227:228], vcc_lo, v[204:205], v[206:207], v[204:205]
	s_delay_alu instid0(VALU_DEP_2) | instskip(SKIP_2) | instid1(VALU_DEP_1)
	v_rcp_f64_e32 v[223:224], v[221:222]
	s_waitcnt_depctr 0xfff
	v_fma_f64 v[225:226], -v[221:222], v[223:224], 1.0
	v_fma_f64 v[223:224], v[223:224], v[225:226], v[223:224]
	s_delay_alu instid0(VALU_DEP_1) | instskip(NEXT) | instid1(VALU_DEP_1)
	v_fma_f64 v[225:226], -v[221:222], v[223:224], 1.0
	v_fma_f64 v[223:224], v[223:224], v[225:226], v[223:224]
	s_delay_alu instid0(VALU_DEP_1) | instskip(NEXT) | instid1(VALU_DEP_1)
	v_mul_f64 v[225:226], v[227:228], v[223:224]
	v_fma_f64 v[221:222], -v[221:222], v[225:226], v[227:228]
	s_delay_alu instid0(VALU_DEP_1) | instskip(NEXT) | instid1(VALU_DEP_1)
	v_div_fmas_f64 v[221:222], v[221:222], v[223:224], v[225:226]
	v_div_fixup_f64 v[221:222], v[221:222], v[206:207], v[204:205]
	s_delay_alu instid0(VALU_DEP_1) | instskip(NEXT) | instid1(VALU_DEP_1)
	v_fma_f64 v[204:205], v[204:205], v[221:222], v[206:207]
	v_div_scale_f64 v[206:207], null, v[204:205], v[204:205], 1.0
	s_delay_alu instid0(VALU_DEP_1) | instskip(SKIP_2) | instid1(VALU_DEP_1)
	v_rcp_f64_e32 v[223:224], v[206:207]
	s_waitcnt_depctr 0xfff
	v_fma_f64 v[225:226], -v[206:207], v[223:224], 1.0
	v_fma_f64 v[223:224], v[223:224], v[225:226], v[223:224]
	s_delay_alu instid0(VALU_DEP_1) | instskip(NEXT) | instid1(VALU_DEP_1)
	v_fma_f64 v[225:226], -v[206:207], v[223:224], 1.0
	v_fma_f64 v[223:224], v[223:224], v[225:226], v[223:224]
	v_div_scale_f64 v[225:226], vcc_lo, 1.0, v[204:205], 1.0
	s_delay_alu instid0(VALU_DEP_1) | instskip(NEXT) | instid1(VALU_DEP_1)
	v_mul_f64 v[227:228], v[225:226], v[223:224]
	v_fma_f64 v[206:207], -v[206:207], v[227:228], v[225:226]
	s_delay_alu instid0(VALU_DEP_1) | instskip(NEXT) | instid1(VALU_DEP_1)
	v_div_fmas_f64 v[206:207], v[206:207], v[223:224], v[227:228]
	v_div_fixup_f64 v[206:207], v[206:207], v[204:205], 1.0
	s_delay_alu instid0(VALU_DEP_1)
	v_mul_f64 v[204:205], v[221:222], v[206:207]
	v_xor_b32_e32 v207, 0x80000000, v207
.LBB100_469:
	s_and_not1_saveexec_b32 s2, s2
	s_cbranch_execz .LBB100_471
; %bb.470:
	s_delay_alu instid0(VALU_DEP_1) | instskip(SKIP_1) | instid1(VALU_DEP_2)
	v_div_scale_f64 v[221:222], null, v[204:205], v[204:205], v[206:207]
	v_div_scale_f64 v[227:228], vcc_lo, v[206:207], v[204:205], v[206:207]
	v_rcp_f64_e32 v[223:224], v[221:222]
	s_waitcnt_depctr 0xfff
	v_fma_f64 v[225:226], -v[221:222], v[223:224], 1.0
	s_delay_alu instid0(VALU_DEP_1) | instskip(NEXT) | instid1(VALU_DEP_1)
	v_fma_f64 v[223:224], v[223:224], v[225:226], v[223:224]
	v_fma_f64 v[225:226], -v[221:222], v[223:224], 1.0
	s_delay_alu instid0(VALU_DEP_1) | instskip(NEXT) | instid1(VALU_DEP_1)
	v_fma_f64 v[223:224], v[223:224], v[225:226], v[223:224]
	v_mul_f64 v[225:226], v[227:228], v[223:224]
	s_delay_alu instid0(VALU_DEP_1) | instskip(NEXT) | instid1(VALU_DEP_1)
	v_fma_f64 v[221:222], -v[221:222], v[225:226], v[227:228]
	v_div_fmas_f64 v[221:222], v[221:222], v[223:224], v[225:226]
	s_delay_alu instid0(VALU_DEP_1) | instskip(NEXT) | instid1(VALU_DEP_1)
	v_div_fixup_f64 v[221:222], v[221:222], v[204:205], v[206:207]
	v_fma_f64 v[204:205], v[206:207], v[221:222], v[204:205]
	s_delay_alu instid0(VALU_DEP_1) | instskip(NEXT) | instid1(VALU_DEP_1)
	v_div_scale_f64 v[206:207], null, v[204:205], v[204:205], 1.0
	v_rcp_f64_e32 v[223:224], v[206:207]
	s_waitcnt_depctr 0xfff
	v_fma_f64 v[225:226], -v[206:207], v[223:224], 1.0
	s_delay_alu instid0(VALU_DEP_1) | instskip(NEXT) | instid1(VALU_DEP_1)
	v_fma_f64 v[223:224], v[223:224], v[225:226], v[223:224]
	v_fma_f64 v[225:226], -v[206:207], v[223:224], 1.0
	s_delay_alu instid0(VALU_DEP_1) | instskip(SKIP_1) | instid1(VALU_DEP_1)
	v_fma_f64 v[223:224], v[223:224], v[225:226], v[223:224]
	v_div_scale_f64 v[225:226], vcc_lo, 1.0, v[204:205], 1.0
	v_mul_f64 v[227:228], v[225:226], v[223:224]
	s_delay_alu instid0(VALU_DEP_1) | instskip(NEXT) | instid1(VALU_DEP_1)
	v_fma_f64 v[206:207], -v[206:207], v[227:228], v[225:226]
	v_div_fmas_f64 v[206:207], v[206:207], v[223:224], v[227:228]
	s_delay_alu instid0(VALU_DEP_1) | instskip(NEXT) | instid1(VALU_DEP_1)
	v_div_fixup_f64 v[204:205], v[206:207], v[204:205], 1.0
	v_mul_f64 v[206:207], v[221:222], -v[204:205]
.LBB100_471:
	s_or_b32 exec_lo, exec_lo, s2
.LBB100_472:
	s_delay_alu instid0(SALU_CYCLE_1) | instskip(NEXT) | instid1(SALU_CYCLE_1)
	s_or_b32 exec_lo, exec_lo, s3
	s_mov_b32 s2, exec_lo
	v_cmpx_ne_u32_e64 v220, v212
	s_xor_b32 s2, exec_lo, s2
	s_cbranch_execz .LBB100_478
; %bb.473:
	s_mov_b32 s3, exec_lo
	v_cmpx_eq_u32_e32 22, v220
	s_cbranch_execz .LBB100_477
; %bb.474:
	v_cmp_ne_u32_e32 vcc_lo, 22, v212
	s_xor_b32 s6, s4, -1
	s_delay_alu instid0(SALU_CYCLE_1) | instskip(NEXT) | instid1(SALU_CYCLE_1)
	s_and_b32 s7, s6, vcc_lo
	s_and_saveexec_b32 s6, s7
	s_cbranch_execz .LBB100_476
; %bb.475:
	v_ashrrev_i32_e32 v213, 31, v212
	s_delay_alu instid0(VALU_DEP_1) | instskip(NEXT) | instid1(VALU_DEP_1)
	v_lshlrev_b64 v[219:220], 2, v[212:213]
	v_add_co_u32 v219, vcc_lo, v210, v219
	s_delay_alu instid0(VALU_DEP_2)
	v_add_co_ci_u32_e32 v220, vcc_lo, v211, v220, vcc_lo
	s_clause 0x1
	flat_load_b32 v213, v[219:220]
	flat_load_b32 v221, v[210:211] offset:88
	s_waitcnt vmcnt(1) lgkmcnt(1)
	flat_store_b32 v[210:211], v213 offset:88
	s_waitcnt vmcnt(0) lgkmcnt(1)
	flat_store_b32 v[219:220], v221
.LBB100_476:
	s_or_b32 exec_lo, exec_lo, s6
	v_mov_b32_e32 v220, v212
	v_mov_b32_e32 v219, v212
.LBB100_477:
	s_or_b32 exec_lo, exec_lo, s3
.LBB100_478:
	s_and_not1_saveexec_b32 s2, s2
	s_cbranch_execz .LBB100_480
; %bb.479:
	v_mov_b32_e32 v220, 22
	ds_store_2addr_b64 v214, v[108:109], v[110:111] offset0:46 offset1:47
	ds_store_2addr_b64 v214, v[104:105], v[106:107] offset0:48 offset1:49
	;; [unrolled: 1-line block ×28, first 2 shown]
.LBB100_480:
	s_or_b32 exec_lo, exec_lo, s2
	s_delay_alu instid0(SALU_CYCLE_1)
	s_mov_b32 s2, exec_lo
	s_waitcnt lgkmcnt(0)
	s_waitcnt_vscnt null, 0x0
	s_barrier
	buffer_gl0_inv
	v_cmpx_lt_i32_e32 22, v220
	s_cbranch_execz .LBB100_482
; %bb.481:
	v_mul_f64 v[212:213], v[206:207], v[114:115]
	v_mul_f64 v[114:115], v[204:205], v[114:115]
	s_delay_alu instid0(VALU_DEP_2) | instskip(NEXT) | instid1(VALU_DEP_2)
	v_fma_f64 v[212:213], v[204:205], v[112:113], -v[212:213]
	v_fma_f64 v[114:115], v[206:207], v[112:113], v[114:115]
	ds_load_2addr_b64 v[204:207], v214 offset0:46 offset1:47
	s_waitcnt lgkmcnt(0)
	v_mul_f64 v[112:113], v[206:207], v[114:115]
	s_delay_alu instid0(VALU_DEP_1) | instskip(SKIP_1) | instid1(VALU_DEP_2)
	v_fma_f64 v[112:113], v[204:205], v[212:213], -v[112:113]
	v_mul_f64 v[204:205], v[204:205], v[114:115]
	v_add_f64 v[108:109], v[108:109], -v[112:113]
	s_delay_alu instid0(VALU_DEP_2) | instskip(NEXT) | instid1(VALU_DEP_1)
	v_fma_f64 v[204:205], v[206:207], v[212:213], v[204:205]
	v_add_f64 v[110:111], v[110:111], -v[204:205]
	ds_load_2addr_b64 v[204:207], v214 offset0:48 offset1:49
	s_waitcnt lgkmcnt(0)
	v_mul_f64 v[112:113], v[206:207], v[114:115]
	s_delay_alu instid0(VALU_DEP_1) | instskip(SKIP_1) | instid1(VALU_DEP_2)
	v_fma_f64 v[112:113], v[204:205], v[212:213], -v[112:113]
	v_mul_f64 v[204:205], v[204:205], v[114:115]
	v_add_f64 v[104:105], v[104:105], -v[112:113]
	s_delay_alu instid0(VALU_DEP_2) | instskip(NEXT) | instid1(VALU_DEP_1)
	v_fma_f64 v[204:205], v[206:207], v[212:213], v[204:205]
	v_add_f64 v[106:107], v[106:107], -v[204:205]
	;; [unrolled: 10-line block ×27, first 2 shown]
	ds_load_2addr_b64 v[204:207], v214 offset0:100 offset1:101
	s_waitcnt lgkmcnt(0)
	v_mul_f64 v[112:113], v[206:207], v[114:115]
	s_delay_alu instid0(VALU_DEP_1) | instskip(SKIP_1) | instid1(VALU_DEP_2)
	v_fma_f64 v[112:113], v[204:205], v[212:213], -v[112:113]
	v_mul_f64 v[204:205], v[204:205], v[114:115]
	v_add_f64 v[0:1], v[0:1], -v[112:113]
	s_delay_alu instid0(VALU_DEP_2) | instskip(SKIP_1) | instid1(VALU_DEP_2)
	v_fma_f64 v[204:205], v[206:207], v[212:213], v[204:205]
	v_dual_mov_b32 v112, v212 :: v_dual_mov_b32 v113, v213
	v_add_f64 v[2:3], v[2:3], -v[204:205]
.LBB100_482:
	s_or_b32 exec_lo, exec_lo, s2
	v_lshl_add_u32 v204, v220, 4, v214
	s_barrier
	buffer_gl0_inv
	v_mov_b32_e32 v212, 23
	ds_store_2addr_b64 v204, v[108:109], v[110:111] offset1:1
	s_waitcnt lgkmcnt(0)
	s_barrier
	buffer_gl0_inv
	ds_load_2addr_b64 v[204:207], v214 offset0:46 offset1:47
	s_cmp_lt_i32 s5, 25
	s_cbranch_scc1 .LBB100_485
; %bb.483:
	v_add3_u32 v213, v218, 0, 0x180
	v_mov_b32_e32 v212, 23
	s_mov_b32 s6, 24
	s_set_inst_prefetch_distance 0x1
	.p2align	6
.LBB100_484:                            ; =>This Inner Loop Header: Depth=1
	ds_load_2addr_b64 v[221:224], v213 offset1:1
	s_waitcnt lgkmcnt(1)
	v_cmp_gt_f64_e32 vcc_lo, 0, v[204:205]
	v_xor_b32_e32 v225, 0x80000000, v205
	v_cmp_gt_f64_e64 s2, 0, v[206:207]
	v_xor_b32_e32 v227, 0x80000000, v207
	v_add_nc_u32_e32 v213, 16, v213
	s_waitcnt lgkmcnt(0)
	v_cmp_gt_f64_e64 s3, 0, v[221:222]
	v_mov_b32_e32 v229, v221
	v_dual_mov_b32 v231, v223 :: v_dual_cndmask_b32 v226, v205, v225
	v_xor_b32_e32 v225, 0x80000000, v222
	v_cndmask_b32_e64 v228, v207, v227, s2
	v_xor_b32_e32 v227, 0x80000000, v224
	s_delay_alu instid0(VALU_DEP_3) | instskip(SKIP_2) | instid1(VALU_DEP_2)
	v_cndmask_b32_e64 v230, v222, v225, s3
	v_cmp_gt_f64_e64 s3, 0, v[223:224]
	v_cndmask_b32_e32 v225, v204, v204, vcc_lo
	v_cndmask_b32_e64 v232, v224, v227, s3
	v_cndmask_b32_e64 v227, v206, v206, s2
	s_delay_alu instid0(VALU_DEP_2) | instskip(NEXT) | instid1(VALU_DEP_2)
	v_add_f64 v[229:230], v[229:230], v[231:232]
	v_add_f64 v[225:226], v[225:226], v[227:228]
	s_delay_alu instid0(VALU_DEP_1) | instskip(SKIP_4) | instid1(SALU_CYCLE_1)
	v_cmp_lt_f64_e32 vcc_lo, v[225:226], v[229:230]
	v_dual_cndmask_b32 v206, v206, v223 :: v_dual_cndmask_b32 v205, v205, v222
	v_dual_cndmask_b32 v204, v204, v221 :: v_dual_cndmask_b32 v207, v207, v224
	v_cndmask_b32_e64 v212, v212, s6, vcc_lo
	s_add_i32 s6, s6, 1
	s_cmp_lg_u32 s5, s6
	s_cbranch_scc1 .LBB100_484
.LBB100_485:
	s_set_inst_prefetch_distance 0x2
	s_waitcnt lgkmcnt(0)
	v_cmp_eq_f64_e32 vcc_lo, 0, v[204:205]
	v_cmp_eq_f64_e64 s2, 0, v[206:207]
	s_delay_alu instid0(VALU_DEP_1) | instskip(NEXT) | instid1(SALU_CYCLE_1)
	s_and_b32 s2, vcc_lo, s2
	s_and_saveexec_b32 s3, s2
	s_delay_alu instid0(SALU_CYCLE_1)
	s_xor_b32 s2, exec_lo, s3
; %bb.486:
	v_cmp_ne_u32_e32 vcc_lo, 0, v217
	v_cndmask_b32_e32 v217, 24, v217, vcc_lo
; %bb.487:
	s_and_not1_saveexec_b32 s3, s2
	s_cbranch_execz .LBB100_493
; %bb.488:
	v_cmp_gt_f64_e32 vcc_lo, 0, v[204:205]
	v_cmp_gt_f64_e64 s2, 0, v[206:207]
	v_xor_b32_e32 v213, 0x80000000, v205
	v_xor_b32_e32 v221, 0x80000000, v207
	s_delay_alu instid0(VALU_DEP_2) | instskip(NEXT) | instid1(VALU_DEP_2)
	v_cndmask_b32_e32 v222, v205, v213, vcc_lo
	v_cndmask_b32_e64 v224, v207, v221, s2
	v_cndmask_b32_e32 v221, v204, v204, vcc_lo
	v_cndmask_b32_e64 v223, v206, v206, s2
	s_mov_b32 s2, exec_lo
	s_delay_alu instid0(VALU_DEP_1)
	v_cmpx_ngt_f64_e32 v[221:222], v[223:224]
	s_xor_b32 s2, exec_lo, s2
	s_cbranch_execz .LBB100_490
; %bb.489:
	v_div_scale_f64 v[221:222], null, v[206:207], v[206:207], v[204:205]
	v_div_scale_f64 v[227:228], vcc_lo, v[204:205], v[206:207], v[204:205]
	s_delay_alu instid0(VALU_DEP_2) | instskip(SKIP_2) | instid1(VALU_DEP_1)
	v_rcp_f64_e32 v[223:224], v[221:222]
	s_waitcnt_depctr 0xfff
	v_fma_f64 v[225:226], -v[221:222], v[223:224], 1.0
	v_fma_f64 v[223:224], v[223:224], v[225:226], v[223:224]
	s_delay_alu instid0(VALU_DEP_1) | instskip(NEXT) | instid1(VALU_DEP_1)
	v_fma_f64 v[225:226], -v[221:222], v[223:224], 1.0
	v_fma_f64 v[223:224], v[223:224], v[225:226], v[223:224]
	s_delay_alu instid0(VALU_DEP_1) | instskip(NEXT) | instid1(VALU_DEP_1)
	v_mul_f64 v[225:226], v[227:228], v[223:224]
	v_fma_f64 v[221:222], -v[221:222], v[225:226], v[227:228]
	s_delay_alu instid0(VALU_DEP_1) | instskip(NEXT) | instid1(VALU_DEP_1)
	v_div_fmas_f64 v[221:222], v[221:222], v[223:224], v[225:226]
	v_div_fixup_f64 v[221:222], v[221:222], v[206:207], v[204:205]
	s_delay_alu instid0(VALU_DEP_1) | instskip(NEXT) | instid1(VALU_DEP_1)
	v_fma_f64 v[204:205], v[204:205], v[221:222], v[206:207]
	v_div_scale_f64 v[206:207], null, v[204:205], v[204:205], 1.0
	s_delay_alu instid0(VALU_DEP_1) | instskip(SKIP_2) | instid1(VALU_DEP_1)
	v_rcp_f64_e32 v[223:224], v[206:207]
	s_waitcnt_depctr 0xfff
	v_fma_f64 v[225:226], -v[206:207], v[223:224], 1.0
	v_fma_f64 v[223:224], v[223:224], v[225:226], v[223:224]
	s_delay_alu instid0(VALU_DEP_1) | instskip(NEXT) | instid1(VALU_DEP_1)
	v_fma_f64 v[225:226], -v[206:207], v[223:224], 1.0
	v_fma_f64 v[223:224], v[223:224], v[225:226], v[223:224]
	v_div_scale_f64 v[225:226], vcc_lo, 1.0, v[204:205], 1.0
	s_delay_alu instid0(VALU_DEP_1) | instskip(NEXT) | instid1(VALU_DEP_1)
	v_mul_f64 v[227:228], v[225:226], v[223:224]
	v_fma_f64 v[206:207], -v[206:207], v[227:228], v[225:226]
	s_delay_alu instid0(VALU_DEP_1) | instskip(NEXT) | instid1(VALU_DEP_1)
	v_div_fmas_f64 v[206:207], v[206:207], v[223:224], v[227:228]
	v_div_fixup_f64 v[206:207], v[206:207], v[204:205], 1.0
	s_delay_alu instid0(VALU_DEP_1)
	v_mul_f64 v[204:205], v[221:222], v[206:207]
	v_xor_b32_e32 v207, 0x80000000, v207
.LBB100_490:
	s_and_not1_saveexec_b32 s2, s2
	s_cbranch_execz .LBB100_492
; %bb.491:
	s_delay_alu instid0(VALU_DEP_1) | instskip(SKIP_1) | instid1(VALU_DEP_2)
	v_div_scale_f64 v[221:222], null, v[204:205], v[204:205], v[206:207]
	v_div_scale_f64 v[227:228], vcc_lo, v[206:207], v[204:205], v[206:207]
	v_rcp_f64_e32 v[223:224], v[221:222]
	s_waitcnt_depctr 0xfff
	v_fma_f64 v[225:226], -v[221:222], v[223:224], 1.0
	s_delay_alu instid0(VALU_DEP_1) | instskip(NEXT) | instid1(VALU_DEP_1)
	v_fma_f64 v[223:224], v[223:224], v[225:226], v[223:224]
	v_fma_f64 v[225:226], -v[221:222], v[223:224], 1.0
	s_delay_alu instid0(VALU_DEP_1) | instskip(NEXT) | instid1(VALU_DEP_1)
	v_fma_f64 v[223:224], v[223:224], v[225:226], v[223:224]
	v_mul_f64 v[225:226], v[227:228], v[223:224]
	s_delay_alu instid0(VALU_DEP_1) | instskip(NEXT) | instid1(VALU_DEP_1)
	v_fma_f64 v[221:222], -v[221:222], v[225:226], v[227:228]
	v_div_fmas_f64 v[221:222], v[221:222], v[223:224], v[225:226]
	s_delay_alu instid0(VALU_DEP_1) | instskip(NEXT) | instid1(VALU_DEP_1)
	v_div_fixup_f64 v[221:222], v[221:222], v[204:205], v[206:207]
	v_fma_f64 v[204:205], v[206:207], v[221:222], v[204:205]
	s_delay_alu instid0(VALU_DEP_1) | instskip(NEXT) | instid1(VALU_DEP_1)
	v_div_scale_f64 v[206:207], null, v[204:205], v[204:205], 1.0
	v_rcp_f64_e32 v[223:224], v[206:207]
	s_waitcnt_depctr 0xfff
	v_fma_f64 v[225:226], -v[206:207], v[223:224], 1.0
	s_delay_alu instid0(VALU_DEP_1) | instskip(NEXT) | instid1(VALU_DEP_1)
	v_fma_f64 v[223:224], v[223:224], v[225:226], v[223:224]
	v_fma_f64 v[225:226], -v[206:207], v[223:224], 1.0
	s_delay_alu instid0(VALU_DEP_1) | instskip(SKIP_1) | instid1(VALU_DEP_1)
	v_fma_f64 v[223:224], v[223:224], v[225:226], v[223:224]
	v_div_scale_f64 v[225:226], vcc_lo, 1.0, v[204:205], 1.0
	v_mul_f64 v[227:228], v[225:226], v[223:224]
	s_delay_alu instid0(VALU_DEP_1) | instskip(NEXT) | instid1(VALU_DEP_1)
	v_fma_f64 v[206:207], -v[206:207], v[227:228], v[225:226]
	v_div_fmas_f64 v[206:207], v[206:207], v[223:224], v[227:228]
	s_delay_alu instid0(VALU_DEP_1) | instskip(NEXT) | instid1(VALU_DEP_1)
	v_div_fixup_f64 v[204:205], v[206:207], v[204:205], 1.0
	v_mul_f64 v[206:207], v[221:222], -v[204:205]
.LBB100_492:
	s_or_b32 exec_lo, exec_lo, s2
.LBB100_493:
	s_delay_alu instid0(SALU_CYCLE_1) | instskip(NEXT) | instid1(SALU_CYCLE_1)
	s_or_b32 exec_lo, exec_lo, s3
	s_mov_b32 s2, exec_lo
	v_cmpx_ne_u32_e64 v220, v212
	s_xor_b32 s2, exec_lo, s2
	s_cbranch_execz .LBB100_499
; %bb.494:
	s_mov_b32 s3, exec_lo
	v_cmpx_eq_u32_e32 23, v220
	s_cbranch_execz .LBB100_498
; %bb.495:
	v_cmp_ne_u32_e32 vcc_lo, 23, v212
	s_xor_b32 s6, s4, -1
	s_delay_alu instid0(SALU_CYCLE_1) | instskip(NEXT) | instid1(SALU_CYCLE_1)
	s_and_b32 s7, s6, vcc_lo
	s_and_saveexec_b32 s6, s7
	s_cbranch_execz .LBB100_497
; %bb.496:
	v_ashrrev_i32_e32 v213, 31, v212
	s_delay_alu instid0(VALU_DEP_1) | instskip(NEXT) | instid1(VALU_DEP_1)
	v_lshlrev_b64 v[219:220], 2, v[212:213]
	v_add_co_u32 v219, vcc_lo, v210, v219
	s_delay_alu instid0(VALU_DEP_2)
	v_add_co_ci_u32_e32 v220, vcc_lo, v211, v220, vcc_lo
	s_clause 0x1
	flat_load_b32 v213, v[219:220]
	flat_load_b32 v221, v[210:211] offset:92
	s_waitcnt vmcnt(1) lgkmcnt(1)
	flat_store_b32 v[210:211], v213 offset:92
	s_waitcnt vmcnt(0) lgkmcnt(1)
	flat_store_b32 v[219:220], v221
.LBB100_497:
	s_or_b32 exec_lo, exec_lo, s6
	v_mov_b32_e32 v220, v212
	v_mov_b32_e32 v219, v212
.LBB100_498:
	s_or_b32 exec_lo, exec_lo, s3
.LBB100_499:
	s_and_not1_saveexec_b32 s2, s2
	s_cbranch_execz .LBB100_501
; %bb.500:
	v_mov_b32_e32 v220, 23
	ds_store_2addr_b64 v214, v[104:105], v[106:107] offset0:48 offset1:49
	ds_store_2addr_b64 v214, v[100:101], v[102:103] offset0:50 offset1:51
	;; [unrolled: 1-line block ×27, first 2 shown]
.LBB100_501:
	s_or_b32 exec_lo, exec_lo, s2
	s_delay_alu instid0(SALU_CYCLE_1)
	s_mov_b32 s2, exec_lo
	s_waitcnt lgkmcnt(0)
	s_waitcnt_vscnt null, 0x0
	s_barrier
	buffer_gl0_inv
	v_cmpx_lt_i32_e32 23, v220
	s_cbranch_execz .LBB100_503
; %bb.502:
	v_mul_f64 v[212:213], v[206:207], v[110:111]
	v_mul_f64 v[110:111], v[204:205], v[110:111]
	s_delay_alu instid0(VALU_DEP_2) | instskip(NEXT) | instid1(VALU_DEP_2)
	v_fma_f64 v[212:213], v[204:205], v[108:109], -v[212:213]
	v_fma_f64 v[110:111], v[206:207], v[108:109], v[110:111]
	ds_load_2addr_b64 v[204:207], v214 offset0:48 offset1:49
	s_waitcnt lgkmcnt(0)
	v_mul_f64 v[108:109], v[206:207], v[110:111]
	s_delay_alu instid0(VALU_DEP_1) | instskip(SKIP_1) | instid1(VALU_DEP_2)
	v_fma_f64 v[108:109], v[204:205], v[212:213], -v[108:109]
	v_mul_f64 v[204:205], v[204:205], v[110:111]
	v_add_f64 v[104:105], v[104:105], -v[108:109]
	s_delay_alu instid0(VALU_DEP_2) | instskip(NEXT) | instid1(VALU_DEP_1)
	v_fma_f64 v[204:205], v[206:207], v[212:213], v[204:205]
	v_add_f64 v[106:107], v[106:107], -v[204:205]
	ds_load_2addr_b64 v[204:207], v214 offset0:50 offset1:51
	s_waitcnt lgkmcnt(0)
	v_mul_f64 v[108:109], v[206:207], v[110:111]
	s_delay_alu instid0(VALU_DEP_1) | instskip(SKIP_1) | instid1(VALU_DEP_2)
	v_fma_f64 v[108:109], v[204:205], v[212:213], -v[108:109]
	v_mul_f64 v[204:205], v[204:205], v[110:111]
	v_add_f64 v[100:101], v[100:101], -v[108:109]
	s_delay_alu instid0(VALU_DEP_2) | instskip(NEXT) | instid1(VALU_DEP_1)
	v_fma_f64 v[204:205], v[206:207], v[212:213], v[204:205]
	v_add_f64 v[102:103], v[102:103], -v[204:205]
	ds_load_2addr_b64 v[204:207], v214 offset0:52 offset1:53
	s_waitcnt lgkmcnt(0)
	v_mul_f64 v[108:109], v[206:207], v[110:111]
	s_delay_alu instid0(VALU_DEP_1) | instskip(SKIP_1) | instid1(VALU_DEP_2)
	v_fma_f64 v[108:109], v[204:205], v[212:213], -v[108:109]
	v_mul_f64 v[204:205], v[204:205], v[110:111]
	v_add_f64 v[96:97], v[96:97], -v[108:109]
	s_delay_alu instid0(VALU_DEP_2) | instskip(NEXT) | instid1(VALU_DEP_1)
	v_fma_f64 v[204:205], v[206:207], v[212:213], v[204:205]
	v_add_f64 v[98:99], v[98:99], -v[204:205]
	ds_load_2addr_b64 v[204:207], v214 offset0:54 offset1:55
	s_waitcnt lgkmcnt(0)
	v_mul_f64 v[108:109], v[206:207], v[110:111]
	s_delay_alu instid0(VALU_DEP_1) | instskip(SKIP_1) | instid1(VALU_DEP_2)
	v_fma_f64 v[108:109], v[204:205], v[212:213], -v[108:109]
	v_mul_f64 v[204:205], v[204:205], v[110:111]
	v_add_f64 v[92:93], v[92:93], -v[108:109]
	s_delay_alu instid0(VALU_DEP_2) | instskip(NEXT) | instid1(VALU_DEP_1)
	v_fma_f64 v[204:205], v[206:207], v[212:213], v[204:205]
	v_add_f64 v[94:95], v[94:95], -v[204:205]
	ds_load_2addr_b64 v[204:207], v214 offset0:56 offset1:57
	s_waitcnt lgkmcnt(0)
	v_mul_f64 v[108:109], v[206:207], v[110:111]
	s_delay_alu instid0(VALU_DEP_1) | instskip(SKIP_1) | instid1(VALU_DEP_2)
	v_fma_f64 v[108:109], v[204:205], v[212:213], -v[108:109]
	v_mul_f64 v[204:205], v[204:205], v[110:111]
	v_add_f64 v[88:89], v[88:89], -v[108:109]
	s_delay_alu instid0(VALU_DEP_2) | instskip(NEXT) | instid1(VALU_DEP_1)
	v_fma_f64 v[204:205], v[206:207], v[212:213], v[204:205]
	v_add_f64 v[90:91], v[90:91], -v[204:205]
	ds_load_2addr_b64 v[204:207], v214 offset0:58 offset1:59
	s_waitcnt lgkmcnt(0)
	v_mul_f64 v[108:109], v[206:207], v[110:111]
	s_delay_alu instid0(VALU_DEP_1) | instskip(SKIP_1) | instid1(VALU_DEP_2)
	v_fma_f64 v[108:109], v[204:205], v[212:213], -v[108:109]
	v_mul_f64 v[204:205], v[204:205], v[110:111]
	v_add_f64 v[84:85], v[84:85], -v[108:109]
	s_delay_alu instid0(VALU_DEP_2) | instskip(NEXT) | instid1(VALU_DEP_1)
	v_fma_f64 v[204:205], v[206:207], v[212:213], v[204:205]
	v_add_f64 v[86:87], v[86:87], -v[204:205]
	ds_load_2addr_b64 v[204:207], v214 offset0:60 offset1:61
	s_waitcnt lgkmcnt(0)
	v_mul_f64 v[108:109], v[206:207], v[110:111]
	s_delay_alu instid0(VALU_DEP_1) | instskip(SKIP_1) | instid1(VALU_DEP_2)
	v_fma_f64 v[108:109], v[204:205], v[212:213], -v[108:109]
	v_mul_f64 v[204:205], v[204:205], v[110:111]
	v_add_f64 v[80:81], v[80:81], -v[108:109]
	s_delay_alu instid0(VALU_DEP_2) | instskip(NEXT) | instid1(VALU_DEP_1)
	v_fma_f64 v[204:205], v[206:207], v[212:213], v[204:205]
	v_add_f64 v[82:83], v[82:83], -v[204:205]
	ds_load_2addr_b64 v[204:207], v214 offset0:62 offset1:63
	s_waitcnt lgkmcnt(0)
	v_mul_f64 v[108:109], v[206:207], v[110:111]
	s_delay_alu instid0(VALU_DEP_1) | instskip(SKIP_1) | instid1(VALU_DEP_2)
	v_fma_f64 v[108:109], v[204:205], v[212:213], -v[108:109]
	v_mul_f64 v[204:205], v[204:205], v[110:111]
	v_add_f64 v[76:77], v[76:77], -v[108:109]
	s_delay_alu instid0(VALU_DEP_2) | instskip(NEXT) | instid1(VALU_DEP_1)
	v_fma_f64 v[204:205], v[206:207], v[212:213], v[204:205]
	v_add_f64 v[78:79], v[78:79], -v[204:205]
	ds_load_2addr_b64 v[204:207], v214 offset0:64 offset1:65
	s_waitcnt lgkmcnt(0)
	v_mul_f64 v[108:109], v[206:207], v[110:111]
	s_delay_alu instid0(VALU_DEP_1) | instskip(SKIP_1) | instid1(VALU_DEP_2)
	v_fma_f64 v[108:109], v[204:205], v[212:213], -v[108:109]
	v_mul_f64 v[204:205], v[204:205], v[110:111]
	v_add_f64 v[72:73], v[72:73], -v[108:109]
	s_delay_alu instid0(VALU_DEP_2) | instskip(NEXT) | instid1(VALU_DEP_1)
	v_fma_f64 v[204:205], v[206:207], v[212:213], v[204:205]
	v_add_f64 v[74:75], v[74:75], -v[204:205]
	ds_load_2addr_b64 v[204:207], v214 offset0:66 offset1:67
	s_waitcnt lgkmcnt(0)
	v_mul_f64 v[108:109], v[206:207], v[110:111]
	s_delay_alu instid0(VALU_DEP_1) | instskip(SKIP_1) | instid1(VALU_DEP_2)
	v_fma_f64 v[108:109], v[204:205], v[212:213], -v[108:109]
	v_mul_f64 v[204:205], v[204:205], v[110:111]
	v_add_f64 v[68:69], v[68:69], -v[108:109]
	s_delay_alu instid0(VALU_DEP_2) | instskip(NEXT) | instid1(VALU_DEP_1)
	v_fma_f64 v[204:205], v[206:207], v[212:213], v[204:205]
	v_add_f64 v[70:71], v[70:71], -v[204:205]
	ds_load_2addr_b64 v[204:207], v214 offset0:68 offset1:69
	s_waitcnt lgkmcnt(0)
	v_mul_f64 v[108:109], v[206:207], v[110:111]
	s_delay_alu instid0(VALU_DEP_1) | instskip(SKIP_1) | instid1(VALU_DEP_2)
	v_fma_f64 v[108:109], v[204:205], v[212:213], -v[108:109]
	v_mul_f64 v[204:205], v[204:205], v[110:111]
	v_add_f64 v[64:65], v[64:65], -v[108:109]
	s_delay_alu instid0(VALU_DEP_2) | instskip(NEXT) | instid1(VALU_DEP_1)
	v_fma_f64 v[204:205], v[206:207], v[212:213], v[204:205]
	v_add_f64 v[66:67], v[66:67], -v[204:205]
	ds_load_2addr_b64 v[204:207], v214 offset0:70 offset1:71
	s_waitcnt lgkmcnt(0)
	v_mul_f64 v[108:109], v[206:207], v[110:111]
	s_delay_alu instid0(VALU_DEP_1) | instskip(SKIP_1) | instid1(VALU_DEP_2)
	v_fma_f64 v[108:109], v[204:205], v[212:213], -v[108:109]
	v_mul_f64 v[204:205], v[204:205], v[110:111]
	v_add_f64 v[60:61], v[60:61], -v[108:109]
	s_delay_alu instid0(VALU_DEP_2) | instskip(NEXT) | instid1(VALU_DEP_1)
	v_fma_f64 v[204:205], v[206:207], v[212:213], v[204:205]
	v_add_f64 v[62:63], v[62:63], -v[204:205]
	ds_load_2addr_b64 v[204:207], v214 offset0:72 offset1:73
	s_waitcnt lgkmcnt(0)
	v_mul_f64 v[108:109], v[206:207], v[110:111]
	s_delay_alu instid0(VALU_DEP_1) | instskip(SKIP_1) | instid1(VALU_DEP_2)
	v_fma_f64 v[108:109], v[204:205], v[212:213], -v[108:109]
	v_mul_f64 v[204:205], v[204:205], v[110:111]
	v_add_f64 v[56:57], v[56:57], -v[108:109]
	s_delay_alu instid0(VALU_DEP_2) | instskip(NEXT) | instid1(VALU_DEP_1)
	v_fma_f64 v[204:205], v[206:207], v[212:213], v[204:205]
	v_add_f64 v[58:59], v[58:59], -v[204:205]
	ds_load_2addr_b64 v[204:207], v214 offset0:74 offset1:75
	s_waitcnt lgkmcnt(0)
	v_mul_f64 v[108:109], v[206:207], v[110:111]
	s_delay_alu instid0(VALU_DEP_1) | instskip(SKIP_1) | instid1(VALU_DEP_2)
	v_fma_f64 v[108:109], v[204:205], v[212:213], -v[108:109]
	v_mul_f64 v[204:205], v[204:205], v[110:111]
	v_add_f64 v[52:53], v[52:53], -v[108:109]
	s_delay_alu instid0(VALU_DEP_2) | instskip(NEXT) | instid1(VALU_DEP_1)
	v_fma_f64 v[204:205], v[206:207], v[212:213], v[204:205]
	v_add_f64 v[54:55], v[54:55], -v[204:205]
	ds_load_2addr_b64 v[204:207], v214 offset0:76 offset1:77
	s_waitcnt lgkmcnt(0)
	v_mul_f64 v[108:109], v[206:207], v[110:111]
	s_delay_alu instid0(VALU_DEP_1) | instskip(SKIP_1) | instid1(VALU_DEP_2)
	v_fma_f64 v[108:109], v[204:205], v[212:213], -v[108:109]
	v_mul_f64 v[204:205], v[204:205], v[110:111]
	v_add_f64 v[48:49], v[48:49], -v[108:109]
	s_delay_alu instid0(VALU_DEP_2) | instskip(NEXT) | instid1(VALU_DEP_1)
	v_fma_f64 v[204:205], v[206:207], v[212:213], v[204:205]
	v_add_f64 v[50:51], v[50:51], -v[204:205]
	ds_load_2addr_b64 v[204:207], v214 offset0:78 offset1:79
	s_waitcnt lgkmcnt(0)
	v_mul_f64 v[108:109], v[206:207], v[110:111]
	s_delay_alu instid0(VALU_DEP_1) | instskip(SKIP_1) | instid1(VALU_DEP_2)
	v_fma_f64 v[108:109], v[204:205], v[212:213], -v[108:109]
	v_mul_f64 v[204:205], v[204:205], v[110:111]
	v_add_f64 v[44:45], v[44:45], -v[108:109]
	s_delay_alu instid0(VALU_DEP_2) | instskip(NEXT) | instid1(VALU_DEP_1)
	v_fma_f64 v[204:205], v[206:207], v[212:213], v[204:205]
	v_add_f64 v[46:47], v[46:47], -v[204:205]
	ds_load_2addr_b64 v[204:207], v214 offset0:80 offset1:81
	s_waitcnt lgkmcnt(0)
	v_mul_f64 v[108:109], v[206:207], v[110:111]
	s_delay_alu instid0(VALU_DEP_1) | instskip(SKIP_1) | instid1(VALU_DEP_2)
	v_fma_f64 v[108:109], v[204:205], v[212:213], -v[108:109]
	v_mul_f64 v[204:205], v[204:205], v[110:111]
	v_add_f64 v[40:41], v[40:41], -v[108:109]
	s_delay_alu instid0(VALU_DEP_2) | instskip(NEXT) | instid1(VALU_DEP_1)
	v_fma_f64 v[204:205], v[206:207], v[212:213], v[204:205]
	v_add_f64 v[42:43], v[42:43], -v[204:205]
	ds_load_2addr_b64 v[204:207], v214 offset0:82 offset1:83
	s_waitcnt lgkmcnt(0)
	v_mul_f64 v[108:109], v[206:207], v[110:111]
	s_delay_alu instid0(VALU_DEP_1) | instskip(SKIP_1) | instid1(VALU_DEP_2)
	v_fma_f64 v[108:109], v[204:205], v[212:213], -v[108:109]
	v_mul_f64 v[204:205], v[204:205], v[110:111]
	v_add_f64 v[36:37], v[36:37], -v[108:109]
	s_delay_alu instid0(VALU_DEP_2) | instskip(NEXT) | instid1(VALU_DEP_1)
	v_fma_f64 v[204:205], v[206:207], v[212:213], v[204:205]
	v_add_f64 v[38:39], v[38:39], -v[204:205]
	ds_load_2addr_b64 v[204:207], v214 offset0:84 offset1:85
	s_waitcnt lgkmcnt(0)
	v_mul_f64 v[108:109], v[206:207], v[110:111]
	s_delay_alu instid0(VALU_DEP_1) | instskip(SKIP_1) | instid1(VALU_DEP_2)
	v_fma_f64 v[108:109], v[204:205], v[212:213], -v[108:109]
	v_mul_f64 v[204:205], v[204:205], v[110:111]
	v_add_f64 v[32:33], v[32:33], -v[108:109]
	s_delay_alu instid0(VALU_DEP_2) | instskip(NEXT) | instid1(VALU_DEP_1)
	v_fma_f64 v[204:205], v[206:207], v[212:213], v[204:205]
	v_add_f64 v[34:35], v[34:35], -v[204:205]
	ds_load_2addr_b64 v[204:207], v214 offset0:86 offset1:87
	s_waitcnt lgkmcnt(0)
	v_mul_f64 v[108:109], v[206:207], v[110:111]
	s_delay_alu instid0(VALU_DEP_1) | instskip(SKIP_1) | instid1(VALU_DEP_2)
	v_fma_f64 v[108:109], v[204:205], v[212:213], -v[108:109]
	v_mul_f64 v[204:205], v[204:205], v[110:111]
	v_add_f64 v[28:29], v[28:29], -v[108:109]
	s_delay_alu instid0(VALU_DEP_2) | instskip(NEXT) | instid1(VALU_DEP_1)
	v_fma_f64 v[204:205], v[206:207], v[212:213], v[204:205]
	v_add_f64 v[30:31], v[30:31], -v[204:205]
	ds_load_2addr_b64 v[204:207], v214 offset0:88 offset1:89
	s_waitcnt lgkmcnt(0)
	v_mul_f64 v[108:109], v[206:207], v[110:111]
	s_delay_alu instid0(VALU_DEP_1) | instskip(SKIP_1) | instid1(VALU_DEP_2)
	v_fma_f64 v[108:109], v[204:205], v[212:213], -v[108:109]
	v_mul_f64 v[204:205], v[204:205], v[110:111]
	v_add_f64 v[24:25], v[24:25], -v[108:109]
	s_delay_alu instid0(VALU_DEP_2) | instskip(NEXT) | instid1(VALU_DEP_1)
	v_fma_f64 v[204:205], v[206:207], v[212:213], v[204:205]
	v_add_f64 v[26:27], v[26:27], -v[204:205]
	ds_load_2addr_b64 v[204:207], v214 offset0:90 offset1:91
	s_waitcnt lgkmcnt(0)
	v_mul_f64 v[108:109], v[206:207], v[110:111]
	s_delay_alu instid0(VALU_DEP_1) | instskip(SKIP_1) | instid1(VALU_DEP_2)
	v_fma_f64 v[108:109], v[204:205], v[212:213], -v[108:109]
	v_mul_f64 v[204:205], v[204:205], v[110:111]
	v_add_f64 v[20:21], v[20:21], -v[108:109]
	s_delay_alu instid0(VALU_DEP_2) | instskip(NEXT) | instid1(VALU_DEP_1)
	v_fma_f64 v[204:205], v[206:207], v[212:213], v[204:205]
	v_add_f64 v[22:23], v[22:23], -v[204:205]
	ds_load_2addr_b64 v[204:207], v214 offset0:92 offset1:93
	s_waitcnt lgkmcnt(0)
	v_mul_f64 v[108:109], v[206:207], v[110:111]
	s_delay_alu instid0(VALU_DEP_1) | instskip(SKIP_1) | instid1(VALU_DEP_2)
	v_fma_f64 v[108:109], v[204:205], v[212:213], -v[108:109]
	v_mul_f64 v[204:205], v[204:205], v[110:111]
	v_add_f64 v[16:17], v[16:17], -v[108:109]
	s_delay_alu instid0(VALU_DEP_2) | instskip(NEXT) | instid1(VALU_DEP_1)
	v_fma_f64 v[204:205], v[206:207], v[212:213], v[204:205]
	v_add_f64 v[18:19], v[18:19], -v[204:205]
	ds_load_2addr_b64 v[204:207], v214 offset0:94 offset1:95
	s_waitcnt lgkmcnt(0)
	v_mul_f64 v[108:109], v[206:207], v[110:111]
	s_delay_alu instid0(VALU_DEP_1) | instskip(SKIP_1) | instid1(VALU_DEP_2)
	v_fma_f64 v[108:109], v[204:205], v[212:213], -v[108:109]
	v_mul_f64 v[204:205], v[204:205], v[110:111]
	v_add_f64 v[12:13], v[12:13], -v[108:109]
	s_delay_alu instid0(VALU_DEP_2) | instskip(NEXT) | instid1(VALU_DEP_1)
	v_fma_f64 v[204:205], v[206:207], v[212:213], v[204:205]
	v_add_f64 v[14:15], v[14:15], -v[204:205]
	ds_load_2addr_b64 v[204:207], v214 offset0:96 offset1:97
	s_waitcnt lgkmcnt(0)
	v_mul_f64 v[108:109], v[206:207], v[110:111]
	s_delay_alu instid0(VALU_DEP_1) | instskip(SKIP_1) | instid1(VALU_DEP_2)
	v_fma_f64 v[108:109], v[204:205], v[212:213], -v[108:109]
	v_mul_f64 v[204:205], v[204:205], v[110:111]
	v_add_f64 v[8:9], v[8:9], -v[108:109]
	s_delay_alu instid0(VALU_DEP_2) | instskip(NEXT) | instid1(VALU_DEP_1)
	v_fma_f64 v[204:205], v[206:207], v[212:213], v[204:205]
	v_add_f64 v[10:11], v[10:11], -v[204:205]
	ds_load_2addr_b64 v[204:207], v214 offset0:98 offset1:99
	s_waitcnt lgkmcnt(0)
	v_mul_f64 v[108:109], v[206:207], v[110:111]
	s_delay_alu instid0(VALU_DEP_1) | instskip(SKIP_1) | instid1(VALU_DEP_2)
	v_fma_f64 v[108:109], v[204:205], v[212:213], -v[108:109]
	v_mul_f64 v[204:205], v[204:205], v[110:111]
	v_add_f64 v[4:5], v[4:5], -v[108:109]
	s_delay_alu instid0(VALU_DEP_2) | instskip(NEXT) | instid1(VALU_DEP_1)
	v_fma_f64 v[204:205], v[206:207], v[212:213], v[204:205]
	v_add_f64 v[6:7], v[6:7], -v[204:205]
	ds_load_2addr_b64 v[204:207], v214 offset0:100 offset1:101
	s_waitcnt lgkmcnt(0)
	v_mul_f64 v[108:109], v[206:207], v[110:111]
	s_delay_alu instid0(VALU_DEP_1) | instskip(SKIP_1) | instid1(VALU_DEP_2)
	v_fma_f64 v[108:109], v[204:205], v[212:213], -v[108:109]
	v_mul_f64 v[204:205], v[204:205], v[110:111]
	v_add_f64 v[0:1], v[0:1], -v[108:109]
	s_delay_alu instid0(VALU_DEP_2) | instskip(SKIP_1) | instid1(VALU_DEP_2)
	v_fma_f64 v[204:205], v[206:207], v[212:213], v[204:205]
	v_dual_mov_b32 v108, v212 :: v_dual_mov_b32 v109, v213
	v_add_f64 v[2:3], v[2:3], -v[204:205]
.LBB100_503:
	s_or_b32 exec_lo, exec_lo, s2
	v_lshl_add_u32 v204, v220, 4, v214
	s_barrier
	buffer_gl0_inv
	v_mov_b32_e32 v212, 24
	ds_store_2addr_b64 v204, v[104:105], v[106:107] offset1:1
	s_waitcnt lgkmcnt(0)
	s_barrier
	buffer_gl0_inv
	ds_load_2addr_b64 v[204:207], v214 offset0:48 offset1:49
	s_cmp_lt_i32 s5, 26
	s_cbranch_scc1 .LBB100_506
; %bb.504:
	v_add3_u32 v213, v218, 0, 0x190
	v_mov_b32_e32 v212, 24
	s_mov_b32 s6, 25
	s_set_inst_prefetch_distance 0x1
	.p2align	6
.LBB100_505:                            ; =>This Inner Loop Header: Depth=1
	ds_load_2addr_b64 v[221:224], v213 offset1:1
	s_waitcnt lgkmcnt(1)
	v_cmp_gt_f64_e32 vcc_lo, 0, v[204:205]
	v_xor_b32_e32 v225, 0x80000000, v205
	v_cmp_gt_f64_e64 s2, 0, v[206:207]
	v_xor_b32_e32 v227, 0x80000000, v207
	v_add_nc_u32_e32 v213, 16, v213
	s_waitcnt lgkmcnt(0)
	v_cmp_gt_f64_e64 s3, 0, v[221:222]
	v_mov_b32_e32 v229, v221
	v_dual_mov_b32 v231, v223 :: v_dual_cndmask_b32 v226, v205, v225
	v_xor_b32_e32 v225, 0x80000000, v222
	v_cndmask_b32_e64 v228, v207, v227, s2
	v_xor_b32_e32 v227, 0x80000000, v224
	s_delay_alu instid0(VALU_DEP_3) | instskip(SKIP_2) | instid1(VALU_DEP_2)
	v_cndmask_b32_e64 v230, v222, v225, s3
	v_cmp_gt_f64_e64 s3, 0, v[223:224]
	v_cndmask_b32_e32 v225, v204, v204, vcc_lo
	v_cndmask_b32_e64 v232, v224, v227, s3
	v_cndmask_b32_e64 v227, v206, v206, s2
	s_delay_alu instid0(VALU_DEP_2) | instskip(NEXT) | instid1(VALU_DEP_2)
	v_add_f64 v[229:230], v[229:230], v[231:232]
	v_add_f64 v[225:226], v[225:226], v[227:228]
	s_delay_alu instid0(VALU_DEP_1) | instskip(SKIP_4) | instid1(SALU_CYCLE_1)
	v_cmp_lt_f64_e32 vcc_lo, v[225:226], v[229:230]
	v_dual_cndmask_b32 v206, v206, v223 :: v_dual_cndmask_b32 v205, v205, v222
	v_dual_cndmask_b32 v204, v204, v221 :: v_dual_cndmask_b32 v207, v207, v224
	v_cndmask_b32_e64 v212, v212, s6, vcc_lo
	s_add_i32 s6, s6, 1
	s_cmp_lg_u32 s5, s6
	s_cbranch_scc1 .LBB100_505
.LBB100_506:
	s_set_inst_prefetch_distance 0x2
	s_waitcnt lgkmcnt(0)
	v_cmp_eq_f64_e32 vcc_lo, 0, v[204:205]
	v_cmp_eq_f64_e64 s2, 0, v[206:207]
	s_delay_alu instid0(VALU_DEP_1) | instskip(NEXT) | instid1(SALU_CYCLE_1)
	s_and_b32 s2, vcc_lo, s2
	s_and_saveexec_b32 s3, s2
	s_delay_alu instid0(SALU_CYCLE_1)
	s_xor_b32 s2, exec_lo, s3
; %bb.507:
	v_cmp_ne_u32_e32 vcc_lo, 0, v217
	v_cndmask_b32_e32 v217, 25, v217, vcc_lo
; %bb.508:
	s_and_not1_saveexec_b32 s3, s2
	s_cbranch_execz .LBB100_514
; %bb.509:
	v_cmp_gt_f64_e32 vcc_lo, 0, v[204:205]
	v_cmp_gt_f64_e64 s2, 0, v[206:207]
	v_xor_b32_e32 v213, 0x80000000, v205
	v_xor_b32_e32 v221, 0x80000000, v207
	s_delay_alu instid0(VALU_DEP_2) | instskip(NEXT) | instid1(VALU_DEP_2)
	v_cndmask_b32_e32 v222, v205, v213, vcc_lo
	v_cndmask_b32_e64 v224, v207, v221, s2
	v_cndmask_b32_e32 v221, v204, v204, vcc_lo
	v_cndmask_b32_e64 v223, v206, v206, s2
	s_mov_b32 s2, exec_lo
	s_delay_alu instid0(VALU_DEP_1)
	v_cmpx_ngt_f64_e32 v[221:222], v[223:224]
	s_xor_b32 s2, exec_lo, s2
	s_cbranch_execz .LBB100_511
; %bb.510:
	v_div_scale_f64 v[221:222], null, v[206:207], v[206:207], v[204:205]
	v_div_scale_f64 v[227:228], vcc_lo, v[204:205], v[206:207], v[204:205]
	s_delay_alu instid0(VALU_DEP_2) | instskip(SKIP_2) | instid1(VALU_DEP_1)
	v_rcp_f64_e32 v[223:224], v[221:222]
	s_waitcnt_depctr 0xfff
	v_fma_f64 v[225:226], -v[221:222], v[223:224], 1.0
	v_fma_f64 v[223:224], v[223:224], v[225:226], v[223:224]
	s_delay_alu instid0(VALU_DEP_1) | instskip(NEXT) | instid1(VALU_DEP_1)
	v_fma_f64 v[225:226], -v[221:222], v[223:224], 1.0
	v_fma_f64 v[223:224], v[223:224], v[225:226], v[223:224]
	s_delay_alu instid0(VALU_DEP_1) | instskip(NEXT) | instid1(VALU_DEP_1)
	v_mul_f64 v[225:226], v[227:228], v[223:224]
	v_fma_f64 v[221:222], -v[221:222], v[225:226], v[227:228]
	s_delay_alu instid0(VALU_DEP_1) | instskip(NEXT) | instid1(VALU_DEP_1)
	v_div_fmas_f64 v[221:222], v[221:222], v[223:224], v[225:226]
	v_div_fixup_f64 v[221:222], v[221:222], v[206:207], v[204:205]
	s_delay_alu instid0(VALU_DEP_1) | instskip(NEXT) | instid1(VALU_DEP_1)
	v_fma_f64 v[204:205], v[204:205], v[221:222], v[206:207]
	v_div_scale_f64 v[206:207], null, v[204:205], v[204:205], 1.0
	s_delay_alu instid0(VALU_DEP_1) | instskip(SKIP_2) | instid1(VALU_DEP_1)
	v_rcp_f64_e32 v[223:224], v[206:207]
	s_waitcnt_depctr 0xfff
	v_fma_f64 v[225:226], -v[206:207], v[223:224], 1.0
	v_fma_f64 v[223:224], v[223:224], v[225:226], v[223:224]
	s_delay_alu instid0(VALU_DEP_1) | instskip(NEXT) | instid1(VALU_DEP_1)
	v_fma_f64 v[225:226], -v[206:207], v[223:224], 1.0
	v_fma_f64 v[223:224], v[223:224], v[225:226], v[223:224]
	v_div_scale_f64 v[225:226], vcc_lo, 1.0, v[204:205], 1.0
	s_delay_alu instid0(VALU_DEP_1) | instskip(NEXT) | instid1(VALU_DEP_1)
	v_mul_f64 v[227:228], v[225:226], v[223:224]
	v_fma_f64 v[206:207], -v[206:207], v[227:228], v[225:226]
	s_delay_alu instid0(VALU_DEP_1) | instskip(NEXT) | instid1(VALU_DEP_1)
	v_div_fmas_f64 v[206:207], v[206:207], v[223:224], v[227:228]
	v_div_fixup_f64 v[206:207], v[206:207], v[204:205], 1.0
	s_delay_alu instid0(VALU_DEP_1)
	v_mul_f64 v[204:205], v[221:222], v[206:207]
	v_xor_b32_e32 v207, 0x80000000, v207
.LBB100_511:
	s_and_not1_saveexec_b32 s2, s2
	s_cbranch_execz .LBB100_513
; %bb.512:
	s_delay_alu instid0(VALU_DEP_1) | instskip(SKIP_1) | instid1(VALU_DEP_2)
	v_div_scale_f64 v[221:222], null, v[204:205], v[204:205], v[206:207]
	v_div_scale_f64 v[227:228], vcc_lo, v[206:207], v[204:205], v[206:207]
	v_rcp_f64_e32 v[223:224], v[221:222]
	s_waitcnt_depctr 0xfff
	v_fma_f64 v[225:226], -v[221:222], v[223:224], 1.0
	s_delay_alu instid0(VALU_DEP_1) | instskip(NEXT) | instid1(VALU_DEP_1)
	v_fma_f64 v[223:224], v[223:224], v[225:226], v[223:224]
	v_fma_f64 v[225:226], -v[221:222], v[223:224], 1.0
	s_delay_alu instid0(VALU_DEP_1) | instskip(NEXT) | instid1(VALU_DEP_1)
	v_fma_f64 v[223:224], v[223:224], v[225:226], v[223:224]
	v_mul_f64 v[225:226], v[227:228], v[223:224]
	s_delay_alu instid0(VALU_DEP_1) | instskip(NEXT) | instid1(VALU_DEP_1)
	v_fma_f64 v[221:222], -v[221:222], v[225:226], v[227:228]
	v_div_fmas_f64 v[221:222], v[221:222], v[223:224], v[225:226]
	s_delay_alu instid0(VALU_DEP_1) | instskip(NEXT) | instid1(VALU_DEP_1)
	v_div_fixup_f64 v[221:222], v[221:222], v[204:205], v[206:207]
	v_fma_f64 v[204:205], v[206:207], v[221:222], v[204:205]
	s_delay_alu instid0(VALU_DEP_1) | instskip(NEXT) | instid1(VALU_DEP_1)
	v_div_scale_f64 v[206:207], null, v[204:205], v[204:205], 1.0
	v_rcp_f64_e32 v[223:224], v[206:207]
	s_waitcnt_depctr 0xfff
	v_fma_f64 v[225:226], -v[206:207], v[223:224], 1.0
	s_delay_alu instid0(VALU_DEP_1) | instskip(NEXT) | instid1(VALU_DEP_1)
	v_fma_f64 v[223:224], v[223:224], v[225:226], v[223:224]
	v_fma_f64 v[225:226], -v[206:207], v[223:224], 1.0
	s_delay_alu instid0(VALU_DEP_1) | instskip(SKIP_1) | instid1(VALU_DEP_1)
	v_fma_f64 v[223:224], v[223:224], v[225:226], v[223:224]
	v_div_scale_f64 v[225:226], vcc_lo, 1.0, v[204:205], 1.0
	v_mul_f64 v[227:228], v[225:226], v[223:224]
	s_delay_alu instid0(VALU_DEP_1) | instskip(NEXT) | instid1(VALU_DEP_1)
	v_fma_f64 v[206:207], -v[206:207], v[227:228], v[225:226]
	v_div_fmas_f64 v[206:207], v[206:207], v[223:224], v[227:228]
	s_delay_alu instid0(VALU_DEP_1) | instskip(NEXT) | instid1(VALU_DEP_1)
	v_div_fixup_f64 v[204:205], v[206:207], v[204:205], 1.0
	v_mul_f64 v[206:207], v[221:222], -v[204:205]
.LBB100_513:
	s_or_b32 exec_lo, exec_lo, s2
.LBB100_514:
	s_delay_alu instid0(SALU_CYCLE_1) | instskip(NEXT) | instid1(SALU_CYCLE_1)
	s_or_b32 exec_lo, exec_lo, s3
	s_mov_b32 s2, exec_lo
	v_cmpx_ne_u32_e64 v220, v212
	s_xor_b32 s2, exec_lo, s2
	s_cbranch_execz .LBB100_520
; %bb.515:
	s_mov_b32 s3, exec_lo
	v_cmpx_eq_u32_e32 24, v220
	s_cbranch_execz .LBB100_519
; %bb.516:
	v_cmp_ne_u32_e32 vcc_lo, 24, v212
	s_xor_b32 s6, s4, -1
	s_delay_alu instid0(SALU_CYCLE_1) | instskip(NEXT) | instid1(SALU_CYCLE_1)
	s_and_b32 s7, s6, vcc_lo
	s_and_saveexec_b32 s6, s7
	s_cbranch_execz .LBB100_518
; %bb.517:
	v_ashrrev_i32_e32 v213, 31, v212
	s_delay_alu instid0(VALU_DEP_1) | instskip(NEXT) | instid1(VALU_DEP_1)
	v_lshlrev_b64 v[219:220], 2, v[212:213]
	v_add_co_u32 v219, vcc_lo, v210, v219
	s_delay_alu instid0(VALU_DEP_2)
	v_add_co_ci_u32_e32 v220, vcc_lo, v211, v220, vcc_lo
	s_clause 0x1
	flat_load_b32 v213, v[219:220]
	flat_load_b32 v221, v[210:211] offset:96
	s_waitcnt vmcnt(1) lgkmcnt(1)
	flat_store_b32 v[210:211], v213 offset:96
	s_waitcnt vmcnt(0) lgkmcnt(1)
	flat_store_b32 v[219:220], v221
.LBB100_518:
	s_or_b32 exec_lo, exec_lo, s6
	v_mov_b32_e32 v220, v212
	v_mov_b32_e32 v219, v212
.LBB100_519:
	s_or_b32 exec_lo, exec_lo, s3
.LBB100_520:
	s_and_not1_saveexec_b32 s2, s2
	s_cbranch_execz .LBB100_522
; %bb.521:
	v_mov_b32_e32 v220, 24
	ds_store_2addr_b64 v214, v[100:101], v[102:103] offset0:50 offset1:51
	ds_store_2addr_b64 v214, v[96:97], v[98:99] offset0:52 offset1:53
	;; [unrolled: 1-line block ×26, first 2 shown]
.LBB100_522:
	s_or_b32 exec_lo, exec_lo, s2
	s_delay_alu instid0(SALU_CYCLE_1)
	s_mov_b32 s2, exec_lo
	s_waitcnt lgkmcnt(0)
	s_waitcnt_vscnt null, 0x0
	s_barrier
	buffer_gl0_inv
	v_cmpx_lt_i32_e32 24, v220
	s_cbranch_execz .LBB100_524
; %bb.523:
	v_mul_f64 v[212:213], v[206:207], v[106:107]
	v_mul_f64 v[106:107], v[204:205], v[106:107]
	s_delay_alu instid0(VALU_DEP_2) | instskip(NEXT) | instid1(VALU_DEP_2)
	v_fma_f64 v[212:213], v[204:205], v[104:105], -v[212:213]
	v_fma_f64 v[106:107], v[206:207], v[104:105], v[106:107]
	ds_load_2addr_b64 v[204:207], v214 offset0:50 offset1:51
	s_waitcnt lgkmcnt(0)
	v_mul_f64 v[104:105], v[206:207], v[106:107]
	s_delay_alu instid0(VALU_DEP_1) | instskip(SKIP_1) | instid1(VALU_DEP_2)
	v_fma_f64 v[104:105], v[204:205], v[212:213], -v[104:105]
	v_mul_f64 v[204:205], v[204:205], v[106:107]
	v_add_f64 v[100:101], v[100:101], -v[104:105]
	s_delay_alu instid0(VALU_DEP_2) | instskip(NEXT) | instid1(VALU_DEP_1)
	v_fma_f64 v[204:205], v[206:207], v[212:213], v[204:205]
	v_add_f64 v[102:103], v[102:103], -v[204:205]
	ds_load_2addr_b64 v[204:207], v214 offset0:52 offset1:53
	s_waitcnt lgkmcnt(0)
	v_mul_f64 v[104:105], v[206:207], v[106:107]
	s_delay_alu instid0(VALU_DEP_1) | instskip(SKIP_1) | instid1(VALU_DEP_2)
	v_fma_f64 v[104:105], v[204:205], v[212:213], -v[104:105]
	v_mul_f64 v[204:205], v[204:205], v[106:107]
	v_add_f64 v[96:97], v[96:97], -v[104:105]
	s_delay_alu instid0(VALU_DEP_2) | instskip(NEXT) | instid1(VALU_DEP_1)
	v_fma_f64 v[204:205], v[206:207], v[212:213], v[204:205]
	v_add_f64 v[98:99], v[98:99], -v[204:205]
	ds_load_2addr_b64 v[204:207], v214 offset0:54 offset1:55
	s_waitcnt lgkmcnt(0)
	v_mul_f64 v[104:105], v[206:207], v[106:107]
	s_delay_alu instid0(VALU_DEP_1) | instskip(SKIP_1) | instid1(VALU_DEP_2)
	v_fma_f64 v[104:105], v[204:205], v[212:213], -v[104:105]
	v_mul_f64 v[204:205], v[204:205], v[106:107]
	v_add_f64 v[92:93], v[92:93], -v[104:105]
	s_delay_alu instid0(VALU_DEP_2) | instskip(NEXT) | instid1(VALU_DEP_1)
	v_fma_f64 v[204:205], v[206:207], v[212:213], v[204:205]
	v_add_f64 v[94:95], v[94:95], -v[204:205]
	ds_load_2addr_b64 v[204:207], v214 offset0:56 offset1:57
	s_waitcnt lgkmcnt(0)
	v_mul_f64 v[104:105], v[206:207], v[106:107]
	s_delay_alu instid0(VALU_DEP_1) | instskip(SKIP_1) | instid1(VALU_DEP_2)
	v_fma_f64 v[104:105], v[204:205], v[212:213], -v[104:105]
	v_mul_f64 v[204:205], v[204:205], v[106:107]
	v_add_f64 v[88:89], v[88:89], -v[104:105]
	s_delay_alu instid0(VALU_DEP_2) | instskip(NEXT) | instid1(VALU_DEP_1)
	v_fma_f64 v[204:205], v[206:207], v[212:213], v[204:205]
	v_add_f64 v[90:91], v[90:91], -v[204:205]
	ds_load_2addr_b64 v[204:207], v214 offset0:58 offset1:59
	s_waitcnt lgkmcnt(0)
	v_mul_f64 v[104:105], v[206:207], v[106:107]
	s_delay_alu instid0(VALU_DEP_1) | instskip(SKIP_1) | instid1(VALU_DEP_2)
	v_fma_f64 v[104:105], v[204:205], v[212:213], -v[104:105]
	v_mul_f64 v[204:205], v[204:205], v[106:107]
	v_add_f64 v[84:85], v[84:85], -v[104:105]
	s_delay_alu instid0(VALU_DEP_2) | instskip(NEXT) | instid1(VALU_DEP_1)
	v_fma_f64 v[204:205], v[206:207], v[212:213], v[204:205]
	v_add_f64 v[86:87], v[86:87], -v[204:205]
	ds_load_2addr_b64 v[204:207], v214 offset0:60 offset1:61
	s_waitcnt lgkmcnt(0)
	v_mul_f64 v[104:105], v[206:207], v[106:107]
	s_delay_alu instid0(VALU_DEP_1) | instskip(SKIP_1) | instid1(VALU_DEP_2)
	v_fma_f64 v[104:105], v[204:205], v[212:213], -v[104:105]
	v_mul_f64 v[204:205], v[204:205], v[106:107]
	v_add_f64 v[80:81], v[80:81], -v[104:105]
	s_delay_alu instid0(VALU_DEP_2) | instskip(NEXT) | instid1(VALU_DEP_1)
	v_fma_f64 v[204:205], v[206:207], v[212:213], v[204:205]
	v_add_f64 v[82:83], v[82:83], -v[204:205]
	ds_load_2addr_b64 v[204:207], v214 offset0:62 offset1:63
	s_waitcnt lgkmcnt(0)
	v_mul_f64 v[104:105], v[206:207], v[106:107]
	s_delay_alu instid0(VALU_DEP_1) | instskip(SKIP_1) | instid1(VALU_DEP_2)
	v_fma_f64 v[104:105], v[204:205], v[212:213], -v[104:105]
	v_mul_f64 v[204:205], v[204:205], v[106:107]
	v_add_f64 v[76:77], v[76:77], -v[104:105]
	s_delay_alu instid0(VALU_DEP_2) | instskip(NEXT) | instid1(VALU_DEP_1)
	v_fma_f64 v[204:205], v[206:207], v[212:213], v[204:205]
	v_add_f64 v[78:79], v[78:79], -v[204:205]
	ds_load_2addr_b64 v[204:207], v214 offset0:64 offset1:65
	s_waitcnt lgkmcnt(0)
	v_mul_f64 v[104:105], v[206:207], v[106:107]
	s_delay_alu instid0(VALU_DEP_1) | instskip(SKIP_1) | instid1(VALU_DEP_2)
	v_fma_f64 v[104:105], v[204:205], v[212:213], -v[104:105]
	v_mul_f64 v[204:205], v[204:205], v[106:107]
	v_add_f64 v[72:73], v[72:73], -v[104:105]
	s_delay_alu instid0(VALU_DEP_2) | instskip(NEXT) | instid1(VALU_DEP_1)
	v_fma_f64 v[204:205], v[206:207], v[212:213], v[204:205]
	v_add_f64 v[74:75], v[74:75], -v[204:205]
	ds_load_2addr_b64 v[204:207], v214 offset0:66 offset1:67
	s_waitcnt lgkmcnt(0)
	v_mul_f64 v[104:105], v[206:207], v[106:107]
	s_delay_alu instid0(VALU_DEP_1) | instskip(SKIP_1) | instid1(VALU_DEP_2)
	v_fma_f64 v[104:105], v[204:205], v[212:213], -v[104:105]
	v_mul_f64 v[204:205], v[204:205], v[106:107]
	v_add_f64 v[68:69], v[68:69], -v[104:105]
	s_delay_alu instid0(VALU_DEP_2) | instskip(NEXT) | instid1(VALU_DEP_1)
	v_fma_f64 v[204:205], v[206:207], v[212:213], v[204:205]
	v_add_f64 v[70:71], v[70:71], -v[204:205]
	ds_load_2addr_b64 v[204:207], v214 offset0:68 offset1:69
	s_waitcnt lgkmcnt(0)
	v_mul_f64 v[104:105], v[206:207], v[106:107]
	s_delay_alu instid0(VALU_DEP_1) | instskip(SKIP_1) | instid1(VALU_DEP_2)
	v_fma_f64 v[104:105], v[204:205], v[212:213], -v[104:105]
	v_mul_f64 v[204:205], v[204:205], v[106:107]
	v_add_f64 v[64:65], v[64:65], -v[104:105]
	s_delay_alu instid0(VALU_DEP_2) | instskip(NEXT) | instid1(VALU_DEP_1)
	v_fma_f64 v[204:205], v[206:207], v[212:213], v[204:205]
	v_add_f64 v[66:67], v[66:67], -v[204:205]
	ds_load_2addr_b64 v[204:207], v214 offset0:70 offset1:71
	s_waitcnt lgkmcnt(0)
	v_mul_f64 v[104:105], v[206:207], v[106:107]
	s_delay_alu instid0(VALU_DEP_1) | instskip(SKIP_1) | instid1(VALU_DEP_2)
	v_fma_f64 v[104:105], v[204:205], v[212:213], -v[104:105]
	v_mul_f64 v[204:205], v[204:205], v[106:107]
	v_add_f64 v[60:61], v[60:61], -v[104:105]
	s_delay_alu instid0(VALU_DEP_2) | instskip(NEXT) | instid1(VALU_DEP_1)
	v_fma_f64 v[204:205], v[206:207], v[212:213], v[204:205]
	v_add_f64 v[62:63], v[62:63], -v[204:205]
	ds_load_2addr_b64 v[204:207], v214 offset0:72 offset1:73
	s_waitcnt lgkmcnt(0)
	v_mul_f64 v[104:105], v[206:207], v[106:107]
	s_delay_alu instid0(VALU_DEP_1) | instskip(SKIP_1) | instid1(VALU_DEP_2)
	v_fma_f64 v[104:105], v[204:205], v[212:213], -v[104:105]
	v_mul_f64 v[204:205], v[204:205], v[106:107]
	v_add_f64 v[56:57], v[56:57], -v[104:105]
	s_delay_alu instid0(VALU_DEP_2) | instskip(NEXT) | instid1(VALU_DEP_1)
	v_fma_f64 v[204:205], v[206:207], v[212:213], v[204:205]
	v_add_f64 v[58:59], v[58:59], -v[204:205]
	ds_load_2addr_b64 v[204:207], v214 offset0:74 offset1:75
	s_waitcnt lgkmcnt(0)
	v_mul_f64 v[104:105], v[206:207], v[106:107]
	s_delay_alu instid0(VALU_DEP_1) | instskip(SKIP_1) | instid1(VALU_DEP_2)
	v_fma_f64 v[104:105], v[204:205], v[212:213], -v[104:105]
	v_mul_f64 v[204:205], v[204:205], v[106:107]
	v_add_f64 v[52:53], v[52:53], -v[104:105]
	s_delay_alu instid0(VALU_DEP_2) | instskip(NEXT) | instid1(VALU_DEP_1)
	v_fma_f64 v[204:205], v[206:207], v[212:213], v[204:205]
	v_add_f64 v[54:55], v[54:55], -v[204:205]
	ds_load_2addr_b64 v[204:207], v214 offset0:76 offset1:77
	s_waitcnt lgkmcnt(0)
	v_mul_f64 v[104:105], v[206:207], v[106:107]
	s_delay_alu instid0(VALU_DEP_1) | instskip(SKIP_1) | instid1(VALU_DEP_2)
	v_fma_f64 v[104:105], v[204:205], v[212:213], -v[104:105]
	v_mul_f64 v[204:205], v[204:205], v[106:107]
	v_add_f64 v[48:49], v[48:49], -v[104:105]
	s_delay_alu instid0(VALU_DEP_2) | instskip(NEXT) | instid1(VALU_DEP_1)
	v_fma_f64 v[204:205], v[206:207], v[212:213], v[204:205]
	v_add_f64 v[50:51], v[50:51], -v[204:205]
	ds_load_2addr_b64 v[204:207], v214 offset0:78 offset1:79
	s_waitcnt lgkmcnt(0)
	v_mul_f64 v[104:105], v[206:207], v[106:107]
	s_delay_alu instid0(VALU_DEP_1) | instskip(SKIP_1) | instid1(VALU_DEP_2)
	v_fma_f64 v[104:105], v[204:205], v[212:213], -v[104:105]
	v_mul_f64 v[204:205], v[204:205], v[106:107]
	v_add_f64 v[44:45], v[44:45], -v[104:105]
	s_delay_alu instid0(VALU_DEP_2) | instskip(NEXT) | instid1(VALU_DEP_1)
	v_fma_f64 v[204:205], v[206:207], v[212:213], v[204:205]
	v_add_f64 v[46:47], v[46:47], -v[204:205]
	ds_load_2addr_b64 v[204:207], v214 offset0:80 offset1:81
	s_waitcnt lgkmcnt(0)
	v_mul_f64 v[104:105], v[206:207], v[106:107]
	s_delay_alu instid0(VALU_DEP_1) | instskip(SKIP_1) | instid1(VALU_DEP_2)
	v_fma_f64 v[104:105], v[204:205], v[212:213], -v[104:105]
	v_mul_f64 v[204:205], v[204:205], v[106:107]
	v_add_f64 v[40:41], v[40:41], -v[104:105]
	s_delay_alu instid0(VALU_DEP_2) | instskip(NEXT) | instid1(VALU_DEP_1)
	v_fma_f64 v[204:205], v[206:207], v[212:213], v[204:205]
	v_add_f64 v[42:43], v[42:43], -v[204:205]
	ds_load_2addr_b64 v[204:207], v214 offset0:82 offset1:83
	s_waitcnt lgkmcnt(0)
	v_mul_f64 v[104:105], v[206:207], v[106:107]
	s_delay_alu instid0(VALU_DEP_1) | instskip(SKIP_1) | instid1(VALU_DEP_2)
	v_fma_f64 v[104:105], v[204:205], v[212:213], -v[104:105]
	v_mul_f64 v[204:205], v[204:205], v[106:107]
	v_add_f64 v[36:37], v[36:37], -v[104:105]
	s_delay_alu instid0(VALU_DEP_2) | instskip(NEXT) | instid1(VALU_DEP_1)
	v_fma_f64 v[204:205], v[206:207], v[212:213], v[204:205]
	v_add_f64 v[38:39], v[38:39], -v[204:205]
	ds_load_2addr_b64 v[204:207], v214 offset0:84 offset1:85
	s_waitcnt lgkmcnt(0)
	v_mul_f64 v[104:105], v[206:207], v[106:107]
	s_delay_alu instid0(VALU_DEP_1) | instskip(SKIP_1) | instid1(VALU_DEP_2)
	v_fma_f64 v[104:105], v[204:205], v[212:213], -v[104:105]
	v_mul_f64 v[204:205], v[204:205], v[106:107]
	v_add_f64 v[32:33], v[32:33], -v[104:105]
	s_delay_alu instid0(VALU_DEP_2) | instskip(NEXT) | instid1(VALU_DEP_1)
	v_fma_f64 v[204:205], v[206:207], v[212:213], v[204:205]
	v_add_f64 v[34:35], v[34:35], -v[204:205]
	ds_load_2addr_b64 v[204:207], v214 offset0:86 offset1:87
	s_waitcnt lgkmcnt(0)
	v_mul_f64 v[104:105], v[206:207], v[106:107]
	s_delay_alu instid0(VALU_DEP_1) | instskip(SKIP_1) | instid1(VALU_DEP_2)
	v_fma_f64 v[104:105], v[204:205], v[212:213], -v[104:105]
	v_mul_f64 v[204:205], v[204:205], v[106:107]
	v_add_f64 v[28:29], v[28:29], -v[104:105]
	s_delay_alu instid0(VALU_DEP_2) | instskip(NEXT) | instid1(VALU_DEP_1)
	v_fma_f64 v[204:205], v[206:207], v[212:213], v[204:205]
	v_add_f64 v[30:31], v[30:31], -v[204:205]
	ds_load_2addr_b64 v[204:207], v214 offset0:88 offset1:89
	s_waitcnt lgkmcnt(0)
	v_mul_f64 v[104:105], v[206:207], v[106:107]
	s_delay_alu instid0(VALU_DEP_1) | instskip(SKIP_1) | instid1(VALU_DEP_2)
	v_fma_f64 v[104:105], v[204:205], v[212:213], -v[104:105]
	v_mul_f64 v[204:205], v[204:205], v[106:107]
	v_add_f64 v[24:25], v[24:25], -v[104:105]
	s_delay_alu instid0(VALU_DEP_2) | instskip(NEXT) | instid1(VALU_DEP_1)
	v_fma_f64 v[204:205], v[206:207], v[212:213], v[204:205]
	v_add_f64 v[26:27], v[26:27], -v[204:205]
	ds_load_2addr_b64 v[204:207], v214 offset0:90 offset1:91
	s_waitcnt lgkmcnt(0)
	v_mul_f64 v[104:105], v[206:207], v[106:107]
	s_delay_alu instid0(VALU_DEP_1) | instskip(SKIP_1) | instid1(VALU_DEP_2)
	v_fma_f64 v[104:105], v[204:205], v[212:213], -v[104:105]
	v_mul_f64 v[204:205], v[204:205], v[106:107]
	v_add_f64 v[20:21], v[20:21], -v[104:105]
	s_delay_alu instid0(VALU_DEP_2) | instskip(NEXT) | instid1(VALU_DEP_1)
	v_fma_f64 v[204:205], v[206:207], v[212:213], v[204:205]
	v_add_f64 v[22:23], v[22:23], -v[204:205]
	ds_load_2addr_b64 v[204:207], v214 offset0:92 offset1:93
	s_waitcnt lgkmcnt(0)
	v_mul_f64 v[104:105], v[206:207], v[106:107]
	s_delay_alu instid0(VALU_DEP_1) | instskip(SKIP_1) | instid1(VALU_DEP_2)
	v_fma_f64 v[104:105], v[204:205], v[212:213], -v[104:105]
	v_mul_f64 v[204:205], v[204:205], v[106:107]
	v_add_f64 v[16:17], v[16:17], -v[104:105]
	s_delay_alu instid0(VALU_DEP_2) | instskip(NEXT) | instid1(VALU_DEP_1)
	v_fma_f64 v[204:205], v[206:207], v[212:213], v[204:205]
	v_add_f64 v[18:19], v[18:19], -v[204:205]
	ds_load_2addr_b64 v[204:207], v214 offset0:94 offset1:95
	s_waitcnt lgkmcnt(0)
	v_mul_f64 v[104:105], v[206:207], v[106:107]
	s_delay_alu instid0(VALU_DEP_1) | instskip(SKIP_1) | instid1(VALU_DEP_2)
	v_fma_f64 v[104:105], v[204:205], v[212:213], -v[104:105]
	v_mul_f64 v[204:205], v[204:205], v[106:107]
	v_add_f64 v[12:13], v[12:13], -v[104:105]
	s_delay_alu instid0(VALU_DEP_2) | instskip(NEXT) | instid1(VALU_DEP_1)
	v_fma_f64 v[204:205], v[206:207], v[212:213], v[204:205]
	v_add_f64 v[14:15], v[14:15], -v[204:205]
	ds_load_2addr_b64 v[204:207], v214 offset0:96 offset1:97
	s_waitcnt lgkmcnt(0)
	v_mul_f64 v[104:105], v[206:207], v[106:107]
	s_delay_alu instid0(VALU_DEP_1) | instskip(SKIP_1) | instid1(VALU_DEP_2)
	v_fma_f64 v[104:105], v[204:205], v[212:213], -v[104:105]
	v_mul_f64 v[204:205], v[204:205], v[106:107]
	v_add_f64 v[8:9], v[8:9], -v[104:105]
	s_delay_alu instid0(VALU_DEP_2) | instskip(NEXT) | instid1(VALU_DEP_1)
	v_fma_f64 v[204:205], v[206:207], v[212:213], v[204:205]
	v_add_f64 v[10:11], v[10:11], -v[204:205]
	ds_load_2addr_b64 v[204:207], v214 offset0:98 offset1:99
	s_waitcnt lgkmcnt(0)
	v_mul_f64 v[104:105], v[206:207], v[106:107]
	s_delay_alu instid0(VALU_DEP_1) | instskip(SKIP_1) | instid1(VALU_DEP_2)
	v_fma_f64 v[104:105], v[204:205], v[212:213], -v[104:105]
	v_mul_f64 v[204:205], v[204:205], v[106:107]
	v_add_f64 v[4:5], v[4:5], -v[104:105]
	s_delay_alu instid0(VALU_DEP_2) | instskip(NEXT) | instid1(VALU_DEP_1)
	v_fma_f64 v[204:205], v[206:207], v[212:213], v[204:205]
	v_add_f64 v[6:7], v[6:7], -v[204:205]
	ds_load_2addr_b64 v[204:207], v214 offset0:100 offset1:101
	s_waitcnt lgkmcnt(0)
	v_mul_f64 v[104:105], v[206:207], v[106:107]
	s_delay_alu instid0(VALU_DEP_1) | instskip(SKIP_1) | instid1(VALU_DEP_2)
	v_fma_f64 v[104:105], v[204:205], v[212:213], -v[104:105]
	v_mul_f64 v[204:205], v[204:205], v[106:107]
	v_add_f64 v[0:1], v[0:1], -v[104:105]
	s_delay_alu instid0(VALU_DEP_2) | instskip(SKIP_1) | instid1(VALU_DEP_2)
	v_fma_f64 v[204:205], v[206:207], v[212:213], v[204:205]
	v_dual_mov_b32 v104, v212 :: v_dual_mov_b32 v105, v213
	v_add_f64 v[2:3], v[2:3], -v[204:205]
.LBB100_524:
	s_or_b32 exec_lo, exec_lo, s2
	v_lshl_add_u32 v204, v220, 4, v214
	s_barrier
	buffer_gl0_inv
	v_mov_b32_e32 v212, 25
	ds_store_2addr_b64 v204, v[100:101], v[102:103] offset1:1
	s_waitcnt lgkmcnt(0)
	s_barrier
	buffer_gl0_inv
	ds_load_2addr_b64 v[204:207], v214 offset0:50 offset1:51
	s_cmp_lt_i32 s5, 27
	s_cbranch_scc1 .LBB100_527
; %bb.525:
	v_add3_u32 v213, v218, 0, 0x1a0
	v_mov_b32_e32 v212, 25
	s_mov_b32 s6, 26
	s_set_inst_prefetch_distance 0x1
	.p2align	6
.LBB100_526:                            ; =>This Inner Loop Header: Depth=1
	ds_load_2addr_b64 v[221:224], v213 offset1:1
	s_waitcnt lgkmcnt(1)
	v_cmp_gt_f64_e32 vcc_lo, 0, v[204:205]
	v_xor_b32_e32 v225, 0x80000000, v205
	v_cmp_gt_f64_e64 s2, 0, v[206:207]
	v_xor_b32_e32 v227, 0x80000000, v207
	v_add_nc_u32_e32 v213, 16, v213
	s_waitcnt lgkmcnt(0)
	v_cmp_gt_f64_e64 s3, 0, v[221:222]
	v_mov_b32_e32 v229, v221
	v_dual_mov_b32 v231, v223 :: v_dual_cndmask_b32 v226, v205, v225
	v_xor_b32_e32 v225, 0x80000000, v222
	v_cndmask_b32_e64 v228, v207, v227, s2
	v_xor_b32_e32 v227, 0x80000000, v224
	s_delay_alu instid0(VALU_DEP_3) | instskip(SKIP_2) | instid1(VALU_DEP_2)
	v_cndmask_b32_e64 v230, v222, v225, s3
	v_cmp_gt_f64_e64 s3, 0, v[223:224]
	v_cndmask_b32_e32 v225, v204, v204, vcc_lo
	v_cndmask_b32_e64 v232, v224, v227, s3
	v_cndmask_b32_e64 v227, v206, v206, s2
	s_delay_alu instid0(VALU_DEP_2) | instskip(NEXT) | instid1(VALU_DEP_2)
	v_add_f64 v[229:230], v[229:230], v[231:232]
	v_add_f64 v[225:226], v[225:226], v[227:228]
	s_delay_alu instid0(VALU_DEP_1) | instskip(SKIP_4) | instid1(SALU_CYCLE_1)
	v_cmp_lt_f64_e32 vcc_lo, v[225:226], v[229:230]
	v_dual_cndmask_b32 v206, v206, v223 :: v_dual_cndmask_b32 v205, v205, v222
	v_dual_cndmask_b32 v204, v204, v221 :: v_dual_cndmask_b32 v207, v207, v224
	v_cndmask_b32_e64 v212, v212, s6, vcc_lo
	s_add_i32 s6, s6, 1
	s_cmp_lg_u32 s5, s6
	s_cbranch_scc1 .LBB100_526
.LBB100_527:
	s_set_inst_prefetch_distance 0x2
	s_waitcnt lgkmcnt(0)
	v_cmp_eq_f64_e32 vcc_lo, 0, v[204:205]
	v_cmp_eq_f64_e64 s2, 0, v[206:207]
	s_delay_alu instid0(VALU_DEP_1) | instskip(NEXT) | instid1(SALU_CYCLE_1)
	s_and_b32 s2, vcc_lo, s2
	s_and_saveexec_b32 s3, s2
	s_delay_alu instid0(SALU_CYCLE_1)
	s_xor_b32 s2, exec_lo, s3
; %bb.528:
	v_cmp_ne_u32_e32 vcc_lo, 0, v217
	v_cndmask_b32_e32 v217, 26, v217, vcc_lo
; %bb.529:
	s_and_not1_saveexec_b32 s3, s2
	s_cbranch_execz .LBB100_535
; %bb.530:
	v_cmp_gt_f64_e32 vcc_lo, 0, v[204:205]
	v_cmp_gt_f64_e64 s2, 0, v[206:207]
	v_xor_b32_e32 v213, 0x80000000, v205
	v_xor_b32_e32 v221, 0x80000000, v207
	s_delay_alu instid0(VALU_DEP_2) | instskip(NEXT) | instid1(VALU_DEP_2)
	v_cndmask_b32_e32 v222, v205, v213, vcc_lo
	v_cndmask_b32_e64 v224, v207, v221, s2
	v_cndmask_b32_e32 v221, v204, v204, vcc_lo
	v_cndmask_b32_e64 v223, v206, v206, s2
	s_mov_b32 s2, exec_lo
	s_delay_alu instid0(VALU_DEP_1)
	v_cmpx_ngt_f64_e32 v[221:222], v[223:224]
	s_xor_b32 s2, exec_lo, s2
	s_cbranch_execz .LBB100_532
; %bb.531:
	v_div_scale_f64 v[221:222], null, v[206:207], v[206:207], v[204:205]
	v_div_scale_f64 v[227:228], vcc_lo, v[204:205], v[206:207], v[204:205]
	s_delay_alu instid0(VALU_DEP_2) | instskip(SKIP_2) | instid1(VALU_DEP_1)
	v_rcp_f64_e32 v[223:224], v[221:222]
	s_waitcnt_depctr 0xfff
	v_fma_f64 v[225:226], -v[221:222], v[223:224], 1.0
	v_fma_f64 v[223:224], v[223:224], v[225:226], v[223:224]
	s_delay_alu instid0(VALU_DEP_1) | instskip(NEXT) | instid1(VALU_DEP_1)
	v_fma_f64 v[225:226], -v[221:222], v[223:224], 1.0
	v_fma_f64 v[223:224], v[223:224], v[225:226], v[223:224]
	s_delay_alu instid0(VALU_DEP_1) | instskip(NEXT) | instid1(VALU_DEP_1)
	v_mul_f64 v[225:226], v[227:228], v[223:224]
	v_fma_f64 v[221:222], -v[221:222], v[225:226], v[227:228]
	s_delay_alu instid0(VALU_DEP_1) | instskip(NEXT) | instid1(VALU_DEP_1)
	v_div_fmas_f64 v[221:222], v[221:222], v[223:224], v[225:226]
	v_div_fixup_f64 v[221:222], v[221:222], v[206:207], v[204:205]
	s_delay_alu instid0(VALU_DEP_1) | instskip(NEXT) | instid1(VALU_DEP_1)
	v_fma_f64 v[204:205], v[204:205], v[221:222], v[206:207]
	v_div_scale_f64 v[206:207], null, v[204:205], v[204:205], 1.0
	s_delay_alu instid0(VALU_DEP_1) | instskip(SKIP_2) | instid1(VALU_DEP_1)
	v_rcp_f64_e32 v[223:224], v[206:207]
	s_waitcnt_depctr 0xfff
	v_fma_f64 v[225:226], -v[206:207], v[223:224], 1.0
	v_fma_f64 v[223:224], v[223:224], v[225:226], v[223:224]
	s_delay_alu instid0(VALU_DEP_1) | instskip(NEXT) | instid1(VALU_DEP_1)
	v_fma_f64 v[225:226], -v[206:207], v[223:224], 1.0
	v_fma_f64 v[223:224], v[223:224], v[225:226], v[223:224]
	v_div_scale_f64 v[225:226], vcc_lo, 1.0, v[204:205], 1.0
	s_delay_alu instid0(VALU_DEP_1) | instskip(NEXT) | instid1(VALU_DEP_1)
	v_mul_f64 v[227:228], v[225:226], v[223:224]
	v_fma_f64 v[206:207], -v[206:207], v[227:228], v[225:226]
	s_delay_alu instid0(VALU_DEP_1) | instskip(NEXT) | instid1(VALU_DEP_1)
	v_div_fmas_f64 v[206:207], v[206:207], v[223:224], v[227:228]
	v_div_fixup_f64 v[206:207], v[206:207], v[204:205], 1.0
	s_delay_alu instid0(VALU_DEP_1)
	v_mul_f64 v[204:205], v[221:222], v[206:207]
	v_xor_b32_e32 v207, 0x80000000, v207
.LBB100_532:
	s_and_not1_saveexec_b32 s2, s2
	s_cbranch_execz .LBB100_534
; %bb.533:
	s_delay_alu instid0(VALU_DEP_1) | instskip(SKIP_1) | instid1(VALU_DEP_2)
	v_div_scale_f64 v[221:222], null, v[204:205], v[204:205], v[206:207]
	v_div_scale_f64 v[227:228], vcc_lo, v[206:207], v[204:205], v[206:207]
	v_rcp_f64_e32 v[223:224], v[221:222]
	s_waitcnt_depctr 0xfff
	v_fma_f64 v[225:226], -v[221:222], v[223:224], 1.0
	s_delay_alu instid0(VALU_DEP_1) | instskip(NEXT) | instid1(VALU_DEP_1)
	v_fma_f64 v[223:224], v[223:224], v[225:226], v[223:224]
	v_fma_f64 v[225:226], -v[221:222], v[223:224], 1.0
	s_delay_alu instid0(VALU_DEP_1) | instskip(NEXT) | instid1(VALU_DEP_1)
	v_fma_f64 v[223:224], v[223:224], v[225:226], v[223:224]
	v_mul_f64 v[225:226], v[227:228], v[223:224]
	s_delay_alu instid0(VALU_DEP_1) | instskip(NEXT) | instid1(VALU_DEP_1)
	v_fma_f64 v[221:222], -v[221:222], v[225:226], v[227:228]
	v_div_fmas_f64 v[221:222], v[221:222], v[223:224], v[225:226]
	s_delay_alu instid0(VALU_DEP_1) | instskip(NEXT) | instid1(VALU_DEP_1)
	v_div_fixup_f64 v[221:222], v[221:222], v[204:205], v[206:207]
	v_fma_f64 v[204:205], v[206:207], v[221:222], v[204:205]
	s_delay_alu instid0(VALU_DEP_1) | instskip(NEXT) | instid1(VALU_DEP_1)
	v_div_scale_f64 v[206:207], null, v[204:205], v[204:205], 1.0
	v_rcp_f64_e32 v[223:224], v[206:207]
	s_waitcnt_depctr 0xfff
	v_fma_f64 v[225:226], -v[206:207], v[223:224], 1.0
	s_delay_alu instid0(VALU_DEP_1) | instskip(NEXT) | instid1(VALU_DEP_1)
	v_fma_f64 v[223:224], v[223:224], v[225:226], v[223:224]
	v_fma_f64 v[225:226], -v[206:207], v[223:224], 1.0
	s_delay_alu instid0(VALU_DEP_1) | instskip(SKIP_1) | instid1(VALU_DEP_1)
	v_fma_f64 v[223:224], v[223:224], v[225:226], v[223:224]
	v_div_scale_f64 v[225:226], vcc_lo, 1.0, v[204:205], 1.0
	v_mul_f64 v[227:228], v[225:226], v[223:224]
	s_delay_alu instid0(VALU_DEP_1) | instskip(NEXT) | instid1(VALU_DEP_1)
	v_fma_f64 v[206:207], -v[206:207], v[227:228], v[225:226]
	v_div_fmas_f64 v[206:207], v[206:207], v[223:224], v[227:228]
	s_delay_alu instid0(VALU_DEP_1) | instskip(NEXT) | instid1(VALU_DEP_1)
	v_div_fixup_f64 v[204:205], v[206:207], v[204:205], 1.0
	v_mul_f64 v[206:207], v[221:222], -v[204:205]
.LBB100_534:
	s_or_b32 exec_lo, exec_lo, s2
.LBB100_535:
	s_delay_alu instid0(SALU_CYCLE_1) | instskip(NEXT) | instid1(SALU_CYCLE_1)
	s_or_b32 exec_lo, exec_lo, s3
	s_mov_b32 s2, exec_lo
	v_cmpx_ne_u32_e64 v220, v212
	s_xor_b32 s2, exec_lo, s2
	s_cbranch_execz .LBB100_541
; %bb.536:
	s_mov_b32 s3, exec_lo
	v_cmpx_eq_u32_e32 25, v220
	s_cbranch_execz .LBB100_540
; %bb.537:
	v_cmp_ne_u32_e32 vcc_lo, 25, v212
	s_xor_b32 s6, s4, -1
	s_delay_alu instid0(SALU_CYCLE_1) | instskip(NEXT) | instid1(SALU_CYCLE_1)
	s_and_b32 s7, s6, vcc_lo
	s_and_saveexec_b32 s6, s7
	s_cbranch_execz .LBB100_539
; %bb.538:
	v_ashrrev_i32_e32 v213, 31, v212
	s_delay_alu instid0(VALU_DEP_1) | instskip(NEXT) | instid1(VALU_DEP_1)
	v_lshlrev_b64 v[219:220], 2, v[212:213]
	v_add_co_u32 v219, vcc_lo, v210, v219
	s_delay_alu instid0(VALU_DEP_2)
	v_add_co_ci_u32_e32 v220, vcc_lo, v211, v220, vcc_lo
	s_clause 0x1
	flat_load_b32 v213, v[219:220]
	flat_load_b32 v221, v[210:211] offset:100
	s_waitcnt vmcnt(1) lgkmcnt(1)
	flat_store_b32 v[210:211], v213 offset:100
	s_waitcnt vmcnt(0) lgkmcnt(1)
	flat_store_b32 v[219:220], v221
.LBB100_539:
	s_or_b32 exec_lo, exec_lo, s6
	v_mov_b32_e32 v220, v212
	v_mov_b32_e32 v219, v212
.LBB100_540:
	s_or_b32 exec_lo, exec_lo, s3
.LBB100_541:
	s_and_not1_saveexec_b32 s2, s2
	s_cbranch_execz .LBB100_543
; %bb.542:
	v_mov_b32_e32 v220, 25
	ds_store_2addr_b64 v214, v[96:97], v[98:99] offset0:52 offset1:53
	ds_store_2addr_b64 v214, v[92:93], v[94:95] offset0:54 offset1:55
	;; [unrolled: 1-line block ×25, first 2 shown]
.LBB100_543:
	s_or_b32 exec_lo, exec_lo, s2
	s_delay_alu instid0(SALU_CYCLE_1)
	s_mov_b32 s2, exec_lo
	s_waitcnt lgkmcnt(0)
	s_waitcnt_vscnt null, 0x0
	s_barrier
	buffer_gl0_inv
	v_cmpx_lt_i32_e32 25, v220
	s_cbranch_execz .LBB100_545
; %bb.544:
	v_mul_f64 v[212:213], v[206:207], v[102:103]
	v_mul_f64 v[102:103], v[204:205], v[102:103]
	s_delay_alu instid0(VALU_DEP_2) | instskip(NEXT) | instid1(VALU_DEP_2)
	v_fma_f64 v[212:213], v[204:205], v[100:101], -v[212:213]
	v_fma_f64 v[102:103], v[206:207], v[100:101], v[102:103]
	ds_load_2addr_b64 v[204:207], v214 offset0:52 offset1:53
	s_waitcnt lgkmcnt(0)
	v_mul_f64 v[100:101], v[206:207], v[102:103]
	s_delay_alu instid0(VALU_DEP_1) | instskip(SKIP_1) | instid1(VALU_DEP_2)
	v_fma_f64 v[100:101], v[204:205], v[212:213], -v[100:101]
	v_mul_f64 v[204:205], v[204:205], v[102:103]
	v_add_f64 v[96:97], v[96:97], -v[100:101]
	s_delay_alu instid0(VALU_DEP_2) | instskip(NEXT) | instid1(VALU_DEP_1)
	v_fma_f64 v[204:205], v[206:207], v[212:213], v[204:205]
	v_add_f64 v[98:99], v[98:99], -v[204:205]
	ds_load_2addr_b64 v[204:207], v214 offset0:54 offset1:55
	s_waitcnt lgkmcnt(0)
	v_mul_f64 v[100:101], v[206:207], v[102:103]
	s_delay_alu instid0(VALU_DEP_1) | instskip(SKIP_1) | instid1(VALU_DEP_2)
	v_fma_f64 v[100:101], v[204:205], v[212:213], -v[100:101]
	v_mul_f64 v[204:205], v[204:205], v[102:103]
	v_add_f64 v[92:93], v[92:93], -v[100:101]
	s_delay_alu instid0(VALU_DEP_2) | instskip(NEXT) | instid1(VALU_DEP_1)
	v_fma_f64 v[204:205], v[206:207], v[212:213], v[204:205]
	v_add_f64 v[94:95], v[94:95], -v[204:205]
	;; [unrolled: 10-line block ×24, first 2 shown]
	ds_load_2addr_b64 v[204:207], v214 offset0:100 offset1:101
	s_waitcnt lgkmcnt(0)
	v_mul_f64 v[100:101], v[206:207], v[102:103]
	s_delay_alu instid0(VALU_DEP_1) | instskip(SKIP_1) | instid1(VALU_DEP_2)
	v_fma_f64 v[100:101], v[204:205], v[212:213], -v[100:101]
	v_mul_f64 v[204:205], v[204:205], v[102:103]
	v_add_f64 v[0:1], v[0:1], -v[100:101]
	s_delay_alu instid0(VALU_DEP_2) | instskip(SKIP_1) | instid1(VALU_DEP_2)
	v_fma_f64 v[204:205], v[206:207], v[212:213], v[204:205]
	v_dual_mov_b32 v100, v212 :: v_dual_mov_b32 v101, v213
	v_add_f64 v[2:3], v[2:3], -v[204:205]
.LBB100_545:
	s_or_b32 exec_lo, exec_lo, s2
	v_lshl_add_u32 v204, v220, 4, v214
	s_barrier
	buffer_gl0_inv
	v_mov_b32_e32 v212, 26
	ds_store_2addr_b64 v204, v[96:97], v[98:99] offset1:1
	s_waitcnt lgkmcnt(0)
	s_barrier
	buffer_gl0_inv
	ds_load_2addr_b64 v[204:207], v214 offset0:52 offset1:53
	s_cmp_lt_i32 s5, 28
	s_cbranch_scc1 .LBB100_548
; %bb.546:
	v_add3_u32 v213, v218, 0, 0x1b0
	v_mov_b32_e32 v212, 26
	s_mov_b32 s6, 27
	s_set_inst_prefetch_distance 0x1
	.p2align	6
.LBB100_547:                            ; =>This Inner Loop Header: Depth=1
	ds_load_2addr_b64 v[221:224], v213 offset1:1
	s_waitcnt lgkmcnt(1)
	v_cmp_gt_f64_e32 vcc_lo, 0, v[204:205]
	v_xor_b32_e32 v225, 0x80000000, v205
	v_cmp_gt_f64_e64 s2, 0, v[206:207]
	v_xor_b32_e32 v227, 0x80000000, v207
	v_add_nc_u32_e32 v213, 16, v213
	s_waitcnt lgkmcnt(0)
	v_cmp_gt_f64_e64 s3, 0, v[221:222]
	v_mov_b32_e32 v229, v221
	v_dual_mov_b32 v231, v223 :: v_dual_cndmask_b32 v226, v205, v225
	v_xor_b32_e32 v225, 0x80000000, v222
	v_cndmask_b32_e64 v228, v207, v227, s2
	v_xor_b32_e32 v227, 0x80000000, v224
	s_delay_alu instid0(VALU_DEP_3) | instskip(SKIP_2) | instid1(VALU_DEP_2)
	v_cndmask_b32_e64 v230, v222, v225, s3
	v_cmp_gt_f64_e64 s3, 0, v[223:224]
	v_cndmask_b32_e32 v225, v204, v204, vcc_lo
	v_cndmask_b32_e64 v232, v224, v227, s3
	v_cndmask_b32_e64 v227, v206, v206, s2
	s_delay_alu instid0(VALU_DEP_2) | instskip(NEXT) | instid1(VALU_DEP_2)
	v_add_f64 v[229:230], v[229:230], v[231:232]
	v_add_f64 v[225:226], v[225:226], v[227:228]
	s_delay_alu instid0(VALU_DEP_1) | instskip(SKIP_4) | instid1(SALU_CYCLE_1)
	v_cmp_lt_f64_e32 vcc_lo, v[225:226], v[229:230]
	v_dual_cndmask_b32 v206, v206, v223 :: v_dual_cndmask_b32 v205, v205, v222
	v_dual_cndmask_b32 v204, v204, v221 :: v_dual_cndmask_b32 v207, v207, v224
	v_cndmask_b32_e64 v212, v212, s6, vcc_lo
	s_add_i32 s6, s6, 1
	s_cmp_lg_u32 s5, s6
	s_cbranch_scc1 .LBB100_547
.LBB100_548:
	s_set_inst_prefetch_distance 0x2
	s_waitcnt lgkmcnt(0)
	v_cmp_eq_f64_e32 vcc_lo, 0, v[204:205]
	v_cmp_eq_f64_e64 s2, 0, v[206:207]
	s_delay_alu instid0(VALU_DEP_1) | instskip(NEXT) | instid1(SALU_CYCLE_1)
	s_and_b32 s2, vcc_lo, s2
	s_and_saveexec_b32 s3, s2
	s_delay_alu instid0(SALU_CYCLE_1)
	s_xor_b32 s2, exec_lo, s3
; %bb.549:
	v_cmp_ne_u32_e32 vcc_lo, 0, v217
	v_cndmask_b32_e32 v217, 27, v217, vcc_lo
; %bb.550:
	s_and_not1_saveexec_b32 s3, s2
	s_cbranch_execz .LBB100_556
; %bb.551:
	v_cmp_gt_f64_e32 vcc_lo, 0, v[204:205]
	v_cmp_gt_f64_e64 s2, 0, v[206:207]
	v_xor_b32_e32 v213, 0x80000000, v205
	v_xor_b32_e32 v221, 0x80000000, v207
	s_delay_alu instid0(VALU_DEP_2) | instskip(NEXT) | instid1(VALU_DEP_2)
	v_cndmask_b32_e32 v222, v205, v213, vcc_lo
	v_cndmask_b32_e64 v224, v207, v221, s2
	v_cndmask_b32_e32 v221, v204, v204, vcc_lo
	v_cndmask_b32_e64 v223, v206, v206, s2
	s_mov_b32 s2, exec_lo
	s_delay_alu instid0(VALU_DEP_1)
	v_cmpx_ngt_f64_e32 v[221:222], v[223:224]
	s_xor_b32 s2, exec_lo, s2
	s_cbranch_execz .LBB100_553
; %bb.552:
	v_div_scale_f64 v[221:222], null, v[206:207], v[206:207], v[204:205]
	v_div_scale_f64 v[227:228], vcc_lo, v[204:205], v[206:207], v[204:205]
	s_delay_alu instid0(VALU_DEP_2) | instskip(SKIP_2) | instid1(VALU_DEP_1)
	v_rcp_f64_e32 v[223:224], v[221:222]
	s_waitcnt_depctr 0xfff
	v_fma_f64 v[225:226], -v[221:222], v[223:224], 1.0
	v_fma_f64 v[223:224], v[223:224], v[225:226], v[223:224]
	s_delay_alu instid0(VALU_DEP_1) | instskip(NEXT) | instid1(VALU_DEP_1)
	v_fma_f64 v[225:226], -v[221:222], v[223:224], 1.0
	v_fma_f64 v[223:224], v[223:224], v[225:226], v[223:224]
	s_delay_alu instid0(VALU_DEP_1) | instskip(NEXT) | instid1(VALU_DEP_1)
	v_mul_f64 v[225:226], v[227:228], v[223:224]
	v_fma_f64 v[221:222], -v[221:222], v[225:226], v[227:228]
	s_delay_alu instid0(VALU_DEP_1) | instskip(NEXT) | instid1(VALU_DEP_1)
	v_div_fmas_f64 v[221:222], v[221:222], v[223:224], v[225:226]
	v_div_fixup_f64 v[221:222], v[221:222], v[206:207], v[204:205]
	s_delay_alu instid0(VALU_DEP_1) | instskip(NEXT) | instid1(VALU_DEP_1)
	v_fma_f64 v[204:205], v[204:205], v[221:222], v[206:207]
	v_div_scale_f64 v[206:207], null, v[204:205], v[204:205], 1.0
	s_delay_alu instid0(VALU_DEP_1) | instskip(SKIP_2) | instid1(VALU_DEP_1)
	v_rcp_f64_e32 v[223:224], v[206:207]
	s_waitcnt_depctr 0xfff
	v_fma_f64 v[225:226], -v[206:207], v[223:224], 1.0
	v_fma_f64 v[223:224], v[223:224], v[225:226], v[223:224]
	s_delay_alu instid0(VALU_DEP_1) | instskip(NEXT) | instid1(VALU_DEP_1)
	v_fma_f64 v[225:226], -v[206:207], v[223:224], 1.0
	v_fma_f64 v[223:224], v[223:224], v[225:226], v[223:224]
	v_div_scale_f64 v[225:226], vcc_lo, 1.0, v[204:205], 1.0
	s_delay_alu instid0(VALU_DEP_1) | instskip(NEXT) | instid1(VALU_DEP_1)
	v_mul_f64 v[227:228], v[225:226], v[223:224]
	v_fma_f64 v[206:207], -v[206:207], v[227:228], v[225:226]
	s_delay_alu instid0(VALU_DEP_1) | instskip(NEXT) | instid1(VALU_DEP_1)
	v_div_fmas_f64 v[206:207], v[206:207], v[223:224], v[227:228]
	v_div_fixup_f64 v[206:207], v[206:207], v[204:205], 1.0
	s_delay_alu instid0(VALU_DEP_1)
	v_mul_f64 v[204:205], v[221:222], v[206:207]
	v_xor_b32_e32 v207, 0x80000000, v207
.LBB100_553:
	s_and_not1_saveexec_b32 s2, s2
	s_cbranch_execz .LBB100_555
; %bb.554:
	s_delay_alu instid0(VALU_DEP_1) | instskip(SKIP_1) | instid1(VALU_DEP_2)
	v_div_scale_f64 v[221:222], null, v[204:205], v[204:205], v[206:207]
	v_div_scale_f64 v[227:228], vcc_lo, v[206:207], v[204:205], v[206:207]
	v_rcp_f64_e32 v[223:224], v[221:222]
	s_waitcnt_depctr 0xfff
	v_fma_f64 v[225:226], -v[221:222], v[223:224], 1.0
	s_delay_alu instid0(VALU_DEP_1) | instskip(NEXT) | instid1(VALU_DEP_1)
	v_fma_f64 v[223:224], v[223:224], v[225:226], v[223:224]
	v_fma_f64 v[225:226], -v[221:222], v[223:224], 1.0
	s_delay_alu instid0(VALU_DEP_1) | instskip(NEXT) | instid1(VALU_DEP_1)
	v_fma_f64 v[223:224], v[223:224], v[225:226], v[223:224]
	v_mul_f64 v[225:226], v[227:228], v[223:224]
	s_delay_alu instid0(VALU_DEP_1) | instskip(NEXT) | instid1(VALU_DEP_1)
	v_fma_f64 v[221:222], -v[221:222], v[225:226], v[227:228]
	v_div_fmas_f64 v[221:222], v[221:222], v[223:224], v[225:226]
	s_delay_alu instid0(VALU_DEP_1) | instskip(NEXT) | instid1(VALU_DEP_1)
	v_div_fixup_f64 v[221:222], v[221:222], v[204:205], v[206:207]
	v_fma_f64 v[204:205], v[206:207], v[221:222], v[204:205]
	s_delay_alu instid0(VALU_DEP_1) | instskip(NEXT) | instid1(VALU_DEP_1)
	v_div_scale_f64 v[206:207], null, v[204:205], v[204:205], 1.0
	v_rcp_f64_e32 v[223:224], v[206:207]
	s_waitcnt_depctr 0xfff
	v_fma_f64 v[225:226], -v[206:207], v[223:224], 1.0
	s_delay_alu instid0(VALU_DEP_1) | instskip(NEXT) | instid1(VALU_DEP_1)
	v_fma_f64 v[223:224], v[223:224], v[225:226], v[223:224]
	v_fma_f64 v[225:226], -v[206:207], v[223:224], 1.0
	s_delay_alu instid0(VALU_DEP_1) | instskip(SKIP_1) | instid1(VALU_DEP_1)
	v_fma_f64 v[223:224], v[223:224], v[225:226], v[223:224]
	v_div_scale_f64 v[225:226], vcc_lo, 1.0, v[204:205], 1.0
	v_mul_f64 v[227:228], v[225:226], v[223:224]
	s_delay_alu instid0(VALU_DEP_1) | instskip(NEXT) | instid1(VALU_DEP_1)
	v_fma_f64 v[206:207], -v[206:207], v[227:228], v[225:226]
	v_div_fmas_f64 v[206:207], v[206:207], v[223:224], v[227:228]
	s_delay_alu instid0(VALU_DEP_1) | instskip(NEXT) | instid1(VALU_DEP_1)
	v_div_fixup_f64 v[204:205], v[206:207], v[204:205], 1.0
	v_mul_f64 v[206:207], v[221:222], -v[204:205]
.LBB100_555:
	s_or_b32 exec_lo, exec_lo, s2
.LBB100_556:
	s_delay_alu instid0(SALU_CYCLE_1) | instskip(NEXT) | instid1(SALU_CYCLE_1)
	s_or_b32 exec_lo, exec_lo, s3
	s_mov_b32 s2, exec_lo
	v_cmpx_ne_u32_e64 v220, v212
	s_xor_b32 s2, exec_lo, s2
	s_cbranch_execz .LBB100_562
; %bb.557:
	s_mov_b32 s3, exec_lo
	v_cmpx_eq_u32_e32 26, v220
	s_cbranch_execz .LBB100_561
; %bb.558:
	v_cmp_ne_u32_e32 vcc_lo, 26, v212
	s_xor_b32 s6, s4, -1
	s_delay_alu instid0(SALU_CYCLE_1) | instskip(NEXT) | instid1(SALU_CYCLE_1)
	s_and_b32 s7, s6, vcc_lo
	s_and_saveexec_b32 s6, s7
	s_cbranch_execz .LBB100_560
; %bb.559:
	v_ashrrev_i32_e32 v213, 31, v212
	s_delay_alu instid0(VALU_DEP_1) | instskip(NEXT) | instid1(VALU_DEP_1)
	v_lshlrev_b64 v[219:220], 2, v[212:213]
	v_add_co_u32 v219, vcc_lo, v210, v219
	s_delay_alu instid0(VALU_DEP_2)
	v_add_co_ci_u32_e32 v220, vcc_lo, v211, v220, vcc_lo
	s_clause 0x1
	flat_load_b32 v213, v[219:220]
	flat_load_b32 v221, v[210:211] offset:104
	s_waitcnt vmcnt(1) lgkmcnt(1)
	flat_store_b32 v[210:211], v213 offset:104
	s_waitcnt vmcnt(0) lgkmcnt(1)
	flat_store_b32 v[219:220], v221
.LBB100_560:
	s_or_b32 exec_lo, exec_lo, s6
	v_mov_b32_e32 v220, v212
	v_mov_b32_e32 v219, v212
.LBB100_561:
	s_or_b32 exec_lo, exec_lo, s3
.LBB100_562:
	s_and_not1_saveexec_b32 s2, s2
	s_cbranch_execz .LBB100_564
; %bb.563:
	v_mov_b32_e32 v220, 26
	ds_store_2addr_b64 v214, v[92:93], v[94:95] offset0:54 offset1:55
	ds_store_2addr_b64 v214, v[88:89], v[90:91] offset0:56 offset1:57
	;; [unrolled: 1-line block ×24, first 2 shown]
.LBB100_564:
	s_or_b32 exec_lo, exec_lo, s2
	s_delay_alu instid0(SALU_CYCLE_1)
	s_mov_b32 s2, exec_lo
	s_waitcnt lgkmcnt(0)
	s_waitcnt_vscnt null, 0x0
	s_barrier
	buffer_gl0_inv
	v_cmpx_lt_i32_e32 26, v220
	s_cbranch_execz .LBB100_566
; %bb.565:
	v_mul_f64 v[212:213], v[206:207], v[98:99]
	v_mul_f64 v[98:99], v[204:205], v[98:99]
	s_delay_alu instid0(VALU_DEP_2) | instskip(NEXT) | instid1(VALU_DEP_2)
	v_fma_f64 v[212:213], v[204:205], v[96:97], -v[212:213]
	v_fma_f64 v[98:99], v[206:207], v[96:97], v[98:99]
	ds_load_2addr_b64 v[204:207], v214 offset0:54 offset1:55
	s_waitcnt lgkmcnt(0)
	v_mul_f64 v[96:97], v[206:207], v[98:99]
	s_delay_alu instid0(VALU_DEP_1) | instskip(SKIP_1) | instid1(VALU_DEP_2)
	v_fma_f64 v[96:97], v[204:205], v[212:213], -v[96:97]
	v_mul_f64 v[204:205], v[204:205], v[98:99]
	v_add_f64 v[92:93], v[92:93], -v[96:97]
	s_delay_alu instid0(VALU_DEP_2) | instskip(NEXT) | instid1(VALU_DEP_1)
	v_fma_f64 v[204:205], v[206:207], v[212:213], v[204:205]
	v_add_f64 v[94:95], v[94:95], -v[204:205]
	ds_load_2addr_b64 v[204:207], v214 offset0:56 offset1:57
	s_waitcnt lgkmcnt(0)
	v_mul_f64 v[96:97], v[206:207], v[98:99]
	s_delay_alu instid0(VALU_DEP_1) | instskip(SKIP_1) | instid1(VALU_DEP_2)
	v_fma_f64 v[96:97], v[204:205], v[212:213], -v[96:97]
	v_mul_f64 v[204:205], v[204:205], v[98:99]
	v_add_f64 v[88:89], v[88:89], -v[96:97]
	s_delay_alu instid0(VALU_DEP_2) | instskip(NEXT) | instid1(VALU_DEP_1)
	v_fma_f64 v[204:205], v[206:207], v[212:213], v[204:205]
	v_add_f64 v[90:91], v[90:91], -v[204:205]
	;; [unrolled: 10-line block ×23, first 2 shown]
	ds_load_2addr_b64 v[204:207], v214 offset0:100 offset1:101
	s_waitcnt lgkmcnt(0)
	v_mul_f64 v[96:97], v[206:207], v[98:99]
	s_delay_alu instid0(VALU_DEP_1) | instskip(SKIP_1) | instid1(VALU_DEP_2)
	v_fma_f64 v[96:97], v[204:205], v[212:213], -v[96:97]
	v_mul_f64 v[204:205], v[204:205], v[98:99]
	v_add_f64 v[0:1], v[0:1], -v[96:97]
	s_delay_alu instid0(VALU_DEP_2) | instskip(SKIP_1) | instid1(VALU_DEP_2)
	v_fma_f64 v[204:205], v[206:207], v[212:213], v[204:205]
	v_dual_mov_b32 v96, v212 :: v_dual_mov_b32 v97, v213
	v_add_f64 v[2:3], v[2:3], -v[204:205]
.LBB100_566:
	s_or_b32 exec_lo, exec_lo, s2
	v_lshl_add_u32 v204, v220, 4, v214
	s_barrier
	buffer_gl0_inv
	v_mov_b32_e32 v212, 27
	ds_store_2addr_b64 v204, v[92:93], v[94:95] offset1:1
	s_waitcnt lgkmcnt(0)
	s_barrier
	buffer_gl0_inv
	ds_load_2addr_b64 v[204:207], v214 offset0:54 offset1:55
	s_cmp_lt_i32 s5, 29
	s_cbranch_scc1 .LBB100_569
; %bb.567:
	v_add3_u32 v213, v218, 0, 0x1c0
	v_mov_b32_e32 v212, 27
	s_mov_b32 s6, 28
	s_set_inst_prefetch_distance 0x1
	.p2align	6
.LBB100_568:                            ; =>This Inner Loop Header: Depth=1
	ds_load_2addr_b64 v[221:224], v213 offset1:1
	s_waitcnt lgkmcnt(1)
	v_cmp_gt_f64_e32 vcc_lo, 0, v[204:205]
	v_xor_b32_e32 v225, 0x80000000, v205
	v_cmp_gt_f64_e64 s2, 0, v[206:207]
	v_xor_b32_e32 v227, 0x80000000, v207
	v_add_nc_u32_e32 v213, 16, v213
	s_waitcnt lgkmcnt(0)
	v_cmp_gt_f64_e64 s3, 0, v[221:222]
	v_mov_b32_e32 v229, v221
	v_dual_mov_b32 v231, v223 :: v_dual_cndmask_b32 v226, v205, v225
	v_xor_b32_e32 v225, 0x80000000, v222
	v_cndmask_b32_e64 v228, v207, v227, s2
	v_xor_b32_e32 v227, 0x80000000, v224
	s_delay_alu instid0(VALU_DEP_3) | instskip(SKIP_2) | instid1(VALU_DEP_2)
	v_cndmask_b32_e64 v230, v222, v225, s3
	v_cmp_gt_f64_e64 s3, 0, v[223:224]
	v_cndmask_b32_e32 v225, v204, v204, vcc_lo
	v_cndmask_b32_e64 v232, v224, v227, s3
	v_cndmask_b32_e64 v227, v206, v206, s2
	s_delay_alu instid0(VALU_DEP_2) | instskip(NEXT) | instid1(VALU_DEP_2)
	v_add_f64 v[229:230], v[229:230], v[231:232]
	v_add_f64 v[225:226], v[225:226], v[227:228]
	s_delay_alu instid0(VALU_DEP_1) | instskip(SKIP_4) | instid1(SALU_CYCLE_1)
	v_cmp_lt_f64_e32 vcc_lo, v[225:226], v[229:230]
	v_dual_cndmask_b32 v206, v206, v223 :: v_dual_cndmask_b32 v205, v205, v222
	v_dual_cndmask_b32 v204, v204, v221 :: v_dual_cndmask_b32 v207, v207, v224
	v_cndmask_b32_e64 v212, v212, s6, vcc_lo
	s_add_i32 s6, s6, 1
	s_cmp_lg_u32 s5, s6
	s_cbranch_scc1 .LBB100_568
.LBB100_569:
	s_set_inst_prefetch_distance 0x2
	s_waitcnt lgkmcnt(0)
	v_cmp_eq_f64_e32 vcc_lo, 0, v[204:205]
	v_cmp_eq_f64_e64 s2, 0, v[206:207]
	s_delay_alu instid0(VALU_DEP_1) | instskip(NEXT) | instid1(SALU_CYCLE_1)
	s_and_b32 s2, vcc_lo, s2
	s_and_saveexec_b32 s3, s2
	s_delay_alu instid0(SALU_CYCLE_1)
	s_xor_b32 s2, exec_lo, s3
; %bb.570:
	v_cmp_ne_u32_e32 vcc_lo, 0, v217
	v_cndmask_b32_e32 v217, 28, v217, vcc_lo
; %bb.571:
	s_and_not1_saveexec_b32 s3, s2
	s_cbranch_execz .LBB100_577
; %bb.572:
	v_cmp_gt_f64_e32 vcc_lo, 0, v[204:205]
	v_cmp_gt_f64_e64 s2, 0, v[206:207]
	v_xor_b32_e32 v213, 0x80000000, v205
	v_xor_b32_e32 v221, 0x80000000, v207
	s_delay_alu instid0(VALU_DEP_2) | instskip(NEXT) | instid1(VALU_DEP_2)
	v_cndmask_b32_e32 v222, v205, v213, vcc_lo
	v_cndmask_b32_e64 v224, v207, v221, s2
	v_cndmask_b32_e32 v221, v204, v204, vcc_lo
	v_cndmask_b32_e64 v223, v206, v206, s2
	s_mov_b32 s2, exec_lo
	s_delay_alu instid0(VALU_DEP_1)
	v_cmpx_ngt_f64_e32 v[221:222], v[223:224]
	s_xor_b32 s2, exec_lo, s2
	s_cbranch_execz .LBB100_574
; %bb.573:
	v_div_scale_f64 v[221:222], null, v[206:207], v[206:207], v[204:205]
	v_div_scale_f64 v[227:228], vcc_lo, v[204:205], v[206:207], v[204:205]
	s_delay_alu instid0(VALU_DEP_2) | instskip(SKIP_2) | instid1(VALU_DEP_1)
	v_rcp_f64_e32 v[223:224], v[221:222]
	s_waitcnt_depctr 0xfff
	v_fma_f64 v[225:226], -v[221:222], v[223:224], 1.0
	v_fma_f64 v[223:224], v[223:224], v[225:226], v[223:224]
	s_delay_alu instid0(VALU_DEP_1) | instskip(NEXT) | instid1(VALU_DEP_1)
	v_fma_f64 v[225:226], -v[221:222], v[223:224], 1.0
	v_fma_f64 v[223:224], v[223:224], v[225:226], v[223:224]
	s_delay_alu instid0(VALU_DEP_1) | instskip(NEXT) | instid1(VALU_DEP_1)
	v_mul_f64 v[225:226], v[227:228], v[223:224]
	v_fma_f64 v[221:222], -v[221:222], v[225:226], v[227:228]
	s_delay_alu instid0(VALU_DEP_1) | instskip(NEXT) | instid1(VALU_DEP_1)
	v_div_fmas_f64 v[221:222], v[221:222], v[223:224], v[225:226]
	v_div_fixup_f64 v[221:222], v[221:222], v[206:207], v[204:205]
	s_delay_alu instid0(VALU_DEP_1) | instskip(NEXT) | instid1(VALU_DEP_1)
	v_fma_f64 v[204:205], v[204:205], v[221:222], v[206:207]
	v_div_scale_f64 v[206:207], null, v[204:205], v[204:205], 1.0
	s_delay_alu instid0(VALU_DEP_1) | instskip(SKIP_2) | instid1(VALU_DEP_1)
	v_rcp_f64_e32 v[223:224], v[206:207]
	s_waitcnt_depctr 0xfff
	v_fma_f64 v[225:226], -v[206:207], v[223:224], 1.0
	v_fma_f64 v[223:224], v[223:224], v[225:226], v[223:224]
	s_delay_alu instid0(VALU_DEP_1) | instskip(NEXT) | instid1(VALU_DEP_1)
	v_fma_f64 v[225:226], -v[206:207], v[223:224], 1.0
	v_fma_f64 v[223:224], v[223:224], v[225:226], v[223:224]
	v_div_scale_f64 v[225:226], vcc_lo, 1.0, v[204:205], 1.0
	s_delay_alu instid0(VALU_DEP_1) | instskip(NEXT) | instid1(VALU_DEP_1)
	v_mul_f64 v[227:228], v[225:226], v[223:224]
	v_fma_f64 v[206:207], -v[206:207], v[227:228], v[225:226]
	s_delay_alu instid0(VALU_DEP_1) | instskip(NEXT) | instid1(VALU_DEP_1)
	v_div_fmas_f64 v[206:207], v[206:207], v[223:224], v[227:228]
	v_div_fixup_f64 v[206:207], v[206:207], v[204:205], 1.0
	s_delay_alu instid0(VALU_DEP_1)
	v_mul_f64 v[204:205], v[221:222], v[206:207]
	v_xor_b32_e32 v207, 0x80000000, v207
.LBB100_574:
	s_and_not1_saveexec_b32 s2, s2
	s_cbranch_execz .LBB100_576
; %bb.575:
	s_delay_alu instid0(VALU_DEP_1) | instskip(SKIP_1) | instid1(VALU_DEP_2)
	v_div_scale_f64 v[221:222], null, v[204:205], v[204:205], v[206:207]
	v_div_scale_f64 v[227:228], vcc_lo, v[206:207], v[204:205], v[206:207]
	v_rcp_f64_e32 v[223:224], v[221:222]
	s_waitcnt_depctr 0xfff
	v_fma_f64 v[225:226], -v[221:222], v[223:224], 1.0
	s_delay_alu instid0(VALU_DEP_1) | instskip(NEXT) | instid1(VALU_DEP_1)
	v_fma_f64 v[223:224], v[223:224], v[225:226], v[223:224]
	v_fma_f64 v[225:226], -v[221:222], v[223:224], 1.0
	s_delay_alu instid0(VALU_DEP_1) | instskip(NEXT) | instid1(VALU_DEP_1)
	v_fma_f64 v[223:224], v[223:224], v[225:226], v[223:224]
	v_mul_f64 v[225:226], v[227:228], v[223:224]
	s_delay_alu instid0(VALU_DEP_1) | instskip(NEXT) | instid1(VALU_DEP_1)
	v_fma_f64 v[221:222], -v[221:222], v[225:226], v[227:228]
	v_div_fmas_f64 v[221:222], v[221:222], v[223:224], v[225:226]
	s_delay_alu instid0(VALU_DEP_1) | instskip(NEXT) | instid1(VALU_DEP_1)
	v_div_fixup_f64 v[221:222], v[221:222], v[204:205], v[206:207]
	v_fma_f64 v[204:205], v[206:207], v[221:222], v[204:205]
	s_delay_alu instid0(VALU_DEP_1) | instskip(NEXT) | instid1(VALU_DEP_1)
	v_div_scale_f64 v[206:207], null, v[204:205], v[204:205], 1.0
	v_rcp_f64_e32 v[223:224], v[206:207]
	s_waitcnt_depctr 0xfff
	v_fma_f64 v[225:226], -v[206:207], v[223:224], 1.0
	s_delay_alu instid0(VALU_DEP_1) | instskip(NEXT) | instid1(VALU_DEP_1)
	v_fma_f64 v[223:224], v[223:224], v[225:226], v[223:224]
	v_fma_f64 v[225:226], -v[206:207], v[223:224], 1.0
	s_delay_alu instid0(VALU_DEP_1) | instskip(SKIP_1) | instid1(VALU_DEP_1)
	v_fma_f64 v[223:224], v[223:224], v[225:226], v[223:224]
	v_div_scale_f64 v[225:226], vcc_lo, 1.0, v[204:205], 1.0
	v_mul_f64 v[227:228], v[225:226], v[223:224]
	s_delay_alu instid0(VALU_DEP_1) | instskip(NEXT) | instid1(VALU_DEP_1)
	v_fma_f64 v[206:207], -v[206:207], v[227:228], v[225:226]
	v_div_fmas_f64 v[206:207], v[206:207], v[223:224], v[227:228]
	s_delay_alu instid0(VALU_DEP_1) | instskip(NEXT) | instid1(VALU_DEP_1)
	v_div_fixup_f64 v[204:205], v[206:207], v[204:205], 1.0
	v_mul_f64 v[206:207], v[221:222], -v[204:205]
.LBB100_576:
	s_or_b32 exec_lo, exec_lo, s2
.LBB100_577:
	s_delay_alu instid0(SALU_CYCLE_1) | instskip(NEXT) | instid1(SALU_CYCLE_1)
	s_or_b32 exec_lo, exec_lo, s3
	s_mov_b32 s2, exec_lo
	v_cmpx_ne_u32_e64 v220, v212
	s_xor_b32 s2, exec_lo, s2
	s_cbranch_execz .LBB100_583
; %bb.578:
	s_mov_b32 s3, exec_lo
	v_cmpx_eq_u32_e32 27, v220
	s_cbranch_execz .LBB100_582
; %bb.579:
	v_cmp_ne_u32_e32 vcc_lo, 27, v212
	s_xor_b32 s6, s4, -1
	s_delay_alu instid0(SALU_CYCLE_1) | instskip(NEXT) | instid1(SALU_CYCLE_1)
	s_and_b32 s7, s6, vcc_lo
	s_and_saveexec_b32 s6, s7
	s_cbranch_execz .LBB100_581
; %bb.580:
	v_ashrrev_i32_e32 v213, 31, v212
	s_delay_alu instid0(VALU_DEP_1) | instskip(NEXT) | instid1(VALU_DEP_1)
	v_lshlrev_b64 v[219:220], 2, v[212:213]
	v_add_co_u32 v219, vcc_lo, v210, v219
	s_delay_alu instid0(VALU_DEP_2)
	v_add_co_ci_u32_e32 v220, vcc_lo, v211, v220, vcc_lo
	s_clause 0x1
	flat_load_b32 v213, v[219:220]
	flat_load_b32 v221, v[210:211] offset:108
	s_waitcnt vmcnt(1) lgkmcnt(1)
	flat_store_b32 v[210:211], v213 offset:108
	s_waitcnt vmcnt(0) lgkmcnt(1)
	flat_store_b32 v[219:220], v221
.LBB100_581:
	s_or_b32 exec_lo, exec_lo, s6
	v_mov_b32_e32 v220, v212
	v_mov_b32_e32 v219, v212
.LBB100_582:
	s_or_b32 exec_lo, exec_lo, s3
.LBB100_583:
	s_and_not1_saveexec_b32 s2, s2
	s_cbranch_execz .LBB100_585
; %bb.584:
	v_mov_b32_e32 v220, 27
	ds_store_2addr_b64 v214, v[88:89], v[90:91] offset0:56 offset1:57
	ds_store_2addr_b64 v214, v[84:85], v[86:87] offset0:58 offset1:59
	;; [unrolled: 1-line block ×23, first 2 shown]
.LBB100_585:
	s_or_b32 exec_lo, exec_lo, s2
	s_delay_alu instid0(SALU_CYCLE_1)
	s_mov_b32 s2, exec_lo
	s_waitcnt lgkmcnt(0)
	s_waitcnt_vscnt null, 0x0
	s_barrier
	buffer_gl0_inv
	v_cmpx_lt_i32_e32 27, v220
	s_cbranch_execz .LBB100_587
; %bb.586:
	v_mul_f64 v[212:213], v[206:207], v[94:95]
	v_mul_f64 v[94:95], v[204:205], v[94:95]
	s_delay_alu instid0(VALU_DEP_2) | instskip(NEXT) | instid1(VALU_DEP_2)
	v_fma_f64 v[212:213], v[204:205], v[92:93], -v[212:213]
	v_fma_f64 v[94:95], v[206:207], v[92:93], v[94:95]
	ds_load_2addr_b64 v[204:207], v214 offset0:56 offset1:57
	s_waitcnt lgkmcnt(0)
	v_mul_f64 v[92:93], v[206:207], v[94:95]
	s_delay_alu instid0(VALU_DEP_1) | instskip(SKIP_1) | instid1(VALU_DEP_2)
	v_fma_f64 v[92:93], v[204:205], v[212:213], -v[92:93]
	v_mul_f64 v[204:205], v[204:205], v[94:95]
	v_add_f64 v[88:89], v[88:89], -v[92:93]
	s_delay_alu instid0(VALU_DEP_2) | instskip(NEXT) | instid1(VALU_DEP_1)
	v_fma_f64 v[204:205], v[206:207], v[212:213], v[204:205]
	v_add_f64 v[90:91], v[90:91], -v[204:205]
	ds_load_2addr_b64 v[204:207], v214 offset0:58 offset1:59
	s_waitcnt lgkmcnt(0)
	v_mul_f64 v[92:93], v[206:207], v[94:95]
	s_delay_alu instid0(VALU_DEP_1) | instskip(SKIP_1) | instid1(VALU_DEP_2)
	v_fma_f64 v[92:93], v[204:205], v[212:213], -v[92:93]
	v_mul_f64 v[204:205], v[204:205], v[94:95]
	v_add_f64 v[84:85], v[84:85], -v[92:93]
	s_delay_alu instid0(VALU_DEP_2) | instskip(NEXT) | instid1(VALU_DEP_1)
	v_fma_f64 v[204:205], v[206:207], v[212:213], v[204:205]
	v_add_f64 v[86:87], v[86:87], -v[204:205]
	;; [unrolled: 10-line block ×22, first 2 shown]
	ds_load_2addr_b64 v[204:207], v214 offset0:100 offset1:101
	s_waitcnt lgkmcnt(0)
	v_mul_f64 v[92:93], v[206:207], v[94:95]
	s_delay_alu instid0(VALU_DEP_1) | instskip(SKIP_1) | instid1(VALU_DEP_2)
	v_fma_f64 v[92:93], v[204:205], v[212:213], -v[92:93]
	v_mul_f64 v[204:205], v[204:205], v[94:95]
	v_add_f64 v[0:1], v[0:1], -v[92:93]
	s_delay_alu instid0(VALU_DEP_2) | instskip(SKIP_1) | instid1(VALU_DEP_2)
	v_fma_f64 v[204:205], v[206:207], v[212:213], v[204:205]
	v_dual_mov_b32 v92, v212 :: v_dual_mov_b32 v93, v213
	v_add_f64 v[2:3], v[2:3], -v[204:205]
.LBB100_587:
	s_or_b32 exec_lo, exec_lo, s2
	v_lshl_add_u32 v204, v220, 4, v214
	s_barrier
	buffer_gl0_inv
	v_mov_b32_e32 v212, 28
	ds_store_2addr_b64 v204, v[88:89], v[90:91] offset1:1
	s_waitcnt lgkmcnt(0)
	s_barrier
	buffer_gl0_inv
	ds_load_2addr_b64 v[204:207], v214 offset0:56 offset1:57
	s_cmp_lt_i32 s5, 30
	s_cbranch_scc1 .LBB100_590
; %bb.588:
	v_add3_u32 v213, v218, 0, 0x1d0
	v_mov_b32_e32 v212, 28
	s_mov_b32 s6, 29
	s_set_inst_prefetch_distance 0x1
	.p2align	6
.LBB100_589:                            ; =>This Inner Loop Header: Depth=1
	ds_load_2addr_b64 v[221:224], v213 offset1:1
	s_waitcnt lgkmcnt(1)
	v_cmp_gt_f64_e32 vcc_lo, 0, v[204:205]
	v_xor_b32_e32 v225, 0x80000000, v205
	v_cmp_gt_f64_e64 s2, 0, v[206:207]
	v_xor_b32_e32 v227, 0x80000000, v207
	v_add_nc_u32_e32 v213, 16, v213
	s_waitcnt lgkmcnt(0)
	v_cmp_gt_f64_e64 s3, 0, v[221:222]
	v_mov_b32_e32 v229, v221
	v_dual_mov_b32 v231, v223 :: v_dual_cndmask_b32 v226, v205, v225
	v_xor_b32_e32 v225, 0x80000000, v222
	v_cndmask_b32_e64 v228, v207, v227, s2
	v_xor_b32_e32 v227, 0x80000000, v224
	s_delay_alu instid0(VALU_DEP_3) | instskip(SKIP_2) | instid1(VALU_DEP_2)
	v_cndmask_b32_e64 v230, v222, v225, s3
	v_cmp_gt_f64_e64 s3, 0, v[223:224]
	v_cndmask_b32_e32 v225, v204, v204, vcc_lo
	v_cndmask_b32_e64 v232, v224, v227, s3
	v_cndmask_b32_e64 v227, v206, v206, s2
	s_delay_alu instid0(VALU_DEP_2) | instskip(NEXT) | instid1(VALU_DEP_2)
	v_add_f64 v[229:230], v[229:230], v[231:232]
	v_add_f64 v[225:226], v[225:226], v[227:228]
	s_delay_alu instid0(VALU_DEP_1) | instskip(SKIP_4) | instid1(SALU_CYCLE_1)
	v_cmp_lt_f64_e32 vcc_lo, v[225:226], v[229:230]
	v_dual_cndmask_b32 v206, v206, v223 :: v_dual_cndmask_b32 v205, v205, v222
	v_dual_cndmask_b32 v204, v204, v221 :: v_dual_cndmask_b32 v207, v207, v224
	v_cndmask_b32_e64 v212, v212, s6, vcc_lo
	s_add_i32 s6, s6, 1
	s_cmp_lg_u32 s5, s6
	s_cbranch_scc1 .LBB100_589
.LBB100_590:
	s_set_inst_prefetch_distance 0x2
	s_waitcnt lgkmcnt(0)
	v_cmp_eq_f64_e32 vcc_lo, 0, v[204:205]
	v_cmp_eq_f64_e64 s2, 0, v[206:207]
	s_delay_alu instid0(VALU_DEP_1) | instskip(NEXT) | instid1(SALU_CYCLE_1)
	s_and_b32 s2, vcc_lo, s2
	s_and_saveexec_b32 s3, s2
	s_delay_alu instid0(SALU_CYCLE_1)
	s_xor_b32 s2, exec_lo, s3
; %bb.591:
	v_cmp_ne_u32_e32 vcc_lo, 0, v217
	v_cndmask_b32_e32 v217, 29, v217, vcc_lo
; %bb.592:
	s_and_not1_saveexec_b32 s3, s2
	s_cbranch_execz .LBB100_598
; %bb.593:
	v_cmp_gt_f64_e32 vcc_lo, 0, v[204:205]
	v_cmp_gt_f64_e64 s2, 0, v[206:207]
	v_xor_b32_e32 v213, 0x80000000, v205
	v_xor_b32_e32 v221, 0x80000000, v207
	s_delay_alu instid0(VALU_DEP_2) | instskip(NEXT) | instid1(VALU_DEP_2)
	v_cndmask_b32_e32 v222, v205, v213, vcc_lo
	v_cndmask_b32_e64 v224, v207, v221, s2
	v_cndmask_b32_e32 v221, v204, v204, vcc_lo
	v_cndmask_b32_e64 v223, v206, v206, s2
	s_mov_b32 s2, exec_lo
	s_delay_alu instid0(VALU_DEP_1)
	v_cmpx_ngt_f64_e32 v[221:222], v[223:224]
	s_xor_b32 s2, exec_lo, s2
	s_cbranch_execz .LBB100_595
; %bb.594:
	v_div_scale_f64 v[221:222], null, v[206:207], v[206:207], v[204:205]
	v_div_scale_f64 v[227:228], vcc_lo, v[204:205], v[206:207], v[204:205]
	s_delay_alu instid0(VALU_DEP_2) | instskip(SKIP_2) | instid1(VALU_DEP_1)
	v_rcp_f64_e32 v[223:224], v[221:222]
	s_waitcnt_depctr 0xfff
	v_fma_f64 v[225:226], -v[221:222], v[223:224], 1.0
	v_fma_f64 v[223:224], v[223:224], v[225:226], v[223:224]
	s_delay_alu instid0(VALU_DEP_1) | instskip(NEXT) | instid1(VALU_DEP_1)
	v_fma_f64 v[225:226], -v[221:222], v[223:224], 1.0
	v_fma_f64 v[223:224], v[223:224], v[225:226], v[223:224]
	s_delay_alu instid0(VALU_DEP_1) | instskip(NEXT) | instid1(VALU_DEP_1)
	v_mul_f64 v[225:226], v[227:228], v[223:224]
	v_fma_f64 v[221:222], -v[221:222], v[225:226], v[227:228]
	s_delay_alu instid0(VALU_DEP_1) | instskip(NEXT) | instid1(VALU_DEP_1)
	v_div_fmas_f64 v[221:222], v[221:222], v[223:224], v[225:226]
	v_div_fixup_f64 v[221:222], v[221:222], v[206:207], v[204:205]
	s_delay_alu instid0(VALU_DEP_1) | instskip(NEXT) | instid1(VALU_DEP_1)
	v_fma_f64 v[204:205], v[204:205], v[221:222], v[206:207]
	v_div_scale_f64 v[206:207], null, v[204:205], v[204:205], 1.0
	s_delay_alu instid0(VALU_DEP_1) | instskip(SKIP_2) | instid1(VALU_DEP_1)
	v_rcp_f64_e32 v[223:224], v[206:207]
	s_waitcnt_depctr 0xfff
	v_fma_f64 v[225:226], -v[206:207], v[223:224], 1.0
	v_fma_f64 v[223:224], v[223:224], v[225:226], v[223:224]
	s_delay_alu instid0(VALU_DEP_1) | instskip(NEXT) | instid1(VALU_DEP_1)
	v_fma_f64 v[225:226], -v[206:207], v[223:224], 1.0
	v_fma_f64 v[223:224], v[223:224], v[225:226], v[223:224]
	v_div_scale_f64 v[225:226], vcc_lo, 1.0, v[204:205], 1.0
	s_delay_alu instid0(VALU_DEP_1) | instskip(NEXT) | instid1(VALU_DEP_1)
	v_mul_f64 v[227:228], v[225:226], v[223:224]
	v_fma_f64 v[206:207], -v[206:207], v[227:228], v[225:226]
	s_delay_alu instid0(VALU_DEP_1) | instskip(NEXT) | instid1(VALU_DEP_1)
	v_div_fmas_f64 v[206:207], v[206:207], v[223:224], v[227:228]
	v_div_fixup_f64 v[206:207], v[206:207], v[204:205], 1.0
	s_delay_alu instid0(VALU_DEP_1)
	v_mul_f64 v[204:205], v[221:222], v[206:207]
	v_xor_b32_e32 v207, 0x80000000, v207
.LBB100_595:
	s_and_not1_saveexec_b32 s2, s2
	s_cbranch_execz .LBB100_597
; %bb.596:
	s_delay_alu instid0(VALU_DEP_1) | instskip(SKIP_1) | instid1(VALU_DEP_2)
	v_div_scale_f64 v[221:222], null, v[204:205], v[204:205], v[206:207]
	v_div_scale_f64 v[227:228], vcc_lo, v[206:207], v[204:205], v[206:207]
	v_rcp_f64_e32 v[223:224], v[221:222]
	s_waitcnt_depctr 0xfff
	v_fma_f64 v[225:226], -v[221:222], v[223:224], 1.0
	s_delay_alu instid0(VALU_DEP_1) | instskip(NEXT) | instid1(VALU_DEP_1)
	v_fma_f64 v[223:224], v[223:224], v[225:226], v[223:224]
	v_fma_f64 v[225:226], -v[221:222], v[223:224], 1.0
	s_delay_alu instid0(VALU_DEP_1) | instskip(NEXT) | instid1(VALU_DEP_1)
	v_fma_f64 v[223:224], v[223:224], v[225:226], v[223:224]
	v_mul_f64 v[225:226], v[227:228], v[223:224]
	s_delay_alu instid0(VALU_DEP_1) | instskip(NEXT) | instid1(VALU_DEP_1)
	v_fma_f64 v[221:222], -v[221:222], v[225:226], v[227:228]
	v_div_fmas_f64 v[221:222], v[221:222], v[223:224], v[225:226]
	s_delay_alu instid0(VALU_DEP_1) | instskip(NEXT) | instid1(VALU_DEP_1)
	v_div_fixup_f64 v[221:222], v[221:222], v[204:205], v[206:207]
	v_fma_f64 v[204:205], v[206:207], v[221:222], v[204:205]
	s_delay_alu instid0(VALU_DEP_1) | instskip(NEXT) | instid1(VALU_DEP_1)
	v_div_scale_f64 v[206:207], null, v[204:205], v[204:205], 1.0
	v_rcp_f64_e32 v[223:224], v[206:207]
	s_waitcnt_depctr 0xfff
	v_fma_f64 v[225:226], -v[206:207], v[223:224], 1.0
	s_delay_alu instid0(VALU_DEP_1) | instskip(NEXT) | instid1(VALU_DEP_1)
	v_fma_f64 v[223:224], v[223:224], v[225:226], v[223:224]
	v_fma_f64 v[225:226], -v[206:207], v[223:224], 1.0
	s_delay_alu instid0(VALU_DEP_1) | instskip(SKIP_1) | instid1(VALU_DEP_1)
	v_fma_f64 v[223:224], v[223:224], v[225:226], v[223:224]
	v_div_scale_f64 v[225:226], vcc_lo, 1.0, v[204:205], 1.0
	v_mul_f64 v[227:228], v[225:226], v[223:224]
	s_delay_alu instid0(VALU_DEP_1) | instskip(NEXT) | instid1(VALU_DEP_1)
	v_fma_f64 v[206:207], -v[206:207], v[227:228], v[225:226]
	v_div_fmas_f64 v[206:207], v[206:207], v[223:224], v[227:228]
	s_delay_alu instid0(VALU_DEP_1) | instskip(NEXT) | instid1(VALU_DEP_1)
	v_div_fixup_f64 v[204:205], v[206:207], v[204:205], 1.0
	v_mul_f64 v[206:207], v[221:222], -v[204:205]
.LBB100_597:
	s_or_b32 exec_lo, exec_lo, s2
.LBB100_598:
	s_delay_alu instid0(SALU_CYCLE_1) | instskip(NEXT) | instid1(SALU_CYCLE_1)
	s_or_b32 exec_lo, exec_lo, s3
	s_mov_b32 s2, exec_lo
	v_cmpx_ne_u32_e64 v220, v212
	s_xor_b32 s2, exec_lo, s2
	s_cbranch_execz .LBB100_604
; %bb.599:
	s_mov_b32 s3, exec_lo
	v_cmpx_eq_u32_e32 28, v220
	s_cbranch_execz .LBB100_603
; %bb.600:
	v_cmp_ne_u32_e32 vcc_lo, 28, v212
	s_xor_b32 s6, s4, -1
	s_delay_alu instid0(SALU_CYCLE_1) | instskip(NEXT) | instid1(SALU_CYCLE_1)
	s_and_b32 s7, s6, vcc_lo
	s_and_saveexec_b32 s6, s7
	s_cbranch_execz .LBB100_602
; %bb.601:
	v_ashrrev_i32_e32 v213, 31, v212
	s_delay_alu instid0(VALU_DEP_1) | instskip(NEXT) | instid1(VALU_DEP_1)
	v_lshlrev_b64 v[219:220], 2, v[212:213]
	v_add_co_u32 v219, vcc_lo, v210, v219
	s_delay_alu instid0(VALU_DEP_2)
	v_add_co_ci_u32_e32 v220, vcc_lo, v211, v220, vcc_lo
	s_clause 0x1
	flat_load_b32 v213, v[219:220]
	flat_load_b32 v221, v[210:211] offset:112
	s_waitcnt vmcnt(1) lgkmcnt(1)
	flat_store_b32 v[210:211], v213 offset:112
	s_waitcnt vmcnt(0) lgkmcnt(1)
	flat_store_b32 v[219:220], v221
.LBB100_602:
	s_or_b32 exec_lo, exec_lo, s6
	v_mov_b32_e32 v220, v212
	v_mov_b32_e32 v219, v212
.LBB100_603:
	s_or_b32 exec_lo, exec_lo, s3
.LBB100_604:
	s_and_not1_saveexec_b32 s2, s2
	s_cbranch_execz .LBB100_606
; %bb.605:
	v_mov_b32_e32 v220, 28
	ds_store_2addr_b64 v214, v[84:85], v[86:87] offset0:58 offset1:59
	ds_store_2addr_b64 v214, v[80:81], v[82:83] offset0:60 offset1:61
	;; [unrolled: 1-line block ×22, first 2 shown]
.LBB100_606:
	s_or_b32 exec_lo, exec_lo, s2
	s_delay_alu instid0(SALU_CYCLE_1)
	s_mov_b32 s2, exec_lo
	s_waitcnt lgkmcnt(0)
	s_waitcnt_vscnt null, 0x0
	s_barrier
	buffer_gl0_inv
	v_cmpx_lt_i32_e32 28, v220
	s_cbranch_execz .LBB100_608
; %bb.607:
	v_mul_f64 v[212:213], v[206:207], v[90:91]
	v_mul_f64 v[90:91], v[204:205], v[90:91]
	s_delay_alu instid0(VALU_DEP_2) | instskip(NEXT) | instid1(VALU_DEP_2)
	v_fma_f64 v[212:213], v[204:205], v[88:89], -v[212:213]
	v_fma_f64 v[90:91], v[206:207], v[88:89], v[90:91]
	ds_load_2addr_b64 v[204:207], v214 offset0:58 offset1:59
	s_waitcnt lgkmcnt(0)
	v_mul_f64 v[88:89], v[206:207], v[90:91]
	s_delay_alu instid0(VALU_DEP_1) | instskip(SKIP_1) | instid1(VALU_DEP_2)
	v_fma_f64 v[88:89], v[204:205], v[212:213], -v[88:89]
	v_mul_f64 v[204:205], v[204:205], v[90:91]
	v_add_f64 v[84:85], v[84:85], -v[88:89]
	s_delay_alu instid0(VALU_DEP_2) | instskip(NEXT) | instid1(VALU_DEP_1)
	v_fma_f64 v[204:205], v[206:207], v[212:213], v[204:205]
	v_add_f64 v[86:87], v[86:87], -v[204:205]
	ds_load_2addr_b64 v[204:207], v214 offset0:60 offset1:61
	s_waitcnt lgkmcnt(0)
	v_mul_f64 v[88:89], v[206:207], v[90:91]
	s_delay_alu instid0(VALU_DEP_1) | instskip(SKIP_1) | instid1(VALU_DEP_2)
	v_fma_f64 v[88:89], v[204:205], v[212:213], -v[88:89]
	v_mul_f64 v[204:205], v[204:205], v[90:91]
	v_add_f64 v[80:81], v[80:81], -v[88:89]
	s_delay_alu instid0(VALU_DEP_2) | instskip(NEXT) | instid1(VALU_DEP_1)
	v_fma_f64 v[204:205], v[206:207], v[212:213], v[204:205]
	v_add_f64 v[82:83], v[82:83], -v[204:205]
	;; [unrolled: 10-line block ×21, first 2 shown]
	ds_load_2addr_b64 v[204:207], v214 offset0:100 offset1:101
	s_waitcnt lgkmcnt(0)
	v_mul_f64 v[88:89], v[206:207], v[90:91]
	s_delay_alu instid0(VALU_DEP_1) | instskip(SKIP_1) | instid1(VALU_DEP_2)
	v_fma_f64 v[88:89], v[204:205], v[212:213], -v[88:89]
	v_mul_f64 v[204:205], v[204:205], v[90:91]
	v_add_f64 v[0:1], v[0:1], -v[88:89]
	s_delay_alu instid0(VALU_DEP_2) | instskip(SKIP_1) | instid1(VALU_DEP_2)
	v_fma_f64 v[204:205], v[206:207], v[212:213], v[204:205]
	v_dual_mov_b32 v88, v212 :: v_dual_mov_b32 v89, v213
	v_add_f64 v[2:3], v[2:3], -v[204:205]
.LBB100_608:
	s_or_b32 exec_lo, exec_lo, s2
	v_lshl_add_u32 v204, v220, 4, v214
	s_barrier
	buffer_gl0_inv
	v_mov_b32_e32 v212, 29
	ds_store_2addr_b64 v204, v[84:85], v[86:87] offset1:1
	s_waitcnt lgkmcnt(0)
	s_barrier
	buffer_gl0_inv
	ds_load_2addr_b64 v[204:207], v214 offset0:58 offset1:59
	s_cmp_lt_i32 s5, 31
	s_cbranch_scc1 .LBB100_611
; %bb.609:
	v_add3_u32 v213, v218, 0, 0x1e0
	v_mov_b32_e32 v212, 29
	s_mov_b32 s6, 30
	s_set_inst_prefetch_distance 0x1
	.p2align	6
.LBB100_610:                            ; =>This Inner Loop Header: Depth=1
	ds_load_2addr_b64 v[221:224], v213 offset1:1
	s_waitcnt lgkmcnt(1)
	v_cmp_gt_f64_e32 vcc_lo, 0, v[204:205]
	v_xor_b32_e32 v225, 0x80000000, v205
	v_cmp_gt_f64_e64 s2, 0, v[206:207]
	v_xor_b32_e32 v227, 0x80000000, v207
	v_add_nc_u32_e32 v213, 16, v213
	s_waitcnt lgkmcnt(0)
	v_cmp_gt_f64_e64 s3, 0, v[221:222]
	v_mov_b32_e32 v229, v221
	v_dual_mov_b32 v231, v223 :: v_dual_cndmask_b32 v226, v205, v225
	v_xor_b32_e32 v225, 0x80000000, v222
	v_cndmask_b32_e64 v228, v207, v227, s2
	v_xor_b32_e32 v227, 0x80000000, v224
	s_delay_alu instid0(VALU_DEP_3) | instskip(SKIP_2) | instid1(VALU_DEP_2)
	v_cndmask_b32_e64 v230, v222, v225, s3
	v_cmp_gt_f64_e64 s3, 0, v[223:224]
	v_cndmask_b32_e32 v225, v204, v204, vcc_lo
	v_cndmask_b32_e64 v232, v224, v227, s3
	v_cndmask_b32_e64 v227, v206, v206, s2
	s_delay_alu instid0(VALU_DEP_2) | instskip(NEXT) | instid1(VALU_DEP_2)
	v_add_f64 v[229:230], v[229:230], v[231:232]
	v_add_f64 v[225:226], v[225:226], v[227:228]
	s_delay_alu instid0(VALU_DEP_1) | instskip(SKIP_4) | instid1(SALU_CYCLE_1)
	v_cmp_lt_f64_e32 vcc_lo, v[225:226], v[229:230]
	v_dual_cndmask_b32 v206, v206, v223 :: v_dual_cndmask_b32 v205, v205, v222
	v_dual_cndmask_b32 v204, v204, v221 :: v_dual_cndmask_b32 v207, v207, v224
	v_cndmask_b32_e64 v212, v212, s6, vcc_lo
	s_add_i32 s6, s6, 1
	s_cmp_lg_u32 s5, s6
	s_cbranch_scc1 .LBB100_610
.LBB100_611:
	s_set_inst_prefetch_distance 0x2
	s_waitcnt lgkmcnt(0)
	v_cmp_eq_f64_e32 vcc_lo, 0, v[204:205]
	v_cmp_eq_f64_e64 s2, 0, v[206:207]
	s_delay_alu instid0(VALU_DEP_1) | instskip(NEXT) | instid1(SALU_CYCLE_1)
	s_and_b32 s2, vcc_lo, s2
	s_and_saveexec_b32 s3, s2
	s_delay_alu instid0(SALU_CYCLE_1)
	s_xor_b32 s2, exec_lo, s3
; %bb.612:
	v_cmp_ne_u32_e32 vcc_lo, 0, v217
	v_cndmask_b32_e32 v217, 30, v217, vcc_lo
; %bb.613:
	s_and_not1_saveexec_b32 s3, s2
	s_cbranch_execz .LBB100_619
; %bb.614:
	v_cmp_gt_f64_e32 vcc_lo, 0, v[204:205]
	v_cmp_gt_f64_e64 s2, 0, v[206:207]
	v_xor_b32_e32 v213, 0x80000000, v205
	v_xor_b32_e32 v221, 0x80000000, v207
	s_delay_alu instid0(VALU_DEP_2) | instskip(NEXT) | instid1(VALU_DEP_2)
	v_cndmask_b32_e32 v222, v205, v213, vcc_lo
	v_cndmask_b32_e64 v224, v207, v221, s2
	v_cndmask_b32_e32 v221, v204, v204, vcc_lo
	v_cndmask_b32_e64 v223, v206, v206, s2
	s_mov_b32 s2, exec_lo
	s_delay_alu instid0(VALU_DEP_1)
	v_cmpx_ngt_f64_e32 v[221:222], v[223:224]
	s_xor_b32 s2, exec_lo, s2
	s_cbranch_execz .LBB100_616
; %bb.615:
	v_div_scale_f64 v[221:222], null, v[206:207], v[206:207], v[204:205]
	v_div_scale_f64 v[227:228], vcc_lo, v[204:205], v[206:207], v[204:205]
	s_delay_alu instid0(VALU_DEP_2) | instskip(SKIP_2) | instid1(VALU_DEP_1)
	v_rcp_f64_e32 v[223:224], v[221:222]
	s_waitcnt_depctr 0xfff
	v_fma_f64 v[225:226], -v[221:222], v[223:224], 1.0
	v_fma_f64 v[223:224], v[223:224], v[225:226], v[223:224]
	s_delay_alu instid0(VALU_DEP_1) | instskip(NEXT) | instid1(VALU_DEP_1)
	v_fma_f64 v[225:226], -v[221:222], v[223:224], 1.0
	v_fma_f64 v[223:224], v[223:224], v[225:226], v[223:224]
	s_delay_alu instid0(VALU_DEP_1) | instskip(NEXT) | instid1(VALU_DEP_1)
	v_mul_f64 v[225:226], v[227:228], v[223:224]
	v_fma_f64 v[221:222], -v[221:222], v[225:226], v[227:228]
	s_delay_alu instid0(VALU_DEP_1) | instskip(NEXT) | instid1(VALU_DEP_1)
	v_div_fmas_f64 v[221:222], v[221:222], v[223:224], v[225:226]
	v_div_fixup_f64 v[221:222], v[221:222], v[206:207], v[204:205]
	s_delay_alu instid0(VALU_DEP_1) | instskip(NEXT) | instid1(VALU_DEP_1)
	v_fma_f64 v[204:205], v[204:205], v[221:222], v[206:207]
	v_div_scale_f64 v[206:207], null, v[204:205], v[204:205], 1.0
	s_delay_alu instid0(VALU_DEP_1) | instskip(SKIP_2) | instid1(VALU_DEP_1)
	v_rcp_f64_e32 v[223:224], v[206:207]
	s_waitcnt_depctr 0xfff
	v_fma_f64 v[225:226], -v[206:207], v[223:224], 1.0
	v_fma_f64 v[223:224], v[223:224], v[225:226], v[223:224]
	s_delay_alu instid0(VALU_DEP_1) | instskip(NEXT) | instid1(VALU_DEP_1)
	v_fma_f64 v[225:226], -v[206:207], v[223:224], 1.0
	v_fma_f64 v[223:224], v[223:224], v[225:226], v[223:224]
	v_div_scale_f64 v[225:226], vcc_lo, 1.0, v[204:205], 1.0
	s_delay_alu instid0(VALU_DEP_1) | instskip(NEXT) | instid1(VALU_DEP_1)
	v_mul_f64 v[227:228], v[225:226], v[223:224]
	v_fma_f64 v[206:207], -v[206:207], v[227:228], v[225:226]
	s_delay_alu instid0(VALU_DEP_1) | instskip(NEXT) | instid1(VALU_DEP_1)
	v_div_fmas_f64 v[206:207], v[206:207], v[223:224], v[227:228]
	v_div_fixup_f64 v[206:207], v[206:207], v[204:205], 1.0
	s_delay_alu instid0(VALU_DEP_1)
	v_mul_f64 v[204:205], v[221:222], v[206:207]
	v_xor_b32_e32 v207, 0x80000000, v207
.LBB100_616:
	s_and_not1_saveexec_b32 s2, s2
	s_cbranch_execz .LBB100_618
; %bb.617:
	s_delay_alu instid0(VALU_DEP_1) | instskip(SKIP_1) | instid1(VALU_DEP_2)
	v_div_scale_f64 v[221:222], null, v[204:205], v[204:205], v[206:207]
	v_div_scale_f64 v[227:228], vcc_lo, v[206:207], v[204:205], v[206:207]
	v_rcp_f64_e32 v[223:224], v[221:222]
	s_waitcnt_depctr 0xfff
	v_fma_f64 v[225:226], -v[221:222], v[223:224], 1.0
	s_delay_alu instid0(VALU_DEP_1) | instskip(NEXT) | instid1(VALU_DEP_1)
	v_fma_f64 v[223:224], v[223:224], v[225:226], v[223:224]
	v_fma_f64 v[225:226], -v[221:222], v[223:224], 1.0
	s_delay_alu instid0(VALU_DEP_1) | instskip(NEXT) | instid1(VALU_DEP_1)
	v_fma_f64 v[223:224], v[223:224], v[225:226], v[223:224]
	v_mul_f64 v[225:226], v[227:228], v[223:224]
	s_delay_alu instid0(VALU_DEP_1) | instskip(NEXT) | instid1(VALU_DEP_1)
	v_fma_f64 v[221:222], -v[221:222], v[225:226], v[227:228]
	v_div_fmas_f64 v[221:222], v[221:222], v[223:224], v[225:226]
	s_delay_alu instid0(VALU_DEP_1) | instskip(NEXT) | instid1(VALU_DEP_1)
	v_div_fixup_f64 v[221:222], v[221:222], v[204:205], v[206:207]
	v_fma_f64 v[204:205], v[206:207], v[221:222], v[204:205]
	s_delay_alu instid0(VALU_DEP_1) | instskip(NEXT) | instid1(VALU_DEP_1)
	v_div_scale_f64 v[206:207], null, v[204:205], v[204:205], 1.0
	v_rcp_f64_e32 v[223:224], v[206:207]
	s_waitcnt_depctr 0xfff
	v_fma_f64 v[225:226], -v[206:207], v[223:224], 1.0
	s_delay_alu instid0(VALU_DEP_1) | instskip(NEXT) | instid1(VALU_DEP_1)
	v_fma_f64 v[223:224], v[223:224], v[225:226], v[223:224]
	v_fma_f64 v[225:226], -v[206:207], v[223:224], 1.0
	s_delay_alu instid0(VALU_DEP_1) | instskip(SKIP_1) | instid1(VALU_DEP_1)
	v_fma_f64 v[223:224], v[223:224], v[225:226], v[223:224]
	v_div_scale_f64 v[225:226], vcc_lo, 1.0, v[204:205], 1.0
	v_mul_f64 v[227:228], v[225:226], v[223:224]
	s_delay_alu instid0(VALU_DEP_1) | instskip(NEXT) | instid1(VALU_DEP_1)
	v_fma_f64 v[206:207], -v[206:207], v[227:228], v[225:226]
	v_div_fmas_f64 v[206:207], v[206:207], v[223:224], v[227:228]
	s_delay_alu instid0(VALU_DEP_1) | instskip(NEXT) | instid1(VALU_DEP_1)
	v_div_fixup_f64 v[204:205], v[206:207], v[204:205], 1.0
	v_mul_f64 v[206:207], v[221:222], -v[204:205]
.LBB100_618:
	s_or_b32 exec_lo, exec_lo, s2
.LBB100_619:
	s_delay_alu instid0(SALU_CYCLE_1) | instskip(NEXT) | instid1(SALU_CYCLE_1)
	s_or_b32 exec_lo, exec_lo, s3
	s_mov_b32 s2, exec_lo
	v_cmpx_ne_u32_e64 v220, v212
	s_xor_b32 s2, exec_lo, s2
	s_cbranch_execz .LBB100_625
; %bb.620:
	s_mov_b32 s3, exec_lo
	v_cmpx_eq_u32_e32 29, v220
	s_cbranch_execz .LBB100_624
; %bb.621:
	v_cmp_ne_u32_e32 vcc_lo, 29, v212
	s_xor_b32 s6, s4, -1
	s_delay_alu instid0(SALU_CYCLE_1) | instskip(NEXT) | instid1(SALU_CYCLE_1)
	s_and_b32 s7, s6, vcc_lo
	s_and_saveexec_b32 s6, s7
	s_cbranch_execz .LBB100_623
; %bb.622:
	v_ashrrev_i32_e32 v213, 31, v212
	s_delay_alu instid0(VALU_DEP_1) | instskip(NEXT) | instid1(VALU_DEP_1)
	v_lshlrev_b64 v[219:220], 2, v[212:213]
	v_add_co_u32 v219, vcc_lo, v210, v219
	s_delay_alu instid0(VALU_DEP_2)
	v_add_co_ci_u32_e32 v220, vcc_lo, v211, v220, vcc_lo
	s_clause 0x1
	flat_load_b32 v213, v[219:220]
	flat_load_b32 v221, v[210:211] offset:116
	s_waitcnt vmcnt(1) lgkmcnt(1)
	flat_store_b32 v[210:211], v213 offset:116
	s_waitcnt vmcnt(0) lgkmcnt(1)
	flat_store_b32 v[219:220], v221
.LBB100_623:
	s_or_b32 exec_lo, exec_lo, s6
	v_mov_b32_e32 v220, v212
	v_mov_b32_e32 v219, v212
.LBB100_624:
	s_or_b32 exec_lo, exec_lo, s3
.LBB100_625:
	s_and_not1_saveexec_b32 s2, s2
	s_cbranch_execz .LBB100_627
; %bb.626:
	v_mov_b32_e32 v220, 29
	ds_store_2addr_b64 v214, v[80:81], v[82:83] offset0:60 offset1:61
	ds_store_2addr_b64 v214, v[76:77], v[78:79] offset0:62 offset1:63
	;; [unrolled: 1-line block ×21, first 2 shown]
.LBB100_627:
	s_or_b32 exec_lo, exec_lo, s2
	s_delay_alu instid0(SALU_CYCLE_1)
	s_mov_b32 s2, exec_lo
	s_waitcnt lgkmcnt(0)
	s_waitcnt_vscnt null, 0x0
	s_barrier
	buffer_gl0_inv
	v_cmpx_lt_i32_e32 29, v220
	s_cbranch_execz .LBB100_629
; %bb.628:
	v_mul_f64 v[212:213], v[206:207], v[86:87]
	v_mul_f64 v[86:87], v[204:205], v[86:87]
	s_delay_alu instid0(VALU_DEP_2) | instskip(NEXT) | instid1(VALU_DEP_2)
	v_fma_f64 v[212:213], v[204:205], v[84:85], -v[212:213]
	v_fma_f64 v[86:87], v[206:207], v[84:85], v[86:87]
	ds_load_2addr_b64 v[204:207], v214 offset0:60 offset1:61
	s_waitcnt lgkmcnt(0)
	v_mul_f64 v[84:85], v[206:207], v[86:87]
	s_delay_alu instid0(VALU_DEP_1) | instskip(SKIP_1) | instid1(VALU_DEP_2)
	v_fma_f64 v[84:85], v[204:205], v[212:213], -v[84:85]
	v_mul_f64 v[204:205], v[204:205], v[86:87]
	v_add_f64 v[80:81], v[80:81], -v[84:85]
	s_delay_alu instid0(VALU_DEP_2) | instskip(NEXT) | instid1(VALU_DEP_1)
	v_fma_f64 v[204:205], v[206:207], v[212:213], v[204:205]
	v_add_f64 v[82:83], v[82:83], -v[204:205]
	ds_load_2addr_b64 v[204:207], v214 offset0:62 offset1:63
	s_waitcnt lgkmcnt(0)
	v_mul_f64 v[84:85], v[206:207], v[86:87]
	s_delay_alu instid0(VALU_DEP_1) | instskip(SKIP_1) | instid1(VALU_DEP_2)
	v_fma_f64 v[84:85], v[204:205], v[212:213], -v[84:85]
	v_mul_f64 v[204:205], v[204:205], v[86:87]
	v_add_f64 v[76:77], v[76:77], -v[84:85]
	s_delay_alu instid0(VALU_DEP_2) | instskip(NEXT) | instid1(VALU_DEP_1)
	v_fma_f64 v[204:205], v[206:207], v[212:213], v[204:205]
	v_add_f64 v[78:79], v[78:79], -v[204:205]
	;; [unrolled: 10-line block ×20, first 2 shown]
	ds_load_2addr_b64 v[204:207], v214 offset0:100 offset1:101
	s_waitcnt lgkmcnt(0)
	v_mul_f64 v[84:85], v[206:207], v[86:87]
	s_delay_alu instid0(VALU_DEP_1) | instskip(SKIP_1) | instid1(VALU_DEP_2)
	v_fma_f64 v[84:85], v[204:205], v[212:213], -v[84:85]
	v_mul_f64 v[204:205], v[204:205], v[86:87]
	v_add_f64 v[0:1], v[0:1], -v[84:85]
	s_delay_alu instid0(VALU_DEP_2) | instskip(SKIP_1) | instid1(VALU_DEP_2)
	v_fma_f64 v[204:205], v[206:207], v[212:213], v[204:205]
	v_dual_mov_b32 v84, v212 :: v_dual_mov_b32 v85, v213
	v_add_f64 v[2:3], v[2:3], -v[204:205]
.LBB100_629:
	s_or_b32 exec_lo, exec_lo, s2
	v_lshl_add_u32 v204, v220, 4, v214
	s_barrier
	buffer_gl0_inv
	v_mov_b32_e32 v212, 30
	ds_store_2addr_b64 v204, v[80:81], v[82:83] offset1:1
	s_waitcnt lgkmcnt(0)
	s_barrier
	buffer_gl0_inv
	ds_load_2addr_b64 v[204:207], v214 offset0:60 offset1:61
	s_cmp_lt_i32 s5, 32
	s_cbranch_scc1 .LBB100_632
; %bb.630:
	v_add3_u32 v213, v218, 0, 0x1f0
	v_mov_b32_e32 v212, 30
	s_mov_b32 s6, 31
	s_set_inst_prefetch_distance 0x1
	.p2align	6
.LBB100_631:                            ; =>This Inner Loop Header: Depth=1
	ds_load_2addr_b64 v[221:224], v213 offset1:1
	s_waitcnt lgkmcnt(1)
	v_cmp_gt_f64_e32 vcc_lo, 0, v[204:205]
	v_xor_b32_e32 v225, 0x80000000, v205
	v_cmp_gt_f64_e64 s2, 0, v[206:207]
	v_xor_b32_e32 v227, 0x80000000, v207
	v_add_nc_u32_e32 v213, 16, v213
	s_waitcnt lgkmcnt(0)
	v_cmp_gt_f64_e64 s3, 0, v[221:222]
	v_mov_b32_e32 v229, v221
	v_dual_mov_b32 v231, v223 :: v_dual_cndmask_b32 v226, v205, v225
	v_xor_b32_e32 v225, 0x80000000, v222
	v_cndmask_b32_e64 v228, v207, v227, s2
	v_xor_b32_e32 v227, 0x80000000, v224
	s_delay_alu instid0(VALU_DEP_3) | instskip(SKIP_2) | instid1(VALU_DEP_2)
	v_cndmask_b32_e64 v230, v222, v225, s3
	v_cmp_gt_f64_e64 s3, 0, v[223:224]
	v_cndmask_b32_e32 v225, v204, v204, vcc_lo
	v_cndmask_b32_e64 v232, v224, v227, s3
	v_cndmask_b32_e64 v227, v206, v206, s2
	s_delay_alu instid0(VALU_DEP_2) | instskip(NEXT) | instid1(VALU_DEP_2)
	v_add_f64 v[229:230], v[229:230], v[231:232]
	v_add_f64 v[225:226], v[225:226], v[227:228]
	s_delay_alu instid0(VALU_DEP_1) | instskip(SKIP_4) | instid1(SALU_CYCLE_1)
	v_cmp_lt_f64_e32 vcc_lo, v[225:226], v[229:230]
	v_dual_cndmask_b32 v206, v206, v223 :: v_dual_cndmask_b32 v205, v205, v222
	v_dual_cndmask_b32 v204, v204, v221 :: v_dual_cndmask_b32 v207, v207, v224
	v_cndmask_b32_e64 v212, v212, s6, vcc_lo
	s_add_i32 s6, s6, 1
	s_cmp_lg_u32 s5, s6
	s_cbranch_scc1 .LBB100_631
.LBB100_632:
	s_set_inst_prefetch_distance 0x2
	s_waitcnt lgkmcnt(0)
	v_cmp_eq_f64_e32 vcc_lo, 0, v[204:205]
	v_cmp_eq_f64_e64 s2, 0, v[206:207]
	s_delay_alu instid0(VALU_DEP_1) | instskip(NEXT) | instid1(SALU_CYCLE_1)
	s_and_b32 s2, vcc_lo, s2
	s_and_saveexec_b32 s3, s2
	s_delay_alu instid0(SALU_CYCLE_1)
	s_xor_b32 s2, exec_lo, s3
; %bb.633:
	v_cmp_ne_u32_e32 vcc_lo, 0, v217
	v_cndmask_b32_e32 v217, 31, v217, vcc_lo
; %bb.634:
	s_and_not1_saveexec_b32 s3, s2
	s_cbranch_execz .LBB100_640
; %bb.635:
	v_cmp_gt_f64_e32 vcc_lo, 0, v[204:205]
	v_cmp_gt_f64_e64 s2, 0, v[206:207]
	v_xor_b32_e32 v213, 0x80000000, v205
	v_xor_b32_e32 v221, 0x80000000, v207
	s_delay_alu instid0(VALU_DEP_2) | instskip(NEXT) | instid1(VALU_DEP_2)
	v_cndmask_b32_e32 v222, v205, v213, vcc_lo
	v_cndmask_b32_e64 v224, v207, v221, s2
	v_cndmask_b32_e32 v221, v204, v204, vcc_lo
	v_cndmask_b32_e64 v223, v206, v206, s2
	s_mov_b32 s2, exec_lo
	s_delay_alu instid0(VALU_DEP_1)
	v_cmpx_ngt_f64_e32 v[221:222], v[223:224]
	s_xor_b32 s2, exec_lo, s2
	s_cbranch_execz .LBB100_637
; %bb.636:
	v_div_scale_f64 v[221:222], null, v[206:207], v[206:207], v[204:205]
	v_div_scale_f64 v[227:228], vcc_lo, v[204:205], v[206:207], v[204:205]
	s_delay_alu instid0(VALU_DEP_2) | instskip(SKIP_2) | instid1(VALU_DEP_1)
	v_rcp_f64_e32 v[223:224], v[221:222]
	s_waitcnt_depctr 0xfff
	v_fma_f64 v[225:226], -v[221:222], v[223:224], 1.0
	v_fma_f64 v[223:224], v[223:224], v[225:226], v[223:224]
	s_delay_alu instid0(VALU_DEP_1) | instskip(NEXT) | instid1(VALU_DEP_1)
	v_fma_f64 v[225:226], -v[221:222], v[223:224], 1.0
	v_fma_f64 v[223:224], v[223:224], v[225:226], v[223:224]
	s_delay_alu instid0(VALU_DEP_1) | instskip(NEXT) | instid1(VALU_DEP_1)
	v_mul_f64 v[225:226], v[227:228], v[223:224]
	v_fma_f64 v[221:222], -v[221:222], v[225:226], v[227:228]
	s_delay_alu instid0(VALU_DEP_1) | instskip(NEXT) | instid1(VALU_DEP_1)
	v_div_fmas_f64 v[221:222], v[221:222], v[223:224], v[225:226]
	v_div_fixup_f64 v[221:222], v[221:222], v[206:207], v[204:205]
	s_delay_alu instid0(VALU_DEP_1) | instskip(NEXT) | instid1(VALU_DEP_1)
	v_fma_f64 v[204:205], v[204:205], v[221:222], v[206:207]
	v_div_scale_f64 v[206:207], null, v[204:205], v[204:205], 1.0
	s_delay_alu instid0(VALU_DEP_1) | instskip(SKIP_2) | instid1(VALU_DEP_1)
	v_rcp_f64_e32 v[223:224], v[206:207]
	s_waitcnt_depctr 0xfff
	v_fma_f64 v[225:226], -v[206:207], v[223:224], 1.0
	v_fma_f64 v[223:224], v[223:224], v[225:226], v[223:224]
	s_delay_alu instid0(VALU_DEP_1) | instskip(NEXT) | instid1(VALU_DEP_1)
	v_fma_f64 v[225:226], -v[206:207], v[223:224], 1.0
	v_fma_f64 v[223:224], v[223:224], v[225:226], v[223:224]
	v_div_scale_f64 v[225:226], vcc_lo, 1.0, v[204:205], 1.0
	s_delay_alu instid0(VALU_DEP_1) | instskip(NEXT) | instid1(VALU_DEP_1)
	v_mul_f64 v[227:228], v[225:226], v[223:224]
	v_fma_f64 v[206:207], -v[206:207], v[227:228], v[225:226]
	s_delay_alu instid0(VALU_DEP_1) | instskip(NEXT) | instid1(VALU_DEP_1)
	v_div_fmas_f64 v[206:207], v[206:207], v[223:224], v[227:228]
	v_div_fixup_f64 v[206:207], v[206:207], v[204:205], 1.0
	s_delay_alu instid0(VALU_DEP_1)
	v_mul_f64 v[204:205], v[221:222], v[206:207]
	v_xor_b32_e32 v207, 0x80000000, v207
.LBB100_637:
	s_and_not1_saveexec_b32 s2, s2
	s_cbranch_execz .LBB100_639
; %bb.638:
	s_delay_alu instid0(VALU_DEP_1) | instskip(SKIP_1) | instid1(VALU_DEP_2)
	v_div_scale_f64 v[221:222], null, v[204:205], v[204:205], v[206:207]
	v_div_scale_f64 v[227:228], vcc_lo, v[206:207], v[204:205], v[206:207]
	v_rcp_f64_e32 v[223:224], v[221:222]
	s_waitcnt_depctr 0xfff
	v_fma_f64 v[225:226], -v[221:222], v[223:224], 1.0
	s_delay_alu instid0(VALU_DEP_1) | instskip(NEXT) | instid1(VALU_DEP_1)
	v_fma_f64 v[223:224], v[223:224], v[225:226], v[223:224]
	v_fma_f64 v[225:226], -v[221:222], v[223:224], 1.0
	s_delay_alu instid0(VALU_DEP_1) | instskip(NEXT) | instid1(VALU_DEP_1)
	v_fma_f64 v[223:224], v[223:224], v[225:226], v[223:224]
	v_mul_f64 v[225:226], v[227:228], v[223:224]
	s_delay_alu instid0(VALU_DEP_1) | instskip(NEXT) | instid1(VALU_DEP_1)
	v_fma_f64 v[221:222], -v[221:222], v[225:226], v[227:228]
	v_div_fmas_f64 v[221:222], v[221:222], v[223:224], v[225:226]
	s_delay_alu instid0(VALU_DEP_1) | instskip(NEXT) | instid1(VALU_DEP_1)
	v_div_fixup_f64 v[221:222], v[221:222], v[204:205], v[206:207]
	v_fma_f64 v[204:205], v[206:207], v[221:222], v[204:205]
	s_delay_alu instid0(VALU_DEP_1) | instskip(NEXT) | instid1(VALU_DEP_1)
	v_div_scale_f64 v[206:207], null, v[204:205], v[204:205], 1.0
	v_rcp_f64_e32 v[223:224], v[206:207]
	s_waitcnt_depctr 0xfff
	v_fma_f64 v[225:226], -v[206:207], v[223:224], 1.0
	s_delay_alu instid0(VALU_DEP_1) | instskip(NEXT) | instid1(VALU_DEP_1)
	v_fma_f64 v[223:224], v[223:224], v[225:226], v[223:224]
	v_fma_f64 v[225:226], -v[206:207], v[223:224], 1.0
	s_delay_alu instid0(VALU_DEP_1) | instskip(SKIP_1) | instid1(VALU_DEP_1)
	v_fma_f64 v[223:224], v[223:224], v[225:226], v[223:224]
	v_div_scale_f64 v[225:226], vcc_lo, 1.0, v[204:205], 1.0
	v_mul_f64 v[227:228], v[225:226], v[223:224]
	s_delay_alu instid0(VALU_DEP_1) | instskip(NEXT) | instid1(VALU_DEP_1)
	v_fma_f64 v[206:207], -v[206:207], v[227:228], v[225:226]
	v_div_fmas_f64 v[206:207], v[206:207], v[223:224], v[227:228]
	s_delay_alu instid0(VALU_DEP_1) | instskip(NEXT) | instid1(VALU_DEP_1)
	v_div_fixup_f64 v[204:205], v[206:207], v[204:205], 1.0
	v_mul_f64 v[206:207], v[221:222], -v[204:205]
.LBB100_639:
	s_or_b32 exec_lo, exec_lo, s2
.LBB100_640:
	s_delay_alu instid0(SALU_CYCLE_1) | instskip(NEXT) | instid1(SALU_CYCLE_1)
	s_or_b32 exec_lo, exec_lo, s3
	s_mov_b32 s2, exec_lo
	v_cmpx_ne_u32_e64 v220, v212
	s_xor_b32 s2, exec_lo, s2
	s_cbranch_execz .LBB100_646
; %bb.641:
	s_mov_b32 s3, exec_lo
	v_cmpx_eq_u32_e32 30, v220
	s_cbranch_execz .LBB100_645
; %bb.642:
	v_cmp_ne_u32_e32 vcc_lo, 30, v212
	s_xor_b32 s6, s4, -1
	s_delay_alu instid0(SALU_CYCLE_1) | instskip(NEXT) | instid1(SALU_CYCLE_1)
	s_and_b32 s7, s6, vcc_lo
	s_and_saveexec_b32 s6, s7
	s_cbranch_execz .LBB100_644
; %bb.643:
	v_ashrrev_i32_e32 v213, 31, v212
	s_delay_alu instid0(VALU_DEP_1) | instskip(NEXT) | instid1(VALU_DEP_1)
	v_lshlrev_b64 v[219:220], 2, v[212:213]
	v_add_co_u32 v219, vcc_lo, v210, v219
	s_delay_alu instid0(VALU_DEP_2)
	v_add_co_ci_u32_e32 v220, vcc_lo, v211, v220, vcc_lo
	s_clause 0x1
	flat_load_b32 v213, v[219:220]
	flat_load_b32 v221, v[210:211] offset:120
	s_waitcnt vmcnt(1) lgkmcnt(1)
	flat_store_b32 v[210:211], v213 offset:120
	s_waitcnt vmcnt(0) lgkmcnt(1)
	flat_store_b32 v[219:220], v221
.LBB100_644:
	s_or_b32 exec_lo, exec_lo, s6
	v_mov_b32_e32 v220, v212
	v_mov_b32_e32 v219, v212
.LBB100_645:
	s_or_b32 exec_lo, exec_lo, s3
.LBB100_646:
	s_and_not1_saveexec_b32 s2, s2
	s_cbranch_execz .LBB100_648
; %bb.647:
	v_mov_b32_e32 v220, 30
	ds_store_2addr_b64 v214, v[76:77], v[78:79] offset0:62 offset1:63
	ds_store_2addr_b64 v214, v[72:73], v[74:75] offset0:64 offset1:65
	;; [unrolled: 1-line block ×20, first 2 shown]
.LBB100_648:
	s_or_b32 exec_lo, exec_lo, s2
	s_delay_alu instid0(SALU_CYCLE_1)
	s_mov_b32 s2, exec_lo
	s_waitcnt lgkmcnt(0)
	s_waitcnt_vscnt null, 0x0
	s_barrier
	buffer_gl0_inv
	v_cmpx_lt_i32_e32 30, v220
	s_cbranch_execz .LBB100_650
; %bb.649:
	v_mul_f64 v[212:213], v[206:207], v[82:83]
	v_mul_f64 v[82:83], v[204:205], v[82:83]
	s_delay_alu instid0(VALU_DEP_2) | instskip(NEXT) | instid1(VALU_DEP_2)
	v_fma_f64 v[212:213], v[204:205], v[80:81], -v[212:213]
	v_fma_f64 v[82:83], v[206:207], v[80:81], v[82:83]
	ds_load_2addr_b64 v[204:207], v214 offset0:62 offset1:63
	s_waitcnt lgkmcnt(0)
	v_mul_f64 v[80:81], v[206:207], v[82:83]
	s_delay_alu instid0(VALU_DEP_1) | instskip(SKIP_1) | instid1(VALU_DEP_2)
	v_fma_f64 v[80:81], v[204:205], v[212:213], -v[80:81]
	v_mul_f64 v[204:205], v[204:205], v[82:83]
	v_add_f64 v[76:77], v[76:77], -v[80:81]
	s_delay_alu instid0(VALU_DEP_2) | instskip(NEXT) | instid1(VALU_DEP_1)
	v_fma_f64 v[204:205], v[206:207], v[212:213], v[204:205]
	v_add_f64 v[78:79], v[78:79], -v[204:205]
	ds_load_2addr_b64 v[204:207], v214 offset0:64 offset1:65
	s_waitcnt lgkmcnt(0)
	v_mul_f64 v[80:81], v[206:207], v[82:83]
	s_delay_alu instid0(VALU_DEP_1) | instskip(SKIP_1) | instid1(VALU_DEP_2)
	v_fma_f64 v[80:81], v[204:205], v[212:213], -v[80:81]
	v_mul_f64 v[204:205], v[204:205], v[82:83]
	v_add_f64 v[72:73], v[72:73], -v[80:81]
	s_delay_alu instid0(VALU_DEP_2) | instskip(NEXT) | instid1(VALU_DEP_1)
	v_fma_f64 v[204:205], v[206:207], v[212:213], v[204:205]
	v_add_f64 v[74:75], v[74:75], -v[204:205]
	;; [unrolled: 10-line block ×19, first 2 shown]
	ds_load_2addr_b64 v[204:207], v214 offset0:100 offset1:101
	s_waitcnt lgkmcnt(0)
	v_mul_f64 v[80:81], v[206:207], v[82:83]
	s_delay_alu instid0(VALU_DEP_1) | instskip(SKIP_1) | instid1(VALU_DEP_2)
	v_fma_f64 v[80:81], v[204:205], v[212:213], -v[80:81]
	v_mul_f64 v[204:205], v[204:205], v[82:83]
	v_add_f64 v[0:1], v[0:1], -v[80:81]
	s_delay_alu instid0(VALU_DEP_2) | instskip(SKIP_1) | instid1(VALU_DEP_2)
	v_fma_f64 v[204:205], v[206:207], v[212:213], v[204:205]
	v_dual_mov_b32 v80, v212 :: v_dual_mov_b32 v81, v213
	v_add_f64 v[2:3], v[2:3], -v[204:205]
.LBB100_650:
	s_or_b32 exec_lo, exec_lo, s2
	v_lshl_add_u32 v204, v220, 4, v214
	s_barrier
	buffer_gl0_inv
	v_mov_b32_e32 v212, 31
	ds_store_2addr_b64 v204, v[76:77], v[78:79] offset1:1
	s_waitcnt lgkmcnt(0)
	s_barrier
	buffer_gl0_inv
	ds_load_2addr_b64 v[204:207], v214 offset0:62 offset1:63
	s_cmp_lt_i32 s5, 33
	s_cbranch_scc1 .LBB100_653
; %bb.651:
	v_add3_u32 v213, v218, 0, 0x200
	v_mov_b32_e32 v212, 31
	s_mov_b32 s6, 32
	s_set_inst_prefetch_distance 0x1
	.p2align	6
.LBB100_652:                            ; =>This Inner Loop Header: Depth=1
	ds_load_2addr_b64 v[221:224], v213 offset1:1
	s_waitcnt lgkmcnt(1)
	v_cmp_gt_f64_e32 vcc_lo, 0, v[204:205]
	v_xor_b32_e32 v225, 0x80000000, v205
	v_cmp_gt_f64_e64 s2, 0, v[206:207]
	v_xor_b32_e32 v227, 0x80000000, v207
	v_add_nc_u32_e32 v213, 16, v213
	s_waitcnt lgkmcnt(0)
	v_cmp_gt_f64_e64 s3, 0, v[221:222]
	v_mov_b32_e32 v229, v221
	v_dual_mov_b32 v231, v223 :: v_dual_cndmask_b32 v226, v205, v225
	v_xor_b32_e32 v225, 0x80000000, v222
	v_cndmask_b32_e64 v228, v207, v227, s2
	v_xor_b32_e32 v227, 0x80000000, v224
	s_delay_alu instid0(VALU_DEP_3) | instskip(SKIP_2) | instid1(VALU_DEP_2)
	v_cndmask_b32_e64 v230, v222, v225, s3
	v_cmp_gt_f64_e64 s3, 0, v[223:224]
	v_cndmask_b32_e32 v225, v204, v204, vcc_lo
	v_cndmask_b32_e64 v232, v224, v227, s3
	v_cndmask_b32_e64 v227, v206, v206, s2
	s_delay_alu instid0(VALU_DEP_2) | instskip(NEXT) | instid1(VALU_DEP_2)
	v_add_f64 v[229:230], v[229:230], v[231:232]
	v_add_f64 v[225:226], v[225:226], v[227:228]
	s_delay_alu instid0(VALU_DEP_1) | instskip(SKIP_4) | instid1(SALU_CYCLE_1)
	v_cmp_lt_f64_e32 vcc_lo, v[225:226], v[229:230]
	v_dual_cndmask_b32 v206, v206, v223 :: v_dual_cndmask_b32 v205, v205, v222
	v_dual_cndmask_b32 v204, v204, v221 :: v_dual_cndmask_b32 v207, v207, v224
	v_cndmask_b32_e64 v212, v212, s6, vcc_lo
	s_add_i32 s6, s6, 1
	s_cmp_lg_u32 s5, s6
	s_cbranch_scc1 .LBB100_652
.LBB100_653:
	s_set_inst_prefetch_distance 0x2
	s_waitcnt lgkmcnt(0)
	v_cmp_eq_f64_e32 vcc_lo, 0, v[204:205]
	v_cmp_eq_f64_e64 s2, 0, v[206:207]
	s_delay_alu instid0(VALU_DEP_1) | instskip(NEXT) | instid1(SALU_CYCLE_1)
	s_and_b32 s2, vcc_lo, s2
	s_and_saveexec_b32 s3, s2
	s_delay_alu instid0(SALU_CYCLE_1)
	s_xor_b32 s2, exec_lo, s3
; %bb.654:
	v_cmp_ne_u32_e32 vcc_lo, 0, v217
	v_cndmask_b32_e32 v217, 32, v217, vcc_lo
; %bb.655:
	s_and_not1_saveexec_b32 s3, s2
	s_cbranch_execz .LBB100_661
; %bb.656:
	v_cmp_gt_f64_e32 vcc_lo, 0, v[204:205]
	v_cmp_gt_f64_e64 s2, 0, v[206:207]
	v_xor_b32_e32 v213, 0x80000000, v205
	v_xor_b32_e32 v221, 0x80000000, v207
	s_delay_alu instid0(VALU_DEP_2) | instskip(NEXT) | instid1(VALU_DEP_2)
	v_cndmask_b32_e32 v222, v205, v213, vcc_lo
	v_cndmask_b32_e64 v224, v207, v221, s2
	v_cndmask_b32_e32 v221, v204, v204, vcc_lo
	v_cndmask_b32_e64 v223, v206, v206, s2
	s_mov_b32 s2, exec_lo
	s_delay_alu instid0(VALU_DEP_1)
	v_cmpx_ngt_f64_e32 v[221:222], v[223:224]
	s_xor_b32 s2, exec_lo, s2
	s_cbranch_execz .LBB100_658
; %bb.657:
	v_div_scale_f64 v[221:222], null, v[206:207], v[206:207], v[204:205]
	v_div_scale_f64 v[227:228], vcc_lo, v[204:205], v[206:207], v[204:205]
	s_delay_alu instid0(VALU_DEP_2) | instskip(SKIP_2) | instid1(VALU_DEP_1)
	v_rcp_f64_e32 v[223:224], v[221:222]
	s_waitcnt_depctr 0xfff
	v_fma_f64 v[225:226], -v[221:222], v[223:224], 1.0
	v_fma_f64 v[223:224], v[223:224], v[225:226], v[223:224]
	s_delay_alu instid0(VALU_DEP_1) | instskip(NEXT) | instid1(VALU_DEP_1)
	v_fma_f64 v[225:226], -v[221:222], v[223:224], 1.0
	v_fma_f64 v[223:224], v[223:224], v[225:226], v[223:224]
	s_delay_alu instid0(VALU_DEP_1) | instskip(NEXT) | instid1(VALU_DEP_1)
	v_mul_f64 v[225:226], v[227:228], v[223:224]
	v_fma_f64 v[221:222], -v[221:222], v[225:226], v[227:228]
	s_delay_alu instid0(VALU_DEP_1) | instskip(NEXT) | instid1(VALU_DEP_1)
	v_div_fmas_f64 v[221:222], v[221:222], v[223:224], v[225:226]
	v_div_fixup_f64 v[221:222], v[221:222], v[206:207], v[204:205]
	s_delay_alu instid0(VALU_DEP_1) | instskip(NEXT) | instid1(VALU_DEP_1)
	v_fma_f64 v[204:205], v[204:205], v[221:222], v[206:207]
	v_div_scale_f64 v[206:207], null, v[204:205], v[204:205], 1.0
	s_delay_alu instid0(VALU_DEP_1) | instskip(SKIP_2) | instid1(VALU_DEP_1)
	v_rcp_f64_e32 v[223:224], v[206:207]
	s_waitcnt_depctr 0xfff
	v_fma_f64 v[225:226], -v[206:207], v[223:224], 1.0
	v_fma_f64 v[223:224], v[223:224], v[225:226], v[223:224]
	s_delay_alu instid0(VALU_DEP_1) | instskip(NEXT) | instid1(VALU_DEP_1)
	v_fma_f64 v[225:226], -v[206:207], v[223:224], 1.0
	v_fma_f64 v[223:224], v[223:224], v[225:226], v[223:224]
	v_div_scale_f64 v[225:226], vcc_lo, 1.0, v[204:205], 1.0
	s_delay_alu instid0(VALU_DEP_1) | instskip(NEXT) | instid1(VALU_DEP_1)
	v_mul_f64 v[227:228], v[225:226], v[223:224]
	v_fma_f64 v[206:207], -v[206:207], v[227:228], v[225:226]
	s_delay_alu instid0(VALU_DEP_1) | instskip(NEXT) | instid1(VALU_DEP_1)
	v_div_fmas_f64 v[206:207], v[206:207], v[223:224], v[227:228]
	v_div_fixup_f64 v[206:207], v[206:207], v[204:205], 1.0
	s_delay_alu instid0(VALU_DEP_1)
	v_mul_f64 v[204:205], v[221:222], v[206:207]
	v_xor_b32_e32 v207, 0x80000000, v207
.LBB100_658:
	s_and_not1_saveexec_b32 s2, s2
	s_cbranch_execz .LBB100_660
; %bb.659:
	s_delay_alu instid0(VALU_DEP_1) | instskip(SKIP_1) | instid1(VALU_DEP_2)
	v_div_scale_f64 v[221:222], null, v[204:205], v[204:205], v[206:207]
	v_div_scale_f64 v[227:228], vcc_lo, v[206:207], v[204:205], v[206:207]
	v_rcp_f64_e32 v[223:224], v[221:222]
	s_waitcnt_depctr 0xfff
	v_fma_f64 v[225:226], -v[221:222], v[223:224], 1.0
	s_delay_alu instid0(VALU_DEP_1) | instskip(NEXT) | instid1(VALU_DEP_1)
	v_fma_f64 v[223:224], v[223:224], v[225:226], v[223:224]
	v_fma_f64 v[225:226], -v[221:222], v[223:224], 1.0
	s_delay_alu instid0(VALU_DEP_1) | instskip(NEXT) | instid1(VALU_DEP_1)
	v_fma_f64 v[223:224], v[223:224], v[225:226], v[223:224]
	v_mul_f64 v[225:226], v[227:228], v[223:224]
	s_delay_alu instid0(VALU_DEP_1) | instskip(NEXT) | instid1(VALU_DEP_1)
	v_fma_f64 v[221:222], -v[221:222], v[225:226], v[227:228]
	v_div_fmas_f64 v[221:222], v[221:222], v[223:224], v[225:226]
	s_delay_alu instid0(VALU_DEP_1) | instskip(NEXT) | instid1(VALU_DEP_1)
	v_div_fixup_f64 v[221:222], v[221:222], v[204:205], v[206:207]
	v_fma_f64 v[204:205], v[206:207], v[221:222], v[204:205]
	s_delay_alu instid0(VALU_DEP_1) | instskip(NEXT) | instid1(VALU_DEP_1)
	v_div_scale_f64 v[206:207], null, v[204:205], v[204:205], 1.0
	v_rcp_f64_e32 v[223:224], v[206:207]
	s_waitcnt_depctr 0xfff
	v_fma_f64 v[225:226], -v[206:207], v[223:224], 1.0
	s_delay_alu instid0(VALU_DEP_1) | instskip(NEXT) | instid1(VALU_DEP_1)
	v_fma_f64 v[223:224], v[223:224], v[225:226], v[223:224]
	v_fma_f64 v[225:226], -v[206:207], v[223:224], 1.0
	s_delay_alu instid0(VALU_DEP_1) | instskip(SKIP_1) | instid1(VALU_DEP_1)
	v_fma_f64 v[223:224], v[223:224], v[225:226], v[223:224]
	v_div_scale_f64 v[225:226], vcc_lo, 1.0, v[204:205], 1.0
	v_mul_f64 v[227:228], v[225:226], v[223:224]
	s_delay_alu instid0(VALU_DEP_1) | instskip(NEXT) | instid1(VALU_DEP_1)
	v_fma_f64 v[206:207], -v[206:207], v[227:228], v[225:226]
	v_div_fmas_f64 v[206:207], v[206:207], v[223:224], v[227:228]
	s_delay_alu instid0(VALU_DEP_1) | instskip(NEXT) | instid1(VALU_DEP_1)
	v_div_fixup_f64 v[204:205], v[206:207], v[204:205], 1.0
	v_mul_f64 v[206:207], v[221:222], -v[204:205]
.LBB100_660:
	s_or_b32 exec_lo, exec_lo, s2
.LBB100_661:
	s_delay_alu instid0(SALU_CYCLE_1) | instskip(NEXT) | instid1(SALU_CYCLE_1)
	s_or_b32 exec_lo, exec_lo, s3
	s_mov_b32 s2, exec_lo
	v_cmpx_ne_u32_e64 v220, v212
	s_xor_b32 s2, exec_lo, s2
	s_cbranch_execz .LBB100_667
; %bb.662:
	s_mov_b32 s3, exec_lo
	v_cmpx_eq_u32_e32 31, v220
	s_cbranch_execz .LBB100_666
; %bb.663:
	v_cmp_ne_u32_e32 vcc_lo, 31, v212
	s_xor_b32 s6, s4, -1
	s_delay_alu instid0(SALU_CYCLE_1) | instskip(NEXT) | instid1(SALU_CYCLE_1)
	s_and_b32 s7, s6, vcc_lo
	s_and_saveexec_b32 s6, s7
	s_cbranch_execz .LBB100_665
; %bb.664:
	v_ashrrev_i32_e32 v213, 31, v212
	s_delay_alu instid0(VALU_DEP_1) | instskip(NEXT) | instid1(VALU_DEP_1)
	v_lshlrev_b64 v[219:220], 2, v[212:213]
	v_add_co_u32 v219, vcc_lo, v210, v219
	s_delay_alu instid0(VALU_DEP_2)
	v_add_co_ci_u32_e32 v220, vcc_lo, v211, v220, vcc_lo
	s_clause 0x1
	flat_load_b32 v213, v[219:220]
	flat_load_b32 v221, v[210:211] offset:124
	s_waitcnt vmcnt(1) lgkmcnt(1)
	flat_store_b32 v[210:211], v213 offset:124
	s_waitcnt vmcnt(0) lgkmcnt(1)
	flat_store_b32 v[219:220], v221
.LBB100_665:
	s_or_b32 exec_lo, exec_lo, s6
	v_mov_b32_e32 v220, v212
	v_mov_b32_e32 v219, v212
.LBB100_666:
	s_or_b32 exec_lo, exec_lo, s3
.LBB100_667:
	s_and_not1_saveexec_b32 s2, s2
	s_cbranch_execz .LBB100_669
; %bb.668:
	v_mov_b32_e32 v220, 31
	ds_store_2addr_b64 v214, v[72:73], v[74:75] offset0:64 offset1:65
	ds_store_2addr_b64 v214, v[68:69], v[70:71] offset0:66 offset1:67
	;; [unrolled: 1-line block ×19, first 2 shown]
.LBB100_669:
	s_or_b32 exec_lo, exec_lo, s2
	s_delay_alu instid0(SALU_CYCLE_1)
	s_mov_b32 s2, exec_lo
	s_waitcnt lgkmcnt(0)
	s_waitcnt_vscnt null, 0x0
	s_barrier
	buffer_gl0_inv
	v_cmpx_lt_i32_e32 31, v220
	s_cbranch_execz .LBB100_671
; %bb.670:
	v_mul_f64 v[212:213], v[206:207], v[78:79]
	v_mul_f64 v[78:79], v[204:205], v[78:79]
	s_delay_alu instid0(VALU_DEP_2) | instskip(NEXT) | instid1(VALU_DEP_2)
	v_fma_f64 v[212:213], v[204:205], v[76:77], -v[212:213]
	v_fma_f64 v[78:79], v[206:207], v[76:77], v[78:79]
	ds_load_2addr_b64 v[204:207], v214 offset0:64 offset1:65
	s_waitcnt lgkmcnt(0)
	v_mul_f64 v[76:77], v[206:207], v[78:79]
	s_delay_alu instid0(VALU_DEP_1) | instskip(SKIP_1) | instid1(VALU_DEP_2)
	v_fma_f64 v[76:77], v[204:205], v[212:213], -v[76:77]
	v_mul_f64 v[204:205], v[204:205], v[78:79]
	v_add_f64 v[72:73], v[72:73], -v[76:77]
	s_delay_alu instid0(VALU_DEP_2) | instskip(NEXT) | instid1(VALU_DEP_1)
	v_fma_f64 v[204:205], v[206:207], v[212:213], v[204:205]
	v_add_f64 v[74:75], v[74:75], -v[204:205]
	ds_load_2addr_b64 v[204:207], v214 offset0:66 offset1:67
	s_waitcnt lgkmcnt(0)
	v_mul_f64 v[76:77], v[206:207], v[78:79]
	s_delay_alu instid0(VALU_DEP_1) | instskip(SKIP_1) | instid1(VALU_DEP_2)
	v_fma_f64 v[76:77], v[204:205], v[212:213], -v[76:77]
	v_mul_f64 v[204:205], v[204:205], v[78:79]
	v_add_f64 v[68:69], v[68:69], -v[76:77]
	s_delay_alu instid0(VALU_DEP_2) | instskip(NEXT) | instid1(VALU_DEP_1)
	v_fma_f64 v[204:205], v[206:207], v[212:213], v[204:205]
	v_add_f64 v[70:71], v[70:71], -v[204:205]
	;; [unrolled: 10-line block ×18, first 2 shown]
	ds_load_2addr_b64 v[204:207], v214 offset0:100 offset1:101
	s_waitcnt lgkmcnt(0)
	v_mul_f64 v[76:77], v[206:207], v[78:79]
	s_delay_alu instid0(VALU_DEP_1) | instskip(SKIP_1) | instid1(VALU_DEP_2)
	v_fma_f64 v[76:77], v[204:205], v[212:213], -v[76:77]
	v_mul_f64 v[204:205], v[204:205], v[78:79]
	v_add_f64 v[0:1], v[0:1], -v[76:77]
	s_delay_alu instid0(VALU_DEP_2) | instskip(SKIP_1) | instid1(VALU_DEP_2)
	v_fma_f64 v[204:205], v[206:207], v[212:213], v[204:205]
	v_dual_mov_b32 v76, v212 :: v_dual_mov_b32 v77, v213
	v_add_f64 v[2:3], v[2:3], -v[204:205]
.LBB100_671:
	s_or_b32 exec_lo, exec_lo, s2
	v_lshl_add_u32 v204, v220, 4, v214
	s_barrier
	buffer_gl0_inv
	v_mov_b32_e32 v212, 32
	ds_store_2addr_b64 v204, v[72:73], v[74:75] offset1:1
	s_waitcnt lgkmcnt(0)
	s_barrier
	buffer_gl0_inv
	ds_load_2addr_b64 v[204:207], v214 offset0:64 offset1:65
	s_cmp_lt_i32 s5, 34
	s_cbranch_scc1 .LBB100_674
; %bb.672:
	v_add3_u32 v213, v218, 0, 0x210
	v_mov_b32_e32 v212, 32
	s_mov_b32 s6, 33
	s_set_inst_prefetch_distance 0x1
	.p2align	6
.LBB100_673:                            ; =>This Inner Loop Header: Depth=1
	ds_load_2addr_b64 v[221:224], v213 offset1:1
	s_waitcnt lgkmcnt(1)
	v_cmp_gt_f64_e32 vcc_lo, 0, v[204:205]
	v_xor_b32_e32 v225, 0x80000000, v205
	v_cmp_gt_f64_e64 s2, 0, v[206:207]
	v_xor_b32_e32 v227, 0x80000000, v207
	v_add_nc_u32_e32 v213, 16, v213
	s_waitcnt lgkmcnt(0)
	v_cmp_gt_f64_e64 s3, 0, v[221:222]
	v_mov_b32_e32 v229, v221
	v_dual_mov_b32 v231, v223 :: v_dual_cndmask_b32 v226, v205, v225
	v_xor_b32_e32 v225, 0x80000000, v222
	v_cndmask_b32_e64 v228, v207, v227, s2
	v_xor_b32_e32 v227, 0x80000000, v224
	s_delay_alu instid0(VALU_DEP_3) | instskip(SKIP_2) | instid1(VALU_DEP_2)
	v_cndmask_b32_e64 v230, v222, v225, s3
	v_cmp_gt_f64_e64 s3, 0, v[223:224]
	v_cndmask_b32_e32 v225, v204, v204, vcc_lo
	v_cndmask_b32_e64 v232, v224, v227, s3
	v_cndmask_b32_e64 v227, v206, v206, s2
	s_delay_alu instid0(VALU_DEP_2) | instskip(NEXT) | instid1(VALU_DEP_2)
	v_add_f64 v[229:230], v[229:230], v[231:232]
	v_add_f64 v[225:226], v[225:226], v[227:228]
	s_delay_alu instid0(VALU_DEP_1) | instskip(SKIP_4) | instid1(SALU_CYCLE_1)
	v_cmp_lt_f64_e32 vcc_lo, v[225:226], v[229:230]
	v_dual_cndmask_b32 v206, v206, v223 :: v_dual_cndmask_b32 v205, v205, v222
	v_dual_cndmask_b32 v204, v204, v221 :: v_dual_cndmask_b32 v207, v207, v224
	v_cndmask_b32_e64 v212, v212, s6, vcc_lo
	s_add_i32 s6, s6, 1
	s_cmp_lg_u32 s5, s6
	s_cbranch_scc1 .LBB100_673
.LBB100_674:
	s_set_inst_prefetch_distance 0x2
	s_waitcnt lgkmcnt(0)
	v_cmp_eq_f64_e32 vcc_lo, 0, v[204:205]
	v_cmp_eq_f64_e64 s2, 0, v[206:207]
	s_delay_alu instid0(VALU_DEP_1) | instskip(NEXT) | instid1(SALU_CYCLE_1)
	s_and_b32 s2, vcc_lo, s2
	s_and_saveexec_b32 s3, s2
	s_delay_alu instid0(SALU_CYCLE_1)
	s_xor_b32 s2, exec_lo, s3
; %bb.675:
	v_cmp_ne_u32_e32 vcc_lo, 0, v217
	v_cndmask_b32_e32 v217, 33, v217, vcc_lo
; %bb.676:
	s_and_not1_saveexec_b32 s3, s2
	s_cbranch_execz .LBB100_682
; %bb.677:
	v_cmp_gt_f64_e32 vcc_lo, 0, v[204:205]
	v_cmp_gt_f64_e64 s2, 0, v[206:207]
	v_xor_b32_e32 v213, 0x80000000, v205
	v_xor_b32_e32 v221, 0x80000000, v207
	s_delay_alu instid0(VALU_DEP_2) | instskip(NEXT) | instid1(VALU_DEP_2)
	v_cndmask_b32_e32 v222, v205, v213, vcc_lo
	v_cndmask_b32_e64 v224, v207, v221, s2
	v_cndmask_b32_e32 v221, v204, v204, vcc_lo
	v_cndmask_b32_e64 v223, v206, v206, s2
	s_mov_b32 s2, exec_lo
	s_delay_alu instid0(VALU_DEP_1)
	v_cmpx_ngt_f64_e32 v[221:222], v[223:224]
	s_xor_b32 s2, exec_lo, s2
	s_cbranch_execz .LBB100_679
; %bb.678:
	v_div_scale_f64 v[221:222], null, v[206:207], v[206:207], v[204:205]
	v_div_scale_f64 v[227:228], vcc_lo, v[204:205], v[206:207], v[204:205]
	s_delay_alu instid0(VALU_DEP_2) | instskip(SKIP_2) | instid1(VALU_DEP_1)
	v_rcp_f64_e32 v[223:224], v[221:222]
	s_waitcnt_depctr 0xfff
	v_fma_f64 v[225:226], -v[221:222], v[223:224], 1.0
	v_fma_f64 v[223:224], v[223:224], v[225:226], v[223:224]
	s_delay_alu instid0(VALU_DEP_1) | instskip(NEXT) | instid1(VALU_DEP_1)
	v_fma_f64 v[225:226], -v[221:222], v[223:224], 1.0
	v_fma_f64 v[223:224], v[223:224], v[225:226], v[223:224]
	s_delay_alu instid0(VALU_DEP_1) | instskip(NEXT) | instid1(VALU_DEP_1)
	v_mul_f64 v[225:226], v[227:228], v[223:224]
	v_fma_f64 v[221:222], -v[221:222], v[225:226], v[227:228]
	s_delay_alu instid0(VALU_DEP_1) | instskip(NEXT) | instid1(VALU_DEP_1)
	v_div_fmas_f64 v[221:222], v[221:222], v[223:224], v[225:226]
	v_div_fixup_f64 v[221:222], v[221:222], v[206:207], v[204:205]
	s_delay_alu instid0(VALU_DEP_1) | instskip(NEXT) | instid1(VALU_DEP_1)
	v_fma_f64 v[204:205], v[204:205], v[221:222], v[206:207]
	v_div_scale_f64 v[206:207], null, v[204:205], v[204:205], 1.0
	s_delay_alu instid0(VALU_DEP_1) | instskip(SKIP_2) | instid1(VALU_DEP_1)
	v_rcp_f64_e32 v[223:224], v[206:207]
	s_waitcnt_depctr 0xfff
	v_fma_f64 v[225:226], -v[206:207], v[223:224], 1.0
	v_fma_f64 v[223:224], v[223:224], v[225:226], v[223:224]
	s_delay_alu instid0(VALU_DEP_1) | instskip(NEXT) | instid1(VALU_DEP_1)
	v_fma_f64 v[225:226], -v[206:207], v[223:224], 1.0
	v_fma_f64 v[223:224], v[223:224], v[225:226], v[223:224]
	v_div_scale_f64 v[225:226], vcc_lo, 1.0, v[204:205], 1.0
	s_delay_alu instid0(VALU_DEP_1) | instskip(NEXT) | instid1(VALU_DEP_1)
	v_mul_f64 v[227:228], v[225:226], v[223:224]
	v_fma_f64 v[206:207], -v[206:207], v[227:228], v[225:226]
	s_delay_alu instid0(VALU_DEP_1) | instskip(NEXT) | instid1(VALU_DEP_1)
	v_div_fmas_f64 v[206:207], v[206:207], v[223:224], v[227:228]
	v_div_fixup_f64 v[206:207], v[206:207], v[204:205], 1.0
	s_delay_alu instid0(VALU_DEP_1)
	v_mul_f64 v[204:205], v[221:222], v[206:207]
	v_xor_b32_e32 v207, 0x80000000, v207
.LBB100_679:
	s_and_not1_saveexec_b32 s2, s2
	s_cbranch_execz .LBB100_681
; %bb.680:
	s_delay_alu instid0(VALU_DEP_1) | instskip(SKIP_1) | instid1(VALU_DEP_2)
	v_div_scale_f64 v[221:222], null, v[204:205], v[204:205], v[206:207]
	v_div_scale_f64 v[227:228], vcc_lo, v[206:207], v[204:205], v[206:207]
	v_rcp_f64_e32 v[223:224], v[221:222]
	s_waitcnt_depctr 0xfff
	v_fma_f64 v[225:226], -v[221:222], v[223:224], 1.0
	s_delay_alu instid0(VALU_DEP_1) | instskip(NEXT) | instid1(VALU_DEP_1)
	v_fma_f64 v[223:224], v[223:224], v[225:226], v[223:224]
	v_fma_f64 v[225:226], -v[221:222], v[223:224], 1.0
	s_delay_alu instid0(VALU_DEP_1) | instskip(NEXT) | instid1(VALU_DEP_1)
	v_fma_f64 v[223:224], v[223:224], v[225:226], v[223:224]
	v_mul_f64 v[225:226], v[227:228], v[223:224]
	s_delay_alu instid0(VALU_DEP_1) | instskip(NEXT) | instid1(VALU_DEP_1)
	v_fma_f64 v[221:222], -v[221:222], v[225:226], v[227:228]
	v_div_fmas_f64 v[221:222], v[221:222], v[223:224], v[225:226]
	s_delay_alu instid0(VALU_DEP_1) | instskip(NEXT) | instid1(VALU_DEP_1)
	v_div_fixup_f64 v[221:222], v[221:222], v[204:205], v[206:207]
	v_fma_f64 v[204:205], v[206:207], v[221:222], v[204:205]
	s_delay_alu instid0(VALU_DEP_1) | instskip(NEXT) | instid1(VALU_DEP_1)
	v_div_scale_f64 v[206:207], null, v[204:205], v[204:205], 1.0
	v_rcp_f64_e32 v[223:224], v[206:207]
	s_waitcnt_depctr 0xfff
	v_fma_f64 v[225:226], -v[206:207], v[223:224], 1.0
	s_delay_alu instid0(VALU_DEP_1) | instskip(NEXT) | instid1(VALU_DEP_1)
	v_fma_f64 v[223:224], v[223:224], v[225:226], v[223:224]
	v_fma_f64 v[225:226], -v[206:207], v[223:224], 1.0
	s_delay_alu instid0(VALU_DEP_1) | instskip(SKIP_1) | instid1(VALU_DEP_1)
	v_fma_f64 v[223:224], v[223:224], v[225:226], v[223:224]
	v_div_scale_f64 v[225:226], vcc_lo, 1.0, v[204:205], 1.0
	v_mul_f64 v[227:228], v[225:226], v[223:224]
	s_delay_alu instid0(VALU_DEP_1) | instskip(NEXT) | instid1(VALU_DEP_1)
	v_fma_f64 v[206:207], -v[206:207], v[227:228], v[225:226]
	v_div_fmas_f64 v[206:207], v[206:207], v[223:224], v[227:228]
	s_delay_alu instid0(VALU_DEP_1) | instskip(NEXT) | instid1(VALU_DEP_1)
	v_div_fixup_f64 v[204:205], v[206:207], v[204:205], 1.0
	v_mul_f64 v[206:207], v[221:222], -v[204:205]
.LBB100_681:
	s_or_b32 exec_lo, exec_lo, s2
.LBB100_682:
	s_delay_alu instid0(SALU_CYCLE_1) | instskip(NEXT) | instid1(SALU_CYCLE_1)
	s_or_b32 exec_lo, exec_lo, s3
	s_mov_b32 s2, exec_lo
	v_cmpx_ne_u32_e64 v220, v212
	s_xor_b32 s2, exec_lo, s2
	s_cbranch_execz .LBB100_688
; %bb.683:
	s_mov_b32 s3, exec_lo
	v_cmpx_eq_u32_e32 32, v220
	s_cbranch_execz .LBB100_687
; %bb.684:
	v_cmp_ne_u32_e32 vcc_lo, 32, v212
	s_xor_b32 s6, s4, -1
	s_delay_alu instid0(SALU_CYCLE_1) | instskip(NEXT) | instid1(SALU_CYCLE_1)
	s_and_b32 s7, s6, vcc_lo
	s_and_saveexec_b32 s6, s7
	s_cbranch_execz .LBB100_686
; %bb.685:
	v_ashrrev_i32_e32 v213, 31, v212
	s_delay_alu instid0(VALU_DEP_1) | instskip(NEXT) | instid1(VALU_DEP_1)
	v_lshlrev_b64 v[219:220], 2, v[212:213]
	v_add_co_u32 v219, vcc_lo, v210, v219
	s_delay_alu instid0(VALU_DEP_2)
	v_add_co_ci_u32_e32 v220, vcc_lo, v211, v220, vcc_lo
	s_clause 0x1
	flat_load_b32 v213, v[219:220]
	flat_load_b32 v221, v[210:211] offset:128
	s_waitcnt vmcnt(1) lgkmcnt(1)
	flat_store_b32 v[210:211], v213 offset:128
	s_waitcnt vmcnt(0) lgkmcnt(1)
	flat_store_b32 v[219:220], v221
.LBB100_686:
	s_or_b32 exec_lo, exec_lo, s6
	v_mov_b32_e32 v220, v212
	v_mov_b32_e32 v219, v212
.LBB100_687:
	s_or_b32 exec_lo, exec_lo, s3
.LBB100_688:
	s_and_not1_saveexec_b32 s2, s2
	s_cbranch_execz .LBB100_690
; %bb.689:
	v_mov_b32_e32 v220, 32
	ds_store_2addr_b64 v214, v[68:69], v[70:71] offset0:66 offset1:67
	ds_store_2addr_b64 v214, v[64:65], v[66:67] offset0:68 offset1:69
	;; [unrolled: 1-line block ×18, first 2 shown]
.LBB100_690:
	s_or_b32 exec_lo, exec_lo, s2
	s_delay_alu instid0(SALU_CYCLE_1)
	s_mov_b32 s2, exec_lo
	s_waitcnt lgkmcnt(0)
	s_waitcnt_vscnt null, 0x0
	s_barrier
	buffer_gl0_inv
	v_cmpx_lt_i32_e32 32, v220
	s_cbranch_execz .LBB100_692
; %bb.691:
	v_mul_f64 v[212:213], v[206:207], v[74:75]
	v_mul_f64 v[74:75], v[204:205], v[74:75]
	s_delay_alu instid0(VALU_DEP_2) | instskip(NEXT) | instid1(VALU_DEP_2)
	v_fma_f64 v[212:213], v[204:205], v[72:73], -v[212:213]
	v_fma_f64 v[74:75], v[206:207], v[72:73], v[74:75]
	ds_load_2addr_b64 v[204:207], v214 offset0:66 offset1:67
	s_waitcnt lgkmcnt(0)
	v_mul_f64 v[72:73], v[206:207], v[74:75]
	s_delay_alu instid0(VALU_DEP_1) | instskip(SKIP_1) | instid1(VALU_DEP_2)
	v_fma_f64 v[72:73], v[204:205], v[212:213], -v[72:73]
	v_mul_f64 v[204:205], v[204:205], v[74:75]
	v_add_f64 v[68:69], v[68:69], -v[72:73]
	s_delay_alu instid0(VALU_DEP_2) | instskip(NEXT) | instid1(VALU_DEP_1)
	v_fma_f64 v[204:205], v[206:207], v[212:213], v[204:205]
	v_add_f64 v[70:71], v[70:71], -v[204:205]
	ds_load_2addr_b64 v[204:207], v214 offset0:68 offset1:69
	s_waitcnt lgkmcnt(0)
	v_mul_f64 v[72:73], v[206:207], v[74:75]
	s_delay_alu instid0(VALU_DEP_1) | instskip(SKIP_1) | instid1(VALU_DEP_2)
	v_fma_f64 v[72:73], v[204:205], v[212:213], -v[72:73]
	v_mul_f64 v[204:205], v[204:205], v[74:75]
	v_add_f64 v[64:65], v[64:65], -v[72:73]
	s_delay_alu instid0(VALU_DEP_2) | instskip(NEXT) | instid1(VALU_DEP_1)
	v_fma_f64 v[204:205], v[206:207], v[212:213], v[204:205]
	v_add_f64 v[66:67], v[66:67], -v[204:205]
	;; [unrolled: 10-line block ×17, first 2 shown]
	ds_load_2addr_b64 v[204:207], v214 offset0:100 offset1:101
	s_waitcnt lgkmcnt(0)
	v_mul_f64 v[72:73], v[206:207], v[74:75]
	s_delay_alu instid0(VALU_DEP_1) | instskip(SKIP_1) | instid1(VALU_DEP_2)
	v_fma_f64 v[72:73], v[204:205], v[212:213], -v[72:73]
	v_mul_f64 v[204:205], v[204:205], v[74:75]
	v_add_f64 v[0:1], v[0:1], -v[72:73]
	s_delay_alu instid0(VALU_DEP_2) | instskip(SKIP_1) | instid1(VALU_DEP_2)
	v_fma_f64 v[204:205], v[206:207], v[212:213], v[204:205]
	v_dual_mov_b32 v72, v212 :: v_dual_mov_b32 v73, v213
	v_add_f64 v[2:3], v[2:3], -v[204:205]
.LBB100_692:
	s_or_b32 exec_lo, exec_lo, s2
	v_lshl_add_u32 v204, v220, 4, v214
	s_barrier
	buffer_gl0_inv
	v_mov_b32_e32 v212, 33
	ds_store_2addr_b64 v204, v[68:69], v[70:71] offset1:1
	s_waitcnt lgkmcnt(0)
	s_barrier
	buffer_gl0_inv
	ds_load_2addr_b64 v[204:207], v214 offset0:66 offset1:67
	s_cmp_lt_i32 s5, 35
	s_cbranch_scc1 .LBB100_695
; %bb.693:
	v_add3_u32 v213, v218, 0, 0x220
	v_mov_b32_e32 v212, 33
	s_mov_b32 s6, 34
	s_set_inst_prefetch_distance 0x1
	.p2align	6
.LBB100_694:                            ; =>This Inner Loop Header: Depth=1
	ds_load_2addr_b64 v[221:224], v213 offset1:1
	s_waitcnt lgkmcnt(1)
	v_cmp_gt_f64_e32 vcc_lo, 0, v[204:205]
	v_xor_b32_e32 v225, 0x80000000, v205
	v_cmp_gt_f64_e64 s2, 0, v[206:207]
	v_xor_b32_e32 v227, 0x80000000, v207
	v_add_nc_u32_e32 v213, 16, v213
	s_waitcnt lgkmcnt(0)
	v_cmp_gt_f64_e64 s3, 0, v[221:222]
	v_mov_b32_e32 v229, v221
	v_dual_mov_b32 v231, v223 :: v_dual_cndmask_b32 v226, v205, v225
	v_xor_b32_e32 v225, 0x80000000, v222
	v_cndmask_b32_e64 v228, v207, v227, s2
	v_xor_b32_e32 v227, 0x80000000, v224
	s_delay_alu instid0(VALU_DEP_3) | instskip(SKIP_2) | instid1(VALU_DEP_2)
	v_cndmask_b32_e64 v230, v222, v225, s3
	v_cmp_gt_f64_e64 s3, 0, v[223:224]
	v_cndmask_b32_e32 v225, v204, v204, vcc_lo
	v_cndmask_b32_e64 v232, v224, v227, s3
	v_cndmask_b32_e64 v227, v206, v206, s2
	s_delay_alu instid0(VALU_DEP_2) | instskip(NEXT) | instid1(VALU_DEP_2)
	v_add_f64 v[229:230], v[229:230], v[231:232]
	v_add_f64 v[225:226], v[225:226], v[227:228]
	s_delay_alu instid0(VALU_DEP_1) | instskip(SKIP_4) | instid1(SALU_CYCLE_1)
	v_cmp_lt_f64_e32 vcc_lo, v[225:226], v[229:230]
	v_dual_cndmask_b32 v206, v206, v223 :: v_dual_cndmask_b32 v205, v205, v222
	v_dual_cndmask_b32 v204, v204, v221 :: v_dual_cndmask_b32 v207, v207, v224
	v_cndmask_b32_e64 v212, v212, s6, vcc_lo
	s_add_i32 s6, s6, 1
	s_cmp_lg_u32 s5, s6
	s_cbranch_scc1 .LBB100_694
.LBB100_695:
	s_set_inst_prefetch_distance 0x2
	s_waitcnt lgkmcnt(0)
	v_cmp_eq_f64_e32 vcc_lo, 0, v[204:205]
	v_cmp_eq_f64_e64 s2, 0, v[206:207]
	s_delay_alu instid0(VALU_DEP_1) | instskip(NEXT) | instid1(SALU_CYCLE_1)
	s_and_b32 s2, vcc_lo, s2
	s_and_saveexec_b32 s3, s2
	s_delay_alu instid0(SALU_CYCLE_1)
	s_xor_b32 s2, exec_lo, s3
; %bb.696:
	v_cmp_ne_u32_e32 vcc_lo, 0, v217
	v_cndmask_b32_e32 v217, 34, v217, vcc_lo
; %bb.697:
	s_and_not1_saveexec_b32 s3, s2
	s_cbranch_execz .LBB100_703
; %bb.698:
	v_cmp_gt_f64_e32 vcc_lo, 0, v[204:205]
	v_cmp_gt_f64_e64 s2, 0, v[206:207]
	v_xor_b32_e32 v213, 0x80000000, v205
	v_xor_b32_e32 v221, 0x80000000, v207
	s_delay_alu instid0(VALU_DEP_2) | instskip(NEXT) | instid1(VALU_DEP_2)
	v_cndmask_b32_e32 v222, v205, v213, vcc_lo
	v_cndmask_b32_e64 v224, v207, v221, s2
	v_cndmask_b32_e32 v221, v204, v204, vcc_lo
	v_cndmask_b32_e64 v223, v206, v206, s2
	s_mov_b32 s2, exec_lo
	s_delay_alu instid0(VALU_DEP_1)
	v_cmpx_ngt_f64_e32 v[221:222], v[223:224]
	s_xor_b32 s2, exec_lo, s2
	s_cbranch_execz .LBB100_700
; %bb.699:
	v_div_scale_f64 v[221:222], null, v[206:207], v[206:207], v[204:205]
	v_div_scale_f64 v[227:228], vcc_lo, v[204:205], v[206:207], v[204:205]
	s_delay_alu instid0(VALU_DEP_2) | instskip(SKIP_2) | instid1(VALU_DEP_1)
	v_rcp_f64_e32 v[223:224], v[221:222]
	s_waitcnt_depctr 0xfff
	v_fma_f64 v[225:226], -v[221:222], v[223:224], 1.0
	v_fma_f64 v[223:224], v[223:224], v[225:226], v[223:224]
	s_delay_alu instid0(VALU_DEP_1) | instskip(NEXT) | instid1(VALU_DEP_1)
	v_fma_f64 v[225:226], -v[221:222], v[223:224], 1.0
	v_fma_f64 v[223:224], v[223:224], v[225:226], v[223:224]
	s_delay_alu instid0(VALU_DEP_1) | instskip(NEXT) | instid1(VALU_DEP_1)
	v_mul_f64 v[225:226], v[227:228], v[223:224]
	v_fma_f64 v[221:222], -v[221:222], v[225:226], v[227:228]
	s_delay_alu instid0(VALU_DEP_1) | instskip(NEXT) | instid1(VALU_DEP_1)
	v_div_fmas_f64 v[221:222], v[221:222], v[223:224], v[225:226]
	v_div_fixup_f64 v[221:222], v[221:222], v[206:207], v[204:205]
	s_delay_alu instid0(VALU_DEP_1) | instskip(NEXT) | instid1(VALU_DEP_1)
	v_fma_f64 v[204:205], v[204:205], v[221:222], v[206:207]
	v_div_scale_f64 v[206:207], null, v[204:205], v[204:205], 1.0
	s_delay_alu instid0(VALU_DEP_1) | instskip(SKIP_2) | instid1(VALU_DEP_1)
	v_rcp_f64_e32 v[223:224], v[206:207]
	s_waitcnt_depctr 0xfff
	v_fma_f64 v[225:226], -v[206:207], v[223:224], 1.0
	v_fma_f64 v[223:224], v[223:224], v[225:226], v[223:224]
	s_delay_alu instid0(VALU_DEP_1) | instskip(NEXT) | instid1(VALU_DEP_1)
	v_fma_f64 v[225:226], -v[206:207], v[223:224], 1.0
	v_fma_f64 v[223:224], v[223:224], v[225:226], v[223:224]
	v_div_scale_f64 v[225:226], vcc_lo, 1.0, v[204:205], 1.0
	s_delay_alu instid0(VALU_DEP_1) | instskip(NEXT) | instid1(VALU_DEP_1)
	v_mul_f64 v[227:228], v[225:226], v[223:224]
	v_fma_f64 v[206:207], -v[206:207], v[227:228], v[225:226]
	s_delay_alu instid0(VALU_DEP_1) | instskip(NEXT) | instid1(VALU_DEP_1)
	v_div_fmas_f64 v[206:207], v[206:207], v[223:224], v[227:228]
	v_div_fixup_f64 v[206:207], v[206:207], v[204:205], 1.0
	s_delay_alu instid0(VALU_DEP_1)
	v_mul_f64 v[204:205], v[221:222], v[206:207]
	v_xor_b32_e32 v207, 0x80000000, v207
.LBB100_700:
	s_and_not1_saveexec_b32 s2, s2
	s_cbranch_execz .LBB100_702
; %bb.701:
	s_delay_alu instid0(VALU_DEP_1) | instskip(SKIP_1) | instid1(VALU_DEP_2)
	v_div_scale_f64 v[221:222], null, v[204:205], v[204:205], v[206:207]
	v_div_scale_f64 v[227:228], vcc_lo, v[206:207], v[204:205], v[206:207]
	v_rcp_f64_e32 v[223:224], v[221:222]
	s_waitcnt_depctr 0xfff
	v_fma_f64 v[225:226], -v[221:222], v[223:224], 1.0
	s_delay_alu instid0(VALU_DEP_1) | instskip(NEXT) | instid1(VALU_DEP_1)
	v_fma_f64 v[223:224], v[223:224], v[225:226], v[223:224]
	v_fma_f64 v[225:226], -v[221:222], v[223:224], 1.0
	s_delay_alu instid0(VALU_DEP_1) | instskip(NEXT) | instid1(VALU_DEP_1)
	v_fma_f64 v[223:224], v[223:224], v[225:226], v[223:224]
	v_mul_f64 v[225:226], v[227:228], v[223:224]
	s_delay_alu instid0(VALU_DEP_1) | instskip(NEXT) | instid1(VALU_DEP_1)
	v_fma_f64 v[221:222], -v[221:222], v[225:226], v[227:228]
	v_div_fmas_f64 v[221:222], v[221:222], v[223:224], v[225:226]
	s_delay_alu instid0(VALU_DEP_1) | instskip(NEXT) | instid1(VALU_DEP_1)
	v_div_fixup_f64 v[221:222], v[221:222], v[204:205], v[206:207]
	v_fma_f64 v[204:205], v[206:207], v[221:222], v[204:205]
	s_delay_alu instid0(VALU_DEP_1) | instskip(NEXT) | instid1(VALU_DEP_1)
	v_div_scale_f64 v[206:207], null, v[204:205], v[204:205], 1.0
	v_rcp_f64_e32 v[223:224], v[206:207]
	s_waitcnt_depctr 0xfff
	v_fma_f64 v[225:226], -v[206:207], v[223:224], 1.0
	s_delay_alu instid0(VALU_DEP_1) | instskip(NEXT) | instid1(VALU_DEP_1)
	v_fma_f64 v[223:224], v[223:224], v[225:226], v[223:224]
	v_fma_f64 v[225:226], -v[206:207], v[223:224], 1.0
	s_delay_alu instid0(VALU_DEP_1) | instskip(SKIP_1) | instid1(VALU_DEP_1)
	v_fma_f64 v[223:224], v[223:224], v[225:226], v[223:224]
	v_div_scale_f64 v[225:226], vcc_lo, 1.0, v[204:205], 1.0
	v_mul_f64 v[227:228], v[225:226], v[223:224]
	s_delay_alu instid0(VALU_DEP_1) | instskip(NEXT) | instid1(VALU_DEP_1)
	v_fma_f64 v[206:207], -v[206:207], v[227:228], v[225:226]
	v_div_fmas_f64 v[206:207], v[206:207], v[223:224], v[227:228]
	s_delay_alu instid0(VALU_DEP_1) | instskip(NEXT) | instid1(VALU_DEP_1)
	v_div_fixup_f64 v[204:205], v[206:207], v[204:205], 1.0
	v_mul_f64 v[206:207], v[221:222], -v[204:205]
.LBB100_702:
	s_or_b32 exec_lo, exec_lo, s2
.LBB100_703:
	s_delay_alu instid0(SALU_CYCLE_1) | instskip(NEXT) | instid1(SALU_CYCLE_1)
	s_or_b32 exec_lo, exec_lo, s3
	s_mov_b32 s2, exec_lo
	v_cmpx_ne_u32_e64 v220, v212
	s_xor_b32 s2, exec_lo, s2
	s_cbranch_execz .LBB100_709
; %bb.704:
	s_mov_b32 s3, exec_lo
	v_cmpx_eq_u32_e32 33, v220
	s_cbranch_execz .LBB100_708
; %bb.705:
	v_cmp_ne_u32_e32 vcc_lo, 33, v212
	s_xor_b32 s6, s4, -1
	s_delay_alu instid0(SALU_CYCLE_1) | instskip(NEXT) | instid1(SALU_CYCLE_1)
	s_and_b32 s7, s6, vcc_lo
	s_and_saveexec_b32 s6, s7
	s_cbranch_execz .LBB100_707
; %bb.706:
	v_ashrrev_i32_e32 v213, 31, v212
	s_delay_alu instid0(VALU_DEP_1) | instskip(NEXT) | instid1(VALU_DEP_1)
	v_lshlrev_b64 v[219:220], 2, v[212:213]
	v_add_co_u32 v219, vcc_lo, v210, v219
	s_delay_alu instid0(VALU_DEP_2)
	v_add_co_ci_u32_e32 v220, vcc_lo, v211, v220, vcc_lo
	s_clause 0x1
	flat_load_b32 v213, v[219:220]
	flat_load_b32 v221, v[210:211] offset:132
	s_waitcnt vmcnt(1) lgkmcnt(1)
	flat_store_b32 v[210:211], v213 offset:132
	s_waitcnt vmcnt(0) lgkmcnt(1)
	flat_store_b32 v[219:220], v221
.LBB100_707:
	s_or_b32 exec_lo, exec_lo, s6
	v_mov_b32_e32 v220, v212
	v_mov_b32_e32 v219, v212
.LBB100_708:
	s_or_b32 exec_lo, exec_lo, s3
.LBB100_709:
	s_and_not1_saveexec_b32 s2, s2
	s_cbranch_execz .LBB100_711
; %bb.710:
	v_mov_b32_e32 v220, 33
	ds_store_2addr_b64 v214, v[64:65], v[66:67] offset0:68 offset1:69
	ds_store_2addr_b64 v214, v[60:61], v[62:63] offset0:70 offset1:71
	;; [unrolled: 1-line block ×17, first 2 shown]
.LBB100_711:
	s_or_b32 exec_lo, exec_lo, s2
	s_delay_alu instid0(SALU_CYCLE_1)
	s_mov_b32 s2, exec_lo
	s_waitcnt lgkmcnt(0)
	s_waitcnt_vscnt null, 0x0
	s_barrier
	buffer_gl0_inv
	v_cmpx_lt_i32_e32 33, v220
	s_cbranch_execz .LBB100_713
; %bb.712:
	v_mul_f64 v[212:213], v[206:207], v[70:71]
	v_mul_f64 v[70:71], v[204:205], v[70:71]
	s_delay_alu instid0(VALU_DEP_2) | instskip(NEXT) | instid1(VALU_DEP_2)
	v_fma_f64 v[212:213], v[204:205], v[68:69], -v[212:213]
	v_fma_f64 v[70:71], v[206:207], v[68:69], v[70:71]
	ds_load_2addr_b64 v[204:207], v214 offset0:68 offset1:69
	s_waitcnt lgkmcnt(0)
	v_mul_f64 v[68:69], v[206:207], v[70:71]
	s_delay_alu instid0(VALU_DEP_1) | instskip(SKIP_1) | instid1(VALU_DEP_2)
	v_fma_f64 v[68:69], v[204:205], v[212:213], -v[68:69]
	v_mul_f64 v[204:205], v[204:205], v[70:71]
	v_add_f64 v[64:65], v[64:65], -v[68:69]
	s_delay_alu instid0(VALU_DEP_2) | instskip(NEXT) | instid1(VALU_DEP_1)
	v_fma_f64 v[204:205], v[206:207], v[212:213], v[204:205]
	v_add_f64 v[66:67], v[66:67], -v[204:205]
	ds_load_2addr_b64 v[204:207], v214 offset0:70 offset1:71
	s_waitcnt lgkmcnt(0)
	v_mul_f64 v[68:69], v[206:207], v[70:71]
	s_delay_alu instid0(VALU_DEP_1) | instskip(SKIP_1) | instid1(VALU_DEP_2)
	v_fma_f64 v[68:69], v[204:205], v[212:213], -v[68:69]
	v_mul_f64 v[204:205], v[204:205], v[70:71]
	v_add_f64 v[60:61], v[60:61], -v[68:69]
	s_delay_alu instid0(VALU_DEP_2) | instskip(NEXT) | instid1(VALU_DEP_1)
	v_fma_f64 v[204:205], v[206:207], v[212:213], v[204:205]
	v_add_f64 v[62:63], v[62:63], -v[204:205]
	;; [unrolled: 10-line block ×16, first 2 shown]
	ds_load_2addr_b64 v[204:207], v214 offset0:100 offset1:101
	s_waitcnt lgkmcnt(0)
	v_mul_f64 v[68:69], v[206:207], v[70:71]
	s_delay_alu instid0(VALU_DEP_1) | instskip(SKIP_1) | instid1(VALU_DEP_2)
	v_fma_f64 v[68:69], v[204:205], v[212:213], -v[68:69]
	v_mul_f64 v[204:205], v[204:205], v[70:71]
	v_add_f64 v[0:1], v[0:1], -v[68:69]
	s_delay_alu instid0(VALU_DEP_2) | instskip(SKIP_1) | instid1(VALU_DEP_2)
	v_fma_f64 v[204:205], v[206:207], v[212:213], v[204:205]
	v_dual_mov_b32 v68, v212 :: v_dual_mov_b32 v69, v213
	v_add_f64 v[2:3], v[2:3], -v[204:205]
.LBB100_713:
	s_or_b32 exec_lo, exec_lo, s2
	v_lshl_add_u32 v204, v220, 4, v214
	s_barrier
	buffer_gl0_inv
	v_mov_b32_e32 v212, 34
	ds_store_2addr_b64 v204, v[64:65], v[66:67] offset1:1
	s_waitcnt lgkmcnt(0)
	s_barrier
	buffer_gl0_inv
	ds_load_2addr_b64 v[204:207], v214 offset0:68 offset1:69
	s_cmp_lt_i32 s5, 36
	s_cbranch_scc1 .LBB100_716
; %bb.714:
	v_add3_u32 v213, v218, 0, 0x230
	v_mov_b32_e32 v212, 34
	s_mov_b32 s6, 35
	s_set_inst_prefetch_distance 0x1
	.p2align	6
.LBB100_715:                            ; =>This Inner Loop Header: Depth=1
	ds_load_2addr_b64 v[221:224], v213 offset1:1
	s_waitcnt lgkmcnt(1)
	v_cmp_gt_f64_e32 vcc_lo, 0, v[204:205]
	v_xor_b32_e32 v225, 0x80000000, v205
	v_cmp_gt_f64_e64 s2, 0, v[206:207]
	v_xor_b32_e32 v227, 0x80000000, v207
	v_add_nc_u32_e32 v213, 16, v213
	s_waitcnt lgkmcnt(0)
	v_cmp_gt_f64_e64 s3, 0, v[221:222]
	v_mov_b32_e32 v229, v221
	v_dual_mov_b32 v231, v223 :: v_dual_cndmask_b32 v226, v205, v225
	v_xor_b32_e32 v225, 0x80000000, v222
	v_cndmask_b32_e64 v228, v207, v227, s2
	v_xor_b32_e32 v227, 0x80000000, v224
	s_delay_alu instid0(VALU_DEP_3) | instskip(SKIP_2) | instid1(VALU_DEP_2)
	v_cndmask_b32_e64 v230, v222, v225, s3
	v_cmp_gt_f64_e64 s3, 0, v[223:224]
	v_cndmask_b32_e32 v225, v204, v204, vcc_lo
	v_cndmask_b32_e64 v232, v224, v227, s3
	v_cndmask_b32_e64 v227, v206, v206, s2
	s_delay_alu instid0(VALU_DEP_2) | instskip(NEXT) | instid1(VALU_DEP_2)
	v_add_f64 v[229:230], v[229:230], v[231:232]
	v_add_f64 v[225:226], v[225:226], v[227:228]
	s_delay_alu instid0(VALU_DEP_1) | instskip(SKIP_4) | instid1(SALU_CYCLE_1)
	v_cmp_lt_f64_e32 vcc_lo, v[225:226], v[229:230]
	v_dual_cndmask_b32 v206, v206, v223 :: v_dual_cndmask_b32 v205, v205, v222
	v_dual_cndmask_b32 v204, v204, v221 :: v_dual_cndmask_b32 v207, v207, v224
	v_cndmask_b32_e64 v212, v212, s6, vcc_lo
	s_add_i32 s6, s6, 1
	s_cmp_lg_u32 s5, s6
	s_cbranch_scc1 .LBB100_715
.LBB100_716:
	s_set_inst_prefetch_distance 0x2
	s_waitcnt lgkmcnt(0)
	v_cmp_eq_f64_e32 vcc_lo, 0, v[204:205]
	v_cmp_eq_f64_e64 s2, 0, v[206:207]
	s_delay_alu instid0(VALU_DEP_1) | instskip(NEXT) | instid1(SALU_CYCLE_1)
	s_and_b32 s2, vcc_lo, s2
	s_and_saveexec_b32 s3, s2
	s_delay_alu instid0(SALU_CYCLE_1)
	s_xor_b32 s2, exec_lo, s3
; %bb.717:
	v_cmp_ne_u32_e32 vcc_lo, 0, v217
	v_cndmask_b32_e32 v217, 35, v217, vcc_lo
; %bb.718:
	s_and_not1_saveexec_b32 s3, s2
	s_cbranch_execz .LBB100_724
; %bb.719:
	v_cmp_gt_f64_e32 vcc_lo, 0, v[204:205]
	v_cmp_gt_f64_e64 s2, 0, v[206:207]
	v_xor_b32_e32 v213, 0x80000000, v205
	v_xor_b32_e32 v221, 0x80000000, v207
	s_delay_alu instid0(VALU_DEP_2) | instskip(NEXT) | instid1(VALU_DEP_2)
	v_cndmask_b32_e32 v222, v205, v213, vcc_lo
	v_cndmask_b32_e64 v224, v207, v221, s2
	v_cndmask_b32_e32 v221, v204, v204, vcc_lo
	v_cndmask_b32_e64 v223, v206, v206, s2
	s_mov_b32 s2, exec_lo
	s_delay_alu instid0(VALU_DEP_1)
	v_cmpx_ngt_f64_e32 v[221:222], v[223:224]
	s_xor_b32 s2, exec_lo, s2
	s_cbranch_execz .LBB100_721
; %bb.720:
	v_div_scale_f64 v[221:222], null, v[206:207], v[206:207], v[204:205]
	v_div_scale_f64 v[227:228], vcc_lo, v[204:205], v[206:207], v[204:205]
	s_delay_alu instid0(VALU_DEP_2) | instskip(SKIP_2) | instid1(VALU_DEP_1)
	v_rcp_f64_e32 v[223:224], v[221:222]
	s_waitcnt_depctr 0xfff
	v_fma_f64 v[225:226], -v[221:222], v[223:224], 1.0
	v_fma_f64 v[223:224], v[223:224], v[225:226], v[223:224]
	s_delay_alu instid0(VALU_DEP_1) | instskip(NEXT) | instid1(VALU_DEP_1)
	v_fma_f64 v[225:226], -v[221:222], v[223:224], 1.0
	v_fma_f64 v[223:224], v[223:224], v[225:226], v[223:224]
	s_delay_alu instid0(VALU_DEP_1) | instskip(NEXT) | instid1(VALU_DEP_1)
	v_mul_f64 v[225:226], v[227:228], v[223:224]
	v_fma_f64 v[221:222], -v[221:222], v[225:226], v[227:228]
	s_delay_alu instid0(VALU_DEP_1) | instskip(NEXT) | instid1(VALU_DEP_1)
	v_div_fmas_f64 v[221:222], v[221:222], v[223:224], v[225:226]
	v_div_fixup_f64 v[221:222], v[221:222], v[206:207], v[204:205]
	s_delay_alu instid0(VALU_DEP_1) | instskip(NEXT) | instid1(VALU_DEP_1)
	v_fma_f64 v[204:205], v[204:205], v[221:222], v[206:207]
	v_div_scale_f64 v[206:207], null, v[204:205], v[204:205], 1.0
	s_delay_alu instid0(VALU_DEP_1) | instskip(SKIP_2) | instid1(VALU_DEP_1)
	v_rcp_f64_e32 v[223:224], v[206:207]
	s_waitcnt_depctr 0xfff
	v_fma_f64 v[225:226], -v[206:207], v[223:224], 1.0
	v_fma_f64 v[223:224], v[223:224], v[225:226], v[223:224]
	s_delay_alu instid0(VALU_DEP_1) | instskip(NEXT) | instid1(VALU_DEP_1)
	v_fma_f64 v[225:226], -v[206:207], v[223:224], 1.0
	v_fma_f64 v[223:224], v[223:224], v[225:226], v[223:224]
	v_div_scale_f64 v[225:226], vcc_lo, 1.0, v[204:205], 1.0
	s_delay_alu instid0(VALU_DEP_1) | instskip(NEXT) | instid1(VALU_DEP_1)
	v_mul_f64 v[227:228], v[225:226], v[223:224]
	v_fma_f64 v[206:207], -v[206:207], v[227:228], v[225:226]
	s_delay_alu instid0(VALU_DEP_1) | instskip(NEXT) | instid1(VALU_DEP_1)
	v_div_fmas_f64 v[206:207], v[206:207], v[223:224], v[227:228]
	v_div_fixup_f64 v[206:207], v[206:207], v[204:205], 1.0
	s_delay_alu instid0(VALU_DEP_1)
	v_mul_f64 v[204:205], v[221:222], v[206:207]
	v_xor_b32_e32 v207, 0x80000000, v207
.LBB100_721:
	s_and_not1_saveexec_b32 s2, s2
	s_cbranch_execz .LBB100_723
; %bb.722:
	s_delay_alu instid0(VALU_DEP_1) | instskip(SKIP_1) | instid1(VALU_DEP_2)
	v_div_scale_f64 v[221:222], null, v[204:205], v[204:205], v[206:207]
	v_div_scale_f64 v[227:228], vcc_lo, v[206:207], v[204:205], v[206:207]
	v_rcp_f64_e32 v[223:224], v[221:222]
	s_waitcnt_depctr 0xfff
	v_fma_f64 v[225:226], -v[221:222], v[223:224], 1.0
	s_delay_alu instid0(VALU_DEP_1) | instskip(NEXT) | instid1(VALU_DEP_1)
	v_fma_f64 v[223:224], v[223:224], v[225:226], v[223:224]
	v_fma_f64 v[225:226], -v[221:222], v[223:224], 1.0
	s_delay_alu instid0(VALU_DEP_1) | instskip(NEXT) | instid1(VALU_DEP_1)
	v_fma_f64 v[223:224], v[223:224], v[225:226], v[223:224]
	v_mul_f64 v[225:226], v[227:228], v[223:224]
	s_delay_alu instid0(VALU_DEP_1) | instskip(NEXT) | instid1(VALU_DEP_1)
	v_fma_f64 v[221:222], -v[221:222], v[225:226], v[227:228]
	v_div_fmas_f64 v[221:222], v[221:222], v[223:224], v[225:226]
	s_delay_alu instid0(VALU_DEP_1) | instskip(NEXT) | instid1(VALU_DEP_1)
	v_div_fixup_f64 v[221:222], v[221:222], v[204:205], v[206:207]
	v_fma_f64 v[204:205], v[206:207], v[221:222], v[204:205]
	s_delay_alu instid0(VALU_DEP_1) | instskip(NEXT) | instid1(VALU_DEP_1)
	v_div_scale_f64 v[206:207], null, v[204:205], v[204:205], 1.0
	v_rcp_f64_e32 v[223:224], v[206:207]
	s_waitcnt_depctr 0xfff
	v_fma_f64 v[225:226], -v[206:207], v[223:224], 1.0
	s_delay_alu instid0(VALU_DEP_1) | instskip(NEXT) | instid1(VALU_DEP_1)
	v_fma_f64 v[223:224], v[223:224], v[225:226], v[223:224]
	v_fma_f64 v[225:226], -v[206:207], v[223:224], 1.0
	s_delay_alu instid0(VALU_DEP_1) | instskip(SKIP_1) | instid1(VALU_DEP_1)
	v_fma_f64 v[223:224], v[223:224], v[225:226], v[223:224]
	v_div_scale_f64 v[225:226], vcc_lo, 1.0, v[204:205], 1.0
	v_mul_f64 v[227:228], v[225:226], v[223:224]
	s_delay_alu instid0(VALU_DEP_1) | instskip(NEXT) | instid1(VALU_DEP_1)
	v_fma_f64 v[206:207], -v[206:207], v[227:228], v[225:226]
	v_div_fmas_f64 v[206:207], v[206:207], v[223:224], v[227:228]
	s_delay_alu instid0(VALU_DEP_1) | instskip(NEXT) | instid1(VALU_DEP_1)
	v_div_fixup_f64 v[204:205], v[206:207], v[204:205], 1.0
	v_mul_f64 v[206:207], v[221:222], -v[204:205]
.LBB100_723:
	s_or_b32 exec_lo, exec_lo, s2
.LBB100_724:
	s_delay_alu instid0(SALU_CYCLE_1) | instskip(NEXT) | instid1(SALU_CYCLE_1)
	s_or_b32 exec_lo, exec_lo, s3
	s_mov_b32 s2, exec_lo
	v_cmpx_ne_u32_e64 v220, v212
	s_xor_b32 s2, exec_lo, s2
	s_cbranch_execz .LBB100_730
; %bb.725:
	s_mov_b32 s3, exec_lo
	v_cmpx_eq_u32_e32 34, v220
	s_cbranch_execz .LBB100_729
; %bb.726:
	v_cmp_ne_u32_e32 vcc_lo, 34, v212
	s_xor_b32 s6, s4, -1
	s_delay_alu instid0(SALU_CYCLE_1) | instskip(NEXT) | instid1(SALU_CYCLE_1)
	s_and_b32 s7, s6, vcc_lo
	s_and_saveexec_b32 s6, s7
	s_cbranch_execz .LBB100_728
; %bb.727:
	v_ashrrev_i32_e32 v213, 31, v212
	s_delay_alu instid0(VALU_DEP_1) | instskip(NEXT) | instid1(VALU_DEP_1)
	v_lshlrev_b64 v[219:220], 2, v[212:213]
	v_add_co_u32 v219, vcc_lo, v210, v219
	s_delay_alu instid0(VALU_DEP_2)
	v_add_co_ci_u32_e32 v220, vcc_lo, v211, v220, vcc_lo
	s_clause 0x1
	flat_load_b32 v213, v[219:220]
	flat_load_b32 v221, v[210:211] offset:136
	s_waitcnt vmcnt(1) lgkmcnt(1)
	flat_store_b32 v[210:211], v213 offset:136
	s_waitcnt vmcnt(0) lgkmcnt(1)
	flat_store_b32 v[219:220], v221
.LBB100_728:
	s_or_b32 exec_lo, exec_lo, s6
	v_mov_b32_e32 v220, v212
	v_mov_b32_e32 v219, v212
.LBB100_729:
	s_or_b32 exec_lo, exec_lo, s3
.LBB100_730:
	s_and_not1_saveexec_b32 s2, s2
	s_cbranch_execz .LBB100_732
; %bb.731:
	v_mov_b32_e32 v220, 34
	ds_store_2addr_b64 v214, v[60:61], v[62:63] offset0:70 offset1:71
	ds_store_2addr_b64 v214, v[56:57], v[58:59] offset0:72 offset1:73
	;; [unrolled: 1-line block ×16, first 2 shown]
.LBB100_732:
	s_or_b32 exec_lo, exec_lo, s2
	s_delay_alu instid0(SALU_CYCLE_1)
	s_mov_b32 s2, exec_lo
	s_waitcnt lgkmcnt(0)
	s_waitcnt_vscnt null, 0x0
	s_barrier
	buffer_gl0_inv
	v_cmpx_lt_i32_e32 34, v220
	s_cbranch_execz .LBB100_734
; %bb.733:
	v_mul_f64 v[212:213], v[204:205], v[66:67]
	v_mul_f64 v[66:67], v[206:207], v[66:67]
	s_delay_alu instid0(VALU_DEP_2) | instskip(NEXT) | instid1(VALU_DEP_2)
	v_fma_f64 v[212:213], v[206:207], v[64:65], v[212:213]
	v_fma_f64 v[64:65], v[204:205], v[64:65], -v[66:67]
	ds_load_2addr_b64 v[204:207], v214 offset0:70 offset1:71
	s_waitcnt lgkmcnt(0)
	v_mul_f64 v[66:67], v[206:207], v[212:213]
	s_delay_alu instid0(VALU_DEP_1) | instskip(SKIP_1) | instid1(VALU_DEP_2)
	v_fma_f64 v[66:67], v[204:205], v[64:65], -v[66:67]
	v_mul_f64 v[204:205], v[204:205], v[212:213]
	v_add_f64 v[60:61], v[60:61], -v[66:67]
	s_delay_alu instid0(VALU_DEP_2) | instskip(NEXT) | instid1(VALU_DEP_1)
	v_fma_f64 v[204:205], v[206:207], v[64:65], v[204:205]
	v_add_f64 v[62:63], v[62:63], -v[204:205]
	ds_load_2addr_b64 v[204:207], v214 offset0:72 offset1:73
	s_waitcnt lgkmcnt(0)
	v_mul_f64 v[66:67], v[206:207], v[212:213]
	s_delay_alu instid0(VALU_DEP_1) | instskip(SKIP_1) | instid1(VALU_DEP_2)
	v_fma_f64 v[66:67], v[204:205], v[64:65], -v[66:67]
	v_mul_f64 v[204:205], v[204:205], v[212:213]
	v_add_f64 v[56:57], v[56:57], -v[66:67]
	s_delay_alu instid0(VALU_DEP_2) | instskip(NEXT) | instid1(VALU_DEP_1)
	v_fma_f64 v[204:205], v[206:207], v[64:65], v[204:205]
	v_add_f64 v[58:59], v[58:59], -v[204:205]
	ds_load_2addr_b64 v[204:207], v214 offset0:74 offset1:75
	s_waitcnt lgkmcnt(0)
	v_mul_f64 v[66:67], v[206:207], v[212:213]
	s_delay_alu instid0(VALU_DEP_1) | instskip(SKIP_1) | instid1(VALU_DEP_2)
	v_fma_f64 v[66:67], v[204:205], v[64:65], -v[66:67]
	v_mul_f64 v[204:205], v[204:205], v[212:213]
	v_add_f64 v[52:53], v[52:53], -v[66:67]
	s_delay_alu instid0(VALU_DEP_2) | instskip(NEXT) | instid1(VALU_DEP_1)
	v_fma_f64 v[204:205], v[206:207], v[64:65], v[204:205]
	v_add_f64 v[54:55], v[54:55], -v[204:205]
	ds_load_2addr_b64 v[204:207], v214 offset0:76 offset1:77
	s_waitcnt lgkmcnt(0)
	v_mul_f64 v[66:67], v[206:207], v[212:213]
	s_delay_alu instid0(VALU_DEP_1) | instskip(SKIP_1) | instid1(VALU_DEP_2)
	v_fma_f64 v[66:67], v[204:205], v[64:65], -v[66:67]
	v_mul_f64 v[204:205], v[204:205], v[212:213]
	v_add_f64 v[48:49], v[48:49], -v[66:67]
	s_delay_alu instid0(VALU_DEP_2) | instskip(NEXT) | instid1(VALU_DEP_1)
	v_fma_f64 v[204:205], v[206:207], v[64:65], v[204:205]
	v_add_f64 v[50:51], v[50:51], -v[204:205]
	ds_load_2addr_b64 v[204:207], v214 offset0:78 offset1:79
	s_waitcnt lgkmcnt(0)
	v_mul_f64 v[66:67], v[206:207], v[212:213]
	s_delay_alu instid0(VALU_DEP_1) | instskip(SKIP_1) | instid1(VALU_DEP_2)
	v_fma_f64 v[66:67], v[204:205], v[64:65], -v[66:67]
	v_mul_f64 v[204:205], v[204:205], v[212:213]
	v_add_f64 v[44:45], v[44:45], -v[66:67]
	s_delay_alu instid0(VALU_DEP_2) | instskip(NEXT) | instid1(VALU_DEP_1)
	v_fma_f64 v[204:205], v[206:207], v[64:65], v[204:205]
	v_add_f64 v[46:47], v[46:47], -v[204:205]
	ds_load_2addr_b64 v[204:207], v214 offset0:80 offset1:81
	s_waitcnt lgkmcnt(0)
	v_mul_f64 v[66:67], v[206:207], v[212:213]
	s_delay_alu instid0(VALU_DEP_1) | instskip(SKIP_1) | instid1(VALU_DEP_2)
	v_fma_f64 v[66:67], v[204:205], v[64:65], -v[66:67]
	v_mul_f64 v[204:205], v[204:205], v[212:213]
	v_add_f64 v[40:41], v[40:41], -v[66:67]
	s_delay_alu instid0(VALU_DEP_2) | instskip(NEXT) | instid1(VALU_DEP_1)
	v_fma_f64 v[204:205], v[206:207], v[64:65], v[204:205]
	v_add_f64 v[42:43], v[42:43], -v[204:205]
	ds_load_2addr_b64 v[204:207], v214 offset0:82 offset1:83
	s_waitcnt lgkmcnt(0)
	v_mul_f64 v[66:67], v[206:207], v[212:213]
	s_delay_alu instid0(VALU_DEP_1) | instskip(SKIP_1) | instid1(VALU_DEP_2)
	v_fma_f64 v[66:67], v[204:205], v[64:65], -v[66:67]
	v_mul_f64 v[204:205], v[204:205], v[212:213]
	v_add_f64 v[36:37], v[36:37], -v[66:67]
	s_delay_alu instid0(VALU_DEP_2) | instskip(NEXT) | instid1(VALU_DEP_1)
	v_fma_f64 v[204:205], v[206:207], v[64:65], v[204:205]
	v_add_f64 v[38:39], v[38:39], -v[204:205]
	ds_load_2addr_b64 v[204:207], v214 offset0:84 offset1:85
	s_waitcnt lgkmcnt(0)
	v_mul_f64 v[66:67], v[206:207], v[212:213]
	s_delay_alu instid0(VALU_DEP_1) | instskip(SKIP_1) | instid1(VALU_DEP_2)
	v_fma_f64 v[66:67], v[204:205], v[64:65], -v[66:67]
	v_mul_f64 v[204:205], v[204:205], v[212:213]
	v_add_f64 v[32:33], v[32:33], -v[66:67]
	s_delay_alu instid0(VALU_DEP_2) | instskip(NEXT) | instid1(VALU_DEP_1)
	v_fma_f64 v[204:205], v[206:207], v[64:65], v[204:205]
	v_add_f64 v[34:35], v[34:35], -v[204:205]
	ds_load_2addr_b64 v[204:207], v214 offset0:86 offset1:87
	s_waitcnt lgkmcnt(0)
	v_mul_f64 v[66:67], v[206:207], v[212:213]
	s_delay_alu instid0(VALU_DEP_1) | instskip(SKIP_1) | instid1(VALU_DEP_2)
	v_fma_f64 v[66:67], v[204:205], v[64:65], -v[66:67]
	v_mul_f64 v[204:205], v[204:205], v[212:213]
	v_add_f64 v[28:29], v[28:29], -v[66:67]
	s_delay_alu instid0(VALU_DEP_2) | instskip(NEXT) | instid1(VALU_DEP_1)
	v_fma_f64 v[204:205], v[206:207], v[64:65], v[204:205]
	v_add_f64 v[30:31], v[30:31], -v[204:205]
	ds_load_2addr_b64 v[204:207], v214 offset0:88 offset1:89
	s_waitcnt lgkmcnt(0)
	v_mul_f64 v[66:67], v[206:207], v[212:213]
	s_delay_alu instid0(VALU_DEP_1) | instskip(SKIP_1) | instid1(VALU_DEP_2)
	v_fma_f64 v[66:67], v[204:205], v[64:65], -v[66:67]
	v_mul_f64 v[204:205], v[204:205], v[212:213]
	v_add_f64 v[24:25], v[24:25], -v[66:67]
	s_delay_alu instid0(VALU_DEP_2) | instskip(NEXT) | instid1(VALU_DEP_1)
	v_fma_f64 v[204:205], v[206:207], v[64:65], v[204:205]
	v_add_f64 v[26:27], v[26:27], -v[204:205]
	ds_load_2addr_b64 v[204:207], v214 offset0:90 offset1:91
	s_waitcnt lgkmcnt(0)
	v_mul_f64 v[66:67], v[206:207], v[212:213]
	s_delay_alu instid0(VALU_DEP_1) | instskip(SKIP_1) | instid1(VALU_DEP_2)
	v_fma_f64 v[66:67], v[204:205], v[64:65], -v[66:67]
	v_mul_f64 v[204:205], v[204:205], v[212:213]
	v_add_f64 v[20:21], v[20:21], -v[66:67]
	s_delay_alu instid0(VALU_DEP_2) | instskip(NEXT) | instid1(VALU_DEP_1)
	v_fma_f64 v[204:205], v[206:207], v[64:65], v[204:205]
	v_add_f64 v[22:23], v[22:23], -v[204:205]
	ds_load_2addr_b64 v[204:207], v214 offset0:92 offset1:93
	s_waitcnt lgkmcnt(0)
	v_mul_f64 v[66:67], v[206:207], v[212:213]
	s_delay_alu instid0(VALU_DEP_1) | instskip(SKIP_1) | instid1(VALU_DEP_2)
	v_fma_f64 v[66:67], v[204:205], v[64:65], -v[66:67]
	v_mul_f64 v[204:205], v[204:205], v[212:213]
	v_add_f64 v[16:17], v[16:17], -v[66:67]
	s_delay_alu instid0(VALU_DEP_2) | instskip(NEXT) | instid1(VALU_DEP_1)
	v_fma_f64 v[204:205], v[206:207], v[64:65], v[204:205]
	v_add_f64 v[18:19], v[18:19], -v[204:205]
	ds_load_2addr_b64 v[204:207], v214 offset0:94 offset1:95
	s_waitcnt lgkmcnt(0)
	v_mul_f64 v[66:67], v[206:207], v[212:213]
	s_delay_alu instid0(VALU_DEP_1) | instskip(SKIP_1) | instid1(VALU_DEP_2)
	v_fma_f64 v[66:67], v[204:205], v[64:65], -v[66:67]
	v_mul_f64 v[204:205], v[204:205], v[212:213]
	v_add_f64 v[12:13], v[12:13], -v[66:67]
	s_delay_alu instid0(VALU_DEP_2) | instskip(NEXT) | instid1(VALU_DEP_1)
	v_fma_f64 v[204:205], v[206:207], v[64:65], v[204:205]
	v_add_f64 v[14:15], v[14:15], -v[204:205]
	ds_load_2addr_b64 v[204:207], v214 offset0:96 offset1:97
	s_waitcnt lgkmcnt(0)
	v_mul_f64 v[66:67], v[206:207], v[212:213]
	s_delay_alu instid0(VALU_DEP_1) | instskip(SKIP_1) | instid1(VALU_DEP_2)
	v_fma_f64 v[66:67], v[204:205], v[64:65], -v[66:67]
	v_mul_f64 v[204:205], v[204:205], v[212:213]
	v_add_f64 v[8:9], v[8:9], -v[66:67]
	s_delay_alu instid0(VALU_DEP_2) | instskip(NEXT) | instid1(VALU_DEP_1)
	v_fma_f64 v[204:205], v[206:207], v[64:65], v[204:205]
	v_add_f64 v[10:11], v[10:11], -v[204:205]
	ds_load_2addr_b64 v[204:207], v214 offset0:98 offset1:99
	s_waitcnt lgkmcnt(0)
	v_mul_f64 v[66:67], v[206:207], v[212:213]
	s_delay_alu instid0(VALU_DEP_1) | instskip(SKIP_1) | instid1(VALU_DEP_2)
	v_fma_f64 v[66:67], v[204:205], v[64:65], -v[66:67]
	v_mul_f64 v[204:205], v[204:205], v[212:213]
	v_add_f64 v[4:5], v[4:5], -v[66:67]
	s_delay_alu instid0(VALU_DEP_2) | instskip(NEXT) | instid1(VALU_DEP_1)
	v_fma_f64 v[204:205], v[206:207], v[64:65], v[204:205]
	v_add_f64 v[6:7], v[6:7], -v[204:205]
	ds_load_2addr_b64 v[204:207], v214 offset0:100 offset1:101
	s_waitcnt lgkmcnt(0)
	v_mul_f64 v[66:67], v[206:207], v[212:213]
	s_delay_alu instid0(VALU_DEP_1) | instskip(SKIP_1) | instid1(VALU_DEP_2)
	v_fma_f64 v[66:67], v[204:205], v[64:65], -v[66:67]
	v_mul_f64 v[204:205], v[204:205], v[212:213]
	v_add_f64 v[0:1], v[0:1], -v[66:67]
	s_delay_alu instid0(VALU_DEP_2) | instskip(SKIP_1) | instid1(VALU_DEP_2)
	v_fma_f64 v[204:205], v[206:207], v[64:65], v[204:205]
	v_dual_mov_b32 v66, v212 :: v_dual_mov_b32 v67, v213
	v_add_f64 v[2:3], v[2:3], -v[204:205]
.LBB100_734:
	s_or_b32 exec_lo, exec_lo, s2
	v_lshl_add_u32 v204, v220, 4, v214
	s_barrier
	buffer_gl0_inv
	v_mov_b32_e32 v212, 35
	ds_store_2addr_b64 v204, v[60:61], v[62:63] offset1:1
	s_waitcnt lgkmcnt(0)
	s_barrier
	buffer_gl0_inv
	ds_load_2addr_b64 v[204:207], v214 offset0:70 offset1:71
	s_cmp_lt_i32 s5, 37
	s_cbranch_scc1 .LBB100_737
; %bb.735:
	v_add3_u32 v213, v218, 0, 0x240
	v_mov_b32_e32 v212, 35
	s_mov_b32 s6, 36
	s_set_inst_prefetch_distance 0x1
	.p2align	6
.LBB100_736:                            ; =>This Inner Loop Header: Depth=1
	ds_load_2addr_b64 v[221:224], v213 offset1:1
	s_waitcnt lgkmcnt(1)
	v_cmp_gt_f64_e32 vcc_lo, 0, v[204:205]
	v_xor_b32_e32 v225, 0x80000000, v205
	v_cmp_gt_f64_e64 s2, 0, v[206:207]
	v_xor_b32_e32 v227, 0x80000000, v207
	v_add_nc_u32_e32 v213, 16, v213
	s_waitcnt lgkmcnt(0)
	v_cmp_gt_f64_e64 s3, 0, v[221:222]
	v_mov_b32_e32 v229, v221
	v_dual_mov_b32 v231, v223 :: v_dual_cndmask_b32 v226, v205, v225
	v_xor_b32_e32 v225, 0x80000000, v222
	v_cndmask_b32_e64 v228, v207, v227, s2
	v_xor_b32_e32 v227, 0x80000000, v224
	s_delay_alu instid0(VALU_DEP_3) | instskip(SKIP_2) | instid1(VALU_DEP_2)
	v_cndmask_b32_e64 v230, v222, v225, s3
	v_cmp_gt_f64_e64 s3, 0, v[223:224]
	v_cndmask_b32_e32 v225, v204, v204, vcc_lo
	v_cndmask_b32_e64 v232, v224, v227, s3
	v_cndmask_b32_e64 v227, v206, v206, s2
	s_delay_alu instid0(VALU_DEP_2) | instskip(NEXT) | instid1(VALU_DEP_2)
	v_add_f64 v[229:230], v[229:230], v[231:232]
	v_add_f64 v[225:226], v[225:226], v[227:228]
	s_delay_alu instid0(VALU_DEP_1) | instskip(SKIP_4) | instid1(SALU_CYCLE_1)
	v_cmp_lt_f64_e32 vcc_lo, v[225:226], v[229:230]
	v_dual_cndmask_b32 v206, v206, v223 :: v_dual_cndmask_b32 v205, v205, v222
	v_dual_cndmask_b32 v204, v204, v221 :: v_dual_cndmask_b32 v207, v207, v224
	v_cndmask_b32_e64 v212, v212, s6, vcc_lo
	s_add_i32 s6, s6, 1
	s_cmp_lg_u32 s5, s6
	s_cbranch_scc1 .LBB100_736
.LBB100_737:
	s_set_inst_prefetch_distance 0x2
	s_waitcnt lgkmcnt(0)
	v_cmp_eq_f64_e32 vcc_lo, 0, v[204:205]
	v_cmp_eq_f64_e64 s2, 0, v[206:207]
	s_delay_alu instid0(VALU_DEP_1) | instskip(NEXT) | instid1(SALU_CYCLE_1)
	s_and_b32 s2, vcc_lo, s2
	s_and_saveexec_b32 s3, s2
	s_delay_alu instid0(SALU_CYCLE_1)
	s_xor_b32 s2, exec_lo, s3
; %bb.738:
	v_cmp_ne_u32_e32 vcc_lo, 0, v217
	v_cndmask_b32_e32 v217, 36, v217, vcc_lo
; %bb.739:
	s_and_not1_saveexec_b32 s3, s2
	s_cbranch_execz .LBB100_745
; %bb.740:
	v_cmp_gt_f64_e32 vcc_lo, 0, v[204:205]
	v_cmp_gt_f64_e64 s2, 0, v[206:207]
	v_xor_b32_e32 v213, 0x80000000, v205
	v_xor_b32_e32 v221, 0x80000000, v207
	s_delay_alu instid0(VALU_DEP_2) | instskip(NEXT) | instid1(VALU_DEP_2)
	v_cndmask_b32_e32 v222, v205, v213, vcc_lo
	v_cndmask_b32_e64 v224, v207, v221, s2
	v_cndmask_b32_e32 v221, v204, v204, vcc_lo
	v_cndmask_b32_e64 v223, v206, v206, s2
	s_mov_b32 s2, exec_lo
	s_delay_alu instid0(VALU_DEP_1)
	v_cmpx_ngt_f64_e32 v[221:222], v[223:224]
	s_xor_b32 s2, exec_lo, s2
	s_cbranch_execz .LBB100_742
; %bb.741:
	v_div_scale_f64 v[221:222], null, v[206:207], v[206:207], v[204:205]
	v_div_scale_f64 v[227:228], vcc_lo, v[204:205], v[206:207], v[204:205]
	s_delay_alu instid0(VALU_DEP_2) | instskip(SKIP_2) | instid1(VALU_DEP_1)
	v_rcp_f64_e32 v[223:224], v[221:222]
	s_waitcnt_depctr 0xfff
	v_fma_f64 v[225:226], -v[221:222], v[223:224], 1.0
	v_fma_f64 v[223:224], v[223:224], v[225:226], v[223:224]
	s_delay_alu instid0(VALU_DEP_1) | instskip(NEXT) | instid1(VALU_DEP_1)
	v_fma_f64 v[225:226], -v[221:222], v[223:224], 1.0
	v_fma_f64 v[223:224], v[223:224], v[225:226], v[223:224]
	s_delay_alu instid0(VALU_DEP_1) | instskip(NEXT) | instid1(VALU_DEP_1)
	v_mul_f64 v[225:226], v[227:228], v[223:224]
	v_fma_f64 v[221:222], -v[221:222], v[225:226], v[227:228]
	s_delay_alu instid0(VALU_DEP_1) | instskip(NEXT) | instid1(VALU_DEP_1)
	v_div_fmas_f64 v[221:222], v[221:222], v[223:224], v[225:226]
	v_div_fixup_f64 v[221:222], v[221:222], v[206:207], v[204:205]
	s_delay_alu instid0(VALU_DEP_1) | instskip(NEXT) | instid1(VALU_DEP_1)
	v_fma_f64 v[204:205], v[204:205], v[221:222], v[206:207]
	v_div_scale_f64 v[206:207], null, v[204:205], v[204:205], 1.0
	s_delay_alu instid0(VALU_DEP_1) | instskip(SKIP_2) | instid1(VALU_DEP_1)
	v_rcp_f64_e32 v[223:224], v[206:207]
	s_waitcnt_depctr 0xfff
	v_fma_f64 v[225:226], -v[206:207], v[223:224], 1.0
	v_fma_f64 v[223:224], v[223:224], v[225:226], v[223:224]
	s_delay_alu instid0(VALU_DEP_1) | instskip(NEXT) | instid1(VALU_DEP_1)
	v_fma_f64 v[225:226], -v[206:207], v[223:224], 1.0
	v_fma_f64 v[223:224], v[223:224], v[225:226], v[223:224]
	v_div_scale_f64 v[225:226], vcc_lo, 1.0, v[204:205], 1.0
	s_delay_alu instid0(VALU_DEP_1) | instskip(NEXT) | instid1(VALU_DEP_1)
	v_mul_f64 v[227:228], v[225:226], v[223:224]
	v_fma_f64 v[206:207], -v[206:207], v[227:228], v[225:226]
	s_delay_alu instid0(VALU_DEP_1) | instskip(NEXT) | instid1(VALU_DEP_1)
	v_div_fmas_f64 v[206:207], v[206:207], v[223:224], v[227:228]
	v_div_fixup_f64 v[206:207], v[206:207], v[204:205], 1.0
	s_delay_alu instid0(VALU_DEP_1)
	v_mul_f64 v[204:205], v[221:222], v[206:207]
	v_xor_b32_e32 v207, 0x80000000, v207
.LBB100_742:
	s_and_not1_saveexec_b32 s2, s2
	s_cbranch_execz .LBB100_744
; %bb.743:
	s_delay_alu instid0(VALU_DEP_1) | instskip(SKIP_1) | instid1(VALU_DEP_2)
	v_div_scale_f64 v[221:222], null, v[204:205], v[204:205], v[206:207]
	v_div_scale_f64 v[227:228], vcc_lo, v[206:207], v[204:205], v[206:207]
	v_rcp_f64_e32 v[223:224], v[221:222]
	s_waitcnt_depctr 0xfff
	v_fma_f64 v[225:226], -v[221:222], v[223:224], 1.0
	s_delay_alu instid0(VALU_DEP_1) | instskip(NEXT) | instid1(VALU_DEP_1)
	v_fma_f64 v[223:224], v[223:224], v[225:226], v[223:224]
	v_fma_f64 v[225:226], -v[221:222], v[223:224], 1.0
	s_delay_alu instid0(VALU_DEP_1) | instskip(NEXT) | instid1(VALU_DEP_1)
	v_fma_f64 v[223:224], v[223:224], v[225:226], v[223:224]
	v_mul_f64 v[225:226], v[227:228], v[223:224]
	s_delay_alu instid0(VALU_DEP_1) | instskip(NEXT) | instid1(VALU_DEP_1)
	v_fma_f64 v[221:222], -v[221:222], v[225:226], v[227:228]
	v_div_fmas_f64 v[221:222], v[221:222], v[223:224], v[225:226]
	s_delay_alu instid0(VALU_DEP_1) | instskip(NEXT) | instid1(VALU_DEP_1)
	v_div_fixup_f64 v[221:222], v[221:222], v[204:205], v[206:207]
	v_fma_f64 v[204:205], v[206:207], v[221:222], v[204:205]
	s_delay_alu instid0(VALU_DEP_1) | instskip(NEXT) | instid1(VALU_DEP_1)
	v_div_scale_f64 v[206:207], null, v[204:205], v[204:205], 1.0
	v_rcp_f64_e32 v[223:224], v[206:207]
	s_waitcnt_depctr 0xfff
	v_fma_f64 v[225:226], -v[206:207], v[223:224], 1.0
	s_delay_alu instid0(VALU_DEP_1) | instskip(NEXT) | instid1(VALU_DEP_1)
	v_fma_f64 v[223:224], v[223:224], v[225:226], v[223:224]
	v_fma_f64 v[225:226], -v[206:207], v[223:224], 1.0
	s_delay_alu instid0(VALU_DEP_1) | instskip(SKIP_1) | instid1(VALU_DEP_1)
	v_fma_f64 v[223:224], v[223:224], v[225:226], v[223:224]
	v_div_scale_f64 v[225:226], vcc_lo, 1.0, v[204:205], 1.0
	v_mul_f64 v[227:228], v[225:226], v[223:224]
	s_delay_alu instid0(VALU_DEP_1) | instskip(NEXT) | instid1(VALU_DEP_1)
	v_fma_f64 v[206:207], -v[206:207], v[227:228], v[225:226]
	v_div_fmas_f64 v[206:207], v[206:207], v[223:224], v[227:228]
	s_delay_alu instid0(VALU_DEP_1) | instskip(NEXT) | instid1(VALU_DEP_1)
	v_div_fixup_f64 v[204:205], v[206:207], v[204:205], 1.0
	v_mul_f64 v[206:207], v[221:222], -v[204:205]
.LBB100_744:
	s_or_b32 exec_lo, exec_lo, s2
.LBB100_745:
	s_delay_alu instid0(SALU_CYCLE_1) | instskip(NEXT) | instid1(SALU_CYCLE_1)
	s_or_b32 exec_lo, exec_lo, s3
	s_mov_b32 s2, exec_lo
	v_cmpx_ne_u32_e64 v220, v212
	s_xor_b32 s2, exec_lo, s2
	s_cbranch_execz .LBB100_751
; %bb.746:
	s_mov_b32 s3, exec_lo
	v_cmpx_eq_u32_e32 35, v220
	s_cbranch_execz .LBB100_750
; %bb.747:
	v_cmp_ne_u32_e32 vcc_lo, 35, v212
	s_xor_b32 s6, s4, -1
	s_delay_alu instid0(SALU_CYCLE_1) | instskip(NEXT) | instid1(SALU_CYCLE_1)
	s_and_b32 s7, s6, vcc_lo
	s_and_saveexec_b32 s6, s7
	s_cbranch_execz .LBB100_749
; %bb.748:
	v_ashrrev_i32_e32 v213, 31, v212
	s_delay_alu instid0(VALU_DEP_1) | instskip(NEXT) | instid1(VALU_DEP_1)
	v_lshlrev_b64 v[219:220], 2, v[212:213]
	v_add_co_u32 v219, vcc_lo, v210, v219
	s_delay_alu instid0(VALU_DEP_2)
	v_add_co_ci_u32_e32 v220, vcc_lo, v211, v220, vcc_lo
	s_clause 0x1
	flat_load_b32 v213, v[219:220]
	flat_load_b32 v221, v[210:211] offset:140
	s_waitcnt vmcnt(1) lgkmcnt(1)
	flat_store_b32 v[210:211], v213 offset:140
	s_waitcnt vmcnt(0) lgkmcnt(1)
	flat_store_b32 v[219:220], v221
.LBB100_749:
	s_or_b32 exec_lo, exec_lo, s6
	v_mov_b32_e32 v220, v212
	v_mov_b32_e32 v219, v212
.LBB100_750:
	s_or_b32 exec_lo, exec_lo, s3
.LBB100_751:
	s_and_not1_saveexec_b32 s2, s2
	s_cbranch_execz .LBB100_753
; %bb.752:
	v_mov_b32_e32 v220, 35
	ds_store_2addr_b64 v214, v[56:57], v[58:59] offset0:72 offset1:73
	ds_store_2addr_b64 v214, v[52:53], v[54:55] offset0:74 offset1:75
	ds_store_2addr_b64 v214, v[48:49], v[50:51] offset0:76 offset1:77
	ds_store_2addr_b64 v214, v[44:45], v[46:47] offset0:78 offset1:79
	ds_store_2addr_b64 v214, v[40:41], v[42:43] offset0:80 offset1:81
	ds_store_2addr_b64 v214, v[36:37], v[38:39] offset0:82 offset1:83
	ds_store_2addr_b64 v214, v[32:33], v[34:35] offset0:84 offset1:85
	ds_store_2addr_b64 v214, v[28:29], v[30:31] offset0:86 offset1:87
	ds_store_2addr_b64 v214, v[24:25], v[26:27] offset0:88 offset1:89
	ds_store_2addr_b64 v214, v[20:21], v[22:23] offset0:90 offset1:91
	ds_store_2addr_b64 v214, v[16:17], v[18:19] offset0:92 offset1:93
	ds_store_2addr_b64 v214, v[12:13], v[14:15] offset0:94 offset1:95
	ds_store_2addr_b64 v214, v[8:9], v[10:11] offset0:96 offset1:97
	ds_store_2addr_b64 v214, v[4:5], v[6:7] offset0:98 offset1:99
	ds_store_2addr_b64 v214, v[0:1], v[2:3] offset0:100 offset1:101
.LBB100_753:
	s_or_b32 exec_lo, exec_lo, s2
	s_delay_alu instid0(SALU_CYCLE_1)
	s_mov_b32 s2, exec_lo
	s_waitcnt lgkmcnt(0)
	s_waitcnt_vscnt null, 0x0
	s_barrier
	buffer_gl0_inv
	v_cmpx_lt_i32_e32 35, v220
	s_cbranch_execz .LBB100_755
; %bb.754:
	v_mul_f64 v[212:213], v[204:205], v[62:63]
	v_mul_f64 v[62:63], v[206:207], v[62:63]
	s_delay_alu instid0(VALU_DEP_2) | instskip(NEXT) | instid1(VALU_DEP_2)
	v_fma_f64 v[212:213], v[206:207], v[60:61], v[212:213]
	v_fma_f64 v[60:61], v[204:205], v[60:61], -v[62:63]
	ds_load_2addr_b64 v[204:207], v214 offset0:72 offset1:73
	s_waitcnt lgkmcnt(0)
	v_mul_f64 v[62:63], v[206:207], v[212:213]
	s_delay_alu instid0(VALU_DEP_1) | instskip(SKIP_1) | instid1(VALU_DEP_2)
	v_fma_f64 v[62:63], v[204:205], v[60:61], -v[62:63]
	v_mul_f64 v[204:205], v[204:205], v[212:213]
	v_add_f64 v[56:57], v[56:57], -v[62:63]
	s_delay_alu instid0(VALU_DEP_2) | instskip(NEXT) | instid1(VALU_DEP_1)
	v_fma_f64 v[204:205], v[206:207], v[60:61], v[204:205]
	v_add_f64 v[58:59], v[58:59], -v[204:205]
	ds_load_2addr_b64 v[204:207], v214 offset0:74 offset1:75
	s_waitcnt lgkmcnt(0)
	v_mul_f64 v[62:63], v[206:207], v[212:213]
	s_delay_alu instid0(VALU_DEP_1) | instskip(SKIP_1) | instid1(VALU_DEP_2)
	v_fma_f64 v[62:63], v[204:205], v[60:61], -v[62:63]
	v_mul_f64 v[204:205], v[204:205], v[212:213]
	v_add_f64 v[52:53], v[52:53], -v[62:63]
	s_delay_alu instid0(VALU_DEP_2) | instskip(NEXT) | instid1(VALU_DEP_1)
	v_fma_f64 v[204:205], v[206:207], v[60:61], v[204:205]
	v_add_f64 v[54:55], v[54:55], -v[204:205]
	ds_load_2addr_b64 v[204:207], v214 offset0:76 offset1:77
	s_waitcnt lgkmcnt(0)
	v_mul_f64 v[62:63], v[206:207], v[212:213]
	s_delay_alu instid0(VALU_DEP_1) | instskip(SKIP_1) | instid1(VALU_DEP_2)
	v_fma_f64 v[62:63], v[204:205], v[60:61], -v[62:63]
	v_mul_f64 v[204:205], v[204:205], v[212:213]
	v_add_f64 v[48:49], v[48:49], -v[62:63]
	s_delay_alu instid0(VALU_DEP_2) | instskip(NEXT) | instid1(VALU_DEP_1)
	v_fma_f64 v[204:205], v[206:207], v[60:61], v[204:205]
	v_add_f64 v[50:51], v[50:51], -v[204:205]
	ds_load_2addr_b64 v[204:207], v214 offset0:78 offset1:79
	s_waitcnt lgkmcnt(0)
	v_mul_f64 v[62:63], v[206:207], v[212:213]
	s_delay_alu instid0(VALU_DEP_1) | instskip(SKIP_1) | instid1(VALU_DEP_2)
	v_fma_f64 v[62:63], v[204:205], v[60:61], -v[62:63]
	v_mul_f64 v[204:205], v[204:205], v[212:213]
	v_add_f64 v[44:45], v[44:45], -v[62:63]
	s_delay_alu instid0(VALU_DEP_2) | instskip(NEXT) | instid1(VALU_DEP_1)
	v_fma_f64 v[204:205], v[206:207], v[60:61], v[204:205]
	v_add_f64 v[46:47], v[46:47], -v[204:205]
	ds_load_2addr_b64 v[204:207], v214 offset0:80 offset1:81
	s_waitcnt lgkmcnt(0)
	v_mul_f64 v[62:63], v[206:207], v[212:213]
	s_delay_alu instid0(VALU_DEP_1) | instskip(SKIP_1) | instid1(VALU_DEP_2)
	v_fma_f64 v[62:63], v[204:205], v[60:61], -v[62:63]
	v_mul_f64 v[204:205], v[204:205], v[212:213]
	v_add_f64 v[40:41], v[40:41], -v[62:63]
	s_delay_alu instid0(VALU_DEP_2) | instskip(NEXT) | instid1(VALU_DEP_1)
	v_fma_f64 v[204:205], v[206:207], v[60:61], v[204:205]
	v_add_f64 v[42:43], v[42:43], -v[204:205]
	ds_load_2addr_b64 v[204:207], v214 offset0:82 offset1:83
	s_waitcnt lgkmcnt(0)
	v_mul_f64 v[62:63], v[206:207], v[212:213]
	s_delay_alu instid0(VALU_DEP_1) | instskip(SKIP_1) | instid1(VALU_DEP_2)
	v_fma_f64 v[62:63], v[204:205], v[60:61], -v[62:63]
	v_mul_f64 v[204:205], v[204:205], v[212:213]
	v_add_f64 v[36:37], v[36:37], -v[62:63]
	s_delay_alu instid0(VALU_DEP_2) | instskip(NEXT) | instid1(VALU_DEP_1)
	v_fma_f64 v[204:205], v[206:207], v[60:61], v[204:205]
	v_add_f64 v[38:39], v[38:39], -v[204:205]
	ds_load_2addr_b64 v[204:207], v214 offset0:84 offset1:85
	s_waitcnt lgkmcnt(0)
	v_mul_f64 v[62:63], v[206:207], v[212:213]
	s_delay_alu instid0(VALU_DEP_1) | instskip(SKIP_1) | instid1(VALU_DEP_2)
	v_fma_f64 v[62:63], v[204:205], v[60:61], -v[62:63]
	v_mul_f64 v[204:205], v[204:205], v[212:213]
	v_add_f64 v[32:33], v[32:33], -v[62:63]
	s_delay_alu instid0(VALU_DEP_2) | instskip(NEXT) | instid1(VALU_DEP_1)
	v_fma_f64 v[204:205], v[206:207], v[60:61], v[204:205]
	v_add_f64 v[34:35], v[34:35], -v[204:205]
	ds_load_2addr_b64 v[204:207], v214 offset0:86 offset1:87
	s_waitcnt lgkmcnt(0)
	v_mul_f64 v[62:63], v[206:207], v[212:213]
	s_delay_alu instid0(VALU_DEP_1) | instskip(SKIP_1) | instid1(VALU_DEP_2)
	v_fma_f64 v[62:63], v[204:205], v[60:61], -v[62:63]
	v_mul_f64 v[204:205], v[204:205], v[212:213]
	v_add_f64 v[28:29], v[28:29], -v[62:63]
	s_delay_alu instid0(VALU_DEP_2) | instskip(NEXT) | instid1(VALU_DEP_1)
	v_fma_f64 v[204:205], v[206:207], v[60:61], v[204:205]
	v_add_f64 v[30:31], v[30:31], -v[204:205]
	ds_load_2addr_b64 v[204:207], v214 offset0:88 offset1:89
	s_waitcnt lgkmcnt(0)
	v_mul_f64 v[62:63], v[206:207], v[212:213]
	s_delay_alu instid0(VALU_DEP_1) | instskip(SKIP_1) | instid1(VALU_DEP_2)
	v_fma_f64 v[62:63], v[204:205], v[60:61], -v[62:63]
	v_mul_f64 v[204:205], v[204:205], v[212:213]
	v_add_f64 v[24:25], v[24:25], -v[62:63]
	s_delay_alu instid0(VALU_DEP_2) | instskip(NEXT) | instid1(VALU_DEP_1)
	v_fma_f64 v[204:205], v[206:207], v[60:61], v[204:205]
	v_add_f64 v[26:27], v[26:27], -v[204:205]
	ds_load_2addr_b64 v[204:207], v214 offset0:90 offset1:91
	s_waitcnt lgkmcnt(0)
	v_mul_f64 v[62:63], v[206:207], v[212:213]
	s_delay_alu instid0(VALU_DEP_1) | instskip(SKIP_1) | instid1(VALU_DEP_2)
	v_fma_f64 v[62:63], v[204:205], v[60:61], -v[62:63]
	v_mul_f64 v[204:205], v[204:205], v[212:213]
	v_add_f64 v[20:21], v[20:21], -v[62:63]
	s_delay_alu instid0(VALU_DEP_2) | instskip(NEXT) | instid1(VALU_DEP_1)
	v_fma_f64 v[204:205], v[206:207], v[60:61], v[204:205]
	v_add_f64 v[22:23], v[22:23], -v[204:205]
	ds_load_2addr_b64 v[204:207], v214 offset0:92 offset1:93
	s_waitcnt lgkmcnt(0)
	v_mul_f64 v[62:63], v[206:207], v[212:213]
	s_delay_alu instid0(VALU_DEP_1) | instskip(SKIP_1) | instid1(VALU_DEP_2)
	v_fma_f64 v[62:63], v[204:205], v[60:61], -v[62:63]
	v_mul_f64 v[204:205], v[204:205], v[212:213]
	v_add_f64 v[16:17], v[16:17], -v[62:63]
	s_delay_alu instid0(VALU_DEP_2) | instskip(NEXT) | instid1(VALU_DEP_1)
	v_fma_f64 v[204:205], v[206:207], v[60:61], v[204:205]
	v_add_f64 v[18:19], v[18:19], -v[204:205]
	ds_load_2addr_b64 v[204:207], v214 offset0:94 offset1:95
	s_waitcnt lgkmcnt(0)
	v_mul_f64 v[62:63], v[206:207], v[212:213]
	s_delay_alu instid0(VALU_DEP_1) | instskip(SKIP_1) | instid1(VALU_DEP_2)
	v_fma_f64 v[62:63], v[204:205], v[60:61], -v[62:63]
	v_mul_f64 v[204:205], v[204:205], v[212:213]
	v_add_f64 v[12:13], v[12:13], -v[62:63]
	s_delay_alu instid0(VALU_DEP_2) | instskip(NEXT) | instid1(VALU_DEP_1)
	v_fma_f64 v[204:205], v[206:207], v[60:61], v[204:205]
	v_add_f64 v[14:15], v[14:15], -v[204:205]
	ds_load_2addr_b64 v[204:207], v214 offset0:96 offset1:97
	s_waitcnt lgkmcnt(0)
	v_mul_f64 v[62:63], v[206:207], v[212:213]
	s_delay_alu instid0(VALU_DEP_1) | instskip(SKIP_1) | instid1(VALU_DEP_2)
	v_fma_f64 v[62:63], v[204:205], v[60:61], -v[62:63]
	v_mul_f64 v[204:205], v[204:205], v[212:213]
	v_add_f64 v[8:9], v[8:9], -v[62:63]
	s_delay_alu instid0(VALU_DEP_2) | instskip(NEXT) | instid1(VALU_DEP_1)
	v_fma_f64 v[204:205], v[206:207], v[60:61], v[204:205]
	v_add_f64 v[10:11], v[10:11], -v[204:205]
	ds_load_2addr_b64 v[204:207], v214 offset0:98 offset1:99
	s_waitcnt lgkmcnt(0)
	v_mul_f64 v[62:63], v[206:207], v[212:213]
	s_delay_alu instid0(VALU_DEP_1) | instskip(SKIP_1) | instid1(VALU_DEP_2)
	v_fma_f64 v[62:63], v[204:205], v[60:61], -v[62:63]
	v_mul_f64 v[204:205], v[204:205], v[212:213]
	v_add_f64 v[4:5], v[4:5], -v[62:63]
	s_delay_alu instid0(VALU_DEP_2) | instskip(NEXT) | instid1(VALU_DEP_1)
	v_fma_f64 v[204:205], v[206:207], v[60:61], v[204:205]
	v_add_f64 v[6:7], v[6:7], -v[204:205]
	ds_load_2addr_b64 v[204:207], v214 offset0:100 offset1:101
	s_waitcnt lgkmcnt(0)
	v_mul_f64 v[62:63], v[206:207], v[212:213]
	s_delay_alu instid0(VALU_DEP_1) | instskip(SKIP_1) | instid1(VALU_DEP_2)
	v_fma_f64 v[62:63], v[204:205], v[60:61], -v[62:63]
	v_mul_f64 v[204:205], v[204:205], v[212:213]
	v_add_f64 v[0:1], v[0:1], -v[62:63]
	s_delay_alu instid0(VALU_DEP_2) | instskip(SKIP_1) | instid1(VALU_DEP_2)
	v_fma_f64 v[204:205], v[206:207], v[60:61], v[204:205]
	v_dual_mov_b32 v62, v212 :: v_dual_mov_b32 v63, v213
	v_add_f64 v[2:3], v[2:3], -v[204:205]
.LBB100_755:
	s_or_b32 exec_lo, exec_lo, s2
	v_lshl_add_u32 v204, v220, 4, v214
	s_barrier
	buffer_gl0_inv
	v_mov_b32_e32 v212, 36
	ds_store_2addr_b64 v204, v[56:57], v[58:59] offset1:1
	s_waitcnt lgkmcnt(0)
	s_barrier
	buffer_gl0_inv
	ds_load_2addr_b64 v[204:207], v214 offset0:72 offset1:73
	s_cmp_lt_i32 s5, 38
	s_cbranch_scc1 .LBB100_758
; %bb.756:
	v_add3_u32 v213, v218, 0, 0x250
	v_mov_b32_e32 v212, 36
	s_mov_b32 s6, 37
	s_set_inst_prefetch_distance 0x1
	.p2align	6
.LBB100_757:                            ; =>This Inner Loop Header: Depth=1
	ds_load_2addr_b64 v[221:224], v213 offset1:1
	s_waitcnt lgkmcnt(1)
	v_cmp_gt_f64_e32 vcc_lo, 0, v[204:205]
	v_xor_b32_e32 v225, 0x80000000, v205
	v_cmp_gt_f64_e64 s2, 0, v[206:207]
	v_xor_b32_e32 v227, 0x80000000, v207
	v_add_nc_u32_e32 v213, 16, v213
	s_waitcnt lgkmcnt(0)
	v_cmp_gt_f64_e64 s3, 0, v[221:222]
	v_mov_b32_e32 v229, v221
	v_dual_mov_b32 v231, v223 :: v_dual_cndmask_b32 v226, v205, v225
	v_xor_b32_e32 v225, 0x80000000, v222
	v_cndmask_b32_e64 v228, v207, v227, s2
	v_xor_b32_e32 v227, 0x80000000, v224
	s_delay_alu instid0(VALU_DEP_3) | instskip(SKIP_2) | instid1(VALU_DEP_2)
	v_cndmask_b32_e64 v230, v222, v225, s3
	v_cmp_gt_f64_e64 s3, 0, v[223:224]
	v_cndmask_b32_e32 v225, v204, v204, vcc_lo
	v_cndmask_b32_e64 v232, v224, v227, s3
	v_cndmask_b32_e64 v227, v206, v206, s2
	s_delay_alu instid0(VALU_DEP_2) | instskip(NEXT) | instid1(VALU_DEP_2)
	v_add_f64 v[229:230], v[229:230], v[231:232]
	v_add_f64 v[225:226], v[225:226], v[227:228]
	s_delay_alu instid0(VALU_DEP_1) | instskip(SKIP_4) | instid1(SALU_CYCLE_1)
	v_cmp_lt_f64_e32 vcc_lo, v[225:226], v[229:230]
	v_dual_cndmask_b32 v206, v206, v223 :: v_dual_cndmask_b32 v205, v205, v222
	v_dual_cndmask_b32 v204, v204, v221 :: v_dual_cndmask_b32 v207, v207, v224
	v_cndmask_b32_e64 v212, v212, s6, vcc_lo
	s_add_i32 s6, s6, 1
	s_cmp_lg_u32 s5, s6
	s_cbranch_scc1 .LBB100_757
.LBB100_758:
	s_set_inst_prefetch_distance 0x2
	s_waitcnt lgkmcnt(0)
	v_cmp_eq_f64_e32 vcc_lo, 0, v[204:205]
	v_cmp_eq_f64_e64 s2, 0, v[206:207]
	s_delay_alu instid0(VALU_DEP_1) | instskip(NEXT) | instid1(SALU_CYCLE_1)
	s_and_b32 s2, vcc_lo, s2
	s_and_saveexec_b32 s3, s2
	s_delay_alu instid0(SALU_CYCLE_1)
	s_xor_b32 s2, exec_lo, s3
; %bb.759:
	v_cmp_ne_u32_e32 vcc_lo, 0, v217
	v_cndmask_b32_e32 v217, 37, v217, vcc_lo
; %bb.760:
	s_and_not1_saveexec_b32 s3, s2
	s_cbranch_execz .LBB100_766
; %bb.761:
	v_cmp_gt_f64_e32 vcc_lo, 0, v[204:205]
	v_cmp_gt_f64_e64 s2, 0, v[206:207]
	v_xor_b32_e32 v213, 0x80000000, v205
	v_xor_b32_e32 v221, 0x80000000, v207
	s_delay_alu instid0(VALU_DEP_2) | instskip(NEXT) | instid1(VALU_DEP_2)
	v_cndmask_b32_e32 v222, v205, v213, vcc_lo
	v_cndmask_b32_e64 v224, v207, v221, s2
	v_cndmask_b32_e32 v221, v204, v204, vcc_lo
	v_cndmask_b32_e64 v223, v206, v206, s2
	s_mov_b32 s2, exec_lo
	s_delay_alu instid0(VALU_DEP_1)
	v_cmpx_ngt_f64_e32 v[221:222], v[223:224]
	s_xor_b32 s2, exec_lo, s2
	s_cbranch_execz .LBB100_763
; %bb.762:
	v_div_scale_f64 v[221:222], null, v[206:207], v[206:207], v[204:205]
	v_div_scale_f64 v[227:228], vcc_lo, v[204:205], v[206:207], v[204:205]
	s_delay_alu instid0(VALU_DEP_2) | instskip(SKIP_2) | instid1(VALU_DEP_1)
	v_rcp_f64_e32 v[223:224], v[221:222]
	s_waitcnt_depctr 0xfff
	v_fma_f64 v[225:226], -v[221:222], v[223:224], 1.0
	v_fma_f64 v[223:224], v[223:224], v[225:226], v[223:224]
	s_delay_alu instid0(VALU_DEP_1) | instskip(NEXT) | instid1(VALU_DEP_1)
	v_fma_f64 v[225:226], -v[221:222], v[223:224], 1.0
	v_fma_f64 v[223:224], v[223:224], v[225:226], v[223:224]
	s_delay_alu instid0(VALU_DEP_1) | instskip(NEXT) | instid1(VALU_DEP_1)
	v_mul_f64 v[225:226], v[227:228], v[223:224]
	v_fma_f64 v[221:222], -v[221:222], v[225:226], v[227:228]
	s_delay_alu instid0(VALU_DEP_1) | instskip(NEXT) | instid1(VALU_DEP_1)
	v_div_fmas_f64 v[221:222], v[221:222], v[223:224], v[225:226]
	v_div_fixup_f64 v[221:222], v[221:222], v[206:207], v[204:205]
	s_delay_alu instid0(VALU_DEP_1) | instskip(NEXT) | instid1(VALU_DEP_1)
	v_fma_f64 v[204:205], v[204:205], v[221:222], v[206:207]
	v_div_scale_f64 v[206:207], null, v[204:205], v[204:205], 1.0
	s_delay_alu instid0(VALU_DEP_1) | instskip(SKIP_2) | instid1(VALU_DEP_1)
	v_rcp_f64_e32 v[223:224], v[206:207]
	s_waitcnt_depctr 0xfff
	v_fma_f64 v[225:226], -v[206:207], v[223:224], 1.0
	v_fma_f64 v[223:224], v[223:224], v[225:226], v[223:224]
	s_delay_alu instid0(VALU_DEP_1) | instskip(NEXT) | instid1(VALU_DEP_1)
	v_fma_f64 v[225:226], -v[206:207], v[223:224], 1.0
	v_fma_f64 v[223:224], v[223:224], v[225:226], v[223:224]
	v_div_scale_f64 v[225:226], vcc_lo, 1.0, v[204:205], 1.0
	s_delay_alu instid0(VALU_DEP_1) | instskip(NEXT) | instid1(VALU_DEP_1)
	v_mul_f64 v[227:228], v[225:226], v[223:224]
	v_fma_f64 v[206:207], -v[206:207], v[227:228], v[225:226]
	s_delay_alu instid0(VALU_DEP_1) | instskip(NEXT) | instid1(VALU_DEP_1)
	v_div_fmas_f64 v[206:207], v[206:207], v[223:224], v[227:228]
	v_div_fixup_f64 v[206:207], v[206:207], v[204:205], 1.0
	s_delay_alu instid0(VALU_DEP_1)
	v_mul_f64 v[204:205], v[221:222], v[206:207]
	v_xor_b32_e32 v207, 0x80000000, v207
.LBB100_763:
	s_and_not1_saveexec_b32 s2, s2
	s_cbranch_execz .LBB100_765
; %bb.764:
	s_delay_alu instid0(VALU_DEP_1) | instskip(SKIP_1) | instid1(VALU_DEP_2)
	v_div_scale_f64 v[221:222], null, v[204:205], v[204:205], v[206:207]
	v_div_scale_f64 v[227:228], vcc_lo, v[206:207], v[204:205], v[206:207]
	v_rcp_f64_e32 v[223:224], v[221:222]
	s_waitcnt_depctr 0xfff
	v_fma_f64 v[225:226], -v[221:222], v[223:224], 1.0
	s_delay_alu instid0(VALU_DEP_1) | instskip(NEXT) | instid1(VALU_DEP_1)
	v_fma_f64 v[223:224], v[223:224], v[225:226], v[223:224]
	v_fma_f64 v[225:226], -v[221:222], v[223:224], 1.0
	s_delay_alu instid0(VALU_DEP_1) | instskip(NEXT) | instid1(VALU_DEP_1)
	v_fma_f64 v[223:224], v[223:224], v[225:226], v[223:224]
	v_mul_f64 v[225:226], v[227:228], v[223:224]
	s_delay_alu instid0(VALU_DEP_1) | instskip(NEXT) | instid1(VALU_DEP_1)
	v_fma_f64 v[221:222], -v[221:222], v[225:226], v[227:228]
	v_div_fmas_f64 v[221:222], v[221:222], v[223:224], v[225:226]
	s_delay_alu instid0(VALU_DEP_1) | instskip(NEXT) | instid1(VALU_DEP_1)
	v_div_fixup_f64 v[221:222], v[221:222], v[204:205], v[206:207]
	v_fma_f64 v[204:205], v[206:207], v[221:222], v[204:205]
	s_delay_alu instid0(VALU_DEP_1) | instskip(NEXT) | instid1(VALU_DEP_1)
	v_div_scale_f64 v[206:207], null, v[204:205], v[204:205], 1.0
	v_rcp_f64_e32 v[223:224], v[206:207]
	s_waitcnt_depctr 0xfff
	v_fma_f64 v[225:226], -v[206:207], v[223:224], 1.0
	s_delay_alu instid0(VALU_DEP_1) | instskip(NEXT) | instid1(VALU_DEP_1)
	v_fma_f64 v[223:224], v[223:224], v[225:226], v[223:224]
	v_fma_f64 v[225:226], -v[206:207], v[223:224], 1.0
	s_delay_alu instid0(VALU_DEP_1) | instskip(SKIP_1) | instid1(VALU_DEP_1)
	v_fma_f64 v[223:224], v[223:224], v[225:226], v[223:224]
	v_div_scale_f64 v[225:226], vcc_lo, 1.0, v[204:205], 1.0
	v_mul_f64 v[227:228], v[225:226], v[223:224]
	s_delay_alu instid0(VALU_DEP_1) | instskip(NEXT) | instid1(VALU_DEP_1)
	v_fma_f64 v[206:207], -v[206:207], v[227:228], v[225:226]
	v_div_fmas_f64 v[206:207], v[206:207], v[223:224], v[227:228]
	s_delay_alu instid0(VALU_DEP_1) | instskip(NEXT) | instid1(VALU_DEP_1)
	v_div_fixup_f64 v[204:205], v[206:207], v[204:205], 1.0
	v_mul_f64 v[206:207], v[221:222], -v[204:205]
.LBB100_765:
	s_or_b32 exec_lo, exec_lo, s2
.LBB100_766:
	s_delay_alu instid0(SALU_CYCLE_1) | instskip(NEXT) | instid1(SALU_CYCLE_1)
	s_or_b32 exec_lo, exec_lo, s3
	s_mov_b32 s2, exec_lo
	v_cmpx_ne_u32_e64 v220, v212
	s_xor_b32 s2, exec_lo, s2
	s_cbranch_execz .LBB100_772
; %bb.767:
	s_mov_b32 s3, exec_lo
	v_cmpx_eq_u32_e32 36, v220
	s_cbranch_execz .LBB100_771
; %bb.768:
	v_cmp_ne_u32_e32 vcc_lo, 36, v212
	s_xor_b32 s6, s4, -1
	s_delay_alu instid0(SALU_CYCLE_1) | instskip(NEXT) | instid1(SALU_CYCLE_1)
	s_and_b32 s7, s6, vcc_lo
	s_and_saveexec_b32 s6, s7
	s_cbranch_execz .LBB100_770
; %bb.769:
	v_ashrrev_i32_e32 v213, 31, v212
	s_delay_alu instid0(VALU_DEP_1) | instskip(NEXT) | instid1(VALU_DEP_1)
	v_lshlrev_b64 v[219:220], 2, v[212:213]
	v_add_co_u32 v219, vcc_lo, v210, v219
	s_delay_alu instid0(VALU_DEP_2)
	v_add_co_ci_u32_e32 v220, vcc_lo, v211, v220, vcc_lo
	s_clause 0x1
	flat_load_b32 v213, v[219:220]
	flat_load_b32 v221, v[210:211] offset:144
	s_waitcnt vmcnt(1) lgkmcnt(1)
	flat_store_b32 v[210:211], v213 offset:144
	s_waitcnt vmcnt(0) lgkmcnt(1)
	flat_store_b32 v[219:220], v221
.LBB100_770:
	s_or_b32 exec_lo, exec_lo, s6
	v_mov_b32_e32 v220, v212
	v_mov_b32_e32 v219, v212
.LBB100_771:
	s_or_b32 exec_lo, exec_lo, s3
.LBB100_772:
	s_and_not1_saveexec_b32 s2, s2
	s_cbranch_execz .LBB100_774
; %bb.773:
	v_mov_b32_e32 v220, 36
	ds_store_2addr_b64 v214, v[52:53], v[54:55] offset0:74 offset1:75
	ds_store_2addr_b64 v214, v[48:49], v[50:51] offset0:76 offset1:77
	;; [unrolled: 1-line block ×14, first 2 shown]
.LBB100_774:
	s_or_b32 exec_lo, exec_lo, s2
	s_delay_alu instid0(SALU_CYCLE_1)
	s_mov_b32 s2, exec_lo
	s_waitcnt lgkmcnt(0)
	s_waitcnt_vscnt null, 0x0
	s_barrier
	buffer_gl0_inv
	v_cmpx_lt_i32_e32 36, v220
	s_cbranch_execz .LBB100_776
; %bb.775:
	v_mul_f64 v[212:213], v[204:205], v[58:59]
	v_mul_f64 v[58:59], v[206:207], v[58:59]
	s_delay_alu instid0(VALU_DEP_2) | instskip(NEXT) | instid1(VALU_DEP_2)
	v_fma_f64 v[212:213], v[206:207], v[56:57], v[212:213]
	v_fma_f64 v[56:57], v[204:205], v[56:57], -v[58:59]
	ds_load_2addr_b64 v[204:207], v214 offset0:74 offset1:75
	s_waitcnt lgkmcnt(0)
	v_mul_f64 v[58:59], v[206:207], v[212:213]
	s_delay_alu instid0(VALU_DEP_1) | instskip(SKIP_1) | instid1(VALU_DEP_2)
	v_fma_f64 v[58:59], v[204:205], v[56:57], -v[58:59]
	v_mul_f64 v[204:205], v[204:205], v[212:213]
	v_add_f64 v[52:53], v[52:53], -v[58:59]
	s_delay_alu instid0(VALU_DEP_2) | instskip(NEXT) | instid1(VALU_DEP_1)
	v_fma_f64 v[204:205], v[206:207], v[56:57], v[204:205]
	v_add_f64 v[54:55], v[54:55], -v[204:205]
	ds_load_2addr_b64 v[204:207], v214 offset0:76 offset1:77
	s_waitcnt lgkmcnt(0)
	v_mul_f64 v[58:59], v[206:207], v[212:213]
	s_delay_alu instid0(VALU_DEP_1) | instskip(SKIP_1) | instid1(VALU_DEP_2)
	v_fma_f64 v[58:59], v[204:205], v[56:57], -v[58:59]
	v_mul_f64 v[204:205], v[204:205], v[212:213]
	v_add_f64 v[48:49], v[48:49], -v[58:59]
	s_delay_alu instid0(VALU_DEP_2) | instskip(NEXT) | instid1(VALU_DEP_1)
	v_fma_f64 v[204:205], v[206:207], v[56:57], v[204:205]
	v_add_f64 v[50:51], v[50:51], -v[204:205]
	;; [unrolled: 10-line block ×13, first 2 shown]
	ds_load_2addr_b64 v[204:207], v214 offset0:100 offset1:101
	s_waitcnt lgkmcnt(0)
	v_mul_f64 v[58:59], v[206:207], v[212:213]
	s_delay_alu instid0(VALU_DEP_1) | instskip(SKIP_1) | instid1(VALU_DEP_2)
	v_fma_f64 v[58:59], v[204:205], v[56:57], -v[58:59]
	v_mul_f64 v[204:205], v[204:205], v[212:213]
	v_add_f64 v[0:1], v[0:1], -v[58:59]
	s_delay_alu instid0(VALU_DEP_2) | instskip(SKIP_1) | instid1(VALU_DEP_2)
	v_fma_f64 v[204:205], v[206:207], v[56:57], v[204:205]
	v_dual_mov_b32 v58, v212 :: v_dual_mov_b32 v59, v213
	v_add_f64 v[2:3], v[2:3], -v[204:205]
.LBB100_776:
	s_or_b32 exec_lo, exec_lo, s2
	v_lshl_add_u32 v204, v220, 4, v214
	s_barrier
	buffer_gl0_inv
	v_mov_b32_e32 v212, 37
	ds_store_2addr_b64 v204, v[52:53], v[54:55] offset1:1
	s_waitcnt lgkmcnt(0)
	s_barrier
	buffer_gl0_inv
	ds_load_2addr_b64 v[204:207], v214 offset0:74 offset1:75
	s_cmp_lt_i32 s5, 39
	s_cbranch_scc1 .LBB100_779
; %bb.777:
	v_add3_u32 v213, v218, 0, 0x260
	v_mov_b32_e32 v212, 37
	s_mov_b32 s6, 38
	s_set_inst_prefetch_distance 0x1
	.p2align	6
.LBB100_778:                            ; =>This Inner Loop Header: Depth=1
	ds_load_2addr_b64 v[221:224], v213 offset1:1
	s_waitcnt lgkmcnt(1)
	v_cmp_gt_f64_e32 vcc_lo, 0, v[204:205]
	v_xor_b32_e32 v225, 0x80000000, v205
	v_cmp_gt_f64_e64 s2, 0, v[206:207]
	v_xor_b32_e32 v227, 0x80000000, v207
	v_add_nc_u32_e32 v213, 16, v213
	s_waitcnt lgkmcnt(0)
	v_cmp_gt_f64_e64 s3, 0, v[221:222]
	v_mov_b32_e32 v229, v221
	v_dual_mov_b32 v231, v223 :: v_dual_cndmask_b32 v226, v205, v225
	v_xor_b32_e32 v225, 0x80000000, v222
	v_cndmask_b32_e64 v228, v207, v227, s2
	v_xor_b32_e32 v227, 0x80000000, v224
	s_delay_alu instid0(VALU_DEP_3) | instskip(SKIP_2) | instid1(VALU_DEP_2)
	v_cndmask_b32_e64 v230, v222, v225, s3
	v_cmp_gt_f64_e64 s3, 0, v[223:224]
	v_cndmask_b32_e32 v225, v204, v204, vcc_lo
	v_cndmask_b32_e64 v232, v224, v227, s3
	v_cndmask_b32_e64 v227, v206, v206, s2
	s_delay_alu instid0(VALU_DEP_2) | instskip(NEXT) | instid1(VALU_DEP_2)
	v_add_f64 v[229:230], v[229:230], v[231:232]
	v_add_f64 v[225:226], v[225:226], v[227:228]
	s_delay_alu instid0(VALU_DEP_1) | instskip(SKIP_4) | instid1(SALU_CYCLE_1)
	v_cmp_lt_f64_e32 vcc_lo, v[225:226], v[229:230]
	v_dual_cndmask_b32 v206, v206, v223 :: v_dual_cndmask_b32 v205, v205, v222
	v_dual_cndmask_b32 v204, v204, v221 :: v_dual_cndmask_b32 v207, v207, v224
	v_cndmask_b32_e64 v212, v212, s6, vcc_lo
	s_add_i32 s6, s6, 1
	s_cmp_lg_u32 s5, s6
	s_cbranch_scc1 .LBB100_778
.LBB100_779:
	s_set_inst_prefetch_distance 0x2
	s_waitcnt lgkmcnt(0)
	v_cmp_eq_f64_e32 vcc_lo, 0, v[204:205]
	v_cmp_eq_f64_e64 s2, 0, v[206:207]
	s_delay_alu instid0(VALU_DEP_1) | instskip(NEXT) | instid1(SALU_CYCLE_1)
	s_and_b32 s2, vcc_lo, s2
	s_and_saveexec_b32 s3, s2
	s_delay_alu instid0(SALU_CYCLE_1)
	s_xor_b32 s2, exec_lo, s3
; %bb.780:
	v_cmp_ne_u32_e32 vcc_lo, 0, v217
	v_cndmask_b32_e32 v217, 38, v217, vcc_lo
; %bb.781:
	s_and_not1_saveexec_b32 s3, s2
	s_cbranch_execz .LBB100_787
; %bb.782:
	v_cmp_gt_f64_e32 vcc_lo, 0, v[204:205]
	v_cmp_gt_f64_e64 s2, 0, v[206:207]
	v_xor_b32_e32 v213, 0x80000000, v205
	v_xor_b32_e32 v221, 0x80000000, v207
	s_delay_alu instid0(VALU_DEP_2) | instskip(NEXT) | instid1(VALU_DEP_2)
	v_cndmask_b32_e32 v222, v205, v213, vcc_lo
	v_cndmask_b32_e64 v224, v207, v221, s2
	v_cndmask_b32_e32 v221, v204, v204, vcc_lo
	v_cndmask_b32_e64 v223, v206, v206, s2
	s_mov_b32 s2, exec_lo
	s_delay_alu instid0(VALU_DEP_1)
	v_cmpx_ngt_f64_e32 v[221:222], v[223:224]
	s_xor_b32 s2, exec_lo, s2
	s_cbranch_execz .LBB100_784
; %bb.783:
	v_div_scale_f64 v[221:222], null, v[206:207], v[206:207], v[204:205]
	v_div_scale_f64 v[227:228], vcc_lo, v[204:205], v[206:207], v[204:205]
	s_delay_alu instid0(VALU_DEP_2) | instskip(SKIP_2) | instid1(VALU_DEP_1)
	v_rcp_f64_e32 v[223:224], v[221:222]
	s_waitcnt_depctr 0xfff
	v_fma_f64 v[225:226], -v[221:222], v[223:224], 1.0
	v_fma_f64 v[223:224], v[223:224], v[225:226], v[223:224]
	s_delay_alu instid0(VALU_DEP_1) | instskip(NEXT) | instid1(VALU_DEP_1)
	v_fma_f64 v[225:226], -v[221:222], v[223:224], 1.0
	v_fma_f64 v[223:224], v[223:224], v[225:226], v[223:224]
	s_delay_alu instid0(VALU_DEP_1) | instskip(NEXT) | instid1(VALU_DEP_1)
	v_mul_f64 v[225:226], v[227:228], v[223:224]
	v_fma_f64 v[221:222], -v[221:222], v[225:226], v[227:228]
	s_delay_alu instid0(VALU_DEP_1) | instskip(NEXT) | instid1(VALU_DEP_1)
	v_div_fmas_f64 v[221:222], v[221:222], v[223:224], v[225:226]
	v_div_fixup_f64 v[221:222], v[221:222], v[206:207], v[204:205]
	s_delay_alu instid0(VALU_DEP_1) | instskip(NEXT) | instid1(VALU_DEP_1)
	v_fma_f64 v[204:205], v[204:205], v[221:222], v[206:207]
	v_div_scale_f64 v[206:207], null, v[204:205], v[204:205], 1.0
	s_delay_alu instid0(VALU_DEP_1) | instskip(SKIP_2) | instid1(VALU_DEP_1)
	v_rcp_f64_e32 v[223:224], v[206:207]
	s_waitcnt_depctr 0xfff
	v_fma_f64 v[225:226], -v[206:207], v[223:224], 1.0
	v_fma_f64 v[223:224], v[223:224], v[225:226], v[223:224]
	s_delay_alu instid0(VALU_DEP_1) | instskip(NEXT) | instid1(VALU_DEP_1)
	v_fma_f64 v[225:226], -v[206:207], v[223:224], 1.0
	v_fma_f64 v[223:224], v[223:224], v[225:226], v[223:224]
	v_div_scale_f64 v[225:226], vcc_lo, 1.0, v[204:205], 1.0
	s_delay_alu instid0(VALU_DEP_1) | instskip(NEXT) | instid1(VALU_DEP_1)
	v_mul_f64 v[227:228], v[225:226], v[223:224]
	v_fma_f64 v[206:207], -v[206:207], v[227:228], v[225:226]
	s_delay_alu instid0(VALU_DEP_1) | instskip(NEXT) | instid1(VALU_DEP_1)
	v_div_fmas_f64 v[206:207], v[206:207], v[223:224], v[227:228]
	v_div_fixup_f64 v[206:207], v[206:207], v[204:205], 1.0
	s_delay_alu instid0(VALU_DEP_1)
	v_mul_f64 v[204:205], v[221:222], v[206:207]
	v_xor_b32_e32 v207, 0x80000000, v207
.LBB100_784:
	s_and_not1_saveexec_b32 s2, s2
	s_cbranch_execz .LBB100_786
; %bb.785:
	s_delay_alu instid0(VALU_DEP_1) | instskip(SKIP_1) | instid1(VALU_DEP_2)
	v_div_scale_f64 v[221:222], null, v[204:205], v[204:205], v[206:207]
	v_div_scale_f64 v[227:228], vcc_lo, v[206:207], v[204:205], v[206:207]
	v_rcp_f64_e32 v[223:224], v[221:222]
	s_waitcnt_depctr 0xfff
	v_fma_f64 v[225:226], -v[221:222], v[223:224], 1.0
	s_delay_alu instid0(VALU_DEP_1) | instskip(NEXT) | instid1(VALU_DEP_1)
	v_fma_f64 v[223:224], v[223:224], v[225:226], v[223:224]
	v_fma_f64 v[225:226], -v[221:222], v[223:224], 1.0
	s_delay_alu instid0(VALU_DEP_1) | instskip(NEXT) | instid1(VALU_DEP_1)
	v_fma_f64 v[223:224], v[223:224], v[225:226], v[223:224]
	v_mul_f64 v[225:226], v[227:228], v[223:224]
	s_delay_alu instid0(VALU_DEP_1) | instskip(NEXT) | instid1(VALU_DEP_1)
	v_fma_f64 v[221:222], -v[221:222], v[225:226], v[227:228]
	v_div_fmas_f64 v[221:222], v[221:222], v[223:224], v[225:226]
	s_delay_alu instid0(VALU_DEP_1) | instskip(NEXT) | instid1(VALU_DEP_1)
	v_div_fixup_f64 v[221:222], v[221:222], v[204:205], v[206:207]
	v_fma_f64 v[204:205], v[206:207], v[221:222], v[204:205]
	s_delay_alu instid0(VALU_DEP_1) | instskip(NEXT) | instid1(VALU_DEP_1)
	v_div_scale_f64 v[206:207], null, v[204:205], v[204:205], 1.0
	v_rcp_f64_e32 v[223:224], v[206:207]
	s_waitcnt_depctr 0xfff
	v_fma_f64 v[225:226], -v[206:207], v[223:224], 1.0
	s_delay_alu instid0(VALU_DEP_1) | instskip(NEXT) | instid1(VALU_DEP_1)
	v_fma_f64 v[223:224], v[223:224], v[225:226], v[223:224]
	v_fma_f64 v[225:226], -v[206:207], v[223:224], 1.0
	s_delay_alu instid0(VALU_DEP_1) | instskip(SKIP_1) | instid1(VALU_DEP_1)
	v_fma_f64 v[223:224], v[223:224], v[225:226], v[223:224]
	v_div_scale_f64 v[225:226], vcc_lo, 1.0, v[204:205], 1.0
	v_mul_f64 v[227:228], v[225:226], v[223:224]
	s_delay_alu instid0(VALU_DEP_1) | instskip(NEXT) | instid1(VALU_DEP_1)
	v_fma_f64 v[206:207], -v[206:207], v[227:228], v[225:226]
	v_div_fmas_f64 v[206:207], v[206:207], v[223:224], v[227:228]
	s_delay_alu instid0(VALU_DEP_1) | instskip(NEXT) | instid1(VALU_DEP_1)
	v_div_fixup_f64 v[204:205], v[206:207], v[204:205], 1.0
	v_mul_f64 v[206:207], v[221:222], -v[204:205]
.LBB100_786:
	s_or_b32 exec_lo, exec_lo, s2
.LBB100_787:
	s_delay_alu instid0(SALU_CYCLE_1) | instskip(NEXT) | instid1(SALU_CYCLE_1)
	s_or_b32 exec_lo, exec_lo, s3
	s_mov_b32 s2, exec_lo
	v_cmpx_ne_u32_e64 v220, v212
	s_xor_b32 s2, exec_lo, s2
	s_cbranch_execz .LBB100_793
; %bb.788:
	s_mov_b32 s3, exec_lo
	v_cmpx_eq_u32_e32 37, v220
	s_cbranch_execz .LBB100_792
; %bb.789:
	v_cmp_ne_u32_e32 vcc_lo, 37, v212
	s_xor_b32 s6, s4, -1
	s_delay_alu instid0(SALU_CYCLE_1) | instskip(NEXT) | instid1(SALU_CYCLE_1)
	s_and_b32 s7, s6, vcc_lo
	s_and_saveexec_b32 s6, s7
	s_cbranch_execz .LBB100_791
; %bb.790:
	v_ashrrev_i32_e32 v213, 31, v212
	s_delay_alu instid0(VALU_DEP_1) | instskip(NEXT) | instid1(VALU_DEP_1)
	v_lshlrev_b64 v[219:220], 2, v[212:213]
	v_add_co_u32 v219, vcc_lo, v210, v219
	s_delay_alu instid0(VALU_DEP_2)
	v_add_co_ci_u32_e32 v220, vcc_lo, v211, v220, vcc_lo
	s_clause 0x1
	flat_load_b32 v213, v[219:220]
	flat_load_b32 v221, v[210:211] offset:148
	s_waitcnt vmcnt(1) lgkmcnt(1)
	flat_store_b32 v[210:211], v213 offset:148
	s_waitcnt vmcnt(0) lgkmcnt(1)
	flat_store_b32 v[219:220], v221
.LBB100_791:
	s_or_b32 exec_lo, exec_lo, s6
	v_mov_b32_e32 v220, v212
	v_mov_b32_e32 v219, v212
.LBB100_792:
	s_or_b32 exec_lo, exec_lo, s3
.LBB100_793:
	s_and_not1_saveexec_b32 s2, s2
	s_cbranch_execz .LBB100_795
; %bb.794:
	v_mov_b32_e32 v220, 37
	ds_store_2addr_b64 v214, v[48:49], v[50:51] offset0:76 offset1:77
	ds_store_2addr_b64 v214, v[44:45], v[46:47] offset0:78 offset1:79
	ds_store_2addr_b64 v214, v[40:41], v[42:43] offset0:80 offset1:81
	ds_store_2addr_b64 v214, v[36:37], v[38:39] offset0:82 offset1:83
	ds_store_2addr_b64 v214, v[32:33], v[34:35] offset0:84 offset1:85
	ds_store_2addr_b64 v214, v[28:29], v[30:31] offset0:86 offset1:87
	ds_store_2addr_b64 v214, v[24:25], v[26:27] offset0:88 offset1:89
	ds_store_2addr_b64 v214, v[20:21], v[22:23] offset0:90 offset1:91
	ds_store_2addr_b64 v214, v[16:17], v[18:19] offset0:92 offset1:93
	ds_store_2addr_b64 v214, v[12:13], v[14:15] offset0:94 offset1:95
	ds_store_2addr_b64 v214, v[8:9], v[10:11] offset0:96 offset1:97
	ds_store_2addr_b64 v214, v[4:5], v[6:7] offset0:98 offset1:99
	ds_store_2addr_b64 v214, v[0:1], v[2:3] offset0:100 offset1:101
.LBB100_795:
	s_or_b32 exec_lo, exec_lo, s2
	s_delay_alu instid0(SALU_CYCLE_1)
	s_mov_b32 s2, exec_lo
	s_waitcnt lgkmcnt(0)
	s_waitcnt_vscnt null, 0x0
	s_barrier
	buffer_gl0_inv
	v_cmpx_lt_i32_e32 37, v220
	s_cbranch_execz .LBB100_797
; %bb.796:
	v_mul_f64 v[212:213], v[204:205], v[54:55]
	v_mul_f64 v[54:55], v[206:207], v[54:55]
	s_delay_alu instid0(VALU_DEP_2) | instskip(NEXT) | instid1(VALU_DEP_2)
	v_fma_f64 v[212:213], v[206:207], v[52:53], v[212:213]
	v_fma_f64 v[52:53], v[204:205], v[52:53], -v[54:55]
	ds_load_2addr_b64 v[204:207], v214 offset0:76 offset1:77
	s_waitcnt lgkmcnt(0)
	v_mul_f64 v[54:55], v[206:207], v[212:213]
	s_delay_alu instid0(VALU_DEP_1) | instskip(SKIP_1) | instid1(VALU_DEP_2)
	v_fma_f64 v[54:55], v[204:205], v[52:53], -v[54:55]
	v_mul_f64 v[204:205], v[204:205], v[212:213]
	v_add_f64 v[48:49], v[48:49], -v[54:55]
	s_delay_alu instid0(VALU_DEP_2) | instskip(NEXT) | instid1(VALU_DEP_1)
	v_fma_f64 v[204:205], v[206:207], v[52:53], v[204:205]
	v_add_f64 v[50:51], v[50:51], -v[204:205]
	ds_load_2addr_b64 v[204:207], v214 offset0:78 offset1:79
	s_waitcnt lgkmcnt(0)
	v_mul_f64 v[54:55], v[206:207], v[212:213]
	s_delay_alu instid0(VALU_DEP_1) | instskip(SKIP_1) | instid1(VALU_DEP_2)
	v_fma_f64 v[54:55], v[204:205], v[52:53], -v[54:55]
	v_mul_f64 v[204:205], v[204:205], v[212:213]
	v_add_f64 v[44:45], v[44:45], -v[54:55]
	s_delay_alu instid0(VALU_DEP_2) | instskip(NEXT) | instid1(VALU_DEP_1)
	v_fma_f64 v[204:205], v[206:207], v[52:53], v[204:205]
	v_add_f64 v[46:47], v[46:47], -v[204:205]
	;; [unrolled: 10-line block ×12, first 2 shown]
	ds_load_2addr_b64 v[204:207], v214 offset0:100 offset1:101
	s_waitcnt lgkmcnt(0)
	v_mul_f64 v[54:55], v[206:207], v[212:213]
	s_delay_alu instid0(VALU_DEP_1) | instskip(SKIP_1) | instid1(VALU_DEP_2)
	v_fma_f64 v[54:55], v[204:205], v[52:53], -v[54:55]
	v_mul_f64 v[204:205], v[204:205], v[212:213]
	v_add_f64 v[0:1], v[0:1], -v[54:55]
	s_delay_alu instid0(VALU_DEP_2) | instskip(SKIP_1) | instid1(VALU_DEP_2)
	v_fma_f64 v[204:205], v[206:207], v[52:53], v[204:205]
	v_dual_mov_b32 v54, v212 :: v_dual_mov_b32 v55, v213
	v_add_f64 v[2:3], v[2:3], -v[204:205]
.LBB100_797:
	s_or_b32 exec_lo, exec_lo, s2
	v_lshl_add_u32 v204, v220, 4, v214
	s_barrier
	buffer_gl0_inv
	v_mov_b32_e32 v212, 38
	ds_store_2addr_b64 v204, v[48:49], v[50:51] offset1:1
	s_waitcnt lgkmcnt(0)
	s_barrier
	buffer_gl0_inv
	ds_load_2addr_b64 v[204:207], v214 offset0:76 offset1:77
	s_cmp_lt_i32 s5, 40
	s_cbranch_scc1 .LBB100_800
; %bb.798:
	v_add3_u32 v213, v218, 0, 0x270
	v_mov_b32_e32 v212, 38
	s_mov_b32 s6, 39
	s_set_inst_prefetch_distance 0x1
	.p2align	6
.LBB100_799:                            ; =>This Inner Loop Header: Depth=1
	ds_load_2addr_b64 v[221:224], v213 offset1:1
	s_waitcnt lgkmcnt(1)
	v_cmp_gt_f64_e32 vcc_lo, 0, v[204:205]
	v_xor_b32_e32 v225, 0x80000000, v205
	v_cmp_gt_f64_e64 s2, 0, v[206:207]
	v_xor_b32_e32 v227, 0x80000000, v207
	v_add_nc_u32_e32 v213, 16, v213
	s_waitcnt lgkmcnt(0)
	v_cmp_gt_f64_e64 s3, 0, v[221:222]
	v_mov_b32_e32 v229, v221
	v_dual_mov_b32 v231, v223 :: v_dual_cndmask_b32 v226, v205, v225
	v_xor_b32_e32 v225, 0x80000000, v222
	v_cndmask_b32_e64 v228, v207, v227, s2
	v_xor_b32_e32 v227, 0x80000000, v224
	s_delay_alu instid0(VALU_DEP_3) | instskip(SKIP_2) | instid1(VALU_DEP_2)
	v_cndmask_b32_e64 v230, v222, v225, s3
	v_cmp_gt_f64_e64 s3, 0, v[223:224]
	v_cndmask_b32_e32 v225, v204, v204, vcc_lo
	v_cndmask_b32_e64 v232, v224, v227, s3
	v_cndmask_b32_e64 v227, v206, v206, s2
	s_delay_alu instid0(VALU_DEP_2) | instskip(NEXT) | instid1(VALU_DEP_2)
	v_add_f64 v[229:230], v[229:230], v[231:232]
	v_add_f64 v[225:226], v[225:226], v[227:228]
	s_delay_alu instid0(VALU_DEP_1) | instskip(SKIP_4) | instid1(SALU_CYCLE_1)
	v_cmp_lt_f64_e32 vcc_lo, v[225:226], v[229:230]
	v_dual_cndmask_b32 v206, v206, v223 :: v_dual_cndmask_b32 v205, v205, v222
	v_dual_cndmask_b32 v204, v204, v221 :: v_dual_cndmask_b32 v207, v207, v224
	v_cndmask_b32_e64 v212, v212, s6, vcc_lo
	s_add_i32 s6, s6, 1
	s_cmp_lg_u32 s5, s6
	s_cbranch_scc1 .LBB100_799
.LBB100_800:
	s_set_inst_prefetch_distance 0x2
	s_waitcnt lgkmcnt(0)
	v_cmp_eq_f64_e32 vcc_lo, 0, v[204:205]
	v_cmp_eq_f64_e64 s2, 0, v[206:207]
	s_delay_alu instid0(VALU_DEP_1) | instskip(NEXT) | instid1(SALU_CYCLE_1)
	s_and_b32 s2, vcc_lo, s2
	s_and_saveexec_b32 s3, s2
	s_delay_alu instid0(SALU_CYCLE_1)
	s_xor_b32 s2, exec_lo, s3
; %bb.801:
	v_cmp_ne_u32_e32 vcc_lo, 0, v217
	v_cndmask_b32_e32 v217, 39, v217, vcc_lo
; %bb.802:
	s_and_not1_saveexec_b32 s3, s2
	s_cbranch_execz .LBB100_808
; %bb.803:
	v_cmp_gt_f64_e32 vcc_lo, 0, v[204:205]
	v_cmp_gt_f64_e64 s2, 0, v[206:207]
	v_xor_b32_e32 v213, 0x80000000, v205
	v_xor_b32_e32 v221, 0x80000000, v207
	s_delay_alu instid0(VALU_DEP_2) | instskip(NEXT) | instid1(VALU_DEP_2)
	v_cndmask_b32_e32 v222, v205, v213, vcc_lo
	v_cndmask_b32_e64 v224, v207, v221, s2
	v_cndmask_b32_e32 v221, v204, v204, vcc_lo
	v_cndmask_b32_e64 v223, v206, v206, s2
	s_mov_b32 s2, exec_lo
	s_delay_alu instid0(VALU_DEP_1)
	v_cmpx_ngt_f64_e32 v[221:222], v[223:224]
	s_xor_b32 s2, exec_lo, s2
	s_cbranch_execz .LBB100_805
; %bb.804:
	v_div_scale_f64 v[221:222], null, v[206:207], v[206:207], v[204:205]
	v_div_scale_f64 v[227:228], vcc_lo, v[204:205], v[206:207], v[204:205]
	s_delay_alu instid0(VALU_DEP_2) | instskip(SKIP_2) | instid1(VALU_DEP_1)
	v_rcp_f64_e32 v[223:224], v[221:222]
	s_waitcnt_depctr 0xfff
	v_fma_f64 v[225:226], -v[221:222], v[223:224], 1.0
	v_fma_f64 v[223:224], v[223:224], v[225:226], v[223:224]
	s_delay_alu instid0(VALU_DEP_1) | instskip(NEXT) | instid1(VALU_DEP_1)
	v_fma_f64 v[225:226], -v[221:222], v[223:224], 1.0
	v_fma_f64 v[223:224], v[223:224], v[225:226], v[223:224]
	s_delay_alu instid0(VALU_DEP_1) | instskip(NEXT) | instid1(VALU_DEP_1)
	v_mul_f64 v[225:226], v[227:228], v[223:224]
	v_fma_f64 v[221:222], -v[221:222], v[225:226], v[227:228]
	s_delay_alu instid0(VALU_DEP_1) | instskip(NEXT) | instid1(VALU_DEP_1)
	v_div_fmas_f64 v[221:222], v[221:222], v[223:224], v[225:226]
	v_div_fixup_f64 v[221:222], v[221:222], v[206:207], v[204:205]
	s_delay_alu instid0(VALU_DEP_1) | instskip(NEXT) | instid1(VALU_DEP_1)
	v_fma_f64 v[204:205], v[204:205], v[221:222], v[206:207]
	v_div_scale_f64 v[206:207], null, v[204:205], v[204:205], 1.0
	s_delay_alu instid0(VALU_DEP_1) | instskip(SKIP_2) | instid1(VALU_DEP_1)
	v_rcp_f64_e32 v[223:224], v[206:207]
	s_waitcnt_depctr 0xfff
	v_fma_f64 v[225:226], -v[206:207], v[223:224], 1.0
	v_fma_f64 v[223:224], v[223:224], v[225:226], v[223:224]
	s_delay_alu instid0(VALU_DEP_1) | instskip(NEXT) | instid1(VALU_DEP_1)
	v_fma_f64 v[225:226], -v[206:207], v[223:224], 1.0
	v_fma_f64 v[223:224], v[223:224], v[225:226], v[223:224]
	v_div_scale_f64 v[225:226], vcc_lo, 1.0, v[204:205], 1.0
	s_delay_alu instid0(VALU_DEP_1) | instskip(NEXT) | instid1(VALU_DEP_1)
	v_mul_f64 v[227:228], v[225:226], v[223:224]
	v_fma_f64 v[206:207], -v[206:207], v[227:228], v[225:226]
	s_delay_alu instid0(VALU_DEP_1) | instskip(NEXT) | instid1(VALU_DEP_1)
	v_div_fmas_f64 v[206:207], v[206:207], v[223:224], v[227:228]
	v_div_fixup_f64 v[206:207], v[206:207], v[204:205], 1.0
	s_delay_alu instid0(VALU_DEP_1)
	v_mul_f64 v[204:205], v[221:222], v[206:207]
	v_xor_b32_e32 v207, 0x80000000, v207
.LBB100_805:
	s_and_not1_saveexec_b32 s2, s2
	s_cbranch_execz .LBB100_807
; %bb.806:
	s_delay_alu instid0(VALU_DEP_1) | instskip(SKIP_1) | instid1(VALU_DEP_2)
	v_div_scale_f64 v[221:222], null, v[204:205], v[204:205], v[206:207]
	v_div_scale_f64 v[227:228], vcc_lo, v[206:207], v[204:205], v[206:207]
	v_rcp_f64_e32 v[223:224], v[221:222]
	s_waitcnt_depctr 0xfff
	v_fma_f64 v[225:226], -v[221:222], v[223:224], 1.0
	s_delay_alu instid0(VALU_DEP_1) | instskip(NEXT) | instid1(VALU_DEP_1)
	v_fma_f64 v[223:224], v[223:224], v[225:226], v[223:224]
	v_fma_f64 v[225:226], -v[221:222], v[223:224], 1.0
	s_delay_alu instid0(VALU_DEP_1) | instskip(NEXT) | instid1(VALU_DEP_1)
	v_fma_f64 v[223:224], v[223:224], v[225:226], v[223:224]
	v_mul_f64 v[225:226], v[227:228], v[223:224]
	s_delay_alu instid0(VALU_DEP_1) | instskip(NEXT) | instid1(VALU_DEP_1)
	v_fma_f64 v[221:222], -v[221:222], v[225:226], v[227:228]
	v_div_fmas_f64 v[221:222], v[221:222], v[223:224], v[225:226]
	s_delay_alu instid0(VALU_DEP_1) | instskip(NEXT) | instid1(VALU_DEP_1)
	v_div_fixup_f64 v[221:222], v[221:222], v[204:205], v[206:207]
	v_fma_f64 v[204:205], v[206:207], v[221:222], v[204:205]
	s_delay_alu instid0(VALU_DEP_1) | instskip(NEXT) | instid1(VALU_DEP_1)
	v_div_scale_f64 v[206:207], null, v[204:205], v[204:205], 1.0
	v_rcp_f64_e32 v[223:224], v[206:207]
	s_waitcnt_depctr 0xfff
	v_fma_f64 v[225:226], -v[206:207], v[223:224], 1.0
	s_delay_alu instid0(VALU_DEP_1) | instskip(NEXT) | instid1(VALU_DEP_1)
	v_fma_f64 v[223:224], v[223:224], v[225:226], v[223:224]
	v_fma_f64 v[225:226], -v[206:207], v[223:224], 1.0
	s_delay_alu instid0(VALU_DEP_1) | instskip(SKIP_1) | instid1(VALU_DEP_1)
	v_fma_f64 v[223:224], v[223:224], v[225:226], v[223:224]
	v_div_scale_f64 v[225:226], vcc_lo, 1.0, v[204:205], 1.0
	v_mul_f64 v[227:228], v[225:226], v[223:224]
	s_delay_alu instid0(VALU_DEP_1) | instskip(NEXT) | instid1(VALU_DEP_1)
	v_fma_f64 v[206:207], -v[206:207], v[227:228], v[225:226]
	v_div_fmas_f64 v[206:207], v[206:207], v[223:224], v[227:228]
	s_delay_alu instid0(VALU_DEP_1) | instskip(NEXT) | instid1(VALU_DEP_1)
	v_div_fixup_f64 v[204:205], v[206:207], v[204:205], 1.0
	v_mul_f64 v[206:207], v[221:222], -v[204:205]
.LBB100_807:
	s_or_b32 exec_lo, exec_lo, s2
.LBB100_808:
	s_delay_alu instid0(SALU_CYCLE_1) | instskip(NEXT) | instid1(SALU_CYCLE_1)
	s_or_b32 exec_lo, exec_lo, s3
	s_mov_b32 s2, exec_lo
	v_cmpx_ne_u32_e64 v220, v212
	s_xor_b32 s2, exec_lo, s2
	s_cbranch_execz .LBB100_814
; %bb.809:
	s_mov_b32 s3, exec_lo
	v_cmpx_eq_u32_e32 38, v220
	s_cbranch_execz .LBB100_813
; %bb.810:
	v_cmp_ne_u32_e32 vcc_lo, 38, v212
	s_xor_b32 s6, s4, -1
	s_delay_alu instid0(SALU_CYCLE_1) | instskip(NEXT) | instid1(SALU_CYCLE_1)
	s_and_b32 s7, s6, vcc_lo
	s_and_saveexec_b32 s6, s7
	s_cbranch_execz .LBB100_812
; %bb.811:
	v_ashrrev_i32_e32 v213, 31, v212
	s_delay_alu instid0(VALU_DEP_1) | instskip(NEXT) | instid1(VALU_DEP_1)
	v_lshlrev_b64 v[219:220], 2, v[212:213]
	v_add_co_u32 v219, vcc_lo, v210, v219
	s_delay_alu instid0(VALU_DEP_2)
	v_add_co_ci_u32_e32 v220, vcc_lo, v211, v220, vcc_lo
	s_clause 0x1
	flat_load_b32 v213, v[219:220]
	flat_load_b32 v221, v[210:211] offset:152
	s_waitcnt vmcnt(1) lgkmcnt(1)
	flat_store_b32 v[210:211], v213 offset:152
	s_waitcnt vmcnt(0) lgkmcnt(1)
	flat_store_b32 v[219:220], v221
.LBB100_812:
	s_or_b32 exec_lo, exec_lo, s6
	v_mov_b32_e32 v220, v212
	v_mov_b32_e32 v219, v212
.LBB100_813:
	s_or_b32 exec_lo, exec_lo, s3
.LBB100_814:
	s_and_not1_saveexec_b32 s2, s2
	s_cbranch_execz .LBB100_816
; %bb.815:
	v_mov_b32_e32 v220, 38
	ds_store_2addr_b64 v214, v[44:45], v[46:47] offset0:78 offset1:79
	ds_store_2addr_b64 v214, v[40:41], v[42:43] offset0:80 offset1:81
	;; [unrolled: 1-line block ×12, first 2 shown]
.LBB100_816:
	s_or_b32 exec_lo, exec_lo, s2
	s_delay_alu instid0(SALU_CYCLE_1)
	s_mov_b32 s2, exec_lo
	s_waitcnt lgkmcnt(0)
	s_waitcnt_vscnt null, 0x0
	s_barrier
	buffer_gl0_inv
	v_cmpx_lt_i32_e32 38, v220
	s_cbranch_execz .LBB100_818
; %bb.817:
	v_mul_f64 v[212:213], v[204:205], v[50:51]
	v_mul_f64 v[50:51], v[206:207], v[50:51]
	s_delay_alu instid0(VALU_DEP_2) | instskip(NEXT) | instid1(VALU_DEP_2)
	v_fma_f64 v[212:213], v[206:207], v[48:49], v[212:213]
	v_fma_f64 v[48:49], v[204:205], v[48:49], -v[50:51]
	ds_load_2addr_b64 v[204:207], v214 offset0:78 offset1:79
	s_waitcnt lgkmcnt(0)
	v_mul_f64 v[50:51], v[206:207], v[212:213]
	s_delay_alu instid0(VALU_DEP_1) | instskip(SKIP_1) | instid1(VALU_DEP_2)
	v_fma_f64 v[50:51], v[204:205], v[48:49], -v[50:51]
	v_mul_f64 v[204:205], v[204:205], v[212:213]
	v_add_f64 v[44:45], v[44:45], -v[50:51]
	s_delay_alu instid0(VALU_DEP_2) | instskip(NEXT) | instid1(VALU_DEP_1)
	v_fma_f64 v[204:205], v[206:207], v[48:49], v[204:205]
	v_add_f64 v[46:47], v[46:47], -v[204:205]
	ds_load_2addr_b64 v[204:207], v214 offset0:80 offset1:81
	s_waitcnt lgkmcnt(0)
	v_mul_f64 v[50:51], v[206:207], v[212:213]
	s_delay_alu instid0(VALU_DEP_1) | instskip(SKIP_1) | instid1(VALU_DEP_2)
	v_fma_f64 v[50:51], v[204:205], v[48:49], -v[50:51]
	v_mul_f64 v[204:205], v[204:205], v[212:213]
	v_add_f64 v[40:41], v[40:41], -v[50:51]
	s_delay_alu instid0(VALU_DEP_2) | instskip(NEXT) | instid1(VALU_DEP_1)
	v_fma_f64 v[204:205], v[206:207], v[48:49], v[204:205]
	v_add_f64 v[42:43], v[42:43], -v[204:205]
	;; [unrolled: 10-line block ×11, first 2 shown]
	ds_load_2addr_b64 v[204:207], v214 offset0:100 offset1:101
	s_waitcnt lgkmcnt(0)
	v_mul_f64 v[50:51], v[206:207], v[212:213]
	s_delay_alu instid0(VALU_DEP_1) | instskip(SKIP_1) | instid1(VALU_DEP_2)
	v_fma_f64 v[50:51], v[204:205], v[48:49], -v[50:51]
	v_mul_f64 v[204:205], v[204:205], v[212:213]
	v_add_f64 v[0:1], v[0:1], -v[50:51]
	s_delay_alu instid0(VALU_DEP_2) | instskip(SKIP_1) | instid1(VALU_DEP_2)
	v_fma_f64 v[204:205], v[206:207], v[48:49], v[204:205]
	v_dual_mov_b32 v50, v212 :: v_dual_mov_b32 v51, v213
	v_add_f64 v[2:3], v[2:3], -v[204:205]
.LBB100_818:
	s_or_b32 exec_lo, exec_lo, s2
	v_lshl_add_u32 v204, v220, 4, v214
	s_barrier
	buffer_gl0_inv
	v_mov_b32_e32 v212, 39
	ds_store_2addr_b64 v204, v[44:45], v[46:47] offset1:1
	s_waitcnt lgkmcnt(0)
	s_barrier
	buffer_gl0_inv
	ds_load_2addr_b64 v[204:207], v214 offset0:78 offset1:79
	s_cmp_lt_i32 s5, 41
	s_cbranch_scc1 .LBB100_821
; %bb.819:
	v_add3_u32 v213, v218, 0, 0x280
	v_mov_b32_e32 v212, 39
	s_mov_b32 s6, 40
	s_set_inst_prefetch_distance 0x1
	.p2align	6
.LBB100_820:                            ; =>This Inner Loop Header: Depth=1
	ds_load_2addr_b64 v[221:224], v213 offset1:1
	s_waitcnt lgkmcnt(1)
	v_cmp_gt_f64_e32 vcc_lo, 0, v[204:205]
	v_xor_b32_e32 v225, 0x80000000, v205
	v_cmp_gt_f64_e64 s2, 0, v[206:207]
	v_xor_b32_e32 v227, 0x80000000, v207
	v_add_nc_u32_e32 v213, 16, v213
	s_waitcnt lgkmcnt(0)
	v_cmp_gt_f64_e64 s3, 0, v[221:222]
	v_mov_b32_e32 v229, v221
	v_dual_mov_b32 v231, v223 :: v_dual_cndmask_b32 v226, v205, v225
	v_xor_b32_e32 v225, 0x80000000, v222
	v_cndmask_b32_e64 v228, v207, v227, s2
	v_xor_b32_e32 v227, 0x80000000, v224
	s_delay_alu instid0(VALU_DEP_3) | instskip(SKIP_2) | instid1(VALU_DEP_2)
	v_cndmask_b32_e64 v230, v222, v225, s3
	v_cmp_gt_f64_e64 s3, 0, v[223:224]
	v_cndmask_b32_e32 v225, v204, v204, vcc_lo
	v_cndmask_b32_e64 v232, v224, v227, s3
	v_cndmask_b32_e64 v227, v206, v206, s2
	s_delay_alu instid0(VALU_DEP_2) | instskip(NEXT) | instid1(VALU_DEP_2)
	v_add_f64 v[229:230], v[229:230], v[231:232]
	v_add_f64 v[225:226], v[225:226], v[227:228]
	s_delay_alu instid0(VALU_DEP_1) | instskip(SKIP_4) | instid1(SALU_CYCLE_1)
	v_cmp_lt_f64_e32 vcc_lo, v[225:226], v[229:230]
	v_dual_cndmask_b32 v206, v206, v223 :: v_dual_cndmask_b32 v205, v205, v222
	v_dual_cndmask_b32 v204, v204, v221 :: v_dual_cndmask_b32 v207, v207, v224
	v_cndmask_b32_e64 v212, v212, s6, vcc_lo
	s_add_i32 s6, s6, 1
	s_cmp_lg_u32 s5, s6
	s_cbranch_scc1 .LBB100_820
.LBB100_821:
	s_set_inst_prefetch_distance 0x2
	s_waitcnt lgkmcnt(0)
	v_cmp_eq_f64_e32 vcc_lo, 0, v[204:205]
	v_cmp_eq_f64_e64 s2, 0, v[206:207]
	s_delay_alu instid0(VALU_DEP_1) | instskip(NEXT) | instid1(SALU_CYCLE_1)
	s_and_b32 s2, vcc_lo, s2
	s_and_saveexec_b32 s3, s2
	s_delay_alu instid0(SALU_CYCLE_1)
	s_xor_b32 s2, exec_lo, s3
; %bb.822:
	v_cmp_ne_u32_e32 vcc_lo, 0, v217
	v_cndmask_b32_e32 v217, 40, v217, vcc_lo
; %bb.823:
	s_and_not1_saveexec_b32 s3, s2
	s_cbranch_execz .LBB100_829
; %bb.824:
	v_cmp_gt_f64_e32 vcc_lo, 0, v[204:205]
	v_cmp_gt_f64_e64 s2, 0, v[206:207]
	v_xor_b32_e32 v213, 0x80000000, v205
	v_xor_b32_e32 v221, 0x80000000, v207
	s_delay_alu instid0(VALU_DEP_2) | instskip(NEXT) | instid1(VALU_DEP_2)
	v_cndmask_b32_e32 v222, v205, v213, vcc_lo
	v_cndmask_b32_e64 v224, v207, v221, s2
	v_cndmask_b32_e32 v221, v204, v204, vcc_lo
	v_cndmask_b32_e64 v223, v206, v206, s2
	s_mov_b32 s2, exec_lo
	s_delay_alu instid0(VALU_DEP_1)
	v_cmpx_ngt_f64_e32 v[221:222], v[223:224]
	s_xor_b32 s2, exec_lo, s2
	s_cbranch_execz .LBB100_826
; %bb.825:
	v_div_scale_f64 v[221:222], null, v[206:207], v[206:207], v[204:205]
	v_div_scale_f64 v[227:228], vcc_lo, v[204:205], v[206:207], v[204:205]
	s_delay_alu instid0(VALU_DEP_2) | instskip(SKIP_2) | instid1(VALU_DEP_1)
	v_rcp_f64_e32 v[223:224], v[221:222]
	s_waitcnt_depctr 0xfff
	v_fma_f64 v[225:226], -v[221:222], v[223:224], 1.0
	v_fma_f64 v[223:224], v[223:224], v[225:226], v[223:224]
	s_delay_alu instid0(VALU_DEP_1) | instskip(NEXT) | instid1(VALU_DEP_1)
	v_fma_f64 v[225:226], -v[221:222], v[223:224], 1.0
	v_fma_f64 v[223:224], v[223:224], v[225:226], v[223:224]
	s_delay_alu instid0(VALU_DEP_1) | instskip(NEXT) | instid1(VALU_DEP_1)
	v_mul_f64 v[225:226], v[227:228], v[223:224]
	v_fma_f64 v[221:222], -v[221:222], v[225:226], v[227:228]
	s_delay_alu instid0(VALU_DEP_1) | instskip(NEXT) | instid1(VALU_DEP_1)
	v_div_fmas_f64 v[221:222], v[221:222], v[223:224], v[225:226]
	v_div_fixup_f64 v[221:222], v[221:222], v[206:207], v[204:205]
	s_delay_alu instid0(VALU_DEP_1) | instskip(NEXT) | instid1(VALU_DEP_1)
	v_fma_f64 v[204:205], v[204:205], v[221:222], v[206:207]
	v_div_scale_f64 v[206:207], null, v[204:205], v[204:205], 1.0
	s_delay_alu instid0(VALU_DEP_1) | instskip(SKIP_2) | instid1(VALU_DEP_1)
	v_rcp_f64_e32 v[223:224], v[206:207]
	s_waitcnt_depctr 0xfff
	v_fma_f64 v[225:226], -v[206:207], v[223:224], 1.0
	v_fma_f64 v[223:224], v[223:224], v[225:226], v[223:224]
	s_delay_alu instid0(VALU_DEP_1) | instskip(NEXT) | instid1(VALU_DEP_1)
	v_fma_f64 v[225:226], -v[206:207], v[223:224], 1.0
	v_fma_f64 v[223:224], v[223:224], v[225:226], v[223:224]
	v_div_scale_f64 v[225:226], vcc_lo, 1.0, v[204:205], 1.0
	s_delay_alu instid0(VALU_DEP_1) | instskip(NEXT) | instid1(VALU_DEP_1)
	v_mul_f64 v[227:228], v[225:226], v[223:224]
	v_fma_f64 v[206:207], -v[206:207], v[227:228], v[225:226]
	s_delay_alu instid0(VALU_DEP_1) | instskip(NEXT) | instid1(VALU_DEP_1)
	v_div_fmas_f64 v[206:207], v[206:207], v[223:224], v[227:228]
	v_div_fixup_f64 v[206:207], v[206:207], v[204:205], 1.0
	s_delay_alu instid0(VALU_DEP_1)
	v_mul_f64 v[204:205], v[221:222], v[206:207]
	v_xor_b32_e32 v207, 0x80000000, v207
.LBB100_826:
	s_and_not1_saveexec_b32 s2, s2
	s_cbranch_execz .LBB100_828
; %bb.827:
	s_delay_alu instid0(VALU_DEP_1) | instskip(SKIP_1) | instid1(VALU_DEP_2)
	v_div_scale_f64 v[221:222], null, v[204:205], v[204:205], v[206:207]
	v_div_scale_f64 v[227:228], vcc_lo, v[206:207], v[204:205], v[206:207]
	v_rcp_f64_e32 v[223:224], v[221:222]
	s_waitcnt_depctr 0xfff
	v_fma_f64 v[225:226], -v[221:222], v[223:224], 1.0
	s_delay_alu instid0(VALU_DEP_1) | instskip(NEXT) | instid1(VALU_DEP_1)
	v_fma_f64 v[223:224], v[223:224], v[225:226], v[223:224]
	v_fma_f64 v[225:226], -v[221:222], v[223:224], 1.0
	s_delay_alu instid0(VALU_DEP_1) | instskip(NEXT) | instid1(VALU_DEP_1)
	v_fma_f64 v[223:224], v[223:224], v[225:226], v[223:224]
	v_mul_f64 v[225:226], v[227:228], v[223:224]
	s_delay_alu instid0(VALU_DEP_1) | instskip(NEXT) | instid1(VALU_DEP_1)
	v_fma_f64 v[221:222], -v[221:222], v[225:226], v[227:228]
	v_div_fmas_f64 v[221:222], v[221:222], v[223:224], v[225:226]
	s_delay_alu instid0(VALU_DEP_1) | instskip(NEXT) | instid1(VALU_DEP_1)
	v_div_fixup_f64 v[221:222], v[221:222], v[204:205], v[206:207]
	v_fma_f64 v[204:205], v[206:207], v[221:222], v[204:205]
	s_delay_alu instid0(VALU_DEP_1) | instskip(NEXT) | instid1(VALU_DEP_1)
	v_div_scale_f64 v[206:207], null, v[204:205], v[204:205], 1.0
	v_rcp_f64_e32 v[223:224], v[206:207]
	s_waitcnt_depctr 0xfff
	v_fma_f64 v[225:226], -v[206:207], v[223:224], 1.0
	s_delay_alu instid0(VALU_DEP_1) | instskip(NEXT) | instid1(VALU_DEP_1)
	v_fma_f64 v[223:224], v[223:224], v[225:226], v[223:224]
	v_fma_f64 v[225:226], -v[206:207], v[223:224], 1.0
	s_delay_alu instid0(VALU_DEP_1) | instskip(SKIP_1) | instid1(VALU_DEP_1)
	v_fma_f64 v[223:224], v[223:224], v[225:226], v[223:224]
	v_div_scale_f64 v[225:226], vcc_lo, 1.0, v[204:205], 1.0
	v_mul_f64 v[227:228], v[225:226], v[223:224]
	s_delay_alu instid0(VALU_DEP_1) | instskip(NEXT) | instid1(VALU_DEP_1)
	v_fma_f64 v[206:207], -v[206:207], v[227:228], v[225:226]
	v_div_fmas_f64 v[206:207], v[206:207], v[223:224], v[227:228]
	s_delay_alu instid0(VALU_DEP_1) | instskip(NEXT) | instid1(VALU_DEP_1)
	v_div_fixup_f64 v[204:205], v[206:207], v[204:205], 1.0
	v_mul_f64 v[206:207], v[221:222], -v[204:205]
.LBB100_828:
	s_or_b32 exec_lo, exec_lo, s2
.LBB100_829:
	s_delay_alu instid0(SALU_CYCLE_1) | instskip(NEXT) | instid1(SALU_CYCLE_1)
	s_or_b32 exec_lo, exec_lo, s3
	s_mov_b32 s2, exec_lo
	v_cmpx_ne_u32_e64 v220, v212
	s_xor_b32 s2, exec_lo, s2
	s_cbranch_execz .LBB100_835
; %bb.830:
	s_mov_b32 s3, exec_lo
	v_cmpx_eq_u32_e32 39, v220
	s_cbranch_execz .LBB100_834
; %bb.831:
	v_cmp_ne_u32_e32 vcc_lo, 39, v212
	s_xor_b32 s6, s4, -1
	s_delay_alu instid0(SALU_CYCLE_1) | instskip(NEXT) | instid1(SALU_CYCLE_1)
	s_and_b32 s7, s6, vcc_lo
	s_and_saveexec_b32 s6, s7
	s_cbranch_execz .LBB100_833
; %bb.832:
	v_ashrrev_i32_e32 v213, 31, v212
	s_delay_alu instid0(VALU_DEP_1) | instskip(NEXT) | instid1(VALU_DEP_1)
	v_lshlrev_b64 v[219:220], 2, v[212:213]
	v_add_co_u32 v219, vcc_lo, v210, v219
	s_delay_alu instid0(VALU_DEP_2)
	v_add_co_ci_u32_e32 v220, vcc_lo, v211, v220, vcc_lo
	s_clause 0x1
	flat_load_b32 v213, v[219:220]
	flat_load_b32 v221, v[210:211] offset:156
	s_waitcnt vmcnt(1) lgkmcnt(1)
	flat_store_b32 v[210:211], v213 offset:156
	s_waitcnt vmcnt(0) lgkmcnt(1)
	flat_store_b32 v[219:220], v221
.LBB100_833:
	s_or_b32 exec_lo, exec_lo, s6
	v_mov_b32_e32 v220, v212
	v_mov_b32_e32 v219, v212
.LBB100_834:
	s_or_b32 exec_lo, exec_lo, s3
.LBB100_835:
	s_and_not1_saveexec_b32 s2, s2
	s_cbranch_execz .LBB100_837
; %bb.836:
	v_mov_b32_e32 v220, 39
	ds_store_2addr_b64 v214, v[40:41], v[42:43] offset0:80 offset1:81
	ds_store_2addr_b64 v214, v[36:37], v[38:39] offset0:82 offset1:83
	;; [unrolled: 1-line block ×11, first 2 shown]
.LBB100_837:
	s_or_b32 exec_lo, exec_lo, s2
	s_delay_alu instid0(SALU_CYCLE_1)
	s_mov_b32 s2, exec_lo
	s_waitcnt lgkmcnt(0)
	s_waitcnt_vscnt null, 0x0
	s_barrier
	buffer_gl0_inv
	v_cmpx_lt_i32_e32 39, v220
	s_cbranch_execz .LBB100_839
; %bb.838:
	v_mul_f64 v[212:213], v[204:205], v[46:47]
	v_mul_f64 v[46:47], v[206:207], v[46:47]
	s_delay_alu instid0(VALU_DEP_2) | instskip(NEXT) | instid1(VALU_DEP_2)
	v_fma_f64 v[212:213], v[206:207], v[44:45], v[212:213]
	v_fma_f64 v[44:45], v[204:205], v[44:45], -v[46:47]
	ds_load_2addr_b64 v[204:207], v214 offset0:80 offset1:81
	s_waitcnt lgkmcnt(0)
	v_mul_f64 v[46:47], v[206:207], v[212:213]
	s_delay_alu instid0(VALU_DEP_1) | instskip(SKIP_1) | instid1(VALU_DEP_2)
	v_fma_f64 v[46:47], v[204:205], v[44:45], -v[46:47]
	v_mul_f64 v[204:205], v[204:205], v[212:213]
	v_add_f64 v[40:41], v[40:41], -v[46:47]
	s_delay_alu instid0(VALU_DEP_2) | instskip(NEXT) | instid1(VALU_DEP_1)
	v_fma_f64 v[204:205], v[206:207], v[44:45], v[204:205]
	v_add_f64 v[42:43], v[42:43], -v[204:205]
	ds_load_2addr_b64 v[204:207], v214 offset0:82 offset1:83
	s_waitcnt lgkmcnt(0)
	v_mul_f64 v[46:47], v[206:207], v[212:213]
	s_delay_alu instid0(VALU_DEP_1) | instskip(SKIP_1) | instid1(VALU_DEP_2)
	v_fma_f64 v[46:47], v[204:205], v[44:45], -v[46:47]
	v_mul_f64 v[204:205], v[204:205], v[212:213]
	v_add_f64 v[36:37], v[36:37], -v[46:47]
	s_delay_alu instid0(VALU_DEP_2) | instskip(NEXT) | instid1(VALU_DEP_1)
	v_fma_f64 v[204:205], v[206:207], v[44:45], v[204:205]
	v_add_f64 v[38:39], v[38:39], -v[204:205]
	;; [unrolled: 10-line block ×10, first 2 shown]
	ds_load_2addr_b64 v[204:207], v214 offset0:100 offset1:101
	s_waitcnt lgkmcnt(0)
	v_mul_f64 v[46:47], v[206:207], v[212:213]
	s_delay_alu instid0(VALU_DEP_1) | instskip(SKIP_1) | instid1(VALU_DEP_2)
	v_fma_f64 v[46:47], v[204:205], v[44:45], -v[46:47]
	v_mul_f64 v[204:205], v[204:205], v[212:213]
	v_add_f64 v[0:1], v[0:1], -v[46:47]
	s_delay_alu instid0(VALU_DEP_2) | instskip(SKIP_1) | instid1(VALU_DEP_2)
	v_fma_f64 v[204:205], v[206:207], v[44:45], v[204:205]
	v_dual_mov_b32 v46, v212 :: v_dual_mov_b32 v47, v213
	v_add_f64 v[2:3], v[2:3], -v[204:205]
.LBB100_839:
	s_or_b32 exec_lo, exec_lo, s2
	v_lshl_add_u32 v204, v220, 4, v214
	s_barrier
	buffer_gl0_inv
	v_mov_b32_e32 v212, 40
	ds_store_2addr_b64 v204, v[40:41], v[42:43] offset1:1
	s_waitcnt lgkmcnt(0)
	s_barrier
	buffer_gl0_inv
	ds_load_2addr_b64 v[204:207], v214 offset0:80 offset1:81
	s_cmp_lt_i32 s5, 42
	s_cbranch_scc1 .LBB100_842
; %bb.840:
	v_add3_u32 v213, v218, 0, 0x290
	v_mov_b32_e32 v212, 40
	s_mov_b32 s6, 41
	s_set_inst_prefetch_distance 0x1
	.p2align	6
.LBB100_841:                            ; =>This Inner Loop Header: Depth=1
	ds_load_2addr_b64 v[221:224], v213 offset1:1
	s_waitcnt lgkmcnt(1)
	v_cmp_gt_f64_e32 vcc_lo, 0, v[204:205]
	v_xor_b32_e32 v225, 0x80000000, v205
	v_cmp_gt_f64_e64 s2, 0, v[206:207]
	v_xor_b32_e32 v227, 0x80000000, v207
	v_add_nc_u32_e32 v213, 16, v213
	s_waitcnt lgkmcnt(0)
	v_cmp_gt_f64_e64 s3, 0, v[221:222]
	v_mov_b32_e32 v229, v221
	v_dual_mov_b32 v231, v223 :: v_dual_cndmask_b32 v226, v205, v225
	v_xor_b32_e32 v225, 0x80000000, v222
	v_cndmask_b32_e64 v228, v207, v227, s2
	v_xor_b32_e32 v227, 0x80000000, v224
	s_delay_alu instid0(VALU_DEP_3) | instskip(SKIP_2) | instid1(VALU_DEP_2)
	v_cndmask_b32_e64 v230, v222, v225, s3
	v_cmp_gt_f64_e64 s3, 0, v[223:224]
	v_cndmask_b32_e32 v225, v204, v204, vcc_lo
	v_cndmask_b32_e64 v232, v224, v227, s3
	v_cndmask_b32_e64 v227, v206, v206, s2
	s_delay_alu instid0(VALU_DEP_2) | instskip(NEXT) | instid1(VALU_DEP_2)
	v_add_f64 v[229:230], v[229:230], v[231:232]
	v_add_f64 v[225:226], v[225:226], v[227:228]
	s_delay_alu instid0(VALU_DEP_1) | instskip(SKIP_4) | instid1(SALU_CYCLE_1)
	v_cmp_lt_f64_e32 vcc_lo, v[225:226], v[229:230]
	v_dual_cndmask_b32 v206, v206, v223 :: v_dual_cndmask_b32 v205, v205, v222
	v_dual_cndmask_b32 v204, v204, v221 :: v_dual_cndmask_b32 v207, v207, v224
	v_cndmask_b32_e64 v212, v212, s6, vcc_lo
	s_add_i32 s6, s6, 1
	s_cmp_lg_u32 s5, s6
	s_cbranch_scc1 .LBB100_841
.LBB100_842:
	s_set_inst_prefetch_distance 0x2
	s_waitcnt lgkmcnt(0)
	v_cmp_eq_f64_e32 vcc_lo, 0, v[204:205]
	v_cmp_eq_f64_e64 s2, 0, v[206:207]
	s_delay_alu instid0(VALU_DEP_1) | instskip(NEXT) | instid1(SALU_CYCLE_1)
	s_and_b32 s2, vcc_lo, s2
	s_and_saveexec_b32 s3, s2
	s_delay_alu instid0(SALU_CYCLE_1)
	s_xor_b32 s2, exec_lo, s3
; %bb.843:
	v_cmp_ne_u32_e32 vcc_lo, 0, v217
	v_cndmask_b32_e32 v217, 41, v217, vcc_lo
; %bb.844:
	s_and_not1_saveexec_b32 s3, s2
	s_cbranch_execz .LBB100_850
; %bb.845:
	v_cmp_gt_f64_e32 vcc_lo, 0, v[204:205]
	v_cmp_gt_f64_e64 s2, 0, v[206:207]
	v_xor_b32_e32 v213, 0x80000000, v205
	v_xor_b32_e32 v221, 0x80000000, v207
	s_delay_alu instid0(VALU_DEP_2) | instskip(NEXT) | instid1(VALU_DEP_2)
	v_cndmask_b32_e32 v222, v205, v213, vcc_lo
	v_cndmask_b32_e64 v224, v207, v221, s2
	v_cndmask_b32_e32 v221, v204, v204, vcc_lo
	v_cndmask_b32_e64 v223, v206, v206, s2
	s_mov_b32 s2, exec_lo
	s_delay_alu instid0(VALU_DEP_1)
	v_cmpx_ngt_f64_e32 v[221:222], v[223:224]
	s_xor_b32 s2, exec_lo, s2
	s_cbranch_execz .LBB100_847
; %bb.846:
	v_div_scale_f64 v[221:222], null, v[206:207], v[206:207], v[204:205]
	v_div_scale_f64 v[227:228], vcc_lo, v[204:205], v[206:207], v[204:205]
	s_delay_alu instid0(VALU_DEP_2) | instskip(SKIP_2) | instid1(VALU_DEP_1)
	v_rcp_f64_e32 v[223:224], v[221:222]
	s_waitcnt_depctr 0xfff
	v_fma_f64 v[225:226], -v[221:222], v[223:224], 1.0
	v_fma_f64 v[223:224], v[223:224], v[225:226], v[223:224]
	s_delay_alu instid0(VALU_DEP_1) | instskip(NEXT) | instid1(VALU_DEP_1)
	v_fma_f64 v[225:226], -v[221:222], v[223:224], 1.0
	v_fma_f64 v[223:224], v[223:224], v[225:226], v[223:224]
	s_delay_alu instid0(VALU_DEP_1) | instskip(NEXT) | instid1(VALU_DEP_1)
	v_mul_f64 v[225:226], v[227:228], v[223:224]
	v_fma_f64 v[221:222], -v[221:222], v[225:226], v[227:228]
	s_delay_alu instid0(VALU_DEP_1) | instskip(NEXT) | instid1(VALU_DEP_1)
	v_div_fmas_f64 v[221:222], v[221:222], v[223:224], v[225:226]
	v_div_fixup_f64 v[221:222], v[221:222], v[206:207], v[204:205]
	s_delay_alu instid0(VALU_DEP_1) | instskip(NEXT) | instid1(VALU_DEP_1)
	v_fma_f64 v[204:205], v[204:205], v[221:222], v[206:207]
	v_div_scale_f64 v[206:207], null, v[204:205], v[204:205], 1.0
	s_delay_alu instid0(VALU_DEP_1) | instskip(SKIP_2) | instid1(VALU_DEP_1)
	v_rcp_f64_e32 v[223:224], v[206:207]
	s_waitcnt_depctr 0xfff
	v_fma_f64 v[225:226], -v[206:207], v[223:224], 1.0
	v_fma_f64 v[223:224], v[223:224], v[225:226], v[223:224]
	s_delay_alu instid0(VALU_DEP_1) | instskip(NEXT) | instid1(VALU_DEP_1)
	v_fma_f64 v[225:226], -v[206:207], v[223:224], 1.0
	v_fma_f64 v[223:224], v[223:224], v[225:226], v[223:224]
	v_div_scale_f64 v[225:226], vcc_lo, 1.0, v[204:205], 1.0
	s_delay_alu instid0(VALU_DEP_1) | instskip(NEXT) | instid1(VALU_DEP_1)
	v_mul_f64 v[227:228], v[225:226], v[223:224]
	v_fma_f64 v[206:207], -v[206:207], v[227:228], v[225:226]
	s_delay_alu instid0(VALU_DEP_1) | instskip(NEXT) | instid1(VALU_DEP_1)
	v_div_fmas_f64 v[206:207], v[206:207], v[223:224], v[227:228]
	v_div_fixup_f64 v[206:207], v[206:207], v[204:205], 1.0
	s_delay_alu instid0(VALU_DEP_1)
	v_mul_f64 v[204:205], v[221:222], v[206:207]
	v_xor_b32_e32 v207, 0x80000000, v207
.LBB100_847:
	s_and_not1_saveexec_b32 s2, s2
	s_cbranch_execz .LBB100_849
; %bb.848:
	s_delay_alu instid0(VALU_DEP_1) | instskip(SKIP_1) | instid1(VALU_DEP_2)
	v_div_scale_f64 v[221:222], null, v[204:205], v[204:205], v[206:207]
	v_div_scale_f64 v[227:228], vcc_lo, v[206:207], v[204:205], v[206:207]
	v_rcp_f64_e32 v[223:224], v[221:222]
	s_waitcnt_depctr 0xfff
	v_fma_f64 v[225:226], -v[221:222], v[223:224], 1.0
	s_delay_alu instid0(VALU_DEP_1) | instskip(NEXT) | instid1(VALU_DEP_1)
	v_fma_f64 v[223:224], v[223:224], v[225:226], v[223:224]
	v_fma_f64 v[225:226], -v[221:222], v[223:224], 1.0
	s_delay_alu instid0(VALU_DEP_1) | instskip(NEXT) | instid1(VALU_DEP_1)
	v_fma_f64 v[223:224], v[223:224], v[225:226], v[223:224]
	v_mul_f64 v[225:226], v[227:228], v[223:224]
	s_delay_alu instid0(VALU_DEP_1) | instskip(NEXT) | instid1(VALU_DEP_1)
	v_fma_f64 v[221:222], -v[221:222], v[225:226], v[227:228]
	v_div_fmas_f64 v[221:222], v[221:222], v[223:224], v[225:226]
	s_delay_alu instid0(VALU_DEP_1) | instskip(NEXT) | instid1(VALU_DEP_1)
	v_div_fixup_f64 v[221:222], v[221:222], v[204:205], v[206:207]
	v_fma_f64 v[204:205], v[206:207], v[221:222], v[204:205]
	s_delay_alu instid0(VALU_DEP_1) | instskip(NEXT) | instid1(VALU_DEP_1)
	v_div_scale_f64 v[206:207], null, v[204:205], v[204:205], 1.0
	v_rcp_f64_e32 v[223:224], v[206:207]
	s_waitcnt_depctr 0xfff
	v_fma_f64 v[225:226], -v[206:207], v[223:224], 1.0
	s_delay_alu instid0(VALU_DEP_1) | instskip(NEXT) | instid1(VALU_DEP_1)
	v_fma_f64 v[223:224], v[223:224], v[225:226], v[223:224]
	v_fma_f64 v[225:226], -v[206:207], v[223:224], 1.0
	s_delay_alu instid0(VALU_DEP_1) | instskip(SKIP_1) | instid1(VALU_DEP_1)
	v_fma_f64 v[223:224], v[223:224], v[225:226], v[223:224]
	v_div_scale_f64 v[225:226], vcc_lo, 1.0, v[204:205], 1.0
	v_mul_f64 v[227:228], v[225:226], v[223:224]
	s_delay_alu instid0(VALU_DEP_1) | instskip(NEXT) | instid1(VALU_DEP_1)
	v_fma_f64 v[206:207], -v[206:207], v[227:228], v[225:226]
	v_div_fmas_f64 v[206:207], v[206:207], v[223:224], v[227:228]
	s_delay_alu instid0(VALU_DEP_1) | instskip(NEXT) | instid1(VALU_DEP_1)
	v_div_fixup_f64 v[204:205], v[206:207], v[204:205], 1.0
	v_mul_f64 v[206:207], v[221:222], -v[204:205]
.LBB100_849:
	s_or_b32 exec_lo, exec_lo, s2
.LBB100_850:
	s_delay_alu instid0(SALU_CYCLE_1) | instskip(NEXT) | instid1(SALU_CYCLE_1)
	s_or_b32 exec_lo, exec_lo, s3
	s_mov_b32 s2, exec_lo
	v_cmpx_ne_u32_e64 v220, v212
	s_xor_b32 s2, exec_lo, s2
	s_cbranch_execz .LBB100_856
; %bb.851:
	s_mov_b32 s3, exec_lo
	v_cmpx_eq_u32_e32 40, v220
	s_cbranch_execz .LBB100_855
; %bb.852:
	v_cmp_ne_u32_e32 vcc_lo, 40, v212
	s_xor_b32 s6, s4, -1
	s_delay_alu instid0(SALU_CYCLE_1) | instskip(NEXT) | instid1(SALU_CYCLE_1)
	s_and_b32 s7, s6, vcc_lo
	s_and_saveexec_b32 s6, s7
	s_cbranch_execz .LBB100_854
; %bb.853:
	v_ashrrev_i32_e32 v213, 31, v212
	s_delay_alu instid0(VALU_DEP_1) | instskip(NEXT) | instid1(VALU_DEP_1)
	v_lshlrev_b64 v[219:220], 2, v[212:213]
	v_add_co_u32 v219, vcc_lo, v210, v219
	s_delay_alu instid0(VALU_DEP_2)
	v_add_co_ci_u32_e32 v220, vcc_lo, v211, v220, vcc_lo
	s_clause 0x1
	flat_load_b32 v213, v[219:220]
	flat_load_b32 v221, v[210:211] offset:160
	s_waitcnt vmcnt(1) lgkmcnt(1)
	flat_store_b32 v[210:211], v213 offset:160
	s_waitcnt vmcnt(0) lgkmcnt(1)
	flat_store_b32 v[219:220], v221
.LBB100_854:
	s_or_b32 exec_lo, exec_lo, s6
	v_mov_b32_e32 v220, v212
	v_mov_b32_e32 v219, v212
.LBB100_855:
	s_or_b32 exec_lo, exec_lo, s3
.LBB100_856:
	s_and_not1_saveexec_b32 s2, s2
	s_cbranch_execz .LBB100_858
; %bb.857:
	v_mov_b32_e32 v220, 40
	ds_store_2addr_b64 v214, v[36:37], v[38:39] offset0:82 offset1:83
	ds_store_2addr_b64 v214, v[32:33], v[34:35] offset0:84 offset1:85
	;; [unrolled: 1-line block ×10, first 2 shown]
.LBB100_858:
	s_or_b32 exec_lo, exec_lo, s2
	s_delay_alu instid0(SALU_CYCLE_1)
	s_mov_b32 s2, exec_lo
	s_waitcnt lgkmcnt(0)
	s_waitcnt_vscnt null, 0x0
	s_barrier
	buffer_gl0_inv
	v_cmpx_lt_i32_e32 40, v220
	s_cbranch_execz .LBB100_860
; %bb.859:
	v_mul_f64 v[212:213], v[204:205], v[42:43]
	v_mul_f64 v[42:43], v[206:207], v[42:43]
	s_delay_alu instid0(VALU_DEP_2) | instskip(NEXT) | instid1(VALU_DEP_2)
	v_fma_f64 v[212:213], v[206:207], v[40:41], v[212:213]
	v_fma_f64 v[40:41], v[204:205], v[40:41], -v[42:43]
	ds_load_2addr_b64 v[204:207], v214 offset0:82 offset1:83
	s_waitcnt lgkmcnt(0)
	v_mul_f64 v[42:43], v[206:207], v[212:213]
	s_delay_alu instid0(VALU_DEP_1) | instskip(SKIP_1) | instid1(VALU_DEP_2)
	v_fma_f64 v[42:43], v[204:205], v[40:41], -v[42:43]
	v_mul_f64 v[204:205], v[204:205], v[212:213]
	v_add_f64 v[36:37], v[36:37], -v[42:43]
	s_delay_alu instid0(VALU_DEP_2) | instskip(NEXT) | instid1(VALU_DEP_1)
	v_fma_f64 v[204:205], v[206:207], v[40:41], v[204:205]
	v_add_f64 v[38:39], v[38:39], -v[204:205]
	ds_load_2addr_b64 v[204:207], v214 offset0:84 offset1:85
	s_waitcnt lgkmcnt(0)
	v_mul_f64 v[42:43], v[206:207], v[212:213]
	s_delay_alu instid0(VALU_DEP_1) | instskip(SKIP_1) | instid1(VALU_DEP_2)
	v_fma_f64 v[42:43], v[204:205], v[40:41], -v[42:43]
	v_mul_f64 v[204:205], v[204:205], v[212:213]
	v_add_f64 v[32:33], v[32:33], -v[42:43]
	s_delay_alu instid0(VALU_DEP_2) | instskip(NEXT) | instid1(VALU_DEP_1)
	v_fma_f64 v[204:205], v[206:207], v[40:41], v[204:205]
	v_add_f64 v[34:35], v[34:35], -v[204:205]
	;; [unrolled: 10-line block ×9, first 2 shown]
	ds_load_2addr_b64 v[204:207], v214 offset0:100 offset1:101
	s_waitcnt lgkmcnt(0)
	v_mul_f64 v[42:43], v[206:207], v[212:213]
	s_delay_alu instid0(VALU_DEP_1) | instskip(SKIP_1) | instid1(VALU_DEP_2)
	v_fma_f64 v[42:43], v[204:205], v[40:41], -v[42:43]
	v_mul_f64 v[204:205], v[204:205], v[212:213]
	v_add_f64 v[0:1], v[0:1], -v[42:43]
	s_delay_alu instid0(VALU_DEP_2) | instskip(SKIP_1) | instid1(VALU_DEP_2)
	v_fma_f64 v[204:205], v[206:207], v[40:41], v[204:205]
	v_dual_mov_b32 v42, v212 :: v_dual_mov_b32 v43, v213
	v_add_f64 v[2:3], v[2:3], -v[204:205]
.LBB100_860:
	s_or_b32 exec_lo, exec_lo, s2
	v_lshl_add_u32 v204, v220, 4, v214
	s_barrier
	buffer_gl0_inv
	v_mov_b32_e32 v212, 41
	ds_store_2addr_b64 v204, v[36:37], v[38:39] offset1:1
	s_waitcnt lgkmcnt(0)
	s_barrier
	buffer_gl0_inv
	ds_load_2addr_b64 v[204:207], v214 offset0:82 offset1:83
	s_cmp_lt_i32 s5, 43
	s_cbranch_scc1 .LBB100_863
; %bb.861:
	v_add3_u32 v213, v218, 0, 0x2a0
	v_mov_b32_e32 v212, 41
	s_mov_b32 s6, 42
	s_set_inst_prefetch_distance 0x1
	.p2align	6
.LBB100_862:                            ; =>This Inner Loop Header: Depth=1
	ds_load_2addr_b64 v[221:224], v213 offset1:1
	s_waitcnt lgkmcnt(1)
	v_cmp_gt_f64_e32 vcc_lo, 0, v[204:205]
	v_xor_b32_e32 v225, 0x80000000, v205
	v_cmp_gt_f64_e64 s2, 0, v[206:207]
	v_xor_b32_e32 v227, 0x80000000, v207
	v_add_nc_u32_e32 v213, 16, v213
	s_waitcnt lgkmcnt(0)
	v_cmp_gt_f64_e64 s3, 0, v[221:222]
	v_mov_b32_e32 v229, v221
	v_dual_mov_b32 v231, v223 :: v_dual_cndmask_b32 v226, v205, v225
	v_xor_b32_e32 v225, 0x80000000, v222
	v_cndmask_b32_e64 v228, v207, v227, s2
	v_xor_b32_e32 v227, 0x80000000, v224
	s_delay_alu instid0(VALU_DEP_3) | instskip(SKIP_2) | instid1(VALU_DEP_2)
	v_cndmask_b32_e64 v230, v222, v225, s3
	v_cmp_gt_f64_e64 s3, 0, v[223:224]
	v_cndmask_b32_e32 v225, v204, v204, vcc_lo
	v_cndmask_b32_e64 v232, v224, v227, s3
	v_cndmask_b32_e64 v227, v206, v206, s2
	s_delay_alu instid0(VALU_DEP_2) | instskip(NEXT) | instid1(VALU_DEP_2)
	v_add_f64 v[229:230], v[229:230], v[231:232]
	v_add_f64 v[225:226], v[225:226], v[227:228]
	s_delay_alu instid0(VALU_DEP_1) | instskip(SKIP_4) | instid1(SALU_CYCLE_1)
	v_cmp_lt_f64_e32 vcc_lo, v[225:226], v[229:230]
	v_dual_cndmask_b32 v206, v206, v223 :: v_dual_cndmask_b32 v205, v205, v222
	v_dual_cndmask_b32 v204, v204, v221 :: v_dual_cndmask_b32 v207, v207, v224
	v_cndmask_b32_e64 v212, v212, s6, vcc_lo
	s_add_i32 s6, s6, 1
	s_cmp_lg_u32 s5, s6
	s_cbranch_scc1 .LBB100_862
.LBB100_863:
	s_set_inst_prefetch_distance 0x2
	s_waitcnt lgkmcnt(0)
	v_cmp_eq_f64_e32 vcc_lo, 0, v[204:205]
	v_cmp_eq_f64_e64 s2, 0, v[206:207]
	s_delay_alu instid0(VALU_DEP_1) | instskip(NEXT) | instid1(SALU_CYCLE_1)
	s_and_b32 s2, vcc_lo, s2
	s_and_saveexec_b32 s3, s2
	s_delay_alu instid0(SALU_CYCLE_1)
	s_xor_b32 s2, exec_lo, s3
; %bb.864:
	v_cmp_ne_u32_e32 vcc_lo, 0, v217
	v_cndmask_b32_e32 v217, 42, v217, vcc_lo
; %bb.865:
	s_and_not1_saveexec_b32 s3, s2
	s_cbranch_execz .LBB100_871
; %bb.866:
	v_cmp_gt_f64_e32 vcc_lo, 0, v[204:205]
	v_cmp_gt_f64_e64 s2, 0, v[206:207]
	v_xor_b32_e32 v213, 0x80000000, v205
	v_xor_b32_e32 v221, 0x80000000, v207
	s_delay_alu instid0(VALU_DEP_2) | instskip(NEXT) | instid1(VALU_DEP_2)
	v_cndmask_b32_e32 v222, v205, v213, vcc_lo
	v_cndmask_b32_e64 v224, v207, v221, s2
	v_cndmask_b32_e32 v221, v204, v204, vcc_lo
	v_cndmask_b32_e64 v223, v206, v206, s2
	s_mov_b32 s2, exec_lo
	s_delay_alu instid0(VALU_DEP_1)
	v_cmpx_ngt_f64_e32 v[221:222], v[223:224]
	s_xor_b32 s2, exec_lo, s2
	s_cbranch_execz .LBB100_868
; %bb.867:
	v_div_scale_f64 v[221:222], null, v[206:207], v[206:207], v[204:205]
	v_div_scale_f64 v[227:228], vcc_lo, v[204:205], v[206:207], v[204:205]
	s_delay_alu instid0(VALU_DEP_2) | instskip(SKIP_2) | instid1(VALU_DEP_1)
	v_rcp_f64_e32 v[223:224], v[221:222]
	s_waitcnt_depctr 0xfff
	v_fma_f64 v[225:226], -v[221:222], v[223:224], 1.0
	v_fma_f64 v[223:224], v[223:224], v[225:226], v[223:224]
	s_delay_alu instid0(VALU_DEP_1) | instskip(NEXT) | instid1(VALU_DEP_1)
	v_fma_f64 v[225:226], -v[221:222], v[223:224], 1.0
	v_fma_f64 v[223:224], v[223:224], v[225:226], v[223:224]
	s_delay_alu instid0(VALU_DEP_1) | instskip(NEXT) | instid1(VALU_DEP_1)
	v_mul_f64 v[225:226], v[227:228], v[223:224]
	v_fma_f64 v[221:222], -v[221:222], v[225:226], v[227:228]
	s_delay_alu instid0(VALU_DEP_1) | instskip(NEXT) | instid1(VALU_DEP_1)
	v_div_fmas_f64 v[221:222], v[221:222], v[223:224], v[225:226]
	v_div_fixup_f64 v[221:222], v[221:222], v[206:207], v[204:205]
	s_delay_alu instid0(VALU_DEP_1) | instskip(NEXT) | instid1(VALU_DEP_1)
	v_fma_f64 v[204:205], v[204:205], v[221:222], v[206:207]
	v_div_scale_f64 v[206:207], null, v[204:205], v[204:205], 1.0
	s_delay_alu instid0(VALU_DEP_1) | instskip(SKIP_2) | instid1(VALU_DEP_1)
	v_rcp_f64_e32 v[223:224], v[206:207]
	s_waitcnt_depctr 0xfff
	v_fma_f64 v[225:226], -v[206:207], v[223:224], 1.0
	v_fma_f64 v[223:224], v[223:224], v[225:226], v[223:224]
	s_delay_alu instid0(VALU_DEP_1) | instskip(NEXT) | instid1(VALU_DEP_1)
	v_fma_f64 v[225:226], -v[206:207], v[223:224], 1.0
	v_fma_f64 v[223:224], v[223:224], v[225:226], v[223:224]
	v_div_scale_f64 v[225:226], vcc_lo, 1.0, v[204:205], 1.0
	s_delay_alu instid0(VALU_DEP_1) | instskip(NEXT) | instid1(VALU_DEP_1)
	v_mul_f64 v[227:228], v[225:226], v[223:224]
	v_fma_f64 v[206:207], -v[206:207], v[227:228], v[225:226]
	s_delay_alu instid0(VALU_DEP_1) | instskip(NEXT) | instid1(VALU_DEP_1)
	v_div_fmas_f64 v[206:207], v[206:207], v[223:224], v[227:228]
	v_div_fixup_f64 v[206:207], v[206:207], v[204:205], 1.0
	s_delay_alu instid0(VALU_DEP_1)
	v_mul_f64 v[204:205], v[221:222], v[206:207]
	v_xor_b32_e32 v207, 0x80000000, v207
.LBB100_868:
	s_and_not1_saveexec_b32 s2, s2
	s_cbranch_execz .LBB100_870
; %bb.869:
	s_delay_alu instid0(VALU_DEP_1) | instskip(SKIP_1) | instid1(VALU_DEP_2)
	v_div_scale_f64 v[221:222], null, v[204:205], v[204:205], v[206:207]
	v_div_scale_f64 v[227:228], vcc_lo, v[206:207], v[204:205], v[206:207]
	v_rcp_f64_e32 v[223:224], v[221:222]
	s_waitcnt_depctr 0xfff
	v_fma_f64 v[225:226], -v[221:222], v[223:224], 1.0
	s_delay_alu instid0(VALU_DEP_1) | instskip(NEXT) | instid1(VALU_DEP_1)
	v_fma_f64 v[223:224], v[223:224], v[225:226], v[223:224]
	v_fma_f64 v[225:226], -v[221:222], v[223:224], 1.0
	s_delay_alu instid0(VALU_DEP_1) | instskip(NEXT) | instid1(VALU_DEP_1)
	v_fma_f64 v[223:224], v[223:224], v[225:226], v[223:224]
	v_mul_f64 v[225:226], v[227:228], v[223:224]
	s_delay_alu instid0(VALU_DEP_1) | instskip(NEXT) | instid1(VALU_DEP_1)
	v_fma_f64 v[221:222], -v[221:222], v[225:226], v[227:228]
	v_div_fmas_f64 v[221:222], v[221:222], v[223:224], v[225:226]
	s_delay_alu instid0(VALU_DEP_1) | instskip(NEXT) | instid1(VALU_DEP_1)
	v_div_fixup_f64 v[221:222], v[221:222], v[204:205], v[206:207]
	v_fma_f64 v[204:205], v[206:207], v[221:222], v[204:205]
	s_delay_alu instid0(VALU_DEP_1) | instskip(NEXT) | instid1(VALU_DEP_1)
	v_div_scale_f64 v[206:207], null, v[204:205], v[204:205], 1.0
	v_rcp_f64_e32 v[223:224], v[206:207]
	s_waitcnt_depctr 0xfff
	v_fma_f64 v[225:226], -v[206:207], v[223:224], 1.0
	s_delay_alu instid0(VALU_DEP_1) | instskip(NEXT) | instid1(VALU_DEP_1)
	v_fma_f64 v[223:224], v[223:224], v[225:226], v[223:224]
	v_fma_f64 v[225:226], -v[206:207], v[223:224], 1.0
	s_delay_alu instid0(VALU_DEP_1) | instskip(SKIP_1) | instid1(VALU_DEP_1)
	v_fma_f64 v[223:224], v[223:224], v[225:226], v[223:224]
	v_div_scale_f64 v[225:226], vcc_lo, 1.0, v[204:205], 1.0
	v_mul_f64 v[227:228], v[225:226], v[223:224]
	s_delay_alu instid0(VALU_DEP_1) | instskip(NEXT) | instid1(VALU_DEP_1)
	v_fma_f64 v[206:207], -v[206:207], v[227:228], v[225:226]
	v_div_fmas_f64 v[206:207], v[206:207], v[223:224], v[227:228]
	s_delay_alu instid0(VALU_DEP_1) | instskip(NEXT) | instid1(VALU_DEP_1)
	v_div_fixup_f64 v[204:205], v[206:207], v[204:205], 1.0
	v_mul_f64 v[206:207], v[221:222], -v[204:205]
.LBB100_870:
	s_or_b32 exec_lo, exec_lo, s2
.LBB100_871:
	s_delay_alu instid0(SALU_CYCLE_1) | instskip(NEXT) | instid1(SALU_CYCLE_1)
	s_or_b32 exec_lo, exec_lo, s3
	s_mov_b32 s2, exec_lo
	v_cmpx_ne_u32_e64 v220, v212
	s_xor_b32 s2, exec_lo, s2
	s_cbranch_execz .LBB100_877
; %bb.872:
	s_mov_b32 s3, exec_lo
	v_cmpx_eq_u32_e32 41, v220
	s_cbranch_execz .LBB100_876
; %bb.873:
	v_cmp_ne_u32_e32 vcc_lo, 41, v212
	s_xor_b32 s6, s4, -1
	s_delay_alu instid0(SALU_CYCLE_1) | instskip(NEXT) | instid1(SALU_CYCLE_1)
	s_and_b32 s7, s6, vcc_lo
	s_and_saveexec_b32 s6, s7
	s_cbranch_execz .LBB100_875
; %bb.874:
	v_ashrrev_i32_e32 v213, 31, v212
	s_delay_alu instid0(VALU_DEP_1) | instskip(NEXT) | instid1(VALU_DEP_1)
	v_lshlrev_b64 v[219:220], 2, v[212:213]
	v_add_co_u32 v219, vcc_lo, v210, v219
	s_delay_alu instid0(VALU_DEP_2)
	v_add_co_ci_u32_e32 v220, vcc_lo, v211, v220, vcc_lo
	s_clause 0x1
	flat_load_b32 v213, v[219:220]
	flat_load_b32 v221, v[210:211] offset:164
	s_waitcnt vmcnt(1) lgkmcnt(1)
	flat_store_b32 v[210:211], v213 offset:164
	s_waitcnt vmcnt(0) lgkmcnt(1)
	flat_store_b32 v[219:220], v221
.LBB100_875:
	s_or_b32 exec_lo, exec_lo, s6
	v_mov_b32_e32 v220, v212
	v_mov_b32_e32 v219, v212
.LBB100_876:
	s_or_b32 exec_lo, exec_lo, s3
.LBB100_877:
	s_and_not1_saveexec_b32 s2, s2
	s_cbranch_execz .LBB100_879
; %bb.878:
	v_mov_b32_e32 v220, 41
	ds_store_2addr_b64 v214, v[32:33], v[34:35] offset0:84 offset1:85
	ds_store_2addr_b64 v214, v[28:29], v[30:31] offset0:86 offset1:87
	;; [unrolled: 1-line block ×9, first 2 shown]
.LBB100_879:
	s_or_b32 exec_lo, exec_lo, s2
	s_delay_alu instid0(SALU_CYCLE_1)
	s_mov_b32 s2, exec_lo
	s_waitcnt lgkmcnt(0)
	s_waitcnt_vscnt null, 0x0
	s_barrier
	buffer_gl0_inv
	v_cmpx_lt_i32_e32 41, v220
	s_cbranch_execz .LBB100_881
; %bb.880:
	v_mul_f64 v[212:213], v[204:205], v[38:39]
	v_mul_f64 v[38:39], v[206:207], v[38:39]
	s_delay_alu instid0(VALU_DEP_2) | instskip(NEXT) | instid1(VALU_DEP_2)
	v_fma_f64 v[212:213], v[206:207], v[36:37], v[212:213]
	v_fma_f64 v[36:37], v[204:205], v[36:37], -v[38:39]
	ds_load_2addr_b64 v[204:207], v214 offset0:84 offset1:85
	s_waitcnt lgkmcnt(0)
	v_mul_f64 v[38:39], v[206:207], v[212:213]
	s_delay_alu instid0(VALU_DEP_1) | instskip(SKIP_1) | instid1(VALU_DEP_2)
	v_fma_f64 v[38:39], v[204:205], v[36:37], -v[38:39]
	v_mul_f64 v[204:205], v[204:205], v[212:213]
	v_add_f64 v[32:33], v[32:33], -v[38:39]
	s_delay_alu instid0(VALU_DEP_2) | instskip(NEXT) | instid1(VALU_DEP_1)
	v_fma_f64 v[204:205], v[206:207], v[36:37], v[204:205]
	v_add_f64 v[34:35], v[34:35], -v[204:205]
	ds_load_2addr_b64 v[204:207], v214 offset0:86 offset1:87
	s_waitcnt lgkmcnt(0)
	v_mul_f64 v[38:39], v[206:207], v[212:213]
	s_delay_alu instid0(VALU_DEP_1) | instskip(SKIP_1) | instid1(VALU_DEP_2)
	v_fma_f64 v[38:39], v[204:205], v[36:37], -v[38:39]
	v_mul_f64 v[204:205], v[204:205], v[212:213]
	v_add_f64 v[28:29], v[28:29], -v[38:39]
	s_delay_alu instid0(VALU_DEP_2) | instskip(NEXT) | instid1(VALU_DEP_1)
	v_fma_f64 v[204:205], v[206:207], v[36:37], v[204:205]
	v_add_f64 v[30:31], v[30:31], -v[204:205]
	;; [unrolled: 10-line block ×8, first 2 shown]
	ds_load_2addr_b64 v[204:207], v214 offset0:100 offset1:101
	s_waitcnt lgkmcnt(0)
	v_mul_f64 v[38:39], v[206:207], v[212:213]
	s_delay_alu instid0(VALU_DEP_1) | instskip(SKIP_1) | instid1(VALU_DEP_2)
	v_fma_f64 v[38:39], v[204:205], v[36:37], -v[38:39]
	v_mul_f64 v[204:205], v[204:205], v[212:213]
	v_add_f64 v[0:1], v[0:1], -v[38:39]
	s_delay_alu instid0(VALU_DEP_2) | instskip(SKIP_1) | instid1(VALU_DEP_2)
	v_fma_f64 v[204:205], v[206:207], v[36:37], v[204:205]
	v_dual_mov_b32 v38, v212 :: v_dual_mov_b32 v39, v213
	v_add_f64 v[2:3], v[2:3], -v[204:205]
.LBB100_881:
	s_or_b32 exec_lo, exec_lo, s2
	v_lshl_add_u32 v204, v220, 4, v214
	s_barrier
	buffer_gl0_inv
	v_mov_b32_e32 v212, 42
	ds_store_2addr_b64 v204, v[32:33], v[34:35] offset1:1
	s_waitcnt lgkmcnt(0)
	s_barrier
	buffer_gl0_inv
	ds_load_2addr_b64 v[204:207], v214 offset0:84 offset1:85
	s_cmp_lt_i32 s5, 44
	s_cbranch_scc1 .LBB100_884
; %bb.882:
	v_add3_u32 v213, v218, 0, 0x2b0
	v_mov_b32_e32 v212, 42
	s_mov_b32 s6, 43
	s_set_inst_prefetch_distance 0x1
	.p2align	6
.LBB100_883:                            ; =>This Inner Loop Header: Depth=1
	ds_load_2addr_b64 v[221:224], v213 offset1:1
	s_waitcnt lgkmcnt(1)
	v_cmp_gt_f64_e32 vcc_lo, 0, v[204:205]
	v_xor_b32_e32 v225, 0x80000000, v205
	v_cmp_gt_f64_e64 s2, 0, v[206:207]
	v_xor_b32_e32 v227, 0x80000000, v207
	v_add_nc_u32_e32 v213, 16, v213
	s_waitcnt lgkmcnt(0)
	v_cmp_gt_f64_e64 s3, 0, v[221:222]
	v_mov_b32_e32 v229, v221
	v_dual_mov_b32 v231, v223 :: v_dual_cndmask_b32 v226, v205, v225
	v_xor_b32_e32 v225, 0x80000000, v222
	v_cndmask_b32_e64 v228, v207, v227, s2
	v_xor_b32_e32 v227, 0x80000000, v224
	s_delay_alu instid0(VALU_DEP_3) | instskip(SKIP_2) | instid1(VALU_DEP_2)
	v_cndmask_b32_e64 v230, v222, v225, s3
	v_cmp_gt_f64_e64 s3, 0, v[223:224]
	v_cndmask_b32_e32 v225, v204, v204, vcc_lo
	v_cndmask_b32_e64 v232, v224, v227, s3
	v_cndmask_b32_e64 v227, v206, v206, s2
	s_delay_alu instid0(VALU_DEP_2) | instskip(NEXT) | instid1(VALU_DEP_2)
	v_add_f64 v[229:230], v[229:230], v[231:232]
	v_add_f64 v[225:226], v[225:226], v[227:228]
	s_delay_alu instid0(VALU_DEP_1) | instskip(SKIP_4) | instid1(SALU_CYCLE_1)
	v_cmp_lt_f64_e32 vcc_lo, v[225:226], v[229:230]
	v_dual_cndmask_b32 v206, v206, v223 :: v_dual_cndmask_b32 v205, v205, v222
	v_dual_cndmask_b32 v204, v204, v221 :: v_dual_cndmask_b32 v207, v207, v224
	v_cndmask_b32_e64 v212, v212, s6, vcc_lo
	s_add_i32 s6, s6, 1
	s_cmp_lg_u32 s5, s6
	s_cbranch_scc1 .LBB100_883
.LBB100_884:
	s_set_inst_prefetch_distance 0x2
	s_waitcnt lgkmcnt(0)
	v_cmp_eq_f64_e32 vcc_lo, 0, v[204:205]
	v_cmp_eq_f64_e64 s2, 0, v[206:207]
	s_delay_alu instid0(VALU_DEP_1) | instskip(NEXT) | instid1(SALU_CYCLE_1)
	s_and_b32 s2, vcc_lo, s2
	s_and_saveexec_b32 s3, s2
	s_delay_alu instid0(SALU_CYCLE_1)
	s_xor_b32 s2, exec_lo, s3
; %bb.885:
	v_cmp_ne_u32_e32 vcc_lo, 0, v217
	v_cndmask_b32_e32 v217, 43, v217, vcc_lo
; %bb.886:
	s_and_not1_saveexec_b32 s3, s2
	s_cbranch_execz .LBB100_892
; %bb.887:
	v_cmp_gt_f64_e32 vcc_lo, 0, v[204:205]
	v_cmp_gt_f64_e64 s2, 0, v[206:207]
	v_xor_b32_e32 v213, 0x80000000, v205
	v_xor_b32_e32 v221, 0x80000000, v207
	s_delay_alu instid0(VALU_DEP_2) | instskip(NEXT) | instid1(VALU_DEP_2)
	v_cndmask_b32_e32 v222, v205, v213, vcc_lo
	v_cndmask_b32_e64 v224, v207, v221, s2
	v_cndmask_b32_e32 v221, v204, v204, vcc_lo
	v_cndmask_b32_e64 v223, v206, v206, s2
	s_mov_b32 s2, exec_lo
	s_delay_alu instid0(VALU_DEP_1)
	v_cmpx_ngt_f64_e32 v[221:222], v[223:224]
	s_xor_b32 s2, exec_lo, s2
	s_cbranch_execz .LBB100_889
; %bb.888:
	v_div_scale_f64 v[221:222], null, v[206:207], v[206:207], v[204:205]
	v_div_scale_f64 v[227:228], vcc_lo, v[204:205], v[206:207], v[204:205]
	s_delay_alu instid0(VALU_DEP_2) | instskip(SKIP_2) | instid1(VALU_DEP_1)
	v_rcp_f64_e32 v[223:224], v[221:222]
	s_waitcnt_depctr 0xfff
	v_fma_f64 v[225:226], -v[221:222], v[223:224], 1.0
	v_fma_f64 v[223:224], v[223:224], v[225:226], v[223:224]
	s_delay_alu instid0(VALU_DEP_1) | instskip(NEXT) | instid1(VALU_DEP_1)
	v_fma_f64 v[225:226], -v[221:222], v[223:224], 1.0
	v_fma_f64 v[223:224], v[223:224], v[225:226], v[223:224]
	s_delay_alu instid0(VALU_DEP_1) | instskip(NEXT) | instid1(VALU_DEP_1)
	v_mul_f64 v[225:226], v[227:228], v[223:224]
	v_fma_f64 v[221:222], -v[221:222], v[225:226], v[227:228]
	s_delay_alu instid0(VALU_DEP_1) | instskip(NEXT) | instid1(VALU_DEP_1)
	v_div_fmas_f64 v[221:222], v[221:222], v[223:224], v[225:226]
	v_div_fixup_f64 v[221:222], v[221:222], v[206:207], v[204:205]
	s_delay_alu instid0(VALU_DEP_1) | instskip(NEXT) | instid1(VALU_DEP_1)
	v_fma_f64 v[204:205], v[204:205], v[221:222], v[206:207]
	v_div_scale_f64 v[206:207], null, v[204:205], v[204:205], 1.0
	s_delay_alu instid0(VALU_DEP_1) | instskip(SKIP_2) | instid1(VALU_DEP_1)
	v_rcp_f64_e32 v[223:224], v[206:207]
	s_waitcnt_depctr 0xfff
	v_fma_f64 v[225:226], -v[206:207], v[223:224], 1.0
	v_fma_f64 v[223:224], v[223:224], v[225:226], v[223:224]
	s_delay_alu instid0(VALU_DEP_1) | instskip(NEXT) | instid1(VALU_DEP_1)
	v_fma_f64 v[225:226], -v[206:207], v[223:224], 1.0
	v_fma_f64 v[223:224], v[223:224], v[225:226], v[223:224]
	v_div_scale_f64 v[225:226], vcc_lo, 1.0, v[204:205], 1.0
	s_delay_alu instid0(VALU_DEP_1) | instskip(NEXT) | instid1(VALU_DEP_1)
	v_mul_f64 v[227:228], v[225:226], v[223:224]
	v_fma_f64 v[206:207], -v[206:207], v[227:228], v[225:226]
	s_delay_alu instid0(VALU_DEP_1) | instskip(NEXT) | instid1(VALU_DEP_1)
	v_div_fmas_f64 v[206:207], v[206:207], v[223:224], v[227:228]
	v_div_fixup_f64 v[206:207], v[206:207], v[204:205], 1.0
	s_delay_alu instid0(VALU_DEP_1)
	v_mul_f64 v[204:205], v[221:222], v[206:207]
	v_xor_b32_e32 v207, 0x80000000, v207
.LBB100_889:
	s_and_not1_saveexec_b32 s2, s2
	s_cbranch_execz .LBB100_891
; %bb.890:
	s_delay_alu instid0(VALU_DEP_1) | instskip(SKIP_1) | instid1(VALU_DEP_2)
	v_div_scale_f64 v[221:222], null, v[204:205], v[204:205], v[206:207]
	v_div_scale_f64 v[227:228], vcc_lo, v[206:207], v[204:205], v[206:207]
	v_rcp_f64_e32 v[223:224], v[221:222]
	s_waitcnt_depctr 0xfff
	v_fma_f64 v[225:226], -v[221:222], v[223:224], 1.0
	s_delay_alu instid0(VALU_DEP_1) | instskip(NEXT) | instid1(VALU_DEP_1)
	v_fma_f64 v[223:224], v[223:224], v[225:226], v[223:224]
	v_fma_f64 v[225:226], -v[221:222], v[223:224], 1.0
	s_delay_alu instid0(VALU_DEP_1) | instskip(NEXT) | instid1(VALU_DEP_1)
	v_fma_f64 v[223:224], v[223:224], v[225:226], v[223:224]
	v_mul_f64 v[225:226], v[227:228], v[223:224]
	s_delay_alu instid0(VALU_DEP_1) | instskip(NEXT) | instid1(VALU_DEP_1)
	v_fma_f64 v[221:222], -v[221:222], v[225:226], v[227:228]
	v_div_fmas_f64 v[221:222], v[221:222], v[223:224], v[225:226]
	s_delay_alu instid0(VALU_DEP_1) | instskip(NEXT) | instid1(VALU_DEP_1)
	v_div_fixup_f64 v[221:222], v[221:222], v[204:205], v[206:207]
	v_fma_f64 v[204:205], v[206:207], v[221:222], v[204:205]
	s_delay_alu instid0(VALU_DEP_1) | instskip(NEXT) | instid1(VALU_DEP_1)
	v_div_scale_f64 v[206:207], null, v[204:205], v[204:205], 1.0
	v_rcp_f64_e32 v[223:224], v[206:207]
	s_waitcnt_depctr 0xfff
	v_fma_f64 v[225:226], -v[206:207], v[223:224], 1.0
	s_delay_alu instid0(VALU_DEP_1) | instskip(NEXT) | instid1(VALU_DEP_1)
	v_fma_f64 v[223:224], v[223:224], v[225:226], v[223:224]
	v_fma_f64 v[225:226], -v[206:207], v[223:224], 1.0
	s_delay_alu instid0(VALU_DEP_1) | instskip(SKIP_1) | instid1(VALU_DEP_1)
	v_fma_f64 v[223:224], v[223:224], v[225:226], v[223:224]
	v_div_scale_f64 v[225:226], vcc_lo, 1.0, v[204:205], 1.0
	v_mul_f64 v[227:228], v[225:226], v[223:224]
	s_delay_alu instid0(VALU_DEP_1) | instskip(NEXT) | instid1(VALU_DEP_1)
	v_fma_f64 v[206:207], -v[206:207], v[227:228], v[225:226]
	v_div_fmas_f64 v[206:207], v[206:207], v[223:224], v[227:228]
	s_delay_alu instid0(VALU_DEP_1) | instskip(NEXT) | instid1(VALU_DEP_1)
	v_div_fixup_f64 v[204:205], v[206:207], v[204:205], 1.0
	v_mul_f64 v[206:207], v[221:222], -v[204:205]
.LBB100_891:
	s_or_b32 exec_lo, exec_lo, s2
.LBB100_892:
	s_delay_alu instid0(SALU_CYCLE_1) | instskip(NEXT) | instid1(SALU_CYCLE_1)
	s_or_b32 exec_lo, exec_lo, s3
	s_mov_b32 s2, exec_lo
	v_cmpx_ne_u32_e64 v220, v212
	s_xor_b32 s2, exec_lo, s2
	s_cbranch_execz .LBB100_898
; %bb.893:
	s_mov_b32 s3, exec_lo
	v_cmpx_eq_u32_e32 42, v220
	s_cbranch_execz .LBB100_897
; %bb.894:
	v_cmp_ne_u32_e32 vcc_lo, 42, v212
	s_xor_b32 s6, s4, -1
	s_delay_alu instid0(SALU_CYCLE_1) | instskip(NEXT) | instid1(SALU_CYCLE_1)
	s_and_b32 s7, s6, vcc_lo
	s_and_saveexec_b32 s6, s7
	s_cbranch_execz .LBB100_896
; %bb.895:
	v_ashrrev_i32_e32 v213, 31, v212
	s_delay_alu instid0(VALU_DEP_1) | instskip(NEXT) | instid1(VALU_DEP_1)
	v_lshlrev_b64 v[219:220], 2, v[212:213]
	v_add_co_u32 v219, vcc_lo, v210, v219
	s_delay_alu instid0(VALU_DEP_2)
	v_add_co_ci_u32_e32 v220, vcc_lo, v211, v220, vcc_lo
	s_clause 0x1
	flat_load_b32 v213, v[219:220]
	flat_load_b32 v221, v[210:211] offset:168
	s_waitcnt vmcnt(1) lgkmcnt(1)
	flat_store_b32 v[210:211], v213 offset:168
	s_waitcnt vmcnt(0) lgkmcnt(1)
	flat_store_b32 v[219:220], v221
.LBB100_896:
	s_or_b32 exec_lo, exec_lo, s6
	v_mov_b32_e32 v220, v212
	v_mov_b32_e32 v219, v212
.LBB100_897:
	s_or_b32 exec_lo, exec_lo, s3
.LBB100_898:
	s_and_not1_saveexec_b32 s2, s2
	s_cbranch_execz .LBB100_900
; %bb.899:
	v_mov_b32_e32 v220, 42
	ds_store_2addr_b64 v214, v[28:29], v[30:31] offset0:86 offset1:87
	ds_store_2addr_b64 v214, v[24:25], v[26:27] offset0:88 offset1:89
	;; [unrolled: 1-line block ×8, first 2 shown]
.LBB100_900:
	s_or_b32 exec_lo, exec_lo, s2
	s_delay_alu instid0(SALU_CYCLE_1)
	s_mov_b32 s2, exec_lo
	s_waitcnt lgkmcnt(0)
	s_waitcnt_vscnt null, 0x0
	s_barrier
	buffer_gl0_inv
	v_cmpx_lt_i32_e32 42, v220
	s_cbranch_execz .LBB100_902
; %bb.901:
	v_mul_f64 v[212:213], v[204:205], v[34:35]
	v_mul_f64 v[34:35], v[206:207], v[34:35]
	s_delay_alu instid0(VALU_DEP_2) | instskip(NEXT) | instid1(VALU_DEP_2)
	v_fma_f64 v[212:213], v[206:207], v[32:33], v[212:213]
	v_fma_f64 v[32:33], v[204:205], v[32:33], -v[34:35]
	ds_load_2addr_b64 v[204:207], v214 offset0:86 offset1:87
	s_waitcnt lgkmcnt(0)
	v_mul_f64 v[34:35], v[206:207], v[212:213]
	s_delay_alu instid0(VALU_DEP_1) | instskip(SKIP_1) | instid1(VALU_DEP_2)
	v_fma_f64 v[34:35], v[204:205], v[32:33], -v[34:35]
	v_mul_f64 v[204:205], v[204:205], v[212:213]
	v_add_f64 v[28:29], v[28:29], -v[34:35]
	s_delay_alu instid0(VALU_DEP_2) | instskip(NEXT) | instid1(VALU_DEP_1)
	v_fma_f64 v[204:205], v[206:207], v[32:33], v[204:205]
	v_add_f64 v[30:31], v[30:31], -v[204:205]
	ds_load_2addr_b64 v[204:207], v214 offset0:88 offset1:89
	s_waitcnt lgkmcnt(0)
	v_mul_f64 v[34:35], v[206:207], v[212:213]
	s_delay_alu instid0(VALU_DEP_1) | instskip(SKIP_1) | instid1(VALU_DEP_2)
	v_fma_f64 v[34:35], v[204:205], v[32:33], -v[34:35]
	v_mul_f64 v[204:205], v[204:205], v[212:213]
	v_add_f64 v[24:25], v[24:25], -v[34:35]
	s_delay_alu instid0(VALU_DEP_2) | instskip(NEXT) | instid1(VALU_DEP_1)
	v_fma_f64 v[204:205], v[206:207], v[32:33], v[204:205]
	v_add_f64 v[26:27], v[26:27], -v[204:205]
	ds_load_2addr_b64 v[204:207], v214 offset0:90 offset1:91
	s_waitcnt lgkmcnt(0)
	v_mul_f64 v[34:35], v[206:207], v[212:213]
	s_delay_alu instid0(VALU_DEP_1) | instskip(SKIP_1) | instid1(VALU_DEP_2)
	v_fma_f64 v[34:35], v[204:205], v[32:33], -v[34:35]
	v_mul_f64 v[204:205], v[204:205], v[212:213]
	v_add_f64 v[20:21], v[20:21], -v[34:35]
	s_delay_alu instid0(VALU_DEP_2) | instskip(NEXT) | instid1(VALU_DEP_1)
	v_fma_f64 v[204:205], v[206:207], v[32:33], v[204:205]
	v_add_f64 v[22:23], v[22:23], -v[204:205]
	ds_load_2addr_b64 v[204:207], v214 offset0:92 offset1:93
	s_waitcnt lgkmcnt(0)
	v_mul_f64 v[34:35], v[206:207], v[212:213]
	s_delay_alu instid0(VALU_DEP_1) | instskip(SKIP_1) | instid1(VALU_DEP_2)
	v_fma_f64 v[34:35], v[204:205], v[32:33], -v[34:35]
	v_mul_f64 v[204:205], v[204:205], v[212:213]
	v_add_f64 v[16:17], v[16:17], -v[34:35]
	s_delay_alu instid0(VALU_DEP_2) | instskip(NEXT) | instid1(VALU_DEP_1)
	v_fma_f64 v[204:205], v[206:207], v[32:33], v[204:205]
	v_add_f64 v[18:19], v[18:19], -v[204:205]
	ds_load_2addr_b64 v[204:207], v214 offset0:94 offset1:95
	s_waitcnt lgkmcnt(0)
	v_mul_f64 v[34:35], v[206:207], v[212:213]
	s_delay_alu instid0(VALU_DEP_1) | instskip(SKIP_1) | instid1(VALU_DEP_2)
	v_fma_f64 v[34:35], v[204:205], v[32:33], -v[34:35]
	v_mul_f64 v[204:205], v[204:205], v[212:213]
	v_add_f64 v[12:13], v[12:13], -v[34:35]
	s_delay_alu instid0(VALU_DEP_2) | instskip(NEXT) | instid1(VALU_DEP_1)
	v_fma_f64 v[204:205], v[206:207], v[32:33], v[204:205]
	v_add_f64 v[14:15], v[14:15], -v[204:205]
	ds_load_2addr_b64 v[204:207], v214 offset0:96 offset1:97
	s_waitcnt lgkmcnt(0)
	v_mul_f64 v[34:35], v[206:207], v[212:213]
	s_delay_alu instid0(VALU_DEP_1) | instskip(SKIP_1) | instid1(VALU_DEP_2)
	v_fma_f64 v[34:35], v[204:205], v[32:33], -v[34:35]
	v_mul_f64 v[204:205], v[204:205], v[212:213]
	v_add_f64 v[8:9], v[8:9], -v[34:35]
	s_delay_alu instid0(VALU_DEP_2) | instskip(NEXT) | instid1(VALU_DEP_1)
	v_fma_f64 v[204:205], v[206:207], v[32:33], v[204:205]
	v_add_f64 v[10:11], v[10:11], -v[204:205]
	ds_load_2addr_b64 v[204:207], v214 offset0:98 offset1:99
	s_waitcnt lgkmcnt(0)
	v_mul_f64 v[34:35], v[206:207], v[212:213]
	s_delay_alu instid0(VALU_DEP_1) | instskip(SKIP_1) | instid1(VALU_DEP_2)
	v_fma_f64 v[34:35], v[204:205], v[32:33], -v[34:35]
	v_mul_f64 v[204:205], v[204:205], v[212:213]
	v_add_f64 v[4:5], v[4:5], -v[34:35]
	s_delay_alu instid0(VALU_DEP_2) | instskip(NEXT) | instid1(VALU_DEP_1)
	v_fma_f64 v[204:205], v[206:207], v[32:33], v[204:205]
	v_add_f64 v[6:7], v[6:7], -v[204:205]
	ds_load_2addr_b64 v[204:207], v214 offset0:100 offset1:101
	s_waitcnt lgkmcnt(0)
	v_mul_f64 v[34:35], v[206:207], v[212:213]
	s_delay_alu instid0(VALU_DEP_1) | instskip(SKIP_1) | instid1(VALU_DEP_2)
	v_fma_f64 v[34:35], v[204:205], v[32:33], -v[34:35]
	v_mul_f64 v[204:205], v[204:205], v[212:213]
	v_add_f64 v[0:1], v[0:1], -v[34:35]
	s_delay_alu instid0(VALU_DEP_2) | instskip(SKIP_1) | instid1(VALU_DEP_2)
	v_fma_f64 v[204:205], v[206:207], v[32:33], v[204:205]
	v_dual_mov_b32 v34, v212 :: v_dual_mov_b32 v35, v213
	v_add_f64 v[2:3], v[2:3], -v[204:205]
.LBB100_902:
	s_or_b32 exec_lo, exec_lo, s2
	v_lshl_add_u32 v204, v220, 4, v214
	s_barrier
	buffer_gl0_inv
	v_mov_b32_e32 v212, 43
	ds_store_2addr_b64 v204, v[28:29], v[30:31] offset1:1
	s_waitcnt lgkmcnt(0)
	s_barrier
	buffer_gl0_inv
	ds_load_2addr_b64 v[204:207], v214 offset0:86 offset1:87
	s_cmp_lt_i32 s5, 45
	s_cbranch_scc1 .LBB100_905
; %bb.903:
	v_add3_u32 v213, v218, 0, 0x2c0
	v_mov_b32_e32 v212, 43
	s_mov_b32 s6, 44
	s_set_inst_prefetch_distance 0x1
	.p2align	6
.LBB100_904:                            ; =>This Inner Loop Header: Depth=1
	ds_load_2addr_b64 v[221:224], v213 offset1:1
	s_waitcnt lgkmcnt(1)
	v_cmp_gt_f64_e32 vcc_lo, 0, v[204:205]
	v_xor_b32_e32 v225, 0x80000000, v205
	v_cmp_gt_f64_e64 s2, 0, v[206:207]
	v_xor_b32_e32 v227, 0x80000000, v207
	v_add_nc_u32_e32 v213, 16, v213
	s_waitcnt lgkmcnt(0)
	v_cmp_gt_f64_e64 s3, 0, v[221:222]
	v_mov_b32_e32 v229, v221
	v_dual_mov_b32 v231, v223 :: v_dual_cndmask_b32 v226, v205, v225
	v_xor_b32_e32 v225, 0x80000000, v222
	v_cndmask_b32_e64 v228, v207, v227, s2
	v_xor_b32_e32 v227, 0x80000000, v224
	s_delay_alu instid0(VALU_DEP_3) | instskip(SKIP_2) | instid1(VALU_DEP_2)
	v_cndmask_b32_e64 v230, v222, v225, s3
	v_cmp_gt_f64_e64 s3, 0, v[223:224]
	v_cndmask_b32_e32 v225, v204, v204, vcc_lo
	v_cndmask_b32_e64 v232, v224, v227, s3
	v_cndmask_b32_e64 v227, v206, v206, s2
	s_delay_alu instid0(VALU_DEP_2) | instskip(NEXT) | instid1(VALU_DEP_2)
	v_add_f64 v[229:230], v[229:230], v[231:232]
	v_add_f64 v[225:226], v[225:226], v[227:228]
	s_delay_alu instid0(VALU_DEP_1) | instskip(SKIP_4) | instid1(SALU_CYCLE_1)
	v_cmp_lt_f64_e32 vcc_lo, v[225:226], v[229:230]
	v_dual_cndmask_b32 v206, v206, v223 :: v_dual_cndmask_b32 v205, v205, v222
	v_dual_cndmask_b32 v204, v204, v221 :: v_dual_cndmask_b32 v207, v207, v224
	v_cndmask_b32_e64 v212, v212, s6, vcc_lo
	s_add_i32 s6, s6, 1
	s_cmp_lg_u32 s5, s6
	s_cbranch_scc1 .LBB100_904
.LBB100_905:
	s_set_inst_prefetch_distance 0x2
	s_waitcnt lgkmcnt(0)
	v_cmp_eq_f64_e32 vcc_lo, 0, v[204:205]
	v_cmp_eq_f64_e64 s2, 0, v[206:207]
	s_delay_alu instid0(VALU_DEP_1) | instskip(NEXT) | instid1(SALU_CYCLE_1)
	s_and_b32 s2, vcc_lo, s2
	s_and_saveexec_b32 s3, s2
	s_delay_alu instid0(SALU_CYCLE_1)
	s_xor_b32 s2, exec_lo, s3
; %bb.906:
	v_cmp_ne_u32_e32 vcc_lo, 0, v217
	v_cndmask_b32_e32 v217, 44, v217, vcc_lo
; %bb.907:
	s_and_not1_saveexec_b32 s3, s2
	s_cbranch_execz .LBB100_913
; %bb.908:
	v_cmp_gt_f64_e32 vcc_lo, 0, v[204:205]
	v_cmp_gt_f64_e64 s2, 0, v[206:207]
	v_xor_b32_e32 v213, 0x80000000, v205
	v_xor_b32_e32 v221, 0x80000000, v207
	s_delay_alu instid0(VALU_DEP_2) | instskip(NEXT) | instid1(VALU_DEP_2)
	v_cndmask_b32_e32 v222, v205, v213, vcc_lo
	v_cndmask_b32_e64 v224, v207, v221, s2
	v_cndmask_b32_e32 v221, v204, v204, vcc_lo
	v_cndmask_b32_e64 v223, v206, v206, s2
	s_mov_b32 s2, exec_lo
	s_delay_alu instid0(VALU_DEP_1)
	v_cmpx_ngt_f64_e32 v[221:222], v[223:224]
	s_xor_b32 s2, exec_lo, s2
	s_cbranch_execz .LBB100_910
; %bb.909:
	v_div_scale_f64 v[221:222], null, v[206:207], v[206:207], v[204:205]
	v_div_scale_f64 v[227:228], vcc_lo, v[204:205], v[206:207], v[204:205]
	s_delay_alu instid0(VALU_DEP_2) | instskip(SKIP_2) | instid1(VALU_DEP_1)
	v_rcp_f64_e32 v[223:224], v[221:222]
	s_waitcnt_depctr 0xfff
	v_fma_f64 v[225:226], -v[221:222], v[223:224], 1.0
	v_fma_f64 v[223:224], v[223:224], v[225:226], v[223:224]
	s_delay_alu instid0(VALU_DEP_1) | instskip(NEXT) | instid1(VALU_DEP_1)
	v_fma_f64 v[225:226], -v[221:222], v[223:224], 1.0
	v_fma_f64 v[223:224], v[223:224], v[225:226], v[223:224]
	s_delay_alu instid0(VALU_DEP_1) | instskip(NEXT) | instid1(VALU_DEP_1)
	v_mul_f64 v[225:226], v[227:228], v[223:224]
	v_fma_f64 v[221:222], -v[221:222], v[225:226], v[227:228]
	s_delay_alu instid0(VALU_DEP_1) | instskip(NEXT) | instid1(VALU_DEP_1)
	v_div_fmas_f64 v[221:222], v[221:222], v[223:224], v[225:226]
	v_div_fixup_f64 v[221:222], v[221:222], v[206:207], v[204:205]
	s_delay_alu instid0(VALU_DEP_1) | instskip(NEXT) | instid1(VALU_DEP_1)
	v_fma_f64 v[204:205], v[204:205], v[221:222], v[206:207]
	v_div_scale_f64 v[206:207], null, v[204:205], v[204:205], 1.0
	s_delay_alu instid0(VALU_DEP_1) | instskip(SKIP_2) | instid1(VALU_DEP_1)
	v_rcp_f64_e32 v[223:224], v[206:207]
	s_waitcnt_depctr 0xfff
	v_fma_f64 v[225:226], -v[206:207], v[223:224], 1.0
	v_fma_f64 v[223:224], v[223:224], v[225:226], v[223:224]
	s_delay_alu instid0(VALU_DEP_1) | instskip(NEXT) | instid1(VALU_DEP_1)
	v_fma_f64 v[225:226], -v[206:207], v[223:224], 1.0
	v_fma_f64 v[223:224], v[223:224], v[225:226], v[223:224]
	v_div_scale_f64 v[225:226], vcc_lo, 1.0, v[204:205], 1.0
	s_delay_alu instid0(VALU_DEP_1) | instskip(NEXT) | instid1(VALU_DEP_1)
	v_mul_f64 v[227:228], v[225:226], v[223:224]
	v_fma_f64 v[206:207], -v[206:207], v[227:228], v[225:226]
	s_delay_alu instid0(VALU_DEP_1) | instskip(NEXT) | instid1(VALU_DEP_1)
	v_div_fmas_f64 v[206:207], v[206:207], v[223:224], v[227:228]
	v_div_fixup_f64 v[206:207], v[206:207], v[204:205], 1.0
	s_delay_alu instid0(VALU_DEP_1)
	v_mul_f64 v[204:205], v[221:222], v[206:207]
	v_xor_b32_e32 v207, 0x80000000, v207
.LBB100_910:
	s_and_not1_saveexec_b32 s2, s2
	s_cbranch_execz .LBB100_912
; %bb.911:
	s_delay_alu instid0(VALU_DEP_1) | instskip(SKIP_1) | instid1(VALU_DEP_2)
	v_div_scale_f64 v[221:222], null, v[204:205], v[204:205], v[206:207]
	v_div_scale_f64 v[227:228], vcc_lo, v[206:207], v[204:205], v[206:207]
	v_rcp_f64_e32 v[223:224], v[221:222]
	s_waitcnt_depctr 0xfff
	v_fma_f64 v[225:226], -v[221:222], v[223:224], 1.0
	s_delay_alu instid0(VALU_DEP_1) | instskip(NEXT) | instid1(VALU_DEP_1)
	v_fma_f64 v[223:224], v[223:224], v[225:226], v[223:224]
	v_fma_f64 v[225:226], -v[221:222], v[223:224], 1.0
	s_delay_alu instid0(VALU_DEP_1) | instskip(NEXT) | instid1(VALU_DEP_1)
	v_fma_f64 v[223:224], v[223:224], v[225:226], v[223:224]
	v_mul_f64 v[225:226], v[227:228], v[223:224]
	s_delay_alu instid0(VALU_DEP_1) | instskip(NEXT) | instid1(VALU_DEP_1)
	v_fma_f64 v[221:222], -v[221:222], v[225:226], v[227:228]
	v_div_fmas_f64 v[221:222], v[221:222], v[223:224], v[225:226]
	s_delay_alu instid0(VALU_DEP_1) | instskip(NEXT) | instid1(VALU_DEP_1)
	v_div_fixup_f64 v[221:222], v[221:222], v[204:205], v[206:207]
	v_fma_f64 v[204:205], v[206:207], v[221:222], v[204:205]
	s_delay_alu instid0(VALU_DEP_1) | instskip(NEXT) | instid1(VALU_DEP_1)
	v_div_scale_f64 v[206:207], null, v[204:205], v[204:205], 1.0
	v_rcp_f64_e32 v[223:224], v[206:207]
	s_waitcnt_depctr 0xfff
	v_fma_f64 v[225:226], -v[206:207], v[223:224], 1.0
	s_delay_alu instid0(VALU_DEP_1) | instskip(NEXT) | instid1(VALU_DEP_1)
	v_fma_f64 v[223:224], v[223:224], v[225:226], v[223:224]
	v_fma_f64 v[225:226], -v[206:207], v[223:224], 1.0
	s_delay_alu instid0(VALU_DEP_1) | instskip(SKIP_1) | instid1(VALU_DEP_1)
	v_fma_f64 v[223:224], v[223:224], v[225:226], v[223:224]
	v_div_scale_f64 v[225:226], vcc_lo, 1.0, v[204:205], 1.0
	v_mul_f64 v[227:228], v[225:226], v[223:224]
	s_delay_alu instid0(VALU_DEP_1) | instskip(NEXT) | instid1(VALU_DEP_1)
	v_fma_f64 v[206:207], -v[206:207], v[227:228], v[225:226]
	v_div_fmas_f64 v[206:207], v[206:207], v[223:224], v[227:228]
	s_delay_alu instid0(VALU_DEP_1) | instskip(NEXT) | instid1(VALU_DEP_1)
	v_div_fixup_f64 v[204:205], v[206:207], v[204:205], 1.0
	v_mul_f64 v[206:207], v[221:222], -v[204:205]
.LBB100_912:
	s_or_b32 exec_lo, exec_lo, s2
.LBB100_913:
	s_delay_alu instid0(SALU_CYCLE_1) | instskip(NEXT) | instid1(SALU_CYCLE_1)
	s_or_b32 exec_lo, exec_lo, s3
	s_mov_b32 s2, exec_lo
	v_cmpx_ne_u32_e64 v220, v212
	s_xor_b32 s2, exec_lo, s2
	s_cbranch_execz .LBB100_919
; %bb.914:
	s_mov_b32 s3, exec_lo
	v_cmpx_eq_u32_e32 43, v220
	s_cbranch_execz .LBB100_918
; %bb.915:
	v_cmp_ne_u32_e32 vcc_lo, 43, v212
	s_xor_b32 s6, s4, -1
	s_delay_alu instid0(SALU_CYCLE_1) | instskip(NEXT) | instid1(SALU_CYCLE_1)
	s_and_b32 s7, s6, vcc_lo
	s_and_saveexec_b32 s6, s7
	s_cbranch_execz .LBB100_917
; %bb.916:
	v_ashrrev_i32_e32 v213, 31, v212
	s_delay_alu instid0(VALU_DEP_1) | instskip(NEXT) | instid1(VALU_DEP_1)
	v_lshlrev_b64 v[219:220], 2, v[212:213]
	v_add_co_u32 v219, vcc_lo, v210, v219
	s_delay_alu instid0(VALU_DEP_2)
	v_add_co_ci_u32_e32 v220, vcc_lo, v211, v220, vcc_lo
	s_clause 0x1
	flat_load_b32 v213, v[219:220]
	flat_load_b32 v221, v[210:211] offset:172
	s_waitcnt vmcnt(1) lgkmcnt(1)
	flat_store_b32 v[210:211], v213 offset:172
	s_waitcnt vmcnt(0) lgkmcnt(1)
	flat_store_b32 v[219:220], v221
.LBB100_917:
	s_or_b32 exec_lo, exec_lo, s6
	v_mov_b32_e32 v220, v212
	v_mov_b32_e32 v219, v212
.LBB100_918:
	s_or_b32 exec_lo, exec_lo, s3
.LBB100_919:
	s_and_not1_saveexec_b32 s2, s2
	s_cbranch_execz .LBB100_921
; %bb.920:
	v_mov_b32_e32 v220, 43
	ds_store_2addr_b64 v214, v[24:25], v[26:27] offset0:88 offset1:89
	ds_store_2addr_b64 v214, v[20:21], v[22:23] offset0:90 offset1:91
	;; [unrolled: 1-line block ×7, first 2 shown]
.LBB100_921:
	s_or_b32 exec_lo, exec_lo, s2
	s_delay_alu instid0(SALU_CYCLE_1)
	s_mov_b32 s2, exec_lo
	s_waitcnt lgkmcnt(0)
	s_waitcnt_vscnt null, 0x0
	s_barrier
	buffer_gl0_inv
	v_cmpx_lt_i32_e32 43, v220
	s_cbranch_execz .LBB100_923
; %bb.922:
	v_mul_f64 v[212:213], v[204:205], v[30:31]
	v_mul_f64 v[30:31], v[206:207], v[30:31]
	s_delay_alu instid0(VALU_DEP_2) | instskip(NEXT) | instid1(VALU_DEP_2)
	v_fma_f64 v[212:213], v[206:207], v[28:29], v[212:213]
	v_fma_f64 v[28:29], v[204:205], v[28:29], -v[30:31]
	ds_load_2addr_b64 v[204:207], v214 offset0:88 offset1:89
	s_waitcnt lgkmcnt(0)
	v_mul_f64 v[30:31], v[206:207], v[212:213]
	s_delay_alu instid0(VALU_DEP_1) | instskip(SKIP_1) | instid1(VALU_DEP_2)
	v_fma_f64 v[30:31], v[204:205], v[28:29], -v[30:31]
	v_mul_f64 v[204:205], v[204:205], v[212:213]
	v_add_f64 v[24:25], v[24:25], -v[30:31]
	s_delay_alu instid0(VALU_DEP_2) | instskip(NEXT) | instid1(VALU_DEP_1)
	v_fma_f64 v[204:205], v[206:207], v[28:29], v[204:205]
	v_add_f64 v[26:27], v[26:27], -v[204:205]
	ds_load_2addr_b64 v[204:207], v214 offset0:90 offset1:91
	s_waitcnt lgkmcnt(0)
	v_mul_f64 v[30:31], v[206:207], v[212:213]
	s_delay_alu instid0(VALU_DEP_1) | instskip(SKIP_1) | instid1(VALU_DEP_2)
	v_fma_f64 v[30:31], v[204:205], v[28:29], -v[30:31]
	v_mul_f64 v[204:205], v[204:205], v[212:213]
	v_add_f64 v[20:21], v[20:21], -v[30:31]
	s_delay_alu instid0(VALU_DEP_2) | instskip(NEXT) | instid1(VALU_DEP_1)
	v_fma_f64 v[204:205], v[206:207], v[28:29], v[204:205]
	v_add_f64 v[22:23], v[22:23], -v[204:205]
	;; [unrolled: 10-line block ×6, first 2 shown]
	ds_load_2addr_b64 v[204:207], v214 offset0:100 offset1:101
	s_waitcnt lgkmcnt(0)
	v_mul_f64 v[30:31], v[206:207], v[212:213]
	s_delay_alu instid0(VALU_DEP_1) | instskip(SKIP_1) | instid1(VALU_DEP_2)
	v_fma_f64 v[30:31], v[204:205], v[28:29], -v[30:31]
	v_mul_f64 v[204:205], v[204:205], v[212:213]
	v_add_f64 v[0:1], v[0:1], -v[30:31]
	s_delay_alu instid0(VALU_DEP_2) | instskip(SKIP_1) | instid1(VALU_DEP_2)
	v_fma_f64 v[204:205], v[206:207], v[28:29], v[204:205]
	v_dual_mov_b32 v30, v212 :: v_dual_mov_b32 v31, v213
	v_add_f64 v[2:3], v[2:3], -v[204:205]
.LBB100_923:
	s_or_b32 exec_lo, exec_lo, s2
	v_lshl_add_u32 v204, v220, 4, v214
	s_barrier
	buffer_gl0_inv
	v_mov_b32_e32 v212, 44
	ds_store_2addr_b64 v204, v[24:25], v[26:27] offset1:1
	s_waitcnt lgkmcnt(0)
	s_barrier
	buffer_gl0_inv
	ds_load_2addr_b64 v[204:207], v214 offset0:88 offset1:89
	s_cmp_lt_i32 s5, 46
	s_cbranch_scc1 .LBB100_926
; %bb.924:
	v_add3_u32 v213, v218, 0, 0x2d0
	v_mov_b32_e32 v212, 44
	s_mov_b32 s6, 45
	s_set_inst_prefetch_distance 0x1
	.p2align	6
.LBB100_925:                            ; =>This Inner Loop Header: Depth=1
	ds_load_2addr_b64 v[221:224], v213 offset1:1
	s_waitcnt lgkmcnt(1)
	v_cmp_gt_f64_e32 vcc_lo, 0, v[204:205]
	v_xor_b32_e32 v225, 0x80000000, v205
	v_cmp_gt_f64_e64 s2, 0, v[206:207]
	v_xor_b32_e32 v227, 0x80000000, v207
	v_add_nc_u32_e32 v213, 16, v213
	s_waitcnt lgkmcnt(0)
	v_cmp_gt_f64_e64 s3, 0, v[221:222]
	v_mov_b32_e32 v229, v221
	v_dual_mov_b32 v231, v223 :: v_dual_cndmask_b32 v226, v205, v225
	v_xor_b32_e32 v225, 0x80000000, v222
	v_cndmask_b32_e64 v228, v207, v227, s2
	v_xor_b32_e32 v227, 0x80000000, v224
	s_delay_alu instid0(VALU_DEP_3) | instskip(SKIP_2) | instid1(VALU_DEP_2)
	v_cndmask_b32_e64 v230, v222, v225, s3
	v_cmp_gt_f64_e64 s3, 0, v[223:224]
	v_cndmask_b32_e32 v225, v204, v204, vcc_lo
	v_cndmask_b32_e64 v232, v224, v227, s3
	v_cndmask_b32_e64 v227, v206, v206, s2
	s_delay_alu instid0(VALU_DEP_2) | instskip(NEXT) | instid1(VALU_DEP_2)
	v_add_f64 v[229:230], v[229:230], v[231:232]
	v_add_f64 v[225:226], v[225:226], v[227:228]
	s_delay_alu instid0(VALU_DEP_1) | instskip(SKIP_4) | instid1(SALU_CYCLE_1)
	v_cmp_lt_f64_e32 vcc_lo, v[225:226], v[229:230]
	v_dual_cndmask_b32 v206, v206, v223 :: v_dual_cndmask_b32 v205, v205, v222
	v_dual_cndmask_b32 v204, v204, v221 :: v_dual_cndmask_b32 v207, v207, v224
	v_cndmask_b32_e64 v212, v212, s6, vcc_lo
	s_add_i32 s6, s6, 1
	s_cmp_lg_u32 s5, s6
	s_cbranch_scc1 .LBB100_925
.LBB100_926:
	s_set_inst_prefetch_distance 0x2
	s_waitcnt lgkmcnt(0)
	v_cmp_eq_f64_e32 vcc_lo, 0, v[204:205]
	v_cmp_eq_f64_e64 s2, 0, v[206:207]
	s_delay_alu instid0(VALU_DEP_1) | instskip(NEXT) | instid1(SALU_CYCLE_1)
	s_and_b32 s2, vcc_lo, s2
	s_and_saveexec_b32 s3, s2
	s_delay_alu instid0(SALU_CYCLE_1)
	s_xor_b32 s2, exec_lo, s3
; %bb.927:
	v_cmp_ne_u32_e32 vcc_lo, 0, v217
	v_cndmask_b32_e32 v217, 45, v217, vcc_lo
; %bb.928:
	s_and_not1_saveexec_b32 s3, s2
	s_cbranch_execz .LBB100_934
; %bb.929:
	v_cmp_gt_f64_e32 vcc_lo, 0, v[204:205]
	v_cmp_gt_f64_e64 s2, 0, v[206:207]
	v_xor_b32_e32 v213, 0x80000000, v205
	v_xor_b32_e32 v221, 0x80000000, v207
	s_delay_alu instid0(VALU_DEP_2) | instskip(NEXT) | instid1(VALU_DEP_2)
	v_cndmask_b32_e32 v222, v205, v213, vcc_lo
	v_cndmask_b32_e64 v224, v207, v221, s2
	v_cndmask_b32_e32 v221, v204, v204, vcc_lo
	v_cndmask_b32_e64 v223, v206, v206, s2
	s_mov_b32 s2, exec_lo
	s_delay_alu instid0(VALU_DEP_1)
	v_cmpx_ngt_f64_e32 v[221:222], v[223:224]
	s_xor_b32 s2, exec_lo, s2
	s_cbranch_execz .LBB100_931
; %bb.930:
	v_div_scale_f64 v[221:222], null, v[206:207], v[206:207], v[204:205]
	v_div_scale_f64 v[227:228], vcc_lo, v[204:205], v[206:207], v[204:205]
	s_delay_alu instid0(VALU_DEP_2) | instskip(SKIP_2) | instid1(VALU_DEP_1)
	v_rcp_f64_e32 v[223:224], v[221:222]
	s_waitcnt_depctr 0xfff
	v_fma_f64 v[225:226], -v[221:222], v[223:224], 1.0
	v_fma_f64 v[223:224], v[223:224], v[225:226], v[223:224]
	s_delay_alu instid0(VALU_DEP_1) | instskip(NEXT) | instid1(VALU_DEP_1)
	v_fma_f64 v[225:226], -v[221:222], v[223:224], 1.0
	v_fma_f64 v[223:224], v[223:224], v[225:226], v[223:224]
	s_delay_alu instid0(VALU_DEP_1) | instskip(NEXT) | instid1(VALU_DEP_1)
	v_mul_f64 v[225:226], v[227:228], v[223:224]
	v_fma_f64 v[221:222], -v[221:222], v[225:226], v[227:228]
	s_delay_alu instid0(VALU_DEP_1) | instskip(NEXT) | instid1(VALU_DEP_1)
	v_div_fmas_f64 v[221:222], v[221:222], v[223:224], v[225:226]
	v_div_fixup_f64 v[221:222], v[221:222], v[206:207], v[204:205]
	s_delay_alu instid0(VALU_DEP_1) | instskip(NEXT) | instid1(VALU_DEP_1)
	v_fma_f64 v[204:205], v[204:205], v[221:222], v[206:207]
	v_div_scale_f64 v[206:207], null, v[204:205], v[204:205], 1.0
	s_delay_alu instid0(VALU_DEP_1) | instskip(SKIP_2) | instid1(VALU_DEP_1)
	v_rcp_f64_e32 v[223:224], v[206:207]
	s_waitcnt_depctr 0xfff
	v_fma_f64 v[225:226], -v[206:207], v[223:224], 1.0
	v_fma_f64 v[223:224], v[223:224], v[225:226], v[223:224]
	s_delay_alu instid0(VALU_DEP_1) | instskip(NEXT) | instid1(VALU_DEP_1)
	v_fma_f64 v[225:226], -v[206:207], v[223:224], 1.0
	v_fma_f64 v[223:224], v[223:224], v[225:226], v[223:224]
	v_div_scale_f64 v[225:226], vcc_lo, 1.0, v[204:205], 1.0
	s_delay_alu instid0(VALU_DEP_1) | instskip(NEXT) | instid1(VALU_DEP_1)
	v_mul_f64 v[227:228], v[225:226], v[223:224]
	v_fma_f64 v[206:207], -v[206:207], v[227:228], v[225:226]
	s_delay_alu instid0(VALU_DEP_1) | instskip(NEXT) | instid1(VALU_DEP_1)
	v_div_fmas_f64 v[206:207], v[206:207], v[223:224], v[227:228]
	v_div_fixup_f64 v[206:207], v[206:207], v[204:205], 1.0
	s_delay_alu instid0(VALU_DEP_1)
	v_mul_f64 v[204:205], v[221:222], v[206:207]
	v_xor_b32_e32 v207, 0x80000000, v207
.LBB100_931:
	s_and_not1_saveexec_b32 s2, s2
	s_cbranch_execz .LBB100_933
; %bb.932:
	s_delay_alu instid0(VALU_DEP_1) | instskip(SKIP_1) | instid1(VALU_DEP_2)
	v_div_scale_f64 v[221:222], null, v[204:205], v[204:205], v[206:207]
	v_div_scale_f64 v[227:228], vcc_lo, v[206:207], v[204:205], v[206:207]
	v_rcp_f64_e32 v[223:224], v[221:222]
	s_waitcnt_depctr 0xfff
	v_fma_f64 v[225:226], -v[221:222], v[223:224], 1.0
	s_delay_alu instid0(VALU_DEP_1) | instskip(NEXT) | instid1(VALU_DEP_1)
	v_fma_f64 v[223:224], v[223:224], v[225:226], v[223:224]
	v_fma_f64 v[225:226], -v[221:222], v[223:224], 1.0
	s_delay_alu instid0(VALU_DEP_1) | instskip(NEXT) | instid1(VALU_DEP_1)
	v_fma_f64 v[223:224], v[223:224], v[225:226], v[223:224]
	v_mul_f64 v[225:226], v[227:228], v[223:224]
	s_delay_alu instid0(VALU_DEP_1) | instskip(NEXT) | instid1(VALU_DEP_1)
	v_fma_f64 v[221:222], -v[221:222], v[225:226], v[227:228]
	v_div_fmas_f64 v[221:222], v[221:222], v[223:224], v[225:226]
	s_delay_alu instid0(VALU_DEP_1) | instskip(NEXT) | instid1(VALU_DEP_1)
	v_div_fixup_f64 v[221:222], v[221:222], v[204:205], v[206:207]
	v_fma_f64 v[204:205], v[206:207], v[221:222], v[204:205]
	s_delay_alu instid0(VALU_DEP_1) | instskip(NEXT) | instid1(VALU_DEP_1)
	v_div_scale_f64 v[206:207], null, v[204:205], v[204:205], 1.0
	v_rcp_f64_e32 v[223:224], v[206:207]
	s_waitcnt_depctr 0xfff
	v_fma_f64 v[225:226], -v[206:207], v[223:224], 1.0
	s_delay_alu instid0(VALU_DEP_1) | instskip(NEXT) | instid1(VALU_DEP_1)
	v_fma_f64 v[223:224], v[223:224], v[225:226], v[223:224]
	v_fma_f64 v[225:226], -v[206:207], v[223:224], 1.0
	s_delay_alu instid0(VALU_DEP_1) | instskip(SKIP_1) | instid1(VALU_DEP_1)
	v_fma_f64 v[223:224], v[223:224], v[225:226], v[223:224]
	v_div_scale_f64 v[225:226], vcc_lo, 1.0, v[204:205], 1.0
	v_mul_f64 v[227:228], v[225:226], v[223:224]
	s_delay_alu instid0(VALU_DEP_1) | instskip(NEXT) | instid1(VALU_DEP_1)
	v_fma_f64 v[206:207], -v[206:207], v[227:228], v[225:226]
	v_div_fmas_f64 v[206:207], v[206:207], v[223:224], v[227:228]
	s_delay_alu instid0(VALU_DEP_1) | instskip(NEXT) | instid1(VALU_DEP_1)
	v_div_fixup_f64 v[204:205], v[206:207], v[204:205], 1.0
	v_mul_f64 v[206:207], v[221:222], -v[204:205]
.LBB100_933:
	s_or_b32 exec_lo, exec_lo, s2
.LBB100_934:
	s_delay_alu instid0(SALU_CYCLE_1) | instskip(NEXT) | instid1(SALU_CYCLE_1)
	s_or_b32 exec_lo, exec_lo, s3
	s_mov_b32 s2, exec_lo
	v_cmpx_ne_u32_e64 v220, v212
	s_xor_b32 s2, exec_lo, s2
	s_cbranch_execz .LBB100_940
; %bb.935:
	s_mov_b32 s3, exec_lo
	v_cmpx_eq_u32_e32 44, v220
	s_cbranch_execz .LBB100_939
; %bb.936:
	v_cmp_ne_u32_e32 vcc_lo, 44, v212
	s_xor_b32 s6, s4, -1
	s_delay_alu instid0(SALU_CYCLE_1) | instskip(NEXT) | instid1(SALU_CYCLE_1)
	s_and_b32 s7, s6, vcc_lo
	s_and_saveexec_b32 s6, s7
	s_cbranch_execz .LBB100_938
; %bb.937:
	v_ashrrev_i32_e32 v213, 31, v212
	s_delay_alu instid0(VALU_DEP_1) | instskip(NEXT) | instid1(VALU_DEP_1)
	v_lshlrev_b64 v[219:220], 2, v[212:213]
	v_add_co_u32 v219, vcc_lo, v210, v219
	s_delay_alu instid0(VALU_DEP_2)
	v_add_co_ci_u32_e32 v220, vcc_lo, v211, v220, vcc_lo
	s_clause 0x1
	flat_load_b32 v213, v[219:220]
	flat_load_b32 v221, v[210:211] offset:176
	s_waitcnt vmcnt(1) lgkmcnt(1)
	flat_store_b32 v[210:211], v213 offset:176
	s_waitcnt vmcnt(0) lgkmcnt(1)
	flat_store_b32 v[219:220], v221
.LBB100_938:
	s_or_b32 exec_lo, exec_lo, s6
	v_mov_b32_e32 v220, v212
	v_mov_b32_e32 v219, v212
.LBB100_939:
	s_or_b32 exec_lo, exec_lo, s3
.LBB100_940:
	s_and_not1_saveexec_b32 s2, s2
	s_cbranch_execz .LBB100_942
; %bb.941:
	v_mov_b32_e32 v220, 44
	ds_store_2addr_b64 v214, v[20:21], v[22:23] offset0:90 offset1:91
	ds_store_2addr_b64 v214, v[16:17], v[18:19] offset0:92 offset1:93
	;; [unrolled: 1-line block ×6, first 2 shown]
.LBB100_942:
	s_or_b32 exec_lo, exec_lo, s2
	s_delay_alu instid0(SALU_CYCLE_1)
	s_mov_b32 s2, exec_lo
	s_waitcnt lgkmcnt(0)
	s_waitcnt_vscnt null, 0x0
	s_barrier
	buffer_gl0_inv
	v_cmpx_lt_i32_e32 44, v220
	s_cbranch_execz .LBB100_944
; %bb.943:
	v_mul_f64 v[212:213], v[204:205], v[26:27]
	v_mul_f64 v[26:27], v[206:207], v[26:27]
	s_delay_alu instid0(VALU_DEP_2) | instskip(NEXT) | instid1(VALU_DEP_2)
	v_fma_f64 v[212:213], v[206:207], v[24:25], v[212:213]
	v_fma_f64 v[24:25], v[204:205], v[24:25], -v[26:27]
	ds_load_2addr_b64 v[204:207], v214 offset0:90 offset1:91
	s_waitcnt lgkmcnt(0)
	v_mul_f64 v[26:27], v[206:207], v[212:213]
	s_delay_alu instid0(VALU_DEP_1) | instskip(SKIP_1) | instid1(VALU_DEP_2)
	v_fma_f64 v[26:27], v[204:205], v[24:25], -v[26:27]
	v_mul_f64 v[204:205], v[204:205], v[212:213]
	v_add_f64 v[20:21], v[20:21], -v[26:27]
	s_delay_alu instid0(VALU_DEP_2) | instskip(NEXT) | instid1(VALU_DEP_1)
	v_fma_f64 v[204:205], v[206:207], v[24:25], v[204:205]
	v_add_f64 v[22:23], v[22:23], -v[204:205]
	ds_load_2addr_b64 v[204:207], v214 offset0:92 offset1:93
	s_waitcnt lgkmcnt(0)
	v_mul_f64 v[26:27], v[206:207], v[212:213]
	s_delay_alu instid0(VALU_DEP_1) | instskip(SKIP_1) | instid1(VALU_DEP_2)
	v_fma_f64 v[26:27], v[204:205], v[24:25], -v[26:27]
	v_mul_f64 v[204:205], v[204:205], v[212:213]
	v_add_f64 v[16:17], v[16:17], -v[26:27]
	s_delay_alu instid0(VALU_DEP_2) | instskip(NEXT) | instid1(VALU_DEP_1)
	v_fma_f64 v[204:205], v[206:207], v[24:25], v[204:205]
	v_add_f64 v[18:19], v[18:19], -v[204:205]
	;; [unrolled: 10-line block ×5, first 2 shown]
	ds_load_2addr_b64 v[204:207], v214 offset0:100 offset1:101
	s_waitcnt lgkmcnt(0)
	v_mul_f64 v[26:27], v[206:207], v[212:213]
	s_delay_alu instid0(VALU_DEP_1) | instskip(SKIP_1) | instid1(VALU_DEP_2)
	v_fma_f64 v[26:27], v[204:205], v[24:25], -v[26:27]
	v_mul_f64 v[204:205], v[204:205], v[212:213]
	v_add_f64 v[0:1], v[0:1], -v[26:27]
	s_delay_alu instid0(VALU_DEP_2) | instskip(SKIP_1) | instid1(VALU_DEP_2)
	v_fma_f64 v[204:205], v[206:207], v[24:25], v[204:205]
	v_dual_mov_b32 v26, v212 :: v_dual_mov_b32 v27, v213
	v_add_f64 v[2:3], v[2:3], -v[204:205]
.LBB100_944:
	s_or_b32 exec_lo, exec_lo, s2
	v_lshl_add_u32 v204, v220, 4, v214
	s_barrier
	buffer_gl0_inv
	v_mov_b32_e32 v212, 45
	ds_store_2addr_b64 v204, v[20:21], v[22:23] offset1:1
	s_waitcnt lgkmcnt(0)
	s_barrier
	buffer_gl0_inv
	ds_load_2addr_b64 v[204:207], v214 offset0:90 offset1:91
	s_cmp_lt_i32 s5, 47
	s_cbranch_scc1 .LBB100_947
; %bb.945:
	v_add3_u32 v213, v218, 0, 0x2e0
	v_mov_b32_e32 v212, 45
	s_mov_b32 s6, 46
	s_set_inst_prefetch_distance 0x1
	.p2align	6
.LBB100_946:                            ; =>This Inner Loop Header: Depth=1
	ds_load_2addr_b64 v[221:224], v213 offset1:1
	s_waitcnt lgkmcnt(1)
	v_cmp_gt_f64_e32 vcc_lo, 0, v[204:205]
	v_xor_b32_e32 v225, 0x80000000, v205
	v_cmp_gt_f64_e64 s2, 0, v[206:207]
	v_xor_b32_e32 v227, 0x80000000, v207
	v_add_nc_u32_e32 v213, 16, v213
	s_waitcnt lgkmcnt(0)
	v_cmp_gt_f64_e64 s3, 0, v[221:222]
	v_mov_b32_e32 v229, v221
	v_dual_mov_b32 v231, v223 :: v_dual_cndmask_b32 v226, v205, v225
	v_xor_b32_e32 v225, 0x80000000, v222
	v_cndmask_b32_e64 v228, v207, v227, s2
	v_xor_b32_e32 v227, 0x80000000, v224
	s_delay_alu instid0(VALU_DEP_3) | instskip(SKIP_2) | instid1(VALU_DEP_2)
	v_cndmask_b32_e64 v230, v222, v225, s3
	v_cmp_gt_f64_e64 s3, 0, v[223:224]
	v_cndmask_b32_e32 v225, v204, v204, vcc_lo
	v_cndmask_b32_e64 v232, v224, v227, s3
	v_cndmask_b32_e64 v227, v206, v206, s2
	s_delay_alu instid0(VALU_DEP_2) | instskip(NEXT) | instid1(VALU_DEP_2)
	v_add_f64 v[229:230], v[229:230], v[231:232]
	v_add_f64 v[225:226], v[225:226], v[227:228]
	s_delay_alu instid0(VALU_DEP_1) | instskip(SKIP_4) | instid1(SALU_CYCLE_1)
	v_cmp_lt_f64_e32 vcc_lo, v[225:226], v[229:230]
	v_dual_cndmask_b32 v206, v206, v223 :: v_dual_cndmask_b32 v205, v205, v222
	v_dual_cndmask_b32 v204, v204, v221 :: v_dual_cndmask_b32 v207, v207, v224
	v_cndmask_b32_e64 v212, v212, s6, vcc_lo
	s_add_i32 s6, s6, 1
	s_cmp_lg_u32 s5, s6
	s_cbranch_scc1 .LBB100_946
.LBB100_947:
	s_set_inst_prefetch_distance 0x2
	s_waitcnt lgkmcnt(0)
	v_cmp_eq_f64_e32 vcc_lo, 0, v[204:205]
	v_cmp_eq_f64_e64 s2, 0, v[206:207]
	s_delay_alu instid0(VALU_DEP_1) | instskip(NEXT) | instid1(SALU_CYCLE_1)
	s_and_b32 s2, vcc_lo, s2
	s_and_saveexec_b32 s3, s2
	s_delay_alu instid0(SALU_CYCLE_1)
	s_xor_b32 s2, exec_lo, s3
; %bb.948:
	v_cmp_ne_u32_e32 vcc_lo, 0, v217
	v_cndmask_b32_e32 v217, 46, v217, vcc_lo
; %bb.949:
	s_and_not1_saveexec_b32 s3, s2
	s_cbranch_execz .LBB100_955
; %bb.950:
	v_cmp_gt_f64_e32 vcc_lo, 0, v[204:205]
	v_cmp_gt_f64_e64 s2, 0, v[206:207]
	v_xor_b32_e32 v213, 0x80000000, v205
	v_xor_b32_e32 v221, 0x80000000, v207
	s_delay_alu instid0(VALU_DEP_2) | instskip(NEXT) | instid1(VALU_DEP_2)
	v_cndmask_b32_e32 v222, v205, v213, vcc_lo
	v_cndmask_b32_e64 v224, v207, v221, s2
	v_cndmask_b32_e32 v221, v204, v204, vcc_lo
	v_cndmask_b32_e64 v223, v206, v206, s2
	s_mov_b32 s2, exec_lo
	s_delay_alu instid0(VALU_DEP_1)
	v_cmpx_ngt_f64_e32 v[221:222], v[223:224]
	s_xor_b32 s2, exec_lo, s2
	s_cbranch_execz .LBB100_952
; %bb.951:
	v_div_scale_f64 v[221:222], null, v[206:207], v[206:207], v[204:205]
	v_div_scale_f64 v[227:228], vcc_lo, v[204:205], v[206:207], v[204:205]
	s_delay_alu instid0(VALU_DEP_2) | instskip(SKIP_2) | instid1(VALU_DEP_1)
	v_rcp_f64_e32 v[223:224], v[221:222]
	s_waitcnt_depctr 0xfff
	v_fma_f64 v[225:226], -v[221:222], v[223:224], 1.0
	v_fma_f64 v[223:224], v[223:224], v[225:226], v[223:224]
	s_delay_alu instid0(VALU_DEP_1) | instskip(NEXT) | instid1(VALU_DEP_1)
	v_fma_f64 v[225:226], -v[221:222], v[223:224], 1.0
	v_fma_f64 v[223:224], v[223:224], v[225:226], v[223:224]
	s_delay_alu instid0(VALU_DEP_1) | instskip(NEXT) | instid1(VALU_DEP_1)
	v_mul_f64 v[225:226], v[227:228], v[223:224]
	v_fma_f64 v[221:222], -v[221:222], v[225:226], v[227:228]
	s_delay_alu instid0(VALU_DEP_1) | instskip(NEXT) | instid1(VALU_DEP_1)
	v_div_fmas_f64 v[221:222], v[221:222], v[223:224], v[225:226]
	v_div_fixup_f64 v[221:222], v[221:222], v[206:207], v[204:205]
	s_delay_alu instid0(VALU_DEP_1) | instskip(NEXT) | instid1(VALU_DEP_1)
	v_fma_f64 v[204:205], v[204:205], v[221:222], v[206:207]
	v_div_scale_f64 v[206:207], null, v[204:205], v[204:205], 1.0
	s_delay_alu instid0(VALU_DEP_1) | instskip(SKIP_2) | instid1(VALU_DEP_1)
	v_rcp_f64_e32 v[223:224], v[206:207]
	s_waitcnt_depctr 0xfff
	v_fma_f64 v[225:226], -v[206:207], v[223:224], 1.0
	v_fma_f64 v[223:224], v[223:224], v[225:226], v[223:224]
	s_delay_alu instid0(VALU_DEP_1) | instskip(NEXT) | instid1(VALU_DEP_1)
	v_fma_f64 v[225:226], -v[206:207], v[223:224], 1.0
	v_fma_f64 v[223:224], v[223:224], v[225:226], v[223:224]
	v_div_scale_f64 v[225:226], vcc_lo, 1.0, v[204:205], 1.0
	s_delay_alu instid0(VALU_DEP_1) | instskip(NEXT) | instid1(VALU_DEP_1)
	v_mul_f64 v[227:228], v[225:226], v[223:224]
	v_fma_f64 v[206:207], -v[206:207], v[227:228], v[225:226]
	s_delay_alu instid0(VALU_DEP_1) | instskip(NEXT) | instid1(VALU_DEP_1)
	v_div_fmas_f64 v[206:207], v[206:207], v[223:224], v[227:228]
	v_div_fixup_f64 v[206:207], v[206:207], v[204:205], 1.0
	s_delay_alu instid0(VALU_DEP_1)
	v_mul_f64 v[204:205], v[221:222], v[206:207]
	v_xor_b32_e32 v207, 0x80000000, v207
.LBB100_952:
	s_and_not1_saveexec_b32 s2, s2
	s_cbranch_execz .LBB100_954
; %bb.953:
	s_delay_alu instid0(VALU_DEP_1) | instskip(SKIP_1) | instid1(VALU_DEP_2)
	v_div_scale_f64 v[221:222], null, v[204:205], v[204:205], v[206:207]
	v_div_scale_f64 v[227:228], vcc_lo, v[206:207], v[204:205], v[206:207]
	v_rcp_f64_e32 v[223:224], v[221:222]
	s_waitcnt_depctr 0xfff
	v_fma_f64 v[225:226], -v[221:222], v[223:224], 1.0
	s_delay_alu instid0(VALU_DEP_1) | instskip(NEXT) | instid1(VALU_DEP_1)
	v_fma_f64 v[223:224], v[223:224], v[225:226], v[223:224]
	v_fma_f64 v[225:226], -v[221:222], v[223:224], 1.0
	s_delay_alu instid0(VALU_DEP_1) | instskip(NEXT) | instid1(VALU_DEP_1)
	v_fma_f64 v[223:224], v[223:224], v[225:226], v[223:224]
	v_mul_f64 v[225:226], v[227:228], v[223:224]
	s_delay_alu instid0(VALU_DEP_1) | instskip(NEXT) | instid1(VALU_DEP_1)
	v_fma_f64 v[221:222], -v[221:222], v[225:226], v[227:228]
	v_div_fmas_f64 v[221:222], v[221:222], v[223:224], v[225:226]
	s_delay_alu instid0(VALU_DEP_1) | instskip(NEXT) | instid1(VALU_DEP_1)
	v_div_fixup_f64 v[221:222], v[221:222], v[204:205], v[206:207]
	v_fma_f64 v[204:205], v[206:207], v[221:222], v[204:205]
	s_delay_alu instid0(VALU_DEP_1) | instskip(NEXT) | instid1(VALU_DEP_1)
	v_div_scale_f64 v[206:207], null, v[204:205], v[204:205], 1.0
	v_rcp_f64_e32 v[223:224], v[206:207]
	s_waitcnt_depctr 0xfff
	v_fma_f64 v[225:226], -v[206:207], v[223:224], 1.0
	s_delay_alu instid0(VALU_DEP_1) | instskip(NEXT) | instid1(VALU_DEP_1)
	v_fma_f64 v[223:224], v[223:224], v[225:226], v[223:224]
	v_fma_f64 v[225:226], -v[206:207], v[223:224], 1.0
	s_delay_alu instid0(VALU_DEP_1) | instskip(SKIP_1) | instid1(VALU_DEP_1)
	v_fma_f64 v[223:224], v[223:224], v[225:226], v[223:224]
	v_div_scale_f64 v[225:226], vcc_lo, 1.0, v[204:205], 1.0
	v_mul_f64 v[227:228], v[225:226], v[223:224]
	s_delay_alu instid0(VALU_DEP_1) | instskip(NEXT) | instid1(VALU_DEP_1)
	v_fma_f64 v[206:207], -v[206:207], v[227:228], v[225:226]
	v_div_fmas_f64 v[206:207], v[206:207], v[223:224], v[227:228]
	s_delay_alu instid0(VALU_DEP_1) | instskip(NEXT) | instid1(VALU_DEP_1)
	v_div_fixup_f64 v[204:205], v[206:207], v[204:205], 1.0
	v_mul_f64 v[206:207], v[221:222], -v[204:205]
.LBB100_954:
	s_or_b32 exec_lo, exec_lo, s2
.LBB100_955:
	s_delay_alu instid0(SALU_CYCLE_1) | instskip(NEXT) | instid1(SALU_CYCLE_1)
	s_or_b32 exec_lo, exec_lo, s3
	s_mov_b32 s2, exec_lo
	v_cmpx_ne_u32_e64 v220, v212
	s_xor_b32 s2, exec_lo, s2
	s_cbranch_execz .LBB100_961
; %bb.956:
	s_mov_b32 s3, exec_lo
	v_cmpx_eq_u32_e32 45, v220
	s_cbranch_execz .LBB100_960
; %bb.957:
	v_cmp_ne_u32_e32 vcc_lo, 45, v212
	s_xor_b32 s6, s4, -1
	s_delay_alu instid0(SALU_CYCLE_1) | instskip(NEXT) | instid1(SALU_CYCLE_1)
	s_and_b32 s7, s6, vcc_lo
	s_and_saveexec_b32 s6, s7
	s_cbranch_execz .LBB100_959
; %bb.958:
	v_ashrrev_i32_e32 v213, 31, v212
	s_delay_alu instid0(VALU_DEP_1) | instskip(NEXT) | instid1(VALU_DEP_1)
	v_lshlrev_b64 v[219:220], 2, v[212:213]
	v_add_co_u32 v219, vcc_lo, v210, v219
	s_delay_alu instid0(VALU_DEP_2)
	v_add_co_ci_u32_e32 v220, vcc_lo, v211, v220, vcc_lo
	s_clause 0x1
	flat_load_b32 v213, v[219:220]
	flat_load_b32 v221, v[210:211] offset:180
	s_waitcnt vmcnt(1) lgkmcnt(1)
	flat_store_b32 v[210:211], v213 offset:180
	s_waitcnt vmcnt(0) lgkmcnt(1)
	flat_store_b32 v[219:220], v221
.LBB100_959:
	s_or_b32 exec_lo, exec_lo, s6
	v_mov_b32_e32 v220, v212
	v_mov_b32_e32 v219, v212
.LBB100_960:
	s_or_b32 exec_lo, exec_lo, s3
.LBB100_961:
	s_and_not1_saveexec_b32 s2, s2
	s_cbranch_execz .LBB100_963
; %bb.962:
	v_mov_b32_e32 v220, 45
	ds_store_2addr_b64 v214, v[16:17], v[18:19] offset0:92 offset1:93
	ds_store_2addr_b64 v214, v[12:13], v[14:15] offset0:94 offset1:95
	;; [unrolled: 1-line block ×5, first 2 shown]
.LBB100_963:
	s_or_b32 exec_lo, exec_lo, s2
	s_delay_alu instid0(SALU_CYCLE_1)
	s_mov_b32 s2, exec_lo
	s_waitcnt lgkmcnt(0)
	s_waitcnt_vscnt null, 0x0
	s_barrier
	buffer_gl0_inv
	v_cmpx_lt_i32_e32 45, v220
	s_cbranch_execz .LBB100_965
; %bb.964:
	v_mul_f64 v[212:213], v[204:205], v[22:23]
	v_mul_f64 v[22:23], v[206:207], v[22:23]
	s_delay_alu instid0(VALU_DEP_2) | instskip(NEXT) | instid1(VALU_DEP_2)
	v_fma_f64 v[212:213], v[206:207], v[20:21], v[212:213]
	v_fma_f64 v[20:21], v[204:205], v[20:21], -v[22:23]
	ds_load_2addr_b64 v[204:207], v214 offset0:92 offset1:93
	s_waitcnt lgkmcnt(0)
	v_mul_f64 v[22:23], v[206:207], v[212:213]
	s_delay_alu instid0(VALU_DEP_1) | instskip(SKIP_1) | instid1(VALU_DEP_2)
	v_fma_f64 v[22:23], v[204:205], v[20:21], -v[22:23]
	v_mul_f64 v[204:205], v[204:205], v[212:213]
	v_add_f64 v[16:17], v[16:17], -v[22:23]
	s_delay_alu instid0(VALU_DEP_2) | instskip(NEXT) | instid1(VALU_DEP_1)
	v_fma_f64 v[204:205], v[206:207], v[20:21], v[204:205]
	v_add_f64 v[18:19], v[18:19], -v[204:205]
	ds_load_2addr_b64 v[204:207], v214 offset0:94 offset1:95
	s_waitcnt lgkmcnt(0)
	v_mul_f64 v[22:23], v[206:207], v[212:213]
	s_delay_alu instid0(VALU_DEP_1) | instskip(SKIP_1) | instid1(VALU_DEP_2)
	v_fma_f64 v[22:23], v[204:205], v[20:21], -v[22:23]
	v_mul_f64 v[204:205], v[204:205], v[212:213]
	v_add_f64 v[12:13], v[12:13], -v[22:23]
	s_delay_alu instid0(VALU_DEP_2) | instskip(NEXT) | instid1(VALU_DEP_1)
	v_fma_f64 v[204:205], v[206:207], v[20:21], v[204:205]
	v_add_f64 v[14:15], v[14:15], -v[204:205]
	;; [unrolled: 10-line block ×4, first 2 shown]
	ds_load_2addr_b64 v[204:207], v214 offset0:100 offset1:101
	s_waitcnt lgkmcnt(0)
	v_mul_f64 v[22:23], v[206:207], v[212:213]
	s_delay_alu instid0(VALU_DEP_1) | instskip(SKIP_1) | instid1(VALU_DEP_2)
	v_fma_f64 v[22:23], v[204:205], v[20:21], -v[22:23]
	v_mul_f64 v[204:205], v[204:205], v[212:213]
	v_add_f64 v[0:1], v[0:1], -v[22:23]
	s_delay_alu instid0(VALU_DEP_2) | instskip(SKIP_1) | instid1(VALU_DEP_2)
	v_fma_f64 v[204:205], v[206:207], v[20:21], v[204:205]
	v_dual_mov_b32 v22, v212 :: v_dual_mov_b32 v23, v213
	v_add_f64 v[2:3], v[2:3], -v[204:205]
.LBB100_965:
	s_or_b32 exec_lo, exec_lo, s2
	v_lshl_add_u32 v204, v220, 4, v214
	s_barrier
	buffer_gl0_inv
	v_mov_b32_e32 v212, 46
	ds_store_2addr_b64 v204, v[16:17], v[18:19] offset1:1
	s_waitcnt lgkmcnt(0)
	s_barrier
	buffer_gl0_inv
	ds_load_2addr_b64 v[204:207], v214 offset0:92 offset1:93
	s_cmp_lt_i32 s5, 48
	s_cbranch_scc1 .LBB100_968
; %bb.966:
	v_add3_u32 v213, v218, 0, 0x2f0
	v_mov_b32_e32 v212, 46
	s_mov_b32 s6, 47
	s_set_inst_prefetch_distance 0x1
	.p2align	6
.LBB100_967:                            ; =>This Inner Loop Header: Depth=1
	ds_load_2addr_b64 v[221:224], v213 offset1:1
	s_waitcnt lgkmcnt(1)
	v_cmp_gt_f64_e32 vcc_lo, 0, v[204:205]
	v_xor_b32_e32 v225, 0x80000000, v205
	v_cmp_gt_f64_e64 s2, 0, v[206:207]
	v_xor_b32_e32 v227, 0x80000000, v207
	v_add_nc_u32_e32 v213, 16, v213
	s_waitcnt lgkmcnt(0)
	v_cmp_gt_f64_e64 s3, 0, v[221:222]
	v_mov_b32_e32 v229, v221
	v_dual_mov_b32 v231, v223 :: v_dual_cndmask_b32 v226, v205, v225
	v_xor_b32_e32 v225, 0x80000000, v222
	v_cndmask_b32_e64 v228, v207, v227, s2
	v_xor_b32_e32 v227, 0x80000000, v224
	s_delay_alu instid0(VALU_DEP_3) | instskip(SKIP_2) | instid1(VALU_DEP_2)
	v_cndmask_b32_e64 v230, v222, v225, s3
	v_cmp_gt_f64_e64 s3, 0, v[223:224]
	v_cndmask_b32_e32 v225, v204, v204, vcc_lo
	v_cndmask_b32_e64 v232, v224, v227, s3
	v_cndmask_b32_e64 v227, v206, v206, s2
	s_delay_alu instid0(VALU_DEP_2) | instskip(NEXT) | instid1(VALU_DEP_2)
	v_add_f64 v[229:230], v[229:230], v[231:232]
	v_add_f64 v[225:226], v[225:226], v[227:228]
	s_delay_alu instid0(VALU_DEP_1) | instskip(SKIP_4) | instid1(SALU_CYCLE_1)
	v_cmp_lt_f64_e32 vcc_lo, v[225:226], v[229:230]
	v_dual_cndmask_b32 v206, v206, v223 :: v_dual_cndmask_b32 v205, v205, v222
	v_dual_cndmask_b32 v204, v204, v221 :: v_dual_cndmask_b32 v207, v207, v224
	v_cndmask_b32_e64 v212, v212, s6, vcc_lo
	s_add_i32 s6, s6, 1
	s_cmp_lg_u32 s5, s6
	s_cbranch_scc1 .LBB100_967
.LBB100_968:
	s_set_inst_prefetch_distance 0x2
	s_waitcnt lgkmcnt(0)
	v_cmp_eq_f64_e32 vcc_lo, 0, v[204:205]
	v_cmp_eq_f64_e64 s2, 0, v[206:207]
	s_delay_alu instid0(VALU_DEP_1) | instskip(NEXT) | instid1(SALU_CYCLE_1)
	s_and_b32 s2, vcc_lo, s2
	s_and_saveexec_b32 s3, s2
	s_delay_alu instid0(SALU_CYCLE_1)
	s_xor_b32 s2, exec_lo, s3
; %bb.969:
	v_cmp_ne_u32_e32 vcc_lo, 0, v217
	v_cndmask_b32_e32 v217, 47, v217, vcc_lo
; %bb.970:
	s_and_not1_saveexec_b32 s3, s2
	s_cbranch_execz .LBB100_976
; %bb.971:
	v_cmp_gt_f64_e32 vcc_lo, 0, v[204:205]
	v_cmp_gt_f64_e64 s2, 0, v[206:207]
	v_xor_b32_e32 v213, 0x80000000, v205
	v_xor_b32_e32 v221, 0x80000000, v207
	s_delay_alu instid0(VALU_DEP_2) | instskip(NEXT) | instid1(VALU_DEP_2)
	v_cndmask_b32_e32 v222, v205, v213, vcc_lo
	v_cndmask_b32_e64 v224, v207, v221, s2
	v_cndmask_b32_e32 v221, v204, v204, vcc_lo
	v_cndmask_b32_e64 v223, v206, v206, s2
	s_mov_b32 s2, exec_lo
	s_delay_alu instid0(VALU_DEP_1)
	v_cmpx_ngt_f64_e32 v[221:222], v[223:224]
	s_xor_b32 s2, exec_lo, s2
	s_cbranch_execz .LBB100_973
; %bb.972:
	v_div_scale_f64 v[221:222], null, v[206:207], v[206:207], v[204:205]
	v_div_scale_f64 v[227:228], vcc_lo, v[204:205], v[206:207], v[204:205]
	s_delay_alu instid0(VALU_DEP_2) | instskip(SKIP_2) | instid1(VALU_DEP_1)
	v_rcp_f64_e32 v[223:224], v[221:222]
	s_waitcnt_depctr 0xfff
	v_fma_f64 v[225:226], -v[221:222], v[223:224], 1.0
	v_fma_f64 v[223:224], v[223:224], v[225:226], v[223:224]
	s_delay_alu instid0(VALU_DEP_1) | instskip(NEXT) | instid1(VALU_DEP_1)
	v_fma_f64 v[225:226], -v[221:222], v[223:224], 1.0
	v_fma_f64 v[223:224], v[223:224], v[225:226], v[223:224]
	s_delay_alu instid0(VALU_DEP_1) | instskip(NEXT) | instid1(VALU_DEP_1)
	v_mul_f64 v[225:226], v[227:228], v[223:224]
	v_fma_f64 v[221:222], -v[221:222], v[225:226], v[227:228]
	s_delay_alu instid0(VALU_DEP_1) | instskip(NEXT) | instid1(VALU_DEP_1)
	v_div_fmas_f64 v[221:222], v[221:222], v[223:224], v[225:226]
	v_div_fixup_f64 v[221:222], v[221:222], v[206:207], v[204:205]
	s_delay_alu instid0(VALU_DEP_1) | instskip(NEXT) | instid1(VALU_DEP_1)
	v_fma_f64 v[204:205], v[204:205], v[221:222], v[206:207]
	v_div_scale_f64 v[206:207], null, v[204:205], v[204:205], 1.0
	s_delay_alu instid0(VALU_DEP_1) | instskip(SKIP_2) | instid1(VALU_DEP_1)
	v_rcp_f64_e32 v[223:224], v[206:207]
	s_waitcnt_depctr 0xfff
	v_fma_f64 v[225:226], -v[206:207], v[223:224], 1.0
	v_fma_f64 v[223:224], v[223:224], v[225:226], v[223:224]
	s_delay_alu instid0(VALU_DEP_1) | instskip(NEXT) | instid1(VALU_DEP_1)
	v_fma_f64 v[225:226], -v[206:207], v[223:224], 1.0
	v_fma_f64 v[223:224], v[223:224], v[225:226], v[223:224]
	v_div_scale_f64 v[225:226], vcc_lo, 1.0, v[204:205], 1.0
	s_delay_alu instid0(VALU_DEP_1) | instskip(NEXT) | instid1(VALU_DEP_1)
	v_mul_f64 v[227:228], v[225:226], v[223:224]
	v_fma_f64 v[206:207], -v[206:207], v[227:228], v[225:226]
	s_delay_alu instid0(VALU_DEP_1) | instskip(NEXT) | instid1(VALU_DEP_1)
	v_div_fmas_f64 v[206:207], v[206:207], v[223:224], v[227:228]
	v_div_fixup_f64 v[206:207], v[206:207], v[204:205], 1.0
	s_delay_alu instid0(VALU_DEP_1)
	v_mul_f64 v[204:205], v[221:222], v[206:207]
	v_xor_b32_e32 v207, 0x80000000, v207
.LBB100_973:
	s_and_not1_saveexec_b32 s2, s2
	s_cbranch_execz .LBB100_975
; %bb.974:
	s_delay_alu instid0(VALU_DEP_1) | instskip(SKIP_1) | instid1(VALU_DEP_2)
	v_div_scale_f64 v[221:222], null, v[204:205], v[204:205], v[206:207]
	v_div_scale_f64 v[227:228], vcc_lo, v[206:207], v[204:205], v[206:207]
	v_rcp_f64_e32 v[223:224], v[221:222]
	s_waitcnt_depctr 0xfff
	v_fma_f64 v[225:226], -v[221:222], v[223:224], 1.0
	s_delay_alu instid0(VALU_DEP_1) | instskip(NEXT) | instid1(VALU_DEP_1)
	v_fma_f64 v[223:224], v[223:224], v[225:226], v[223:224]
	v_fma_f64 v[225:226], -v[221:222], v[223:224], 1.0
	s_delay_alu instid0(VALU_DEP_1) | instskip(NEXT) | instid1(VALU_DEP_1)
	v_fma_f64 v[223:224], v[223:224], v[225:226], v[223:224]
	v_mul_f64 v[225:226], v[227:228], v[223:224]
	s_delay_alu instid0(VALU_DEP_1) | instskip(NEXT) | instid1(VALU_DEP_1)
	v_fma_f64 v[221:222], -v[221:222], v[225:226], v[227:228]
	v_div_fmas_f64 v[221:222], v[221:222], v[223:224], v[225:226]
	s_delay_alu instid0(VALU_DEP_1) | instskip(NEXT) | instid1(VALU_DEP_1)
	v_div_fixup_f64 v[221:222], v[221:222], v[204:205], v[206:207]
	v_fma_f64 v[204:205], v[206:207], v[221:222], v[204:205]
	s_delay_alu instid0(VALU_DEP_1) | instskip(NEXT) | instid1(VALU_DEP_1)
	v_div_scale_f64 v[206:207], null, v[204:205], v[204:205], 1.0
	v_rcp_f64_e32 v[223:224], v[206:207]
	s_waitcnt_depctr 0xfff
	v_fma_f64 v[225:226], -v[206:207], v[223:224], 1.0
	s_delay_alu instid0(VALU_DEP_1) | instskip(NEXT) | instid1(VALU_DEP_1)
	v_fma_f64 v[223:224], v[223:224], v[225:226], v[223:224]
	v_fma_f64 v[225:226], -v[206:207], v[223:224], 1.0
	s_delay_alu instid0(VALU_DEP_1) | instskip(SKIP_1) | instid1(VALU_DEP_1)
	v_fma_f64 v[223:224], v[223:224], v[225:226], v[223:224]
	v_div_scale_f64 v[225:226], vcc_lo, 1.0, v[204:205], 1.0
	v_mul_f64 v[227:228], v[225:226], v[223:224]
	s_delay_alu instid0(VALU_DEP_1) | instskip(NEXT) | instid1(VALU_DEP_1)
	v_fma_f64 v[206:207], -v[206:207], v[227:228], v[225:226]
	v_div_fmas_f64 v[206:207], v[206:207], v[223:224], v[227:228]
	s_delay_alu instid0(VALU_DEP_1) | instskip(NEXT) | instid1(VALU_DEP_1)
	v_div_fixup_f64 v[204:205], v[206:207], v[204:205], 1.0
	v_mul_f64 v[206:207], v[221:222], -v[204:205]
.LBB100_975:
	s_or_b32 exec_lo, exec_lo, s2
.LBB100_976:
	s_delay_alu instid0(SALU_CYCLE_1) | instskip(NEXT) | instid1(SALU_CYCLE_1)
	s_or_b32 exec_lo, exec_lo, s3
	s_mov_b32 s2, exec_lo
	v_cmpx_ne_u32_e64 v220, v212
	s_xor_b32 s2, exec_lo, s2
	s_cbranch_execz .LBB100_982
; %bb.977:
	s_mov_b32 s3, exec_lo
	v_cmpx_eq_u32_e32 46, v220
	s_cbranch_execz .LBB100_981
; %bb.978:
	v_cmp_ne_u32_e32 vcc_lo, 46, v212
	s_xor_b32 s6, s4, -1
	s_delay_alu instid0(SALU_CYCLE_1) | instskip(NEXT) | instid1(SALU_CYCLE_1)
	s_and_b32 s7, s6, vcc_lo
	s_and_saveexec_b32 s6, s7
	s_cbranch_execz .LBB100_980
; %bb.979:
	v_ashrrev_i32_e32 v213, 31, v212
	s_delay_alu instid0(VALU_DEP_1) | instskip(NEXT) | instid1(VALU_DEP_1)
	v_lshlrev_b64 v[219:220], 2, v[212:213]
	v_add_co_u32 v219, vcc_lo, v210, v219
	s_delay_alu instid0(VALU_DEP_2)
	v_add_co_ci_u32_e32 v220, vcc_lo, v211, v220, vcc_lo
	s_clause 0x1
	flat_load_b32 v213, v[219:220]
	flat_load_b32 v221, v[210:211] offset:184
	s_waitcnt vmcnt(1) lgkmcnt(1)
	flat_store_b32 v[210:211], v213 offset:184
	s_waitcnt vmcnt(0) lgkmcnt(1)
	flat_store_b32 v[219:220], v221
.LBB100_980:
	s_or_b32 exec_lo, exec_lo, s6
	v_mov_b32_e32 v220, v212
	v_mov_b32_e32 v219, v212
.LBB100_981:
	s_or_b32 exec_lo, exec_lo, s3
.LBB100_982:
	s_and_not1_saveexec_b32 s2, s2
	s_cbranch_execz .LBB100_984
; %bb.983:
	v_mov_b32_e32 v220, 46
	ds_store_2addr_b64 v214, v[12:13], v[14:15] offset0:94 offset1:95
	ds_store_2addr_b64 v214, v[8:9], v[10:11] offset0:96 offset1:97
	;; [unrolled: 1-line block ×4, first 2 shown]
.LBB100_984:
	s_or_b32 exec_lo, exec_lo, s2
	s_delay_alu instid0(SALU_CYCLE_1)
	s_mov_b32 s2, exec_lo
	s_waitcnt lgkmcnt(0)
	s_waitcnt_vscnt null, 0x0
	s_barrier
	buffer_gl0_inv
	v_cmpx_lt_i32_e32 46, v220
	s_cbranch_execz .LBB100_986
; %bb.985:
	v_mul_f64 v[212:213], v[204:205], v[18:19]
	v_mul_f64 v[18:19], v[206:207], v[18:19]
	ds_load_2addr_b64 v[221:224], v214 offset0:94 offset1:95
	ds_load_2addr_b64 v[225:228], v214 offset0:96 offset1:97
	;; [unrolled: 1-line block ×4, first 2 shown]
	v_fma_f64 v[206:207], v[206:207], v[16:17], v[212:213]
	v_fma_f64 v[16:17], v[204:205], v[16:17], -v[18:19]
	s_waitcnt lgkmcnt(3)
	s_delay_alu instid0(VALU_DEP_2)
	v_mul_f64 v[18:19], v[223:224], v[206:207]
	v_mul_f64 v[204:205], v[221:222], v[206:207]
	s_waitcnt lgkmcnt(2)
	v_mul_f64 v[212:213], v[227:228], v[206:207]
	v_mul_f64 v[237:238], v[225:226], v[206:207]
	s_waitcnt lgkmcnt(1)
	v_mul_f64 v[239:240], v[231:232], v[206:207]
	v_mul_f64 v[241:242], v[229:230], v[206:207]
	s_waitcnt lgkmcnt(0)
	v_mul_f64 v[243:244], v[235:236], v[206:207]
	v_mul_f64 v[245:246], v[233:234], v[206:207]
	v_fma_f64 v[18:19], v[221:222], v[16:17], -v[18:19]
	v_fma_f64 v[204:205], v[223:224], v[16:17], v[204:205]
	v_fma_f64 v[212:213], v[225:226], v[16:17], -v[212:213]
	v_fma_f64 v[221:222], v[227:228], v[16:17], v[237:238]
	;; [unrolled: 2-line block ×4, first 2 shown]
	v_add_f64 v[12:13], v[12:13], -v[18:19]
	v_add_f64 v[14:15], v[14:15], -v[204:205]
	;; [unrolled: 1-line block ×8, first 2 shown]
	v_dual_mov_b32 v18, v206 :: v_dual_mov_b32 v19, v207
.LBB100_986:
	s_or_b32 exec_lo, exec_lo, s2
	v_lshl_add_u32 v204, v220, 4, v214
	s_barrier
	buffer_gl0_inv
	v_mov_b32_e32 v212, 47
	ds_store_2addr_b64 v204, v[12:13], v[14:15] offset1:1
	s_waitcnt lgkmcnt(0)
	s_barrier
	buffer_gl0_inv
	ds_load_2addr_b64 v[204:207], v214 offset0:94 offset1:95
	s_cmp_lt_i32 s5, 49
	s_cbranch_scc1 .LBB100_989
; %bb.987:
	v_add3_u32 v213, v218, 0, 0x300
	v_mov_b32_e32 v212, 47
	s_mov_b32 s6, 48
	s_set_inst_prefetch_distance 0x1
	.p2align	6
.LBB100_988:                            ; =>This Inner Loop Header: Depth=1
	ds_load_2addr_b64 v[221:224], v213 offset1:1
	s_waitcnt lgkmcnt(1)
	v_cmp_gt_f64_e32 vcc_lo, 0, v[204:205]
	v_xor_b32_e32 v225, 0x80000000, v205
	v_cmp_gt_f64_e64 s2, 0, v[206:207]
	v_xor_b32_e32 v227, 0x80000000, v207
	v_add_nc_u32_e32 v213, 16, v213
	s_waitcnt lgkmcnt(0)
	v_cmp_gt_f64_e64 s3, 0, v[221:222]
	v_mov_b32_e32 v229, v221
	v_dual_mov_b32 v231, v223 :: v_dual_cndmask_b32 v226, v205, v225
	v_xor_b32_e32 v225, 0x80000000, v222
	v_cndmask_b32_e64 v228, v207, v227, s2
	v_xor_b32_e32 v227, 0x80000000, v224
	s_delay_alu instid0(VALU_DEP_3) | instskip(SKIP_2) | instid1(VALU_DEP_2)
	v_cndmask_b32_e64 v230, v222, v225, s3
	v_cmp_gt_f64_e64 s3, 0, v[223:224]
	v_cndmask_b32_e32 v225, v204, v204, vcc_lo
	v_cndmask_b32_e64 v232, v224, v227, s3
	v_cndmask_b32_e64 v227, v206, v206, s2
	s_delay_alu instid0(VALU_DEP_2) | instskip(NEXT) | instid1(VALU_DEP_2)
	v_add_f64 v[229:230], v[229:230], v[231:232]
	v_add_f64 v[225:226], v[225:226], v[227:228]
	s_delay_alu instid0(VALU_DEP_1) | instskip(SKIP_4) | instid1(SALU_CYCLE_1)
	v_cmp_lt_f64_e32 vcc_lo, v[225:226], v[229:230]
	v_dual_cndmask_b32 v206, v206, v223 :: v_dual_cndmask_b32 v205, v205, v222
	v_dual_cndmask_b32 v204, v204, v221 :: v_dual_cndmask_b32 v207, v207, v224
	v_cndmask_b32_e64 v212, v212, s6, vcc_lo
	s_add_i32 s6, s6, 1
	s_cmp_lg_u32 s5, s6
	s_cbranch_scc1 .LBB100_988
.LBB100_989:
	s_set_inst_prefetch_distance 0x2
	s_waitcnt lgkmcnt(0)
	v_cmp_eq_f64_e32 vcc_lo, 0, v[204:205]
	v_cmp_eq_f64_e64 s2, 0, v[206:207]
	s_delay_alu instid0(VALU_DEP_1) | instskip(NEXT) | instid1(SALU_CYCLE_1)
	s_and_b32 s2, vcc_lo, s2
	s_and_saveexec_b32 s3, s2
	s_delay_alu instid0(SALU_CYCLE_1)
	s_xor_b32 s2, exec_lo, s3
; %bb.990:
	v_cmp_ne_u32_e32 vcc_lo, 0, v217
	v_cndmask_b32_e32 v217, 48, v217, vcc_lo
; %bb.991:
	s_and_not1_saveexec_b32 s3, s2
	s_cbranch_execz .LBB100_997
; %bb.992:
	v_cmp_gt_f64_e32 vcc_lo, 0, v[204:205]
	v_cmp_gt_f64_e64 s2, 0, v[206:207]
	v_xor_b32_e32 v213, 0x80000000, v205
	v_xor_b32_e32 v221, 0x80000000, v207
	s_delay_alu instid0(VALU_DEP_2) | instskip(NEXT) | instid1(VALU_DEP_2)
	v_cndmask_b32_e32 v222, v205, v213, vcc_lo
	v_cndmask_b32_e64 v224, v207, v221, s2
	v_cndmask_b32_e32 v221, v204, v204, vcc_lo
	v_cndmask_b32_e64 v223, v206, v206, s2
	s_mov_b32 s2, exec_lo
	s_delay_alu instid0(VALU_DEP_1)
	v_cmpx_ngt_f64_e32 v[221:222], v[223:224]
	s_xor_b32 s2, exec_lo, s2
	s_cbranch_execz .LBB100_994
; %bb.993:
	v_div_scale_f64 v[221:222], null, v[206:207], v[206:207], v[204:205]
	v_div_scale_f64 v[227:228], vcc_lo, v[204:205], v[206:207], v[204:205]
	s_delay_alu instid0(VALU_DEP_2) | instskip(SKIP_2) | instid1(VALU_DEP_1)
	v_rcp_f64_e32 v[223:224], v[221:222]
	s_waitcnt_depctr 0xfff
	v_fma_f64 v[225:226], -v[221:222], v[223:224], 1.0
	v_fma_f64 v[223:224], v[223:224], v[225:226], v[223:224]
	s_delay_alu instid0(VALU_DEP_1) | instskip(NEXT) | instid1(VALU_DEP_1)
	v_fma_f64 v[225:226], -v[221:222], v[223:224], 1.0
	v_fma_f64 v[223:224], v[223:224], v[225:226], v[223:224]
	s_delay_alu instid0(VALU_DEP_1) | instskip(NEXT) | instid1(VALU_DEP_1)
	v_mul_f64 v[225:226], v[227:228], v[223:224]
	v_fma_f64 v[221:222], -v[221:222], v[225:226], v[227:228]
	s_delay_alu instid0(VALU_DEP_1) | instskip(NEXT) | instid1(VALU_DEP_1)
	v_div_fmas_f64 v[221:222], v[221:222], v[223:224], v[225:226]
	v_div_fixup_f64 v[221:222], v[221:222], v[206:207], v[204:205]
	s_delay_alu instid0(VALU_DEP_1) | instskip(NEXT) | instid1(VALU_DEP_1)
	v_fma_f64 v[204:205], v[204:205], v[221:222], v[206:207]
	v_div_scale_f64 v[206:207], null, v[204:205], v[204:205], 1.0
	s_delay_alu instid0(VALU_DEP_1) | instskip(SKIP_2) | instid1(VALU_DEP_1)
	v_rcp_f64_e32 v[223:224], v[206:207]
	s_waitcnt_depctr 0xfff
	v_fma_f64 v[225:226], -v[206:207], v[223:224], 1.0
	v_fma_f64 v[223:224], v[223:224], v[225:226], v[223:224]
	s_delay_alu instid0(VALU_DEP_1) | instskip(NEXT) | instid1(VALU_DEP_1)
	v_fma_f64 v[225:226], -v[206:207], v[223:224], 1.0
	v_fma_f64 v[223:224], v[223:224], v[225:226], v[223:224]
	v_div_scale_f64 v[225:226], vcc_lo, 1.0, v[204:205], 1.0
	s_delay_alu instid0(VALU_DEP_1) | instskip(NEXT) | instid1(VALU_DEP_1)
	v_mul_f64 v[227:228], v[225:226], v[223:224]
	v_fma_f64 v[206:207], -v[206:207], v[227:228], v[225:226]
	s_delay_alu instid0(VALU_DEP_1) | instskip(NEXT) | instid1(VALU_DEP_1)
	v_div_fmas_f64 v[206:207], v[206:207], v[223:224], v[227:228]
	v_div_fixup_f64 v[206:207], v[206:207], v[204:205], 1.0
	s_delay_alu instid0(VALU_DEP_1)
	v_mul_f64 v[204:205], v[221:222], v[206:207]
	v_xor_b32_e32 v207, 0x80000000, v207
.LBB100_994:
	s_and_not1_saveexec_b32 s2, s2
	s_cbranch_execz .LBB100_996
; %bb.995:
	s_delay_alu instid0(VALU_DEP_1) | instskip(SKIP_1) | instid1(VALU_DEP_2)
	v_div_scale_f64 v[221:222], null, v[204:205], v[204:205], v[206:207]
	v_div_scale_f64 v[227:228], vcc_lo, v[206:207], v[204:205], v[206:207]
	v_rcp_f64_e32 v[223:224], v[221:222]
	s_waitcnt_depctr 0xfff
	v_fma_f64 v[225:226], -v[221:222], v[223:224], 1.0
	s_delay_alu instid0(VALU_DEP_1) | instskip(NEXT) | instid1(VALU_DEP_1)
	v_fma_f64 v[223:224], v[223:224], v[225:226], v[223:224]
	v_fma_f64 v[225:226], -v[221:222], v[223:224], 1.0
	s_delay_alu instid0(VALU_DEP_1) | instskip(NEXT) | instid1(VALU_DEP_1)
	v_fma_f64 v[223:224], v[223:224], v[225:226], v[223:224]
	v_mul_f64 v[225:226], v[227:228], v[223:224]
	s_delay_alu instid0(VALU_DEP_1) | instskip(NEXT) | instid1(VALU_DEP_1)
	v_fma_f64 v[221:222], -v[221:222], v[225:226], v[227:228]
	v_div_fmas_f64 v[221:222], v[221:222], v[223:224], v[225:226]
	s_delay_alu instid0(VALU_DEP_1) | instskip(NEXT) | instid1(VALU_DEP_1)
	v_div_fixup_f64 v[221:222], v[221:222], v[204:205], v[206:207]
	v_fma_f64 v[204:205], v[206:207], v[221:222], v[204:205]
	s_delay_alu instid0(VALU_DEP_1) | instskip(NEXT) | instid1(VALU_DEP_1)
	v_div_scale_f64 v[206:207], null, v[204:205], v[204:205], 1.0
	v_rcp_f64_e32 v[223:224], v[206:207]
	s_waitcnt_depctr 0xfff
	v_fma_f64 v[225:226], -v[206:207], v[223:224], 1.0
	s_delay_alu instid0(VALU_DEP_1) | instskip(NEXT) | instid1(VALU_DEP_1)
	v_fma_f64 v[223:224], v[223:224], v[225:226], v[223:224]
	v_fma_f64 v[225:226], -v[206:207], v[223:224], 1.0
	s_delay_alu instid0(VALU_DEP_1) | instskip(SKIP_1) | instid1(VALU_DEP_1)
	v_fma_f64 v[223:224], v[223:224], v[225:226], v[223:224]
	v_div_scale_f64 v[225:226], vcc_lo, 1.0, v[204:205], 1.0
	v_mul_f64 v[227:228], v[225:226], v[223:224]
	s_delay_alu instid0(VALU_DEP_1) | instskip(NEXT) | instid1(VALU_DEP_1)
	v_fma_f64 v[206:207], -v[206:207], v[227:228], v[225:226]
	v_div_fmas_f64 v[206:207], v[206:207], v[223:224], v[227:228]
	s_delay_alu instid0(VALU_DEP_1) | instskip(NEXT) | instid1(VALU_DEP_1)
	v_div_fixup_f64 v[204:205], v[206:207], v[204:205], 1.0
	v_mul_f64 v[206:207], v[221:222], -v[204:205]
.LBB100_996:
	s_or_b32 exec_lo, exec_lo, s2
.LBB100_997:
	s_delay_alu instid0(SALU_CYCLE_1) | instskip(NEXT) | instid1(SALU_CYCLE_1)
	s_or_b32 exec_lo, exec_lo, s3
	s_mov_b32 s2, exec_lo
	v_cmpx_ne_u32_e64 v220, v212
	s_xor_b32 s2, exec_lo, s2
	s_cbranch_execz .LBB100_1003
; %bb.998:
	s_mov_b32 s3, exec_lo
	v_cmpx_eq_u32_e32 47, v220
	s_cbranch_execz .LBB100_1002
; %bb.999:
	v_cmp_ne_u32_e32 vcc_lo, 47, v212
	s_xor_b32 s6, s4, -1
	s_delay_alu instid0(SALU_CYCLE_1) | instskip(NEXT) | instid1(SALU_CYCLE_1)
	s_and_b32 s7, s6, vcc_lo
	s_and_saveexec_b32 s6, s7
	s_cbranch_execz .LBB100_1001
; %bb.1000:
	v_ashrrev_i32_e32 v213, 31, v212
	s_delay_alu instid0(VALU_DEP_1) | instskip(NEXT) | instid1(VALU_DEP_1)
	v_lshlrev_b64 v[219:220], 2, v[212:213]
	v_add_co_u32 v219, vcc_lo, v210, v219
	s_delay_alu instid0(VALU_DEP_2)
	v_add_co_ci_u32_e32 v220, vcc_lo, v211, v220, vcc_lo
	s_clause 0x1
	flat_load_b32 v213, v[219:220]
	flat_load_b32 v221, v[210:211] offset:188
	s_waitcnt vmcnt(1) lgkmcnt(1)
	flat_store_b32 v[210:211], v213 offset:188
	s_waitcnt vmcnt(0) lgkmcnt(1)
	flat_store_b32 v[219:220], v221
.LBB100_1001:
	s_or_b32 exec_lo, exec_lo, s6
	v_mov_b32_e32 v220, v212
	v_mov_b32_e32 v219, v212
.LBB100_1002:
	s_or_b32 exec_lo, exec_lo, s3
.LBB100_1003:
	s_and_not1_saveexec_b32 s2, s2
	s_cbranch_execz .LBB100_1005
; %bb.1004:
	v_mov_b32_e32 v220, 47
	ds_store_2addr_b64 v214, v[8:9], v[10:11] offset0:96 offset1:97
	ds_store_2addr_b64 v214, v[4:5], v[6:7] offset0:98 offset1:99
	;; [unrolled: 1-line block ×3, first 2 shown]
.LBB100_1005:
	s_or_b32 exec_lo, exec_lo, s2
	s_delay_alu instid0(SALU_CYCLE_1)
	s_mov_b32 s2, exec_lo
	s_waitcnt lgkmcnt(0)
	s_waitcnt_vscnt null, 0x0
	s_barrier
	buffer_gl0_inv
	v_cmpx_lt_i32_e32 47, v220
	s_cbranch_execz .LBB100_1007
; %bb.1006:
	v_mul_f64 v[212:213], v[204:205], v[14:15]
	v_mul_f64 v[14:15], v[206:207], v[14:15]
	ds_load_2addr_b64 v[221:224], v214 offset0:96 offset1:97
	ds_load_2addr_b64 v[225:228], v214 offset0:98 offset1:99
	;; [unrolled: 1-line block ×3, first 2 shown]
	v_fma_f64 v[206:207], v[206:207], v[12:13], v[212:213]
	v_fma_f64 v[12:13], v[204:205], v[12:13], -v[14:15]
	s_waitcnt lgkmcnt(2)
	s_delay_alu instid0(VALU_DEP_2)
	v_mul_f64 v[14:15], v[223:224], v[206:207]
	v_mul_f64 v[204:205], v[221:222], v[206:207]
	s_waitcnt lgkmcnt(1)
	v_mul_f64 v[212:213], v[227:228], v[206:207]
	v_mul_f64 v[233:234], v[225:226], v[206:207]
	s_waitcnt lgkmcnt(0)
	v_mul_f64 v[235:236], v[231:232], v[206:207]
	v_mul_f64 v[237:238], v[229:230], v[206:207]
	v_fma_f64 v[14:15], v[221:222], v[12:13], -v[14:15]
	v_fma_f64 v[204:205], v[223:224], v[12:13], v[204:205]
	v_fma_f64 v[212:213], v[225:226], v[12:13], -v[212:213]
	v_fma_f64 v[221:222], v[227:228], v[12:13], v[233:234]
	;; [unrolled: 2-line block ×3, first 2 shown]
	v_add_f64 v[8:9], v[8:9], -v[14:15]
	v_add_f64 v[10:11], v[10:11], -v[204:205]
	;; [unrolled: 1-line block ×6, first 2 shown]
	v_dual_mov_b32 v14, v206 :: v_dual_mov_b32 v15, v207
.LBB100_1007:
	s_or_b32 exec_lo, exec_lo, s2
	v_lshl_add_u32 v204, v220, 4, v214
	s_barrier
	buffer_gl0_inv
	v_mov_b32_e32 v212, 48
	ds_store_2addr_b64 v204, v[8:9], v[10:11] offset1:1
	s_waitcnt lgkmcnt(0)
	s_barrier
	buffer_gl0_inv
	ds_load_2addr_b64 v[204:207], v214 offset0:96 offset1:97
	s_cmp_lt_i32 s5, 50
	s_cbranch_scc1 .LBB100_1010
; %bb.1008:
	v_add3_u32 v213, v218, 0, 0x310
	v_mov_b32_e32 v212, 48
	s_mov_b32 s6, 49
	s_set_inst_prefetch_distance 0x1
	.p2align	6
.LBB100_1009:                           ; =>This Inner Loop Header: Depth=1
	ds_load_2addr_b64 v[221:224], v213 offset1:1
	s_waitcnt lgkmcnt(1)
	v_cmp_gt_f64_e32 vcc_lo, 0, v[204:205]
	v_xor_b32_e32 v225, 0x80000000, v205
	v_cmp_gt_f64_e64 s2, 0, v[206:207]
	v_xor_b32_e32 v227, 0x80000000, v207
	v_add_nc_u32_e32 v213, 16, v213
	s_waitcnt lgkmcnt(0)
	v_cmp_gt_f64_e64 s3, 0, v[221:222]
	v_mov_b32_e32 v229, v221
	v_dual_mov_b32 v231, v223 :: v_dual_cndmask_b32 v226, v205, v225
	v_xor_b32_e32 v225, 0x80000000, v222
	v_cndmask_b32_e64 v228, v207, v227, s2
	v_xor_b32_e32 v227, 0x80000000, v224
	s_delay_alu instid0(VALU_DEP_3) | instskip(SKIP_2) | instid1(VALU_DEP_2)
	v_cndmask_b32_e64 v230, v222, v225, s3
	v_cmp_gt_f64_e64 s3, 0, v[223:224]
	v_cndmask_b32_e32 v225, v204, v204, vcc_lo
	v_cndmask_b32_e64 v232, v224, v227, s3
	v_cndmask_b32_e64 v227, v206, v206, s2
	s_delay_alu instid0(VALU_DEP_2) | instskip(NEXT) | instid1(VALU_DEP_2)
	v_add_f64 v[229:230], v[229:230], v[231:232]
	v_add_f64 v[225:226], v[225:226], v[227:228]
	s_delay_alu instid0(VALU_DEP_1) | instskip(SKIP_4) | instid1(SALU_CYCLE_1)
	v_cmp_lt_f64_e32 vcc_lo, v[225:226], v[229:230]
	v_dual_cndmask_b32 v206, v206, v223 :: v_dual_cndmask_b32 v205, v205, v222
	v_dual_cndmask_b32 v204, v204, v221 :: v_dual_cndmask_b32 v207, v207, v224
	v_cndmask_b32_e64 v212, v212, s6, vcc_lo
	s_add_i32 s6, s6, 1
	s_cmp_lg_u32 s5, s6
	s_cbranch_scc1 .LBB100_1009
.LBB100_1010:
	s_set_inst_prefetch_distance 0x2
	s_waitcnt lgkmcnt(0)
	v_cmp_eq_f64_e32 vcc_lo, 0, v[204:205]
	v_cmp_eq_f64_e64 s2, 0, v[206:207]
	s_delay_alu instid0(VALU_DEP_1) | instskip(NEXT) | instid1(SALU_CYCLE_1)
	s_and_b32 s2, vcc_lo, s2
	s_and_saveexec_b32 s3, s2
	s_delay_alu instid0(SALU_CYCLE_1)
	s_xor_b32 s2, exec_lo, s3
; %bb.1011:
	v_cmp_ne_u32_e32 vcc_lo, 0, v217
	v_cndmask_b32_e32 v217, 49, v217, vcc_lo
; %bb.1012:
	s_and_not1_saveexec_b32 s3, s2
	s_cbranch_execz .LBB100_1018
; %bb.1013:
	v_cmp_gt_f64_e32 vcc_lo, 0, v[204:205]
	v_cmp_gt_f64_e64 s2, 0, v[206:207]
	v_xor_b32_e32 v213, 0x80000000, v205
	v_xor_b32_e32 v221, 0x80000000, v207
	s_delay_alu instid0(VALU_DEP_2) | instskip(NEXT) | instid1(VALU_DEP_2)
	v_cndmask_b32_e32 v222, v205, v213, vcc_lo
	v_cndmask_b32_e64 v224, v207, v221, s2
	v_cndmask_b32_e32 v221, v204, v204, vcc_lo
	v_cndmask_b32_e64 v223, v206, v206, s2
	s_mov_b32 s2, exec_lo
	s_delay_alu instid0(VALU_DEP_1)
	v_cmpx_ngt_f64_e32 v[221:222], v[223:224]
	s_xor_b32 s2, exec_lo, s2
	s_cbranch_execz .LBB100_1015
; %bb.1014:
	v_div_scale_f64 v[221:222], null, v[206:207], v[206:207], v[204:205]
	v_div_scale_f64 v[227:228], vcc_lo, v[204:205], v[206:207], v[204:205]
	s_delay_alu instid0(VALU_DEP_2) | instskip(SKIP_2) | instid1(VALU_DEP_1)
	v_rcp_f64_e32 v[223:224], v[221:222]
	s_waitcnt_depctr 0xfff
	v_fma_f64 v[225:226], -v[221:222], v[223:224], 1.0
	v_fma_f64 v[223:224], v[223:224], v[225:226], v[223:224]
	s_delay_alu instid0(VALU_DEP_1) | instskip(NEXT) | instid1(VALU_DEP_1)
	v_fma_f64 v[225:226], -v[221:222], v[223:224], 1.0
	v_fma_f64 v[223:224], v[223:224], v[225:226], v[223:224]
	s_delay_alu instid0(VALU_DEP_1) | instskip(NEXT) | instid1(VALU_DEP_1)
	v_mul_f64 v[225:226], v[227:228], v[223:224]
	v_fma_f64 v[221:222], -v[221:222], v[225:226], v[227:228]
	s_delay_alu instid0(VALU_DEP_1) | instskip(NEXT) | instid1(VALU_DEP_1)
	v_div_fmas_f64 v[221:222], v[221:222], v[223:224], v[225:226]
	v_div_fixup_f64 v[221:222], v[221:222], v[206:207], v[204:205]
	s_delay_alu instid0(VALU_DEP_1) | instskip(NEXT) | instid1(VALU_DEP_1)
	v_fma_f64 v[204:205], v[204:205], v[221:222], v[206:207]
	v_div_scale_f64 v[206:207], null, v[204:205], v[204:205], 1.0
	s_delay_alu instid0(VALU_DEP_1) | instskip(SKIP_2) | instid1(VALU_DEP_1)
	v_rcp_f64_e32 v[223:224], v[206:207]
	s_waitcnt_depctr 0xfff
	v_fma_f64 v[225:226], -v[206:207], v[223:224], 1.0
	v_fma_f64 v[223:224], v[223:224], v[225:226], v[223:224]
	s_delay_alu instid0(VALU_DEP_1) | instskip(NEXT) | instid1(VALU_DEP_1)
	v_fma_f64 v[225:226], -v[206:207], v[223:224], 1.0
	v_fma_f64 v[223:224], v[223:224], v[225:226], v[223:224]
	v_div_scale_f64 v[225:226], vcc_lo, 1.0, v[204:205], 1.0
	s_delay_alu instid0(VALU_DEP_1) | instskip(NEXT) | instid1(VALU_DEP_1)
	v_mul_f64 v[227:228], v[225:226], v[223:224]
	v_fma_f64 v[206:207], -v[206:207], v[227:228], v[225:226]
	s_delay_alu instid0(VALU_DEP_1) | instskip(NEXT) | instid1(VALU_DEP_1)
	v_div_fmas_f64 v[206:207], v[206:207], v[223:224], v[227:228]
	v_div_fixup_f64 v[206:207], v[206:207], v[204:205], 1.0
	s_delay_alu instid0(VALU_DEP_1)
	v_mul_f64 v[204:205], v[221:222], v[206:207]
	v_xor_b32_e32 v207, 0x80000000, v207
.LBB100_1015:
	s_and_not1_saveexec_b32 s2, s2
	s_cbranch_execz .LBB100_1017
; %bb.1016:
	s_delay_alu instid0(VALU_DEP_1) | instskip(SKIP_1) | instid1(VALU_DEP_2)
	v_div_scale_f64 v[221:222], null, v[204:205], v[204:205], v[206:207]
	v_div_scale_f64 v[227:228], vcc_lo, v[206:207], v[204:205], v[206:207]
	v_rcp_f64_e32 v[223:224], v[221:222]
	s_waitcnt_depctr 0xfff
	v_fma_f64 v[225:226], -v[221:222], v[223:224], 1.0
	s_delay_alu instid0(VALU_DEP_1) | instskip(NEXT) | instid1(VALU_DEP_1)
	v_fma_f64 v[223:224], v[223:224], v[225:226], v[223:224]
	v_fma_f64 v[225:226], -v[221:222], v[223:224], 1.0
	s_delay_alu instid0(VALU_DEP_1) | instskip(NEXT) | instid1(VALU_DEP_1)
	v_fma_f64 v[223:224], v[223:224], v[225:226], v[223:224]
	v_mul_f64 v[225:226], v[227:228], v[223:224]
	s_delay_alu instid0(VALU_DEP_1) | instskip(NEXT) | instid1(VALU_DEP_1)
	v_fma_f64 v[221:222], -v[221:222], v[225:226], v[227:228]
	v_div_fmas_f64 v[221:222], v[221:222], v[223:224], v[225:226]
	s_delay_alu instid0(VALU_DEP_1) | instskip(NEXT) | instid1(VALU_DEP_1)
	v_div_fixup_f64 v[221:222], v[221:222], v[204:205], v[206:207]
	v_fma_f64 v[204:205], v[206:207], v[221:222], v[204:205]
	s_delay_alu instid0(VALU_DEP_1) | instskip(NEXT) | instid1(VALU_DEP_1)
	v_div_scale_f64 v[206:207], null, v[204:205], v[204:205], 1.0
	v_rcp_f64_e32 v[223:224], v[206:207]
	s_waitcnt_depctr 0xfff
	v_fma_f64 v[225:226], -v[206:207], v[223:224], 1.0
	s_delay_alu instid0(VALU_DEP_1) | instskip(NEXT) | instid1(VALU_DEP_1)
	v_fma_f64 v[223:224], v[223:224], v[225:226], v[223:224]
	v_fma_f64 v[225:226], -v[206:207], v[223:224], 1.0
	s_delay_alu instid0(VALU_DEP_1) | instskip(SKIP_1) | instid1(VALU_DEP_1)
	v_fma_f64 v[223:224], v[223:224], v[225:226], v[223:224]
	v_div_scale_f64 v[225:226], vcc_lo, 1.0, v[204:205], 1.0
	v_mul_f64 v[227:228], v[225:226], v[223:224]
	s_delay_alu instid0(VALU_DEP_1) | instskip(NEXT) | instid1(VALU_DEP_1)
	v_fma_f64 v[206:207], -v[206:207], v[227:228], v[225:226]
	v_div_fmas_f64 v[206:207], v[206:207], v[223:224], v[227:228]
	s_delay_alu instid0(VALU_DEP_1) | instskip(NEXT) | instid1(VALU_DEP_1)
	v_div_fixup_f64 v[204:205], v[206:207], v[204:205], 1.0
	v_mul_f64 v[206:207], v[221:222], -v[204:205]
.LBB100_1017:
	s_or_b32 exec_lo, exec_lo, s2
.LBB100_1018:
	s_delay_alu instid0(SALU_CYCLE_1) | instskip(NEXT) | instid1(SALU_CYCLE_1)
	s_or_b32 exec_lo, exec_lo, s3
	s_mov_b32 s2, exec_lo
	v_cmpx_ne_u32_e64 v220, v212
	s_xor_b32 s2, exec_lo, s2
	s_cbranch_execz .LBB100_1024
; %bb.1019:
	s_mov_b32 s3, exec_lo
	v_cmpx_eq_u32_e32 48, v220
	s_cbranch_execz .LBB100_1023
; %bb.1020:
	v_cmp_ne_u32_e32 vcc_lo, 48, v212
	s_xor_b32 s6, s4, -1
	s_delay_alu instid0(SALU_CYCLE_1) | instskip(NEXT) | instid1(SALU_CYCLE_1)
	s_and_b32 s7, s6, vcc_lo
	s_and_saveexec_b32 s6, s7
	s_cbranch_execz .LBB100_1022
; %bb.1021:
	v_ashrrev_i32_e32 v213, 31, v212
	s_delay_alu instid0(VALU_DEP_1) | instskip(NEXT) | instid1(VALU_DEP_1)
	v_lshlrev_b64 v[219:220], 2, v[212:213]
	v_add_co_u32 v219, vcc_lo, v210, v219
	s_delay_alu instid0(VALU_DEP_2)
	v_add_co_ci_u32_e32 v220, vcc_lo, v211, v220, vcc_lo
	s_clause 0x1
	flat_load_b32 v213, v[219:220]
	flat_load_b32 v221, v[210:211] offset:192
	s_waitcnt vmcnt(1) lgkmcnt(1)
	flat_store_b32 v[210:211], v213 offset:192
	s_waitcnt vmcnt(0) lgkmcnt(1)
	flat_store_b32 v[219:220], v221
.LBB100_1022:
	s_or_b32 exec_lo, exec_lo, s6
	v_mov_b32_e32 v220, v212
	v_mov_b32_e32 v219, v212
.LBB100_1023:
	s_or_b32 exec_lo, exec_lo, s3
.LBB100_1024:
	s_and_not1_saveexec_b32 s2, s2
	s_cbranch_execz .LBB100_1026
; %bb.1025:
	v_mov_b32_e32 v220, 48
	ds_store_2addr_b64 v214, v[4:5], v[6:7] offset0:98 offset1:99
	ds_store_2addr_b64 v214, v[0:1], v[2:3] offset0:100 offset1:101
.LBB100_1026:
	s_or_b32 exec_lo, exec_lo, s2
	s_delay_alu instid0(SALU_CYCLE_1)
	s_mov_b32 s2, exec_lo
	s_waitcnt lgkmcnt(0)
	s_waitcnt_vscnt null, 0x0
	s_barrier
	buffer_gl0_inv
	v_cmpx_lt_i32_e32 48, v220
	s_cbranch_execz .LBB100_1028
; %bb.1027:
	v_mul_f64 v[212:213], v[204:205], v[10:11]
	v_mul_f64 v[10:11], v[206:207], v[10:11]
	ds_load_2addr_b64 v[221:224], v214 offset0:98 offset1:99
	ds_load_2addr_b64 v[225:228], v214 offset0:100 offset1:101
	v_fma_f64 v[206:207], v[206:207], v[8:9], v[212:213]
	v_fma_f64 v[8:9], v[204:205], v[8:9], -v[10:11]
	s_waitcnt lgkmcnt(1)
	s_delay_alu instid0(VALU_DEP_2) | instskip(SKIP_4) | instid1(VALU_DEP_4)
	v_mul_f64 v[10:11], v[223:224], v[206:207]
	v_mul_f64 v[204:205], v[221:222], v[206:207]
	s_waitcnt lgkmcnt(0)
	v_mul_f64 v[212:213], v[227:228], v[206:207]
	v_mul_f64 v[229:230], v[225:226], v[206:207]
	v_fma_f64 v[10:11], v[221:222], v[8:9], -v[10:11]
	s_delay_alu instid0(VALU_DEP_4) | instskip(NEXT) | instid1(VALU_DEP_4)
	v_fma_f64 v[204:205], v[223:224], v[8:9], v[204:205]
	v_fma_f64 v[212:213], v[225:226], v[8:9], -v[212:213]
	s_delay_alu instid0(VALU_DEP_4) | instskip(NEXT) | instid1(VALU_DEP_4)
	v_fma_f64 v[221:222], v[227:228], v[8:9], v[229:230]
	v_add_f64 v[4:5], v[4:5], -v[10:11]
	s_delay_alu instid0(VALU_DEP_4) | instskip(NEXT) | instid1(VALU_DEP_4)
	v_add_f64 v[6:7], v[6:7], -v[204:205]
	v_add_f64 v[0:1], v[0:1], -v[212:213]
	s_delay_alu instid0(VALU_DEP_4)
	v_add_f64 v[2:3], v[2:3], -v[221:222]
	v_dual_mov_b32 v10, v206 :: v_dual_mov_b32 v11, v207
.LBB100_1028:
	s_or_b32 exec_lo, exec_lo, s2
	v_lshl_add_u32 v204, v220, 4, v214
	s_barrier
	buffer_gl0_inv
	v_mov_b32_e32 v212, 49
	ds_store_2addr_b64 v204, v[4:5], v[6:7] offset1:1
	s_waitcnt lgkmcnt(0)
	s_barrier
	buffer_gl0_inv
	ds_load_2addr_b64 v[204:207], v214 offset0:98 offset1:99
	s_cmp_lt_i32 s5, 51
	s_cbranch_scc1 .LBB100_1031
; %bb.1029:
	v_add3_u32 v213, v218, 0, 0x320
	v_mov_b32_e32 v212, 49
	s_mov_b32 s6, 50
	s_set_inst_prefetch_distance 0x1
	.p2align	6
.LBB100_1030:                           ; =>This Inner Loop Header: Depth=1
	ds_load_2addr_b64 v[221:224], v213 offset1:1
	s_waitcnt lgkmcnt(1)
	v_cmp_gt_f64_e32 vcc_lo, 0, v[204:205]
	v_xor_b32_e32 v225, 0x80000000, v205
	v_cmp_gt_f64_e64 s2, 0, v[206:207]
	v_xor_b32_e32 v227, 0x80000000, v207
	v_add_nc_u32_e32 v213, 16, v213
	s_waitcnt lgkmcnt(0)
	v_cmp_gt_f64_e64 s3, 0, v[221:222]
	v_mov_b32_e32 v229, v221
	v_dual_mov_b32 v231, v223 :: v_dual_cndmask_b32 v226, v205, v225
	v_xor_b32_e32 v225, 0x80000000, v222
	v_cndmask_b32_e64 v228, v207, v227, s2
	v_xor_b32_e32 v227, 0x80000000, v224
	s_delay_alu instid0(VALU_DEP_3) | instskip(SKIP_2) | instid1(VALU_DEP_2)
	v_cndmask_b32_e64 v230, v222, v225, s3
	v_cmp_gt_f64_e64 s3, 0, v[223:224]
	v_cndmask_b32_e32 v225, v204, v204, vcc_lo
	v_cndmask_b32_e64 v232, v224, v227, s3
	v_cndmask_b32_e64 v227, v206, v206, s2
	s_delay_alu instid0(VALU_DEP_2) | instskip(NEXT) | instid1(VALU_DEP_2)
	v_add_f64 v[229:230], v[229:230], v[231:232]
	v_add_f64 v[225:226], v[225:226], v[227:228]
	s_delay_alu instid0(VALU_DEP_1) | instskip(SKIP_4) | instid1(SALU_CYCLE_1)
	v_cmp_lt_f64_e32 vcc_lo, v[225:226], v[229:230]
	v_dual_cndmask_b32 v206, v206, v223 :: v_dual_cndmask_b32 v205, v205, v222
	v_dual_cndmask_b32 v204, v204, v221 :: v_dual_cndmask_b32 v207, v207, v224
	v_cndmask_b32_e64 v212, v212, s6, vcc_lo
	s_add_i32 s6, s6, 1
	s_cmp_lg_u32 s5, s6
	s_cbranch_scc1 .LBB100_1030
.LBB100_1031:
	s_set_inst_prefetch_distance 0x2
	s_waitcnt lgkmcnt(0)
	v_cmp_eq_f64_e32 vcc_lo, 0, v[204:205]
	v_cmp_eq_f64_e64 s2, 0, v[206:207]
	s_delay_alu instid0(VALU_DEP_1) | instskip(NEXT) | instid1(SALU_CYCLE_1)
	s_and_b32 s2, vcc_lo, s2
	s_and_saveexec_b32 s3, s2
	s_delay_alu instid0(SALU_CYCLE_1)
	s_xor_b32 s2, exec_lo, s3
; %bb.1032:
	v_cmp_ne_u32_e32 vcc_lo, 0, v217
	v_cndmask_b32_e32 v217, 50, v217, vcc_lo
; %bb.1033:
	s_and_not1_saveexec_b32 s3, s2
	s_cbranch_execz .LBB100_1039
; %bb.1034:
	v_cmp_gt_f64_e32 vcc_lo, 0, v[204:205]
	v_cmp_gt_f64_e64 s2, 0, v[206:207]
	v_xor_b32_e32 v213, 0x80000000, v205
	v_xor_b32_e32 v221, 0x80000000, v207
	s_delay_alu instid0(VALU_DEP_2) | instskip(NEXT) | instid1(VALU_DEP_2)
	v_cndmask_b32_e32 v222, v205, v213, vcc_lo
	v_cndmask_b32_e64 v224, v207, v221, s2
	v_cndmask_b32_e32 v221, v204, v204, vcc_lo
	v_cndmask_b32_e64 v223, v206, v206, s2
	s_mov_b32 s2, exec_lo
	s_delay_alu instid0(VALU_DEP_1)
	v_cmpx_ngt_f64_e32 v[221:222], v[223:224]
	s_xor_b32 s2, exec_lo, s2
	s_cbranch_execz .LBB100_1036
; %bb.1035:
	v_div_scale_f64 v[221:222], null, v[206:207], v[206:207], v[204:205]
	v_div_scale_f64 v[227:228], vcc_lo, v[204:205], v[206:207], v[204:205]
	s_delay_alu instid0(VALU_DEP_2) | instskip(SKIP_2) | instid1(VALU_DEP_1)
	v_rcp_f64_e32 v[223:224], v[221:222]
	s_waitcnt_depctr 0xfff
	v_fma_f64 v[225:226], -v[221:222], v[223:224], 1.0
	v_fma_f64 v[223:224], v[223:224], v[225:226], v[223:224]
	s_delay_alu instid0(VALU_DEP_1) | instskip(NEXT) | instid1(VALU_DEP_1)
	v_fma_f64 v[225:226], -v[221:222], v[223:224], 1.0
	v_fma_f64 v[223:224], v[223:224], v[225:226], v[223:224]
	s_delay_alu instid0(VALU_DEP_1) | instskip(NEXT) | instid1(VALU_DEP_1)
	v_mul_f64 v[225:226], v[227:228], v[223:224]
	v_fma_f64 v[221:222], -v[221:222], v[225:226], v[227:228]
	s_delay_alu instid0(VALU_DEP_1) | instskip(NEXT) | instid1(VALU_DEP_1)
	v_div_fmas_f64 v[221:222], v[221:222], v[223:224], v[225:226]
	v_div_fixup_f64 v[221:222], v[221:222], v[206:207], v[204:205]
	s_delay_alu instid0(VALU_DEP_1) | instskip(NEXT) | instid1(VALU_DEP_1)
	v_fma_f64 v[204:205], v[204:205], v[221:222], v[206:207]
	v_div_scale_f64 v[206:207], null, v[204:205], v[204:205], 1.0
	s_delay_alu instid0(VALU_DEP_1) | instskip(SKIP_2) | instid1(VALU_DEP_1)
	v_rcp_f64_e32 v[223:224], v[206:207]
	s_waitcnt_depctr 0xfff
	v_fma_f64 v[225:226], -v[206:207], v[223:224], 1.0
	v_fma_f64 v[223:224], v[223:224], v[225:226], v[223:224]
	s_delay_alu instid0(VALU_DEP_1) | instskip(NEXT) | instid1(VALU_DEP_1)
	v_fma_f64 v[225:226], -v[206:207], v[223:224], 1.0
	v_fma_f64 v[223:224], v[223:224], v[225:226], v[223:224]
	v_div_scale_f64 v[225:226], vcc_lo, 1.0, v[204:205], 1.0
	s_delay_alu instid0(VALU_DEP_1) | instskip(NEXT) | instid1(VALU_DEP_1)
	v_mul_f64 v[227:228], v[225:226], v[223:224]
	v_fma_f64 v[206:207], -v[206:207], v[227:228], v[225:226]
	s_delay_alu instid0(VALU_DEP_1) | instskip(NEXT) | instid1(VALU_DEP_1)
	v_div_fmas_f64 v[206:207], v[206:207], v[223:224], v[227:228]
	v_div_fixup_f64 v[206:207], v[206:207], v[204:205], 1.0
	s_delay_alu instid0(VALU_DEP_1)
	v_mul_f64 v[204:205], v[221:222], v[206:207]
	v_xor_b32_e32 v207, 0x80000000, v207
.LBB100_1036:
	s_and_not1_saveexec_b32 s2, s2
	s_cbranch_execz .LBB100_1038
; %bb.1037:
	s_delay_alu instid0(VALU_DEP_1) | instskip(SKIP_1) | instid1(VALU_DEP_2)
	v_div_scale_f64 v[221:222], null, v[204:205], v[204:205], v[206:207]
	v_div_scale_f64 v[227:228], vcc_lo, v[206:207], v[204:205], v[206:207]
	v_rcp_f64_e32 v[223:224], v[221:222]
	s_waitcnt_depctr 0xfff
	v_fma_f64 v[225:226], -v[221:222], v[223:224], 1.0
	s_delay_alu instid0(VALU_DEP_1) | instskip(NEXT) | instid1(VALU_DEP_1)
	v_fma_f64 v[223:224], v[223:224], v[225:226], v[223:224]
	v_fma_f64 v[225:226], -v[221:222], v[223:224], 1.0
	s_delay_alu instid0(VALU_DEP_1) | instskip(NEXT) | instid1(VALU_DEP_1)
	v_fma_f64 v[223:224], v[223:224], v[225:226], v[223:224]
	v_mul_f64 v[225:226], v[227:228], v[223:224]
	s_delay_alu instid0(VALU_DEP_1) | instskip(NEXT) | instid1(VALU_DEP_1)
	v_fma_f64 v[221:222], -v[221:222], v[225:226], v[227:228]
	v_div_fmas_f64 v[221:222], v[221:222], v[223:224], v[225:226]
	s_delay_alu instid0(VALU_DEP_1) | instskip(NEXT) | instid1(VALU_DEP_1)
	v_div_fixup_f64 v[221:222], v[221:222], v[204:205], v[206:207]
	v_fma_f64 v[204:205], v[206:207], v[221:222], v[204:205]
	s_delay_alu instid0(VALU_DEP_1) | instskip(NEXT) | instid1(VALU_DEP_1)
	v_div_scale_f64 v[206:207], null, v[204:205], v[204:205], 1.0
	v_rcp_f64_e32 v[223:224], v[206:207]
	s_waitcnt_depctr 0xfff
	v_fma_f64 v[225:226], -v[206:207], v[223:224], 1.0
	s_delay_alu instid0(VALU_DEP_1) | instskip(NEXT) | instid1(VALU_DEP_1)
	v_fma_f64 v[223:224], v[223:224], v[225:226], v[223:224]
	v_fma_f64 v[225:226], -v[206:207], v[223:224], 1.0
	s_delay_alu instid0(VALU_DEP_1) | instskip(SKIP_1) | instid1(VALU_DEP_1)
	v_fma_f64 v[223:224], v[223:224], v[225:226], v[223:224]
	v_div_scale_f64 v[225:226], vcc_lo, 1.0, v[204:205], 1.0
	v_mul_f64 v[227:228], v[225:226], v[223:224]
	s_delay_alu instid0(VALU_DEP_1) | instskip(NEXT) | instid1(VALU_DEP_1)
	v_fma_f64 v[206:207], -v[206:207], v[227:228], v[225:226]
	v_div_fmas_f64 v[206:207], v[206:207], v[223:224], v[227:228]
	s_delay_alu instid0(VALU_DEP_1) | instskip(NEXT) | instid1(VALU_DEP_1)
	v_div_fixup_f64 v[204:205], v[206:207], v[204:205], 1.0
	v_mul_f64 v[206:207], v[221:222], -v[204:205]
.LBB100_1038:
	s_or_b32 exec_lo, exec_lo, s2
.LBB100_1039:
	s_delay_alu instid0(SALU_CYCLE_1) | instskip(NEXT) | instid1(SALU_CYCLE_1)
	s_or_b32 exec_lo, exec_lo, s3
	s_mov_b32 s2, exec_lo
	v_cmpx_ne_u32_e64 v220, v212
	s_xor_b32 s2, exec_lo, s2
	s_cbranch_execz .LBB100_1045
; %bb.1040:
	s_mov_b32 s3, exec_lo
	v_cmpx_eq_u32_e32 49, v220
	s_cbranch_execz .LBB100_1044
; %bb.1041:
	v_cmp_ne_u32_e32 vcc_lo, 49, v212
	s_xor_b32 s6, s4, -1
	s_delay_alu instid0(SALU_CYCLE_1) | instskip(NEXT) | instid1(SALU_CYCLE_1)
	s_and_b32 s7, s6, vcc_lo
	s_and_saveexec_b32 s6, s7
	s_cbranch_execz .LBB100_1043
; %bb.1042:
	v_ashrrev_i32_e32 v213, 31, v212
	s_delay_alu instid0(VALU_DEP_1) | instskip(NEXT) | instid1(VALU_DEP_1)
	v_lshlrev_b64 v[219:220], 2, v[212:213]
	v_add_co_u32 v219, vcc_lo, v210, v219
	s_delay_alu instid0(VALU_DEP_2)
	v_add_co_ci_u32_e32 v220, vcc_lo, v211, v220, vcc_lo
	s_clause 0x1
	flat_load_b32 v213, v[219:220]
	flat_load_b32 v221, v[210:211] offset:196
	s_waitcnt vmcnt(1) lgkmcnt(1)
	flat_store_b32 v[210:211], v213 offset:196
	s_waitcnt vmcnt(0) lgkmcnt(1)
	flat_store_b32 v[219:220], v221
.LBB100_1043:
	s_or_b32 exec_lo, exec_lo, s6
	v_mov_b32_e32 v220, v212
	v_mov_b32_e32 v219, v212
.LBB100_1044:
	s_or_b32 exec_lo, exec_lo, s3
.LBB100_1045:
	s_and_not1_saveexec_b32 s2, s2
	s_cbranch_execz .LBB100_1047
; %bb.1046:
	v_mov_b32_e32 v220, 49
	ds_store_2addr_b64 v214, v[0:1], v[2:3] offset0:100 offset1:101
.LBB100_1047:
	s_or_b32 exec_lo, exec_lo, s2
	s_delay_alu instid0(SALU_CYCLE_1)
	s_mov_b32 s2, exec_lo
	s_waitcnt lgkmcnt(0)
	s_waitcnt_vscnt null, 0x0
	s_barrier
	buffer_gl0_inv
	v_cmpx_lt_i32_e32 49, v220
	s_cbranch_execz .LBB100_1049
; %bb.1048:
	v_mul_f64 v[212:213], v[204:205], v[6:7]
	v_mul_f64 v[6:7], v[206:207], v[6:7]
	ds_load_2addr_b64 v[221:224], v214 offset0:100 offset1:101
	v_fma_f64 v[206:207], v[206:207], v[4:5], v[212:213]
	v_fma_f64 v[4:5], v[204:205], v[4:5], -v[6:7]
	s_waitcnt lgkmcnt(0)
	s_delay_alu instid0(VALU_DEP_2) | instskip(SKIP_1) | instid1(VALU_DEP_2)
	v_mul_f64 v[6:7], v[223:224], v[206:207]
	v_mul_f64 v[204:205], v[221:222], v[206:207]
	v_fma_f64 v[6:7], v[221:222], v[4:5], -v[6:7]
	s_delay_alu instid0(VALU_DEP_2) | instskip(NEXT) | instid1(VALU_DEP_2)
	v_fma_f64 v[204:205], v[223:224], v[4:5], v[204:205]
	v_add_f64 v[0:1], v[0:1], -v[6:7]
	s_delay_alu instid0(VALU_DEP_2)
	v_add_f64 v[2:3], v[2:3], -v[204:205]
	v_dual_mov_b32 v6, v206 :: v_dual_mov_b32 v7, v207
.LBB100_1049:
	s_or_b32 exec_lo, exec_lo, s2
	v_lshl_add_u32 v204, v220, 4, v214
	s_barrier
	buffer_gl0_inv
	v_mov_b32_e32 v212, 50
	ds_store_2addr_b64 v204, v[0:1], v[2:3] offset1:1
	s_waitcnt lgkmcnt(0)
	s_barrier
	buffer_gl0_inv
	ds_load_2addr_b64 v[204:207], v214 offset0:100 offset1:101
	s_cmp_lt_i32 s5, 52
	s_cbranch_scc1 .LBB100_1052
; %bb.1050:
	v_add3_u32 v213, v218, 0, 0x330
	v_mov_b32_e32 v212, 50
	s_mov_b32 s6, 51
	s_set_inst_prefetch_distance 0x1
	.p2align	6
.LBB100_1051:                           ; =>This Inner Loop Header: Depth=1
	ds_load_2addr_b64 v[221:224], v213 offset1:1
	s_waitcnt lgkmcnt(1)
	v_cmp_gt_f64_e32 vcc_lo, 0, v[204:205]
	v_xor_b32_e32 v214, 0x80000000, v205
	v_cmp_gt_f64_e64 s2, 0, v[206:207]
	v_xor_b32_e32 v218, 0x80000000, v207
	v_add_nc_u32_e32 v213, 16, v213
	s_waitcnt lgkmcnt(0)
	v_cmp_gt_f64_e64 s3, 0, v[221:222]
	v_mov_b32_e32 v229, v221
	v_dual_mov_b32 v231, v223 :: v_dual_cndmask_b32 v226, v205, v214
	v_xor_b32_e32 v214, 0x80000000, v222
	v_cndmask_b32_e64 v228, v207, v218, s2
	v_xor_b32_e32 v218, 0x80000000, v224
	v_cndmask_b32_e32 v225, v204, v204, vcc_lo
	v_cndmask_b32_e64 v227, v206, v206, s2
	s_delay_alu instid0(VALU_DEP_1) | instskip(SKIP_2) | instid1(VALU_DEP_1)
	v_add_f64 v[225:226], v[225:226], v[227:228]
	v_cndmask_b32_e64 v230, v222, v214, s3
	v_cmp_gt_f64_e64 s3, 0, v[223:224]
	v_cndmask_b32_e64 v232, v224, v218, s3
	s_delay_alu instid0(VALU_DEP_1) | instskip(NEXT) | instid1(VALU_DEP_1)
	v_add_f64 v[229:230], v[229:230], v[231:232]
	v_cmp_lt_f64_e32 vcc_lo, v[225:226], v[229:230]
	v_dual_cndmask_b32 v206, v206, v223 :: v_dual_cndmask_b32 v205, v205, v222
	v_dual_cndmask_b32 v204, v204, v221 :: v_dual_cndmask_b32 v207, v207, v224
	v_cndmask_b32_e64 v212, v212, s6, vcc_lo
	s_add_i32 s6, s6, 1
	s_delay_alu instid0(SALU_CYCLE_1)
	s_cmp_lg_u32 s5, s6
	s_cbranch_scc1 .LBB100_1051
.LBB100_1052:
	s_set_inst_prefetch_distance 0x2
	s_waitcnt lgkmcnt(0)
	v_cmp_eq_f64_e32 vcc_lo, 0, v[204:205]
	v_cmp_eq_f64_e64 s2, 0, v[206:207]
	s_delay_alu instid0(VALU_DEP_1) | instskip(NEXT) | instid1(SALU_CYCLE_1)
	s_and_b32 s2, vcc_lo, s2
	s_and_saveexec_b32 s3, s2
	s_delay_alu instid0(SALU_CYCLE_1)
	s_xor_b32 s2, exec_lo, s3
; %bb.1053:
	v_cmp_ne_u32_e32 vcc_lo, 0, v217
	v_cndmask_b32_e32 v217, 51, v217, vcc_lo
; %bb.1054:
	s_and_not1_saveexec_b32 s3, s2
	s_cbranch_execz .LBB100_1060
; %bb.1055:
	v_cmp_gt_f64_e32 vcc_lo, 0, v[204:205]
	v_cmp_gt_f64_e64 s2, 0, v[206:207]
	v_xor_b32_e32 v213, 0x80000000, v205
	v_xor_b32_e32 v218, 0x80000000, v207
	s_delay_alu instid0(VALU_DEP_2) | instskip(NEXT) | instid1(VALU_DEP_2)
	v_dual_cndmask_b32 v214, v205, v213 :: v_dual_cndmask_b32 v213, v204, v204
	v_cndmask_b32_e64 v222, v207, v218, s2
	v_cndmask_b32_e64 v221, v206, v206, s2
	s_mov_b32 s2, exec_lo
	s_delay_alu instid0(VALU_DEP_1)
	v_cmpx_ngt_f64_e32 v[213:214], v[221:222]
	s_xor_b32 s2, exec_lo, s2
	s_cbranch_execz .LBB100_1057
; %bb.1056:
	v_div_scale_f64 v[213:214], null, v[206:207], v[206:207], v[204:205]
	v_div_scale_f64 v[225:226], vcc_lo, v[204:205], v[206:207], v[204:205]
	s_delay_alu instid0(VALU_DEP_2) | instskip(SKIP_2) | instid1(VALU_DEP_1)
	v_rcp_f64_e32 v[221:222], v[213:214]
	s_waitcnt_depctr 0xfff
	v_fma_f64 v[223:224], -v[213:214], v[221:222], 1.0
	v_fma_f64 v[221:222], v[221:222], v[223:224], v[221:222]
	s_delay_alu instid0(VALU_DEP_1) | instskip(NEXT) | instid1(VALU_DEP_1)
	v_fma_f64 v[223:224], -v[213:214], v[221:222], 1.0
	v_fma_f64 v[221:222], v[221:222], v[223:224], v[221:222]
	s_delay_alu instid0(VALU_DEP_1) | instskip(NEXT) | instid1(VALU_DEP_1)
	v_mul_f64 v[223:224], v[225:226], v[221:222]
	v_fma_f64 v[213:214], -v[213:214], v[223:224], v[225:226]
	s_delay_alu instid0(VALU_DEP_1) | instskip(NEXT) | instid1(VALU_DEP_1)
	v_div_fmas_f64 v[213:214], v[213:214], v[221:222], v[223:224]
	v_div_fixup_f64 v[213:214], v[213:214], v[206:207], v[204:205]
	s_delay_alu instid0(VALU_DEP_1) | instskip(NEXT) | instid1(VALU_DEP_1)
	v_fma_f64 v[204:205], v[204:205], v[213:214], v[206:207]
	v_div_scale_f64 v[206:207], null, v[204:205], v[204:205], 1.0
	s_delay_alu instid0(VALU_DEP_1) | instskip(SKIP_2) | instid1(VALU_DEP_1)
	v_rcp_f64_e32 v[221:222], v[206:207]
	s_waitcnt_depctr 0xfff
	v_fma_f64 v[223:224], -v[206:207], v[221:222], 1.0
	v_fma_f64 v[221:222], v[221:222], v[223:224], v[221:222]
	s_delay_alu instid0(VALU_DEP_1) | instskip(NEXT) | instid1(VALU_DEP_1)
	v_fma_f64 v[223:224], -v[206:207], v[221:222], 1.0
	v_fma_f64 v[221:222], v[221:222], v[223:224], v[221:222]
	v_div_scale_f64 v[223:224], vcc_lo, 1.0, v[204:205], 1.0
	s_delay_alu instid0(VALU_DEP_1) | instskip(NEXT) | instid1(VALU_DEP_1)
	v_mul_f64 v[225:226], v[223:224], v[221:222]
	v_fma_f64 v[206:207], -v[206:207], v[225:226], v[223:224]
	s_delay_alu instid0(VALU_DEP_1) | instskip(NEXT) | instid1(VALU_DEP_1)
	v_div_fmas_f64 v[206:207], v[206:207], v[221:222], v[225:226]
	v_div_fixup_f64 v[206:207], v[206:207], v[204:205], 1.0
	s_delay_alu instid0(VALU_DEP_1)
	v_mul_f64 v[204:205], v[213:214], v[206:207]
	v_xor_b32_e32 v207, 0x80000000, v207
.LBB100_1057:
	s_and_not1_saveexec_b32 s2, s2
	s_cbranch_execz .LBB100_1059
; %bb.1058:
	s_delay_alu instid0(VALU_DEP_1) | instskip(SKIP_1) | instid1(VALU_DEP_2)
	v_div_scale_f64 v[213:214], null, v[204:205], v[204:205], v[206:207]
	v_div_scale_f64 v[225:226], vcc_lo, v[206:207], v[204:205], v[206:207]
	v_rcp_f64_e32 v[221:222], v[213:214]
	s_waitcnt_depctr 0xfff
	v_fma_f64 v[223:224], -v[213:214], v[221:222], 1.0
	s_delay_alu instid0(VALU_DEP_1) | instskip(NEXT) | instid1(VALU_DEP_1)
	v_fma_f64 v[221:222], v[221:222], v[223:224], v[221:222]
	v_fma_f64 v[223:224], -v[213:214], v[221:222], 1.0
	s_delay_alu instid0(VALU_DEP_1) | instskip(NEXT) | instid1(VALU_DEP_1)
	v_fma_f64 v[221:222], v[221:222], v[223:224], v[221:222]
	v_mul_f64 v[223:224], v[225:226], v[221:222]
	s_delay_alu instid0(VALU_DEP_1) | instskip(NEXT) | instid1(VALU_DEP_1)
	v_fma_f64 v[213:214], -v[213:214], v[223:224], v[225:226]
	v_div_fmas_f64 v[213:214], v[213:214], v[221:222], v[223:224]
	s_delay_alu instid0(VALU_DEP_1) | instskip(NEXT) | instid1(VALU_DEP_1)
	v_div_fixup_f64 v[213:214], v[213:214], v[204:205], v[206:207]
	v_fma_f64 v[204:205], v[206:207], v[213:214], v[204:205]
	s_delay_alu instid0(VALU_DEP_1) | instskip(NEXT) | instid1(VALU_DEP_1)
	v_div_scale_f64 v[206:207], null, v[204:205], v[204:205], 1.0
	v_rcp_f64_e32 v[221:222], v[206:207]
	s_waitcnt_depctr 0xfff
	v_fma_f64 v[223:224], -v[206:207], v[221:222], 1.0
	s_delay_alu instid0(VALU_DEP_1) | instskip(NEXT) | instid1(VALU_DEP_1)
	v_fma_f64 v[221:222], v[221:222], v[223:224], v[221:222]
	v_fma_f64 v[223:224], -v[206:207], v[221:222], 1.0
	s_delay_alu instid0(VALU_DEP_1) | instskip(SKIP_1) | instid1(VALU_DEP_1)
	v_fma_f64 v[221:222], v[221:222], v[223:224], v[221:222]
	v_div_scale_f64 v[223:224], vcc_lo, 1.0, v[204:205], 1.0
	v_mul_f64 v[225:226], v[223:224], v[221:222]
	s_delay_alu instid0(VALU_DEP_1) | instskip(NEXT) | instid1(VALU_DEP_1)
	v_fma_f64 v[206:207], -v[206:207], v[225:226], v[223:224]
	v_div_fmas_f64 v[206:207], v[206:207], v[221:222], v[225:226]
	s_delay_alu instid0(VALU_DEP_1) | instskip(NEXT) | instid1(VALU_DEP_1)
	v_div_fixup_f64 v[204:205], v[206:207], v[204:205], 1.0
	v_mul_f64 v[206:207], v[213:214], -v[204:205]
.LBB100_1059:
	s_or_b32 exec_lo, exec_lo, s2
.LBB100_1060:
	s_delay_alu instid0(SALU_CYCLE_1)
	s_or_b32 exec_lo, exec_lo, s3
	v_mov_b32_e32 v213, 50
	s_mov_b32 s2, exec_lo
	v_cmpx_ne_u32_e64 v220, v212
	s_cbranch_execz .LBB100_1066
; %bb.1061:
	s_mov_b32 s3, exec_lo
	v_cmpx_eq_u32_e32 50, v220
	s_cbranch_execz .LBB100_1065
; %bb.1062:
	v_cmp_ne_u32_e32 vcc_lo, 50, v212
	s_xor_b32 s4, s4, -1
	s_delay_alu instid0(SALU_CYCLE_1) | instskip(NEXT) | instid1(SALU_CYCLE_1)
	s_and_b32 s5, s4, vcc_lo
	s_and_saveexec_b32 s4, s5
	s_cbranch_execz .LBB100_1064
; %bb.1063:
	v_ashrrev_i32_e32 v213, 31, v212
	s_delay_alu instid0(VALU_DEP_1) | instskip(NEXT) | instid1(VALU_DEP_1)
	v_lshlrev_b64 v[213:214], 2, v[212:213]
	v_add_co_u32 v213, vcc_lo, v210, v213
	s_delay_alu instid0(VALU_DEP_2)
	v_add_co_ci_u32_e32 v214, vcc_lo, v211, v214, vcc_lo
	s_clause 0x1
	flat_load_b32 v218, v[213:214]
	flat_load_b32 v219, v[210:211] offset:200
	s_waitcnt vmcnt(1) lgkmcnt(1)
	flat_store_b32 v[210:211], v218 offset:200
	s_waitcnt vmcnt(0) lgkmcnt(1)
	flat_store_b32 v[213:214], v219
.LBB100_1064:
	s_or_b32 exec_lo, exec_lo, s4
	v_mov_b32_e32 v220, v212
	v_mov_b32_e32 v219, v212
.LBB100_1065:
	s_or_b32 exec_lo, exec_lo, s3
	s_delay_alu instid0(VALU_DEP_2)
	v_mov_b32_e32 v213, v220
.LBB100_1066:
	s_or_b32 exec_lo, exec_lo, s2
	s_delay_alu instid0(SALU_CYCLE_1)
	s_mov_b32 s2, exec_lo
	s_waitcnt lgkmcnt(0)
	s_waitcnt_vscnt null, 0x0
	s_barrier
	buffer_gl0_inv
	v_cmpx_lt_i32_e32 50, v213
; %bb.1067:
	v_mul_f64 v[210:211], v[206:207], v[2:3]
	v_mul_f64 v[2:3], v[204:205], v[2:3]
	s_delay_alu instid0(VALU_DEP_2) | instskip(NEXT) | instid1(VALU_DEP_2)
	v_fma_f64 v[204:205], v[204:205], v[0:1], -v[210:211]
	v_fma_f64 v[2:3], v[206:207], v[0:1], v[2:3]
	s_delay_alu instid0(VALU_DEP_2)
	v_dual_mov_b32 v0, v204 :: v_dual_mov_b32 v1, v205
; %bb.1068:
	s_or_b32 exec_lo, exec_lo, s2
	s_load_b256 s[0:7], s[0:1], 0x28
	v_ashrrev_i32_e32 v214, 31, v213
	s_mov_b32 s9, exec_lo
	s_waitcnt lgkmcnt(0)
	s_barrier
	buffer_gl0_inv
	v_cmpx_gt_i32_e32 51, v213
	s_cbranch_execz .LBB100_1070
; %bb.1069:
	v_mul_lo_u32 v206, v209, s4
	v_mul_lo_u32 v207, v208, s5
	v_mad_u64_u32 v[204:205], null, v208, s4, 0
	s_lshl_b64 s[2:3], s[2:3], 2
	s_delay_alu instid0(SALU_CYCLE_1) | instskip(SKIP_1) | instid1(VALU_DEP_1)
	s_add_u32 s0, s2, s0
	s_addc_u32 s1, s3, s1
	v_add3_u32 v205, v205, v207, v206
	v_lshlrev_b64 v[206:207], 2, v[213:214]
	s_delay_alu instid0(VALU_DEP_2) | instskip(NEXT) | instid1(VALU_DEP_1)
	v_lshlrev_b64 v[204:205], 2, v[204:205]
	v_add_co_u32 v204, vcc_lo, s0, v204
	s_delay_alu instid0(VALU_DEP_2) | instskip(NEXT) | instid1(VALU_DEP_2)
	v_add_co_ci_u32_e32 v205, vcc_lo, s1, v205, vcc_lo
	v_add_co_u32 v204, vcc_lo, v204, v206
	s_delay_alu instid0(VALU_DEP_2)
	v_add_co_ci_u32_e32 v205, vcc_lo, v205, v207, vcc_lo
	v_add3_u32 v206, v219, s13, 1
	global_store_b32 v[204:205], v206, off
.LBB100_1070:
	s_or_b32 exec_lo, exec_lo, s9
	s_delay_alu instid0(SALU_CYCLE_1)
	s_mov_b32 s1, exec_lo
	v_cmpx_eq_u32_e32 0, v213
	s_cbranch_execz .LBB100_1073
; %bb.1071:
	v_lshlrev_b64 v[204:205], 2, v[208:209]
	v_cmp_lt_i32_e64 s0, 0, v217
	s_delay_alu instid0(VALU_DEP_2) | instskip(NEXT) | instid1(VALU_DEP_3)
	v_add_co_u32 v204, vcc_lo, s6, v204
	v_add_co_ci_u32_e32 v205, vcc_lo, s7, v205, vcc_lo
	global_load_b32 v206, v[204:205], off
	s_waitcnt vmcnt(0)
	v_cmp_eq_u32_e32 vcc_lo, 0, v206
	s_and_b32 s0, vcc_lo, s0
	s_delay_alu instid0(SALU_CYCLE_1)
	s_and_b32 exec_lo, exec_lo, s0
	s_cbranch_execz .LBB100_1073
; %bb.1072:
	v_add_nc_u32_e32 v206, s13, v217
	global_store_b32 v[204:205], v206, off
.LBB100_1073:
	s_or_b32 exec_lo, exec_lo, s1
	v_add3_u32 v204, s8, s8, v213
	v_lshlrev_b64 v[206:207], 4, v[213:214]
	s_delay_alu instid0(VALU_DEP_2) | instskip(SKIP_1) | instid1(VALU_DEP_3)
	v_add_nc_u32_e32 v208, s8, v204
	v_ashrrev_i32_e32 v205, 31, v204
	v_add_co_u32 v206, vcc_lo, v215, v206
	s_delay_alu instid0(VALU_DEP_4) | instskip(NEXT) | instid1(VALU_DEP_4)
	v_add_co_ci_u32_e32 v207, vcc_lo, v216, v207, vcc_lo
	v_ashrrev_i32_e32 v209, 31, v208
	s_delay_alu instid0(VALU_DEP_4)
	v_lshlrev_b64 v[204:205], 4, v[204:205]
	global_store_b128 v[206:207], v[200:203], off
	v_add_co_u32 v200, vcc_lo, v206, s10
	v_lshlrev_b64 v[202:203], 4, v[208:209]
	v_add_co_ci_u32_e32 v201, vcc_lo, s11, v207, vcc_lo
	v_add_nc_u32_e32 v206, s8, v208
	v_add_co_u32 v204, vcc_lo, v215, v204
	v_add_co_ci_u32_e32 v205, vcc_lo, v216, v205, vcc_lo
	v_add_co_u32 v202, vcc_lo, v215, v202
	s_delay_alu instid0(VALU_DEP_4)
	v_add_nc_u32_e32 v208, s8, v206
	v_add_co_ci_u32_e32 v203, vcc_lo, v216, v203, vcc_lo
	v_ashrrev_i32_e32 v207, 31, v206
	global_store_b128 v[200:201], v[196:199], off
	v_ashrrev_i32_e32 v209, 31, v208
	s_clause 0x1
	global_store_b128 v[204:205], v[192:195], off
	global_store_b128 v[202:203], v[188:191], off
	v_add_nc_u32_e32 v190, s8, v208
	v_lshlrev_b64 v[196:197], 4, v[206:207]
	v_lshlrev_b64 v[188:189], 4, v[208:209]
	s_delay_alu instid0(VALU_DEP_3) | instskip(SKIP_1) | instid1(VALU_DEP_4)
	v_add_nc_u32_e32 v194, s8, v190
	v_ashrrev_i32_e32 v191, 31, v190
	v_add_co_u32 v192, vcc_lo, v215, v196
	v_add_co_ci_u32_e32 v193, vcc_lo, v216, v197, vcc_lo
	s_delay_alu instid0(VALU_DEP_4)
	v_add_nc_u32_e32 v196, s8, v194
	v_add_co_u32 v188, vcc_lo, v215, v188
	v_ashrrev_i32_e32 v195, 31, v194
	v_add_co_ci_u32_e32 v189, vcc_lo, v216, v189, vcc_lo
	v_lshlrev_b64 v[190:191], 4, v[190:191]
	v_ashrrev_i32_e32 v197, 31, v196
	s_clause 0x1
	global_store_b128 v[192:193], v[184:187], off
	global_store_b128 v[188:189], v[180:183], off
	v_lshlrev_b64 v[180:181], 4, v[194:195]
	v_add_nc_u32_e32 v186, s8, v196
	v_add_co_u32 v182, vcc_lo, v215, v190
	v_lshlrev_b64 v[184:185], 4, v[196:197]
	v_add_co_ci_u32_e32 v183, vcc_lo, v216, v191, vcc_lo
	v_add_co_u32 v180, vcc_lo, v215, v180
	v_add_co_ci_u32_e32 v181, vcc_lo, v216, v181, vcc_lo
	s_delay_alu instid0(VALU_DEP_4)
	v_add_co_u32 v184, vcc_lo, v215, v184
	v_add_nc_u32_e32 v188, s8, v186
	v_add_co_ci_u32_e32 v185, vcc_lo, v216, v185, vcc_lo
	v_ashrrev_i32_e32 v187, 31, v186
	global_store_b128 v[182:183], v[176:179], off
	v_ashrrev_i32_e32 v189, 31, v188
	s_clause 0x1
	global_store_b128 v[180:181], v[172:175], off
	global_store_b128 v[184:185], v[168:171], off
	v_add_nc_u32_e32 v170, s8, v188
	v_lshlrev_b64 v[176:177], 4, v[186:187]
	v_lshlrev_b64 v[168:169], 4, v[188:189]
	s_delay_alu instid0(VALU_DEP_3) | instskip(SKIP_1) | instid1(VALU_DEP_4)
	v_add_nc_u32_e32 v174, s8, v170
	v_ashrrev_i32_e32 v171, 31, v170
	v_add_co_u32 v172, vcc_lo, v215, v176
	v_add_co_ci_u32_e32 v173, vcc_lo, v216, v177, vcc_lo
	s_delay_alu instid0(VALU_DEP_4)
	v_add_nc_u32_e32 v176, s8, v174
	v_add_co_u32 v168, vcc_lo, v215, v168
	v_ashrrev_i32_e32 v175, 31, v174
	v_add_co_ci_u32_e32 v169, vcc_lo, v216, v169, vcc_lo
	v_lshlrev_b64 v[170:171], 4, v[170:171]
	v_ashrrev_i32_e32 v177, 31, v176
	s_clause 0x1
	global_store_b128 v[172:173], v[164:167], off
	global_store_b128 v[168:169], v[160:163], off
	v_lshlrev_b64 v[160:161], 4, v[174:175]
	v_add_nc_u32_e32 v166, s8, v176
	v_add_co_u32 v162, vcc_lo, v215, v170
	v_lshlrev_b64 v[164:165], 4, v[176:177]
	v_add_co_ci_u32_e32 v163, vcc_lo, v216, v171, vcc_lo
	v_add_co_u32 v160, vcc_lo, v215, v160
	v_add_co_ci_u32_e32 v161, vcc_lo, v216, v161, vcc_lo
	s_delay_alu instid0(VALU_DEP_4)
	v_add_co_u32 v164, vcc_lo, v215, v164
	;; [unrolled: 35-line block ×7, first 2 shown]
	v_add_nc_u32_e32 v68, s8, v66
	v_add_co_ci_u32_e32 v65, vcc_lo, v216, v65, vcc_lo
	v_ashrrev_i32_e32 v67, 31, v66
	global_store_b128 v[62:63], v[56:59], off
	v_ashrrev_i32_e32 v69, 31, v68
	s_clause 0x1
	global_store_b128 v[60:61], v[52:55], off
	global_store_b128 v[64:65], v[48:51], off
	v_add_nc_u32_e32 v50, s8, v68
	v_lshlrev_b64 v[56:57], 4, v[66:67]
	v_lshlrev_b64 v[48:49], 4, v[68:69]
	s_delay_alu instid0(VALU_DEP_3) | instskip(SKIP_1) | instid1(VALU_DEP_4)
	v_add_nc_u32_e32 v54, s8, v50
	v_ashrrev_i32_e32 v51, 31, v50
	v_add_co_u32 v52, vcc_lo, v215, v56
	v_add_co_ci_u32_e32 v53, vcc_lo, v216, v57, vcc_lo
	s_delay_alu instid0(VALU_DEP_4)
	v_add_nc_u32_e32 v56, s8, v54
	v_add_co_u32 v48, vcc_lo, v215, v48
	v_ashrrev_i32_e32 v55, 31, v54
	v_add_co_ci_u32_e32 v49, vcc_lo, v216, v49, vcc_lo
	v_lshlrev_b64 v[50:51], 4, v[50:51]
	v_ashrrev_i32_e32 v57, 31, v56
	s_clause 0x1
	global_store_b128 v[52:53], v[44:47], off
	global_store_b128 v[48:49], v[40:43], off
	v_lshlrev_b64 v[40:41], 4, v[54:55]
	v_add_nc_u32_e32 v46, s8, v56
	v_add_co_u32 v42, vcc_lo, v215, v50
	v_lshlrev_b64 v[44:45], 4, v[56:57]
	v_add_co_ci_u32_e32 v43, vcc_lo, v216, v51, vcc_lo
	v_add_co_u32 v40, vcc_lo, v215, v40
	v_add_nc_u32_e32 v48, s8, v46
	v_add_co_ci_u32_e32 v41, vcc_lo, v216, v41, vcc_lo
	v_ashrrev_i32_e32 v47, 31, v46
	v_add_co_u32 v44, vcc_lo, v215, v44
	v_add_co_ci_u32_e32 v45, vcc_lo, v216, v45, vcc_lo
	v_ashrrev_i32_e32 v49, 31, v48
	global_store_b128 v[42:43], v[36:39], off
	v_lshlrev_b64 v[36:37], 4, v[46:47]
	s_clause 0x1
	global_store_b128 v[40:41], v[32:35], off
	global_store_b128 v[44:45], v[28:31], off
	v_add_nc_u32_e32 v30, s8, v48
	v_lshlrev_b64 v[28:29], 4, v[48:49]
	v_add_co_u32 v32, vcc_lo, v215, v36
	s_delay_alu instid0(VALU_DEP_3) | instskip(SKIP_1) | instid1(VALU_DEP_4)
	v_add_nc_u32_e32 v34, s8, v30
	v_add_co_ci_u32_e32 v33, vcc_lo, v216, v37, vcc_lo
	v_add_co_u32 v28, vcc_lo, v215, v28
	v_add_co_ci_u32_e32 v29, vcc_lo, v216, v29, vcc_lo
	s_delay_alu instid0(VALU_DEP_4)
	v_add_nc_u32_e32 v36, s8, v34
	v_ashrrev_i32_e32 v31, 31, v30
	s_clause 0x1
	global_store_b128 v[32:33], v[24:27], off
	global_store_b128 v[28:29], v[20:23], off
	v_ashrrev_i32_e32 v35, 31, v34
	v_add_nc_u32_e32 v22, s8, v36
	v_lshlrev_b64 v[24:25], 4, v[30:31]
	v_ashrrev_i32_e32 v37, 31, v36
	s_delay_alu instid0(VALU_DEP_4) | instskip(NEXT) | instid1(VALU_DEP_4)
	v_lshlrev_b64 v[20:21], 4, v[34:35]
	v_add_nc_u32_e32 v28, s8, v22
	v_ashrrev_i32_e32 v23, 31, v22
	v_add_co_u32 v24, vcc_lo, v215, v24
	v_lshlrev_b64 v[26:27], 4, v[36:37]
	s_delay_alu instid0(VALU_DEP_4)
	v_ashrrev_i32_e32 v29, 31, v28
	v_add_co_ci_u32_e32 v25, vcc_lo, v216, v25, vcc_lo
	v_add_co_u32 v20, vcc_lo, v215, v20
	v_lshlrev_b64 v[22:23], 4, v[22:23]
	v_add_co_ci_u32_e32 v21, vcc_lo, v216, v21, vcc_lo
	v_add_co_u32 v26, vcc_lo, v215, v26
	v_lshlrev_b64 v[28:29], 4, v[28:29]
	v_add_co_ci_u32_e32 v27, vcc_lo, v216, v27, vcc_lo
	v_add_co_u32 v22, vcc_lo, v215, v22
	v_add_co_ci_u32_e32 v23, vcc_lo, v216, v23, vcc_lo
	s_delay_alu instid0(VALU_DEP_4)
	v_add_co_u32 v28, vcc_lo, v215, v28
	v_add_co_ci_u32_e32 v29, vcc_lo, v216, v29, vcc_lo
	s_clause 0x4
	global_store_b128 v[24:25], v[16:19], off
	global_store_b128 v[20:21], v[12:15], off
	;; [unrolled: 1-line block ×5, first 2 shown]
.LBB100_1074:
	s_nop 0
	s_sendmsg sendmsg(MSG_DEALLOC_VGPRS)
	s_endpgm
	.section	.rodata,"a",@progbits
	.p2align	6, 0x0
	.amdhsa_kernel _ZN9rocsolver6v33100L18getf2_small_kernelILi51E19rocblas_complex_numIdEiiPKPS3_EEvT1_T3_lS7_lPS7_llPT2_S7_S7_S9_l
		.amdhsa_group_segment_fixed_size 0
		.amdhsa_private_segment_fixed_size 0
		.amdhsa_kernarg_size 352
		.amdhsa_user_sgpr_count 14
		.amdhsa_user_sgpr_dispatch_ptr 0
		.amdhsa_user_sgpr_queue_ptr 0
		.amdhsa_user_sgpr_kernarg_segment_ptr 1
		.amdhsa_user_sgpr_dispatch_id 0
		.amdhsa_user_sgpr_private_segment_size 0
		.amdhsa_wavefront_size32 1
		.amdhsa_uses_dynamic_stack 0
		.amdhsa_enable_private_segment 0
		.amdhsa_system_sgpr_workgroup_id_x 1
		.amdhsa_system_sgpr_workgroup_id_y 1
		.amdhsa_system_sgpr_workgroup_id_z 0
		.amdhsa_system_sgpr_workgroup_info 0
		.amdhsa_system_vgpr_workitem_id 1
		.amdhsa_next_free_vgpr 247
		.amdhsa_next_free_sgpr 18
		.amdhsa_reserve_vcc 1
		.amdhsa_float_round_mode_32 0
		.amdhsa_float_round_mode_16_64 0
		.amdhsa_float_denorm_mode_32 3
		.amdhsa_float_denorm_mode_16_64 3
		.amdhsa_dx10_clamp 1
		.amdhsa_ieee_mode 1
		.amdhsa_fp16_overflow 0
		.amdhsa_workgroup_processor_mode 1
		.amdhsa_memory_ordered 1
		.amdhsa_forward_progress 0
		.amdhsa_shared_vgpr_count 0
		.amdhsa_exception_fp_ieee_invalid_op 0
		.amdhsa_exception_fp_denorm_src 0
		.amdhsa_exception_fp_ieee_div_zero 0
		.amdhsa_exception_fp_ieee_overflow 0
		.amdhsa_exception_fp_ieee_underflow 0
		.amdhsa_exception_fp_ieee_inexact 0
		.amdhsa_exception_int_div_zero 0
	.end_amdhsa_kernel
	.section	.text._ZN9rocsolver6v33100L18getf2_small_kernelILi51E19rocblas_complex_numIdEiiPKPS3_EEvT1_T3_lS7_lPS7_llPT2_S7_S7_S9_l,"axG",@progbits,_ZN9rocsolver6v33100L18getf2_small_kernelILi51E19rocblas_complex_numIdEiiPKPS3_EEvT1_T3_lS7_lPS7_llPT2_S7_S7_S9_l,comdat
.Lfunc_end100:
	.size	_ZN9rocsolver6v33100L18getf2_small_kernelILi51E19rocblas_complex_numIdEiiPKPS3_EEvT1_T3_lS7_lPS7_llPT2_S7_S7_S9_l, .Lfunc_end100-_ZN9rocsolver6v33100L18getf2_small_kernelILi51E19rocblas_complex_numIdEiiPKPS3_EEvT1_T3_lS7_lPS7_llPT2_S7_S7_S9_l
                                        ; -- End function
	.section	.AMDGPU.csdata,"",@progbits
; Kernel info:
; codeLenInByte = 160336
; NumSgprs: 20
; NumVgprs: 247
; ScratchSize: 0
; MemoryBound: 0
; FloatMode: 240
; IeeeMode: 1
; LDSByteSize: 0 bytes/workgroup (compile time only)
; SGPRBlocks: 2
; VGPRBlocks: 30
; NumSGPRsForWavesPerEU: 20
; NumVGPRsForWavesPerEU: 247
; Occupancy: 5
; WaveLimiterHint : 1
; COMPUTE_PGM_RSRC2:SCRATCH_EN: 0
; COMPUTE_PGM_RSRC2:USER_SGPR: 14
; COMPUTE_PGM_RSRC2:TRAP_HANDLER: 0
; COMPUTE_PGM_RSRC2:TGID_X_EN: 1
; COMPUTE_PGM_RSRC2:TGID_Y_EN: 1
; COMPUTE_PGM_RSRC2:TGID_Z_EN: 0
; COMPUTE_PGM_RSRC2:TIDIG_COMP_CNT: 1
	.section	.text._ZN9rocsolver6v33100L23getf2_npvt_small_kernelILi51E19rocblas_complex_numIdEiiPKPS3_EEvT1_T3_lS7_lPT2_S7_S7_,"axG",@progbits,_ZN9rocsolver6v33100L23getf2_npvt_small_kernelILi51E19rocblas_complex_numIdEiiPKPS3_EEvT1_T3_lS7_lPT2_S7_S7_,comdat
	.globl	_ZN9rocsolver6v33100L23getf2_npvt_small_kernelILi51E19rocblas_complex_numIdEiiPKPS3_EEvT1_T3_lS7_lPT2_S7_S7_ ; -- Begin function _ZN9rocsolver6v33100L23getf2_npvt_small_kernelILi51E19rocblas_complex_numIdEiiPKPS3_EEvT1_T3_lS7_lPT2_S7_S7_
	.p2align	8
	.type	_ZN9rocsolver6v33100L23getf2_npvt_small_kernelILi51E19rocblas_complex_numIdEiiPKPS3_EEvT1_T3_lS7_lPT2_S7_S7_,@function
_ZN9rocsolver6v33100L23getf2_npvt_small_kernelILi51E19rocblas_complex_numIdEiiPKPS3_EEvT1_T3_lS7_lPT2_S7_S7_: ; @_ZN9rocsolver6v33100L23getf2_npvt_small_kernelILi51E19rocblas_complex_numIdEiiPKPS3_EEvT1_T3_lS7_lPT2_S7_S7_
; %bb.0:
	s_clause 0x1
	s_load_b32 s2, s[0:1], 0x44
	s_load_b64 s[12:13], s[0:1], 0x30
	v_bfe_u32 v1, v0, 10, 10
	s_waitcnt lgkmcnt(0)
	s_lshr_b32 s8, s2, 16
	s_mov_b32 s2, exec_lo
	s_delay_alu instid0(VALU_DEP_1) | instskip(NEXT) | instid1(VALU_DEP_1)
	v_mad_u64_u32 v[2:3], null, s15, s8, v[1:2]
	v_cmpx_gt_i32_e64 s12, v2
	s_cbranch_execnz .LBB101_1
; %bb.465:
	s_getpc_b64 s[16:17]
.Lpost_getpc9:
	s_add_u32 s16, s16, (.LBB101_464-.Lpost_getpc9)&4294967295
	s_addc_u32 s17, s17, (.LBB101_464-.Lpost_getpc9)>>32
	s_setpc_b64 s[16:17]
.LBB101_1:
	s_clause 0x1
	s_load_b128 s[4:7], s[0:1], 0x8
	s_load_b32 s2, s[0:1], 0x18
	v_ashrrev_i32_e32 v3, 31, v2
	v_and_b32_e32 v103, 0x3ff, v0
	s_mulk_i32 s8, 0x330
	v_mad_u32_u24 v254, 0x330, v1, 0
	scratch_store_b64 off, v[2:3], off offset:1064 ; 8-byte Folded Spill
	v_lshlrev_b64 v[2:3], 3, v[2:3]
	s_waitcnt lgkmcnt(0)
	s_delay_alu instid0(VALU_DEP_1) | instskip(NEXT) | instid1(VALU_DEP_2)
	v_add_co_u32 v2, vcc_lo, s4, v2
	v_add_co_ci_u32_e32 v3, vcc_lo, s5, v3, vcc_lo
	v_add3_u32 v4, s2, s2, v103
	s_lshl_b64 s[4:5], s[6:7], 4
	s_ashr_i32 s3, s2, 31
	global_load_b64 v[2:3], v[2:3], off
	v_add_nc_u32_e32 v8, s2, v4
	v_ashrrev_i32_e32 v5, 31, v4
	s_delay_alu instid0(VALU_DEP_2) | instskip(SKIP_1) | instid1(VALU_DEP_3)
	v_add_nc_u32_e32 v13, s2, v8
	v_ashrrev_i32_e32 v9, 31, v8
	v_lshlrev_b64 v[6:7], 4, v[4:5]
	s_delay_alu instid0(VALU_DEP_3) | instskip(SKIP_1) | instid1(VALU_DEP_4)
	v_add_nc_u32_e32 v10, s2, v13
	v_ashrrev_i32_e32 v14, 31, v13
	v_lshlrev_b64 v[8:9], 4, v[8:9]
	s_delay_alu instid0(VALU_DEP_3) | instskip(SKIP_1) | instid1(VALU_DEP_4)
	;; [unrolled: 4-line block ×9, first 2 shown]
	v_add_nc_u32_e32 v26, s2, v29
	v_ashrrev_i32_e32 v30, 31, v29
	v_lshlrev_b64 v[24:25], 4, v[24:25]
	s_delay_alu instid0(VALU_DEP_3) | instskip(NEXT) | instid1(VALU_DEP_3)
	v_add_nc_u32_e32 v28, s2, v26
	v_lshlrev_b64 v[20:21], 4, v[29:30]
	v_ashrrev_i32_e32 v27, 31, v26
	s_delay_alu instid0(VALU_DEP_3) | instskip(SKIP_1) | instid1(VALU_DEP_3)
	v_add_nc_u32_e32 v32, s2, v28
	v_ashrrev_i32_e32 v29, 31, v28
	v_lshlrev_b64 v[26:27], 4, v[26:27]
	s_delay_alu instid0(VALU_DEP_3) | instskip(NEXT) | instid1(VALU_DEP_3)
	v_add_nc_u32_e32 v39, s2, v32
	v_lshlrev_b64 v[30:31], 4, v[28:29]
	v_ashrrev_i32_e32 v33, 31, v32
	s_delay_alu instid0(VALU_DEP_3) | instskip(SKIP_1) | instid1(VALU_DEP_3)
	;; [unrolled: 8-line block ×3, first 2 shown]
	v_add_nc_u32_e32 v36, s2, v38
	v_ashrrev_i32_e32 v39, 31, v38
	v_lshlrev_b64 v[34:35], 4, v[34:35]
	s_delay_alu instid0(VALU_DEP_3) | instskip(SKIP_1) | instid1(VALU_DEP_4)
	v_add_nc_u32_e32 v47, s2, v36
	v_ashrrev_i32_e32 v37, 31, v36
	v_lshlrev_b64 v[38:39], 4, v[38:39]
	s_delay_alu instid0(VALU_DEP_3) | instskip(SKIP_1) | instid1(VALU_DEP_4)
	v_add_nc_u32_e32 v42, s2, v47
	v_ashrrev_i32_e32 v48, 31, v47
	v_lshlrev_b64 v[40:41], 4, v[36:37]
	s_delay_alu instid0(VALU_DEP_3) | instskip(NEXT) | instid1(VALU_DEP_3)
	v_add_nc_u32_e32 v46, s2, v42
	v_lshlrev_b64 v[36:37], 4, v[47:48]
	v_ashrrev_i32_e32 v43, 31, v42
	s_delay_alu instid0(VALU_DEP_3) | instskip(SKIP_1) | instid1(VALU_DEP_3)
	v_add_nc_u32_e32 v44, s2, v46
	v_ashrrev_i32_e32 v47, 31, v46
	v_lshlrev_b64 v[42:43], 4, v[42:43]
	s_delay_alu instid0(VALU_DEP_3) | instskip(SKIP_1) | instid1(VALU_DEP_4)
	v_add_nc_u32_e32 v50, s2, v44
	v_ashrrev_i32_e32 v45, 31, v44
	v_lshlrev_b64 v[46:47], 4, v[46:47]
	s_delay_alu instid0(VALU_DEP_3) | instskip(SKIP_1) | instid1(VALU_DEP_4)
	;; [unrolled: 4-line block ×3, first 2 shown]
	v_add_nc_u32_e32 v54, s2, v52
	v_ashrrev_i32_e32 v53, 31, v52
	v_lshlrev_b64 v[44:45], 4, v[50:51]
	s_delay_alu instid0(VALU_DEP_3) | instskip(NEXT) | instid1(VALU_DEP_3)
	v_add_nc_u32_e32 v56, s2, v54
	v_lshlrev_b64 v[50:51], 4, v[52:53]
	v_ashrrev_i32_e32 v55, 31, v54
	s_delay_alu instid0(VALU_DEP_3) | instskip(SKIP_1) | instid1(VALU_DEP_3)
	v_add_nc_u32_e32 v58, s2, v56
	v_ashrrev_i32_e32 v57, 31, v56
	v_lshlrev_b64 v[54:55], 4, v[54:55]
	s_delay_alu instid0(VALU_DEP_3) | instskip(SKIP_1) | instid1(VALU_DEP_4)
	v_add_nc_u32_e32 v60, s2, v58
	v_ashrrev_i32_e32 v59, 31, v58
	v_lshlrev_b64 v[56:57], 4, v[56:57]
	s_delay_alu instid0(VALU_DEP_3) | instskip(SKIP_1) | instid1(VALU_DEP_4)
	v_add_nc_u32_e32 v62, s2, v60
	v_ashrrev_i32_e32 v61, 31, v60
	v_lshlrev_b64 v[52:53], 4, v[58:59]
	s_delay_alu instid0(VALU_DEP_3) | instskip(NEXT) | instid1(VALU_DEP_3)
	v_add_nc_u32_e32 v64, s2, v62
	v_lshlrev_b64 v[58:59], 4, v[60:61]
	v_ashrrev_i32_e32 v63, 31, v62
	s_delay_alu instid0(VALU_DEP_3) | instskip(SKIP_1) | instid1(VALU_DEP_3)
	v_add_nc_u32_e32 v66, s2, v64
	v_ashrrev_i32_e32 v65, 31, v64
	v_lshlrev_b64 v[62:63], 4, v[62:63]
	s_delay_alu instid0(VALU_DEP_3) | instskip(SKIP_1) | instid1(VALU_DEP_4)
	v_add_nc_u32_e32 v68, s2, v66
	v_ashrrev_i32_e32 v67, 31, v66
	v_lshlrev_b64 v[64:65], 4, v[64:65]
	s_delay_alu instid0(VALU_DEP_3) | instskip(NEXT) | instid1(VALU_DEP_3)
	v_add_nc_u32_e32 v70, s2, v68
	v_lshlrev_b64 v[60:61], 4, v[66:67]
	v_ashrrev_i32_e32 v69, 31, v68
	s_delay_alu instid0(VALU_DEP_3) | instskip(SKIP_1) | instid1(VALU_DEP_3)
	v_add_nc_u32_e32 v72, s2, v70
	v_ashrrev_i32_e32 v71, 31, v70
	v_lshlrev_b64 v[68:69], 4, v[68:69]
	s_delay_alu instid0(VALU_DEP_3) | instskip(SKIP_1) | instid1(VALU_DEP_4)
	v_add_nc_u32_e32 v74, s2, v72
	v_ashrrev_i32_e32 v73, 31, v72
	v_lshlrev_b64 v[70:71], 4, v[70:71]
	s_delay_alu instid0(VALU_DEP_3) | instskip(SKIP_1) | instid1(VALU_DEP_4)
	;; [unrolled: 4-line block ×15, first 2 shown]
	v_add_nc_u32_e32 v100, s2, v98
	v_ashrrev_i32_e32 v99, 31, v98
	v_lshlrev_b64 v[96:97], 4, v[96:97]
	s_lshl_b64 s[2:3], s[2:3], 4
	s_delay_alu instid0(VALU_DEP_3) | instskip(NEXT) | instid1(VALU_DEP_3)
	v_ashrrev_i32_e32 v101, 31, v100
	v_lshlrev_b64 v[98:99], 4, v[98:99]
	s_waitcnt vmcnt(0)
	v_add_co_u32 v0, vcc_lo, v2, s4
	v_add_co_ci_u32_e32 v102, vcc_lo, s5, v3, vcc_lo
	v_lshlrev_b64 v[2:3], 4, v[100:101]
	s_delay_alu instid0(VALU_DEP_3) | instskip(NEXT) | instid1(VALU_DEP_3)
	v_add_co_u32 v148, vcc_lo, v0, v6
	v_add_co_ci_u32_e32 v149, vcc_lo, v102, v7, vcc_lo
	v_add_co_u32 v146, vcc_lo, v0, v8
	v_add_co_ci_u32_e32 v147, vcc_lo, v102, v9, vcc_lo
	;; [unrolled: 2-line block ×47, first 2 shown]
	v_add_co_u32 v5, vcc_lo, v0, v98
	v_lshlrev_b32_e32 v4, 4, v103
	v_add_co_ci_u32_e32 v6, vcc_lo, v102, v99, vcc_lo
	v_add_co_u32 v2, vcc_lo, v0, v2
	v_add_co_ci_u32_e32 v3, vcc_lo, v102, v3, vcc_lo
	s_delay_alu instid0(VALU_DEP_4) | instskip(SKIP_2) | instid1(VALU_DEP_3)
	v_add_co_u32 v51, vcc_lo, v0, v4
	v_add_co_ci_u32_e32 v52, vcc_lo, 0, v102, vcc_lo
	v_lshlrev_b32_e32 v0, 4, v1
	v_add_co_u32 v56, vcc_lo, v51, s2
	s_delay_alu instid0(VALU_DEP_3) | instskip(NEXT) | instid1(VALU_DEP_3)
	v_add_co_ci_u32_e32 v57, vcc_lo, s3, v52, vcc_lo
	v_add3_u32 v255, 0, s8, v0
	v_cmp_ne_u32_e64 s3, 0, v103
	s_clause 0x1
	scratch_store_b32 off, v103, off
	scratch_store_b64 off, v[2:3], off offset:16
	v_cmp_eq_u32_e64 s2, 0, v103
	s_clause 0x1
	scratch_store_b64 off, v[51:52], off offset:408
	scratch_store_b64 off, v[56:57], off offset:416
	s_clause 0x2
	global_load_b128 v[200:203], v[51:52], off
	global_load_b128 v[96:99], v[54:55], off
	;; [unrolled: 1-line block ×3, first 2 shown]
	s_clause 0x1
	scratch_store_b64 off, v[148:149], off offset:400
	scratch_store_b64 off, v[146:147], off offset:392
	s_clause 0x2
	global_load_b128 v[192:195], v[148:149], off
	global_load_b128 v[188:191], v[146:147], off
	global_load_b128 v[184:187], v[144:145], off
	s_clause 0x3
	scratch_store_b64 off, v[144:145], off offset:384
	scratch_store_b64 off, v[142:143], off offset:376
	scratch_store_b64 off, v[140:141], off offset:368
	scratch_store_b64 off, v[138:139], off offset:360
	s_clause 0x3
	global_load_b128 v[180:183], v[142:143], off
	global_load_b128 v[176:179], v[140:141], off
	global_load_b128 v[172:175], v[138:139], off
	global_load_b128 v[168:171], v[136:137], off
	s_clause 0x3
	scratch_store_b64 off, v[136:137], off offset:352
	scratch_store_b64 off, v[134:135], off offset:344
	scratch_store_b64 off, v[132:133], off offset:336
	scratch_store_b64 off, v[130:131], off offset:328
	s_clause 0x3
	global_load_b128 v[164:167], v[134:135], off
	;; [unrolled: 10-line block ×5, first 2 shown]
	global_load_b128 v[112:115], v[108:109], off
	global_load_b128 v[108:111], v[106:107], off
	s_clause 0x3
	scratch_store_b64 off, v[104:105], off offset:224
	scratch_store_b64 off, v[100:101], off offset:216
	scratch_store_b64 off, v[54:55], off offset:208
	scratch_store_b64 off, v[49:50], off offset:200
	s_clause 0x3
	global_load_b128 v[104:107], v[104:105], off
	global_load_b128 v[100:103], v[100:101], off
	global_load_b128 v[92:95], v[49:50], off
	global_load_b128 v[88:91], v[47:48], off
	s_clause 0x3
	scratch_store_b64 off, v[47:48], off offset:192
	scratch_store_b64 off, v[45:46], off offset:184
	scratch_store_b64 off, v[43:44], off offset:176
	scratch_store_b64 off, v[41:42], off offset:168
	s_clause 0x3
	global_load_b128 v[84:87], v[45:46], off
	global_load_b128 v[80:83], v[43:44], off
	;; [unrolled: 10-line block ×6, first 2 shown]
	global_load_b128 v[12:15], v[9:10], off
	s_clause 0x1
	scratch_store_b64 off, v[7:8], off offset:32
	scratch_store_b64 off, v[5:6], off offset:24
	s_clause 0x2
	global_load_b128 v[8:11], v[7:8], off
	global_load_b128 v[4:7], v[5:6], off
	;; [unrolled: 1-line block ×3, first 2 shown]
	s_and_saveexec_b32 s5, s2
	s_cbranch_execz .LBB101_8
; %bb.2:
	s_waitcnt vmcnt(50)
	ds_store_2addr_b64 v255, v[200:201], v[202:203] offset1:1
	s_waitcnt vmcnt(48)
	ds_store_2addr_b64 v254, v[196:197], v[198:199] offset0:2 offset1:3
	s_waitcnt vmcnt(47)
	ds_store_2addr_b64 v254, v[192:193], v[194:195] offset0:4 offset1:5
	;; [unrolled: 2-line block ×25, first 2 shown]
	ds_store_2addr_b64 v254, v[96:97], v[98:99] offset0:52 offset1:53
	s_waitcnt vmcnt(23)
	ds_store_2addr_b64 v254, v[92:93], v[94:95] offset0:54 offset1:55
	s_waitcnt vmcnt(22)
	ds_store_2addr_b64 v254, v[88:89], v[90:91] offset0:56 offset1:57
	s_waitcnt vmcnt(21)
	ds_store_2addr_b64 v254, v[84:85], v[86:87] offset0:58 offset1:59
	s_waitcnt vmcnt(20)
	ds_store_2addr_b64 v254, v[80:81], v[82:83] offset0:60 offset1:61
	s_waitcnt vmcnt(19)
	ds_store_2addr_b64 v254, v[76:77], v[78:79] offset0:62 offset1:63
	s_waitcnt vmcnt(18)
	ds_store_2addr_b64 v254, v[72:73], v[74:75] offset0:64 offset1:65
	s_waitcnt vmcnt(17)
	ds_store_2addr_b64 v254, v[68:69], v[70:71] offset0:66 offset1:67
	s_waitcnt vmcnt(16)
	ds_store_2addr_b64 v254, v[64:65], v[66:67] offset0:68 offset1:69
	s_waitcnt vmcnt(15)
	ds_store_2addr_b64 v254, v[60:61], v[62:63] offset0:70 offset1:71
	s_waitcnt vmcnt(14)
	ds_store_2addr_b64 v254, v[56:57], v[58:59] offset0:72 offset1:73
	s_waitcnt vmcnt(13)
	ds_store_2addr_b64 v254, v[52:53], v[54:55] offset0:74 offset1:75
	s_waitcnt vmcnt(12)
	ds_store_2addr_b64 v254, v[48:49], v[50:51] offset0:76 offset1:77
	s_waitcnt vmcnt(11)
	ds_store_2addr_b64 v254, v[44:45], v[46:47] offset0:78 offset1:79
	s_waitcnt vmcnt(10)
	ds_store_2addr_b64 v254, v[40:41], v[42:43] offset0:80 offset1:81
	s_waitcnt vmcnt(9)
	ds_store_2addr_b64 v254, v[36:37], v[38:39] offset0:82 offset1:83
	s_waitcnt vmcnt(8)
	ds_store_2addr_b64 v254, v[32:33], v[34:35] offset0:84 offset1:85
	s_waitcnt vmcnt(7)
	ds_store_2addr_b64 v254, v[28:29], v[30:31] offset0:86 offset1:87
	s_waitcnt vmcnt(6)
	ds_store_2addr_b64 v254, v[24:25], v[26:27] offset0:88 offset1:89
	s_waitcnt vmcnt(5)
	ds_store_2addr_b64 v254, v[20:21], v[22:23] offset0:90 offset1:91
	s_waitcnt vmcnt(4)
	ds_store_2addr_b64 v254, v[16:17], v[18:19] offset0:92 offset1:93
	s_waitcnt vmcnt(3)
	ds_store_2addr_b64 v254, v[12:13], v[14:15] offset0:94 offset1:95
	s_waitcnt vmcnt(2)
	ds_store_2addr_b64 v254, v[8:9], v[10:11] offset0:96 offset1:97
	s_waitcnt vmcnt(1)
	ds_store_2addr_b64 v254, v[4:5], v[6:7] offset0:98 offset1:99
	s_waitcnt vmcnt(0)
	ds_store_2addr_b64 v254, v[0:1], v[2:3] offset0:100 offset1:101
	ds_load_2addr_b64 v[204:207], v255 offset1:1
	s_waitcnt lgkmcnt(0)
	v_cmp_neq_f64_e32 vcc_lo, 0, v[204:205]
	v_cmp_neq_f64_e64 s4, 0, v[206:207]
	s_delay_alu instid0(VALU_DEP_1) | instskip(NEXT) | instid1(SALU_CYCLE_1)
	s_or_b32 s4, vcc_lo, s4
	s_and_b32 exec_lo, exec_lo, s4
	s_cbranch_execz .LBB101_8
; %bb.3:
	v_cmp_gt_f64_e32 vcc_lo, 0, v[204:205]
	v_xor_b32_e32 v208, 0x80000000, v205
	v_xor_b32_e32 v210, 0x80000000, v207
	s_mov_b32 s4, exec_lo
                                        ; implicit-def: $vgpr212_vgpr213
	s_delay_alu instid0(VALU_DEP_2) | instskip(SKIP_4) | instid1(VALU_DEP_1)
	v_cndmask_b32_e32 v209, v205, v208, vcc_lo
	v_cndmask_b32_e32 v208, v204, v204, vcc_lo
	v_cmp_gt_f64_e32 vcc_lo, 0, v[206:207]
	v_cndmask_b32_e32 v211, v207, v210, vcc_lo
	v_cndmask_b32_e32 v210, v206, v206, vcc_lo
	v_cmpx_ngt_f64_e32 v[208:209], v[210:211]
	s_xor_b32 s4, exec_lo, s4
                                        ; implicit-def: $vgpr208_vgpr209_vgpr210_vgpr211
	s_cbranch_execz .LBB101_5
; %bb.4:
	v_div_scale_f64 v[208:209], null, v[206:207], v[206:207], v[204:205]
	v_div_scale_f64 v[214:215], vcc_lo, v[204:205], v[206:207], v[204:205]
	s_delay_alu instid0(VALU_DEP_2) | instskip(SKIP_2) | instid1(VALU_DEP_1)
	v_rcp_f64_e32 v[210:211], v[208:209]
	s_waitcnt_depctr 0xfff
	v_fma_f64 v[212:213], -v[208:209], v[210:211], 1.0
	v_fma_f64 v[210:211], v[210:211], v[212:213], v[210:211]
	s_delay_alu instid0(VALU_DEP_1) | instskip(NEXT) | instid1(VALU_DEP_1)
	v_fma_f64 v[212:213], -v[208:209], v[210:211], 1.0
	v_fma_f64 v[210:211], v[210:211], v[212:213], v[210:211]
	s_delay_alu instid0(VALU_DEP_1) | instskip(NEXT) | instid1(VALU_DEP_1)
	v_mul_f64 v[212:213], v[214:215], v[210:211]
	v_fma_f64 v[208:209], -v[208:209], v[212:213], v[214:215]
	s_delay_alu instid0(VALU_DEP_1) | instskip(NEXT) | instid1(VALU_DEP_1)
	v_div_fmas_f64 v[208:209], v[208:209], v[210:211], v[212:213]
	v_div_fixup_f64 v[208:209], v[208:209], v[206:207], v[204:205]
	s_delay_alu instid0(VALU_DEP_1) | instskip(NEXT) | instid1(VALU_DEP_1)
	v_fma_f64 v[204:205], v[204:205], v[208:209], v[206:207]
	v_div_scale_f64 v[206:207], null, v[204:205], v[204:205], 1.0
	s_delay_alu instid0(VALU_DEP_1) | instskip(SKIP_2) | instid1(VALU_DEP_1)
	v_rcp_f64_e32 v[210:211], v[206:207]
	s_waitcnt_depctr 0xfff
	v_fma_f64 v[212:213], -v[206:207], v[210:211], 1.0
	v_fma_f64 v[210:211], v[210:211], v[212:213], v[210:211]
	s_delay_alu instid0(VALU_DEP_1) | instskip(NEXT) | instid1(VALU_DEP_1)
	v_fma_f64 v[212:213], -v[206:207], v[210:211], 1.0
	v_fma_f64 v[210:211], v[210:211], v[212:213], v[210:211]
	v_div_scale_f64 v[212:213], vcc_lo, 1.0, v[204:205], 1.0
	s_delay_alu instid0(VALU_DEP_1) | instskip(NEXT) | instid1(VALU_DEP_1)
	v_mul_f64 v[214:215], v[212:213], v[210:211]
	v_fma_f64 v[206:207], -v[206:207], v[214:215], v[212:213]
	s_delay_alu instid0(VALU_DEP_1) | instskip(NEXT) | instid1(VALU_DEP_1)
	v_div_fmas_f64 v[206:207], v[206:207], v[210:211], v[214:215]
	v_div_fixup_f64 v[210:211], v[206:207], v[204:205], 1.0
                                        ; implicit-def: $vgpr204_vgpr205
	s_delay_alu instid0(VALU_DEP_1)
	v_mul_f64 v[212:213], v[208:209], v[210:211]
	v_xor_b32_e32 v211, 0x80000000, v211
.LBB101_5:
	s_and_not1_saveexec_b32 s4, s4
	s_cbranch_execz .LBB101_7
; %bb.6:
	v_div_scale_f64 v[208:209], null, v[204:205], v[204:205], v[206:207]
	v_div_scale_f64 v[214:215], vcc_lo, v[206:207], v[204:205], v[206:207]
	s_delay_alu instid0(VALU_DEP_2) | instskip(SKIP_2) | instid1(VALU_DEP_1)
	v_rcp_f64_e32 v[210:211], v[208:209]
	s_waitcnt_depctr 0xfff
	v_fma_f64 v[212:213], -v[208:209], v[210:211], 1.0
	v_fma_f64 v[210:211], v[210:211], v[212:213], v[210:211]
	s_delay_alu instid0(VALU_DEP_1) | instskip(NEXT) | instid1(VALU_DEP_1)
	v_fma_f64 v[212:213], -v[208:209], v[210:211], 1.0
	v_fma_f64 v[210:211], v[210:211], v[212:213], v[210:211]
	s_delay_alu instid0(VALU_DEP_1) | instskip(NEXT) | instid1(VALU_DEP_1)
	v_mul_f64 v[212:213], v[214:215], v[210:211]
	v_fma_f64 v[208:209], -v[208:209], v[212:213], v[214:215]
	s_delay_alu instid0(VALU_DEP_1) | instskip(NEXT) | instid1(VALU_DEP_1)
	v_div_fmas_f64 v[208:209], v[208:209], v[210:211], v[212:213]
	v_div_fixup_f64 v[208:209], v[208:209], v[204:205], v[206:207]
	s_delay_alu instid0(VALU_DEP_1) | instskip(NEXT) | instid1(VALU_DEP_1)
	v_fma_f64 v[204:205], v[206:207], v[208:209], v[204:205]
	v_div_scale_f64 v[206:207], null, v[204:205], v[204:205], 1.0
	s_delay_alu instid0(VALU_DEP_1) | instskip(SKIP_2) | instid1(VALU_DEP_1)
	v_rcp_f64_e32 v[210:211], v[206:207]
	s_waitcnt_depctr 0xfff
	v_fma_f64 v[212:213], -v[206:207], v[210:211], 1.0
	v_fma_f64 v[210:211], v[210:211], v[212:213], v[210:211]
	s_delay_alu instid0(VALU_DEP_1) | instskip(NEXT) | instid1(VALU_DEP_1)
	v_fma_f64 v[212:213], -v[206:207], v[210:211], 1.0
	v_fma_f64 v[210:211], v[210:211], v[212:213], v[210:211]
	v_div_scale_f64 v[212:213], vcc_lo, 1.0, v[204:205], 1.0
	s_delay_alu instid0(VALU_DEP_1) | instskip(NEXT) | instid1(VALU_DEP_1)
	v_mul_f64 v[214:215], v[212:213], v[210:211]
	v_fma_f64 v[206:207], -v[206:207], v[214:215], v[212:213]
	s_delay_alu instid0(VALU_DEP_1) | instskip(NEXT) | instid1(VALU_DEP_1)
	v_div_fmas_f64 v[206:207], v[206:207], v[210:211], v[214:215]
	v_div_fixup_f64 v[212:213], v[206:207], v[204:205], 1.0
	s_delay_alu instid0(VALU_DEP_1)
	v_mul_f64 v[210:211], v[208:209], -v[212:213]
.LBB101_7:
	s_or_b32 exec_lo, exec_lo, s4
	ds_store_2addr_b64 v255, v[212:213], v[210:211] offset1:1
.LBB101_8:
	s_or_b32 exec_lo, exec_lo, s5
	s_waitcnt vmcnt(0) lgkmcnt(0)
	s_waitcnt_vscnt null, 0x0
	s_barrier
	buffer_gl0_inv
	ds_load_2addr_b64 v[204:207], v255 offset1:1
	s_waitcnt lgkmcnt(0)
	scratch_store_b128 off, v[204:207], off offset:424 ; 16-byte Folded Spill
	s_and_saveexec_b32 s4, s3
	s_cbranch_execz .LBB101_10
; %bb.9:
	scratch_load_b128 v[206:209], off, off offset:424 ; 16-byte Folded Reload
	s_waitcnt vmcnt(0)
	v_mul_f64 v[204:205], v[208:209], v[202:203]
	v_mul_f64 v[202:203], v[206:207], v[202:203]
	s_delay_alu instid0(VALU_DEP_2) | instskip(NEXT) | instid1(VALU_DEP_2)
	v_fma_f64 v[204:205], v[206:207], v[200:201], -v[204:205]
	v_fma_f64 v[202:203], v[208:209], v[200:201], v[202:203]
	ds_load_2addr_b64 v[206:209], v254 offset0:2 offset1:3
	s_waitcnt lgkmcnt(0)
	v_mul_f64 v[200:201], v[208:209], v[202:203]
	s_delay_alu instid0(VALU_DEP_1) | instskip(SKIP_1) | instid1(VALU_DEP_2)
	v_fma_f64 v[200:201], v[206:207], v[204:205], -v[200:201]
	v_mul_f64 v[206:207], v[206:207], v[202:203]
	v_add_f64 v[196:197], v[196:197], -v[200:201]
	s_delay_alu instid0(VALU_DEP_2) | instskip(NEXT) | instid1(VALU_DEP_1)
	v_fma_f64 v[206:207], v[208:209], v[204:205], v[206:207]
	v_add_f64 v[198:199], v[198:199], -v[206:207]
	ds_load_2addr_b64 v[206:209], v254 offset0:4 offset1:5
	s_waitcnt lgkmcnt(0)
	v_mul_f64 v[200:201], v[208:209], v[202:203]
	s_delay_alu instid0(VALU_DEP_1) | instskip(SKIP_1) | instid1(VALU_DEP_2)
	v_fma_f64 v[200:201], v[206:207], v[204:205], -v[200:201]
	v_mul_f64 v[206:207], v[206:207], v[202:203]
	v_add_f64 v[192:193], v[192:193], -v[200:201]
	s_delay_alu instid0(VALU_DEP_2) | instskip(NEXT) | instid1(VALU_DEP_1)
	v_fma_f64 v[206:207], v[208:209], v[204:205], v[206:207]
	v_add_f64 v[194:195], v[194:195], -v[206:207]
	;; [unrolled: 10-line block ×49, first 2 shown]
	ds_load_2addr_b64 v[206:209], v254 offset0:100 offset1:101
	s_waitcnt lgkmcnt(0)
	v_mul_f64 v[200:201], v[208:209], v[202:203]
	s_delay_alu instid0(VALU_DEP_1) | instskip(SKIP_1) | instid1(VALU_DEP_2)
	v_fma_f64 v[200:201], v[206:207], v[204:205], -v[200:201]
	v_mul_f64 v[206:207], v[206:207], v[202:203]
	v_add_f64 v[0:1], v[0:1], -v[200:201]
	s_delay_alu instid0(VALU_DEP_2) | instskip(SKIP_1) | instid1(VALU_DEP_2)
	v_fma_f64 v[206:207], v[208:209], v[204:205], v[206:207]
	v_dual_mov_b32 v200, v204 :: v_dual_mov_b32 v201, v205
	v_add_f64 v[2:3], v[2:3], -v[206:207]
.LBB101_10:
	s_or_b32 exec_lo, exec_lo, s4
	scratch_load_b32 v204, off, off         ; 4-byte Folded Reload
	s_mov_b32 s4, exec_lo
	s_waitcnt vmcnt(0)
	s_waitcnt_vscnt null, 0x0
	s_barrier
	buffer_gl0_inv
	v_cmpx_eq_u32_e32 1, v204
	s_cbranch_execz .LBB101_17
; %bb.11:
	ds_store_2addr_b64 v255, v[196:197], v[198:199] offset1:1
	ds_store_2addr_b64 v254, v[192:193], v[194:195] offset0:4 offset1:5
	ds_store_2addr_b64 v254, v[188:189], v[190:191] offset0:6 offset1:7
	;; [unrolled: 1-line block ×49, first 2 shown]
	ds_load_2addr_b64 v[204:207], v255 offset1:1
	s_waitcnt lgkmcnt(0)
	v_cmp_neq_f64_e32 vcc_lo, 0, v[204:205]
	v_cmp_neq_f64_e64 s3, 0, v[206:207]
	s_delay_alu instid0(VALU_DEP_1) | instskip(NEXT) | instid1(SALU_CYCLE_1)
	s_or_b32 s3, vcc_lo, s3
	s_and_b32 exec_lo, exec_lo, s3
	s_cbranch_execz .LBB101_17
; %bb.12:
	v_cmp_gt_f64_e32 vcc_lo, 0, v[204:205]
	v_xor_b32_e32 v208, 0x80000000, v205
	v_xor_b32_e32 v210, 0x80000000, v207
	s_mov_b32 s3, exec_lo
                                        ; implicit-def: $vgpr212_vgpr213
	s_delay_alu instid0(VALU_DEP_2) | instskip(SKIP_4) | instid1(VALU_DEP_1)
	v_cndmask_b32_e32 v209, v205, v208, vcc_lo
	v_cndmask_b32_e32 v208, v204, v204, vcc_lo
	v_cmp_gt_f64_e32 vcc_lo, 0, v[206:207]
	v_cndmask_b32_e32 v211, v207, v210, vcc_lo
	v_cndmask_b32_e32 v210, v206, v206, vcc_lo
	v_cmpx_ngt_f64_e32 v[208:209], v[210:211]
	s_xor_b32 s3, exec_lo, s3
                                        ; implicit-def: $vgpr208_vgpr209_vgpr210_vgpr211
	s_cbranch_execz .LBB101_14
; %bb.13:
	v_div_scale_f64 v[208:209], null, v[206:207], v[206:207], v[204:205]
	v_div_scale_f64 v[214:215], vcc_lo, v[204:205], v[206:207], v[204:205]
	s_delay_alu instid0(VALU_DEP_2) | instskip(SKIP_2) | instid1(VALU_DEP_1)
	v_rcp_f64_e32 v[210:211], v[208:209]
	s_waitcnt_depctr 0xfff
	v_fma_f64 v[212:213], -v[208:209], v[210:211], 1.0
	v_fma_f64 v[210:211], v[210:211], v[212:213], v[210:211]
	s_delay_alu instid0(VALU_DEP_1) | instskip(NEXT) | instid1(VALU_DEP_1)
	v_fma_f64 v[212:213], -v[208:209], v[210:211], 1.0
	v_fma_f64 v[210:211], v[210:211], v[212:213], v[210:211]
	s_delay_alu instid0(VALU_DEP_1) | instskip(NEXT) | instid1(VALU_DEP_1)
	v_mul_f64 v[212:213], v[214:215], v[210:211]
	v_fma_f64 v[208:209], -v[208:209], v[212:213], v[214:215]
	s_delay_alu instid0(VALU_DEP_1) | instskip(NEXT) | instid1(VALU_DEP_1)
	v_div_fmas_f64 v[208:209], v[208:209], v[210:211], v[212:213]
	v_div_fixup_f64 v[208:209], v[208:209], v[206:207], v[204:205]
	s_delay_alu instid0(VALU_DEP_1) | instskip(NEXT) | instid1(VALU_DEP_1)
	v_fma_f64 v[204:205], v[204:205], v[208:209], v[206:207]
	v_div_scale_f64 v[206:207], null, v[204:205], v[204:205], 1.0
	s_delay_alu instid0(VALU_DEP_1) | instskip(SKIP_2) | instid1(VALU_DEP_1)
	v_rcp_f64_e32 v[210:211], v[206:207]
	s_waitcnt_depctr 0xfff
	v_fma_f64 v[212:213], -v[206:207], v[210:211], 1.0
	v_fma_f64 v[210:211], v[210:211], v[212:213], v[210:211]
	s_delay_alu instid0(VALU_DEP_1) | instskip(NEXT) | instid1(VALU_DEP_1)
	v_fma_f64 v[212:213], -v[206:207], v[210:211], 1.0
	v_fma_f64 v[210:211], v[210:211], v[212:213], v[210:211]
	v_div_scale_f64 v[212:213], vcc_lo, 1.0, v[204:205], 1.0
	s_delay_alu instid0(VALU_DEP_1) | instskip(NEXT) | instid1(VALU_DEP_1)
	v_mul_f64 v[214:215], v[212:213], v[210:211]
	v_fma_f64 v[206:207], -v[206:207], v[214:215], v[212:213]
	s_delay_alu instid0(VALU_DEP_1) | instskip(NEXT) | instid1(VALU_DEP_1)
	v_div_fmas_f64 v[206:207], v[206:207], v[210:211], v[214:215]
	v_div_fixup_f64 v[210:211], v[206:207], v[204:205], 1.0
                                        ; implicit-def: $vgpr204_vgpr205
	s_delay_alu instid0(VALU_DEP_1)
	v_mul_f64 v[212:213], v[208:209], v[210:211]
	v_xor_b32_e32 v211, 0x80000000, v211
.LBB101_14:
	s_and_not1_saveexec_b32 s3, s3
	s_cbranch_execz .LBB101_16
; %bb.15:
	v_div_scale_f64 v[208:209], null, v[204:205], v[204:205], v[206:207]
	v_div_scale_f64 v[214:215], vcc_lo, v[206:207], v[204:205], v[206:207]
	s_delay_alu instid0(VALU_DEP_2) | instskip(SKIP_2) | instid1(VALU_DEP_1)
	v_rcp_f64_e32 v[210:211], v[208:209]
	s_waitcnt_depctr 0xfff
	v_fma_f64 v[212:213], -v[208:209], v[210:211], 1.0
	v_fma_f64 v[210:211], v[210:211], v[212:213], v[210:211]
	s_delay_alu instid0(VALU_DEP_1) | instskip(NEXT) | instid1(VALU_DEP_1)
	v_fma_f64 v[212:213], -v[208:209], v[210:211], 1.0
	v_fma_f64 v[210:211], v[210:211], v[212:213], v[210:211]
	s_delay_alu instid0(VALU_DEP_1) | instskip(NEXT) | instid1(VALU_DEP_1)
	v_mul_f64 v[212:213], v[214:215], v[210:211]
	v_fma_f64 v[208:209], -v[208:209], v[212:213], v[214:215]
	s_delay_alu instid0(VALU_DEP_1) | instskip(NEXT) | instid1(VALU_DEP_1)
	v_div_fmas_f64 v[208:209], v[208:209], v[210:211], v[212:213]
	v_div_fixup_f64 v[208:209], v[208:209], v[204:205], v[206:207]
	s_delay_alu instid0(VALU_DEP_1) | instskip(NEXT) | instid1(VALU_DEP_1)
	v_fma_f64 v[204:205], v[206:207], v[208:209], v[204:205]
	v_div_scale_f64 v[206:207], null, v[204:205], v[204:205], 1.0
	s_delay_alu instid0(VALU_DEP_1) | instskip(SKIP_2) | instid1(VALU_DEP_1)
	v_rcp_f64_e32 v[210:211], v[206:207]
	s_waitcnt_depctr 0xfff
	v_fma_f64 v[212:213], -v[206:207], v[210:211], 1.0
	v_fma_f64 v[210:211], v[210:211], v[212:213], v[210:211]
	s_delay_alu instid0(VALU_DEP_1) | instskip(NEXT) | instid1(VALU_DEP_1)
	v_fma_f64 v[212:213], -v[206:207], v[210:211], 1.0
	v_fma_f64 v[210:211], v[210:211], v[212:213], v[210:211]
	v_div_scale_f64 v[212:213], vcc_lo, 1.0, v[204:205], 1.0
	s_delay_alu instid0(VALU_DEP_1) | instskip(NEXT) | instid1(VALU_DEP_1)
	v_mul_f64 v[214:215], v[212:213], v[210:211]
	v_fma_f64 v[206:207], -v[206:207], v[214:215], v[212:213]
	s_delay_alu instid0(VALU_DEP_1) | instskip(NEXT) | instid1(VALU_DEP_1)
	v_div_fmas_f64 v[206:207], v[206:207], v[210:211], v[214:215]
	v_div_fixup_f64 v[212:213], v[206:207], v[204:205], 1.0
	s_delay_alu instid0(VALU_DEP_1)
	v_mul_f64 v[210:211], v[208:209], -v[212:213]
.LBB101_16:
	s_or_b32 exec_lo, exec_lo, s3
	ds_store_2addr_b64 v255, v[212:213], v[210:211] offset1:1
.LBB101_17:
	s_or_b32 exec_lo, exec_lo, s4
	s_waitcnt lgkmcnt(0)
	s_barrier
	buffer_gl0_inv
	ds_load_2addr_b64 v[204:207], v255 offset1:1
	s_mov_b32 s3, exec_lo
	s_waitcnt lgkmcnt(0)
	scratch_store_b128 off, v[204:207], off offset:440 ; 16-byte Folded Spill
	scratch_load_b32 v204, off, off         ; 4-byte Folded Reload
	s_waitcnt vmcnt(0)
	v_cmpx_lt_u32_e32 1, v204
	s_cbranch_execz .LBB101_19
; %bb.18:
	scratch_load_b128 v[206:209], off, off offset:440 ; 16-byte Folded Reload
	s_waitcnt vmcnt(0)
	v_mul_f64 v[204:205], v[208:209], v[198:199]
	v_mul_f64 v[198:199], v[206:207], v[198:199]
	s_delay_alu instid0(VALU_DEP_2) | instskip(NEXT) | instid1(VALU_DEP_2)
	v_fma_f64 v[204:205], v[206:207], v[196:197], -v[204:205]
	v_fma_f64 v[198:199], v[208:209], v[196:197], v[198:199]
	ds_load_2addr_b64 v[206:209], v254 offset0:4 offset1:5
	s_waitcnt lgkmcnt(0)
	v_mul_f64 v[196:197], v[208:209], v[198:199]
	s_delay_alu instid0(VALU_DEP_1) | instskip(SKIP_1) | instid1(VALU_DEP_2)
	v_fma_f64 v[196:197], v[206:207], v[204:205], -v[196:197]
	v_mul_f64 v[206:207], v[206:207], v[198:199]
	v_add_f64 v[192:193], v[192:193], -v[196:197]
	s_delay_alu instid0(VALU_DEP_2) | instskip(NEXT) | instid1(VALU_DEP_1)
	v_fma_f64 v[206:207], v[208:209], v[204:205], v[206:207]
	v_add_f64 v[194:195], v[194:195], -v[206:207]
	ds_load_2addr_b64 v[206:209], v254 offset0:6 offset1:7
	s_waitcnt lgkmcnt(0)
	v_mul_f64 v[196:197], v[208:209], v[198:199]
	s_delay_alu instid0(VALU_DEP_1) | instskip(SKIP_1) | instid1(VALU_DEP_2)
	v_fma_f64 v[196:197], v[206:207], v[204:205], -v[196:197]
	v_mul_f64 v[206:207], v[206:207], v[198:199]
	v_add_f64 v[188:189], v[188:189], -v[196:197]
	s_delay_alu instid0(VALU_DEP_2) | instskip(NEXT) | instid1(VALU_DEP_1)
	v_fma_f64 v[206:207], v[208:209], v[204:205], v[206:207]
	v_add_f64 v[190:191], v[190:191], -v[206:207]
	;; [unrolled: 10-line block ×48, first 2 shown]
	ds_load_2addr_b64 v[206:209], v254 offset0:100 offset1:101
	s_waitcnt lgkmcnt(0)
	v_mul_f64 v[196:197], v[208:209], v[198:199]
	s_delay_alu instid0(VALU_DEP_1) | instskip(SKIP_1) | instid1(VALU_DEP_2)
	v_fma_f64 v[196:197], v[206:207], v[204:205], -v[196:197]
	v_mul_f64 v[206:207], v[206:207], v[198:199]
	v_add_f64 v[0:1], v[0:1], -v[196:197]
	s_delay_alu instid0(VALU_DEP_2) | instskip(SKIP_1) | instid1(VALU_DEP_2)
	v_fma_f64 v[206:207], v[208:209], v[204:205], v[206:207]
	v_dual_mov_b32 v196, v204 :: v_dual_mov_b32 v197, v205
	v_add_f64 v[2:3], v[2:3], -v[206:207]
.LBB101_19:
	s_or_b32 exec_lo, exec_lo, s3
	scratch_load_b32 v204, off, off         ; 4-byte Folded Reload
	s_mov_b32 s4, exec_lo
	s_waitcnt vmcnt(0)
	s_waitcnt_vscnt null, 0x0
	s_barrier
	buffer_gl0_inv
	v_cmpx_eq_u32_e32 2, v204
	s_cbranch_execz .LBB101_26
; %bb.20:
	ds_store_2addr_b64 v255, v[192:193], v[194:195] offset1:1
	ds_store_2addr_b64 v254, v[188:189], v[190:191] offset0:6 offset1:7
	ds_store_2addr_b64 v254, v[184:185], v[186:187] offset0:8 offset1:9
	;; [unrolled: 1-line block ×48, first 2 shown]
	ds_load_2addr_b64 v[204:207], v255 offset1:1
	s_waitcnt lgkmcnt(0)
	v_cmp_neq_f64_e32 vcc_lo, 0, v[204:205]
	v_cmp_neq_f64_e64 s3, 0, v[206:207]
	s_delay_alu instid0(VALU_DEP_1) | instskip(NEXT) | instid1(SALU_CYCLE_1)
	s_or_b32 s3, vcc_lo, s3
	s_and_b32 exec_lo, exec_lo, s3
	s_cbranch_execz .LBB101_26
; %bb.21:
	v_cmp_gt_f64_e32 vcc_lo, 0, v[204:205]
	v_xor_b32_e32 v208, 0x80000000, v205
	v_xor_b32_e32 v210, 0x80000000, v207
	s_mov_b32 s3, exec_lo
                                        ; implicit-def: $vgpr212_vgpr213
	s_delay_alu instid0(VALU_DEP_2) | instskip(SKIP_4) | instid1(VALU_DEP_1)
	v_cndmask_b32_e32 v209, v205, v208, vcc_lo
	v_cndmask_b32_e32 v208, v204, v204, vcc_lo
	v_cmp_gt_f64_e32 vcc_lo, 0, v[206:207]
	v_cndmask_b32_e32 v211, v207, v210, vcc_lo
	v_cndmask_b32_e32 v210, v206, v206, vcc_lo
	v_cmpx_ngt_f64_e32 v[208:209], v[210:211]
	s_xor_b32 s3, exec_lo, s3
                                        ; implicit-def: $vgpr208_vgpr209_vgpr210_vgpr211
	s_cbranch_execz .LBB101_23
; %bb.22:
	v_div_scale_f64 v[208:209], null, v[206:207], v[206:207], v[204:205]
	v_div_scale_f64 v[214:215], vcc_lo, v[204:205], v[206:207], v[204:205]
	s_delay_alu instid0(VALU_DEP_2) | instskip(SKIP_2) | instid1(VALU_DEP_1)
	v_rcp_f64_e32 v[210:211], v[208:209]
	s_waitcnt_depctr 0xfff
	v_fma_f64 v[212:213], -v[208:209], v[210:211], 1.0
	v_fma_f64 v[210:211], v[210:211], v[212:213], v[210:211]
	s_delay_alu instid0(VALU_DEP_1) | instskip(NEXT) | instid1(VALU_DEP_1)
	v_fma_f64 v[212:213], -v[208:209], v[210:211], 1.0
	v_fma_f64 v[210:211], v[210:211], v[212:213], v[210:211]
	s_delay_alu instid0(VALU_DEP_1) | instskip(NEXT) | instid1(VALU_DEP_1)
	v_mul_f64 v[212:213], v[214:215], v[210:211]
	v_fma_f64 v[208:209], -v[208:209], v[212:213], v[214:215]
	s_delay_alu instid0(VALU_DEP_1) | instskip(NEXT) | instid1(VALU_DEP_1)
	v_div_fmas_f64 v[208:209], v[208:209], v[210:211], v[212:213]
	v_div_fixup_f64 v[208:209], v[208:209], v[206:207], v[204:205]
	s_delay_alu instid0(VALU_DEP_1) | instskip(NEXT) | instid1(VALU_DEP_1)
	v_fma_f64 v[204:205], v[204:205], v[208:209], v[206:207]
	v_div_scale_f64 v[206:207], null, v[204:205], v[204:205], 1.0
	s_delay_alu instid0(VALU_DEP_1) | instskip(SKIP_2) | instid1(VALU_DEP_1)
	v_rcp_f64_e32 v[210:211], v[206:207]
	s_waitcnt_depctr 0xfff
	v_fma_f64 v[212:213], -v[206:207], v[210:211], 1.0
	v_fma_f64 v[210:211], v[210:211], v[212:213], v[210:211]
	s_delay_alu instid0(VALU_DEP_1) | instskip(NEXT) | instid1(VALU_DEP_1)
	v_fma_f64 v[212:213], -v[206:207], v[210:211], 1.0
	v_fma_f64 v[210:211], v[210:211], v[212:213], v[210:211]
	v_div_scale_f64 v[212:213], vcc_lo, 1.0, v[204:205], 1.0
	s_delay_alu instid0(VALU_DEP_1) | instskip(NEXT) | instid1(VALU_DEP_1)
	v_mul_f64 v[214:215], v[212:213], v[210:211]
	v_fma_f64 v[206:207], -v[206:207], v[214:215], v[212:213]
	s_delay_alu instid0(VALU_DEP_1) | instskip(NEXT) | instid1(VALU_DEP_1)
	v_div_fmas_f64 v[206:207], v[206:207], v[210:211], v[214:215]
	v_div_fixup_f64 v[210:211], v[206:207], v[204:205], 1.0
                                        ; implicit-def: $vgpr204_vgpr205
	s_delay_alu instid0(VALU_DEP_1)
	v_mul_f64 v[212:213], v[208:209], v[210:211]
	v_xor_b32_e32 v211, 0x80000000, v211
.LBB101_23:
	s_and_not1_saveexec_b32 s3, s3
	s_cbranch_execz .LBB101_25
; %bb.24:
	v_div_scale_f64 v[208:209], null, v[204:205], v[204:205], v[206:207]
	v_div_scale_f64 v[214:215], vcc_lo, v[206:207], v[204:205], v[206:207]
	s_delay_alu instid0(VALU_DEP_2) | instskip(SKIP_2) | instid1(VALU_DEP_1)
	v_rcp_f64_e32 v[210:211], v[208:209]
	s_waitcnt_depctr 0xfff
	v_fma_f64 v[212:213], -v[208:209], v[210:211], 1.0
	v_fma_f64 v[210:211], v[210:211], v[212:213], v[210:211]
	s_delay_alu instid0(VALU_DEP_1) | instskip(NEXT) | instid1(VALU_DEP_1)
	v_fma_f64 v[212:213], -v[208:209], v[210:211], 1.0
	v_fma_f64 v[210:211], v[210:211], v[212:213], v[210:211]
	s_delay_alu instid0(VALU_DEP_1) | instskip(NEXT) | instid1(VALU_DEP_1)
	v_mul_f64 v[212:213], v[214:215], v[210:211]
	v_fma_f64 v[208:209], -v[208:209], v[212:213], v[214:215]
	s_delay_alu instid0(VALU_DEP_1) | instskip(NEXT) | instid1(VALU_DEP_1)
	v_div_fmas_f64 v[208:209], v[208:209], v[210:211], v[212:213]
	v_div_fixup_f64 v[208:209], v[208:209], v[204:205], v[206:207]
	s_delay_alu instid0(VALU_DEP_1) | instskip(NEXT) | instid1(VALU_DEP_1)
	v_fma_f64 v[204:205], v[206:207], v[208:209], v[204:205]
	v_div_scale_f64 v[206:207], null, v[204:205], v[204:205], 1.0
	s_delay_alu instid0(VALU_DEP_1) | instskip(SKIP_2) | instid1(VALU_DEP_1)
	v_rcp_f64_e32 v[210:211], v[206:207]
	s_waitcnt_depctr 0xfff
	v_fma_f64 v[212:213], -v[206:207], v[210:211], 1.0
	v_fma_f64 v[210:211], v[210:211], v[212:213], v[210:211]
	s_delay_alu instid0(VALU_DEP_1) | instskip(NEXT) | instid1(VALU_DEP_1)
	v_fma_f64 v[212:213], -v[206:207], v[210:211], 1.0
	v_fma_f64 v[210:211], v[210:211], v[212:213], v[210:211]
	v_div_scale_f64 v[212:213], vcc_lo, 1.0, v[204:205], 1.0
	s_delay_alu instid0(VALU_DEP_1) | instskip(NEXT) | instid1(VALU_DEP_1)
	v_mul_f64 v[214:215], v[212:213], v[210:211]
	v_fma_f64 v[206:207], -v[206:207], v[214:215], v[212:213]
	s_delay_alu instid0(VALU_DEP_1) | instskip(NEXT) | instid1(VALU_DEP_1)
	v_div_fmas_f64 v[206:207], v[206:207], v[210:211], v[214:215]
	v_div_fixup_f64 v[212:213], v[206:207], v[204:205], 1.0
	s_delay_alu instid0(VALU_DEP_1)
	v_mul_f64 v[210:211], v[208:209], -v[212:213]
.LBB101_25:
	s_or_b32 exec_lo, exec_lo, s3
	ds_store_2addr_b64 v255, v[212:213], v[210:211] offset1:1
.LBB101_26:
	s_or_b32 exec_lo, exec_lo, s4
	s_waitcnt lgkmcnt(0)
	s_barrier
	buffer_gl0_inv
	ds_load_2addr_b64 v[204:207], v255 offset1:1
	s_mov_b32 s3, exec_lo
	s_waitcnt lgkmcnt(0)
	scratch_store_b128 off, v[204:207], off offset:456 ; 16-byte Folded Spill
	scratch_load_b32 v204, off, off         ; 4-byte Folded Reload
	s_waitcnt vmcnt(0)
	v_cmpx_lt_u32_e32 2, v204
	s_cbranch_execz .LBB101_28
; %bb.27:
	scratch_load_b128 v[206:209], off, off offset:456 ; 16-byte Folded Reload
	s_waitcnt vmcnt(0)
	v_mul_f64 v[204:205], v[208:209], v[194:195]
	v_mul_f64 v[194:195], v[206:207], v[194:195]
	s_delay_alu instid0(VALU_DEP_2) | instskip(NEXT) | instid1(VALU_DEP_2)
	v_fma_f64 v[204:205], v[206:207], v[192:193], -v[204:205]
	v_fma_f64 v[194:195], v[208:209], v[192:193], v[194:195]
	ds_load_2addr_b64 v[206:209], v254 offset0:6 offset1:7
	s_waitcnt lgkmcnt(0)
	v_mul_f64 v[192:193], v[208:209], v[194:195]
	s_delay_alu instid0(VALU_DEP_1) | instskip(SKIP_1) | instid1(VALU_DEP_2)
	v_fma_f64 v[192:193], v[206:207], v[204:205], -v[192:193]
	v_mul_f64 v[206:207], v[206:207], v[194:195]
	v_add_f64 v[188:189], v[188:189], -v[192:193]
	s_delay_alu instid0(VALU_DEP_2) | instskip(NEXT) | instid1(VALU_DEP_1)
	v_fma_f64 v[206:207], v[208:209], v[204:205], v[206:207]
	v_add_f64 v[190:191], v[190:191], -v[206:207]
	ds_load_2addr_b64 v[206:209], v254 offset0:8 offset1:9
	s_waitcnt lgkmcnt(0)
	v_mul_f64 v[192:193], v[208:209], v[194:195]
	s_delay_alu instid0(VALU_DEP_1) | instskip(SKIP_1) | instid1(VALU_DEP_2)
	v_fma_f64 v[192:193], v[206:207], v[204:205], -v[192:193]
	v_mul_f64 v[206:207], v[206:207], v[194:195]
	v_add_f64 v[184:185], v[184:185], -v[192:193]
	s_delay_alu instid0(VALU_DEP_2) | instskip(NEXT) | instid1(VALU_DEP_1)
	v_fma_f64 v[206:207], v[208:209], v[204:205], v[206:207]
	v_add_f64 v[186:187], v[186:187], -v[206:207]
	ds_load_2addr_b64 v[206:209], v254 offset0:10 offset1:11
	s_waitcnt lgkmcnt(0)
	v_mul_f64 v[192:193], v[208:209], v[194:195]
	s_delay_alu instid0(VALU_DEP_1) | instskip(SKIP_1) | instid1(VALU_DEP_2)
	v_fma_f64 v[192:193], v[206:207], v[204:205], -v[192:193]
	v_mul_f64 v[206:207], v[206:207], v[194:195]
	v_add_f64 v[180:181], v[180:181], -v[192:193]
	s_delay_alu instid0(VALU_DEP_2) | instskip(NEXT) | instid1(VALU_DEP_1)
	v_fma_f64 v[206:207], v[208:209], v[204:205], v[206:207]
	v_add_f64 v[182:183], v[182:183], -v[206:207]
	ds_load_2addr_b64 v[206:209], v254 offset0:12 offset1:13
	s_waitcnt lgkmcnt(0)
	v_mul_f64 v[192:193], v[208:209], v[194:195]
	s_delay_alu instid0(VALU_DEP_1) | instskip(SKIP_1) | instid1(VALU_DEP_2)
	v_fma_f64 v[192:193], v[206:207], v[204:205], -v[192:193]
	v_mul_f64 v[206:207], v[206:207], v[194:195]
	v_add_f64 v[176:177], v[176:177], -v[192:193]
	s_delay_alu instid0(VALU_DEP_2) | instskip(NEXT) | instid1(VALU_DEP_1)
	v_fma_f64 v[206:207], v[208:209], v[204:205], v[206:207]
	v_add_f64 v[178:179], v[178:179], -v[206:207]
	ds_load_2addr_b64 v[206:209], v254 offset0:14 offset1:15
	s_waitcnt lgkmcnt(0)
	v_mul_f64 v[192:193], v[208:209], v[194:195]
	s_delay_alu instid0(VALU_DEP_1) | instskip(SKIP_1) | instid1(VALU_DEP_2)
	v_fma_f64 v[192:193], v[206:207], v[204:205], -v[192:193]
	v_mul_f64 v[206:207], v[206:207], v[194:195]
	v_add_f64 v[172:173], v[172:173], -v[192:193]
	s_delay_alu instid0(VALU_DEP_2) | instskip(NEXT) | instid1(VALU_DEP_1)
	v_fma_f64 v[206:207], v[208:209], v[204:205], v[206:207]
	v_add_f64 v[174:175], v[174:175], -v[206:207]
	ds_load_2addr_b64 v[206:209], v254 offset0:16 offset1:17
	s_waitcnt lgkmcnt(0)
	v_mul_f64 v[192:193], v[208:209], v[194:195]
	s_delay_alu instid0(VALU_DEP_1) | instskip(SKIP_1) | instid1(VALU_DEP_2)
	v_fma_f64 v[192:193], v[206:207], v[204:205], -v[192:193]
	v_mul_f64 v[206:207], v[206:207], v[194:195]
	v_add_f64 v[168:169], v[168:169], -v[192:193]
	s_delay_alu instid0(VALU_DEP_2) | instskip(NEXT) | instid1(VALU_DEP_1)
	v_fma_f64 v[206:207], v[208:209], v[204:205], v[206:207]
	v_add_f64 v[170:171], v[170:171], -v[206:207]
	ds_load_2addr_b64 v[206:209], v254 offset0:18 offset1:19
	s_waitcnt lgkmcnt(0)
	v_mul_f64 v[192:193], v[208:209], v[194:195]
	s_delay_alu instid0(VALU_DEP_1) | instskip(SKIP_1) | instid1(VALU_DEP_2)
	v_fma_f64 v[192:193], v[206:207], v[204:205], -v[192:193]
	v_mul_f64 v[206:207], v[206:207], v[194:195]
	v_add_f64 v[164:165], v[164:165], -v[192:193]
	s_delay_alu instid0(VALU_DEP_2) | instskip(NEXT) | instid1(VALU_DEP_1)
	v_fma_f64 v[206:207], v[208:209], v[204:205], v[206:207]
	v_add_f64 v[166:167], v[166:167], -v[206:207]
	ds_load_2addr_b64 v[206:209], v254 offset0:20 offset1:21
	s_waitcnt lgkmcnt(0)
	v_mul_f64 v[192:193], v[208:209], v[194:195]
	s_delay_alu instid0(VALU_DEP_1) | instskip(SKIP_1) | instid1(VALU_DEP_2)
	v_fma_f64 v[192:193], v[206:207], v[204:205], -v[192:193]
	v_mul_f64 v[206:207], v[206:207], v[194:195]
	v_add_f64 v[160:161], v[160:161], -v[192:193]
	s_delay_alu instid0(VALU_DEP_2) | instskip(NEXT) | instid1(VALU_DEP_1)
	v_fma_f64 v[206:207], v[208:209], v[204:205], v[206:207]
	v_add_f64 v[162:163], v[162:163], -v[206:207]
	ds_load_2addr_b64 v[206:209], v254 offset0:22 offset1:23
	s_waitcnt lgkmcnt(0)
	v_mul_f64 v[192:193], v[208:209], v[194:195]
	s_delay_alu instid0(VALU_DEP_1) | instskip(SKIP_1) | instid1(VALU_DEP_2)
	v_fma_f64 v[192:193], v[206:207], v[204:205], -v[192:193]
	v_mul_f64 v[206:207], v[206:207], v[194:195]
	v_add_f64 v[156:157], v[156:157], -v[192:193]
	s_delay_alu instid0(VALU_DEP_2) | instskip(NEXT) | instid1(VALU_DEP_1)
	v_fma_f64 v[206:207], v[208:209], v[204:205], v[206:207]
	v_add_f64 v[158:159], v[158:159], -v[206:207]
	ds_load_2addr_b64 v[206:209], v254 offset0:24 offset1:25
	s_waitcnt lgkmcnt(0)
	v_mul_f64 v[192:193], v[208:209], v[194:195]
	s_delay_alu instid0(VALU_DEP_1) | instskip(SKIP_1) | instid1(VALU_DEP_2)
	v_fma_f64 v[192:193], v[206:207], v[204:205], -v[192:193]
	v_mul_f64 v[206:207], v[206:207], v[194:195]
	v_add_f64 v[152:153], v[152:153], -v[192:193]
	s_delay_alu instid0(VALU_DEP_2) | instskip(NEXT) | instid1(VALU_DEP_1)
	v_fma_f64 v[206:207], v[208:209], v[204:205], v[206:207]
	v_add_f64 v[154:155], v[154:155], -v[206:207]
	ds_load_2addr_b64 v[206:209], v254 offset0:26 offset1:27
	s_waitcnt lgkmcnt(0)
	v_mul_f64 v[192:193], v[208:209], v[194:195]
	s_delay_alu instid0(VALU_DEP_1) | instskip(SKIP_1) | instid1(VALU_DEP_2)
	v_fma_f64 v[192:193], v[206:207], v[204:205], -v[192:193]
	v_mul_f64 v[206:207], v[206:207], v[194:195]
	v_add_f64 v[148:149], v[148:149], -v[192:193]
	s_delay_alu instid0(VALU_DEP_2) | instskip(NEXT) | instid1(VALU_DEP_1)
	v_fma_f64 v[206:207], v[208:209], v[204:205], v[206:207]
	v_add_f64 v[150:151], v[150:151], -v[206:207]
	ds_load_2addr_b64 v[206:209], v254 offset0:28 offset1:29
	s_waitcnt lgkmcnt(0)
	v_mul_f64 v[192:193], v[208:209], v[194:195]
	s_delay_alu instid0(VALU_DEP_1) | instskip(SKIP_1) | instid1(VALU_DEP_2)
	v_fma_f64 v[192:193], v[206:207], v[204:205], -v[192:193]
	v_mul_f64 v[206:207], v[206:207], v[194:195]
	v_add_f64 v[144:145], v[144:145], -v[192:193]
	s_delay_alu instid0(VALU_DEP_2) | instskip(NEXT) | instid1(VALU_DEP_1)
	v_fma_f64 v[206:207], v[208:209], v[204:205], v[206:207]
	v_add_f64 v[146:147], v[146:147], -v[206:207]
	ds_load_2addr_b64 v[206:209], v254 offset0:30 offset1:31
	s_waitcnt lgkmcnt(0)
	v_mul_f64 v[192:193], v[208:209], v[194:195]
	s_delay_alu instid0(VALU_DEP_1) | instskip(SKIP_1) | instid1(VALU_DEP_2)
	v_fma_f64 v[192:193], v[206:207], v[204:205], -v[192:193]
	v_mul_f64 v[206:207], v[206:207], v[194:195]
	v_add_f64 v[140:141], v[140:141], -v[192:193]
	s_delay_alu instid0(VALU_DEP_2) | instskip(NEXT) | instid1(VALU_DEP_1)
	v_fma_f64 v[206:207], v[208:209], v[204:205], v[206:207]
	v_add_f64 v[142:143], v[142:143], -v[206:207]
	ds_load_2addr_b64 v[206:209], v254 offset0:32 offset1:33
	s_waitcnt lgkmcnt(0)
	v_mul_f64 v[192:193], v[208:209], v[194:195]
	s_delay_alu instid0(VALU_DEP_1) | instskip(SKIP_1) | instid1(VALU_DEP_2)
	v_fma_f64 v[192:193], v[206:207], v[204:205], -v[192:193]
	v_mul_f64 v[206:207], v[206:207], v[194:195]
	v_add_f64 v[136:137], v[136:137], -v[192:193]
	s_delay_alu instid0(VALU_DEP_2) | instskip(NEXT) | instid1(VALU_DEP_1)
	v_fma_f64 v[206:207], v[208:209], v[204:205], v[206:207]
	v_add_f64 v[138:139], v[138:139], -v[206:207]
	ds_load_2addr_b64 v[206:209], v254 offset0:34 offset1:35
	s_waitcnt lgkmcnt(0)
	v_mul_f64 v[192:193], v[208:209], v[194:195]
	s_delay_alu instid0(VALU_DEP_1) | instskip(SKIP_1) | instid1(VALU_DEP_2)
	v_fma_f64 v[192:193], v[206:207], v[204:205], -v[192:193]
	v_mul_f64 v[206:207], v[206:207], v[194:195]
	v_add_f64 v[132:133], v[132:133], -v[192:193]
	s_delay_alu instid0(VALU_DEP_2) | instskip(NEXT) | instid1(VALU_DEP_1)
	v_fma_f64 v[206:207], v[208:209], v[204:205], v[206:207]
	v_add_f64 v[134:135], v[134:135], -v[206:207]
	ds_load_2addr_b64 v[206:209], v254 offset0:36 offset1:37
	s_waitcnt lgkmcnt(0)
	v_mul_f64 v[192:193], v[208:209], v[194:195]
	s_delay_alu instid0(VALU_DEP_1) | instskip(SKIP_1) | instid1(VALU_DEP_2)
	v_fma_f64 v[192:193], v[206:207], v[204:205], -v[192:193]
	v_mul_f64 v[206:207], v[206:207], v[194:195]
	v_add_f64 v[128:129], v[128:129], -v[192:193]
	s_delay_alu instid0(VALU_DEP_2) | instskip(NEXT) | instid1(VALU_DEP_1)
	v_fma_f64 v[206:207], v[208:209], v[204:205], v[206:207]
	v_add_f64 v[130:131], v[130:131], -v[206:207]
	ds_load_2addr_b64 v[206:209], v254 offset0:38 offset1:39
	s_waitcnt lgkmcnt(0)
	v_mul_f64 v[192:193], v[208:209], v[194:195]
	s_delay_alu instid0(VALU_DEP_1) | instskip(SKIP_1) | instid1(VALU_DEP_2)
	v_fma_f64 v[192:193], v[206:207], v[204:205], -v[192:193]
	v_mul_f64 v[206:207], v[206:207], v[194:195]
	v_add_f64 v[124:125], v[124:125], -v[192:193]
	s_delay_alu instid0(VALU_DEP_2) | instskip(NEXT) | instid1(VALU_DEP_1)
	v_fma_f64 v[206:207], v[208:209], v[204:205], v[206:207]
	v_add_f64 v[126:127], v[126:127], -v[206:207]
	ds_load_2addr_b64 v[206:209], v254 offset0:40 offset1:41
	s_waitcnt lgkmcnt(0)
	v_mul_f64 v[192:193], v[208:209], v[194:195]
	s_delay_alu instid0(VALU_DEP_1) | instskip(SKIP_1) | instid1(VALU_DEP_2)
	v_fma_f64 v[192:193], v[206:207], v[204:205], -v[192:193]
	v_mul_f64 v[206:207], v[206:207], v[194:195]
	v_add_f64 v[120:121], v[120:121], -v[192:193]
	s_delay_alu instid0(VALU_DEP_2) | instskip(NEXT) | instid1(VALU_DEP_1)
	v_fma_f64 v[206:207], v[208:209], v[204:205], v[206:207]
	v_add_f64 v[122:123], v[122:123], -v[206:207]
	ds_load_2addr_b64 v[206:209], v254 offset0:42 offset1:43
	s_waitcnt lgkmcnt(0)
	v_mul_f64 v[192:193], v[208:209], v[194:195]
	s_delay_alu instid0(VALU_DEP_1) | instskip(SKIP_1) | instid1(VALU_DEP_2)
	v_fma_f64 v[192:193], v[206:207], v[204:205], -v[192:193]
	v_mul_f64 v[206:207], v[206:207], v[194:195]
	v_add_f64 v[116:117], v[116:117], -v[192:193]
	s_delay_alu instid0(VALU_DEP_2) | instskip(NEXT) | instid1(VALU_DEP_1)
	v_fma_f64 v[206:207], v[208:209], v[204:205], v[206:207]
	v_add_f64 v[118:119], v[118:119], -v[206:207]
	ds_load_2addr_b64 v[206:209], v254 offset0:44 offset1:45
	s_waitcnt lgkmcnt(0)
	v_mul_f64 v[192:193], v[208:209], v[194:195]
	s_delay_alu instid0(VALU_DEP_1) | instskip(SKIP_1) | instid1(VALU_DEP_2)
	v_fma_f64 v[192:193], v[206:207], v[204:205], -v[192:193]
	v_mul_f64 v[206:207], v[206:207], v[194:195]
	v_add_f64 v[112:113], v[112:113], -v[192:193]
	s_delay_alu instid0(VALU_DEP_2) | instskip(NEXT) | instid1(VALU_DEP_1)
	v_fma_f64 v[206:207], v[208:209], v[204:205], v[206:207]
	v_add_f64 v[114:115], v[114:115], -v[206:207]
	ds_load_2addr_b64 v[206:209], v254 offset0:46 offset1:47
	s_waitcnt lgkmcnt(0)
	v_mul_f64 v[192:193], v[208:209], v[194:195]
	s_delay_alu instid0(VALU_DEP_1) | instskip(SKIP_1) | instid1(VALU_DEP_2)
	v_fma_f64 v[192:193], v[206:207], v[204:205], -v[192:193]
	v_mul_f64 v[206:207], v[206:207], v[194:195]
	v_add_f64 v[108:109], v[108:109], -v[192:193]
	s_delay_alu instid0(VALU_DEP_2) | instskip(NEXT) | instid1(VALU_DEP_1)
	v_fma_f64 v[206:207], v[208:209], v[204:205], v[206:207]
	v_add_f64 v[110:111], v[110:111], -v[206:207]
	ds_load_2addr_b64 v[206:209], v254 offset0:48 offset1:49
	s_waitcnt lgkmcnt(0)
	v_mul_f64 v[192:193], v[208:209], v[194:195]
	s_delay_alu instid0(VALU_DEP_1) | instskip(SKIP_1) | instid1(VALU_DEP_2)
	v_fma_f64 v[192:193], v[206:207], v[204:205], -v[192:193]
	v_mul_f64 v[206:207], v[206:207], v[194:195]
	v_add_f64 v[104:105], v[104:105], -v[192:193]
	s_delay_alu instid0(VALU_DEP_2) | instskip(NEXT) | instid1(VALU_DEP_1)
	v_fma_f64 v[206:207], v[208:209], v[204:205], v[206:207]
	v_add_f64 v[106:107], v[106:107], -v[206:207]
	ds_load_2addr_b64 v[206:209], v254 offset0:50 offset1:51
	s_waitcnt lgkmcnt(0)
	v_mul_f64 v[192:193], v[208:209], v[194:195]
	s_delay_alu instid0(VALU_DEP_1) | instskip(SKIP_1) | instid1(VALU_DEP_2)
	v_fma_f64 v[192:193], v[206:207], v[204:205], -v[192:193]
	v_mul_f64 v[206:207], v[206:207], v[194:195]
	v_add_f64 v[100:101], v[100:101], -v[192:193]
	s_delay_alu instid0(VALU_DEP_2) | instskip(NEXT) | instid1(VALU_DEP_1)
	v_fma_f64 v[206:207], v[208:209], v[204:205], v[206:207]
	v_add_f64 v[102:103], v[102:103], -v[206:207]
	ds_load_2addr_b64 v[206:209], v254 offset0:52 offset1:53
	s_waitcnt lgkmcnt(0)
	v_mul_f64 v[192:193], v[208:209], v[194:195]
	s_delay_alu instid0(VALU_DEP_1) | instskip(SKIP_1) | instid1(VALU_DEP_2)
	v_fma_f64 v[192:193], v[206:207], v[204:205], -v[192:193]
	v_mul_f64 v[206:207], v[206:207], v[194:195]
	v_add_f64 v[96:97], v[96:97], -v[192:193]
	s_delay_alu instid0(VALU_DEP_2) | instskip(NEXT) | instid1(VALU_DEP_1)
	v_fma_f64 v[206:207], v[208:209], v[204:205], v[206:207]
	v_add_f64 v[98:99], v[98:99], -v[206:207]
	ds_load_2addr_b64 v[206:209], v254 offset0:54 offset1:55
	s_waitcnt lgkmcnt(0)
	v_mul_f64 v[192:193], v[208:209], v[194:195]
	s_delay_alu instid0(VALU_DEP_1) | instskip(SKIP_1) | instid1(VALU_DEP_2)
	v_fma_f64 v[192:193], v[206:207], v[204:205], -v[192:193]
	v_mul_f64 v[206:207], v[206:207], v[194:195]
	v_add_f64 v[92:93], v[92:93], -v[192:193]
	s_delay_alu instid0(VALU_DEP_2) | instskip(NEXT) | instid1(VALU_DEP_1)
	v_fma_f64 v[206:207], v[208:209], v[204:205], v[206:207]
	v_add_f64 v[94:95], v[94:95], -v[206:207]
	ds_load_2addr_b64 v[206:209], v254 offset0:56 offset1:57
	s_waitcnt lgkmcnt(0)
	v_mul_f64 v[192:193], v[208:209], v[194:195]
	s_delay_alu instid0(VALU_DEP_1) | instskip(SKIP_1) | instid1(VALU_DEP_2)
	v_fma_f64 v[192:193], v[206:207], v[204:205], -v[192:193]
	v_mul_f64 v[206:207], v[206:207], v[194:195]
	v_add_f64 v[88:89], v[88:89], -v[192:193]
	s_delay_alu instid0(VALU_DEP_2) | instskip(NEXT) | instid1(VALU_DEP_1)
	v_fma_f64 v[206:207], v[208:209], v[204:205], v[206:207]
	v_add_f64 v[90:91], v[90:91], -v[206:207]
	ds_load_2addr_b64 v[206:209], v254 offset0:58 offset1:59
	s_waitcnt lgkmcnt(0)
	v_mul_f64 v[192:193], v[208:209], v[194:195]
	s_delay_alu instid0(VALU_DEP_1) | instskip(SKIP_1) | instid1(VALU_DEP_2)
	v_fma_f64 v[192:193], v[206:207], v[204:205], -v[192:193]
	v_mul_f64 v[206:207], v[206:207], v[194:195]
	v_add_f64 v[84:85], v[84:85], -v[192:193]
	s_delay_alu instid0(VALU_DEP_2) | instskip(NEXT) | instid1(VALU_DEP_1)
	v_fma_f64 v[206:207], v[208:209], v[204:205], v[206:207]
	v_add_f64 v[86:87], v[86:87], -v[206:207]
	ds_load_2addr_b64 v[206:209], v254 offset0:60 offset1:61
	s_waitcnt lgkmcnt(0)
	v_mul_f64 v[192:193], v[208:209], v[194:195]
	s_delay_alu instid0(VALU_DEP_1) | instskip(SKIP_1) | instid1(VALU_DEP_2)
	v_fma_f64 v[192:193], v[206:207], v[204:205], -v[192:193]
	v_mul_f64 v[206:207], v[206:207], v[194:195]
	v_add_f64 v[80:81], v[80:81], -v[192:193]
	s_delay_alu instid0(VALU_DEP_2) | instskip(NEXT) | instid1(VALU_DEP_1)
	v_fma_f64 v[206:207], v[208:209], v[204:205], v[206:207]
	v_add_f64 v[82:83], v[82:83], -v[206:207]
	ds_load_2addr_b64 v[206:209], v254 offset0:62 offset1:63
	s_waitcnt lgkmcnt(0)
	v_mul_f64 v[192:193], v[208:209], v[194:195]
	s_delay_alu instid0(VALU_DEP_1) | instskip(SKIP_1) | instid1(VALU_DEP_2)
	v_fma_f64 v[192:193], v[206:207], v[204:205], -v[192:193]
	v_mul_f64 v[206:207], v[206:207], v[194:195]
	v_add_f64 v[76:77], v[76:77], -v[192:193]
	s_delay_alu instid0(VALU_DEP_2) | instskip(NEXT) | instid1(VALU_DEP_1)
	v_fma_f64 v[206:207], v[208:209], v[204:205], v[206:207]
	v_add_f64 v[78:79], v[78:79], -v[206:207]
	ds_load_2addr_b64 v[206:209], v254 offset0:64 offset1:65
	s_waitcnt lgkmcnt(0)
	v_mul_f64 v[192:193], v[208:209], v[194:195]
	s_delay_alu instid0(VALU_DEP_1) | instskip(SKIP_1) | instid1(VALU_DEP_2)
	v_fma_f64 v[192:193], v[206:207], v[204:205], -v[192:193]
	v_mul_f64 v[206:207], v[206:207], v[194:195]
	v_add_f64 v[72:73], v[72:73], -v[192:193]
	s_delay_alu instid0(VALU_DEP_2) | instskip(NEXT) | instid1(VALU_DEP_1)
	v_fma_f64 v[206:207], v[208:209], v[204:205], v[206:207]
	v_add_f64 v[74:75], v[74:75], -v[206:207]
	ds_load_2addr_b64 v[206:209], v254 offset0:66 offset1:67
	s_waitcnt lgkmcnt(0)
	v_mul_f64 v[192:193], v[208:209], v[194:195]
	s_delay_alu instid0(VALU_DEP_1) | instskip(SKIP_1) | instid1(VALU_DEP_2)
	v_fma_f64 v[192:193], v[206:207], v[204:205], -v[192:193]
	v_mul_f64 v[206:207], v[206:207], v[194:195]
	v_add_f64 v[68:69], v[68:69], -v[192:193]
	s_delay_alu instid0(VALU_DEP_2) | instskip(NEXT) | instid1(VALU_DEP_1)
	v_fma_f64 v[206:207], v[208:209], v[204:205], v[206:207]
	v_add_f64 v[70:71], v[70:71], -v[206:207]
	ds_load_2addr_b64 v[206:209], v254 offset0:68 offset1:69
	s_waitcnt lgkmcnt(0)
	v_mul_f64 v[192:193], v[208:209], v[194:195]
	s_delay_alu instid0(VALU_DEP_1) | instskip(SKIP_1) | instid1(VALU_DEP_2)
	v_fma_f64 v[192:193], v[206:207], v[204:205], -v[192:193]
	v_mul_f64 v[206:207], v[206:207], v[194:195]
	v_add_f64 v[64:65], v[64:65], -v[192:193]
	s_delay_alu instid0(VALU_DEP_2) | instskip(NEXT) | instid1(VALU_DEP_1)
	v_fma_f64 v[206:207], v[208:209], v[204:205], v[206:207]
	v_add_f64 v[66:67], v[66:67], -v[206:207]
	ds_load_2addr_b64 v[206:209], v254 offset0:70 offset1:71
	s_waitcnt lgkmcnt(0)
	v_mul_f64 v[192:193], v[208:209], v[194:195]
	s_delay_alu instid0(VALU_DEP_1) | instskip(SKIP_1) | instid1(VALU_DEP_2)
	v_fma_f64 v[192:193], v[206:207], v[204:205], -v[192:193]
	v_mul_f64 v[206:207], v[206:207], v[194:195]
	v_add_f64 v[60:61], v[60:61], -v[192:193]
	s_delay_alu instid0(VALU_DEP_2) | instskip(NEXT) | instid1(VALU_DEP_1)
	v_fma_f64 v[206:207], v[208:209], v[204:205], v[206:207]
	v_add_f64 v[62:63], v[62:63], -v[206:207]
	ds_load_2addr_b64 v[206:209], v254 offset0:72 offset1:73
	s_waitcnt lgkmcnt(0)
	v_mul_f64 v[192:193], v[208:209], v[194:195]
	s_delay_alu instid0(VALU_DEP_1) | instskip(SKIP_1) | instid1(VALU_DEP_2)
	v_fma_f64 v[192:193], v[206:207], v[204:205], -v[192:193]
	v_mul_f64 v[206:207], v[206:207], v[194:195]
	v_add_f64 v[56:57], v[56:57], -v[192:193]
	s_delay_alu instid0(VALU_DEP_2) | instskip(NEXT) | instid1(VALU_DEP_1)
	v_fma_f64 v[206:207], v[208:209], v[204:205], v[206:207]
	v_add_f64 v[58:59], v[58:59], -v[206:207]
	ds_load_2addr_b64 v[206:209], v254 offset0:74 offset1:75
	s_waitcnt lgkmcnt(0)
	v_mul_f64 v[192:193], v[208:209], v[194:195]
	s_delay_alu instid0(VALU_DEP_1) | instskip(SKIP_1) | instid1(VALU_DEP_2)
	v_fma_f64 v[192:193], v[206:207], v[204:205], -v[192:193]
	v_mul_f64 v[206:207], v[206:207], v[194:195]
	v_add_f64 v[52:53], v[52:53], -v[192:193]
	s_delay_alu instid0(VALU_DEP_2) | instskip(NEXT) | instid1(VALU_DEP_1)
	v_fma_f64 v[206:207], v[208:209], v[204:205], v[206:207]
	v_add_f64 v[54:55], v[54:55], -v[206:207]
	ds_load_2addr_b64 v[206:209], v254 offset0:76 offset1:77
	s_waitcnt lgkmcnt(0)
	v_mul_f64 v[192:193], v[208:209], v[194:195]
	s_delay_alu instid0(VALU_DEP_1) | instskip(SKIP_1) | instid1(VALU_DEP_2)
	v_fma_f64 v[192:193], v[206:207], v[204:205], -v[192:193]
	v_mul_f64 v[206:207], v[206:207], v[194:195]
	v_add_f64 v[48:49], v[48:49], -v[192:193]
	s_delay_alu instid0(VALU_DEP_2) | instskip(NEXT) | instid1(VALU_DEP_1)
	v_fma_f64 v[206:207], v[208:209], v[204:205], v[206:207]
	v_add_f64 v[50:51], v[50:51], -v[206:207]
	ds_load_2addr_b64 v[206:209], v254 offset0:78 offset1:79
	s_waitcnt lgkmcnt(0)
	v_mul_f64 v[192:193], v[208:209], v[194:195]
	s_delay_alu instid0(VALU_DEP_1) | instskip(SKIP_1) | instid1(VALU_DEP_2)
	v_fma_f64 v[192:193], v[206:207], v[204:205], -v[192:193]
	v_mul_f64 v[206:207], v[206:207], v[194:195]
	v_add_f64 v[44:45], v[44:45], -v[192:193]
	s_delay_alu instid0(VALU_DEP_2) | instskip(NEXT) | instid1(VALU_DEP_1)
	v_fma_f64 v[206:207], v[208:209], v[204:205], v[206:207]
	v_add_f64 v[46:47], v[46:47], -v[206:207]
	ds_load_2addr_b64 v[206:209], v254 offset0:80 offset1:81
	s_waitcnt lgkmcnt(0)
	v_mul_f64 v[192:193], v[208:209], v[194:195]
	s_delay_alu instid0(VALU_DEP_1) | instskip(SKIP_1) | instid1(VALU_DEP_2)
	v_fma_f64 v[192:193], v[206:207], v[204:205], -v[192:193]
	v_mul_f64 v[206:207], v[206:207], v[194:195]
	v_add_f64 v[40:41], v[40:41], -v[192:193]
	s_delay_alu instid0(VALU_DEP_2) | instskip(NEXT) | instid1(VALU_DEP_1)
	v_fma_f64 v[206:207], v[208:209], v[204:205], v[206:207]
	v_add_f64 v[42:43], v[42:43], -v[206:207]
	ds_load_2addr_b64 v[206:209], v254 offset0:82 offset1:83
	s_waitcnt lgkmcnt(0)
	v_mul_f64 v[192:193], v[208:209], v[194:195]
	s_delay_alu instid0(VALU_DEP_1) | instskip(SKIP_1) | instid1(VALU_DEP_2)
	v_fma_f64 v[192:193], v[206:207], v[204:205], -v[192:193]
	v_mul_f64 v[206:207], v[206:207], v[194:195]
	v_add_f64 v[36:37], v[36:37], -v[192:193]
	s_delay_alu instid0(VALU_DEP_2) | instskip(NEXT) | instid1(VALU_DEP_1)
	v_fma_f64 v[206:207], v[208:209], v[204:205], v[206:207]
	v_add_f64 v[38:39], v[38:39], -v[206:207]
	ds_load_2addr_b64 v[206:209], v254 offset0:84 offset1:85
	s_waitcnt lgkmcnt(0)
	v_mul_f64 v[192:193], v[208:209], v[194:195]
	s_delay_alu instid0(VALU_DEP_1) | instskip(SKIP_1) | instid1(VALU_DEP_2)
	v_fma_f64 v[192:193], v[206:207], v[204:205], -v[192:193]
	v_mul_f64 v[206:207], v[206:207], v[194:195]
	v_add_f64 v[32:33], v[32:33], -v[192:193]
	s_delay_alu instid0(VALU_DEP_2) | instskip(NEXT) | instid1(VALU_DEP_1)
	v_fma_f64 v[206:207], v[208:209], v[204:205], v[206:207]
	v_add_f64 v[34:35], v[34:35], -v[206:207]
	ds_load_2addr_b64 v[206:209], v254 offset0:86 offset1:87
	s_waitcnt lgkmcnt(0)
	v_mul_f64 v[192:193], v[208:209], v[194:195]
	s_delay_alu instid0(VALU_DEP_1) | instskip(SKIP_1) | instid1(VALU_DEP_2)
	v_fma_f64 v[192:193], v[206:207], v[204:205], -v[192:193]
	v_mul_f64 v[206:207], v[206:207], v[194:195]
	v_add_f64 v[28:29], v[28:29], -v[192:193]
	s_delay_alu instid0(VALU_DEP_2) | instskip(NEXT) | instid1(VALU_DEP_1)
	v_fma_f64 v[206:207], v[208:209], v[204:205], v[206:207]
	v_add_f64 v[30:31], v[30:31], -v[206:207]
	ds_load_2addr_b64 v[206:209], v254 offset0:88 offset1:89
	s_waitcnt lgkmcnt(0)
	v_mul_f64 v[192:193], v[208:209], v[194:195]
	s_delay_alu instid0(VALU_DEP_1) | instskip(SKIP_1) | instid1(VALU_DEP_2)
	v_fma_f64 v[192:193], v[206:207], v[204:205], -v[192:193]
	v_mul_f64 v[206:207], v[206:207], v[194:195]
	v_add_f64 v[24:25], v[24:25], -v[192:193]
	s_delay_alu instid0(VALU_DEP_2) | instskip(NEXT) | instid1(VALU_DEP_1)
	v_fma_f64 v[206:207], v[208:209], v[204:205], v[206:207]
	v_add_f64 v[26:27], v[26:27], -v[206:207]
	ds_load_2addr_b64 v[206:209], v254 offset0:90 offset1:91
	s_waitcnt lgkmcnt(0)
	v_mul_f64 v[192:193], v[208:209], v[194:195]
	s_delay_alu instid0(VALU_DEP_1) | instskip(SKIP_1) | instid1(VALU_DEP_2)
	v_fma_f64 v[192:193], v[206:207], v[204:205], -v[192:193]
	v_mul_f64 v[206:207], v[206:207], v[194:195]
	v_add_f64 v[20:21], v[20:21], -v[192:193]
	s_delay_alu instid0(VALU_DEP_2) | instskip(NEXT) | instid1(VALU_DEP_1)
	v_fma_f64 v[206:207], v[208:209], v[204:205], v[206:207]
	v_add_f64 v[22:23], v[22:23], -v[206:207]
	ds_load_2addr_b64 v[206:209], v254 offset0:92 offset1:93
	s_waitcnt lgkmcnt(0)
	v_mul_f64 v[192:193], v[208:209], v[194:195]
	s_delay_alu instid0(VALU_DEP_1) | instskip(SKIP_1) | instid1(VALU_DEP_2)
	v_fma_f64 v[192:193], v[206:207], v[204:205], -v[192:193]
	v_mul_f64 v[206:207], v[206:207], v[194:195]
	v_add_f64 v[16:17], v[16:17], -v[192:193]
	s_delay_alu instid0(VALU_DEP_2) | instskip(NEXT) | instid1(VALU_DEP_1)
	v_fma_f64 v[206:207], v[208:209], v[204:205], v[206:207]
	v_add_f64 v[18:19], v[18:19], -v[206:207]
	ds_load_2addr_b64 v[206:209], v254 offset0:94 offset1:95
	s_waitcnt lgkmcnt(0)
	v_mul_f64 v[192:193], v[208:209], v[194:195]
	s_delay_alu instid0(VALU_DEP_1) | instskip(SKIP_1) | instid1(VALU_DEP_2)
	v_fma_f64 v[192:193], v[206:207], v[204:205], -v[192:193]
	v_mul_f64 v[206:207], v[206:207], v[194:195]
	v_add_f64 v[12:13], v[12:13], -v[192:193]
	s_delay_alu instid0(VALU_DEP_2) | instskip(NEXT) | instid1(VALU_DEP_1)
	v_fma_f64 v[206:207], v[208:209], v[204:205], v[206:207]
	v_add_f64 v[14:15], v[14:15], -v[206:207]
	ds_load_2addr_b64 v[206:209], v254 offset0:96 offset1:97
	s_waitcnt lgkmcnt(0)
	v_mul_f64 v[192:193], v[208:209], v[194:195]
	s_delay_alu instid0(VALU_DEP_1) | instskip(SKIP_1) | instid1(VALU_DEP_2)
	v_fma_f64 v[192:193], v[206:207], v[204:205], -v[192:193]
	v_mul_f64 v[206:207], v[206:207], v[194:195]
	v_add_f64 v[8:9], v[8:9], -v[192:193]
	s_delay_alu instid0(VALU_DEP_2) | instskip(NEXT) | instid1(VALU_DEP_1)
	v_fma_f64 v[206:207], v[208:209], v[204:205], v[206:207]
	v_add_f64 v[10:11], v[10:11], -v[206:207]
	ds_load_2addr_b64 v[206:209], v254 offset0:98 offset1:99
	s_waitcnt lgkmcnt(0)
	v_mul_f64 v[192:193], v[208:209], v[194:195]
	s_delay_alu instid0(VALU_DEP_1) | instskip(SKIP_1) | instid1(VALU_DEP_2)
	v_fma_f64 v[192:193], v[206:207], v[204:205], -v[192:193]
	v_mul_f64 v[206:207], v[206:207], v[194:195]
	v_add_f64 v[4:5], v[4:5], -v[192:193]
	s_delay_alu instid0(VALU_DEP_2) | instskip(NEXT) | instid1(VALU_DEP_1)
	v_fma_f64 v[206:207], v[208:209], v[204:205], v[206:207]
	v_add_f64 v[6:7], v[6:7], -v[206:207]
	ds_load_2addr_b64 v[206:209], v254 offset0:100 offset1:101
	s_waitcnt lgkmcnt(0)
	v_mul_f64 v[192:193], v[208:209], v[194:195]
	s_delay_alu instid0(VALU_DEP_1) | instskip(SKIP_1) | instid1(VALU_DEP_2)
	v_fma_f64 v[192:193], v[206:207], v[204:205], -v[192:193]
	v_mul_f64 v[206:207], v[206:207], v[194:195]
	v_add_f64 v[0:1], v[0:1], -v[192:193]
	s_delay_alu instid0(VALU_DEP_2) | instskip(SKIP_1) | instid1(VALU_DEP_2)
	v_fma_f64 v[206:207], v[208:209], v[204:205], v[206:207]
	v_dual_mov_b32 v192, v204 :: v_dual_mov_b32 v193, v205
	v_add_f64 v[2:3], v[2:3], -v[206:207]
.LBB101_28:
	s_or_b32 exec_lo, exec_lo, s3
	scratch_load_b32 v204, off, off         ; 4-byte Folded Reload
	s_mov_b32 s4, exec_lo
	s_waitcnt vmcnt(0)
	s_waitcnt_vscnt null, 0x0
	s_barrier
	buffer_gl0_inv
	v_cmpx_eq_u32_e32 3, v204
	s_cbranch_execz .LBB101_35
; %bb.29:
	ds_store_2addr_b64 v255, v[188:189], v[190:191] offset1:1
	ds_store_2addr_b64 v254, v[184:185], v[186:187] offset0:8 offset1:9
	ds_store_2addr_b64 v254, v[180:181], v[182:183] offset0:10 offset1:11
	;; [unrolled: 1-line block ×47, first 2 shown]
	ds_load_2addr_b64 v[204:207], v255 offset1:1
	s_waitcnt lgkmcnt(0)
	v_cmp_neq_f64_e32 vcc_lo, 0, v[204:205]
	v_cmp_neq_f64_e64 s3, 0, v[206:207]
	s_delay_alu instid0(VALU_DEP_1) | instskip(NEXT) | instid1(SALU_CYCLE_1)
	s_or_b32 s3, vcc_lo, s3
	s_and_b32 exec_lo, exec_lo, s3
	s_cbranch_execz .LBB101_35
; %bb.30:
	v_cmp_gt_f64_e32 vcc_lo, 0, v[204:205]
	v_xor_b32_e32 v208, 0x80000000, v205
	v_xor_b32_e32 v210, 0x80000000, v207
	s_mov_b32 s3, exec_lo
                                        ; implicit-def: $vgpr212_vgpr213
	s_delay_alu instid0(VALU_DEP_2) | instskip(SKIP_4) | instid1(VALU_DEP_1)
	v_cndmask_b32_e32 v209, v205, v208, vcc_lo
	v_cndmask_b32_e32 v208, v204, v204, vcc_lo
	v_cmp_gt_f64_e32 vcc_lo, 0, v[206:207]
	v_cndmask_b32_e32 v211, v207, v210, vcc_lo
	v_cndmask_b32_e32 v210, v206, v206, vcc_lo
	v_cmpx_ngt_f64_e32 v[208:209], v[210:211]
	s_xor_b32 s3, exec_lo, s3
                                        ; implicit-def: $vgpr208_vgpr209_vgpr210_vgpr211
	s_cbranch_execz .LBB101_32
; %bb.31:
	v_div_scale_f64 v[208:209], null, v[206:207], v[206:207], v[204:205]
	v_div_scale_f64 v[214:215], vcc_lo, v[204:205], v[206:207], v[204:205]
	s_delay_alu instid0(VALU_DEP_2) | instskip(SKIP_2) | instid1(VALU_DEP_1)
	v_rcp_f64_e32 v[210:211], v[208:209]
	s_waitcnt_depctr 0xfff
	v_fma_f64 v[212:213], -v[208:209], v[210:211], 1.0
	v_fma_f64 v[210:211], v[210:211], v[212:213], v[210:211]
	s_delay_alu instid0(VALU_DEP_1) | instskip(NEXT) | instid1(VALU_DEP_1)
	v_fma_f64 v[212:213], -v[208:209], v[210:211], 1.0
	v_fma_f64 v[210:211], v[210:211], v[212:213], v[210:211]
	s_delay_alu instid0(VALU_DEP_1) | instskip(NEXT) | instid1(VALU_DEP_1)
	v_mul_f64 v[212:213], v[214:215], v[210:211]
	v_fma_f64 v[208:209], -v[208:209], v[212:213], v[214:215]
	s_delay_alu instid0(VALU_DEP_1) | instskip(NEXT) | instid1(VALU_DEP_1)
	v_div_fmas_f64 v[208:209], v[208:209], v[210:211], v[212:213]
	v_div_fixup_f64 v[208:209], v[208:209], v[206:207], v[204:205]
	s_delay_alu instid0(VALU_DEP_1) | instskip(NEXT) | instid1(VALU_DEP_1)
	v_fma_f64 v[204:205], v[204:205], v[208:209], v[206:207]
	v_div_scale_f64 v[206:207], null, v[204:205], v[204:205], 1.0
	s_delay_alu instid0(VALU_DEP_1) | instskip(SKIP_2) | instid1(VALU_DEP_1)
	v_rcp_f64_e32 v[210:211], v[206:207]
	s_waitcnt_depctr 0xfff
	v_fma_f64 v[212:213], -v[206:207], v[210:211], 1.0
	v_fma_f64 v[210:211], v[210:211], v[212:213], v[210:211]
	s_delay_alu instid0(VALU_DEP_1) | instskip(NEXT) | instid1(VALU_DEP_1)
	v_fma_f64 v[212:213], -v[206:207], v[210:211], 1.0
	v_fma_f64 v[210:211], v[210:211], v[212:213], v[210:211]
	v_div_scale_f64 v[212:213], vcc_lo, 1.0, v[204:205], 1.0
	s_delay_alu instid0(VALU_DEP_1) | instskip(NEXT) | instid1(VALU_DEP_1)
	v_mul_f64 v[214:215], v[212:213], v[210:211]
	v_fma_f64 v[206:207], -v[206:207], v[214:215], v[212:213]
	s_delay_alu instid0(VALU_DEP_1) | instskip(NEXT) | instid1(VALU_DEP_1)
	v_div_fmas_f64 v[206:207], v[206:207], v[210:211], v[214:215]
	v_div_fixup_f64 v[210:211], v[206:207], v[204:205], 1.0
                                        ; implicit-def: $vgpr204_vgpr205
	s_delay_alu instid0(VALU_DEP_1)
	v_mul_f64 v[212:213], v[208:209], v[210:211]
	v_xor_b32_e32 v211, 0x80000000, v211
.LBB101_32:
	s_and_not1_saveexec_b32 s3, s3
	s_cbranch_execz .LBB101_34
; %bb.33:
	v_div_scale_f64 v[208:209], null, v[204:205], v[204:205], v[206:207]
	v_div_scale_f64 v[214:215], vcc_lo, v[206:207], v[204:205], v[206:207]
	s_delay_alu instid0(VALU_DEP_2) | instskip(SKIP_2) | instid1(VALU_DEP_1)
	v_rcp_f64_e32 v[210:211], v[208:209]
	s_waitcnt_depctr 0xfff
	v_fma_f64 v[212:213], -v[208:209], v[210:211], 1.0
	v_fma_f64 v[210:211], v[210:211], v[212:213], v[210:211]
	s_delay_alu instid0(VALU_DEP_1) | instskip(NEXT) | instid1(VALU_DEP_1)
	v_fma_f64 v[212:213], -v[208:209], v[210:211], 1.0
	v_fma_f64 v[210:211], v[210:211], v[212:213], v[210:211]
	s_delay_alu instid0(VALU_DEP_1) | instskip(NEXT) | instid1(VALU_DEP_1)
	v_mul_f64 v[212:213], v[214:215], v[210:211]
	v_fma_f64 v[208:209], -v[208:209], v[212:213], v[214:215]
	s_delay_alu instid0(VALU_DEP_1) | instskip(NEXT) | instid1(VALU_DEP_1)
	v_div_fmas_f64 v[208:209], v[208:209], v[210:211], v[212:213]
	v_div_fixup_f64 v[208:209], v[208:209], v[204:205], v[206:207]
	s_delay_alu instid0(VALU_DEP_1) | instskip(NEXT) | instid1(VALU_DEP_1)
	v_fma_f64 v[204:205], v[206:207], v[208:209], v[204:205]
	v_div_scale_f64 v[206:207], null, v[204:205], v[204:205], 1.0
	s_delay_alu instid0(VALU_DEP_1) | instskip(SKIP_2) | instid1(VALU_DEP_1)
	v_rcp_f64_e32 v[210:211], v[206:207]
	s_waitcnt_depctr 0xfff
	v_fma_f64 v[212:213], -v[206:207], v[210:211], 1.0
	v_fma_f64 v[210:211], v[210:211], v[212:213], v[210:211]
	s_delay_alu instid0(VALU_DEP_1) | instskip(NEXT) | instid1(VALU_DEP_1)
	v_fma_f64 v[212:213], -v[206:207], v[210:211], 1.0
	v_fma_f64 v[210:211], v[210:211], v[212:213], v[210:211]
	v_div_scale_f64 v[212:213], vcc_lo, 1.0, v[204:205], 1.0
	s_delay_alu instid0(VALU_DEP_1) | instskip(NEXT) | instid1(VALU_DEP_1)
	v_mul_f64 v[214:215], v[212:213], v[210:211]
	v_fma_f64 v[206:207], -v[206:207], v[214:215], v[212:213]
	s_delay_alu instid0(VALU_DEP_1) | instskip(NEXT) | instid1(VALU_DEP_1)
	v_div_fmas_f64 v[206:207], v[206:207], v[210:211], v[214:215]
	v_div_fixup_f64 v[212:213], v[206:207], v[204:205], 1.0
	s_delay_alu instid0(VALU_DEP_1)
	v_mul_f64 v[210:211], v[208:209], -v[212:213]
.LBB101_34:
	s_or_b32 exec_lo, exec_lo, s3
	ds_store_2addr_b64 v255, v[212:213], v[210:211] offset1:1
.LBB101_35:
	s_or_b32 exec_lo, exec_lo, s4
	s_waitcnt lgkmcnt(0)
	s_barrier
	buffer_gl0_inv
	ds_load_2addr_b64 v[204:207], v255 offset1:1
	s_mov_b32 s3, exec_lo
	s_waitcnt lgkmcnt(0)
	scratch_store_b128 off, v[204:207], off offset:472 ; 16-byte Folded Spill
	scratch_load_b32 v204, off, off         ; 4-byte Folded Reload
	s_waitcnt vmcnt(0)
	v_cmpx_lt_u32_e32 3, v204
	s_cbranch_execz .LBB101_37
; %bb.36:
	scratch_load_b128 v[206:209], off, off offset:472 ; 16-byte Folded Reload
	s_waitcnt vmcnt(0)
	v_mul_f64 v[204:205], v[208:209], v[190:191]
	v_mul_f64 v[190:191], v[206:207], v[190:191]
	s_delay_alu instid0(VALU_DEP_2) | instskip(NEXT) | instid1(VALU_DEP_2)
	v_fma_f64 v[204:205], v[206:207], v[188:189], -v[204:205]
	v_fma_f64 v[190:191], v[208:209], v[188:189], v[190:191]
	ds_load_2addr_b64 v[206:209], v254 offset0:8 offset1:9
	s_waitcnt lgkmcnt(0)
	v_mul_f64 v[188:189], v[208:209], v[190:191]
	s_delay_alu instid0(VALU_DEP_1) | instskip(SKIP_1) | instid1(VALU_DEP_2)
	v_fma_f64 v[188:189], v[206:207], v[204:205], -v[188:189]
	v_mul_f64 v[206:207], v[206:207], v[190:191]
	v_add_f64 v[184:185], v[184:185], -v[188:189]
	s_delay_alu instid0(VALU_DEP_2) | instskip(NEXT) | instid1(VALU_DEP_1)
	v_fma_f64 v[206:207], v[208:209], v[204:205], v[206:207]
	v_add_f64 v[186:187], v[186:187], -v[206:207]
	ds_load_2addr_b64 v[206:209], v254 offset0:10 offset1:11
	s_waitcnt lgkmcnt(0)
	v_mul_f64 v[188:189], v[208:209], v[190:191]
	s_delay_alu instid0(VALU_DEP_1) | instskip(SKIP_1) | instid1(VALU_DEP_2)
	v_fma_f64 v[188:189], v[206:207], v[204:205], -v[188:189]
	v_mul_f64 v[206:207], v[206:207], v[190:191]
	v_add_f64 v[180:181], v[180:181], -v[188:189]
	s_delay_alu instid0(VALU_DEP_2) | instskip(NEXT) | instid1(VALU_DEP_1)
	v_fma_f64 v[206:207], v[208:209], v[204:205], v[206:207]
	v_add_f64 v[182:183], v[182:183], -v[206:207]
	;; [unrolled: 10-line block ×46, first 2 shown]
	ds_load_2addr_b64 v[206:209], v254 offset0:100 offset1:101
	s_waitcnt lgkmcnt(0)
	v_mul_f64 v[188:189], v[208:209], v[190:191]
	s_delay_alu instid0(VALU_DEP_1) | instskip(SKIP_1) | instid1(VALU_DEP_2)
	v_fma_f64 v[188:189], v[206:207], v[204:205], -v[188:189]
	v_mul_f64 v[206:207], v[206:207], v[190:191]
	v_add_f64 v[0:1], v[0:1], -v[188:189]
	s_delay_alu instid0(VALU_DEP_2) | instskip(SKIP_1) | instid1(VALU_DEP_2)
	v_fma_f64 v[206:207], v[208:209], v[204:205], v[206:207]
	v_dual_mov_b32 v188, v204 :: v_dual_mov_b32 v189, v205
	v_add_f64 v[2:3], v[2:3], -v[206:207]
.LBB101_37:
	s_or_b32 exec_lo, exec_lo, s3
	scratch_load_b32 v204, off, off         ; 4-byte Folded Reload
	s_mov_b32 s4, exec_lo
	s_waitcnt vmcnt(0)
	s_waitcnt_vscnt null, 0x0
	s_barrier
	buffer_gl0_inv
	v_cmpx_eq_u32_e32 4, v204
	s_cbranch_execz .LBB101_44
; %bb.38:
	ds_store_2addr_b64 v255, v[184:185], v[186:187] offset1:1
	ds_store_2addr_b64 v254, v[180:181], v[182:183] offset0:10 offset1:11
	ds_store_2addr_b64 v254, v[176:177], v[178:179] offset0:12 offset1:13
	;; [unrolled: 1-line block ×46, first 2 shown]
	ds_load_2addr_b64 v[204:207], v255 offset1:1
	s_waitcnt lgkmcnt(0)
	v_cmp_neq_f64_e32 vcc_lo, 0, v[204:205]
	v_cmp_neq_f64_e64 s3, 0, v[206:207]
	s_delay_alu instid0(VALU_DEP_1) | instskip(NEXT) | instid1(SALU_CYCLE_1)
	s_or_b32 s3, vcc_lo, s3
	s_and_b32 exec_lo, exec_lo, s3
	s_cbranch_execz .LBB101_44
; %bb.39:
	v_cmp_gt_f64_e32 vcc_lo, 0, v[204:205]
	v_xor_b32_e32 v208, 0x80000000, v205
	v_xor_b32_e32 v210, 0x80000000, v207
	s_mov_b32 s3, exec_lo
                                        ; implicit-def: $vgpr212_vgpr213
	s_delay_alu instid0(VALU_DEP_2) | instskip(SKIP_4) | instid1(VALU_DEP_1)
	v_cndmask_b32_e32 v209, v205, v208, vcc_lo
	v_cndmask_b32_e32 v208, v204, v204, vcc_lo
	v_cmp_gt_f64_e32 vcc_lo, 0, v[206:207]
	v_cndmask_b32_e32 v211, v207, v210, vcc_lo
	v_cndmask_b32_e32 v210, v206, v206, vcc_lo
	v_cmpx_ngt_f64_e32 v[208:209], v[210:211]
	s_xor_b32 s3, exec_lo, s3
                                        ; implicit-def: $vgpr208_vgpr209_vgpr210_vgpr211
	s_cbranch_execz .LBB101_41
; %bb.40:
	v_div_scale_f64 v[208:209], null, v[206:207], v[206:207], v[204:205]
	v_div_scale_f64 v[214:215], vcc_lo, v[204:205], v[206:207], v[204:205]
	s_delay_alu instid0(VALU_DEP_2) | instskip(SKIP_2) | instid1(VALU_DEP_1)
	v_rcp_f64_e32 v[210:211], v[208:209]
	s_waitcnt_depctr 0xfff
	v_fma_f64 v[212:213], -v[208:209], v[210:211], 1.0
	v_fma_f64 v[210:211], v[210:211], v[212:213], v[210:211]
	s_delay_alu instid0(VALU_DEP_1) | instskip(NEXT) | instid1(VALU_DEP_1)
	v_fma_f64 v[212:213], -v[208:209], v[210:211], 1.0
	v_fma_f64 v[210:211], v[210:211], v[212:213], v[210:211]
	s_delay_alu instid0(VALU_DEP_1) | instskip(NEXT) | instid1(VALU_DEP_1)
	v_mul_f64 v[212:213], v[214:215], v[210:211]
	v_fma_f64 v[208:209], -v[208:209], v[212:213], v[214:215]
	s_delay_alu instid0(VALU_DEP_1) | instskip(NEXT) | instid1(VALU_DEP_1)
	v_div_fmas_f64 v[208:209], v[208:209], v[210:211], v[212:213]
	v_div_fixup_f64 v[208:209], v[208:209], v[206:207], v[204:205]
	s_delay_alu instid0(VALU_DEP_1) | instskip(NEXT) | instid1(VALU_DEP_1)
	v_fma_f64 v[204:205], v[204:205], v[208:209], v[206:207]
	v_div_scale_f64 v[206:207], null, v[204:205], v[204:205], 1.0
	s_delay_alu instid0(VALU_DEP_1) | instskip(SKIP_2) | instid1(VALU_DEP_1)
	v_rcp_f64_e32 v[210:211], v[206:207]
	s_waitcnt_depctr 0xfff
	v_fma_f64 v[212:213], -v[206:207], v[210:211], 1.0
	v_fma_f64 v[210:211], v[210:211], v[212:213], v[210:211]
	s_delay_alu instid0(VALU_DEP_1) | instskip(NEXT) | instid1(VALU_DEP_1)
	v_fma_f64 v[212:213], -v[206:207], v[210:211], 1.0
	v_fma_f64 v[210:211], v[210:211], v[212:213], v[210:211]
	v_div_scale_f64 v[212:213], vcc_lo, 1.0, v[204:205], 1.0
	s_delay_alu instid0(VALU_DEP_1) | instskip(NEXT) | instid1(VALU_DEP_1)
	v_mul_f64 v[214:215], v[212:213], v[210:211]
	v_fma_f64 v[206:207], -v[206:207], v[214:215], v[212:213]
	s_delay_alu instid0(VALU_DEP_1) | instskip(NEXT) | instid1(VALU_DEP_1)
	v_div_fmas_f64 v[206:207], v[206:207], v[210:211], v[214:215]
	v_div_fixup_f64 v[210:211], v[206:207], v[204:205], 1.0
                                        ; implicit-def: $vgpr204_vgpr205
	s_delay_alu instid0(VALU_DEP_1)
	v_mul_f64 v[212:213], v[208:209], v[210:211]
	v_xor_b32_e32 v211, 0x80000000, v211
.LBB101_41:
	s_and_not1_saveexec_b32 s3, s3
	s_cbranch_execz .LBB101_43
; %bb.42:
	v_div_scale_f64 v[208:209], null, v[204:205], v[204:205], v[206:207]
	v_div_scale_f64 v[214:215], vcc_lo, v[206:207], v[204:205], v[206:207]
	s_delay_alu instid0(VALU_DEP_2) | instskip(SKIP_2) | instid1(VALU_DEP_1)
	v_rcp_f64_e32 v[210:211], v[208:209]
	s_waitcnt_depctr 0xfff
	v_fma_f64 v[212:213], -v[208:209], v[210:211], 1.0
	v_fma_f64 v[210:211], v[210:211], v[212:213], v[210:211]
	s_delay_alu instid0(VALU_DEP_1) | instskip(NEXT) | instid1(VALU_DEP_1)
	v_fma_f64 v[212:213], -v[208:209], v[210:211], 1.0
	v_fma_f64 v[210:211], v[210:211], v[212:213], v[210:211]
	s_delay_alu instid0(VALU_DEP_1) | instskip(NEXT) | instid1(VALU_DEP_1)
	v_mul_f64 v[212:213], v[214:215], v[210:211]
	v_fma_f64 v[208:209], -v[208:209], v[212:213], v[214:215]
	s_delay_alu instid0(VALU_DEP_1) | instskip(NEXT) | instid1(VALU_DEP_1)
	v_div_fmas_f64 v[208:209], v[208:209], v[210:211], v[212:213]
	v_div_fixup_f64 v[208:209], v[208:209], v[204:205], v[206:207]
	s_delay_alu instid0(VALU_DEP_1) | instskip(NEXT) | instid1(VALU_DEP_1)
	v_fma_f64 v[204:205], v[206:207], v[208:209], v[204:205]
	v_div_scale_f64 v[206:207], null, v[204:205], v[204:205], 1.0
	s_delay_alu instid0(VALU_DEP_1) | instskip(SKIP_2) | instid1(VALU_DEP_1)
	v_rcp_f64_e32 v[210:211], v[206:207]
	s_waitcnt_depctr 0xfff
	v_fma_f64 v[212:213], -v[206:207], v[210:211], 1.0
	v_fma_f64 v[210:211], v[210:211], v[212:213], v[210:211]
	s_delay_alu instid0(VALU_DEP_1) | instskip(NEXT) | instid1(VALU_DEP_1)
	v_fma_f64 v[212:213], -v[206:207], v[210:211], 1.0
	v_fma_f64 v[210:211], v[210:211], v[212:213], v[210:211]
	v_div_scale_f64 v[212:213], vcc_lo, 1.0, v[204:205], 1.0
	s_delay_alu instid0(VALU_DEP_1) | instskip(NEXT) | instid1(VALU_DEP_1)
	v_mul_f64 v[214:215], v[212:213], v[210:211]
	v_fma_f64 v[206:207], -v[206:207], v[214:215], v[212:213]
	s_delay_alu instid0(VALU_DEP_1) | instskip(NEXT) | instid1(VALU_DEP_1)
	v_div_fmas_f64 v[206:207], v[206:207], v[210:211], v[214:215]
	v_div_fixup_f64 v[212:213], v[206:207], v[204:205], 1.0
	s_delay_alu instid0(VALU_DEP_1)
	v_mul_f64 v[210:211], v[208:209], -v[212:213]
.LBB101_43:
	s_or_b32 exec_lo, exec_lo, s3
	ds_store_2addr_b64 v255, v[212:213], v[210:211] offset1:1
.LBB101_44:
	s_or_b32 exec_lo, exec_lo, s4
	s_waitcnt lgkmcnt(0)
	s_barrier
	buffer_gl0_inv
	ds_load_2addr_b64 v[204:207], v255 offset1:1
	s_mov_b32 s3, exec_lo
	s_waitcnt lgkmcnt(0)
	scratch_store_b128 off, v[204:207], off offset:488 ; 16-byte Folded Spill
	scratch_load_b32 v204, off, off         ; 4-byte Folded Reload
	s_waitcnt vmcnt(0)
	v_cmpx_lt_u32_e32 4, v204
	s_cbranch_execz .LBB101_46
; %bb.45:
	scratch_load_b128 v[206:209], off, off offset:488 ; 16-byte Folded Reload
	s_waitcnt vmcnt(0)
	v_mul_f64 v[204:205], v[208:209], v[186:187]
	v_mul_f64 v[186:187], v[206:207], v[186:187]
	s_delay_alu instid0(VALU_DEP_2) | instskip(NEXT) | instid1(VALU_DEP_2)
	v_fma_f64 v[204:205], v[206:207], v[184:185], -v[204:205]
	v_fma_f64 v[186:187], v[208:209], v[184:185], v[186:187]
	ds_load_2addr_b64 v[206:209], v254 offset0:10 offset1:11
	s_waitcnt lgkmcnt(0)
	v_mul_f64 v[184:185], v[208:209], v[186:187]
	s_delay_alu instid0(VALU_DEP_1) | instskip(SKIP_1) | instid1(VALU_DEP_2)
	v_fma_f64 v[184:185], v[206:207], v[204:205], -v[184:185]
	v_mul_f64 v[206:207], v[206:207], v[186:187]
	v_add_f64 v[180:181], v[180:181], -v[184:185]
	s_delay_alu instid0(VALU_DEP_2) | instskip(NEXT) | instid1(VALU_DEP_1)
	v_fma_f64 v[206:207], v[208:209], v[204:205], v[206:207]
	v_add_f64 v[182:183], v[182:183], -v[206:207]
	ds_load_2addr_b64 v[206:209], v254 offset0:12 offset1:13
	s_waitcnt lgkmcnt(0)
	v_mul_f64 v[184:185], v[208:209], v[186:187]
	s_delay_alu instid0(VALU_DEP_1) | instskip(SKIP_1) | instid1(VALU_DEP_2)
	v_fma_f64 v[184:185], v[206:207], v[204:205], -v[184:185]
	v_mul_f64 v[206:207], v[206:207], v[186:187]
	v_add_f64 v[176:177], v[176:177], -v[184:185]
	s_delay_alu instid0(VALU_DEP_2) | instskip(NEXT) | instid1(VALU_DEP_1)
	v_fma_f64 v[206:207], v[208:209], v[204:205], v[206:207]
	v_add_f64 v[178:179], v[178:179], -v[206:207]
	;; [unrolled: 10-line block ×45, first 2 shown]
	ds_load_2addr_b64 v[206:209], v254 offset0:100 offset1:101
	s_waitcnt lgkmcnt(0)
	v_mul_f64 v[184:185], v[208:209], v[186:187]
	s_delay_alu instid0(VALU_DEP_1) | instskip(SKIP_1) | instid1(VALU_DEP_2)
	v_fma_f64 v[184:185], v[206:207], v[204:205], -v[184:185]
	v_mul_f64 v[206:207], v[206:207], v[186:187]
	v_add_f64 v[0:1], v[0:1], -v[184:185]
	s_delay_alu instid0(VALU_DEP_2) | instskip(SKIP_1) | instid1(VALU_DEP_2)
	v_fma_f64 v[206:207], v[208:209], v[204:205], v[206:207]
	v_dual_mov_b32 v184, v204 :: v_dual_mov_b32 v185, v205
	v_add_f64 v[2:3], v[2:3], -v[206:207]
.LBB101_46:
	s_or_b32 exec_lo, exec_lo, s3
	scratch_load_b32 v204, off, off         ; 4-byte Folded Reload
	s_mov_b32 s4, exec_lo
	s_waitcnt vmcnt(0)
	s_waitcnt_vscnt null, 0x0
	s_barrier
	buffer_gl0_inv
	v_cmpx_eq_u32_e32 5, v204
	s_cbranch_execz .LBB101_53
; %bb.47:
	ds_store_2addr_b64 v255, v[180:181], v[182:183] offset1:1
	ds_store_2addr_b64 v254, v[176:177], v[178:179] offset0:12 offset1:13
	ds_store_2addr_b64 v254, v[172:173], v[174:175] offset0:14 offset1:15
	;; [unrolled: 1-line block ×45, first 2 shown]
	ds_load_2addr_b64 v[204:207], v255 offset1:1
	s_waitcnt lgkmcnt(0)
	v_cmp_neq_f64_e32 vcc_lo, 0, v[204:205]
	v_cmp_neq_f64_e64 s3, 0, v[206:207]
	s_delay_alu instid0(VALU_DEP_1) | instskip(NEXT) | instid1(SALU_CYCLE_1)
	s_or_b32 s3, vcc_lo, s3
	s_and_b32 exec_lo, exec_lo, s3
	s_cbranch_execz .LBB101_53
; %bb.48:
	v_cmp_gt_f64_e32 vcc_lo, 0, v[204:205]
	v_xor_b32_e32 v208, 0x80000000, v205
	v_xor_b32_e32 v210, 0x80000000, v207
	s_mov_b32 s3, exec_lo
                                        ; implicit-def: $vgpr212_vgpr213
	s_delay_alu instid0(VALU_DEP_2) | instskip(SKIP_4) | instid1(VALU_DEP_1)
	v_cndmask_b32_e32 v209, v205, v208, vcc_lo
	v_cndmask_b32_e32 v208, v204, v204, vcc_lo
	v_cmp_gt_f64_e32 vcc_lo, 0, v[206:207]
	v_cndmask_b32_e32 v211, v207, v210, vcc_lo
	v_cndmask_b32_e32 v210, v206, v206, vcc_lo
	v_cmpx_ngt_f64_e32 v[208:209], v[210:211]
	s_xor_b32 s3, exec_lo, s3
                                        ; implicit-def: $vgpr208_vgpr209_vgpr210_vgpr211
	s_cbranch_execz .LBB101_50
; %bb.49:
	v_div_scale_f64 v[208:209], null, v[206:207], v[206:207], v[204:205]
	v_div_scale_f64 v[214:215], vcc_lo, v[204:205], v[206:207], v[204:205]
	s_delay_alu instid0(VALU_DEP_2) | instskip(SKIP_2) | instid1(VALU_DEP_1)
	v_rcp_f64_e32 v[210:211], v[208:209]
	s_waitcnt_depctr 0xfff
	v_fma_f64 v[212:213], -v[208:209], v[210:211], 1.0
	v_fma_f64 v[210:211], v[210:211], v[212:213], v[210:211]
	s_delay_alu instid0(VALU_DEP_1) | instskip(NEXT) | instid1(VALU_DEP_1)
	v_fma_f64 v[212:213], -v[208:209], v[210:211], 1.0
	v_fma_f64 v[210:211], v[210:211], v[212:213], v[210:211]
	s_delay_alu instid0(VALU_DEP_1) | instskip(NEXT) | instid1(VALU_DEP_1)
	v_mul_f64 v[212:213], v[214:215], v[210:211]
	v_fma_f64 v[208:209], -v[208:209], v[212:213], v[214:215]
	s_delay_alu instid0(VALU_DEP_1) | instskip(NEXT) | instid1(VALU_DEP_1)
	v_div_fmas_f64 v[208:209], v[208:209], v[210:211], v[212:213]
	v_div_fixup_f64 v[208:209], v[208:209], v[206:207], v[204:205]
	s_delay_alu instid0(VALU_DEP_1) | instskip(NEXT) | instid1(VALU_DEP_1)
	v_fma_f64 v[204:205], v[204:205], v[208:209], v[206:207]
	v_div_scale_f64 v[206:207], null, v[204:205], v[204:205], 1.0
	s_delay_alu instid0(VALU_DEP_1) | instskip(SKIP_2) | instid1(VALU_DEP_1)
	v_rcp_f64_e32 v[210:211], v[206:207]
	s_waitcnt_depctr 0xfff
	v_fma_f64 v[212:213], -v[206:207], v[210:211], 1.0
	v_fma_f64 v[210:211], v[210:211], v[212:213], v[210:211]
	s_delay_alu instid0(VALU_DEP_1) | instskip(NEXT) | instid1(VALU_DEP_1)
	v_fma_f64 v[212:213], -v[206:207], v[210:211], 1.0
	v_fma_f64 v[210:211], v[210:211], v[212:213], v[210:211]
	v_div_scale_f64 v[212:213], vcc_lo, 1.0, v[204:205], 1.0
	s_delay_alu instid0(VALU_DEP_1) | instskip(NEXT) | instid1(VALU_DEP_1)
	v_mul_f64 v[214:215], v[212:213], v[210:211]
	v_fma_f64 v[206:207], -v[206:207], v[214:215], v[212:213]
	s_delay_alu instid0(VALU_DEP_1) | instskip(NEXT) | instid1(VALU_DEP_1)
	v_div_fmas_f64 v[206:207], v[206:207], v[210:211], v[214:215]
	v_div_fixup_f64 v[210:211], v[206:207], v[204:205], 1.0
                                        ; implicit-def: $vgpr204_vgpr205
	s_delay_alu instid0(VALU_DEP_1)
	v_mul_f64 v[212:213], v[208:209], v[210:211]
	v_xor_b32_e32 v211, 0x80000000, v211
.LBB101_50:
	s_and_not1_saveexec_b32 s3, s3
	s_cbranch_execz .LBB101_52
; %bb.51:
	v_div_scale_f64 v[208:209], null, v[204:205], v[204:205], v[206:207]
	v_div_scale_f64 v[214:215], vcc_lo, v[206:207], v[204:205], v[206:207]
	s_delay_alu instid0(VALU_DEP_2) | instskip(SKIP_2) | instid1(VALU_DEP_1)
	v_rcp_f64_e32 v[210:211], v[208:209]
	s_waitcnt_depctr 0xfff
	v_fma_f64 v[212:213], -v[208:209], v[210:211], 1.0
	v_fma_f64 v[210:211], v[210:211], v[212:213], v[210:211]
	s_delay_alu instid0(VALU_DEP_1) | instskip(NEXT) | instid1(VALU_DEP_1)
	v_fma_f64 v[212:213], -v[208:209], v[210:211], 1.0
	v_fma_f64 v[210:211], v[210:211], v[212:213], v[210:211]
	s_delay_alu instid0(VALU_DEP_1) | instskip(NEXT) | instid1(VALU_DEP_1)
	v_mul_f64 v[212:213], v[214:215], v[210:211]
	v_fma_f64 v[208:209], -v[208:209], v[212:213], v[214:215]
	s_delay_alu instid0(VALU_DEP_1) | instskip(NEXT) | instid1(VALU_DEP_1)
	v_div_fmas_f64 v[208:209], v[208:209], v[210:211], v[212:213]
	v_div_fixup_f64 v[208:209], v[208:209], v[204:205], v[206:207]
	s_delay_alu instid0(VALU_DEP_1) | instskip(NEXT) | instid1(VALU_DEP_1)
	v_fma_f64 v[204:205], v[206:207], v[208:209], v[204:205]
	v_div_scale_f64 v[206:207], null, v[204:205], v[204:205], 1.0
	s_delay_alu instid0(VALU_DEP_1) | instskip(SKIP_2) | instid1(VALU_DEP_1)
	v_rcp_f64_e32 v[210:211], v[206:207]
	s_waitcnt_depctr 0xfff
	v_fma_f64 v[212:213], -v[206:207], v[210:211], 1.0
	v_fma_f64 v[210:211], v[210:211], v[212:213], v[210:211]
	s_delay_alu instid0(VALU_DEP_1) | instskip(NEXT) | instid1(VALU_DEP_1)
	v_fma_f64 v[212:213], -v[206:207], v[210:211], 1.0
	v_fma_f64 v[210:211], v[210:211], v[212:213], v[210:211]
	v_div_scale_f64 v[212:213], vcc_lo, 1.0, v[204:205], 1.0
	s_delay_alu instid0(VALU_DEP_1) | instskip(NEXT) | instid1(VALU_DEP_1)
	v_mul_f64 v[214:215], v[212:213], v[210:211]
	v_fma_f64 v[206:207], -v[206:207], v[214:215], v[212:213]
	s_delay_alu instid0(VALU_DEP_1) | instskip(NEXT) | instid1(VALU_DEP_1)
	v_div_fmas_f64 v[206:207], v[206:207], v[210:211], v[214:215]
	v_div_fixup_f64 v[212:213], v[206:207], v[204:205], 1.0
	s_delay_alu instid0(VALU_DEP_1)
	v_mul_f64 v[210:211], v[208:209], -v[212:213]
.LBB101_52:
	s_or_b32 exec_lo, exec_lo, s3
	ds_store_2addr_b64 v255, v[212:213], v[210:211] offset1:1
.LBB101_53:
	s_or_b32 exec_lo, exec_lo, s4
	s_waitcnt lgkmcnt(0)
	s_barrier
	buffer_gl0_inv
	ds_load_2addr_b64 v[204:207], v255 offset1:1
	s_mov_b32 s3, exec_lo
	s_waitcnt lgkmcnt(0)
	scratch_store_b128 off, v[204:207], off offset:504 ; 16-byte Folded Spill
	scratch_load_b32 v204, off, off         ; 4-byte Folded Reload
	s_waitcnt vmcnt(0)
	v_cmpx_lt_u32_e32 5, v204
	s_cbranch_execz .LBB101_55
; %bb.54:
	scratch_load_b128 v[206:209], off, off offset:504 ; 16-byte Folded Reload
	s_waitcnt vmcnt(0)
	v_mul_f64 v[204:205], v[208:209], v[182:183]
	v_mul_f64 v[182:183], v[206:207], v[182:183]
	s_delay_alu instid0(VALU_DEP_2) | instskip(NEXT) | instid1(VALU_DEP_2)
	v_fma_f64 v[204:205], v[206:207], v[180:181], -v[204:205]
	v_fma_f64 v[182:183], v[208:209], v[180:181], v[182:183]
	ds_load_2addr_b64 v[206:209], v254 offset0:12 offset1:13
	s_waitcnt lgkmcnt(0)
	v_mul_f64 v[180:181], v[208:209], v[182:183]
	s_delay_alu instid0(VALU_DEP_1) | instskip(SKIP_1) | instid1(VALU_DEP_2)
	v_fma_f64 v[180:181], v[206:207], v[204:205], -v[180:181]
	v_mul_f64 v[206:207], v[206:207], v[182:183]
	v_add_f64 v[176:177], v[176:177], -v[180:181]
	s_delay_alu instid0(VALU_DEP_2) | instskip(NEXT) | instid1(VALU_DEP_1)
	v_fma_f64 v[206:207], v[208:209], v[204:205], v[206:207]
	v_add_f64 v[178:179], v[178:179], -v[206:207]
	ds_load_2addr_b64 v[206:209], v254 offset0:14 offset1:15
	s_waitcnt lgkmcnt(0)
	v_mul_f64 v[180:181], v[208:209], v[182:183]
	s_delay_alu instid0(VALU_DEP_1) | instskip(SKIP_1) | instid1(VALU_DEP_2)
	v_fma_f64 v[180:181], v[206:207], v[204:205], -v[180:181]
	v_mul_f64 v[206:207], v[206:207], v[182:183]
	v_add_f64 v[172:173], v[172:173], -v[180:181]
	s_delay_alu instid0(VALU_DEP_2) | instskip(NEXT) | instid1(VALU_DEP_1)
	v_fma_f64 v[206:207], v[208:209], v[204:205], v[206:207]
	v_add_f64 v[174:175], v[174:175], -v[206:207]
	ds_load_2addr_b64 v[206:209], v254 offset0:16 offset1:17
	s_waitcnt lgkmcnt(0)
	v_mul_f64 v[180:181], v[208:209], v[182:183]
	s_delay_alu instid0(VALU_DEP_1) | instskip(SKIP_1) | instid1(VALU_DEP_2)
	v_fma_f64 v[180:181], v[206:207], v[204:205], -v[180:181]
	v_mul_f64 v[206:207], v[206:207], v[182:183]
	v_add_f64 v[168:169], v[168:169], -v[180:181]
	s_delay_alu instid0(VALU_DEP_2) | instskip(NEXT) | instid1(VALU_DEP_1)
	v_fma_f64 v[206:207], v[208:209], v[204:205], v[206:207]
	v_add_f64 v[170:171], v[170:171], -v[206:207]
	ds_load_2addr_b64 v[206:209], v254 offset0:18 offset1:19
	s_waitcnt lgkmcnt(0)
	v_mul_f64 v[180:181], v[208:209], v[182:183]
	s_delay_alu instid0(VALU_DEP_1) | instskip(SKIP_1) | instid1(VALU_DEP_2)
	v_fma_f64 v[180:181], v[206:207], v[204:205], -v[180:181]
	v_mul_f64 v[206:207], v[206:207], v[182:183]
	v_add_f64 v[164:165], v[164:165], -v[180:181]
	s_delay_alu instid0(VALU_DEP_2) | instskip(NEXT) | instid1(VALU_DEP_1)
	v_fma_f64 v[206:207], v[208:209], v[204:205], v[206:207]
	v_add_f64 v[166:167], v[166:167], -v[206:207]
	ds_load_2addr_b64 v[206:209], v254 offset0:20 offset1:21
	s_waitcnt lgkmcnt(0)
	v_mul_f64 v[180:181], v[208:209], v[182:183]
	s_delay_alu instid0(VALU_DEP_1) | instskip(SKIP_1) | instid1(VALU_DEP_2)
	v_fma_f64 v[180:181], v[206:207], v[204:205], -v[180:181]
	v_mul_f64 v[206:207], v[206:207], v[182:183]
	v_add_f64 v[160:161], v[160:161], -v[180:181]
	s_delay_alu instid0(VALU_DEP_2) | instskip(NEXT) | instid1(VALU_DEP_1)
	v_fma_f64 v[206:207], v[208:209], v[204:205], v[206:207]
	v_add_f64 v[162:163], v[162:163], -v[206:207]
	ds_load_2addr_b64 v[206:209], v254 offset0:22 offset1:23
	s_waitcnt lgkmcnt(0)
	v_mul_f64 v[180:181], v[208:209], v[182:183]
	s_delay_alu instid0(VALU_DEP_1) | instskip(SKIP_1) | instid1(VALU_DEP_2)
	v_fma_f64 v[180:181], v[206:207], v[204:205], -v[180:181]
	v_mul_f64 v[206:207], v[206:207], v[182:183]
	v_add_f64 v[156:157], v[156:157], -v[180:181]
	s_delay_alu instid0(VALU_DEP_2) | instskip(NEXT) | instid1(VALU_DEP_1)
	v_fma_f64 v[206:207], v[208:209], v[204:205], v[206:207]
	v_add_f64 v[158:159], v[158:159], -v[206:207]
	ds_load_2addr_b64 v[206:209], v254 offset0:24 offset1:25
	s_waitcnt lgkmcnt(0)
	v_mul_f64 v[180:181], v[208:209], v[182:183]
	s_delay_alu instid0(VALU_DEP_1) | instskip(SKIP_1) | instid1(VALU_DEP_2)
	v_fma_f64 v[180:181], v[206:207], v[204:205], -v[180:181]
	v_mul_f64 v[206:207], v[206:207], v[182:183]
	v_add_f64 v[152:153], v[152:153], -v[180:181]
	s_delay_alu instid0(VALU_DEP_2) | instskip(NEXT) | instid1(VALU_DEP_1)
	v_fma_f64 v[206:207], v[208:209], v[204:205], v[206:207]
	v_add_f64 v[154:155], v[154:155], -v[206:207]
	ds_load_2addr_b64 v[206:209], v254 offset0:26 offset1:27
	s_waitcnt lgkmcnt(0)
	v_mul_f64 v[180:181], v[208:209], v[182:183]
	s_delay_alu instid0(VALU_DEP_1) | instskip(SKIP_1) | instid1(VALU_DEP_2)
	v_fma_f64 v[180:181], v[206:207], v[204:205], -v[180:181]
	v_mul_f64 v[206:207], v[206:207], v[182:183]
	v_add_f64 v[148:149], v[148:149], -v[180:181]
	s_delay_alu instid0(VALU_DEP_2) | instskip(NEXT) | instid1(VALU_DEP_1)
	v_fma_f64 v[206:207], v[208:209], v[204:205], v[206:207]
	v_add_f64 v[150:151], v[150:151], -v[206:207]
	ds_load_2addr_b64 v[206:209], v254 offset0:28 offset1:29
	s_waitcnt lgkmcnt(0)
	v_mul_f64 v[180:181], v[208:209], v[182:183]
	s_delay_alu instid0(VALU_DEP_1) | instskip(SKIP_1) | instid1(VALU_DEP_2)
	v_fma_f64 v[180:181], v[206:207], v[204:205], -v[180:181]
	v_mul_f64 v[206:207], v[206:207], v[182:183]
	v_add_f64 v[144:145], v[144:145], -v[180:181]
	s_delay_alu instid0(VALU_DEP_2) | instskip(NEXT) | instid1(VALU_DEP_1)
	v_fma_f64 v[206:207], v[208:209], v[204:205], v[206:207]
	v_add_f64 v[146:147], v[146:147], -v[206:207]
	ds_load_2addr_b64 v[206:209], v254 offset0:30 offset1:31
	s_waitcnt lgkmcnt(0)
	v_mul_f64 v[180:181], v[208:209], v[182:183]
	s_delay_alu instid0(VALU_DEP_1) | instskip(SKIP_1) | instid1(VALU_DEP_2)
	v_fma_f64 v[180:181], v[206:207], v[204:205], -v[180:181]
	v_mul_f64 v[206:207], v[206:207], v[182:183]
	v_add_f64 v[140:141], v[140:141], -v[180:181]
	s_delay_alu instid0(VALU_DEP_2) | instskip(NEXT) | instid1(VALU_DEP_1)
	v_fma_f64 v[206:207], v[208:209], v[204:205], v[206:207]
	v_add_f64 v[142:143], v[142:143], -v[206:207]
	ds_load_2addr_b64 v[206:209], v254 offset0:32 offset1:33
	s_waitcnt lgkmcnt(0)
	v_mul_f64 v[180:181], v[208:209], v[182:183]
	s_delay_alu instid0(VALU_DEP_1) | instskip(SKIP_1) | instid1(VALU_DEP_2)
	v_fma_f64 v[180:181], v[206:207], v[204:205], -v[180:181]
	v_mul_f64 v[206:207], v[206:207], v[182:183]
	v_add_f64 v[136:137], v[136:137], -v[180:181]
	s_delay_alu instid0(VALU_DEP_2) | instskip(NEXT) | instid1(VALU_DEP_1)
	v_fma_f64 v[206:207], v[208:209], v[204:205], v[206:207]
	v_add_f64 v[138:139], v[138:139], -v[206:207]
	ds_load_2addr_b64 v[206:209], v254 offset0:34 offset1:35
	s_waitcnt lgkmcnt(0)
	v_mul_f64 v[180:181], v[208:209], v[182:183]
	s_delay_alu instid0(VALU_DEP_1) | instskip(SKIP_1) | instid1(VALU_DEP_2)
	v_fma_f64 v[180:181], v[206:207], v[204:205], -v[180:181]
	v_mul_f64 v[206:207], v[206:207], v[182:183]
	v_add_f64 v[132:133], v[132:133], -v[180:181]
	s_delay_alu instid0(VALU_DEP_2) | instskip(NEXT) | instid1(VALU_DEP_1)
	v_fma_f64 v[206:207], v[208:209], v[204:205], v[206:207]
	v_add_f64 v[134:135], v[134:135], -v[206:207]
	ds_load_2addr_b64 v[206:209], v254 offset0:36 offset1:37
	s_waitcnt lgkmcnt(0)
	v_mul_f64 v[180:181], v[208:209], v[182:183]
	s_delay_alu instid0(VALU_DEP_1) | instskip(SKIP_1) | instid1(VALU_DEP_2)
	v_fma_f64 v[180:181], v[206:207], v[204:205], -v[180:181]
	v_mul_f64 v[206:207], v[206:207], v[182:183]
	v_add_f64 v[128:129], v[128:129], -v[180:181]
	s_delay_alu instid0(VALU_DEP_2) | instskip(NEXT) | instid1(VALU_DEP_1)
	v_fma_f64 v[206:207], v[208:209], v[204:205], v[206:207]
	v_add_f64 v[130:131], v[130:131], -v[206:207]
	ds_load_2addr_b64 v[206:209], v254 offset0:38 offset1:39
	s_waitcnt lgkmcnt(0)
	v_mul_f64 v[180:181], v[208:209], v[182:183]
	s_delay_alu instid0(VALU_DEP_1) | instskip(SKIP_1) | instid1(VALU_DEP_2)
	v_fma_f64 v[180:181], v[206:207], v[204:205], -v[180:181]
	v_mul_f64 v[206:207], v[206:207], v[182:183]
	v_add_f64 v[124:125], v[124:125], -v[180:181]
	s_delay_alu instid0(VALU_DEP_2) | instskip(NEXT) | instid1(VALU_DEP_1)
	v_fma_f64 v[206:207], v[208:209], v[204:205], v[206:207]
	v_add_f64 v[126:127], v[126:127], -v[206:207]
	ds_load_2addr_b64 v[206:209], v254 offset0:40 offset1:41
	s_waitcnt lgkmcnt(0)
	v_mul_f64 v[180:181], v[208:209], v[182:183]
	s_delay_alu instid0(VALU_DEP_1) | instskip(SKIP_1) | instid1(VALU_DEP_2)
	v_fma_f64 v[180:181], v[206:207], v[204:205], -v[180:181]
	v_mul_f64 v[206:207], v[206:207], v[182:183]
	v_add_f64 v[120:121], v[120:121], -v[180:181]
	s_delay_alu instid0(VALU_DEP_2) | instskip(NEXT) | instid1(VALU_DEP_1)
	v_fma_f64 v[206:207], v[208:209], v[204:205], v[206:207]
	v_add_f64 v[122:123], v[122:123], -v[206:207]
	ds_load_2addr_b64 v[206:209], v254 offset0:42 offset1:43
	s_waitcnt lgkmcnt(0)
	v_mul_f64 v[180:181], v[208:209], v[182:183]
	s_delay_alu instid0(VALU_DEP_1) | instskip(SKIP_1) | instid1(VALU_DEP_2)
	v_fma_f64 v[180:181], v[206:207], v[204:205], -v[180:181]
	v_mul_f64 v[206:207], v[206:207], v[182:183]
	v_add_f64 v[116:117], v[116:117], -v[180:181]
	s_delay_alu instid0(VALU_DEP_2) | instskip(NEXT) | instid1(VALU_DEP_1)
	v_fma_f64 v[206:207], v[208:209], v[204:205], v[206:207]
	v_add_f64 v[118:119], v[118:119], -v[206:207]
	ds_load_2addr_b64 v[206:209], v254 offset0:44 offset1:45
	s_waitcnt lgkmcnt(0)
	v_mul_f64 v[180:181], v[208:209], v[182:183]
	s_delay_alu instid0(VALU_DEP_1) | instskip(SKIP_1) | instid1(VALU_DEP_2)
	v_fma_f64 v[180:181], v[206:207], v[204:205], -v[180:181]
	v_mul_f64 v[206:207], v[206:207], v[182:183]
	v_add_f64 v[112:113], v[112:113], -v[180:181]
	s_delay_alu instid0(VALU_DEP_2) | instskip(NEXT) | instid1(VALU_DEP_1)
	v_fma_f64 v[206:207], v[208:209], v[204:205], v[206:207]
	v_add_f64 v[114:115], v[114:115], -v[206:207]
	ds_load_2addr_b64 v[206:209], v254 offset0:46 offset1:47
	s_waitcnt lgkmcnt(0)
	v_mul_f64 v[180:181], v[208:209], v[182:183]
	s_delay_alu instid0(VALU_DEP_1) | instskip(SKIP_1) | instid1(VALU_DEP_2)
	v_fma_f64 v[180:181], v[206:207], v[204:205], -v[180:181]
	v_mul_f64 v[206:207], v[206:207], v[182:183]
	v_add_f64 v[108:109], v[108:109], -v[180:181]
	s_delay_alu instid0(VALU_DEP_2) | instskip(NEXT) | instid1(VALU_DEP_1)
	v_fma_f64 v[206:207], v[208:209], v[204:205], v[206:207]
	v_add_f64 v[110:111], v[110:111], -v[206:207]
	ds_load_2addr_b64 v[206:209], v254 offset0:48 offset1:49
	s_waitcnt lgkmcnt(0)
	v_mul_f64 v[180:181], v[208:209], v[182:183]
	s_delay_alu instid0(VALU_DEP_1) | instskip(SKIP_1) | instid1(VALU_DEP_2)
	v_fma_f64 v[180:181], v[206:207], v[204:205], -v[180:181]
	v_mul_f64 v[206:207], v[206:207], v[182:183]
	v_add_f64 v[104:105], v[104:105], -v[180:181]
	s_delay_alu instid0(VALU_DEP_2) | instskip(NEXT) | instid1(VALU_DEP_1)
	v_fma_f64 v[206:207], v[208:209], v[204:205], v[206:207]
	v_add_f64 v[106:107], v[106:107], -v[206:207]
	ds_load_2addr_b64 v[206:209], v254 offset0:50 offset1:51
	s_waitcnt lgkmcnt(0)
	v_mul_f64 v[180:181], v[208:209], v[182:183]
	s_delay_alu instid0(VALU_DEP_1) | instskip(SKIP_1) | instid1(VALU_DEP_2)
	v_fma_f64 v[180:181], v[206:207], v[204:205], -v[180:181]
	v_mul_f64 v[206:207], v[206:207], v[182:183]
	v_add_f64 v[100:101], v[100:101], -v[180:181]
	s_delay_alu instid0(VALU_DEP_2) | instskip(NEXT) | instid1(VALU_DEP_1)
	v_fma_f64 v[206:207], v[208:209], v[204:205], v[206:207]
	v_add_f64 v[102:103], v[102:103], -v[206:207]
	ds_load_2addr_b64 v[206:209], v254 offset0:52 offset1:53
	s_waitcnt lgkmcnt(0)
	v_mul_f64 v[180:181], v[208:209], v[182:183]
	s_delay_alu instid0(VALU_DEP_1) | instskip(SKIP_1) | instid1(VALU_DEP_2)
	v_fma_f64 v[180:181], v[206:207], v[204:205], -v[180:181]
	v_mul_f64 v[206:207], v[206:207], v[182:183]
	v_add_f64 v[96:97], v[96:97], -v[180:181]
	s_delay_alu instid0(VALU_DEP_2) | instskip(NEXT) | instid1(VALU_DEP_1)
	v_fma_f64 v[206:207], v[208:209], v[204:205], v[206:207]
	v_add_f64 v[98:99], v[98:99], -v[206:207]
	ds_load_2addr_b64 v[206:209], v254 offset0:54 offset1:55
	s_waitcnt lgkmcnt(0)
	v_mul_f64 v[180:181], v[208:209], v[182:183]
	s_delay_alu instid0(VALU_DEP_1) | instskip(SKIP_1) | instid1(VALU_DEP_2)
	v_fma_f64 v[180:181], v[206:207], v[204:205], -v[180:181]
	v_mul_f64 v[206:207], v[206:207], v[182:183]
	v_add_f64 v[92:93], v[92:93], -v[180:181]
	s_delay_alu instid0(VALU_DEP_2) | instskip(NEXT) | instid1(VALU_DEP_1)
	v_fma_f64 v[206:207], v[208:209], v[204:205], v[206:207]
	v_add_f64 v[94:95], v[94:95], -v[206:207]
	ds_load_2addr_b64 v[206:209], v254 offset0:56 offset1:57
	s_waitcnt lgkmcnt(0)
	v_mul_f64 v[180:181], v[208:209], v[182:183]
	s_delay_alu instid0(VALU_DEP_1) | instskip(SKIP_1) | instid1(VALU_DEP_2)
	v_fma_f64 v[180:181], v[206:207], v[204:205], -v[180:181]
	v_mul_f64 v[206:207], v[206:207], v[182:183]
	v_add_f64 v[88:89], v[88:89], -v[180:181]
	s_delay_alu instid0(VALU_DEP_2) | instskip(NEXT) | instid1(VALU_DEP_1)
	v_fma_f64 v[206:207], v[208:209], v[204:205], v[206:207]
	v_add_f64 v[90:91], v[90:91], -v[206:207]
	ds_load_2addr_b64 v[206:209], v254 offset0:58 offset1:59
	s_waitcnt lgkmcnt(0)
	v_mul_f64 v[180:181], v[208:209], v[182:183]
	s_delay_alu instid0(VALU_DEP_1) | instskip(SKIP_1) | instid1(VALU_DEP_2)
	v_fma_f64 v[180:181], v[206:207], v[204:205], -v[180:181]
	v_mul_f64 v[206:207], v[206:207], v[182:183]
	v_add_f64 v[84:85], v[84:85], -v[180:181]
	s_delay_alu instid0(VALU_DEP_2) | instskip(NEXT) | instid1(VALU_DEP_1)
	v_fma_f64 v[206:207], v[208:209], v[204:205], v[206:207]
	v_add_f64 v[86:87], v[86:87], -v[206:207]
	ds_load_2addr_b64 v[206:209], v254 offset0:60 offset1:61
	s_waitcnt lgkmcnt(0)
	v_mul_f64 v[180:181], v[208:209], v[182:183]
	s_delay_alu instid0(VALU_DEP_1) | instskip(SKIP_1) | instid1(VALU_DEP_2)
	v_fma_f64 v[180:181], v[206:207], v[204:205], -v[180:181]
	v_mul_f64 v[206:207], v[206:207], v[182:183]
	v_add_f64 v[80:81], v[80:81], -v[180:181]
	s_delay_alu instid0(VALU_DEP_2) | instskip(NEXT) | instid1(VALU_DEP_1)
	v_fma_f64 v[206:207], v[208:209], v[204:205], v[206:207]
	v_add_f64 v[82:83], v[82:83], -v[206:207]
	ds_load_2addr_b64 v[206:209], v254 offset0:62 offset1:63
	s_waitcnt lgkmcnt(0)
	v_mul_f64 v[180:181], v[208:209], v[182:183]
	s_delay_alu instid0(VALU_DEP_1) | instskip(SKIP_1) | instid1(VALU_DEP_2)
	v_fma_f64 v[180:181], v[206:207], v[204:205], -v[180:181]
	v_mul_f64 v[206:207], v[206:207], v[182:183]
	v_add_f64 v[76:77], v[76:77], -v[180:181]
	s_delay_alu instid0(VALU_DEP_2) | instskip(NEXT) | instid1(VALU_DEP_1)
	v_fma_f64 v[206:207], v[208:209], v[204:205], v[206:207]
	v_add_f64 v[78:79], v[78:79], -v[206:207]
	ds_load_2addr_b64 v[206:209], v254 offset0:64 offset1:65
	s_waitcnt lgkmcnt(0)
	v_mul_f64 v[180:181], v[208:209], v[182:183]
	s_delay_alu instid0(VALU_DEP_1) | instskip(SKIP_1) | instid1(VALU_DEP_2)
	v_fma_f64 v[180:181], v[206:207], v[204:205], -v[180:181]
	v_mul_f64 v[206:207], v[206:207], v[182:183]
	v_add_f64 v[72:73], v[72:73], -v[180:181]
	s_delay_alu instid0(VALU_DEP_2) | instskip(NEXT) | instid1(VALU_DEP_1)
	v_fma_f64 v[206:207], v[208:209], v[204:205], v[206:207]
	v_add_f64 v[74:75], v[74:75], -v[206:207]
	ds_load_2addr_b64 v[206:209], v254 offset0:66 offset1:67
	s_waitcnt lgkmcnt(0)
	v_mul_f64 v[180:181], v[208:209], v[182:183]
	s_delay_alu instid0(VALU_DEP_1) | instskip(SKIP_1) | instid1(VALU_DEP_2)
	v_fma_f64 v[180:181], v[206:207], v[204:205], -v[180:181]
	v_mul_f64 v[206:207], v[206:207], v[182:183]
	v_add_f64 v[68:69], v[68:69], -v[180:181]
	s_delay_alu instid0(VALU_DEP_2) | instskip(NEXT) | instid1(VALU_DEP_1)
	v_fma_f64 v[206:207], v[208:209], v[204:205], v[206:207]
	v_add_f64 v[70:71], v[70:71], -v[206:207]
	ds_load_2addr_b64 v[206:209], v254 offset0:68 offset1:69
	s_waitcnt lgkmcnt(0)
	v_mul_f64 v[180:181], v[208:209], v[182:183]
	s_delay_alu instid0(VALU_DEP_1) | instskip(SKIP_1) | instid1(VALU_DEP_2)
	v_fma_f64 v[180:181], v[206:207], v[204:205], -v[180:181]
	v_mul_f64 v[206:207], v[206:207], v[182:183]
	v_add_f64 v[64:65], v[64:65], -v[180:181]
	s_delay_alu instid0(VALU_DEP_2) | instskip(NEXT) | instid1(VALU_DEP_1)
	v_fma_f64 v[206:207], v[208:209], v[204:205], v[206:207]
	v_add_f64 v[66:67], v[66:67], -v[206:207]
	ds_load_2addr_b64 v[206:209], v254 offset0:70 offset1:71
	s_waitcnt lgkmcnt(0)
	v_mul_f64 v[180:181], v[208:209], v[182:183]
	s_delay_alu instid0(VALU_DEP_1) | instskip(SKIP_1) | instid1(VALU_DEP_2)
	v_fma_f64 v[180:181], v[206:207], v[204:205], -v[180:181]
	v_mul_f64 v[206:207], v[206:207], v[182:183]
	v_add_f64 v[60:61], v[60:61], -v[180:181]
	s_delay_alu instid0(VALU_DEP_2) | instskip(NEXT) | instid1(VALU_DEP_1)
	v_fma_f64 v[206:207], v[208:209], v[204:205], v[206:207]
	v_add_f64 v[62:63], v[62:63], -v[206:207]
	ds_load_2addr_b64 v[206:209], v254 offset0:72 offset1:73
	s_waitcnt lgkmcnt(0)
	v_mul_f64 v[180:181], v[208:209], v[182:183]
	s_delay_alu instid0(VALU_DEP_1) | instskip(SKIP_1) | instid1(VALU_DEP_2)
	v_fma_f64 v[180:181], v[206:207], v[204:205], -v[180:181]
	v_mul_f64 v[206:207], v[206:207], v[182:183]
	v_add_f64 v[56:57], v[56:57], -v[180:181]
	s_delay_alu instid0(VALU_DEP_2) | instskip(NEXT) | instid1(VALU_DEP_1)
	v_fma_f64 v[206:207], v[208:209], v[204:205], v[206:207]
	v_add_f64 v[58:59], v[58:59], -v[206:207]
	ds_load_2addr_b64 v[206:209], v254 offset0:74 offset1:75
	s_waitcnt lgkmcnt(0)
	v_mul_f64 v[180:181], v[208:209], v[182:183]
	s_delay_alu instid0(VALU_DEP_1) | instskip(SKIP_1) | instid1(VALU_DEP_2)
	v_fma_f64 v[180:181], v[206:207], v[204:205], -v[180:181]
	v_mul_f64 v[206:207], v[206:207], v[182:183]
	v_add_f64 v[52:53], v[52:53], -v[180:181]
	s_delay_alu instid0(VALU_DEP_2) | instskip(NEXT) | instid1(VALU_DEP_1)
	v_fma_f64 v[206:207], v[208:209], v[204:205], v[206:207]
	v_add_f64 v[54:55], v[54:55], -v[206:207]
	ds_load_2addr_b64 v[206:209], v254 offset0:76 offset1:77
	s_waitcnt lgkmcnt(0)
	v_mul_f64 v[180:181], v[208:209], v[182:183]
	s_delay_alu instid0(VALU_DEP_1) | instskip(SKIP_1) | instid1(VALU_DEP_2)
	v_fma_f64 v[180:181], v[206:207], v[204:205], -v[180:181]
	v_mul_f64 v[206:207], v[206:207], v[182:183]
	v_add_f64 v[48:49], v[48:49], -v[180:181]
	s_delay_alu instid0(VALU_DEP_2) | instskip(NEXT) | instid1(VALU_DEP_1)
	v_fma_f64 v[206:207], v[208:209], v[204:205], v[206:207]
	v_add_f64 v[50:51], v[50:51], -v[206:207]
	ds_load_2addr_b64 v[206:209], v254 offset0:78 offset1:79
	s_waitcnt lgkmcnt(0)
	v_mul_f64 v[180:181], v[208:209], v[182:183]
	s_delay_alu instid0(VALU_DEP_1) | instskip(SKIP_1) | instid1(VALU_DEP_2)
	v_fma_f64 v[180:181], v[206:207], v[204:205], -v[180:181]
	v_mul_f64 v[206:207], v[206:207], v[182:183]
	v_add_f64 v[44:45], v[44:45], -v[180:181]
	s_delay_alu instid0(VALU_DEP_2) | instskip(NEXT) | instid1(VALU_DEP_1)
	v_fma_f64 v[206:207], v[208:209], v[204:205], v[206:207]
	v_add_f64 v[46:47], v[46:47], -v[206:207]
	ds_load_2addr_b64 v[206:209], v254 offset0:80 offset1:81
	s_waitcnt lgkmcnt(0)
	v_mul_f64 v[180:181], v[208:209], v[182:183]
	s_delay_alu instid0(VALU_DEP_1) | instskip(SKIP_1) | instid1(VALU_DEP_2)
	v_fma_f64 v[180:181], v[206:207], v[204:205], -v[180:181]
	v_mul_f64 v[206:207], v[206:207], v[182:183]
	v_add_f64 v[40:41], v[40:41], -v[180:181]
	s_delay_alu instid0(VALU_DEP_2) | instskip(NEXT) | instid1(VALU_DEP_1)
	v_fma_f64 v[206:207], v[208:209], v[204:205], v[206:207]
	v_add_f64 v[42:43], v[42:43], -v[206:207]
	ds_load_2addr_b64 v[206:209], v254 offset0:82 offset1:83
	s_waitcnt lgkmcnt(0)
	v_mul_f64 v[180:181], v[208:209], v[182:183]
	s_delay_alu instid0(VALU_DEP_1) | instskip(SKIP_1) | instid1(VALU_DEP_2)
	v_fma_f64 v[180:181], v[206:207], v[204:205], -v[180:181]
	v_mul_f64 v[206:207], v[206:207], v[182:183]
	v_add_f64 v[36:37], v[36:37], -v[180:181]
	s_delay_alu instid0(VALU_DEP_2) | instskip(NEXT) | instid1(VALU_DEP_1)
	v_fma_f64 v[206:207], v[208:209], v[204:205], v[206:207]
	v_add_f64 v[38:39], v[38:39], -v[206:207]
	ds_load_2addr_b64 v[206:209], v254 offset0:84 offset1:85
	s_waitcnt lgkmcnt(0)
	v_mul_f64 v[180:181], v[208:209], v[182:183]
	s_delay_alu instid0(VALU_DEP_1) | instskip(SKIP_1) | instid1(VALU_DEP_2)
	v_fma_f64 v[180:181], v[206:207], v[204:205], -v[180:181]
	v_mul_f64 v[206:207], v[206:207], v[182:183]
	v_add_f64 v[32:33], v[32:33], -v[180:181]
	s_delay_alu instid0(VALU_DEP_2) | instskip(NEXT) | instid1(VALU_DEP_1)
	v_fma_f64 v[206:207], v[208:209], v[204:205], v[206:207]
	v_add_f64 v[34:35], v[34:35], -v[206:207]
	ds_load_2addr_b64 v[206:209], v254 offset0:86 offset1:87
	s_waitcnt lgkmcnt(0)
	v_mul_f64 v[180:181], v[208:209], v[182:183]
	s_delay_alu instid0(VALU_DEP_1) | instskip(SKIP_1) | instid1(VALU_DEP_2)
	v_fma_f64 v[180:181], v[206:207], v[204:205], -v[180:181]
	v_mul_f64 v[206:207], v[206:207], v[182:183]
	v_add_f64 v[28:29], v[28:29], -v[180:181]
	s_delay_alu instid0(VALU_DEP_2) | instskip(NEXT) | instid1(VALU_DEP_1)
	v_fma_f64 v[206:207], v[208:209], v[204:205], v[206:207]
	v_add_f64 v[30:31], v[30:31], -v[206:207]
	ds_load_2addr_b64 v[206:209], v254 offset0:88 offset1:89
	s_waitcnt lgkmcnt(0)
	v_mul_f64 v[180:181], v[208:209], v[182:183]
	s_delay_alu instid0(VALU_DEP_1) | instskip(SKIP_1) | instid1(VALU_DEP_2)
	v_fma_f64 v[180:181], v[206:207], v[204:205], -v[180:181]
	v_mul_f64 v[206:207], v[206:207], v[182:183]
	v_add_f64 v[24:25], v[24:25], -v[180:181]
	s_delay_alu instid0(VALU_DEP_2) | instskip(NEXT) | instid1(VALU_DEP_1)
	v_fma_f64 v[206:207], v[208:209], v[204:205], v[206:207]
	v_add_f64 v[26:27], v[26:27], -v[206:207]
	ds_load_2addr_b64 v[206:209], v254 offset0:90 offset1:91
	s_waitcnt lgkmcnt(0)
	v_mul_f64 v[180:181], v[208:209], v[182:183]
	s_delay_alu instid0(VALU_DEP_1) | instskip(SKIP_1) | instid1(VALU_DEP_2)
	v_fma_f64 v[180:181], v[206:207], v[204:205], -v[180:181]
	v_mul_f64 v[206:207], v[206:207], v[182:183]
	v_add_f64 v[20:21], v[20:21], -v[180:181]
	s_delay_alu instid0(VALU_DEP_2) | instskip(NEXT) | instid1(VALU_DEP_1)
	v_fma_f64 v[206:207], v[208:209], v[204:205], v[206:207]
	v_add_f64 v[22:23], v[22:23], -v[206:207]
	ds_load_2addr_b64 v[206:209], v254 offset0:92 offset1:93
	s_waitcnt lgkmcnt(0)
	v_mul_f64 v[180:181], v[208:209], v[182:183]
	s_delay_alu instid0(VALU_DEP_1) | instskip(SKIP_1) | instid1(VALU_DEP_2)
	v_fma_f64 v[180:181], v[206:207], v[204:205], -v[180:181]
	v_mul_f64 v[206:207], v[206:207], v[182:183]
	v_add_f64 v[16:17], v[16:17], -v[180:181]
	s_delay_alu instid0(VALU_DEP_2) | instskip(NEXT) | instid1(VALU_DEP_1)
	v_fma_f64 v[206:207], v[208:209], v[204:205], v[206:207]
	v_add_f64 v[18:19], v[18:19], -v[206:207]
	ds_load_2addr_b64 v[206:209], v254 offset0:94 offset1:95
	s_waitcnt lgkmcnt(0)
	v_mul_f64 v[180:181], v[208:209], v[182:183]
	s_delay_alu instid0(VALU_DEP_1) | instskip(SKIP_1) | instid1(VALU_DEP_2)
	v_fma_f64 v[180:181], v[206:207], v[204:205], -v[180:181]
	v_mul_f64 v[206:207], v[206:207], v[182:183]
	v_add_f64 v[12:13], v[12:13], -v[180:181]
	s_delay_alu instid0(VALU_DEP_2) | instskip(NEXT) | instid1(VALU_DEP_1)
	v_fma_f64 v[206:207], v[208:209], v[204:205], v[206:207]
	v_add_f64 v[14:15], v[14:15], -v[206:207]
	ds_load_2addr_b64 v[206:209], v254 offset0:96 offset1:97
	s_waitcnt lgkmcnt(0)
	v_mul_f64 v[180:181], v[208:209], v[182:183]
	s_delay_alu instid0(VALU_DEP_1) | instskip(SKIP_1) | instid1(VALU_DEP_2)
	v_fma_f64 v[180:181], v[206:207], v[204:205], -v[180:181]
	v_mul_f64 v[206:207], v[206:207], v[182:183]
	v_add_f64 v[8:9], v[8:9], -v[180:181]
	s_delay_alu instid0(VALU_DEP_2) | instskip(NEXT) | instid1(VALU_DEP_1)
	v_fma_f64 v[206:207], v[208:209], v[204:205], v[206:207]
	v_add_f64 v[10:11], v[10:11], -v[206:207]
	ds_load_2addr_b64 v[206:209], v254 offset0:98 offset1:99
	s_waitcnt lgkmcnt(0)
	v_mul_f64 v[180:181], v[208:209], v[182:183]
	s_delay_alu instid0(VALU_DEP_1) | instskip(SKIP_1) | instid1(VALU_DEP_2)
	v_fma_f64 v[180:181], v[206:207], v[204:205], -v[180:181]
	v_mul_f64 v[206:207], v[206:207], v[182:183]
	v_add_f64 v[4:5], v[4:5], -v[180:181]
	s_delay_alu instid0(VALU_DEP_2) | instskip(NEXT) | instid1(VALU_DEP_1)
	v_fma_f64 v[206:207], v[208:209], v[204:205], v[206:207]
	v_add_f64 v[6:7], v[6:7], -v[206:207]
	ds_load_2addr_b64 v[206:209], v254 offset0:100 offset1:101
	s_waitcnt lgkmcnt(0)
	v_mul_f64 v[180:181], v[208:209], v[182:183]
	s_delay_alu instid0(VALU_DEP_1) | instskip(SKIP_1) | instid1(VALU_DEP_2)
	v_fma_f64 v[180:181], v[206:207], v[204:205], -v[180:181]
	v_mul_f64 v[206:207], v[206:207], v[182:183]
	v_add_f64 v[0:1], v[0:1], -v[180:181]
	s_delay_alu instid0(VALU_DEP_2) | instskip(SKIP_1) | instid1(VALU_DEP_2)
	v_fma_f64 v[206:207], v[208:209], v[204:205], v[206:207]
	v_dual_mov_b32 v180, v204 :: v_dual_mov_b32 v181, v205
	v_add_f64 v[2:3], v[2:3], -v[206:207]
.LBB101_55:
	s_or_b32 exec_lo, exec_lo, s3
	scratch_load_b32 v204, off, off         ; 4-byte Folded Reload
	s_mov_b32 s4, exec_lo
	s_waitcnt vmcnt(0)
	s_waitcnt_vscnt null, 0x0
	s_barrier
	buffer_gl0_inv
	v_cmpx_eq_u32_e32 6, v204
	s_cbranch_execz .LBB101_62
; %bb.56:
	ds_store_2addr_b64 v255, v[176:177], v[178:179] offset1:1
	ds_store_2addr_b64 v254, v[172:173], v[174:175] offset0:14 offset1:15
	ds_store_2addr_b64 v254, v[168:169], v[170:171] offset0:16 offset1:17
	;; [unrolled: 1-line block ×44, first 2 shown]
	ds_load_2addr_b64 v[204:207], v255 offset1:1
	s_waitcnt lgkmcnt(0)
	v_cmp_neq_f64_e32 vcc_lo, 0, v[204:205]
	v_cmp_neq_f64_e64 s3, 0, v[206:207]
	s_delay_alu instid0(VALU_DEP_1) | instskip(NEXT) | instid1(SALU_CYCLE_1)
	s_or_b32 s3, vcc_lo, s3
	s_and_b32 exec_lo, exec_lo, s3
	s_cbranch_execz .LBB101_62
; %bb.57:
	v_cmp_gt_f64_e32 vcc_lo, 0, v[204:205]
	v_xor_b32_e32 v208, 0x80000000, v205
	v_xor_b32_e32 v210, 0x80000000, v207
	s_mov_b32 s3, exec_lo
                                        ; implicit-def: $vgpr212_vgpr213
	s_delay_alu instid0(VALU_DEP_2) | instskip(SKIP_4) | instid1(VALU_DEP_1)
	v_cndmask_b32_e32 v209, v205, v208, vcc_lo
	v_cndmask_b32_e32 v208, v204, v204, vcc_lo
	v_cmp_gt_f64_e32 vcc_lo, 0, v[206:207]
	v_cndmask_b32_e32 v211, v207, v210, vcc_lo
	v_cndmask_b32_e32 v210, v206, v206, vcc_lo
	v_cmpx_ngt_f64_e32 v[208:209], v[210:211]
	s_xor_b32 s3, exec_lo, s3
                                        ; implicit-def: $vgpr208_vgpr209_vgpr210_vgpr211
	s_cbranch_execz .LBB101_59
; %bb.58:
	v_div_scale_f64 v[208:209], null, v[206:207], v[206:207], v[204:205]
	v_div_scale_f64 v[214:215], vcc_lo, v[204:205], v[206:207], v[204:205]
	s_delay_alu instid0(VALU_DEP_2) | instskip(SKIP_2) | instid1(VALU_DEP_1)
	v_rcp_f64_e32 v[210:211], v[208:209]
	s_waitcnt_depctr 0xfff
	v_fma_f64 v[212:213], -v[208:209], v[210:211], 1.0
	v_fma_f64 v[210:211], v[210:211], v[212:213], v[210:211]
	s_delay_alu instid0(VALU_DEP_1) | instskip(NEXT) | instid1(VALU_DEP_1)
	v_fma_f64 v[212:213], -v[208:209], v[210:211], 1.0
	v_fma_f64 v[210:211], v[210:211], v[212:213], v[210:211]
	s_delay_alu instid0(VALU_DEP_1) | instskip(NEXT) | instid1(VALU_DEP_1)
	v_mul_f64 v[212:213], v[214:215], v[210:211]
	v_fma_f64 v[208:209], -v[208:209], v[212:213], v[214:215]
	s_delay_alu instid0(VALU_DEP_1) | instskip(NEXT) | instid1(VALU_DEP_1)
	v_div_fmas_f64 v[208:209], v[208:209], v[210:211], v[212:213]
	v_div_fixup_f64 v[208:209], v[208:209], v[206:207], v[204:205]
	s_delay_alu instid0(VALU_DEP_1) | instskip(NEXT) | instid1(VALU_DEP_1)
	v_fma_f64 v[204:205], v[204:205], v[208:209], v[206:207]
	v_div_scale_f64 v[206:207], null, v[204:205], v[204:205], 1.0
	s_delay_alu instid0(VALU_DEP_1) | instskip(SKIP_2) | instid1(VALU_DEP_1)
	v_rcp_f64_e32 v[210:211], v[206:207]
	s_waitcnt_depctr 0xfff
	v_fma_f64 v[212:213], -v[206:207], v[210:211], 1.0
	v_fma_f64 v[210:211], v[210:211], v[212:213], v[210:211]
	s_delay_alu instid0(VALU_DEP_1) | instskip(NEXT) | instid1(VALU_DEP_1)
	v_fma_f64 v[212:213], -v[206:207], v[210:211], 1.0
	v_fma_f64 v[210:211], v[210:211], v[212:213], v[210:211]
	v_div_scale_f64 v[212:213], vcc_lo, 1.0, v[204:205], 1.0
	s_delay_alu instid0(VALU_DEP_1) | instskip(NEXT) | instid1(VALU_DEP_1)
	v_mul_f64 v[214:215], v[212:213], v[210:211]
	v_fma_f64 v[206:207], -v[206:207], v[214:215], v[212:213]
	s_delay_alu instid0(VALU_DEP_1) | instskip(NEXT) | instid1(VALU_DEP_1)
	v_div_fmas_f64 v[206:207], v[206:207], v[210:211], v[214:215]
	v_div_fixup_f64 v[210:211], v[206:207], v[204:205], 1.0
                                        ; implicit-def: $vgpr204_vgpr205
	s_delay_alu instid0(VALU_DEP_1)
	v_mul_f64 v[212:213], v[208:209], v[210:211]
	v_xor_b32_e32 v211, 0x80000000, v211
.LBB101_59:
	s_and_not1_saveexec_b32 s3, s3
	s_cbranch_execz .LBB101_61
; %bb.60:
	v_div_scale_f64 v[208:209], null, v[204:205], v[204:205], v[206:207]
	v_div_scale_f64 v[214:215], vcc_lo, v[206:207], v[204:205], v[206:207]
	s_delay_alu instid0(VALU_DEP_2) | instskip(SKIP_2) | instid1(VALU_DEP_1)
	v_rcp_f64_e32 v[210:211], v[208:209]
	s_waitcnt_depctr 0xfff
	v_fma_f64 v[212:213], -v[208:209], v[210:211], 1.0
	v_fma_f64 v[210:211], v[210:211], v[212:213], v[210:211]
	s_delay_alu instid0(VALU_DEP_1) | instskip(NEXT) | instid1(VALU_DEP_1)
	v_fma_f64 v[212:213], -v[208:209], v[210:211], 1.0
	v_fma_f64 v[210:211], v[210:211], v[212:213], v[210:211]
	s_delay_alu instid0(VALU_DEP_1) | instskip(NEXT) | instid1(VALU_DEP_1)
	v_mul_f64 v[212:213], v[214:215], v[210:211]
	v_fma_f64 v[208:209], -v[208:209], v[212:213], v[214:215]
	s_delay_alu instid0(VALU_DEP_1) | instskip(NEXT) | instid1(VALU_DEP_1)
	v_div_fmas_f64 v[208:209], v[208:209], v[210:211], v[212:213]
	v_div_fixup_f64 v[208:209], v[208:209], v[204:205], v[206:207]
	s_delay_alu instid0(VALU_DEP_1) | instskip(NEXT) | instid1(VALU_DEP_1)
	v_fma_f64 v[204:205], v[206:207], v[208:209], v[204:205]
	v_div_scale_f64 v[206:207], null, v[204:205], v[204:205], 1.0
	s_delay_alu instid0(VALU_DEP_1) | instskip(SKIP_2) | instid1(VALU_DEP_1)
	v_rcp_f64_e32 v[210:211], v[206:207]
	s_waitcnt_depctr 0xfff
	v_fma_f64 v[212:213], -v[206:207], v[210:211], 1.0
	v_fma_f64 v[210:211], v[210:211], v[212:213], v[210:211]
	s_delay_alu instid0(VALU_DEP_1) | instskip(NEXT) | instid1(VALU_DEP_1)
	v_fma_f64 v[212:213], -v[206:207], v[210:211], 1.0
	v_fma_f64 v[210:211], v[210:211], v[212:213], v[210:211]
	v_div_scale_f64 v[212:213], vcc_lo, 1.0, v[204:205], 1.0
	s_delay_alu instid0(VALU_DEP_1) | instskip(NEXT) | instid1(VALU_DEP_1)
	v_mul_f64 v[214:215], v[212:213], v[210:211]
	v_fma_f64 v[206:207], -v[206:207], v[214:215], v[212:213]
	s_delay_alu instid0(VALU_DEP_1) | instskip(NEXT) | instid1(VALU_DEP_1)
	v_div_fmas_f64 v[206:207], v[206:207], v[210:211], v[214:215]
	v_div_fixup_f64 v[212:213], v[206:207], v[204:205], 1.0
	s_delay_alu instid0(VALU_DEP_1)
	v_mul_f64 v[210:211], v[208:209], -v[212:213]
.LBB101_61:
	s_or_b32 exec_lo, exec_lo, s3
	ds_store_2addr_b64 v255, v[212:213], v[210:211] offset1:1
.LBB101_62:
	s_or_b32 exec_lo, exec_lo, s4
	s_waitcnt lgkmcnt(0)
	s_barrier
	buffer_gl0_inv
	ds_load_2addr_b64 v[204:207], v255 offset1:1
	s_mov_b32 s3, exec_lo
	s_waitcnt lgkmcnt(0)
	scratch_store_b128 off, v[204:207], off offset:520 ; 16-byte Folded Spill
	scratch_load_b32 v204, off, off         ; 4-byte Folded Reload
	s_waitcnt vmcnt(0)
	v_cmpx_lt_u32_e32 6, v204
	s_cbranch_execz .LBB101_64
; %bb.63:
	scratch_load_b128 v[206:209], off, off offset:520 ; 16-byte Folded Reload
	s_waitcnt vmcnt(0)
	v_mul_f64 v[204:205], v[208:209], v[178:179]
	v_mul_f64 v[178:179], v[206:207], v[178:179]
	s_delay_alu instid0(VALU_DEP_2) | instskip(NEXT) | instid1(VALU_DEP_2)
	v_fma_f64 v[204:205], v[206:207], v[176:177], -v[204:205]
	v_fma_f64 v[178:179], v[208:209], v[176:177], v[178:179]
	ds_load_2addr_b64 v[206:209], v254 offset0:14 offset1:15
	s_waitcnt lgkmcnt(0)
	v_mul_f64 v[176:177], v[208:209], v[178:179]
	s_delay_alu instid0(VALU_DEP_1) | instskip(SKIP_1) | instid1(VALU_DEP_2)
	v_fma_f64 v[176:177], v[206:207], v[204:205], -v[176:177]
	v_mul_f64 v[206:207], v[206:207], v[178:179]
	v_add_f64 v[172:173], v[172:173], -v[176:177]
	s_delay_alu instid0(VALU_DEP_2) | instskip(NEXT) | instid1(VALU_DEP_1)
	v_fma_f64 v[206:207], v[208:209], v[204:205], v[206:207]
	v_add_f64 v[174:175], v[174:175], -v[206:207]
	ds_load_2addr_b64 v[206:209], v254 offset0:16 offset1:17
	s_waitcnt lgkmcnt(0)
	v_mul_f64 v[176:177], v[208:209], v[178:179]
	s_delay_alu instid0(VALU_DEP_1) | instskip(SKIP_1) | instid1(VALU_DEP_2)
	v_fma_f64 v[176:177], v[206:207], v[204:205], -v[176:177]
	v_mul_f64 v[206:207], v[206:207], v[178:179]
	v_add_f64 v[168:169], v[168:169], -v[176:177]
	s_delay_alu instid0(VALU_DEP_2) | instskip(NEXT) | instid1(VALU_DEP_1)
	v_fma_f64 v[206:207], v[208:209], v[204:205], v[206:207]
	v_add_f64 v[170:171], v[170:171], -v[206:207]
	;; [unrolled: 10-line block ×43, first 2 shown]
	ds_load_2addr_b64 v[206:209], v254 offset0:100 offset1:101
	s_waitcnt lgkmcnt(0)
	v_mul_f64 v[176:177], v[208:209], v[178:179]
	s_delay_alu instid0(VALU_DEP_1) | instskip(SKIP_1) | instid1(VALU_DEP_2)
	v_fma_f64 v[176:177], v[206:207], v[204:205], -v[176:177]
	v_mul_f64 v[206:207], v[206:207], v[178:179]
	v_add_f64 v[0:1], v[0:1], -v[176:177]
	s_delay_alu instid0(VALU_DEP_2) | instskip(SKIP_1) | instid1(VALU_DEP_2)
	v_fma_f64 v[206:207], v[208:209], v[204:205], v[206:207]
	v_dual_mov_b32 v176, v204 :: v_dual_mov_b32 v177, v205
	v_add_f64 v[2:3], v[2:3], -v[206:207]
.LBB101_64:
	s_or_b32 exec_lo, exec_lo, s3
	scratch_load_b32 v204, off, off         ; 4-byte Folded Reload
	s_mov_b32 s4, exec_lo
	s_waitcnt vmcnt(0)
	s_waitcnt_vscnt null, 0x0
	s_barrier
	buffer_gl0_inv
	v_cmpx_eq_u32_e32 7, v204
	s_cbranch_execz .LBB101_71
; %bb.65:
	ds_store_2addr_b64 v255, v[172:173], v[174:175] offset1:1
	ds_store_2addr_b64 v254, v[168:169], v[170:171] offset0:16 offset1:17
	ds_store_2addr_b64 v254, v[164:165], v[166:167] offset0:18 offset1:19
	;; [unrolled: 1-line block ×43, first 2 shown]
	ds_load_2addr_b64 v[204:207], v255 offset1:1
	s_waitcnt lgkmcnt(0)
	v_cmp_neq_f64_e32 vcc_lo, 0, v[204:205]
	v_cmp_neq_f64_e64 s3, 0, v[206:207]
	s_delay_alu instid0(VALU_DEP_1) | instskip(NEXT) | instid1(SALU_CYCLE_1)
	s_or_b32 s3, vcc_lo, s3
	s_and_b32 exec_lo, exec_lo, s3
	s_cbranch_execz .LBB101_71
; %bb.66:
	v_cmp_gt_f64_e32 vcc_lo, 0, v[204:205]
	v_xor_b32_e32 v208, 0x80000000, v205
	v_xor_b32_e32 v210, 0x80000000, v207
	s_mov_b32 s3, exec_lo
                                        ; implicit-def: $vgpr212_vgpr213
	s_delay_alu instid0(VALU_DEP_2) | instskip(SKIP_4) | instid1(VALU_DEP_1)
	v_cndmask_b32_e32 v209, v205, v208, vcc_lo
	v_cndmask_b32_e32 v208, v204, v204, vcc_lo
	v_cmp_gt_f64_e32 vcc_lo, 0, v[206:207]
	v_cndmask_b32_e32 v211, v207, v210, vcc_lo
	v_cndmask_b32_e32 v210, v206, v206, vcc_lo
	v_cmpx_ngt_f64_e32 v[208:209], v[210:211]
	s_xor_b32 s3, exec_lo, s3
                                        ; implicit-def: $vgpr208_vgpr209_vgpr210_vgpr211
	s_cbranch_execz .LBB101_68
; %bb.67:
	v_div_scale_f64 v[208:209], null, v[206:207], v[206:207], v[204:205]
	v_div_scale_f64 v[214:215], vcc_lo, v[204:205], v[206:207], v[204:205]
	s_delay_alu instid0(VALU_DEP_2) | instskip(SKIP_2) | instid1(VALU_DEP_1)
	v_rcp_f64_e32 v[210:211], v[208:209]
	s_waitcnt_depctr 0xfff
	v_fma_f64 v[212:213], -v[208:209], v[210:211], 1.0
	v_fma_f64 v[210:211], v[210:211], v[212:213], v[210:211]
	s_delay_alu instid0(VALU_DEP_1) | instskip(NEXT) | instid1(VALU_DEP_1)
	v_fma_f64 v[212:213], -v[208:209], v[210:211], 1.0
	v_fma_f64 v[210:211], v[210:211], v[212:213], v[210:211]
	s_delay_alu instid0(VALU_DEP_1) | instskip(NEXT) | instid1(VALU_DEP_1)
	v_mul_f64 v[212:213], v[214:215], v[210:211]
	v_fma_f64 v[208:209], -v[208:209], v[212:213], v[214:215]
	s_delay_alu instid0(VALU_DEP_1) | instskip(NEXT) | instid1(VALU_DEP_1)
	v_div_fmas_f64 v[208:209], v[208:209], v[210:211], v[212:213]
	v_div_fixup_f64 v[208:209], v[208:209], v[206:207], v[204:205]
	s_delay_alu instid0(VALU_DEP_1) | instskip(NEXT) | instid1(VALU_DEP_1)
	v_fma_f64 v[204:205], v[204:205], v[208:209], v[206:207]
	v_div_scale_f64 v[206:207], null, v[204:205], v[204:205], 1.0
	s_delay_alu instid0(VALU_DEP_1) | instskip(SKIP_2) | instid1(VALU_DEP_1)
	v_rcp_f64_e32 v[210:211], v[206:207]
	s_waitcnt_depctr 0xfff
	v_fma_f64 v[212:213], -v[206:207], v[210:211], 1.0
	v_fma_f64 v[210:211], v[210:211], v[212:213], v[210:211]
	s_delay_alu instid0(VALU_DEP_1) | instskip(NEXT) | instid1(VALU_DEP_1)
	v_fma_f64 v[212:213], -v[206:207], v[210:211], 1.0
	v_fma_f64 v[210:211], v[210:211], v[212:213], v[210:211]
	v_div_scale_f64 v[212:213], vcc_lo, 1.0, v[204:205], 1.0
	s_delay_alu instid0(VALU_DEP_1) | instskip(NEXT) | instid1(VALU_DEP_1)
	v_mul_f64 v[214:215], v[212:213], v[210:211]
	v_fma_f64 v[206:207], -v[206:207], v[214:215], v[212:213]
	s_delay_alu instid0(VALU_DEP_1) | instskip(NEXT) | instid1(VALU_DEP_1)
	v_div_fmas_f64 v[206:207], v[206:207], v[210:211], v[214:215]
	v_div_fixup_f64 v[210:211], v[206:207], v[204:205], 1.0
                                        ; implicit-def: $vgpr204_vgpr205
	s_delay_alu instid0(VALU_DEP_1)
	v_mul_f64 v[212:213], v[208:209], v[210:211]
	v_xor_b32_e32 v211, 0x80000000, v211
.LBB101_68:
	s_and_not1_saveexec_b32 s3, s3
	s_cbranch_execz .LBB101_70
; %bb.69:
	v_div_scale_f64 v[208:209], null, v[204:205], v[204:205], v[206:207]
	v_div_scale_f64 v[214:215], vcc_lo, v[206:207], v[204:205], v[206:207]
	s_delay_alu instid0(VALU_DEP_2) | instskip(SKIP_2) | instid1(VALU_DEP_1)
	v_rcp_f64_e32 v[210:211], v[208:209]
	s_waitcnt_depctr 0xfff
	v_fma_f64 v[212:213], -v[208:209], v[210:211], 1.0
	v_fma_f64 v[210:211], v[210:211], v[212:213], v[210:211]
	s_delay_alu instid0(VALU_DEP_1) | instskip(NEXT) | instid1(VALU_DEP_1)
	v_fma_f64 v[212:213], -v[208:209], v[210:211], 1.0
	v_fma_f64 v[210:211], v[210:211], v[212:213], v[210:211]
	s_delay_alu instid0(VALU_DEP_1) | instskip(NEXT) | instid1(VALU_DEP_1)
	v_mul_f64 v[212:213], v[214:215], v[210:211]
	v_fma_f64 v[208:209], -v[208:209], v[212:213], v[214:215]
	s_delay_alu instid0(VALU_DEP_1) | instskip(NEXT) | instid1(VALU_DEP_1)
	v_div_fmas_f64 v[208:209], v[208:209], v[210:211], v[212:213]
	v_div_fixup_f64 v[208:209], v[208:209], v[204:205], v[206:207]
	s_delay_alu instid0(VALU_DEP_1) | instskip(NEXT) | instid1(VALU_DEP_1)
	v_fma_f64 v[204:205], v[206:207], v[208:209], v[204:205]
	v_div_scale_f64 v[206:207], null, v[204:205], v[204:205], 1.0
	s_delay_alu instid0(VALU_DEP_1) | instskip(SKIP_2) | instid1(VALU_DEP_1)
	v_rcp_f64_e32 v[210:211], v[206:207]
	s_waitcnt_depctr 0xfff
	v_fma_f64 v[212:213], -v[206:207], v[210:211], 1.0
	v_fma_f64 v[210:211], v[210:211], v[212:213], v[210:211]
	s_delay_alu instid0(VALU_DEP_1) | instskip(NEXT) | instid1(VALU_DEP_1)
	v_fma_f64 v[212:213], -v[206:207], v[210:211], 1.0
	v_fma_f64 v[210:211], v[210:211], v[212:213], v[210:211]
	v_div_scale_f64 v[212:213], vcc_lo, 1.0, v[204:205], 1.0
	s_delay_alu instid0(VALU_DEP_1) | instskip(NEXT) | instid1(VALU_DEP_1)
	v_mul_f64 v[214:215], v[212:213], v[210:211]
	v_fma_f64 v[206:207], -v[206:207], v[214:215], v[212:213]
	s_delay_alu instid0(VALU_DEP_1) | instskip(NEXT) | instid1(VALU_DEP_1)
	v_div_fmas_f64 v[206:207], v[206:207], v[210:211], v[214:215]
	v_div_fixup_f64 v[212:213], v[206:207], v[204:205], 1.0
	s_delay_alu instid0(VALU_DEP_1)
	v_mul_f64 v[210:211], v[208:209], -v[212:213]
.LBB101_70:
	s_or_b32 exec_lo, exec_lo, s3
	ds_store_2addr_b64 v255, v[212:213], v[210:211] offset1:1
.LBB101_71:
	s_or_b32 exec_lo, exec_lo, s4
	s_waitcnt lgkmcnt(0)
	s_barrier
	buffer_gl0_inv
	ds_load_2addr_b64 v[204:207], v255 offset1:1
	s_mov_b32 s3, exec_lo
	s_waitcnt lgkmcnt(0)
	scratch_store_b128 off, v[204:207], off offset:536 ; 16-byte Folded Spill
	scratch_load_b32 v204, off, off         ; 4-byte Folded Reload
	s_waitcnt vmcnt(0)
	v_cmpx_lt_u32_e32 7, v204
	s_cbranch_execz .LBB101_73
; %bb.72:
	scratch_load_b128 v[206:209], off, off offset:536 ; 16-byte Folded Reload
	s_waitcnt vmcnt(0)
	v_mul_f64 v[204:205], v[208:209], v[174:175]
	v_mul_f64 v[174:175], v[206:207], v[174:175]
	s_delay_alu instid0(VALU_DEP_2) | instskip(NEXT) | instid1(VALU_DEP_2)
	v_fma_f64 v[204:205], v[206:207], v[172:173], -v[204:205]
	v_fma_f64 v[174:175], v[208:209], v[172:173], v[174:175]
	ds_load_2addr_b64 v[206:209], v254 offset0:16 offset1:17
	s_waitcnt lgkmcnt(0)
	v_mul_f64 v[172:173], v[208:209], v[174:175]
	s_delay_alu instid0(VALU_DEP_1) | instskip(SKIP_1) | instid1(VALU_DEP_2)
	v_fma_f64 v[172:173], v[206:207], v[204:205], -v[172:173]
	v_mul_f64 v[206:207], v[206:207], v[174:175]
	v_add_f64 v[168:169], v[168:169], -v[172:173]
	s_delay_alu instid0(VALU_DEP_2) | instskip(NEXT) | instid1(VALU_DEP_1)
	v_fma_f64 v[206:207], v[208:209], v[204:205], v[206:207]
	v_add_f64 v[170:171], v[170:171], -v[206:207]
	ds_load_2addr_b64 v[206:209], v254 offset0:18 offset1:19
	s_waitcnt lgkmcnt(0)
	v_mul_f64 v[172:173], v[208:209], v[174:175]
	s_delay_alu instid0(VALU_DEP_1) | instskip(SKIP_1) | instid1(VALU_DEP_2)
	v_fma_f64 v[172:173], v[206:207], v[204:205], -v[172:173]
	v_mul_f64 v[206:207], v[206:207], v[174:175]
	v_add_f64 v[164:165], v[164:165], -v[172:173]
	s_delay_alu instid0(VALU_DEP_2) | instskip(NEXT) | instid1(VALU_DEP_1)
	v_fma_f64 v[206:207], v[208:209], v[204:205], v[206:207]
	v_add_f64 v[166:167], v[166:167], -v[206:207]
	ds_load_2addr_b64 v[206:209], v254 offset0:20 offset1:21
	s_waitcnt lgkmcnt(0)
	v_mul_f64 v[172:173], v[208:209], v[174:175]
	s_delay_alu instid0(VALU_DEP_1) | instskip(SKIP_1) | instid1(VALU_DEP_2)
	v_fma_f64 v[172:173], v[206:207], v[204:205], -v[172:173]
	v_mul_f64 v[206:207], v[206:207], v[174:175]
	v_add_f64 v[160:161], v[160:161], -v[172:173]
	s_delay_alu instid0(VALU_DEP_2) | instskip(NEXT) | instid1(VALU_DEP_1)
	v_fma_f64 v[206:207], v[208:209], v[204:205], v[206:207]
	v_add_f64 v[162:163], v[162:163], -v[206:207]
	ds_load_2addr_b64 v[206:209], v254 offset0:22 offset1:23
	s_waitcnt lgkmcnt(0)
	v_mul_f64 v[172:173], v[208:209], v[174:175]
	s_delay_alu instid0(VALU_DEP_1) | instskip(SKIP_1) | instid1(VALU_DEP_2)
	v_fma_f64 v[172:173], v[206:207], v[204:205], -v[172:173]
	v_mul_f64 v[206:207], v[206:207], v[174:175]
	v_add_f64 v[156:157], v[156:157], -v[172:173]
	s_delay_alu instid0(VALU_DEP_2) | instskip(NEXT) | instid1(VALU_DEP_1)
	v_fma_f64 v[206:207], v[208:209], v[204:205], v[206:207]
	v_add_f64 v[158:159], v[158:159], -v[206:207]
	ds_load_2addr_b64 v[206:209], v254 offset0:24 offset1:25
	s_waitcnt lgkmcnt(0)
	v_mul_f64 v[172:173], v[208:209], v[174:175]
	s_delay_alu instid0(VALU_DEP_1) | instskip(SKIP_1) | instid1(VALU_DEP_2)
	v_fma_f64 v[172:173], v[206:207], v[204:205], -v[172:173]
	v_mul_f64 v[206:207], v[206:207], v[174:175]
	v_add_f64 v[152:153], v[152:153], -v[172:173]
	s_delay_alu instid0(VALU_DEP_2) | instskip(NEXT) | instid1(VALU_DEP_1)
	v_fma_f64 v[206:207], v[208:209], v[204:205], v[206:207]
	v_add_f64 v[154:155], v[154:155], -v[206:207]
	ds_load_2addr_b64 v[206:209], v254 offset0:26 offset1:27
	s_waitcnt lgkmcnt(0)
	v_mul_f64 v[172:173], v[208:209], v[174:175]
	s_delay_alu instid0(VALU_DEP_1) | instskip(SKIP_1) | instid1(VALU_DEP_2)
	v_fma_f64 v[172:173], v[206:207], v[204:205], -v[172:173]
	v_mul_f64 v[206:207], v[206:207], v[174:175]
	v_add_f64 v[148:149], v[148:149], -v[172:173]
	s_delay_alu instid0(VALU_DEP_2) | instskip(NEXT) | instid1(VALU_DEP_1)
	v_fma_f64 v[206:207], v[208:209], v[204:205], v[206:207]
	v_add_f64 v[150:151], v[150:151], -v[206:207]
	ds_load_2addr_b64 v[206:209], v254 offset0:28 offset1:29
	s_waitcnt lgkmcnt(0)
	v_mul_f64 v[172:173], v[208:209], v[174:175]
	s_delay_alu instid0(VALU_DEP_1) | instskip(SKIP_1) | instid1(VALU_DEP_2)
	v_fma_f64 v[172:173], v[206:207], v[204:205], -v[172:173]
	v_mul_f64 v[206:207], v[206:207], v[174:175]
	v_add_f64 v[144:145], v[144:145], -v[172:173]
	s_delay_alu instid0(VALU_DEP_2) | instskip(NEXT) | instid1(VALU_DEP_1)
	v_fma_f64 v[206:207], v[208:209], v[204:205], v[206:207]
	v_add_f64 v[146:147], v[146:147], -v[206:207]
	ds_load_2addr_b64 v[206:209], v254 offset0:30 offset1:31
	s_waitcnt lgkmcnt(0)
	v_mul_f64 v[172:173], v[208:209], v[174:175]
	s_delay_alu instid0(VALU_DEP_1) | instskip(SKIP_1) | instid1(VALU_DEP_2)
	v_fma_f64 v[172:173], v[206:207], v[204:205], -v[172:173]
	v_mul_f64 v[206:207], v[206:207], v[174:175]
	v_add_f64 v[140:141], v[140:141], -v[172:173]
	s_delay_alu instid0(VALU_DEP_2) | instskip(NEXT) | instid1(VALU_DEP_1)
	v_fma_f64 v[206:207], v[208:209], v[204:205], v[206:207]
	v_add_f64 v[142:143], v[142:143], -v[206:207]
	ds_load_2addr_b64 v[206:209], v254 offset0:32 offset1:33
	s_waitcnt lgkmcnt(0)
	v_mul_f64 v[172:173], v[208:209], v[174:175]
	s_delay_alu instid0(VALU_DEP_1) | instskip(SKIP_1) | instid1(VALU_DEP_2)
	v_fma_f64 v[172:173], v[206:207], v[204:205], -v[172:173]
	v_mul_f64 v[206:207], v[206:207], v[174:175]
	v_add_f64 v[136:137], v[136:137], -v[172:173]
	s_delay_alu instid0(VALU_DEP_2) | instskip(NEXT) | instid1(VALU_DEP_1)
	v_fma_f64 v[206:207], v[208:209], v[204:205], v[206:207]
	v_add_f64 v[138:139], v[138:139], -v[206:207]
	ds_load_2addr_b64 v[206:209], v254 offset0:34 offset1:35
	s_waitcnt lgkmcnt(0)
	v_mul_f64 v[172:173], v[208:209], v[174:175]
	s_delay_alu instid0(VALU_DEP_1) | instskip(SKIP_1) | instid1(VALU_DEP_2)
	v_fma_f64 v[172:173], v[206:207], v[204:205], -v[172:173]
	v_mul_f64 v[206:207], v[206:207], v[174:175]
	v_add_f64 v[132:133], v[132:133], -v[172:173]
	s_delay_alu instid0(VALU_DEP_2) | instskip(NEXT) | instid1(VALU_DEP_1)
	v_fma_f64 v[206:207], v[208:209], v[204:205], v[206:207]
	v_add_f64 v[134:135], v[134:135], -v[206:207]
	ds_load_2addr_b64 v[206:209], v254 offset0:36 offset1:37
	s_waitcnt lgkmcnt(0)
	v_mul_f64 v[172:173], v[208:209], v[174:175]
	s_delay_alu instid0(VALU_DEP_1) | instskip(SKIP_1) | instid1(VALU_DEP_2)
	v_fma_f64 v[172:173], v[206:207], v[204:205], -v[172:173]
	v_mul_f64 v[206:207], v[206:207], v[174:175]
	v_add_f64 v[128:129], v[128:129], -v[172:173]
	s_delay_alu instid0(VALU_DEP_2) | instskip(NEXT) | instid1(VALU_DEP_1)
	v_fma_f64 v[206:207], v[208:209], v[204:205], v[206:207]
	v_add_f64 v[130:131], v[130:131], -v[206:207]
	ds_load_2addr_b64 v[206:209], v254 offset0:38 offset1:39
	s_waitcnt lgkmcnt(0)
	v_mul_f64 v[172:173], v[208:209], v[174:175]
	s_delay_alu instid0(VALU_DEP_1) | instskip(SKIP_1) | instid1(VALU_DEP_2)
	v_fma_f64 v[172:173], v[206:207], v[204:205], -v[172:173]
	v_mul_f64 v[206:207], v[206:207], v[174:175]
	v_add_f64 v[124:125], v[124:125], -v[172:173]
	s_delay_alu instid0(VALU_DEP_2) | instskip(NEXT) | instid1(VALU_DEP_1)
	v_fma_f64 v[206:207], v[208:209], v[204:205], v[206:207]
	v_add_f64 v[126:127], v[126:127], -v[206:207]
	ds_load_2addr_b64 v[206:209], v254 offset0:40 offset1:41
	s_waitcnt lgkmcnt(0)
	v_mul_f64 v[172:173], v[208:209], v[174:175]
	s_delay_alu instid0(VALU_DEP_1) | instskip(SKIP_1) | instid1(VALU_DEP_2)
	v_fma_f64 v[172:173], v[206:207], v[204:205], -v[172:173]
	v_mul_f64 v[206:207], v[206:207], v[174:175]
	v_add_f64 v[120:121], v[120:121], -v[172:173]
	s_delay_alu instid0(VALU_DEP_2) | instskip(NEXT) | instid1(VALU_DEP_1)
	v_fma_f64 v[206:207], v[208:209], v[204:205], v[206:207]
	v_add_f64 v[122:123], v[122:123], -v[206:207]
	ds_load_2addr_b64 v[206:209], v254 offset0:42 offset1:43
	s_waitcnt lgkmcnt(0)
	v_mul_f64 v[172:173], v[208:209], v[174:175]
	s_delay_alu instid0(VALU_DEP_1) | instskip(SKIP_1) | instid1(VALU_DEP_2)
	v_fma_f64 v[172:173], v[206:207], v[204:205], -v[172:173]
	v_mul_f64 v[206:207], v[206:207], v[174:175]
	v_add_f64 v[116:117], v[116:117], -v[172:173]
	s_delay_alu instid0(VALU_DEP_2) | instskip(NEXT) | instid1(VALU_DEP_1)
	v_fma_f64 v[206:207], v[208:209], v[204:205], v[206:207]
	v_add_f64 v[118:119], v[118:119], -v[206:207]
	ds_load_2addr_b64 v[206:209], v254 offset0:44 offset1:45
	s_waitcnt lgkmcnt(0)
	v_mul_f64 v[172:173], v[208:209], v[174:175]
	s_delay_alu instid0(VALU_DEP_1) | instskip(SKIP_1) | instid1(VALU_DEP_2)
	v_fma_f64 v[172:173], v[206:207], v[204:205], -v[172:173]
	v_mul_f64 v[206:207], v[206:207], v[174:175]
	v_add_f64 v[112:113], v[112:113], -v[172:173]
	s_delay_alu instid0(VALU_DEP_2) | instskip(NEXT) | instid1(VALU_DEP_1)
	v_fma_f64 v[206:207], v[208:209], v[204:205], v[206:207]
	v_add_f64 v[114:115], v[114:115], -v[206:207]
	ds_load_2addr_b64 v[206:209], v254 offset0:46 offset1:47
	s_waitcnt lgkmcnt(0)
	v_mul_f64 v[172:173], v[208:209], v[174:175]
	s_delay_alu instid0(VALU_DEP_1) | instskip(SKIP_1) | instid1(VALU_DEP_2)
	v_fma_f64 v[172:173], v[206:207], v[204:205], -v[172:173]
	v_mul_f64 v[206:207], v[206:207], v[174:175]
	v_add_f64 v[108:109], v[108:109], -v[172:173]
	s_delay_alu instid0(VALU_DEP_2) | instskip(NEXT) | instid1(VALU_DEP_1)
	v_fma_f64 v[206:207], v[208:209], v[204:205], v[206:207]
	v_add_f64 v[110:111], v[110:111], -v[206:207]
	ds_load_2addr_b64 v[206:209], v254 offset0:48 offset1:49
	s_waitcnt lgkmcnt(0)
	v_mul_f64 v[172:173], v[208:209], v[174:175]
	s_delay_alu instid0(VALU_DEP_1) | instskip(SKIP_1) | instid1(VALU_DEP_2)
	v_fma_f64 v[172:173], v[206:207], v[204:205], -v[172:173]
	v_mul_f64 v[206:207], v[206:207], v[174:175]
	v_add_f64 v[104:105], v[104:105], -v[172:173]
	s_delay_alu instid0(VALU_DEP_2) | instskip(NEXT) | instid1(VALU_DEP_1)
	v_fma_f64 v[206:207], v[208:209], v[204:205], v[206:207]
	v_add_f64 v[106:107], v[106:107], -v[206:207]
	ds_load_2addr_b64 v[206:209], v254 offset0:50 offset1:51
	s_waitcnt lgkmcnt(0)
	v_mul_f64 v[172:173], v[208:209], v[174:175]
	s_delay_alu instid0(VALU_DEP_1) | instskip(SKIP_1) | instid1(VALU_DEP_2)
	v_fma_f64 v[172:173], v[206:207], v[204:205], -v[172:173]
	v_mul_f64 v[206:207], v[206:207], v[174:175]
	v_add_f64 v[100:101], v[100:101], -v[172:173]
	s_delay_alu instid0(VALU_DEP_2) | instskip(NEXT) | instid1(VALU_DEP_1)
	v_fma_f64 v[206:207], v[208:209], v[204:205], v[206:207]
	v_add_f64 v[102:103], v[102:103], -v[206:207]
	ds_load_2addr_b64 v[206:209], v254 offset0:52 offset1:53
	s_waitcnt lgkmcnt(0)
	v_mul_f64 v[172:173], v[208:209], v[174:175]
	s_delay_alu instid0(VALU_DEP_1) | instskip(SKIP_1) | instid1(VALU_DEP_2)
	v_fma_f64 v[172:173], v[206:207], v[204:205], -v[172:173]
	v_mul_f64 v[206:207], v[206:207], v[174:175]
	v_add_f64 v[96:97], v[96:97], -v[172:173]
	s_delay_alu instid0(VALU_DEP_2) | instskip(NEXT) | instid1(VALU_DEP_1)
	v_fma_f64 v[206:207], v[208:209], v[204:205], v[206:207]
	v_add_f64 v[98:99], v[98:99], -v[206:207]
	ds_load_2addr_b64 v[206:209], v254 offset0:54 offset1:55
	s_waitcnt lgkmcnt(0)
	v_mul_f64 v[172:173], v[208:209], v[174:175]
	s_delay_alu instid0(VALU_DEP_1) | instskip(SKIP_1) | instid1(VALU_DEP_2)
	v_fma_f64 v[172:173], v[206:207], v[204:205], -v[172:173]
	v_mul_f64 v[206:207], v[206:207], v[174:175]
	v_add_f64 v[92:93], v[92:93], -v[172:173]
	s_delay_alu instid0(VALU_DEP_2) | instskip(NEXT) | instid1(VALU_DEP_1)
	v_fma_f64 v[206:207], v[208:209], v[204:205], v[206:207]
	v_add_f64 v[94:95], v[94:95], -v[206:207]
	ds_load_2addr_b64 v[206:209], v254 offset0:56 offset1:57
	s_waitcnt lgkmcnt(0)
	v_mul_f64 v[172:173], v[208:209], v[174:175]
	s_delay_alu instid0(VALU_DEP_1) | instskip(SKIP_1) | instid1(VALU_DEP_2)
	v_fma_f64 v[172:173], v[206:207], v[204:205], -v[172:173]
	v_mul_f64 v[206:207], v[206:207], v[174:175]
	v_add_f64 v[88:89], v[88:89], -v[172:173]
	s_delay_alu instid0(VALU_DEP_2) | instskip(NEXT) | instid1(VALU_DEP_1)
	v_fma_f64 v[206:207], v[208:209], v[204:205], v[206:207]
	v_add_f64 v[90:91], v[90:91], -v[206:207]
	ds_load_2addr_b64 v[206:209], v254 offset0:58 offset1:59
	s_waitcnt lgkmcnt(0)
	v_mul_f64 v[172:173], v[208:209], v[174:175]
	s_delay_alu instid0(VALU_DEP_1) | instskip(SKIP_1) | instid1(VALU_DEP_2)
	v_fma_f64 v[172:173], v[206:207], v[204:205], -v[172:173]
	v_mul_f64 v[206:207], v[206:207], v[174:175]
	v_add_f64 v[84:85], v[84:85], -v[172:173]
	s_delay_alu instid0(VALU_DEP_2) | instskip(NEXT) | instid1(VALU_DEP_1)
	v_fma_f64 v[206:207], v[208:209], v[204:205], v[206:207]
	v_add_f64 v[86:87], v[86:87], -v[206:207]
	ds_load_2addr_b64 v[206:209], v254 offset0:60 offset1:61
	s_waitcnt lgkmcnt(0)
	v_mul_f64 v[172:173], v[208:209], v[174:175]
	s_delay_alu instid0(VALU_DEP_1) | instskip(SKIP_1) | instid1(VALU_DEP_2)
	v_fma_f64 v[172:173], v[206:207], v[204:205], -v[172:173]
	v_mul_f64 v[206:207], v[206:207], v[174:175]
	v_add_f64 v[80:81], v[80:81], -v[172:173]
	s_delay_alu instid0(VALU_DEP_2) | instskip(NEXT) | instid1(VALU_DEP_1)
	v_fma_f64 v[206:207], v[208:209], v[204:205], v[206:207]
	v_add_f64 v[82:83], v[82:83], -v[206:207]
	ds_load_2addr_b64 v[206:209], v254 offset0:62 offset1:63
	s_waitcnt lgkmcnt(0)
	v_mul_f64 v[172:173], v[208:209], v[174:175]
	s_delay_alu instid0(VALU_DEP_1) | instskip(SKIP_1) | instid1(VALU_DEP_2)
	v_fma_f64 v[172:173], v[206:207], v[204:205], -v[172:173]
	v_mul_f64 v[206:207], v[206:207], v[174:175]
	v_add_f64 v[76:77], v[76:77], -v[172:173]
	s_delay_alu instid0(VALU_DEP_2) | instskip(NEXT) | instid1(VALU_DEP_1)
	v_fma_f64 v[206:207], v[208:209], v[204:205], v[206:207]
	v_add_f64 v[78:79], v[78:79], -v[206:207]
	ds_load_2addr_b64 v[206:209], v254 offset0:64 offset1:65
	s_waitcnt lgkmcnt(0)
	v_mul_f64 v[172:173], v[208:209], v[174:175]
	s_delay_alu instid0(VALU_DEP_1) | instskip(SKIP_1) | instid1(VALU_DEP_2)
	v_fma_f64 v[172:173], v[206:207], v[204:205], -v[172:173]
	v_mul_f64 v[206:207], v[206:207], v[174:175]
	v_add_f64 v[72:73], v[72:73], -v[172:173]
	s_delay_alu instid0(VALU_DEP_2) | instskip(NEXT) | instid1(VALU_DEP_1)
	v_fma_f64 v[206:207], v[208:209], v[204:205], v[206:207]
	v_add_f64 v[74:75], v[74:75], -v[206:207]
	ds_load_2addr_b64 v[206:209], v254 offset0:66 offset1:67
	s_waitcnt lgkmcnt(0)
	v_mul_f64 v[172:173], v[208:209], v[174:175]
	s_delay_alu instid0(VALU_DEP_1) | instskip(SKIP_1) | instid1(VALU_DEP_2)
	v_fma_f64 v[172:173], v[206:207], v[204:205], -v[172:173]
	v_mul_f64 v[206:207], v[206:207], v[174:175]
	v_add_f64 v[68:69], v[68:69], -v[172:173]
	s_delay_alu instid0(VALU_DEP_2) | instskip(NEXT) | instid1(VALU_DEP_1)
	v_fma_f64 v[206:207], v[208:209], v[204:205], v[206:207]
	v_add_f64 v[70:71], v[70:71], -v[206:207]
	ds_load_2addr_b64 v[206:209], v254 offset0:68 offset1:69
	s_waitcnt lgkmcnt(0)
	v_mul_f64 v[172:173], v[208:209], v[174:175]
	s_delay_alu instid0(VALU_DEP_1) | instskip(SKIP_1) | instid1(VALU_DEP_2)
	v_fma_f64 v[172:173], v[206:207], v[204:205], -v[172:173]
	v_mul_f64 v[206:207], v[206:207], v[174:175]
	v_add_f64 v[64:65], v[64:65], -v[172:173]
	s_delay_alu instid0(VALU_DEP_2) | instskip(NEXT) | instid1(VALU_DEP_1)
	v_fma_f64 v[206:207], v[208:209], v[204:205], v[206:207]
	v_add_f64 v[66:67], v[66:67], -v[206:207]
	ds_load_2addr_b64 v[206:209], v254 offset0:70 offset1:71
	s_waitcnt lgkmcnt(0)
	v_mul_f64 v[172:173], v[208:209], v[174:175]
	s_delay_alu instid0(VALU_DEP_1) | instskip(SKIP_1) | instid1(VALU_DEP_2)
	v_fma_f64 v[172:173], v[206:207], v[204:205], -v[172:173]
	v_mul_f64 v[206:207], v[206:207], v[174:175]
	v_add_f64 v[60:61], v[60:61], -v[172:173]
	s_delay_alu instid0(VALU_DEP_2) | instskip(NEXT) | instid1(VALU_DEP_1)
	v_fma_f64 v[206:207], v[208:209], v[204:205], v[206:207]
	v_add_f64 v[62:63], v[62:63], -v[206:207]
	ds_load_2addr_b64 v[206:209], v254 offset0:72 offset1:73
	s_waitcnt lgkmcnt(0)
	v_mul_f64 v[172:173], v[208:209], v[174:175]
	s_delay_alu instid0(VALU_DEP_1) | instskip(SKIP_1) | instid1(VALU_DEP_2)
	v_fma_f64 v[172:173], v[206:207], v[204:205], -v[172:173]
	v_mul_f64 v[206:207], v[206:207], v[174:175]
	v_add_f64 v[56:57], v[56:57], -v[172:173]
	s_delay_alu instid0(VALU_DEP_2) | instskip(NEXT) | instid1(VALU_DEP_1)
	v_fma_f64 v[206:207], v[208:209], v[204:205], v[206:207]
	v_add_f64 v[58:59], v[58:59], -v[206:207]
	ds_load_2addr_b64 v[206:209], v254 offset0:74 offset1:75
	s_waitcnt lgkmcnt(0)
	v_mul_f64 v[172:173], v[208:209], v[174:175]
	s_delay_alu instid0(VALU_DEP_1) | instskip(SKIP_1) | instid1(VALU_DEP_2)
	v_fma_f64 v[172:173], v[206:207], v[204:205], -v[172:173]
	v_mul_f64 v[206:207], v[206:207], v[174:175]
	v_add_f64 v[52:53], v[52:53], -v[172:173]
	s_delay_alu instid0(VALU_DEP_2) | instskip(NEXT) | instid1(VALU_DEP_1)
	v_fma_f64 v[206:207], v[208:209], v[204:205], v[206:207]
	v_add_f64 v[54:55], v[54:55], -v[206:207]
	ds_load_2addr_b64 v[206:209], v254 offset0:76 offset1:77
	s_waitcnt lgkmcnt(0)
	v_mul_f64 v[172:173], v[208:209], v[174:175]
	s_delay_alu instid0(VALU_DEP_1) | instskip(SKIP_1) | instid1(VALU_DEP_2)
	v_fma_f64 v[172:173], v[206:207], v[204:205], -v[172:173]
	v_mul_f64 v[206:207], v[206:207], v[174:175]
	v_add_f64 v[48:49], v[48:49], -v[172:173]
	s_delay_alu instid0(VALU_DEP_2) | instskip(NEXT) | instid1(VALU_DEP_1)
	v_fma_f64 v[206:207], v[208:209], v[204:205], v[206:207]
	v_add_f64 v[50:51], v[50:51], -v[206:207]
	ds_load_2addr_b64 v[206:209], v254 offset0:78 offset1:79
	s_waitcnt lgkmcnt(0)
	v_mul_f64 v[172:173], v[208:209], v[174:175]
	s_delay_alu instid0(VALU_DEP_1) | instskip(SKIP_1) | instid1(VALU_DEP_2)
	v_fma_f64 v[172:173], v[206:207], v[204:205], -v[172:173]
	v_mul_f64 v[206:207], v[206:207], v[174:175]
	v_add_f64 v[44:45], v[44:45], -v[172:173]
	s_delay_alu instid0(VALU_DEP_2) | instskip(NEXT) | instid1(VALU_DEP_1)
	v_fma_f64 v[206:207], v[208:209], v[204:205], v[206:207]
	v_add_f64 v[46:47], v[46:47], -v[206:207]
	ds_load_2addr_b64 v[206:209], v254 offset0:80 offset1:81
	s_waitcnt lgkmcnt(0)
	v_mul_f64 v[172:173], v[208:209], v[174:175]
	s_delay_alu instid0(VALU_DEP_1) | instskip(SKIP_1) | instid1(VALU_DEP_2)
	v_fma_f64 v[172:173], v[206:207], v[204:205], -v[172:173]
	v_mul_f64 v[206:207], v[206:207], v[174:175]
	v_add_f64 v[40:41], v[40:41], -v[172:173]
	s_delay_alu instid0(VALU_DEP_2) | instskip(NEXT) | instid1(VALU_DEP_1)
	v_fma_f64 v[206:207], v[208:209], v[204:205], v[206:207]
	v_add_f64 v[42:43], v[42:43], -v[206:207]
	ds_load_2addr_b64 v[206:209], v254 offset0:82 offset1:83
	s_waitcnt lgkmcnt(0)
	v_mul_f64 v[172:173], v[208:209], v[174:175]
	s_delay_alu instid0(VALU_DEP_1) | instskip(SKIP_1) | instid1(VALU_DEP_2)
	v_fma_f64 v[172:173], v[206:207], v[204:205], -v[172:173]
	v_mul_f64 v[206:207], v[206:207], v[174:175]
	v_add_f64 v[36:37], v[36:37], -v[172:173]
	s_delay_alu instid0(VALU_DEP_2) | instskip(NEXT) | instid1(VALU_DEP_1)
	v_fma_f64 v[206:207], v[208:209], v[204:205], v[206:207]
	v_add_f64 v[38:39], v[38:39], -v[206:207]
	ds_load_2addr_b64 v[206:209], v254 offset0:84 offset1:85
	s_waitcnt lgkmcnt(0)
	v_mul_f64 v[172:173], v[208:209], v[174:175]
	s_delay_alu instid0(VALU_DEP_1) | instskip(SKIP_1) | instid1(VALU_DEP_2)
	v_fma_f64 v[172:173], v[206:207], v[204:205], -v[172:173]
	v_mul_f64 v[206:207], v[206:207], v[174:175]
	v_add_f64 v[32:33], v[32:33], -v[172:173]
	s_delay_alu instid0(VALU_DEP_2) | instskip(NEXT) | instid1(VALU_DEP_1)
	v_fma_f64 v[206:207], v[208:209], v[204:205], v[206:207]
	v_add_f64 v[34:35], v[34:35], -v[206:207]
	ds_load_2addr_b64 v[206:209], v254 offset0:86 offset1:87
	s_waitcnt lgkmcnt(0)
	v_mul_f64 v[172:173], v[208:209], v[174:175]
	s_delay_alu instid0(VALU_DEP_1) | instskip(SKIP_1) | instid1(VALU_DEP_2)
	v_fma_f64 v[172:173], v[206:207], v[204:205], -v[172:173]
	v_mul_f64 v[206:207], v[206:207], v[174:175]
	v_add_f64 v[28:29], v[28:29], -v[172:173]
	s_delay_alu instid0(VALU_DEP_2) | instskip(NEXT) | instid1(VALU_DEP_1)
	v_fma_f64 v[206:207], v[208:209], v[204:205], v[206:207]
	v_add_f64 v[30:31], v[30:31], -v[206:207]
	ds_load_2addr_b64 v[206:209], v254 offset0:88 offset1:89
	s_waitcnt lgkmcnt(0)
	v_mul_f64 v[172:173], v[208:209], v[174:175]
	s_delay_alu instid0(VALU_DEP_1) | instskip(SKIP_1) | instid1(VALU_DEP_2)
	v_fma_f64 v[172:173], v[206:207], v[204:205], -v[172:173]
	v_mul_f64 v[206:207], v[206:207], v[174:175]
	v_add_f64 v[24:25], v[24:25], -v[172:173]
	s_delay_alu instid0(VALU_DEP_2) | instskip(NEXT) | instid1(VALU_DEP_1)
	v_fma_f64 v[206:207], v[208:209], v[204:205], v[206:207]
	v_add_f64 v[26:27], v[26:27], -v[206:207]
	ds_load_2addr_b64 v[206:209], v254 offset0:90 offset1:91
	s_waitcnt lgkmcnt(0)
	v_mul_f64 v[172:173], v[208:209], v[174:175]
	s_delay_alu instid0(VALU_DEP_1) | instskip(SKIP_1) | instid1(VALU_DEP_2)
	v_fma_f64 v[172:173], v[206:207], v[204:205], -v[172:173]
	v_mul_f64 v[206:207], v[206:207], v[174:175]
	v_add_f64 v[20:21], v[20:21], -v[172:173]
	s_delay_alu instid0(VALU_DEP_2) | instskip(NEXT) | instid1(VALU_DEP_1)
	v_fma_f64 v[206:207], v[208:209], v[204:205], v[206:207]
	v_add_f64 v[22:23], v[22:23], -v[206:207]
	ds_load_2addr_b64 v[206:209], v254 offset0:92 offset1:93
	s_waitcnt lgkmcnt(0)
	v_mul_f64 v[172:173], v[208:209], v[174:175]
	s_delay_alu instid0(VALU_DEP_1) | instskip(SKIP_1) | instid1(VALU_DEP_2)
	v_fma_f64 v[172:173], v[206:207], v[204:205], -v[172:173]
	v_mul_f64 v[206:207], v[206:207], v[174:175]
	v_add_f64 v[16:17], v[16:17], -v[172:173]
	s_delay_alu instid0(VALU_DEP_2) | instskip(NEXT) | instid1(VALU_DEP_1)
	v_fma_f64 v[206:207], v[208:209], v[204:205], v[206:207]
	v_add_f64 v[18:19], v[18:19], -v[206:207]
	ds_load_2addr_b64 v[206:209], v254 offset0:94 offset1:95
	s_waitcnt lgkmcnt(0)
	v_mul_f64 v[172:173], v[208:209], v[174:175]
	s_delay_alu instid0(VALU_DEP_1) | instskip(SKIP_1) | instid1(VALU_DEP_2)
	v_fma_f64 v[172:173], v[206:207], v[204:205], -v[172:173]
	v_mul_f64 v[206:207], v[206:207], v[174:175]
	v_add_f64 v[12:13], v[12:13], -v[172:173]
	s_delay_alu instid0(VALU_DEP_2) | instskip(NEXT) | instid1(VALU_DEP_1)
	v_fma_f64 v[206:207], v[208:209], v[204:205], v[206:207]
	v_add_f64 v[14:15], v[14:15], -v[206:207]
	ds_load_2addr_b64 v[206:209], v254 offset0:96 offset1:97
	s_waitcnt lgkmcnt(0)
	v_mul_f64 v[172:173], v[208:209], v[174:175]
	s_delay_alu instid0(VALU_DEP_1) | instskip(SKIP_1) | instid1(VALU_DEP_2)
	v_fma_f64 v[172:173], v[206:207], v[204:205], -v[172:173]
	v_mul_f64 v[206:207], v[206:207], v[174:175]
	v_add_f64 v[8:9], v[8:9], -v[172:173]
	s_delay_alu instid0(VALU_DEP_2) | instskip(NEXT) | instid1(VALU_DEP_1)
	v_fma_f64 v[206:207], v[208:209], v[204:205], v[206:207]
	v_add_f64 v[10:11], v[10:11], -v[206:207]
	ds_load_2addr_b64 v[206:209], v254 offset0:98 offset1:99
	s_waitcnt lgkmcnt(0)
	v_mul_f64 v[172:173], v[208:209], v[174:175]
	s_delay_alu instid0(VALU_DEP_1) | instskip(SKIP_1) | instid1(VALU_DEP_2)
	v_fma_f64 v[172:173], v[206:207], v[204:205], -v[172:173]
	v_mul_f64 v[206:207], v[206:207], v[174:175]
	v_add_f64 v[4:5], v[4:5], -v[172:173]
	s_delay_alu instid0(VALU_DEP_2) | instskip(NEXT) | instid1(VALU_DEP_1)
	v_fma_f64 v[206:207], v[208:209], v[204:205], v[206:207]
	v_add_f64 v[6:7], v[6:7], -v[206:207]
	ds_load_2addr_b64 v[206:209], v254 offset0:100 offset1:101
	s_waitcnt lgkmcnt(0)
	v_mul_f64 v[172:173], v[208:209], v[174:175]
	s_delay_alu instid0(VALU_DEP_1) | instskip(SKIP_1) | instid1(VALU_DEP_2)
	v_fma_f64 v[172:173], v[206:207], v[204:205], -v[172:173]
	v_mul_f64 v[206:207], v[206:207], v[174:175]
	v_add_f64 v[0:1], v[0:1], -v[172:173]
	s_delay_alu instid0(VALU_DEP_2) | instskip(SKIP_1) | instid1(VALU_DEP_2)
	v_fma_f64 v[206:207], v[208:209], v[204:205], v[206:207]
	v_dual_mov_b32 v172, v204 :: v_dual_mov_b32 v173, v205
	v_add_f64 v[2:3], v[2:3], -v[206:207]
.LBB101_73:
	s_or_b32 exec_lo, exec_lo, s3
	scratch_load_b32 v204, off, off         ; 4-byte Folded Reload
	s_mov_b32 s4, exec_lo
	s_waitcnt vmcnt(0)
	s_waitcnt_vscnt null, 0x0
	s_barrier
	buffer_gl0_inv
	v_cmpx_eq_u32_e32 8, v204
	s_cbranch_execz .LBB101_80
; %bb.74:
	ds_store_2addr_b64 v255, v[168:169], v[170:171] offset1:1
	ds_store_2addr_b64 v254, v[164:165], v[166:167] offset0:18 offset1:19
	ds_store_2addr_b64 v254, v[160:161], v[162:163] offset0:20 offset1:21
	;; [unrolled: 1-line block ×42, first 2 shown]
	ds_load_2addr_b64 v[204:207], v255 offset1:1
	s_waitcnt lgkmcnt(0)
	v_cmp_neq_f64_e32 vcc_lo, 0, v[204:205]
	v_cmp_neq_f64_e64 s3, 0, v[206:207]
	s_delay_alu instid0(VALU_DEP_1) | instskip(NEXT) | instid1(SALU_CYCLE_1)
	s_or_b32 s3, vcc_lo, s3
	s_and_b32 exec_lo, exec_lo, s3
	s_cbranch_execz .LBB101_80
; %bb.75:
	v_cmp_gt_f64_e32 vcc_lo, 0, v[204:205]
	v_xor_b32_e32 v208, 0x80000000, v205
	v_xor_b32_e32 v210, 0x80000000, v207
	s_mov_b32 s3, exec_lo
                                        ; implicit-def: $vgpr212_vgpr213
	s_delay_alu instid0(VALU_DEP_2) | instskip(SKIP_4) | instid1(VALU_DEP_1)
	v_cndmask_b32_e32 v209, v205, v208, vcc_lo
	v_cndmask_b32_e32 v208, v204, v204, vcc_lo
	v_cmp_gt_f64_e32 vcc_lo, 0, v[206:207]
	v_cndmask_b32_e32 v211, v207, v210, vcc_lo
	v_cndmask_b32_e32 v210, v206, v206, vcc_lo
	v_cmpx_ngt_f64_e32 v[208:209], v[210:211]
	s_xor_b32 s3, exec_lo, s3
                                        ; implicit-def: $vgpr208_vgpr209_vgpr210_vgpr211
	s_cbranch_execz .LBB101_77
; %bb.76:
	v_div_scale_f64 v[208:209], null, v[206:207], v[206:207], v[204:205]
	v_div_scale_f64 v[214:215], vcc_lo, v[204:205], v[206:207], v[204:205]
	s_delay_alu instid0(VALU_DEP_2) | instskip(SKIP_2) | instid1(VALU_DEP_1)
	v_rcp_f64_e32 v[210:211], v[208:209]
	s_waitcnt_depctr 0xfff
	v_fma_f64 v[212:213], -v[208:209], v[210:211], 1.0
	v_fma_f64 v[210:211], v[210:211], v[212:213], v[210:211]
	s_delay_alu instid0(VALU_DEP_1) | instskip(NEXT) | instid1(VALU_DEP_1)
	v_fma_f64 v[212:213], -v[208:209], v[210:211], 1.0
	v_fma_f64 v[210:211], v[210:211], v[212:213], v[210:211]
	s_delay_alu instid0(VALU_DEP_1) | instskip(NEXT) | instid1(VALU_DEP_1)
	v_mul_f64 v[212:213], v[214:215], v[210:211]
	v_fma_f64 v[208:209], -v[208:209], v[212:213], v[214:215]
	s_delay_alu instid0(VALU_DEP_1) | instskip(NEXT) | instid1(VALU_DEP_1)
	v_div_fmas_f64 v[208:209], v[208:209], v[210:211], v[212:213]
	v_div_fixup_f64 v[208:209], v[208:209], v[206:207], v[204:205]
	s_delay_alu instid0(VALU_DEP_1) | instskip(NEXT) | instid1(VALU_DEP_1)
	v_fma_f64 v[204:205], v[204:205], v[208:209], v[206:207]
	v_div_scale_f64 v[206:207], null, v[204:205], v[204:205], 1.0
	s_delay_alu instid0(VALU_DEP_1) | instskip(SKIP_2) | instid1(VALU_DEP_1)
	v_rcp_f64_e32 v[210:211], v[206:207]
	s_waitcnt_depctr 0xfff
	v_fma_f64 v[212:213], -v[206:207], v[210:211], 1.0
	v_fma_f64 v[210:211], v[210:211], v[212:213], v[210:211]
	s_delay_alu instid0(VALU_DEP_1) | instskip(NEXT) | instid1(VALU_DEP_1)
	v_fma_f64 v[212:213], -v[206:207], v[210:211], 1.0
	v_fma_f64 v[210:211], v[210:211], v[212:213], v[210:211]
	v_div_scale_f64 v[212:213], vcc_lo, 1.0, v[204:205], 1.0
	s_delay_alu instid0(VALU_DEP_1) | instskip(NEXT) | instid1(VALU_DEP_1)
	v_mul_f64 v[214:215], v[212:213], v[210:211]
	v_fma_f64 v[206:207], -v[206:207], v[214:215], v[212:213]
	s_delay_alu instid0(VALU_DEP_1) | instskip(NEXT) | instid1(VALU_DEP_1)
	v_div_fmas_f64 v[206:207], v[206:207], v[210:211], v[214:215]
	v_div_fixup_f64 v[210:211], v[206:207], v[204:205], 1.0
                                        ; implicit-def: $vgpr204_vgpr205
	s_delay_alu instid0(VALU_DEP_1)
	v_mul_f64 v[212:213], v[208:209], v[210:211]
	v_xor_b32_e32 v211, 0x80000000, v211
.LBB101_77:
	s_and_not1_saveexec_b32 s3, s3
	s_cbranch_execz .LBB101_79
; %bb.78:
	v_div_scale_f64 v[208:209], null, v[204:205], v[204:205], v[206:207]
	v_div_scale_f64 v[214:215], vcc_lo, v[206:207], v[204:205], v[206:207]
	s_delay_alu instid0(VALU_DEP_2) | instskip(SKIP_2) | instid1(VALU_DEP_1)
	v_rcp_f64_e32 v[210:211], v[208:209]
	s_waitcnt_depctr 0xfff
	v_fma_f64 v[212:213], -v[208:209], v[210:211], 1.0
	v_fma_f64 v[210:211], v[210:211], v[212:213], v[210:211]
	s_delay_alu instid0(VALU_DEP_1) | instskip(NEXT) | instid1(VALU_DEP_1)
	v_fma_f64 v[212:213], -v[208:209], v[210:211], 1.0
	v_fma_f64 v[210:211], v[210:211], v[212:213], v[210:211]
	s_delay_alu instid0(VALU_DEP_1) | instskip(NEXT) | instid1(VALU_DEP_1)
	v_mul_f64 v[212:213], v[214:215], v[210:211]
	v_fma_f64 v[208:209], -v[208:209], v[212:213], v[214:215]
	s_delay_alu instid0(VALU_DEP_1) | instskip(NEXT) | instid1(VALU_DEP_1)
	v_div_fmas_f64 v[208:209], v[208:209], v[210:211], v[212:213]
	v_div_fixup_f64 v[208:209], v[208:209], v[204:205], v[206:207]
	s_delay_alu instid0(VALU_DEP_1) | instskip(NEXT) | instid1(VALU_DEP_1)
	v_fma_f64 v[204:205], v[206:207], v[208:209], v[204:205]
	v_div_scale_f64 v[206:207], null, v[204:205], v[204:205], 1.0
	s_delay_alu instid0(VALU_DEP_1) | instskip(SKIP_2) | instid1(VALU_DEP_1)
	v_rcp_f64_e32 v[210:211], v[206:207]
	s_waitcnt_depctr 0xfff
	v_fma_f64 v[212:213], -v[206:207], v[210:211], 1.0
	v_fma_f64 v[210:211], v[210:211], v[212:213], v[210:211]
	s_delay_alu instid0(VALU_DEP_1) | instskip(NEXT) | instid1(VALU_DEP_1)
	v_fma_f64 v[212:213], -v[206:207], v[210:211], 1.0
	v_fma_f64 v[210:211], v[210:211], v[212:213], v[210:211]
	v_div_scale_f64 v[212:213], vcc_lo, 1.0, v[204:205], 1.0
	s_delay_alu instid0(VALU_DEP_1) | instskip(NEXT) | instid1(VALU_DEP_1)
	v_mul_f64 v[214:215], v[212:213], v[210:211]
	v_fma_f64 v[206:207], -v[206:207], v[214:215], v[212:213]
	s_delay_alu instid0(VALU_DEP_1) | instskip(NEXT) | instid1(VALU_DEP_1)
	v_div_fmas_f64 v[206:207], v[206:207], v[210:211], v[214:215]
	v_div_fixup_f64 v[212:213], v[206:207], v[204:205], 1.0
	s_delay_alu instid0(VALU_DEP_1)
	v_mul_f64 v[210:211], v[208:209], -v[212:213]
.LBB101_79:
	s_or_b32 exec_lo, exec_lo, s3
	ds_store_2addr_b64 v255, v[212:213], v[210:211] offset1:1
.LBB101_80:
	s_or_b32 exec_lo, exec_lo, s4
	s_waitcnt lgkmcnt(0)
	s_barrier
	buffer_gl0_inv
	ds_load_2addr_b64 v[204:207], v255 offset1:1
	s_mov_b32 s3, exec_lo
	s_waitcnt lgkmcnt(0)
	scratch_store_b128 off, v[204:207], off offset:552 ; 16-byte Folded Spill
	scratch_load_b32 v204, off, off         ; 4-byte Folded Reload
	s_waitcnt vmcnt(0)
	v_cmpx_lt_u32_e32 8, v204
	s_cbranch_execz .LBB101_82
; %bb.81:
	scratch_load_b128 v[206:209], off, off offset:552 ; 16-byte Folded Reload
	s_waitcnt vmcnt(0)
	v_mul_f64 v[204:205], v[208:209], v[170:171]
	v_mul_f64 v[170:171], v[206:207], v[170:171]
	s_delay_alu instid0(VALU_DEP_2) | instskip(NEXT) | instid1(VALU_DEP_2)
	v_fma_f64 v[204:205], v[206:207], v[168:169], -v[204:205]
	v_fma_f64 v[170:171], v[208:209], v[168:169], v[170:171]
	ds_load_2addr_b64 v[206:209], v254 offset0:18 offset1:19
	s_waitcnt lgkmcnt(0)
	v_mul_f64 v[168:169], v[208:209], v[170:171]
	s_delay_alu instid0(VALU_DEP_1) | instskip(SKIP_1) | instid1(VALU_DEP_2)
	v_fma_f64 v[168:169], v[206:207], v[204:205], -v[168:169]
	v_mul_f64 v[206:207], v[206:207], v[170:171]
	v_add_f64 v[164:165], v[164:165], -v[168:169]
	s_delay_alu instid0(VALU_DEP_2) | instskip(NEXT) | instid1(VALU_DEP_1)
	v_fma_f64 v[206:207], v[208:209], v[204:205], v[206:207]
	v_add_f64 v[166:167], v[166:167], -v[206:207]
	ds_load_2addr_b64 v[206:209], v254 offset0:20 offset1:21
	s_waitcnt lgkmcnt(0)
	v_mul_f64 v[168:169], v[208:209], v[170:171]
	s_delay_alu instid0(VALU_DEP_1) | instskip(SKIP_1) | instid1(VALU_DEP_2)
	v_fma_f64 v[168:169], v[206:207], v[204:205], -v[168:169]
	v_mul_f64 v[206:207], v[206:207], v[170:171]
	v_add_f64 v[160:161], v[160:161], -v[168:169]
	s_delay_alu instid0(VALU_DEP_2) | instskip(NEXT) | instid1(VALU_DEP_1)
	v_fma_f64 v[206:207], v[208:209], v[204:205], v[206:207]
	v_add_f64 v[162:163], v[162:163], -v[206:207]
	;; [unrolled: 10-line block ×41, first 2 shown]
	ds_load_2addr_b64 v[206:209], v254 offset0:100 offset1:101
	s_waitcnt lgkmcnt(0)
	v_mul_f64 v[168:169], v[208:209], v[170:171]
	s_delay_alu instid0(VALU_DEP_1) | instskip(SKIP_1) | instid1(VALU_DEP_2)
	v_fma_f64 v[168:169], v[206:207], v[204:205], -v[168:169]
	v_mul_f64 v[206:207], v[206:207], v[170:171]
	v_add_f64 v[0:1], v[0:1], -v[168:169]
	s_delay_alu instid0(VALU_DEP_2) | instskip(SKIP_1) | instid1(VALU_DEP_2)
	v_fma_f64 v[206:207], v[208:209], v[204:205], v[206:207]
	v_dual_mov_b32 v168, v204 :: v_dual_mov_b32 v169, v205
	v_add_f64 v[2:3], v[2:3], -v[206:207]
.LBB101_82:
	s_or_b32 exec_lo, exec_lo, s3
	scratch_load_b32 v204, off, off         ; 4-byte Folded Reload
	s_mov_b32 s4, exec_lo
	s_waitcnt vmcnt(0)
	s_waitcnt_vscnt null, 0x0
	s_barrier
	buffer_gl0_inv
	v_cmpx_eq_u32_e32 9, v204
	s_cbranch_execz .LBB101_89
; %bb.83:
	ds_store_2addr_b64 v255, v[164:165], v[166:167] offset1:1
	ds_store_2addr_b64 v254, v[160:161], v[162:163] offset0:20 offset1:21
	ds_store_2addr_b64 v254, v[156:157], v[158:159] offset0:22 offset1:23
	;; [unrolled: 1-line block ×41, first 2 shown]
	ds_load_2addr_b64 v[204:207], v255 offset1:1
	s_waitcnt lgkmcnt(0)
	v_cmp_neq_f64_e32 vcc_lo, 0, v[204:205]
	v_cmp_neq_f64_e64 s3, 0, v[206:207]
	s_delay_alu instid0(VALU_DEP_1) | instskip(NEXT) | instid1(SALU_CYCLE_1)
	s_or_b32 s3, vcc_lo, s3
	s_and_b32 exec_lo, exec_lo, s3
	s_cbranch_execz .LBB101_89
; %bb.84:
	v_cmp_gt_f64_e32 vcc_lo, 0, v[204:205]
	v_xor_b32_e32 v208, 0x80000000, v205
	v_xor_b32_e32 v210, 0x80000000, v207
	s_mov_b32 s3, exec_lo
                                        ; implicit-def: $vgpr212_vgpr213
	s_delay_alu instid0(VALU_DEP_2) | instskip(SKIP_4) | instid1(VALU_DEP_1)
	v_cndmask_b32_e32 v209, v205, v208, vcc_lo
	v_cndmask_b32_e32 v208, v204, v204, vcc_lo
	v_cmp_gt_f64_e32 vcc_lo, 0, v[206:207]
	v_cndmask_b32_e32 v211, v207, v210, vcc_lo
	v_cndmask_b32_e32 v210, v206, v206, vcc_lo
	v_cmpx_ngt_f64_e32 v[208:209], v[210:211]
	s_xor_b32 s3, exec_lo, s3
                                        ; implicit-def: $vgpr208_vgpr209_vgpr210_vgpr211
	s_cbranch_execz .LBB101_86
; %bb.85:
	v_div_scale_f64 v[208:209], null, v[206:207], v[206:207], v[204:205]
	v_div_scale_f64 v[214:215], vcc_lo, v[204:205], v[206:207], v[204:205]
	s_delay_alu instid0(VALU_DEP_2) | instskip(SKIP_2) | instid1(VALU_DEP_1)
	v_rcp_f64_e32 v[210:211], v[208:209]
	s_waitcnt_depctr 0xfff
	v_fma_f64 v[212:213], -v[208:209], v[210:211], 1.0
	v_fma_f64 v[210:211], v[210:211], v[212:213], v[210:211]
	s_delay_alu instid0(VALU_DEP_1) | instskip(NEXT) | instid1(VALU_DEP_1)
	v_fma_f64 v[212:213], -v[208:209], v[210:211], 1.0
	v_fma_f64 v[210:211], v[210:211], v[212:213], v[210:211]
	s_delay_alu instid0(VALU_DEP_1) | instskip(NEXT) | instid1(VALU_DEP_1)
	v_mul_f64 v[212:213], v[214:215], v[210:211]
	v_fma_f64 v[208:209], -v[208:209], v[212:213], v[214:215]
	s_delay_alu instid0(VALU_DEP_1) | instskip(NEXT) | instid1(VALU_DEP_1)
	v_div_fmas_f64 v[208:209], v[208:209], v[210:211], v[212:213]
	v_div_fixup_f64 v[208:209], v[208:209], v[206:207], v[204:205]
	s_delay_alu instid0(VALU_DEP_1) | instskip(NEXT) | instid1(VALU_DEP_1)
	v_fma_f64 v[204:205], v[204:205], v[208:209], v[206:207]
	v_div_scale_f64 v[206:207], null, v[204:205], v[204:205], 1.0
	s_delay_alu instid0(VALU_DEP_1) | instskip(SKIP_2) | instid1(VALU_DEP_1)
	v_rcp_f64_e32 v[210:211], v[206:207]
	s_waitcnt_depctr 0xfff
	v_fma_f64 v[212:213], -v[206:207], v[210:211], 1.0
	v_fma_f64 v[210:211], v[210:211], v[212:213], v[210:211]
	s_delay_alu instid0(VALU_DEP_1) | instskip(NEXT) | instid1(VALU_DEP_1)
	v_fma_f64 v[212:213], -v[206:207], v[210:211], 1.0
	v_fma_f64 v[210:211], v[210:211], v[212:213], v[210:211]
	v_div_scale_f64 v[212:213], vcc_lo, 1.0, v[204:205], 1.0
	s_delay_alu instid0(VALU_DEP_1) | instskip(NEXT) | instid1(VALU_DEP_1)
	v_mul_f64 v[214:215], v[212:213], v[210:211]
	v_fma_f64 v[206:207], -v[206:207], v[214:215], v[212:213]
	s_delay_alu instid0(VALU_DEP_1) | instskip(NEXT) | instid1(VALU_DEP_1)
	v_div_fmas_f64 v[206:207], v[206:207], v[210:211], v[214:215]
	v_div_fixup_f64 v[210:211], v[206:207], v[204:205], 1.0
                                        ; implicit-def: $vgpr204_vgpr205
	s_delay_alu instid0(VALU_DEP_1)
	v_mul_f64 v[212:213], v[208:209], v[210:211]
	v_xor_b32_e32 v211, 0x80000000, v211
.LBB101_86:
	s_and_not1_saveexec_b32 s3, s3
	s_cbranch_execz .LBB101_88
; %bb.87:
	v_div_scale_f64 v[208:209], null, v[204:205], v[204:205], v[206:207]
	v_div_scale_f64 v[214:215], vcc_lo, v[206:207], v[204:205], v[206:207]
	s_delay_alu instid0(VALU_DEP_2) | instskip(SKIP_2) | instid1(VALU_DEP_1)
	v_rcp_f64_e32 v[210:211], v[208:209]
	s_waitcnt_depctr 0xfff
	v_fma_f64 v[212:213], -v[208:209], v[210:211], 1.0
	v_fma_f64 v[210:211], v[210:211], v[212:213], v[210:211]
	s_delay_alu instid0(VALU_DEP_1) | instskip(NEXT) | instid1(VALU_DEP_1)
	v_fma_f64 v[212:213], -v[208:209], v[210:211], 1.0
	v_fma_f64 v[210:211], v[210:211], v[212:213], v[210:211]
	s_delay_alu instid0(VALU_DEP_1) | instskip(NEXT) | instid1(VALU_DEP_1)
	v_mul_f64 v[212:213], v[214:215], v[210:211]
	v_fma_f64 v[208:209], -v[208:209], v[212:213], v[214:215]
	s_delay_alu instid0(VALU_DEP_1) | instskip(NEXT) | instid1(VALU_DEP_1)
	v_div_fmas_f64 v[208:209], v[208:209], v[210:211], v[212:213]
	v_div_fixup_f64 v[208:209], v[208:209], v[204:205], v[206:207]
	s_delay_alu instid0(VALU_DEP_1) | instskip(NEXT) | instid1(VALU_DEP_1)
	v_fma_f64 v[204:205], v[206:207], v[208:209], v[204:205]
	v_div_scale_f64 v[206:207], null, v[204:205], v[204:205], 1.0
	s_delay_alu instid0(VALU_DEP_1) | instskip(SKIP_2) | instid1(VALU_DEP_1)
	v_rcp_f64_e32 v[210:211], v[206:207]
	s_waitcnt_depctr 0xfff
	v_fma_f64 v[212:213], -v[206:207], v[210:211], 1.0
	v_fma_f64 v[210:211], v[210:211], v[212:213], v[210:211]
	s_delay_alu instid0(VALU_DEP_1) | instskip(NEXT) | instid1(VALU_DEP_1)
	v_fma_f64 v[212:213], -v[206:207], v[210:211], 1.0
	v_fma_f64 v[210:211], v[210:211], v[212:213], v[210:211]
	v_div_scale_f64 v[212:213], vcc_lo, 1.0, v[204:205], 1.0
	s_delay_alu instid0(VALU_DEP_1) | instskip(NEXT) | instid1(VALU_DEP_1)
	v_mul_f64 v[214:215], v[212:213], v[210:211]
	v_fma_f64 v[206:207], -v[206:207], v[214:215], v[212:213]
	s_delay_alu instid0(VALU_DEP_1) | instskip(NEXT) | instid1(VALU_DEP_1)
	v_div_fmas_f64 v[206:207], v[206:207], v[210:211], v[214:215]
	v_div_fixup_f64 v[212:213], v[206:207], v[204:205], 1.0
	s_delay_alu instid0(VALU_DEP_1)
	v_mul_f64 v[210:211], v[208:209], -v[212:213]
.LBB101_88:
	s_or_b32 exec_lo, exec_lo, s3
	ds_store_2addr_b64 v255, v[212:213], v[210:211] offset1:1
.LBB101_89:
	s_or_b32 exec_lo, exec_lo, s4
	s_waitcnt lgkmcnt(0)
	s_barrier
	buffer_gl0_inv
	ds_load_2addr_b64 v[204:207], v255 offset1:1
	s_mov_b32 s3, exec_lo
	s_waitcnt lgkmcnt(0)
	scratch_store_b128 off, v[204:207], off offset:568 ; 16-byte Folded Spill
	scratch_load_b32 v204, off, off         ; 4-byte Folded Reload
	s_waitcnt vmcnt(0)
	v_cmpx_lt_u32_e32 9, v204
	s_cbranch_execz .LBB101_91
; %bb.90:
	scratch_load_b128 v[206:209], off, off offset:568 ; 16-byte Folded Reload
	s_waitcnt vmcnt(0)
	v_mul_f64 v[204:205], v[208:209], v[166:167]
	v_mul_f64 v[166:167], v[206:207], v[166:167]
	s_delay_alu instid0(VALU_DEP_2) | instskip(NEXT) | instid1(VALU_DEP_2)
	v_fma_f64 v[204:205], v[206:207], v[164:165], -v[204:205]
	v_fma_f64 v[166:167], v[208:209], v[164:165], v[166:167]
	ds_load_2addr_b64 v[206:209], v254 offset0:20 offset1:21
	s_waitcnt lgkmcnt(0)
	v_mul_f64 v[164:165], v[208:209], v[166:167]
	s_delay_alu instid0(VALU_DEP_1) | instskip(SKIP_1) | instid1(VALU_DEP_2)
	v_fma_f64 v[164:165], v[206:207], v[204:205], -v[164:165]
	v_mul_f64 v[206:207], v[206:207], v[166:167]
	v_add_f64 v[160:161], v[160:161], -v[164:165]
	s_delay_alu instid0(VALU_DEP_2) | instskip(NEXT) | instid1(VALU_DEP_1)
	v_fma_f64 v[206:207], v[208:209], v[204:205], v[206:207]
	v_add_f64 v[162:163], v[162:163], -v[206:207]
	ds_load_2addr_b64 v[206:209], v254 offset0:22 offset1:23
	s_waitcnt lgkmcnt(0)
	v_mul_f64 v[164:165], v[208:209], v[166:167]
	s_delay_alu instid0(VALU_DEP_1) | instskip(SKIP_1) | instid1(VALU_DEP_2)
	v_fma_f64 v[164:165], v[206:207], v[204:205], -v[164:165]
	v_mul_f64 v[206:207], v[206:207], v[166:167]
	v_add_f64 v[156:157], v[156:157], -v[164:165]
	s_delay_alu instid0(VALU_DEP_2) | instskip(NEXT) | instid1(VALU_DEP_1)
	v_fma_f64 v[206:207], v[208:209], v[204:205], v[206:207]
	v_add_f64 v[158:159], v[158:159], -v[206:207]
	;; [unrolled: 10-line block ×40, first 2 shown]
	ds_load_2addr_b64 v[206:209], v254 offset0:100 offset1:101
	s_waitcnt lgkmcnt(0)
	v_mul_f64 v[164:165], v[208:209], v[166:167]
	s_delay_alu instid0(VALU_DEP_1) | instskip(SKIP_1) | instid1(VALU_DEP_2)
	v_fma_f64 v[164:165], v[206:207], v[204:205], -v[164:165]
	v_mul_f64 v[206:207], v[206:207], v[166:167]
	v_add_f64 v[0:1], v[0:1], -v[164:165]
	s_delay_alu instid0(VALU_DEP_2) | instskip(SKIP_1) | instid1(VALU_DEP_2)
	v_fma_f64 v[206:207], v[208:209], v[204:205], v[206:207]
	v_dual_mov_b32 v164, v204 :: v_dual_mov_b32 v165, v205
	v_add_f64 v[2:3], v[2:3], -v[206:207]
.LBB101_91:
	s_or_b32 exec_lo, exec_lo, s3
	scratch_load_b32 v204, off, off         ; 4-byte Folded Reload
	s_mov_b32 s4, exec_lo
	s_waitcnt vmcnt(0)
	s_waitcnt_vscnt null, 0x0
	s_barrier
	buffer_gl0_inv
	v_cmpx_eq_u32_e32 10, v204
	s_cbranch_execz .LBB101_98
; %bb.92:
	ds_store_2addr_b64 v255, v[160:161], v[162:163] offset1:1
	ds_store_2addr_b64 v254, v[156:157], v[158:159] offset0:22 offset1:23
	ds_store_2addr_b64 v254, v[152:153], v[154:155] offset0:24 offset1:25
	;; [unrolled: 1-line block ×40, first 2 shown]
	ds_load_2addr_b64 v[204:207], v255 offset1:1
	s_waitcnt lgkmcnt(0)
	v_cmp_neq_f64_e32 vcc_lo, 0, v[204:205]
	v_cmp_neq_f64_e64 s3, 0, v[206:207]
	s_delay_alu instid0(VALU_DEP_1) | instskip(NEXT) | instid1(SALU_CYCLE_1)
	s_or_b32 s3, vcc_lo, s3
	s_and_b32 exec_lo, exec_lo, s3
	s_cbranch_execz .LBB101_98
; %bb.93:
	v_cmp_gt_f64_e32 vcc_lo, 0, v[204:205]
	v_xor_b32_e32 v208, 0x80000000, v205
	v_xor_b32_e32 v210, 0x80000000, v207
	s_mov_b32 s3, exec_lo
                                        ; implicit-def: $vgpr212_vgpr213
	s_delay_alu instid0(VALU_DEP_2) | instskip(SKIP_4) | instid1(VALU_DEP_1)
	v_cndmask_b32_e32 v209, v205, v208, vcc_lo
	v_cndmask_b32_e32 v208, v204, v204, vcc_lo
	v_cmp_gt_f64_e32 vcc_lo, 0, v[206:207]
	v_cndmask_b32_e32 v211, v207, v210, vcc_lo
	v_cndmask_b32_e32 v210, v206, v206, vcc_lo
	v_cmpx_ngt_f64_e32 v[208:209], v[210:211]
	s_xor_b32 s3, exec_lo, s3
                                        ; implicit-def: $vgpr208_vgpr209_vgpr210_vgpr211
	s_cbranch_execz .LBB101_95
; %bb.94:
	v_div_scale_f64 v[208:209], null, v[206:207], v[206:207], v[204:205]
	v_div_scale_f64 v[214:215], vcc_lo, v[204:205], v[206:207], v[204:205]
	s_delay_alu instid0(VALU_DEP_2) | instskip(SKIP_2) | instid1(VALU_DEP_1)
	v_rcp_f64_e32 v[210:211], v[208:209]
	s_waitcnt_depctr 0xfff
	v_fma_f64 v[212:213], -v[208:209], v[210:211], 1.0
	v_fma_f64 v[210:211], v[210:211], v[212:213], v[210:211]
	s_delay_alu instid0(VALU_DEP_1) | instskip(NEXT) | instid1(VALU_DEP_1)
	v_fma_f64 v[212:213], -v[208:209], v[210:211], 1.0
	v_fma_f64 v[210:211], v[210:211], v[212:213], v[210:211]
	s_delay_alu instid0(VALU_DEP_1) | instskip(NEXT) | instid1(VALU_DEP_1)
	v_mul_f64 v[212:213], v[214:215], v[210:211]
	v_fma_f64 v[208:209], -v[208:209], v[212:213], v[214:215]
	s_delay_alu instid0(VALU_DEP_1) | instskip(NEXT) | instid1(VALU_DEP_1)
	v_div_fmas_f64 v[208:209], v[208:209], v[210:211], v[212:213]
	v_div_fixup_f64 v[208:209], v[208:209], v[206:207], v[204:205]
	s_delay_alu instid0(VALU_DEP_1) | instskip(NEXT) | instid1(VALU_DEP_1)
	v_fma_f64 v[204:205], v[204:205], v[208:209], v[206:207]
	v_div_scale_f64 v[206:207], null, v[204:205], v[204:205], 1.0
	s_delay_alu instid0(VALU_DEP_1) | instskip(SKIP_2) | instid1(VALU_DEP_1)
	v_rcp_f64_e32 v[210:211], v[206:207]
	s_waitcnt_depctr 0xfff
	v_fma_f64 v[212:213], -v[206:207], v[210:211], 1.0
	v_fma_f64 v[210:211], v[210:211], v[212:213], v[210:211]
	s_delay_alu instid0(VALU_DEP_1) | instskip(NEXT) | instid1(VALU_DEP_1)
	v_fma_f64 v[212:213], -v[206:207], v[210:211], 1.0
	v_fma_f64 v[210:211], v[210:211], v[212:213], v[210:211]
	v_div_scale_f64 v[212:213], vcc_lo, 1.0, v[204:205], 1.0
	s_delay_alu instid0(VALU_DEP_1) | instskip(NEXT) | instid1(VALU_DEP_1)
	v_mul_f64 v[214:215], v[212:213], v[210:211]
	v_fma_f64 v[206:207], -v[206:207], v[214:215], v[212:213]
	s_delay_alu instid0(VALU_DEP_1) | instskip(NEXT) | instid1(VALU_DEP_1)
	v_div_fmas_f64 v[206:207], v[206:207], v[210:211], v[214:215]
	v_div_fixup_f64 v[210:211], v[206:207], v[204:205], 1.0
                                        ; implicit-def: $vgpr204_vgpr205
	s_delay_alu instid0(VALU_DEP_1)
	v_mul_f64 v[212:213], v[208:209], v[210:211]
	v_xor_b32_e32 v211, 0x80000000, v211
.LBB101_95:
	s_and_not1_saveexec_b32 s3, s3
	s_cbranch_execz .LBB101_97
; %bb.96:
	v_div_scale_f64 v[208:209], null, v[204:205], v[204:205], v[206:207]
	v_div_scale_f64 v[214:215], vcc_lo, v[206:207], v[204:205], v[206:207]
	s_delay_alu instid0(VALU_DEP_2) | instskip(SKIP_2) | instid1(VALU_DEP_1)
	v_rcp_f64_e32 v[210:211], v[208:209]
	s_waitcnt_depctr 0xfff
	v_fma_f64 v[212:213], -v[208:209], v[210:211], 1.0
	v_fma_f64 v[210:211], v[210:211], v[212:213], v[210:211]
	s_delay_alu instid0(VALU_DEP_1) | instskip(NEXT) | instid1(VALU_DEP_1)
	v_fma_f64 v[212:213], -v[208:209], v[210:211], 1.0
	v_fma_f64 v[210:211], v[210:211], v[212:213], v[210:211]
	s_delay_alu instid0(VALU_DEP_1) | instskip(NEXT) | instid1(VALU_DEP_1)
	v_mul_f64 v[212:213], v[214:215], v[210:211]
	v_fma_f64 v[208:209], -v[208:209], v[212:213], v[214:215]
	s_delay_alu instid0(VALU_DEP_1) | instskip(NEXT) | instid1(VALU_DEP_1)
	v_div_fmas_f64 v[208:209], v[208:209], v[210:211], v[212:213]
	v_div_fixup_f64 v[208:209], v[208:209], v[204:205], v[206:207]
	s_delay_alu instid0(VALU_DEP_1) | instskip(NEXT) | instid1(VALU_DEP_1)
	v_fma_f64 v[204:205], v[206:207], v[208:209], v[204:205]
	v_div_scale_f64 v[206:207], null, v[204:205], v[204:205], 1.0
	s_delay_alu instid0(VALU_DEP_1) | instskip(SKIP_2) | instid1(VALU_DEP_1)
	v_rcp_f64_e32 v[210:211], v[206:207]
	s_waitcnt_depctr 0xfff
	v_fma_f64 v[212:213], -v[206:207], v[210:211], 1.0
	v_fma_f64 v[210:211], v[210:211], v[212:213], v[210:211]
	s_delay_alu instid0(VALU_DEP_1) | instskip(NEXT) | instid1(VALU_DEP_1)
	v_fma_f64 v[212:213], -v[206:207], v[210:211], 1.0
	v_fma_f64 v[210:211], v[210:211], v[212:213], v[210:211]
	v_div_scale_f64 v[212:213], vcc_lo, 1.0, v[204:205], 1.0
	s_delay_alu instid0(VALU_DEP_1) | instskip(NEXT) | instid1(VALU_DEP_1)
	v_mul_f64 v[214:215], v[212:213], v[210:211]
	v_fma_f64 v[206:207], -v[206:207], v[214:215], v[212:213]
	s_delay_alu instid0(VALU_DEP_1) | instskip(NEXT) | instid1(VALU_DEP_1)
	v_div_fmas_f64 v[206:207], v[206:207], v[210:211], v[214:215]
	v_div_fixup_f64 v[212:213], v[206:207], v[204:205], 1.0
	s_delay_alu instid0(VALU_DEP_1)
	v_mul_f64 v[210:211], v[208:209], -v[212:213]
.LBB101_97:
	s_or_b32 exec_lo, exec_lo, s3
	ds_store_2addr_b64 v255, v[212:213], v[210:211] offset1:1
.LBB101_98:
	s_or_b32 exec_lo, exec_lo, s4
	s_waitcnt lgkmcnt(0)
	s_barrier
	buffer_gl0_inv
	ds_load_2addr_b64 v[204:207], v255 offset1:1
	s_mov_b32 s3, exec_lo
	s_waitcnt lgkmcnt(0)
	scratch_store_b128 off, v[204:207], off offset:584 ; 16-byte Folded Spill
	scratch_load_b32 v204, off, off         ; 4-byte Folded Reload
	s_waitcnt vmcnt(0)
	v_cmpx_lt_u32_e32 10, v204
	s_cbranch_execz .LBB101_100
; %bb.99:
	scratch_load_b128 v[206:209], off, off offset:584 ; 16-byte Folded Reload
	s_waitcnt vmcnt(0)
	v_mul_f64 v[204:205], v[208:209], v[162:163]
	v_mul_f64 v[162:163], v[206:207], v[162:163]
	s_delay_alu instid0(VALU_DEP_2) | instskip(NEXT) | instid1(VALU_DEP_2)
	v_fma_f64 v[204:205], v[206:207], v[160:161], -v[204:205]
	v_fma_f64 v[162:163], v[208:209], v[160:161], v[162:163]
	ds_load_2addr_b64 v[206:209], v254 offset0:22 offset1:23
	s_waitcnt lgkmcnt(0)
	v_mul_f64 v[160:161], v[208:209], v[162:163]
	s_delay_alu instid0(VALU_DEP_1) | instskip(SKIP_1) | instid1(VALU_DEP_2)
	v_fma_f64 v[160:161], v[206:207], v[204:205], -v[160:161]
	v_mul_f64 v[206:207], v[206:207], v[162:163]
	v_add_f64 v[156:157], v[156:157], -v[160:161]
	s_delay_alu instid0(VALU_DEP_2) | instskip(NEXT) | instid1(VALU_DEP_1)
	v_fma_f64 v[206:207], v[208:209], v[204:205], v[206:207]
	v_add_f64 v[158:159], v[158:159], -v[206:207]
	ds_load_2addr_b64 v[206:209], v254 offset0:24 offset1:25
	s_waitcnt lgkmcnt(0)
	v_mul_f64 v[160:161], v[208:209], v[162:163]
	s_delay_alu instid0(VALU_DEP_1) | instskip(SKIP_1) | instid1(VALU_DEP_2)
	v_fma_f64 v[160:161], v[206:207], v[204:205], -v[160:161]
	v_mul_f64 v[206:207], v[206:207], v[162:163]
	v_add_f64 v[152:153], v[152:153], -v[160:161]
	s_delay_alu instid0(VALU_DEP_2) | instskip(NEXT) | instid1(VALU_DEP_1)
	v_fma_f64 v[206:207], v[208:209], v[204:205], v[206:207]
	v_add_f64 v[154:155], v[154:155], -v[206:207]
	;; [unrolled: 10-line block ×39, first 2 shown]
	ds_load_2addr_b64 v[206:209], v254 offset0:100 offset1:101
	s_waitcnt lgkmcnt(0)
	v_mul_f64 v[160:161], v[208:209], v[162:163]
	s_delay_alu instid0(VALU_DEP_1) | instskip(SKIP_1) | instid1(VALU_DEP_2)
	v_fma_f64 v[160:161], v[206:207], v[204:205], -v[160:161]
	v_mul_f64 v[206:207], v[206:207], v[162:163]
	v_add_f64 v[0:1], v[0:1], -v[160:161]
	s_delay_alu instid0(VALU_DEP_2) | instskip(SKIP_1) | instid1(VALU_DEP_2)
	v_fma_f64 v[206:207], v[208:209], v[204:205], v[206:207]
	v_dual_mov_b32 v160, v204 :: v_dual_mov_b32 v161, v205
	v_add_f64 v[2:3], v[2:3], -v[206:207]
.LBB101_100:
	s_or_b32 exec_lo, exec_lo, s3
	scratch_load_b32 v204, off, off         ; 4-byte Folded Reload
	s_mov_b32 s4, exec_lo
	s_waitcnt vmcnt(0)
	s_waitcnt_vscnt null, 0x0
	s_barrier
	buffer_gl0_inv
	v_cmpx_eq_u32_e32 11, v204
	s_cbranch_execz .LBB101_107
; %bb.101:
	ds_store_2addr_b64 v255, v[156:157], v[158:159] offset1:1
	ds_store_2addr_b64 v254, v[152:153], v[154:155] offset0:24 offset1:25
	ds_store_2addr_b64 v254, v[148:149], v[150:151] offset0:26 offset1:27
	;; [unrolled: 1-line block ×39, first 2 shown]
	ds_load_2addr_b64 v[204:207], v255 offset1:1
	s_waitcnt lgkmcnt(0)
	v_cmp_neq_f64_e32 vcc_lo, 0, v[204:205]
	v_cmp_neq_f64_e64 s3, 0, v[206:207]
	s_delay_alu instid0(VALU_DEP_1) | instskip(NEXT) | instid1(SALU_CYCLE_1)
	s_or_b32 s3, vcc_lo, s3
	s_and_b32 exec_lo, exec_lo, s3
	s_cbranch_execz .LBB101_107
; %bb.102:
	v_cmp_gt_f64_e32 vcc_lo, 0, v[204:205]
	v_xor_b32_e32 v208, 0x80000000, v205
	v_xor_b32_e32 v210, 0x80000000, v207
	s_mov_b32 s3, exec_lo
                                        ; implicit-def: $vgpr212_vgpr213
	s_delay_alu instid0(VALU_DEP_2) | instskip(SKIP_4) | instid1(VALU_DEP_1)
	v_cndmask_b32_e32 v209, v205, v208, vcc_lo
	v_cndmask_b32_e32 v208, v204, v204, vcc_lo
	v_cmp_gt_f64_e32 vcc_lo, 0, v[206:207]
	v_cndmask_b32_e32 v211, v207, v210, vcc_lo
	v_cndmask_b32_e32 v210, v206, v206, vcc_lo
	v_cmpx_ngt_f64_e32 v[208:209], v[210:211]
	s_xor_b32 s3, exec_lo, s3
                                        ; implicit-def: $vgpr208_vgpr209_vgpr210_vgpr211
	s_cbranch_execz .LBB101_104
; %bb.103:
	v_div_scale_f64 v[208:209], null, v[206:207], v[206:207], v[204:205]
	v_div_scale_f64 v[214:215], vcc_lo, v[204:205], v[206:207], v[204:205]
	s_delay_alu instid0(VALU_DEP_2) | instskip(SKIP_2) | instid1(VALU_DEP_1)
	v_rcp_f64_e32 v[210:211], v[208:209]
	s_waitcnt_depctr 0xfff
	v_fma_f64 v[212:213], -v[208:209], v[210:211], 1.0
	v_fma_f64 v[210:211], v[210:211], v[212:213], v[210:211]
	s_delay_alu instid0(VALU_DEP_1) | instskip(NEXT) | instid1(VALU_DEP_1)
	v_fma_f64 v[212:213], -v[208:209], v[210:211], 1.0
	v_fma_f64 v[210:211], v[210:211], v[212:213], v[210:211]
	s_delay_alu instid0(VALU_DEP_1) | instskip(NEXT) | instid1(VALU_DEP_1)
	v_mul_f64 v[212:213], v[214:215], v[210:211]
	v_fma_f64 v[208:209], -v[208:209], v[212:213], v[214:215]
	s_delay_alu instid0(VALU_DEP_1) | instskip(NEXT) | instid1(VALU_DEP_1)
	v_div_fmas_f64 v[208:209], v[208:209], v[210:211], v[212:213]
	v_div_fixup_f64 v[208:209], v[208:209], v[206:207], v[204:205]
	s_delay_alu instid0(VALU_DEP_1) | instskip(NEXT) | instid1(VALU_DEP_1)
	v_fma_f64 v[204:205], v[204:205], v[208:209], v[206:207]
	v_div_scale_f64 v[206:207], null, v[204:205], v[204:205], 1.0
	s_delay_alu instid0(VALU_DEP_1) | instskip(SKIP_2) | instid1(VALU_DEP_1)
	v_rcp_f64_e32 v[210:211], v[206:207]
	s_waitcnt_depctr 0xfff
	v_fma_f64 v[212:213], -v[206:207], v[210:211], 1.0
	v_fma_f64 v[210:211], v[210:211], v[212:213], v[210:211]
	s_delay_alu instid0(VALU_DEP_1) | instskip(NEXT) | instid1(VALU_DEP_1)
	v_fma_f64 v[212:213], -v[206:207], v[210:211], 1.0
	v_fma_f64 v[210:211], v[210:211], v[212:213], v[210:211]
	v_div_scale_f64 v[212:213], vcc_lo, 1.0, v[204:205], 1.0
	s_delay_alu instid0(VALU_DEP_1) | instskip(NEXT) | instid1(VALU_DEP_1)
	v_mul_f64 v[214:215], v[212:213], v[210:211]
	v_fma_f64 v[206:207], -v[206:207], v[214:215], v[212:213]
	s_delay_alu instid0(VALU_DEP_1) | instskip(NEXT) | instid1(VALU_DEP_1)
	v_div_fmas_f64 v[206:207], v[206:207], v[210:211], v[214:215]
	v_div_fixup_f64 v[210:211], v[206:207], v[204:205], 1.0
                                        ; implicit-def: $vgpr204_vgpr205
	s_delay_alu instid0(VALU_DEP_1)
	v_mul_f64 v[212:213], v[208:209], v[210:211]
	v_xor_b32_e32 v211, 0x80000000, v211
.LBB101_104:
	s_and_not1_saveexec_b32 s3, s3
	s_cbranch_execz .LBB101_106
; %bb.105:
	v_div_scale_f64 v[208:209], null, v[204:205], v[204:205], v[206:207]
	v_div_scale_f64 v[214:215], vcc_lo, v[206:207], v[204:205], v[206:207]
	s_delay_alu instid0(VALU_DEP_2) | instskip(SKIP_2) | instid1(VALU_DEP_1)
	v_rcp_f64_e32 v[210:211], v[208:209]
	s_waitcnt_depctr 0xfff
	v_fma_f64 v[212:213], -v[208:209], v[210:211], 1.0
	v_fma_f64 v[210:211], v[210:211], v[212:213], v[210:211]
	s_delay_alu instid0(VALU_DEP_1) | instskip(NEXT) | instid1(VALU_DEP_1)
	v_fma_f64 v[212:213], -v[208:209], v[210:211], 1.0
	v_fma_f64 v[210:211], v[210:211], v[212:213], v[210:211]
	s_delay_alu instid0(VALU_DEP_1) | instskip(NEXT) | instid1(VALU_DEP_1)
	v_mul_f64 v[212:213], v[214:215], v[210:211]
	v_fma_f64 v[208:209], -v[208:209], v[212:213], v[214:215]
	s_delay_alu instid0(VALU_DEP_1) | instskip(NEXT) | instid1(VALU_DEP_1)
	v_div_fmas_f64 v[208:209], v[208:209], v[210:211], v[212:213]
	v_div_fixup_f64 v[208:209], v[208:209], v[204:205], v[206:207]
	s_delay_alu instid0(VALU_DEP_1) | instskip(NEXT) | instid1(VALU_DEP_1)
	v_fma_f64 v[204:205], v[206:207], v[208:209], v[204:205]
	v_div_scale_f64 v[206:207], null, v[204:205], v[204:205], 1.0
	s_delay_alu instid0(VALU_DEP_1) | instskip(SKIP_2) | instid1(VALU_DEP_1)
	v_rcp_f64_e32 v[210:211], v[206:207]
	s_waitcnt_depctr 0xfff
	v_fma_f64 v[212:213], -v[206:207], v[210:211], 1.0
	v_fma_f64 v[210:211], v[210:211], v[212:213], v[210:211]
	s_delay_alu instid0(VALU_DEP_1) | instskip(NEXT) | instid1(VALU_DEP_1)
	v_fma_f64 v[212:213], -v[206:207], v[210:211], 1.0
	v_fma_f64 v[210:211], v[210:211], v[212:213], v[210:211]
	v_div_scale_f64 v[212:213], vcc_lo, 1.0, v[204:205], 1.0
	s_delay_alu instid0(VALU_DEP_1) | instskip(NEXT) | instid1(VALU_DEP_1)
	v_mul_f64 v[214:215], v[212:213], v[210:211]
	v_fma_f64 v[206:207], -v[206:207], v[214:215], v[212:213]
	s_delay_alu instid0(VALU_DEP_1) | instskip(NEXT) | instid1(VALU_DEP_1)
	v_div_fmas_f64 v[206:207], v[206:207], v[210:211], v[214:215]
	v_div_fixup_f64 v[212:213], v[206:207], v[204:205], 1.0
	s_delay_alu instid0(VALU_DEP_1)
	v_mul_f64 v[210:211], v[208:209], -v[212:213]
.LBB101_106:
	s_or_b32 exec_lo, exec_lo, s3
	ds_store_2addr_b64 v255, v[212:213], v[210:211] offset1:1
.LBB101_107:
	s_or_b32 exec_lo, exec_lo, s4
	s_waitcnt lgkmcnt(0)
	s_barrier
	buffer_gl0_inv
	ds_load_2addr_b64 v[204:207], v255 offset1:1
	s_mov_b32 s3, exec_lo
	s_waitcnt lgkmcnt(0)
	scratch_store_b128 off, v[204:207], off offset:600 ; 16-byte Folded Spill
	scratch_load_b32 v204, off, off         ; 4-byte Folded Reload
	s_waitcnt vmcnt(0)
	v_cmpx_lt_u32_e32 11, v204
	s_cbranch_execz .LBB101_109
; %bb.108:
	scratch_load_b128 v[206:209], off, off offset:600 ; 16-byte Folded Reload
	s_waitcnt vmcnt(0)
	v_mul_f64 v[204:205], v[208:209], v[158:159]
	v_mul_f64 v[158:159], v[206:207], v[158:159]
	s_delay_alu instid0(VALU_DEP_2) | instskip(NEXT) | instid1(VALU_DEP_2)
	v_fma_f64 v[204:205], v[206:207], v[156:157], -v[204:205]
	v_fma_f64 v[158:159], v[208:209], v[156:157], v[158:159]
	ds_load_2addr_b64 v[206:209], v254 offset0:24 offset1:25
	s_waitcnt lgkmcnt(0)
	v_mul_f64 v[156:157], v[208:209], v[158:159]
	s_delay_alu instid0(VALU_DEP_1) | instskip(SKIP_1) | instid1(VALU_DEP_2)
	v_fma_f64 v[156:157], v[206:207], v[204:205], -v[156:157]
	v_mul_f64 v[206:207], v[206:207], v[158:159]
	v_add_f64 v[152:153], v[152:153], -v[156:157]
	s_delay_alu instid0(VALU_DEP_2) | instskip(NEXT) | instid1(VALU_DEP_1)
	v_fma_f64 v[206:207], v[208:209], v[204:205], v[206:207]
	v_add_f64 v[154:155], v[154:155], -v[206:207]
	ds_load_2addr_b64 v[206:209], v254 offset0:26 offset1:27
	s_waitcnt lgkmcnt(0)
	v_mul_f64 v[156:157], v[208:209], v[158:159]
	s_delay_alu instid0(VALU_DEP_1) | instskip(SKIP_1) | instid1(VALU_DEP_2)
	v_fma_f64 v[156:157], v[206:207], v[204:205], -v[156:157]
	v_mul_f64 v[206:207], v[206:207], v[158:159]
	v_add_f64 v[148:149], v[148:149], -v[156:157]
	s_delay_alu instid0(VALU_DEP_2) | instskip(NEXT) | instid1(VALU_DEP_1)
	v_fma_f64 v[206:207], v[208:209], v[204:205], v[206:207]
	v_add_f64 v[150:151], v[150:151], -v[206:207]
	;; [unrolled: 10-line block ×38, first 2 shown]
	ds_load_2addr_b64 v[206:209], v254 offset0:100 offset1:101
	s_waitcnt lgkmcnt(0)
	v_mul_f64 v[156:157], v[208:209], v[158:159]
	s_delay_alu instid0(VALU_DEP_1) | instskip(SKIP_1) | instid1(VALU_DEP_2)
	v_fma_f64 v[156:157], v[206:207], v[204:205], -v[156:157]
	v_mul_f64 v[206:207], v[206:207], v[158:159]
	v_add_f64 v[0:1], v[0:1], -v[156:157]
	s_delay_alu instid0(VALU_DEP_2) | instskip(SKIP_1) | instid1(VALU_DEP_2)
	v_fma_f64 v[206:207], v[208:209], v[204:205], v[206:207]
	v_dual_mov_b32 v156, v204 :: v_dual_mov_b32 v157, v205
	v_add_f64 v[2:3], v[2:3], -v[206:207]
.LBB101_109:
	s_or_b32 exec_lo, exec_lo, s3
	scratch_load_b32 v204, off, off         ; 4-byte Folded Reload
	s_mov_b32 s4, exec_lo
	s_waitcnt vmcnt(0)
	s_waitcnt_vscnt null, 0x0
	s_barrier
	buffer_gl0_inv
	v_cmpx_eq_u32_e32 12, v204
	s_cbranch_execz .LBB101_116
; %bb.110:
	ds_store_2addr_b64 v255, v[152:153], v[154:155] offset1:1
	ds_store_2addr_b64 v254, v[148:149], v[150:151] offset0:26 offset1:27
	ds_store_2addr_b64 v254, v[144:145], v[146:147] offset0:28 offset1:29
	;; [unrolled: 1-line block ×38, first 2 shown]
	ds_load_2addr_b64 v[204:207], v255 offset1:1
	s_waitcnt lgkmcnt(0)
	v_cmp_neq_f64_e32 vcc_lo, 0, v[204:205]
	v_cmp_neq_f64_e64 s3, 0, v[206:207]
	s_delay_alu instid0(VALU_DEP_1) | instskip(NEXT) | instid1(SALU_CYCLE_1)
	s_or_b32 s3, vcc_lo, s3
	s_and_b32 exec_lo, exec_lo, s3
	s_cbranch_execz .LBB101_116
; %bb.111:
	v_cmp_gt_f64_e32 vcc_lo, 0, v[204:205]
	v_xor_b32_e32 v208, 0x80000000, v205
	v_xor_b32_e32 v210, 0x80000000, v207
	s_mov_b32 s3, exec_lo
                                        ; implicit-def: $vgpr212_vgpr213
	s_delay_alu instid0(VALU_DEP_2) | instskip(SKIP_4) | instid1(VALU_DEP_1)
	v_cndmask_b32_e32 v209, v205, v208, vcc_lo
	v_cndmask_b32_e32 v208, v204, v204, vcc_lo
	v_cmp_gt_f64_e32 vcc_lo, 0, v[206:207]
	v_cndmask_b32_e32 v211, v207, v210, vcc_lo
	v_cndmask_b32_e32 v210, v206, v206, vcc_lo
	v_cmpx_ngt_f64_e32 v[208:209], v[210:211]
	s_xor_b32 s3, exec_lo, s3
                                        ; implicit-def: $vgpr208_vgpr209_vgpr210_vgpr211
	s_cbranch_execz .LBB101_113
; %bb.112:
	v_div_scale_f64 v[208:209], null, v[206:207], v[206:207], v[204:205]
	v_div_scale_f64 v[214:215], vcc_lo, v[204:205], v[206:207], v[204:205]
	s_delay_alu instid0(VALU_DEP_2) | instskip(SKIP_2) | instid1(VALU_DEP_1)
	v_rcp_f64_e32 v[210:211], v[208:209]
	s_waitcnt_depctr 0xfff
	v_fma_f64 v[212:213], -v[208:209], v[210:211], 1.0
	v_fma_f64 v[210:211], v[210:211], v[212:213], v[210:211]
	s_delay_alu instid0(VALU_DEP_1) | instskip(NEXT) | instid1(VALU_DEP_1)
	v_fma_f64 v[212:213], -v[208:209], v[210:211], 1.0
	v_fma_f64 v[210:211], v[210:211], v[212:213], v[210:211]
	s_delay_alu instid0(VALU_DEP_1) | instskip(NEXT) | instid1(VALU_DEP_1)
	v_mul_f64 v[212:213], v[214:215], v[210:211]
	v_fma_f64 v[208:209], -v[208:209], v[212:213], v[214:215]
	s_delay_alu instid0(VALU_DEP_1) | instskip(NEXT) | instid1(VALU_DEP_1)
	v_div_fmas_f64 v[208:209], v[208:209], v[210:211], v[212:213]
	v_div_fixup_f64 v[208:209], v[208:209], v[206:207], v[204:205]
	s_delay_alu instid0(VALU_DEP_1) | instskip(NEXT) | instid1(VALU_DEP_1)
	v_fma_f64 v[204:205], v[204:205], v[208:209], v[206:207]
	v_div_scale_f64 v[206:207], null, v[204:205], v[204:205], 1.0
	s_delay_alu instid0(VALU_DEP_1) | instskip(SKIP_2) | instid1(VALU_DEP_1)
	v_rcp_f64_e32 v[210:211], v[206:207]
	s_waitcnt_depctr 0xfff
	v_fma_f64 v[212:213], -v[206:207], v[210:211], 1.0
	v_fma_f64 v[210:211], v[210:211], v[212:213], v[210:211]
	s_delay_alu instid0(VALU_DEP_1) | instskip(NEXT) | instid1(VALU_DEP_1)
	v_fma_f64 v[212:213], -v[206:207], v[210:211], 1.0
	v_fma_f64 v[210:211], v[210:211], v[212:213], v[210:211]
	v_div_scale_f64 v[212:213], vcc_lo, 1.0, v[204:205], 1.0
	s_delay_alu instid0(VALU_DEP_1) | instskip(NEXT) | instid1(VALU_DEP_1)
	v_mul_f64 v[214:215], v[212:213], v[210:211]
	v_fma_f64 v[206:207], -v[206:207], v[214:215], v[212:213]
	s_delay_alu instid0(VALU_DEP_1) | instskip(NEXT) | instid1(VALU_DEP_1)
	v_div_fmas_f64 v[206:207], v[206:207], v[210:211], v[214:215]
	v_div_fixup_f64 v[210:211], v[206:207], v[204:205], 1.0
                                        ; implicit-def: $vgpr204_vgpr205
	s_delay_alu instid0(VALU_DEP_1)
	v_mul_f64 v[212:213], v[208:209], v[210:211]
	v_xor_b32_e32 v211, 0x80000000, v211
.LBB101_113:
	s_and_not1_saveexec_b32 s3, s3
	s_cbranch_execz .LBB101_115
; %bb.114:
	v_div_scale_f64 v[208:209], null, v[204:205], v[204:205], v[206:207]
	v_div_scale_f64 v[214:215], vcc_lo, v[206:207], v[204:205], v[206:207]
	s_delay_alu instid0(VALU_DEP_2) | instskip(SKIP_2) | instid1(VALU_DEP_1)
	v_rcp_f64_e32 v[210:211], v[208:209]
	s_waitcnt_depctr 0xfff
	v_fma_f64 v[212:213], -v[208:209], v[210:211], 1.0
	v_fma_f64 v[210:211], v[210:211], v[212:213], v[210:211]
	s_delay_alu instid0(VALU_DEP_1) | instskip(NEXT) | instid1(VALU_DEP_1)
	v_fma_f64 v[212:213], -v[208:209], v[210:211], 1.0
	v_fma_f64 v[210:211], v[210:211], v[212:213], v[210:211]
	s_delay_alu instid0(VALU_DEP_1) | instskip(NEXT) | instid1(VALU_DEP_1)
	v_mul_f64 v[212:213], v[214:215], v[210:211]
	v_fma_f64 v[208:209], -v[208:209], v[212:213], v[214:215]
	s_delay_alu instid0(VALU_DEP_1) | instskip(NEXT) | instid1(VALU_DEP_1)
	v_div_fmas_f64 v[208:209], v[208:209], v[210:211], v[212:213]
	v_div_fixup_f64 v[208:209], v[208:209], v[204:205], v[206:207]
	s_delay_alu instid0(VALU_DEP_1) | instskip(NEXT) | instid1(VALU_DEP_1)
	v_fma_f64 v[204:205], v[206:207], v[208:209], v[204:205]
	v_div_scale_f64 v[206:207], null, v[204:205], v[204:205], 1.0
	s_delay_alu instid0(VALU_DEP_1) | instskip(SKIP_2) | instid1(VALU_DEP_1)
	v_rcp_f64_e32 v[210:211], v[206:207]
	s_waitcnt_depctr 0xfff
	v_fma_f64 v[212:213], -v[206:207], v[210:211], 1.0
	v_fma_f64 v[210:211], v[210:211], v[212:213], v[210:211]
	s_delay_alu instid0(VALU_DEP_1) | instskip(NEXT) | instid1(VALU_DEP_1)
	v_fma_f64 v[212:213], -v[206:207], v[210:211], 1.0
	v_fma_f64 v[210:211], v[210:211], v[212:213], v[210:211]
	v_div_scale_f64 v[212:213], vcc_lo, 1.0, v[204:205], 1.0
	s_delay_alu instid0(VALU_DEP_1) | instskip(NEXT) | instid1(VALU_DEP_1)
	v_mul_f64 v[214:215], v[212:213], v[210:211]
	v_fma_f64 v[206:207], -v[206:207], v[214:215], v[212:213]
	s_delay_alu instid0(VALU_DEP_1) | instskip(NEXT) | instid1(VALU_DEP_1)
	v_div_fmas_f64 v[206:207], v[206:207], v[210:211], v[214:215]
	v_div_fixup_f64 v[212:213], v[206:207], v[204:205], 1.0
	s_delay_alu instid0(VALU_DEP_1)
	v_mul_f64 v[210:211], v[208:209], -v[212:213]
.LBB101_115:
	s_or_b32 exec_lo, exec_lo, s3
	ds_store_2addr_b64 v255, v[212:213], v[210:211] offset1:1
.LBB101_116:
	s_or_b32 exec_lo, exec_lo, s4
	s_waitcnt lgkmcnt(0)
	s_barrier
	buffer_gl0_inv
	ds_load_2addr_b64 v[204:207], v255 offset1:1
	s_mov_b32 s3, exec_lo
	s_waitcnt lgkmcnt(0)
	scratch_store_b128 off, v[204:207], off offset:616 ; 16-byte Folded Spill
	scratch_load_b32 v204, off, off         ; 4-byte Folded Reload
	s_waitcnt vmcnt(0)
	v_cmpx_lt_u32_e32 12, v204
	s_cbranch_execz .LBB101_118
; %bb.117:
	scratch_load_b128 v[206:209], off, off offset:616 ; 16-byte Folded Reload
	s_waitcnt vmcnt(0)
	v_mul_f64 v[204:205], v[208:209], v[154:155]
	v_mul_f64 v[154:155], v[206:207], v[154:155]
	s_delay_alu instid0(VALU_DEP_2) | instskip(NEXT) | instid1(VALU_DEP_2)
	v_fma_f64 v[204:205], v[206:207], v[152:153], -v[204:205]
	v_fma_f64 v[154:155], v[208:209], v[152:153], v[154:155]
	ds_load_2addr_b64 v[206:209], v254 offset0:26 offset1:27
	s_waitcnt lgkmcnt(0)
	v_mul_f64 v[152:153], v[208:209], v[154:155]
	s_delay_alu instid0(VALU_DEP_1) | instskip(SKIP_1) | instid1(VALU_DEP_2)
	v_fma_f64 v[152:153], v[206:207], v[204:205], -v[152:153]
	v_mul_f64 v[206:207], v[206:207], v[154:155]
	v_add_f64 v[148:149], v[148:149], -v[152:153]
	s_delay_alu instid0(VALU_DEP_2) | instskip(NEXT) | instid1(VALU_DEP_1)
	v_fma_f64 v[206:207], v[208:209], v[204:205], v[206:207]
	v_add_f64 v[150:151], v[150:151], -v[206:207]
	ds_load_2addr_b64 v[206:209], v254 offset0:28 offset1:29
	s_waitcnt lgkmcnt(0)
	v_mul_f64 v[152:153], v[208:209], v[154:155]
	s_delay_alu instid0(VALU_DEP_1) | instskip(SKIP_1) | instid1(VALU_DEP_2)
	v_fma_f64 v[152:153], v[206:207], v[204:205], -v[152:153]
	v_mul_f64 v[206:207], v[206:207], v[154:155]
	v_add_f64 v[144:145], v[144:145], -v[152:153]
	s_delay_alu instid0(VALU_DEP_2) | instskip(NEXT) | instid1(VALU_DEP_1)
	v_fma_f64 v[206:207], v[208:209], v[204:205], v[206:207]
	v_add_f64 v[146:147], v[146:147], -v[206:207]
	;; [unrolled: 10-line block ×37, first 2 shown]
	ds_load_2addr_b64 v[206:209], v254 offset0:100 offset1:101
	s_waitcnt lgkmcnt(0)
	v_mul_f64 v[152:153], v[208:209], v[154:155]
	s_delay_alu instid0(VALU_DEP_1) | instskip(SKIP_1) | instid1(VALU_DEP_2)
	v_fma_f64 v[152:153], v[206:207], v[204:205], -v[152:153]
	v_mul_f64 v[206:207], v[206:207], v[154:155]
	v_add_f64 v[0:1], v[0:1], -v[152:153]
	s_delay_alu instid0(VALU_DEP_2) | instskip(SKIP_1) | instid1(VALU_DEP_2)
	v_fma_f64 v[206:207], v[208:209], v[204:205], v[206:207]
	v_dual_mov_b32 v152, v204 :: v_dual_mov_b32 v153, v205
	v_add_f64 v[2:3], v[2:3], -v[206:207]
.LBB101_118:
	s_or_b32 exec_lo, exec_lo, s3
	scratch_load_b32 v204, off, off         ; 4-byte Folded Reload
	s_mov_b32 s4, exec_lo
	s_waitcnt vmcnt(0)
	s_waitcnt_vscnt null, 0x0
	s_barrier
	buffer_gl0_inv
	v_cmpx_eq_u32_e32 13, v204
	s_cbranch_execz .LBB101_125
; %bb.119:
	ds_store_2addr_b64 v255, v[148:149], v[150:151] offset1:1
	ds_store_2addr_b64 v254, v[144:145], v[146:147] offset0:28 offset1:29
	ds_store_2addr_b64 v254, v[140:141], v[142:143] offset0:30 offset1:31
	;; [unrolled: 1-line block ×37, first 2 shown]
	ds_load_2addr_b64 v[204:207], v255 offset1:1
	s_waitcnt lgkmcnt(0)
	v_cmp_neq_f64_e32 vcc_lo, 0, v[204:205]
	v_cmp_neq_f64_e64 s3, 0, v[206:207]
	s_delay_alu instid0(VALU_DEP_1) | instskip(NEXT) | instid1(SALU_CYCLE_1)
	s_or_b32 s3, vcc_lo, s3
	s_and_b32 exec_lo, exec_lo, s3
	s_cbranch_execz .LBB101_125
; %bb.120:
	v_cmp_gt_f64_e32 vcc_lo, 0, v[204:205]
	v_xor_b32_e32 v208, 0x80000000, v205
	v_xor_b32_e32 v210, 0x80000000, v207
	s_mov_b32 s3, exec_lo
                                        ; implicit-def: $vgpr212_vgpr213
	s_delay_alu instid0(VALU_DEP_2) | instskip(SKIP_4) | instid1(VALU_DEP_1)
	v_cndmask_b32_e32 v209, v205, v208, vcc_lo
	v_cndmask_b32_e32 v208, v204, v204, vcc_lo
	v_cmp_gt_f64_e32 vcc_lo, 0, v[206:207]
	v_cndmask_b32_e32 v211, v207, v210, vcc_lo
	v_cndmask_b32_e32 v210, v206, v206, vcc_lo
	v_cmpx_ngt_f64_e32 v[208:209], v[210:211]
	s_xor_b32 s3, exec_lo, s3
                                        ; implicit-def: $vgpr208_vgpr209_vgpr210_vgpr211
	s_cbranch_execz .LBB101_122
; %bb.121:
	v_div_scale_f64 v[208:209], null, v[206:207], v[206:207], v[204:205]
	v_div_scale_f64 v[214:215], vcc_lo, v[204:205], v[206:207], v[204:205]
	s_delay_alu instid0(VALU_DEP_2) | instskip(SKIP_2) | instid1(VALU_DEP_1)
	v_rcp_f64_e32 v[210:211], v[208:209]
	s_waitcnt_depctr 0xfff
	v_fma_f64 v[212:213], -v[208:209], v[210:211], 1.0
	v_fma_f64 v[210:211], v[210:211], v[212:213], v[210:211]
	s_delay_alu instid0(VALU_DEP_1) | instskip(NEXT) | instid1(VALU_DEP_1)
	v_fma_f64 v[212:213], -v[208:209], v[210:211], 1.0
	v_fma_f64 v[210:211], v[210:211], v[212:213], v[210:211]
	s_delay_alu instid0(VALU_DEP_1) | instskip(NEXT) | instid1(VALU_DEP_1)
	v_mul_f64 v[212:213], v[214:215], v[210:211]
	v_fma_f64 v[208:209], -v[208:209], v[212:213], v[214:215]
	s_delay_alu instid0(VALU_DEP_1) | instskip(NEXT) | instid1(VALU_DEP_1)
	v_div_fmas_f64 v[208:209], v[208:209], v[210:211], v[212:213]
	v_div_fixup_f64 v[208:209], v[208:209], v[206:207], v[204:205]
	s_delay_alu instid0(VALU_DEP_1) | instskip(NEXT) | instid1(VALU_DEP_1)
	v_fma_f64 v[204:205], v[204:205], v[208:209], v[206:207]
	v_div_scale_f64 v[206:207], null, v[204:205], v[204:205], 1.0
	s_delay_alu instid0(VALU_DEP_1) | instskip(SKIP_2) | instid1(VALU_DEP_1)
	v_rcp_f64_e32 v[210:211], v[206:207]
	s_waitcnt_depctr 0xfff
	v_fma_f64 v[212:213], -v[206:207], v[210:211], 1.0
	v_fma_f64 v[210:211], v[210:211], v[212:213], v[210:211]
	s_delay_alu instid0(VALU_DEP_1) | instskip(NEXT) | instid1(VALU_DEP_1)
	v_fma_f64 v[212:213], -v[206:207], v[210:211], 1.0
	v_fma_f64 v[210:211], v[210:211], v[212:213], v[210:211]
	v_div_scale_f64 v[212:213], vcc_lo, 1.0, v[204:205], 1.0
	s_delay_alu instid0(VALU_DEP_1) | instskip(NEXT) | instid1(VALU_DEP_1)
	v_mul_f64 v[214:215], v[212:213], v[210:211]
	v_fma_f64 v[206:207], -v[206:207], v[214:215], v[212:213]
	s_delay_alu instid0(VALU_DEP_1) | instskip(NEXT) | instid1(VALU_DEP_1)
	v_div_fmas_f64 v[206:207], v[206:207], v[210:211], v[214:215]
	v_div_fixup_f64 v[210:211], v[206:207], v[204:205], 1.0
                                        ; implicit-def: $vgpr204_vgpr205
	s_delay_alu instid0(VALU_DEP_1)
	v_mul_f64 v[212:213], v[208:209], v[210:211]
	v_xor_b32_e32 v211, 0x80000000, v211
.LBB101_122:
	s_and_not1_saveexec_b32 s3, s3
	s_cbranch_execz .LBB101_124
; %bb.123:
	v_div_scale_f64 v[208:209], null, v[204:205], v[204:205], v[206:207]
	v_div_scale_f64 v[214:215], vcc_lo, v[206:207], v[204:205], v[206:207]
	s_delay_alu instid0(VALU_DEP_2) | instskip(SKIP_2) | instid1(VALU_DEP_1)
	v_rcp_f64_e32 v[210:211], v[208:209]
	s_waitcnt_depctr 0xfff
	v_fma_f64 v[212:213], -v[208:209], v[210:211], 1.0
	v_fma_f64 v[210:211], v[210:211], v[212:213], v[210:211]
	s_delay_alu instid0(VALU_DEP_1) | instskip(NEXT) | instid1(VALU_DEP_1)
	v_fma_f64 v[212:213], -v[208:209], v[210:211], 1.0
	v_fma_f64 v[210:211], v[210:211], v[212:213], v[210:211]
	s_delay_alu instid0(VALU_DEP_1) | instskip(NEXT) | instid1(VALU_DEP_1)
	v_mul_f64 v[212:213], v[214:215], v[210:211]
	v_fma_f64 v[208:209], -v[208:209], v[212:213], v[214:215]
	s_delay_alu instid0(VALU_DEP_1) | instskip(NEXT) | instid1(VALU_DEP_1)
	v_div_fmas_f64 v[208:209], v[208:209], v[210:211], v[212:213]
	v_div_fixup_f64 v[208:209], v[208:209], v[204:205], v[206:207]
	s_delay_alu instid0(VALU_DEP_1) | instskip(NEXT) | instid1(VALU_DEP_1)
	v_fma_f64 v[204:205], v[206:207], v[208:209], v[204:205]
	v_div_scale_f64 v[206:207], null, v[204:205], v[204:205], 1.0
	s_delay_alu instid0(VALU_DEP_1) | instskip(SKIP_2) | instid1(VALU_DEP_1)
	v_rcp_f64_e32 v[210:211], v[206:207]
	s_waitcnt_depctr 0xfff
	v_fma_f64 v[212:213], -v[206:207], v[210:211], 1.0
	v_fma_f64 v[210:211], v[210:211], v[212:213], v[210:211]
	s_delay_alu instid0(VALU_DEP_1) | instskip(NEXT) | instid1(VALU_DEP_1)
	v_fma_f64 v[212:213], -v[206:207], v[210:211], 1.0
	v_fma_f64 v[210:211], v[210:211], v[212:213], v[210:211]
	v_div_scale_f64 v[212:213], vcc_lo, 1.0, v[204:205], 1.0
	s_delay_alu instid0(VALU_DEP_1) | instskip(NEXT) | instid1(VALU_DEP_1)
	v_mul_f64 v[214:215], v[212:213], v[210:211]
	v_fma_f64 v[206:207], -v[206:207], v[214:215], v[212:213]
	s_delay_alu instid0(VALU_DEP_1) | instskip(NEXT) | instid1(VALU_DEP_1)
	v_div_fmas_f64 v[206:207], v[206:207], v[210:211], v[214:215]
	v_div_fixup_f64 v[212:213], v[206:207], v[204:205], 1.0
	s_delay_alu instid0(VALU_DEP_1)
	v_mul_f64 v[210:211], v[208:209], -v[212:213]
.LBB101_124:
	s_or_b32 exec_lo, exec_lo, s3
	ds_store_2addr_b64 v255, v[212:213], v[210:211] offset1:1
.LBB101_125:
	s_or_b32 exec_lo, exec_lo, s4
	s_waitcnt lgkmcnt(0)
	s_barrier
	buffer_gl0_inv
	ds_load_2addr_b64 v[204:207], v255 offset1:1
	s_mov_b32 s3, exec_lo
	s_waitcnt lgkmcnt(0)
	scratch_store_b128 off, v[204:207], off offset:632 ; 16-byte Folded Spill
	scratch_load_b32 v204, off, off         ; 4-byte Folded Reload
	s_waitcnt vmcnt(0)
	v_cmpx_lt_u32_e32 13, v204
	s_cbranch_execz .LBB101_127
; %bb.126:
	scratch_load_b128 v[206:209], off, off offset:632 ; 16-byte Folded Reload
	s_waitcnt vmcnt(0)
	v_mul_f64 v[204:205], v[208:209], v[150:151]
	v_mul_f64 v[150:151], v[206:207], v[150:151]
	s_delay_alu instid0(VALU_DEP_2) | instskip(NEXT) | instid1(VALU_DEP_2)
	v_fma_f64 v[204:205], v[206:207], v[148:149], -v[204:205]
	v_fma_f64 v[150:151], v[208:209], v[148:149], v[150:151]
	ds_load_2addr_b64 v[206:209], v254 offset0:28 offset1:29
	s_waitcnt lgkmcnt(0)
	v_mul_f64 v[148:149], v[208:209], v[150:151]
	s_delay_alu instid0(VALU_DEP_1) | instskip(SKIP_1) | instid1(VALU_DEP_2)
	v_fma_f64 v[148:149], v[206:207], v[204:205], -v[148:149]
	v_mul_f64 v[206:207], v[206:207], v[150:151]
	v_add_f64 v[144:145], v[144:145], -v[148:149]
	s_delay_alu instid0(VALU_DEP_2) | instskip(NEXT) | instid1(VALU_DEP_1)
	v_fma_f64 v[206:207], v[208:209], v[204:205], v[206:207]
	v_add_f64 v[146:147], v[146:147], -v[206:207]
	ds_load_2addr_b64 v[206:209], v254 offset0:30 offset1:31
	s_waitcnt lgkmcnt(0)
	v_mul_f64 v[148:149], v[208:209], v[150:151]
	s_delay_alu instid0(VALU_DEP_1) | instskip(SKIP_1) | instid1(VALU_DEP_2)
	v_fma_f64 v[148:149], v[206:207], v[204:205], -v[148:149]
	v_mul_f64 v[206:207], v[206:207], v[150:151]
	v_add_f64 v[140:141], v[140:141], -v[148:149]
	s_delay_alu instid0(VALU_DEP_2) | instskip(NEXT) | instid1(VALU_DEP_1)
	v_fma_f64 v[206:207], v[208:209], v[204:205], v[206:207]
	v_add_f64 v[142:143], v[142:143], -v[206:207]
	;; [unrolled: 10-line block ×36, first 2 shown]
	ds_load_2addr_b64 v[206:209], v254 offset0:100 offset1:101
	s_waitcnt lgkmcnt(0)
	v_mul_f64 v[148:149], v[208:209], v[150:151]
	s_delay_alu instid0(VALU_DEP_1) | instskip(SKIP_1) | instid1(VALU_DEP_2)
	v_fma_f64 v[148:149], v[206:207], v[204:205], -v[148:149]
	v_mul_f64 v[206:207], v[206:207], v[150:151]
	v_add_f64 v[0:1], v[0:1], -v[148:149]
	s_delay_alu instid0(VALU_DEP_2) | instskip(SKIP_1) | instid1(VALU_DEP_2)
	v_fma_f64 v[206:207], v[208:209], v[204:205], v[206:207]
	v_dual_mov_b32 v148, v204 :: v_dual_mov_b32 v149, v205
	v_add_f64 v[2:3], v[2:3], -v[206:207]
.LBB101_127:
	s_or_b32 exec_lo, exec_lo, s3
	scratch_load_b32 v204, off, off         ; 4-byte Folded Reload
	s_mov_b32 s4, exec_lo
	s_waitcnt vmcnt(0)
	s_waitcnt_vscnt null, 0x0
	s_barrier
	buffer_gl0_inv
	v_cmpx_eq_u32_e32 14, v204
	s_cbranch_execz .LBB101_134
; %bb.128:
	ds_store_2addr_b64 v255, v[144:145], v[146:147] offset1:1
	ds_store_2addr_b64 v254, v[140:141], v[142:143] offset0:30 offset1:31
	ds_store_2addr_b64 v254, v[136:137], v[138:139] offset0:32 offset1:33
	;; [unrolled: 1-line block ×36, first 2 shown]
	ds_load_2addr_b64 v[204:207], v255 offset1:1
	s_waitcnt lgkmcnt(0)
	v_cmp_neq_f64_e32 vcc_lo, 0, v[204:205]
	v_cmp_neq_f64_e64 s3, 0, v[206:207]
	s_delay_alu instid0(VALU_DEP_1) | instskip(NEXT) | instid1(SALU_CYCLE_1)
	s_or_b32 s3, vcc_lo, s3
	s_and_b32 exec_lo, exec_lo, s3
	s_cbranch_execz .LBB101_134
; %bb.129:
	v_cmp_gt_f64_e32 vcc_lo, 0, v[204:205]
	v_xor_b32_e32 v208, 0x80000000, v205
	v_xor_b32_e32 v210, 0x80000000, v207
	s_mov_b32 s3, exec_lo
                                        ; implicit-def: $vgpr212_vgpr213
	s_delay_alu instid0(VALU_DEP_2) | instskip(SKIP_4) | instid1(VALU_DEP_1)
	v_cndmask_b32_e32 v209, v205, v208, vcc_lo
	v_cndmask_b32_e32 v208, v204, v204, vcc_lo
	v_cmp_gt_f64_e32 vcc_lo, 0, v[206:207]
	v_cndmask_b32_e32 v211, v207, v210, vcc_lo
	v_cndmask_b32_e32 v210, v206, v206, vcc_lo
	v_cmpx_ngt_f64_e32 v[208:209], v[210:211]
	s_xor_b32 s3, exec_lo, s3
                                        ; implicit-def: $vgpr208_vgpr209_vgpr210_vgpr211
	s_cbranch_execz .LBB101_131
; %bb.130:
	v_div_scale_f64 v[208:209], null, v[206:207], v[206:207], v[204:205]
	v_div_scale_f64 v[214:215], vcc_lo, v[204:205], v[206:207], v[204:205]
	s_delay_alu instid0(VALU_DEP_2) | instskip(SKIP_2) | instid1(VALU_DEP_1)
	v_rcp_f64_e32 v[210:211], v[208:209]
	s_waitcnt_depctr 0xfff
	v_fma_f64 v[212:213], -v[208:209], v[210:211], 1.0
	v_fma_f64 v[210:211], v[210:211], v[212:213], v[210:211]
	s_delay_alu instid0(VALU_DEP_1) | instskip(NEXT) | instid1(VALU_DEP_1)
	v_fma_f64 v[212:213], -v[208:209], v[210:211], 1.0
	v_fma_f64 v[210:211], v[210:211], v[212:213], v[210:211]
	s_delay_alu instid0(VALU_DEP_1) | instskip(NEXT) | instid1(VALU_DEP_1)
	v_mul_f64 v[212:213], v[214:215], v[210:211]
	v_fma_f64 v[208:209], -v[208:209], v[212:213], v[214:215]
	s_delay_alu instid0(VALU_DEP_1) | instskip(NEXT) | instid1(VALU_DEP_1)
	v_div_fmas_f64 v[208:209], v[208:209], v[210:211], v[212:213]
	v_div_fixup_f64 v[208:209], v[208:209], v[206:207], v[204:205]
	s_delay_alu instid0(VALU_DEP_1) | instskip(NEXT) | instid1(VALU_DEP_1)
	v_fma_f64 v[204:205], v[204:205], v[208:209], v[206:207]
	v_div_scale_f64 v[206:207], null, v[204:205], v[204:205], 1.0
	s_delay_alu instid0(VALU_DEP_1) | instskip(SKIP_2) | instid1(VALU_DEP_1)
	v_rcp_f64_e32 v[210:211], v[206:207]
	s_waitcnt_depctr 0xfff
	v_fma_f64 v[212:213], -v[206:207], v[210:211], 1.0
	v_fma_f64 v[210:211], v[210:211], v[212:213], v[210:211]
	s_delay_alu instid0(VALU_DEP_1) | instskip(NEXT) | instid1(VALU_DEP_1)
	v_fma_f64 v[212:213], -v[206:207], v[210:211], 1.0
	v_fma_f64 v[210:211], v[210:211], v[212:213], v[210:211]
	v_div_scale_f64 v[212:213], vcc_lo, 1.0, v[204:205], 1.0
	s_delay_alu instid0(VALU_DEP_1) | instskip(NEXT) | instid1(VALU_DEP_1)
	v_mul_f64 v[214:215], v[212:213], v[210:211]
	v_fma_f64 v[206:207], -v[206:207], v[214:215], v[212:213]
	s_delay_alu instid0(VALU_DEP_1) | instskip(NEXT) | instid1(VALU_DEP_1)
	v_div_fmas_f64 v[206:207], v[206:207], v[210:211], v[214:215]
	v_div_fixup_f64 v[210:211], v[206:207], v[204:205], 1.0
                                        ; implicit-def: $vgpr204_vgpr205
	s_delay_alu instid0(VALU_DEP_1)
	v_mul_f64 v[212:213], v[208:209], v[210:211]
	v_xor_b32_e32 v211, 0x80000000, v211
.LBB101_131:
	s_and_not1_saveexec_b32 s3, s3
	s_cbranch_execz .LBB101_133
; %bb.132:
	v_div_scale_f64 v[208:209], null, v[204:205], v[204:205], v[206:207]
	v_div_scale_f64 v[214:215], vcc_lo, v[206:207], v[204:205], v[206:207]
	s_delay_alu instid0(VALU_DEP_2) | instskip(SKIP_2) | instid1(VALU_DEP_1)
	v_rcp_f64_e32 v[210:211], v[208:209]
	s_waitcnt_depctr 0xfff
	v_fma_f64 v[212:213], -v[208:209], v[210:211], 1.0
	v_fma_f64 v[210:211], v[210:211], v[212:213], v[210:211]
	s_delay_alu instid0(VALU_DEP_1) | instskip(NEXT) | instid1(VALU_DEP_1)
	v_fma_f64 v[212:213], -v[208:209], v[210:211], 1.0
	v_fma_f64 v[210:211], v[210:211], v[212:213], v[210:211]
	s_delay_alu instid0(VALU_DEP_1) | instskip(NEXT) | instid1(VALU_DEP_1)
	v_mul_f64 v[212:213], v[214:215], v[210:211]
	v_fma_f64 v[208:209], -v[208:209], v[212:213], v[214:215]
	s_delay_alu instid0(VALU_DEP_1) | instskip(NEXT) | instid1(VALU_DEP_1)
	v_div_fmas_f64 v[208:209], v[208:209], v[210:211], v[212:213]
	v_div_fixup_f64 v[208:209], v[208:209], v[204:205], v[206:207]
	s_delay_alu instid0(VALU_DEP_1) | instskip(NEXT) | instid1(VALU_DEP_1)
	v_fma_f64 v[204:205], v[206:207], v[208:209], v[204:205]
	v_div_scale_f64 v[206:207], null, v[204:205], v[204:205], 1.0
	s_delay_alu instid0(VALU_DEP_1) | instskip(SKIP_2) | instid1(VALU_DEP_1)
	v_rcp_f64_e32 v[210:211], v[206:207]
	s_waitcnt_depctr 0xfff
	v_fma_f64 v[212:213], -v[206:207], v[210:211], 1.0
	v_fma_f64 v[210:211], v[210:211], v[212:213], v[210:211]
	s_delay_alu instid0(VALU_DEP_1) | instskip(NEXT) | instid1(VALU_DEP_1)
	v_fma_f64 v[212:213], -v[206:207], v[210:211], 1.0
	v_fma_f64 v[210:211], v[210:211], v[212:213], v[210:211]
	v_div_scale_f64 v[212:213], vcc_lo, 1.0, v[204:205], 1.0
	s_delay_alu instid0(VALU_DEP_1) | instskip(NEXT) | instid1(VALU_DEP_1)
	v_mul_f64 v[214:215], v[212:213], v[210:211]
	v_fma_f64 v[206:207], -v[206:207], v[214:215], v[212:213]
	s_delay_alu instid0(VALU_DEP_1) | instskip(NEXT) | instid1(VALU_DEP_1)
	v_div_fmas_f64 v[206:207], v[206:207], v[210:211], v[214:215]
	v_div_fixup_f64 v[212:213], v[206:207], v[204:205], 1.0
	s_delay_alu instid0(VALU_DEP_1)
	v_mul_f64 v[210:211], v[208:209], -v[212:213]
.LBB101_133:
	s_or_b32 exec_lo, exec_lo, s3
	ds_store_2addr_b64 v255, v[212:213], v[210:211] offset1:1
.LBB101_134:
	s_or_b32 exec_lo, exec_lo, s4
	s_waitcnt lgkmcnt(0)
	s_barrier
	buffer_gl0_inv
	ds_load_2addr_b64 v[204:207], v255 offset1:1
	s_mov_b32 s3, exec_lo
	s_waitcnt lgkmcnt(0)
	scratch_store_b128 off, v[204:207], off offset:648 ; 16-byte Folded Spill
	scratch_load_b32 v204, off, off         ; 4-byte Folded Reload
	s_waitcnt vmcnt(0)
	v_cmpx_lt_u32_e32 14, v204
	s_cbranch_execz .LBB101_136
; %bb.135:
	scratch_load_b128 v[206:209], off, off offset:648 ; 16-byte Folded Reload
	s_waitcnt vmcnt(0)
	v_mul_f64 v[204:205], v[208:209], v[146:147]
	v_mul_f64 v[146:147], v[206:207], v[146:147]
	s_delay_alu instid0(VALU_DEP_2) | instskip(NEXT) | instid1(VALU_DEP_2)
	v_fma_f64 v[204:205], v[206:207], v[144:145], -v[204:205]
	v_fma_f64 v[146:147], v[208:209], v[144:145], v[146:147]
	ds_load_2addr_b64 v[206:209], v254 offset0:30 offset1:31
	s_waitcnt lgkmcnt(0)
	v_mul_f64 v[144:145], v[208:209], v[146:147]
	s_delay_alu instid0(VALU_DEP_1) | instskip(SKIP_1) | instid1(VALU_DEP_2)
	v_fma_f64 v[144:145], v[206:207], v[204:205], -v[144:145]
	v_mul_f64 v[206:207], v[206:207], v[146:147]
	v_add_f64 v[140:141], v[140:141], -v[144:145]
	s_delay_alu instid0(VALU_DEP_2) | instskip(NEXT) | instid1(VALU_DEP_1)
	v_fma_f64 v[206:207], v[208:209], v[204:205], v[206:207]
	v_add_f64 v[142:143], v[142:143], -v[206:207]
	ds_load_2addr_b64 v[206:209], v254 offset0:32 offset1:33
	s_waitcnt lgkmcnt(0)
	v_mul_f64 v[144:145], v[208:209], v[146:147]
	s_delay_alu instid0(VALU_DEP_1) | instskip(SKIP_1) | instid1(VALU_DEP_2)
	v_fma_f64 v[144:145], v[206:207], v[204:205], -v[144:145]
	v_mul_f64 v[206:207], v[206:207], v[146:147]
	v_add_f64 v[136:137], v[136:137], -v[144:145]
	s_delay_alu instid0(VALU_DEP_2) | instskip(NEXT) | instid1(VALU_DEP_1)
	v_fma_f64 v[206:207], v[208:209], v[204:205], v[206:207]
	v_add_f64 v[138:139], v[138:139], -v[206:207]
	;; [unrolled: 10-line block ×35, first 2 shown]
	ds_load_2addr_b64 v[206:209], v254 offset0:100 offset1:101
	s_waitcnt lgkmcnt(0)
	v_mul_f64 v[144:145], v[208:209], v[146:147]
	s_delay_alu instid0(VALU_DEP_1) | instskip(SKIP_1) | instid1(VALU_DEP_2)
	v_fma_f64 v[144:145], v[206:207], v[204:205], -v[144:145]
	v_mul_f64 v[206:207], v[206:207], v[146:147]
	v_add_f64 v[0:1], v[0:1], -v[144:145]
	s_delay_alu instid0(VALU_DEP_2) | instskip(SKIP_1) | instid1(VALU_DEP_2)
	v_fma_f64 v[206:207], v[208:209], v[204:205], v[206:207]
	v_dual_mov_b32 v144, v204 :: v_dual_mov_b32 v145, v205
	v_add_f64 v[2:3], v[2:3], -v[206:207]
.LBB101_136:
	s_or_b32 exec_lo, exec_lo, s3
	scratch_load_b32 v204, off, off         ; 4-byte Folded Reload
	s_mov_b32 s4, exec_lo
	s_waitcnt vmcnt(0)
	s_waitcnt_vscnt null, 0x0
	s_barrier
	buffer_gl0_inv
	v_cmpx_eq_u32_e32 15, v204
	s_cbranch_execz .LBB101_143
; %bb.137:
	ds_store_2addr_b64 v255, v[140:141], v[142:143] offset1:1
	ds_store_2addr_b64 v254, v[136:137], v[138:139] offset0:32 offset1:33
	ds_store_2addr_b64 v254, v[132:133], v[134:135] offset0:34 offset1:35
	;; [unrolled: 1-line block ×35, first 2 shown]
	ds_load_2addr_b64 v[204:207], v255 offset1:1
	s_waitcnt lgkmcnt(0)
	v_cmp_neq_f64_e32 vcc_lo, 0, v[204:205]
	v_cmp_neq_f64_e64 s3, 0, v[206:207]
	s_delay_alu instid0(VALU_DEP_1) | instskip(NEXT) | instid1(SALU_CYCLE_1)
	s_or_b32 s3, vcc_lo, s3
	s_and_b32 exec_lo, exec_lo, s3
	s_cbranch_execz .LBB101_143
; %bb.138:
	v_cmp_gt_f64_e32 vcc_lo, 0, v[204:205]
	v_xor_b32_e32 v208, 0x80000000, v205
	v_xor_b32_e32 v210, 0x80000000, v207
	s_mov_b32 s3, exec_lo
                                        ; implicit-def: $vgpr212_vgpr213
	s_delay_alu instid0(VALU_DEP_2) | instskip(SKIP_4) | instid1(VALU_DEP_1)
	v_cndmask_b32_e32 v209, v205, v208, vcc_lo
	v_cndmask_b32_e32 v208, v204, v204, vcc_lo
	v_cmp_gt_f64_e32 vcc_lo, 0, v[206:207]
	v_cndmask_b32_e32 v211, v207, v210, vcc_lo
	v_cndmask_b32_e32 v210, v206, v206, vcc_lo
	v_cmpx_ngt_f64_e32 v[208:209], v[210:211]
	s_xor_b32 s3, exec_lo, s3
                                        ; implicit-def: $vgpr208_vgpr209_vgpr210_vgpr211
	s_cbranch_execz .LBB101_140
; %bb.139:
	v_div_scale_f64 v[208:209], null, v[206:207], v[206:207], v[204:205]
	v_div_scale_f64 v[214:215], vcc_lo, v[204:205], v[206:207], v[204:205]
	s_delay_alu instid0(VALU_DEP_2) | instskip(SKIP_2) | instid1(VALU_DEP_1)
	v_rcp_f64_e32 v[210:211], v[208:209]
	s_waitcnt_depctr 0xfff
	v_fma_f64 v[212:213], -v[208:209], v[210:211], 1.0
	v_fma_f64 v[210:211], v[210:211], v[212:213], v[210:211]
	s_delay_alu instid0(VALU_DEP_1) | instskip(NEXT) | instid1(VALU_DEP_1)
	v_fma_f64 v[212:213], -v[208:209], v[210:211], 1.0
	v_fma_f64 v[210:211], v[210:211], v[212:213], v[210:211]
	s_delay_alu instid0(VALU_DEP_1) | instskip(NEXT) | instid1(VALU_DEP_1)
	v_mul_f64 v[212:213], v[214:215], v[210:211]
	v_fma_f64 v[208:209], -v[208:209], v[212:213], v[214:215]
	s_delay_alu instid0(VALU_DEP_1) | instskip(NEXT) | instid1(VALU_DEP_1)
	v_div_fmas_f64 v[208:209], v[208:209], v[210:211], v[212:213]
	v_div_fixup_f64 v[208:209], v[208:209], v[206:207], v[204:205]
	s_delay_alu instid0(VALU_DEP_1) | instskip(NEXT) | instid1(VALU_DEP_1)
	v_fma_f64 v[204:205], v[204:205], v[208:209], v[206:207]
	v_div_scale_f64 v[206:207], null, v[204:205], v[204:205], 1.0
	s_delay_alu instid0(VALU_DEP_1) | instskip(SKIP_2) | instid1(VALU_DEP_1)
	v_rcp_f64_e32 v[210:211], v[206:207]
	s_waitcnt_depctr 0xfff
	v_fma_f64 v[212:213], -v[206:207], v[210:211], 1.0
	v_fma_f64 v[210:211], v[210:211], v[212:213], v[210:211]
	s_delay_alu instid0(VALU_DEP_1) | instskip(NEXT) | instid1(VALU_DEP_1)
	v_fma_f64 v[212:213], -v[206:207], v[210:211], 1.0
	v_fma_f64 v[210:211], v[210:211], v[212:213], v[210:211]
	v_div_scale_f64 v[212:213], vcc_lo, 1.0, v[204:205], 1.0
	s_delay_alu instid0(VALU_DEP_1) | instskip(NEXT) | instid1(VALU_DEP_1)
	v_mul_f64 v[214:215], v[212:213], v[210:211]
	v_fma_f64 v[206:207], -v[206:207], v[214:215], v[212:213]
	s_delay_alu instid0(VALU_DEP_1) | instskip(NEXT) | instid1(VALU_DEP_1)
	v_div_fmas_f64 v[206:207], v[206:207], v[210:211], v[214:215]
	v_div_fixup_f64 v[210:211], v[206:207], v[204:205], 1.0
                                        ; implicit-def: $vgpr204_vgpr205
	s_delay_alu instid0(VALU_DEP_1)
	v_mul_f64 v[212:213], v[208:209], v[210:211]
	v_xor_b32_e32 v211, 0x80000000, v211
.LBB101_140:
	s_and_not1_saveexec_b32 s3, s3
	s_cbranch_execz .LBB101_142
; %bb.141:
	v_div_scale_f64 v[208:209], null, v[204:205], v[204:205], v[206:207]
	v_div_scale_f64 v[214:215], vcc_lo, v[206:207], v[204:205], v[206:207]
	s_delay_alu instid0(VALU_DEP_2) | instskip(SKIP_2) | instid1(VALU_DEP_1)
	v_rcp_f64_e32 v[210:211], v[208:209]
	s_waitcnt_depctr 0xfff
	v_fma_f64 v[212:213], -v[208:209], v[210:211], 1.0
	v_fma_f64 v[210:211], v[210:211], v[212:213], v[210:211]
	s_delay_alu instid0(VALU_DEP_1) | instskip(NEXT) | instid1(VALU_DEP_1)
	v_fma_f64 v[212:213], -v[208:209], v[210:211], 1.0
	v_fma_f64 v[210:211], v[210:211], v[212:213], v[210:211]
	s_delay_alu instid0(VALU_DEP_1) | instskip(NEXT) | instid1(VALU_DEP_1)
	v_mul_f64 v[212:213], v[214:215], v[210:211]
	v_fma_f64 v[208:209], -v[208:209], v[212:213], v[214:215]
	s_delay_alu instid0(VALU_DEP_1) | instskip(NEXT) | instid1(VALU_DEP_1)
	v_div_fmas_f64 v[208:209], v[208:209], v[210:211], v[212:213]
	v_div_fixup_f64 v[208:209], v[208:209], v[204:205], v[206:207]
	s_delay_alu instid0(VALU_DEP_1) | instskip(NEXT) | instid1(VALU_DEP_1)
	v_fma_f64 v[204:205], v[206:207], v[208:209], v[204:205]
	v_div_scale_f64 v[206:207], null, v[204:205], v[204:205], 1.0
	s_delay_alu instid0(VALU_DEP_1) | instskip(SKIP_2) | instid1(VALU_DEP_1)
	v_rcp_f64_e32 v[210:211], v[206:207]
	s_waitcnt_depctr 0xfff
	v_fma_f64 v[212:213], -v[206:207], v[210:211], 1.0
	v_fma_f64 v[210:211], v[210:211], v[212:213], v[210:211]
	s_delay_alu instid0(VALU_DEP_1) | instskip(NEXT) | instid1(VALU_DEP_1)
	v_fma_f64 v[212:213], -v[206:207], v[210:211], 1.0
	v_fma_f64 v[210:211], v[210:211], v[212:213], v[210:211]
	v_div_scale_f64 v[212:213], vcc_lo, 1.0, v[204:205], 1.0
	s_delay_alu instid0(VALU_DEP_1) | instskip(NEXT) | instid1(VALU_DEP_1)
	v_mul_f64 v[214:215], v[212:213], v[210:211]
	v_fma_f64 v[206:207], -v[206:207], v[214:215], v[212:213]
	s_delay_alu instid0(VALU_DEP_1) | instskip(NEXT) | instid1(VALU_DEP_1)
	v_div_fmas_f64 v[206:207], v[206:207], v[210:211], v[214:215]
	v_div_fixup_f64 v[212:213], v[206:207], v[204:205], 1.0
	s_delay_alu instid0(VALU_DEP_1)
	v_mul_f64 v[210:211], v[208:209], -v[212:213]
.LBB101_142:
	s_or_b32 exec_lo, exec_lo, s3
	ds_store_2addr_b64 v255, v[212:213], v[210:211] offset1:1
.LBB101_143:
	s_or_b32 exec_lo, exec_lo, s4
	s_waitcnt lgkmcnt(0)
	s_barrier
	buffer_gl0_inv
	ds_load_2addr_b64 v[204:207], v255 offset1:1
	s_mov_b32 s3, exec_lo
	s_waitcnt lgkmcnt(0)
	scratch_store_b128 off, v[204:207], off offset:664 ; 16-byte Folded Spill
	scratch_load_b32 v204, off, off         ; 4-byte Folded Reload
	s_waitcnt vmcnt(0)
	v_cmpx_lt_u32_e32 15, v204
	s_cbranch_execz .LBB101_145
; %bb.144:
	scratch_load_b128 v[206:209], off, off offset:664 ; 16-byte Folded Reload
	s_waitcnt vmcnt(0)
	v_mul_f64 v[204:205], v[208:209], v[142:143]
	v_mul_f64 v[142:143], v[206:207], v[142:143]
	s_delay_alu instid0(VALU_DEP_2) | instskip(NEXT) | instid1(VALU_DEP_2)
	v_fma_f64 v[204:205], v[206:207], v[140:141], -v[204:205]
	v_fma_f64 v[142:143], v[208:209], v[140:141], v[142:143]
	ds_load_2addr_b64 v[206:209], v254 offset0:32 offset1:33
	s_waitcnt lgkmcnt(0)
	v_mul_f64 v[140:141], v[208:209], v[142:143]
	s_delay_alu instid0(VALU_DEP_1) | instskip(SKIP_1) | instid1(VALU_DEP_2)
	v_fma_f64 v[140:141], v[206:207], v[204:205], -v[140:141]
	v_mul_f64 v[206:207], v[206:207], v[142:143]
	v_add_f64 v[136:137], v[136:137], -v[140:141]
	s_delay_alu instid0(VALU_DEP_2) | instskip(NEXT) | instid1(VALU_DEP_1)
	v_fma_f64 v[206:207], v[208:209], v[204:205], v[206:207]
	v_add_f64 v[138:139], v[138:139], -v[206:207]
	ds_load_2addr_b64 v[206:209], v254 offset0:34 offset1:35
	s_waitcnt lgkmcnt(0)
	v_mul_f64 v[140:141], v[208:209], v[142:143]
	s_delay_alu instid0(VALU_DEP_1) | instskip(SKIP_1) | instid1(VALU_DEP_2)
	v_fma_f64 v[140:141], v[206:207], v[204:205], -v[140:141]
	v_mul_f64 v[206:207], v[206:207], v[142:143]
	v_add_f64 v[132:133], v[132:133], -v[140:141]
	s_delay_alu instid0(VALU_DEP_2) | instskip(NEXT) | instid1(VALU_DEP_1)
	v_fma_f64 v[206:207], v[208:209], v[204:205], v[206:207]
	v_add_f64 v[134:135], v[134:135], -v[206:207]
	;; [unrolled: 10-line block ×34, first 2 shown]
	ds_load_2addr_b64 v[206:209], v254 offset0:100 offset1:101
	s_waitcnt lgkmcnt(0)
	v_mul_f64 v[140:141], v[208:209], v[142:143]
	s_delay_alu instid0(VALU_DEP_1) | instskip(SKIP_1) | instid1(VALU_DEP_2)
	v_fma_f64 v[140:141], v[206:207], v[204:205], -v[140:141]
	v_mul_f64 v[206:207], v[206:207], v[142:143]
	v_add_f64 v[0:1], v[0:1], -v[140:141]
	s_delay_alu instid0(VALU_DEP_2) | instskip(SKIP_1) | instid1(VALU_DEP_2)
	v_fma_f64 v[206:207], v[208:209], v[204:205], v[206:207]
	v_dual_mov_b32 v140, v204 :: v_dual_mov_b32 v141, v205
	v_add_f64 v[2:3], v[2:3], -v[206:207]
.LBB101_145:
	s_or_b32 exec_lo, exec_lo, s3
	scratch_load_b32 v204, off, off         ; 4-byte Folded Reload
	s_mov_b32 s4, exec_lo
	s_waitcnt vmcnt(0)
	s_waitcnt_vscnt null, 0x0
	s_barrier
	buffer_gl0_inv
	v_cmpx_eq_u32_e32 16, v204
	s_cbranch_execz .LBB101_152
; %bb.146:
	ds_store_2addr_b64 v255, v[136:137], v[138:139] offset1:1
	ds_store_2addr_b64 v254, v[132:133], v[134:135] offset0:34 offset1:35
	ds_store_2addr_b64 v254, v[128:129], v[130:131] offset0:36 offset1:37
	;; [unrolled: 1-line block ×34, first 2 shown]
	ds_load_2addr_b64 v[204:207], v255 offset1:1
	s_waitcnt lgkmcnt(0)
	v_cmp_neq_f64_e32 vcc_lo, 0, v[204:205]
	v_cmp_neq_f64_e64 s3, 0, v[206:207]
	s_delay_alu instid0(VALU_DEP_1) | instskip(NEXT) | instid1(SALU_CYCLE_1)
	s_or_b32 s3, vcc_lo, s3
	s_and_b32 exec_lo, exec_lo, s3
	s_cbranch_execz .LBB101_152
; %bb.147:
	v_cmp_gt_f64_e32 vcc_lo, 0, v[204:205]
	v_xor_b32_e32 v208, 0x80000000, v205
	v_xor_b32_e32 v210, 0x80000000, v207
	s_mov_b32 s3, exec_lo
                                        ; implicit-def: $vgpr212_vgpr213
	s_delay_alu instid0(VALU_DEP_2) | instskip(SKIP_4) | instid1(VALU_DEP_1)
	v_cndmask_b32_e32 v209, v205, v208, vcc_lo
	v_cndmask_b32_e32 v208, v204, v204, vcc_lo
	v_cmp_gt_f64_e32 vcc_lo, 0, v[206:207]
	v_cndmask_b32_e32 v211, v207, v210, vcc_lo
	v_cndmask_b32_e32 v210, v206, v206, vcc_lo
	v_cmpx_ngt_f64_e32 v[208:209], v[210:211]
	s_xor_b32 s3, exec_lo, s3
                                        ; implicit-def: $vgpr208_vgpr209_vgpr210_vgpr211
	s_cbranch_execz .LBB101_149
; %bb.148:
	v_div_scale_f64 v[208:209], null, v[206:207], v[206:207], v[204:205]
	v_div_scale_f64 v[214:215], vcc_lo, v[204:205], v[206:207], v[204:205]
	s_delay_alu instid0(VALU_DEP_2) | instskip(SKIP_2) | instid1(VALU_DEP_1)
	v_rcp_f64_e32 v[210:211], v[208:209]
	s_waitcnt_depctr 0xfff
	v_fma_f64 v[212:213], -v[208:209], v[210:211], 1.0
	v_fma_f64 v[210:211], v[210:211], v[212:213], v[210:211]
	s_delay_alu instid0(VALU_DEP_1) | instskip(NEXT) | instid1(VALU_DEP_1)
	v_fma_f64 v[212:213], -v[208:209], v[210:211], 1.0
	v_fma_f64 v[210:211], v[210:211], v[212:213], v[210:211]
	s_delay_alu instid0(VALU_DEP_1) | instskip(NEXT) | instid1(VALU_DEP_1)
	v_mul_f64 v[212:213], v[214:215], v[210:211]
	v_fma_f64 v[208:209], -v[208:209], v[212:213], v[214:215]
	s_delay_alu instid0(VALU_DEP_1) | instskip(NEXT) | instid1(VALU_DEP_1)
	v_div_fmas_f64 v[208:209], v[208:209], v[210:211], v[212:213]
	v_div_fixup_f64 v[208:209], v[208:209], v[206:207], v[204:205]
	s_delay_alu instid0(VALU_DEP_1) | instskip(NEXT) | instid1(VALU_DEP_1)
	v_fma_f64 v[204:205], v[204:205], v[208:209], v[206:207]
	v_div_scale_f64 v[206:207], null, v[204:205], v[204:205], 1.0
	s_delay_alu instid0(VALU_DEP_1) | instskip(SKIP_2) | instid1(VALU_DEP_1)
	v_rcp_f64_e32 v[210:211], v[206:207]
	s_waitcnt_depctr 0xfff
	v_fma_f64 v[212:213], -v[206:207], v[210:211], 1.0
	v_fma_f64 v[210:211], v[210:211], v[212:213], v[210:211]
	s_delay_alu instid0(VALU_DEP_1) | instskip(NEXT) | instid1(VALU_DEP_1)
	v_fma_f64 v[212:213], -v[206:207], v[210:211], 1.0
	v_fma_f64 v[210:211], v[210:211], v[212:213], v[210:211]
	v_div_scale_f64 v[212:213], vcc_lo, 1.0, v[204:205], 1.0
	s_delay_alu instid0(VALU_DEP_1) | instskip(NEXT) | instid1(VALU_DEP_1)
	v_mul_f64 v[214:215], v[212:213], v[210:211]
	v_fma_f64 v[206:207], -v[206:207], v[214:215], v[212:213]
	s_delay_alu instid0(VALU_DEP_1) | instskip(NEXT) | instid1(VALU_DEP_1)
	v_div_fmas_f64 v[206:207], v[206:207], v[210:211], v[214:215]
	v_div_fixup_f64 v[210:211], v[206:207], v[204:205], 1.0
                                        ; implicit-def: $vgpr204_vgpr205
	s_delay_alu instid0(VALU_DEP_1)
	v_mul_f64 v[212:213], v[208:209], v[210:211]
	v_xor_b32_e32 v211, 0x80000000, v211
.LBB101_149:
	s_and_not1_saveexec_b32 s3, s3
	s_cbranch_execz .LBB101_151
; %bb.150:
	v_div_scale_f64 v[208:209], null, v[204:205], v[204:205], v[206:207]
	v_div_scale_f64 v[214:215], vcc_lo, v[206:207], v[204:205], v[206:207]
	s_delay_alu instid0(VALU_DEP_2) | instskip(SKIP_2) | instid1(VALU_DEP_1)
	v_rcp_f64_e32 v[210:211], v[208:209]
	s_waitcnt_depctr 0xfff
	v_fma_f64 v[212:213], -v[208:209], v[210:211], 1.0
	v_fma_f64 v[210:211], v[210:211], v[212:213], v[210:211]
	s_delay_alu instid0(VALU_DEP_1) | instskip(NEXT) | instid1(VALU_DEP_1)
	v_fma_f64 v[212:213], -v[208:209], v[210:211], 1.0
	v_fma_f64 v[210:211], v[210:211], v[212:213], v[210:211]
	s_delay_alu instid0(VALU_DEP_1) | instskip(NEXT) | instid1(VALU_DEP_1)
	v_mul_f64 v[212:213], v[214:215], v[210:211]
	v_fma_f64 v[208:209], -v[208:209], v[212:213], v[214:215]
	s_delay_alu instid0(VALU_DEP_1) | instskip(NEXT) | instid1(VALU_DEP_1)
	v_div_fmas_f64 v[208:209], v[208:209], v[210:211], v[212:213]
	v_div_fixup_f64 v[208:209], v[208:209], v[204:205], v[206:207]
	s_delay_alu instid0(VALU_DEP_1) | instskip(NEXT) | instid1(VALU_DEP_1)
	v_fma_f64 v[204:205], v[206:207], v[208:209], v[204:205]
	v_div_scale_f64 v[206:207], null, v[204:205], v[204:205], 1.0
	s_delay_alu instid0(VALU_DEP_1) | instskip(SKIP_2) | instid1(VALU_DEP_1)
	v_rcp_f64_e32 v[210:211], v[206:207]
	s_waitcnt_depctr 0xfff
	v_fma_f64 v[212:213], -v[206:207], v[210:211], 1.0
	v_fma_f64 v[210:211], v[210:211], v[212:213], v[210:211]
	s_delay_alu instid0(VALU_DEP_1) | instskip(NEXT) | instid1(VALU_DEP_1)
	v_fma_f64 v[212:213], -v[206:207], v[210:211], 1.0
	v_fma_f64 v[210:211], v[210:211], v[212:213], v[210:211]
	v_div_scale_f64 v[212:213], vcc_lo, 1.0, v[204:205], 1.0
	s_delay_alu instid0(VALU_DEP_1) | instskip(NEXT) | instid1(VALU_DEP_1)
	v_mul_f64 v[214:215], v[212:213], v[210:211]
	v_fma_f64 v[206:207], -v[206:207], v[214:215], v[212:213]
	s_delay_alu instid0(VALU_DEP_1) | instskip(NEXT) | instid1(VALU_DEP_1)
	v_div_fmas_f64 v[206:207], v[206:207], v[210:211], v[214:215]
	v_div_fixup_f64 v[212:213], v[206:207], v[204:205], 1.0
	s_delay_alu instid0(VALU_DEP_1)
	v_mul_f64 v[210:211], v[208:209], -v[212:213]
.LBB101_151:
	s_or_b32 exec_lo, exec_lo, s3
	ds_store_2addr_b64 v255, v[212:213], v[210:211] offset1:1
.LBB101_152:
	s_or_b32 exec_lo, exec_lo, s4
	s_waitcnt lgkmcnt(0)
	s_barrier
	buffer_gl0_inv
	ds_load_2addr_b64 v[204:207], v255 offset1:1
	s_mov_b32 s3, exec_lo
	s_waitcnt lgkmcnt(0)
	scratch_store_b128 off, v[204:207], off offset:680 ; 16-byte Folded Spill
	scratch_load_b32 v204, off, off         ; 4-byte Folded Reload
	s_waitcnt vmcnt(0)
	v_cmpx_lt_u32_e32 16, v204
	s_cbranch_execz .LBB101_154
; %bb.153:
	scratch_load_b128 v[206:209], off, off offset:680 ; 16-byte Folded Reload
	s_waitcnt vmcnt(0)
	v_mul_f64 v[204:205], v[208:209], v[138:139]
	v_mul_f64 v[138:139], v[206:207], v[138:139]
	s_delay_alu instid0(VALU_DEP_2) | instskip(NEXT) | instid1(VALU_DEP_2)
	v_fma_f64 v[204:205], v[206:207], v[136:137], -v[204:205]
	v_fma_f64 v[138:139], v[208:209], v[136:137], v[138:139]
	ds_load_2addr_b64 v[206:209], v254 offset0:34 offset1:35
	s_waitcnt lgkmcnt(0)
	v_mul_f64 v[136:137], v[208:209], v[138:139]
	s_delay_alu instid0(VALU_DEP_1) | instskip(SKIP_1) | instid1(VALU_DEP_2)
	v_fma_f64 v[136:137], v[206:207], v[204:205], -v[136:137]
	v_mul_f64 v[206:207], v[206:207], v[138:139]
	v_add_f64 v[132:133], v[132:133], -v[136:137]
	s_delay_alu instid0(VALU_DEP_2) | instskip(NEXT) | instid1(VALU_DEP_1)
	v_fma_f64 v[206:207], v[208:209], v[204:205], v[206:207]
	v_add_f64 v[134:135], v[134:135], -v[206:207]
	ds_load_2addr_b64 v[206:209], v254 offset0:36 offset1:37
	s_waitcnt lgkmcnt(0)
	v_mul_f64 v[136:137], v[208:209], v[138:139]
	s_delay_alu instid0(VALU_DEP_1) | instskip(SKIP_1) | instid1(VALU_DEP_2)
	v_fma_f64 v[136:137], v[206:207], v[204:205], -v[136:137]
	v_mul_f64 v[206:207], v[206:207], v[138:139]
	v_add_f64 v[128:129], v[128:129], -v[136:137]
	s_delay_alu instid0(VALU_DEP_2) | instskip(NEXT) | instid1(VALU_DEP_1)
	v_fma_f64 v[206:207], v[208:209], v[204:205], v[206:207]
	v_add_f64 v[130:131], v[130:131], -v[206:207]
	;; [unrolled: 10-line block ×33, first 2 shown]
	ds_load_2addr_b64 v[206:209], v254 offset0:100 offset1:101
	s_waitcnt lgkmcnt(0)
	v_mul_f64 v[136:137], v[208:209], v[138:139]
	s_delay_alu instid0(VALU_DEP_1) | instskip(SKIP_1) | instid1(VALU_DEP_2)
	v_fma_f64 v[136:137], v[206:207], v[204:205], -v[136:137]
	v_mul_f64 v[206:207], v[206:207], v[138:139]
	v_add_f64 v[0:1], v[0:1], -v[136:137]
	s_delay_alu instid0(VALU_DEP_2) | instskip(SKIP_1) | instid1(VALU_DEP_2)
	v_fma_f64 v[206:207], v[208:209], v[204:205], v[206:207]
	v_dual_mov_b32 v136, v204 :: v_dual_mov_b32 v137, v205
	v_add_f64 v[2:3], v[2:3], -v[206:207]
.LBB101_154:
	s_or_b32 exec_lo, exec_lo, s3
	scratch_load_b32 v204, off, off         ; 4-byte Folded Reload
	s_mov_b32 s4, exec_lo
	s_waitcnt vmcnt(0)
	s_waitcnt_vscnt null, 0x0
	s_barrier
	buffer_gl0_inv
	v_cmpx_eq_u32_e32 17, v204
	s_cbranch_execz .LBB101_161
; %bb.155:
	ds_store_2addr_b64 v255, v[132:133], v[134:135] offset1:1
	ds_store_2addr_b64 v254, v[128:129], v[130:131] offset0:36 offset1:37
	ds_store_2addr_b64 v254, v[124:125], v[126:127] offset0:38 offset1:39
	;; [unrolled: 1-line block ×33, first 2 shown]
	ds_load_2addr_b64 v[204:207], v255 offset1:1
	s_waitcnt lgkmcnt(0)
	v_cmp_neq_f64_e32 vcc_lo, 0, v[204:205]
	v_cmp_neq_f64_e64 s3, 0, v[206:207]
	s_delay_alu instid0(VALU_DEP_1) | instskip(NEXT) | instid1(SALU_CYCLE_1)
	s_or_b32 s3, vcc_lo, s3
	s_and_b32 exec_lo, exec_lo, s3
	s_cbranch_execz .LBB101_161
; %bb.156:
	v_cmp_gt_f64_e32 vcc_lo, 0, v[204:205]
	v_xor_b32_e32 v208, 0x80000000, v205
	v_xor_b32_e32 v210, 0x80000000, v207
	s_mov_b32 s3, exec_lo
                                        ; implicit-def: $vgpr212_vgpr213
	s_delay_alu instid0(VALU_DEP_2) | instskip(SKIP_4) | instid1(VALU_DEP_1)
	v_cndmask_b32_e32 v209, v205, v208, vcc_lo
	v_cndmask_b32_e32 v208, v204, v204, vcc_lo
	v_cmp_gt_f64_e32 vcc_lo, 0, v[206:207]
	v_cndmask_b32_e32 v211, v207, v210, vcc_lo
	v_cndmask_b32_e32 v210, v206, v206, vcc_lo
	v_cmpx_ngt_f64_e32 v[208:209], v[210:211]
	s_xor_b32 s3, exec_lo, s3
                                        ; implicit-def: $vgpr208_vgpr209_vgpr210_vgpr211
	s_cbranch_execz .LBB101_158
; %bb.157:
	v_div_scale_f64 v[208:209], null, v[206:207], v[206:207], v[204:205]
	v_div_scale_f64 v[214:215], vcc_lo, v[204:205], v[206:207], v[204:205]
	s_delay_alu instid0(VALU_DEP_2) | instskip(SKIP_2) | instid1(VALU_DEP_1)
	v_rcp_f64_e32 v[210:211], v[208:209]
	s_waitcnt_depctr 0xfff
	v_fma_f64 v[212:213], -v[208:209], v[210:211], 1.0
	v_fma_f64 v[210:211], v[210:211], v[212:213], v[210:211]
	s_delay_alu instid0(VALU_DEP_1) | instskip(NEXT) | instid1(VALU_DEP_1)
	v_fma_f64 v[212:213], -v[208:209], v[210:211], 1.0
	v_fma_f64 v[210:211], v[210:211], v[212:213], v[210:211]
	s_delay_alu instid0(VALU_DEP_1) | instskip(NEXT) | instid1(VALU_DEP_1)
	v_mul_f64 v[212:213], v[214:215], v[210:211]
	v_fma_f64 v[208:209], -v[208:209], v[212:213], v[214:215]
	s_delay_alu instid0(VALU_DEP_1) | instskip(NEXT) | instid1(VALU_DEP_1)
	v_div_fmas_f64 v[208:209], v[208:209], v[210:211], v[212:213]
	v_div_fixup_f64 v[208:209], v[208:209], v[206:207], v[204:205]
	s_delay_alu instid0(VALU_DEP_1) | instskip(NEXT) | instid1(VALU_DEP_1)
	v_fma_f64 v[204:205], v[204:205], v[208:209], v[206:207]
	v_div_scale_f64 v[206:207], null, v[204:205], v[204:205], 1.0
	s_delay_alu instid0(VALU_DEP_1) | instskip(SKIP_2) | instid1(VALU_DEP_1)
	v_rcp_f64_e32 v[210:211], v[206:207]
	s_waitcnt_depctr 0xfff
	v_fma_f64 v[212:213], -v[206:207], v[210:211], 1.0
	v_fma_f64 v[210:211], v[210:211], v[212:213], v[210:211]
	s_delay_alu instid0(VALU_DEP_1) | instskip(NEXT) | instid1(VALU_DEP_1)
	v_fma_f64 v[212:213], -v[206:207], v[210:211], 1.0
	v_fma_f64 v[210:211], v[210:211], v[212:213], v[210:211]
	v_div_scale_f64 v[212:213], vcc_lo, 1.0, v[204:205], 1.0
	s_delay_alu instid0(VALU_DEP_1) | instskip(NEXT) | instid1(VALU_DEP_1)
	v_mul_f64 v[214:215], v[212:213], v[210:211]
	v_fma_f64 v[206:207], -v[206:207], v[214:215], v[212:213]
	s_delay_alu instid0(VALU_DEP_1) | instskip(NEXT) | instid1(VALU_DEP_1)
	v_div_fmas_f64 v[206:207], v[206:207], v[210:211], v[214:215]
	v_div_fixup_f64 v[210:211], v[206:207], v[204:205], 1.0
                                        ; implicit-def: $vgpr204_vgpr205
	s_delay_alu instid0(VALU_DEP_1)
	v_mul_f64 v[212:213], v[208:209], v[210:211]
	v_xor_b32_e32 v211, 0x80000000, v211
.LBB101_158:
	s_and_not1_saveexec_b32 s3, s3
	s_cbranch_execz .LBB101_160
; %bb.159:
	v_div_scale_f64 v[208:209], null, v[204:205], v[204:205], v[206:207]
	v_div_scale_f64 v[214:215], vcc_lo, v[206:207], v[204:205], v[206:207]
	s_delay_alu instid0(VALU_DEP_2) | instskip(SKIP_2) | instid1(VALU_DEP_1)
	v_rcp_f64_e32 v[210:211], v[208:209]
	s_waitcnt_depctr 0xfff
	v_fma_f64 v[212:213], -v[208:209], v[210:211], 1.0
	v_fma_f64 v[210:211], v[210:211], v[212:213], v[210:211]
	s_delay_alu instid0(VALU_DEP_1) | instskip(NEXT) | instid1(VALU_DEP_1)
	v_fma_f64 v[212:213], -v[208:209], v[210:211], 1.0
	v_fma_f64 v[210:211], v[210:211], v[212:213], v[210:211]
	s_delay_alu instid0(VALU_DEP_1) | instskip(NEXT) | instid1(VALU_DEP_1)
	v_mul_f64 v[212:213], v[214:215], v[210:211]
	v_fma_f64 v[208:209], -v[208:209], v[212:213], v[214:215]
	s_delay_alu instid0(VALU_DEP_1) | instskip(NEXT) | instid1(VALU_DEP_1)
	v_div_fmas_f64 v[208:209], v[208:209], v[210:211], v[212:213]
	v_div_fixup_f64 v[208:209], v[208:209], v[204:205], v[206:207]
	s_delay_alu instid0(VALU_DEP_1) | instskip(NEXT) | instid1(VALU_DEP_1)
	v_fma_f64 v[204:205], v[206:207], v[208:209], v[204:205]
	v_div_scale_f64 v[206:207], null, v[204:205], v[204:205], 1.0
	s_delay_alu instid0(VALU_DEP_1) | instskip(SKIP_2) | instid1(VALU_DEP_1)
	v_rcp_f64_e32 v[210:211], v[206:207]
	s_waitcnt_depctr 0xfff
	v_fma_f64 v[212:213], -v[206:207], v[210:211], 1.0
	v_fma_f64 v[210:211], v[210:211], v[212:213], v[210:211]
	s_delay_alu instid0(VALU_DEP_1) | instskip(NEXT) | instid1(VALU_DEP_1)
	v_fma_f64 v[212:213], -v[206:207], v[210:211], 1.0
	v_fma_f64 v[210:211], v[210:211], v[212:213], v[210:211]
	v_div_scale_f64 v[212:213], vcc_lo, 1.0, v[204:205], 1.0
	s_delay_alu instid0(VALU_DEP_1) | instskip(NEXT) | instid1(VALU_DEP_1)
	v_mul_f64 v[214:215], v[212:213], v[210:211]
	v_fma_f64 v[206:207], -v[206:207], v[214:215], v[212:213]
	s_delay_alu instid0(VALU_DEP_1) | instskip(NEXT) | instid1(VALU_DEP_1)
	v_div_fmas_f64 v[206:207], v[206:207], v[210:211], v[214:215]
	v_div_fixup_f64 v[212:213], v[206:207], v[204:205], 1.0
	s_delay_alu instid0(VALU_DEP_1)
	v_mul_f64 v[210:211], v[208:209], -v[212:213]
.LBB101_160:
	s_or_b32 exec_lo, exec_lo, s3
	ds_store_2addr_b64 v255, v[212:213], v[210:211] offset1:1
.LBB101_161:
	s_or_b32 exec_lo, exec_lo, s4
	s_waitcnt lgkmcnt(0)
	s_barrier
	buffer_gl0_inv
	ds_load_2addr_b64 v[204:207], v255 offset1:1
	s_mov_b32 s3, exec_lo
	s_waitcnt lgkmcnt(0)
	scratch_store_b128 off, v[204:207], off offset:696 ; 16-byte Folded Spill
	scratch_load_b32 v204, off, off         ; 4-byte Folded Reload
	s_waitcnt vmcnt(0)
	v_cmpx_lt_u32_e32 17, v204
	s_cbranch_execz .LBB101_163
; %bb.162:
	scratch_load_b128 v[206:209], off, off offset:696 ; 16-byte Folded Reload
	s_waitcnt vmcnt(0)
	v_mul_f64 v[204:205], v[208:209], v[134:135]
	v_mul_f64 v[134:135], v[206:207], v[134:135]
	s_delay_alu instid0(VALU_DEP_2) | instskip(NEXT) | instid1(VALU_DEP_2)
	v_fma_f64 v[204:205], v[206:207], v[132:133], -v[204:205]
	v_fma_f64 v[134:135], v[208:209], v[132:133], v[134:135]
	ds_load_2addr_b64 v[206:209], v254 offset0:36 offset1:37
	s_waitcnt lgkmcnt(0)
	v_mul_f64 v[132:133], v[208:209], v[134:135]
	s_delay_alu instid0(VALU_DEP_1) | instskip(SKIP_1) | instid1(VALU_DEP_2)
	v_fma_f64 v[132:133], v[206:207], v[204:205], -v[132:133]
	v_mul_f64 v[206:207], v[206:207], v[134:135]
	v_add_f64 v[128:129], v[128:129], -v[132:133]
	s_delay_alu instid0(VALU_DEP_2) | instskip(NEXT) | instid1(VALU_DEP_1)
	v_fma_f64 v[206:207], v[208:209], v[204:205], v[206:207]
	v_add_f64 v[130:131], v[130:131], -v[206:207]
	ds_load_2addr_b64 v[206:209], v254 offset0:38 offset1:39
	s_waitcnt lgkmcnt(0)
	v_mul_f64 v[132:133], v[208:209], v[134:135]
	s_delay_alu instid0(VALU_DEP_1) | instskip(SKIP_1) | instid1(VALU_DEP_2)
	v_fma_f64 v[132:133], v[206:207], v[204:205], -v[132:133]
	v_mul_f64 v[206:207], v[206:207], v[134:135]
	v_add_f64 v[124:125], v[124:125], -v[132:133]
	s_delay_alu instid0(VALU_DEP_2) | instskip(NEXT) | instid1(VALU_DEP_1)
	v_fma_f64 v[206:207], v[208:209], v[204:205], v[206:207]
	v_add_f64 v[126:127], v[126:127], -v[206:207]
	;; [unrolled: 10-line block ×32, first 2 shown]
	ds_load_2addr_b64 v[206:209], v254 offset0:100 offset1:101
	s_waitcnt lgkmcnt(0)
	v_mul_f64 v[132:133], v[208:209], v[134:135]
	s_delay_alu instid0(VALU_DEP_1) | instskip(SKIP_1) | instid1(VALU_DEP_2)
	v_fma_f64 v[132:133], v[206:207], v[204:205], -v[132:133]
	v_mul_f64 v[206:207], v[206:207], v[134:135]
	v_add_f64 v[0:1], v[0:1], -v[132:133]
	s_delay_alu instid0(VALU_DEP_2) | instskip(SKIP_1) | instid1(VALU_DEP_2)
	v_fma_f64 v[206:207], v[208:209], v[204:205], v[206:207]
	v_dual_mov_b32 v132, v204 :: v_dual_mov_b32 v133, v205
	v_add_f64 v[2:3], v[2:3], -v[206:207]
.LBB101_163:
	s_or_b32 exec_lo, exec_lo, s3
	scratch_load_b32 v204, off, off         ; 4-byte Folded Reload
	s_mov_b32 s4, exec_lo
	s_waitcnt vmcnt(0)
	s_waitcnt_vscnt null, 0x0
	s_barrier
	buffer_gl0_inv
	v_cmpx_eq_u32_e32 18, v204
	s_cbranch_execz .LBB101_170
; %bb.164:
	ds_store_2addr_b64 v255, v[128:129], v[130:131] offset1:1
	ds_store_2addr_b64 v254, v[124:125], v[126:127] offset0:38 offset1:39
	ds_store_2addr_b64 v254, v[120:121], v[122:123] offset0:40 offset1:41
	;; [unrolled: 1-line block ×32, first 2 shown]
	ds_load_2addr_b64 v[204:207], v255 offset1:1
	s_waitcnt lgkmcnt(0)
	v_cmp_neq_f64_e32 vcc_lo, 0, v[204:205]
	v_cmp_neq_f64_e64 s3, 0, v[206:207]
	s_delay_alu instid0(VALU_DEP_1) | instskip(NEXT) | instid1(SALU_CYCLE_1)
	s_or_b32 s3, vcc_lo, s3
	s_and_b32 exec_lo, exec_lo, s3
	s_cbranch_execz .LBB101_170
; %bb.165:
	v_cmp_gt_f64_e32 vcc_lo, 0, v[204:205]
	v_xor_b32_e32 v208, 0x80000000, v205
	v_xor_b32_e32 v210, 0x80000000, v207
	s_mov_b32 s3, exec_lo
                                        ; implicit-def: $vgpr212_vgpr213
	s_delay_alu instid0(VALU_DEP_2) | instskip(SKIP_4) | instid1(VALU_DEP_1)
	v_cndmask_b32_e32 v209, v205, v208, vcc_lo
	v_cndmask_b32_e32 v208, v204, v204, vcc_lo
	v_cmp_gt_f64_e32 vcc_lo, 0, v[206:207]
	v_cndmask_b32_e32 v211, v207, v210, vcc_lo
	v_cndmask_b32_e32 v210, v206, v206, vcc_lo
	v_cmpx_ngt_f64_e32 v[208:209], v[210:211]
	s_xor_b32 s3, exec_lo, s3
                                        ; implicit-def: $vgpr208_vgpr209_vgpr210_vgpr211
	s_cbranch_execz .LBB101_167
; %bb.166:
	v_div_scale_f64 v[208:209], null, v[206:207], v[206:207], v[204:205]
	v_div_scale_f64 v[214:215], vcc_lo, v[204:205], v[206:207], v[204:205]
	s_delay_alu instid0(VALU_DEP_2) | instskip(SKIP_2) | instid1(VALU_DEP_1)
	v_rcp_f64_e32 v[210:211], v[208:209]
	s_waitcnt_depctr 0xfff
	v_fma_f64 v[212:213], -v[208:209], v[210:211], 1.0
	v_fma_f64 v[210:211], v[210:211], v[212:213], v[210:211]
	s_delay_alu instid0(VALU_DEP_1) | instskip(NEXT) | instid1(VALU_DEP_1)
	v_fma_f64 v[212:213], -v[208:209], v[210:211], 1.0
	v_fma_f64 v[210:211], v[210:211], v[212:213], v[210:211]
	s_delay_alu instid0(VALU_DEP_1) | instskip(NEXT) | instid1(VALU_DEP_1)
	v_mul_f64 v[212:213], v[214:215], v[210:211]
	v_fma_f64 v[208:209], -v[208:209], v[212:213], v[214:215]
	s_delay_alu instid0(VALU_DEP_1) | instskip(NEXT) | instid1(VALU_DEP_1)
	v_div_fmas_f64 v[208:209], v[208:209], v[210:211], v[212:213]
	v_div_fixup_f64 v[208:209], v[208:209], v[206:207], v[204:205]
	s_delay_alu instid0(VALU_DEP_1) | instskip(NEXT) | instid1(VALU_DEP_1)
	v_fma_f64 v[204:205], v[204:205], v[208:209], v[206:207]
	v_div_scale_f64 v[206:207], null, v[204:205], v[204:205], 1.0
	s_delay_alu instid0(VALU_DEP_1) | instskip(SKIP_2) | instid1(VALU_DEP_1)
	v_rcp_f64_e32 v[210:211], v[206:207]
	s_waitcnt_depctr 0xfff
	v_fma_f64 v[212:213], -v[206:207], v[210:211], 1.0
	v_fma_f64 v[210:211], v[210:211], v[212:213], v[210:211]
	s_delay_alu instid0(VALU_DEP_1) | instskip(NEXT) | instid1(VALU_DEP_1)
	v_fma_f64 v[212:213], -v[206:207], v[210:211], 1.0
	v_fma_f64 v[210:211], v[210:211], v[212:213], v[210:211]
	v_div_scale_f64 v[212:213], vcc_lo, 1.0, v[204:205], 1.0
	s_delay_alu instid0(VALU_DEP_1) | instskip(NEXT) | instid1(VALU_DEP_1)
	v_mul_f64 v[214:215], v[212:213], v[210:211]
	v_fma_f64 v[206:207], -v[206:207], v[214:215], v[212:213]
	s_delay_alu instid0(VALU_DEP_1) | instskip(NEXT) | instid1(VALU_DEP_1)
	v_div_fmas_f64 v[206:207], v[206:207], v[210:211], v[214:215]
	v_div_fixup_f64 v[210:211], v[206:207], v[204:205], 1.0
                                        ; implicit-def: $vgpr204_vgpr205
	s_delay_alu instid0(VALU_DEP_1)
	v_mul_f64 v[212:213], v[208:209], v[210:211]
	v_xor_b32_e32 v211, 0x80000000, v211
.LBB101_167:
	s_and_not1_saveexec_b32 s3, s3
	s_cbranch_execz .LBB101_169
; %bb.168:
	v_div_scale_f64 v[208:209], null, v[204:205], v[204:205], v[206:207]
	v_div_scale_f64 v[214:215], vcc_lo, v[206:207], v[204:205], v[206:207]
	s_delay_alu instid0(VALU_DEP_2) | instskip(SKIP_2) | instid1(VALU_DEP_1)
	v_rcp_f64_e32 v[210:211], v[208:209]
	s_waitcnt_depctr 0xfff
	v_fma_f64 v[212:213], -v[208:209], v[210:211], 1.0
	v_fma_f64 v[210:211], v[210:211], v[212:213], v[210:211]
	s_delay_alu instid0(VALU_DEP_1) | instskip(NEXT) | instid1(VALU_DEP_1)
	v_fma_f64 v[212:213], -v[208:209], v[210:211], 1.0
	v_fma_f64 v[210:211], v[210:211], v[212:213], v[210:211]
	s_delay_alu instid0(VALU_DEP_1) | instskip(NEXT) | instid1(VALU_DEP_1)
	v_mul_f64 v[212:213], v[214:215], v[210:211]
	v_fma_f64 v[208:209], -v[208:209], v[212:213], v[214:215]
	s_delay_alu instid0(VALU_DEP_1) | instskip(NEXT) | instid1(VALU_DEP_1)
	v_div_fmas_f64 v[208:209], v[208:209], v[210:211], v[212:213]
	v_div_fixup_f64 v[208:209], v[208:209], v[204:205], v[206:207]
	s_delay_alu instid0(VALU_DEP_1) | instskip(NEXT) | instid1(VALU_DEP_1)
	v_fma_f64 v[204:205], v[206:207], v[208:209], v[204:205]
	v_div_scale_f64 v[206:207], null, v[204:205], v[204:205], 1.0
	s_delay_alu instid0(VALU_DEP_1) | instskip(SKIP_2) | instid1(VALU_DEP_1)
	v_rcp_f64_e32 v[210:211], v[206:207]
	s_waitcnt_depctr 0xfff
	v_fma_f64 v[212:213], -v[206:207], v[210:211], 1.0
	v_fma_f64 v[210:211], v[210:211], v[212:213], v[210:211]
	s_delay_alu instid0(VALU_DEP_1) | instskip(NEXT) | instid1(VALU_DEP_1)
	v_fma_f64 v[212:213], -v[206:207], v[210:211], 1.0
	v_fma_f64 v[210:211], v[210:211], v[212:213], v[210:211]
	v_div_scale_f64 v[212:213], vcc_lo, 1.0, v[204:205], 1.0
	s_delay_alu instid0(VALU_DEP_1) | instskip(NEXT) | instid1(VALU_DEP_1)
	v_mul_f64 v[214:215], v[212:213], v[210:211]
	v_fma_f64 v[206:207], -v[206:207], v[214:215], v[212:213]
	s_delay_alu instid0(VALU_DEP_1) | instskip(NEXT) | instid1(VALU_DEP_1)
	v_div_fmas_f64 v[206:207], v[206:207], v[210:211], v[214:215]
	v_div_fixup_f64 v[212:213], v[206:207], v[204:205], 1.0
	s_delay_alu instid0(VALU_DEP_1)
	v_mul_f64 v[210:211], v[208:209], -v[212:213]
.LBB101_169:
	s_or_b32 exec_lo, exec_lo, s3
	ds_store_2addr_b64 v255, v[212:213], v[210:211] offset1:1
.LBB101_170:
	s_or_b32 exec_lo, exec_lo, s4
	s_waitcnt lgkmcnt(0)
	s_barrier
	buffer_gl0_inv
	ds_load_2addr_b64 v[204:207], v255 offset1:1
	s_mov_b32 s3, exec_lo
	s_waitcnt lgkmcnt(0)
	scratch_store_b128 off, v[204:207], off offset:712 ; 16-byte Folded Spill
	scratch_load_b32 v204, off, off         ; 4-byte Folded Reload
	s_waitcnt vmcnt(0)
	v_cmpx_lt_u32_e32 18, v204
	s_cbranch_execz .LBB101_172
; %bb.171:
	scratch_load_b128 v[206:209], off, off offset:712 ; 16-byte Folded Reload
	s_waitcnt vmcnt(0)
	v_mul_f64 v[204:205], v[208:209], v[130:131]
	v_mul_f64 v[130:131], v[206:207], v[130:131]
	s_delay_alu instid0(VALU_DEP_2) | instskip(NEXT) | instid1(VALU_DEP_2)
	v_fma_f64 v[204:205], v[206:207], v[128:129], -v[204:205]
	v_fma_f64 v[130:131], v[208:209], v[128:129], v[130:131]
	ds_load_2addr_b64 v[206:209], v254 offset0:38 offset1:39
	s_waitcnt lgkmcnt(0)
	v_mul_f64 v[128:129], v[208:209], v[130:131]
	s_delay_alu instid0(VALU_DEP_1) | instskip(SKIP_1) | instid1(VALU_DEP_2)
	v_fma_f64 v[128:129], v[206:207], v[204:205], -v[128:129]
	v_mul_f64 v[206:207], v[206:207], v[130:131]
	v_add_f64 v[124:125], v[124:125], -v[128:129]
	s_delay_alu instid0(VALU_DEP_2) | instskip(NEXT) | instid1(VALU_DEP_1)
	v_fma_f64 v[206:207], v[208:209], v[204:205], v[206:207]
	v_add_f64 v[126:127], v[126:127], -v[206:207]
	ds_load_2addr_b64 v[206:209], v254 offset0:40 offset1:41
	s_waitcnt lgkmcnt(0)
	v_mul_f64 v[128:129], v[208:209], v[130:131]
	s_delay_alu instid0(VALU_DEP_1) | instskip(SKIP_1) | instid1(VALU_DEP_2)
	v_fma_f64 v[128:129], v[206:207], v[204:205], -v[128:129]
	v_mul_f64 v[206:207], v[206:207], v[130:131]
	v_add_f64 v[120:121], v[120:121], -v[128:129]
	s_delay_alu instid0(VALU_DEP_2) | instskip(NEXT) | instid1(VALU_DEP_1)
	v_fma_f64 v[206:207], v[208:209], v[204:205], v[206:207]
	v_add_f64 v[122:123], v[122:123], -v[206:207]
	;; [unrolled: 10-line block ×31, first 2 shown]
	ds_load_2addr_b64 v[206:209], v254 offset0:100 offset1:101
	s_waitcnt lgkmcnt(0)
	v_mul_f64 v[128:129], v[208:209], v[130:131]
	s_delay_alu instid0(VALU_DEP_1) | instskip(SKIP_1) | instid1(VALU_DEP_2)
	v_fma_f64 v[128:129], v[206:207], v[204:205], -v[128:129]
	v_mul_f64 v[206:207], v[206:207], v[130:131]
	v_add_f64 v[0:1], v[0:1], -v[128:129]
	s_delay_alu instid0(VALU_DEP_2) | instskip(SKIP_1) | instid1(VALU_DEP_2)
	v_fma_f64 v[206:207], v[208:209], v[204:205], v[206:207]
	v_dual_mov_b32 v128, v204 :: v_dual_mov_b32 v129, v205
	v_add_f64 v[2:3], v[2:3], -v[206:207]
.LBB101_172:
	s_or_b32 exec_lo, exec_lo, s3
	scratch_load_b32 v204, off, off         ; 4-byte Folded Reload
	s_mov_b32 s4, exec_lo
	s_waitcnt vmcnt(0)
	s_waitcnt_vscnt null, 0x0
	s_barrier
	buffer_gl0_inv
	v_cmpx_eq_u32_e32 19, v204
	s_cbranch_execz .LBB101_179
; %bb.173:
	ds_store_2addr_b64 v255, v[124:125], v[126:127] offset1:1
	ds_store_2addr_b64 v254, v[120:121], v[122:123] offset0:40 offset1:41
	ds_store_2addr_b64 v254, v[116:117], v[118:119] offset0:42 offset1:43
	;; [unrolled: 1-line block ×31, first 2 shown]
	ds_load_2addr_b64 v[204:207], v255 offset1:1
	s_waitcnt lgkmcnt(0)
	v_cmp_neq_f64_e32 vcc_lo, 0, v[204:205]
	v_cmp_neq_f64_e64 s3, 0, v[206:207]
	s_delay_alu instid0(VALU_DEP_1) | instskip(NEXT) | instid1(SALU_CYCLE_1)
	s_or_b32 s3, vcc_lo, s3
	s_and_b32 exec_lo, exec_lo, s3
	s_cbranch_execz .LBB101_179
; %bb.174:
	v_cmp_gt_f64_e32 vcc_lo, 0, v[204:205]
	v_xor_b32_e32 v208, 0x80000000, v205
	v_xor_b32_e32 v210, 0x80000000, v207
	s_mov_b32 s3, exec_lo
                                        ; implicit-def: $vgpr212_vgpr213
	s_delay_alu instid0(VALU_DEP_2) | instskip(SKIP_4) | instid1(VALU_DEP_1)
	v_cndmask_b32_e32 v209, v205, v208, vcc_lo
	v_cndmask_b32_e32 v208, v204, v204, vcc_lo
	v_cmp_gt_f64_e32 vcc_lo, 0, v[206:207]
	v_cndmask_b32_e32 v211, v207, v210, vcc_lo
	v_cndmask_b32_e32 v210, v206, v206, vcc_lo
	v_cmpx_ngt_f64_e32 v[208:209], v[210:211]
	s_xor_b32 s3, exec_lo, s3
                                        ; implicit-def: $vgpr208_vgpr209_vgpr210_vgpr211
	s_cbranch_execz .LBB101_176
; %bb.175:
	v_div_scale_f64 v[208:209], null, v[206:207], v[206:207], v[204:205]
	v_div_scale_f64 v[214:215], vcc_lo, v[204:205], v[206:207], v[204:205]
	s_delay_alu instid0(VALU_DEP_2) | instskip(SKIP_2) | instid1(VALU_DEP_1)
	v_rcp_f64_e32 v[210:211], v[208:209]
	s_waitcnt_depctr 0xfff
	v_fma_f64 v[212:213], -v[208:209], v[210:211], 1.0
	v_fma_f64 v[210:211], v[210:211], v[212:213], v[210:211]
	s_delay_alu instid0(VALU_DEP_1) | instskip(NEXT) | instid1(VALU_DEP_1)
	v_fma_f64 v[212:213], -v[208:209], v[210:211], 1.0
	v_fma_f64 v[210:211], v[210:211], v[212:213], v[210:211]
	s_delay_alu instid0(VALU_DEP_1) | instskip(NEXT) | instid1(VALU_DEP_1)
	v_mul_f64 v[212:213], v[214:215], v[210:211]
	v_fma_f64 v[208:209], -v[208:209], v[212:213], v[214:215]
	s_delay_alu instid0(VALU_DEP_1) | instskip(NEXT) | instid1(VALU_DEP_1)
	v_div_fmas_f64 v[208:209], v[208:209], v[210:211], v[212:213]
	v_div_fixup_f64 v[208:209], v[208:209], v[206:207], v[204:205]
	s_delay_alu instid0(VALU_DEP_1) | instskip(NEXT) | instid1(VALU_DEP_1)
	v_fma_f64 v[204:205], v[204:205], v[208:209], v[206:207]
	v_div_scale_f64 v[206:207], null, v[204:205], v[204:205], 1.0
	s_delay_alu instid0(VALU_DEP_1) | instskip(SKIP_2) | instid1(VALU_DEP_1)
	v_rcp_f64_e32 v[210:211], v[206:207]
	s_waitcnt_depctr 0xfff
	v_fma_f64 v[212:213], -v[206:207], v[210:211], 1.0
	v_fma_f64 v[210:211], v[210:211], v[212:213], v[210:211]
	s_delay_alu instid0(VALU_DEP_1) | instskip(NEXT) | instid1(VALU_DEP_1)
	v_fma_f64 v[212:213], -v[206:207], v[210:211], 1.0
	v_fma_f64 v[210:211], v[210:211], v[212:213], v[210:211]
	v_div_scale_f64 v[212:213], vcc_lo, 1.0, v[204:205], 1.0
	s_delay_alu instid0(VALU_DEP_1) | instskip(NEXT) | instid1(VALU_DEP_1)
	v_mul_f64 v[214:215], v[212:213], v[210:211]
	v_fma_f64 v[206:207], -v[206:207], v[214:215], v[212:213]
	s_delay_alu instid0(VALU_DEP_1) | instskip(NEXT) | instid1(VALU_DEP_1)
	v_div_fmas_f64 v[206:207], v[206:207], v[210:211], v[214:215]
	v_div_fixup_f64 v[210:211], v[206:207], v[204:205], 1.0
                                        ; implicit-def: $vgpr204_vgpr205
	s_delay_alu instid0(VALU_DEP_1)
	v_mul_f64 v[212:213], v[208:209], v[210:211]
	v_xor_b32_e32 v211, 0x80000000, v211
.LBB101_176:
	s_and_not1_saveexec_b32 s3, s3
	s_cbranch_execz .LBB101_178
; %bb.177:
	v_div_scale_f64 v[208:209], null, v[204:205], v[204:205], v[206:207]
	v_div_scale_f64 v[214:215], vcc_lo, v[206:207], v[204:205], v[206:207]
	s_delay_alu instid0(VALU_DEP_2) | instskip(SKIP_2) | instid1(VALU_DEP_1)
	v_rcp_f64_e32 v[210:211], v[208:209]
	s_waitcnt_depctr 0xfff
	v_fma_f64 v[212:213], -v[208:209], v[210:211], 1.0
	v_fma_f64 v[210:211], v[210:211], v[212:213], v[210:211]
	s_delay_alu instid0(VALU_DEP_1) | instskip(NEXT) | instid1(VALU_DEP_1)
	v_fma_f64 v[212:213], -v[208:209], v[210:211], 1.0
	v_fma_f64 v[210:211], v[210:211], v[212:213], v[210:211]
	s_delay_alu instid0(VALU_DEP_1) | instskip(NEXT) | instid1(VALU_DEP_1)
	v_mul_f64 v[212:213], v[214:215], v[210:211]
	v_fma_f64 v[208:209], -v[208:209], v[212:213], v[214:215]
	s_delay_alu instid0(VALU_DEP_1) | instskip(NEXT) | instid1(VALU_DEP_1)
	v_div_fmas_f64 v[208:209], v[208:209], v[210:211], v[212:213]
	v_div_fixup_f64 v[208:209], v[208:209], v[204:205], v[206:207]
	s_delay_alu instid0(VALU_DEP_1) | instskip(NEXT) | instid1(VALU_DEP_1)
	v_fma_f64 v[204:205], v[206:207], v[208:209], v[204:205]
	v_div_scale_f64 v[206:207], null, v[204:205], v[204:205], 1.0
	s_delay_alu instid0(VALU_DEP_1) | instskip(SKIP_2) | instid1(VALU_DEP_1)
	v_rcp_f64_e32 v[210:211], v[206:207]
	s_waitcnt_depctr 0xfff
	v_fma_f64 v[212:213], -v[206:207], v[210:211], 1.0
	v_fma_f64 v[210:211], v[210:211], v[212:213], v[210:211]
	s_delay_alu instid0(VALU_DEP_1) | instskip(NEXT) | instid1(VALU_DEP_1)
	v_fma_f64 v[212:213], -v[206:207], v[210:211], 1.0
	v_fma_f64 v[210:211], v[210:211], v[212:213], v[210:211]
	v_div_scale_f64 v[212:213], vcc_lo, 1.0, v[204:205], 1.0
	s_delay_alu instid0(VALU_DEP_1) | instskip(NEXT) | instid1(VALU_DEP_1)
	v_mul_f64 v[214:215], v[212:213], v[210:211]
	v_fma_f64 v[206:207], -v[206:207], v[214:215], v[212:213]
	s_delay_alu instid0(VALU_DEP_1) | instskip(NEXT) | instid1(VALU_DEP_1)
	v_div_fmas_f64 v[206:207], v[206:207], v[210:211], v[214:215]
	v_div_fixup_f64 v[212:213], v[206:207], v[204:205], 1.0
	s_delay_alu instid0(VALU_DEP_1)
	v_mul_f64 v[210:211], v[208:209], -v[212:213]
.LBB101_178:
	s_or_b32 exec_lo, exec_lo, s3
	ds_store_2addr_b64 v255, v[212:213], v[210:211] offset1:1
.LBB101_179:
	s_or_b32 exec_lo, exec_lo, s4
	s_waitcnt lgkmcnt(0)
	s_barrier
	buffer_gl0_inv
	ds_load_2addr_b64 v[204:207], v255 offset1:1
	s_mov_b32 s3, exec_lo
	s_waitcnt lgkmcnt(0)
	scratch_store_b128 off, v[204:207], off offset:728 ; 16-byte Folded Spill
	scratch_load_b32 v204, off, off         ; 4-byte Folded Reload
	s_waitcnt vmcnt(0)
	v_cmpx_lt_u32_e32 19, v204
	s_cbranch_execz .LBB101_181
; %bb.180:
	scratch_load_b128 v[206:209], off, off offset:728 ; 16-byte Folded Reload
	s_waitcnt vmcnt(0)
	v_mul_f64 v[204:205], v[208:209], v[126:127]
	v_mul_f64 v[126:127], v[206:207], v[126:127]
	s_delay_alu instid0(VALU_DEP_2) | instskip(NEXT) | instid1(VALU_DEP_2)
	v_fma_f64 v[204:205], v[206:207], v[124:125], -v[204:205]
	v_fma_f64 v[126:127], v[208:209], v[124:125], v[126:127]
	ds_load_2addr_b64 v[206:209], v254 offset0:40 offset1:41
	s_waitcnt lgkmcnt(0)
	v_mul_f64 v[124:125], v[208:209], v[126:127]
	s_delay_alu instid0(VALU_DEP_1) | instskip(SKIP_1) | instid1(VALU_DEP_2)
	v_fma_f64 v[124:125], v[206:207], v[204:205], -v[124:125]
	v_mul_f64 v[206:207], v[206:207], v[126:127]
	v_add_f64 v[120:121], v[120:121], -v[124:125]
	s_delay_alu instid0(VALU_DEP_2) | instskip(NEXT) | instid1(VALU_DEP_1)
	v_fma_f64 v[206:207], v[208:209], v[204:205], v[206:207]
	v_add_f64 v[122:123], v[122:123], -v[206:207]
	ds_load_2addr_b64 v[206:209], v254 offset0:42 offset1:43
	s_waitcnt lgkmcnt(0)
	v_mul_f64 v[124:125], v[208:209], v[126:127]
	s_delay_alu instid0(VALU_DEP_1) | instskip(SKIP_1) | instid1(VALU_DEP_2)
	v_fma_f64 v[124:125], v[206:207], v[204:205], -v[124:125]
	v_mul_f64 v[206:207], v[206:207], v[126:127]
	v_add_f64 v[116:117], v[116:117], -v[124:125]
	s_delay_alu instid0(VALU_DEP_2) | instskip(NEXT) | instid1(VALU_DEP_1)
	v_fma_f64 v[206:207], v[208:209], v[204:205], v[206:207]
	v_add_f64 v[118:119], v[118:119], -v[206:207]
	;; [unrolled: 10-line block ×30, first 2 shown]
	ds_load_2addr_b64 v[206:209], v254 offset0:100 offset1:101
	s_waitcnt lgkmcnt(0)
	v_mul_f64 v[124:125], v[208:209], v[126:127]
	s_delay_alu instid0(VALU_DEP_1) | instskip(SKIP_1) | instid1(VALU_DEP_2)
	v_fma_f64 v[124:125], v[206:207], v[204:205], -v[124:125]
	v_mul_f64 v[206:207], v[206:207], v[126:127]
	v_add_f64 v[0:1], v[0:1], -v[124:125]
	s_delay_alu instid0(VALU_DEP_2) | instskip(SKIP_1) | instid1(VALU_DEP_2)
	v_fma_f64 v[206:207], v[208:209], v[204:205], v[206:207]
	v_dual_mov_b32 v124, v204 :: v_dual_mov_b32 v125, v205
	v_add_f64 v[2:3], v[2:3], -v[206:207]
.LBB101_181:
	s_or_b32 exec_lo, exec_lo, s3
	scratch_load_b32 v204, off, off         ; 4-byte Folded Reload
	s_mov_b32 s4, exec_lo
	s_waitcnt vmcnt(0)
	s_waitcnt_vscnt null, 0x0
	s_barrier
	buffer_gl0_inv
	v_cmpx_eq_u32_e32 20, v204
	s_cbranch_execz .LBB101_188
; %bb.182:
	ds_store_2addr_b64 v255, v[120:121], v[122:123] offset1:1
	ds_store_2addr_b64 v254, v[116:117], v[118:119] offset0:42 offset1:43
	ds_store_2addr_b64 v254, v[112:113], v[114:115] offset0:44 offset1:45
	;; [unrolled: 1-line block ×30, first 2 shown]
	ds_load_2addr_b64 v[204:207], v255 offset1:1
	s_waitcnt lgkmcnt(0)
	v_cmp_neq_f64_e32 vcc_lo, 0, v[204:205]
	v_cmp_neq_f64_e64 s3, 0, v[206:207]
	s_delay_alu instid0(VALU_DEP_1) | instskip(NEXT) | instid1(SALU_CYCLE_1)
	s_or_b32 s3, vcc_lo, s3
	s_and_b32 exec_lo, exec_lo, s3
	s_cbranch_execz .LBB101_188
; %bb.183:
	v_cmp_gt_f64_e32 vcc_lo, 0, v[204:205]
	v_xor_b32_e32 v208, 0x80000000, v205
	v_xor_b32_e32 v210, 0x80000000, v207
	s_mov_b32 s3, exec_lo
                                        ; implicit-def: $vgpr212_vgpr213
	s_delay_alu instid0(VALU_DEP_2) | instskip(SKIP_4) | instid1(VALU_DEP_1)
	v_cndmask_b32_e32 v209, v205, v208, vcc_lo
	v_cndmask_b32_e32 v208, v204, v204, vcc_lo
	v_cmp_gt_f64_e32 vcc_lo, 0, v[206:207]
	v_cndmask_b32_e32 v211, v207, v210, vcc_lo
	v_cndmask_b32_e32 v210, v206, v206, vcc_lo
	v_cmpx_ngt_f64_e32 v[208:209], v[210:211]
	s_xor_b32 s3, exec_lo, s3
                                        ; implicit-def: $vgpr208_vgpr209_vgpr210_vgpr211
	s_cbranch_execz .LBB101_185
; %bb.184:
	v_div_scale_f64 v[208:209], null, v[206:207], v[206:207], v[204:205]
	v_div_scale_f64 v[214:215], vcc_lo, v[204:205], v[206:207], v[204:205]
	s_delay_alu instid0(VALU_DEP_2) | instskip(SKIP_2) | instid1(VALU_DEP_1)
	v_rcp_f64_e32 v[210:211], v[208:209]
	s_waitcnt_depctr 0xfff
	v_fma_f64 v[212:213], -v[208:209], v[210:211], 1.0
	v_fma_f64 v[210:211], v[210:211], v[212:213], v[210:211]
	s_delay_alu instid0(VALU_DEP_1) | instskip(NEXT) | instid1(VALU_DEP_1)
	v_fma_f64 v[212:213], -v[208:209], v[210:211], 1.0
	v_fma_f64 v[210:211], v[210:211], v[212:213], v[210:211]
	s_delay_alu instid0(VALU_DEP_1) | instskip(NEXT) | instid1(VALU_DEP_1)
	v_mul_f64 v[212:213], v[214:215], v[210:211]
	v_fma_f64 v[208:209], -v[208:209], v[212:213], v[214:215]
	s_delay_alu instid0(VALU_DEP_1) | instskip(NEXT) | instid1(VALU_DEP_1)
	v_div_fmas_f64 v[208:209], v[208:209], v[210:211], v[212:213]
	v_div_fixup_f64 v[208:209], v[208:209], v[206:207], v[204:205]
	s_delay_alu instid0(VALU_DEP_1) | instskip(NEXT) | instid1(VALU_DEP_1)
	v_fma_f64 v[204:205], v[204:205], v[208:209], v[206:207]
	v_div_scale_f64 v[206:207], null, v[204:205], v[204:205], 1.0
	s_delay_alu instid0(VALU_DEP_1) | instskip(SKIP_2) | instid1(VALU_DEP_1)
	v_rcp_f64_e32 v[210:211], v[206:207]
	s_waitcnt_depctr 0xfff
	v_fma_f64 v[212:213], -v[206:207], v[210:211], 1.0
	v_fma_f64 v[210:211], v[210:211], v[212:213], v[210:211]
	s_delay_alu instid0(VALU_DEP_1) | instskip(NEXT) | instid1(VALU_DEP_1)
	v_fma_f64 v[212:213], -v[206:207], v[210:211], 1.0
	v_fma_f64 v[210:211], v[210:211], v[212:213], v[210:211]
	v_div_scale_f64 v[212:213], vcc_lo, 1.0, v[204:205], 1.0
	s_delay_alu instid0(VALU_DEP_1) | instskip(NEXT) | instid1(VALU_DEP_1)
	v_mul_f64 v[214:215], v[212:213], v[210:211]
	v_fma_f64 v[206:207], -v[206:207], v[214:215], v[212:213]
	s_delay_alu instid0(VALU_DEP_1) | instskip(NEXT) | instid1(VALU_DEP_1)
	v_div_fmas_f64 v[206:207], v[206:207], v[210:211], v[214:215]
	v_div_fixup_f64 v[210:211], v[206:207], v[204:205], 1.0
                                        ; implicit-def: $vgpr204_vgpr205
	s_delay_alu instid0(VALU_DEP_1)
	v_mul_f64 v[212:213], v[208:209], v[210:211]
	v_xor_b32_e32 v211, 0x80000000, v211
.LBB101_185:
	s_and_not1_saveexec_b32 s3, s3
	s_cbranch_execz .LBB101_187
; %bb.186:
	v_div_scale_f64 v[208:209], null, v[204:205], v[204:205], v[206:207]
	v_div_scale_f64 v[214:215], vcc_lo, v[206:207], v[204:205], v[206:207]
	s_delay_alu instid0(VALU_DEP_2) | instskip(SKIP_2) | instid1(VALU_DEP_1)
	v_rcp_f64_e32 v[210:211], v[208:209]
	s_waitcnt_depctr 0xfff
	v_fma_f64 v[212:213], -v[208:209], v[210:211], 1.0
	v_fma_f64 v[210:211], v[210:211], v[212:213], v[210:211]
	s_delay_alu instid0(VALU_DEP_1) | instskip(NEXT) | instid1(VALU_DEP_1)
	v_fma_f64 v[212:213], -v[208:209], v[210:211], 1.0
	v_fma_f64 v[210:211], v[210:211], v[212:213], v[210:211]
	s_delay_alu instid0(VALU_DEP_1) | instskip(NEXT) | instid1(VALU_DEP_1)
	v_mul_f64 v[212:213], v[214:215], v[210:211]
	v_fma_f64 v[208:209], -v[208:209], v[212:213], v[214:215]
	s_delay_alu instid0(VALU_DEP_1) | instskip(NEXT) | instid1(VALU_DEP_1)
	v_div_fmas_f64 v[208:209], v[208:209], v[210:211], v[212:213]
	v_div_fixup_f64 v[208:209], v[208:209], v[204:205], v[206:207]
	s_delay_alu instid0(VALU_DEP_1) | instskip(NEXT) | instid1(VALU_DEP_1)
	v_fma_f64 v[204:205], v[206:207], v[208:209], v[204:205]
	v_div_scale_f64 v[206:207], null, v[204:205], v[204:205], 1.0
	s_delay_alu instid0(VALU_DEP_1) | instskip(SKIP_2) | instid1(VALU_DEP_1)
	v_rcp_f64_e32 v[210:211], v[206:207]
	s_waitcnt_depctr 0xfff
	v_fma_f64 v[212:213], -v[206:207], v[210:211], 1.0
	v_fma_f64 v[210:211], v[210:211], v[212:213], v[210:211]
	s_delay_alu instid0(VALU_DEP_1) | instskip(NEXT) | instid1(VALU_DEP_1)
	v_fma_f64 v[212:213], -v[206:207], v[210:211], 1.0
	v_fma_f64 v[210:211], v[210:211], v[212:213], v[210:211]
	v_div_scale_f64 v[212:213], vcc_lo, 1.0, v[204:205], 1.0
	s_delay_alu instid0(VALU_DEP_1) | instskip(NEXT) | instid1(VALU_DEP_1)
	v_mul_f64 v[214:215], v[212:213], v[210:211]
	v_fma_f64 v[206:207], -v[206:207], v[214:215], v[212:213]
	s_delay_alu instid0(VALU_DEP_1) | instskip(NEXT) | instid1(VALU_DEP_1)
	v_div_fmas_f64 v[206:207], v[206:207], v[210:211], v[214:215]
	v_div_fixup_f64 v[212:213], v[206:207], v[204:205], 1.0
	s_delay_alu instid0(VALU_DEP_1)
	v_mul_f64 v[210:211], v[208:209], -v[212:213]
.LBB101_187:
	s_or_b32 exec_lo, exec_lo, s3
	ds_store_2addr_b64 v255, v[212:213], v[210:211] offset1:1
.LBB101_188:
	s_or_b32 exec_lo, exec_lo, s4
	s_waitcnt lgkmcnt(0)
	s_barrier
	buffer_gl0_inv
	ds_load_2addr_b64 v[204:207], v255 offset1:1
	s_mov_b32 s3, exec_lo
	s_waitcnt lgkmcnt(0)
	scratch_store_b128 off, v[204:207], off offset:744 ; 16-byte Folded Spill
	scratch_load_b32 v204, off, off         ; 4-byte Folded Reload
	s_waitcnt vmcnt(0)
	v_cmpx_lt_u32_e32 20, v204
	s_cbranch_execz .LBB101_190
; %bb.189:
	scratch_load_b128 v[206:209], off, off offset:744 ; 16-byte Folded Reload
	s_waitcnt vmcnt(0)
	v_mul_f64 v[204:205], v[208:209], v[122:123]
	v_mul_f64 v[122:123], v[206:207], v[122:123]
	s_delay_alu instid0(VALU_DEP_2) | instskip(NEXT) | instid1(VALU_DEP_2)
	v_fma_f64 v[204:205], v[206:207], v[120:121], -v[204:205]
	v_fma_f64 v[122:123], v[208:209], v[120:121], v[122:123]
	ds_load_2addr_b64 v[206:209], v254 offset0:42 offset1:43
	s_waitcnt lgkmcnt(0)
	v_mul_f64 v[120:121], v[208:209], v[122:123]
	s_delay_alu instid0(VALU_DEP_1) | instskip(SKIP_1) | instid1(VALU_DEP_2)
	v_fma_f64 v[120:121], v[206:207], v[204:205], -v[120:121]
	v_mul_f64 v[206:207], v[206:207], v[122:123]
	v_add_f64 v[116:117], v[116:117], -v[120:121]
	s_delay_alu instid0(VALU_DEP_2) | instskip(NEXT) | instid1(VALU_DEP_1)
	v_fma_f64 v[206:207], v[208:209], v[204:205], v[206:207]
	v_add_f64 v[118:119], v[118:119], -v[206:207]
	ds_load_2addr_b64 v[206:209], v254 offset0:44 offset1:45
	s_waitcnt lgkmcnt(0)
	v_mul_f64 v[120:121], v[208:209], v[122:123]
	s_delay_alu instid0(VALU_DEP_1) | instskip(SKIP_1) | instid1(VALU_DEP_2)
	v_fma_f64 v[120:121], v[206:207], v[204:205], -v[120:121]
	v_mul_f64 v[206:207], v[206:207], v[122:123]
	v_add_f64 v[112:113], v[112:113], -v[120:121]
	s_delay_alu instid0(VALU_DEP_2) | instskip(NEXT) | instid1(VALU_DEP_1)
	v_fma_f64 v[206:207], v[208:209], v[204:205], v[206:207]
	v_add_f64 v[114:115], v[114:115], -v[206:207]
	;; [unrolled: 10-line block ×29, first 2 shown]
	ds_load_2addr_b64 v[206:209], v254 offset0:100 offset1:101
	s_waitcnt lgkmcnt(0)
	v_mul_f64 v[120:121], v[208:209], v[122:123]
	s_delay_alu instid0(VALU_DEP_1) | instskip(SKIP_1) | instid1(VALU_DEP_2)
	v_fma_f64 v[120:121], v[206:207], v[204:205], -v[120:121]
	v_mul_f64 v[206:207], v[206:207], v[122:123]
	v_add_f64 v[0:1], v[0:1], -v[120:121]
	s_delay_alu instid0(VALU_DEP_2) | instskip(SKIP_1) | instid1(VALU_DEP_2)
	v_fma_f64 v[206:207], v[208:209], v[204:205], v[206:207]
	v_dual_mov_b32 v120, v204 :: v_dual_mov_b32 v121, v205
	v_add_f64 v[2:3], v[2:3], -v[206:207]
.LBB101_190:
	s_or_b32 exec_lo, exec_lo, s3
	scratch_load_b32 v204, off, off         ; 4-byte Folded Reload
	s_mov_b32 s4, exec_lo
	s_waitcnt vmcnt(0)
	s_waitcnt_vscnt null, 0x0
	s_barrier
	buffer_gl0_inv
	v_cmpx_eq_u32_e32 21, v204
	s_cbranch_execz .LBB101_197
; %bb.191:
	ds_store_2addr_b64 v255, v[116:117], v[118:119] offset1:1
	ds_store_2addr_b64 v254, v[112:113], v[114:115] offset0:44 offset1:45
	ds_store_2addr_b64 v254, v[108:109], v[110:111] offset0:46 offset1:47
	;; [unrolled: 1-line block ×29, first 2 shown]
	ds_load_2addr_b64 v[204:207], v255 offset1:1
	s_waitcnt lgkmcnt(0)
	v_cmp_neq_f64_e32 vcc_lo, 0, v[204:205]
	v_cmp_neq_f64_e64 s3, 0, v[206:207]
	s_delay_alu instid0(VALU_DEP_1) | instskip(NEXT) | instid1(SALU_CYCLE_1)
	s_or_b32 s3, vcc_lo, s3
	s_and_b32 exec_lo, exec_lo, s3
	s_cbranch_execz .LBB101_197
; %bb.192:
	v_cmp_gt_f64_e32 vcc_lo, 0, v[204:205]
	v_xor_b32_e32 v208, 0x80000000, v205
	v_xor_b32_e32 v210, 0x80000000, v207
	s_mov_b32 s3, exec_lo
                                        ; implicit-def: $vgpr212_vgpr213
	s_delay_alu instid0(VALU_DEP_2) | instskip(SKIP_4) | instid1(VALU_DEP_1)
	v_cndmask_b32_e32 v209, v205, v208, vcc_lo
	v_cndmask_b32_e32 v208, v204, v204, vcc_lo
	v_cmp_gt_f64_e32 vcc_lo, 0, v[206:207]
	v_cndmask_b32_e32 v211, v207, v210, vcc_lo
	v_cndmask_b32_e32 v210, v206, v206, vcc_lo
	v_cmpx_ngt_f64_e32 v[208:209], v[210:211]
	s_xor_b32 s3, exec_lo, s3
                                        ; implicit-def: $vgpr208_vgpr209_vgpr210_vgpr211
	s_cbranch_execz .LBB101_194
; %bb.193:
	v_div_scale_f64 v[208:209], null, v[206:207], v[206:207], v[204:205]
	v_div_scale_f64 v[214:215], vcc_lo, v[204:205], v[206:207], v[204:205]
	s_delay_alu instid0(VALU_DEP_2) | instskip(SKIP_2) | instid1(VALU_DEP_1)
	v_rcp_f64_e32 v[210:211], v[208:209]
	s_waitcnt_depctr 0xfff
	v_fma_f64 v[212:213], -v[208:209], v[210:211], 1.0
	v_fma_f64 v[210:211], v[210:211], v[212:213], v[210:211]
	s_delay_alu instid0(VALU_DEP_1) | instskip(NEXT) | instid1(VALU_DEP_1)
	v_fma_f64 v[212:213], -v[208:209], v[210:211], 1.0
	v_fma_f64 v[210:211], v[210:211], v[212:213], v[210:211]
	s_delay_alu instid0(VALU_DEP_1) | instskip(NEXT) | instid1(VALU_DEP_1)
	v_mul_f64 v[212:213], v[214:215], v[210:211]
	v_fma_f64 v[208:209], -v[208:209], v[212:213], v[214:215]
	s_delay_alu instid0(VALU_DEP_1) | instskip(NEXT) | instid1(VALU_DEP_1)
	v_div_fmas_f64 v[208:209], v[208:209], v[210:211], v[212:213]
	v_div_fixup_f64 v[208:209], v[208:209], v[206:207], v[204:205]
	s_delay_alu instid0(VALU_DEP_1) | instskip(NEXT) | instid1(VALU_DEP_1)
	v_fma_f64 v[204:205], v[204:205], v[208:209], v[206:207]
	v_div_scale_f64 v[206:207], null, v[204:205], v[204:205], 1.0
	s_delay_alu instid0(VALU_DEP_1) | instskip(SKIP_2) | instid1(VALU_DEP_1)
	v_rcp_f64_e32 v[210:211], v[206:207]
	s_waitcnt_depctr 0xfff
	v_fma_f64 v[212:213], -v[206:207], v[210:211], 1.0
	v_fma_f64 v[210:211], v[210:211], v[212:213], v[210:211]
	s_delay_alu instid0(VALU_DEP_1) | instskip(NEXT) | instid1(VALU_DEP_1)
	v_fma_f64 v[212:213], -v[206:207], v[210:211], 1.0
	v_fma_f64 v[210:211], v[210:211], v[212:213], v[210:211]
	v_div_scale_f64 v[212:213], vcc_lo, 1.0, v[204:205], 1.0
	s_delay_alu instid0(VALU_DEP_1) | instskip(NEXT) | instid1(VALU_DEP_1)
	v_mul_f64 v[214:215], v[212:213], v[210:211]
	v_fma_f64 v[206:207], -v[206:207], v[214:215], v[212:213]
	s_delay_alu instid0(VALU_DEP_1) | instskip(NEXT) | instid1(VALU_DEP_1)
	v_div_fmas_f64 v[206:207], v[206:207], v[210:211], v[214:215]
	v_div_fixup_f64 v[210:211], v[206:207], v[204:205], 1.0
                                        ; implicit-def: $vgpr204_vgpr205
	s_delay_alu instid0(VALU_DEP_1)
	v_mul_f64 v[212:213], v[208:209], v[210:211]
	v_xor_b32_e32 v211, 0x80000000, v211
.LBB101_194:
	s_and_not1_saveexec_b32 s3, s3
	s_cbranch_execz .LBB101_196
; %bb.195:
	v_div_scale_f64 v[208:209], null, v[204:205], v[204:205], v[206:207]
	v_div_scale_f64 v[214:215], vcc_lo, v[206:207], v[204:205], v[206:207]
	s_delay_alu instid0(VALU_DEP_2) | instskip(SKIP_2) | instid1(VALU_DEP_1)
	v_rcp_f64_e32 v[210:211], v[208:209]
	s_waitcnt_depctr 0xfff
	v_fma_f64 v[212:213], -v[208:209], v[210:211], 1.0
	v_fma_f64 v[210:211], v[210:211], v[212:213], v[210:211]
	s_delay_alu instid0(VALU_DEP_1) | instskip(NEXT) | instid1(VALU_DEP_1)
	v_fma_f64 v[212:213], -v[208:209], v[210:211], 1.0
	v_fma_f64 v[210:211], v[210:211], v[212:213], v[210:211]
	s_delay_alu instid0(VALU_DEP_1) | instskip(NEXT) | instid1(VALU_DEP_1)
	v_mul_f64 v[212:213], v[214:215], v[210:211]
	v_fma_f64 v[208:209], -v[208:209], v[212:213], v[214:215]
	s_delay_alu instid0(VALU_DEP_1) | instskip(NEXT) | instid1(VALU_DEP_1)
	v_div_fmas_f64 v[208:209], v[208:209], v[210:211], v[212:213]
	v_div_fixup_f64 v[208:209], v[208:209], v[204:205], v[206:207]
	s_delay_alu instid0(VALU_DEP_1) | instskip(NEXT) | instid1(VALU_DEP_1)
	v_fma_f64 v[204:205], v[206:207], v[208:209], v[204:205]
	v_div_scale_f64 v[206:207], null, v[204:205], v[204:205], 1.0
	s_delay_alu instid0(VALU_DEP_1) | instskip(SKIP_2) | instid1(VALU_DEP_1)
	v_rcp_f64_e32 v[210:211], v[206:207]
	s_waitcnt_depctr 0xfff
	v_fma_f64 v[212:213], -v[206:207], v[210:211], 1.0
	v_fma_f64 v[210:211], v[210:211], v[212:213], v[210:211]
	s_delay_alu instid0(VALU_DEP_1) | instskip(NEXT) | instid1(VALU_DEP_1)
	v_fma_f64 v[212:213], -v[206:207], v[210:211], 1.0
	v_fma_f64 v[210:211], v[210:211], v[212:213], v[210:211]
	v_div_scale_f64 v[212:213], vcc_lo, 1.0, v[204:205], 1.0
	s_delay_alu instid0(VALU_DEP_1) | instskip(NEXT) | instid1(VALU_DEP_1)
	v_mul_f64 v[214:215], v[212:213], v[210:211]
	v_fma_f64 v[206:207], -v[206:207], v[214:215], v[212:213]
	s_delay_alu instid0(VALU_DEP_1) | instskip(NEXT) | instid1(VALU_DEP_1)
	v_div_fmas_f64 v[206:207], v[206:207], v[210:211], v[214:215]
	v_div_fixup_f64 v[212:213], v[206:207], v[204:205], 1.0
	s_delay_alu instid0(VALU_DEP_1)
	v_mul_f64 v[210:211], v[208:209], -v[212:213]
.LBB101_196:
	s_or_b32 exec_lo, exec_lo, s3
	ds_store_2addr_b64 v255, v[212:213], v[210:211] offset1:1
.LBB101_197:
	s_or_b32 exec_lo, exec_lo, s4
	s_waitcnt lgkmcnt(0)
	s_barrier
	buffer_gl0_inv
	ds_load_2addr_b64 v[204:207], v255 offset1:1
	s_mov_b32 s3, exec_lo
	s_waitcnt lgkmcnt(0)
	scratch_store_b128 off, v[204:207], off offset:760 ; 16-byte Folded Spill
	scratch_load_b32 v204, off, off         ; 4-byte Folded Reload
	s_waitcnt vmcnt(0)
	v_cmpx_lt_u32_e32 21, v204
	s_cbranch_execz .LBB101_199
; %bb.198:
	scratch_load_b128 v[206:209], off, off offset:760 ; 16-byte Folded Reload
	s_waitcnt vmcnt(0)
	v_mul_f64 v[204:205], v[208:209], v[118:119]
	v_mul_f64 v[118:119], v[206:207], v[118:119]
	s_delay_alu instid0(VALU_DEP_2) | instskip(NEXT) | instid1(VALU_DEP_2)
	v_fma_f64 v[204:205], v[206:207], v[116:117], -v[204:205]
	v_fma_f64 v[118:119], v[208:209], v[116:117], v[118:119]
	ds_load_2addr_b64 v[206:209], v254 offset0:44 offset1:45
	s_waitcnt lgkmcnt(0)
	v_mul_f64 v[116:117], v[208:209], v[118:119]
	s_delay_alu instid0(VALU_DEP_1) | instskip(SKIP_1) | instid1(VALU_DEP_2)
	v_fma_f64 v[116:117], v[206:207], v[204:205], -v[116:117]
	v_mul_f64 v[206:207], v[206:207], v[118:119]
	v_add_f64 v[112:113], v[112:113], -v[116:117]
	s_delay_alu instid0(VALU_DEP_2) | instskip(NEXT) | instid1(VALU_DEP_1)
	v_fma_f64 v[206:207], v[208:209], v[204:205], v[206:207]
	v_add_f64 v[114:115], v[114:115], -v[206:207]
	ds_load_2addr_b64 v[206:209], v254 offset0:46 offset1:47
	s_waitcnt lgkmcnt(0)
	v_mul_f64 v[116:117], v[208:209], v[118:119]
	s_delay_alu instid0(VALU_DEP_1) | instskip(SKIP_1) | instid1(VALU_DEP_2)
	v_fma_f64 v[116:117], v[206:207], v[204:205], -v[116:117]
	v_mul_f64 v[206:207], v[206:207], v[118:119]
	v_add_f64 v[108:109], v[108:109], -v[116:117]
	s_delay_alu instid0(VALU_DEP_2) | instskip(NEXT) | instid1(VALU_DEP_1)
	v_fma_f64 v[206:207], v[208:209], v[204:205], v[206:207]
	v_add_f64 v[110:111], v[110:111], -v[206:207]
	;; [unrolled: 10-line block ×28, first 2 shown]
	ds_load_2addr_b64 v[206:209], v254 offset0:100 offset1:101
	s_waitcnt lgkmcnt(0)
	v_mul_f64 v[116:117], v[208:209], v[118:119]
	s_delay_alu instid0(VALU_DEP_1) | instskip(SKIP_1) | instid1(VALU_DEP_2)
	v_fma_f64 v[116:117], v[206:207], v[204:205], -v[116:117]
	v_mul_f64 v[206:207], v[206:207], v[118:119]
	v_add_f64 v[0:1], v[0:1], -v[116:117]
	s_delay_alu instid0(VALU_DEP_2) | instskip(SKIP_1) | instid1(VALU_DEP_2)
	v_fma_f64 v[206:207], v[208:209], v[204:205], v[206:207]
	v_dual_mov_b32 v116, v204 :: v_dual_mov_b32 v117, v205
	v_add_f64 v[2:3], v[2:3], -v[206:207]
.LBB101_199:
	s_or_b32 exec_lo, exec_lo, s3
	scratch_load_b32 v204, off, off         ; 4-byte Folded Reload
	s_mov_b32 s4, exec_lo
	s_waitcnt vmcnt(0)
	s_waitcnt_vscnt null, 0x0
	s_barrier
	buffer_gl0_inv
	v_cmpx_eq_u32_e32 22, v204
	s_cbranch_execz .LBB101_206
; %bb.200:
	ds_store_2addr_b64 v255, v[112:113], v[114:115] offset1:1
	ds_store_2addr_b64 v254, v[108:109], v[110:111] offset0:46 offset1:47
	ds_store_2addr_b64 v254, v[104:105], v[106:107] offset0:48 offset1:49
	;; [unrolled: 1-line block ×28, first 2 shown]
	ds_load_2addr_b64 v[204:207], v255 offset1:1
	s_waitcnt lgkmcnt(0)
	v_cmp_neq_f64_e32 vcc_lo, 0, v[204:205]
	v_cmp_neq_f64_e64 s3, 0, v[206:207]
	s_delay_alu instid0(VALU_DEP_1) | instskip(NEXT) | instid1(SALU_CYCLE_1)
	s_or_b32 s3, vcc_lo, s3
	s_and_b32 exec_lo, exec_lo, s3
	s_cbranch_execz .LBB101_206
; %bb.201:
	v_cmp_gt_f64_e32 vcc_lo, 0, v[204:205]
	v_xor_b32_e32 v208, 0x80000000, v205
	v_xor_b32_e32 v210, 0x80000000, v207
	s_mov_b32 s3, exec_lo
                                        ; implicit-def: $vgpr212_vgpr213
	s_delay_alu instid0(VALU_DEP_2) | instskip(SKIP_4) | instid1(VALU_DEP_1)
	v_cndmask_b32_e32 v209, v205, v208, vcc_lo
	v_cndmask_b32_e32 v208, v204, v204, vcc_lo
	v_cmp_gt_f64_e32 vcc_lo, 0, v[206:207]
	v_cndmask_b32_e32 v211, v207, v210, vcc_lo
	v_cndmask_b32_e32 v210, v206, v206, vcc_lo
	v_cmpx_ngt_f64_e32 v[208:209], v[210:211]
	s_xor_b32 s3, exec_lo, s3
                                        ; implicit-def: $vgpr208_vgpr209_vgpr210_vgpr211
	s_cbranch_execz .LBB101_203
; %bb.202:
	v_div_scale_f64 v[208:209], null, v[206:207], v[206:207], v[204:205]
	v_div_scale_f64 v[214:215], vcc_lo, v[204:205], v[206:207], v[204:205]
	s_delay_alu instid0(VALU_DEP_2) | instskip(SKIP_2) | instid1(VALU_DEP_1)
	v_rcp_f64_e32 v[210:211], v[208:209]
	s_waitcnt_depctr 0xfff
	v_fma_f64 v[212:213], -v[208:209], v[210:211], 1.0
	v_fma_f64 v[210:211], v[210:211], v[212:213], v[210:211]
	s_delay_alu instid0(VALU_DEP_1) | instskip(NEXT) | instid1(VALU_DEP_1)
	v_fma_f64 v[212:213], -v[208:209], v[210:211], 1.0
	v_fma_f64 v[210:211], v[210:211], v[212:213], v[210:211]
	s_delay_alu instid0(VALU_DEP_1) | instskip(NEXT) | instid1(VALU_DEP_1)
	v_mul_f64 v[212:213], v[214:215], v[210:211]
	v_fma_f64 v[208:209], -v[208:209], v[212:213], v[214:215]
	s_delay_alu instid0(VALU_DEP_1) | instskip(NEXT) | instid1(VALU_DEP_1)
	v_div_fmas_f64 v[208:209], v[208:209], v[210:211], v[212:213]
	v_div_fixup_f64 v[208:209], v[208:209], v[206:207], v[204:205]
	s_delay_alu instid0(VALU_DEP_1) | instskip(NEXT) | instid1(VALU_DEP_1)
	v_fma_f64 v[204:205], v[204:205], v[208:209], v[206:207]
	v_div_scale_f64 v[206:207], null, v[204:205], v[204:205], 1.0
	s_delay_alu instid0(VALU_DEP_1) | instskip(SKIP_2) | instid1(VALU_DEP_1)
	v_rcp_f64_e32 v[210:211], v[206:207]
	s_waitcnt_depctr 0xfff
	v_fma_f64 v[212:213], -v[206:207], v[210:211], 1.0
	v_fma_f64 v[210:211], v[210:211], v[212:213], v[210:211]
	s_delay_alu instid0(VALU_DEP_1) | instskip(NEXT) | instid1(VALU_DEP_1)
	v_fma_f64 v[212:213], -v[206:207], v[210:211], 1.0
	v_fma_f64 v[210:211], v[210:211], v[212:213], v[210:211]
	v_div_scale_f64 v[212:213], vcc_lo, 1.0, v[204:205], 1.0
	s_delay_alu instid0(VALU_DEP_1) | instskip(NEXT) | instid1(VALU_DEP_1)
	v_mul_f64 v[214:215], v[212:213], v[210:211]
	v_fma_f64 v[206:207], -v[206:207], v[214:215], v[212:213]
	s_delay_alu instid0(VALU_DEP_1) | instskip(NEXT) | instid1(VALU_DEP_1)
	v_div_fmas_f64 v[206:207], v[206:207], v[210:211], v[214:215]
	v_div_fixup_f64 v[210:211], v[206:207], v[204:205], 1.0
                                        ; implicit-def: $vgpr204_vgpr205
	s_delay_alu instid0(VALU_DEP_1)
	v_mul_f64 v[212:213], v[208:209], v[210:211]
	v_xor_b32_e32 v211, 0x80000000, v211
.LBB101_203:
	s_and_not1_saveexec_b32 s3, s3
	s_cbranch_execz .LBB101_205
; %bb.204:
	v_div_scale_f64 v[208:209], null, v[204:205], v[204:205], v[206:207]
	v_div_scale_f64 v[214:215], vcc_lo, v[206:207], v[204:205], v[206:207]
	s_delay_alu instid0(VALU_DEP_2) | instskip(SKIP_2) | instid1(VALU_DEP_1)
	v_rcp_f64_e32 v[210:211], v[208:209]
	s_waitcnt_depctr 0xfff
	v_fma_f64 v[212:213], -v[208:209], v[210:211], 1.0
	v_fma_f64 v[210:211], v[210:211], v[212:213], v[210:211]
	s_delay_alu instid0(VALU_DEP_1) | instskip(NEXT) | instid1(VALU_DEP_1)
	v_fma_f64 v[212:213], -v[208:209], v[210:211], 1.0
	v_fma_f64 v[210:211], v[210:211], v[212:213], v[210:211]
	s_delay_alu instid0(VALU_DEP_1) | instskip(NEXT) | instid1(VALU_DEP_1)
	v_mul_f64 v[212:213], v[214:215], v[210:211]
	v_fma_f64 v[208:209], -v[208:209], v[212:213], v[214:215]
	s_delay_alu instid0(VALU_DEP_1) | instskip(NEXT) | instid1(VALU_DEP_1)
	v_div_fmas_f64 v[208:209], v[208:209], v[210:211], v[212:213]
	v_div_fixup_f64 v[208:209], v[208:209], v[204:205], v[206:207]
	s_delay_alu instid0(VALU_DEP_1) | instskip(NEXT) | instid1(VALU_DEP_1)
	v_fma_f64 v[204:205], v[206:207], v[208:209], v[204:205]
	v_div_scale_f64 v[206:207], null, v[204:205], v[204:205], 1.0
	s_delay_alu instid0(VALU_DEP_1) | instskip(SKIP_2) | instid1(VALU_DEP_1)
	v_rcp_f64_e32 v[210:211], v[206:207]
	s_waitcnt_depctr 0xfff
	v_fma_f64 v[212:213], -v[206:207], v[210:211], 1.0
	v_fma_f64 v[210:211], v[210:211], v[212:213], v[210:211]
	s_delay_alu instid0(VALU_DEP_1) | instskip(NEXT) | instid1(VALU_DEP_1)
	v_fma_f64 v[212:213], -v[206:207], v[210:211], 1.0
	v_fma_f64 v[210:211], v[210:211], v[212:213], v[210:211]
	v_div_scale_f64 v[212:213], vcc_lo, 1.0, v[204:205], 1.0
	s_delay_alu instid0(VALU_DEP_1) | instskip(NEXT) | instid1(VALU_DEP_1)
	v_mul_f64 v[214:215], v[212:213], v[210:211]
	v_fma_f64 v[206:207], -v[206:207], v[214:215], v[212:213]
	s_delay_alu instid0(VALU_DEP_1) | instskip(NEXT) | instid1(VALU_DEP_1)
	v_div_fmas_f64 v[206:207], v[206:207], v[210:211], v[214:215]
	v_div_fixup_f64 v[212:213], v[206:207], v[204:205], 1.0
	s_delay_alu instid0(VALU_DEP_1)
	v_mul_f64 v[210:211], v[208:209], -v[212:213]
.LBB101_205:
	s_or_b32 exec_lo, exec_lo, s3
	ds_store_2addr_b64 v255, v[212:213], v[210:211] offset1:1
.LBB101_206:
	s_or_b32 exec_lo, exec_lo, s4
	s_waitcnt lgkmcnt(0)
	s_barrier
	buffer_gl0_inv
	ds_load_2addr_b64 v[204:207], v255 offset1:1
	s_mov_b32 s3, exec_lo
	s_waitcnt lgkmcnt(0)
	scratch_store_b128 off, v[204:207], off offset:776 ; 16-byte Folded Spill
	scratch_load_b32 v204, off, off         ; 4-byte Folded Reload
	s_waitcnt vmcnt(0)
	v_cmpx_lt_u32_e32 22, v204
	s_cbranch_execz .LBB101_208
; %bb.207:
	scratch_load_b128 v[206:209], off, off offset:776 ; 16-byte Folded Reload
	s_waitcnt vmcnt(0)
	v_mul_f64 v[204:205], v[208:209], v[114:115]
	v_mul_f64 v[114:115], v[206:207], v[114:115]
	s_delay_alu instid0(VALU_DEP_2) | instskip(NEXT) | instid1(VALU_DEP_2)
	v_fma_f64 v[204:205], v[206:207], v[112:113], -v[204:205]
	v_fma_f64 v[114:115], v[208:209], v[112:113], v[114:115]
	ds_load_2addr_b64 v[206:209], v254 offset0:46 offset1:47
	s_waitcnt lgkmcnt(0)
	v_mul_f64 v[112:113], v[208:209], v[114:115]
	s_delay_alu instid0(VALU_DEP_1) | instskip(SKIP_1) | instid1(VALU_DEP_2)
	v_fma_f64 v[112:113], v[206:207], v[204:205], -v[112:113]
	v_mul_f64 v[206:207], v[206:207], v[114:115]
	v_add_f64 v[108:109], v[108:109], -v[112:113]
	s_delay_alu instid0(VALU_DEP_2) | instskip(NEXT) | instid1(VALU_DEP_1)
	v_fma_f64 v[206:207], v[208:209], v[204:205], v[206:207]
	v_add_f64 v[110:111], v[110:111], -v[206:207]
	ds_load_2addr_b64 v[206:209], v254 offset0:48 offset1:49
	s_waitcnt lgkmcnt(0)
	v_mul_f64 v[112:113], v[208:209], v[114:115]
	s_delay_alu instid0(VALU_DEP_1) | instskip(SKIP_1) | instid1(VALU_DEP_2)
	v_fma_f64 v[112:113], v[206:207], v[204:205], -v[112:113]
	v_mul_f64 v[206:207], v[206:207], v[114:115]
	v_add_f64 v[104:105], v[104:105], -v[112:113]
	s_delay_alu instid0(VALU_DEP_2) | instskip(NEXT) | instid1(VALU_DEP_1)
	v_fma_f64 v[206:207], v[208:209], v[204:205], v[206:207]
	v_add_f64 v[106:107], v[106:107], -v[206:207]
	;; [unrolled: 10-line block ×27, first 2 shown]
	ds_load_2addr_b64 v[206:209], v254 offset0:100 offset1:101
	s_waitcnt lgkmcnt(0)
	v_mul_f64 v[112:113], v[208:209], v[114:115]
	s_delay_alu instid0(VALU_DEP_1) | instskip(SKIP_1) | instid1(VALU_DEP_2)
	v_fma_f64 v[112:113], v[206:207], v[204:205], -v[112:113]
	v_mul_f64 v[206:207], v[206:207], v[114:115]
	v_add_f64 v[0:1], v[0:1], -v[112:113]
	s_delay_alu instid0(VALU_DEP_2) | instskip(SKIP_1) | instid1(VALU_DEP_2)
	v_fma_f64 v[206:207], v[208:209], v[204:205], v[206:207]
	v_dual_mov_b32 v112, v204 :: v_dual_mov_b32 v113, v205
	v_add_f64 v[2:3], v[2:3], -v[206:207]
.LBB101_208:
	s_or_b32 exec_lo, exec_lo, s3
	scratch_load_b32 v204, off, off         ; 4-byte Folded Reload
	s_mov_b32 s4, exec_lo
	s_waitcnt vmcnt(0)
	s_waitcnt_vscnt null, 0x0
	s_barrier
	buffer_gl0_inv
	v_cmpx_eq_u32_e32 23, v204
	s_cbranch_execz .LBB101_215
; %bb.209:
	ds_store_2addr_b64 v255, v[108:109], v[110:111] offset1:1
	ds_store_2addr_b64 v254, v[104:105], v[106:107] offset0:48 offset1:49
	ds_store_2addr_b64 v254, v[100:101], v[102:103] offset0:50 offset1:51
	;; [unrolled: 1-line block ×27, first 2 shown]
	ds_load_2addr_b64 v[204:207], v255 offset1:1
	s_waitcnt lgkmcnt(0)
	v_cmp_neq_f64_e32 vcc_lo, 0, v[204:205]
	v_cmp_neq_f64_e64 s3, 0, v[206:207]
	s_delay_alu instid0(VALU_DEP_1) | instskip(NEXT) | instid1(SALU_CYCLE_1)
	s_or_b32 s3, vcc_lo, s3
	s_and_b32 exec_lo, exec_lo, s3
	s_cbranch_execz .LBB101_215
; %bb.210:
	v_cmp_gt_f64_e32 vcc_lo, 0, v[204:205]
	v_xor_b32_e32 v208, 0x80000000, v205
	v_xor_b32_e32 v210, 0x80000000, v207
	s_mov_b32 s3, exec_lo
                                        ; implicit-def: $vgpr212_vgpr213
	s_delay_alu instid0(VALU_DEP_2) | instskip(SKIP_4) | instid1(VALU_DEP_1)
	v_cndmask_b32_e32 v209, v205, v208, vcc_lo
	v_cndmask_b32_e32 v208, v204, v204, vcc_lo
	v_cmp_gt_f64_e32 vcc_lo, 0, v[206:207]
	v_cndmask_b32_e32 v211, v207, v210, vcc_lo
	v_cndmask_b32_e32 v210, v206, v206, vcc_lo
	v_cmpx_ngt_f64_e32 v[208:209], v[210:211]
	s_xor_b32 s3, exec_lo, s3
                                        ; implicit-def: $vgpr208_vgpr209_vgpr210_vgpr211
	s_cbranch_execz .LBB101_212
; %bb.211:
	v_div_scale_f64 v[208:209], null, v[206:207], v[206:207], v[204:205]
	v_div_scale_f64 v[214:215], vcc_lo, v[204:205], v[206:207], v[204:205]
	s_delay_alu instid0(VALU_DEP_2) | instskip(SKIP_2) | instid1(VALU_DEP_1)
	v_rcp_f64_e32 v[210:211], v[208:209]
	s_waitcnt_depctr 0xfff
	v_fma_f64 v[212:213], -v[208:209], v[210:211], 1.0
	v_fma_f64 v[210:211], v[210:211], v[212:213], v[210:211]
	s_delay_alu instid0(VALU_DEP_1) | instskip(NEXT) | instid1(VALU_DEP_1)
	v_fma_f64 v[212:213], -v[208:209], v[210:211], 1.0
	v_fma_f64 v[210:211], v[210:211], v[212:213], v[210:211]
	s_delay_alu instid0(VALU_DEP_1) | instskip(NEXT) | instid1(VALU_DEP_1)
	v_mul_f64 v[212:213], v[214:215], v[210:211]
	v_fma_f64 v[208:209], -v[208:209], v[212:213], v[214:215]
	s_delay_alu instid0(VALU_DEP_1) | instskip(NEXT) | instid1(VALU_DEP_1)
	v_div_fmas_f64 v[208:209], v[208:209], v[210:211], v[212:213]
	v_div_fixup_f64 v[208:209], v[208:209], v[206:207], v[204:205]
	s_delay_alu instid0(VALU_DEP_1) | instskip(NEXT) | instid1(VALU_DEP_1)
	v_fma_f64 v[204:205], v[204:205], v[208:209], v[206:207]
	v_div_scale_f64 v[206:207], null, v[204:205], v[204:205], 1.0
	s_delay_alu instid0(VALU_DEP_1) | instskip(SKIP_2) | instid1(VALU_DEP_1)
	v_rcp_f64_e32 v[210:211], v[206:207]
	s_waitcnt_depctr 0xfff
	v_fma_f64 v[212:213], -v[206:207], v[210:211], 1.0
	v_fma_f64 v[210:211], v[210:211], v[212:213], v[210:211]
	s_delay_alu instid0(VALU_DEP_1) | instskip(NEXT) | instid1(VALU_DEP_1)
	v_fma_f64 v[212:213], -v[206:207], v[210:211], 1.0
	v_fma_f64 v[210:211], v[210:211], v[212:213], v[210:211]
	v_div_scale_f64 v[212:213], vcc_lo, 1.0, v[204:205], 1.0
	s_delay_alu instid0(VALU_DEP_1) | instskip(NEXT) | instid1(VALU_DEP_1)
	v_mul_f64 v[214:215], v[212:213], v[210:211]
	v_fma_f64 v[206:207], -v[206:207], v[214:215], v[212:213]
	s_delay_alu instid0(VALU_DEP_1) | instskip(NEXT) | instid1(VALU_DEP_1)
	v_div_fmas_f64 v[206:207], v[206:207], v[210:211], v[214:215]
	v_div_fixup_f64 v[210:211], v[206:207], v[204:205], 1.0
                                        ; implicit-def: $vgpr204_vgpr205
	s_delay_alu instid0(VALU_DEP_1)
	v_mul_f64 v[212:213], v[208:209], v[210:211]
	v_xor_b32_e32 v211, 0x80000000, v211
.LBB101_212:
	s_and_not1_saveexec_b32 s3, s3
	s_cbranch_execz .LBB101_214
; %bb.213:
	v_div_scale_f64 v[208:209], null, v[204:205], v[204:205], v[206:207]
	v_div_scale_f64 v[214:215], vcc_lo, v[206:207], v[204:205], v[206:207]
	s_delay_alu instid0(VALU_DEP_2) | instskip(SKIP_2) | instid1(VALU_DEP_1)
	v_rcp_f64_e32 v[210:211], v[208:209]
	s_waitcnt_depctr 0xfff
	v_fma_f64 v[212:213], -v[208:209], v[210:211], 1.0
	v_fma_f64 v[210:211], v[210:211], v[212:213], v[210:211]
	s_delay_alu instid0(VALU_DEP_1) | instskip(NEXT) | instid1(VALU_DEP_1)
	v_fma_f64 v[212:213], -v[208:209], v[210:211], 1.0
	v_fma_f64 v[210:211], v[210:211], v[212:213], v[210:211]
	s_delay_alu instid0(VALU_DEP_1) | instskip(NEXT) | instid1(VALU_DEP_1)
	v_mul_f64 v[212:213], v[214:215], v[210:211]
	v_fma_f64 v[208:209], -v[208:209], v[212:213], v[214:215]
	s_delay_alu instid0(VALU_DEP_1) | instskip(NEXT) | instid1(VALU_DEP_1)
	v_div_fmas_f64 v[208:209], v[208:209], v[210:211], v[212:213]
	v_div_fixup_f64 v[208:209], v[208:209], v[204:205], v[206:207]
	s_delay_alu instid0(VALU_DEP_1) | instskip(NEXT) | instid1(VALU_DEP_1)
	v_fma_f64 v[204:205], v[206:207], v[208:209], v[204:205]
	v_div_scale_f64 v[206:207], null, v[204:205], v[204:205], 1.0
	s_delay_alu instid0(VALU_DEP_1) | instskip(SKIP_2) | instid1(VALU_DEP_1)
	v_rcp_f64_e32 v[210:211], v[206:207]
	s_waitcnt_depctr 0xfff
	v_fma_f64 v[212:213], -v[206:207], v[210:211], 1.0
	v_fma_f64 v[210:211], v[210:211], v[212:213], v[210:211]
	s_delay_alu instid0(VALU_DEP_1) | instskip(NEXT) | instid1(VALU_DEP_1)
	v_fma_f64 v[212:213], -v[206:207], v[210:211], 1.0
	v_fma_f64 v[210:211], v[210:211], v[212:213], v[210:211]
	v_div_scale_f64 v[212:213], vcc_lo, 1.0, v[204:205], 1.0
	s_delay_alu instid0(VALU_DEP_1) | instskip(NEXT) | instid1(VALU_DEP_1)
	v_mul_f64 v[214:215], v[212:213], v[210:211]
	v_fma_f64 v[206:207], -v[206:207], v[214:215], v[212:213]
	s_delay_alu instid0(VALU_DEP_1) | instskip(NEXT) | instid1(VALU_DEP_1)
	v_div_fmas_f64 v[206:207], v[206:207], v[210:211], v[214:215]
	v_div_fixup_f64 v[212:213], v[206:207], v[204:205], 1.0
	s_delay_alu instid0(VALU_DEP_1)
	v_mul_f64 v[210:211], v[208:209], -v[212:213]
.LBB101_214:
	s_or_b32 exec_lo, exec_lo, s3
	ds_store_2addr_b64 v255, v[212:213], v[210:211] offset1:1
.LBB101_215:
	s_or_b32 exec_lo, exec_lo, s4
	s_waitcnt lgkmcnt(0)
	s_barrier
	buffer_gl0_inv
	ds_load_2addr_b64 v[204:207], v255 offset1:1
	s_mov_b32 s3, exec_lo
	s_waitcnt lgkmcnt(0)
	scratch_store_b128 off, v[204:207], off offset:792 ; 16-byte Folded Spill
	scratch_load_b32 v204, off, off         ; 4-byte Folded Reload
	s_waitcnt vmcnt(0)
	v_cmpx_lt_u32_e32 23, v204
	s_cbranch_execz .LBB101_217
; %bb.216:
	scratch_load_b128 v[206:209], off, off offset:792 ; 16-byte Folded Reload
	s_waitcnt vmcnt(0)
	v_mul_f64 v[204:205], v[208:209], v[110:111]
	v_mul_f64 v[110:111], v[206:207], v[110:111]
	s_delay_alu instid0(VALU_DEP_2) | instskip(NEXT) | instid1(VALU_DEP_2)
	v_fma_f64 v[204:205], v[206:207], v[108:109], -v[204:205]
	v_fma_f64 v[110:111], v[208:209], v[108:109], v[110:111]
	ds_load_2addr_b64 v[206:209], v254 offset0:48 offset1:49
	s_waitcnt lgkmcnt(0)
	v_mul_f64 v[108:109], v[208:209], v[110:111]
	s_delay_alu instid0(VALU_DEP_1) | instskip(SKIP_1) | instid1(VALU_DEP_2)
	v_fma_f64 v[108:109], v[206:207], v[204:205], -v[108:109]
	v_mul_f64 v[206:207], v[206:207], v[110:111]
	v_add_f64 v[104:105], v[104:105], -v[108:109]
	s_delay_alu instid0(VALU_DEP_2) | instskip(NEXT) | instid1(VALU_DEP_1)
	v_fma_f64 v[206:207], v[208:209], v[204:205], v[206:207]
	v_add_f64 v[106:107], v[106:107], -v[206:207]
	ds_load_2addr_b64 v[206:209], v254 offset0:50 offset1:51
	s_waitcnt lgkmcnt(0)
	v_mul_f64 v[108:109], v[208:209], v[110:111]
	s_delay_alu instid0(VALU_DEP_1) | instskip(SKIP_1) | instid1(VALU_DEP_2)
	v_fma_f64 v[108:109], v[206:207], v[204:205], -v[108:109]
	v_mul_f64 v[206:207], v[206:207], v[110:111]
	v_add_f64 v[100:101], v[100:101], -v[108:109]
	s_delay_alu instid0(VALU_DEP_2) | instskip(NEXT) | instid1(VALU_DEP_1)
	v_fma_f64 v[206:207], v[208:209], v[204:205], v[206:207]
	v_add_f64 v[102:103], v[102:103], -v[206:207]
	;; [unrolled: 10-line block ×26, first 2 shown]
	ds_load_2addr_b64 v[206:209], v254 offset0:100 offset1:101
	s_waitcnt lgkmcnt(0)
	v_mul_f64 v[108:109], v[208:209], v[110:111]
	s_delay_alu instid0(VALU_DEP_1) | instskip(SKIP_1) | instid1(VALU_DEP_2)
	v_fma_f64 v[108:109], v[206:207], v[204:205], -v[108:109]
	v_mul_f64 v[206:207], v[206:207], v[110:111]
	v_add_f64 v[0:1], v[0:1], -v[108:109]
	s_delay_alu instid0(VALU_DEP_2) | instskip(SKIP_1) | instid1(VALU_DEP_2)
	v_fma_f64 v[206:207], v[208:209], v[204:205], v[206:207]
	v_dual_mov_b32 v108, v204 :: v_dual_mov_b32 v109, v205
	v_add_f64 v[2:3], v[2:3], -v[206:207]
.LBB101_217:
	s_or_b32 exec_lo, exec_lo, s3
	scratch_load_b32 v204, off, off         ; 4-byte Folded Reload
	s_mov_b32 s4, exec_lo
	s_waitcnt vmcnt(0)
	s_waitcnt_vscnt null, 0x0
	s_barrier
	buffer_gl0_inv
	v_cmpx_eq_u32_e32 24, v204
	s_cbranch_execz .LBB101_224
; %bb.218:
	ds_store_2addr_b64 v255, v[104:105], v[106:107] offset1:1
	ds_store_2addr_b64 v254, v[100:101], v[102:103] offset0:50 offset1:51
	ds_store_2addr_b64 v254, v[96:97], v[98:99] offset0:52 offset1:53
	;; [unrolled: 1-line block ×26, first 2 shown]
	ds_load_2addr_b64 v[204:207], v255 offset1:1
	s_waitcnt lgkmcnt(0)
	v_cmp_neq_f64_e32 vcc_lo, 0, v[204:205]
	v_cmp_neq_f64_e64 s3, 0, v[206:207]
	s_delay_alu instid0(VALU_DEP_1) | instskip(NEXT) | instid1(SALU_CYCLE_1)
	s_or_b32 s3, vcc_lo, s3
	s_and_b32 exec_lo, exec_lo, s3
	s_cbranch_execz .LBB101_224
; %bb.219:
	v_cmp_gt_f64_e32 vcc_lo, 0, v[204:205]
	v_xor_b32_e32 v208, 0x80000000, v205
	v_xor_b32_e32 v210, 0x80000000, v207
	s_mov_b32 s3, exec_lo
                                        ; implicit-def: $vgpr212_vgpr213
	s_delay_alu instid0(VALU_DEP_2) | instskip(SKIP_4) | instid1(VALU_DEP_1)
	v_cndmask_b32_e32 v209, v205, v208, vcc_lo
	v_cndmask_b32_e32 v208, v204, v204, vcc_lo
	v_cmp_gt_f64_e32 vcc_lo, 0, v[206:207]
	v_cndmask_b32_e32 v211, v207, v210, vcc_lo
	v_cndmask_b32_e32 v210, v206, v206, vcc_lo
	v_cmpx_ngt_f64_e32 v[208:209], v[210:211]
	s_xor_b32 s3, exec_lo, s3
                                        ; implicit-def: $vgpr208_vgpr209_vgpr210_vgpr211
	s_cbranch_execz .LBB101_221
; %bb.220:
	v_div_scale_f64 v[208:209], null, v[206:207], v[206:207], v[204:205]
	v_div_scale_f64 v[214:215], vcc_lo, v[204:205], v[206:207], v[204:205]
	s_delay_alu instid0(VALU_DEP_2) | instskip(SKIP_2) | instid1(VALU_DEP_1)
	v_rcp_f64_e32 v[210:211], v[208:209]
	s_waitcnt_depctr 0xfff
	v_fma_f64 v[212:213], -v[208:209], v[210:211], 1.0
	v_fma_f64 v[210:211], v[210:211], v[212:213], v[210:211]
	s_delay_alu instid0(VALU_DEP_1) | instskip(NEXT) | instid1(VALU_DEP_1)
	v_fma_f64 v[212:213], -v[208:209], v[210:211], 1.0
	v_fma_f64 v[210:211], v[210:211], v[212:213], v[210:211]
	s_delay_alu instid0(VALU_DEP_1) | instskip(NEXT) | instid1(VALU_DEP_1)
	v_mul_f64 v[212:213], v[214:215], v[210:211]
	v_fma_f64 v[208:209], -v[208:209], v[212:213], v[214:215]
	s_delay_alu instid0(VALU_DEP_1) | instskip(NEXT) | instid1(VALU_DEP_1)
	v_div_fmas_f64 v[208:209], v[208:209], v[210:211], v[212:213]
	v_div_fixup_f64 v[208:209], v[208:209], v[206:207], v[204:205]
	s_delay_alu instid0(VALU_DEP_1) | instskip(NEXT) | instid1(VALU_DEP_1)
	v_fma_f64 v[204:205], v[204:205], v[208:209], v[206:207]
	v_div_scale_f64 v[206:207], null, v[204:205], v[204:205], 1.0
	s_delay_alu instid0(VALU_DEP_1) | instskip(SKIP_2) | instid1(VALU_DEP_1)
	v_rcp_f64_e32 v[210:211], v[206:207]
	s_waitcnt_depctr 0xfff
	v_fma_f64 v[212:213], -v[206:207], v[210:211], 1.0
	v_fma_f64 v[210:211], v[210:211], v[212:213], v[210:211]
	s_delay_alu instid0(VALU_DEP_1) | instskip(NEXT) | instid1(VALU_DEP_1)
	v_fma_f64 v[212:213], -v[206:207], v[210:211], 1.0
	v_fma_f64 v[210:211], v[210:211], v[212:213], v[210:211]
	v_div_scale_f64 v[212:213], vcc_lo, 1.0, v[204:205], 1.0
	s_delay_alu instid0(VALU_DEP_1) | instskip(NEXT) | instid1(VALU_DEP_1)
	v_mul_f64 v[214:215], v[212:213], v[210:211]
	v_fma_f64 v[206:207], -v[206:207], v[214:215], v[212:213]
	s_delay_alu instid0(VALU_DEP_1) | instskip(NEXT) | instid1(VALU_DEP_1)
	v_div_fmas_f64 v[206:207], v[206:207], v[210:211], v[214:215]
	v_div_fixup_f64 v[210:211], v[206:207], v[204:205], 1.0
                                        ; implicit-def: $vgpr204_vgpr205
	s_delay_alu instid0(VALU_DEP_1)
	v_mul_f64 v[212:213], v[208:209], v[210:211]
	v_xor_b32_e32 v211, 0x80000000, v211
.LBB101_221:
	s_and_not1_saveexec_b32 s3, s3
	s_cbranch_execz .LBB101_223
; %bb.222:
	v_div_scale_f64 v[208:209], null, v[204:205], v[204:205], v[206:207]
	v_div_scale_f64 v[214:215], vcc_lo, v[206:207], v[204:205], v[206:207]
	s_delay_alu instid0(VALU_DEP_2) | instskip(SKIP_2) | instid1(VALU_DEP_1)
	v_rcp_f64_e32 v[210:211], v[208:209]
	s_waitcnt_depctr 0xfff
	v_fma_f64 v[212:213], -v[208:209], v[210:211], 1.0
	v_fma_f64 v[210:211], v[210:211], v[212:213], v[210:211]
	s_delay_alu instid0(VALU_DEP_1) | instskip(NEXT) | instid1(VALU_DEP_1)
	v_fma_f64 v[212:213], -v[208:209], v[210:211], 1.0
	v_fma_f64 v[210:211], v[210:211], v[212:213], v[210:211]
	s_delay_alu instid0(VALU_DEP_1) | instskip(NEXT) | instid1(VALU_DEP_1)
	v_mul_f64 v[212:213], v[214:215], v[210:211]
	v_fma_f64 v[208:209], -v[208:209], v[212:213], v[214:215]
	s_delay_alu instid0(VALU_DEP_1) | instskip(NEXT) | instid1(VALU_DEP_1)
	v_div_fmas_f64 v[208:209], v[208:209], v[210:211], v[212:213]
	v_div_fixup_f64 v[208:209], v[208:209], v[204:205], v[206:207]
	s_delay_alu instid0(VALU_DEP_1) | instskip(NEXT) | instid1(VALU_DEP_1)
	v_fma_f64 v[204:205], v[206:207], v[208:209], v[204:205]
	v_div_scale_f64 v[206:207], null, v[204:205], v[204:205], 1.0
	s_delay_alu instid0(VALU_DEP_1) | instskip(SKIP_2) | instid1(VALU_DEP_1)
	v_rcp_f64_e32 v[210:211], v[206:207]
	s_waitcnt_depctr 0xfff
	v_fma_f64 v[212:213], -v[206:207], v[210:211], 1.0
	v_fma_f64 v[210:211], v[210:211], v[212:213], v[210:211]
	s_delay_alu instid0(VALU_DEP_1) | instskip(NEXT) | instid1(VALU_DEP_1)
	v_fma_f64 v[212:213], -v[206:207], v[210:211], 1.0
	v_fma_f64 v[210:211], v[210:211], v[212:213], v[210:211]
	v_div_scale_f64 v[212:213], vcc_lo, 1.0, v[204:205], 1.0
	s_delay_alu instid0(VALU_DEP_1) | instskip(NEXT) | instid1(VALU_DEP_1)
	v_mul_f64 v[214:215], v[212:213], v[210:211]
	v_fma_f64 v[206:207], -v[206:207], v[214:215], v[212:213]
	s_delay_alu instid0(VALU_DEP_1) | instskip(NEXT) | instid1(VALU_DEP_1)
	v_div_fmas_f64 v[206:207], v[206:207], v[210:211], v[214:215]
	v_div_fixup_f64 v[212:213], v[206:207], v[204:205], 1.0
	s_delay_alu instid0(VALU_DEP_1)
	v_mul_f64 v[210:211], v[208:209], -v[212:213]
.LBB101_223:
	s_or_b32 exec_lo, exec_lo, s3
	ds_store_2addr_b64 v255, v[212:213], v[210:211] offset1:1
.LBB101_224:
	s_or_b32 exec_lo, exec_lo, s4
	s_waitcnt lgkmcnt(0)
	s_barrier
	buffer_gl0_inv
	ds_load_2addr_b64 v[204:207], v255 offset1:1
	s_mov_b32 s3, exec_lo
	s_waitcnt lgkmcnt(0)
	scratch_store_b128 off, v[204:207], off offset:808 ; 16-byte Folded Spill
	scratch_load_b32 v204, off, off         ; 4-byte Folded Reload
	s_waitcnt vmcnt(0)
	v_cmpx_lt_u32_e32 24, v204
	s_cbranch_execz .LBB101_226
; %bb.225:
	scratch_load_b128 v[206:209], off, off offset:808 ; 16-byte Folded Reload
	s_waitcnt vmcnt(0)
	v_mul_f64 v[204:205], v[208:209], v[106:107]
	v_mul_f64 v[106:107], v[206:207], v[106:107]
	s_delay_alu instid0(VALU_DEP_2) | instskip(NEXT) | instid1(VALU_DEP_2)
	v_fma_f64 v[204:205], v[206:207], v[104:105], -v[204:205]
	v_fma_f64 v[106:107], v[208:209], v[104:105], v[106:107]
	ds_load_2addr_b64 v[206:209], v254 offset0:50 offset1:51
	s_waitcnt lgkmcnt(0)
	v_mul_f64 v[104:105], v[208:209], v[106:107]
	s_delay_alu instid0(VALU_DEP_1) | instskip(SKIP_1) | instid1(VALU_DEP_2)
	v_fma_f64 v[104:105], v[206:207], v[204:205], -v[104:105]
	v_mul_f64 v[206:207], v[206:207], v[106:107]
	v_add_f64 v[100:101], v[100:101], -v[104:105]
	s_delay_alu instid0(VALU_DEP_2) | instskip(NEXT) | instid1(VALU_DEP_1)
	v_fma_f64 v[206:207], v[208:209], v[204:205], v[206:207]
	v_add_f64 v[102:103], v[102:103], -v[206:207]
	ds_load_2addr_b64 v[206:209], v254 offset0:52 offset1:53
	s_waitcnt lgkmcnt(0)
	v_mul_f64 v[104:105], v[208:209], v[106:107]
	s_delay_alu instid0(VALU_DEP_1) | instskip(SKIP_1) | instid1(VALU_DEP_2)
	v_fma_f64 v[104:105], v[206:207], v[204:205], -v[104:105]
	v_mul_f64 v[206:207], v[206:207], v[106:107]
	v_add_f64 v[96:97], v[96:97], -v[104:105]
	s_delay_alu instid0(VALU_DEP_2) | instskip(NEXT) | instid1(VALU_DEP_1)
	v_fma_f64 v[206:207], v[208:209], v[204:205], v[206:207]
	v_add_f64 v[98:99], v[98:99], -v[206:207]
	;; [unrolled: 10-line block ×25, first 2 shown]
	ds_load_2addr_b64 v[206:209], v254 offset0:100 offset1:101
	s_waitcnt lgkmcnt(0)
	v_mul_f64 v[104:105], v[208:209], v[106:107]
	s_delay_alu instid0(VALU_DEP_1) | instskip(SKIP_1) | instid1(VALU_DEP_2)
	v_fma_f64 v[104:105], v[206:207], v[204:205], -v[104:105]
	v_mul_f64 v[206:207], v[206:207], v[106:107]
	v_add_f64 v[0:1], v[0:1], -v[104:105]
	s_delay_alu instid0(VALU_DEP_2) | instskip(SKIP_1) | instid1(VALU_DEP_2)
	v_fma_f64 v[206:207], v[208:209], v[204:205], v[206:207]
	v_dual_mov_b32 v104, v204 :: v_dual_mov_b32 v105, v205
	v_add_f64 v[2:3], v[2:3], -v[206:207]
.LBB101_226:
	s_or_b32 exec_lo, exec_lo, s3
	scratch_load_b32 v204, off, off         ; 4-byte Folded Reload
	s_mov_b32 s4, exec_lo
	s_waitcnt vmcnt(0)
	s_waitcnt_vscnt null, 0x0
	s_barrier
	buffer_gl0_inv
	v_cmpx_eq_u32_e32 25, v204
	s_cbranch_execz .LBB101_233
; %bb.227:
	ds_store_2addr_b64 v255, v[100:101], v[102:103] offset1:1
	ds_store_2addr_b64 v254, v[96:97], v[98:99] offset0:52 offset1:53
	ds_store_2addr_b64 v254, v[92:93], v[94:95] offset0:54 offset1:55
	;; [unrolled: 1-line block ×25, first 2 shown]
	ds_load_2addr_b64 v[204:207], v255 offset1:1
	s_waitcnt lgkmcnt(0)
	v_cmp_neq_f64_e32 vcc_lo, 0, v[204:205]
	v_cmp_neq_f64_e64 s3, 0, v[206:207]
	s_delay_alu instid0(VALU_DEP_1) | instskip(NEXT) | instid1(SALU_CYCLE_1)
	s_or_b32 s3, vcc_lo, s3
	s_and_b32 exec_lo, exec_lo, s3
	s_cbranch_execz .LBB101_233
; %bb.228:
	v_cmp_gt_f64_e32 vcc_lo, 0, v[204:205]
	v_xor_b32_e32 v208, 0x80000000, v205
	v_xor_b32_e32 v210, 0x80000000, v207
	s_mov_b32 s3, exec_lo
                                        ; implicit-def: $vgpr212_vgpr213
	s_delay_alu instid0(VALU_DEP_2) | instskip(SKIP_4) | instid1(VALU_DEP_1)
	v_cndmask_b32_e32 v209, v205, v208, vcc_lo
	v_cndmask_b32_e32 v208, v204, v204, vcc_lo
	v_cmp_gt_f64_e32 vcc_lo, 0, v[206:207]
	v_cndmask_b32_e32 v211, v207, v210, vcc_lo
	v_cndmask_b32_e32 v210, v206, v206, vcc_lo
	v_cmpx_ngt_f64_e32 v[208:209], v[210:211]
	s_xor_b32 s3, exec_lo, s3
                                        ; implicit-def: $vgpr208_vgpr209_vgpr210_vgpr211
	s_cbranch_execz .LBB101_230
; %bb.229:
	v_div_scale_f64 v[208:209], null, v[206:207], v[206:207], v[204:205]
	v_div_scale_f64 v[214:215], vcc_lo, v[204:205], v[206:207], v[204:205]
	s_delay_alu instid0(VALU_DEP_2) | instskip(SKIP_2) | instid1(VALU_DEP_1)
	v_rcp_f64_e32 v[210:211], v[208:209]
	s_waitcnt_depctr 0xfff
	v_fma_f64 v[212:213], -v[208:209], v[210:211], 1.0
	v_fma_f64 v[210:211], v[210:211], v[212:213], v[210:211]
	s_delay_alu instid0(VALU_DEP_1) | instskip(NEXT) | instid1(VALU_DEP_1)
	v_fma_f64 v[212:213], -v[208:209], v[210:211], 1.0
	v_fma_f64 v[210:211], v[210:211], v[212:213], v[210:211]
	s_delay_alu instid0(VALU_DEP_1) | instskip(NEXT) | instid1(VALU_DEP_1)
	v_mul_f64 v[212:213], v[214:215], v[210:211]
	v_fma_f64 v[208:209], -v[208:209], v[212:213], v[214:215]
	s_delay_alu instid0(VALU_DEP_1) | instskip(NEXT) | instid1(VALU_DEP_1)
	v_div_fmas_f64 v[208:209], v[208:209], v[210:211], v[212:213]
	v_div_fixup_f64 v[208:209], v[208:209], v[206:207], v[204:205]
	s_delay_alu instid0(VALU_DEP_1) | instskip(NEXT) | instid1(VALU_DEP_1)
	v_fma_f64 v[204:205], v[204:205], v[208:209], v[206:207]
	v_div_scale_f64 v[206:207], null, v[204:205], v[204:205], 1.0
	s_delay_alu instid0(VALU_DEP_1) | instskip(SKIP_2) | instid1(VALU_DEP_1)
	v_rcp_f64_e32 v[210:211], v[206:207]
	s_waitcnt_depctr 0xfff
	v_fma_f64 v[212:213], -v[206:207], v[210:211], 1.0
	v_fma_f64 v[210:211], v[210:211], v[212:213], v[210:211]
	s_delay_alu instid0(VALU_DEP_1) | instskip(NEXT) | instid1(VALU_DEP_1)
	v_fma_f64 v[212:213], -v[206:207], v[210:211], 1.0
	v_fma_f64 v[210:211], v[210:211], v[212:213], v[210:211]
	v_div_scale_f64 v[212:213], vcc_lo, 1.0, v[204:205], 1.0
	s_delay_alu instid0(VALU_DEP_1) | instskip(NEXT) | instid1(VALU_DEP_1)
	v_mul_f64 v[214:215], v[212:213], v[210:211]
	v_fma_f64 v[206:207], -v[206:207], v[214:215], v[212:213]
	s_delay_alu instid0(VALU_DEP_1) | instskip(NEXT) | instid1(VALU_DEP_1)
	v_div_fmas_f64 v[206:207], v[206:207], v[210:211], v[214:215]
	v_div_fixup_f64 v[210:211], v[206:207], v[204:205], 1.0
                                        ; implicit-def: $vgpr204_vgpr205
	s_delay_alu instid0(VALU_DEP_1)
	v_mul_f64 v[212:213], v[208:209], v[210:211]
	v_xor_b32_e32 v211, 0x80000000, v211
.LBB101_230:
	s_and_not1_saveexec_b32 s3, s3
	s_cbranch_execz .LBB101_232
; %bb.231:
	v_div_scale_f64 v[208:209], null, v[204:205], v[204:205], v[206:207]
	v_div_scale_f64 v[214:215], vcc_lo, v[206:207], v[204:205], v[206:207]
	s_delay_alu instid0(VALU_DEP_2) | instskip(SKIP_2) | instid1(VALU_DEP_1)
	v_rcp_f64_e32 v[210:211], v[208:209]
	s_waitcnt_depctr 0xfff
	v_fma_f64 v[212:213], -v[208:209], v[210:211], 1.0
	v_fma_f64 v[210:211], v[210:211], v[212:213], v[210:211]
	s_delay_alu instid0(VALU_DEP_1) | instskip(NEXT) | instid1(VALU_DEP_1)
	v_fma_f64 v[212:213], -v[208:209], v[210:211], 1.0
	v_fma_f64 v[210:211], v[210:211], v[212:213], v[210:211]
	s_delay_alu instid0(VALU_DEP_1) | instskip(NEXT) | instid1(VALU_DEP_1)
	v_mul_f64 v[212:213], v[214:215], v[210:211]
	v_fma_f64 v[208:209], -v[208:209], v[212:213], v[214:215]
	s_delay_alu instid0(VALU_DEP_1) | instskip(NEXT) | instid1(VALU_DEP_1)
	v_div_fmas_f64 v[208:209], v[208:209], v[210:211], v[212:213]
	v_div_fixup_f64 v[208:209], v[208:209], v[204:205], v[206:207]
	s_delay_alu instid0(VALU_DEP_1) | instskip(NEXT) | instid1(VALU_DEP_1)
	v_fma_f64 v[204:205], v[206:207], v[208:209], v[204:205]
	v_div_scale_f64 v[206:207], null, v[204:205], v[204:205], 1.0
	s_delay_alu instid0(VALU_DEP_1) | instskip(SKIP_2) | instid1(VALU_DEP_1)
	v_rcp_f64_e32 v[210:211], v[206:207]
	s_waitcnt_depctr 0xfff
	v_fma_f64 v[212:213], -v[206:207], v[210:211], 1.0
	v_fma_f64 v[210:211], v[210:211], v[212:213], v[210:211]
	s_delay_alu instid0(VALU_DEP_1) | instskip(NEXT) | instid1(VALU_DEP_1)
	v_fma_f64 v[212:213], -v[206:207], v[210:211], 1.0
	v_fma_f64 v[210:211], v[210:211], v[212:213], v[210:211]
	v_div_scale_f64 v[212:213], vcc_lo, 1.0, v[204:205], 1.0
	s_delay_alu instid0(VALU_DEP_1) | instskip(NEXT) | instid1(VALU_DEP_1)
	v_mul_f64 v[214:215], v[212:213], v[210:211]
	v_fma_f64 v[206:207], -v[206:207], v[214:215], v[212:213]
	s_delay_alu instid0(VALU_DEP_1) | instskip(NEXT) | instid1(VALU_DEP_1)
	v_div_fmas_f64 v[206:207], v[206:207], v[210:211], v[214:215]
	v_div_fixup_f64 v[212:213], v[206:207], v[204:205], 1.0
	s_delay_alu instid0(VALU_DEP_1)
	v_mul_f64 v[210:211], v[208:209], -v[212:213]
.LBB101_232:
	s_or_b32 exec_lo, exec_lo, s3
	ds_store_2addr_b64 v255, v[212:213], v[210:211] offset1:1
.LBB101_233:
	s_or_b32 exec_lo, exec_lo, s4
	s_waitcnt lgkmcnt(0)
	s_barrier
	buffer_gl0_inv
	ds_load_2addr_b64 v[204:207], v255 offset1:1
	s_mov_b32 s3, exec_lo
	s_waitcnt lgkmcnt(0)
	scratch_store_b128 off, v[204:207], off offset:824 ; 16-byte Folded Spill
	scratch_load_b32 v204, off, off         ; 4-byte Folded Reload
	s_waitcnt vmcnt(0)
	v_cmpx_lt_u32_e32 25, v204
	s_cbranch_execz .LBB101_235
; %bb.234:
	scratch_load_b128 v[206:209], off, off offset:824 ; 16-byte Folded Reload
	s_waitcnt vmcnt(0)
	v_mul_f64 v[204:205], v[208:209], v[102:103]
	v_mul_f64 v[102:103], v[206:207], v[102:103]
	s_delay_alu instid0(VALU_DEP_2) | instskip(NEXT) | instid1(VALU_DEP_2)
	v_fma_f64 v[204:205], v[206:207], v[100:101], -v[204:205]
	v_fma_f64 v[102:103], v[208:209], v[100:101], v[102:103]
	ds_load_2addr_b64 v[206:209], v254 offset0:52 offset1:53
	s_waitcnt lgkmcnt(0)
	v_mul_f64 v[100:101], v[208:209], v[102:103]
	s_delay_alu instid0(VALU_DEP_1) | instskip(SKIP_1) | instid1(VALU_DEP_2)
	v_fma_f64 v[100:101], v[206:207], v[204:205], -v[100:101]
	v_mul_f64 v[206:207], v[206:207], v[102:103]
	v_add_f64 v[96:97], v[96:97], -v[100:101]
	s_delay_alu instid0(VALU_DEP_2) | instskip(NEXT) | instid1(VALU_DEP_1)
	v_fma_f64 v[206:207], v[208:209], v[204:205], v[206:207]
	v_add_f64 v[98:99], v[98:99], -v[206:207]
	ds_load_2addr_b64 v[206:209], v254 offset0:54 offset1:55
	s_waitcnt lgkmcnt(0)
	v_mul_f64 v[100:101], v[208:209], v[102:103]
	s_delay_alu instid0(VALU_DEP_1) | instskip(SKIP_1) | instid1(VALU_DEP_2)
	v_fma_f64 v[100:101], v[206:207], v[204:205], -v[100:101]
	v_mul_f64 v[206:207], v[206:207], v[102:103]
	v_add_f64 v[92:93], v[92:93], -v[100:101]
	s_delay_alu instid0(VALU_DEP_2) | instskip(NEXT) | instid1(VALU_DEP_1)
	v_fma_f64 v[206:207], v[208:209], v[204:205], v[206:207]
	v_add_f64 v[94:95], v[94:95], -v[206:207]
	;; [unrolled: 10-line block ×24, first 2 shown]
	ds_load_2addr_b64 v[206:209], v254 offset0:100 offset1:101
	s_waitcnt lgkmcnt(0)
	v_mul_f64 v[100:101], v[208:209], v[102:103]
	s_delay_alu instid0(VALU_DEP_1) | instskip(SKIP_1) | instid1(VALU_DEP_2)
	v_fma_f64 v[100:101], v[206:207], v[204:205], -v[100:101]
	v_mul_f64 v[206:207], v[206:207], v[102:103]
	v_add_f64 v[0:1], v[0:1], -v[100:101]
	s_delay_alu instid0(VALU_DEP_2) | instskip(SKIP_1) | instid1(VALU_DEP_2)
	v_fma_f64 v[206:207], v[208:209], v[204:205], v[206:207]
	v_dual_mov_b32 v100, v204 :: v_dual_mov_b32 v101, v205
	v_add_f64 v[2:3], v[2:3], -v[206:207]
.LBB101_235:
	s_or_b32 exec_lo, exec_lo, s3
	scratch_load_b32 v204, off, off         ; 4-byte Folded Reload
	s_mov_b32 s4, exec_lo
	s_waitcnt vmcnt(0)
	s_waitcnt_vscnt null, 0x0
	s_barrier
	buffer_gl0_inv
	v_cmpx_eq_u32_e32 26, v204
	s_cbranch_execz .LBB101_242
; %bb.236:
	ds_store_2addr_b64 v255, v[96:97], v[98:99] offset1:1
	ds_store_2addr_b64 v254, v[92:93], v[94:95] offset0:54 offset1:55
	ds_store_2addr_b64 v254, v[88:89], v[90:91] offset0:56 offset1:57
	;; [unrolled: 1-line block ×24, first 2 shown]
	ds_load_2addr_b64 v[204:207], v255 offset1:1
	s_waitcnt lgkmcnt(0)
	v_cmp_neq_f64_e32 vcc_lo, 0, v[204:205]
	v_cmp_neq_f64_e64 s3, 0, v[206:207]
	s_delay_alu instid0(VALU_DEP_1) | instskip(NEXT) | instid1(SALU_CYCLE_1)
	s_or_b32 s3, vcc_lo, s3
	s_and_b32 exec_lo, exec_lo, s3
	s_cbranch_execz .LBB101_242
; %bb.237:
	v_cmp_gt_f64_e32 vcc_lo, 0, v[204:205]
	v_xor_b32_e32 v208, 0x80000000, v205
	v_xor_b32_e32 v210, 0x80000000, v207
	s_mov_b32 s3, exec_lo
                                        ; implicit-def: $vgpr212_vgpr213
	s_delay_alu instid0(VALU_DEP_2) | instskip(SKIP_4) | instid1(VALU_DEP_1)
	v_cndmask_b32_e32 v209, v205, v208, vcc_lo
	v_cndmask_b32_e32 v208, v204, v204, vcc_lo
	v_cmp_gt_f64_e32 vcc_lo, 0, v[206:207]
	v_cndmask_b32_e32 v211, v207, v210, vcc_lo
	v_cndmask_b32_e32 v210, v206, v206, vcc_lo
	v_cmpx_ngt_f64_e32 v[208:209], v[210:211]
	s_xor_b32 s3, exec_lo, s3
                                        ; implicit-def: $vgpr208_vgpr209_vgpr210_vgpr211
	s_cbranch_execz .LBB101_239
; %bb.238:
	v_div_scale_f64 v[208:209], null, v[206:207], v[206:207], v[204:205]
	v_div_scale_f64 v[214:215], vcc_lo, v[204:205], v[206:207], v[204:205]
	s_delay_alu instid0(VALU_DEP_2) | instskip(SKIP_2) | instid1(VALU_DEP_1)
	v_rcp_f64_e32 v[210:211], v[208:209]
	s_waitcnt_depctr 0xfff
	v_fma_f64 v[212:213], -v[208:209], v[210:211], 1.0
	v_fma_f64 v[210:211], v[210:211], v[212:213], v[210:211]
	s_delay_alu instid0(VALU_DEP_1) | instskip(NEXT) | instid1(VALU_DEP_1)
	v_fma_f64 v[212:213], -v[208:209], v[210:211], 1.0
	v_fma_f64 v[210:211], v[210:211], v[212:213], v[210:211]
	s_delay_alu instid0(VALU_DEP_1) | instskip(NEXT) | instid1(VALU_DEP_1)
	v_mul_f64 v[212:213], v[214:215], v[210:211]
	v_fma_f64 v[208:209], -v[208:209], v[212:213], v[214:215]
	s_delay_alu instid0(VALU_DEP_1) | instskip(NEXT) | instid1(VALU_DEP_1)
	v_div_fmas_f64 v[208:209], v[208:209], v[210:211], v[212:213]
	v_div_fixup_f64 v[208:209], v[208:209], v[206:207], v[204:205]
	s_delay_alu instid0(VALU_DEP_1) | instskip(NEXT) | instid1(VALU_DEP_1)
	v_fma_f64 v[204:205], v[204:205], v[208:209], v[206:207]
	v_div_scale_f64 v[206:207], null, v[204:205], v[204:205], 1.0
	s_delay_alu instid0(VALU_DEP_1) | instskip(SKIP_2) | instid1(VALU_DEP_1)
	v_rcp_f64_e32 v[210:211], v[206:207]
	s_waitcnt_depctr 0xfff
	v_fma_f64 v[212:213], -v[206:207], v[210:211], 1.0
	v_fma_f64 v[210:211], v[210:211], v[212:213], v[210:211]
	s_delay_alu instid0(VALU_DEP_1) | instskip(NEXT) | instid1(VALU_DEP_1)
	v_fma_f64 v[212:213], -v[206:207], v[210:211], 1.0
	v_fma_f64 v[210:211], v[210:211], v[212:213], v[210:211]
	v_div_scale_f64 v[212:213], vcc_lo, 1.0, v[204:205], 1.0
	s_delay_alu instid0(VALU_DEP_1) | instskip(NEXT) | instid1(VALU_DEP_1)
	v_mul_f64 v[214:215], v[212:213], v[210:211]
	v_fma_f64 v[206:207], -v[206:207], v[214:215], v[212:213]
	s_delay_alu instid0(VALU_DEP_1) | instskip(NEXT) | instid1(VALU_DEP_1)
	v_div_fmas_f64 v[206:207], v[206:207], v[210:211], v[214:215]
	v_div_fixup_f64 v[210:211], v[206:207], v[204:205], 1.0
                                        ; implicit-def: $vgpr204_vgpr205
	s_delay_alu instid0(VALU_DEP_1)
	v_mul_f64 v[212:213], v[208:209], v[210:211]
	v_xor_b32_e32 v211, 0x80000000, v211
.LBB101_239:
	s_and_not1_saveexec_b32 s3, s3
	s_cbranch_execz .LBB101_241
; %bb.240:
	v_div_scale_f64 v[208:209], null, v[204:205], v[204:205], v[206:207]
	v_div_scale_f64 v[214:215], vcc_lo, v[206:207], v[204:205], v[206:207]
	s_delay_alu instid0(VALU_DEP_2) | instskip(SKIP_2) | instid1(VALU_DEP_1)
	v_rcp_f64_e32 v[210:211], v[208:209]
	s_waitcnt_depctr 0xfff
	v_fma_f64 v[212:213], -v[208:209], v[210:211], 1.0
	v_fma_f64 v[210:211], v[210:211], v[212:213], v[210:211]
	s_delay_alu instid0(VALU_DEP_1) | instskip(NEXT) | instid1(VALU_DEP_1)
	v_fma_f64 v[212:213], -v[208:209], v[210:211], 1.0
	v_fma_f64 v[210:211], v[210:211], v[212:213], v[210:211]
	s_delay_alu instid0(VALU_DEP_1) | instskip(NEXT) | instid1(VALU_DEP_1)
	v_mul_f64 v[212:213], v[214:215], v[210:211]
	v_fma_f64 v[208:209], -v[208:209], v[212:213], v[214:215]
	s_delay_alu instid0(VALU_DEP_1) | instskip(NEXT) | instid1(VALU_DEP_1)
	v_div_fmas_f64 v[208:209], v[208:209], v[210:211], v[212:213]
	v_div_fixup_f64 v[208:209], v[208:209], v[204:205], v[206:207]
	s_delay_alu instid0(VALU_DEP_1) | instskip(NEXT) | instid1(VALU_DEP_1)
	v_fma_f64 v[204:205], v[206:207], v[208:209], v[204:205]
	v_div_scale_f64 v[206:207], null, v[204:205], v[204:205], 1.0
	s_delay_alu instid0(VALU_DEP_1) | instskip(SKIP_2) | instid1(VALU_DEP_1)
	v_rcp_f64_e32 v[210:211], v[206:207]
	s_waitcnt_depctr 0xfff
	v_fma_f64 v[212:213], -v[206:207], v[210:211], 1.0
	v_fma_f64 v[210:211], v[210:211], v[212:213], v[210:211]
	s_delay_alu instid0(VALU_DEP_1) | instskip(NEXT) | instid1(VALU_DEP_1)
	v_fma_f64 v[212:213], -v[206:207], v[210:211], 1.0
	v_fma_f64 v[210:211], v[210:211], v[212:213], v[210:211]
	v_div_scale_f64 v[212:213], vcc_lo, 1.0, v[204:205], 1.0
	s_delay_alu instid0(VALU_DEP_1) | instskip(NEXT) | instid1(VALU_DEP_1)
	v_mul_f64 v[214:215], v[212:213], v[210:211]
	v_fma_f64 v[206:207], -v[206:207], v[214:215], v[212:213]
	s_delay_alu instid0(VALU_DEP_1) | instskip(NEXT) | instid1(VALU_DEP_1)
	v_div_fmas_f64 v[206:207], v[206:207], v[210:211], v[214:215]
	v_div_fixup_f64 v[212:213], v[206:207], v[204:205], 1.0
	s_delay_alu instid0(VALU_DEP_1)
	v_mul_f64 v[210:211], v[208:209], -v[212:213]
.LBB101_241:
	s_or_b32 exec_lo, exec_lo, s3
	ds_store_2addr_b64 v255, v[212:213], v[210:211] offset1:1
.LBB101_242:
	s_or_b32 exec_lo, exec_lo, s4
	s_waitcnt lgkmcnt(0)
	s_barrier
	buffer_gl0_inv
	ds_load_2addr_b64 v[204:207], v255 offset1:1
	s_mov_b32 s3, exec_lo
	s_waitcnt lgkmcnt(0)
	scratch_store_b128 off, v[204:207], off offset:840 ; 16-byte Folded Spill
	scratch_load_b32 v204, off, off         ; 4-byte Folded Reload
	s_waitcnt vmcnt(0)
	v_cmpx_lt_u32_e32 26, v204
	s_cbranch_execz .LBB101_244
; %bb.243:
	scratch_load_b128 v[206:209], off, off offset:840 ; 16-byte Folded Reload
	s_waitcnt vmcnt(0)
	v_mul_f64 v[204:205], v[208:209], v[98:99]
	v_mul_f64 v[98:99], v[206:207], v[98:99]
	s_delay_alu instid0(VALU_DEP_2) | instskip(NEXT) | instid1(VALU_DEP_2)
	v_fma_f64 v[204:205], v[206:207], v[96:97], -v[204:205]
	v_fma_f64 v[98:99], v[208:209], v[96:97], v[98:99]
	ds_load_2addr_b64 v[206:209], v254 offset0:54 offset1:55
	s_waitcnt lgkmcnt(0)
	v_mul_f64 v[96:97], v[208:209], v[98:99]
	s_delay_alu instid0(VALU_DEP_1) | instskip(SKIP_1) | instid1(VALU_DEP_2)
	v_fma_f64 v[96:97], v[206:207], v[204:205], -v[96:97]
	v_mul_f64 v[206:207], v[206:207], v[98:99]
	v_add_f64 v[92:93], v[92:93], -v[96:97]
	s_delay_alu instid0(VALU_DEP_2) | instskip(NEXT) | instid1(VALU_DEP_1)
	v_fma_f64 v[206:207], v[208:209], v[204:205], v[206:207]
	v_add_f64 v[94:95], v[94:95], -v[206:207]
	ds_load_2addr_b64 v[206:209], v254 offset0:56 offset1:57
	s_waitcnt lgkmcnt(0)
	v_mul_f64 v[96:97], v[208:209], v[98:99]
	s_delay_alu instid0(VALU_DEP_1) | instskip(SKIP_1) | instid1(VALU_DEP_2)
	v_fma_f64 v[96:97], v[206:207], v[204:205], -v[96:97]
	v_mul_f64 v[206:207], v[206:207], v[98:99]
	v_add_f64 v[88:89], v[88:89], -v[96:97]
	s_delay_alu instid0(VALU_DEP_2) | instskip(NEXT) | instid1(VALU_DEP_1)
	v_fma_f64 v[206:207], v[208:209], v[204:205], v[206:207]
	v_add_f64 v[90:91], v[90:91], -v[206:207]
	;; [unrolled: 10-line block ×23, first 2 shown]
	ds_load_2addr_b64 v[206:209], v254 offset0:100 offset1:101
	s_waitcnt lgkmcnt(0)
	v_mul_f64 v[96:97], v[208:209], v[98:99]
	s_delay_alu instid0(VALU_DEP_1) | instskip(SKIP_1) | instid1(VALU_DEP_2)
	v_fma_f64 v[96:97], v[206:207], v[204:205], -v[96:97]
	v_mul_f64 v[206:207], v[206:207], v[98:99]
	v_add_f64 v[0:1], v[0:1], -v[96:97]
	s_delay_alu instid0(VALU_DEP_2) | instskip(SKIP_1) | instid1(VALU_DEP_2)
	v_fma_f64 v[206:207], v[208:209], v[204:205], v[206:207]
	v_dual_mov_b32 v96, v204 :: v_dual_mov_b32 v97, v205
	v_add_f64 v[2:3], v[2:3], -v[206:207]
.LBB101_244:
	s_or_b32 exec_lo, exec_lo, s3
	scratch_load_b32 v204, off, off         ; 4-byte Folded Reload
	s_mov_b32 s4, exec_lo
	s_waitcnt vmcnt(0)
	s_waitcnt_vscnt null, 0x0
	s_barrier
	buffer_gl0_inv
	v_cmpx_eq_u32_e32 27, v204
	s_cbranch_execz .LBB101_251
; %bb.245:
	ds_store_2addr_b64 v255, v[92:93], v[94:95] offset1:1
	ds_store_2addr_b64 v254, v[88:89], v[90:91] offset0:56 offset1:57
	ds_store_2addr_b64 v254, v[84:85], v[86:87] offset0:58 offset1:59
	;; [unrolled: 1-line block ×23, first 2 shown]
	ds_load_2addr_b64 v[204:207], v255 offset1:1
	s_waitcnt lgkmcnt(0)
	v_cmp_neq_f64_e32 vcc_lo, 0, v[204:205]
	v_cmp_neq_f64_e64 s3, 0, v[206:207]
	s_delay_alu instid0(VALU_DEP_1) | instskip(NEXT) | instid1(SALU_CYCLE_1)
	s_or_b32 s3, vcc_lo, s3
	s_and_b32 exec_lo, exec_lo, s3
	s_cbranch_execz .LBB101_251
; %bb.246:
	v_cmp_gt_f64_e32 vcc_lo, 0, v[204:205]
	v_xor_b32_e32 v208, 0x80000000, v205
	v_xor_b32_e32 v210, 0x80000000, v207
	s_mov_b32 s3, exec_lo
                                        ; implicit-def: $vgpr212_vgpr213
	s_delay_alu instid0(VALU_DEP_2) | instskip(SKIP_4) | instid1(VALU_DEP_1)
	v_cndmask_b32_e32 v209, v205, v208, vcc_lo
	v_cndmask_b32_e32 v208, v204, v204, vcc_lo
	v_cmp_gt_f64_e32 vcc_lo, 0, v[206:207]
	v_cndmask_b32_e32 v211, v207, v210, vcc_lo
	v_cndmask_b32_e32 v210, v206, v206, vcc_lo
	v_cmpx_ngt_f64_e32 v[208:209], v[210:211]
	s_xor_b32 s3, exec_lo, s3
                                        ; implicit-def: $vgpr208_vgpr209_vgpr210_vgpr211
	s_cbranch_execz .LBB101_248
; %bb.247:
	v_div_scale_f64 v[208:209], null, v[206:207], v[206:207], v[204:205]
	v_div_scale_f64 v[214:215], vcc_lo, v[204:205], v[206:207], v[204:205]
	s_delay_alu instid0(VALU_DEP_2) | instskip(SKIP_2) | instid1(VALU_DEP_1)
	v_rcp_f64_e32 v[210:211], v[208:209]
	s_waitcnt_depctr 0xfff
	v_fma_f64 v[212:213], -v[208:209], v[210:211], 1.0
	v_fma_f64 v[210:211], v[210:211], v[212:213], v[210:211]
	s_delay_alu instid0(VALU_DEP_1) | instskip(NEXT) | instid1(VALU_DEP_1)
	v_fma_f64 v[212:213], -v[208:209], v[210:211], 1.0
	v_fma_f64 v[210:211], v[210:211], v[212:213], v[210:211]
	s_delay_alu instid0(VALU_DEP_1) | instskip(NEXT) | instid1(VALU_DEP_1)
	v_mul_f64 v[212:213], v[214:215], v[210:211]
	v_fma_f64 v[208:209], -v[208:209], v[212:213], v[214:215]
	s_delay_alu instid0(VALU_DEP_1) | instskip(NEXT) | instid1(VALU_DEP_1)
	v_div_fmas_f64 v[208:209], v[208:209], v[210:211], v[212:213]
	v_div_fixup_f64 v[208:209], v[208:209], v[206:207], v[204:205]
	s_delay_alu instid0(VALU_DEP_1) | instskip(NEXT) | instid1(VALU_DEP_1)
	v_fma_f64 v[204:205], v[204:205], v[208:209], v[206:207]
	v_div_scale_f64 v[206:207], null, v[204:205], v[204:205], 1.0
	s_delay_alu instid0(VALU_DEP_1) | instskip(SKIP_2) | instid1(VALU_DEP_1)
	v_rcp_f64_e32 v[210:211], v[206:207]
	s_waitcnt_depctr 0xfff
	v_fma_f64 v[212:213], -v[206:207], v[210:211], 1.0
	v_fma_f64 v[210:211], v[210:211], v[212:213], v[210:211]
	s_delay_alu instid0(VALU_DEP_1) | instskip(NEXT) | instid1(VALU_DEP_1)
	v_fma_f64 v[212:213], -v[206:207], v[210:211], 1.0
	v_fma_f64 v[210:211], v[210:211], v[212:213], v[210:211]
	v_div_scale_f64 v[212:213], vcc_lo, 1.0, v[204:205], 1.0
	s_delay_alu instid0(VALU_DEP_1) | instskip(NEXT) | instid1(VALU_DEP_1)
	v_mul_f64 v[214:215], v[212:213], v[210:211]
	v_fma_f64 v[206:207], -v[206:207], v[214:215], v[212:213]
	s_delay_alu instid0(VALU_DEP_1) | instskip(NEXT) | instid1(VALU_DEP_1)
	v_div_fmas_f64 v[206:207], v[206:207], v[210:211], v[214:215]
	v_div_fixup_f64 v[210:211], v[206:207], v[204:205], 1.0
                                        ; implicit-def: $vgpr204_vgpr205
	s_delay_alu instid0(VALU_DEP_1)
	v_mul_f64 v[212:213], v[208:209], v[210:211]
	v_xor_b32_e32 v211, 0x80000000, v211
.LBB101_248:
	s_and_not1_saveexec_b32 s3, s3
	s_cbranch_execz .LBB101_250
; %bb.249:
	v_div_scale_f64 v[208:209], null, v[204:205], v[204:205], v[206:207]
	v_div_scale_f64 v[214:215], vcc_lo, v[206:207], v[204:205], v[206:207]
	s_delay_alu instid0(VALU_DEP_2) | instskip(SKIP_2) | instid1(VALU_DEP_1)
	v_rcp_f64_e32 v[210:211], v[208:209]
	s_waitcnt_depctr 0xfff
	v_fma_f64 v[212:213], -v[208:209], v[210:211], 1.0
	v_fma_f64 v[210:211], v[210:211], v[212:213], v[210:211]
	s_delay_alu instid0(VALU_DEP_1) | instskip(NEXT) | instid1(VALU_DEP_1)
	v_fma_f64 v[212:213], -v[208:209], v[210:211], 1.0
	v_fma_f64 v[210:211], v[210:211], v[212:213], v[210:211]
	s_delay_alu instid0(VALU_DEP_1) | instskip(NEXT) | instid1(VALU_DEP_1)
	v_mul_f64 v[212:213], v[214:215], v[210:211]
	v_fma_f64 v[208:209], -v[208:209], v[212:213], v[214:215]
	s_delay_alu instid0(VALU_DEP_1) | instskip(NEXT) | instid1(VALU_DEP_1)
	v_div_fmas_f64 v[208:209], v[208:209], v[210:211], v[212:213]
	v_div_fixup_f64 v[208:209], v[208:209], v[204:205], v[206:207]
	s_delay_alu instid0(VALU_DEP_1) | instskip(NEXT) | instid1(VALU_DEP_1)
	v_fma_f64 v[204:205], v[206:207], v[208:209], v[204:205]
	v_div_scale_f64 v[206:207], null, v[204:205], v[204:205], 1.0
	s_delay_alu instid0(VALU_DEP_1) | instskip(SKIP_2) | instid1(VALU_DEP_1)
	v_rcp_f64_e32 v[210:211], v[206:207]
	s_waitcnt_depctr 0xfff
	v_fma_f64 v[212:213], -v[206:207], v[210:211], 1.0
	v_fma_f64 v[210:211], v[210:211], v[212:213], v[210:211]
	s_delay_alu instid0(VALU_DEP_1) | instskip(NEXT) | instid1(VALU_DEP_1)
	v_fma_f64 v[212:213], -v[206:207], v[210:211], 1.0
	v_fma_f64 v[210:211], v[210:211], v[212:213], v[210:211]
	v_div_scale_f64 v[212:213], vcc_lo, 1.0, v[204:205], 1.0
	s_delay_alu instid0(VALU_DEP_1) | instskip(NEXT) | instid1(VALU_DEP_1)
	v_mul_f64 v[214:215], v[212:213], v[210:211]
	v_fma_f64 v[206:207], -v[206:207], v[214:215], v[212:213]
	s_delay_alu instid0(VALU_DEP_1) | instskip(NEXT) | instid1(VALU_DEP_1)
	v_div_fmas_f64 v[206:207], v[206:207], v[210:211], v[214:215]
	v_div_fixup_f64 v[212:213], v[206:207], v[204:205], 1.0
	s_delay_alu instid0(VALU_DEP_1)
	v_mul_f64 v[210:211], v[208:209], -v[212:213]
.LBB101_250:
	s_or_b32 exec_lo, exec_lo, s3
	ds_store_2addr_b64 v255, v[212:213], v[210:211] offset1:1
.LBB101_251:
	s_or_b32 exec_lo, exec_lo, s4
	s_waitcnt lgkmcnt(0)
	s_barrier
	buffer_gl0_inv
	ds_load_2addr_b64 v[204:207], v255 offset1:1
	s_mov_b32 s3, exec_lo
	s_waitcnt lgkmcnt(0)
	scratch_store_b128 off, v[204:207], off offset:856 ; 16-byte Folded Spill
	scratch_load_b32 v204, off, off         ; 4-byte Folded Reload
	s_waitcnt vmcnt(0)
	v_cmpx_lt_u32_e32 27, v204
	s_cbranch_execz .LBB101_253
; %bb.252:
	scratch_load_b128 v[206:209], off, off offset:856 ; 16-byte Folded Reload
	s_waitcnt vmcnt(0)
	v_mul_f64 v[204:205], v[208:209], v[94:95]
	v_mul_f64 v[94:95], v[206:207], v[94:95]
	s_delay_alu instid0(VALU_DEP_2) | instskip(NEXT) | instid1(VALU_DEP_2)
	v_fma_f64 v[204:205], v[206:207], v[92:93], -v[204:205]
	v_fma_f64 v[94:95], v[208:209], v[92:93], v[94:95]
	ds_load_2addr_b64 v[206:209], v254 offset0:56 offset1:57
	s_waitcnt lgkmcnt(0)
	v_mul_f64 v[92:93], v[208:209], v[94:95]
	s_delay_alu instid0(VALU_DEP_1) | instskip(SKIP_1) | instid1(VALU_DEP_2)
	v_fma_f64 v[92:93], v[206:207], v[204:205], -v[92:93]
	v_mul_f64 v[206:207], v[206:207], v[94:95]
	v_add_f64 v[88:89], v[88:89], -v[92:93]
	s_delay_alu instid0(VALU_DEP_2) | instskip(NEXT) | instid1(VALU_DEP_1)
	v_fma_f64 v[206:207], v[208:209], v[204:205], v[206:207]
	v_add_f64 v[90:91], v[90:91], -v[206:207]
	ds_load_2addr_b64 v[206:209], v254 offset0:58 offset1:59
	s_waitcnt lgkmcnt(0)
	v_mul_f64 v[92:93], v[208:209], v[94:95]
	s_delay_alu instid0(VALU_DEP_1) | instskip(SKIP_1) | instid1(VALU_DEP_2)
	v_fma_f64 v[92:93], v[206:207], v[204:205], -v[92:93]
	v_mul_f64 v[206:207], v[206:207], v[94:95]
	v_add_f64 v[84:85], v[84:85], -v[92:93]
	s_delay_alu instid0(VALU_DEP_2) | instskip(NEXT) | instid1(VALU_DEP_1)
	v_fma_f64 v[206:207], v[208:209], v[204:205], v[206:207]
	v_add_f64 v[86:87], v[86:87], -v[206:207]
	;; [unrolled: 10-line block ×22, first 2 shown]
	ds_load_2addr_b64 v[206:209], v254 offset0:100 offset1:101
	s_waitcnt lgkmcnt(0)
	v_mul_f64 v[92:93], v[208:209], v[94:95]
	s_delay_alu instid0(VALU_DEP_1) | instskip(SKIP_1) | instid1(VALU_DEP_2)
	v_fma_f64 v[92:93], v[206:207], v[204:205], -v[92:93]
	v_mul_f64 v[206:207], v[206:207], v[94:95]
	v_add_f64 v[0:1], v[0:1], -v[92:93]
	s_delay_alu instid0(VALU_DEP_2) | instskip(SKIP_1) | instid1(VALU_DEP_2)
	v_fma_f64 v[206:207], v[208:209], v[204:205], v[206:207]
	v_dual_mov_b32 v92, v204 :: v_dual_mov_b32 v93, v205
	v_add_f64 v[2:3], v[2:3], -v[206:207]
.LBB101_253:
	s_or_b32 exec_lo, exec_lo, s3
	scratch_load_b32 v204, off, off         ; 4-byte Folded Reload
	s_mov_b32 s4, exec_lo
	s_waitcnt vmcnt(0)
	s_waitcnt_vscnt null, 0x0
	s_barrier
	buffer_gl0_inv
	v_cmpx_eq_u32_e32 28, v204
	s_cbranch_execz .LBB101_260
; %bb.254:
	ds_store_2addr_b64 v255, v[88:89], v[90:91] offset1:1
	ds_store_2addr_b64 v254, v[84:85], v[86:87] offset0:58 offset1:59
	ds_store_2addr_b64 v254, v[80:81], v[82:83] offset0:60 offset1:61
	;; [unrolled: 1-line block ×22, first 2 shown]
	ds_load_2addr_b64 v[204:207], v255 offset1:1
	s_waitcnt lgkmcnt(0)
	v_cmp_neq_f64_e32 vcc_lo, 0, v[204:205]
	v_cmp_neq_f64_e64 s3, 0, v[206:207]
	s_delay_alu instid0(VALU_DEP_1) | instskip(NEXT) | instid1(SALU_CYCLE_1)
	s_or_b32 s3, vcc_lo, s3
	s_and_b32 exec_lo, exec_lo, s3
	s_cbranch_execz .LBB101_260
; %bb.255:
	v_cmp_gt_f64_e32 vcc_lo, 0, v[204:205]
	v_xor_b32_e32 v208, 0x80000000, v205
	v_xor_b32_e32 v210, 0x80000000, v207
	s_mov_b32 s3, exec_lo
                                        ; implicit-def: $vgpr212_vgpr213
	s_delay_alu instid0(VALU_DEP_2) | instskip(SKIP_4) | instid1(VALU_DEP_1)
	v_cndmask_b32_e32 v209, v205, v208, vcc_lo
	v_cndmask_b32_e32 v208, v204, v204, vcc_lo
	v_cmp_gt_f64_e32 vcc_lo, 0, v[206:207]
	v_cndmask_b32_e32 v211, v207, v210, vcc_lo
	v_cndmask_b32_e32 v210, v206, v206, vcc_lo
	v_cmpx_ngt_f64_e32 v[208:209], v[210:211]
	s_xor_b32 s3, exec_lo, s3
                                        ; implicit-def: $vgpr208_vgpr209_vgpr210_vgpr211
	s_cbranch_execz .LBB101_257
; %bb.256:
	v_div_scale_f64 v[208:209], null, v[206:207], v[206:207], v[204:205]
	v_div_scale_f64 v[214:215], vcc_lo, v[204:205], v[206:207], v[204:205]
	s_delay_alu instid0(VALU_DEP_2) | instskip(SKIP_2) | instid1(VALU_DEP_1)
	v_rcp_f64_e32 v[210:211], v[208:209]
	s_waitcnt_depctr 0xfff
	v_fma_f64 v[212:213], -v[208:209], v[210:211], 1.0
	v_fma_f64 v[210:211], v[210:211], v[212:213], v[210:211]
	s_delay_alu instid0(VALU_DEP_1) | instskip(NEXT) | instid1(VALU_DEP_1)
	v_fma_f64 v[212:213], -v[208:209], v[210:211], 1.0
	v_fma_f64 v[210:211], v[210:211], v[212:213], v[210:211]
	s_delay_alu instid0(VALU_DEP_1) | instskip(NEXT) | instid1(VALU_DEP_1)
	v_mul_f64 v[212:213], v[214:215], v[210:211]
	v_fma_f64 v[208:209], -v[208:209], v[212:213], v[214:215]
	s_delay_alu instid0(VALU_DEP_1) | instskip(NEXT) | instid1(VALU_DEP_1)
	v_div_fmas_f64 v[208:209], v[208:209], v[210:211], v[212:213]
	v_div_fixup_f64 v[208:209], v[208:209], v[206:207], v[204:205]
	s_delay_alu instid0(VALU_DEP_1) | instskip(NEXT) | instid1(VALU_DEP_1)
	v_fma_f64 v[204:205], v[204:205], v[208:209], v[206:207]
	v_div_scale_f64 v[206:207], null, v[204:205], v[204:205], 1.0
	s_delay_alu instid0(VALU_DEP_1) | instskip(SKIP_2) | instid1(VALU_DEP_1)
	v_rcp_f64_e32 v[210:211], v[206:207]
	s_waitcnt_depctr 0xfff
	v_fma_f64 v[212:213], -v[206:207], v[210:211], 1.0
	v_fma_f64 v[210:211], v[210:211], v[212:213], v[210:211]
	s_delay_alu instid0(VALU_DEP_1) | instskip(NEXT) | instid1(VALU_DEP_1)
	v_fma_f64 v[212:213], -v[206:207], v[210:211], 1.0
	v_fma_f64 v[210:211], v[210:211], v[212:213], v[210:211]
	v_div_scale_f64 v[212:213], vcc_lo, 1.0, v[204:205], 1.0
	s_delay_alu instid0(VALU_DEP_1) | instskip(NEXT) | instid1(VALU_DEP_1)
	v_mul_f64 v[214:215], v[212:213], v[210:211]
	v_fma_f64 v[206:207], -v[206:207], v[214:215], v[212:213]
	s_delay_alu instid0(VALU_DEP_1) | instskip(NEXT) | instid1(VALU_DEP_1)
	v_div_fmas_f64 v[206:207], v[206:207], v[210:211], v[214:215]
	v_div_fixup_f64 v[210:211], v[206:207], v[204:205], 1.0
                                        ; implicit-def: $vgpr204_vgpr205
	s_delay_alu instid0(VALU_DEP_1)
	v_mul_f64 v[212:213], v[208:209], v[210:211]
	v_xor_b32_e32 v211, 0x80000000, v211
.LBB101_257:
	s_and_not1_saveexec_b32 s3, s3
	s_cbranch_execz .LBB101_259
; %bb.258:
	v_div_scale_f64 v[208:209], null, v[204:205], v[204:205], v[206:207]
	v_div_scale_f64 v[214:215], vcc_lo, v[206:207], v[204:205], v[206:207]
	s_delay_alu instid0(VALU_DEP_2) | instskip(SKIP_2) | instid1(VALU_DEP_1)
	v_rcp_f64_e32 v[210:211], v[208:209]
	s_waitcnt_depctr 0xfff
	v_fma_f64 v[212:213], -v[208:209], v[210:211], 1.0
	v_fma_f64 v[210:211], v[210:211], v[212:213], v[210:211]
	s_delay_alu instid0(VALU_DEP_1) | instskip(NEXT) | instid1(VALU_DEP_1)
	v_fma_f64 v[212:213], -v[208:209], v[210:211], 1.0
	v_fma_f64 v[210:211], v[210:211], v[212:213], v[210:211]
	s_delay_alu instid0(VALU_DEP_1) | instskip(NEXT) | instid1(VALU_DEP_1)
	v_mul_f64 v[212:213], v[214:215], v[210:211]
	v_fma_f64 v[208:209], -v[208:209], v[212:213], v[214:215]
	s_delay_alu instid0(VALU_DEP_1) | instskip(NEXT) | instid1(VALU_DEP_1)
	v_div_fmas_f64 v[208:209], v[208:209], v[210:211], v[212:213]
	v_div_fixup_f64 v[208:209], v[208:209], v[204:205], v[206:207]
	s_delay_alu instid0(VALU_DEP_1) | instskip(NEXT) | instid1(VALU_DEP_1)
	v_fma_f64 v[204:205], v[206:207], v[208:209], v[204:205]
	v_div_scale_f64 v[206:207], null, v[204:205], v[204:205], 1.0
	s_delay_alu instid0(VALU_DEP_1) | instskip(SKIP_2) | instid1(VALU_DEP_1)
	v_rcp_f64_e32 v[210:211], v[206:207]
	s_waitcnt_depctr 0xfff
	v_fma_f64 v[212:213], -v[206:207], v[210:211], 1.0
	v_fma_f64 v[210:211], v[210:211], v[212:213], v[210:211]
	s_delay_alu instid0(VALU_DEP_1) | instskip(NEXT) | instid1(VALU_DEP_1)
	v_fma_f64 v[212:213], -v[206:207], v[210:211], 1.0
	v_fma_f64 v[210:211], v[210:211], v[212:213], v[210:211]
	v_div_scale_f64 v[212:213], vcc_lo, 1.0, v[204:205], 1.0
	s_delay_alu instid0(VALU_DEP_1) | instskip(NEXT) | instid1(VALU_DEP_1)
	v_mul_f64 v[214:215], v[212:213], v[210:211]
	v_fma_f64 v[206:207], -v[206:207], v[214:215], v[212:213]
	s_delay_alu instid0(VALU_DEP_1) | instskip(NEXT) | instid1(VALU_DEP_1)
	v_div_fmas_f64 v[206:207], v[206:207], v[210:211], v[214:215]
	v_div_fixup_f64 v[212:213], v[206:207], v[204:205], 1.0
	s_delay_alu instid0(VALU_DEP_1)
	v_mul_f64 v[210:211], v[208:209], -v[212:213]
.LBB101_259:
	s_or_b32 exec_lo, exec_lo, s3
	ds_store_2addr_b64 v255, v[212:213], v[210:211] offset1:1
.LBB101_260:
	s_or_b32 exec_lo, exec_lo, s4
	s_waitcnt lgkmcnt(0)
	s_barrier
	buffer_gl0_inv
	ds_load_2addr_b64 v[204:207], v255 offset1:1
	s_mov_b32 s3, exec_lo
	s_waitcnt lgkmcnt(0)
	scratch_store_b128 off, v[204:207], off offset:872 ; 16-byte Folded Spill
	scratch_load_b32 v204, off, off         ; 4-byte Folded Reload
	s_waitcnt vmcnt(0)
	v_cmpx_lt_u32_e32 28, v204
	s_cbranch_execz .LBB101_262
; %bb.261:
	scratch_load_b128 v[206:209], off, off offset:872 ; 16-byte Folded Reload
	s_waitcnt vmcnt(0)
	v_mul_f64 v[204:205], v[208:209], v[90:91]
	v_mul_f64 v[90:91], v[206:207], v[90:91]
	s_delay_alu instid0(VALU_DEP_2) | instskip(NEXT) | instid1(VALU_DEP_2)
	v_fma_f64 v[204:205], v[206:207], v[88:89], -v[204:205]
	v_fma_f64 v[90:91], v[208:209], v[88:89], v[90:91]
	ds_load_2addr_b64 v[206:209], v254 offset0:58 offset1:59
	s_waitcnt lgkmcnt(0)
	v_mul_f64 v[88:89], v[208:209], v[90:91]
	s_delay_alu instid0(VALU_DEP_1) | instskip(SKIP_1) | instid1(VALU_DEP_2)
	v_fma_f64 v[88:89], v[206:207], v[204:205], -v[88:89]
	v_mul_f64 v[206:207], v[206:207], v[90:91]
	v_add_f64 v[84:85], v[84:85], -v[88:89]
	s_delay_alu instid0(VALU_DEP_2) | instskip(NEXT) | instid1(VALU_DEP_1)
	v_fma_f64 v[206:207], v[208:209], v[204:205], v[206:207]
	v_add_f64 v[86:87], v[86:87], -v[206:207]
	ds_load_2addr_b64 v[206:209], v254 offset0:60 offset1:61
	s_waitcnt lgkmcnt(0)
	v_mul_f64 v[88:89], v[208:209], v[90:91]
	s_delay_alu instid0(VALU_DEP_1) | instskip(SKIP_1) | instid1(VALU_DEP_2)
	v_fma_f64 v[88:89], v[206:207], v[204:205], -v[88:89]
	v_mul_f64 v[206:207], v[206:207], v[90:91]
	v_add_f64 v[80:81], v[80:81], -v[88:89]
	s_delay_alu instid0(VALU_DEP_2) | instskip(NEXT) | instid1(VALU_DEP_1)
	v_fma_f64 v[206:207], v[208:209], v[204:205], v[206:207]
	v_add_f64 v[82:83], v[82:83], -v[206:207]
	;; [unrolled: 10-line block ×21, first 2 shown]
	ds_load_2addr_b64 v[206:209], v254 offset0:100 offset1:101
	s_waitcnt lgkmcnt(0)
	v_mul_f64 v[88:89], v[208:209], v[90:91]
	s_delay_alu instid0(VALU_DEP_1) | instskip(SKIP_1) | instid1(VALU_DEP_2)
	v_fma_f64 v[88:89], v[206:207], v[204:205], -v[88:89]
	v_mul_f64 v[206:207], v[206:207], v[90:91]
	v_add_f64 v[0:1], v[0:1], -v[88:89]
	s_delay_alu instid0(VALU_DEP_2) | instskip(SKIP_1) | instid1(VALU_DEP_2)
	v_fma_f64 v[206:207], v[208:209], v[204:205], v[206:207]
	v_dual_mov_b32 v88, v204 :: v_dual_mov_b32 v89, v205
	v_add_f64 v[2:3], v[2:3], -v[206:207]
.LBB101_262:
	s_or_b32 exec_lo, exec_lo, s3
	scratch_load_b32 v204, off, off         ; 4-byte Folded Reload
	s_mov_b32 s4, exec_lo
	s_waitcnt vmcnt(0)
	s_waitcnt_vscnt null, 0x0
	s_barrier
	buffer_gl0_inv
	v_cmpx_eq_u32_e32 29, v204
	s_cbranch_execz .LBB101_269
; %bb.263:
	ds_store_2addr_b64 v255, v[84:85], v[86:87] offset1:1
	ds_store_2addr_b64 v254, v[80:81], v[82:83] offset0:60 offset1:61
	ds_store_2addr_b64 v254, v[76:77], v[78:79] offset0:62 offset1:63
	;; [unrolled: 1-line block ×21, first 2 shown]
	ds_load_2addr_b64 v[204:207], v255 offset1:1
	s_waitcnt lgkmcnt(0)
	v_cmp_neq_f64_e32 vcc_lo, 0, v[204:205]
	v_cmp_neq_f64_e64 s3, 0, v[206:207]
	s_delay_alu instid0(VALU_DEP_1) | instskip(NEXT) | instid1(SALU_CYCLE_1)
	s_or_b32 s3, vcc_lo, s3
	s_and_b32 exec_lo, exec_lo, s3
	s_cbranch_execz .LBB101_269
; %bb.264:
	v_cmp_gt_f64_e32 vcc_lo, 0, v[204:205]
	v_xor_b32_e32 v208, 0x80000000, v205
	v_xor_b32_e32 v210, 0x80000000, v207
	s_mov_b32 s3, exec_lo
                                        ; implicit-def: $vgpr212_vgpr213
	s_delay_alu instid0(VALU_DEP_2) | instskip(SKIP_4) | instid1(VALU_DEP_1)
	v_cndmask_b32_e32 v209, v205, v208, vcc_lo
	v_cndmask_b32_e32 v208, v204, v204, vcc_lo
	v_cmp_gt_f64_e32 vcc_lo, 0, v[206:207]
	v_cndmask_b32_e32 v211, v207, v210, vcc_lo
	v_cndmask_b32_e32 v210, v206, v206, vcc_lo
	v_cmpx_ngt_f64_e32 v[208:209], v[210:211]
	s_xor_b32 s3, exec_lo, s3
                                        ; implicit-def: $vgpr208_vgpr209_vgpr210_vgpr211
	s_cbranch_execz .LBB101_266
; %bb.265:
	v_div_scale_f64 v[208:209], null, v[206:207], v[206:207], v[204:205]
	v_div_scale_f64 v[214:215], vcc_lo, v[204:205], v[206:207], v[204:205]
	s_delay_alu instid0(VALU_DEP_2) | instskip(SKIP_2) | instid1(VALU_DEP_1)
	v_rcp_f64_e32 v[210:211], v[208:209]
	s_waitcnt_depctr 0xfff
	v_fma_f64 v[212:213], -v[208:209], v[210:211], 1.0
	v_fma_f64 v[210:211], v[210:211], v[212:213], v[210:211]
	s_delay_alu instid0(VALU_DEP_1) | instskip(NEXT) | instid1(VALU_DEP_1)
	v_fma_f64 v[212:213], -v[208:209], v[210:211], 1.0
	v_fma_f64 v[210:211], v[210:211], v[212:213], v[210:211]
	s_delay_alu instid0(VALU_DEP_1) | instskip(NEXT) | instid1(VALU_DEP_1)
	v_mul_f64 v[212:213], v[214:215], v[210:211]
	v_fma_f64 v[208:209], -v[208:209], v[212:213], v[214:215]
	s_delay_alu instid0(VALU_DEP_1) | instskip(NEXT) | instid1(VALU_DEP_1)
	v_div_fmas_f64 v[208:209], v[208:209], v[210:211], v[212:213]
	v_div_fixup_f64 v[208:209], v[208:209], v[206:207], v[204:205]
	s_delay_alu instid0(VALU_DEP_1) | instskip(NEXT) | instid1(VALU_DEP_1)
	v_fma_f64 v[204:205], v[204:205], v[208:209], v[206:207]
	v_div_scale_f64 v[206:207], null, v[204:205], v[204:205], 1.0
	s_delay_alu instid0(VALU_DEP_1) | instskip(SKIP_2) | instid1(VALU_DEP_1)
	v_rcp_f64_e32 v[210:211], v[206:207]
	s_waitcnt_depctr 0xfff
	v_fma_f64 v[212:213], -v[206:207], v[210:211], 1.0
	v_fma_f64 v[210:211], v[210:211], v[212:213], v[210:211]
	s_delay_alu instid0(VALU_DEP_1) | instskip(NEXT) | instid1(VALU_DEP_1)
	v_fma_f64 v[212:213], -v[206:207], v[210:211], 1.0
	v_fma_f64 v[210:211], v[210:211], v[212:213], v[210:211]
	v_div_scale_f64 v[212:213], vcc_lo, 1.0, v[204:205], 1.0
	s_delay_alu instid0(VALU_DEP_1) | instskip(NEXT) | instid1(VALU_DEP_1)
	v_mul_f64 v[214:215], v[212:213], v[210:211]
	v_fma_f64 v[206:207], -v[206:207], v[214:215], v[212:213]
	s_delay_alu instid0(VALU_DEP_1) | instskip(NEXT) | instid1(VALU_DEP_1)
	v_div_fmas_f64 v[206:207], v[206:207], v[210:211], v[214:215]
	v_div_fixup_f64 v[210:211], v[206:207], v[204:205], 1.0
                                        ; implicit-def: $vgpr204_vgpr205
	s_delay_alu instid0(VALU_DEP_1)
	v_mul_f64 v[212:213], v[208:209], v[210:211]
	v_xor_b32_e32 v211, 0x80000000, v211
.LBB101_266:
	s_and_not1_saveexec_b32 s3, s3
	s_cbranch_execz .LBB101_268
; %bb.267:
	v_div_scale_f64 v[208:209], null, v[204:205], v[204:205], v[206:207]
	v_div_scale_f64 v[214:215], vcc_lo, v[206:207], v[204:205], v[206:207]
	s_delay_alu instid0(VALU_DEP_2) | instskip(SKIP_2) | instid1(VALU_DEP_1)
	v_rcp_f64_e32 v[210:211], v[208:209]
	s_waitcnt_depctr 0xfff
	v_fma_f64 v[212:213], -v[208:209], v[210:211], 1.0
	v_fma_f64 v[210:211], v[210:211], v[212:213], v[210:211]
	s_delay_alu instid0(VALU_DEP_1) | instskip(NEXT) | instid1(VALU_DEP_1)
	v_fma_f64 v[212:213], -v[208:209], v[210:211], 1.0
	v_fma_f64 v[210:211], v[210:211], v[212:213], v[210:211]
	s_delay_alu instid0(VALU_DEP_1) | instskip(NEXT) | instid1(VALU_DEP_1)
	v_mul_f64 v[212:213], v[214:215], v[210:211]
	v_fma_f64 v[208:209], -v[208:209], v[212:213], v[214:215]
	s_delay_alu instid0(VALU_DEP_1) | instskip(NEXT) | instid1(VALU_DEP_1)
	v_div_fmas_f64 v[208:209], v[208:209], v[210:211], v[212:213]
	v_div_fixup_f64 v[208:209], v[208:209], v[204:205], v[206:207]
	s_delay_alu instid0(VALU_DEP_1) | instskip(NEXT) | instid1(VALU_DEP_1)
	v_fma_f64 v[204:205], v[206:207], v[208:209], v[204:205]
	v_div_scale_f64 v[206:207], null, v[204:205], v[204:205], 1.0
	s_delay_alu instid0(VALU_DEP_1) | instskip(SKIP_2) | instid1(VALU_DEP_1)
	v_rcp_f64_e32 v[210:211], v[206:207]
	s_waitcnt_depctr 0xfff
	v_fma_f64 v[212:213], -v[206:207], v[210:211], 1.0
	v_fma_f64 v[210:211], v[210:211], v[212:213], v[210:211]
	s_delay_alu instid0(VALU_DEP_1) | instskip(NEXT) | instid1(VALU_DEP_1)
	v_fma_f64 v[212:213], -v[206:207], v[210:211], 1.0
	v_fma_f64 v[210:211], v[210:211], v[212:213], v[210:211]
	v_div_scale_f64 v[212:213], vcc_lo, 1.0, v[204:205], 1.0
	s_delay_alu instid0(VALU_DEP_1) | instskip(NEXT) | instid1(VALU_DEP_1)
	v_mul_f64 v[214:215], v[212:213], v[210:211]
	v_fma_f64 v[206:207], -v[206:207], v[214:215], v[212:213]
	s_delay_alu instid0(VALU_DEP_1) | instskip(NEXT) | instid1(VALU_DEP_1)
	v_div_fmas_f64 v[206:207], v[206:207], v[210:211], v[214:215]
	v_div_fixup_f64 v[212:213], v[206:207], v[204:205], 1.0
	s_delay_alu instid0(VALU_DEP_1)
	v_mul_f64 v[210:211], v[208:209], -v[212:213]
.LBB101_268:
	s_or_b32 exec_lo, exec_lo, s3
	ds_store_2addr_b64 v255, v[212:213], v[210:211] offset1:1
.LBB101_269:
	s_or_b32 exec_lo, exec_lo, s4
	s_waitcnt lgkmcnt(0)
	s_barrier
	buffer_gl0_inv
	ds_load_2addr_b64 v[204:207], v255 offset1:1
	s_mov_b32 s3, exec_lo
	s_waitcnt lgkmcnt(0)
	scratch_store_b128 off, v[204:207], off offset:888 ; 16-byte Folded Spill
	scratch_load_b32 v204, off, off         ; 4-byte Folded Reload
	s_waitcnt vmcnt(0)
	v_cmpx_lt_u32_e32 29, v204
	s_cbranch_execz .LBB101_271
; %bb.270:
	scratch_load_b128 v[206:209], off, off offset:888 ; 16-byte Folded Reload
	s_waitcnt vmcnt(0)
	v_mul_f64 v[204:205], v[208:209], v[86:87]
	v_mul_f64 v[86:87], v[206:207], v[86:87]
	s_delay_alu instid0(VALU_DEP_2) | instskip(NEXT) | instid1(VALU_DEP_2)
	v_fma_f64 v[204:205], v[206:207], v[84:85], -v[204:205]
	v_fma_f64 v[86:87], v[208:209], v[84:85], v[86:87]
	ds_load_2addr_b64 v[206:209], v254 offset0:60 offset1:61
	s_waitcnt lgkmcnt(0)
	v_mul_f64 v[84:85], v[208:209], v[86:87]
	s_delay_alu instid0(VALU_DEP_1) | instskip(SKIP_1) | instid1(VALU_DEP_2)
	v_fma_f64 v[84:85], v[206:207], v[204:205], -v[84:85]
	v_mul_f64 v[206:207], v[206:207], v[86:87]
	v_add_f64 v[80:81], v[80:81], -v[84:85]
	s_delay_alu instid0(VALU_DEP_2) | instskip(NEXT) | instid1(VALU_DEP_1)
	v_fma_f64 v[206:207], v[208:209], v[204:205], v[206:207]
	v_add_f64 v[82:83], v[82:83], -v[206:207]
	ds_load_2addr_b64 v[206:209], v254 offset0:62 offset1:63
	s_waitcnt lgkmcnt(0)
	v_mul_f64 v[84:85], v[208:209], v[86:87]
	s_delay_alu instid0(VALU_DEP_1) | instskip(SKIP_1) | instid1(VALU_DEP_2)
	v_fma_f64 v[84:85], v[206:207], v[204:205], -v[84:85]
	v_mul_f64 v[206:207], v[206:207], v[86:87]
	v_add_f64 v[76:77], v[76:77], -v[84:85]
	s_delay_alu instid0(VALU_DEP_2) | instskip(NEXT) | instid1(VALU_DEP_1)
	v_fma_f64 v[206:207], v[208:209], v[204:205], v[206:207]
	v_add_f64 v[78:79], v[78:79], -v[206:207]
	;; [unrolled: 10-line block ×20, first 2 shown]
	ds_load_2addr_b64 v[206:209], v254 offset0:100 offset1:101
	s_waitcnt lgkmcnt(0)
	v_mul_f64 v[84:85], v[208:209], v[86:87]
	s_delay_alu instid0(VALU_DEP_1) | instskip(SKIP_1) | instid1(VALU_DEP_2)
	v_fma_f64 v[84:85], v[206:207], v[204:205], -v[84:85]
	v_mul_f64 v[206:207], v[206:207], v[86:87]
	v_add_f64 v[0:1], v[0:1], -v[84:85]
	s_delay_alu instid0(VALU_DEP_2) | instskip(SKIP_1) | instid1(VALU_DEP_2)
	v_fma_f64 v[206:207], v[208:209], v[204:205], v[206:207]
	v_dual_mov_b32 v84, v204 :: v_dual_mov_b32 v85, v205
	v_add_f64 v[2:3], v[2:3], -v[206:207]
.LBB101_271:
	s_or_b32 exec_lo, exec_lo, s3
	scratch_load_b32 v204, off, off         ; 4-byte Folded Reload
	s_mov_b32 s4, exec_lo
	s_waitcnt vmcnt(0)
	s_waitcnt_vscnt null, 0x0
	s_barrier
	buffer_gl0_inv
	v_cmpx_eq_u32_e32 30, v204
	s_cbranch_execz .LBB101_278
; %bb.272:
	ds_store_2addr_b64 v255, v[80:81], v[82:83] offset1:1
	ds_store_2addr_b64 v254, v[76:77], v[78:79] offset0:62 offset1:63
	ds_store_2addr_b64 v254, v[72:73], v[74:75] offset0:64 offset1:65
	;; [unrolled: 1-line block ×20, first 2 shown]
	ds_load_2addr_b64 v[204:207], v255 offset1:1
	s_waitcnt lgkmcnt(0)
	v_cmp_neq_f64_e32 vcc_lo, 0, v[204:205]
	v_cmp_neq_f64_e64 s3, 0, v[206:207]
	s_delay_alu instid0(VALU_DEP_1) | instskip(NEXT) | instid1(SALU_CYCLE_1)
	s_or_b32 s3, vcc_lo, s3
	s_and_b32 exec_lo, exec_lo, s3
	s_cbranch_execz .LBB101_278
; %bb.273:
	v_cmp_gt_f64_e32 vcc_lo, 0, v[204:205]
	v_xor_b32_e32 v208, 0x80000000, v205
	v_xor_b32_e32 v210, 0x80000000, v207
	s_mov_b32 s3, exec_lo
                                        ; implicit-def: $vgpr212_vgpr213
	s_delay_alu instid0(VALU_DEP_2) | instskip(SKIP_4) | instid1(VALU_DEP_1)
	v_cndmask_b32_e32 v209, v205, v208, vcc_lo
	v_cndmask_b32_e32 v208, v204, v204, vcc_lo
	v_cmp_gt_f64_e32 vcc_lo, 0, v[206:207]
	v_cndmask_b32_e32 v211, v207, v210, vcc_lo
	v_cndmask_b32_e32 v210, v206, v206, vcc_lo
	v_cmpx_ngt_f64_e32 v[208:209], v[210:211]
	s_xor_b32 s3, exec_lo, s3
                                        ; implicit-def: $vgpr208_vgpr209_vgpr210_vgpr211
	s_cbranch_execz .LBB101_275
; %bb.274:
	v_div_scale_f64 v[208:209], null, v[206:207], v[206:207], v[204:205]
	v_div_scale_f64 v[214:215], vcc_lo, v[204:205], v[206:207], v[204:205]
	s_delay_alu instid0(VALU_DEP_2) | instskip(SKIP_2) | instid1(VALU_DEP_1)
	v_rcp_f64_e32 v[210:211], v[208:209]
	s_waitcnt_depctr 0xfff
	v_fma_f64 v[212:213], -v[208:209], v[210:211], 1.0
	v_fma_f64 v[210:211], v[210:211], v[212:213], v[210:211]
	s_delay_alu instid0(VALU_DEP_1) | instskip(NEXT) | instid1(VALU_DEP_1)
	v_fma_f64 v[212:213], -v[208:209], v[210:211], 1.0
	v_fma_f64 v[210:211], v[210:211], v[212:213], v[210:211]
	s_delay_alu instid0(VALU_DEP_1) | instskip(NEXT) | instid1(VALU_DEP_1)
	v_mul_f64 v[212:213], v[214:215], v[210:211]
	v_fma_f64 v[208:209], -v[208:209], v[212:213], v[214:215]
	s_delay_alu instid0(VALU_DEP_1) | instskip(NEXT) | instid1(VALU_DEP_1)
	v_div_fmas_f64 v[208:209], v[208:209], v[210:211], v[212:213]
	v_div_fixup_f64 v[208:209], v[208:209], v[206:207], v[204:205]
	s_delay_alu instid0(VALU_DEP_1) | instskip(NEXT) | instid1(VALU_DEP_1)
	v_fma_f64 v[204:205], v[204:205], v[208:209], v[206:207]
	v_div_scale_f64 v[206:207], null, v[204:205], v[204:205], 1.0
	s_delay_alu instid0(VALU_DEP_1) | instskip(SKIP_2) | instid1(VALU_DEP_1)
	v_rcp_f64_e32 v[210:211], v[206:207]
	s_waitcnt_depctr 0xfff
	v_fma_f64 v[212:213], -v[206:207], v[210:211], 1.0
	v_fma_f64 v[210:211], v[210:211], v[212:213], v[210:211]
	s_delay_alu instid0(VALU_DEP_1) | instskip(NEXT) | instid1(VALU_DEP_1)
	v_fma_f64 v[212:213], -v[206:207], v[210:211], 1.0
	v_fma_f64 v[210:211], v[210:211], v[212:213], v[210:211]
	v_div_scale_f64 v[212:213], vcc_lo, 1.0, v[204:205], 1.0
	s_delay_alu instid0(VALU_DEP_1) | instskip(NEXT) | instid1(VALU_DEP_1)
	v_mul_f64 v[214:215], v[212:213], v[210:211]
	v_fma_f64 v[206:207], -v[206:207], v[214:215], v[212:213]
	s_delay_alu instid0(VALU_DEP_1) | instskip(NEXT) | instid1(VALU_DEP_1)
	v_div_fmas_f64 v[206:207], v[206:207], v[210:211], v[214:215]
	v_div_fixup_f64 v[210:211], v[206:207], v[204:205], 1.0
                                        ; implicit-def: $vgpr204_vgpr205
	s_delay_alu instid0(VALU_DEP_1)
	v_mul_f64 v[212:213], v[208:209], v[210:211]
	v_xor_b32_e32 v211, 0x80000000, v211
.LBB101_275:
	s_and_not1_saveexec_b32 s3, s3
	s_cbranch_execz .LBB101_277
; %bb.276:
	v_div_scale_f64 v[208:209], null, v[204:205], v[204:205], v[206:207]
	v_div_scale_f64 v[214:215], vcc_lo, v[206:207], v[204:205], v[206:207]
	s_delay_alu instid0(VALU_DEP_2) | instskip(SKIP_2) | instid1(VALU_DEP_1)
	v_rcp_f64_e32 v[210:211], v[208:209]
	s_waitcnt_depctr 0xfff
	v_fma_f64 v[212:213], -v[208:209], v[210:211], 1.0
	v_fma_f64 v[210:211], v[210:211], v[212:213], v[210:211]
	s_delay_alu instid0(VALU_DEP_1) | instskip(NEXT) | instid1(VALU_DEP_1)
	v_fma_f64 v[212:213], -v[208:209], v[210:211], 1.0
	v_fma_f64 v[210:211], v[210:211], v[212:213], v[210:211]
	s_delay_alu instid0(VALU_DEP_1) | instskip(NEXT) | instid1(VALU_DEP_1)
	v_mul_f64 v[212:213], v[214:215], v[210:211]
	v_fma_f64 v[208:209], -v[208:209], v[212:213], v[214:215]
	s_delay_alu instid0(VALU_DEP_1) | instskip(NEXT) | instid1(VALU_DEP_1)
	v_div_fmas_f64 v[208:209], v[208:209], v[210:211], v[212:213]
	v_div_fixup_f64 v[208:209], v[208:209], v[204:205], v[206:207]
	s_delay_alu instid0(VALU_DEP_1) | instskip(NEXT) | instid1(VALU_DEP_1)
	v_fma_f64 v[204:205], v[206:207], v[208:209], v[204:205]
	v_div_scale_f64 v[206:207], null, v[204:205], v[204:205], 1.0
	s_delay_alu instid0(VALU_DEP_1) | instskip(SKIP_2) | instid1(VALU_DEP_1)
	v_rcp_f64_e32 v[210:211], v[206:207]
	s_waitcnt_depctr 0xfff
	v_fma_f64 v[212:213], -v[206:207], v[210:211], 1.0
	v_fma_f64 v[210:211], v[210:211], v[212:213], v[210:211]
	s_delay_alu instid0(VALU_DEP_1) | instskip(NEXT) | instid1(VALU_DEP_1)
	v_fma_f64 v[212:213], -v[206:207], v[210:211], 1.0
	v_fma_f64 v[210:211], v[210:211], v[212:213], v[210:211]
	v_div_scale_f64 v[212:213], vcc_lo, 1.0, v[204:205], 1.0
	s_delay_alu instid0(VALU_DEP_1) | instskip(NEXT) | instid1(VALU_DEP_1)
	v_mul_f64 v[214:215], v[212:213], v[210:211]
	v_fma_f64 v[206:207], -v[206:207], v[214:215], v[212:213]
	s_delay_alu instid0(VALU_DEP_1) | instskip(NEXT) | instid1(VALU_DEP_1)
	v_div_fmas_f64 v[206:207], v[206:207], v[210:211], v[214:215]
	v_div_fixup_f64 v[212:213], v[206:207], v[204:205], 1.0
	s_delay_alu instid0(VALU_DEP_1)
	v_mul_f64 v[210:211], v[208:209], -v[212:213]
.LBB101_277:
	s_or_b32 exec_lo, exec_lo, s3
	ds_store_2addr_b64 v255, v[212:213], v[210:211] offset1:1
.LBB101_278:
	s_or_b32 exec_lo, exec_lo, s4
	s_waitcnt lgkmcnt(0)
	s_barrier
	buffer_gl0_inv
	ds_load_2addr_b64 v[204:207], v255 offset1:1
	s_mov_b32 s3, exec_lo
	s_waitcnt lgkmcnt(0)
	scratch_store_b128 off, v[204:207], off offset:904 ; 16-byte Folded Spill
	scratch_load_b32 v204, off, off         ; 4-byte Folded Reload
	s_waitcnt vmcnt(0)
	v_cmpx_lt_u32_e32 30, v204
	s_cbranch_execz .LBB101_280
; %bb.279:
	scratch_load_b128 v[206:209], off, off offset:904 ; 16-byte Folded Reload
	s_waitcnt vmcnt(0)
	v_mul_f64 v[204:205], v[208:209], v[82:83]
	v_mul_f64 v[82:83], v[206:207], v[82:83]
	s_delay_alu instid0(VALU_DEP_2) | instskip(NEXT) | instid1(VALU_DEP_2)
	v_fma_f64 v[204:205], v[206:207], v[80:81], -v[204:205]
	v_fma_f64 v[82:83], v[208:209], v[80:81], v[82:83]
	ds_load_2addr_b64 v[206:209], v254 offset0:62 offset1:63
	s_waitcnt lgkmcnt(0)
	v_mul_f64 v[80:81], v[208:209], v[82:83]
	s_delay_alu instid0(VALU_DEP_1) | instskip(SKIP_1) | instid1(VALU_DEP_2)
	v_fma_f64 v[80:81], v[206:207], v[204:205], -v[80:81]
	v_mul_f64 v[206:207], v[206:207], v[82:83]
	v_add_f64 v[76:77], v[76:77], -v[80:81]
	s_delay_alu instid0(VALU_DEP_2) | instskip(NEXT) | instid1(VALU_DEP_1)
	v_fma_f64 v[206:207], v[208:209], v[204:205], v[206:207]
	v_add_f64 v[78:79], v[78:79], -v[206:207]
	ds_load_2addr_b64 v[206:209], v254 offset0:64 offset1:65
	s_waitcnt lgkmcnt(0)
	v_mul_f64 v[80:81], v[208:209], v[82:83]
	s_delay_alu instid0(VALU_DEP_1) | instskip(SKIP_1) | instid1(VALU_DEP_2)
	v_fma_f64 v[80:81], v[206:207], v[204:205], -v[80:81]
	v_mul_f64 v[206:207], v[206:207], v[82:83]
	v_add_f64 v[72:73], v[72:73], -v[80:81]
	s_delay_alu instid0(VALU_DEP_2) | instskip(NEXT) | instid1(VALU_DEP_1)
	v_fma_f64 v[206:207], v[208:209], v[204:205], v[206:207]
	v_add_f64 v[74:75], v[74:75], -v[206:207]
	;; [unrolled: 10-line block ×19, first 2 shown]
	ds_load_2addr_b64 v[206:209], v254 offset0:100 offset1:101
	s_waitcnt lgkmcnt(0)
	v_mul_f64 v[80:81], v[208:209], v[82:83]
	s_delay_alu instid0(VALU_DEP_1) | instskip(SKIP_1) | instid1(VALU_DEP_2)
	v_fma_f64 v[80:81], v[206:207], v[204:205], -v[80:81]
	v_mul_f64 v[206:207], v[206:207], v[82:83]
	v_add_f64 v[0:1], v[0:1], -v[80:81]
	s_delay_alu instid0(VALU_DEP_2) | instskip(SKIP_1) | instid1(VALU_DEP_2)
	v_fma_f64 v[206:207], v[208:209], v[204:205], v[206:207]
	v_dual_mov_b32 v80, v204 :: v_dual_mov_b32 v81, v205
	v_add_f64 v[2:3], v[2:3], -v[206:207]
.LBB101_280:
	s_or_b32 exec_lo, exec_lo, s3
	scratch_load_b32 v204, off, off         ; 4-byte Folded Reload
	s_mov_b32 s4, exec_lo
	s_waitcnt vmcnt(0)
	s_waitcnt_vscnt null, 0x0
	s_barrier
	buffer_gl0_inv
	v_cmpx_eq_u32_e32 31, v204
	s_cbranch_execz .LBB101_287
; %bb.281:
	ds_store_2addr_b64 v255, v[76:77], v[78:79] offset1:1
	ds_store_2addr_b64 v254, v[72:73], v[74:75] offset0:64 offset1:65
	ds_store_2addr_b64 v254, v[68:69], v[70:71] offset0:66 offset1:67
	;; [unrolled: 1-line block ×19, first 2 shown]
	ds_load_2addr_b64 v[204:207], v255 offset1:1
	s_waitcnt lgkmcnt(0)
	v_cmp_neq_f64_e32 vcc_lo, 0, v[204:205]
	v_cmp_neq_f64_e64 s3, 0, v[206:207]
	s_delay_alu instid0(VALU_DEP_1) | instskip(NEXT) | instid1(SALU_CYCLE_1)
	s_or_b32 s3, vcc_lo, s3
	s_and_b32 exec_lo, exec_lo, s3
	s_cbranch_execz .LBB101_287
; %bb.282:
	v_cmp_gt_f64_e32 vcc_lo, 0, v[204:205]
	v_xor_b32_e32 v208, 0x80000000, v205
	v_xor_b32_e32 v210, 0x80000000, v207
	s_mov_b32 s3, exec_lo
                                        ; implicit-def: $vgpr212_vgpr213
	s_delay_alu instid0(VALU_DEP_2) | instskip(SKIP_4) | instid1(VALU_DEP_1)
	v_cndmask_b32_e32 v209, v205, v208, vcc_lo
	v_cndmask_b32_e32 v208, v204, v204, vcc_lo
	v_cmp_gt_f64_e32 vcc_lo, 0, v[206:207]
	v_cndmask_b32_e32 v211, v207, v210, vcc_lo
	v_cndmask_b32_e32 v210, v206, v206, vcc_lo
	v_cmpx_ngt_f64_e32 v[208:209], v[210:211]
	s_xor_b32 s3, exec_lo, s3
                                        ; implicit-def: $vgpr208_vgpr209_vgpr210_vgpr211
	s_cbranch_execz .LBB101_284
; %bb.283:
	v_div_scale_f64 v[208:209], null, v[206:207], v[206:207], v[204:205]
	v_div_scale_f64 v[214:215], vcc_lo, v[204:205], v[206:207], v[204:205]
	s_delay_alu instid0(VALU_DEP_2) | instskip(SKIP_2) | instid1(VALU_DEP_1)
	v_rcp_f64_e32 v[210:211], v[208:209]
	s_waitcnt_depctr 0xfff
	v_fma_f64 v[212:213], -v[208:209], v[210:211], 1.0
	v_fma_f64 v[210:211], v[210:211], v[212:213], v[210:211]
	s_delay_alu instid0(VALU_DEP_1) | instskip(NEXT) | instid1(VALU_DEP_1)
	v_fma_f64 v[212:213], -v[208:209], v[210:211], 1.0
	v_fma_f64 v[210:211], v[210:211], v[212:213], v[210:211]
	s_delay_alu instid0(VALU_DEP_1) | instskip(NEXT) | instid1(VALU_DEP_1)
	v_mul_f64 v[212:213], v[214:215], v[210:211]
	v_fma_f64 v[208:209], -v[208:209], v[212:213], v[214:215]
	s_delay_alu instid0(VALU_DEP_1) | instskip(NEXT) | instid1(VALU_DEP_1)
	v_div_fmas_f64 v[208:209], v[208:209], v[210:211], v[212:213]
	v_div_fixup_f64 v[208:209], v[208:209], v[206:207], v[204:205]
	s_delay_alu instid0(VALU_DEP_1) | instskip(NEXT) | instid1(VALU_DEP_1)
	v_fma_f64 v[204:205], v[204:205], v[208:209], v[206:207]
	v_div_scale_f64 v[206:207], null, v[204:205], v[204:205], 1.0
	s_delay_alu instid0(VALU_DEP_1) | instskip(SKIP_2) | instid1(VALU_DEP_1)
	v_rcp_f64_e32 v[210:211], v[206:207]
	s_waitcnt_depctr 0xfff
	v_fma_f64 v[212:213], -v[206:207], v[210:211], 1.0
	v_fma_f64 v[210:211], v[210:211], v[212:213], v[210:211]
	s_delay_alu instid0(VALU_DEP_1) | instskip(NEXT) | instid1(VALU_DEP_1)
	v_fma_f64 v[212:213], -v[206:207], v[210:211], 1.0
	v_fma_f64 v[210:211], v[210:211], v[212:213], v[210:211]
	v_div_scale_f64 v[212:213], vcc_lo, 1.0, v[204:205], 1.0
	s_delay_alu instid0(VALU_DEP_1) | instskip(NEXT) | instid1(VALU_DEP_1)
	v_mul_f64 v[214:215], v[212:213], v[210:211]
	v_fma_f64 v[206:207], -v[206:207], v[214:215], v[212:213]
	s_delay_alu instid0(VALU_DEP_1) | instskip(NEXT) | instid1(VALU_DEP_1)
	v_div_fmas_f64 v[206:207], v[206:207], v[210:211], v[214:215]
	v_div_fixup_f64 v[210:211], v[206:207], v[204:205], 1.0
                                        ; implicit-def: $vgpr204_vgpr205
	s_delay_alu instid0(VALU_DEP_1)
	v_mul_f64 v[212:213], v[208:209], v[210:211]
	v_xor_b32_e32 v211, 0x80000000, v211
.LBB101_284:
	s_and_not1_saveexec_b32 s3, s3
	s_cbranch_execz .LBB101_286
; %bb.285:
	v_div_scale_f64 v[208:209], null, v[204:205], v[204:205], v[206:207]
	v_div_scale_f64 v[214:215], vcc_lo, v[206:207], v[204:205], v[206:207]
	s_delay_alu instid0(VALU_DEP_2) | instskip(SKIP_2) | instid1(VALU_DEP_1)
	v_rcp_f64_e32 v[210:211], v[208:209]
	s_waitcnt_depctr 0xfff
	v_fma_f64 v[212:213], -v[208:209], v[210:211], 1.0
	v_fma_f64 v[210:211], v[210:211], v[212:213], v[210:211]
	s_delay_alu instid0(VALU_DEP_1) | instskip(NEXT) | instid1(VALU_DEP_1)
	v_fma_f64 v[212:213], -v[208:209], v[210:211], 1.0
	v_fma_f64 v[210:211], v[210:211], v[212:213], v[210:211]
	s_delay_alu instid0(VALU_DEP_1) | instskip(NEXT) | instid1(VALU_DEP_1)
	v_mul_f64 v[212:213], v[214:215], v[210:211]
	v_fma_f64 v[208:209], -v[208:209], v[212:213], v[214:215]
	s_delay_alu instid0(VALU_DEP_1) | instskip(NEXT) | instid1(VALU_DEP_1)
	v_div_fmas_f64 v[208:209], v[208:209], v[210:211], v[212:213]
	v_div_fixup_f64 v[208:209], v[208:209], v[204:205], v[206:207]
	s_delay_alu instid0(VALU_DEP_1) | instskip(NEXT) | instid1(VALU_DEP_1)
	v_fma_f64 v[204:205], v[206:207], v[208:209], v[204:205]
	v_div_scale_f64 v[206:207], null, v[204:205], v[204:205], 1.0
	s_delay_alu instid0(VALU_DEP_1) | instskip(SKIP_2) | instid1(VALU_DEP_1)
	v_rcp_f64_e32 v[210:211], v[206:207]
	s_waitcnt_depctr 0xfff
	v_fma_f64 v[212:213], -v[206:207], v[210:211], 1.0
	v_fma_f64 v[210:211], v[210:211], v[212:213], v[210:211]
	s_delay_alu instid0(VALU_DEP_1) | instskip(NEXT) | instid1(VALU_DEP_1)
	v_fma_f64 v[212:213], -v[206:207], v[210:211], 1.0
	v_fma_f64 v[210:211], v[210:211], v[212:213], v[210:211]
	v_div_scale_f64 v[212:213], vcc_lo, 1.0, v[204:205], 1.0
	s_delay_alu instid0(VALU_DEP_1) | instskip(NEXT) | instid1(VALU_DEP_1)
	v_mul_f64 v[214:215], v[212:213], v[210:211]
	v_fma_f64 v[206:207], -v[206:207], v[214:215], v[212:213]
	s_delay_alu instid0(VALU_DEP_1) | instskip(NEXT) | instid1(VALU_DEP_1)
	v_div_fmas_f64 v[206:207], v[206:207], v[210:211], v[214:215]
	v_div_fixup_f64 v[212:213], v[206:207], v[204:205], 1.0
	s_delay_alu instid0(VALU_DEP_1)
	v_mul_f64 v[210:211], v[208:209], -v[212:213]
.LBB101_286:
	s_or_b32 exec_lo, exec_lo, s3
	ds_store_2addr_b64 v255, v[212:213], v[210:211] offset1:1
.LBB101_287:
	s_or_b32 exec_lo, exec_lo, s4
	s_waitcnt lgkmcnt(0)
	s_barrier
	buffer_gl0_inv
	ds_load_2addr_b64 v[204:207], v255 offset1:1
	s_mov_b32 s3, exec_lo
	s_waitcnt lgkmcnt(0)
	scratch_store_b128 off, v[204:207], off offset:920 ; 16-byte Folded Spill
	scratch_load_b32 v204, off, off         ; 4-byte Folded Reload
	s_waitcnt vmcnt(0)
	v_cmpx_lt_u32_e32 31, v204
	s_cbranch_execz .LBB101_289
; %bb.288:
	scratch_load_b128 v[206:209], off, off offset:920 ; 16-byte Folded Reload
	s_waitcnt vmcnt(0)
	v_mul_f64 v[204:205], v[208:209], v[78:79]
	v_mul_f64 v[78:79], v[206:207], v[78:79]
	s_delay_alu instid0(VALU_DEP_2) | instskip(NEXT) | instid1(VALU_DEP_2)
	v_fma_f64 v[204:205], v[206:207], v[76:77], -v[204:205]
	v_fma_f64 v[78:79], v[208:209], v[76:77], v[78:79]
	ds_load_2addr_b64 v[206:209], v254 offset0:64 offset1:65
	s_waitcnt lgkmcnt(0)
	v_mul_f64 v[76:77], v[208:209], v[78:79]
	s_delay_alu instid0(VALU_DEP_1) | instskip(SKIP_1) | instid1(VALU_DEP_2)
	v_fma_f64 v[76:77], v[206:207], v[204:205], -v[76:77]
	v_mul_f64 v[206:207], v[206:207], v[78:79]
	v_add_f64 v[72:73], v[72:73], -v[76:77]
	s_delay_alu instid0(VALU_DEP_2) | instskip(NEXT) | instid1(VALU_DEP_1)
	v_fma_f64 v[206:207], v[208:209], v[204:205], v[206:207]
	v_add_f64 v[74:75], v[74:75], -v[206:207]
	ds_load_2addr_b64 v[206:209], v254 offset0:66 offset1:67
	s_waitcnt lgkmcnt(0)
	v_mul_f64 v[76:77], v[208:209], v[78:79]
	s_delay_alu instid0(VALU_DEP_1) | instskip(SKIP_1) | instid1(VALU_DEP_2)
	v_fma_f64 v[76:77], v[206:207], v[204:205], -v[76:77]
	v_mul_f64 v[206:207], v[206:207], v[78:79]
	v_add_f64 v[68:69], v[68:69], -v[76:77]
	s_delay_alu instid0(VALU_DEP_2) | instskip(NEXT) | instid1(VALU_DEP_1)
	v_fma_f64 v[206:207], v[208:209], v[204:205], v[206:207]
	v_add_f64 v[70:71], v[70:71], -v[206:207]
	;; [unrolled: 10-line block ×18, first 2 shown]
	ds_load_2addr_b64 v[206:209], v254 offset0:100 offset1:101
	s_waitcnt lgkmcnt(0)
	v_mul_f64 v[76:77], v[208:209], v[78:79]
	s_delay_alu instid0(VALU_DEP_1) | instskip(SKIP_1) | instid1(VALU_DEP_2)
	v_fma_f64 v[76:77], v[206:207], v[204:205], -v[76:77]
	v_mul_f64 v[206:207], v[206:207], v[78:79]
	v_add_f64 v[0:1], v[0:1], -v[76:77]
	s_delay_alu instid0(VALU_DEP_2) | instskip(SKIP_1) | instid1(VALU_DEP_2)
	v_fma_f64 v[206:207], v[208:209], v[204:205], v[206:207]
	v_dual_mov_b32 v76, v204 :: v_dual_mov_b32 v77, v205
	v_add_f64 v[2:3], v[2:3], -v[206:207]
.LBB101_289:
	s_or_b32 exec_lo, exec_lo, s3
	scratch_load_b32 v204, off, off         ; 4-byte Folded Reload
	s_mov_b32 s4, exec_lo
	s_waitcnt vmcnt(0)
	s_waitcnt_vscnt null, 0x0
	s_barrier
	buffer_gl0_inv
	v_cmpx_eq_u32_e32 32, v204
	s_cbranch_execz .LBB101_296
; %bb.290:
	ds_store_2addr_b64 v255, v[72:73], v[74:75] offset1:1
	ds_store_2addr_b64 v254, v[68:69], v[70:71] offset0:66 offset1:67
	ds_store_2addr_b64 v254, v[64:65], v[66:67] offset0:68 offset1:69
	;; [unrolled: 1-line block ×18, first 2 shown]
	ds_load_2addr_b64 v[204:207], v255 offset1:1
	s_waitcnt lgkmcnt(0)
	v_cmp_neq_f64_e32 vcc_lo, 0, v[204:205]
	v_cmp_neq_f64_e64 s3, 0, v[206:207]
	s_delay_alu instid0(VALU_DEP_1) | instskip(NEXT) | instid1(SALU_CYCLE_1)
	s_or_b32 s3, vcc_lo, s3
	s_and_b32 exec_lo, exec_lo, s3
	s_cbranch_execz .LBB101_296
; %bb.291:
	v_cmp_gt_f64_e32 vcc_lo, 0, v[204:205]
	v_xor_b32_e32 v208, 0x80000000, v205
	v_xor_b32_e32 v210, 0x80000000, v207
	s_mov_b32 s3, exec_lo
                                        ; implicit-def: $vgpr212_vgpr213
	s_delay_alu instid0(VALU_DEP_2) | instskip(SKIP_4) | instid1(VALU_DEP_1)
	v_cndmask_b32_e32 v209, v205, v208, vcc_lo
	v_cndmask_b32_e32 v208, v204, v204, vcc_lo
	v_cmp_gt_f64_e32 vcc_lo, 0, v[206:207]
	v_cndmask_b32_e32 v211, v207, v210, vcc_lo
	v_cndmask_b32_e32 v210, v206, v206, vcc_lo
	v_cmpx_ngt_f64_e32 v[208:209], v[210:211]
	s_xor_b32 s3, exec_lo, s3
                                        ; implicit-def: $vgpr208_vgpr209_vgpr210_vgpr211
	s_cbranch_execz .LBB101_293
; %bb.292:
	v_div_scale_f64 v[208:209], null, v[206:207], v[206:207], v[204:205]
	v_div_scale_f64 v[214:215], vcc_lo, v[204:205], v[206:207], v[204:205]
	s_delay_alu instid0(VALU_DEP_2) | instskip(SKIP_2) | instid1(VALU_DEP_1)
	v_rcp_f64_e32 v[210:211], v[208:209]
	s_waitcnt_depctr 0xfff
	v_fma_f64 v[212:213], -v[208:209], v[210:211], 1.0
	v_fma_f64 v[210:211], v[210:211], v[212:213], v[210:211]
	s_delay_alu instid0(VALU_DEP_1) | instskip(NEXT) | instid1(VALU_DEP_1)
	v_fma_f64 v[212:213], -v[208:209], v[210:211], 1.0
	v_fma_f64 v[210:211], v[210:211], v[212:213], v[210:211]
	s_delay_alu instid0(VALU_DEP_1) | instskip(NEXT) | instid1(VALU_DEP_1)
	v_mul_f64 v[212:213], v[214:215], v[210:211]
	v_fma_f64 v[208:209], -v[208:209], v[212:213], v[214:215]
	s_delay_alu instid0(VALU_DEP_1) | instskip(NEXT) | instid1(VALU_DEP_1)
	v_div_fmas_f64 v[208:209], v[208:209], v[210:211], v[212:213]
	v_div_fixup_f64 v[208:209], v[208:209], v[206:207], v[204:205]
	s_delay_alu instid0(VALU_DEP_1) | instskip(NEXT) | instid1(VALU_DEP_1)
	v_fma_f64 v[204:205], v[204:205], v[208:209], v[206:207]
	v_div_scale_f64 v[206:207], null, v[204:205], v[204:205], 1.0
	s_delay_alu instid0(VALU_DEP_1) | instskip(SKIP_2) | instid1(VALU_DEP_1)
	v_rcp_f64_e32 v[210:211], v[206:207]
	s_waitcnt_depctr 0xfff
	v_fma_f64 v[212:213], -v[206:207], v[210:211], 1.0
	v_fma_f64 v[210:211], v[210:211], v[212:213], v[210:211]
	s_delay_alu instid0(VALU_DEP_1) | instskip(NEXT) | instid1(VALU_DEP_1)
	v_fma_f64 v[212:213], -v[206:207], v[210:211], 1.0
	v_fma_f64 v[210:211], v[210:211], v[212:213], v[210:211]
	v_div_scale_f64 v[212:213], vcc_lo, 1.0, v[204:205], 1.0
	s_delay_alu instid0(VALU_DEP_1) | instskip(NEXT) | instid1(VALU_DEP_1)
	v_mul_f64 v[214:215], v[212:213], v[210:211]
	v_fma_f64 v[206:207], -v[206:207], v[214:215], v[212:213]
	s_delay_alu instid0(VALU_DEP_1) | instskip(NEXT) | instid1(VALU_DEP_1)
	v_div_fmas_f64 v[206:207], v[206:207], v[210:211], v[214:215]
	v_div_fixup_f64 v[210:211], v[206:207], v[204:205], 1.0
                                        ; implicit-def: $vgpr204_vgpr205
	s_delay_alu instid0(VALU_DEP_1)
	v_mul_f64 v[212:213], v[208:209], v[210:211]
	v_xor_b32_e32 v211, 0x80000000, v211
.LBB101_293:
	s_and_not1_saveexec_b32 s3, s3
	s_cbranch_execz .LBB101_295
; %bb.294:
	v_div_scale_f64 v[208:209], null, v[204:205], v[204:205], v[206:207]
	v_div_scale_f64 v[214:215], vcc_lo, v[206:207], v[204:205], v[206:207]
	s_delay_alu instid0(VALU_DEP_2) | instskip(SKIP_2) | instid1(VALU_DEP_1)
	v_rcp_f64_e32 v[210:211], v[208:209]
	s_waitcnt_depctr 0xfff
	v_fma_f64 v[212:213], -v[208:209], v[210:211], 1.0
	v_fma_f64 v[210:211], v[210:211], v[212:213], v[210:211]
	s_delay_alu instid0(VALU_DEP_1) | instskip(NEXT) | instid1(VALU_DEP_1)
	v_fma_f64 v[212:213], -v[208:209], v[210:211], 1.0
	v_fma_f64 v[210:211], v[210:211], v[212:213], v[210:211]
	s_delay_alu instid0(VALU_DEP_1) | instskip(NEXT) | instid1(VALU_DEP_1)
	v_mul_f64 v[212:213], v[214:215], v[210:211]
	v_fma_f64 v[208:209], -v[208:209], v[212:213], v[214:215]
	s_delay_alu instid0(VALU_DEP_1) | instskip(NEXT) | instid1(VALU_DEP_1)
	v_div_fmas_f64 v[208:209], v[208:209], v[210:211], v[212:213]
	v_div_fixup_f64 v[208:209], v[208:209], v[204:205], v[206:207]
	s_delay_alu instid0(VALU_DEP_1) | instskip(NEXT) | instid1(VALU_DEP_1)
	v_fma_f64 v[204:205], v[206:207], v[208:209], v[204:205]
	v_div_scale_f64 v[206:207], null, v[204:205], v[204:205], 1.0
	s_delay_alu instid0(VALU_DEP_1) | instskip(SKIP_2) | instid1(VALU_DEP_1)
	v_rcp_f64_e32 v[210:211], v[206:207]
	s_waitcnt_depctr 0xfff
	v_fma_f64 v[212:213], -v[206:207], v[210:211], 1.0
	v_fma_f64 v[210:211], v[210:211], v[212:213], v[210:211]
	s_delay_alu instid0(VALU_DEP_1) | instskip(NEXT) | instid1(VALU_DEP_1)
	v_fma_f64 v[212:213], -v[206:207], v[210:211], 1.0
	v_fma_f64 v[210:211], v[210:211], v[212:213], v[210:211]
	v_div_scale_f64 v[212:213], vcc_lo, 1.0, v[204:205], 1.0
	s_delay_alu instid0(VALU_DEP_1) | instskip(NEXT) | instid1(VALU_DEP_1)
	v_mul_f64 v[214:215], v[212:213], v[210:211]
	v_fma_f64 v[206:207], -v[206:207], v[214:215], v[212:213]
	s_delay_alu instid0(VALU_DEP_1) | instskip(NEXT) | instid1(VALU_DEP_1)
	v_div_fmas_f64 v[206:207], v[206:207], v[210:211], v[214:215]
	v_div_fixup_f64 v[212:213], v[206:207], v[204:205], 1.0
	s_delay_alu instid0(VALU_DEP_1)
	v_mul_f64 v[210:211], v[208:209], -v[212:213]
.LBB101_295:
	s_or_b32 exec_lo, exec_lo, s3
	ds_store_2addr_b64 v255, v[212:213], v[210:211] offset1:1
.LBB101_296:
	s_or_b32 exec_lo, exec_lo, s4
	s_waitcnt lgkmcnt(0)
	s_barrier
	buffer_gl0_inv
	ds_load_2addr_b64 v[204:207], v255 offset1:1
	s_mov_b32 s3, exec_lo
	s_waitcnt lgkmcnt(0)
	scratch_store_b128 off, v[204:207], off offset:936 ; 16-byte Folded Spill
	scratch_load_b32 v204, off, off         ; 4-byte Folded Reload
	s_waitcnt vmcnt(0)
	v_cmpx_lt_u32_e32 32, v204
	s_cbranch_execz .LBB101_298
; %bb.297:
	scratch_load_b128 v[206:209], off, off offset:936 ; 16-byte Folded Reload
	s_waitcnt vmcnt(0)
	v_mul_f64 v[204:205], v[208:209], v[74:75]
	v_mul_f64 v[74:75], v[206:207], v[74:75]
	s_delay_alu instid0(VALU_DEP_2) | instskip(NEXT) | instid1(VALU_DEP_2)
	v_fma_f64 v[204:205], v[206:207], v[72:73], -v[204:205]
	v_fma_f64 v[74:75], v[208:209], v[72:73], v[74:75]
	ds_load_2addr_b64 v[206:209], v254 offset0:66 offset1:67
	s_waitcnt lgkmcnt(0)
	v_mul_f64 v[72:73], v[208:209], v[74:75]
	s_delay_alu instid0(VALU_DEP_1) | instskip(SKIP_1) | instid1(VALU_DEP_2)
	v_fma_f64 v[72:73], v[206:207], v[204:205], -v[72:73]
	v_mul_f64 v[206:207], v[206:207], v[74:75]
	v_add_f64 v[68:69], v[68:69], -v[72:73]
	s_delay_alu instid0(VALU_DEP_2) | instskip(NEXT) | instid1(VALU_DEP_1)
	v_fma_f64 v[206:207], v[208:209], v[204:205], v[206:207]
	v_add_f64 v[70:71], v[70:71], -v[206:207]
	ds_load_2addr_b64 v[206:209], v254 offset0:68 offset1:69
	s_waitcnt lgkmcnt(0)
	v_mul_f64 v[72:73], v[208:209], v[74:75]
	s_delay_alu instid0(VALU_DEP_1) | instskip(SKIP_1) | instid1(VALU_DEP_2)
	v_fma_f64 v[72:73], v[206:207], v[204:205], -v[72:73]
	v_mul_f64 v[206:207], v[206:207], v[74:75]
	v_add_f64 v[64:65], v[64:65], -v[72:73]
	s_delay_alu instid0(VALU_DEP_2) | instskip(NEXT) | instid1(VALU_DEP_1)
	v_fma_f64 v[206:207], v[208:209], v[204:205], v[206:207]
	v_add_f64 v[66:67], v[66:67], -v[206:207]
	;; [unrolled: 10-line block ×17, first 2 shown]
	ds_load_2addr_b64 v[206:209], v254 offset0:100 offset1:101
	s_waitcnt lgkmcnt(0)
	v_mul_f64 v[72:73], v[208:209], v[74:75]
	s_delay_alu instid0(VALU_DEP_1) | instskip(SKIP_1) | instid1(VALU_DEP_2)
	v_fma_f64 v[72:73], v[206:207], v[204:205], -v[72:73]
	v_mul_f64 v[206:207], v[206:207], v[74:75]
	v_add_f64 v[0:1], v[0:1], -v[72:73]
	s_delay_alu instid0(VALU_DEP_2) | instskip(SKIP_1) | instid1(VALU_DEP_2)
	v_fma_f64 v[206:207], v[208:209], v[204:205], v[206:207]
	v_dual_mov_b32 v72, v204 :: v_dual_mov_b32 v73, v205
	v_add_f64 v[2:3], v[2:3], -v[206:207]
.LBB101_298:
	s_or_b32 exec_lo, exec_lo, s3
	scratch_load_b32 v204, off, off         ; 4-byte Folded Reload
	s_mov_b32 s4, exec_lo
	s_waitcnt vmcnt(0)
	s_waitcnt_vscnt null, 0x0
	s_barrier
	buffer_gl0_inv
	v_cmpx_eq_u32_e32 33, v204
	s_cbranch_execz .LBB101_305
; %bb.299:
	ds_store_2addr_b64 v255, v[68:69], v[70:71] offset1:1
	ds_store_2addr_b64 v254, v[64:65], v[66:67] offset0:68 offset1:69
	ds_store_2addr_b64 v254, v[60:61], v[62:63] offset0:70 offset1:71
	;; [unrolled: 1-line block ×17, first 2 shown]
	ds_load_2addr_b64 v[204:207], v255 offset1:1
	s_waitcnt lgkmcnt(0)
	v_cmp_neq_f64_e32 vcc_lo, 0, v[204:205]
	v_cmp_neq_f64_e64 s3, 0, v[206:207]
	s_delay_alu instid0(VALU_DEP_1) | instskip(NEXT) | instid1(SALU_CYCLE_1)
	s_or_b32 s3, vcc_lo, s3
	s_and_b32 exec_lo, exec_lo, s3
	s_cbranch_execz .LBB101_305
; %bb.300:
	v_cmp_gt_f64_e32 vcc_lo, 0, v[204:205]
	v_xor_b32_e32 v208, 0x80000000, v205
	v_xor_b32_e32 v210, 0x80000000, v207
	s_mov_b32 s3, exec_lo
                                        ; implicit-def: $vgpr212_vgpr213
	s_delay_alu instid0(VALU_DEP_2) | instskip(SKIP_4) | instid1(VALU_DEP_1)
	v_cndmask_b32_e32 v209, v205, v208, vcc_lo
	v_cndmask_b32_e32 v208, v204, v204, vcc_lo
	v_cmp_gt_f64_e32 vcc_lo, 0, v[206:207]
	v_cndmask_b32_e32 v211, v207, v210, vcc_lo
	v_cndmask_b32_e32 v210, v206, v206, vcc_lo
	v_cmpx_ngt_f64_e32 v[208:209], v[210:211]
	s_xor_b32 s3, exec_lo, s3
                                        ; implicit-def: $vgpr208_vgpr209_vgpr210_vgpr211
	s_cbranch_execz .LBB101_302
; %bb.301:
	v_div_scale_f64 v[208:209], null, v[206:207], v[206:207], v[204:205]
	v_div_scale_f64 v[214:215], vcc_lo, v[204:205], v[206:207], v[204:205]
	s_delay_alu instid0(VALU_DEP_2) | instskip(SKIP_2) | instid1(VALU_DEP_1)
	v_rcp_f64_e32 v[210:211], v[208:209]
	s_waitcnt_depctr 0xfff
	v_fma_f64 v[212:213], -v[208:209], v[210:211], 1.0
	v_fma_f64 v[210:211], v[210:211], v[212:213], v[210:211]
	s_delay_alu instid0(VALU_DEP_1) | instskip(NEXT) | instid1(VALU_DEP_1)
	v_fma_f64 v[212:213], -v[208:209], v[210:211], 1.0
	v_fma_f64 v[210:211], v[210:211], v[212:213], v[210:211]
	s_delay_alu instid0(VALU_DEP_1) | instskip(NEXT) | instid1(VALU_DEP_1)
	v_mul_f64 v[212:213], v[214:215], v[210:211]
	v_fma_f64 v[208:209], -v[208:209], v[212:213], v[214:215]
	s_delay_alu instid0(VALU_DEP_1) | instskip(NEXT) | instid1(VALU_DEP_1)
	v_div_fmas_f64 v[208:209], v[208:209], v[210:211], v[212:213]
	v_div_fixup_f64 v[208:209], v[208:209], v[206:207], v[204:205]
	s_delay_alu instid0(VALU_DEP_1) | instskip(NEXT) | instid1(VALU_DEP_1)
	v_fma_f64 v[204:205], v[204:205], v[208:209], v[206:207]
	v_div_scale_f64 v[206:207], null, v[204:205], v[204:205], 1.0
	s_delay_alu instid0(VALU_DEP_1) | instskip(SKIP_2) | instid1(VALU_DEP_1)
	v_rcp_f64_e32 v[210:211], v[206:207]
	s_waitcnt_depctr 0xfff
	v_fma_f64 v[212:213], -v[206:207], v[210:211], 1.0
	v_fma_f64 v[210:211], v[210:211], v[212:213], v[210:211]
	s_delay_alu instid0(VALU_DEP_1) | instskip(NEXT) | instid1(VALU_DEP_1)
	v_fma_f64 v[212:213], -v[206:207], v[210:211], 1.0
	v_fma_f64 v[210:211], v[210:211], v[212:213], v[210:211]
	v_div_scale_f64 v[212:213], vcc_lo, 1.0, v[204:205], 1.0
	s_delay_alu instid0(VALU_DEP_1) | instskip(NEXT) | instid1(VALU_DEP_1)
	v_mul_f64 v[214:215], v[212:213], v[210:211]
	v_fma_f64 v[206:207], -v[206:207], v[214:215], v[212:213]
	s_delay_alu instid0(VALU_DEP_1) | instskip(NEXT) | instid1(VALU_DEP_1)
	v_div_fmas_f64 v[206:207], v[206:207], v[210:211], v[214:215]
	v_div_fixup_f64 v[210:211], v[206:207], v[204:205], 1.0
                                        ; implicit-def: $vgpr204_vgpr205
	s_delay_alu instid0(VALU_DEP_1)
	v_mul_f64 v[212:213], v[208:209], v[210:211]
	v_xor_b32_e32 v211, 0x80000000, v211
.LBB101_302:
	s_and_not1_saveexec_b32 s3, s3
	s_cbranch_execz .LBB101_304
; %bb.303:
	v_div_scale_f64 v[208:209], null, v[204:205], v[204:205], v[206:207]
	v_div_scale_f64 v[214:215], vcc_lo, v[206:207], v[204:205], v[206:207]
	s_delay_alu instid0(VALU_DEP_2) | instskip(SKIP_2) | instid1(VALU_DEP_1)
	v_rcp_f64_e32 v[210:211], v[208:209]
	s_waitcnt_depctr 0xfff
	v_fma_f64 v[212:213], -v[208:209], v[210:211], 1.0
	v_fma_f64 v[210:211], v[210:211], v[212:213], v[210:211]
	s_delay_alu instid0(VALU_DEP_1) | instskip(NEXT) | instid1(VALU_DEP_1)
	v_fma_f64 v[212:213], -v[208:209], v[210:211], 1.0
	v_fma_f64 v[210:211], v[210:211], v[212:213], v[210:211]
	s_delay_alu instid0(VALU_DEP_1) | instskip(NEXT) | instid1(VALU_DEP_1)
	v_mul_f64 v[212:213], v[214:215], v[210:211]
	v_fma_f64 v[208:209], -v[208:209], v[212:213], v[214:215]
	s_delay_alu instid0(VALU_DEP_1) | instskip(NEXT) | instid1(VALU_DEP_1)
	v_div_fmas_f64 v[208:209], v[208:209], v[210:211], v[212:213]
	v_div_fixup_f64 v[208:209], v[208:209], v[204:205], v[206:207]
	s_delay_alu instid0(VALU_DEP_1) | instskip(NEXT) | instid1(VALU_DEP_1)
	v_fma_f64 v[204:205], v[206:207], v[208:209], v[204:205]
	v_div_scale_f64 v[206:207], null, v[204:205], v[204:205], 1.0
	s_delay_alu instid0(VALU_DEP_1) | instskip(SKIP_2) | instid1(VALU_DEP_1)
	v_rcp_f64_e32 v[210:211], v[206:207]
	s_waitcnt_depctr 0xfff
	v_fma_f64 v[212:213], -v[206:207], v[210:211], 1.0
	v_fma_f64 v[210:211], v[210:211], v[212:213], v[210:211]
	s_delay_alu instid0(VALU_DEP_1) | instskip(NEXT) | instid1(VALU_DEP_1)
	v_fma_f64 v[212:213], -v[206:207], v[210:211], 1.0
	v_fma_f64 v[210:211], v[210:211], v[212:213], v[210:211]
	v_div_scale_f64 v[212:213], vcc_lo, 1.0, v[204:205], 1.0
	s_delay_alu instid0(VALU_DEP_1) | instskip(NEXT) | instid1(VALU_DEP_1)
	v_mul_f64 v[214:215], v[212:213], v[210:211]
	v_fma_f64 v[206:207], -v[206:207], v[214:215], v[212:213]
	s_delay_alu instid0(VALU_DEP_1) | instskip(NEXT) | instid1(VALU_DEP_1)
	v_div_fmas_f64 v[206:207], v[206:207], v[210:211], v[214:215]
	v_div_fixup_f64 v[212:213], v[206:207], v[204:205], 1.0
	s_delay_alu instid0(VALU_DEP_1)
	v_mul_f64 v[210:211], v[208:209], -v[212:213]
.LBB101_304:
	s_or_b32 exec_lo, exec_lo, s3
	ds_store_2addr_b64 v255, v[212:213], v[210:211] offset1:1
.LBB101_305:
	s_or_b32 exec_lo, exec_lo, s4
	s_waitcnt lgkmcnt(0)
	s_barrier
	buffer_gl0_inv
	ds_load_2addr_b64 v[204:207], v255 offset1:1
	s_mov_b32 s3, exec_lo
	s_waitcnt lgkmcnt(0)
	scratch_store_b128 off, v[204:207], off offset:952 ; 16-byte Folded Spill
	scratch_load_b32 v204, off, off         ; 4-byte Folded Reload
	s_waitcnt vmcnt(0)
	v_cmpx_lt_u32_e32 33, v204
	s_cbranch_execz .LBB101_307
; %bb.306:
	scratch_load_b128 v[206:209], off, off offset:952 ; 16-byte Folded Reload
	s_waitcnt vmcnt(0)
	v_mul_f64 v[204:205], v[208:209], v[70:71]
	v_mul_f64 v[70:71], v[206:207], v[70:71]
	s_delay_alu instid0(VALU_DEP_2) | instskip(NEXT) | instid1(VALU_DEP_2)
	v_fma_f64 v[204:205], v[206:207], v[68:69], -v[204:205]
	v_fma_f64 v[70:71], v[208:209], v[68:69], v[70:71]
	ds_load_2addr_b64 v[206:209], v254 offset0:68 offset1:69
	s_waitcnt lgkmcnt(0)
	v_mul_f64 v[68:69], v[208:209], v[70:71]
	s_delay_alu instid0(VALU_DEP_1) | instskip(SKIP_1) | instid1(VALU_DEP_2)
	v_fma_f64 v[68:69], v[206:207], v[204:205], -v[68:69]
	v_mul_f64 v[206:207], v[206:207], v[70:71]
	v_add_f64 v[64:65], v[64:65], -v[68:69]
	s_delay_alu instid0(VALU_DEP_2) | instskip(NEXT) | instid1(VALU_DEP_1)
	v_fma_f64 v[206:207], v[208:209], v[204:205], v[206:207]
	v_add_f64 v[66:67], v[66:67], -v[206:207]
	ds_load_2addr_b64 v[206:209], v254 offset0:70 offset1:71
	s_waitcnt lgkmcnt(0)
	v_mul_f64 v[68:69], v[208:209], v[70:71]
	s_delay_alu instid0(VALU_DEP_1) | instskip(SKIP_1) | instid1(VALU_DEP_2)
	v_fma_f64 v[68:69], v[206:207], v[204:205], -v[68:69]
	v_mul_f64 v[206:207], v[206:207], v[70:71]
	v_add_f64 v[60:61], v[60:61], -v[68:69]
	s_delay_alu instid0(VALU_DEP_2) | instskip(NEXT) | instid1(VALU_DEP_1)
	v_fma_f64 v[206:207], v[208:209], v[204:205], v[206:207]
	v_add_f64 v[62:63], v[62:63], -v[206:207]
	;; [unrolled: 10-line block ×16, first 2 shown]
	ds_load_2addr_b64 v[206:209], v254 offset0:100 offset1:101
	s_waitcnt lgkmcnt(0)
	v_mul_f64 v[68:69], v[208:209], v[70:71]
	s_delay_alu instid0(VALU_DEP_1) | instskip(SKIP_1) | instid1(VALU_DEP_2)
	v_fma_f64 v[68:69], v[206:207], v[204:205], -v[68:69]
	v_mul_f64 v[206:207], v[206:207], v[70:71]
	v_add_f64 v[0:1], v[0:1], -v[68:69]
	s_delay_alu instid0(VALU_DEP_2) | instskip(SKIP_1) | instid1(VALU_DEP_2)
	v_fma_f64 v[206:207], v[208:209], v[204:205], v[206:207]
	v_dual_mov_b32 v68, v204 :: v_dual_mov_b32 v69, v205
	v_add_f64 v[2:3], v[2:3], -v[206:207]
.LBB101_307:
	s_or_b32 exec_lo, exec_lo, s3
	scratch_load_b32 v204, off, off         ; 4-byte Folded Reload
	s_mov_b32 s4, exec_lo
	s_waitcnt vmcnt(0)
	s_waitcnt_vscnt null, 0x0
	s_barrier
	buffer_gl0_inv
	v_cmpx_eq_u32_e32 34, v204
	s_cbranch_execz .LBB101_314
; %bb.308:
	ds_store_2addr_b64 v255, v[64:65], v[66:67] offset1:1
	ds_store_2addr_b64 v254, v[60:61], v[62:63] offset0:70 offset1:71
	ds_store_2addr_b64 v254, v[56:57], v[58:59] offset0:72 offset1:73
	;; [unrolled: 1-line block ×16, first 2 shown]
	ds_load_2addr_b64 v[204:207], v255 offset1:1
	s_waitcnt lgkmcnt(0)
	v_cmp_neq_f64_e32 vcc_lo, 0, v[204:205]
	v_cmp_neq_f64_e64 s3, 0, v[206:207]
	s_delay_alu instid0(VALU_DEP_1) | instskip(NEXT) | instid1(SALU_CYCLE_1)
	s_or_b32 s3, vcc_lo, s3
	s_and_b32 exec_lo, exec_lo, s3
	s_cbranch_execz .LBB101_314
; %bb.309:
	v_cmp_gt_f64_e32 vcc_lo, 0, v[204:205]
	v_xor_b32_e32 v208, 0x80000000, v205
	v_xor_b32_e32 v210, 0x80000000, v207
	s_mov_b32 s3, exec_lo
                                        ; implicit-def: $vgpr212_vgpr213
	s_delay_alu instid0(VALU_DEP_2) | instskip(SKIP_4) | instid1(VALU_DEP_1)
	v_cndmask_b32_e32 v209, v205, v208, vcc_lo
	v_cndmask_b32_e32 v208, v204, v204, vcc_lo
	v_cmp_gt_f64_e32 vcc_lo, 0, v[206:207]
	v_cndmask_b32_e32 v211, v207, v210, vcc_lo
	v_cndmask_b32_e32 v210, v206, v206, vcc_lo
	v_cmpx_ngt_f64_e32 v[208:209], v[210:211]
	s_xor_b32 s3, exec_lo, s3
                                        ; implicit-def: $vgpr208_vgpr209_vgpr210_vgpr211
	s_cbranch_execz .LBB101_311
; %bb.310:
	v_div_scale_f64 v[208:209], null, v[206:207], v[206:207], v[204:205]
	v_div_scale_f64 v[214:215], vcc_lo, v[204:205], v[206:207], v[204:205]
	s_delay_alu instid0(VALU_DEP_2) | instskip(SKIP_2) | instid1(VALU_DEP_1)
	v_rcp_f64_e32 v[210:211], v[208:209]
	s_waitcnt_depctr 0xfff
	v_fma_f64 v[212:213], -v[208:209], v[210:211], 1.0
	v_fma_f64 v[210:211], v[210:211], v[212:213], v[210:211]
	s_delay_alu instid0(VALU_DEP_1) | instskip(NEXT) | instid1(VALU_DEP_1)
	v_fma_f64 v[212:213], -v[208:209], v[210:211], 1.0
	v_fma_f64 v[210:211], v[210:211], v[212:213], v[210:211]
	s_delay_alu instid0(VALU_DEP_1) | instskip(NEXT) | instid1(VALU_DEP_1)
	v_mul_f64 v[212:213], v[214:215], v[210:211]
	v_fma_f64 v[208:209], -v[208:209], v[212:213], v[214:215]
	s_delay_alu instid0(VALU_DEP_1) | instskip(NEXT) | instid1(VALU_DEP_1)
	v_div_fmas_f64 v[208:209], v[208:209], v[210:211], v[212:213]
	v_div_fixup_f64 v[208:209], v[208:209], v[206:207], v[204:205]
	s_delay_alu instid0(VALU_DEP_1) | instskip(NEXT) | instid1(VALU_DEP_1)
	v_fma_f64 v[204:205], v[204:205], v[208:209], v[206:207]
	v_div_scale_f64 v[206:207], null, v[204:205], v[204:205], 1.0
	s_delay_alu instid0(VALU_DEP_1) | instskip(SKIP_2) | instid1(VALU_DEP_1)
	v_rcp_f64_e32 v[210:211], v[206:207]
	s_waitcnt_depctr 0xfff
	v_fma_f64 v[212:213], -v[206:207], v[210:211], 1.0
	v_fma_f64 v[210:211], v[210:211], v[212:213], v[210:211]
	s_delay_alu instid0(VALU_DEP_1) | instskip(NEXT) | instid1(VALU_DEP_1)
	v_fma_f64 v[212:213], -v[206:207], v[210:211], 1.0
	v_fma_f64 v[210:211], v[210:211], v[212:213], v[210:211]
	v_div_scale_f64 v[212:213], vcc_lo, 1.0, v[204:205], 1.0
	s_delay_alu instid0(VALU_DEP_1) | instskip(NEXT) | instid1(VALU_DEP_1)
	v_mul_f64 v[214:215], v[212:213], v[210:211]
	v_fma_f64 v[206:207], -v[206:207], v[214:215], v[212:213]
	s_delay_alu instid0(VALU_DEP_1) | instskip(NEXT) | instid1(VALU_DEP_1)
	v_div_fmas_f64 v[206:207], v[206:207], v[210:211], v[214:215]
	v_div_fixup_f64 v[210:211], v[206:207], v[204:205], 1.0
                                        ; implicit-def: $vgpr204_vgpr205
	s_delay_alu instid0(VALU_DEP_1)
	v_mul_f64 v[212:213], v[208:209], v[210:211]
	v_xor_b32_e32 v211, 0x80000000, v211
.LBB101_311:
	s_and_not1_saveexec_b32 s3, s3
	s_cbranch_execz .LBB101_313
; %bb.312:
	v_div_scale_f64 v[208:209], null, v[204:205], v[204:205], v[206:207]
	v_div_scale_f64 v[214:215], vcc_lo, v[206:207], v[204:205], v[206:207]
	s_delay_alu instid0(VALU_DEP_2) | instskip(SKIP_2) | instid1(VALU_DEP_1)
	v_rcp_f64_e32 v[210:211], v[208:209]
	s_waitcnt_depctr 0xfff
	v_fma_f64 v[212:213], -v[208:209], v[210:211], 1.0
	v_fma_f64 v[210:211], v[210:211], v[212:213], v[210:211]
	s_delay_alu instid0(VALU_DEP_1) | instskip(NEXT) | instid1(VALU_DEP_1)
	v_fma_f64 v[212:213], -v[208:209], v[210:211], 1.0
	v_fma_f64 v[210:211], v[210:211], v[212:213], v[210:211]
	s_delay_alu instid0(VALU_DEP_1) | instskip(NEXT) | instid1(VALU_DEP_1)
	v_mul_f64 v[212:213], v[214:215], v[210:211]
	v_fma_f64 v[208:209], -v[208:209], v[212:213], v[214:215]
	s_delay_alu instid0(VALU_DEP_1) | instskip(NEXT) | instid1(VALU_DEP_1)
	v_div_fmas_f64 v[208:209], v[208:209], v[210:211], v[212:213]
	v_div_fixup_f64 v[208:209], v[208:209], v[204:205], v[206:207]
	s_delay_alu instid0(VALU_DEP_1) | instskip(NEXT) | instid1(VALU_DEP_1)
	v_fma_f64 v[204:205], v[206:207], v[208:209], v[204:205]
	v_div_scale_f64 v[206:207], null, v[204:205], v[204:205], 1.0
	s_delay_alu instid0(VALU_DEP_1) | instskip(SKIP_2) | instid1(VALU_DEP_1)
	v_rcp_f64_e32 v[210:211], v[206:207]
	s_waitcnt_depctr 0xfff
	v_fma_f64 v[212:213], -v[206:207], v[210:211], 1.0
	v_fma_f64 v[210:211], v[210:211], v[212:213], v[210:211]
	s_delay_alu instid0(VALU_DEP_1) | instskip(NEXT) | instid1(VALU_DEP_1)
	v_fma_f64 v[212:213], -v[206:207], v[210:211], 1.0
	v_fma_f64 v[210:211], v[210:211], v[212:213], v[210:211]
	v_div_scale_f64 v[212:213], vcc_lo, 1.0, v[204:205], 1.0
	s_delay_alu instid0(VALU_DEP_1) | instskip(NEXT) | instid1(VALU_DEP_1)
	v_mul_f64 v[214:215], v[212:213], v[210:211]
	v_fma_f64 v[206:207], -v[206:207], v[214:215], v[212:213]
	s_delay_alu instid0(VALU_DEP_1) | instskip(NEXT) | instid1(VALU_DEP_1)
	v_div_fmas_f64 v[206:207], v[206:207], v[210:211], v[214:215]
	v_div_fixup_f64 v[212:213], v[206:207], v[204:205], 1.0
	s_delay_alu instid0(VALU_DEP_1)
	v_mul_f64 v[210:211], v[208:209], -v[212:213]
.LBB101_313:
	s_or_b32 exec_lo, exec_lo, s3
	ds_store_2addr_b64 v255, v[212:213], v[210:211] offset1:1
.LBB101_314:
	s_or_b32 exec_lo, exec_lo, s4
	s_waitcnt lgkmcnt(0)
	s_barrier
	buffer_gl0_inv
	ds_load_2addr_b64 v[204:207], v255 offset1:1
	s_mov_b32 s3, exec_lo
	s_waitcnt lgkmcnt(0)
	scratch_store_b128 off, v[204:207], off offset:968 ; 16-byte Folded Spill
	scratch_load_b32 v204, off, off         ; 4-byte Folded Reload
	s_waitcnt vmcnt(0)
	v_cmpx_lt_u32_e32 34, v204
	s_cbranch_execz .LBB101_316
; %bb.315:
	scratch_load_b128 v[206:209], off, off offset:968 ; 16-byte Folded Reload
	s_waitcnt vmcnt(0)
	v_mul_f64 v[204:205], v[206:207], v[66:67]
	v_mul_f64 v[66:67], v[208:209], v[66:67]
	s_delay_alu instid0(VALU_DEP_2) | instskip(NEXT) | instid1(VALU_DEP_2)
	v_fma_f64 v[204:205], v[208:209], v[64:65], v[204:205]
	v_fma_f64 v[64:65], v[206:207], v[64:65], -v[66:67]
	ds_load_2addr_b64 v[206:209], v254 offset0:70 offset1:71
	s_waitcnt lgkmcnt(0)
	v_mul_f64 v[66:67], v[208:209], v[204:205]
	s_delay_alu instid0(VALU_DEP_1) | instskip(SKIP_1) | instid1(VALU_DEP_2)
	v_fma_f64 v[66:67], v[206:207], v[64:65], -v[66:67]
	v_mul_f64 v[206:207], v[206:207], v[204:205]
	v_add_f64 v[60:61], v[60:61], -v[66:67]
	s_delay_alu instid0(VALU_DEP_2) | instskip(NEXT) | instid1(VALU_DEP_1)
	v_fma_f64 v[206:207], v[208:209], v[64:65], v[206:207]
	v_add_f64 v[62:63], v[62:63], -v[206:207]
	ds_load_2addr_b64 v[206:209], v254 offset0:72 offset1:73
	s_waitcnt lgkmcnt(0)
	v_mul_f64 v[66:67], v[208:209], v[204:205]
	s_delay_alu instid0(VALU_DEP_1) | instskip(SKIP_1) | instid1(VALU_DEP_2)
	v_fma_f64 v[66:67], v[206:207], v[64:65], -v[66:67]
	v_mul_f64 v[206:207], v[206:207], v[204:205]
	v_add_f64 v[56:57], v[56:57], -v[66:67]
	s_delay_alu instid0(VALU_DEP_2) | instskip(NEXT) | instid1(VALU_DEP_1)
	v_fma_f64 v[206:207], v[208:209], v[64:65], v[206:207]
	v_add_f64 v[58:59], v[58:59], -v[206:207]
	;; [unrolled: 10-line block ×15, first 2 shown]
	ds_load_2addr_b64 v[206:209], v254 offset0:100 offset1:101
	s_waitcnt lgkmcnt(0)
	v_mul_f64 v[66:67], v[208:209], v[204:205]
	s_delay_alu instid0(VALU_DEP_1) | instskip(SKIP_1) | instid1(VALU_DEP_2)
	v_fma_f64 v[66:67], v[206:207], v[64:65], -v[66:67]
	v_mul_f64 v[206:207], v[206:207], v[204:205]
	v_add_f64 v[0:1], v[0:1], -v[66:67]
	s_delay_alu instid0(VALU_DEP_2) | instskip(SKIP_1) | instid1(VALU_DEP_2)
	v_fma_f64 v[206:207], v[208:209], v[64:65], v[206:207]
	v_dual_mov_b32 v66, v204 :: v_dual_mov_b32 v67, v205
	v_add_f64 v[2:3], v[2:3], -v[206:207]
.LBB101_316:
	s_or_b32 exec_lo, exec_lo, s3
	scratch_load_b32 v204, off, off         ; 4-byte Folded Reload
	s_mov_b32 s4, exec_lo
	s_waitcnt vmcnt(0)
	s_waitcnt_vscnt null, 0x0
	s_barrier
	buffer_gl0_inv
	v_cmpx_eq_u32_e32 35, v204
	s_cbranch_execz .LBB101_323
; %bb.317:
	ds_store_2addr_b64 v255, v[60:61], v[62:63] offset1:1
	ds_store_2addr_b64 v254, v[56:57], v[58:59] offset0:72 offset1:73
	ds_store_2addr_b64 v254, v[52:53], v[54:55] offset0:74 offset1:75
	;; [unrolled: 1-line block ×15, first 2 shown]
	ds_load_2addr_b64 v[204:207], v255 offset1:1
	s_waitcnt lgkmcnt(0)
	v_cmp_neq_f64_e32 vcc_lo, 0, v[204:205]
	v_cmp_neq_f64_e64 s3, 0, v[206:207]
	s_delay_alu instid0(VALU_DEP_1) | instskip(NEXT) | instid1(SALU_CYCLE_1)
	s_or_b32 s3, vcc_lo, s3
	s_and_b32 exec_lo, exec_lo, s3
	s_cbranch_execz .LBB101_323
; %bb.318:
	v_cmp_gt_f64_e32 vcc_lo, 0, v[204:205]
	v_xor_b32_e32 v208, 0x80000000, v205
	v_xor_b32_e32 v210, 0x80000000, v207
	s_mov_b32 s3, exec_lo
                                        ; implicit-def: $vgpr212_vgpr213
	s_delay_alu instid0(VALU_DEP_2) | instskip(SKIP_4) | instid1(VALU_DEP_1)
	v_cndmask_b32_e32 v209, v205, v208, vcc_lo
	v_cndmask_b32_e32 v208, v204, v204, vcc_lo
	v_cmp_gt_f64_e32 vcc_lo, 0, v[206:207]
	v_cndmask_b32_e32 v211, v207, v210, vcc_lo
	v_cndmask_b32_e32 v210, v206, v206, vcc_lo
	v_cmpx_ngt_f64_e32 v[208:209], v[210:211]
	s_xor_b32 s3, exec_lo, s3
                                        ; implicit-def: $vgpr208_vgpr209_vgpr210_vgpr211
	s_cbranch_execz .LBB101_320
; %bb.319:
	v_div_scale_f64 v[208:209], null, v[206:207], v[206:207], v[204:205]
	v_div_scale_f64 v[214:215], vcc_lo, v[204:205], v[206:207], v[204:205]
	s_delay_alu instid0(VALU_DEP_2) | instskip(SKIP_2) | instid1(VALU_DEP_1)
	v_rcp_f64_e32 v[210:211], v[208:209]
	s_waitcnt_depctr 0xfff
	v_fma_f64 v[212:213], -v[208:209], v[210:211], 1.0
	v_fma_f64 v[210:211], v[210:211], v[212:213], v[210:211]
	s_delay_alu instid0(VALU_DEP_1) | instskip(NEXT) | instid1(VALU_DEP_1)
	v_fma_f64 v[212:213], -v[208:209], v[210:211], 1.0
	v_fma_f64 v[210:211], v[210:211], v[212:213], v[210:211]
	s_delay_alu instid0(VALU_DEP_1) | instskip(NEXT) | instid1(VALU_DEP_1)
	v_mul_f64 v[212:213], v[214:215], v[210:211]
	v_fma_f64 v[208:209], -v[208:209], v[212:213], v[214:215]
	s_delay_alu instid0(VALU_DEP_1) | instskip(NEXT) | instid1(VALU_DEP_1)
	v_div_fmas_f64 v[208:209], v[208:209], v[210:211], v[212:213]
	v_div_fixup_f64 v[208:209], v[208:209], v[206:207], v[204:205]
	s_delay_alu instid0(VALU_DEP_1) | instskip(NEXT) | instid1(VALU_DEP_1)
	v_fma_f64 v[204:205], v[204:205], v[208:209], v[206:207]
	v_div_scale_f64 v[206:207], null, v[204:205], v[204:205], 1.0
	s_delay_alu instid0(VALU_DEP_1) | instskip(SKIP_2) | instid1(VALU_DEP_1)
	v_rcp_f64_e32 v[210:211], v[206:207]
	s_waitcnt_depctr 0xfff
	v_fma_f64 v[212:213], -v[206:207], v[210:211], 1.0
	v_fma_f64 v[210:211], v[210:211], v[212:213], v[210:211]
	s_delay_alu instid0(VALU_DEP_1) | instskip(NEXT) | instid1(VALU_DEP_1)
	v_fma_f64 v[212:213], -v[206:207], v[210:211], 1.0
	v_fma_f64 v[210:211], v[210:211], v[212:213], v[210:211]
	v_div_scale_f64 v[212:213], vcc_lo, 1.0, v[204:205], 1.0
	s_delay_alu instid0(VALU_DEP_1) | instskip(NEXT) | instid1(VALU_DEP_1)
	v_mul_f64 v[214:215], v[212:213], v[210:211]
	v_fma_f64 v[206:207], -v[206:207], v[214:215], v[212:213]
	s_delay_alu instid0(VALU_DEP_1) | instskip(NEXT) | instid1(VALU_DEP_1)
	v_div_fmas_f64 v[206:207], v[206:207], v[210:211], v[214:215]
	v_div_fixup_f64 v[210:211], v[206:207], v[204:205], 1.0
                                        ; implicit-def: $vgpr204_vgpr205
	s_delay_alu instid0(VALU_DEP_1)
	v_mul_f64 v[212:213], v[208:209], v[210:211]
	v_xor_b32_e32 v211, 0x80000000, v211
.LBB101_320:
	s_and_not1_saveexec_b32 s3, s3
	s_cbranch_execz .LBB101_322
; %bb.321:
	v_div_scale_f64 v[208:209], null, v[204:205], v[204:205], v[206:207]
	v_div_scale_f64 v[214:215], vcc_lo, v[206:207], v[204:205], v[206:207]
	s_delay_alu instid0(VALU_DEP_2) | instskip(SKIP_2) | instid1(VALU_DEP_1)
	v_rcp_f64_e32 v[210:211], v[208:209]
	s_waitcnt_depctr 0xfff
	v_fma_f64 v[212:213], -v[208:209], v[210:211], 1.0
	v_fma_f64 v[210:211], v[210:211], v[212:213], v[210:211]
	s_delay_alu instid0(VALU_DEP_1) | instskip(NEXT) | instid1(VALU_DEP_1)
	v_fma_f64 v[212:213], -v[208:209], v[210:211], 1.0
	v_fma_f64 v[210:211], v[210:211], v[212:213], v[210:211]
	s_delay_alu instid0(VALU_DEP_1) | instskip(NEXT) | instid1(VALU_DEP_1)
	v_mul_f64 v[212:213], v[214:215], v[210:211]
	v_fma_f64 v[208:209], -v[208:209], v[212:213], v[214:215]
	s_delay_alu instid0(VALU_DEP_1) | instskip(NEXT) | instid1(VALU_DEP_1)
	v_div_fmas_f64 v[208:209], v[208:209], v[210:211], v[212:213]
	v_div_fixup_f64 v[208:209], v[208:209], v[204:205], v[206:207]
	s_delay_alu instid0(VALU_DEP_1) | instskip(NEXT) | instid1(VALU_DEP_1)
	v_fma_f64 v[204:205], v[206:207], v[208:209], v[204:205]
	v_div_scale_f64 v[206:207], null, v[204:205], v[204:205], 1.0
	s_delay_alu instid0(VALU_DEP_1) | instskip(SKIP_2) | instid1(VALU_DEP_1)
	v_rcp_f64_e32 v[210:211], v[206:207]
	s_waitcnt_depctr 0xfff
	v_fma_f64 v[212:213], -v[206:207], v[210:211], 1.0
	v_fma_f64 v[210:211], v[210:211], v[212:213], v[210:211]
	s_delay_alu instid0(VALU_DEP_1) | instskip(NEXT) | instid1(VALU_DEP_1)
	v_fma_f64 v[212:213], -v[206:207], v[210:211], 1.0
	v_fma_f64 v[210:211], v[210:211], v[212:213], v[210:211]
	v_div_scale_f64 v[212:213], vcc_lo, 1.0, v[204:205], 1.0
	s_delay_alu instid0(VALU_DEP_1) | instskip(NEXT) | instid1(VALU_DEP_1)
	v_mul_f64 v[214:215], v[212:213], v[210:211]
	v_fma_f64 v[206:207], -v[206:207], v[214:215], v[212:213]
	s_delay_alu instid0(VALU_DEP_1) | instskip(NEXT) | instid1(VALU_DEP_1)
	v_div_fmas_f64 v[206:207], v[206:207], v[210:211], v[214:215]
	v_div_fixup_f64 v[212:213], v[206:207], v[204:205], 1.0
	s_delay_alu instid0(VALU_DEP_1)
	v_mul_f64 v[210:211], v[208:209], -v[212:213]
.LBB101_322:
	s_or_b32 exec_lo, exec_lo, s3
	ds_store_2addr_b64 v255, v[212:213], v[210:211] offset1:1
.LBB101_323:
	s_or_b32 exec_lo, exec_lo, s4
	s_waitcnt lgkmcnt(0)
	s_barrier
	buffer_gl0_inv
	ds_load_2addr_b64 v[204:207], v255 offset1:1
	s_mov_b32 s3, exec_lo
	s_waitcnt lgkmcnt(0)
	scratch_store_b128 off, v[204:207], off offset:984 ; 16-byte Folded Spill
	scratch_load_b32 v204, off, off         ; 4-byte Folded Reload
	s_waitcnt vmcnt(0)
	v_cmpx_lt_u32_e32 35, v204
	s_cbranch_execz .LBB101_325
; %bb.324:
	scratch_load_b128 v[206:209], off, off offset:984 ; 16-byte Folded Reload
	s_waitcnt vmcnt(0)
	v_mul_f64 v[204:205], v[206:207], v[62:63]
	v_mul_f64 v[62:63], v[208:209], v[62:63]
	s_delay_alu instid0(VALU_DEP_2) | instskip(NEXT) | instid1(VALU_DEP_2)
	v_fma_f64 v[204:205], v[208:209], v[60:61], v[204:205]
	v_fma_f64 v[60:61], v[206:207], v[60:61], -v[62:63]
	ds_load_2addr_b64 v[206:209], v254 offset0:72 offset1:73
	s_waitcnt lgkmcnt(0)
	v_mul_f64 v[62:63], v[208:209], v[204:205]
	s_delay_alu instid0(VALU_DEP_1) | instskip(SKIP_1) | instid1(VALU_DEP_2)
	v_fma_f64 v[62:63], v[206:207], v[60:61], -v[62:63]
	v_mul_f64 v[206:207], v[206:207], v[204:205]
	v_add_f64 v[56:57], v[56:57], -v[62:63]
	s_delay_alu instid0(VALU_DEP_2) | instskip(NEXT) | instid1(VALU_DEP_1)
	v_fma_f64 v[206:207], v[208:209], v[60:61], v[206:207]
	v_add_f64 v[58:59], v[58:59], -v[206:207]
	ds_load_2addr_b64 v[206:209], v254 offset0:74 offset1:75
	s_waitcnt lgkmcnt(0)
	v_mul_f64 v[62:63], v[208:209], v[204:205]
	s_delay_alu instid0(VALU_DEP_1) | instskip(SKIP_1) | instid1(VALU_DEP_2)
	v_fma_f64 v[62:63], v[206:207], v[60:61], -v[62:63]
	v_mul_f64 v[206:207], v[206:207], v[204:205]
	v_add_f64 v[52:53], v[52:53], -v[62:63]
	s_delay_alu instid0(VALU_DEP_2) | instskip(NEXT) | instid1(VALU_DEP_1)
	v_fma_f64 v[206:207], v[208:209], v[60:61], v[206:207]
	v_add_f64 v[54:55], v[54:55], -v[206:207]
	;; [unrolled: 10-line block ×14, first 2 shown]
	ds_load_2addr_b64 v[206:209], v254 offset0:100 offset1:101
	s_waitcnt lgkmcnt(0)
	v_mul_f64 v[62:63], v[208:209], v[204:205]
	s_delay_alu instid0(VALU_DEP_1) | instskip(SKIP_1) | instid1(VALU_DEP_2)
	v_fma_f64 v[62:63], v[206:207], v[60:61], -v[62:63]
	v_mul_f64 v[206:207], v[206:207], v[204:205]
	v_add_f64 v[0:1], v[0:1], -v[62:63]
	s_delay_alu instid0(VALU_DEP_2) | instskip(SKIP_1) | instid1(VALU_DEP_2)
	v_fma_f64 v[206:207], v[208:209], v[60:61], v[206:207]
	v_dual_mov_b32 v62, v204 :: v_dual_mov_b32 v63, v205
	v_add_f64 v[2:3], v[2:3], -v[206:207]
.LBB101_325:
	s_or_b32 exec_lo, exec_lo, s3
	scratch_load_b32 v204, off, off         ; 4-byte Folded Reload
	s_mov_b32 s4, exec_lo
	s_waitcnt vmcnt(0)
	s_waitcnt_vscnt null, 0x0
	s_barrier
	buffer_gl0_inv
	v_cmpx_eq_u32_e32 36, v204
	s_cbranch_execz .LBB101_332
; %bb.326:
	ds_store_2addr_b64 v255, v[56:57], v[58:59] offset1:1
	ds_store_2addr_b64 v254, v[52:53], v[54:55] offset0:74 offset1:75
	ds_store_2addr_b64 v254, v[48:49], v[50:51] offset0:76 offset1:77
	;; [unrolled: 1-line block ×14, first 2 shown]
	ds_load_2addr_b64 v[204:207], v255 offset1:1
	s_waitcnt lgkmcnt(0)
	v_cmp_neq_f64_e32 vcc_lo, 0, v[204:205]
	v_cmp_neq_f64_e64 s3, 0, v[206:207]
	s_delay_alu instid0(VALU_DEP_1) | instskip(NEXT) | instid1(SALU_CYCLE_1)
	s_or_b32 s3, vcc_lo, s3
	s_and_b32 exec_lo, exec_lo, s3
	s_cbranch_execz .LBB101_332
; %bb.327:
	v_cmp_gt_f64_e32 vcc_lo, 0, v[204:205]
	v_xor_b32_e32 v208, 0x80000000, v205
	v_xor_b32_e32 v210, 0x80000000, v207
	s_mov_b32 s3, exec_lo
                                        ; implicit-def: $vgpr212_vgpr213
	s_delay_alu instid0(VALU_DEP_2) | instskip(SKIP_4) | instid1(VALU_DEP_1)
	v_cndmask_b32_e32 v209, v205, v208, vcc_lo
	v_cndmask_b32_e32 v208, v204, v204, vcc_lo
	v_cmp_gt_f64_e32 vcc_lo, 0, v[206:207]
	v_cndmask_b32_e32 v211, v207, v210, vcc_lo
	v_cndmask_b32_e32 v210, v206, v206, vcc_lo
	v_cmpx_ngt_f64_e32 v[208:209], v[210:211]
	s_xor_b32 s3, exec_lo, s3
                                        ; implicit-def: $vgpr208_vgpr209_vgpr210_vgpr211
	s_cbranch_execz .LBB101_329
; %bb.328:
	v_div_scale_f64 v[208:209], null, v[206:207], v[206:207], v[204:205]
	v_div_scale_f64 v[214:215], vcc_lo, v[204:205], v[206:207], v[204:205]
	s_delay_alu instid0(VALU_DEP_2) | instskip(SKIP_2) | instid1(VALU_DEP_1)
	v_rcp_f64_e32 v[210:211], v[208:209]
	s_waitcnt_depctr 0xfff
	v_fma_f64 v[212:213], -v[208:209], v[210:211], 1.0
	v_fma_f64 v[210:211], v[210:211], v[212:213], v[210:211]
	s_delay_alu instid0(VALU_DEP_1) | instskip(NEXT) | instid1(VALU_DEP_1)
	v_fma_f64 v[212:213], -v[208:209], v[210:211], 1.0
	v_fma_f64 v[210:211], v[210:211], v[212:213], v[210:211]
	s_delay_alu instid0(VALU_DEP_1) | instskip(NEXT) | instid1(VALU_DEP_1)
	v_mul_f64 v[212:213], v[214:215], v[210:211]
	v_fma_f64 v[208:209], -v[208:209], v[212:213], v[214:215]
	s_delay_alu instid0(VALU_DEP_1) | instskip(NEXT) | instid1(VALU_DEP_1)
	v_div_fmas_f64 v[208:209], v[208:209], v[210:211], v[212:213]
	v_div_fixup_f64 v[208:209], v[208:209], v[206:207], v[204:205]
	s_delay_alu instid0(VALU_DEP_1) | instskip(NEXT) | instid1(VALU_DEP_1)
	v_fma_f64 v[204:205], v[204:205], v[208:209], v[206:207]
	v_div_scale_f64 v[206:207], null, v[204:205], v[204:205], 1.0
	s_delay_alu instid0(VALU_DEP_1) | instskip(SKIP_2) | instid1(VALU_DEP_1)
	v_rcp_f64_e32 v[210:211], v[206:207]
	s_waitcnt_depctr 0xfff
	v_fma_f64 v[212:213], -v[206:207], v[210:211], 1.0
	v_fma_f64 v[210:211], v[210:211], v[212:213], v[210:211]
	s_delay_alu instid0(VALU_DEP_1) | instskip(NEXT) | instid1(VALU_DEP_1)
	v_fma_f64 v[212:213], -v[206:207], v[210:211], 1.0
	v_fma_f64 v[210:211], v[210:211], v[212:213], v[210:211]
	v_div_scale_f64 v[212:213], vcc_lo, 1.0, v[204:205], 1.0
	s_delay_alu instid0(VALU_DEP_1) | instskip(NEXT) | instid1(VALU_DEP_1)
	v_mul_f64 v[214:215], v[212:213], v[210:211]
	v_fma_f64 v[206:207], -v[206:207], v[214:215], v[212:213]
	s_delay_alu instid0(VALU_DEP_1) | instskip(NEXT) | instid1(VALU_DEP_1)
	v_div_fmas_f64 v[206:207], v[206:207], v[210:211], v[214:215]
	v_div_fixup_f64 v[210:211], v[206:207], v[204:205], 1.0
                                        ; implicit-def: $vgpr204_vgpr205
	s_delay_alu instid0(VALU_DEP_1)
	v_mul_f64 v[212:213], v[208:209], v[210:211]
	v_xor_b32_e32 v211, 0x80000000, v211
.LBB101_329:
	s_and_not1_saveexec_b32 s3, s3
	s_cbranch_execz .LBB101_331
; %bb.330:
	v_div_scale_f64 v[208:209], null, v[204:205], v[204:205], v[206:207]
	v_div_scale_f64 v[214:215], vcc_lo, v[206:207], v[204:205], v[206:207]
	s_delay_alu instid0(VALU_DEP_2) | instskip(SKIP_2) | instid1(VALU_DEP_1)
	v_rcp_f64_e32 v[210:211], v[208:209]
	s_waitcnt_depctr 0xfff
	v_fma_f64 v[212:213], -v[208:209], v[210:211], 1.0
	v_fma_f64 v[210:211], v[210:211], v[212:213], v[210:211]
	s_delay_alu instid0(VALU_DEP_1) | instskip(NEXT) | instid1(VALU_DEP_1)
	v_fma_f64 v[212:213], -v[208:209], v[210:211], 1.0
	v_fma_f64 v[210:211], v[210:211], v[212:213], v[210:211]
	s_delay_alu instid0(VALU_DEP_1) | instskip(NEXT) | instid1(VALU_DEP_1)
	v_mul_f64 v[212:213], v[214:215], v[210:211]
	v_fma_f64 v[208:209], -v[208:209], v[212:213], v[214:215]
	s_delay_alu instid0(VALU_DEP_1) | instskip(NEXT) | instid1(VALU_DEP_1)
	v_div_fmas_f64 v[208:209], v[208:209], v[210:211], v[212:213]
	v_div_fixup_f64 v[208:209], v[208:209], v[204:205], v[206:207]
	s_delay_alu instid0(VALU_DEP_1) | instskip(NEXT) | instid1(VALU_DEP_1)
	v_fma_f64 v[204:205], v[206:207], v[208:209], v[204:205]
	v_div_scale_f64 v[206:207], null, v[204:205], v[204:205], 1.0
	s_delay_alu instid0(VALU_DEP_1) | instskip(SKIP_2) | instid1(VALU_DEP_1)
	v_rcp_f64_e32 v[210:211], v[206:207]
	s_waitcnt_depctr 0xfff
	v_fma_f64 v[212:213], -v[206:207], v[210:211], 1.0
	v_fma_f64 v[210:211], v[210:211], v[212:213], v[210:211]
	s_delay_alu instid0(VALU_DEP_1) | instskip(NEXT) | instid1(VALU_DEP_1)
	v_fma_f64 v[212:213], -v[206:207], v[210:211], 1.0
	v_fma_f64 v[210:211], v[210:211], v[212:213], v[210:211]
	v_div_scale_f64 v[212:213], vcc_lo, 1.0, v[204:205], 1.0
	s_delay_alu instid0(VALU_DEP_1) | instskip(NEXT) | instid1(VALU_DEP_1)
	v_mul_f64 v[214:215], v[212:213], v[210:211]
	v_fma_f64 v[206:207], -v[206:207], v[214:215], v[212:213]
	s_delay_alu instid0(VALU_DEP_1) | instskip(NEXT) | instid1(VALU_DEP_1)
	v_div_fmas_f64 v[206:207], v[206:207], v[210:211], v[214:215]
	v_div_fixup_f64 v[212:213], v[206:207], v[204:205], 1.0
	s_delay_alu instid0(VALU_DEP_1)
	v_mul_f64 v[210:211], v[208:209], -v[212:213]
.LBB101_331:
	s_or_b32 exec_lo, exec_lo, s3
	ds_store_2addr_b64 v255, v[212:213], v[210:211] offset1:1
.LBB101_332:
	s_or_b32 exec_lo, exec_lo, s4
	s_waitcnt lgkmcnt(0)
	s_barrier
	buffer_gl0_inv
	ds_load_2addr_b64 v[204:207], v255 offset1:1
	s_mov_b32 s3, exec_lo
	s_waitcnt lgkmcnt(0)
	scratch_store_b128 off, v[204:207], off offset:1000 ; 16-byte Folded Spill
	scratch_load_b32 v204, off, off         ; 4-byte Folded Reload
	s_waitcnt vmcnt(0)
	v_cmpx_lt_u32_e32 36, v204
	s_cbranch_execz .LBB101_334
; %bb.333:
	scratch_load_b128 v[206:209], off, off offset:1000 ; 16-byte Folded Reload
	s_waitcnt vmcnt(0)
	v_mul_f64 v[204:205], v[206:207], v[58:59]
	v_mul_f64 v[58:59], v[208:209], v[58:59]
	s_delay_alu instid0(VALU_DEP_2) | instskip(NEXT) | instid1(VALU_DEP_2)
	v_fma_f64 v[204:205], v[208:209], v[56:57], v[204:205]
	v_fma_f64 v[56:57], v[206:207], v[56:57], -v[58:59]
	ds_load_2addr_b64 v[206:209], v254 offset0:74 offset1:75
	s_waitcnt lgkmcnt(0)
	v_mul_f64 v[58:59], v[208:209], v[204:205]
	s_delay_alu instid0(VALU_DEP_1) | instskip(SKIP_1) | instid1(VALU_DEP_2)
	v_fma_f64 v[58:59], v[206:207], v[56:57], -v[58:59]
	v_mul_f64 v[206:207], v[206:207], v[204:205]
	v_add_f64 v[52:53], v[52:53], -v[58:59]
	s_delay_alu instid0(VALU_DEP_2) | instskip(NEXT) | instid1(VALU_DEP_1)
	v_fma_f64 v[206:207], v[208:209], v[56:57], v[206:207]
	v_add_f64 v[54:55], v[54:55], -v[206:207]
	ds_load_2addr_b64 v[206:209], v254 offset0:76 offset1:77
	s_waitcnt lgkmcnt(0)
	v_mul_f64 v[58:59], v[208:209], v[204:205]
	s_delay_alu instid0(VALU_DEP_1) | instskip(SKIP_1) | instid1(VALU_DEP_2)
	v_fma_f64 v[58:59], v[206:207], v[56:57], -v[58:59]
	v_mul_f64 v[206:207], v[206:207], v[204:205]
	v_add_f64 v[48:49], v[48:49], -v[58:59]
	s_delay_alu instid0(VALU_DEP_2) | instskip(NEXT) | instid1(VALU_DEP_1)
	v_fma_f64 v[206:207], v[208:209], v[56:57], v[206:207]
	v_add_f64 v[50:51], v[50:51], -v[206:207]
	;; [unrolled: 10-line block ×13, first 2 shown]
	ds_load_2addr_b64 v[206:209], v254 offset0:100 offset1:101
	s_waitcnt lgkmcnt(0)
	v_mul_f64 v[58:59], v[208:209], v[204:205]
	s_delay_alu instid0(VALU_DEP_1) | instskip(SKIP_1) | instid1(VALU_DEP_2)
	v_fma_f64 v[58:59], v[206:207], v[56:57], -v[58:59]
	v_mul_f64 v[206:207], v[206:207], v[204:205]
	v_add_f64 v[0:1], v[0:1], -v[58:59]
	s_delay_alu instid0(VALU_DEP_2) | instskip(SKIP_1) | instid1(VALU_DEP_2)
	v_fma_f64 v[206:207], v[208:209], v[56:57], v[206:207]
	v_dual_mov_b32 v58, v204 :: v_dual_mov_b32 v59, v205
	v_add_f64 v[2:3], v[2:3], -v[206:207]
.LBB101_334:
	s_or_b32 exec_lo, exec_lo, s3
	scratch_load_b32 v204, off, off         ; 4-byte Folded Reload
	s_mov_b32 s4, exec_lo
	s_waitcnt vmcnt(0)
	s_waitcnt_vscnt null, 0x0
	s_barrier
	buffer_gl0_inv
	v_cmpx_eq_u32_e32 37, v204
	s_cbranch_execz .LBB101_341
; %bb.335:
	ds_store_2addr_b64 v255, v[52:53], v[54:55] offset1:1
	ds_store_2addr_b64 v254, v[48:49], v[50:51] offset0:76 offset1:77
	ds_store_2addr_b64 v254, v[44:45], v[46:47] offset0:78 offset1:79
	;; [unrolled: 1-line block ×13, first 2 shown]
	ds_load_2addr_b64 v[204:207], v255 offset1:1
	s_waitcnt lgkmcnt(0)
	v_cmp_neq_f64_e32 vcc_lo, 0, v[204:205]
	v_cmp_neq_f64_e64 s3, 0, v[206:207]
	s_delay_alu instid0(VALU_DEP_1) | instskip(NEXT) | instid1(SALU_CYCLE_1)
	s_or_b32 s3, vcc_lo, s3
	s_and_b32 exec_lo, exec_lo, s3
	s_cbranch_execz .LBB101_341
; %bb.336:
	v_cmp_gt_f64_e32 vcc_lo, 0, v[204:205]
	v_xor_b32_e32 v208, 0x80000000, v205
	v_xor_b32_e32 v210, 0x80000000, v207
	s_mov_b32 s3, exec_lo
                                        ; implicit-def: $vgpr212_vgpr213
	s_delay_alu instid0(VALU_DEP_2) | instskip(SKIP_4) | instid1(VALU_DEP_1)
	v_cndmask_b32_e32 v209, v205, v208, vcc_lo
	v_cndmask_b32_e32 v208, v204, v204, vcc_lo
	v_cmp_gt_f64_e32 vcc_lo, 0, v[206:207]
	v_cndmask_b32_e32 v211, v207, v210, vcc_lo
	v_cndmask_b32_e32 v210, v206, v206, vcc_lo
	v_cmpx_ngt_f64_e32 v[208:209], v[210:211]
	s_xor_b32 s3, exec_lo, s3
                                        ; implicit-def: $vgpr208_vgpr209_vgpr210_vgpr211
	s_cbranch_execz .LBB101_338
; %bb.337:
	v_div_scale_f64 v[208:209], null, v[206:207], v[206:207], v[204:205]
	v_div_scale_f64 v[214:215], vcc_lo, v[204:205], v[206:207], v[204:205]
	s_delay_alu instid0(VALU_DEP_2) | instskip(SKIP_2) | instid1(VALU_DEP_1)
	v_rcp_f64_e32 v[210:211], v[208:209]
	s_waitcnt_depctr 0xfff
	v_fma_f64 v[212:213], -v[208:209], v[210:211], 1.0
	v_fma_f64 v[210:211], v[210:211], v[212:213], v[210:211]
	s_delay_alu instid0(VALU_DEP_1) | instskip(NEXT) | instid1(VALU_DEP_1)
	v_fma_f64 v[212:213], -v[208:209], v[210:211], 1.0
	v_fma_f64 v[210:211], v[210:211], v[212:213], v[210:211]
	s_delay_alu instid0(VALU_DEP_1) | instskip(NEXT) | instid1(VALU_DEP_1)
	v_mul_f64 v[212:213], v[214:215], v[210:211]
	v_fma_f64 v[208:209], -v[208:209], v[212:213], v[214:215]
	s_delay_alu instid0(VALU_DEP_1) | instskip(NEXT) | instid1(VALU_DEP_1)
	v_div_fmas_f64 v[208:209], v[208:209], v[210:211], v[212:213]
	v_div_fixup_f64 v[208:209], v[208:209], v[206:207], v[204:205]
	s_delay_alu instid0(VALU_DEP_1) | instskip(NEXT) | instid1(VALU_DEP_1)
	v_fma_f64 v[204:205], v[204:205], v[208:209], v[206:207]
	v_div_scale_f64 v[206:207], null, v[204:205], v[204:205], 1.0
	s_delay_alu instid0(VALU_DEP_1) | instskip(SKIP_2) | instid1(VALU_DEP_1)
	v_rcp_f64_e32 v[210:211], v[206:207]
	s_waitcnt_depctr 0xfff
	v_fma_f64 v[212:213], -v[206:207], v[210:211], 1.0
	v_fma_f64 v[210:211], v[210:211], v[212:213], v[210:211]
	s_delay_alu instid0(VALU_DEP_1) | instskip(NEXT) | instid1(VALU_DEP_1)
	v_fma_f64 v[212:213], -v[206:207], v[210:211], 1.0
	v_fma_f64 v[210:211], v[210:211], v[212:213], v[210:211]
	v_div_scale_f64 v[212:213], vcc_lo, 1.0, v[204:205], 1.0
	s_delay_alu instid0(VALU_DEP_1) | instskip(NEXT) | instid1(VALU_DEP_1)
	v_mul_f64 v[214:215], v[212:213], v[210:211]
	v_fma_f64 v[206:207], -v[206:207], v[214:215], v[212:213]
	s_delay_alu instid0(VALU_DEP_1) | instskip(NEXT) | instid1(VALU_DEP_1)
	v_div_fmas_f64 v[206:207], v[206:207], v[210:211], v[214:215]
	v_div_fixup_f64 v[210:211], v[206:207], v[204:205], 1.0
                                        ; implicit-def: $vgpr204_vgpr205
	s_delay_alu instid0(VALU_DEP_1)
	v_mul_f64 v[212:213], v[208:209], v[210:211]
	v_xor_b32_e32 v211, 0x80000000, v211
.LBB101_338:
	s_and_not1_saveexec_b32 s3, s3
	s_cbranch_execz .LBB101_340
; %bb.339:
	v_div_scale_f64 v[208:209], null, v[204:205], v[204:205], v[206:207]
	v_div_scale_f64 v[214:215], vcc_lo, v[206:207], v[204:205], v[206:207]
	s_delay_alu instid0(VALU_DEP_2) | instskip(SKIP_2) | instid1(VALU_DEP_1)
	v_rcp_f64_e32 v[210:211], v[208:209]
	s_waitcnt_depctr 0xfff
	v_fma_f64 v[212:213], -v[208:209], v[210:211], 1.0
	v_fma_f64 v[210:211], v[210:211], v[212:213], v[210:211]
	s_delay_alu instid0(VALU_DEP_1) | instskip(NEXT) | instid1(VALU_DEP_1)
	v_fma_f64 v[212:213], -v[208:209], v[210:211], 1.0
	v_fma_f64 v[210:211], v[210:211], v[212:213], v[210:211]
	s_delay_alu instid0(VALU_DEP_1) | instskip(NEXT) | instid1(VALU_DEP_1)
	v_mul_f64 v[212:213], v[214:215], v[210:211]
	v_fma_f64 v[208:209], -v[208:209], v[212:213], v[214:215]
	s_delay_alu instid0(VALU_DEP_1) | instskip(NEXT) | instid1(VALU_DEP_1)
	v_div_fmas_f64 v[208:209], v[208:209], v[210:211], v[212:213]
	v_div_fixup_f64 v[208:209], v[208:209], v[204:205], v[206:207]
	s_delay_alu instid0(VALU_DEP_1) | instskip(NEXT) | instid1(VALU_DEP_1)
	v_fma_f64 v[204:205], v[206:207], v[208:209], v[204:205]
	v_div_scale_f64 v[206:207], null, v[204:205], v[204:205], 1.0
	s_delay_alu instid0(VALU_DEP_1) | instskip(SKIP_2) | instid1(VALU_DEP_1)
	v_rcp_f64_e32 v[210:211], v[206:207]
	s_waitcnt_depctr 0xfff
	v_fma_f64 v[212:213], -v[206:207], v[210:211], 1.0
	v_fma_f64 v[210:211], v[210:211], v[212:213], v[210:211]
	s_delay_alu instid0(VALU_DEP_1) | instskip(NEXT) | instid1(VALU_DEP_1)
	v_fma_f64 v[212:213], -v[206:207], v[210:211], 1.0
	v_fma_f64 v[210:211], v[210:211], v[212:213], v[210:211]
	v_div_scale_f64 v[212:213], vcc_lo, 1.0, v[204:205], 1.0
	s_delay_alu instid0(VALU_DEP_1) | instskip(NEXT) | instid1(VALU_DEP_1)
	v_mul_f64 v[214:215], v[212:213], v[210:211]
	v_fma_f64 v[206:207], -v[206:207], v[214:215], v[212:213]
	s_delay_alu instid0(VALU_DEP_1) | instskip(NEXT) | instid1(VALU_DEP_1)
	v_div_fmas_f64 v[206:207], v[206:207], v[210:211], v[214:215]
	v_div_fixup_f64 v[212:213], v[206:207], v[204:205], 1.0
	s_delay_alu instid0(VALU_DEP_1)
	v_mul_f64 v[210:211], v[208:209], -v[212:213]
.LBB101_340:
	s_or_b32 exec_lo, exec_lo, s3
	ds_store_2addr_b64 v255, v[212:213], v[210:211] offset1:1
.LBB101_341:
	s_or_b32 exec_lo, exec_lo, s4
	s_waitcnt lgkmcnt(0)
	s_barrier
	buffer_gl0_inv
	ds_load_2addr_b64 v[204:207], v255 offset1:1
	s_mov_b32 s3, exec_lo
	s_waitcnt lgkmcnt(0)
	scratch_store_b128 off, v[204:207], off offset:1016 ; 16-byte Folded Spill
	scratch_load_b32 v204, off, off         ; 4-byte Folded Reload
	s_waitcnt vmcnt(0)
	v_cmpx_lt_u32_e32 37, v204
	s_cbranch_execz .LBB101_343
; %bb.342:
	scratch_load_b128 v[206:209], off, off offset:1016 ; 16-byte Folded Reload
	s_waitcnt vmcnt(0)
	v_mul_f64 v[204:205], v[206:207], v[54:55]
	v_mul_f64 v[54:55], v[208:209], v[54:55]
	s_delay_alu instid0(VALU_DEP_2) | instskip(NEXT) | instid1(VALU_DEP_2)
	v_fma_f64 v[204:205], v[208:209], v[52:53], v[204:205]
	v_fma_f64 v[52:53], v[206:207], v[52:53], -v[54:55]
	ds_load_2addr_b64 v[206:209], v254 offset0:76 offset1:77
	s_waitcnt lgkmcnt(0)
	v_mul_f64 v[54:55], v[208:209], v[204:205]
	s_delay_alu instid0(VALU_DEP_1) | instskip(SKIP_1) | instid1(VALU_DEP_2)
	v_fma_f64 v[54:55], v[206:207], v[52:53], -v[54:55]
	v_mul_f64 v[206:207], v[206:207], v[204:205]
	v_add_f64 v[48:49], v[48:49], -v[54:55]
	s_delay_alu instid0(VALU_DEP_2) | instskip(NEXT) | instid1(VALU_DEP_1)
	v_fma_f64 v[206:207], v[208:209], v[52:53], v[206:207]
	v_add_f64 v[50:51], v[50:51], -v[206:207]
	ds_load_2addr_b64 v[206:209], v254 offset0:78 offset1:79
	s_waitcnt lgkmcnt(0)
	v_mul_f64 v[54:55], v[208:209], v[204:205]
	s_delay_alu instid0(VALU_DEP_1) | instskip(SKIP_1) | instid1(VALU_DEP_2)
	v_fma_f64 v[54:55], v[206:207], v[52:53], -v[54:55]
	v_mul_f64 v[206:207], v[206:207], v[204:205]
	v_add_f64 v[44:45], v[44:45], -v[54:55]
	s_delay_alu instid0(VALU_DEP_2) | instskip(NEXT) | instid1(VALU_DEP_1)
	v_fma_f64 v[206:207], v[208:209], v[52:53], v[206:207]
	v_add_f64 v[46:47], v[46:47], -v[206:207]
	;; [unrolled: 10-line block ×12, first 2 shown]
	ds_load_2addr_b64 v[206:209], v254 offset0:100 offset1:101
	s_waitcnt lgkmcnt(0)
	v_mul_f64 v[54:55], v[208:209], v[204:205]
	s_delay_alu instid0(VALU_DEP_1) | instskip(SKIP_1) | instid1(VALU_DEP_2)
	v_fma_f64 v[54:55], v[206:207], v[52:53], -v[54:55]
	v_mul_f64 v[206:207], v[206:207], v[204:205]
	v_add_f64 v[0:1], v[0:1], -v[54:55]
	s_delay_alu instid0(VALU_DEP_2) | instskip(SKIP_1) | instid1(VALU_DEP_2)
	v_fma_f64 v[206:207], v[208:209], v[52:53], v[206:207]
	v_dual_mov_b32 v54, v204 :: v_dual_mov_b32 v55, v205
	v_add_f64 v[2:3], v[2:3], -v[206:207]
.LBB101_343:
	s_or_b32 exec_lo, exec_lo, s3
	scratch_load_b32 v204, off, off         ; 4-byte Folded Reload
	s_mov_b32 s4, exec_lo
	s_waitcnt vmcnt(0)
	s_waitcnt_vscnt null, 0x0
	s_barrier
	buffer_gl0_inv
	v_cmpx_eq_u32_e32 38, v204
	s_cbranch_execz .LBB101_350
; %bb.344:
	ds_store_2addr_b64 v255, v[48:49], v[50:51] offset1:1
	ds_store_2addr_b64 v254, v[44:45], v[46:47] offset0:78 offset1:79
	ds_store_2addr_b64 v254, v[40:41], v[42:43] offset0:80 offset1:81
	;; [unrolled: 1-line block ×12, first 2 shown]
	ds_load_2addr_b64 v[204:207], v255 offset1:1
	s_waitcnt lgkmcnt(0)
	v_cmp_neq_f64_e32 vcc_lo, 0, v[204:205]
	v_cmp_neq_f64_e64 s3, 0, v[206:207]
	s_delay_alu instid0(VALU_DEP_1) | instskip(NEXT) | instid1(SALU_CYCLE_1)
	s_or_b32 s3, vcc_lo, s3
	s_and_b32 exec_lo, exec_lo, s3
	s_cbranch_execz .LBB101_350
; %bb.345:
	v_cmp_gt_f64_e32 vcc_lo, 0, v[204:205]
	v_xor_b32_e32 v208, 0x80000000, v205
	v_xor_b32_e32 v210, 0x80000000, v207
	s_mov_b32 s3, exec_lo
                                        ; implicit-def: $vgpr212_vgpr213
	s_delay_alu instid0(VALU_DEP_2) | instskip(SKIP_4) | instid1(VALU_DEP_1)
	v_cndmask_b32_e32 v209, v205, v208, vcc_lo
	v_cndmask_b32_e32 v208, v204, v204, vcc_lo
	v_cmp_gt_f64_e32 vcc_lo, 0, v[206:207]
	v_cndmask_b32_e32 v211, v207, v210, vcc_lo
	v_cndmask_b32_e32 v210, v206, v206, vcc_lo
	v_cmpx_ngt_f64_e32 v[208:209], v[210:211]
	s_xor_b32 s3, exec_lo, s3
                                        ; implicit-def: $vgpr208_vgpr209_vgpr210_vgpr211
	s_cbranch_execz .LBB101_347
; %bb.346:
	v_div_scale_f64 v[208:209], null, v[206:207], v[206:207], v[204:205]
	v_div_scale_f64 v[214:215], vcc_lo, v[204:205], v[206:207], v[204:205]
	s_delay_alu instid0(VALU_DEP_2) | instskip(SKIP_2) | instid1(VALU_DEP_1)
	v_rcp_f64_e32 v[210:211], v[208:209]
	s_waitcnt_depctr 0xfff
	v_fma_f64 v[212:213], -v[208:209], v[210:211], 1.0
	v_fma_f64 v[210:211], v[210:211], v[212:213], v[210:211]
	s_delay_alu instid0(VALU_DEP_1) | instskip(NEXT) | instid1(VALU_DEP_1)
	v_fma_f64 v[212:213], -v[208:209], v[210:211], 1.0
	v_fma_f64 v[210:211], v[210:211], v[212:213], v[210:211]
	s_delay_alu instid0(VALU_DEP_1) | instskip(NEXT) | instid1(VALU_DEP_1)
	v_mul_f64 v[212:213], v[214:215], v[210:211]
	v_fma_f64 v[208:209], -v[208:209], v[212:213], v[214:215]
	s_delay_alu instid0(VALU_DEP_1) | instskip(NEXT) | instid1(VALU_DEP_1)
	v_div_fmas_f64 v[208:209], v[208:209], v[210:211], v[212:213]
	v_div_fixup_f64 v[208:209], v[208:209], v[206:207], v[204:205]
	s_delay_alu instid0(VALU_DEP_1) | instskip(NEXT) | instid1(VALU_DEP_1)
	v_fma_f64 v[204:205], v[204:205], v[208:209], v[206:207]
	v_div_scale_f64 v[206:207], null, v[204:205], v[204:205], 1.0
	s_delay_alu instid0(VALU_DEP_1) | instskip(SKIP_2) | instid1(VALU_DEP_1)
	v_rcp_f64_e32 v[210:211], v[206:207]
	s_waitcnt_depctr 0xfff
	v_fma_f64 v[212:213], -v[206:207], v[210:211], 1.0
	v_fma_f64 v[210:211], v[210:211], v[212:213], v[210:211]
	s_delay_alu instid0(VALU_DEP_1) | instskip(NEXT) | instid1(VALU_DEP_1)
	v_fma_f64 v[212:213], -v[206:207], v[210:211], 1.0
	v_fma_f64 v[210:211], v[210:211], v[212:213], v[210:211]
	v_div_scale_f64 v[212:213], vcc_lo, 1.0, v[204:205], 1.0
	s_delay_alu instid0(VALU_DEP_1) | instskip(NEXT) | instid1(VALU_DEP_1)
	v_mul_f64 v[214:215], v[212:213], v[210:211]
	v_fma_f64 v[206:207], -v[206:207], v[214:215], v[212:213]
	s_delay_alu instid0(VALU_DEP_1) | instskip(NEXT) | instid1(VALU_DEP_1)
	v_div_fmas_f64 v[206:207], v[206:207], v[210:211], v[214:215]
	v_div_fixup_f64 v[210:211], v[206:207], v[204:205], 1.0
                                        ; implicit-def: $vgpr204_vgpr205
	s_delay_alu instid0(VALU_DEP_1)
	v_mul_f64 v[212:213], v[208:209], v[210:211]
	v_xor_b32_e32 v211, 0x80000000, v211
.LBB101_347:
	s_and_not1_saveexec_b32 s3, s3
	s_cbranch_execz .LBB101_349
; %bb.348:
	v_div_scale_f64 v[208:209], null, v[204:205], v[204:205], v[206:207]
	v_div_scale_f64 v[214:215], vcc_lo, v[206:207], v[204:205], v[206:207]
	s_delay_alu instid0(VALU_DEP_2) | instskip(SKIP_2) | instid1(VALU_DEP_1)
	v_rcp_f64_e32 v[210:211], v[208:209]
	s_waitcnt_depctr 0xfff
	v_fma_f64 v[212:213], -v[208:209], v[210:211], 1.0
	v_fma_f64 v[210:211], v[210:211], v[212:213], v[210:211]
	s_delay_alu instid0(VALU_DEP_1) | instskip(NEXT) | instid1(VALU_DEP_1)
	v_fma_f64 v[212:213], -v[208:209], v[210:211], 1.0
	v_fma_f64 v[210:211], v[210:211], v[212:213], v[210:211]
	s_delay_alu instid0(VALU_DEP_1) | instskip(NEXT) | instid1(VALU_DEP_1)
	v_mul_f64 v[212:213], v[214:215], v[210:211]
	v_fma_f64 v[208:209], -v[208:209], v[212:213], v[214:215]
	s_delay_alu instid0(VALU_DEP_1) | instskip(NEXT) | instid1(VALU_DEP_1)
	v_div_fmas_f64 v[208:209], v[208:209], v[210:211], v[212:213]
	v_div_fixup_f64 v[208:209], v[208:209], v[204:205], v[206:207]
	s_delay_alu instid0(VALU_DEP_1) | instskip(NEXT) | instid1(VALU_DEP_1)
	v_fma_f64 v[204:205], v[206:207], v[208:209], v[204:205]
	v_div_scale_f64 v[206:207], null, v[204:205], v[204:205], 1.0
	s_delay_alu instid0(VALU_DEP_1) | instskip(SKIP_2) | instid1(VALU_DEP_1)
	v_rcp_f64_e32 v[210:211], v[206:207]
	s_waitcnt_depctr 0xfff
	v_fma_f64 v[212:213], -v[206:207], v[210:211], 1.0
	v_fma_f64 v[210:211], v[210:211], v[212:213], v[210:211]
	s_delay_alu instid0(VALU_DEP_1) | instskip(NEXT) | instid1(VALU_DEP_1)
	v_fma_f64 v[212:213], -v[206:207], v[210:211], 1.0
	v_fma_f64 v[210:211], v[210:211], v[212:213], v[210:211]
	v_div_scale_f64 v[212:213], vcc_lo, 1.0, v[204:205], 1.0
	s_delay_alu instid0(VALU_DEP_1) | instskip(NEXT) | instid1(VALU_DEP_1)
	v_mul_f64 v[214:215], v[212:213], v[210:211]
	v_fma_f64 v[206:207], -v[206:207], v[214:215], v[212:213]
	s_delay_alu instid0(VALU_DEP_1) | instskip(NEXT) | instid1(VALU_DEP_1)
	v_div_fmas_f64 v[206:207], v[206:207], v[210:211], v[214:215]
	v_div_fixup_f64 v[212:213], v[206:207], v[204:205], 1.0
	s_delay_alu instid0(VALU_DEP_1)
	v_mul_f64 v[210:211], v[208:209], -v[212:213]
.LBB101_349:
	s_or_b32 exec_lo, exec_lo, s3
	ds_store_2addr_b64 v255, v[212:213], v[210:211] offset1:1
.LBB101_350:
	s_or_b32 exec_lo, exec_lo, s4
	s_waitcnt lgkmcnt(0)
	s_barrier
	buffer_gl0_inv
	ds_load_2addr_b64 v[204:207], v255 offset1:1
	s_mov_b32 s3, exec_lo
	s_waitcnt lgkmcnt(0)
	scratch_store_b128 off, v[204:207], off offset:1032 ; 16-byte Folded Spill
	scratch_load_b32 v204, off, off         ; 4-byte Folded Reload
	s_waitcnt vmcnt(0)
	v_cmpx_lt_u32_e32 38, v204
	s_cbranch_execz .LBB101_352
; %bb.351:
	scratch_load_b128 v[206:209], off, off offset:1032 ; 16-byte Folded Reload
	s_waitcnt vmcnt(0)
	v_mul_f64 v[204:205], v[206:207], v[50:51]
	v_mul_f64 v[50:51], v[208:209], v[50:51]
	s_delay_alu instid0(VALU_DEP_2) | instskip(NEXT) | instid1(VALU_DEP_2)
	v_fma_f64 v[204:205], v[208:209], v[48:49], v[204:205]
	v_fma_f64 v[48:49], v[206:207], v[48:49], -v[50:51]
	ds_load_2addr_b64 v[206:209], v254 offset0:78 offset1:79
	s_waitcnt lgkmcnt(0)
	v_mul_f64 v[50:51], v[208:209], v[204:205]
	s_delay_alu instid0(VALU_DEP_1) | instskip(SKIP_1) | instid1(VALU_DEP_2)
	v_fma_f64 v[50:51], v[206:207], v[48:49], -v[50:51]
	v_mul_f64 v[206:207], v[206:207], v[204:205]
	v_add_f64 v[44:45], v[44:45], -v[50:51]
	s_delay_alu instid0(VALU_DEP_2) | instskip(NEXT) | instid1(VALU_DEP_1)
	v_fma_f64 v[206:207], v[208:209], v[48:49], v[206:207]
	v_add_f64 v[46:47], v[46:47], -v[206:207]
	ds_load_2addr_b64 v[206:209], v254 offset0:80 offset1:81
	s_waitcnt lgkmcnt(0)
	v_mul_f64 v[50:51], v[208:209], v[204:205]
	s_delay_alu instid0(VALU_DEP_1) | instskip(SKIP_1) | instid1(VALU_DEP_2)
	v_fma_f64 v[50:51], v[206:207], v[48:49], -v[50:51]
	v_mul_f64 v[206:207], v[206:207], v[204:205]
	v_add_f64 v[40:41], v[40:41], -v[50:51]
	s_delay_alu instid0(VALU_DEP_2) | instskip(NEXT) | instid1(VALU_DEP_1)
	v_fma_f64 v[206:207], v[208:209], v[48:49], v[206:207]
	v_add_f64 v[42:43], v[42:43], -v[206:207]
	;; [unrolled: 10-line block ×11, first 2 shown]
	ds_load_2addr_b64 v[206:209], v254 offset0:100 offset1:101
	s_waitcnt lgkmcnt(0)
	v_mul_f64 v[50:51], v[208:209], v[204:205]
	s_delay_alu instid0(VALU_DEP_1) | instskip(SKIP_1) | instid1(VALU_DEP_2)
	v_fma_f64 v[50:51], v[206:207], v[48:49], -v[50:51]
	v_mul_f64 v[206:207], v[206:207], v[204:205]
	v_add_f64 v[0:1], v[0:1], -v[50:51]
	s_delay_alu instid0(VALU_DEP_2) | instskip(SKIP_1) | instid1(VALU_DEP_2)
	v_fma_f64 v[206:207], v[208:209], v[48:49], v[206:207]
	v_dual_mov_b32 v50, v204 :: v_dual_mov_b32 v51, v205
	v_add_f64 v[2:3], v[2:3], -v[206:207]
.LBB101_352:
	s_or_b32 exec_lo, exec_lo, s3
	scratch_load_b32 v204, off, off         ; 4-byte Folded Reload
	s_mov_b32 s4, exec_lo
	s_waitcnt vmcnt(0)
	s_waitcnt_vscnt null, 0x0
	s_barrier
	buffer_gl0_inv
	v_cmpx_eq_u32_e32 39, v204
	s_cbranch_execz .LBB101_359
; %bb.353:
	ds_store_2addr_b64 v255, v[44:45], v[46:47] offset1:1
	ds_store_2addr_b64 v254, v[40:41], v[42:43] offset0:80 offset1:81
	ds_store_2addr_b64 v254, v[36:37], v[38:39] offset0:82 offset1:83
	;; [unrolled: 1-line block ×11, first 2 shown]
	ds_load_2addr_b64 v[204:207], v255 offset1:1
	s_waitcnt lgkmcnt(0)
	v_cmp_neq_f64_e32 vcc_lo, 0, v[204:205]
	v_cmp_neq_f64_e64 s3, 0, v[206:207]
	s_delay_alu instid0(VALU_DEP_1) | instskip(NEXT) | instid1(SALU_CYCLE_1)
	s_or_b32 s3, vcc_lo, s3
	s_and_b32 exec_lo, exec_lo, s3
	s_cbranch_execz .LBB101_359
; %bb.354:
	v_cmp_gt_f64_e32 vcc_lo, 0, v[204:205]
	v_xor_b32_e32 v208, 0x80000000, v205
	v_xor_b32_e32 v210, 0x80000000, v207
	s_mov_b32 s3, exec_lo
                                        ; implicit-def: $vgpr212_vgpr213
	s_delay_alu instid0(VALU_DEP_2) | instskip(SKIP_4) | instid1(VALU_DEP_1)
	v_cndmask_b32_e32 v209, v205, v208, vcc_lo
	v_cndmask_b32_e32 v208, v204, v204, vcc_lo
	v_cmp_gt_f64_e32 vcc_lo, 0, v[206:207]
	v_cndmask_b32_e32 v211, v207, v210, vcc_lo
	v_cndmask_b32_e32 v210, v206, v206, vcc_lo
	v_cmpx_ngt_f64_e32 v[208:209], v[210:211]
	s_xor_b32 s3, exec_lo, s3
                                        ; implicit-def: $vgpr208_vgpr209_vgpr210_vgpr211
	s_cbranch_execz .LBB101_356
; %bb.355:
	v_div_scale_f64 v[208:209], null, v[206:207], v[206:207], v[204:205]
	v_div_scale_f64 v[214:215], vcc_lo, v[204:205], v[206:207], v[204:205]
	s_delay_alu instid0(VALU_DEP_2) | instskip(SKIP_2) | instid1(VALU_DEP_1)
	v_rcp_f64_e32 v[210:211], v[208:209]
	s_waitcnt_depctr 0xfff
	v_fma_f64 v[212:213], -v[208:209], v[210:211], 1.0
	v_fma_f64 v[210:211], v[210:211], v[212:213], v[210:211]
	s_delay_alu instid0(VALU_DEP_1) | instskip(NEXT) | instid1(VALU_DEP_1)
	v_fma_f64 v[212:213], -v[208:209], v[210:211], 1.0
	v_fma_f64 v[210:211], v[210:211], v[212:213], v[210:211]
	s_delay_alu instid0(VALU_DEP_1) | instskip(NEXT) | instid1(VALU_DEP_1)
	v_mul_f64 v[212:213], v[214:215], v[210:211]
	v_fma_f64 v[208:209], -v[208:209], v[212:213], v[214:215]
	s_delay_alu instid0(VALU_DEP_1) | instskip(NEXT) | instid1(VALU_DEP_1)
	v_div_fmas_f64 v[208:209], v[208:209], v[210:211], v[212:213]
	v_div_fixup_f64 v[208:209], v[208:209], v[206:207], v[204:205]
	s_delay_alu instid0(VALU_DEP_1) | instskip(NEXT) | instid1(VALU_DEP_1)
	v_fma_f64 v[204:205], v[204:205], v[208:209], v[206:207]
	v_div_scale_f64 v[206:207], null, v[204:205], v[204:205], 1.0
	s_delay_alu instid0(VALU_DEP_1) | instskip(SKIP_2) | instid1(VALU_DEP_1)
	v_rcp_f64_e32 v[210:211], v[206:207]
	s_waitcnt_depctr 0xfff
	v_fma_f64 v[212:213], -v[206:207], v[210:211], 1.0
	v_fma_f64 v[210:211], v[210:211], v[212:213], v[210:211]
	s_delay_alu instid0(VALU_DEP_1) | instskip(NEXT) | instid1(VALU_DEP_1)
	v_fma_f64 v[212:213], -v[206:207], v[210:211], 1.0
	v_fma_f64 v[210:211], v[210:211], v[212:213], v[210:211]
	v_div_scale_f64 v[212:213], vcc_lo, 1.0, v[204:205], 1.0
	s_delay_alu instid0(VALU_DEP_1) | instskip(NEXT) | instid1(VALU_DEP_1)
	v_mul_f64 v[214:215], v[212:213], v[210:211]
	v_fma_f64 v[206:207], -v[206:207], v[214:215], v[212:213]
	s_delay_alu instid0(VALU_DEP_1) | instskip(NEXT) | instid1(VALU_DEP_1)
	v_div_fmas_f64 v[206:207], v[206:207], v[210:211], v[214:215]
	v_div_fixup_f64 v[210:211], v[206:207], v[204:205], 1.0
                                        ; implicit-def: $vgpr204_vgpr205
	s_delay_alu instid0(VALU_DEP_1)
	v_mul_f64 v[212:213], v[208:209], v[210:211]
	v_xor_b32_e32 v211, 0x80000000, v211
.LBB101_356:
	s_and_not1_saveexec_b32 s3, s3
	s_cbranch_execz .LBB101_358
; %bb.357:
	v_div_scale_f64 v[208:209], null, v[204:205], v[204:205], v[206:207]
	v_div_scale_f64 v[214:215], vcc_lo, v[206:207], v[204:205], v[206:207]
	s_delay_alu instid0(VALU_DEP_2) | instskip(SKIP_2) | instid1(VALU_DEP_1)
	v_rcp_f64_e32 v[210:211], v[208:209]
	s_waitcnt_depctr 0xfff
	v_fma_f64 v[212:213], -v[208:209], v[210:211], 1.0
	v_fma_f64 v[210:211], v[210:211], v[212:213], v[210:211]
	s_delay_alu instid0(VALU_DEP_1) | instskip(NEXT) | instid1(VALU_DEP_1)
	v_fma_f64 v[212:213], -v[208:209], v[210:211], 1.0
	v_fma_f64 v[210:211], v[210:211], v[212:213], v[210:211]
	s_delay_alu instid0(VALU_DEP_1) | instskip(NEXT) | instid1(VALU_DEP_1)
	v_mul_f64 v[212:213], v[214:215], v[210:211]
	v_fma_f64 v[208:209], -v[208:209], v[212:213], v[214:215]
	s_delay_alu instid0(VALU_DEP_1) | instskip(NEXT) | instid1(VALU_DEP_1)
	v_div_fmas_f64 v[208:209], v[208:209], v[210:211], v[212:213]
	v_div_fixup_f64 v[208:209], v[208:209], v[204:205], v[206:207]
	s_delay_alu instid0(VALU_DEP_1) | instskip(NEXT) | instid1(VALU_DEP_1)
	v_fma_f64 v[204:205], v[206:207], v[208:209], v[204:205]
	v_div_scale_f64 v[206:207], null, v[204:205], v[204:205], 1.0
	s_delay_alu instid0(VALU_DEP_1) | instskip(SKIP_2) | instid1(VALU_DEP_1)
	v_rcp_f64_e32 v[210:211], v[206:207]
	s_waitcnt_depctr 0xfff
	v_fma_f64 v[212:213], -v[206:207], v[210:211], 1.0
	v_fma_f64 v[210:211], v[210:211], v[212:213], v[210:211]
	s_delay_alu instid0(VALU_DEP_1) | instskip(NEXT) | instid1(VALU_DEP_1)
	v_fma_f64 v[212:213], -v[206:207], v[210:211], 1.0
	v_fma_f64 v[210:211], v[210:211], v[212:213], v[210:211]
	v_div_scale_f64 v[212:213], vcc_lo, 1.0, v[204:205], 1.0
	s_delay_alu instid0(VALU_DEP_1) | instskip(NEXT) | instid1(VALU_DEP_1)
	v_mul_f64 v[214:215], v[212:213], v[210:211]
	v_fma_f64 v[206:207], -v[206:207], v[214:215], v[212:213]
	s_delay_alu instid0(VALU_DEP_1) | instskip(NEXT) | instid1(VALU_DEP_1)
	v_div_fmas_f64 v[206:207], v[206:207], v[210:211], v[214:215]
	v_div_fixup_f64 v[212:213], v[206:207], v[204:205], 1.0
	s_delay_alu instid0(VALU_DEP_1)
	v_mul_f64 v[210:211], v[208:209], -v[212:213]
.LBB101_358:
	s_or_b32 exec_lo, exec_lo, s3
	ds_store_2addr_b64 v255, v[212:213], v[210:211] offset1:1
.LBB101_359:
	s_or_b32 exec_lo, exec_lo, s4
	s_waitcnt lgkmcnt(0)
	s_barrier
	buffer_gl0_inv
	ds_load_2addr_b64 v[204:207], v255 offset1:1
	s_mov_b32 s3, exec_lo
	s_waitcnt lgkmcnt(0)
	scratch_store_b128 off, v[204:207], off offset:1048 ; 16-byte Folded Spill
	scratch_load_b32 v204, off, off         ; 4-byte Folded Reload
	s_waitcnt vmcnt(0)
	v_cmpx_lt_u32_e32 39, v204
	s_cbranch_execz .LBB101_361
; %bb.360:
	scratch_load_b128 v[204:207], off, off offset:1048 ; 16-byte Folded Reload
	s_waitcnt vmcnt(0)
	v_mul_f64 v[208:209], v[204:205], v[46:47]
	v_mul_f64 v[46:47], v[206:207], v[46:47]
	s_delay_alu instid0(VALU_DEP_2) | instskip(SKIP_4) | instid1(VALU_DEP_1)
	v_fma_f64 v[212:213], v[206:207], v[44:45], v[208:209]
	ds_load_2addr_b64 v[208:211], v254 offset0:80 offset1:81
	v_fma_f64 v[44:45], v[204:205], v[44:45], -v[46:47]
	s_waitcnt lgkmcnt(0)
	v_mul_f64 v[46:47], v[210:211], v[212:213]
	v_fma_f64 v[46:47], v[208:209], v[44:45], -v[46:47]
	v_mul_f64 v[208:209], v[208:209], v[212:213]
	s_delay_alu instid0(VALU_DEP_2) | instskip(NEXT) | instid1(VALU_DEP_2)
	v_add_f64 v[40:41], v[40:41], -v[46:47]
	v_fma_f64 v[208:209], v[210:211], v[44:45], v[208:209]
	s_delay_alu instid0(VALU_DEP_1) | instskip(SKIP_3) | instid1(VALU_DEP_1)
	v_add_f64 v[42:43], v[42:43], -v[208:209]
	ds_load_2addr_b64 v[208:211], v254 offset0:82 offset1:83
	s_waitcnt lgkmcnt(0)
	v_mul_f64 v[46:47], v[210:211], v[212:213]
	v_fma_f64 v[46:47], v[208:209], v[44:45], -v[46:47]
	v_mul_f64 v[208:209], v[208:209], v[212:213]
	s_delay_alu instid0(VALU_DEP_2) | instskip(NEXT) | instid1(VALU_DEP_2)
	v_add_f64 v[36:37], v[36:37], -v[46:47]
	v_fma_f64 v[208:209], v[210:211], v[44:45], v[208:209]
	s_delay_alu instid0(VALU_DEP_1) | instskip(SKIP_3) | instid1(VALU_DEP_1)
	v_add_f64 v[38:39], v[38:39], -v[208:209]
	ds_load_2addr_b64 v[208:211], v254 offset0:84 offset1:85
	;; [unrolled: 10-line block ×10, first 2 shown]
	s_waitcnt lgkmcnt(0)
	v_mul_f64 v[46:47], v[210:211], v[212:213]
	v_fma_f64 v[46:47], v[208:209], v[44:45], -v[46:47]
	v_mul_f64 v[208:209], v[208:209], v[212:213]
	s_delay_alu instid0(VALU_DEP_2) | instskip(NEXT) | instid1(VALU_DEP_2)
	v_add_f64 v[0:1], v[0:1], -v[46:47]
	v_fma_f64 v[208:209], v[210:211], v[44:45], v[208:209]
	v_dual_mov_b32 v46, v212 :: v_dual_mov_b32 v47, v213
	s_delay_alu instid0(VALU_DEP_2)
	v_add_f64 v[2:3], v[2:3], -v[208:209]
.LBB101_361:
	s_or_b32 exec_lo, exec_lo, s3
	scratch_load_b32 v204, off, off         ; 4-byte Folded Reload
	s_mov_b32 s4, exec_lo
	s_waitcnt vmcnt(0)
	s_waitcnt_vscnt null, 0x0
	s_barrier
	buffer_gl0_inv
	v_cmpx_eq_u32_e32 40, v204
	s_cbranch_execz .LBB101_368
; %bb.362:
	ds_store_2addr_b64 v255, v[40:41], v[42:43] offset1:1
	ds_store_2addr_b64 v254, v[36:37], v[38:39] offset0:82 offset1:83
	ds_store_2addr_b64 v254, v[32:33], v[34:35] offset0:84 offset1:85
	;; [unrolled: 1-line block ×10, first 2 shown]
	ds_load_2addr_b64 v[208:211], v255 offset1:1
	s_waitcnt lgkmcnt(0)
	v_cmp_neq_f64_e32 vcc_lo, 0, v[208:209]
	v_cmp_neq_f64_e64 s3, 0, v[210:211]
	s_delay_alu instid0(VALU_DEP_1) | instskip(NEXT) | instid1(SALU_CYCLE_1)
	s_or_b32 s3, vcc_lo, s3
	s_and_b32 exec_lo, exec_lo, s3
	s_cbranch_execz .LBB101_368
; %bb.363:
	v_cmp_gt_f64_e32 vcc_lo, 0, v[208:209]
	v_xor_b32_e32 v204, 0x80000000, v209
	s_mov_b32 s3, exec_lo
                                        ; implicit-def: $vgpr216_vgpr217
	s_delay_alu instid0(VALU_DEP_1) | instskip(SKIP_3) | instid1(VALU_DEP_1)
	v_cndmask_b32_e32 v213, v209, v204, vcc_lo
	v_cndmask_b32_e32 v212, v208, v208, vcc_lo
	v_cmp_gt_f64_e32 vcc_lo, 0, v[210:211]
	v_xor_b32_e32 v204, 0x80000000, v211
	v_dual_cndmask_b32 v214, v210, v210 :: v_dual_cndmask_b32 v215, v211, v204
	s_delay_alu instid0(VALU_DEP_1)
	v_cmpx_ngt_f64_e32 v[212:213], v[214:215]
	s_xor_b32 s3, exec_lo, s3
                                        ; implicit-def: $vgpr212_vgpr213_vgpr214_vgpr215
	s_cbranch_execz .LBB101_365
; %bb.364:
	v_div_scale_f64 v[212:213], null, v[210:211], v[210:211], v[208:209]
	v_div_scale_f64 v[218:219], vcc_lo, v[208:209], v[210:211], v[208:209]
	s_delay_alu instid0(VALU_DEP_2) | instskip(SKIP_2) | instid1(VALU_DEP_1)
	v_rcp_f64_e32 v[214:215], v[212:213]
	s_waitcnt_depctr 0xfff
	v_fma_f64 v[216:217], -v[212:213], v[214:215], 1.0
	v_fma_f64 v[214:215], v[214:215], v[216:217], v[214:215]
	s_delay_alu instid0(VALU_DEP_1) | instskip(NEXT) | instid1(VALU_DEP_1)
	v_fma_f64 v[216:217], -v[212:213], v[214:215], 1.0
	v_fma_f64 v[214:215], v[214:215], v[216:217], v[214:215]
	s_delay_alu instid0(VALU_DEP_1) | instskip(NEXT) | instid1(VALU_DEP_1)
	v_mul_f64 v[216:217], v[218:219], v[214:215]
	v_fma_f64 v[212:213], -v[212:213], v[216:217], v[218:219]
	s_delay_alu instid0(VALU_DEP_1) | instskip(NEXT) | instid1(VALU_DEP_1)
	v_div_fmas_f64 v[212:213], v[212:213], v[214:215], v[216:217]
	v_div_fixup_f64 v[212:213], v[212:213], v[210:211], v[208:209]
	s_delay_alu instid0(VALU_DEP_1) | instskip(NEXT) | instid1(VALU_DEP_1)
	v_fma_f64 v[208:209], v[208:209], v[212:213], v[210:211]
	v_div_scale_f64 v[210:211], null, v[208:209], v[208:209], 1.0
	s_delay_alu instid0(VALU_DEP_1) | instskip(SKIP_2) | instid1(VALU_DEP_1)
	v_rcp_f64_e32 v[214:215], v[210:211]
	s_waitcnt_depctr 0xfff
	v_fma_f64 v[216:217], -v[210:211], v[214:215], 1.0
	v_fma_f64 v[214:215], v[214:215], v[216:217], v[214:215]
	s_delay_alu instid0(VALU_DEP_1) | instskip(NEXT) | instid1(VALU_DEP_1)
	v_fma_f64 v[216:217], -v[210:211], v[214:215], 1.0
	v_fma_f64 v[214:215], v[214:215], v[216:217], v[214:215]
	v_div_scale_f64 v[216:217], vcc_lo, 1.0, v[208:209], 1.0
	s_delay_alu instid0(VALU_DEP_1) | instskip(NEXT) | instid1(VALU_DEP_1)
	v_mul_f64 v[218:219], v[216:217], v[214:215]
	v_fma_f64 v[210:211], -v[210:211], v[218:219], v[216:217]
	s_delay_alu instid0(VALU_DEP_1) | instskip(NEXT) | instid1(VALU_DEP_1)
	v_div_fmas_f64 v[210:211], v[210:211], v[214:215], v[218:219]
	v_div_fixup_f64 v[214:215], v[210:211], v[208:209], 1.0
                                        ; implicit-def: $vgpr208_vgpr209
	s_delay_alu instid0(VALU_DEP_1)
	v_mul_f64 v[216:217], v[212:213], v[214:215]
	v_xor_b32_e32 v215, 0x80000000, v215
.LBB101_365:
	s_and_not1_saveexec_b32 s3, s3
	s_cbranch_execz .LBB101_367
; %bb.366:
	v_div_scale_f64 v[212:213], null, v[208:209], v[208:209], v[210:211]
	v_div_scale_f64 v[218:219], vcc_lo, v[210:211], v[208:209], v[210:211]
	s_delay_alu instid0(VALU_DEP_2) | instskip(SKIP_2) | instid1(VALU_DEP_1)
	v_rcp_f64_e32 v[214:215], v[212:213]
	s_waitcnt_depctr 0xfff
	v_fma_f64 v[216:217], -v[212:213], v[214:215], 1.0
	v_fma_f64 v[214:215], v[214:215], v[216:217], v[214:215]
	s_delay_alu instid0(VALU_DEP_1) | instskip(NEXT) | instid1(VALU_DEP_1)
	v_fma_f64 v[216:217], -v[212:213], v[214:215], 1.0
	v_fma_f64 v[214:215], v[214:215], v[216:217], v[214:215]
	s_delay_alu instid0(VALU_DEP_1) | instskip(NEXT) | instid1(VALU_DEP_1)
	v_mul_f64 v[216:217], v[218:219], v[214:215]
	v_fma_f64 v[212:213], -v[212:213], v[216:217], v[218:219]
	s_delay_alu instid0(VALU_DEP_1) | instskip(NEXT) | instid1(VALU_DEP_1)
	v_div_fmas_f64 v[212:213], v[212:213], v[214:215], v[216:217]
	v_div_fixup_f64 v[212:213], v[212:213], v[208:209], v[210:211]
	s_delay_alu instid0(VALU_DEP_1) | instskip(NEXT) | instid1(VALU_DEP_1)
	v_fma_f64 v[208:209], v[210:211], v[212:213], v[208:209]
	v_div_scale_f64 v[210:211], null, v[208:209], v[208:209], 1.0
	s_delay_alu instid0(VALU_DEP_1) | instskip(SKIP_2) | instid1(VALU_DEP_1)
	v_rcp_f64_e32 v[214:215], v[210:211]
	s_waitcnt_depctr 0xfff
	v_fma_f64 v[216:217], -v[210:211], v[214:215], 1.0
	v_fma_f64 v[214:215], v[214:215], v[216:217], v[214:215]
	s_delay_alu instid0(VALU_DEP_1) | instskip(NEXT) | instid1(VALU_DEP_1)
	v_fma_f64 v[216:217], -v[210:211], v[214:215], 1.0
	v_fma_f64 v[214:215], v[214:215], v[216:217], v[214:215]
	v_div_scale_f64 v[216:217], vcc_lo, 1.0, v[208:209], 1.0
	s_delay_alu instid0(VALU_DEP_1) | instskip(NEXT) | instid1(VALU_DEP_1)
	v_mul_f64 v[218:219], v[216:217], v[214:215]
	v_fma_f64 v[210:211], -v[210:211], v[218:219], v[216:217]
	s_delay_alu instid0(VALU_DEP_1) | instskip(NEXT) | instid1(VALU_DEP_1)
	v_div_fmas_f64 v[210:211], v[210:211], v[214:215], v[218:219]
	v_div_fixup_f64 v[216:217], v[210:211], v[208:209], 1.0
	s_delay_alu instid0(VALU_DEP_1)
	v_mul_f64 v[214:215], v[212:213], -v[216:217]
.LBB101_367:
	s_or_b32 exec_lo, exec_lo, s3
	ds_store_2addr_b64 v255, v[216:217], v[214:215] offset1:1
.LBB101_368:
	s_or_b32 exec_lo, exec_lo, s4
	s_waitcnt lgkmcnt(0)
	s_barrier
	buffer_gl0_inv
	scratch_load_b32 v204, off, off         ; 4-byte Folded Reload
	ds_load_2addr_b64 v[208:211], v255 offset1:1
	s_mov_b32 s3, exec_lo
	s_waitcnt vmcnt(0)
	v_cmpx_lt_u32_e32 40, v204
	s_cbranch_execz .LBB101_370
; %bb.369:
	s_waitcnt lgkmcnt(0)
	v_mul_f64 v[212:213], v[208:209], v[42:43]
	v_mul_f64 v[42:43], v[210:211], v[42:43]
	s_delay_alu instid0(VALU_DEP_2) | instskip(SKIP_4) | instid1(VALU_DEP_1)
	v_fma_f64 v[216:217], v[210:211], v[40:41], v[212:213]
	ds_load_2addr_b64 v[212:215], v254 offset0:82 offset1:83
	v_fma_f64 v[40:41], v[208:209], v[40:41], -v[42:43]
	s_waitcnt lgkmcnt(0)
	v_mul_f64 v[42:43], v[214:215], v[216:217]
	v_fma_f64 v[42:43], v[212:213], v[40:41], -v[42:43]
	v_mul_f64 v[212:213], v[212:213], v[216:217]
	s_delay_alu instid0(VALU_DEP_2) | instskip(NEXT) | instid1(VALU_DEP_2)
	v_add_f64 v[36:37], v[36:37], -v[42:43]
	v_fma_f64 v[212:213], v[214:215], v[40:41], v[212:213]
	s_delay_alu instid0(VALU_DEP_1) | instskip(SKIP_3) | instid1(VALU_DEP_1)
	v_add_f64 v[38:39], v[38:39], -v[212:213]
	ds_load_2addr_b64 v[212:215], v254 offset0:84 offset1:85
	s_waitcnt lgkmcnt(0)
	v_mul_f64 v[42:43], v[214:215], v[216:217]
	v_fma_f64 v[42:43], v[212:213], v[40:41], -v[42:43]
	v_mul_f64 v[212:213], v[212:213], v[216:217]
	s_delay_alu instid0(VALU_DEP_2) | instskip(NEXT) | instid1(VALU_DEP_2)
	v_add_f64 v[32:33], v[32:33], -v[42:43]
	v_fma_f64 v[212:213], v[214:215], v[40:41], v[212:213]
	s_delay_alu instid0(VALU_DEP_1) | instskip(SKIP_3) | instid1(VALU_DEP_1)
	v_add_f64 v[34:35], v[34:35], -v[212:213]
	ds_load_2addr_b64 v[212:215], v254 offset0:86 offset1:87
	;; [unrolled: 10-line block ×9, first 2 shown]
	s_waitcnt lgkmcnt(0)
	v_mul_f64 v[42:43], v[214:215], v[216:217]
	v_fma_f64 v[42:43], v[212:213], v[40:41], -v[42:43]
	v_mul_f64 v[212:213], v[212:213], v[216:217]
	s_delay_alu instid0(VALU_DEP_2) | instskip(NEXT) | instid1(VALU_DEP_2)
	v_add_f64 v[0:1], v[0:1], -v[42:43]
	v_fma_f64 v[212:213], v[214:215], v[40:41], v[212:213]
	v_dual_mov_b32 v42, v216 :: v_dual_mov_b32 v43, v217
	s_delay_alu instid0(VALU_DEP_2)
	v_add_f64 v[2:3], v[2:3], -v[212:213]
.LBB101_370:
	s_or_b32 exec_lo, exec_lo, s3
	scratch_load_b32 v204, off, off         ; 4-byte Folded Reload
	s_mov_b32 s4, exec_lo
	s_waitcnt vmcnt(0) lgkmcnt(0)
	s_barrier
	buffer_gl0_inv
	v_cmpx_eq_u32_e32 41, v204
	s_cbranch_execz .LBB101_377
; %bb.371:
	ds_store_2addr_b64 v255, v[36:37], v[38:39] offset1:1
	ds_store_2addr_b64 v254, v[32:33], v[34:35] offset0:84 offset1:85
	ds_store_2addr_b64 v254, v[28:29], v[30:31] offset0:86 offset1:87
	;; [unrolled: 1-line block ×9, first 2 shown]
	ds_load_2addr_b64 v[212:215], v255 offset1:1
	s_waitcnt lgkmcnt(0)
	v_cmp_neq_f64_e32 vcc_lo, 0, v[212:213]
	v_cmp_neq_f64_e64 s3, 0, v[214:215]
	s_delay_alu instid0(VALU_DEP_1) | instskip(NEXT) | instid1(SALU_CYCLE_1)
	s_or_b32 s3, vcc_lo, s3
	s_and_b32 exec_lo, exec_lo, s3
	s_cbranch_execz .LBB101_377
; %bb.372:
	v_cmp_gt_f64_e32 vcc_lo, 0, v[212:213]
	v_xor_b32_e32 v204, 0x80000000, v213
	s_mov_b32 s3, exec_lo
                                        ; implicit-def: $vgpr220_vgpr221
	s_delay_alu instid0(VALU_DEP_1) | instskip(SKIP_3) | instid1(VALU_DEP_1)
	v_cndmask_b32_e32 v217, v213, v204, vcc_lo
	v_cndmask_b32_e32 v216, v212, v212, vcc_lo
	v_cmp_gt_f64_e32 vcc_lo, 0, v[214:215]
	v_xor_b32_e32 v204, 0x80000000, v215
	v_dual_cndmask_b32 v218, v214, v214 :: v_dual_cndmask_b32 v219, v215, v204
	s_delay_alu instid0(VALU_DEP_1)
	v_cmpx_ngt_f64_e32 v[216:217], v[218:219]
	s_xor_b32 s3, exec_lo, s3
                                        ; implicit-def: $vgpr216_vgpr217_vgpr218_vgpr219
	s_cbranch_execz .LBB101_374
; %bb.373:
	v_div_scale_f64 v[216:217], null, v[214:215], v[214:215], v[212:213]
	v_div_scale_f64 v[222:223], vcc_lo, v[212:213], v[214:215], v[212:213]
	s_delay_alu instid0(VALU_DEP_2) | instskip(SKIP_2) | instid1(VALU_DEP_1)
	v_rcp_f64_e32 v[218:219], v[216:217]
	s_waitcnt_depctr 0xfff
	v_fma_f64 v[220:221], -v[216:217], v[218:219], 1.0
	v_fma_f64 v[218:219], v[218:219], v[220:221], v[218:219]
	s_delay_alu instid0(VALU_DEP_1) | instskip(NEXT) | instid1(VALU_DEP_1)
	v_fma_f64 v[220:221], -v[216:217], v[218:219], 1.0
	v_fma_f64 v[218:219], v[218:219], v[220:221], v[218:219]
	s_delay_alu instid0(VALU_DEP_1) | instskip(NEXT) | instid1(VALU_DEP_1)
	v_mul_f64 v[220:221], v[222:223], v[218:219]
	v_fma_f64 v[216:217], -v[216:217], v[220:221], v[222:223]
	s_delay_alu instid0(VALU_DEP_1) | instskip(NEXT) | instid1(VALU_DEP_1)
	v_div_fmas_f64 v[216:217], v[216:217], v[218:219], v[220:221]
	v_div_fixup_f64 v[216:217], v[216:217], v[214:215], v[212:213]
	s_delay_alu instid0(VALU_DEP_1) | instskip(NEXT) | instid1(VALU_DEP_1)
	v_fma_f64 v[212:213], v[212:213], v[216:217], v[214:215]
	v_div_scale_f64 v[214:215], null, v[212:213], v[212:213], 1.0
	s_delay_alu instid0(VALU_DEP_1) | instskip(SKIP_2) | instid1(VALU_DEP_1)
	v_rcp_f64_e32 v[218:219], v[214:215]
	s_waitcnt_depctr 0xfff
	v_fma_f64 v[220:221], -v[214:215], v[218:219], 1.0
	v_fma_f64 v[218:219], v[218:219], v[220:221], v[218:219]
	s_delay_alu instid0(VALU_DEP_1) | instskip(NEXT) | instid1(VALU_DEP_1)
	v_fma_f64 v[220:221], -v[214:215], v[218:219], 1.0
	v_fma_f64 v[218:219], v[218:219], v[220:221], v[218:219]
	v_div_scale_f64 v[220:221], vcc_lo, 1.0, v[212:213], 1.0
	s_delay_alu instid0(VALU_DEP_1) | instskip(NEXT) | instid1(VALU_DEP_1)
	v_mul_f64 v[222:223], v[220:221], v[218:219]
	v_fma_f64 v[214:215], -v[214:215], v[222:223], v[220:221]
	s_delay_alu instid0(VALU_DEP_1) | instskip(NEXT) | instid1(VALU_DEP_1)
	v_div_fmas_f64 v[214:215], v[214:215], v[218:219], v[222:223]
	v_div_fixup_f64 v[218:219], v[214:215], v[212:213], 1.0
                                        ; implicit-def: $vgpr212_vgpr213
	s_delay_alu instid0(VALU_DEP_1)
	v_mul_f64 v[220:221], v[216:217], v[218:219]
	v_xor_b32_e32 v219, 0x80000000, v219
.LBB101_374:
	s_and_not1_saveexec_b32 s3, s3
	s_cbranch_execz .LBB101_376
; %bb.375:
	v_div_scale_f64 v[216:217], null, v[212:213], v[212:213], v[214:215]
	v_div_scale_f64 v[222:223], vcc_lo, v[214:215], v[212:213], v[214:215]
	s_delay_alu instid0(VALU_DEP_2) | instskip(SKIP_2) | instid1(VALU_DEP_1)
	v_rcp_f64_e32 v[218:219], v[216:217]
	s_waitcnt_depctr 0xfff
	v_fma_f64 v[220:221], -v[216:217], v[218:219], 1.0
	v_fma_f64 v[218:219], v[218:219], v[220:221], v[218:219]
	s_delay_alu instid0(VALU_DEP_1) | instskip(NEXT) | instid1(VALU_DEP_1)
	v_fma_f64 v[220:221], -v[216:217], v[218:219], 1.0
	v_fma_f64 v[218:219], v[218:219], v[220:221], v[218:219]
	s_delay_alu instid0(VALU_DEP_1) | instskip(NEXT) | instid1(VALU_DEP_1)
	v_mul_f64 v[220:221], v[222:223], v[218:219]
	v_fma_f64 v[216:217], -v[216:217], v[220:221], v[222:223]
	s_delay_alu instid0(VALU_DEP_1) | instskip(NEXT) | instid1(VALU_DEP_1)
	v_div_fmas_f64 v[216:217], v[216:217], v[218:219], v[220:221]
	v_div_fixup_f64 v[216:217], v[216:217], v[212:213], v[214:215]
	s_delay_alu instid0(VALU_DEP_1) | instskip(NEXT) | instid1(VALU_DEP_1)
	v_fma_f64 v[212:213], v[214:215], v[216:217], v[212:213]
	v_div_scale_f64 v[214:215], null, v[212:213], v[212:213], 1.0
	s_delay_alu instid0(VALU_DEP_1) | instskip(SKIP_2) | instid1(VALU_DEP_1)
	v_rcp_f64_e32 v[218:219], v[214:215]
	s_waitcnt_depctr 0xfff
	v_fma_f64 v[220:221], -v[214:215], v[218:219], 1.0
	v_fma_f64 v[218:219], v[218:219], v[220:221], v[218:219]
	s_delay_alu instid0(VALU_DEP_1) | instskip(NEXT) | instid1(VALU_DEP_1)
	v_fma_f64 v[220:221], -v[214:215], v[218:219], 1.0
	v_fma_f64 v[218:219], v[218:219], v[220:221], v[218:219]
	v_div_scale_f64 v[220:221], vcc_lo, 1.0, v[212:213], 1.0
	s_delay_alu instid0(VALU_DEP_1) | instskip(NEXT) | instid1(VALU_DEP_1)
	v_mul_f64 v[222:223], v[220:221], v[218:219]
	v_fma_f64 v[214:215], -v[214:215], v[222:223], v[220:221]
	s_delay_alu instid0(VALU_DEP_1) | instskip(NEXT) | instid1(VALU_DEP_1)
	v_div_fmas_f64 v[214:215], v[214:215], v[218:219], v[222:223]
	v_div_fixup_f64 v[220:221], v[214:215], v[212:213], 1.0
	s_delay_alu instid0(VALU_DEP_1)
	v_mul_f64 v[218:219], v[216:217], -v[220:221]
.LBB101_376:
	s_or_b32 exec_lo, exec_lo, s3
	ds_store_2addr_b64 v255, v[220:221], v[218:219] offset1:1
.LBB101_377:
	s_or_b32 exec_lo, exec_lo, s4
	s_waitcnt lgkmcnt(0)
	s_barrier
	buffer_gl0_inv
	scratch_load_b32 v204, off, off         ; 4-byte Folded Reload
	ds_load_2addr_b64 v[212:215], v255 offset1:1
	s_mov_b32 s3, exec_lo
	s_waitcnt vmcnt(0)
	v_cmpx_lt_u32_e32 41, v204
	s_cbranch_execz .LBB101_379
; %bb.378:
	s_waitcnt lgkmcnt(0)
	v_mul_f64 v[216:217], v[212:213], v[38:39]
	v_mul_f64 v[38:39], v[214:215], v[38:39]
	s_delay_alu instid0(VALU_DEP_2) | instskip(SKIP_4) | instid1(VALU_DEP_1)
	v_fma_f64 v[220:221], v[214:215], v[36:37], v[216:217]
	ds_load_2addr_b64 v[216:219], v254 offset0:84 offset1:85
	v_fma_f64 v[36:37], v[212:213], v[36:37], -v[38:39]
	s_waitcnt lgkmcnt(0)
	v_mul_f64 v[38:39], v[218:219], v[220:221]
	v_fma_f64 v[38:39], v[216:217], v[36:37], -v[38:39]
	v_mul_f64 v[216:217], v[216:217], v[220:221]
	s_delay_alu instid0(VALU_DEP_2) | instskip(NEXT) | instid1(VALU_DEP_2)
	v_add_f64 v[32:33], v[32:33], -v[38:39]
	v_fma_f64 v[216:217], v[218:219], v[36:37], v[216:217]
	s_delay_alu instid0(VALU_DEP_1) | instskip(SKIP_3) | instid1(VALU_DEP_1)
	v_add_f64 v[34:35], v[34:35], -v[216:217]
	ds_load_2addr_b64 v[216:219], v254 offset0:86 offset1:87
	s_waitcnt lgkmcnt(0)
	v_mul_f64 v[38:39], v[218:219], v[220:221]
	v_fma_f64 v[38:39], v[216:217], v[36:37], -v[38:39]
	v_mul_f64 v[216:217], v[216:217], v[220:221]
	s_delay_alu instid0(VALU_DEP_2) | instskip(NEXT) | instid1(VALU_DEP_2)
	v_add_f64 v[28:29], v[28:29], -v[38:39]
	v_fma_f64 v[216:217], v[218:219], v[36:37], v[216:217]
	s_delay_alu instid0(VALU_DEP_1) | instskip(SKIP_3) | instid1(VALU_DEP_1)
	v_add_f64 v[30:31], v[30:31], -v[216:217]
	ds_load_2addr_b64 v[216:219], v254 offset0:88 offset1:89
	;; [unrolled: 10-line block ×8, first 2 shown]
	s_waitcnt lgkmcnt(0)
	v_mul_f64 v[38:39], v[218:219], v[220:221]
	v_fma_f64 v[38:39], v[216:217], v[36:37], -v[38:39]
	v_mul_f64 v[216:217], v[216:217], v[220:221]
	s_delay_alu instid0(VALU_DEP_2) | instskip(NEXT) | instid1(VALU_DEP_2)
	v_add_f64 v[0:1], v[0:1], -v[38:39]
	v_fma_f64 v[216:217], v[218:219], v[36:37], v[216:217]
	v_dual_mov_b32 v38, v220 :: v_dual_mov_b32 v39, v221
	s_delay_alu instid0(VALU_DEP_2)
	v_add_f64 v[2:3], v[2:3], -v[216:217]
.LBB101_379:
	s_or_b32 exec_lo, exec_lo, s3
	scratch_load_b32 v204, off, off         ; 4-byte Folded Reload
	s_mov_b32 s4, exec_lo
	s_waitcnt vmcnt(0) lgkmcnt(0)
	s_barrier
	buffer_gl0_inv
	v_cmpx_eq_u32_e32 42, v204
	s_cbranch_execz .LBB101_386
; %bb.380:
	ds_store_2addr_b64 v255, v[32:33], v[34:35] offset1:1
	ds_store_2addr_b64 v254, v[28:29], v[30:31] offset0:86 offset1:87
	ds_store_2addr_b64 v254, v[24:25], v[26:27] offset0:88 offset1:89
	;; [unrolled: 1-line block ×8, first 2 shown]
	ds_load_2addr_b64 v[216:219], v255 offset1:1
	s_waitcnt lgkmcnt(0)
	v_cmp_neq_f64_e32 vcc_lo, 0, v[216:217]
	v_cmp_neq_f64_e64 s3, 0, v[218:219]
	s_delay_alu instid0(VALU_DEP_1) | instskip(NEXT) | instid1(SALU_CYCLE_1)
	s_or_b32 s3, vcc_lo, s3
	s_and_b32 exec_lo, exec_lo, s3
	s_cbranch_execz .LBB101_386
; %bb.381:
	v_cmp_gt_f64_e32 vcc_lo, 0, v[216:217]
	v_xor_b32_e32 v204, 0x80000000, v217
	s_mov_b32 s3, exec_lo
                                        ; implicit-def: $vgpr224_vgpr225
	s_delay_alu instid0(VALU_DEP_1) | instskip(SKIP_3) | instid1(VALU_DEP_1)
	v_cndmask_b32_e32 v221, v217, v204, vcc_lo
	v_cndmask_b32_e32 v220, v216, v216, vcc_lo
	v_cmp_gt_f64_e32 vcc_lo, 0, v[218:219]
	v_xor_b32_e32 v204, 0x80000000, v219
	v_dual_cndmask_b32 v222, v218, v218 :: v_dual_cndmask_b32 v223, v219, v204
	s_delay_alu instid0(VALU_DEP_1)
	v_cmpx_ngt_f64_e32 v[220:221], v[222:223]
	s_xor_b32 s3, exec_lo, s3
                                        ; implicit-def: $vgpr220_vgpr221_vgpr222_vgpr223
	s_cbranch_execz .LBB101_383
; %bb.382:
	v_div_scale_f64 v[220:221], null, v[218:219], v[218:219], v[216:217]
	v_div_scale_f64 v[226:227], vcc_lo, v[216:217], v[218:219], v[216:217]
	s_delay_alu instid0(VALU_DEP_2) | instskip(SKIP_2) | instid1(VALU_DEP_1)
	v_rcp_f64_e32 v[222:223], v[220:221]
	s_waitcnt_depctr 0xfff
	v_fma_f64 v[224:225], -v[220:221], v[222:223], 1.0
	v_fma_f64 v[222:223], v[222:223], v[224:225], v[222:223]
	s_delay_alu instid0(VALU_DEP_1) | instskip(NEXT) | instid1(VALU_DEP_1)
	v_fma_f64 v[224:225], -v[220:221], v[222:223], 1.0
	v_fma_f64 v[222:223], v[222:223], v[224:225], v[222:223]
	s_delay_alu instid0(VALU_DEP_1) | instskip(NEXT) | instid1(VALU_DEP_1)
	v_mul_f64 v[224:225], v[226:227], v[222:223]
	v_fma_f64 v[220:221], -v[220:221], v[224:225], v[226:227]
	s_delay_alu instid0(VALU_DEP_1) | instskip(NEXT) | instid1(VALU_DEP_1)
	v_div_fmas_f64 v[220:221], v[220:221], v[222:223], v[224:225]
	v_div_fixup_f64 v[220:221], v[220:221], v[218:219], v[216:217]
	s_delay_alu instid0(VALU_DEP_1) | instskip(NEXT) | instid1(VALU_DEP_1)
	v_fma_f64 v[216:217], v[216:217], v[220:221], v[218:219]
	v_div_scale_f64 v[218:219], null, v[216:217], v[216:217], 1.0
	s_delay_alu instid0(VALU_DEP_1) | instskip(SKIP_2) | instid1(VALU_DEP_1)
	v_rcp_f64_e32 v[222:223], v[218:219]
	s_waitcnt_depctr 0xfff
	v_fma_f64 v[224:225], -v[218:219], v[222:223], 1.0
	v_fma_f64 v[222:223], v[222:223], v[224:225], v[222:223]
	s_delay_alu instid0(VALU_DEP_1) | instskip(NEXT) | instid1(VALU_DEP_1)
	v_fma_f64 v[224:225], -v[218:219], v[222:223], 1.0
	v_fma_f64 v[222:223], v[222:223], v[224:225], v[222:223]
	v_div_scale_f64 v[224:225], vcc_lo, 1.0, v[216:217], 1.0
	s_delay_alu instid0(VALU_DEP_1) | instskip(NEXT) | instid1(VALU_DEP_1)
	v_mul_f64 v[226:227], v[224:225], v[222:223]
	v_fma_f64 v[218:219], -v[218:219], v[226:227], v[224:225]
	s_delay_alu instid0(VALU_DEP_1) | instskip(NEXT) | instid1(VALU_DEP_1)
	v_div_fmas_f64 v[218:219], v[218:219], v[222:223], v[226:227]
	v_div_fixup_f64 v[222:223], v[218:219], v[216:217], 1.0
                                        ; implicit-def: $vgpr216_vgpr217
	s_delay_alu instid0(VALU_DEP_1)
	v_mul_f64 v[224:225], v[220:221], v[222:223]
	v_xor_b32_e32 v223, 0x80000000, v223
.LBB101_383:
	s_and_not1_saveexec_b32 s3, s3
	s_cbranch_execz .LBB101_385
; %bb.384:
	v_div_scale_f64 v[220:221], null, v[216:217], v[216:217], v[218:219]
	v_div_scale_f64 v[226:227], vcc_lo, v[218:219], v[216:217], v[218:219]
	s_delay_alu instid0(VALU_DEP_2) | instskip(SKIP_2) | instid1(VALU_DEP_1)
	v_rcp_f64_e32 v[222:223], v[220:221]
	s_waitcnt_depctr 0xfff
	v_fma_f64 v[224:225], -v[220:221], v[222:223], 1.0
	v_fma_f64 v[222:223], v[222:223], v[224:225], v[222:223]
	s_delay_alu instid0(VALU_DEP_1) | instskip(NEXT) | instid1(VALU_DEP_1)
	v_fma_f64 v[224:225], -v[220:221], v[222:223], 1.0
	v_fma_f64 v[222:223], v[222:223], v[224:225], v[222:223]
	s_delay_alu instid0(VALU_DEP_1) | instskip(NEXT) | instid1(VALU_DEP_1)
	v_mul_f64 v[224:225], v[226:227], v[222:223]
	v_fma_f64 v[220:221], -v[220:221], v[224:225], v[226:227]
	s_delay_alu instid0(VALU_DEP_1) | instskip(NEXT) | instid1(VALU_DEP_1)
	v_div_fmas_f64 v[220:221], v[220:221], v[222:223], v[224:225]
	v_div_fixup_f64 v[220:221], v[220:221], v[216:217], v[218:219]
	s_delay_alu instid0(VALU_DEP_1) | instskip(NEXT) | instid1(VALU_DEP_1)
	v_fma_f64 v[216:217], v[218:219], v[220:221], v[216:217]
	v_div_scale_f64 v[218:219], null, v[216:217], v[216:217], 1.0
	s_delay_alu instid0(VALU_DEP_1) | instskip(SKIP_2) | instid1(VALU_DEP_1)
	v_rcp_f64_e32 v[222:223], v[218:219]
	s_waitcnt_depctr 0xfff
	v_fma_f64 v[224:225], -v[218:219], v[222:223], 1.0
	v_fma_f64 v[222:223], v[222:223], v[224:225], v[222:223]
	s_delay_alu instid0(VALU_DEP_1) | instskip(NEXT) | instid1(VALU_DEP_1)
	v_fma_f64 v[224:225], -v[218:219], v[222:223], 1.0
	v_fma_f64 v[222:223], v[222:223], v[224:225], v[222:223]
	v_div_scale_f64 v[224:225], vcc_lo, 1.0, v[216:217], 1.0
	s_delay_alu instid0(VALU_DEP_1) | instskip(NEXT) | instid1(VALU_DEP_1)
	v_mul_f64 v[226:227], v[224:225], v[222:223]
	v_fma_f64 v[218:219], -v[218:219], v[226:227], v[224:225]
	s_delay_alu instid0(VALU_DEP_1) | instskip(NEXT) | instid1(VALU_DEP_1)
	v_div_fmas_f64 v[218:219], v[218:219], v[222:223], v[226:227]
	v_div_fixup_f64 v[224:225], v[218:219], v[216:217], 1.0
	s_delay_alu instid0(VALU_DEP_1)
	v_mul_f64 v[222:223], v[220:221], -v[224:225]
.LBB101_385:
	s_or_b32 exec_lo, exec_lo, s3
	ds_store_2addr_b64 v255, v[224:225], v[222:223] offset1:1
.LBB101_386:
	s_or_b32 exec_lo, exec_lo, s4
	s_waitcnt lgkmcnt(0)
	s_barrier
	buffer_gl0_inv
	scratch_load_b32 v204, off, off         ; 4-byte Folded Reload
	ds_load_2addr_b64 v[216:219], v255 offset1:1
	s_mov_b32 s3, exec_lo
	s_waitcnt vmcnt(0)
	v_cmpx_lt_u32_e32 42, v204
	s_cbranch_execz .LBB101_388
; %bb.387:
	s_waitcnt lgkmcnt(0)
	v_mul_f64 v[220:221], v[216:217], v[34:35]
	v_mul_f64 v[34:35], v[218:219], v[34:35]
	s_delay_alu instid0(VALU_DEP_2) | instskip(SKIP_4) | instid1(VALU_DEP_1)
	v_fma_f64 v[224:225], v[218:219], v[32:33], v[220:221]
	ds_load_2addr_b64 v[220:223], v254 offset0:86 offset1:87
	v_fma_f64 v[32:33], v[216:217], v[32:33], -v[34:35]
	s_waitcnt lgkmcnt(0)
	v_mul_f64 v[34:35], v[222:223], v[224:225]
	v_fma_f64 v[34:35], v[220:221], v[32:33], -v[34:35]
	v_mul_f64 v[220:221], v[220:221], v[224:225]
	s_delay_alu instid0(VALU_DEP_2) | instskip(NEXT) | instid1(VALU_DEP_2)
	v_add_f64 v[28:29], v[28:29], -v[34:35]
	v_fma_f64 v[220:221], v[222:223], v[32:33], v[220:221]
	s_delay_alu instid0(VALU_DEP_1) | instskip(SKIP_3) | instid1(VALU_DEP_1)
	v_add_f64 v[30:31], v[30:31], -v[220:221]
	ds_load_2addr_b64 v[220:223], v254 offset0:88 offset1:89
	s_waitcnt lgkmcnt(0)
	v_mul_f64 v[34:35], v[222:223], v[224:225]
	v_fma_f64 v[34:35], v[220:221], v[32:33], -v[34:35]
	v_mul_f64 v[220:221], v[220:221], v[224:225]
	s_delay_alu instid0(VALU_DEP_2) | instskip(NEXT) | instid1(VALU_DEP_2)
	v_add_f64 v[24:25], v[24:25], -v[34:35]
	v_fma_f64 v[220:221], v[222:223], v[32:33], v[220:221]
	s_delay_alu instid0(VALU_DEP_1) | instskip(SKIP_3) | instid1(VALU_DEP_1)
	v_add_f64 v[26:27], v[26:27], -v[220:221]
	ds_load_2addr_b64 v[220:223], v254 offset0:90 offset1:91
	;; [unrolled: 10-line block ×7, first 2 shown]
	s_waitcnt lgkmcnt(0)
	v_mul_f64 v[34:35], v[222:223], v[224:225]
	v_fma_f64 v[34:35], v[220:221], v[32:33], -v[34:35]
	v_mul_f64 v[220:221], v[220:221], v[224:225]
	s_delay_alu instid0(VALU_DEP_2) | instskip(NEXT) | instid1(VALU_DEP_2)
	v_add_f64 v[0:1], v[0:1], -v[34:35]
	v_fma_f64 v[220:221], v[222:223], v[32:33], v[220:221]
	v_dual_mov_b32 v34, v224 :: v_dual_mov_b32 v35, v225
	s_delay_alu instid0(VALU_DEP_2)
	v_add_f64 v[2:3], v[2:3], -v[220:221]
.LBB101_388:
	s_or_b32 exec_lo, exec_lo, s3
	scratch_load_b32 v204, off, off         ; 4-byte Folded Reload
	s_mov_b32 s4, exec_lo
	s_waitcnt vmcnt(0) lgkmcnt(0)
	s_barrier
	buffer_gl0_inv
	v_cmpx_eq_u32_e32 43, v204
	s_cbranch_execz .LBB101_395
; %bb.389:
	ds_store_2addr_b64 v255, v[28:29], v[30:31] offset1:1
	ds_store_2addr_b64 v254, v[24:25], v[26:27] offset0:88 offset1:89
	ds_store_2addr_b64 v254, v[20:21], v[22:23] offset0:90 offset1:91
	;; [unrolled: 1-line block ×7, first 2 shown]
	ds_load_2addr_b64 v[220:223], v255 offset1:1
	s_waitcnt lgkmcnt(0)
	v_cmp_neq_f64_e32 vcc_lo, 0, v[220:221]
	v_cmp_neq_f64_e64 s3, 0, v[222:223]
	s_delay_alu instid0(VALU_DEP_1) | instskip(NEXT) | instid1(SALU_CYCLE_1)
	s_or_b32 s3, vcc_lo, s3
	s_and_b32 exec_lo, exec_lo, s3
	s_cbranch_execz .LBB101_395
; %bb.390:
	v_cmp_gt_f64_e32 vcc_lo, 0, v[220:221]
	v_xor_b32_e32 v204, 0x80000000, v221
	s_mov_b32 s3, exec_lo
                                        ; implicit-def: $vgpr228_vgpr229
	s_delay_alu instid0(VALU_DEP_1) | instskip(SKIP_3) | instid1(VALU_DEP_1)
	v_cndmask_b32_e32 v225, v221, v204, vcc_lo
	v_cndmask_b32_e32 v224, v220, v220, vcc_lo
	v_cmp_gt_f64_e32 vcc_lo, 0, v[222:223]
	v_xor_b32_e32 v204, 0x80000000, v223
	v_dual_cndmask_b32 v226, v222, v222 :: v_dual_cndmask_b32 v227, v223, v204
	s_delay_alu instid0(VALU_DEP_1)
	v_cmpx_ngt_f64_e32 v[224:225], v[226:227]
	s_xor_b32 s3, exec_lo, s3
                                        ; implicit-def: $vgpr224_vgpr225_vgpr226_vgpr227
	s_cbranch_execz .LBB101_392
; %bb.391:
	v_div_scale_f64 v[224:225], null, v[222:223], v[222:223], v[220:221]
	v_div_scale_f64 v[230:231], vcc_lo, v[220:221], v[222:223], v[220:221]
	s_delay_alu instid0(VALU_DEP_2) | instskip(SKIP_2) | instid1(VALU_DEP_1)
	v_rcp_f64_e32 v[226:227], v[224:225]
	s_waitcnt_depctr 0xfff
	v_fma_f64 v[228:229], -v[224:225], v[226:227], 1.0
	v_fma_f64 v[226:227], v[226:227], v[228:229], v[226:227]
	s_delay_alu instid0(VALU_DEP_1) | instskip(NEXT) | instid1(VALU_DEP_1)
	v_fma_f64 v[228:229], -v[224:225], v[226:227], 1.0
	v_fma_f64 v[226:227], v[226:227], v[228:229], v[226:227]
	s_delay_alu instid0(VALU_DEP_1) | instskip(NEXT) | instid1(VALU_DEP_1)
	v_mul_f64 v[228:229], v[230:231], v[226:227]
	v_fma_f64 v[224:225], -v[224:225], v[228:229], v[230:231]
	s_delay_alu instid0(VALU_DEP_1) | instskip(NEXT) | instid1(VALU_DEP_1)
	v_div_fmas_f64 v[224:225], v[224:225], v[226:227], v[228:229]
	v_div_fixup_f64 v[224:225], v[224:225], v[222:223], v[220:221]
	s_delay_alu instid0(VALU_DEP_1) | instskip(NEXT) | instid1(VALU_DEP_1)
	v_fma_f64 v[220:221], v[220:221], v[224:225], v[222:223]
	v_div_scale_f64 v[222:223], null, v[220:221], v[220:221], 1.0
	s_delay_alu instid0(VALU_DEP_1) | instskip(SKIP_2) | instid1(VALU_DEP_1)
	v_rcp_f64_e32 v[226:227], v[222:223]
	s_waitcnt_depctr 0xfff
	v_fma_f64 v[228:229], -v[222:223], v[226:227], 1.0
	v_fma_f64 v[226:227], v[226:227], v[228:229], v[226:227]
	s_delay_alu instid0(VALU_DEP_1) | instskip(NEXT) | instid1(VALU_DEP_1)
	v_fma_f64 v[228:229], -v[222:223], v[226:227], 1.0
	v_fma_f64 v[226:227], v[226:227], v[228:229], v[226:227]
	v_div_scale_f64 v[228:229], vcc_lo, 1.0, v[220:221], 1.0
	s_delay_alu instid0(VALU_DEP_1) | instskip(NEXT) | instid1(VALU_DEP_1)
	v_mul_f64 v[230:231], v[228:229], v[226:227]
	v_fma_f64 v[222:223], -v[222:223], v[230:231], v[228:229]
	s_delay_alu instid0(VALU_DEP_1) | instskip(NEXT) | instid1(VALU_DEP_1)
	v_div_fmas_f64 v[222:223], v[222:223], v[226:227], v[230:231]
	v_div_fixup_f64 v[226:227], v[222:223], v[220:221], 1.0
                                        ; implicit-def: $vgpr220_vgpr221
	s_delay_alu instid0(VALU_DEP_1)
	v_mul_f64 v[228:229], v[224:225], v[226:227]
	v_xor_b32_e32 v227, 0x80000000, v227
.LBB101_392:
	s_and_not1_saveexec_b32 s3, s3
	s_cbranch_execz .LBB101_394
; %bb.393:
	v_div_scale_f64 v[224:225], null, v[220:221], v[220:221], v[222:223]
	v_div_scale_f64 v[230:231], vcc_lo, v[222:223], v[220:221], v[222:223]
	s_delay_alu instid0(VALU_DEP_2) | instskip(SKIP_2) | instid1(VALU_DEP_1)
	v_rcp_f64_e32 v[226:227], v[224:225]
	s_waitcnt_depctr 0xfff
	v_fma_f64 v[228:229], -v[224:225], v[226:227], 1.0
	v_fma_f64 v[226:227], v[226:227], v[228:229], v[226:227]
	s_delay_alu instid0(VALU_DEP_1) | instskip(NEXT) | instid1(VALU_DEP_1)
	v_fma_f64 v[228:229], -v[224:225], v[226:227], 1.0
	v_fma_f64 v[226:227], v[226:227], v[228:229], v[226:227]
	s_delay_alu instid0(VALU_DEP_1) | instskip(NEXT) | instid1(VALU_DEP_1)
	v_mul_f64 v[228:229], v[230:231], v[226:227]
	v_fma_f64 v[224:225], -v[224:225], v[228:229], v[230:231]
	s_delay_alu instid0(VALU_DEP_1) | instskip(NEXT) | instid1(VALU_DEP_1)
	v_div_fmas_f64 v[224:225], v[224:225], v[226:227], v[228:229]
	v_div_fixup_f64 v[224:225], v[224:225], v[220:221], v[222:223]
	s_delay_alu instid0(VALU_DEP_1) | instskip(NEXT) | instid1(VALU_DEP_1)
	v_fma_f64 v[220:221], v[222:223], v[224:225], v[220:221]
	v_div_scale_f64 v[222:223], null, v[220:221], v[220:221], 1.0
	s_delay_alu instid0(VALU_DEP_1) | instskip(SKIP_2) | instid1(VALU_DEP_1)
	v_rcp_f64_e32 v[226:227], v[222:223]
	s_waitcnt_depctr 0xfff
	v_fma_f64 v[228:229], -v[222:223], v[226:227], 1.0
	v_fma_f64 v[226:227], v[226:227], v[228:229], v[226:227]
	s_delay_alu instid0(VALU_DEP_1) | instskip(NEXT) | instid1(VALU_DEP_1)
	v_fma_f64 v[228:229], -v[222:223], v[226:227], 1.0
	v_fma_f64 v[226:227], v[226:227], v[228:229], v[226:227]
	v_div_scale_f64 v[228:229], vcc_lo, 1.0, v[220:221], 1.0
	s_delay_alu instid0(VALU_DEP_1) | instskip(NEXT) | instid1(VALU_DEP_1)
	v_mul_f64 v[230:231], v[228:229], v[226:227]
	v_fma_f64 v[222:223], -v[222:223], v[230:231], v[228:229]
	s_delay_alu instid0(VALU_DEP_1) | instskip(NEXT) | instid1(VALU_DEP_1)
	v_div_fmas_f64 v[222:223], v[222:223], v[226:227], v[230:231]
	v_div_fixup_f64 v[228:229], v[222:223], v[220:221], 1.0
	s_delay_alu instid0(VALU_DEP_1)
	v_mul_f64 v[226:227], v[224:225], -v[228:229]
.LBB101_394:
	s_or_b32 exec_lo, exec_lo, s3
	ds_store_2addr_b64 v255, v[228:229], v[226:227] offset1:1
.LBB101_395:
	s_or_b32 exec_lo, exec_lo, s4
	s_waitcnt lgkmcnt(0)
	s_barrier
	buffer_gl0_inv
	scratch_load_b32 v204, off, off         ; 4-byte Folded Reload
	ds_load_2addr_b64 v[220:223], v255 offset1:1
	s_mov_b32 s3, exec_lo
	s_waitcnt vmcnt(0)
	v_cmpx_lt_u32_e32 43, v204
	s_cbranch_execz .LBB101_397
; %bb.396:
	s_waitcnt lgkmcnt(0)
	v_mul_f64 v[224:225], v[220:221], v[30:31]
	v_mul_f64 v[30:31], v[222:223], v[30:31]
	s_delay_alu instid0(VALU_DEP_2) | instskip(SKIP_4) | instid1(VALU_DEP_1)
	v_fma_f64 v[228:229], v[222:223], v[28:29], v[224:225]
	ds_load_2addr_b64 v[224:227], v254 offset0:88 offset1:89
	v_fma_f64 v[28:29], v[220:221], v[28:29], -v[30:31]
	s_waitcnt lgkmcnt(0)
	v_mul_f64 v[30:31], v[226:227], v[228:229]
	v_fma_f64 v[30:31], v[224:225], v[28:29], -v[30:31]
	v_mul_f64 v[224:225], v[224:225], v[228:229]
	s_delay_alu instid0(VALU_DEP_2) | instskip(NEXT) | instid1(VALU_DEP_2)
	v_add_f64 v[24:25], v[24:25], -v[30:31]
	v_fma_f64 v[224:225], v[226:227], v[28:29], v[224:225]
	s_delay_alu instid0(VALU_DEP_1) | instskip(SKIP_3) | instid1(VALU_DEP_1)
	v_add_f64 v[26:27], v[26:27], -v[224:225]
	ds_load_2addr_b64 v[224:227], v254 offset0:90 offset1:91
	s_waitcnt lgkmcnt(0)
	v_mul_f64 v[30:31], v[226:227], v[228:229]
	v_fma_f64 v[30:31], v[224:225], v[28:29], -v[30:31]
	v_mul_f64 v[224:225], v[224:225], v[228:229]
	s_delay_alu instid0(VALU_DEP_2) | instskip(NEXT) | instid1(VALU_DEP_2)
	v_add_f64 v[20:21], v[20:21], -v[30:31]
	v_fma_f64 v[224:225], v[226:227], v[28:29], v[224:225]
	s_delay_alu instid0(VALU_DEP_1) | instskip(SKIP_3) | instid1(VALU_DEP_1)
	v_add_f64 v[22:23], v[22:23], -v[224:225]
	ds_load_2addr_b64 v[224:227], v254 offset0:92 offset1:93
	;; [unrolled: 10-line block ×6, first 2 shown]
	s_waitcnt lgkmcnt(0)
	v_mul_f64 v[30:31], v[226:227], v[228:229]
	v_fma_f64 v[30:31], v[224:225], v[28:29], -v[30:31]
	v_mul_f64 v[224:225], v[224:225], v[228:229]
	s_delay_alu instid0(VALU_DEP_2) | instskip(NEXT) | instid1(VALU_DEP_2)
	v_add_f64 v[0:1], v[0:1], -v[30:31]
	v_fma_f64 v[224:225], v[226:227], v[28:29], v[224:225]
	v_dual_mov_b32 v30, v228 :: v_dual_mov_b32 v31, v229
	s_delay_alu instid0(VALU_DEP_2)
	v_add_f64 v[2:3], v[2:3], -v[224:225]
.LBB101_397:
	s_or_b32 exec_lo, exec_lo, s3
	scratch_load_b32 v204, off, off         ; 4-byte Folded Reload
	s_mov_b32 s4, exec_lo
	s_waitcnt vmcnt(0) lgkmcnt(0)
	s_barrier
	buffer_gl0_inv
	v_cmpx_eq_u32_e32 44, v204
	s_cbranch_execz .LBB101_404
; %bb.398:
	ds_store_2addr_b64 v255, v[24:25], v[26:27] offset1:1
	ds_store_2addr_b64 v254, v[20:21], v[22:23] offset0:90 offset1:91
	ds_store_2addr_b64 v254, v[16:17], v[18:19] offset0:92 offset1:93
	;; [unrolled: 1-line block ×6, first 2 shown]
	ds_load_2addr_b64 v[224:227], v255 offset1:1
	s_waitcnt lgkmcnt(0)
	v_cmp_neq_f64_e32 vcc_lo, 0, v[224:225]
	v_cmp_neq_f64_e64 s3, 0, v[226:227]
	s_delay_alu instid0(VALU_DEP_1) | instskip(NEXT) | instid1(SALU_CYCLE_1)
	s_or_b32 s3, vcc_lo, s3
	s_and_b32 exec_lo, exec_lo, s3
	s_cbranch_execz .LBB101_404
; %bb.399:
	v_cmp_gt_f64_e32 vcc_lo, 0, v[224:225]
	v_xor_b32_e32 v204, 0x80000000, v225
	s_mov_b32 s3, exec_lo
                                        ; implicit-def: $vgpr232_vgpr233
	s_delay_alu instid0(VALU_DEP_1) | instskip(SKIP_3) | instid1(VALU_DEP_1)
	v_cndmask_b32_e32 v229, v225, v204, vcc_lo
	v_cndmask_b32_e32 v228, v224, v224, vcc_lo
	v_cmp_gt_f64_e32 vcc_lo, 0, v[226:227]
	v_xor_b32_e32 v204, 0x80000000, v227
	v_dual_cndmask_b32 v230, v226, v226 :: v_dual_cndmask_b32 v231, v227, v204
	s_delay_alu instid0(VALU_DEP_1)
	v_cmpx_ngt_f64_e32 v[228:229], v[230:231]
	s_xor_b32 s3, exec_lo, s3
                                        ; implicit-def: $vgpr228_vgpr229_vgpr230_vgpr231
	s_cbranch_execz .LBB101_401
; %bb.400:
	v_div_scale_f64 v[228:229], null, v[226:227], v[226:227], v[224:225]
	v_div_scale_f64 v[234:235], vcc_lo, v[224:225], v[226:227], v[224:225]
	s_delay_alu instid0(VALU_DEP_2) | instskip(SKIP_2) | instid1(VALU_DEP_1)
	v_rcp_f64_e32 v[230:231], v[228:229]
	s_waitcnt_depctr 0xfff
	v_fma_f64 v[232:233], -v[228:229], v[230:231], 1.0
	v_fma_f64 v[230:231], v[230:231], v[232:233], v[230:231]
	s_delay_alu instid0(VALU_DEP_1) | instskip(NEXT) | instid1(VALU_DEP_1)
	v_fma_f64 v[232:233], -v[228:229], v[230:231], 1.0
	v_fma_f64 v[230:231], v[230:231], v[232:233], v[230:231]
	s_delay_alu instid0(VALU_DEP_1) | instskip(NEXT) | instid1(VALU_DEP_1)
	v_mul_f64 v[232:233], v[234:235], v[230:231]
	v_fma_f64 v[228:229], -v[228:229], v[232:233], v[234:235]
	s_delay_alu instid0(VALU_DEP_1) | instskip(NEXT) | instid1(VALU_DEP_1)
	v_div_fmas_f64 v[228:229], v[228:229], v[230:231], v[232:233]
	v_div_fixup_f64 v[228:229], v[228:229], v[226:227], v[224:225]
	s_delay_alu instid0(VALU_DEP_1) | instskip(NEXT) | instid1(VALU_DEP_1)
	v_fma_f64 v[224:225], v[224:225], v[228:229], v[226:227]
	v_div_scale_f64 v[226:227], null, v[224:225], v[224:225], 1.0
	s_delay_alu instid0(VALU_DEP_1) | instskip(SKIP_2) | instid1(VALU_DEP_1)
	v_rcp_f64_e32 v[230:231], v[226:227]
	s_waitcnt_depctr 0xfff
	v_fma_f64 v[232:233], -v[226:227], v[230:231], 1.0
	v_fma_f64 v[230:231], v[230:231], v[232:233], v[230:231]
	s_delay_alu instid0(VALU_DEP_1) | instskip(NEXT) | instid1(VALU_DEP_1)
	v_fma_f64 v[232:233], -v[226:227], v[230:231], 1.0
	v_fma_f64 v[230:231], v[230:231], v[232:233], v[230:231]
	v_div_scale_f64 v[232:233], vcc_lo, 1.0, v[224:225], 1.0
	s_delay_alu instid0(VALU_DEP_1) | instskip(NEXT) | instid1(VALU_DEP_1)
	v_mul_f64 v[234:235], v[232:233], v[230:231]
	v_fma_f64 v[226:227], -v[226:227], v[234:235], v[232:233]
	s_delay_alu instid0(VALU_DEP_1) | instskip(NEXT) | instid1(VALU_DEP_1)
	v_div_fmas_f64 v[226:227], v[226:227], v[230:231], v[234:235]
	v_div_fixup_f64 v[230:231], v[226:227], v[224:225], 1.0
                                        ; implicit-def: $vgpr224_vgpr225
	s_delay_alu instid0(VALU_DEP_1)
	v_mul_f64 v[232:233], v[228:229], v[230:231]
	v_xor_b32_e32 v231, 0x80000000, v231
.LBB101_401:
	s_and_not1_saveexec_b32 s3, s3
	s_cbranch_execz .LBB101_403
; %bb.402:
	v_div_scale_f64 v[228:229], null, v[224:225], v[224:225], v[226:227]
	v_div_scale_f64 v[234:235], vcc_lo, v[226:227], v[224:225], v[226:227]
	s_delay_alu instid0(VALU_DEP_2) | instskip(SKIP_2) | instid1(VALU_DEP_1)
	v_rcp_f64_e32 v[230:231], v[228:229]
	s_waitcnt_depctr 0xfff
	v_fma_f64 v[232:233], -v[228:229], v[230:231], 1.0
	v_fma_f64 v[230:231], v[230:231], v[232:233], v[230:231]
	s_delay_alu instid0(VALU_DEP_1) | instskip(NEXT) | instid1(VALU_DEP_1)
	v_fma_f64 v[232:233], -v[228:229], v[230:231], 1.0
	v_fma_f64 v[230:231], v[230:231], v[232:233], v[230:231]
	s_delay_alu instid0(VALU_DEP_1) | instskip(NEXT) | instid1(VALU_DEP_1)
	v_mul_f64 v[232:233], v[234:235], v[230:231]
	v_fma_f64 v[228:229], -v[228:229], v[232:233], v[234:235]
	s_delay_alu instid0(VALU_DEP_1) | instskip(NEXT) | instid1(VALU_DEP_1)
	v_div_fmas_f64 v[228:229], v[228:229], v[230:231], v[232:233]
	v_div_fixup_f64 v[228:229], v[228:229], v[224:225], v[226:227]
	s_delay_alu instid0(VALU_DEP_1) | instskip(NEXT) | instid1(VALU_DEP_1)
	v_fma_f64 v[224:225], v[226:227], v[228:229], v[224:225]
	v_div_scale_f64 v[226:227], null, v[224:225], v[224:225], 1.0
	s_delay_alu instid0(VALU_DEP_1) | instskip(SKIP_2) | instid1(VALU_DEP_1)
	v_rcp_f64_e32 v[230:231], v[226:227]
	s_waitcnt_depctr 0xfff
	v_fma_f64 v[232:233], -v[226:227], v[230:231], 1.0
	v_fma_f64 v[230:231], v[230:231], v[232:233], v[230:231]
	s_delay_alu instid0(VALU_DEP_1) | instskip(NEXT) | instid1(VALU_DEP_1)
	v_fma_f64 v[232:233], -v[226:227], v[230:231], 1.0
	v_fma_f64 v[230:231], v[230:231], v[232:233], v[230:231]
	v_div_scale_f64 v[232:233], vcc_lo, 1.0, v[224:225], 1.0
	s_delay_alu instid0(VALU_DEP_1) | instskip(NEXT) | instid1(VALU_DEP_1)
	v_mul_f64 v[234:235], v[232:233], v[230:231]
	v_fma_f64 v[226:227], -v[226:227], v[234:235], v[232:233]
	s_delay_alu instid0(VALU_DEP_1) | instskip(NEXT) | instid1(VALU_DEP_1)
	v_div_fmas_f64 v[226:227], v[226:227], v[230:231], v[234:235]
	v_div_fixup_f64 v[232:233], v[226:227], v[224:225], 1.0
	s_delay_alu instid0(VALU_DEP_1)
	v_mul_f64 v[230:231], v[228:229], -v[232:233]
.LBB101_403:
	s_or_b32 exec_lo, exec_lo, s3
	ds_store_2addr_b64 v255, v[232:233], v[230:231] offset1:1
.LBB101_404:
	s_or_b32 exec_lo, exec_lo, s4
	s_waitcnt lgkmcnt(0)
	s_barrier
	buffer_gl0_inv
	scratch_load_b32 v204, off, off         ; 4-byte Folded Reload
	ds_load_2addr_b64 v[224:227], v255 offset1:1
	s_mov_b32 s3, exec_lo
	s_waitcnt vmcnt(0)
	v_cmpx_lt_u32_e32 44, v204
	s_cbranch_execz .LBB101_406
; %bb.405:
	s_waitcnt lgkmcnt(0)
	v_mul_f64 v[228:229], v[224:225], v[26:27]
	v_mul_f64 v[26:27], v[226:227], v[26:27]
	s_delay_alu instid0(VALU_DEP_2) | instskip(SKIP_4) | instid1(VALU_DEP_1)
	v_fma_f64 v[232:233], v[226:227], v[24:25], v[228:229]
	ds_load_2addr_b64 v[228:231], v254 offset0:90 offset1:91
	v_fma_f64 v[24:25], v[224:225], v[24:25], -v[26:27]
	s_waitcnt lgkmcnt(0)
	v_mul_f64 v[26:27], v[230:231], v[232:233]
	v_fma_f64 v[26:27], v[228:229], v[24:25], -v[26:27]
	v_mul_f64 v[228:229], v[228:229], v[232:233]
	s_delay_alu instid0(VALU_DEP_2) | instskip(NEXT) | instid1(VALU_DEP_2)
	v_add_f64 v[20:21], v[20:21], -v[26:27]
	v_fma_f64 v[228:229], v[230:231], v[24:25], v[228:229]
	s_delay_alu instid0(VALU_DEP_1) | instskip(SKIP_3) | instid1(VALU_DEP_1)
	v_add_f64 v[22:23], v[22:23], -v[228:229]
	ds_load_2addr_b64 v[228:231], v254 offset0:92 offset1:93
	s_waitcnt lgkmcnt(0)
	v_mul_f64 v[26:27], v[230:231], v[232:233]
	v_fma_f64 v[26:27], v[228:229], v[24:25], -v[26:27]
	v_mul_f64 v[228:229], v[228:229], v[232:233]
	s_delay_alu instid0(VALU_DEP_2) | instskip(NEXT) | instid1(VALU_DEP_2)
	v_add_f64 v[16:17], v[16:17], -v[26:27]
	v_fma_f64 v[228:229], v[230:231], v[24:25], v[228:229]
	s_delay_alu instid0(VALU_DEP_1) | instskip(SKIP_3) | instid1(VALU_DEP_1)
	v_add_f64 v[18:19], v[18:19], -v[228:229]
	ds_load_2addr_b64 v[228:231], v254 offset0:94 offset1:95
	;; [unrolled: 10-line block ×5, first 2 shown]
	s_waitcnt lgkmcnt(0)
	v_mul_f64 v[26:27], v[230:231], v[232:233]
	v_fma_f64 v[26:27], v[228:229], v[24:25], -v[26:27]
	v_mul_f64 v[228:229], v[228:229], v[232:233]
	s_delay_alu instid0(VALU_DEP_2) | instskip(NEXT) | instid1(VALU_DEP_2)
	v_add_f64 v[0:1], v[0:1], -v[26:27]
	v_fma_f64 v[228:229], v[230:231], v[24:25], v[228:229]
	v_dual_mov_b32 v26, v232 :: v_dual_mov_b32 v27, v233
	s_delay_alu instid0(VALU_DEP_2)
	v_add_f64 v[2:3], v[2:3], -v[228:229]
.LBB101_406:
	s_or_b32 exec_lo, exec_lo, s3
	scratch_load_b32 v204, off, off         ; 4-byte Folded Reload
	s_mov_b32 s4, exec_lo
	s_waitcnt vmcnt(0) lgkmcnt(0)
	s_barrier
	buffer_gl0_inv
	v_cmpx_eq_u32_e32 45, v204
	s_cbranch_execz .LBB101_413
; %bb.407:
	ds_store_2addr_b64 v255, v[20:21], v[22:23] offset1:1
	ds_store_2addr_b64 v254, v[16:17], v[18:19] offset0:92 offset1:93
	ds_store_2addr_b64 v254, v[12:13], v[14:15] offset0:94 offset1:95
	;; [unrolled: 1-line block ×5, first 2 shown]
	ds_load_2addr_b64 v[228:231], v255 offset1:1
	s_waitcnt lgkmcnt(0)
	v_cmp_neq_f64_e32 vcc_lo, 0, v[228:229]
	v_cmp_neq_f64_e64 s3, 0, v[230:231]
	s_delay_alu instid0(VALU_DEP_1) | instskip(NEXT) | instid1(SALU_CYCLE_1)
	s_or_b32 s3, vcc_lo, s3
	s_and_b32 exec_lo, exec_lo, s3
	s_cbranch_execz .LBB101_413
; %bb.408:
	v_cmp_gt_f64_e32 vcc_lo, 0, v[228:229]
	v_xor_b32_e32 v204, 0x80000000, v229
	s_mov_b32 s3, exec_lo
                                        ; implicit-def: $vgpr236_vgpr237
	s_delay_alu instid0(VALU_DEP_1) | instskip(SKIP_3) | instid1(VALU_DEP_1)
	v_cndmask_b32_e32 v233, v229, v204, vcc_lo
	v_cndmask_b32_e32 v232, v228, v228, vcc_lo
	v_cmp_gt_f64_e32 vcc_lo, 0, v[230:231]
	v_xor_b32_e32 v204, 0x80000000, v231
	v_dual_cndmask_b32 v234, v230, v230 :: v_dual_cndmask_b32 v235, v231, v204
	s_delay_alu instid0(VALU_DEP_1)
	v_cmpx_ngt_f64_e32 v[232:233], v[234:235]
	s_xor_b32 s3, exec_lo, s3
                                        ; implicit-def: $vgpr232_vgpr233_vgpr234_vgpr235
	s_cbranch_execz .LBB101_410
; %bb.409:
	v_div_scale_f64 v[232:233], null, v[230:231], v[230:231], v[228:229]
	v_div_scale_f64 v[238:239], vcc_lo, v[228:229], v[230:231], v[228:229]
	s_delay_alu instid0(VALU_DEP_2) | instskip(SKIP_2) | instid1(VALU_DEP_1)
	v_rcp_f64_e32 v[234:235], v[232:233]
	s_waitcnt_depctr 0xfff
	v_fma_f64 v[236:237], -v[232:233], v[234:235], 1.0
	v_fma_f64 v[234:235], v[234:235], v[236:237], v[234:235]
	s_delay_alu instid0(VALU_DEP_1) | instskip(NEXT) | instid1(VALU_DEP_1)
	v_fma_f64 v[236:237], -v[232:233], v[234:235], 1.0
	v_fma_f64 v[234:235], v[234:235], v[236:237], v[234:235]
	s_delay_alu instid0(VALU_DEP_1) | instskip(NEXT) | instid1(VALU_DEP_1)
	v_mul_f64 v[236:237], v[238:239], v[234:235]
	v_fma_f64 v[232:233], -v[232:233], v[236:237], v[238:239]
	s_delay_alu instid0(VALU_DEP_1) | instskip(NEXT) | instid1(VALU_DEP_1)
	v_div_fmas_f64 v[232:233], v[232:233], v[234:235], v[236:237]
	v_div_fixup_f64 v[232:233], v[232:233], v[230:231], v[228:229]
	s_delay_alu instid0(VALU_DEP_1) | instskip(NEXT) | instid1(VALU_DEP_1)
	v_fma_f64 v[228:229], v[228:229], v[232:233], v[230:231]
	v_div_scale_f64 v[230:231], null, v[228:229], v[228:229], 1.0
	s_delay_alu instid0(VALU_DEP_1) | instskip(SKIP_2) | instid1(VALU_DEP_1)
	v_rcp_f64_e32 v[234:235], v[230:231]
	s_waitcnt_depctr 0xfff
	v_fma_f64 v[236:237], -v[230:231], v[234:235], 1.0
	v_fma_f64 v[234:235], v[234:235], v[236:237], v[234:235]
	s_delay_alu instid0(VALU_DEP_1) | instskip(NEXT) | instid1(VALU_DEP_1)
	v_fma_f64 v[236:237], -v[230:231], v[234:235], 1.0
	v_fma_f64 v[234:235], v[234:235], v[236:237], v[234:235]
	v_div_scale_f64 v[236:237], vcc_lo, 1.0, v[228:229], 1.0
	s_delay_alu instid0(VALU_DEP_1) | instskip(NEXT) | instid1(VALU_DEP_1)
	v_mul_f64 v[238:239], v[236:237], v[234:235]
	v_fma_f64 v[230:231], -v[230:231], v[238:239], v[236:237]
	s_delay_alu instid0(VALU_DEP_1) | instskip(NEXT) | instid1(VALU_DEP_1)
	v_div_fmas_f64 v[230:231], v[230:231], v[234:235], v[238:239]
	v_div_fixup_f64 v[234:235], v[230:231], v[228:229], 1.0
                                        ; implicit-def: $vgpr228_vgpr229
	s_delay_alu instid0(VALU_DEP_1)
	v_mul_f64 v[236:237], v[232:233], v[234:235]
	v_xor_b32_e32 v235, 0x80000000, v235
.LBB101_410:
	s_and_not1_saveexec_b32 s3, s3
	s_cbranch_execz .LBB101_412
; %bb.411:
	v_div_scale_f64 v[232:233], null, v[228:229], v[228:229], v[230:231]
	v_div_scale_f64 v[238:239], vcc_lo, v[230:231], v[228:229], v[230:231]
	s_delay_alu instid0(VALU_DEP_2) | instskip(SKIP_2) | instid1(VALU_DEP_1)
	v_rcp_f64_e32 v[234:235], v[232:233]
	s_waitcnt_depctr 0xfff
	v_fma_f64 v[236:237], -v[232:233], v[234:235], 1.0
	v_fma_f64 v[234:235], v[234:235], v[236:237], v[234:235]
	s_delay_alu instid0(VALU_DEP_1) | instskip(NEXT) | instid1(VALU_DEP_1)
	v_fma_f64 v[236:237], -v[232:233], v[234:235], 1.0
	v_fma_f64 v[234:235], v[234:235], v[236:237], v[234:235]
	s_delay_alu instid0(VALU_DEP_1) | instskip(NEXT) | instid1(VALU_DEP_1)
	v_mul_f64 v[236:237], v[238:239], v[234:235]
	v_fma_f64 v[232:233], -v[232:233], v[236:237], v[238:239]
	s_delay_alu instid0(VALU_DEP_1) | instskip(NEXT) | instid1(VALU_DEP_1)
	v_div_fmas_f64 v[232:233], v[232:233], v[234:235], v[236:237]
	v_div_fixup_f64 v[232:233], v[232:233], v[228:229], v[230:231]
	s_delay_alu instid0(VALU_DEP_1) | instskip(NEXT) | instid1(VALU_DEP_1)
	v_fma_f64 v[228:229], v[230:231], v[232:233], v[228:229]
	v_div_scale_f64 v[230:231], null, v[228:229], v[228:229], 1.0
	s_delay_alu instid0(VALU_DEP_1) | instskip(SKIP_2) | instid1(VALU_DEP_1)
	v_rcp_f64_e32 v[234:235], v[230:231]
	s_waitcnt_depctr 0xfff
	v_fma_f64 v[236:237], -v[230:231], v[234:235], 1.0
	v_fma_f64 v[234:235], v[234:235], v[236:237], v[234:235]
	s_delay_alu instid0(VALU_DEP_1) | instskip(NEXT) | instid1(VALU_DEP_1)
	v_fma_f64 v[236:237], -v[230:231], v[234:235], 1.0
	v_fma_f64 v[234:235], v[234:235], v[236:237], v[234:235]
	v_div_scale_f64 v[236:237], vcc_lo, 1.0, v[228:229], 1.0
	s_delay_alu instid0(VALU_DEP_1) | instskip(NEXT) | instid1(VALU_DEP_1)
	v_mul_f64 v[238:239], v[236:237], v[234:235]
	v_fma_f64 v[230:231], -v[230:231], v[238:239], v[236:237]
	s_delay_alu instid0(VALU_DEP_1) | instskip(NEXT) | instid1(VALU_DEP_1)
	v_div_fmas_f64 v[230:231], v[230:231], v[234:235], v[238:239]
	v_div_fixup_f64 v[236:237], v[230:231], v[228:229], 1.0
	s_delay_alu instid0(VALU_DEP_1)
	v_mul_f64 v[234:235], v[232:233], -v[236:237]
.LBB101_412:
	s_or_b32 exec_lo, exec_lo, s3
	ds_store_2addr_b64 v255, v[236:237], v[234:235] offset1:1
.LBB101_413:
	s_or_b32 exec_lo, exec_lo, s4
	s_waitcnt lgkmcnt(0)
	s_barrier
	buffer_gl0_inv
	scratch_load_b32 v204, off, off         ; 4-byte Folded Reload
	ds_load_2addr_b64 v[228:231], v255 offset1:1
	s_mov_b32 s3, exec_lo
	s_waitcnt vmcnt(0)
	v_cmpx_lt_u32_e32 45, v204
	s_cbranch_execz .LBB101_415
; %bb.414:
	s_waitcnt lgkmcnt(0)
	v_mul_f64 v[232:233], v[228:229], v[22:23]
	v_mul_f64 v[22:23], v[230:231], v[22:23]
	s_delay_alu instid0(VALU_DEP_2) | instskip(SKIP_4) | instid1(VALU_DEP_1)
	v_fma_f64 v[236:237], v[230:231], v[20:21], v[232:233]
	ds_load_2addr_b64 v[232:235], v254 offset0:92 offset1:93
	v_fma_f64 v[20:21], v[228:229], v[20:21], -v[22:23]
	s_waitcnt lgkmcnt(0)
	v_mul_f64 v[22:23], v[234:235], v[236:237]
	v_fma_f64 v[22:23], v[232:233], v[20:21], -v[22:23]
	v_mul_f64 v[232:233], v[232:233], v[236:237]
	s_delay_alu instid0(VALU_DEP_2) | instskip(NEXT) | instid1(VALU_DEP_2)
	v_add_f64 v[16:17], v[16:17], -v[22:23]
	v_fma_f64 v[232:233], v[234:235], v[20:21], v[232:233]
	s_delay_alu instid0(VALU_DEP_1) | instskip(SKIP_3) | instid1(VALU_DEP_1)
	v_add_f64 v[18:19], v[18:19], -v[232:233]
	ds_load_2addr_b64 v[232:235], v254 offset0:94 offset1:95
	s_waitcnt lgkmcnt(0)
	v_mul_f64 v[22:23], v[234:235], v[236:237]
	v_fma_f64 v[22:23], v[232:233], v[20:21], -v[22:23]
	v_mul_f64 v[232:233], v[232:233], v[236:237]
	s_delay_alu instid0(VALU_DEP_2) | instskip(NEXT) | instid1(VALU_DEP_2)
	v_add_f64 v[12:13], v[12:13], -v[22:23]
	v_fma_f64 v[232:233], v[234:235], v[20:21], v[232:233]
	s_delay_alu instid0(VALU_DEP_1) | instskip(SKIP_3) | instid1(VALU_DEP_1)
	v_add_f64 v[14:15], v[14:15], -v[232:233]
	ds_load_2addr_b64 v[232:235], v254 offset0:96 offset1:97
	;; [unrolled: 10-line block ×4, first 2 shown]
	s_waitcnt lgkmcnt(0)
	v_mul_f64 v[22:23], v[234:235], v[236:237]
	v_fma_f64 v[22:23], v[232:233], v[20:21], -v[22:23]
	v_mul_f64 v[232:233], v[232:233], v[236:237]
	s_delay_alu instid0(VALU_DEP_2) | instskip(NEXT) | instid1(VALU_DEP_2)
	v_add_f64 v[0:1], v[0:1], -v[22:23]
	v_fma_f64 v[232:233], v[234:235], v[20:21], v[232:233]
	v_dual_mov_b32 v22, v236 :: v_dual_mov_b32 v23, v237
	s_delay_alu instid0(VALU_DEP_2)
	v_add_f64 v[2:3], v[2:3], -v[232:233]
.LBB101_415:
	s_or_b32 exec_lo, exec_lo, s3
	scratch_load_b32 v204, off, off         ; 4-byte Folded Reload
	s_mov_b32 s4, exec_lo
	s_waitcnt vmcnt(0) lgkmcnt(0)
	s_barrier
	buffer_gl0_inv
	v_cmpx_eq_u32_e32 46, v204
	s_cbranch_execz .LBB101_422
; %bb.416:
	ds_store_2addr_b64 v255, v[16:17], v[18:19] offset1:1
	ds_store_2addr_b64 v254, v[12:13], v[14:15] offset0:94 offset1:95
	ds_store_2addr_b64 v254, v[8:9], v[10:11] offset0:96 offset1:97
	;; [unrolled: 1-line block ×4, first 2 shown]
	ds_load_2addr_b64 v[232:235], v255 offset1:1
	s_waitcnt lgkmcnt(0)
	v_cmp_neq_f64_e32 vcc_lo, 0, v[232:233]
	v_cmp_neq_f64_e64 s3, 0, v[234:235]
	s_delay_alu instid0(VALU_DEP_1) | instskip(NEXT) | instid1(SALU_CYCLE_1)
	s_or_b32 s3, vcc_lo, s3
	s_and_b32 exec_lo, exec_lo, s3
	s_cbranch_execz .LBB101_422
; %bb.417:
	v_cmp_gt_f64_e32 vcc_lo, 0, v[232:233]
	v_xor_b32_e32 v204, 0x80000000, v233
	s_mov_b32 s3, exec_lo
                                        ; implicit-def: $vgpr240_vgpr241
	s_delay_alu instid0(VALU_DEP_1) | instskip(SKIP_3) | instid1(VALU_DEP_1)
	v_cndmask_b32_e32 v237, v233, v204, vcc_lo
	v_cndmask_b32_e32 v236, v232, v232, vcc_lo
	v_cmp_gt_f64_e32 vcc_lo, 0, v[234:235]
	v_xor_b32_e32 v204, 0x80000000, v235
	v_dual_cndmask_b32 v238, v234, v234 :: v_dual_cndmask_b32 v239, v235, v204
	s_delay_alu instid0(VALU_DEP_1)
	v_cmpx_ngt_f64_e32 v[236:237], v[238:239]
	s_xor_b32 s3, exec_lo, s3
                                        ; implicit-def: $vgpr236_vgpr237_vgpr238_vgpr239
	s_cbranch_execz .LBB101_419
; %bb.418:
	v_div_scale_f64 v[236:237], null, v[234:235], v[234:235], v[232:233]
	v_div_scale_f64 v[242:243], vcc_lo, v[232:233], v[234:235], v[232:233]
	s_delay_alu instid0(VALU_DEP_2) | instskip(SKIP_2) | instid1(VALU_DEP_1)
	v_rcp_f64_e32 v[238:239], v[236:237]
	s_waitcnt_depctr 0xfff
	v_fma_f64 v[240:241], -v[236:237], v[238:239], 1.0
	v_fma_f64 v[238:239], v[238:239], v[240:241], v[238:239]
	s_delay_alu instid0(VALU_DEP_1) | instskip(NEXT) | instid1(VALU_DEP_1)
	v_fma_f64 v[240:241], -v[236:237], v[238:239], 1.0
	v_fma_f64 v[238:239], v[238:239], v[240:241], v[238:239]
	s_delay_alu instid0(VALU_DEP_1) | instskip(NEXT) | instid1(VALU_DEP_1)
	v_mul_f64 v[240:241], v[242:243], v[238:239]
	v_fma_f64 v[236:237], -v[236:237], v[240:241], v[242:243]
	s_delay_alu instid0(VALU_DEP_1) | instskip(NEXT) | instid1(VALU_DEP_1)
	v_div_fmas_f64 v[236:237], v[236:237], v[238:239], v[240:241]
	v_div_fixup_f64 v[236:237], v[236:237], v[234:235], v[232:233]
	s_delay_alu instid0(VALU_DEP_1) | instskip(NEXT) | instid1(VALU_DEP_1)
	v_fma_f64 v[232:233], v[232:233], v[236:237], v[234:235]
	v_div_scale_f64 v[234:235], null, v[232:233], v[232:233], 1.0
	s_delay_alu instid0(VALU_DEP_1) | instskip(SKIP_2) | instid1(VALU_DEP_1)
	v_rcp_f64_e32 v[238:239], v[234:235]
	s_waitcnt_depctr 0xfff
	v_fma_f64 v[240:241], -v[234:235], v[238:239], 1.0
	v_fma_f64 v[238:239], v[238:239], v[240:241], v[238:239]
	s_delay_alu instid0(VALU_DEP_1) | instskip(NEXT) | instid1(VALU_DEP_1)
	v_fma_f64 v[240:241], -v[234:235], v[238:239], 1.0
	v_fma_f64 v[238:239], v[238:239], v[240:241], v[238:239]
	v_div_scale_f64 v[240:241], vcc_lo, 1.0, v[232:233], 1.0
	s_delay_alu instid0(VALU_DEP_1) | instskip(NEXT) | instid1(VALU_DEP_1)
	v_mul_f64 v[242:243], v[240:241], v[238:239]
	v_fma_f64 v[234:235], -v[234:235], v[242:243], v[240:241]
	s_delay_alu instid0(VALU_DEP_1) | instskip(NEXT) | instid1(VALU_DEP_1)
	v_div_fmas_f64 v[234:235], v[234:235], v[238:239], v[242:243]
	v_div_fixup_f64 v[238:239], v[234:235], v[232:233], 1.0
                                        ; implicit-def: $vgpr232_vgpr233
	s_delay_alu instid0(VALU_DEP_1)
	v_mul_f64 v[240:241], v[236:237], v[238:239]
	v_xor_b32_e32 v239, 0x80000000, v239
.LBB101_419:
	s_and_not1_saveexec_b32 s3, s3
	s_cbranch_execz .LBB101_421
; %bb.420:
	v_div_scale_f64 v[236:237], null, v[232:233], v[232:233], v[234:235]
	v_div_scale_f64 v[242:243], vcc_lo, v[234:235], v[232:233], v[234:235]
	s_delay_alu instid0(VALU_DEP_2) | instskip(SKIP_2) | instid1(VALU_DEP_1)
	v_rcp_f64_e32 v[238:239], v[236:237]
	s_waitcnt_depctr 0xfff
	v_fma_f64 v[240:241], -v[236:237], v[238:239], 1.0
	v_fma_f64 v[238:239], v[238:239], v[240:241], v[238:239]
	s_delay_alu instid0(VALU_DEP_1) | instskip(NEXT) | instid1(VALU_DEP_1)
	v_fma_f64 v[240:241], -v[236:237], v[238:239], 1.0
	v_fma_f64 v[238:239], v[238:239], v[240:241], v[238:239]
	s_delay_alu instid0(VALU_DEP_1) | instskip(NEXT) | instid1(VALU_DEP_1)
	v_mul_f64 v[240:241], v[242:243], v[238:239]
	v_fma_f64 v[236:237], -v[236:237], v[240:241], v[242:243]
	s_delay_alu instid0(VALU_DEP_1) | instskip(NEXT) | instid1(VALU_DEP_1)
	v_div_fmas_f64 v[236:237], v[236:237], v[238:239], v[240:241]
	v_div_fixup_f64 v[236:237], v[236:237], v[232:233], v[234:235]
	s_delay_alu instid0(VALU_DEP_1) | instskip(NEXT) | instid1(VALU_DEP_1)
	v_fma_f64 v[232:233], v[234:235], v[236:237], v[232:233]
	v_div_scale_f64 v[234:235], null, v[232:233], v[232:233], 1.0
	s_delay_alu instid0(VALU_DEP_1) | instskip(SKIP_2) | instid1(VALU_DEP_1)
	v_rcp_f64_e32 v[238:239], v[234:235]
	s_waitcnt_depctr 0xfff
	v_fma_f64 v[240:241], -v[234:235], v[238:239], 1.0
	v_fma_f64 v[238:239], v[238:239], v[240:241], v[238:239]
	s_delay_alu instid0(VALU_DEP_1) | instskip(NEXT) | instid1(VALU_DEP_1)
	v_fma_f64 v[240:241], -v[234:235], v[238:239], 1.0
	v_fma_f64 v[238:239], v[238:239], v[240:241], v[238:239]
	v_div_scale_f64 v[240:241], vcc_lo, 1.0, v[232:233], 1.0
	s_delay_alu instid0(VALU_DEP_1) | instskip(NEXT) | instid1(VALU_DEP_1)
	v_mul_f64 v[242:243], v[240:241], v[238:239]
	v_fma_f64 v[234:235], -v[234:235], v[242:243], v[240:241]
	s_delay_alu instid0(VALU_DEP_1) | instskip(NEXT) | instid1(VALU_DEP_1)
	v_div_fmas_f64 v[234:235], v[234:235], v[238:239], v[242:243]
	v_div_fixup_f64 v[240:241], v[234:235], v[232:233], 1.0
	s_delay_alu instid0(VALU_DEP_1)
	v_mul_f64 v[238:239], v[236:237], -v[240:241]
.LBB101_421:
	s_or_b32 exec_lo, exec_lo, s3
	ds_store_2addr_b64 v255, v[240:241], v[238:239] offset1:1
.LBB101_422:
	s_or_b32 exec_lo, exec_lo, s4
	s_waitcnt lgkmcnt(0)
	s_barrier
	buffer_gl0_inv
	scratch_load_b32 v204, off, off         ; 4-byte Folded Reload
	ds_load_2addr_b64 v[232:235], v255 offset1:1
	s_mov_b32 s3, exec_lo
	s_waitcnt vmcnt(0)
	v_cmpx_lt_u32_e32 46, v204
	s_cbranch_execz .LBB101_424
; %bb.423:
	s_waitcnt lgkmcnt(0)
	v_mul_f64 v[236:237], v[232:233], v[18:19]
	v_mul_f64 v[18:19], v[234:235], v[18:19]
	s_delay_alu instid0(VALU_DEP_2) | instskip(SKIP_4) | instid1(VALU_DEP_1)
	v_fma_f64 v[240:241], v[234:235], v[16:17], v[236:237]
	ds_load_2addr_b64 v[236:239], v254 offset0:94 offset1:95
	v_fma_f64 v[16:17], v[232:233], v[16:17], -v[18:19]
	s_waitcnt lgkmcnt(0)
	v_mul_f64 v[18:19], v[238:239], v[240:241]
	v_fma_f64 v[18:19], v[236:237], v[16:17], -v[18:19]
	v_mul_f64 v[236:237], v[236:237], v[240:241]
	s_delay_alu instid0(VALU_DEP_2) | instskip(NEXT) | instid1(VALU_DEP_2)
	v_add_f64 v[12:13], v[12:13], -v[18:19]
	v_fma_f64 v[236:237], v[238:239], v[16:17], v[236:237]
	s_delay_alu instid0(VALU_DEP_1) | instskip(SKIP_3) | instid1(VALU_DEP_1)
	v_add_f64 v[14:15], v[14:15], -v[236:237]
	ds_load_2addr_b64 v[236:239], v254 offset0:96 offset1:97
	s_waitcnt lgkmcnt(0)
	v_mul_f64 v[18:19], v[238:239], v[240:241]
	v_fma_f64 v[18:19], v[236:237], v[16:17], -v[18:19]
	v_mul_f64 v[236:237], v[236:237], v[240:241]
	s_delay_alu instid0(VALU_DEP_2) | instskip(NEXT) | instid1(VALU_DEP_2)
	v_add_f64 v[8:9], v[8:9], -v[18:19]
	v_fma_f64 v[236:237], v[238:239], v[16:17], v[236:237]
	s_delay_alu instid0(VALU_DEP_1) | instskip(SKIP_3) | instid1(VALU_DEP_1)
	v_add_f64 v[10:11], v[10:11], -v[236:237]
	ds_load_2addr_b64 v[236:239], v254 offset0:98 offset1:99
	;; [unrolled: 10-line block ×3, first 2 shown]
	s_waitcnt lgkmcnt(0)
	v_mul_f64 v[18:19], v[238:239], v[240:241]
	v_fma_f64 v[18:19], v[236:237], v[16:17], -v[18:19]
	v_mul_f64 v[236:237], v[236:237], v[240:241]
	s_delay_alu instid0(VALU_DEP_2) | instskip(NEXT) | instid1(VALU_DEP_2)
	v_add_f64 v[0:1], v[0:1], -v[18:19]
	v_fma_f64 v[236:237], v[238:239], v[16:17], v[236:237]
	v_dual_mov_b32 v18, v240 :: v_dual_mov_b32 v19, v241
	s_delay_alu instid0(VALU_DEP_2)
	v_add_f64 v[2:3], v[2:3], -v[236:237]
.LBB101_424:
	s_or_b32 exec_lo, exec_lo, s3
	scratch_load_b32 v204, off, off         ; 4-byte Folded Reload
	s_mov_b32 s4, exec_lo
	s_waitcnt vmcnt(0) lgkmcnt(0)
	s_barrier
	buffer_gl0_inv
	v_cmpx_eq_u32_e32 47, v204
	s_cbranch_execz .LBB101_431
; %bb.425:
	ds_store_2addr_b64 v255, v[12:13], v[14:15] offset1:1
	ds_store_2addr_b64 v254, v[8:9], v[10:11] offset0:96 offset1:97
	ds_store_2addr_b64 v254, v[4:5], v[6:7] offset0:98 offset1:99
	;; [unrolled: 1-line block ×3, first 2 shown]
	ds_load_2addr_b64 v[236:239], v255 offset1:1
	s_waitcnt lgkmcnt(0)
	v_cmp_neq_f64_e32 vcc_lo, 0, v[236:237]
	v_cmp_neq_f64_e64 s3, 0, v[238:239]
	s_delay_alu instid0(VALU_DEP_1) | instskip(NEXT) | instid1(SALU_CYCLE_1)
	s_or_b32 s3, vcc_lo, s3
	s_and_b32 exec_lo, exec_lo, s3
	s_cbranch_execz .LBB101_431
; %bb.426:
	v_cmp_gt_f64_e32 vcc_lo, 0, v[236:237]
	v_xor_b32_e32 v204, 0x80000000, v237
	s_mov_b32 s3, exec_lo
                                        ; implicit-def: $vgpr244_vgpr245
	s_delay_alu instid0(VALU_DEP_1) | instskip(SKIP_3) | instid1(VALU_DEP_1)
	v_cndmask_b32_e32 v241, v237, v204, vcc_lo
	v_cndmask_b32_e32 v240, v236, v236, vcc_lo
	v_cmp_gt_f64_e32 vcc_lo, 0, v[238:239]
	v_xor_b32_e32 v204, 0x80000000, v239
	v_dual_cndmask_b32 v242, v238, v238 :: v_dual_cndmask_b32 v243, v239, v204
	s_delay_alu instid0(VALU_DEP_1)
	v_cmpx_ngt_f64_e32 v[240:241], v[242:243]
	s_xor_b32 s3, exec_lo, s3
                                        ; implicit-def: $vgpr240_vgpr241_vgpr242_vgpr243
	s_cbranch_execz .LBB101_428
; %bb.427:
	v_div_scale_f64 v[240:241], null, v[238:239], v[238:239], v[236:237]
	v_div_scale_f64 v[246:247], vcc_lo, v[236:237], v[238:239], v[236:237]
	s_delay_alu instid0(VALU_DEP_2) | instskip(SKIP_2) | instid1(VALU_DEP_1)
	v_rcp_f64_e32 v[242:243], v[240:241]
	s_waitcnt_depctr 0xfff
	v_fma_f64 v[244:245], -v[240:241], v[242:243], 1.0
	v_fma_f64 v[242:243], v[242:243], v[244:245], v[242:243]
	s_delay_alu instid0(VALU_DEP_1) | instskip(NEXT) | instid1(VALU_DEP_1)
	v_fma_f64 v[244:245], -v[240:241], v[242:243], 1.0
	v_fma_f64 v[242:243], v[242:243], v[244:245], v[242:243]
	s_delay_alu instid0(VALU_DEP_1) | instskip(NEXT) | instid1(VALU_DEP_1)
	v_mul_f64 v[244:245], v[246:247], v[242:243]
	v_fma_f64 v[240:241], -v[240:241], v[244:245], v[246:247]
	s_delay_alu instid0(VALU_DEP_1) | instskip(NEXT) | instid1(VALU_DEP_1)
	v_div_fmas_f64 v[240:241], v[240:241], v[242:243], v[244:245]
	v_div_fixup_f64 v[240:241], v[240:241], v[238:239], v[236:237]
	s_delay_alu instid0(VALU_DEP_1) | instskip(NEXT) | instid1(VALU_DEP_1)
	v_fma_f64 v[236:237], v[236:237], v[240:241], v[238:239]
	v_div_scale_f64 v[238:239], null, v[236:237], v[236:237], 1.0
	s_delay_alu instid0(VALU_DEP_1) | instskip(SKIP_2) | instid1(VALU_DEP_1)
	v_rcp_f64_e32 v[242:243], v[238:239]
	s_waitcnt_depctr 0xfff
	v_fma_f64 v[244:245], -v[238:239], v[242:243], 1.0
	v_fma_f64 v[242:243], v[242:243], v[244:245], v[242:243]
	s_delay_alu instid0(VALU_DEP_1) | instskip(NEXT) | instid1(VALU_DEP_1)
	v_fma_f64 v[244:245], -v[238:239], v[242:243], 1.0
	v_fma_f64 v[242:243], v[242:243], v[244:245], v[242:243]
	v_div_scale_f64 v[244:245], vcc_lo, 1.0, v[236:237], 1.0
	s_delay_alu instid0(VALU_DEP_1) | instskip(NEXT) | instid1(VALU_DEP_1)
	v_mul_f64 v[246:247], v[244:245], v[242:243]
	v_fma_f64 v[238:239], -v[238:239], v[246:247], v[244:245]
	s_delay_alu instid0(VALU_DEP_1) | instskip(NEXT) | instid1(VALU_DEP_1)
	v_div_fmas_f64 v[238:239], v[238:239], v[242:243], v[246:247]
	v_div_fixup_f64 v[242:243], v[238:239], v[236:237], 1.0
                                        ; implicit-def: $vgpr236_vgpr237
	s_delay_alu instid0(VALU_DEP_1)
	v_mul_f64 v[244:245], v[240:241], v[242:243]
	v_xor_b32_e32 v243, 0x80000000, v243
.LBB101_428:
	s_and_not1_saveexec_b32 s3, s3
	s_cbranch_execz .LBB101_430
; %bb.429:
	v_div_scale_f64 v[240:241], null, v[236:237], v[236:237], v[238:239]
	v_div_scale_f64 v[246:247], vcc_lo, v[238:239], v[236:237], v[238:239]
	s_delay_alu instid0(VALU_DEP_2) | instskip(SKIP_2) | instid1(VALU_DEP_1)
	v_rcp_f64_e32 v[242:243], v[240:241]
	s_waitcnt_depctr 0xfff
	v_fma_f64 v[244:245], -v[240:241], v[242:243], 1.0
	v_fma_f64 v[242:243], v[242:243], v[244:245], v[242:243]
	s_delay_alu instid0(VALU_DEP_1) | instskip(NEXT) | instid1(VALU_DEP_1)
	v_fma_f64 v[244:245], -v[240:241], v[242:243], 1.0
	v_fma_f64 v[242:243], v[242:243], v[244:245], v[242:243]
	s_delay_alu instid0(VALU_DEP_1) | instskip(NEXT) | instid1(VALU_DEP_1)
	v_mul_f64 v[244:245], v[246:247], v[242:243]
	v_fma_f64 v[240:241], -v[240:241], v[244:245], v[246:247]
	s_delay_alu instid0(VALU_DEP_1) | instskip(NEXT) | instid1(VALU_DEP_1)
	v_div_fmas_f64 v[240:241], v[240:241], v[242:243], v[244:245]
	v_div_fixup_f64 v[240:241], v[240:241], v[236:237], v[238:239]
	s_delay_alu instid0(VALU_DEP_1) | instskip(NEXT) | instid1(VALU_DEP_1)
	v_fma_f64 v[236:237], v[238:239], v[240:241], v[236:237]
	v_div_scale_f64 v[238:239], null, v[236:237], v[236:237], 1.0
	s_delay_alu instid0(VALU_DEP_1) | instskip(SKIP_2) | instid1(VALU_DEP_1)
	v_rcp_f64_e32 v[242:243], v[238:239]
	s_waitcnt_depctr 0xfff
	v_fma_f64 v[244:245], -v[238:239], v[242:243], 1.0
	v_fma_f64 v[242:243], v[242:243], v[244:245], v[242:243]
	s_delay_alu instid0(VALU_DEP_1) | instskip(NEXT) | instid1(VALU_DEP_1)
	v_fma_f64 v[244:245], -v[238:239], v[242:243], 1.0
	v_fma_f64 v[242:243], v[242:243], v[244:245], v[242:243]
	v_div_scale_f64 v[244:245], vcc_lo, 1.0, v[236:237], 1.0
	s_delay_alu instid0(VALU_DEP_1) | instskip(NEXT) | instid1(VALU_DEP_1)
	v_mul_f64 v[246:247], v[244:245], v[242:243]
	v_fma_f64 v[238:239], -v[238:239], v[246:247], v[244:245]
	s_delay_alu instid0(VALU_DEP_1) | instskip(NEXT) | instid1(VALU_DEP_1)
	v_div_fmas_f64 v[238:239], v[238:239], v[242:243], v[246:247]
	v_div_fixup_f64 v[244:245], v[238:239], v[236:237], 1.0
	s_delay_alu instid0(VALU_DEP_1)
	v_mul_f64 v[242:243], v[240:241], -v[244:245]
.LBB101_430:
	s_or_b32 exec_lo, exec_lo, s3
	ds_store_2addr_b64 v255, v[244:245], v[242:243] offset1:1
.LBB101_431:
	s_or_b32 exec_lo, exec_lo, s4
	s_waitcnt lgkmcnt(0)
	s_barrier
	buffer_gl0_inv
	scratch_load_b32 v204, off, off         ; 4-byte Folded Reload
	ds_load_2addr_b64 v[236:239], v255 offset1:1
	s_mov_b32 s3, exec_lo
	s_waitcnt vmcnt(0)
	v_cmpx_lt_u32_e32 47, v204
	s_cbranch_execz .LBB101_433
; %bb.432:
	s_waitcnt lgkmcnt(0)
	v_mul_f64 v[240:241], v[236:237], v[14:15]
	v_mul_f64 v[14:15], v[238:239], v[14:15]
	s_delay_alu instid0(VALU_DEP_2) | instskip(SKIP_4) | instid1(VALU_DEP_1)
	v_fma_f64 v[244:245], v[238:239], v[12:13], v[240:241]
	ds_load_2addr_b64 v[240:243], v254 offset0:96 offset1:97
	v_fma_f64 v[12:13], v[236:237], v[12:13], -v[14:15]
	s_waitcnt lgkmcnt(0)
	v_mul_f64 v[14:15], v[242:243], v[244:245]
	v_fma_f64 v[14:15], v[240:241], v[12:13], -v[14:15]
	v_mul_f64 v[240:241], v[240:241], v[244:245]
	s_delay_alu instid0(VALU_DEP_2) | instskip(NEXT) | instid1(VALU_DEP_2)
	v_add_f64 v[8:9], v[8:9], -v[14:15]
	v_fma_f64 v[240:241], v[242:243], v[12:13], v[240:241]
	s_delay_alu instid0(VALU_DEP_1) | instskip(SKIP_3) | instid1(VALU_DEP_1)
	v_add_f64 v[10:11], v[10:11], -v[240:241]
	ds_load_2addr_b64 v[240:243], v254 offset0:98 offset1:99
	s_waitcnt lgkmcnt(0)
	v_mul_f64 v[14:15], v[242:243], v[244:245]
	v_fma_f64 v[14:15], v[240:241], v[12:13], -v[14:15]
	v_mul_f64 v[240:241], v[240:241], v[244:245]
	s_delay_alu instid0(VALU_DEP_2) | instskip(NEXT) | instid1(VALU_DEP_2)
	v_add_f64 v[4:5], v[4:5], -v[14:15]
	v_fma_f64 v[240:241], v[242:243], v[12:13], v[240:241]
	s_delay_alu instid0(VALU_DEP_1) | instskip(SKIP_3) | instid1(VALU_DEP_1)
	v_add_f64 v[6:7], v[6:7], -v[240:241]
	ds_load_2addr_b64 v[240:243], v254 offset0:100 offset1:101
	s_waitcnt lgkmcnt(0)
	v_mul_f64 v[14:15], v[242:243], v[244:245]
	v_fma_f64 v[14:15], v[240:241], v[12:13], -v[14:15]
	v_mul_f64 v[240:241], v[240:241], v[244:245]
	s_delay_alu instid0(VALU_DEP_2) | instskip(NEXT) | instid1(VALU_DEP_2)
	v_add_f64 v[0:1], v[0:1], -v[14:15]
	v_fma_f64 v[240:241], v[242:243], v[12:13], v[240:241]
	v_dual_mov_b32 v14, v244 :: v_dual_mov_b32 v15, v245
	s_delay_alu instid0(VALU_DEP_2)
	v_add_f64 v[2:3], v[2:3], -v[240:241]
.LBB101_433:
	s_or_b32 exec_lo, exec_lo, s3
	scratch_load_b32 v204, off, off         ; 4-byte Folded Reload
	s_mov_b32 s4, exec_lo
	s_waitcnt vmcnt(0) lgkmcnt(0)
	s_barrier
	buffer_gl0_inv
	v_cmpx_eq_u32_e32 48, v204
	s_cbranch_execz .LBB101_440
; %bb.434:
	ds_store_2addr_b64 v255, v[8:9], v[10:11] offset1:1
	ds_store_2addr_b64 v254, v[4:5], v[6:7] offset0:98 offset1:99
	ds_store_2addr_b64 v254, v[0:1], v[2:3] offset0:100 offset1:101
	ds_load_2addr_b64 v[240:243], v255 offset1:1
	s_waitcnt lgkmcnt(0)
	v_cmp_neq_f64_e32 vcc_lo, 0, v[240:241]
	v_cmp_neq_f64_e64 s3, 0, v[242:243]
	s_delay_alu instid0(VALU_DEP_1) | instskip(NEXT) | instid1(SALU_CYCLE_1)
	s_or_b32 s3, vcc_lo, s3
	s_and_b32 exec_lo, exec_lo, s3
	s_cbranch_execz .LBB101_440
; %bb.435:
	v_cmp_gt_f64_e32 vcc_lo, 0, v[240:241]
	v_xor_b32_e32 v204, 0x80000000, v241
	s_mov_b32 s3, exec_lo
                                        ; implicit-def: $vgpr248_vgpr249
	s_delay_alu instid0(VALU_DEP_1) | instskip(SKIP_3) | instid1(VALU_DEP_1)
	v_cndmask_b32_e32 v245, v241, v204, vcc_lo
	v_cndmask_b32_e32 v244, v240, v240, vcc_lo
	v_cmp_gt_f64_e32 vcc_lo, 0, v[242:243]
	v_xor_b32_e32 v204, 0x80000000, v243
	v_dual_cndmask_b32 v246, v242, v242 :: v_dual_cndmask_b32 v247, v243, v204
	s_delay_alu instid0(VALU_DEP_1)
	v_cmpx_ngt_f64_e32 v[244:245], v[246:247]
	s_xor_b32 s3, exec_lo, s3
                                        ; implicit-def: $vgpr244_vgpr245_vgpr246_vgpr247
	s_cbranch_execz .LBB101_437
; %bb.436:
	v_div_scale_f64 v[244:245], null, v[242:243], v[242:243], v[240:241]
	v_div_scale_f64 v[250:251], vcc_lo, v[240:241], v[242:243], v[240:241]
	s_delay_alu instid0(VALU_DEP_2) | instskip(SKIP_2) | instid1(VALU_DEP_1)
	v_rcp_f64_e32 v[246:247], v[244:245]
	s_waitcnt_depctr 0xfff
	v_fma_f64 v[248:249], -v[244:245], v[246:247], 1.0
	v_fma_f64 v[246:247], v[246:247], v[248:249], v[246:247]
	s_delay_alu instid0(VALU_DEP_1) | instskip(NEXT) | instid1(VALU_DEP_1)
	v_fma_f64 v[248:249], -v[244:245], v[246:247], 1.0
	v_fma_f64 v[246:247], v[246:247], v[248:249], v[246:247]
	s_delay_alu instid0(VALU_DEP_1) | instskip(NEXT) | instid1(VALU_DEP_1)
	v_mul_f64 v[248:249], v[250:251], v[246:247]
	v_fma_f64 v[244:245], -v[244:245], v[248:249], v[250:251]
	s_delay_alu instid0(VALU_DEP_1) | instskip(NEXT) | instid1(VALU_DEP_1)
	v_div_fmas_f64 v[244:245], v[244:245], v[246:247], v[248:249]
	v_div_fixup_f64 v[244:245], v[244:245], v[242:243], v[240:241]
	s_delay_alu instid0(VALU_DEP_1) | instskip(NEXT) | instid1(VALU_DEP_1)
	v_fma_f64 v[240:241], v[240:241], v[244:245], v[242:243]
	v_div_scale_f64 v[242:243], null, v[240:241], v[240:241], 1.0
	s_delay_alu instid0(VALU_DEP_1) | instskip(SKIP_2) | instid1(VALU_DEP_1)
	v_rcp_f64_e32 v[246:247], v[242:243]
	s_waitcnt_depctr 0xfff
	v_fma_f64 v[248:249], -v[242:243], v[246:247], 1.0
	v_fma_f64 v[246:247], v[246:247], v[248:249], v[246:247]
	s_delay_alu instid0(VALU_DEP_1) | instskip(NEXT) | instid1(VALU_DEP_1)
	v_fma_f64 v[248:249], -v[242:243], v[246:247], 1.0
	v_fma_f64 v[246:247], v[246:247], v[248:249], v[246:247]
	v_div_scale_f64 v[248:249], vcc_lo, 1.0, v[240:241], 1.0
	s_delay_alu instid0(VALU_DEP_1) | instskip(NEXT) | instid1(VALU_DEP_1)
	v_mul_f64 v[250:251], v[248:249], v[246:247]
	v_fma_f64 v[242:243], -v[242:243], v[250:251], v[248:249]
	s_delay_alu instid0(VALU_DEP_1) | instskip(NEXT) | instid1(VALU_DEP_1)
	v_div_fmas_f64 v[242:243], v[242:243], v[246:247], v[250:251]
	v_div_fixup_f64 v[246:247], v[242:243], v[240:241], 1.0
                                        ; implicit-def: $vgpr240_vgpr241
	s_delay_alu instid0(VALU_DEP_1)
	v_mul_f64 v[248:249], v[244:245], v[246:247]
	v_xor_b32_e32 v247, 0x80000000, v247
.LBB101_437:
	s_and_not1_saveexec_b32 s3, s3
	s_cbranch_execz .LBB101_439
; %bb.438:
	v_div_scale_f64 v[244:245], null, v[240:241], v[240:241], v[242:243]
	v_div_scale_f64 v[250:251], vcc_lo, v[242:243], v[240:241], v[242:243]
	s_delay_alu instid0(VALU_DEP_2) | instskip(SKIP_2) | instid1(VALU_DEP_1)
	v_rcp_f64_e32 v[246:247], v[244:245]
	s_waitcnt_depctr 0xfff
	v_fma_f64 v[248:249], -v[244:245], v[246:247], 1.0
	v_fma_f64 v[246:247], v[246:247], v[248:249], v[246:247]
	s_delay_alu instid0(VALU_DEP_1) | instskip(NEXT) | instid1(VALU_DEP_1)
	v_fma_f64 v[248:249], -v[244:245], v[246:247], 1.0
	v_fma_f64 v[246:247], v[246:247], v[248:249], v[246:247]
	s_delay_alu instid0(VALU_DEP_1) | instskip(NEXT) | instid1(VALU_DEP_1)
	v_mul_f64 v[248:249], v[250:251], v[246:247]
	v_fma_f64 v[244:245], -v[244:245], v[248:249], v[250:251]
	s_delay_alu instid0(VALU_DEP_1) | instskip(NEXT) | instid1(VALU_DEP_1)
	v_div_fmas_f64 v[244:245], v[244:245], v[246:247], v[248:249]
	v_div_fixup_f64 v[244:245], v[244:245], v[240:241], v[242:243]
	s_delay_alu instid0(VALU_DEP_1) | instskip(NEXT) | instid1(VALU_DEP_1)
	v_fma_f64 v[240:241], v[242:243], v[244:245], v[240:241]
	v_div_scale_f64 v[242:243], null, v[240:241], v[240:241], 1.0
	s_delay_alu instid0(VALU_DEP_1) | instskip(SKIP_2) | instid1(VALU_DEP_1)
	v_rcp_f64_e32 v[246:247], v[242:243]
	s_waitcnt_depctr 0xfff
	v_fma_f64 v[248:249], -v[242:243], v[246:247], 1.0
	v_fma_f64 v[246:247], v[246:247], v[248:249], v[246:247]
	s_delay_alu instid0(VALU_DEP_1) | instskip(NEXT) | instid1(VALU_DEP_1)
	v_fma_f64 v[248:249], -v[242:243], v[246:247], 1.0
	v_fma_f64 v[246:247], v[246:247], v[248:249], v[246:247]
	v_div_scale_f64 v[248:249], vcc_lo, 1.0, v[240:241], 1.0
	s_delay_alu instid0(VALU_DEP_1) | instskip(NEXT) | instid1(VALU_DEP_1)
	v_mul_f64 v[250:251], v[248:249], v[246:247]
	v_fma_f64 v[242:243], -v[242:243], v[250:251], v[248:249]
	s_delay_alu instid0(VALU_DEP_1) | instskip(NEXT) | instid1(VALU_DEP_1)
	v_div_fmas_f64 v[242:243], v[242:243], v[246:247], v[250:251]
	v_div_fixup_f64 v[248:249], v[242:243], v[240:241], 1.0
	s_delay_alu instid0(VALU_DEP_1)
	v_mul_f64 v[246:247], v[244:245], -v[248:249]
.LBB101_439:
	s_or_b32 exec_lo, exec_lo, s3
	ds_store_2addr_b64 v255, v[248:249], v[246:247] offset1:1
.LBB101_440:
	s_or_b32 exec_lo, exec_lo, s4
	s_waitcnt lgkmcnt(0)
	s_barrier
	buffer_gl0_inv
	scratch_load_b32 v204, off, off         ; 4-byte Folded Reload
	ds_load_2addr_b64 v[240:243], v255 offset1:1
	s_mov_b32 s3, exec_lo
	s_waitcnt vmcnt(0)
	v_cmpx_lt_u32_e32 48, v204
	s_cbranch_execz .LBB101_442
; %bb.441:
	s_waitcnt lgkmcnt(0)
	v_mul_f64 v[244:245], v[240:241], v[10:11]
	v_mul_f64 v[10:11], v[242:243], v[10:11]
	s_delay_alu instid0(VALU_DEP_2) | instskip(SKIP_4) | instid1(VALU_DEP_1)
	v_fma_f64 v[248:249], v[242:243], v[8:9], v[244:245]
	ds_load_2addr_b64 v[244:247], v254 offset0:98 offset1:99
	v_fma_f64 v[8:9], v[240:241], v[8:9], -v[10:11]
	s_waitcnt lgkmcnt(0)
	v_mul_f64 v[10:11], v[246:247], v[248:249]
	v_fma_f64 v[10:11], v[244:245], v[8:9], -v[10:11]
	v_mul_f64 v[244:245], v[244:245], v[248:249]
	s_delay_alu instid0(VALU_DEP_2) | instskip(NEXT) | instid1(VALU_DEP_2)
	v_add_f64 v[4:5], v[4:5], -v[10:11]
	v_fma_f64 v[244:245], v[246:247], v[8:9], v[244:245]
	s_delay_alu instid0(VALU_DEP_1) | instskip(SKIP_3) | instid1(VALU_DEP_1)
	v_add_f64 v[6:7], v[6:7], -v[244:245]
	ds_load_2addr_b64 v[244:247], v254 offset0:100 offset1:101
	s_waitcnt lgkmcnt(0)
	v_mul_f64 v[10:11], v[246:247], v[248:249]
	v_fma_f64 v[10:11], v[244:245], v[8:9], -v[10:11]
	v_mul_f64 v[244:245], v[244:245], v[248:249]
	s_delay_alu instid0(VALU_DEP_2) | instskip(NEXT) | instid1(VALU_DEP_2)
	v_add_f64 v[0:1], v[0:1], -v[10:11]
	v_fma_f64 v[244:245], v[246:247], v[8:9], v[244:245]
	v_dual_mov_b32 v10, v248 :: v_dual_mov_b32 v11, v249
	s_delay_alu instid0(VALU_DEP_2)
	v_add_f64 v[2:3], v[2:3], -v[244:245]
.LBB101_442:
	s_or_b32 exec_lo, exec_lo, s3
	scratch_load_b32 v204, off, off         ; 4-byte Folded Reload
	s_mov_b32 s4, exec_lo
	s_waitcnt vmcnt(0) lgkmcnt(0)
	s_barrier
	buffer_gl0_inv
	v_cmpx_eq_u32_e32 49, v204
	s_cbranch_execz .LBB101_449
; %bb.443:
	ds_store_2addr_b64 v255, v[4:5], v[6:7] offset1:1
	ds_store_2addr_b64 v254, v[0:1], v[2:3] offset0:100 offset1:101
	ds_load_2addr_b64 v[244:247], v255 offset1:1
	s_waitcnt lgkmcnt(0)
	v_cmp_neq_f64_e32 vcc_lo, 0, v[244:245]
	v_cmp_neq_f64_e64 s3, 0, v[246:247]
	s_delay_alu instid0(VALU_DEP_1) | instskip(NEXT) | instid1(SALU_CYCLE_1)
	s_or_b32 s3, vcc_lo, s3
	s_and_b32 exec_lo, exec_lo, s3
	s_cbranch_execz .LBB101_449
; %bb.444:
	v_cmp_gt_f64_e32 vcc_lo, 0, v[244:245]
	v_xor_b32_e32 v204, 0x80000000, v245
	s_mov_b32 s3, exec_lo
                                        ; implicit-def: $vgpr252_vgpr253
	s_delay_alu instid0(VALU_DEP_1) | instskip(SKIP_3) | instid1(VALU_DEP_1)
	v_cndmask_b32_e32 v249, v245, v204, vcc_lo
	v_cndmask_b32_e32 v248, v244, v244, vcc_lo
	v_cmp_gt_f64_e32 vcc_lo, 0, v[246:247]
	v_xor_b32_e32 v204, 0x80000000, v247
	v_dual_cndmask_b32 v250, v246, v246 :: v_dual_cndmask_b32 v251, v247, v204
	s_delay_alu instid0(VALU_DEP_1)
	v_cmpx_ngt_f64_e32 v[248:249], v[250:251]
	s_xor_b32 s3, exec_lo, s3
                                        ; implicit-def: $vgpr248_vgpr249_vgpr250_vgpr251
	s_cbranch_execz .LBB101_446
; %bb.445:
	v_div_scale_f64 v[248:249], null, v[246:247], v[246:247], v[244:245]
	v_div_scale_f64 v[204:205], vcc_lo, v[244:245], v[246:247], v[244:245]
	s_delay_alu instid0(VALU_DEP_2) | instskip(SKIP_2) | instid1(VALU_DEP_1)
	v_rcp_f64_e32 v[250:251], v[248:249]
	s_waitcnt_depctr 0xfff
	v_fma_f64 v[252:253], -v[248:249], v[250:251], 1.0
	v_fma_f64 v[250:251], v[250:251], v[252:253], v[250:251]
	s_delay_alu instid0(VALU_DEP_1) | instskip(NEXT) | instid1(VALU_DEP_1)
	v_fma_f64 v[252:253], -v[248:249], v[250:251], 1.0
	v_fma_f64 v[206:207], v[250:251], v[252:253], v[250:251]
	s_delay_alu instid0(VALU_DEP_1) | instskip(NEXT) | instid1(VALU_DEP_1)
	v_mul_f64 v[250:251], v[204:205], v[206:207]
	v_fma_f64 v[204:205], -v[248:249], v[250:251], v[204:205]
	s_delay_alu instid0(VALU_DEP_1) | instskip(NEXT) | instid1(VALU_DEP_1)
	v_div_fmas_f64 v[204:205], v[204:205], v[206:207], v[250:251]
	v_div_fixup_f64 v[204:205], v[204:205], v[246:247], v[244:245]
	s_delay_alu instid0(VALU_DEP_1) | instskip(NEXT) | instid1(VALU_DEP_1)
	v_fma_f64 v[206:207], v[244:245], v[204:205], v[246:247]
	v_div_scale_f64 v[244:245], null, v[206:207], v[206:207], 1.0
	s_delay_alu instid0(VALU_DEP_1) | instskip(SKIP_2) | instid1(VALU_DEP_1)
	v_rcp_f64_e32 v[246:247], v[244:245]
	s_waitcnt_depctr 0xfff
	v_fma_f64 v[248:249], -v[244:245], v[246:247], 1.0
	v_fma_f64 v[246:247], v[246:247], v[248:249], v[246:247]
	s_delay_alu instid0(VALU_DEP_1) | instskip(NEXT) | instid1(VALU_DEP_1)
	v_fma_f64 v[248:249], -v[244:245], v[246:247], 1.0
	v_fma_f64 v[246:247], v[246:247], v[248:249], v[246:247]
	v_div_scale_f64 v[248:249], vcc_lo, 1.0, v[206:207], 1.0
	s_delay_alu instid0(VALU_DEP_1) | instskip(NEXT) | instid1(VALU_DEP_1)
	v_mul_f64 v[250:251], v[248:249], v[246:247]
	v_fma_f64 v[244:245], -v[244:245], v[250:251], v[248:249]
	s_delay_alu instid0(VALU_DEP_1) | instskip(NEXT) | instid1(VALU_DEP_1)
	v_div_fmas_f64 v[244:245], v[244:245], v[246:247], v[250:251]
	v_div_fixup_f64 v[250:251], v[244:245], v[206:207], 1.0
                                        ; implicit-def: $vgpr244_vgpr245
	s_delay_alu instid0(VALU_DEP_1)
	v_mul_f64 v[252:253], v[204:205], v[250:251]
	v_xor_b32_e32 v251, 0x80000000, v251
.LBB101_446:
	s_and_not1_saveexec_b32 s3, s3
	s_cbranch_execz .LBB101_448
; %bb.447:
	v_div_scale_f64 v[204:205], null, v[244:245], v[244:245], v[246:247]
	v_div_scale_f64 v[250:251], vcc_lo, v[246:247], v[244:245], v[246:247]
	s_delay_alu instid0(VALU_DEP_2) | instskip(SKIP_2) | instid1(VALU_DEP_1)
	v_rcp_f64_e32 v[206:207], v[204:205]
	s_waitcnt_depctr 0xfff
	v_fma_f64 v[248:249], -v[204:205], v[206:207], 1.0
	v_fma_f64 v[206:207], v[206:207], v[248:249], v[206:207]
	s_delay_alu instid0(VALU_DEP_1) | instskip(NEXT) | instid1(VALU_DEP_1)
	v_fma_f64 v[248:249], -v[204:205], v[206:207], 1.0
	v_fma_f64 v[206:207], v[206:207], v[248:249], v[206:207]
	s_delay_alu instid0(VALU_DEP_1) | instskip(NEXT) | instid1(VALU_DEP_1)
	v_mul_f64 v[248:249], v[250:251], v[206:207]
	v_fma_f64 v[204:205], -v[204:205], v[248:249], v[250:251]
	s_delay_alu instid0(VALU_DEP_1) | instskip(NEXT) | instid1(VALU_DEP_1)
	v_div_fmas_f64 v[204:205], v[204:205], v[206:207], v[248:249]
	v_div_fixup_f64 v[204:205], v[204:205], v[244:245], v[246:247]
	s_delay_alu instid0(VALU_DEP_1) | instskip(NEXT) | instid1(VALU_DEP_1)
	v_fma_f64 v[206:207], v[246:247], v[204:205], v[244:245]
	v_div_scale_f64 v[244:245], null, v[206:207], v[206:207], 1.0
	s_delay_alu instid0(VALU_DEP_1) | instskip(SKIP_2) | instid1(VALU_DEP_1)
	v_rcp_f64_e32 v[246:247], v[244:245]
	s_waitcnt_depctr 0xfff
	v_fma_f64 v[248:249], -v[244:245], v[246:247], 1.0
	v_fma_f64 v[246:247], v[246:247], v[248:249], v[246:247]
	s_delay_alu instid0(VALU_DEP_1) | instskip(NEXT) | instid1(VALU_DEP_1)
	v_fma_f64 v[248:249], -v[244:245], v[246:247], 1.0
	v_fma_f64 v[246:247], v[246:247], v[248:249], v[246:247]
	v_div_scale_f64 v[248:249], vcc_lo, 1.0, v[206:207], 1.0
	s_delay_alu instid0(VALU_DEP_1) | instskip(NEXT) | instid1(VALU_DEP_1)
	v_mul_f64 v[250:251], v[248:249], v[246:247]
	v_fma_f64 v[244:245], -v[244:245], v[250:251], v[248:249]
	s_delay_alu instid0(VALU_DEP_1) | instskip(NEXT) | instid1(VALU_DEP_1)
	v_div_fmas_f64 v[244:245], v[244:245], v[246:247], v[250:251]
	v_div_fixup_f64 v[252:253], v[244:245], v[206:207], 1.0
	s_delay_alu instid0(VALU_DEP_1)
	v_mul_f64 v[250:251], v[204:205], -v[252:253]
.LBB101_448:
	s_or_b32 exec_lo, exec_lo, s3
	ds_store_2addr_b64 v255, v[252:253], v[250:251] offset1:1
.LBB101_449:
	s_or_b32 exec_lo, exec_lo, s4
	s_waitcnt lgkmcnt(0)
	s_barrier
	buffer_gl0_inv
	scratch_load_b32 v204, off, off         ; 4-byte Folded Reload
	ds_load_2addr_b64 v[244:247], v255 offset1:1
	s_mov_b32 s3, exec_lo
	s_waitcnt vmcnt(0)
	v_cmpx_lt_u32_e32 49, v204
	s_cbranch_execz .LBB101_451
; %bb.450:
	s_waitcnt lgkmcnt(0)
	v_mul_f64 v[204:205], v[244:245], v[6:7]
	v_mul_f64 v[6:7], v[246:247], v[6:7]
	ds_load_2addr_b64 v[248:251], v254 offset0:100 offset1:101
	v_fma_f64 v[204:205], v[246:247], v[4:5], v[204:205]
	v_fma_f64 v[4:5], v[244:245], v[4:5], -v[6:7]
	s_waitcnt lgkmcnt(0)
	s_delay_alu instid0(VALU_DEP_2) | instskip(SKIP_1) | instid1(VALU_DEP_2)
	v_mul_f64 v[6:7], v[250:251], v[204:205]
	v_mul_f64 v[206:207], v[248:249], v[204:205]
	v_fma_f64 v[6:7], v[248:249], v[4:5], -v[6:7]
	s_delay_alu instid0(VALU_DEP_2) | instskip(NEXT) | instid1(VALU_DEP_2)
	v_fma_f64 v[206:207], v[250:251], v[4:5], v[206:207]
	v_add_f64 v[0:1], v[0:1], -v[6:7]
	s_delay_alu instid0(VALU_DEP_2)
	v_add_f64 v[2:3], v[2:3], -v[206:207]
	v_dual_mov_b32 v6, v204 :: v_dual_mov_b32 v7, v205
.LBB101_451:
	s_or_b32 exec_lo, exec_lo, s3
	scratch_load_b32 v204, off, off         ; 4-byte Folded Reload
	s_mov_b32 s4, exec_lo
	s_waitcnt vmcnt(0) lgkmcnt(0)
	s_barrier
	buffer_gl0_inv
	v_cmpx_eq_u32_e32 50, v204
	s_cbranch_execz .LBB101_458
; %bb.452:
	v_cmp_neq_f64_e32 vcc_lo, 0, v[0:1]
	v_cmp_neq_f64_e64 s3, 0, v[2:3]
	ds_store_2addr_b64 v255, v[0:1], v[2:3] offset1:1
	s_or_b32 s3, vcc_lo, s3
	s_delay_alu instid0(SALU_CYCLE_1)
	s_and_b32 exec_lo, exec_lo, s3
	s_cbranch_execz .LBB101_458
; %bb.453:
	v_cmp_gt_f64_e32 vcc_lo, 0, v[0:1]
	v_xor_b32_e32 v204, 0x80000000, v1
	v_xor_b32_e32 v206, 0x80000000, v3
                                        ; implicit-def: $vgpr252_vgpr253
	s_delay_alu instid0(VALU_DEP_2) | instskip(SKIP_2) | instid1(VALU_DEP_4)
	v_cndmask_b32_e32 v205, v1, v204, vcc_lo
	v_cndmask_b32_e32 v204, v0, v0, vcc_lo
	v_cmp_gt_f64_e32 vcc_lo, 0, v[2:3]
	v_cndmask_b32_e32 v207, v3, v206, vcc_lo
	v_cndmask_b32_e32 v206, v2, v2, vcc_lo
	s_delay_alu instid0(VALU_DEP_1) | instskip(SKIP_1) | instid1(SALU_CYCLE_1)
	v_cmp_ngt_f64_e32 vcc_lo, v[204:205], v[206:207]
	s_mov_b32 s3, exec_lo
	s_and_b32 s5, s3, vcc_lo
                                        ; implicit-def: $vgpr248_vgpr249_vgpr250_vgpr251
	scratch_store_b128 off, v[240:243], off offset:1072 ; 16-byte Folded Spill
	s_xor_b32 s3, s5, s3
	s_mov_b32 exec_lo, s5
	s_cbranch_execz .LBB101_455
; %bb.454:
	v_div_scale_f64 v[204:205], null, v[2:3], v[2:3], v[0:1]
	v_div_scale_f64 v[250:251], vcc_lo, v[0:1], v[2:3], v[0:1]
	v_dual_mov_b32 v243, v239 :: v_dual_mov_b32 v242, v238
	v_dual_mov_b32 v241, v237 :: v_dual_mov_b32 v240, v236
	;; [unrolled: 1-line block ×6, first 2 shown]
	v_rcp_f64_e32 v[206:207], v[204:205]
	s_waitcnt_depctr 0xfff
	v_fma_f64 v[248:249], -v[204:205], v[206:207], 1.0
	s_delay_alu instid0(VALU_DEP_1) | instskip(NEXT) | instid1(VALU_DEP_1)
	v_fma_f64 v[206:207], v[206:207], v[248:249], v[206:207]
	v_fma_f64 v[248:249], -v[204:205], v[206:207], 1.0
	s_delay_alu instid0(VALU_DEP_1) | instskip(NEXT) | instid1(VALU_DEP_1)
	v_fma_f64 v[206:207], v[206:207], v[248:249], v[206:207]
	v_mul_f64 v[248:249], v[250:251], v[206:207]
	s_delay_alu instid0(VALU_DEP_1) | instskip(NEXT) | instid1(VALU_DEP_1)
	v_fma_f64 v[204:205], -v[204:205], v[248:249], v[250:251]
	v_div_fmas_f64 v[204:205], v[204:205], v[206:207], v[248:249]
	s_delay_alu instid0(VALU_DEP_1) | instskip(NEXT) | instid1(VALU_DEP_1)
	v_div_fixup_f64 v[204:205], v[204:205], v[2:3], v[0:1]
	v_fma_f64 v[206:207], v[0:1], v[204:205], v[2:3]
	v_dual_mov_b32 v0, v4 :: v_dual_mov_b32 v1, v5
	v_dual_mov_b32 v2, v6 :: v_dual_mov_b32 v3, v7
	;; [unrolled: 1-line block ×19, first 2 shown]
	v_div_scale_f64 v[248:249], null, v[206:207], v[206:207], 1.0
	v_dual_mov_b32 v38, v42 :: v_dual_mov_b32 v39, v43
	v_dual_mov_b32 v40, v44 :: v_dual_mov_b32 v41, v45
	;; [unrolled: 1-line block ×18, first 2 shown]
	v_rcp_f64_e32 v[250:251], v[248:249]
	v_dual_mov_b32 v70, v74 :: v_dual_mov_b32 v71, v75
	v_dual_mov_b32 v72, v76 :: v_dual_mov_b32 v73, v77
	;; [unrolled: 1-line block ×20, first 2 shown]
	s_delay_alu instid0(TRANS32_DEP_1)
	v_fma_f64 v[252:253], -v[248:249], v[250:251], 1.0
	v_dual_mov_b32 v106, v110 :: v_dual_mov_b32 v107, v111
	v_dual_mov_b32 v108, v112 :: v_dual_mov_b32 v109, v113
	;; [unrolled: 1-line block ×19, first 2 shown]
	v_fma_f64 v[250:251], v[250:251], v[252:253], v[250:251]
	v_dual_mov_b32 v140, v144 :: v_dual_mov_b32 v141, v145
	v_dual_mov_b32 v142, v146 :: v_dual_mov_b32 v143, v147
	;; [unrolled: 1-line block ×19, first 2 shown]
	v_fma_f64 v[252:253], -v[248:249], v[250:251], 1.0
	v_dual_mov_b32 v174, v178 :: v_dual_mov_b32 v175, v179
	v_dual_mov_b32 v176, v180 :: v_dual_mov_b32 v177, v181
	;; [unrolled: 1-line block ×17, first 2 shown]
	v_fma_f64 v[250:251], v[250:251], v[252:253], v[250:251]
	v_div_scale_f64 v[252:253], vcc_lo, 1.0, v[206:207], 1.0
	s_delay_alu instid0(VALU_DEP_1) | instskip(NEXT) | instid1(VALU_DEP_1)
	v_mul_f64 v[208:209], v[252:253], v[250:251]
	v_fma_f64 v[210:211], -v[248:249], v[208:209], v[252:253]
	s_delay_alu instid0(VALU_DEP_1) | instskip(NEXT) | instid1(VALU_DEP_1)
	v_div_fmas_f64 v[208:209], v[210:211], v[250:251], v[208:209]
	v_div_fixup_f64 v[250:251], v[208:209], v[206:207], 1.0
	v_dual_mov_b32 v211, v203 :: v_dual_mov_b32 v210, v202
	v_dual_mov_b32 v209, v201 :: v_dual_mov_b32 v208, v200
	;; [unrolled: 1-line block ×118, first 2 shown]
	scratch_load_b128 v[240:243], off, off offset:1072 ; 16-byte Folded Reload
	v_mul_f64 v[252:253], v[204:205], v[250:251]
	v_xor_b32_e32 v251, 0x80000000, v251
.LBB101_455:
	s_and_not1_saveexec_b32 s3, s3
	s_cbranch_execz .LBB101_457
; %bb.456:
	v_div_scale_f64 v[204:205], null, v[0:1], v[0:1], v[2:3]
	s_waitcnt vmcnt(0)
	v_dual_mov_b32 v243, v239 :: v_dual_mov_b32 v242, v238
	v_dual_mov_b32 v241, v237 :: v_dual_mov_b32 v240, v236
	;; [unrolled: 1-line block ×35, first 2 shown]
	v_rcp_f64_e32 v[206:207], v[204:205]
	v_dual_mov_b32 v58, v62 :: v_dual_mov_b32 v59, v63
	v_dual_mov_b32 v60, v64 :: v_dual_mov_b32 v61, v65
	;; [unrolled: 1-line block ×81, first 2 shown]
	v_fma_f64 v[208:209], -v[204:205], v[206:207], 1.0
	v_div_scale_f64 v[210:211], vcc_lo, v[2:3], v[0:1], v[2:3]
	s_delay_alu instid0(VALU_DEP_2) | instskip(NEXT) | instid1(VALU_DEP_1)
	v_fma_f64 v[206:207], v[206:207], v[208:209], v[206:207]
	v_fma_f64 v[208:209], -v[204:205], v[206:207], 1.0
	s_delay_alu instid0(VALU_DEP_1) | instskip(NEXT) | instid1(VALU_DEP_1)
	v_fma_f64 v[206:207], v[206:207], v[208:209], v[206:207]
	v_mul_f64 v[208:209], v[210:211], v[206:207]
	s_delay_alu instid0(VALU_DEP_1) | instskip(NEXT) | instid1(VALU_DEP_1)
	v_fma_f64 v[204:205], -v[204:205], v[208:209], v[210:211]
	v_div_fmas_f64 v[204:205], v[204:205], v[206:207], v[208:209]
	s_delay_alu instid0(VALU_DEP_1) | instskip(NEXT) | instid1(VALU_DEP_1)
	v_div_fixup_f64 v[204:205], v[204:205], v[0:1], v[2:3]
	v_fma_f64 v[206:207], v[2:3], v[204:205], v[0:1]
	s_delay_alu instid0(VALU_DEP_1) | instskip(NEXT) | instid1(VALU_DEP_1)
	v_div_scale_f64 v[208:209], null, v[206:207], v[206:207], 1.0
	v_rcp_f64_e32 v[210:211], v[208:209]
	s_waitcnt_depctr 0xfff
	v_fma_f64 v[248:249], -v[208:209], v[210:211], 1.0
	s_delay_alu instid0(VALU_DEP_1) | instskip(NEXT) | instid1(VALU_DEP_1)
	v_fma_f64 v[210:211], v[210:211], v[248:249], v[210:211]
	v_fma_f64 v[248:249], -v[208:209], v[210:211], 1.0
	s_delay_alu instid0(VALU_DEP_1) | instskip(SKIP_1) | instid1(VALU_DEP_1)
	v_fma_f64 v[210:211], v[210:211], v[248:249], v[210:211]
	v_div_scale_f64 v[248:249], vcc_lo, 1.0, v[206:207], 1.0
	v_mul_f64 v[250:251], v[248:249], v[210:211]
	s_delay_alu instid0(VALU_DEP_1) | instskip(NEXT) | instid1(VALU_DEP_1)
	v_fma_f64 v[208:209], -v[208:209], v[250:251], v[248:249]
	v_div_fmas_f64 v[208:209], v[208:209], v[210:211], v[250:251]
	s_delay_alu instid0(VALU_DEP_1)
	v_div_fixup_f64 v[252:253], v[208:209], v[206:207], 1.0
	v_dual_mov_b32 v211, v203 :: v_dual_mov_b32 v210, v202
	v_dual_mov_b32 v209, v201 :: v_dual_mov_b32 v208, v200
	;; [unrolled: 1-line block ×116, first 2 shown]
	scratch_load_b128 v[240:243], off, off offset:1072 ; 16-byte Folded Reload
	v_mul_f64 v[250:251], v[204:205], -v[252:253]
.LBB101_457:
	s_or_b32 exec_lo, exec_lo, s3
	ds_store_2addr_b64 v255, v[252:253], v[250:251] offset1:1
.LBB101_458:
	s_or_b32 exec_lo, exec_lo, s4
	s_waitcnt vmcnt(0) lgkmcnt(0)
	s_waitcnt_vscnt null, 0x0
	s_barrier
	buffer_gl0_inv
	scratch_load_b32 v204, off, off         ; 4-byte Folded Reload
	ds_load_2addr_b64 v[248:251], v255 offset1:1
	s_mov_b32 s3, exec_lo
	s_waitcnt vmcnt(0)
	v_cmpx_lt_u32_e32 50, v204
	s_cbranch_execz .LBB101_460
; %bb.459:
	s_waitcnt lgkmcnt(0)
	v_mul_f64 v[204:205], v[250:251], v[2:3]
	v_mul_f64 v[2:3], v[248:249], v[2:3]
	s_delay_alu instid0(VALU_DEP_2) | instskip(NEXT) | instid1(VALU_DEP_2)
	v_fma_f64 v[204:205], v[248:249], v[0:1], -v[204:205]
	v_fma_f64 v[2:3], v[250:251], v[0:1], v[2:3]
	s_delay_alu instid0(VALU_DEP_2)
	v_dual_mov_b32 v0, v204 :: v_dual_mov_b32 v1, v205
.LBB101_460:
	s_or_b32 exec_lo, exec_lo, s3
	s_waitcnt lgkmcnt(0)
	s_barrier
	buffer_gl0_inv
	s_and_saveexec_b32 s12, s2
	s_cbranch_execz .LBB101_463
; %bb.461:
	scratch_load_b128 v[204:207], off, off offset:424 ; 16-byte Folded Reload
	scratch_store_b128 off, v[104:107], off ; 16-byte Folded Spill
	v_dual_mov_b32 v104, v108 :: v_dual_mov_b32 v107, v111
	v_mov_b32_e32 v106, v110
	s_load_b64 s[14:15], s[0:1], 0x28
	v_dual_mov_b32 v105, v109 :: v_dual_mov_b32 v108, v112
	v_mov_b32_e32 v111, v115
	v_dual_mov_b32 v109, v113 :: v_dual_mov_b32 v110, v114
	v_dual_mov_b32 v112, v116 :: v_dual_mov_b32 v115, v119
	;; [unrolled: 1-line block ×47, first 2 shown]
	s_waitcnt vmcnt(0)
	v_cmp_eq_f64_e32 vcc_lo, 0, v[204:205]
	v_cmp_eq_f64_e64 s2, 0, v[206:207]
	scratch_load_b128 v[204:207], off, off offset:440 ; 16-byte Folded Reload
	s_and_b32 s2, vcc_lo, s2
	s_waitcnt vmcnt(0)
	v_cmp_neq_f64_e64 s3, 0, v[204:205]
	v_cmp_neq_f64_e64 s4, 0, v[206:207]
	scratch_load_b128 v[204:207], off, off offset:456 ; 16-byte Folded Reload
	s_or_b32 s3, s3, s4
	s_delay_alu instid0(SALU_CYCLE_1)
	s_or_b32 vcc_lo, s3, s2
	s_waitcnt vmcnt(0)
	v_cmp_eq_f64_e64 s5, 0, v[204:205]
	v_cmp_eq_f64_e64 s6, 0, v[206:207]
	scratch_load_b128 v[204:207], off, off offset:472 ; 16-byte Folded Reload
	s_and_b32 s4, s5, s6
	s_waitcnt vmcnt(0)
	v_cmp_eq_f64_e64 s7, 0, v[204:205]
	v_cmp_eq_f64_e64 s8, 0, v[206:207]
	scratch_load_b128 v[204:207], off, off offset:488 ; 16-byte Folded Reload
	s_and_b32 s6, s7, s8
	s_waitcnt vmcnt(0)
	v_cmp_eq_f64_e64 s9, 0, v[204:205]
	v_cndmask_b32_e64 v204, 0, 1, s2
	v_cmp_eq_f64_e64 s10, 0, v[206:207]
	scratch_load_b128 v[205:208], off, off offset:504 ; 16-byte Folded Reload
	v_cndmask_b32_e32 v204, 2, v204, vcc_lo
	s_delay_alu instid0(VALU_DEP_1) | instskip(NEXT) | instid1(VALU_DEP_1)
	v_cmp_eq_u32_e64 s3, 0, v204
	s_and_b32 s3, s4, s3
	s_delay_alu instid0(SALU_CYCLE_1) | instskip(NEXT) | instid1(VALU_DEP_1)
	v_cndmask_b32_e64 v204, v204, 3, s3
	v_cmp_eq_u32_e64 s5, 0, v204
	s_delay_alu instid0(VALU_DEP_1) | instskip(NEXT) | instid1(SALU_CYCLE_1)
	s_and_b32 s5, s6, s5
	v_cndmask_b32_e64 v204, v204, 4, s5
	s_delay_alu instid0(VALU_DEP_1)
	v_cmp_eq_u32_e64 s7, 0, v204
	s_and_b32 s8, s9, s10
	s_delay_alu instid0(VALU_DEP_1) | instid1(SALU_CYCLE_1)
	s_and_b32 s7, s8, s7
	s_delay_alu instid0(SALU_CYCLE_1) | instskip(NEXT) | instid1(VALU_DEP_1)
	v_cndmask_b32_e64 v204, v204, 5, s7
	v_cmp_eq_u32_e64 s9, 0, v204
	s_waitcnt vmcnt(0)
	v_cmp_eq_f64_e32 vcc_lo, 0, v[205:206]
	v_cmp_eq_f64_e64 s2, 0, v[207:208]
	scratch_load_b128 v[205:208], off, off offset:520 ; 16-byte Folded Reload
	s_and_b32 s2, vcc_lo, s2
	s_delay_alu instid0(SALU_CYCLE_1) | instskip(NEXT) | instid1(SALU_CYCLE_1)
	s_and_b32 s2, s2, s9
	v_cndmask_b32_e64 v204, v204, 6, s2
	s_delay_alu instid0(VALU_DEP_1)
	v_cmp_eq_u32_e64 s9, 0, v204
	s_waitcnt vmcnt(0)
	v_cmp_eq_f64_e64 s3, 0, v[205:206]
	v_cmp_eq_f64_e64 s4, 0, v[207:208]
	scratch_load_b128 v[205:208], off, off offset:536 ; 16-byte Folded Reload
	s_and_b32 s3, s3, s4
	s_delay_alu instid0(SALU_CYCLE_1) | instskip(NEXT) | instid1(SALU_CYCLE_1)
	s_and_b32 s3, s3, s9
	v_cndmask_b32_e64 v204, v204, 7, s3
	s_delay_alu instid0(VALU_DEP_1)
	v_cmp_eq_u32_e64 s9, 0, v204
	s_waitcnt vmcnt(0)
	v_cmp_eq_f64_e64 s5, 0, v[205:206]
	v_cmp_eq_f64_e64 s6, 0, v[207:208]
	scratch_load_b128 v[205:208], off, off offset:552 ; 16-byte Folded Reload
	s_and_b32 s5, s5, s6
	s_delay_alu instid0(SALU_CYCLE_1) | instskip(NEXT) | instid1(SALU_CYCLE_1)
	s_and_b32 s5, s5, s9
	v_cndmask_b32_e64 v204, v204, 8, s5
	s_delay_alu instid0(VALU_DEP_1)
	v_cmp_eq_u32_e64 s9, 0, v204
	s_waitcnt vmcnt(0)
	v_cmp_eq_f64_e64 s7, 0, v[205:206]
	v_cmp_eq_f64_e64 s8, 0, v[207:208]
	scratch_load_b128 v[205:208], off, off offset:568 ; 16-byte Folded Reload
	s_and_b32 s7, s7, s8
	s_delay_alu instid0(SALU_CYCLE_1) | instskip(NEXT) | instid1(SALU_CYCLE_1)
	s_and_b32 s7, s7, s9
	v_cndmask_b32_e64 v204, v204, 9, s7
	s_delay_alu instid0(VALU_DEP_1)
	v_cmp_eq_u32_e64 s9, 0, v204
	s_waitcnt vmcnt(0)
	v_cmp_eq_f64_e32 vcc_lo, 0, v[205:206]
	v_cmp_eq_f64_e64 s2, 0, v[207:208]
	scratch_load_b128 v[205:208], off, off offset:584 ; 16-byte Folded Reload
	s_and_b32 s2, vcc_lo, s2
	s_delay_alu instid0(SALU_CYCLE_1) | instskip(NEXT) | instid1(SALU_CYCLE_1)
	s_and_b32 s2, s2, s9
	v_cndmask_b32_e64 v204, v204, 10, s2
	s_delay_alu instid0(VALU_DEP_1)
	v_cmp_eq_u32_e64 s9, 0, v204
	s_waitcnt vmcnt(0)
	v_cmp_eq_f64_e64 s3, 0, v[205:206]
	v_cmp_eq_f64_e64 s4, 0, v[207:208]
	scratch_load_b128 v[205:208], off, off offset:600 ; 16-byte Folded Reload
	s_and_b32 s3, s3, s4
	s_delay_alu instid0(SALU_CYCLE_1) | instskip(NEXT) | instid1(SALU_CYCLE_1)
	s_and_b32 s3, s3, s9
	v_cndmask_b32_e64 v204, v204, 11, s3
	s_delay_alu instid0(VALU_DEP_1)
	v_cmp_eq_u32_e64 s9, 0, v204
	s_waitcnt vmcnt(0)
	v_cmp_eq_f64_e64 s5, 0, v[205:206]
	v_cmp_eq_f64_e64 s6, 0, v[207:208]
	scratch_load_b128 v[205:208], off, off offset:616 ; 16-byte Folded Reload
	s_and_b32 s5, s5, s6
	s_delay_alu instid0(SALU_CYCLE_1) | instskip(NEXT) | instid1(SALU_CYCLE_1)
	s_and_b32 s5, s5, s9
	v_cndmask_b32_e64 v204, v204, 12, s5
	s_delay_alu instid0(VALU_DEP_1)
	v_cmp_eq_u32_e64 s9, 0, v204
	s_waitcnt vmcnt(0)
	v_cmp_eq_f64_e64 s7, 0, v[205:206]
	v_cmp_eq_f64_e64 s8, 0, v[207:208]
	scratch_load_b128 v[205:208], off, off offset:632 ; 16-byte Folded Reload
	s_and_b32 s7, s7, s8
	s_delay_alu instid0(SALU_CYCLE_1) | instskip(NEXT) | instid1(SALU_CYCLE_1)
	s_and_b32 s7, s7, s9
	v_cndmask_b32_e64 v204, v204, 13, s7
	s_delay_alu instid0(VALU_DEP_1)
	;; [unrolled: 40-line block ×3, first 2 shown]
	v_cmp_eq_u32_e64 s9, 0, v204
	s_waitcnt vmcnt(0)
	v_cmp_eq_f64_e32 vcc_lo, 0, v[205:206]
	v_cmp_eq_f64_e64 s2, 0, v[207:208]
	scratch_load_b128 v[205:208], off, off offset:712 ; 16-byte Folded Reload
	s_and_b32 s2, vcc_lo, s2
	s_delay_alu instid0(SALU_CYCLE_1) | instskip(NEXT) | instid1(SALU_CYCLE_1)
	s_and_b32 s2, s2, s9
	v_cndmask_b32_e64 v204, v204, 18, s2
	s_delay_alu instid0(VALU_DEP_1)
	v_cmp_eq_u32_e32 vcc_lo, 0, v204
	s_waitcnt vmcnt(0)
	v_cmp_eq_f64_e64 s3, 0, v[205:206]
	v_cmp_eq_f64_e64 s4, 0, v[207:208]
	scratch_load_b128 v[205:208], off, off offset:728 ; 16-byte Folded Reload
	s_and_b32 s2, s3, s4
	s_delay_alu instid0(SALU_CYCLE_1) | instskip(NEXT) | instid1(SALU_CYCLE_1)
	s_and_b32 s2, s2, vcc_lo
	v_cndmask_b32_e64 v204, v204, 19, s2
	s_delay_alu instid0(VALU_DEP_1)
	v_cmp_eq_u32_e64 s3, 0, v204
	s_waitcnt vmcnt(0)
	v_cmp_eq_f64_e64 s5, 0, v[205:206]
	v_cmp_eq_f64_e64 s6, 0, v[207:208]
	scratch_load_b128 v[205:208], off, off offset:744 ; 16-byte Folded Reload
	s_and_b32 s4, s5, s6
	s_delay_alu instid0(SALU_CYCLE_1) | instskip(NEXT) | instid1(SALU_CYCLE_1)
	s_and_b32 s0, s4, s3
	v_cndmask_b32_e64 v204, v204, 20, s0
	s_delay_alu instid0(VALU_DEP_1)
	v_cmp_eq_u32_e64 s3, 0, v204
	s_waitcnt vmcnt(0)
	v_cmp_eq_f64_e64 s7, 0, v[205:206]
	v_cmp_eq_f64_e64 s8, 0, v[207:208]
	scratch_load_b128 v[205:208], off, off offset:760 ; 16-byte Folded Reload
	s_and_b32 s4, s7, s8
	s_delay_alu instid0(SALU_CYCLE_1)
	s_and_b32 s3, s4, s3
	s_waitcnt vmcnt(0)
	v_cmp_eq_f64_e64 s10, 0, v[205:206]
	v_cmp_eq_f64_e64 s11, 0, v[207:208]
	scratch_load_b128 v[205:208], off, off offset:776 ; 16-byte Folded Reload
	s_and_b32 s7, s10, s11
	s_waitcnt vmcnt(0)
	v_cmp_eq_f64_e32 vcc_lo, 0, v[205:206]
	v_cmp_eq_f64_e64 s2, 0, v[207:208]
	scratch_load_b128 v[205:208], off, off offset:792 ; 16-byte Folded Reload
	s_and_b32 s2, vcc_lo, s2
	s_waitcnt vmcnt(0)
	v_cmp_eq_f64_e64 s0, 0, v[205:206]
	v_cndmask_b32_e64 v206, v204, 21, s3
	scratch_load_b64 v[204:205], off, off offset:1064 ; 8-byte Folded Reload
	v_cmp_eq_f64_e64 s1, 0, v[207:208]
	scratch_load_b128 v[207:210], off, off offset:808 ; 16-byte Folded Reload
	v_cmp_eq_u32_e64 s5, 0, v206
	s_delay_alu instid0(VALU_DEP_1)
	s_and_b32 s5, s7, s5
	s_and_b32 s0, s0, s1
	s_waitcnt vmcnt(1)
	v_lshlrev_b64 v[204:205], 2, v[204:205]
	s_waitcnt vmcnt(0)
	v_cmp_eq_f64_e64 s3, 0, v[207:208]
	v_cmp_eq_f64_e64 s4, 0, v[209:210]
	s_waitcnt lgkmcnt(0)
	s_delay_alu instid0(VALU_DEP_3) | instskip(NEXT) | instid1(VALU_DEP_1)
	v_add_co_u32 v252, s6, s14, v204
	v_add_co_ci_u32_e64 v253, s6, s15, v205, s6
	v_cndmask_b32_e64 v204, v206, 22, s5
	scratch_load_b128 v[205:208], off, off offset:824 ; 16-byte Folded Reload
	v_cmp_eq_u32_e64 s7, 0, v204
	s_delay_alu instid0(VALU_DEP_1) | instskip(NEXT) | instid1(SALU_CYCLE_1)
	s_and_b32 s2, s2, s7
	v_cndmask_b32_e64 v204, v204, 23, s2
	s_delay_alu instid0(VALU_DEP_1) | instskip(NEXT) | instid1(VALU_DEP_1)
	v_cmp_eq_u32_e64 s7, 0, v204
	s_and_b32 s0, s0, s7
	s_delay_alu instid0(SALU_CYCLE_1) | instskip(NEXT) | instid1(VALU_DEP_1)
	v_cndmask_b32_e64 v204, v204, 24, s0
	v_cmp_eq_u32_e64 s7, 0, v204
	s_and_b32 s3, s3, s4
	s_delay_alu instid0(VALU_DEP_1) | instid1(SALU_CYCLE_1)
	s_and_b32 s3, s3, s7
	s_delay_alu instid0(SALU_CYCLE_1) | instskip(NEXT) | instid1(VALU_DEP_1)
	v_cndmask_b32_e64 v204, v204, 25, s3
	v_cmp_eq_u32_e64 s7, 0, v204
	s_waitcnt vmcnt(0)
	v_cmp_eq_f64_e64 s5, 0, v[205:206]
	v_cmp_eq_f64_e64 s6, 0, v[207:208]
	scratch_load_b128 v[206:209], off, off offset:840 ; 16-byte Folded Reload
	global_load_b32 v205, v[252:253], off
	s_and_b32 s5, s5, s6
	s_delay_alu instid0(SALU_CYCLE_1) | instskip(NEXT) | instid1(SALU_CYCLE_1)
	s_and_b32 s5, s5, s7
	v_cndmask_b32_e64 v204, v204, 26, s5
	s_delay_alu instid0(VALU_DEP_1)
	v_cmp_eq_u32_e64 s7, 0, v204
	s_waitcnt vmcnt(1)
	v_cmp_eq_f64_e32 vcc_lo, 0, v[206:207]
	v_cmp_eq_f64_e64 s2, 0, v[208:209]
	scratch_load_b128 v[206:209], off, off offset:856 ; 16-byte Folded Reload
	s_and_b32 s2, vcc_lo, s2
	s_delay_alu instid0(SALU_CYCLE_1) | instskip(NEXT) | instid1(SALU_CYCLE_1)
	s_and_b32 s2, s2, s7
	v_cndmask_b32_e64 v204, v204, 27, s2
	s_delay_alu instid0(VALU_DEP_1)
	v_cmp_eq_u32_e64 s7, 0, v204
	s_waitcnt vmcnt(0)
	v_cmp_eq_f64_e64 s0, 0, v[206:207]
	v_cmp_eq_f64_e64 s1, 0, v[208:209]
	scratch_load_b128 v[206:209], off, off offset:872 ; 16-byte Folded Reload
	s_and_b32 s0, s0, s1
	s_delay_alu instid0(SALU_CYCLE_1) | instskip(NEXT) | instid1(SALU_CYCLE_1)
	s_and_b32 s0, s0, s7
	v_cndmask_b32_e64 v204, v204, 28, s0
	s_delay_alu instid0(VALU_DEP_1)
	v_cmp_eq_u32_e64 s7, 0, v204
	s_waitcnt vmcnt(0)
	v_cmp_eq_f64_e64 s3, 0, v[206:207]
	v_cmp_eq_f64_e64 s4, 0, v[208:209]
	scratch_load_b128 v[206:209], off, off offset:888 ; 16-byte Folded Reload
	s_and_b32 s3, s3, s4
	;; [unrolled: 10-line block ×3, first 2 shown]
	s_delay_alu instid0(SALU_CYCLE_1) | instskip(NEXT) | instid1(SALU_CYCLE_1)
	s_and_b32 s5, s5, s7
	v_cndmask_b32_e64 v204, v204, 30, s5
	s_delay_alu instid0(VALU_DEP_1)
	v_cmp_eq_u32_e64 s7, 0, v204
	s_waitcnt vmcnt(0)
	v_cmp_eq_f64_e32 vcc_lo, 0, v[206:207]
	v_cmp_eq_f64_e64 s2, 0, v[208:209]
	scratch_load_b128 v[206:209], off, off offset:920 ; 16-byte Folded Reload
	s_and_b32 s2, vcc_lo, s2
	s_delay_alu instid0(SALU_CYCLE_1) | instskip(NEXT) | instid1(SALU_CYCLE_1)
	s_and_b32 s2, s2, s7
	v_cndmask_b32_e64 v204, v204, 31, s2
	s_delay_alu instid0(VALU_DEP_1)
	v_cmp_eq_u32_e64 s7, 0, v204
	s_waitcnt vmcnt(0)
	v_cmp_eq_f64_e64 s0, 0, v[206:207]
	v_cmp_eq_f64_e64 s1, 0, v[208:209]
	scratch_load_b128 v[206:209], off, off offset:936 ; 16-byte Folded Reload
	s_and_b32 s0, s0, s1
	s_delay_alu instid0(SALU_CYCLE_1) | instskip(NEXT) | instid1(SALU_CYCLE_1)
	s_and_b32 s0, s0, s7
	v_cndmask_b32_e64 v204, v204, 32, s0
	s_delay_alu instid0(VALU_DEP_1)
	v_cmp_eq_u32_e64 s7, 0, v204
	s_waitcnt vmcnt(0)
	v_cmp_eq_f64_e64 s3, 0, v[206:207]
	v_cmp_eq_f64_e64 s4, 0, v[208:209]
	scratch_load_b128 v[206:209], off, off offset:952 ; 16-byte Folded Reload
	s_and_b32 s3, s3, s4
	;; [unrolled: 10-line block ×3, first 2 shown]
	s_delay_alu instid0(SALU_CYCLE_1) | instskip(NEXT) | instid1(SALU_CYCLE_1)
	s_and_b32 s5, s5, s7
	v_cndmask_b32_e64 v204, v204, 34, s5
	s_delay_alu instid0(VALU_DEP_1)
	v_cmp_eq_u32_e64 s7, 0, v204
	s_waitcnt vmcnt(0)
	v_cmp_eq_f64_e32 vcc_lo, 0, v[206:207]
	v_cmp_eq_f64_e64 s2, 0, v[208:209]
	scratch_load_b128 v[206:209], off, off offset:984 ; 16-byte Folded Reload
	s_and_b32 s2, vcc_lo, s2
	s_delay_alu instid0(SALU_CYCLE_1) | instskip(NEXT) | instid1(SALU_CYCLE_1)
	s_and_b32 s2, s2, s7
	v_cndmask_b32_e64 v204, v204, 35, s2
	s_delay_alu instid0(VALU_DEP_1)
	v_cmp_eq_u32_e64 s7, 0, v204
	s_waitcnt vmcnt(0)
	v_cmp_eq_f64_e64 s0, 0, v[206:207]
	v_cmp_eq_f64_e64 s1, 0, v[208:209]
	scratch_load_b128 v[206:209], off, off offset:1000 ; 16-byte Folded Reload
	s_and_b32 s0, s0, s1
	s_delay_alu instid0(SALU_CYCLE_1) | instskip(NEXT) | instid1(SALU_CYCLE_1)
	s_and_b32 s0, s0, s7
	v_cndmask_b32_e64 v204, v204, 36, s0
	s_delay_alu instid0(VALU_DEP_1)
	v_cmp_eq_u32_e64 s7, 0, v204
	s_waitcnt vmcnt(0)
	v_cmp_eq_f64_e64 s3, 0, v[206:207]
	v_cmp_eq_f64_e64 s4, 0, v[208:209]
	scratch_load_b128 v[206:209], off, off offset:1016 ; 16-byte Folded Reload
	s_and_b32 s3, s3, s4
	v_cmp_eq_f64_e64 s4, 0, v[202:203]
	s_and_b32 s3, s3, s7
	s_delay_alu instid0(SALU_CYCLE_1)
	v_cndmask_b32_e64 v204, v204, 37, s3
	v_cmp_eq_f64_e64 s3, 0, v[200:201]
	v_dual_mov_b32 v203, v199 :: v_dual_mov_b32 v202, v198
	v_dual_mov_b32 v201, v197 :: v_dual_mov_b32 v200, v196
	;; [unrolled: 1-line block ×48, first 2 shown]
	scratch_load_b128 v[104:107], off, off  ; 16-byte Folded Reload
	v_cmp_eq_u32_e64 s7, 0, v204
	s_and_b32 s3, s3, s4
	v_cmp_eq_f64_e64 s4, 0, v[226:227]
	s_waitcnt vmcnt(1)
	v_cmp_eq_f64_e64 s5, 0, v[206:207]
	v_cmp_eq_f64_e64 s6, 0, v[208:209]
	scratch_load_b128 v[206:209], off, off offset:1032 ; 16-byte Folded Reload
	s_and_b32 s5, s5, s6
	v_cmp_eq_f64_e64 s6, 0, v[214:215]
	s_and_b32 s5, s5, s7
	s_delay_alu instid0(SALU_CYCLE_1) | instskip(SKIP_1) | instid1(VALU_DEP_2)
	v_cndmask_b32_e64 v204, v204, 38, s5
	v_cmp_eq_f64_e64 s5, 0, v[212:213]
	v_cmp_eq_u32_e64 s7, 0, v204
	s_delay_alu instid0(VALU_DEP_2)
	s_and_b32 s5, s5, s6
	v_cmp_eq_f64_e64 s6, 0, v[230:231]
	s_waitcnt vmcnt(0)
	v_cmp_eq_f64_e32 vcc_lo, 0, v[206:207]
	v_cmp_eq_f64_e64 s2, 0, v[208:209]
	scratch_load_b128 v[206:209], off, off offset:1048 ; 16-byte Folded Reload
	s_and_b32 s2, vcc_lo, s2
	v_cmp_eq_f64_e32 vcc_lo, 0, v[216:217]
	s_and_b32 s2, s2, s7
	s_delay_alu instid0(SALU_CYCLE_1) | instskip(SKIP_1) | instid1(VALU_DEP_2)
	v_cndmask_b32_e64 v204, v204, 39, s2
	v_cmp_eq_f64_e64 s2, 0, v[218:219]
	v_cmp_eq_u32_e64 s7, 0, v204
	s_delay_alu instid0(VALU_DEP_2) | instskip(SKIP_4) | instid1(VALU_DEP_1)
	s_and_b32 s2, vcc_lo, s2
	v_cmp_eq_f64_e32 vcc_lo, 0, v[232:233]
	s_waitcnt vmcnt(0)
	v_cmp_eq_f64_e64 s0, 0, v[206:207]
	v_cmp_eq_f64_e64 s1, 0, v[208:209]
	s_and_b32 s0, s0, s1
	v_cmp_eq_f64_e64 s1, 0, v[222:223]
	s_and_b32 s0, s0, s7
	s_delay_alu instid0(SALU_CYCLE_1) | instskip(SKIP_1) | instid1(VALU_DEP_2)
	v_cndmask_b32_e64 v204, v204, 40, s0
	v_cmp_eq_f64_e64 s0, 0, v[220:221]
	v_cmp_eq_u32_e64 s7, 0, v204
	s_delay_alu instid0(VALU_DEP_1) | instskip(NEXT) | instid1(SALU_CYCLE_1)
	s_and_b32 s3, s3, s7
	v_cndmask_b32_e64 v204, v204, 41, s3
	v_cmp_eq_f64_e64 s3, 0, v[224:225]
	s_delay_alu instid0(VALU_DEP_2) | instskip(NEXT) | instid1(VALU_DEP_1)
	v_cmp_eq_u32_e64 s7, 0, v204
	s_and_b32 s5, s5, s7
	s_delay_alu instid0(SALU_CYCLE_1) | instskip(SKIP_1) | instid1(VALU_DEP_2)
	v_cndmask_b32_e64 v204, v204, 42, s5
	v_cmp_eq_f64_e64 s5, 0, v[228:229]
	v_cmp_eq_u32_e64 s7, 0, v204
	s_delay_alu instid0(VALU_DEP_1) | instskip(NEXT) | instid1(SALU_CYCLE_1)
	s_and_b32 s2, s2, s7
	v_cndmask_b32_e64 v204, v204, 43, s2
	v_cmp_eq_f64_e64 s2, 0, v[234:235]
	s_and_b32 s0, s0, s1
	v_cmp_eq_f64_e64 s1, 0, v[238:239]
	s_delay_alu instid0(VALU_DEP_3) | instskip(NEXT) | instid1(VALU_DEP_1)
	v_cmp_eq_u32_e64 s7, 0, v204
	s_and_b32 s0, s0, s7
	s_delay_alu instid0(SALU_CYCLE_1) | instskip(SKIP_3) | instid1(VALU_DEP_3)
	v_cndmask_b32_e64 v204, v204, 44, s0
	v_cmp_eq_f64_e64 s0, 0, v[236:237]
	s_and_b32 s3, s3, s4
	v_cmp_eq_f64_e64 s4, 0, v[242:243]
	v_cmp_eq_u32_e64 s7, 0, v204
	s_delay_alu instid0(VALU_DEP_1) | instskip(NEXT) | instid1(SALU_CYCLE_1)
	s_and_b32 s3, s3, s7
	v_cndmask_b32_e64 v204, v204, 45, s3
	v_cmp_eq_f64_e64 s3, 0, v[240:241]
	s_and_b32 s5, s5, s6
	v_cmp_eq_f64_e64 s6, 0, v[246:247]
	s_delay_alu instid0(VALU_DEP_3) | instskip(NEXT) | instid1(VALU_DEP_1)
	v_cmp_eq_u32_e64 s7, 0, v204
	s_and_b32 s5, s5, s7
	s_delay_alu instid0(SALU_CYCLE_1) | instskip(SKIP_3) | instid1(VALU_DEP_3)
	v_cndmask_b32_e64 v204, v204, 46, s5
	v_cmp_eq_f64_e64 s5, 0, v[244:245]
	s_and_b32 s2, vcc_lo, s2
	v_cmp_eq_f64_e32 vcc_lo, 0, v[248:249]
	v_cmp_eq_u32_e64 s7, 0, v204
	s_delay_alu instid0(VALU_DEP_1) | instskip(NEXT) | instid1(SALU_CYCLE_1)
	s_and_b32 s2, s2, s7
	v_cndmask_b32_e64 v204, v204, 47, s2
	v_cmp_eq_f64_e64 s2, 0, v[250:251]
	s_and_b32 s0, s0, s1
	s_delay_alu instid0(VALU_DEP_2) | instskip(NEXT) | instid1(VALU_DEP_1)
	v_cmp_eq_u32_e64 s7, 0, v204
	s_and_b32 s0, s0, s7
	s_delay_alu instid0(SALU_CYCLE_1) | instskip(SKIP_1) | instid1(VALU_DEP_1)
	v_cndmask_b32_e64 v204, v204, 48, s0
	s_and_b32 s1, s3, s4
	v_cmp_eq_u32_e64 s0, 0, v204
	s_delay_alu instid0(VALU_DEP_1) | instskip(NEXT) | instid1(SALU_CYCLE_1)
	s_and_b32 s0, s1, s0
	v_cndmask_b32_e64 v204, v204, 49, s0
	s_and_b32 s1, s5, s6
	s_delay_alu instid0(VALU_DEP_1) | instskip(NEXT) | instid1(VALU_DEP_1)
	v_cmp_eq_u32_e64 s0, 0, v204
	s_and_b32 s0, s1, s0
	s_delay_alu instid0(SALU_CYCLE_1) | instskip(SKIP_2) | instid1(VALU_DEP_2)
	v_cndmask_b32_e64 v204, v204, 50, s0
	s_and_b32 s1, vcc_lo, s2
	v_cmp_eq_u32_e32 vcc_lo, 0, v205
	v_cmp_eq_u32_e64 s0, 0, v204
	s_delay_alu instid0(VALU_DEP_1) | instskip(NEXT) | instid1(SALU_CYCLE_1)
	s_and_b32 s0, s1, s0
	v_cndmask_b32_e64 v204, v204, 51, s0
	s_delay_alu instid0(VALU_DEP_1) | instskip(NEXT) | instid1(VALU_DEP_1)
	v_cmp_ne_u32_e64 s0, 0, v204
	s_and_b32 s0, vcc_lo, s0
	s_delay_alu instid0(SALU_CYCLE_1)
	s_and_b32 exec_lo, exec_lo, s0
	s_cbranch_execz .LBB101_463
; %bb.462:
	v_add_nc_u32_e32 v204, s13, v204
	global_store_b32 v[252:253], v204, off
.LBB101_463:
	s_or_b32 exec_lo, exec_lo, s12
	scratch_load_b64 v[204:205], off, off offset:408 ; 8-byte Folded Reload
	s_waitcnt vmcnt(0)
	global_store_b128 v[204:205], v[200:203], off
	scratch_load_b64 v[200:201], off, off offset:416 ; 8-byte Folded Reload
	s_waitcnt vmcnt(0)
	global_store_b128 v[200:201], v[196:199], off
	;; [unrolled: 3-line block ×51, first 2 shown]
.LBB101_464:
	s_endpgm
	.section	.rodata,"a",@progbits
	.p2align	6, 0x0
	.amdhsa_kernel _ZN9rocsolver6v33100L23getf2_npvt_small_kernelILi51E19rocblas_complex_numIdEiiPKPS3_EEvT1_T3_lS7_lPT2_S7_S7_
		.amdhsa_group_segment_fixed_size 0
		.amdhsa_private_segment_fixed_size 1092
		.amdhsa_kernarg_size 312
		.amdhsa_user_sgpr_count 14
		.amdhsa_user_sgpr_dispatch_ptr 0
		.amdhsa_user_sgpr_queue_ptr 0
		.amdhsa_user_sgpr_kernarg_segment_ptr 1
		.amdhsa_user_sgpr_dispatch_id 0
		.amdhsa_user_sgpr_private_segment_size 0
		.amdhsa_wavefront_size32 1
		.amdhsa_uses_dynamic_stack 0
		.amdhsa_enable_private_segment 1
		.amdhsa_system_sgpr_workgroup_id_x 1
		.amdhsa_system_sgpr_workgroup_id_y 1
		.amdhsa_system_sgpr_workgroup_id_z 0
		.amdhsa_system_sgpr_workgroup_info 0
		.amdhsa_system_vgpr_workitem_id 1
		.amdhsa_next_free_vgpr 256
		.amdhsa_next_free_sgpr 18
		.amdhsa_reserve_vcc 1
		.amdhsa_float_round_mode_32 0
		.amdhsa_float_round_mode_16_64 0
		.amdhsa_float_denorm_mode_32 3
		.amdhsa_float_denorm_mode_16_64 3
		.amdhsa_dx10_clamp 1
		.amdhsa_ieee_mode 1
		.amdhsa_fp16_overflow 0
		.amdhsa_workgroup_processor_mode 1
		.amdhsa_memory_ordered 1
		.amdhsa_forward_progress 0
		.amdhsa_shared_vgpr_count 0
		.amdhsa_exception_fp_ieee_invalid_op 0
		.amdhsa_exception_fp_denorm_src 0
		.amdhsa_exception_fp_ieee_div_zero 0
		.amdhsa_exception_fp_ieee_overflow 0
		.amdhsa_exception_fp_ieee_underflow 0
		.amdhsa_exception_fp_ieee_inexact 0
		.amdhsa_exception_int_div_zero 0
	.end_amdhsa_kernel
	.section	.text._ZN9rocsolver6v33100L23getf2_npvt_small_kernelILi51E19rocblas_complex_numIdEiiPKPS3_EEvT1_T3_lS7_lPT2_S7_S7_,"axG",@progbits,_ZN9rocsolver6v33100L23getf2_npvt_small_kernelILi51E19rocblas_complex_numIdEiiPKPS3_EEvT1_T3_lS7_lPT2_S7_S7_,comdat
.Lfunc_end101:
	.size	_ZN9rocsolver6v33100L23getf2_npvt_small_kernelILi51E19rocblas_complex_numIdEiiPKPS3_EEvT1_T3_lS7_lPT2_S7_S7_, .Lfunc_end101-_ZN9rocsolver6v33100L23getf2_npvt_small_kernelILi51E19rocblas_complex_numIdEiiPKPS3_EEvT1_T3_lS7_lPT2_S7_S7_
                                        ; -- End function
	.section	.AMDGPU.csdata,"",@progbits
; Kernel info:
; codeLenInByte = 147088
; NumSgprs: 20
; NumVgprs: 256
; ScratchSize: 1092
; MemoryBound: 1
; FloatMode: 240
; IeeeMode: 1
; LDSByteSize: 0 bytes/workgroup (compile time only)
; SGPRBlocks: 2
; VGPRBlocks: 31
; NumSGPRsForWavesPerEU: 20
; NumVGPRsForWavesPerEU: 256
; Occupancy: 5
; WaveLimiterHint : 1
; COMPUTE_PGM_RSRC2:SCRATCH_EN: 1
; COMPUTE_PGM_RSRC2:USER_SGPR: 14
; COMPUTE_PGM_RSRC2:TRAP_HANDLER: 0
; COMPUTE_PGM_RSRC2:TGID_X_EN: 1
; COMPUTE_PGM_RSRC2:TGID_Y_EN: 1
; COMPUTE_PGM_RSRC2:TGID_Z_EN: 0
; COMPUTE_PGM_RSRC2:TIDIG_COMP_CNT: 1
	.section	.text._ZN9rocsolver6v33100L18getf2_small_kernelILi52E19rocblas_complex_numIdEiiPKPS3_EEvT1_T3_lS7_lPS7_llPT2_S7_S7_S9_l,"axG",@progbits,_ZN9rocsolver6v33100L18getf2_small_kernelILi52E19rocblas_complex_numIdEiiPKPS3_EEvT1_T3_lS7_lPS7_llPT2_S7_S7_S9_l,comdat
	.globl	_ZN9rocsolver6v33100L18getf2_small_kernelILi52E19rocblas_complex_numIdEiiPKPS3_EEvT1_T3_lS7_lPS7_llPT2_S7_S7_S9_l ; -- Begin function _ZN9rocsolver6v33100L18getf2_small_kernelILi52E19rocblas_complex_numIdEiiPKPS3_EEvT1_T3_lS7_lPS7_llPT2_S7_S7_S9_l
	.p2align	8
	.type	_ZN9rocsolver6v33100L18getf2_small_kernelILi52E19rocblas_complex_numIdEiiPKPS3_EEvT1_T3_lS7_lPS7_llPT2_S7_S7_S9_l,@function
_ZN9rocsolver6v33100L18getf2_small_kernelILi52E19rocblas_complex_numIdEiiPKPS3_EEvT1_T3_lS7_lPS7_llPT2_S7_S7_S9_l: ; @_ZN9rocsolver6v33100L18getf2_small_kernelILi52E19rocblas_complex_numIdEiiPKPS3_EEvT1_T3_lS7_lPS7_llPT2_S7_S7_S9_l
; %bb.0:
	s_clause 0x1
	s_load_b32 s2, s[0:1], 0x6c
	s_load_b64 s[12:13], s[0:1], 0x48
	v_bfe_u32 v208, v0, 10, 10
	s_waitcnt lgkmcnt(0)
	s_lshr_b32 s2, s2, 16
	s_delay_alu instid0(VALU_DEP_1) | instid1(SALU_CYCLE_1)
	v_mad_u64_u32 v[212:213], null, s15, s2, v[208:209]
	s_mov_b32 s2, exec_lo
	s_delay_alu instid0(VALU_DEP_1)
	v_cmpx_gt_i32_e64 s12, v212
	s_cbranch_execnz .LBB102_1
; %bb.1096:
	s_getpc_b64 s[16:17]
.Lpost_getpc10:
	s_add_u32 s16, s16, (.LBB102_1095-.Lpost_getpc10)&4294967295
	s_addc_u32 s17, s17, (.LBB102_1095-.Lpost_getpc10)>>32
	s_setpc_b64 s[16:17]
.LBB102_1:
	s_clause 0x1
	s_load_b128 s[4:7], s[0:1], 0x8
	s_load_b128 s[8:11], s[0:1], 0x50
	v_ashrrev_i32_e32 v213, 31, v212
	v_mov_b32_e32 v214, 0
	v_mov_b32_e32 v215, 0
	s_delay_alu instid0(VALU_DEP_3) | instskip(SKIP_1) | instid1(VALU_DEP_1)
	v_lshlrev_b64 v[1:2], 3, v[212:213]
	s_waitcnt lgkmcnt(0)
	v_add_co_u32 v1, vcc_lo, s4, v1
	s_delay_alu instid0(VALU_DEP_2)
	v_add_co_ci_u32_e32 v2, vcc_lo, s5, v2, vcc_lo
	s_cmp_eq_u64 s[8:9], 0
	s_cselect_b32 s4, -1, 0
	global_load_b64 v[1:2], v[1:2], off
	s_and_b32 vcc_lo, exec_lo, s4
	s_cbranch_vccnz .LBB102_3
; %bb.2:
	v_mul_lo_u32 v5, v213, s10
	v_mul_lo_u32 v6, v212, s11
	v_mad_u64_u32 v[3:4], null, v212, s10, 0
	s_delay_alu instid0(VALU_DEP_1) | instskip(NEXT) | instid1(VALU_DEP_1)
	v_add3_u32 v4, v4, v6, v5
	v_lshlrev_b64 v[3:4], 2, v[3:4]
	s_delay_alu instid0(VALU_DEP_1) | instskip(NEXT) | instid1(VALU_DEP_2)
	v_add_co_u32 v214, vcc_lo, s8, v3
	v_add_co_ci_u32_e32 v215, vcc_lo, s9, v4, vcc_lo
.LBB102_3:
	s_clause 0x1
	s_load_b32 s8, s[0:1], 0x18
	s_load_b32 s5, s[0:1], 0x0
	v_and_b32_e32 v223, 0x3ff, v0
	s_lshl_b64 s[2:3], s[6:7], 4
	s_waitcnt vmcnt(0)
	v_add_co_u32 v219, vcc_lo, v1, s2
	v_add_co_ci_u32_e32 v220, vcc_lo, s3, v2, vcc_lo
	v_lshlrev_b32_e32 v211, 4, v223
	s_waitcnt lgkmcnt(0)
	v_add3_u32 v3, s8, s8, v223
	s_ashr_i32 s9, s8, 31
	s_max_i32 s2, s5, 52
	s_lshl_b64 s[10:11], s[8:9], 4
	s_cmp_lt_i32 s5, 2
	v_add_nc_u32_e32 v5, s8, v3
	v_ashrrev_i32_e32 v4, 31, v3
	s_delay_alu instid0(VALU_DEP_2) | instskip(NEXT) | instid1(VALU_DEP_2)
	v_add_nc_u32_e32 v0, s8, v5
	v_lshlrev_b64 v[3:4], 4, v[3:4]
	v_ashrrev_i32_e32 v6, 31, v5
	s_delay_alu instid0(VALU_DEP_3) | instskip(SKIP_1) | instid1(VALU_DEP_4)
	v_add_nc_u32_e32 v2, s8, v0
	v_ashrrev_i32_e32 v1, 31, v0
	v_add_co_u32 v7, vcc_lo, v219, v3
	v_add_co_ci_u32_e32 v8, vcc_lo, v220, v4, vcc_lo
	s_delay_alu instid0(VALU_DEP_4) | instskip(SKIP_3) | instid1(VALU_DEP_4)
	v_add_nc_u32_e32 v4, s8, v2
	v_lshlrev_b64 v[5:6], 4, v[5:6]
	v_ashrrev_i32_e32 v3, 31, v2
	v_lshlrev_b64 v[0:1], 4, v[0:1]
	v_add_nc_u32_e32 v11, s8, v4
	s_delay_alu instid0(VALU_DEP_4) | instskip(SKIP_1) | instid1(VALU_DEP_3)
	v_add_co_u32 v9, vcc_lo, v219, v5
	v_ashrrev_i32_e32 v5, 31, v4
	v_add_nc_u32_e32 v13, s8, v11
	v_lshlrev_b64 v[2:3], 4, v[2:3]
	v_ashrrev_i32_e32 v12, 31, v11
	v_add_co_ci_u32_e32 v10, vcc_lo, v220, v6, vcc_lo
	s_delay_alu instid0(VALU_DEP_4) | instskip(SKIP_3) | instid1(VALU_DEP_4)
	v_add_nc_u32_e32 v15, s8, v13
	v_add_co_u32 v0, vcc_lo, v219, v0
	v_lshlrev_b64 v[4:5], 4, v[4:5]
	v_ashrrev_i32_e32 v14, 31, v13
	v_add_nc_u32_e32 v17, s8, v15
	v_add_co_ci_u32_e32 v1, vcc_lo, v220, v1, vcc_lo
	v_add_co_u32 v2, vcc_lo, v219, v2
	s_delay_alu instid0(VALU_DEP_3) | instskip(SKIP_3) | instid1(VALU_DEP_4)
	v_add_nc_u32_e32 v19, s8, v17
	v_lshlrev_b64 v[11:12], 4, v[11:12]
	v_ashrrev_i32_e32 v16, 31, v15
	v_add_co_ci_u32_e32 v3, vcc_lo, v220, v3, vcc_lo
	v_add_nc_u32_e32 v21, s8, v19
	v_add_co_u32 v4, vcc_lo, v219, v4
	v_lshlrev_b64 v[13:14], 4, v[13:14]
	v_ashrrev_i32_e32 v18, 31, v17
	s_delay_alu instid0(VALU_DEP_4) | instskip(SKIP_2) | instid1(VALU_DEP_3)
	v_add_nc_u32_e32 v23, s8, v21
	v_add_co_ci_u32_e32 v5, vcc_lo, v220, v5, vcc_lo
	v_add_co_u32 v11, vcc_lo, v219, v11
	v_add_nc_u32_e32 v25, s8, v23
	v_lshlrev_b64 v[15:16], 4, v[15:16]
	v_ashrrev_i32_e32 v20, 31, v19
	v_add_co_ci_u32_e32 v12, vcc_lo, v220, v12, vcc_lo
	s_delay_alu instid0(VALU_DEP_4) | instskip(SKIP_3) | instid1(VALU_DEP_4)
	v_add_nc_u32_e32 v27, s8, v25
	v_add_co_u32 v13, vcc_lo, v219, v13
	v_lshlrev_b64 v[17:18], 4, v[17:18]
	v_ashrrev_i32_e32 v22, 31, v21
	v_add_nc_u32_e32 v29, s8, v27
	v_add_co_ci_u32_e32 v14, vcc_lo, v220, v14, vcc_lo
	v_add_co_u32 v15, vcc_lo, v219, v15
	s_delay_alu instid0(VALU_DEP_3) | instskip(SKIP_3) | instid1(VALU_DEP_4)
	v_add_nc_u32_e32 v31, s8, v29
	v_lshlrev_b64 v[19:20], 4, v[19:20]
	v_ashrrev_i32_e32 v24, 31, v23
	v_add_co_ci_u32_e32 v16, vcc_lo, v220, v16, vcc_lo
	v_add_nc_u32_e32 v33, s8, v31
	v_add_co_u32 v17, vcc_lo, v219, v17
	v_lshlrev_b64 v[21:22], 4, v[21:22]
	v_ashrrev_i32_e32 v26, 31, v25
	s_delay_alu instid0(VALU_DEP_4) | instskip(SKIP_2) | instid1(VALU_DEP_3)
	v_add_nc_u32_e32 v35, s8, v33
	v_add_co_ci_u32_e32 v18, vcc_lo, v220, v18, vcc_lo
	v_add_co_u32 v19, vcc_lo, v219, v19
	;; [unrolled: 25-line block ×3, first 2 shown]
	v_add_nc_u32_e32 v49, s8, v47
	v_lshlrev_b64 v[31:32], 4, v[31:32]
	v_ashrrev_i32_e32 v36, 31, v35
	v_add_co_ci_u32_e32 v28, vcc_lo, v220, v28, vcc_lo
	s_delay_alu instid0(VALU_DEP_4)
	v_add_nc_u32_e32 v51, s8, v49
	v_add_co_u32 v29, vcc_lo, v219, v29
	v_lshlrev_b64 v[33:34], 4, v[33:34]
	v_ashrrev_i32_e32 v38, 31, v37
	v_add_co_ci_u32_e32 v30, vcc_lo, v220, v30, vcc_lo
	v_add_co_u32 v31, vcc_lo, v219, v31
	v_lshlrev_b64 v[35:36], 4, v[35:36]
	v_ashrrev_i32_e32 v40, 31, v39
	v_add_nc_u32_e32 v53, s8, v51
	v_add_co_ci_u32_e32 v32, vcc_lo, v220, v32, vcc_lo
	v_add_co_u32 v33, vcc_lo, v219, v33
	v_lshlrev_b64 v[37:38], 4, v[37:38]
	v_ashrrev_i32_e32 v42, 31, v41
	v_add_co_ci_u32_e32 v34, vcc_lo, v220, v34, vcc_lo
	v_add_co_u32 v35, vcc_lo, v219, v35
	v_lshlrev_b64 v[39:40], 4, v[39:40]
	v_add_nc_u32_e32 v55, s8, v53
	v_ashrrev_i32_e32 v44, 31, v43
	v_add_co_ci_u32_e32 v36, vcc_lo, v220, v36, vcc_lo
	v_add_co_u32 v37, vcc_lo, v219, v37
	v_lshlrev_b64 v[41:42], 4, v[41:42]
	v_ashrrev_i32_e32 v46, 31, v45
	v_add_co_ci_u32_e32 v38, vcc_lo, v220, v38, vcc_lo
	v_add_nc_u32_e32 v57, s8, v55
	v_add_co_u32 v39, vcc_lo, v219, v39
	v_lshlrev_b64 v[43:44], 4, v[43:44]
	v_ashrrev_i32_e32 v48, 31, v47
	v_add_co_ci_u32_e32 v40, vcc_lo, v220, v40, vcc_lo
	v_add_co_u32 v41, vcc_lo, v219, v41
	v_lshlrev_b64 v[45:46], 4, v[45:46]
	v_ashrrev_i32_e32 v50, 31, v49
	v_add_nc_u32_e32 v59, s8, v57
	v_add_co_ci_u32_e32 v42, vcc_lo, v220, v42, vcc_lo
	v_add_co_u32 v43, vcc_lo, v219, v43
	v_lshlrev_b64 v[47:48], 4, v[47:48]
	v_ashrrev_i32_e32 v52, 31, v51
	v_add_co_ci_u32_e32 v44, vcc_lo, v220, v44, vcc_lo
	v_add_co_u32 v45, vcc_lo, v219, v45
	v_lshlrev_b64 v[49:50], 4, v[49:50]
	v_add_nc_u32_e32 v61, s8, v59
	v_ashrrev_i32_e32 v54, 31, v53
	v_add_co_ci_u32_e32 v46, vcc_lo, v220, v46, vcc_lo
	v_add_co_u32 v47, vcc_lo, v219, v47
	v_lshlrev_b64 v[51:52], 4, v[51:52]
	v_ashrrev_i32_e32 v56, 31, v55
	v_add_co_ci_u32_e32 v48, vcc_lo, v220, v48, vcc_lo
	v_add_nc_u32_e32 v63, s8, v61
	v_add_co_u32 v49, vcc_lo, v219, v49
	v_lshlrev_b64 v[53:54], 4, v[53:54]
	v_ashrrev_i32_e32 v58, 31, v57
	v_add_co_ci_u32_e32 v50, vcc_lo, v220, v50, vcc_lo
	v_add_co_u32 v51, vcc_lo, v219, v51
	v_lshlrev_b64 v[55:56], 4, v[55:56]
	v_ashrrev_i32_e32 v60, 31, v59
	v_add_nc_u32_e32 v65, s8, v63
	v_add_co_ci_u32_e32 v52, vcc_lo, v220, v52, vcc_lo
	v_add_co_u32 v53, vcc_lo, v219, v53
	v_lshlrev_b64 v[57:58], 4, v[57:58]
	v_ashrrev_i32_e32 v62, 31, v61
	v_add_co_ci_u32_e32 v54, vcc_lo, v220, v54, vcc_lo
	v_add_co_u32 v55, vcc_lo, v219, v55
	v_lshlrev_b64 v[59:60], 4, v[59:60]
	v_add_nc_u32_e32 v67, s8, v65
	v_ashrrev_i32_e32 v64, 31, v63
	v_add_co_ci_u32_e32 v56, vcc_lo, v220, v56, vcc_lo
	v_add_co_u32 v57, vcc_lo, v219, v57
	v_lshlrev_b64 v[61:62], 4, v[61:62]
	v_ashrrev_i32_e32 v66, 31, v65
	v_add_co_ci_u32_e32 v58, vcc_lo, v220, v58, vcc_lo
	v_add_nc_u32_e32 v69, s8, v67
	v_add_co_u32 v59, vcc_lo, v219, v59
	v_lshlrev_b64 v[63:64], 4, v[63:64]
	v_ashrrev_i32_e32 v68, 31, v67
	v_add_co_ci_u32_e32 v60, vcc_lo, v220, v60, vcc_lo
	v_add_co_u32 v61, vcc_lo, v219, v61
	v_lshlrev_b64 v[65:66], 4, v[65:66]
	v_add_nc_u32_e32 v71, s8, v69
	v_add_co_ci_u32_e32 v62, vcc_lo, v220, v62, vcc_lo
	v_add_co_u32 v63, vcc_lo, v219, v63
	v_lshlrev_b64 v[67:68], 4, v[67:68]
	v_ashrrev_i32_e32 v70, 31, v69
	v_add_co_ci_u32_e32 v64, vcc_lo, v220, v64, vcc_lo
	v_add_co_u32 v65, vcc_lo, v219, v65
	v_ashrrev_i32_e32 v72, 31, v71
	v_add_nc_u32_e32 v73, s8, v71
	v_add_co_ci_u32_e32 v66, vcc_lo, v220, v66, vcc_lo
	v_lshlrev_b64 v[69:70], 4, v[69:70]
	v_add_co_u32 v209, vcc_lo, v219, v67
	v_add_co_ci_u32_e32 v210, vcc_lo, v220, v68, vcc_lo
	v_lshlrev_b64 v[67:68], 4, v[71:72]
	v_ashrrev_i32_e32 v74, 31, v73
	v_add_nc_u32_e32 v71, s8, v73
	v_add_co_u32 v216, vcc_lo, v219, v69
	v_add_co_ci_u32_e32 v217, vcc_lo, v220, v70, vcc_lo
	s_delay_alu instid0(VALU_DEP_4) | instskip(NEXT) | instid1(VALU_DEP_4)
	v_lshlrev_b64 v[69:70], 4, v[73:74]
	v_ashrrev_i32_e32 v72, 31, v71
	v_add_nc_u32_e32 v73, s8, v71
	v_add_co_u32 v221, vcc_lo, v219, v67
	v_add_co_ci_u32_e32 v222, vcc_lo, v220, v68, vcc_lo
	s_delay_alu instid0(VALU_DEP_4) | instskip(NEXT) | instid1(VALU_DEP_4)
	;; [unrolled: 6-line block ×11, first 2 shown]
	v_lshlrev_b64 v[69:70], 4, v[73:74]
	v_add_nc_u32_e32 v73, s8, v71
	v_ashrrev_i32_e32 v72, 31, v71
	v_add_co_u32 v242, vcc_lo, v219, v67
	v_add_co_ci_u32_e32 v243, vcc_lo, v220, v68, vcc_lo
	s_delay_alu instid0(VALU_DEP_4) | instskip(NEXT) | instid1(VALU_DEP_4)
	v_ashrrev_i32_e32 v74, 31, v73
	v_lshlrev_b64 v[67:68], 4, v[71:72]
	v_add_co_u32 v244, vcc_lo, v219, v69
	v_add_co_ci_u32_e32 v245, vcc_lo, v220, v70, vcc_lo
	s_delay_alu instid0(VALU_DEP_4) | instskip(SKIP_3) | instid1(VALU_DEP_4)
	v_lshlrev_b64 v[69:70], 4, v[73:74]
	v_add_nc_u32_e32 v71, s8, v73
	v_add_co_u32 v246, vcc_lo, v219, v67
	v_add_co_ci_u32_e32 v247, vcc_lo, v220, v68, vcc_lo
	v_add_co_u32 v248, vcc_lo, v219, v69
	s_delay_alu instid0(VALU_DEP_4) | instskip(SKIP_3) | instid1(VALU_DEP_4)
	v_ashrrev_i32_e32 v72, 31, v71
	v_add_co_ci_u32_e32 v249, vcc_lo, v220, v70, vcc_lo
	v_add_co_u32 v69, vcc_lo, v219, v211
	v_add_co_ci_u32_e32 v70, vcc_lo, 0, v220, vcc_lo
	v_lshlrev_b64 v[67:68], 4, v[71:72]
	s_delay_alu instid0(VALU_DEP_3) | instskip(NEXT) | instid1(VALU_DEP_3)
	v_add_co_u32 v71, vcc_lo, v69, s10
	v_add_co_ci_u32_e32 v72, vcc_lo, s11, v70, vcc_lo
	s_delay_alu instid0(VALU_DEP_3) | instskip(NEXT) | instid1(VALU_DEP_4)
	v_add_co_u32 v250, vcc_lo, v219, v67
	v_add_co_ci_u32_e32 v251, vcc_lo, v220, v68, vcc_lo
	s_clause 0x1f
	global_load_b128 v[200:203], v[69:70], off
	global_load_b128 v[204:207], v[71:72], off
	;; [unrolled: 1-line block ×32, first 2 shown]
	s_clause 0x13
	global_load_b128 v[76:79], v[61:62], off
	global_load_b128 v[72:75], v[63:64], off
	;; [unrolled: 1-line block ×20, first 2 shown]
	v_mul_lo_u32 v216, s2, v208
	s_delay_alu instid0(VALU_DEP_1) | instskip(SKIP_2) | instid1(VALU_DEP_3)
	v_lshl_add_u32 v218, v216, 4, 0
	v_lshlrev_b32_e32 v222, 4, v216
	v_mov_b32_e32 v216, 0
	v_add_nc_u32_e32 v208, v218, v211
	s_waitcnt vmcnt(51)
	ds_store_2addr_b64 v208, v[200:201], v[202:203] offset1:1
	s_waitcnt vmcnt(0) lgkmcnt(0)
	s_barrier
	buffer_gl0_inv
	ds_load_2addr_b64 v[208:211], v218 offset1:1
	s_cbranch_scc1 .LBB102_6
; %bb.4:
	v_add3_u32 v217, v222, 0, 16
	v_mov_b32_e32 v216, 0
	s_mov_b32 s6, 1
	s_set_inst_prefetch_distance 0x1
	.p2align	6
.LBB102_5:                              ; =>This Inner Loop Header: Depth=1
	ds_load_2addr_b64 v[224:227], v217 offset1:1
	s_waitcnt lgkmcnt(1)
	v_cmp_gt_f64_e32 vcc_lo, 0, v[208:209]
	v_xor_b32_e32 v221, 0x80000000, v209
	v_cmp_gt_f64_e64 s2, 0, v[210:211]
	v_xor_b32_e32 v228, 0x80000000, v211
	v_add_nc_u32_e32 v217, 16, v217
	s_waitcnt lgkmcnt(0)
	v_cmp_gt_f64_e64 s3, 0, v[224:225]
	v_mov_b32_e32 v232, v224
	v_dual_mov_b32 v234, v226 :: v_dual_cndmask_b32 v229, v209, v221
	v_xor_b32_e32 v221, 0x80000000, v225
	v_cndmask_b32_e64 v231, v211, v228, s2
	v_xor_b32_e32 v228, 0x80000000, v227
	v_cndmask_b32_e64 v230, v210, v210, s2
	s_delay_alu instid0(VALU_DEP_4) | instskip(SKIP_1) | instid1(VALU_DEP_1)
	v_cndmask_b32_e64 v233, v225, v221, s3
	v_cmp_gt_f64_e64 s3, 0, v[226:227]
	v_cndmask_b32_e64 v235, v227, v228, s3
	v_cndmask_b32_e32 v228, v208, v208, vcc_lo
	s_delay_alu instid0(VALU_DEP_2) | instskip(NEXT) | instid1(VALU_DEP_2)
	v_add_f64 v[232:233], v[232:233], v[234:235]
	v_add_f64 v[228:229], v[228:229], v[230:231]
	s_delay_alu instid0(VALU_DEP_1)
	v_cmp_lt_f64_e32 vcc_lo, v[228:229], v[232:233]
	v_cndmask_b32_e32 v211, v211, v227, vcc_lo
	v_dual_cndmask_b32 v209, v209, v225 :: v_dual_cndmask_b32 v208, v208, v224
	v_cndmask_b32_e32 v210, v210, v226, vcc_lo
	v_cndmask_b32_e64 v216, v216, s6, vcc_lo
	s_add_i32 s6, s6, 1
	s_delay_alu instid0(SALU_CYCLE_1)
	s_cmp_eq_u32 s5, s6
	s_cbranch_scc0 .LBB102_5
.LBB102_6:
	s_set_inst_prefetch_distance 0x2
	s_waitcnt lgkmcnt(0)
	v_cmp_neq_f64_e32 vcc_lo, 0, v[208:209]
	v_cmp_neq_f64_e64 s2, 0, v[210:211]
	v_mov_b32_e32 v221, 1
	v_mov_b32_e32 v225, 1
	s_delay_alu instid0(VALU_DEP_3) | instskip(NEXT) | instid1(SALU_CYCLE_1)
	s_or_b32 s2, vcc_lo, s2
	s_and_saveexec_b32 s3, s2
	s_cbranch_execz .LBB102_12
; %bb.7:
	v_cmp_gt_f64_e32 vcc_lo, 0, v[208:209]
	v_cmp_gt_f64_e64 s2, 0, v[210:211]
	v_xor_b32_e32 v217, 0x80000000, v209
	v_xor_b32_e32 v221, 0x80000000, v211
                                        ; implicit-def: $sgpr6
                                        ; implicit-def: $sgpr7
	s_delay_alu instid0(VALU_DEP_2) | instskip(NEXT) | instid1(VALU_DEP_2)
	v_dual_cndmask_b32 v225, v209, v217 :: v_dual_cndmask_b32 v224, v208, v208
	v_cndmask_b32_e64 v227, v211, v221, s2
	v_cndmask_b32_e64 v226, v210, v210, s2
	s_mov_b32 s2, exec_lo
	s_delay_alu instid0(VALU_DEP_1)
	v_cmpx_ngt_f64_e32 v[224:225], v[226:227]
	s_xor_b32 s2, exec_lo, s2
	s_cbranch_execz .LBB102_9
; %bb.8:
	v_div_scale_f64 v[224:225], null, v[210:211], v[210:211], v[208:209]
	v_div_scale_f64 v[230:231], vcc_lo, v[208:209], v[210:211], v[208:209]
	s_mov_b32 s7, 2
	s_mov_b32 s6, 0
	s_delay_alu instid0(VALU_DEP_2) | instskip(SKIP_2) | instid1(VALU_DEP_1)
	v_rcp_f64_e32 v[226:227], v[224:225]
	s_waitcnt_depctr 0xfff
	v_fma_f64 v[228:229], -v[224:225], v[226:227], 1.0
	v_fma_f64 v[226:227], v[226:227], v[228:229], v[226:227]
	s_delay_alu instid0(VALU_DEP_1) | instskip(NEXT) | instid1(VALU_DEP_1)
	v_fma_f64 v[228:229], -v[224:225], v[226:227], 1.0
	v_fma_f64 v[226:227], v[226:227], v[228:229], v[226:227]
	s_delay_alu instid0(VALU_DEP_1) | instskip(NEXT) | instid1(VALU_DEP_1)
	v_mul_f64 v[228:229], v[230:231], v[226:227]
	v_fma_f64 v[224:225], -v[224:225], v[228:229], v[230:231]
	s_delay_alu instid0(VALU_DEP_1) | instskip(NEXT) | instid1(VALU_DEP_1)
	v_div_fmas_f64 v[224:225], v[224:225], v[226:227], v[228:229]
	v_div_fixup_f64 v[224:225], v[224:225], v[210:211], v[208:209]
	s_delay_alu instid0(VALU_DEP_1) | instskip(NEXT) | instid1(VALU_DEP_1)
	v_fma_f64 v[208:209], v[208:209], v[224:225], v[210:211]
	v_div_scale_f64 v[210:211], null, v[208:209], v[208:209], 1.0
	s_delay_alu instid0(VALU_DEP_1) | instskip(SKIP_2) | instid1(VALU_DEP_1)
	v_rcp_f64_e32 v[226:227], v[210:211]
	s_waitcnt_depctr 0xfff
	v_fma_f64 v[228:229], -v[210:211], v[226:227], 1.0
	v_fma_f64 v[226:227], v[226:227], v[228:229], v[226:227]
	s_delay_alu instid0(VALU_DEP_1) | instskip(NEXT) | instid1(VALU_DEP_1)
	v_fma_f64 v[228:229], -v[210:211], v[226:227], 1.0
	v_fma_f64 v[226:227], v[226:227], v[228:229], v[226:227]
	v_div_scale_f64 v[228:229], vcc_lo, 1.0, v[208:209], 1.0
	s_delay_alu instid0(VALU_DEP_1) | instskip(NEXT) | instid1(VALU_DEP_1)
	v_mul_f64 v[230:231], v[228:229], v[226:227]
	v_fma_f64 v[210:211], -v[210:211], v[230:231], v[228:229]
	s_delay_alu instid0(VALU_DEP_1) | instskip(NEXT) | instid1(VALU_DEP_1)
	v_div_fmas_f64 v[210:211], v[210:211], v[226:227], v[230:231]
	v_div_fixup_f64 v[210:211], v[210:211], v[208:209], 1.0
	s_delay_alu instid0(VALU_DEP_1)
	v_mul_f64 v[208:209], v[224:225], v[210:211]
	v_xor_b32_e32 v211, 0x80000000, v211
.LBB102_9:
	s_or_saveexec_b32 s2, s2
	v_mov_b32_e32 v225, s6
	v_mov_b32_e32 v221, s7
	s_xor_b32 exec_lo, exec_lo, s2
	s_cbranch_execz .LBB102_11
; %bb.10:
	s_delay_alu instid0(VALU_DEP_4) | instskip(SKIP_2) | instid1(VALU_DEP_3)
	v_div_scale_f64 v[224:225], null, v[208:209], v[208:209], v[210:211]
	v_div_scale_f64 v[230:231], vcc_lo, v[210:211], v[208:209], v[210:211]
	v_mov_b32_e32 v221, 2
	v_rcp_f64_e32 v[226:227], v[224:225]
	s_waitcnt_depctr 0xfff
	v_fma_f64 v[228:229], -v[224:225], v[226:227], 1.0
	s_delay_alu instid0(VALU_DEP_1) | instskip(NEXT) | instid1(VALU_DEP_1)
	v_fma_f64 v[226:227], v[226:227], v[228:229], v[226:227]
	v_fma_f64 v[228:229], -v[224:225], v[226:227], 1.0
	s_delay_alu instid0(VALU_DEP_1) | instskip(NEXT) | instid1(VALU_DEP_1)
	v_fma_f64 v[226:227], v[226:227], v[228:229], v[226:227]
	v_mul_f64 v[228:229], v[230:231], v[226:227]
	s_delay_alu instid0(VALU_DEP_1) | instskip(NEXT) | instid1(VALU_DEP_1)
	v_fma_f64 v[224:225], -v[224:225], v[228:229], v[230:231]
	v_div_fmas_f64 v[224:225], v[224:225], v[226:227], v[228:229]
	s_delay_alu instid0(VALU_DEP_1) | instskip(NEXT) | instid1(VALU_DEP_1)
	v_div_fixup_f64 v[224:225], v[224:225], v[208:209], v[210:211]
	v_fma_f64 v[208:209], v[210:211], v[224:225], v[208:209]
	s_delay_alu instid0(VALU_DEP_1) | instskip(NEXT) | instid1(VALU_DEP_1)
	v_div_scale_f64 v[210:211], null, v[208:209], v[208:209], 1.0
	v_rcp_f64_e32 v[226:227], v[210:211]
	s_waitcnt_depctr 0xfff
	v_fma_f64 v[228:229], -v[210:211], v[226:227], 1.0
	s_delay_alu instid0(VALU_DEP_1) | instskip(NEXT) | instid1(VALU_DEP_1)
	v_fma_f64 v[226:227], v[226:227], v[228:229], v[226:227]
	v_fma_f64 v[228:229], -v[210:211], v[226:227], 1.0
	s_delay_alu instid0(VALU_DEP_1) | instskip(SKIP_1) | instid1(VALU_DEP_1)
	v_fma_f64 v[226:227], v[226:227], v[228:229], v[226:227]
	v_div_scale_f64 v[228:229], vcc_lo, 1.0, v[208:209], 1.0
	v_mul_f64 v[230:231], v[228:229], v[226:227]
	s_delay_alu instid0(VALU_DEP_1) | instskip(NEXT) | instid1(VALU_DEP_1)
	v_fma_f64 v[210:211], -v[210:211], v[230:231], v[228:229]
	v_div_fmas_f64 v[210:211], v[210:211], v[226:227], v[230:231]
	s_delay_alu instid0(VALU_DEP_1) | instskip(NEXT) | instid1(VALU_DEP_1)
	v_div_fixup_f64 v[208:209], v[210:211], v[208:209], 1.0
	v_mul_f64 v[210:211], v[224:225], -v[208:209]
	v_mov_b32_e32 v225, 0
.LBB102_11:
	s_or_b32 exec_lo, exec_lo, s2
.LBB102_12:
	s_delay_alu instid0(SALU_CYCLE_1) | instskip(NEXT) | instid1(SALU_CYCLE_1)
	s_or_b32 exec_lo, exec_lo, s3
	s_mov_b32 s2, exec_lo
	v_cmpx_ne_u32_e64 v223, v216
	s_xor_b32 s2, exec_lo, s2
	s_cbranch_execz .LBB102_18
; %bb.13:
	s_mov_b32 s3, exec_lo
	v_cmpx_eq_u32_e32 0, v223
	s_cbranch_execz .LBB102_17
; %bb.14:
	v_cmp_ne_u32_e32 vcc_lo, 0, v216
	s_xor_b32 s6, s4, -1
	s_delay_alu instid0(SALU_CYCLE_1) | instskip(NEXT) | instid1(SALU_CYCLE_1)
	s_and_b32 s7, s6, vcc_lo
	s_and_saveexec_b32 s6, s7
	s_cbranch_execz .LBB102_16
; %bb.15:
	v_ashrrev_i32_e32 v217, 31, v216
	s_delay_alu instid0(VALU_DEP_1) | instskip(NEXT) | instid1(VALU_DEP_1)
	v_lshlrev_b64 v[223:224], 2, v[216:217]
	v_add_co_u32 v223, vcc_lo, v214, v223
	s_delay_alu instid0(VALU_DEP_2)
	v_add_co_ci_u32_e32 v224, vcc_lo, v215, v224, vcc_lo
	s_clause 0x1
	flat_load_b32 v217, v[223:224]
	flat_load_b32 v226, v[214:215]
	s_waitcnt vmcnt(1) lgkmcnt(1)
	flat_store_b32 v[214:215], v217
	s_waitcnt vmcnt(0) lgkmcnt(1)
	flat_store_b32 v[223:224], v226
.LBB102_16:
	s_or_b32 exec_lo, exec_lo, s6
	v_mov_b32_e32 v223, v216
.LBB102_17:
	s_or_b32 exec_lo, exec_lo, s3
.LBB102_18:
	s_or_saveexec_b32 s2, s2
	s_delay_alu instid0(VALU_DEP_1)
	v_mov_b32_e32 v224, v223
	s_xor_b32 exec_lo, exec_lo, s2
	s_cbranch_execz .LBB102_20
; %bb.19:
	v_mov_b32_e32 v224, 0
	ds_store_2addr_b64 v218, v[204:205], v[206:207] offset0:2 offset1:3
	ds_store_2addr_b64 v218, v[196:197], v[198:199] offset0:4 offset1:5
	;; [unrolled: 1-line block ×51, first 2 shown]
.LBB102_20:
	s_or_b32 exec_lo, exec_lo, s2
	s_delay_alu instid0(SALU_CYCLE_1)
	s_mov_b32 s2, exec_lo
	s_waitcnt lgkmcnt(0)
	s_waitcnt_vscnt null, 0x0
	s_barrier
	buffer_gl0_inv
	v_cmpx_lt_i32_e32 0, v224
	s_cbranch_execz .LBB102_22
; %bb.21:
	v_mul_f64 v[216:217], v[210:211], v[202:203]
	v_mul_f64 v[202:203], v[208:209], v[202:203]
	s_delay_alu instid0(VALU_DEP_2) | instskip(NEXT) | instid1(VALU_DEP_2)
	v_fma_f64 v[216:217], v[208:209], v[200:201], -v[216:217]
	v_fma_f64 v[202:203], v[210:211], v[200:201], v[202:203]
	ds_load_2addr_b64 v[208:211], v218 offset0:2 offset1:3
	s_waitcnt lgkmcnt(0)
	v_mul_f64 v[200:201], v[210:211], v[202:203]
	s_delay_alu instid0(VALU_DEP_1) | instskip(SKIP_1) | instid1(VALU_DEP_2)
	v_fma_f64 v[200:201], v[208:209], v[216:217], -v[200:201]
	v_mul_f64 v[208:209], v[208:209], v[202:203]
	v_add_f64 v[204:205], v[204:205], -v[200:201]
	s_delay_alu instid0(VALU_DEP_2) | instskip(NEXT) | instid1(VALU_DEP_1)
	v_fma_f64 v[208:209], v[210:211], v[216:217], v[208:209]
	v_add_f64 v[206:207], v[206:207], -v[208:209]
	ds_load_2addr_b64 v[208:211], v218 offset0:4 offset1:5
	s_waitcnt lgkmcnt(0)
	v_mul_f64 v[200:201], v[210:211], v[202:203]
	s_delay_alu instid0(VALU_DEP_1) | instskip(SKIP_1) | instid1(VALU_DEP_2)
	v_fma_f64 v[200:201], v[208:209], v[216:217], -v[200:201]
	v_mul_f64 v[208:209], v[208:209], v[202:203]
	v_add_f64 v[196:197], v[196:197], -v[200:201]
	s_delay_alu instid0(VALU_DEP_2) | instskip(NEXT) | instid1(VALU_DEP_1)
	v_fma_f64 v[208:209], v[210:211], v[216:217], v[208:209]
	v_add_f64 v[198:199], v[198:199], -v[208:209]
	;; [unrolled: 10-line block ×50, first 2 shown]
	ds_load_2addr_b64 v[208:211], v218 offset0:102 offset1:103
	s_waitcnt lgkmcnt(0)
	v_mul_f64 v[200:201], v[210:211], v[202:203]
	s_delay_alu instid0(VALU_DEP_1) | instskip(SKIP_1) | instid1(VALU_DEP_2)
	v_fma_f64 v[200:201], v[208:209], v[216:217], -v[200:201]
	v_mul_f64 v[208:209], v[208:209], v[202:203]
	v_add_f64 v[0:1], v[0:1], -v[200:201]
	s_delay_alu instid0(VALU_DEP_2) | instskip(SKIP_1) | instid1(VALU_DEP_2)
	v_fma_f64 v[208:209], v[210:211], v[216:217], v[208:209]
	v_dual_mov_b32 v200, v216 :: v_dual_mov_b32 v201, v217
	v_add_f64 v[2:3], v[2:3], -v[208:209]
.LBB102_22:
	s_or_b32 exec_lo, exec_lo, s2
	v_lshl_add_u32 v208, v224, 4, v218
	s_barrier
	buffer_gl0_inv
	v_mov_b32_e32 v216, 1
	ds_store_2addr_b64 v208, v[204:205], v[206:207] offset1:1
	s_waitcnt lgkmcnt(0)
	s_barrier
	buffer_gl0_inv
	ds_load_2addr_b64 v[208:211], v218 offset0:2 offset1:3
	s_cmp_lt_i32 s5, 3
	s_cbranch_scc1 .LBB102_25
; %bb.23:
	v_add3_u32 v217, v222, 0, 32
	v_mov_b32_e32 v216, 1
	s_mov_b32 s6, 2
	s_set_inst_prefetch_distance 0x1
	.p2align	6
.LBB102_24:                             ; =>This Inner Loop Header: Depth=1
	ds_load_2addr_b64 v[226:229], v217 offset1:1
	s_waitcnt lgkmcnt(1)
	v_cmp_gt_f64_e32 vcc_lo, 0, v[208:209]
	v_xor_b32_e32 v230, 0x80000000, v209
	v_cmp_gt_f64_e64 s2, 0, v[210:211]
	v_xor_b32_e32 v232, 0x80000000, v211
	v_add_nc_u32_e32 v217, 16, v217
	s_waitcnt lgkmcnt(0)
	v_cmp_gt_f64_e64 s3, 0, v[226:227]
	v_mov_b32_e32 v234, v226
	v_dual_mov_b32 v236, v228 :: v_dual_cndmask_b32 v231, v209, v230
	v_xor_b32_e32 v230, 0x80000000, v227
	v_cndmask_b32_e64 v233, v211, v232, s2
	v_xor_b32_e32 v232, 0x80000000, v229
	s_delay_alu instid0(VALU_DEP_3) | instskip(SKIP_2) | instid1(VALU_DEP_2)
	v_cndmask_b32_e64 v235, v227, v230, s3
	v_cmp_gt_f64_e64 s3, 0, v[228:229]
	v_cndmask_b32_e32 v230, v208, v208, vcc_lo
	v_cndmask_b32_e64 v237, v229, v232, s3
	v_cndmask_b32_e64 v232, v210, v210, s2
	s_delay_alu instid0(VALU_DEP_2) | instskip(NEXT) | instid1(VALU_DEP_2)
	v_add_f64 v[234:235], v[234:235], v[236:237]
	v_add_f64 v[230:231], v[230:231], v[232:233]
	s_delay_alu instid0(VALU_DEP_1)
	v_cmp_lt_f64_e32 vcc_lo, v[230:231], v[234:235]
	v_cndmask_b32_e32 v211, v211, v229, vcc_lo
	v_dual_cndmask_b32 v209, v209, v227 :: v_dual_cndmask_b32 v208, v208, v226
	v_cndmask_b32_e32 v210, v210, v228, vcc_lo
	v_cndmask_b32_e64 v216, v216, s6, vcc_lo
	s_add_i32 s6, s6, 1
	s_delay_alu instid0(SALU_CYCLE_1)
	s_cmp_lg_u32 s5, s6
	s_cbranch_scc1 .LBB102_24
.LBB102_25:
	s_set_inst_prefetch_distance 0x2
	s_waitcnt lgkmcnt(0)
	v_cmp_neq_f64_e32 vcc_lo, 0, v[208:209]
	v_cmp_neq_f64_e64 s2, 0, v[210:211]
	s_delay_alu instid0(VALU_DEP_1) | instskip(NEXT) | instid1(SALU_CYCLE_1)
	s_or_b32 s2, vcc_lo, s2
	s_and_saveexec_b32 s3, s2
	s_cbranch_execz .LBB102_31
; %bb.26:
	v_cmp_gt_f64_e32 vcc_lo, 0, v[208:209]
	v_cmp_gt_f64_e64 s2, 0, v[210:211]
	v_xor_b32_e32 v217, 0x80000000, v209
	v_xor_b32_e32 v221, 0x80000000, v211
	s_delay_alu instid0(VALU_DEP_2) | instskip(NEXT) | instid1(VALU_DEP_2)
	v_dual_cndmask_b32 v227, v209, v217 :: v_dual_cndmask_b32 v226, v208, v208
	v_cndmask_b32_e64 v229, v211, v221, s2
	v_cndmask_b32_e64 v228, v210, v210, s2
	s_mov_b32 s2, exec_lo
	s_delay_alu instid0(VALU_DEP_1)
	v_cmpx_ngt_f64_e32 v[226:227], v[228:229]
	s_xor_b32 s2, exec_lo, s2
	s_cbranch_execz .LBB102_28
; %bb.27:
	v_div_scale_f64 v[226:227], null, v[210:211], v[210:211], v[208:209]
	v_div_scale_f64 v[232:233], vcc_lo, v[208:209], v[210:211], v[208:209]
	s_delay_alu instid0(VALU_DEP_2) | instskip(SKIP_2) | instid1(VALU_DEP_1)
	v_rcp_f64_e32 v[228:229], v[226:227]
	s_waitcnt_depctr 0xfff
	v_fma_f64 v[230:231], -v[226:227], v[228:229], 1.0
	v_fma_f64 v[228:229], v[228:229], v[230:231], v[228:229]
	s_delay_alu instid0(VALU_DEP_1) | instskip(NEXT) | instid1(VALU_DEP_1)
	v_fma_f64 v[230:231], -v[226:227], v[228:229], 1.0
	v_fma_f64 v[228:229], v[228:229], v[230:231], v[228:229]
	s_delay_alu instid0(VALU_DEP_1) | instskip(NEXT) | instid1(VALU_DEP_1)
	v_mul_f64 v[230:231], v[232:233], v[228:229]
	v_fma_f64 v[226:227], -v[226:227], v[230:231], v[232:233]
	s_delay_alu instid0(VALU_DEP_1) | instskip(NEXT) | instid1(VALU_DEP_1)
	v_div_fmas_f64 v[226:227], v[226:227], v[228:229], v[230:231]
	v_div_fixup_f64 v[226:227], v[226:227], v[210:211], v[208:209]
	s_delay_alu instid0(VALU_DEP_1) | instskip(NEXT) | instid1(VALU_DEP_1)
	v_fma_f64 v[208:209], v[208:209], v[226:227], v[210:211]
	v_div_scale_f64 v[210:211], null, v[208:209], v[208:209], 1.0
	s_delay_alu instid0(VALU_DEP_1) | instskip(SKIP_2) | instid1(VALU_DEP_1)
	v_rcp_f64_e32 v[228:229], v[210:211]
	s_waitcnt_depctr 0xfff
	v_fma_f64 v[230:231], -v[210:211], v[228:229], 1.0
	v_fma_f64 v[228:229], v[228:229], v[230:231], v[228:229]
	s_delay_alu instid0(VALU_DEP_1) | instskip(NEXT) | instid1(VALU_DEP_1)
	v_fma_f64 v[230:231], -v[210:211], v[228:229], 1.0
	v_fma_f64 v[228:229], v[228:229], v[230:231], v[228:229]
	v_div_scale_f64 v[230:231], vcc_lo, 1.0, v[208:209], 1.0
	s_delay_alu instid0(VALU_DEP_1) | instskip(NEXT) | instid1(VALU_DEP_1)
	v_mul_f64 v[232:233], v[230:231], v[228:229]
	v_fma_f64 v[210:211], -v[210:211], v[232:233], v[230:231]
	s_delay_alu instid0(VALU_DEP_1) | instskip(NEXT) | instid1(VALU_DEP_1)
	v_div_fmas_f64 v[210:211], v[210:211], v[228:229], v[232:233]
	v_div_fixup_f64 v[210:211], v[210:211], v[208:209], 1.0
	s_delay_alu instid0(VALU_DEP_1)
	v_mul_f64 v[208:209], v[226:227], v[210:211]
	v_xor_b32_e32 v211, 0x80000000, v211
.LBB102_28:
	s_and_not1_saveexec_b32 s2, s2
	s_cbranch_execz .LBB102_30
; %bb.29:
	s_delay_alu instid0(VALU_DEP_1) | instskip(SKIP_1) | instid1(VALU_DEP_2)
	v_div_scale_f64 v[226:227], null, v[208:209], v[208:209], v[210:211]
	v_div_scale_f64 v[232:233], vcc_lo, v[210:211], v[208:209], v[210:211]
	v_rcp_f64_e32 v[228:229], v[226:227]
	s_waitcnt_depctr 0xfff
	v_fma_f64 v[230:231], -v[226:227], v[228:229], 1.0
	s_delay_alu instid0(VALU_DEP_1) | instskip(NEXT) | instid1(VALU_DEP_1)
	v_fma_f64 v[228:229], v[228:229], v[230:231], v[228:229]
	v_fma_f64 v[230:231], -v[226:227], v[228:229], 1.0
	s_delay_alu instid0(VALU_DEP_1) | instskip(NEXT) | instid1(VALU_DEP_1)
	v_fma_f64 v[228:229], v[228:229], v[230:231], v[228:229]
	v_mul_f64 v[230:231], v[232:233], v[228:229]
	s_delay_alu instid0(VALU_DEP_1) | instskip(NEXT) | instid1(VALU_DEP_1)
	v_fma_f64 v[226:227], -v[226:227], v[230:231], v[232:233]
	v_div_fmas_f64 v[226:227], v[226:227], v[228:229], v[230:231]
	s_delay_alu instid0(VALU_DEP_1) | instskip(NEXT) | instid1(VALU_DEP_1)
	v_div_fixup_f64 v[226:227], v[226:227], v[208:209], v[210:211]
	v_fma_f64 v[208:209], v[210:211], v[226:227], v[208:209]
	s_delay_alu instid0(VALU_DEP_1) | instskip(NEXT) | instid1(VALU_DEP_1)
	v_div_scale_f64 v[210:211], null, v[208:209], v[208:209], 1.0
	v_rcp_f64_e32 v[228:229], v[210:211]
	s_waitcnt_depctr 0xfff
	v_fma_f64 v[230:231], -v[210:211], v[228:229], 1.0
	s_delay_alu instid0(VALU_DEP_1) | instskip(NEXT) | instid1(VALU_DEP_1)
	v_fma_f64 v[228:229], v[228:229], v[230:231], v[228:229]
	v_fma_f64 v[230:231], -v[210:211], v[228:229], 1.0
	s_delay_alu instid0(VALU_DEP_1) | instskip(SKIP_1) | instid1(VALU_DEP_1)
	v_fma_f64 v[228:229], v[228:229], v[230:231], v[228:229]
	v_div_scale_f64 v[230:231], vcc_lo, 1.0, v[208:209], 1.0
	v_mul_f64 v[232:233], v[230:231], v[228:229]
	s_delay_alu instid0(VALU_DEP_1) | instskip(NEXT) | instid1(VALU_DEP_1)
	v_fma_f64 v[210:211], -v[210:211], v[232:233], v[230:231]
	v_div_fmas_f64 v[210:211], v[210:211], v[228:229], v[232:233]
	s_delay_alu instid0(VALU_DEP_1) | instskip(NEXT) | instid1(VALU_DEP_1)
	v_div_fixup_f64 v[208:209], v[210:211], v[208:209], 1.0
	v_mul_f64 v[210:211], v[226:227], -v[208:209]
.LBB102_30:
	s_or_b32 exec_lo, exec_lo, s2
	v_mov_b32_e32 v221, v225
.LBB102_31:
	s_or_b32 exec_lo, exec_lo, s3
	s_delay_alu instid0(SALU_CYCLE_1)
	s_mov_b32 s2, exec_lo
	v_cmpx_ne_u32_e64 v224, v216
	s_xor_b32 s2, exec_lo, s2
	s_cbranch_execz .LBB102_37
; %bb.32:
	s_mov_b32 s3, exec_lo
	v_cmpx_eq_u32_e32 1, v224
	s_cbranch_execz .LBB102_36
; %bb.33:
	v_cmp_ne_u32_e32 vcc_lo, 1, v216
	s_xor_b32 s6, s4, -1
	s_delay_alu instid0(SALU_CYCLE_1) | instskip(NEXT) | instid1(SALU_CYCLE_1)
	s_and_b32 s7, s6, vcc_lo
	s_and_saveexec_b32 s6, s7
	s_cbranch_execz .LBB102_35
; %bb.34:
	v_ashrrev_i32_e32 v217, 31, v216
	s_delay_alu instid0(VALU_DEP_1) | instskip(NEXT) | instid1(VALU_DEP_1)
	v_lshlrev_b64 v[223:224], 2, v[216:217]
	v_add_co_u32 v223, vcc_lo, v214, v223
	s_delay_alu instid0(VALU_DEP_2)
	v_add_co_ci_u32_e32 v224, vcc_lo, v215, v224, vcc_lo
	s_clause 0x1
	flat_load_b32 v217, v[223:224]
	flat_load_b32 v225, v[214:215] offset:4
	s_waitcnt vmcnt(1) lgkmcnt(1)
	flat_store_b32 v[214:215], v217 offset:4
	s_waitcnt vmcnt(0) lgkmcnt(1)
	flat_store_b32 v[223:224], v225
.LBB102_35:
	s_or_b32 exec_lo, exec_lo, s6
	v_mov_b32_e32 v224, v216
	v_mov_b32_e32 v223, v216
.LBB102_36:
	s_or_b32 exec_lo, exec_lo, s3
.LBB102_37:
	s_and_not1_saveexec_b32 s2, s2
	s_cbranch_execz .LBB102_39
; %bb.38:
	v_mov_b32_e32 v224, 1
	ds_store_2addr_b64 v218, v[196:197], v[198:199] offset0:4 offset1:5
	ds_store_2addr_b64 v218, v[192:193], v[194:195] offset0:6 offset1:7
	ds_store_2addr_b64 v218, v[188:189], v[190:191] offset0:8 offset1:9
	ds_store_2addr_b64 v218, v[184:185], v[186:187] offset0:10 offset1:11
	ds_store_2addr_b64 v218, v[180:181], v[182:183] offset0:12 offset1:13
	ds_store_2addr_b64 v218, v[176:177], v[178:179] offset0:14 offset1:15
	ds_store_2addr_b64 v218, v[172:173], v[174:175] offset0:16 offset1:17
	ds_store_2addr_b64 v218, v[168:169], v[170:171] offset0:18 offset1:19
	ds_store_2addr_b64 v218, v[164:165], v[166:167] offset0:20 offset1:21
	ds_store_2addr_b64 v218, v[160:161], v[162:163] offset0:22 offset1:23
	ds_store_2addr_b64 v218, v[156:157], v[158:159] offset0:24 offset1:25
	ds_store_2addr_b64 v218, v[152:153], v[154:155] offset0:26 offset1:27
	ds_store_2addr_b64 v218, v[148:149], v[150:151] offset0:28 offset1:29
	ds_store_2addr_b64 v218, v[144:145], v[146:147] offset0:30 offset1:31
	ds_store_2addr_b64 v218, v[140:141], v[142:143] offset0:32 offset1:33
	ds_store_2addr_b64 v218, v[136:137], v[138:139] offset0:34 offset1:35
	ds_store_2addr_b64 v218, v[132:133], v[134:135] offset0:36 offset1:37
	ds_store_2addr_b64 v218, v[128:129], v[130:131] offset0:38 offset1:39
	ds_store_2addr_b64 v218, v[124:125], v[126:127] offset0:40 offset1:41
	ds_store_2addr_b64 v218, v[120:121], v[122:123] offset0:42 offset1:43
	ds_store_2addr_b64 v218, v[116:117], v[118:119] offset0:44 offset1:45
	ds_store_2addr_b64 v218, v[112:113], v[114:115] offset0:46 offset1:47
	ds_store_2addr_b64 v218, v[108:109], v[110:111] offset0:48 offset1:49
	ds_store_2addr_b64 v218, v[104:105], v[106:107] offset0:50 offset1:51
	ds_store_2addr_b64 v218, v[100:101], v[102:103] offset0:52 offset1:53
	ds_store_2addr_b64 v218, v[96:97], v[98:99] offset0:54 offset1:55
	ds_store_2addr_b64 v218, v[92:93], v[94:95] offset0:56 offset1:57
	ds_store_2addr_b64 v218, v[88:89], v[90:91] offset0:58 offset1:59
	ds_store_2addr_b64 v218, v[84:85], v[86:87] offset0:60 offset1:61
	ds_store_2addr_b64 v218, v[80:81], v[82:83] offset0:62 offset1:63
	ds_store_2addr_b64 v218, v[76:77], v[78:79] offset0:64 offset1:65
	ds_store_2addr_b64 v218, v[72:73], v[74:75] offset0:66 offset1:67
	ds_store_2addr_b64 v218, v[68:69], v[70:71] offset0:68 offset1:69
	ds_store_2addr_b64 v218, v[64:65], v[66:67] offset0:70 offset1:71
	ds_store_2addr_b64 v218, v[60:61], v[62:63] offset0:72 offset1:73
	ds_store_2addr_b64 v218, v[56:57], v[58:59] offset0:74 offset1:75
	ds_store_2addr_b64 v218, v[52:53], v[54:55] offset0:76 offset1:77
	ds_store_2addr_b64 v218, v[48:49], v[50:51] offset0:78 offset1:79
	ds_store_2addr_b64 v218, v[44:45], v[46:47] offset0:80 offset1:81
	ds_store_2addr_b64 v218, v[40:41], v[42:43] offset0:82 offset1:83
	ds_store_2addr_b64 v218, v[36:37], v[38:39] offset0:84 offset1:85
	ds_store_2addr_b64 v218, v[32:33], v[34:35] offset0:86 offset1:87
	ds_store_2addr_b64 v218, v[28:29], v[30:31] offset0:88 offset1:89
	ds_store_2addr_b64 v218, v[24:25], v[26:27] offset0:90 offset1:91
	ds_store_2addr_b64 v218, v[20:21], v[22:23] offset0:92 offset1:93
	ds_store_2addr_b64 v218, v[16:17], v[18:19] offset0:94 offset1:95
	ds_store_2addr_b64 v218, v[12:13], v[14:15] offset0:96 offset1:97
	ds_store_2addr_b64 v218, v[8:9], v[10:11] offset0:98 offset1:99
	ds_store_2addr_b64 v218, v[4:5], v[6:7] offset0:100 offset1:101
	ds_store_2addr_b64 v218, v[0:1], v[2:3] offset0:102 offset1:103
.LBB102_39:
	s_or_b32 exec_lo, exec_lo, s2
	s_delay_alu instid0(SALU_CYCLE_1)
	s_mov_b32 s2, exec_lo
	s_waitcnt lgkmcnt(0)
	s_waitcnt_vscnt null, 0x0
	s_barrier
	buffer_gl0_inv
	v_cmpx_lt_i32_e32 1, v224
	s_cbranch_execz .LBB102_41
; %bb.40:
	v_mul_f64 v[216:217], v[210:211], v[206:207]
	v_mul_f64 v[206:207], v[208:209], v[206:207]
	s_delay_alu instid0(VALU_DEP_2) | instskip(NEXT) | instid1(VALU_DEP_2)
	v_fma_f64 v[216:217], v[208:209], v[204:205], -v[216:217]
	v_fma_f64 v[206:207], v[210:211], v[204:205], v[206:207]
	ds_load_2addr_b64 v[208:211], v218 offset0:4 offset1:5
	s_waitcnt lgkmcnt(0)
	v_mul_f64 v[204:205], v[210:211], v[206:207]
	s_delay_alu instid0(VALU_DEP_1) | instskip(SKIP_1) | instid1(VALU_DEP_2)
	v_fma_f64 v[204:205], v[208:209], v[216:217], -v[204:205]
	v_mul_f64 v[208:209], v[208:209], v[206:207]
	v_add_f64 v[196:197], v[196:197], -v[204:205]
	s_delay_alu instid0(VALU_DEP_2) | instskip(NEXT) | instid1(VALU_DEP_1)
	v_fma_f64 v[208:209], v[210:211], v[216:217], v[208:209]
	v_add_f64 v[198:199], v[198:199], -v[208:209]
	ds_load_2addr_b64 v[208:211], v218 offset0:6 offset1:7
	s_waitcnt lgkmcnt(0)
	v_mul_f64 v[204:205], v[210:211], v[206:207]
	s_delay_alu instid0(VALU_DEP_1) | instskip(SKIP_1) | instid1(VALU_DEP_2)
	v_fma_f64 v[204:205], v[208:209], v[216:217], -v[204:205]
	v_mul_f64 v[208:209], v[208:209], v[206:207]
	v_add_f64 v[192:193], v[192:193], -v[204:205]
	s_delay_alu instid0(VALU_DEP_2) | instskip(NEXT) | instid1(VALU_DEP_1)
	v_fma_f64 v[208:209], v[210:211], v[216:217], v[208:209]
	v_add_f64 v[194:195], v[194:195], -v[208:209]
	;; [unrolled: 10-line block ×49, first 2 shown]
	ds_load_2addr_b64 v[208:211], v218 offset0:102 offset1:103
	s_waitcnt lgkmcnt(0)
	v_mul_f64 v[204:205], v[210:211], v[206:207]
	s_delay_alu instid0(VALU_DEP_1) | instskip(SKIP_1) | instid1(VALU_DEP_2)
	v_fma_f64 v[204:205], v[208:209], v[216:217], -v[204:205]
	v_mul_f64 v[208:209], v[208:209], v[206:207]
	v_add_f64 v[0:1], v[0:1], -v[204:205]
	s_delay_alu instid0(VALU_DEP_2) | instskip(SKIP_1) | instid1(VALU_DEP_2)
	v_fma_f64 v[208:209], v[210:211], v[216:217], v[208:209]
	v_dual_mov_b32 v204, v216 :: v_dual_mov_b32 v205, v217
	v_add_f64 v[2:3], v[2:3], -v[208:209]
.LBB102_41:
	s_or_b32 exec_lo, exec_lo, s2
	v_lshl_add_u32 v208, v224, 4, v218
	s_barrier
	buffer_gl0_inv
	v_mov_b32_e32 v216, 2
	ds_store_2addr_b64 v208, v[196:197], v[198:199] offset1:1
	s_waitcnt lgkmcnt(0)
	s_barrier
	buffer_gl0_inv
	ds_load_2addr_b64 v[208:211], v218 offset0:4 offset1:5
	s_cmp_lt_i32 s5, 4
	s_cbranch_scc1 .LBB102_44
; %bb.42:
	v_add3_u32 v217, v222, 0, 48
	v_mov_b32_e32 v216, 2
	s_mov_b32 s6, 3
	s_set_inst_prefetch_distance 0x1
	.p2align	6
.LBB102_43:                             ; =>This Inner Loop Header: Depth=1
	ds_load_2addr_b64 v[225:228], v217 offset1:1
	s_waitcnt lgkmcnt(1)
	v_cmp_gt_f64_e32 vcc_lo, 0, v[208:209]
	v_xor_b32_e32 v229, 0x80000000, v209
	v_cmp_gt_f64_e64 s2, 0, v[210:211]
	v_xor_b32_e32 v231, 0x80000000, v211
	v_add_nc_u32_e32 v217, 16, v217
	s_waitcnt lgkmcnt(0)
	v_cmp_gt_f64_e64 s3, 0, v[225:226]
	v_mov_b32_e32 v233, v225
	v_dual_mov_b32 v235, v227 :: v_dual_cndmask_b32 v230, v209, v229
	v_xor_b32_e32 v229, 0x80000000, v226
	v_cndmask_b32_e64 v232, v211, v231, s2
	v_xor_b32_e32 v231, 0x80000000, v228
	s_delay_alu instid0(VALU_DEP_3) | instskip(SKIP_2) | instid1(VALU_DEP_2)
	v_cndmask_b32_e64 v234, v226, v229, s3
	v_cmp_gt_f64_e64 s3, 0, v[227:228]
	v_cndmask_b32_e32 v229, v208, v208, vcc_lo
	v_cndmask_b32_e64 v236, v228, v231, s3
	v_cndmask_b32_e64 v231, v210, v210, s2
	s_delay_alu instid0(VALU_DEP_2) | instskip(NEXT) | instid1(VALU_DEP_2)
	v_add_f64 v[233:234], v[233:234], v[235:236]
	v_add_f64 v[229:230], v[229:230], v[231:232]
	s_delay_alu instid0(VALU_DEP_1) | instskip(SKIP_4) | instid1(SALU_CYCLE_1)
	v_cmp_lt_f64_e32 vcc_lo, v[229:230], v[233:234]
	v_dual_cndmask_b32 v210, v210, v227 :: v_dual_cndmask_b32 v209, v209, v226
	v_dual_cndmask_b32 v208, v208, v225 :: v_dual_cndmask_b32 v211, v211, v228
	v_cndmask_b32_e64 v216, v216, s6, vcc_lo
	s_add_i32 s6, s6, 1
	s_cmp_lg_u32 s5, s6
	s_cbranch_scc1 .LBB102_43
.LBB102_44:
	s_set_inst_prefetch_distance 0x2
	s_waitcnt lgkmcnt(0)
	v_cmp_eq_f64_e32 vcc_lo, 0, v[208:209]
	v_cmp_eq_f64_e64 s2, 0, v[210:211]
	s_delay_alu instid0(VALU_DEP_1) | instskip(NEXT) | instid1(SALU_CYCLE_1)
	s_and_b32 s2, vcc_lo, s2
	s_and_saveexec_b32 s3, s2
	s_delay_alu instid0(SALU_CYCLE_1)
	s_xor_b32 s2, exec_lo, s3
; %bb.45:
	v_cmp_ne_u32_e32 vcc_lo, 0, v221
	v_cndmask_b32_e32 v221, 3, v221, vcc_lo
; %bb.46:
	s_and_not1_saveexec_b32 s3, s2
	s_cbranch_execz .LBB102_52
; %bb.47:
	v_cmp_gt_f64_e32 vcc_lo, 0, v[208:209]
	v_cmp_gt_f64_e64 s2, 0, v[210:211]
	v_xor_b32_e32 v217, 0x80000000, v209
	v_xor_b32_e32 v225, 0x80000000, v211
	s_delay_alu instid0(VALU_DEP_2) | instskip(NEXT) | instid1(VALU_DEP_2)
	v_cndmask_b32_e32 v226, v209, v217, vcc_lo
	v_cndmask_b32_e64 v228, v211, v225, s2
	v_cndmask_b32_e32 v225, v208, v208, vcc_lo
	v_cndmask_b32_e64 v227, v210, v210, s2
	s_mov_b32 s2, exec_lo
	s_delay_alu instid0(VALU_DEP_1)
	v_cmpx_ngt_f64_e32 v[225:226], v[227:228]
	s_xor_b32 s2, exec_lo, s2
	s_cbranch_execz .LBB102_49
; %bb.48:
	v_div_scale_f64 v[225:226], null, v[210:211], v[210:211], v[208:209]
	v_div_scale_f64 v[231:232], vcc_lo, v[208:209], v[210:211], v[208:209]
	s_delay_alu instid0(VALU_DEP_2) | instskip(SKIP_2) | instid1(VALU_DEP_1)
	v_rcp_f64_e32 v[227:228], v[225:226]
	s_waitcnt_depctr 0xfff
	v_fma_f64 v[229:230], -v[225:226], v[227:228], 1.0
	v_fma_f64 v[227:228], v[227:228], v[229:230], v[227:228]
	s_delay_alu instid0(VALU_DEP_1) | instskip(NEXT) | instid1(VALU_DEP_1)
	v_fma_f64 v[229:230], -v[225:226], v[227:228], 1.0
	v_fma_f64 v[227:228], v[227:228], v[229:230], v[227:228]
	s_delay_alu instid0(VALU_DEP_1) | instskip(NEXT) | instid1(VALU_DEP_1)
	v_mul_f64 v[229:230], v[231:232], v[227:228]
	v_fma_f64 v[225:226], -v[225:226], v[229:230], v[231:232]
	s_delay_alu instid0(VALU_DEP_1) | instskip(NEXT) | instid1(VALU_DEP_1)
	v_div_fmas_f64 v[225:226], v[225:226], v[227:228], v[229:230]
	v_div_fixup_f64 v[225:226], v[225:226], v[210:211], v[208:209]
	s_delay_alu instid0(VALU_DEP_1) | instskip(NEXT) | instid1(VALU_DEP_1)
	v_fma_f64 v[208:209], v[208:209], v[225:226], v[210:211]
	v_div_scale_f64 v[210:211], null, v[208:209], v[208:209], 1.0
	s_delay_alu instid0(VALU_DEP_1) | instskip(SKIP_2) | instid1(VALU_DEP_1)
	v_rcp_f64_e32 v[227:228], v[210:211]
	s_waitcnt_depctr 0xfff
	v_fma_f64 v[229:230], -v[210:211], v[227:228], 1.0
	v_fma_f64 v[227:228], v[227:228], v[229:230], v[227:228]
	s_delay_alu instid0(VALU_DEP_1) | instskip(NEXT) | instid1(VALU_DEP_1)
	v_fma_f64 v[229:230], -v[210:211], v[227:228], 1.0
	v_fma_f64 v[227:228], v[227:228], v[229:230], v[227:228]
	v_div_scale_f64 v[229:230], vcc_lo, 1.0, v[208:209], 1.0
	s_delay_alu instid0(VALU_DEP_1) | instskip(NEXT) | instid1(VALU_DEP_1)
	v_mul_f64 v[231:232], v[229:230], v[227:228]
	v_fma_f64 v[210:211], -v[210:211], v[231:232], v[229:230]
	s_delay_alu instid0(VALU_DEP_1) | instskip(NEXT) | instid1(VALU_DEP_1)
	v_div_fmas_f64 v[210:211], v[210:211], v[227:228], v[231:232]
	v_div_fixup_f64 v[210:211], v[210:211], v[208:209], 1.0
	s_delay_alu instid0(VALU_DEP_1)
	v_mul_f64 v[208:209], v[225:226], v[210:211]
	v_xor_b32_e32 v211, 0x80000000, v211
.LBB102_49:
	s_and_not1_saveexec_b32 s2, s2
	s_cbranch_execz .LBB102_51
; %bb.50:
	s_delay_alu instid0(VALU_DEP_1) | instskip(SKIP_1) | instid1(VALU_DEP_2)
	v_div_scale_f64 v[225:226], null, v[208:209], v[208:209], v[210:211]
	v_div_scale_f64 v[231:232], vcc_lo, v[210:211], v[208:209], v[210:211]
	v_rcp_f64_e32 v[227:228], v[225:226]
	s_waitcnt_depctr 0xfff
	v_fma_f64 v[229:230], -v[225:226], v[227:228], 1.0
	s_delay_alu instid0(VALU_DEP_1) | instskip(NEXT) | instid1(VALU_DEP_1)
	v_fma_f64 v[227:228], v[227:228], v[229:230], v[227:228]
	v_fma_f64 v[229:230], -v[225:226], v[227:228], 1.0
	s_delay_alu instid0(VALU_DEP_1) | instskip(NEXT) | instid1(VALU_DEP_1)
	v_fma_f64 v[227:228], v[227:228], v[229:230], v[227:228]
	v_mul_f64 v[229:230], v[231:232], v[227:228]
	s_delay_alu instid0(VALU_DEP_1) | instskip(NEXT) | instid1(VALU_DEP_1)
	v_fma_f64 v[225:226], -v[225:226], v[229:230], v[231:232]
	v_div_fmas_f64 v[225:226], v[225:226], v[227:228], v[229:230]
	s_delay_alu instid0(VALU_DEP_1) | instskip(NEXT) | instid1(VALU_DEP_1)
	v_div_fixup_f64 v[225:226], v[225:226], v[208:209], v[210:211]
	v_fma_f64 v[208:209], v[210:211], v[225:226], v[208:209]
	s_delay_alu instid0(VALU_DEP_1) | instskip(NEXT) | instid1(VALU_DEP_1)
	v_div_scale_f64 v[210:211], null, v[208:209], v[208:209], 1.0
	v_rcp_f64_e32 v[227:228], v[210:211]
	s_waitcnt_depctr 0xfff
	v_fma_f64 v[229:230], -v[210:211], v[227:228], 1.0
	s_delay_alu instid0(VALU_DEP_1) | instskip(NEXT) | instid1(VALU_DEP_1)
	v_fma_f64 v[227:228], v[227:228], v[229:230], v[227:228]
	v_fma_f64 v[229:230], -v[210:211], v[227:228], 1.0
	s_delay_alu instid0(VALU_DEP_1) | instskip(SKIP_1) | instid1(VALU_DEP_1)
	v_fma_f64 v[227:228], v[227:228], v[229:230], v[227:228]
	v_div_scale_f64 v[229:230], vcc_lo, 1.0, v[208:209], 1.0
	v_mul_f64 v[231:232], v[229:230], v[227:228]
	s_delay_alu instid0(VALU_DEP_1) | instskip(NEXT) | instid1(VALU_DEP_1)
	v_fma_f64 v[210:211], -v[210:211], v[231:232], v[229:230]
	v_div_fmas_f64 v[210:211], v[210:211], v[227:228], v[231:232]
	s_delay_alu instid0(VALU_DEP_1) | instskip(NEXT) | instid1(VALU_DEP_1)
	v_div_fixup_f64 v[208:209], v[210:211], v[208:209], 1.0
	v_mul_f64 v[210:211], v[225:226], -v[208:209]
.LBB102_51:
	s_or_b32 exec_lo, exec_lo, s2
.LBB102_52:
	s_delay_alu instid0(SALU_CYCLE_1) | instskip(NEXT) | instid1(SALU_CYCLE_1)
	s_or_b32 exec_lo, exec_lo, s3
	s_mov_b32 s2, exec_lo
	v_cmpx_ne_u32_e64 v224, v216
	s_xor_b32 s2, exec_lo, s2
	s_cbranch_execz .LBB102_58
; %bb.53:
	s_mov_b32 s3, exec_lo
	v_cmpx_eq_u32_e32 2, v224
	s_cbranch_execz .LBB102_57
; %bb.54:
	v_cmp_ne_u32_e32 vcc_lo, 2, v216
	s_xor_b32 s6, s4, -1
	s_delay_alu instid0(SALU_CYCLE_1) | instskip(NEXT) | instid1(SALU_CYCLE_1)
	s_and_b32 s7, s6, vcc_lo
	s_and_saveexec_b32 s6, s7
	s_cbranch_execz .LBB102_56
; %bb.55:
	v_ashrrev_i32_e32 v217, 31, v216
	s_delay_alu instid0(VALU_DEP_1) | instskip(NEXT) | instid1(VALU_DEP_1)
	v_lshlrev_b64 v[223:224], 2, v[216:217]
	v_add_co_u32 v223, vcc_lo, v214, v223
	s_delay_alu instid0(VALU_DEP_2)
	v_add_co_ci_u32_e32 v224, vcc_lo, v215, v224, vcc_lo
	s_clause 0x1
	flat_load_b32 v217, v[223:224]
	flat_load_b32 v225, v[214:215] offset:8
	s_waitcnt vmcnt(1) lgkmcnt(1)
	flat_store_b32 v[214:215], v217 offset:8
	s_waitcnt vmcnt(0) lgkmcnt(1)
	flat_store_b32 v[223:224], v225
.LBB102_56:
	s_or_b32 exec_lo, exec_lo, s6
	v_mov_b32_e32 v224, v216
	v_mov_b32_e32 v223, v216
.LBB102_57:
	s_or_b32 exec_lo, exec_lo, s3
.LBB102_58:
	s_and_not1_saveexec_b32 s2, s2
	s_cbranch_execz .LBB102_60
; %bb.59:
	v_mov_b32_e32 v224, 2
	ds_store_2addr_b64 v218, v[192:193], v[194:195] offset0:6 offset1:7
	ds_store_2addr_b64 v218, v[188:189], v[190:191] offset0:8 offset1:9
	;; [unrolled: 1-line block ×49, first 2 shown]
.LBB102_60:
	s_or_b32 exec_lo, exec_lo, s2
	s_delay_alu instid0(SALU_CYCLE_1)
	s_mov_b32 s2, exec_lo
	s_waitcnt lgkmcnt(0)
	s_waitcnt_vscnt null, 0x0
	s_barrier
	buffer_gl0_inv
	v_cmpx_lt_i32_e32 2, v224
	s_cbranch_execz .LBB102_62
; %bb.61:
	v_mul_f64 v[216:217], v[210:211], v[198:199]
	v_mul_f64 v[198:199], v[208:209], v[198:199]
	s_delay_alu instid0(VALU_DEP_2) | instskip(NEXT) | instid1(VALU_DEP_2)
	v_fma_f64 v[216:217], v[208:209], v[196:197], -v[216:217]
	v_fma_f64 v[198:199], v[210:211], v[196:197], v[198:199]
	ds_load_2addr_b64 v[208:211], v218 offset0:6 offset1:7
	s_waitcnt lgkmcnt(0)
	v_mul_f64 v[196:197], v[210:211], v[198:199]
	s_delay_alu instid0(VALU_DEP_1) | instskip(SKIP_1) | instid1(VALU_DEP_2)
	v_fma_f64 v[196:197], v[208:209], v[216:217], -v[196:197]
	v_mul_f64 v[208:209], v[208:209], v[198:199]
	v_add_f64 v[192:193], v[192:193], -v[196:197]
	s_delay_alu instid0(VALU_DEP_2) | instskip(NEXT) | instid1(VALU_DEP_1)
	v_fma_f64 v[208:209], v[210:211], v[216:217], v[208:209]
	v_add_f64 v[194:195], v[194:195], -v[208:209]
	ds_load_2addr_b64 v[208:211], v218 offset0:8 offset1:9
	s_waitcnt lgkmcnt(0)
	v_mul_f64 v[196:197], v[210:211], v[198:199]
	s_delay_alu instid0(VALU_DEP_1) | instskip(SKIP_1) | instid1(VALU_DEP_2)
	v_fma_f64 v[196:197], v[208:209], v[216:217], -v[196:197]
	v_mul_f64 v[208:209], v[208:209], v[198:199]
	v_add_f64 v[188:189], v[188:189], -v[196:197]
	s_delay_alu instid0(VALU_DEP_2) | instskip(NEXT) | instid1(VALU_DEP_1)
	v_fma_f64 v[208:209], v[210:211], v[216:217], v[208:209]
	v_add_f64 v[190:191], v[190:191], -v[208:209]
	;; [unrolled: 10-line block ×48, first 2 shown]
	ds_load_2addr_b64 v[208:211], v218 offset0:102 offset1:103
	s_waitcnt lgkmcnt(0)
	v_mul_f64 v[196:197], v[210:211], v[198:199]
	s_delay_alu instid0(VALU_DEP_1) | instskip(SKIP_1) | instid1(VALU_DEP_2)
	v_fma_f64 v[196:197], v[208:209], v[216:217], -v[196:197]
	v_mul_f64 v[208:209], v[208:209], v[198:199]
	v_add_f64 v[0:1], v[0:1], -v[196:197]
	s_delay_alu instid0(VALU_DEP_2) | instskip(SKIP_1) | instid1(VALU_DEP_2)
	v_fma_f64 v[208:209], v[210:211], v[216:217], v[208:209]
	v_dual_mov_b32 v196, v216 :: v_dual_mov_b32 v197, v217
	v_add_f64 v[2:3], v[2:3], -v[208:209]
.LBB102_62:
	s_or_b32 exec_lo, exec_lo, s2
	v_lshl_add_u32 v208, v224, 4, v218
	s_barrier
	buffer_gl0_inv
	v_mov_b32_e32 v216, 3
	ds_store_2addr_b64 v208, v[192:193], v[194:195] offset1:1
	s_waitcnt lgkmcnt(0)
	s_barrier
	buffer_gl0_inv
	ds_load_2addr_b64 v[208:211], v218 offset0:6 offset1:7
	s_cmp_lt_i32 s5, 5
	s_mov_b32 s6, 4
	s_cbranch_scc1 .LBB102_65
; %bb.63:
	v_add3_u32 v217, v222, 0, 64
	v_mov_b32_e32 v216, 3
	s_set_inst_prefetch_distance 0x1
	.p2align	6
.LBB102_64:                             ; =>This Inner Loop Header: Depth=1
	ds_load_2addr_b64 v[225:228], v217 offset1:1
	s_waitcnt lgkmcnt(1)
	v_cmp_gt_f64_e32 vcc_lo, 0, v[208:209]
	v_xor_b32_e32 v229, 0x80000000, v209
	v_cmp_gt_f64_e64 s2, 0, v[210:211]
	v_xor_b32_e32 v231, 0x80000000, v211
	v_add_nc_u32_e32 v217, 16, v217
	s_waitcnt lgkmcnt(0)
	v_cmp_gt_f64_e64 s3, 0, v[225:226]
	v_mov_b32_e32 v233, v225
	v_dual_mov_b32 v235, v227 :: v_dual_cndmask_b32 v230, v209, v229
	v_xor_b32_e32 v229, 0x80000000, v226
	v_cndmask_b32_e64 v232, v211, v231, s2
	v_xor_b32_e32 v231, 0x80000000, v228
	s_delay_alu instid0(VALU_DEP_3) | instskip(SKIP_2) | instid1(VALU_DEP_2)
	v_cndmask_b32_e64 v234, v226, v229, s3
	v_cmp_gt_f64_e64 s3, 0, v[227:228]
	v_cndmask_b32_e32 v229, v208, v208, vcc_lo
	v_cndmask_b32_e64 v236, v228, v231, s3
	v_cndmask_b32_e64 v231, v210, v210, s2
	s_delay_alu instid0(VALU_DEP_2) | instskip(NEXT) | instid1(VALU_DEP_2)
	v_add_f64 v[233:234], v[233:234], v[235:236]
	v_add_f64 v[229:230], v[229:230], v[231:232]
	s_delay_alu instid0(VALU_DEP_1) | instskip(SKIP_4) | instid1(SALU_CYCLE_1)
	v_cmp_lt_f64_e32 vcc_lo, v[229:230], v[233:234]
	v_dual_cndmask_b32 v210, v210, v227 :: v_dual_cndmask_b32 v209, v209, v226
	v_dual_cndmask_b32 v208, v208, v225 :: v_dual_cndmask_b32 v211, v211, v228
	v_cndmask_b32_e64 v216, v216, s6, vcc_lo
	s_add_i32 s6, s6, 1
	s_cmp_lg_u32 s5, s6
	s_cbranch_scc1 .LBB102_64
.LBB102_65:
	s_set_inst_prefetch_distance 0x2
	s_waitcnt lgkmcnt(0)
	v_cmp_eq_f64_e32 vcc_lo, 0, v[208:209]
	v_cmp_eq_f64_e64 s2, 0, v[210:211]
	s_delay_alu instid0(VALU_DEP_1) | instskip(NEXT) | instid1(SALU_CYCLE_1)
	s_and_b32 s2, vcc_lo, s2
	s_and_saveexec_b32 s3, s2
	s_delay_alu instid0(SALU_CYCLE_1)
	s_xor_b32 s2, exec_lo, s3
; %bb.66:
	v_cmp_ne_u32_e32 vcc_lo, 0, v221
	v_cndmask_b32_e32 v221, 4, v221, vcc_lo
; %bb.67:
	s_and_not1_saveexec_b32 s3, s2
	s_cbranch_execz .LBB102_73
; %bb.68:
	v_cmp_gt_f64_e32 vcc_lo, 0, v[208:209]
	v_cmp_gt_f64_e64 s2, 0, v[210:211]
	v_xor_b32_e32 v217, 0x80000000, v209
	v_xor_b32_e32 v225, 0x80000000, v211
	s_delay_alu instid0(VALU_DEP_2) | instskip(NEXT) | instid1(VALU_DEP_2)
	v_cndmask_b32_e32 v226, v209, v217, vcc_lo
	v_cndmask_b32_e64 v228, v211, v225, s2
	v_cndmask_b32_e32 v225, v208, v208, vcc_lo
	v_cndmask_b32_e64 v227, v210, v210, s2
	s_mov_b32 s2, exec_lo
	s_delay_alu instid0(VALU_DEP_1)
	v_cmpx_ngt_f64_e32 v[225:226], v[227:228]
	s_xor_b32 s2, exec_lo, s2
	s_cbranch_execz .LBB102_70
; %bb.69:
	v_div_scale_f64 v[225:226], null, v[210:211], v[210:211], v[208:209]
	v_div_scale_f64 v[231:232], vcc_lo, v[208:209], v[210:211], v[208:209]
	s_delay_alu instid0(VALU_DEP_2) | instskip(SKIP_2) | instid1(VALU_DEP_1)
	v_rcp_f64_e32 v[227:228], v[225:226]
	s_waitcnt_depctr 0xfff
	v_fma_f64 v[229:230], -v[225:226], v[227:228], 1.0
	v_fma_f64 v[227:228], v[227:228], v[229:230], v[227:228]
	s_delay_alu instid0(VALU_DEP_1) | instskip(NEXT) | instid1(VALU_DEP_1)
	v_fma_f64 v[229:230], -v[225:226], v[227:228], 1.0
	v_fma_f64 v[227:228], v[227:228], v[229:230], v[227:228]
	s_delay_alu instid0(VALU_DEP_1) | instskip(NEXT) | instid1(VALU_DEP_1)
	v_mul_f64 v[229:230], v[231:232], v[227:228]
	v_fma_f64 v[225:226], -v[225:226], v[229:230], v[231:232]
	s_delay_alu instid0(VALU_DEP_1) | instskip(NEXT) | instid1(VALU_DEP_1)
	v_div_fmas_f64 v[225:226], v[225:226], v[227:228], v[229:230]
	v_div_fixup_f64 v[225:226], v[225:226], v[210:211], v[208:209]
	s_delay_alu instid0(VALU_DEP_1) | instskip(NEXT) | instid1(VALU_DEP_1)
	v_fma_f64 v[208:209], v[208:209], v[225:226], v[210:211]
	v_div_scale_f64 v[210:211], null, v[208:209], v[208:209], 1.0
	s_delay_alu instid0(VALU_DEP_1) | instskip(SKIP_2) | instid1(VALU_DEP_1)
	v_rcp_f64_e32 v[227:228], v[210:211]
	s_waitcnt_depctr 0xfff
	v_fma_f64 v[229:230], -v[210:211], v[227:228], 1.0
	v_fma_f64 v[227:228], v[227:228], v[229:230], v[227:228]
	s_delay_alu instid0(VALU_DEP_1) | instskip(NEXT) | instid1(VALU_DEP_1)
	v_fma_f64 v[229:230], -v[210:211], v[227:228], 1.0
	v_fma_f64 v[227:228], v[227:228], v[229:230], v[227:228]
	v_div_scale_f64 v[229:230], vcc_lo, 1.0, v[208:209], 1.0
	s_delay_alu instid0(VALU_DEP_1) | instskip(NEXT) | instid1(VALU_DEP_1)
	v_mul_f64 v[231:232], v[229:230], v[227:228]
	v_fma_f64 v[210:211], -v[210:211], v[231:232], v[229:230]
	s_delay_alu instid0(VALU_DEP_1) | instskip(NEXT) | instid1(VALU_DEP_1)
	v_div_fmas_f64 v[210:211], v[210:211], v[227:228], v[231:232]
	v_div_fixup_f64 v[210:211], v[210:211], v[208:209], 1.0
	s_delay_alu instid0(VALU_DEP_1)
	v_mul_f64 v[208:209], v[225:226], v[210:211]
	v_xor_b32_e32 v211, 0x80000000, v211
.LBB102_70:
	s_and_not1_saveexec_b32 s2, s2
	s_cbranch_execz .LBB102_72
; %bb.71:
	s_delay_alu instid0(VALU_DEP_1) | instskip(SKIP_1) | instid1(VALU_DEP_2)
	v_div_scale_f64 v[225:226], null, v[208:209], v[208:209], v[210:211]
	v_div_scale_f64 v[231:232], vcc_lo, v[210:211], v[208:209], v[210:211]
	v_rcp_f64_e32 v[227:228], v[225:226]
	s_waitcnt_depctr 0xfff
	v_fma_f64 v[229:230], -v[225:226], v[227:228], 1.0
	s_delay_alu instid0(VALU_DEP_1) | instskip(NEXT) | instid1(VALU_DEP_1)
	v_fma_f64 v[227:228], v[227:228], v[229:230], v[227:228]
	v_fma_f64 v[229:230], -v[225:226], v[227:228], 1.0
	s_delay_alu instid0(VALU_DEP_1) | instskip(NEXT) | instid1(VALU_DEP_1)
	v_fma_f64 v[227:228], v[227:228], v[229:230], v[227:228]
	v_mul_f64 v[229:230], v[231:232], v[227:228]
	s_delay_alu instid0(VALU_DEP_1) | instskip(NEXT) | instid1(VALU_DEP_1)
	v_fma_f64 v[225:226], -v[225:226], v[229:230], v[231:232]
	v_div_fmas_f64 v[225:226], v[225:226], v[227:228], v[229:230]
	s_delay_alu instid0(VALU_DEP_1) | instskip(NEXT) | instid1(VALU_DEP_1)
	v_div_fixup_f64 v[225:226], v[225:226], v[208:209], v[210:211]
	v_fma_f64 v[208:209], v[210:211], v[225:226], v[208:209]
	s_delay_alu instid0(VALU_DEP_1) | instskip(NEXT) | instid1(VALU_DEP_1)
	v_div_scale_f64 v[210:211], null, v[208:209], v[208:209], 1.0
	v_rcp_f64_e32 v[227:228], v[210:211]
	s_waitcnt_depctr 0xfff
	v_fma_f64 v[229:230], -v[210:211], v[227:228], 1.0
	s_delay_alu instid0(VALU_DEP_1) | instskip(NEXT) | instid1(VALU_DEP_1)
	v_fma_f64 v[227:228], v[227:228], v[229:230], v[227:228]
	v_fma_f64 v[229:230], -v[210:211], v[227:228], 1.0
	s_delay_alu instid0(VALU_DEP_1) | instskip(SKIP_1) | instid1(VALU_DEP_1)
	v_fma_f64 v[227:228], v[227:228], v[229:230], v[227:228]
	v_div_scale_f64 v[229:230], vcc_lo, 1.0, v[208:209], 1.0
	v_mul_f64 v[231:232], v[229:230], v[227:228]
	s_delay_alu instid0(VALU_DEP_1) | instskip(NEXT) | instid1(VALU_DEP_1)
	v_fma_f64 v[210:211], -v[210:211], v[231:232], v[229:230]
	v_div_fmas_f64 v[210:211], v[210:211], v[227:228], v[231:232]
	s_delay_alu instid0(VALU_DEP_1) | instskip(NEXT) | instid1(VALU_DEP_1)
	v_div_fixup_f64 v[208:209], v[210:211], v[208:209], 1.0
	v_mul_f64 v[210:211], v[225:226], -v[208:209]
.LBB102_72:
	s_or_b32 exec_lo, exec_lo, s2
.LBB102_73:
	s_delay_alu instid0(SALU_CYCLE_1) | instskip(NEXT) | instid1(SALU_CYCLE_1)
	s_or_b32 exec_lo, exec_lo, s3
	s_mov_b32 s2, exec_lo
	v_cmpx_ne_u32_e64 v224, v216
	s_xor_b32 s2, exec_lo, s2
	s_cbranch_execz .LBB102_79
; %bb.74:
	s_mov_b32 s3, exec_lo
	v_cmpx_eq_u32_e32 3, v224
	s_cbranch_execz .LBB102_78
; %bb.75:
	v_cmp_ne_u32_e32 vcc_lo, 3, v216
	s_xor_b32 s6, s4, -1
	s_delay_alu instid0(SALU_CYCLE_1) | instskip(NEXT) | instid1(SALU_CYCLE_1)
	s_and_b32 s7, s6, vcc_lo
	s_and_saveexec_b32 s6, s7
	s_cbranch_execz .LBB102_77
; %bb.76:
	v_ashrrev_i32_e32 v217, 31, v216
	s_delay_alu instid0(VALU_DEP_1) | instskip(NEXT) | instid1(VALU_DEP_1)
	v_lshlrev_b64 v[223:224], 2, v[216:217]
	v_add_co_u32 v223, vcc_lo, v214, v223
	s_delay_alu instid0(VALU_DEP_2)
	v_add_co_ci_u32_e32 v224, vcc_lo, v215, v224, vcc_lo
	s_clause 0x1
	flat_load_b32 v217, v[223:224]
	flat_load_b32 v225, v[214:215] offset:12
	s_waitcnt vmcnt(1) lgkmcnt(1)
	flat_store_b32 v[214:215], v217 offset:12
	s_waitcnt vmcnt(0) lgkmcnt(1)
	flat_store_b32 v[223:224], v225
.LBB102_77:
	s_or_b32 exec_lo, exec_lo, s6
	v_mov_b32_e32 v224, v216
	v_mov_b32_e32 v223, v216
.LBB102_78:
	s_or_b32 exec_lo, exec_lo, s3
.LBB102_79:
	s_and_not1_saveexec_b32 s2, s2
	s_cbranch_execz .LBB102_81
; %bb.80:
	v_mov_b32_e32 v224, 3
	ds_store_2addr_b64 v218, v[188:189], v[190:191] offset0:8 offset1:9
	ds_store_2addr_b64 v218, v[184:185], v[186:187] offset0:10 offset1:11
	;; [unrolled: 1-line block ×48, first 2 shown]
.LBB102_81:
	s_or_b32 exec_lo, exec_lo, s2
	s_delay_alu instid0(SALU_CYCLE_1)
	s_mov_b32 s2, exec_lo
	s_waitcnt lgkmcnt(0)
	s_waitcnt_vscnt null, 0x0
	s_barrier
	buffer_gl0_inv
	v_cmpx_lt_i32_e32 3, v224
	s_cbranch_execz .LBB102_83
; %bb.82:
	v_mul_f64 v[216:217], v[210:211], v[194:195]
	v_mul_f64 v[194:195], v[208:209], v[194:195]
	s_delay_alu instid0(VALU_DEP_2) | instskip(NEXT) | instid1(VALU_DEP_2)
	v_fma_f64 v[216:217], v[208:209], v[192:193], -v[216:217]
	v_fma_f64 v[194:195], v[210:211], v[192:193], v[194:195]
	ds_load_2addr_b64 v[208:211], v218 offset0:8 offset1:9
	s_waitcnt lgkmcnt(0)
	v_mul_f64 v[192:193], v[210:211], v[194:195]
	s_delay_alu instid0(VALU_DEP_1) | instskip(SKIP_1) | instid1(VALU_DEP_2)
	v_fma_f64 v[192:193], v[208:209], v[216:217], -v[192:193]
	v_mul_f64 v[208:209], v[208:209], v[194:195]
	v_add_f64 v[188:189], v[188:189], -v[192:193]
	s_delay_alu instid0(VALU_DEP_2) | instskip(NEXT) | instid1(VALU_DEP_1)
	v_fma_f64 v[208:209], v[210:211], v[216:217], v[208:209]
	v_add_f64 v[190:191], v[190:191], -v[208:209]
	ds_load_2addr_b64 v[208:211], v218 offset0:10 offset1:11
	s_waitcnt lgkmcnt(0)
	v_mul_f64 v[192:193], v[210:211], v[194:195]
	s_delay_alu instid0(VALU_DEP_1) | instskip(SKIP_1) | instid1(VALU_DEP_2)
	v_fma_f64 v[192:193], v[208:209], v[216:217], -v[192:193]
	v_mul_f64 v[208:209], v[208:209], v[194:195]
	v_add_f64 v[184:185], v[184:185], -v[192:193]
	s_delay_alu instid0(VALU_DEP_2) | instskip(NEXT) | instid1(VALU_DEP_1)
	v_fma_f64 v[208:209], v[210:211], v[216:217], v[208:209]
	v_add_f64 v[186:187], v[186:187], -v[208:209]
	;; [unrolled: 10-line block ×47, first 2 shown]
	ds_load_2addr_b64 v[208:211], v218 offset0:102 offset1:103
	s_waitcnt lgkmcnt(0)
	v_mul_f64 v[192:193], v[210:211], v[194:195]
	s_delay_alu instid0(VALU_DEP_1) | instskip(SKIP_1) | instid1(VALU_DEP_2)
	v_fma_f64 v[192:193], v[208:209], v[216:217], -v[192:193]
	v_mul_f64 v[208:209], v[208:209], v[194:195]
	v_add_f64 v[0:1], v[0:1], -v[192:193]
	s_delay_alu instid0(VALU_DEP_2) | instskip(SKIP_1) | instid1(VALU_DEP_2)
	v_fma_f64 v[208:209], v[210:211], v[216:217], v[208:209]
	v_dual_mov_b32 v192, v216 :: v_dual_mov_b32 v193, v217
	v_add_f64 v[2:3], v[2:3], -v[208:209]
.LBB102_83:
	s_or_b32 exec_lo, exec_lo, s2
	v_lshl_add_u32 v208, v224, 4, v218
	s_barrier
	buffer_gl0_inv
	v_mov_b32_e32 v216, 4
	ds_store_2addr_b64 v208, v[188:189], v[190:191] offset1:1
	s_waitcnt lgkmcnt(0)
	s_barrier
	buffer_gl0_inv
	ds_load_2addr_b64 v[208:211], v218 offset0:8 offset1:9
	s_cmp_lt_i32 s5, 6
	s_cbranch_scc1 .LBB102_86
; %bb.84:
	v_add3_u32 v217, v222, 0, 0x50
	v_mov_b32_e32 v216, 4
	s_mov_b32 s6, 5
	s_set_inst_prefetch_distance 0x1
	.p2align	6
.LBB102_85:                             ; =>This Inner Loop Header: Depth=1
	ds_load_2addr_b64 v[225:228], v217 offset1:1
	s_waitcnt lgkmcnt(1)
	v_cmp_gt_f64_e32 vcc_lo, 0, v[208:209]
	v_xor_b32_e32 v229, 0x80000000, v209
	v_cmp_gt_f64_e64 s2, 0, v[210:211]
	v_xor_b32_e32 v231, 0x80000000, v211
	v_add_nc_u32_e32 v217, 16, v217
	s_waitcnt lgkmcnt(0)
	v_cmp_gt_f64_e64 s3, 0, v[225:226]
	v_mov_b32_e32 v233, v225
	v_dual_mov_b32 v235, v227 :: v_dual_cndmask_b32 v230, v209, v229
	v_xor_b32_e32 v229, 0x80000000, v226
	v_cndmask_b32_e64 v232, v211, v231, s2
	v_xor_b32_e32 v231, 0x80000000, v228
	s_delay_alu instid0(VALU_DEP_3) | instskip(SKIP_2) | instid1(VALU_DEP_2)
	v_cndmask_b32_e64 v234, v226, v229, s3
	v_cmp_gt_f64_e64 s3, 0, v[227:228]
	v_cndmask_b32_e32 v229, v208, v208, vcc_lo
	v_cndmask_b32_e64 v236, v228, v231, s3
	v_cndmask_b32_e64 v231, v210, v210, s2
	s_delay_alu instid0(VALU_DEP_2) | instskip(NEXT) | instid1(VALU_DEP_2)
	v_add_f64 v[233:234], v[233:234], v[235:236]
	v_add_f64 v[229:230], v[229:230], v[231:232]
	s_delay_alu instid0(VALU_DEP_1) | instskip(SKIP_4) | instid1(SALU_CYCLE_1)
	v_cmp_lt_f64_e32 vcc_lo, v[229:230], v[233:234]
	v_dual_cndmask_b32 v210, v210, v227 :: v_dual_cndmask_b32 v209, v209, v226
	v_dual_cndmask_b32 v208, v208, v225 :: v_dual_cndmask_b32 v211, v211, v228
	v_cndmask_b32_e64 v216, v216, s6, vcc_lo
	s_add_i32 s6, s6, 1
	s_cmp_lg_u32 s5, s6
	s_cbranch_scc1 .LBB102_85
.LBB102_86:
	s_set_inst_prefetch_distance 0x2
	s_waitcnt lgkmcnt(0)
	v_cmp_eq_f64_e32 vcc_lo, 0, v[208:209]
	v_cmp_eq_f64_e64 s2, 0, v[210:211]
	s_delay_alu instid0(VALU_DEP_1) | instskip(NEXT) | instid1(SALU_CYCLE_1)
	s_and_b32 s2, vcc_lo, s2
	s_and_saveexec_b32 s3, s2
	s_delay_alu instid0(SALU_CYCLE_1)
	s_xor_b32 s2, exec_lo, s3
; %bb.87:
	v_cmp_ne_u32_e32 vcc_lo, 0, v221
	v_cndmask_b32_e32 v221, 5, v221, vcc_lo
; %bb.88:
	s_and_not1_saveexec_b32 s3, s2
	s_cbranch_execz .LBB102_94
; %bb.89:
	v_cmp_gt_f64_e32 vcc_lo, 0, v[208:209]
	v_cmp_gt_f64_e64 s2, 0, v[210:211]
	v_xor_b32_e32 v217, 0x80000000, v209
	v_xor_b32_e32 v225, 0x80000000, v211
	s_delay_alu instid0(VALU_DEP_2) | instskip(NEXT) | instid1(VALU_DEP_2)
	v_cndmask_b32_e32 v226, v209, v217, vcc_lo
	v_cndmask_b32_e64 v228, v211, v225, s2
	v_cndmask_b32_e32 v225, v208, v208, vcc_lo
	v_cndmask_b32_e64 v227, v210, v210, s2
	s_mov_b32 s2, exec_lo
	s_delay_alu instid0(VALU_DEP_1)
	v_cmpx_ngt_f64_e32 v[225:226], v[227:228]
	s_xor_b32 s2, exec_lo, s2
	s_cbranch_execz .LBB102_91
; %bb.90:
	v_div_scale_f64 v[225:226], null, v[210:211], v[210:211], v[208:209]
	v_div_scale_f64 v[231:232], vcc_lo, v[208:209], v[210:211], v[208:209]
	s_delay_alu instid0(VALU_DEP_2) | instskip(SKIP_2) | instid1(VALU_DEP_1)
	v_rcp_f64_e32 v[227:228], v[225:226]
	s_waitcnt_depctr 0xfff
	v_fma_f64 v[229:230], -v[225:226], v[227:228], 1.0
	v_fma_f64 v[227:228], v[227:228], v[229:230], v[227:228]
	s_delay_alu instid0(VALU_DEP_1) | instskip(NEXT) | instid1(VALU_DEP_1)
	v_fma_f64 v[229:230], -v[225:226], v[227:228], 1.0
	v_fma_f64 v[227:228], v[227:228], v[229:230], v[227:228]
	s_delay_alu instid0(VALU_DEP_1) | instskip(NEXT) | instid1(VALU_DEP_1)
	v_mul_f64 v[229:230], v[231:232], v[227:228]
	v_fma_f64 v[225:226], -v[225:226], v[229:230], v[231:232]
	s_delay_alu instid0(VALU_DEP_1) | instskip(NEXT) | instid1(VALU_DEP_1)
	v_div_fmas_f64 v[225:226], v[225:226], v[227:228], v[229:230]
	v_div_fixup_f64 v[225:226], v[225:226], v[210:211], v[208:209]
	s_delay_alu instid0(VALU_DEP_1) | instskip(NEXT) | instid1(VALU_DEP_1)
	v_fma_f64 v[208:209], v[208:209], v[225:226], v[210:211]
	v_div_scale_f64 v[210:211], null, v[208:209], v[208:209], 1.0
	s_delay_alu instid0(VALU_DEP_1) | instskip(SKIP_2) | instid1(VALU_DEP_1)
	v_rcp_f64_e32 v[227:228], v[210:211]
	s_waitcnt_depctr 0xfff
	v_fma_f64 v[229:230], -v[210:211], v[227:228], 1.0
	v_fma_f64 v[227:228], v[227:228], v[229:230], v[227:228]
	s_delay_alu instid0(VALU_DEP_1) | instskip(NEXT) | instid1(VALU_DEP_1)
	v_fma_f64 v[229:230], -v[210:211], v[227:228], 1.0
	v_fma_f64 v[227:228], v[227:228], v[229:230], v[227:228]
	v_div_scale_f64 v[229:230], vcc_lo, 1.0, v[208:209], 1.0
	s_delay_alu instid0(VALU_DEP_1) | instskip(NEXT) | instid1(VALU_DEP_1)
	v_mul_f64 v[231:232], v[229:230], v[227:228]
	v_fma_f64 v[210:211], -v[210:211], v[231:232], v[229:230]
	s_delay_alu instid0(VALU_DEP_1) | instskip(NEXT) | instid1(VALU_DEP_1)
	v_div_fmas_f64 v[210:211], v[210:211], v[227:228], v[231:232]
	v_div_fixup_f64 v[210:211], v[210:211], v[208:209], 1.0
	s_delay_alu instid0(VALU_DEP_1)
	v_mul_f64 v[208:209], v[225:226], v[210:211]
	v_xor_b32_e32 v211, 0x80000000, v211
.LBB102_91:
	s_and_not1_saveexec_b32 s2, s2
	s_cbranch_execz .LBB102_93
; %bb.92:
	s_delay_alu instid0(VALU_DEP_1) | instskip(SKIP_1) | instid1(VALU_DEP_2)
	v_div_scale_f64 v[225:226], null, v[208:209], v[208:209], v[210:211]
	v_div_scale_f64 v[231:232], vcc_lo, v[210:211], v[208:209], v[210:211]
	v_rcp_f64_e32 v[227:228], v[225:226]
	s_waitcnt_depctr 0xfff
	v_fma_f64 v[229:230], -v[225:226], v[227:228], 1.0
	s_delay_alu instid0(VALU_DEP_1) | instskip(NEXT) | instid1(VALU_DEP_1)
	v_fma_f64 v[227:228], v[227:228], v[229:230], v[227:228]
	v_fma_f64 v[229:230], -v[225:226], v[227:228], 1.0
	s_delay_alu instid0(VALU_DEP_1) | instskip(NEXT) | instid1(VALU_DEP_1)
	v_fma_f64 v[227:228], v[227:228], v[229:230], v[227:228]
	v_mul_f64 v[229:230], v[231:232], v[227:228]
	s_delay_alu instid0(VALU_DEP_1) | instskip(NEXT) | instid1(VALU_DEP_1)
	v_fma_f64 v[225:226], -v[225:226], v[229:230], v[231:232]
	v_div_fmas_f64 v[225:226], v[225:226], v[227:228], v[229:230]
	s_delay_alu instid0(VALU_DEP_1) | instskip(NEXT) | instid1(VALU_DEP_1)
	v_div_fixup_f64 v[225:226], v[225:226], v[208:209], v[210:211]
	v_fma_f64 v[208:209], v[210:211], v[225:226], v[208:209]
	s_delay_alu instid0(VALU_DEP_1) | instskip(NEXT) | instid1(VALU_DEP_1)
	v_div_scale_f64 v[210:211], null, v[208:209], v[208:209], 1.0
	v_rcp_f64_e32 v[227:228], v[210:211]
	s_waitcnt_depctr 0xfff
	v_fma_f64 v[229:230], -v[210:211], v[227:228], 1.0
	s_delay_alu instid0(VALU_DEP_1) | instskip(NEXT) | instid1(VALU_DEP_1)
	v_fma_f64 v[227:228], v[227:228], v[229:230], v[227:228]
	v_fma_f64 v[229:230], -v[210:211], v[227:228], 1.0
	s_delay_alu instid0(VALU_DEP_1) | instskip(SKIP_1) | instid1(VALU_DEP_1)
	v_fma_f64 v[227:228], v[227:228], v[229:230], v[227:228]
	v_div_scale_f64 v[229:230], vcc_lo, 1.0, v[208:209], 1.0
	v_mul_f64 v[231:232], v[229:230], v[227:228]
	s_delay_alu instid0(VALU_DEP_1) | instskip(NEXT) | instid1(VALU_DEP_1)
	v_fma_f64 v[210:211], -v[210:211], v[231:232], v[229:230]
	v_div_fmas_f64 v[210:211], v[210:211], v[227:228], v[231:232]
	s_delay_alu instid0(VALU_DEP_1) | instskip(NEXT) | instid1(VALU_DEP_1)
	v_div_fixup_f64 v[208:209], v[210:211], v[208:209], 1.0
	v_mul_f64 v[210:211], v[225:226], -v[208:209]
.LBB102_93:
	s_or_b32 exec_lo, exec_lo, s2
.LBB102_94:
	s_delay_alu instid0(SALU_CYCLE_1) | instskip(NEXT) | instid1(SALU_CYCLE_1)
	s_or_b32 exec_lo, exec_lo, s3
	s_mov_b32 s2, exec_lo
	v_cmpx_ne_u32_e64 v224, v216
	s_xor_b32 s2, exec_lo, s2
	s_cbranch_execz .LBB102_100
; %bb.95:
	s_mov_b32 s3, exec_lo
	v_cmpx_eq_u32_e32 4, v224
	s_cbranch_execz .LBB102_99
; %bb.96:
	v_cmp_ne_u32_e32 vcc_lo, 4, v216
	s_xor_b32 s6, s4, -1
	s_delay_alu instid0(SALU_CYCLE_1) | instskip(NEXT) | instid1(SALU_CYCLE_1)
	s_and_b32 s7, s6, vcc_lo
	s_and_saveexec_b32 s6, s7
	s_cbranch_execz .LBB102_98
; %bb.97:
	v_ashrrev_i32_e32 v217, 31, v216
	s_delay_alu instid0(VALU_DEP_1) | instskip(NEXT) | instid1(VALU_DEP_1)
	v_lshlrev_b64 v[223:224], 2, v[216:217]
	v_add_co_u32 v223, vcc_lo, v214, v223
	s_delay_alu instid0(VALU_DEP_2)
	v_add_co_ci_u32_e32 v224, vcc_lo, v215, v224, vcc_lo
	s_clause 0x1
	flat_load_b32 v217, v[223:224]
	flat_load_b32 v225, v[214:215] offset:16
	s_waitcnt vmcnt(1) lgkmcnt(1)
	flat_store_b32 v[214:215], v217 offset:16
	s_waitcnt vmcnt(0) lgkmcnt(1)
	flat_store_b32 v[223:224], v225
.LBB102_98:
	s_or_b32 exec_lo, exec_lo, s6
	v_mov_b32_e32 v224, v216
	v_mov_b32_e32 v223, v216
.LBB102_99:
	s_or_b32 exec_lo, exec_lo, s3
.LBB102_100:
	s_and_not1_saveexec_b32 s2, s2
	s_cbranch_execz .LBB102_102
; %bb.101:
	v_mov_b32_e32 v224, 4
	ds_store_2addr_b64 v218, v[184:185], v[186:187] offset0:10 offset1:11
	ds_store_2addr_b64 v218, v[180:181], v[182:183] offset0:12 offset1:13
	;; [unrolled: 1-line block ×47, first 2 shown]
.LBB102_102:
	s_or_b32 exec_lo, exec_lo, s2
	s_delay_alu instid0(SALU_CYCLE_1)
	s_mov_b32 s2, exec_lo
	s_waitcnt lgkmcnt(0)
	s_waitcnt_vscnt null, 0x0
	s_barrier
	buffer_gl0_inv
	v_cmpx_lt_i32_e32 4, v224
	s_cbranch_execz .LBB102_104
; %bb.103:
	v_mul_f64 v[216:217], v[210:211], v[190:191]
	v_mul_f64 v[190:191], v[208:209], v[190:191]
	s_delay_alu instid0(VALU_DEP_2) | instskip(NEXT) | instid1(VALU_DEP_2)
	v_fma_f64 v[216:217], v[208:209], v[188:189], -v[216:217]
	v_fma_f64 v[190:191], v[210:211], v[188:189], v[190:191]
	ds_load_2addr_b64 v[208:211], v218 offset0:10 offset1:11
	s_waitcnt lgkmcnt(0)
	v_mul_f64 v[188:189], v[210:211], v[190:191]
	s_delay_alu instid0(VALU_DEP_1) | instskip(SKIP_1) | instid1(VALU_DEP_2)
	v_fma_f64 v[188:189], v[208:209], v[216:217], -v[188:189]
	v_mul_f64 v[208:209], v[208:209], v[190:191]
	v_add_f64 v[184:185], v[184:185], -v[188:189]
	s_delay_alu instid0(VALU_DEP_2) | instskip(NEXT) | instid1(VALU_DEP_1)
	v_fma_f64 v[208:209], v[210:211], v[216:217], v[208:209]
	v_add_f64 v[186:187], v[186:187], -v[208:209]
	ds_load_2addr_b64 v[208:211], v218 offset0:12 offset1:13
	s_waitcnt lgkmcnt(0)
	v_mul_f64 v[188:189], v[210:211], v[190:191]
	s_delay_alu instid0(VALU_DEP_1) | instskip(SKIP_1) | instid1(VALU_DEP_2)
	v_fma_f64 v[188:189], v[208:209], v[216:217], -v[188:189]
	v_mul_f64 v[208:209], v[208:209], v[190:191]
	v_add_f64 v[180:181], v[180:181], -v[188:189]
	s_delay_alu instid0(VALU_DEP_2) | instskip(NEXT) | instid1(VALU_DEP_1)
	v_fma_f64 v[208:209], v[210:211], v[216:217], v[208:209]
	v_add_f64 v[182:183], v[182:183], -v[208:209]
	;; [unrolled: 10-line block ×46, first 2 shown]
	ds_load_2addr_b64 v[208:211], v218 offset0:102 offset1:103
	s_waitcnt lgkmcnt(0)
	v_mul_f64 v[188:189], v[210:211], v[190:191]
	s_delay_alu instid0(VALU_DEP_1) | instskip(SKIP_1) | instid1(VALU_DEP_2)
	v_fma_f64 v[188:189], v[208:209], v[216:217], -v[188:189]
	v_mul_f64 v[208:209], v[208:209], v[190:191]
	v_add_f64 v[0:1], v[0:1], -v[188:189]
	s_delay_alu instid0(VALU_DEP_2) | instskip(SKIP_1) | instid1(VALU_DEP_2)
	v_fma_f64 v[208:209], v[210:211], v[216:217], v[208:209]
	v_dual_mov_b32 v188, v216 :: v_dual_mov_b32 v189, v217
	v_add_f64 v[2:3], v[2:3], -v[208:209]
.LBB102_104:
	s_or_b32 exec_lo, exec_lo, s2
	v_lshl_add_u32 v208, v224, 4, v218
	s_barrier
	buffer_gl0_inv
	v_mov_b32_e32 v216, 5
	ds_store_2addr_b64 v208, v[184:185], v[186:187] offset1:1
	s_waitcnt lgkmcnt(0)
	s_barrier
	buffer_gl0_inv
	ds_load_2addr_b64 v[208:211], v218 offset0:10 offset1:11
	s_cmp_lt_i32 s5, 7
	s_cbranch_scc1 .LBB102_107
; %bb.105:
	v_add3_u32 v217, v222, 0, 0x60
	v_mov_b32_e32 v216, 5
	s_mov_b32 s6, 6
	s_set_inst_prefetch_distance 0x1
	.p2align	6
.LBB102_106:                            ; =>This Inner Loop Header: Depth=1
	ds_load_2addr_b64 v[225:228], v217 offset1:1
	s_waitcnt lgkmcnt(1)
	v_cmp_gt_f64_e32 vcc_lo, 0, v[208:209]
	v_xor_b32_e32 v229, 0x80000000, v209
	v_cmp_gt_f64_e64 s2, 0, v[210:211]
	v_xor_b32_e32 v231, 0x80000000, v211
	v_add_nc_u32_e32 v217, 16, v217
	s_waitcnt lgkmcnt(0)
	v_cmp_gt_f64_e64 s3, 0, v[225:226]
	v_mov_b32_e32 v233, v225
	v_dual_mov_b32 v235, v227 :: v_dual_cndmask_b32 v230, v209, v229
	v_xor_b32_e32 v229, 0x80000000, v226
	v_cndmask_b32_e64 v232, v211, v231, s2
	v_xor_b32_e32 v231, 0x80000000, v228
	s_delay_alu instid0(VALU_DEP_3) | instskip(SKIP_2) | instid1(VALU_DEP_2)
	v_cndmask_b32_e64 v234, v226, v229, s3
	v_cmp_gt_f64_e64 s3, 0, v[227:228]
	v_cndmask_b32_e32 v229, v208, v208, vcc_lo
	v_cndmask_b32_e64 v236, v228, v231, s3
	v_cndmask_b32_e64 v231, v210, v210, s2
	s_delay_alu instid0(VALU_DEP_2) | instskip(NEXT) | instid1(VALU_DEP_2)
	v_add_f64 v[233:234], v[233:234], v[235:236]
	v_add_f64 v[229:230], v[229:230], v[231:232]
	s_delay_alu instid0(VALU_DEP_1) | instskip(SKIP_4) | instid1(SALU_CYCLE_1)
	v_cmp_lt_f64_e32 vcc_lo, v[229:230], v[233:234]
	v_dual_cndmask_b32 v210, v210, v227 :: v_dual_cndmask_b32 v209, v209, v226
	v_dual_cndmask_b32 v208, v208, v225 :: v_dual_cndmask_b32 v211, v211, v228
	v_cndmask_b32_e64 v216, v216, s6, vcc_lo
	s_add_i32 s6, s6, 1
	s_cmp_lg_u32 s5, s6
	s_cbranch_scc1 .LBB102_106
.LBB102_107:
	s_set_inst_prefetch_distance 0x2
	s_waitcnt lgkmcnt(0)
	v_cmp_eq_f64_e32 vcc_lo, 0, v[208:209]
	v_cmp_eq_f64_e64 s2, 0, v[210:211]
	s_delay_alu instid0(VALU_DEP_1) | instskip(NEXT) | instid1(SALU_CYCLE_1)
	s_and_b32 s2, vcc_lo, s2
	s_and_saveexec_b32 s3, s2
	s_delay_alu instid0(SALU_CYCLE_1)
	s_xor_b32 s2, exec_lo, s3
; %bb.108:
	v_cmp_ne_u32_e32 vcc_lo, 0, v221
	v_cndmask_b32_e32 v221, 6, v221, vcc_lo
; %bb.109:
	s_and_not1_saveexec_b32 s3, s2
	s_cbranch_execz .LBB102_115
; %bb.110:
	v_cmp_gt_f64_e32 vcc_lo, 0, v[208:209]
	v_cmp_gt_f64_e64 s2, 0, v[210:211]
	v_xor_b32_e32 v217, 0x80000000, v209
	v_xor_b32_e32 v225, 0x80000000, v211
	s_delay_alu instid0(VALU_DEP_2) | instskip(NEXT) | instid1(VALU_DEP_2)
	v_cndmask_b32_e32 v226, v209, v217, vcc_lo
	v_cndmask_b32_e64 v228, v211, v225, s2
	v_cndmask_b32_e32 v225, v208, v208, vcc_lo
	v_cndmask_b32_e64 v227, v210, v210, s2
	s_mov_b32 s2, exec_lo
	s_delay_alu instid0(VALU_DEP_1)
	v_cmpx_ngt_f64_e32 v[225:226], v[227:228]
	s_xor_b32 s2, exec_lo, s2
	s_cbranch_execz .LBB102_112
; %bb.111:
	v_div_scale_f64 v[225:226], null, v[210:211], v[210:211], v[208:209]
	v_div_scale_f64 v[231:232], vcc_lo, v[208:209], v[210:211], v[208:209]
	s_delay_alu instid0(VALU_DEP_2) | instskip(SKIP_2) | instid1(VALU_DEP_1)
	v_rcp_f64_e32 v[227:228], v[225:226]
	s_waitcnt_depctr 0xfff
	v_fma_f64 v[229:230], -v[225:226], v[227:228], 1.0
	v_fma_f64 v[227:228], v[227:228], v[229:230], v[227:228]
	s_delay_alu instid0(VALU_DEP_1) | instskip(NEXT) | instid1(VALU_DEP_1)
	v_fma_f64 v[229:230], -v[225:226], v[227:228], 1.0
	v_fma_f64 v[227:228], v[227:228], v[229:230], v[227:228]
	s_delay_alu instid0(VALU_DEP_1) | instskip(NEXT) | instid1(VALU_DEP_1)
	v_mul_f64 v[229:230], v[231:232], v[227:228]
	v_fma_f64 v[225:226], -v[225:226], v[229:230], v[231:232]
	s_delay_alu instid0(VALU_DEP_1) | instskip(NEXT) | instid1(VALU_DEP_1)
	v_div_fmas_f64 v[225:226], v[225:226], v[227:228], v[229:230]
	v_div_fixup_f64 v[225:226], v[225:226], v[210:211], v[208:209]
	s_delay_alu instid0(VALU_DEP_1) | instskip(NEXT) | instid1(VALU_DEP_1)
	v_fma_f64 v[208:209], v[208:209], v[225:226], v[210:211]
	v_div_scale_f64 v[210:211], null, v[208:209], v[208:209], 1.0
	s_delay_alu instid0(VALU_DEP_1) | instskip(SKIP_2) | instid1(VALU_DEP_1)
	v_rcp_f64_e32 v[227:228], v[210:211]
	s_waitcnt_depctr 0xfff
	v_fma_f64 v[229:230], -v[210:211], v[227:228], 1.0
	v_fma_f64 v[227:228], v[227:228], v[229:230], v[227:228]
	s_delay_alu instid0(VALU_DEP_1) | instskip(NEXT) | instid1(VALU_DEP_1)
	v_fma_f64 v[229:230], -v[210:211], v[227:228], 1.0
	v_fma_f64 v[227:228], v[227:228], v[229:230], v[227:228]
	v_div_scale_f64 v[229:230], vcc_lo, 1.0, v[208:209], 1.0
	s_delay_alu instid0(VALU_DEP_1) | instskip(NEXT) | instid1(VALU_DEP_1)
	v_mul_f64 v[231:232], v[229:230], v[227:228]
	v_fma_f64 v[210:211], -v[210:211], v[231:232], v[229:230]
	s_delay_alu instid0(VALU_DEP_1) | instskip(NEXT) | instid1(VALU_DEP_1)
	v_div_fmas_f64 v[210:211], v[210:211], v[227:228], v[231:232]
	v_div_fixup_f64 v[210:211], v[210:211], v[208:209], 1.0
	s_delay_alu instid0(VALU_DEP_1)
	v_mul_f64 v[208:209], v[225:226], v[210:211]
	v_xor_b32_e32 v211, 0x80000000, v211
.LBB102_112:
	s_and_not1_saveexec_b32 s2, s2
	s_cbranch_execz .LBB102_114
; %bb.113:
	s_delay_alu instid0(VALU_DEP_1) | instskip(SKIP_1) | instid1(VALU_DEP_2)
	v_div_scale_f64 v[225:226], null, v[208:209], v[208:209], v[210:211]
	v_div_scale_f64 v[231:232], vcc_lo, v[210:211], v[208:209], v[210:211]
	v_rcp_f64_e32 v[227:228], v[225:226]
	s_waitcnt_depctr 0xfff
	v_fma_f64 v[229:230], -v[225:226], v[227:228], 1.0
	s_delay_alu instid0(VALU_DEP_1) | instskip(NEXT) | instid1(VALU_DEP_1)
	v_fma_f64 v[227:228], v[227:228], v[229:230], v[227:228]
	v_fma_f64 v[229:230], -v[225:226], v[227:228], 1.0
	s_delay_alu instid0(VALU_DEP_1) | instskip(NEXT) | instid1(VALU_DEP_1)
	v_fma_f64 v[227:228], v[227:228], v[229:230], v[227:228]
	v_mul_f64 v[229:230], v[231:232], v[227:228]
	s_delay_alu instid0(VALU_DEP_1) | instskip(NEXT) | instid1(VALU_DEP_1)
	v_fma_f64 v[225:226], -v[225:226], v[229:230], v[231:232]
	v_div_fmas_f64 v[225:226], v[225:226], v[227:228], v[229:230]
	s_delay_alu instid0(VALU_DEP_1) | instskip(NEXT) | instid1(VALU_DEP_1)
	v_div_fixup_f64 v[225:226], v[225:226], v[208:209], v[210:211]
	v_fma_f64 v[208:209], v[210:211], v[225:226], v[208:209]
	s_delay_alu instid0(VALU_DEP_1) | instskip(NEXT) | instid1(VALU_DEP_1)
	v_div_scale_f64 v[210:211], null, v[208:209], v[208:209], 1.0
	v_rcp_f64_e32 v[227:228], v[210:211]
	s_waitcnt_depctr 0xfff
	v_fma_f64 v[229:230], -v[210:211], v[227:228], 1.0
	s_delay_alu instid0(VALU_DEP_1) | instskip(NEXT) | instid1(VALU_DEP_1)
	v_fma_f64 v[227:228], v[227:228], v[229:230], v[227:228]
	v_fma_f64 v[229:230], -v[210:211], v[227:228], 1.0
	s_delay_alu instid0(VALU_DEP_1) | instskip(SKIP_1) | instid1(VALU_DEP_1)
	v_fma_f64 v[227:228], v[227:228], v[229:230], v[227:228]
	v_div_scale_f64 v[229:230], vcc_lo, 1.0, v[208:209], 1.0
	v_mul_f64 v[231:232], v[229:230], v[227:228]
	s_delay_alu instid0(VALU_DEP_1) | instskip(NEXT) | instid1(VALU_DEP_1)
	v_fma_f64 v[210:211], -v[210:211], v[231:232], v[229:230]
	v_div_fmas_f64 v[210:211], v[210:211], v[227:228], v[231:232]
	s_delay_alu instid0(VALU_DEP_1) | instskip(NEXT) | instid1(VALU_DEP_1)
	v_div_fixup_f64 v[208:209], v[210:211], v[208:209], 1.0
	v_mul_f64 v[210:211], v[225:226], -v[208:209]
.LBB102_114:
	s_or_b32 exec_lo, exec_lo, s2
.LBB102_115:
	s_delay_alu instid0(SALU_CYCLE_1) | instskip(NEXT) | instid1(SALU_CYCLE_1)
	s_or_b32 exec_lo, exec_lo, s3
	s_mov_b32 s2, exec_lo
	v_cmpx_ne_u32_e64 v224, v216
	s_xor_b32 s2, exec_lo, s2
	s_cbranch_execz .LBB102_121
; %bb.116:
	s_mov_b32 s3, exec_lo
	v_cmpx_eq_u32_e32 5, v224
	s_cbranch_execz .LBB102_120
; %bb.117:
	v_cmp_ne_u32_e32 vcc_lo, 5, v216
	s_xor_b32 s6, s4, -1
	s_delay_alu instid0(SALU_CYCLE_1) | instskip(NEXT) | instid1(SALU_CYCLE_1)
	s_and_b32 s7, s6, vcc_lo
	s_and_saveexec_b32 s6, s7
	s_cbranch_execz .LBB102_119
; %bb.118:
	v_ashrrev_i32_e32 v217, 31, v216
	s_delay_alu instid0(VALU_DEP_1) | instskip(NEXT) | instid1(VALU_DEP_1)
	v_lshlrev_b64 v[223:224], 2, v[216:217]
	v_add_co_u32 v223, vcc_lo, v214, v223
	s_delay_alu instid0(VALU_DEP_2)
	v_add_co_ci_u32_e32 v224, vcc_lo, v215, v224, vcc_lo
	s_clause 0x1
	flat_load_b32 v217, v[223:224]
	flat_load_b32 v225, v[214:215] offset:20
	s_waitcnt vmcnt(1) lgkmcnt(1)
	flat_store_b32 v[214:215], v217 offset:20
	s_waitcnt vmcnt(0) lgkmcnt(1)
	flat_store_b32 v[223:224], v225
.LBB102_119:
	s_or_b32 exec_lo, exec_lo, s6
	v_mov_b32_e32 v224, v216
	v_mov_b32_e32 v223, v216
.LBB102_120:
	s_or_b32 exec_lo, exec_lo, s3
.LBB102_121:
	s_and_not1_saveexec_b32 s2, s2
	s_cbranch_execz .LBB102_123
; %bb.122:
	v_mov_b32_e32 v224, 5
	ds_store_2addr_b64 v218, v[180:181], v[182:183] offset0:12 offset1:13
	ds_store_2addr_b64 v218, v[176:177], v[178:179] offset0:14 offset1:15
	;; [unrolled: 1-line block ×46, first 2 shown]
.LBB102_123:
	s_or_b32 exec_lo, exec_lo, s2
	s_delay_alu instid0(SALU_CYCLE_1)
	s_mov_b32 s2, exec_lo
	s_waitcnt lgkmcnt(0)
	s_waitcnt_vscnt null, 0x0
	s_barrier
	buffer_gl0_inv
	v_cmpx_lt_i32_e32 5, v224
	s_cbranch_execz .LBB102_125
; %bb.124:
	v_mul_f64 v[216:217], v[210:211], v[186:187]
	v_mul_f64 v[186:187], v[208:209], v[186:187]
	s_delay_alu instid0(VALU_DEP_2) | instskip(NEXT) | instid1(VALU_DEP_2)
	v_fma_f64 v[216:217], v[208:209], v[184:185], -v[216:217]
	v_fma_f64 v[186:187], v[210:211], v[184:185], v[186:187]
	ds_load_2addr_b64 v[208:211], v218 offset0:12 offset1:13
	s_waitcnt lgkmcnt(0)
	v_mul_f64 v[184:185], v[210:211], v[186:187]
	s_delay_alu instid0(VALU_DEP_1) | instskip(SKIP_1) | instid1(VALU_DEP_2)
	v_fma_f64 v[184:185], v[208:209], v[216:217], -v[184:185]
	v_mul_f64 v[208:209], v[208:209], v[186:187]
	v_add_f64 v[180:181], v[180:181], -v[184:185]
	s_delay_alu instid0(VALU_DEP_2) | instskip(NEXT) | instid1(VALU_DEP_1)
	v_fma_f64 v[208:209], v[210:211], v[216:217], v[208:209]
	v_add_f64 v[182:183], v[182:183], -v[208:209]
	ds_load_2addr_b64 v[208:211], v218 offset0:14 offset1:15
	s_waitcnt lgkmcnt(0)
	v_mul_f64 v[184:185], v[210:211], v[186:187]
	s_delay_alu instid0(VALU_DEP_1) | instskip(SKIP_1) | instid1(VALU_DEP_2)
	v_fma_f64 v[184:185], v[208:209], v[216:217], -v[184:185]
	v_mul_f64 v[208:209], v[208:209], v[186:187]
	v_add_f64 v[176:177], v[176:177], -v[184:185]
	s_delay_alu instid0(VALU_DEP_2) | instskip(NEXT) | instid1(VALU_DEP_1)
	v_fma_f64 v[208:209], v[210:211], v[216:217], v[208:209]
	v_add_f64 v[178:179], v[178:179], -v[208:209]
	;; [unrolled: 10-line block ×45, first 2 shown]
	ds_load_2addr_b64 v[208:211], v218 offset0:102 offset1:103
	s_waitcnt lgkmcnt(0)
	v_mul_f64 v[184:185], v[210:211], v[186:187]
	s_delay_alu instid0(VALU_DEP_1) | instskip(SKIP_1) | instid1(VALU_DEP_2)
	v_fma_f64 v[184:185], v[208:209], v[216:217], -v[184:185]
	v_mul_f64 v[208:209], v[208:209], v[186:187]
	v_add_f64 v[0:1], v[0:1], -v[184:185]
	s_delay_alu instid0(VALU_DEP_2) | instskip(SKIP_1) | instid1(VALU_DEP_2)
	v_fma_f64 v[208:209], v[210:211], v[216:217], v[208:209]
	v_dual_mov_b32 v184, v216 :: v_dual_mov_b32 v185, v217
	v_add_f64 v[2:3], v[2:3], -v[208:209]
.LBB102_125:
	s_or_b32 exec_lo, exec_lo, s2
	v_lshl_add_u32 v208, v224, 4, v218
	s_barrier
	buffer_gl0_inv
	v_mov_b32_e32 v216, 6
	ds_store_2addr_b64 v208, v[180:181], v[182:183] offset1:1
	s_waitcnt lgkmcnt(0)
	s_barrier
	buffer_gl0_inv
	ds_load_2addr_b64 v[208:211], v218 offset0:12 offset1:13
	s_cmp_lt_i32 s5, 8
	s_cbranch_scc1 .LBB102_128
; %bb.126:
	v_add3_u32 v217, v222, 0, 0x70
	v_mov_b32_e32 v216, 6
	s_mov_b32 s6, 7
	s_set_inst_prefetch_distance 0x1
	.p2align	6
.LBB102_127:                            ; =>This Inner Loop Header: Depth=1
	ds_load_2addr_b64 v[225:228], v217 offset1:1
	s_waitcnt lgkmcnt(1)
	v_cmp_gt_f64_e32 vcc_lo, 0, v[208:209]
	v_xor_b32_e32 v229, 0x80000000, v209
	v_cmp_gt_f64_e64 s2, 0, v[210:211]
	v_xor_b32_e32 v231, 0x80000000, v211
	v_add_nc_u32_e32 v217, 16, v217
	s_waitcnt lgkmcnt(0)
	v_cmp_gt_f64_e64 s3, 0, v[225:226]
	v_mov_b32_e32 v233, v225
	v_dual_mov_b32 v235, v227 :: v_dual_cndmask_b32 v230, v209, v229
	v_xor_b32_e32 v229, 0x80000000, v226
	v_cndmask_b32_e64 v232, v211, v231, s2
	v_xor_b32_e32 v231, 0x80000000, v228
	s_delay_alu instid0(VALU_DEP_3) | instskip(SKIP_2) | instid1(VALU_DEP_2)
	v_cndmask_b32_e64 v234, v226, v229, s3
	v_cmp_gt_f64_e64 s3, 0, v[227:228]
	v_cndmask_b32_e32 v229, v208, v208, vcc_lo
	v_cndmask_b32_e64 v236, v228, v231, s3
	v_cndmask_b32_e64 v231, v210, v210, s2
	s_delay_alu instid0(VALU_DEP_2) | instskip(NEXT) | instid1(VALU_DEP_2)
	v_add_f64 v[233:234], v[233:234], v[235:236]
	v_add_f64 v[229:230], v[229:230], v[231:232]
	s_delay_alu instid0(VALU_DEP_1) | instskip(SKIP_4) | instid1(SALU_CYCLE_1)
	v_cmp_lt_f64_e32 vcc_lo, v[229:230], v[233:234]
	v_dual_cndmask_b32 v210, v210, v227 :: v_dual_cndmask_b32 v209, v209, v226
	v_dual_cndmask_b32 v208, v208, v225 :: v_dual_cndmask_b32 v211, v211, v228
	v_cndmask_b32_e64 v216, v216, s6, vcc_lo
	s_add_i32 s6, s6, 1
	s_cmp_lg_u32 s5, s6
	s_cbranch_scc1 .LBB102_127
.LBB102_128:
	s_set_inst_prefetch_distance 0x2
	s_waitcnt lgkmcnt(0)
	v_cmp_eq_f64_e32 vcc_lo, 0, v[208:209]
	v_cmp_eq_f64_e64 s2, 0, v[210:211]
	s_delay_alu instid0(VALU_DEP_1) | instskip(NEXT) | instid1(SALU_CYCLE_1)
	s_and_b32 s2, vcc_lo, s2
	s_and_saveexec_b32 s3, s2
	s_delay_alu instid0(SALU_CYCLE_1)
	s_xor_b32 s2, exec_lo, s3
; %bb.129:
	v_cmp_ne_u32_e32 vcc_lo, 0, v221
	v_cndmask_b32_e32 v221, 7, v221, vcc_lo
; %bb.130:
	s_and_not1_saveexec_b32 s3, s2
	s_cbranch_execz .LBB102_136
; %bb.131:
	v_cmp_gt_f64_e32 vcc_lo, 0, v[208:209]
	v_cmp_gt_f64_e64 s2, 0, v[210:211]
	v_xor_b32_e32 v217, 0x80000000, v209
	v_xor_b32_e32 v225, 0x80000000, v211
	s_delay_alu instid0(VALU_DEP_2) | instskip(NEXT) | instid1(VALU_DEP_2)
	v_cndmask_b32_e32 v226, v209, v217, vcc_lo
	v_cndmask_b32_e64 v228, v211, v225, s2
	v_cndmask_b32_e32 v225, v208, v208, vcc_lo
	v_cndmask_b32_e64 v227, v210, v210, s2
	s_mov_b32 s2, exec_lo
	s_delay_alu instid0(VALU_DEP_1)
	v_cmpx_ngt_f64_e32 v[225:226], v[227:228]
	s_xor_b32 s2, exec_lo, s2
	s_cbranch_execz .LBB102_133
; %bb.132:
	v_div_scale_f64 v[225:226], null, v[210:211], v[210:211], v[208:209]
	v_div_scale_f64 v[231:232], vcc_lo, v[208:209], v[210:211], v[208:209]
	s_delay_alu instid0(VALU_DEP_2) | instskip(SKIP_2) | instid1(VALU_DEP_1)
	v_rcp_f64_e32 v[227:228], v[225:226]
	s_waitcnt_depctr 0xfff
	v_fma_f64 v[229:230], -v[225:226], v[227:228], 1.0
	v_fma_f64 v[227:228], v[227:228], v[229:230], v[227:228]
	s_delay_alu instid0(VALU_DEP_1) | instskip(NEXT) | instid1(VALU_DEP_1)
	v_fma_f64 v[229:230], -v[225:226], v[227:228], 1.0
	v_fma_f64 v[227:228], v[227:228], v[229:230], v[227:228]
	s_delay_alu instid0(VALU_DEP_1) | instskip(NEXT) | instid1(VALU_DEP_1)
	v_mul_f64 v[229:230], v[231:232], v[227:228]
	v_fma_f64 v[225:226], -v[225:226], v[229:230], v[231:232]
	s_delay_alu instid0(VALU_DEP_1) | instskip(NEXT) | instid1(VALU_DEP_1)
	v_div_fmas_f64 v[225:226], v[225:226], v[227:228], v[229:230]
	v_div_fixup_f64 v[225:226], v[225:226], v[210:211], v[208:209]
	s_delay_alu instid0(VALU_DEP_1) | instskip(NEXT) | instid1(VALU_DEP_1)
	v_fma_f64 v[208:209], v[208:209], v[225:226], v[210:211]
	v_div_scale_f64 v[210:211], null, v[208:209], v[208:209], 1.0
	s_delay_alu instid0(VALU_DEP_1) | instskip(SKIP_2) | instid1(VALU_DEP_1)
	v_rcp_f64_e32 v[227:228], v[210:211]
	s_waitcnt_depctr 0xfff
	v_fma_f64 v[229:230], -v[210:211], v[227:228], 1.0
	v_fma_f64 v[227:228], v[227:228], v[229:230], v[227:228]
	s_delay_alu instid0(VALU_DEP_1) | instskip(NEXT) | instid1(VALU_DEP_1)
	v_fma_f64 v[229:230], -v[210:211], v[227:228], 1.0
	v_fma_f64 v[227:228], v[227:228], v[229:230], v[227:228]
	v_div_scale_f64 v[229:230], vcc_lo, 1.0, v[208:209], 1.0
	s_delay_alu instid0(VALU_DEP_1) | instskip(NEXT) | instid1(VALU_DEP_1)
	v_mul_f64 v[231:232], v[229:230], v[227:228]
	v_fma_f64 v[210:211], -v[210:211], v[231:232], v[229:230]
	s_delay_alu instid0(VALU_DEP_1) | instskip(NEXT) | instid1(VALU_DEP_1)
	v_div_fmas_f64 v[210:211], v[210:211], v[227:228], v[231:232]
	v_div_fixup_f64 v[210:211], v[210:211], v[208:209], 1.0
	s_delay_alu instid0(VALU_DEP_1)
	v_mul_f64 v[208:209], v[225:226], v[210:211]
	v_xor_b32_e32 v211, 0x80000000, v211
.LBB102_133:
	s_and_not1_saveexec_b32 s2, s2
	s_cbranch_execz .LBB102_135
; %bb.134:
	s_delay_alu instid0(VALU_DEP_1) | instskip(SKIP_1) | instid1(VALU_DEP_2)
	v_div_scale_f64 v[225:226], null, v[208:209], v[208:209], v[210:211]
	v_div_scale_f64 v[231:232], vcc_lo, v[210:211], v[208:209], v[210:211]
	v_rcp_f64_e32 v[227:228], v[225:226]
	s_waitcnt_depctr 0xfff
	v_fma_f64 v[229:230], -v[225:226], v[227:228], 1.0
	s_delay_alu instid0(VALU_DEP_1) | instskip(NEXT) | instid1(VALU_DEP_1)
	v_fma_f64 v[227:228], v[227:228], v[229:230], v[227:228]
	v_fma_f64 v[229:230], -v[225:226], v[227:228], 1.0
	s_delay_alu instid0(VALU_DEP_1) | instskip(NEXT) | instid1(VALU_DEP_1)
	v_fma_f64 v[227:228], v[227:228], v[229:230], v[227:228]
	v_mul_f64 v[229:230], v[231:232], v[227:228]
	s_delay_alu instid0(VALU_DEP_1) | instskip(NEXT) | instid1(VALU_DEP_1)
	v_fma_f64 v[225:226], -v[225:226], v[229:230], v[231:232]
	v_div_fmas_f64 v[225:226], v[225:226], v[227:228], v[229:230]
	s_delay_alu instid0(VALU_DEP_1) | instskip(NEXT) | instid1(VALU_DEP_1)
	v_div_fixup_f64 v[225:226], v[225:226], v[208:209], v[210:211]
	v_fma_f64 v[208:209], v[210:211], v[225:226], v[208:209]
	s_delay_alu instid0(VALU_DEP_1) | instskip(NEXT) | instid1(VALU_DEP_1)
	v_div_scale_f64 v[210:211], null, v[208:209], v[208:209], 1.0
	v_rcp_f64_e32 v[227:228], v[210:211]
	s_waitcnt_depctr 0xfff
	v_fma_f64 v[229:230], -v[210:211], v[227:228], 1.0
	s_delay_alu instid0(VALU_DEP_1) | instskip(NEXT) | instid1(VALU_DEP_1)
	v_fma_f64 v[227:228], v[227:228], v[229:230], v[227:228]
	v_fma_f64 v[229:230], -v[210:211], v[227:228], 1.0
	s_delay_alu instid0(VALU_DEP_1) | instskip(SKIP_1) | instid1(VALU_DEP_1)
	v_fma_f64 v[227:228], v[227:228], v[229:230], v[227:228]
	v_div_scale_f64 v[229:230], vcc_lo, 1.0, v[208:209], 1.0
	v_mul_f64 v[231:232], v[229:230], v[227:228]
	s_delay_alu instid0(VALU_DEP_1) | instskip(NEXT) | instid1(VALU_DEP_1)
	v_fma_f64 v[210:211], -v[210:211], v[231:232], v[229:230]
	v_div_fmas_f64 v[210:211], v[210:211], v[227:228], v[231:232]
	s_delay_alu instid0(VALU_DEP_1) | instskip(NEXT) | instid1(VALU_DEP_1)
	v_div_fixup_f64 v[208:209], v[210:211], v[208:209], 1.0
	v_mul_f64 v[210:211], v[225:226], -v[208:209]
.LBB102_135:
	s_or_b32 exec_lo, exec_lo, s2
.LBB102_136:
	s_delay_alu instid0(SALU_CYCLE_1) | instskip(NEXT) | instid1(SALU_CYCLE_1)
	s_or_b32 exec_lo, exec_lo, s3
	s_mov_b32 s2, exec_lo
	v_cmpx_ne_u32_e64 v224, v216
	s_xor_b32 s2, exec_lo, s2
	s_cbranch_execz .LBB102_142
; %bb.137:
	s_mov_b32 s3, exec_lo
	v_cmpx_eq_u32_e32 6, v224
	s_cbranch_execz .LBB102_141
; %bb.138:
	v_cmp_ne_u32_e32 vcc_lo, 6, v216
	s_xor_b32 s6, s4, -1
	s_delay_alu instid0(SALU_CYCLE_1) | instskip(NEXT) | instid1(SALU_CYCLE_1)
	s_and_b32 s7, s6, vcc_lo
	s_and_saveexec_b32 s6, s7
	s_cbranch_execz .LBB102_140
; %bb.139:
	v_ashrrev_i32_e32 v217, 31, v216
	s_delay_alu instid0(VALU_DEP_1) | instskip(NEXT) | instid1(VALU_DEP_1)
	v_lshlrev_b64 v[223:224], 2, v[216:217]
	v_add_co_u32 v223, vcc_lo, v214, v223
	s_delay_alu instid0(VALU_DEP_2)
	v_add_co_ci_u32_e32 v224, vcc_lo, v215, v224, vcc_lo
	s_clause 0x1
	flat_load_b32 v217, v[223:224]
	flat_load_b32 v225, v[214:215] offset:24
	s_waitcnt vmcnt(1) lgkmcnt(1)
	flat_store_b32 v[214:215], v217 offset:24
	s_waitcnt vmcnt(0) lgkmcnt(1)
	flat_store_b32 v[223:224], v225
.LBB102_140:
	s_or_b32 exec_lo, exec_lo, s6
	v_mov_b32_e32 v224, v216
	v_mov_b32_e32 v223, v216
.LBB102_141:
	s_or_b32 exec_lo, exec_lo, s3
.LBB102_142:
	s_and_not1_saveexec_b32 s2, s2
	s_cbranch_execz .LBB102_144
; %bb.143:
	v_mov_b32_e32 v224, 6
	ds_store_2addr_b64 v218, v[176:177], v[178:179] offset0:14 offset1:15
	ds_store_2addr_b64 v218, v[172:173], v[174:175] offset0:16 offset1:17
	;; [unrolled: 1-line block ×45, first 2 shown]
.LBB102_144:
	s_or_b32 exec_lo, exec_lo, s2
	s_delay_alu instid0(SALU_CYCLE_1)
	s_mov_b32 s2, exec_lo
	s_waitcnt lgkmcnt(0)
	s_waitcnt_vscnt null, 0x0
	s_barrier
	buffer_gl0_inv
	v_cmpx_lt_i32_e32 6, v224
	s_cbranch_execz .LBB102_146
; %bb.145:
	v_mul_f64 v[216:217], v[210:211], v[182:183]
	v_mul_f64 v[182:183], v[208:209], v[182:183]
	s_delay_alu instid0(VALU_DEP_2) | instskip(NEXT) | instid1(VALU_DEP_2)
	v_fma_f64 v[216:217], v[208:209], v[180:181], -v[216:217]
	v_fma_f64 v[182:183], v[210:211], v[180:181], v[182:183]
	ds_load_2addr_b64 v[208:211], v218 offset0:14 offset1:15
	s_waitcnt lgkmcnt(0)
	v_mul_f64 v[180:181], v[210:211], v[182:183]
	s_delay_alu instid0(VALU_DEP_1) | instskip(SKIP_1) | instid1(VALU_DEP_2)
	v_fma_f64 v[180:181], v[208:209], v[216:217], -v[180:181]
	v_mul_f64 v[208:209], v[208:209], v[182:183]
	v_add_f64 v[176:177], v[176:177], -v[180:181]
	s_delay_alu instid0(VALU_DEP_2) | instskip(NEXT) | instid1(VALU_DEP_1)
	v_fma_f64 v[208:209], v[210:211], v[216:217], v[208:209]
	v_add_f64 v[178:179], v[178:179], -v[208:209]
	ds_load_2addr_b64 v[208:211], v218 offset0:16 offset1:17
	s_waitcnt lgkmcnt(0)
	v_mul_f64 v[180:181], v[210:211], v[182:183]
	s_delay_alu instid0(VALU_DEP_1) | instskip(SKIP_1) | instid1(VALU_DEP_2)
	v_fma_f64 v[180:181], v[208:209], v[216:217], -v[180:181]
	v_mul_f64 v[208:209], v[208:209], v[182:183]
	v_add_f64 v[172:173], v[172:173], -v[180:181]
	s_delay_alu instid0(VALU_DEP_2) | instskip(NEXT) | instid1(VALU_DEP_1)
	v_fma_f64 v[208:209], v[210:211], v[216:217], v[208:209]
	v_add_f64 v[174:175], v[174:175], -v[208:209]
	;; [unrolled: 10-line block ×44, first 2 shown]
	ds_load_2addr_b64 v[208:211], v218 offset0:102 offset1:103
	s_waitcnt lgkmcnt(0)
	v_mul_f64 v[180:181], v[210:211], v[182:183]
	s_delay_alu instid0(VALU_DEP_1) | instskip(SKIP_1) | instid1(VALU_DEP_2)
	v_fma_f64 v[180:181], v[208:209], v[216:217], -v[180:181]
	v_mul_f64 v[208:209], v[208:209], v[182:183]
	v_add_f64 v[0:1], v[0:1], -v[180:181]
	s_delay_alu instid0(VALU_DEP_2) | instskip(SKIP_1) | instid1(VALU_DEP_2)
	v_fma_f64 v[208:209], v[210:211], v[216:217], v[208:209]
	v_dual_mov_b32 v180, v216 :: v_dual_mov_b32 v181, v217
	v_add_f64 v[2:3], v[2:3], -v[208:209]
.LBB102_146:
	s_or_b32 exec_lo, exec_lo, s2
	v_lshl_add_u32 v208, v224, 4, v218
	s_barrier
	buffer_gl0_inv
	v_mov_b32_e32 v216, 7
	ds_store_2addr_b64 v208, v[176:177], v[178:179] offset1:1
	s_waitcnt lgkmcnt(0)
	s_barrier
	buffer_gl0_inv
	ds_load_2addr_b64 v[208:211], v218 offset0:14 offset1:15
	s_cmp_lt_i32 s5, 9
	s_cbranch_scc1 .LBB102_149
; %bb.147:
	v_add3_u32 v217, v222, 0, 0x80
	v_mov_b32_e32 v216, 7
	s_mov_b32 s6, 8
	s_set_inst_prefetch_distance 0x1
	.p2align	6
.LBB102_148:                            ; =>This Inner Loop Header: Depth=1
	ds_load_2addr_b64 v[225:228], v217 offset1:1
	s_waitcnt lgkmcnt(1)
	v_cmp_gt_f64_e32 vcc_lo, 0, v[208:209]
	v_xor_b32_e32 v229, 0x80000000, v209
	v_cmp_gt_f64_e64 s2, 0, v[210:211]
	v_xor_b32_e32 v231, 0x80000000, v211
	v_add_nc_u32_e32 v217, 16, v217
	s_waitcnt lgkmcnt(0)
	v_cmp_gt_f64_e64 s3, 0, v[225:226]
	v_mov_b32_e32 v233, v225
	v_dual_mov_b32 v235, v227 :: v_dual_cndmask_b32 v230, v209, v229
	v_xor_b32_e32 v229, 0x80000000, v226
	v_cndmask_b32_e64 v232, v211, v231, s2
	v_xor_b32_e32 v231, 0x80000000, v228
	s_delay_alu instid0(VALU_DEP_3) | instskip(SKIP_2) | instid1(VALU_DEP_2)
	v_cndmask_b32_e64 v234, v226, v229, s3
	v_cmp_gt_f64_e64 s3, 0, v[227:228]
	v_cndmask_b32_e32 v229, v208, v208, vcc_lo
	v_cndmask_b32_e64 v236, v228, v231, s3
	v_cndmask_b32_e64 v231, v210, v210, s2
	s_delay_alu instid0(VALU_DEP_2) | instskip(NEXT) | instid1(VALU_DEP_2)
	v_add_f64 v[233:234], v[233:234], v[235:236]
	v_add_f64 v[229:230], v[229:230], v[231:232]
	s_delay_alu instid0(VALU_DEP_1) | instskip(SKIP_4) | instid1(SALU_CYCLE_1)
	v_cmp_lt_f64_e32 vcc_lo, v[229:230], v[233:234]
	v_dual_cndmask_b32 v210, v210, v227 :: v_dual_cndmask_b32 v209, v209, v226
	v_dual_cndmask_b32 v208, v208, v225 :: v_dual_cndmask_b32 v211, v211, v228
	v_cndmask_b32_e64 v216, v216, s6, vcc_lo
	s_add_i32 s6, s6, 1
	s_cmp_lg_u32 s5, s6
	s_cbranch_scc1 .LBB102_148
.LBB102_149:
	s_set_inst_prefetch_distance 0x2
	s_waitcnt lgkmcnt(0)
	v_cmp_eq_f64_e32 vcc_lo, 0, v[208:209]
	v_cmp_eq_f64_e64 s2, 0, v[210:211]
	s_delay_alu instid0(VALU_DEP_1) | instskip(NEXT) | instid1(SALU_CYCLE_1)
	s_and_b32 s2, vcc_lo, s2
	s_and_saveexec_b32 s3, s2
	s_delay_alu instid0(SALU_CYCLE_1)
	s_xor_b32 s2, exec_lo, s3
; %bb.150:
	v_cmp_ne_u32_e32 vcc_lo, 0, v221
	v_cndmask_b32_e32 v221, 8, v221, vcc_lo
; %bb.151:
	s_and_not1_saveexec_b32 s3, s2
	s_cbranch_execz .LBB102_157
; %bb.152:
	v_cmp_gt_f64_e32 vcc_lo, 0, v[208:209]
	v_cmp_gt_f64_e64 s2, 0, v[210:211]
	v_xor_b32_e32 v217, 0x80000000, v209
	v_xor_b32_e32 v225, 0x80000000, v211
	s_delay_alu instid0(VALU_DEP_2) | instskip(NEXT) | instid1(VALU_DEP_2)
	v_cndmask_b32_e32 v226, v209, v217, vcc_lo
	v_cndmask_b32_e64 v228, v211, v225, s2
	v_cndmask_b32_e32 v225, v208, v208, vcc_lo
	v_cndmask_b32_e64 v227, v210, v210, s2
	s_mov_b32 s2, exec_lo
	s_delay_alu instid0(VALU_DEP_1)
	v_cmpx_ngt_f64_e32 v[225:226], v[227:228]
	s_xor_b32 s2, exec_lo, s2
	s_cbranch_execz .LBB102_154
; %bb.153:
	v_div_scale_f64 v[225:226], null, v[210:211], v[210:211], v[208:209]
	v_div_scale_f64 v[231:232], vcc_lo, v[208:209], v[210:211], v[208:209]
	s_delay_alu instid0(VALU_DEP_2) | instskip(SKIP_2) | instid1(VALU_DEP_1)
	v_rcp_f64_e32 v[227:228], v[225:226]
	s_waitcnt_depctr 0xfff
	v_fma_f64 v[229:230], -v[225:226], v[227:228], 1.0
	v_fma_f64 v[227:228], v[227:228], v[229:230], v[227:228]
	s_delay_alu instid0(VALU_DEP_1) | instskip(NEXT) | instid1(VALU_DEP_1)
	v_fma_f64 v[229:230], -v[225:226], v[227:228], 1.0
	v_fma_f64 v[227:228], v[227:228], v[229:230], v[227:228]
	s_delay_alu instid0(VALU_DEP_1) | instskip(NEXT) | instid1(VALU_DEP_1)
	v_mul_f64 v[229:230], v[231:232], v[227:228]
	v_fma_f64 v[225:226], -v[225:226], v[229:230], v[231:232]
	s_delay_alu instid0(VALU_DEP_1) | instskip(NEXT) | instid1(VALU_DEP_1)
	v_div_fmas_f64 v[225:226], v[225:226], v[227:228], v[229:230]
	v_div_fixup_f64 v[225:226], v[225:226], v[210:211], v[208:209]
	s_delay_alu instid0(VALU_DEP_1) | instskip(NEXT) | instid1(VALU_DEP_1)
	v_fma_f64 v[208:209], v[208:209], v[225:226], v[210:211]
	v_div_scale_f64 v[210:211], null, v[208:209], v[208:209], 1.0
	s_delay_alu instid0(VALU_DEP_1) | instskip(SKIP_2) | instid1(VALU_DEP_1)
	v_rcp_f64_e32 v[227:228], v[210:211]
	s_waitcnt_depctr 0xfff
	v_fma_f64 v[229:230], -v[210:211], v[227:228], 1.0
	v_fma_f64 v[227:228], v[227:228], v[229:230], v[227:228]
	s_delay_alu instid0(VALU_DEP_1) | instskip(NEXT) | instid1(VALU_DEP_1)
	v_fma_f64 v[229:230], -v[210:211], v[227:228], 1.0
	v_fma_f64 v[227:228], v[227:228], v[229:230], v[227:228]
	v_div_scale_f64 v[229:230], vcc_lo, 1.0, v[208:209], 1.0
	s_delay_alu instid0(VALU_DEP_1) | instskip(NEXT) | instid1(VALU_DEP_1)
	v_mul_f64 v[231:232], v[229:230], v[227:228]
	v_fma_f64 v[210:211], -v[210:211], v[231:232], v[229:230]
	s_delay_alu instid0(VALU_DEP_1) | instskip(NEXT) | instid1(VALU_DEP_1)
	v_div_fmas_f64 v[210:211], v[210:211], v[227:228], v[231:232]
	v_div_fixup_f64 v[210:211], v[210:211], v[208:209], 1.0
	s_delay_alu instid0(VALU_DEP_1)
	v_mul_f64 v[208:209], v[225:226], v[210:211]
	v_xor_b32_e32 v211, 0x80000000, v211
.LBB102_154:
	s_and_not1_saveexec_b32 s2, s2
	s_cbranch_execz .LBB102_156
; %bb.155:
	s_delay_alu instid0(VALU_DEP_1) | instskip(SKIP_1) | instid1(VALU_DEP_2)
	v_div_scale_f64 v[225:226], null, v[208:209], v[208:209], v[210:211]
	v_div_scale_f64 v[231:232], vcc_lo, v[210:211], v[208:209], v[210:211]
	v_rcp_f64_e32 v[227:228], v[225:226]
	s_waitcnt_depctr 0xfff
	v_fma_f64 v[229:230], -v[225:226], v[227:228], 1.0
	s_delay_alu instid0(VALU_DEP_1) | instskip(NEXT) | instid1(VALU_DEP_1)
	v_fma_f64 v[227:228], v[227:228], v[229:230], v[227:228]
	v_fma_f64 v[229:230], -v[225:226], v[227:228], 1.0
	s_delay_alu instid0(VALU_DEP_1) | instskip(NEXT) | instid1(VALU_DEP_1)
	v_fma_f64 v[227:228], v[227:228], v[229:230], v[227:228]
	v_mul_f64 v[229:230], v[231:232], v[227:228]
	s_delay_alu instid0(VALU_DEP_1) | instskip(NEXT) | instid1(VALU_DEP_1)
	v_fma_f64 v[225:226], -v[225:226], v[229:230], v[231:232]
	v_div_fmas_f64 v[225:226], v[225:226], v[227:228], v[229:230]
	s_delay_alu instid0(VALU_DEP_1) | instskip(NEXT) | instid1(VALU_DEP_1)
	v_div_fixup_f64 v[225:226], v[225:226], v[208:209], v[210:211]
	v_fma_f64 v[208:209], v[210:211], v[225:226], v[208:209]
	s_delay_alu instid0(VALU_DEP_1) | instskip(NEXT) | instid1(VALU_DEP_1)
	v_div_scale_f64 v[210:211], null, v[208:209], v[208:209], 1.0
	v_rcp_f64_e32 v[227:228], v[210:211]
	s_waitcnt_depctr 0xfff
	v_fma_f64 v[229:230], -v[210:211], v[227:228], 1.0
	s_delay_alu instid0(VALU_DEP_1) | instskip(NEXT) | instid1(VALU_DEP_1)
	v_fma_f64 v[227:228], v[227:228], v[229:230], v[227:228]
	v_fma_f64 v[229:230], -v[210:211], v[227:228], 1.0
	s_delay_alu instid0(VALU_DEP_1) | instskip(SKIP_1) | instid1(VALU_DEP_1)
	v_fma_f64 v[227:228], v[227:228], v[229:230], v[227:228]
	v_div_scale_f64 v[229:230], vcc_lo, 1.0, v[208:209], 1.0
	v_mul_f64 v[231:232], v[229:230], v[227:228]
	s_delay_alu instid0(VALU_DEP_1) | instskip(NEXT) | instid1(VALU_DEP_1)
	v_fma_f64 v[210:211], -v[210:211], v[231:232], v[229:230]
	v_div_fmas_f64 v[210:211], v[210:211], v[227:228], v[231:232]
	s_delay_alu instid0(VALU_DEP_1) | instskip(NEXT) | instid1(VALU_DEP_1)
	v_div_fixup_f64 v[208:209], v[210:211], v[208:209], 1.0
	v_mul_f64 v[210:211], v[225:226], -v[208:209]
.LBB102_156:
	s_or_b32 exec_lo, exec_lo, s2
.LBB102_157:
	s_delay_alu instid0(SALU_CYCLE_1) | instskip(NEXT) | instid1(SALU_CYCLE_1)
	s_or_b32 exec_lo, exec_lo, s3
	s_mov_b32 s2, exec_lo
	v_cmpx_ne_u32_e64 v224, v216
	s_xor_b32 s2, exec_lo, s2
	s_cbranch_execz .LBB102_163
; %bb.158:
	s_mov_b32 s3, exec_lo
	v_cmpx_eq_u32_e32 7, v224
	s_cbranch_execz .LBB102_162
; %bb.159:
	v_cmp_ne_u32_e32 vcc_lo, 7, v216
	s_xor_b32 s6, s4, -1
	s_delay_alu instid0(SALU_CYCLE_1) | instskip(NEXT) | instid1(SALU_CYCLE_1)
	s_and_b32 s7, s6, vcc_lo
	s_and_saveexec_b32 s6, s7
	s_cbranch_execz .LBB102_161
; %bb.160:
	v_ashrrev_i32_e32 v217, 31, v216
	s_delay_alu instid0(VALU_DEP_1) | instskip(NEXT) | instid1(VALU_DEP_1)
	v_lshlrev_b64 v[223:224], 2, v[216:217]
	v_add_co_u32 v223, vcc_lo, v214, v223
	s_delay_alu instid0(VALU_DEP_2)
	v_add_co_ci_u32_e32 v224, vcc_lo, v215, v224, vcc_lo
	s_clause 0x1
	flat_load_b32 v217, v[223:224]
	flat_load_b32 v225, v[214:215] offset:28
	s_waitcnt vmcnt(1) lgkmcnt(1)
	flat_store_b32 v[214:215], v217 offset:28
	s_waitcnt vmcnt(0) lgkmcnt(1)
	flat_store_b32 v[223:224], v225
.LBB102_161:
	s_or_b32 exec_lo, exec_lo, s6
	v_mov_b32_e32 v224, v216
	v_mov_b32_e32 v223, v216
.LBB102_162:
	s_or_b32 exec_lo, exec_lo, s3
.LBB102_163:
	s_and_not1_saveexec_b32 s2, s2
	s_cbranch_execz .LBB102_165
; %bb.164:
	v_mov_b32_e32 v224, 7
	ds_store_2addr_b64 v218, v[172:173], v[174:175] offset0:16 offset1:17
	ds_store_2addr_b64 v218, v[168:169], v[170:171] offset0:18 offset1:19
	;; [unrolled: 1-line block ×44, first 2 shown]
.LBB102_165:
	s_or_b32 exec_lo, exec_lo, s2
	s_delay_alu instid0(SALU_CYCLE_1)
	s_mov_b32 s2, exec_lo
	s_waitcnt lgkmcnt(0)
	s_waitcnt_vscnt null, 0x0
	s_barrier
	buffer_gl0_inv
	v_cmpx_lt_i32_e32 7, v224
	s_cbranch_execz .LBB102_167
; %bb.166:
	v_mul_f64 v[216:217], v[210:211], v[178:179]
	v_mul_f64 v[178:179], v[208:209], v[178:179]
	s_delay_alu instid0(VALU_DEP_2) | instskip(NEXT) | instid1(VALU_DEP_2)
	v_fma_f64 v[216:217], v[208:209], v[176:177], -v[216:217]
	v_fma_f64 v[178:179], v[210:211], v[176:177], v[178:179]
	ds_load_2addr_b64 v[208:211], v218 offset0:16 offset1:17
	s_waitcnt lgkmcnt(0)
	v_mul_f64 v[176:177], v[210:211], v[178:179]
	s_delay_alu instid0(VALU_DEP_1) | instskip(SKIP_1) | instid1(VALU_DEP_2)
	v_fma_f64 v[176:177], v[208:209], v[216:217], -v[176:177]
	v_mul_f64 v[208:209], v[208:209], v[178:179]
	v_add_f64 v[172:173], v[172:173], -v[176:177]
	s_delay_alu instid0(VALU_DEP_2) | instskip(NEXT) | instid1(VALU_DEP_1)
	v_fma_f64 v[208:209], v[210:211], v[216:217], v[208:209]
	v_add_f64 v[174:175], v[174:175], -v[208:209]
	ds_load_2addr_b64 v[208:211], v218 offset0:18 offset1:19
	s_waitcnt lgkmcnt(0)
	v_mul_f64 v[176:177], v[210:211], v[178:179]
	s_delay_alu instid0(VALU_DEP_1) | instskip(SKIP_1) | instid1(VALU_DEP_2)
	v_fma_f64 v[176:177], v[208:209], v[216:217], -v[176:177]
	v_mul_f64 v[208:209], v[208:209], v[178:179]
	v_add_f64 v[168:169], v[168:169], -v[176:177]
	s_delay_alu instid0(VALU_DEP_2) | instskip(NEXT) | instid1(VALU_DEP_1)
	v_fma_f64 v[208:209], v[210:211], v[216:217], v[208:209]
	v_add_f64 v[170:171], v[170:171], -v[208:209]
	;; [unrolled: 10-line block ×43, first 2 shown]
	ds_load_2addr_b64 v[208:211], v218 offset0:102 offset1:103
	s_waitcnt lgkmcnt(0)
	v_mul_f64 v[176:177], v[210:211], v[178:179]
	s_delay_alu instid0(VALU_DEP_1) | instskip(SKIP_1) | instid1(VALU_DEP_2)
	v_fma_f64 v[176:177], v[208:209], v[216:217], -v[176:177]
	v_mul_f64 v[208:209], v[208:209], v[178:179]
	v_add_f64 v[0:1], v[0:1], -v[176:177]
	s_delay_alu instid0(VALU_DEP_2) | instskip(SKIP_1) | instid1(VALU_DEP_2)
	v_fma_f64 v[208:209], v[210:211], v[216:217], v[208:209]
	v_dual_mov_b32 v176, v216 :: v_dual_mov_b32 v177, v217
	v_add_f64 v[2:3], v[2:3], -v[208:209]
.LBB102_167:
	s_or_b32 exec_lo, exec_lo, s2
	v_lshl_add_u32 v208, v224, 4, v218
	s_barrier
	buffer_gl0_inv
	v_mov_b32_e32 v216, 8
	ds_store_2addr_b64 v208, v[172:173], v[174:175] offset1:1
	s_waitcnt lgkmcnt(0)
	s_barrier
	buffer_gl0_inv
	ds_load_2addr_b64 v[208:211], v218 offset0:16 offset1:17
	s_cmp_lt_i32 s5, 10
	s_cbranch_scc1 .LBB102_170
; %bb.168:
	v_add3_u32 v217, v222, 0, 0x90
	v_mov_b32_e32 v216, 8
	s_mov_b32 s6, 9
	s_set_inst_prefetch_distance 0x1
	.p2align	6
.LBB102_169:                            ; =>This Inner Loop Header: Depth=1
	ds_load_2addr_b64 v[225:228], v217 offset1:1
	s_waitcnt lgkmcnt(1)
	v_cmp_gt_f64_e32 vcc_lo, 0, v[208:209]
	v_xor_b32_e32 v229, 0x80000000, v209
	v_cmp_gt_f64_e64 s2, 0, v[210:211]
	v_xor_b32_e32 v231, 0x80000000, v211
	v_add_nc_u32_e32 v217, 16, v217
	s_waitcnt lgkmcnt(0)
	v_cmp_gt_f64_e64 s3, 0, v[225:226]
	v_mov_b32_e32 v233, v225
	v_dual_mov_b32 v235, v227 :: v_dual_cndmask_b32 v230, v209, v229
	v_xor_b32_e32 v229, 0x80000000, v226
	v_cndmask_b32_e64 v232, v211, v231, s2
	v_xor_b32_e32 v231, 0x80000000, v228
	s_delay_alu instid0(VALU_DEP_3) | instskip(SKIP_2) | instid1(VALU_DEP_2)
	v_cndmask_b32_e64 v234, v226, v229, s3
	v_cmp_gt_f64_e64 s3, 0, v[227:228]
	v_cndmask_b32_e32 v229, v208, v208, vcc_lo
	v_cndmask_b32_e64 v236, v228, v231, s3
	v_cndmask_b32_e64 v231, v210, v210, s2
	s_delay_alu instid0(VALU_DEP_2) | instskip(NEXT) | instid1(VALU_DEP_2)
	v_add_f64 v[233:234], v[233:234], v[235:236]
	v_add_f64 v[229:230], v[229:230], v[231:232]
	s_delay_alu instid0(VALU_DEP_1) | instskip(SKIP_4) | instid1(SALU_CYCLE_1)
	v_cmp_lt_f64_e32 vcc_lo, v[229:230], v[233:234]
	v_dual_cndmask_b32 v210, v210, v227 :: v_dual_cndmask_b32 v209, v209, v226
	v_dual_cndmask_b32 v208, v208, v225 :: v_dual_cndmask_b32 v211, v211, v228
	v_cndmask_b32_e64 v216, v216, s6, vcc_lo
	s_add_i32 s6, s6, 1
	s_cmp_lg_u32 s5, s6
	s_cbranch_scc1 .LBB102_169
.LBB102_170:
	s_set_inst_prefetch_distance 0x2
	s_waitcnt lgkmcnt(0)
	v_cmp_eq_f64_e32 vcc_lo, 0, v[208:209]
	v_cmp_eq_f64_e64 s2, 0, v[210:211]
	s_delay_alu instid0(VALU_DEP_1) | instskip(NEXT) | instid1(SALU_CYCLE_1)
	s_and_b32 s2, vcc_lo, s2
	s_and_saveexec_b32 s3, s2
	s_delay_alu instid0(SALU_CYCLE_1)
	s_xor_b32 s2, exec_lo, s3
; %bb.171:
	v_cmp_ne_u32_e32 vcc_lo, 0, v221
	v_cndmask_b32_e32 v221, 9, v221, vcc_lo
; %bb.172:
	s_and_not1_saveexec_b32 s3, s2
	s_cbranch_execz .LBB102_178
; %bb.173:
	v_cmp_gt_f64_e32 vcc_lo, 0, v[208:209]
	v_cmp_gt_f64_e64 s2, 0, v[210:211]
	v_xor_b32_e32 v217, 0x80000000, v209
	v_xor_b32_e32 v225, 0x80000000, v211
	s_delay_alu instid0(VALU_DEP_2) | instskip(NEXT) | instid1(VALU_DEP_2)
	v_cndmask_b32_e32 v226, v209, v217, vcc_lo
	v_cndmask_b32_e64 v228, v211, v225, s2
	v_cndmask_b32_e32 v225, v208, v208, vcc_lo
	v_cndmask_b32_e64 v227, v210, v210, s2
	s_mov_b32 s2, exec_lo
	s_delay_alu instid0(VALU_DEP_1)
	v_cmpx_ngt_f64_e32 v[225:226], v[227:228]
	s_xor_b32 s2, exec_lo, s2
	s_cbranch_execz .LBB102_175
; %bb.174:
	v_div_scale_f64 v[225:226], null, v[210:211], v[210:211], v[208:209]
	v_div_scale_f64 v[231:232], vcc_lo, v[208:209], v[210:211], v[208:209]
	s_delay_alu instid0(VALU_DEP_2) | instskip(SKIP_2) | instid1(VALU_DEP_1)
	v_rcp_f64_e32 v[227:228], v[225:226]
	s_waitcnt_depctr 0xfff
	v_fma_f64 v[229:230], -v[225:226], v[227:228], 1.0
	v_fma_f64 v[227:228], v[227:228], v[229:230], v[227:228]
	s_delay_alu instid0(VALU_DEP_1) | instskip(NEXT) | instid1(VALU_DEP_1)
	v_fma_f64 v[229:230], -v[225:226], v[227:228], 1.0
	v_fma_f64 v[227:228], v[227:228], v[229:230], v[227:228]
	s_delay_alu instid0(VALU_DEP_1) | instskip(NEXT) | instid1(VALU_DEP_1)
	v_mul_f64 v[229:230], v[231:232], v[227:228]
	v_fma_f64 v[225:226], -v[225:226], v[229:230], v[231:232]
	s_delay_alu instid0(VALU_DEP_1) | instskip(NEXT) | instid1(VALU_DEP_1)
	v_div_fmas_f64 v[225:226], v[225:226], v[227:228], v[229:230]
	v_div_fixup_f64 v[225:226], v[225:226], v[210:211], v[208:209]
	s_delay_alu instid0(VALU_DEP_1) | instskip(NEXT) | instid1(VALU_DEP_1)
	v_fma_f64 v[208:209], v[208:209], v[225:226], v[210:211]
	v_div_scale_f64 v[210:211], null, v[208:209], v[208:209], 1.0
	s_delay_alu instid0(VALU_DEP_1) | instskip(SKIP_2) | instid1(VALU_DEP_1)
	v_rcp_f64_e32 v[227:228], v[210:211]
	s_waitcnt_depctr 0xfff
	v_fma_f64 v[229:230], -v[210:211], v[227:228], 1.0
	v_fma_f64 v[227:228], v[227:228], v[229:230], v[227:228]
	s_delay_alu instid0(VALU_DEP_1) | instskip(NEXT) | instid1(VALU_DEP_1)
	v_fma_f64 v[229:230], -v[210:211], v[227:228], 1.0
	v_fma_f64 v[227:228], v[227:228], v[229:230], v[227:228]
	v_div_scale_f64 v[229:230], vcc_lo, 1.0, v[208:209], 1.0
	s_delay_alu instid0(VALU_DEP_1) | instskip(NEXT) | instid1(VALU_DEP_1)
	v_mul_f64 v[231:232], v[229:230], v[227:228]
	v_fma_f64 v[210:211], -v[210:211], v[231:232], v[229:230]
	s_delay_alu instid0(VALU_DEP_1) | instskip(NEXT) | instid1(VALU_DEP_1)
	v_div_fmas_f64 v[210:211], v[210:211], v[227:228], v[231:232]
	v_div_fixup_f64 v[210:211], v[210:211], v[208:209], 1.0
	s_delay_alu instid0(VALU_DEP_1)
	v_mul_f64 v[208:209], v[225:226], v[210:211]
	v_xor_b32_e32 v211, 0x80000000, v211
.LBB102_175:
	s_and_not1_saveexec_b32 s2, s2
	s_cbranch_execz .LBB102_177
; %bb.176:
	s_delay_alu instid0(VALU_DEP_1) | instskip(SKIP_1) | instid1(VALU_DEP_2)
	v_div_scale_f64 v[225:226], null, v[208:209], v[208:209], v[210:211]
	v_div_scale_f64 v[231:232], vcc_lo, v[210:211], v[208:209], v[210:211]
	v_rcp_f64_e32 v[227:228], v[225:226]
	s_waitcnt_depctr 0xfff
	v_fma_f64 v[229:230], -v[225:226], v[227:228], 1.0
	s_delay_alu instid0(VALU_DEP_1) | instskip(NEXT) | instid1(VALU_DEP_1)
	v_fma_f64 v[227:228], v[227:228], v[229:230], v[227:228]
	v_fma_f64 v[229:230], -v[225:226], v[227:228], 1.0
	s_delay_alu instid0(VALU_DEP_1) | instskip(NEXT) | instid1(VALU_DEP_1)
	v_fma_f64 v[227:228], v[227:228], v[229:230], v[227:228]
	v_mul_f64 v[229:230], v[231:232], v[227:228]
	s_delay_alu instid0(VALU_DEP_1) | instskip(NEXT) | instid1(VALU_DEP_1)
	v_fma_f64 v[225:226], -v[225:226], v[229:230], v[231:232]
	v_div_fmas_f64 v[225:226], v[225:226], v[227:228], v[229:230]
	s_delay_alu instid0(VALU_DEP_1) | instskip(NEXT) | instid1(VALU_DEP_1)
	v_div_fixup_f64 v[225:226], v[225:226], v[208:209], v[210:211]
	v_fma_f64 v[208:209], v[210:211], v[225:226], v[208:209]
	s_delay_alu instid0(VALU_DEP_1) | instskip(NEXT) | instid1(VALU_DEP_1)
	v_div_scale_f64 v[210:211], null, v[208:209], v[208:209], 1.0
	v_rcp_f64_e32 v[227:228], v[210:211]
	s_waitcnt_depctr 0xfff
	v_fma_f64 v[229:230], -v[210:211], v[227:228], 1.0
	s_delay_alu instid0(VALU_DEP_1) | instskip(NEXT) | instid1(VALU_DEP_1)
	v_fma_f64 v[227:228], v[227:228], v[229:230], v[227:228]
	v_fma_f64 v[229:230], -v[210:211], v[227:228], 1.0
	s_delay_alu instid0(VALU_DEP_1) | instskip(SKIP_1) | instid1(VALU_DEP_1)
	v_fma_f64 v[227:228], v[227:228], v[229:230], v[227:228]
	v_div_scale_f64 v[229:230], vcc_lo, 1.0, v[208:209], 1.0
	v_mul_f64 v[231:232], v[229:230], v[227:228]
	s_delay_alu instid0(VALU_DEP_1) | instskip(NEXT) | instid1(VALU_DEP_1)
	v_fma_f64 v[210:211], -v[210:211], v[231:232], v[229:230]
	v_div_fmas_f64 v[210:211], v[210:211], v[227:228], v[231:232]
	s_delay_alu instid0(VALU_DEP_1) | instskip(NEXT) | instid1(VALU_DEP_1)
	v_div_fixup_f64 v[208:209], v[210:211], v[208:209], 1.0
	v_mul_f64 v[210:211], v[225:226], -v[208:209]
.LBB102_177:
	s_or_b32 exec_lo, exec_lo, s2
.LBB102_178:
	s_delay_alu instid0(SALU_CYCLE_1) | instskip(NEXT) | instid1(SALU_CYCLE_1)
	s_or_b32 exec_lo, exec_lo, s3
	s_mov_b32 s2, exec_lo
	v_cmpx_ne_u32_e64 v224, v216
	s_xor_b32 s2, exec_lo, s2
	s_cbranch_execz .LBB102_184
; %bb.179:
	s_mov_b32 s3, exec_lo
	v_cmpx_eq_u32_e32 8, v224
	s_cbranch_execz .LBB102_183
; %bb.180:
	v_cmp_ne_u32_e32 vcc_lo, 8, v216
	s_xor_b32 s6, s4, -1
	s_delay_alu instid0(SALU_CYCLE_1) | instskip(NEXT) | instid1(SALU_CYCLE_1)
	s_and_b32 s7, s6, vcc_lo
	s_and_saveexec_b32 s6, s7
	s_cbranch_execz .LBB102_182
; %bb.181:
	v_ashrrev_i32_e32 v217, 31, v216
	s_delay_alu instid0(VALU_DEP_1) | instskip(NEXT) | instid1(VALU_DEP_1)
	v_lshlrev_b64 v[223:224], 2, v[216:217]
	v_add_co_u32 v223, vcc_lo, v214, v223
	s_delay_alu instid0(VALU_DEP_2)
	v_add_co_ci_u32_e32 v224, vcc_lo, v215, v224, vcc_lo
	s_clause 0x1
	flat_load_b32 v217, v[223:224]
	flat_load_b32 v225, v[214:215] offset:32
	s_waitcnt vmcnt(1) lgkmcnt(1)
	flat_store_b32 v[214:215], v217 offset:32
	s_waitcnt vmcnt(0) lgkmcnt(1)
	flat_store_b32 v[223:224], v225
.LBB102_182:
	s_or_b32 exec_lo, exec_lo, s6
	v_mov_b32_e32 v224, v216
	v_mov_b32_e32 v223, v216
.LBB102_183:
	s_or_b32 exec_lo, exec_lo, s3
.LBB102_184:
	s_and_not1_saveexec_b32 s2, s2
	s_cbranch_execz .LBB102_186
; %bb.185:
	v_mov_b32_e32 v224, 8
	ds_store_2addr_b64 v218, v[168:169], v[170:171] offset0:18 offset1:19
	ds_store_2addr_b64 v218, v[164:165], v[166:167] offset0:20 offset1:21
	;; [unrolled: 1-line block ×43, first 2 shown]
.LBB102_186:
	s_or_b32 exec_lo, exec_lo, s2
	s_delay_alu instid0(SALU_CYCLE_1)
	s_mov_b32 s2, exec_lo
	s_waitcnt lgkmcnt(0)
	s_waitcnt_vscnt null, 0x0
	s_barrier
	buffer_gl0_inv
	v_cmpx_lt_i32_e32 8, v224
	s_cbranch_execz .LBB102_188
; %bb.187:
	v_mul_f64 v[216:217], v[210:211], v[174:175]
	v_mul_f64 v[174:175], v[208:209], v[174:175]
	s_delay_alu instid0(VALU_DEP_2) | instskip(NEXT) | instid1(VALU_DEP_2)
	v_fma_f64 v[216:217], v[208:209], v[172:173], -v[216:217]
	v_fma_f64 v[174:175], v[210:211], v[172:173], v[174:175]
	ds_load_2addr_b64 v[208:211], v218 offset0:18 offset1:19
	s_waitcnt lgkmcnt(0)
	v_mul_f64 v[172:173], v[210:211], v[174:175]
	s_delay_alu instid0(VALU_DEP_1) | instskip(SKIP_1) | instid1(VALU_DEP_2)
	v_fma_f64 v[172:173], v[208:209], v[216:217], -v[172:173]
	v_mul_f64 v[208:209], v[208:209], v[174:175]
	v_add_f64 v[168:169], v[168:169], -v[172:173]
	s_delay_alu instid0(VALU_DEP_2) | instskip(NEXT) | instid1(VALU_DEP_1)
	v_fma_f64 v[208:209], v[210:211], v[216:217], v[208:209]
	v_add_f64 v[170:171], v[170:171], -v[208:209]
	ds_load_2addr_b64 v[208:211], v218 offset0:20 offset1:21
	s_waitcnt lgkmcnt(0)
	v_mul_f64 v[172:173], v[210:211], v[174:175]
	s_delay_alu instid0(VALU_DEP_1) | instskip(SKIP_1) | instid1(VALU_DEP_2)
	v_fma_f64 v[172:173], v[208:209], v[216:217], -v[172:173]
	v_mul_f64 v[208:209], v[208:209], v[174:175]
	v_add_f64 v[164:165], v[164:165], -v[172:173]
	s_delay_alu instid0(VALU_DEP_2) | instskip(NEXT) | instid1(VALU_DEP_1)
	v_fma_f64 v[208:209], v[210:211], v[216:217], v[208:209]
	v_add_f64 v[166:167], v[166:167], -v[208:209]
	;; [unrolled: 10-line block ×42, first 2 shown]
	ds_load_2addr_b64 v[208:211], v218 offset0:102 offset1:103
	s_waitcnt lgkmcnt(0)
	v_mul_f64 v[172:173], v[210:211], v[174:175]
	s_delay_alu instid0(VALU_DEP_1) | instskip(SKIP_1) | instid1(VALU_DEP_2)
	v_fma_f64 v[172:173], v[208:209], v[216:217], -v[172:173]
	v_mul_f64 v[208:209], v[208:209], v[174:175]
	v_add_f64 v[0:1], v[0:1], -v[172:173]
	s_delay_alu instid0(VALU_DEP_2) | instskip(SKIP_1) | instid1(VALU_DEP_2)
	v_fma_f64 v[208:209], v[210:211], v[216:217], v[208:209]
	v_dual_mov_b32 v172, v216 :: v_dual_mov_b32 v173, v217
	v_add_f64 v[2:3], v[2:3], -v[208:209]
.LBB102_188:
	s_or_b32 exec_lo, exec_lo, s2
	v_lshl_add_u32 v208, v224, 4, v218
	s_barrier
	buffer_gl0_inv
	v_mov_b32_e32 v216, 9
	ds_store_2addr_b64 v208, v[168:169], v[170:171] offset1:1
	s_waitcnt lgkmcnt(0)
	s_barrier
	buffer_gl0_inv
	ds_load_2addr_b64 v[208:211], v218 offset0:18 offset1:19
	s_cmp_lt_i32 s5, 11
	s_cbranch_scc1 .LBB102_191
; %bb.189:
	v_add3_u32 v217, v222, 0, 0xa0
	v_mov_b32_e32 v216, 9
	s_mov_b32 s6, 10
	s_set_inst_prefetch_distance 0x1
	.p2align	6
.LBB102_190:                            ; =>This Inner Loop Header: Depth=1
	ds_load_2addr_b64 v[225:228], v217 offset1:1
	s_waitcnt lgkmcnt(1)
	v_cmp_gt_f64_e32 vcc_lo, 0, v[208:209]
	v_xor_b32_e32 v229, 0x80000000, v209
	v_cmp_gt_f64_e64 s2, 0, v[210:211]
	v_xor_b32_e32 v231, 0x80000000, v211
	v_add_nc_u32_e32 v217, 16, v217
	s_waitcnt lgkmcnt(0)
	v_cmp_gt_f64_e64 s3, 0, v[225:226]
	v_mov_b32_e32 v233, v225
	v_dual_mov_b32 v235, v227 :: v_dual_cndmask_b32 v230, v209, v229
	v_xor_b32_e32 v229, 0x80000000, v226
	v_cndmask_b32_e64 v232, v211, v231, s2
	v_xor_b32_e32 v231, 0x80000000, v228
	s_delay_alu instid0(VALU_DEP_3) | instskip(SKIP_2) | instid1(VALU_DEP_2)
	v_cndmask_b32_e64 v234, v226, v229, s3
	v_cmp_gt_f64_e64 s3, 0, v[227:228]
	v_cndmask_b32_e32 v229, v208, v208, vcc_lo
	v_cndmask_b32_e64 v236, v228, v231, s3
	v_cndmask_b32_e64 v231, v210, v210, s2
	s_delay_alu instid0(VALU_DEP_2) | instskip(NEXT) | instid1(VALU_DEP_2)
	v_add_f64 v[233:234], v[233:234], v[235:236]
	v_add_f64 v[229:230], v[229:230], v[231:232]
	s_delay_alu instid0(VALU_DEP_1) | instskip(SKIP_4) | instid1(SALU_CYCLE_1)
	v_cmp_lt_f64_e32 vcc_lo, v[229:230], v[233:234]
	v_dual_cndmask_b32 v210, v210, v227 :: v_dual_cndmask_b32 v209, v209, v226
	v_dual_cndmask_b32 v208, v208, v225 :: v_dual_cndmask_b32 v211, v211, v228
	v_cndmask_b32_e64 v216, v216, s6, vcc_lo
	s_add_i32 s6, s6, 1
	s_cmp_lg_u32 s5, s6
	s_cbranch_scc1 .LBB102_190
.LBB102_191:
	s_set_inst_prefetch_distance 0x2
	s_waitcnt lgkmcnt(0)
	v_cmp_eq_f64_e32 vcc_lo, 0, v[208:209]
	v_cmp_eq_f64_e64 s2, 0, v[210:211]
	s_delay_alu instid0(VALU_DEP_1) | instskip(NEXT) | instid1(SALU_CYCLE_1)
	s_and_b32 s2, vcc_lo, s2
	s_and_saveexec_b32 s3, s2
	s_delay_alu instid0(SALU_CYCLE_1)
	s_xor_b32 s2, exec_lo, s3
; %bb.192:
	v_cmp_ne_u32_e32 vcc_lo, 0, v221
	v_cndmask_b32_e32 v221, 10, v221, vcc_lo
; %bb.193:
	s_and_not1_saveexec_b32 s3, s2
	s_cbranch_execz .LBB102_199
; %bb.194:
	v_cmp_gt_f64_e32 vcc_lo, 0, v[208:209]
	v_cmp_gt_f64_e64 s2, 0, v[210:211]
	v_xor_b32_e32 v217, 0x80000000, v209
	v_xor_b32_e32 v225, 0x80000000, v211
	s_delay_alu instid0(VALU_DEP_2) | instskip(NEXT) | instid1(VALU_DEP_2)
	v_cndmask_b32_e32 v226, v209, v217, vcc_lo
	v_cndmask_b32_e64 v228, v211, v225, s2
	v_cndmask_b32_e32 v225, v208, v208, vcc_lo
	v_cndmask_b32_e64 v227, v210, v210, s2
	s_mov_b32 s2, exec_lo
	s_delay_alu instid0(VALU_DEP_1)
	v_cmpx_ngt_f64_e32 v[225:226], v[227:228]
	s_xor_b32 s2, exec_lo, s2
	s_cbranch_execz .LBB102_196
; %bb.195:
	v_div_scale_f64 v[225:226], null, v[210:211], v[210:211], v[208:209]
	v_div_scale_f64 v[231:232], vcc_lo, v[208:209], v[210:211], v[208:209]
	s_delay_alu instid0(VALU_DEP_2) | instskip(SKIP_2) | instid1(VALU_DEP_1)
	v_rcp_f64_e32 v[227:228], v[225:226]
	s_waitcnt_depctr 0xfff
	v_fma_f64 v[229:230], -v[225:226], v[227:228], 1.0
	v_fma_f64 v[227:228], v[227:228], v[229:230], v[227:228]
	s_delay_alu instid0(VALU_DEP_1) | instskip(NEXT) | instid1(VALU_DEP_1)
	v_fma_f64 v[229:230], -v[225:226], v[227:228], 1.0
	v_fma_f64 v[227:228], v[227:228], v[229:230], v[227:228]
	s_delay_alu instid0(VALU_DEP_1) | instskip(NEXT) | instid1(VALU_DEP_1)
	v_mul_f64 v[229:230], v[231:232], v[227:228]
	v_fma_f64 v[225:226], -v[225:226], v[229:230], v[231:232]
	s_delay_alu instid0(VALU_DEP_1) | instskip(NEXT) | instid1(VALU_DEP_1)
	v_div_fmas_f64 v[225:226], v[225:226], v[227:228], v[229:230]
	v_div_fixup_f64 v[225:226], v[225:226], v[210:211], v[208:209]
	s_delay_alu instid0(VALU_DEP_1) | instskip(NEXT) | instid1(VALU_DEP_1)
	v_fma_f64 v[208:209], v[208:209], v[225:226], v[210:211]
	v_div_scale_f64 v[210:211], null, v[208:209], v[208:209], 1.0
	s_delay_alu instid0(VALU_DEP_1) | instskip(SKIP_2) | instid1(VALU_DEP_1)
	v_rcp_f64_e32 v[227:228], v[210:211]
	s_waitcnt_depctr 0xfff
	v_fma_f64 v[229:230], -v[210:211], v[227:228], 1.0
	v_fma_f64 v[227:228], v[227:228], v[229:230], v[227:228]
	s_delay_alu instid0(VALU_DEP_1) | instskip(NEXT) | instid1(VALU_DEP_1)
	v_fma_f64 v[229:230], -v[210:211], v[227:228], 1.0
	v_fma_f64 v[227:228], v[227:228], v[229:230], v[227:228]
	v_div_scale_f64 v[229:230], vcc_lo, 1.0, v[208:209], 1.0
	s_delay_alu instid0(VALU_DEP_1) | instskip(NEXT) | instid1(VALU_DEP_1)
	v_mul_f64 v[231:232], v[229:230], v[227:228]
	v_fma_f64 v[210:211], -v[210:211], v[231:232], v[229:230]
	s_delay_alu instid0(VALU_DEP_1) | instskip(NEXT) | instid1(VALU_DEP_1)
	v_div_fmas_f64 v[210:211], v[210:211], v[227:228], v[231:232]
	v_div_fixup_f64 v[210:211], v[210:211], v[208:209], 1.0
	s_delay_alu instid0(VALU_DEP_1)
	v_mul_f64 v[208:209], v[225:226], v[210:211]
	v_xor_b32_e32 v211, 0x80000000, v211
.LBB102_196:
	s_and_not1_saveexec_b32 s2, s2
	s_cbranch_execz .LBB102_198
; %bb.197:
	s_delay_alu instid0(VALU_DEP_1) | instskip(SKIP_1) | instid1(VALU_DEP_2)
	v_div_scale_f64 v[225:226], null, v[208:209], v[208:209], v[210:211]
	v_div_scale_f64 v[231:232], vcc_lo, v[210:211], v[208:209], v[210:211]
	v_rcp_f64_e32 v[227:228], v[225:226]
	s_waitcnt_depctr 0xfff
	v_fma_f64 v[229:230], -v[225:226], v[227:228], 1.0
	s_delay_alu instid0(VALU_DEP_1) | instskip(NEXT) | instid1(VALU_DEP_1)
	v_fma_f64 v[227:228], v[227:228], v[229:230], v[227:228]
	v_fma_f64 v[229:230], -v[225:226], v[227:228], 1.0
	s_delay_alu instid0(VALU_DEP_1) | instskip(NEXT) | instid1(VALU_DEP_1)
	v_fma_f64 v[227:228], v[227:228], v[229:230], v[227:228]
	v_mul_f64 v[229:230], v[231:232], v[227:228]
	s_delay_alu instid0(VALU_DEP_1) | instskip(NEXT) | instid1(VALU_DEP_1)
	v_fma_f64 v[225:226], -v[225:226], v[229:230], v[231:232]
	v_div_fmas_f64 v[225:226], v[225:226], v[227:228], v[229:230]
	s_delay_alu instid0(VALU_DEP_1) | instskip(NEXT) | instid1(VALU_DEP_1)
	v_div_fixup_f64 v[225:226], v[225:226], v[208:209], v[210:211]
	v_fma_f64 v[208:209], v[210:211], v[225:226], v[208:209]
	s_delay_alu instid0(VALU_DEP_1) | instskip(NEXT) | instid1(VALU_DEP_1)
	v_div_scale_f64 v[210:211], null, v[208:209], v[208:209], 1.0
	v_rcp_f64_e32 v[227:228], v[210:211]
	s_waitcnt_depctr 0xfff
	v_fma_f64 v[229:230], -v[210:211], v[227:228], 1.0
	s_delay_alu instid0(VALU_DEP_1) | instskip(NEXT) | instid1(VALU_DEP_1)
	v_fma_f64 v[227:228], v[227:228], v[229:230], v[227:228]
	v_fma_f64 v[229:230], -v[210:211], v[227:228], 1.0
	s_delay_alu instid0(VALU_DEP_1) | instskip(SKIP_1) | instid1(VALU_DEP_1)
	v_fma_f64 v[227:228], v[227:228], v[229:230], v[227:228]
	v_div_scale_f64 v[229:230], vcc_lo, 1.0, v[208:209], 1.0
	v_mul_f64 v[231:232], v[229:230], v[227:228]
	s_delay_alu instid0(VALU_DEP_1) | instskip(NEXT) | instid1(VALU_DEP_1)
	v_fma_f64 v[210:211], -v[210:211], v[231:232], v[229:230]
	v_div_fmas_f64 v[210:211], v[210:211], v[227:228], v[231:232]
	s_delay_alu instid0(VALU_DEP_1) | instskip(NEXT) | instid1(VALU_DEP_1)
	v_div_fixup_f64 v[208:209], v[210:211], v[208:209], 1.0
	v_mul_f64 v[210:211], v[225:226], -v[208:209]
.LBB102_198:
	s_or_b32 exec_lo, exec_lo, s2
.LBB102_199:
	s_delay_alu instid0(SALU_CYCLE_1) | instskip(NEXT) | instid1(SALU_CYCLE_1)
	s_or_b32 exec_lo, exec_lo, s3
	s_mov_b32 s2, exec_lo
	v_cmpx_ne_u32_e64 v224, v216
	s_xor_b32 s2, exec_lo, s2
	s_cbranch_execz .LBB102_205
; %bb.200:
	s_mov_b32 s3, exec_lo
	v_cmpx_eq_u32_e32 9, v224
	s_cbranch_execz .LBB102_204
; %bb.201:
	v_cmp_ne_u32_e32 vcc_lo, 9, v216
	s_xor_b32 s6, s4, -1
	s_delay_alu instid0(SALU_CYCLE_1) | instskip(NEXT) | instid1(SALU_CYCLE_1)
	s_and_b32 s7, s6, vcc_lo
	s_and_saveexec_b32 s6, s7
	s_cbranch_execz .LBB102_203
; %bb.202:
	v_ashrrev_i32_e32 v217, 31, v216
	s_delay_alu instid0(VALU_DEP_1) | instskip(NEXT) | instid1(VALU_DEP_1)
	v_lshlrev_b64 v[223:224], 2, v[216:217]
	v_add_co_u32 v223, vcc_lo, v214, v223
	s_delay_alu instid0(VALU_DEP_2)
	v_add_co_ci_u32_e32 v224, vcc_lo, v215, v224, vcc_lo
	s_clause 0x1
	flat_load_b32 v217, v[223:224]
	flat_load_b32 v225, v[214:215] offset:36
	s_waitcnt vmcnt(1) lgkmcnt(1)
	flat_store_b32 v[214:215], v217 offset:36
	s_waitcnt vmcnt(0) lgkmcnt(1)
	flat_store_b32 v[223:224], v225
.LBB102_203:
	s_or_b32 exec_lo, exec_lo, s6
	v_mov_b32_e32 v224, v216
	v_mov_b32_e32 v223, v216
.LBB102_204:
	s_or_b32 exec_lo, exec_lo, s3
.LBB102_205:
	s_and_not1_saveexec_b32 s2, s2
	s_cbranch_execz .LBB102_207
; %bb.206:
	v_mov_b32_e32 v224, 9
	ds_store_2addr_b64 v218, v[164:165], v[166:167] offset0:20 offset1:21
	ds_store_2addr_b64 v218, v[160:161], v[162:163] offset0:22 offset1:23
	;; [unrolled: 1-line block ×42, first 2 shown]
.LBB102_207:
	s_or_b32 exec_lo, exec_lo, s2
	s_delay_alu instid0(SALU_CYCLE_1)
	s_mov_b32 s2, exec_lo
	s_waitcnt lgkmcnt(0)
	s_waitcnt_vscnt null, 0x0
	s_barrier
	buffer_gl0_inv
	v_cmpx_lt_i32_e32 9, v224
	s_cbranch_execz .LBB102_209
; %bb.208:
	v_mul_f64 v[216:217], v[210:211], v[170:171]
	v_mul_f64 v[170:171], v[208:209], v[170:171]
	s_delay_alu instid0(VALU_DEP_2) | instskip(NEXT) | instid1(VALU_DEP_2)
	v_fma_f64 v[216:217], v[208:209], v[168:169], -v[216:217]
	v_fma_f64 v[170:171], v[210:211], v[168:169], v[170:171]
	ds_load_2addr_b64 v[208:211], v218 offset0:20 offset1:21
	s_waitcnt lgkmcnt(0)
	v_mul_f64 v[168:169], v[210:211], v[170:171]
	s_delay_alu instid0(VALU_DEP_1) | instskip(SKIP_1) | instid1(VALU_DEP_2)
	v_fma_f64 v[168:169], v[208:209], v[216:217], -v[168:169]
	v_mul_f64 v[208:209], v[208:209], v[170:171]
	v_add_f64 v[164:165], v[164:165], -v[168:169]
	s_delay_alu instid0(VALU_DEP_2) | instskip(NEXT) | instid1(VALU_DEP_1)
	v_fma_f64 v[208:209], v[210:211], v[216:217], v[208:209]
	v_add_f64 v[166:167], v[166:167], -v[208:209]
	ds_load_2addr_b64 v[208:211], v218 offset0:22 offset1:23
	s_waitcnt lgkmcnt(0)
	v_mul_f64 v[168:169], v[210:211], v[170:171]
	s_delay_alu instid0(VALU_DEP_1) | instskip(SKIP_1) | instid1(VALU_DEP_2)
	v_fma_f64 v[168:169], v[208:209], v[216:217], -v[168:169]
	v_mul_f64 v[208:209], v[208:209], v[170:171]
	v_add_f64 v[160:161], v[160:161], -v[168:169]
	s_delay_alu instid0(VALU_DEP_2) | instskip(NEXT) | instid1(VALU_DEP_1)
	v_fma_f64 v[208:209], v[210:211], v[216:217], v[208:209]
	v_add_f64 v[162:163], v[162:163], -v[208:209]
	;; [unrolled: 10-line block ×41, first 2 shown]
	ds_load_2addr_b64 v[208:211], v218 offset0:102 offset1:103
	s_waitcnt lgkmcnt(0)
	v_mul_f64 v[168:169], v[210:211], v[170:171]
	s_delay_alu instid0(VALU_DEP_1) | instskip(SKIP_1) | instid1(VALU_DEP_2)
	v_fma_f64 v[168:169], v[208:209], v[216:217], -v[168:169]
	v_mul_f64 v[208:209], v[208:209], v[170:171]
	v_add_f64 v[0:1], v[0:1], -v[168:169]
	s_delay_alu instid0(VALU_DEP_2) | instskip(SKIP_1) | instid1(VALU_DEP_2)
	v_fma_f64 v[208:209], v[210:211], v[216:217], v[208:209]
	v_dual_mov_b32 v168, v216 :: v_dual_mov_b32 v169, v217
	v_add_f64 v[2:3], v[2:3], -v[208:209]
.LBB102_209:
	s_or_b32 exec_lo, exec_lo, s2
	v_lshl_add_u32 v208, v224, 4, v218
	s_barrier
	buffer_gl0_inv
	v_mov_b32_e32 v216, 10
	ds_store_2addr_b64 v208, v[164:165], v[166:167] offset1:1
	s_waitcnt lgkmcnt(0)
	s_barrier
	buffer_gl0_inv
	ds_load_2addr_b64 v[208:211], v218 offset0:20 offset1:21
	s_cmp_lt_i32 s5, 12
	s_cbranch_scc1 .LBB102_212
; %bb.210:
	v_add3_u32 v217, v222, 0, 0xb0
	v_mov_b32_e32 v216, 10
	s_mov_b32 s6, 11
	s_set_inst_prefetch_distance 0x1
	.p2align	6
.LBB102_211:                            ; =>This Inner Loop Header: Depth=1
	ds_load_2addr_b64 v[225:228], v217 offset1:1
	s_waitcnt lgkmcnt(1)
	v_cmp_gt_f64_e32 vcc_lo, 0, v[208:209]
	v_xor_b32_e32 v229, 0x80000000, v209
	v_cmp_gt_f64_e64 s2, 0, v[210:211]
	v_xor_b32_e32 v231, 0x80000000, v211
	v_add_nc_u32_e32 v217, 16, v217
	s_waitcnt lgkmcnt(0)
	v_cmp_gt_f64_e64 s3, 0, v[225:226]
	v_mov_b32_e32 v233, v225
	v_dual_mov_b32 v235, v227 :: v_dual_cndmask_b32 v230, v209, v229
	v_xor_b32_e32 v229, 0x80000000, v226
	v_cndmask_b32_e64 v232, v211, v231, s2
	v_xor_b32_e32 v231, 0x80000000, v228
	s_delay_alu instid0(VALU_DEP_3) | instskip(SKIP_2) | instid1(VALU_DEP_2)
	v_cndmask_b32_e64 v234, v226, v229, s3
	v_cmp_gt_f64_e64 s3, 0, v[227:228]
	v_cndmask_b32_e32 v229, v208, v208, vcc_lo
	v_cndmask_b32_e64 v236, v228, v231, s3
	v_cndmask_b32_e64 v231, v210, v210, s2
	s_delay_alu instid0(VALU_DEP_2) | instskip(NEXT) | instid1(VALU_DEP_2)
	v_add_f64 v[233:234], v[233:234], v[235:236]
	v_add_f64 v[229:230], v[229:230], v[231:232]
	s_delay_alu instid0(VALU_DEP_1) | instskip(SKIP_4) | instid1(SALU_CYCLE_1)
	v_cmp_lt_f64_e32 vcc_lo, v[229:230], v[233:234]
	v_dual_cndmask_b32 v210, v210, v227 :: v_dual_cndmask_b32 v209, v209, v226
	v_dual_cndmask_b32 v208, v208, v225 :: v_dual_cndmask_b32 v211, v211, v228
	v_cndmask_b32_e64 v216, v216, s6, vcc_lo
	s_add_i32 s6, s6, 1
	s_cmp_lg_u32 s5, s6
	s_cbranch_scc1 .LBB102_211
.LBB102_212:
	s_set_inst_prefetch_distance 0x2
	s_waitcnt lgkmcnt(0)
	v_cmp_eq_f64_e32 vcc_lo, 0, v[208:209]
	v_cmp_eq_f64_e64 s2, 0, v[210:211]
	s_delay_alu instid0(VALU_DEP_1) | instskip(NEXT) | instid1(SALU_CYCLE_1)
	s_and_b32 s2, vcc_lo, s2
	s_and_saveexec_b32 s3, s2
	s_delay_alu instid0(SALU_CYCLE_1)
	s_xor_b32 s2, exec_lo, s3
; %bb.213:
	v_cmp_ne_u32_e32 vcc_lo, 0, v221
	v_cndmask_b32_e32 v221, 11, v221, vcc_lo
; %bb.214:
	s_and_not1_saveexec_b32 s3, s2
	s_cbranch_execz .LBB102_220
; %bb.215:
	v_cmp_gt_f64_e32 vcc_lo, 0, v[208:209]
	v_cmp_gt_f64_e64 s2, 0, v[210:211]
	v_xor_b32_e32 v217, 0x80000000, v209
	v_xor_b32_e32 v225, 0x80000000, v211
	s_delay_alu instid0(VALU_DEP_2) | instskip(NEXT) | instid1(VALU_DEP_2)
	v_cndmask_b32_e32 v226, v209, v217, vcc_lo
	v_cndmask_b32_e64 v228, v211, v225, s2
	v_cndmask_b32_e32 v225, v208, v208, vcc_lo
	v_cndmask_b32_e64 v227, v210, v210, s2
	s_mov_b32 s2, exec_lo
	s_delay_alu instid0(VALU_DEP_1)
	v_cmpx_ngt_f64_e32 v[225:226], v[227:228]
	s_xor_b32 s2, exec_lo, s2
	s_cbranch_execz .LBB102_217
; %bb.216:
	v_div_scale_f64 v[225:226], null, v[210:211], v[210:211], v[208:209]
	v_div_scale_f64 v[231:232], vcc_lo, v[208:209], v[210:211], v[208:209]
	s_delay_alu instid0(VALU_DEP_2) | instskip(SKIP_2) | instid1(VALU_DEP_1)
	v_rcp_f64_e32 v[227:228], v[225:226]
	s_waitcnt_depctr 0xfff
	v_fma_f64 v[229:230], -v[225:226], v[227:228], 1.0
	v_fma_f64 v[227:228], v[227:228], v[229:230], v[227:228]
	s_delay_alu instid0(VALU_DEP_1) | instskip(NEXT) | instid1(VALU_DEP_1)
	v_fma_f64 v[229:230], -v[225:226], v[227:228], 1.0
	v_fma_f64 v[227:228], v[227:228], v[229:230], v[227:228]
	s_delay_alu instid0(VALU_DEP_1) | instskip(NEXT) | instid1(VALU_DEP_1)
	v_mul_f64 v[229:230], v[231:232], v[227:228]
	v_fma_f64 v[225:226], -v[225:226], v[229:230], v[231:232]
	s_delay_alu instid0(VALU_DEP_1) | instskip(NEXT) | instid1(VALU_DEP_1)
	v_div_fmas_f64 v[225:226], v[225:226], v[227:228], v[229:230]
	v_div_fixup_f64 v[225:226], v[225:226], v[210:211], v[208:209]
	s_delay_alu instid0(VALU_DEP_1) | instskip(NEXT) | instid1(VALU_DEP_1)
	v_fma_f64 v[208:209], v[208:209], v[225:226], v[210:211]
	v_div_scale_f64 v[210:211], null, v[208:209], v[208:209], 1.0
	s_delay_alu instid0(VALU_DEP_1) | instskip(SKIP_2) | instid1(VALU_DEP_1)
	v_rcp_f64_e32 v[227:228], v[210:211]
	s_waitcnt_depctr 0xfff
	v_fma_f64 v[229:230], -v[210:211], v[227:228], 1.0
	v_fma_f64 v[227:228], v[227:228], v[229:230], v[227:228]
	s_delay_alu instid0(VALU_DEP_1) | instskip(NEXT) | instid1(VALU_DEP_1)
	v_fma_f64 v[229:230], -v[210:211], v[227:228], 1.0
	v_fma_f64 v[227:228], v[227:228], v[229:230], v[227:228]
	v_div_scale_f64 v[229:230], vcc_lo, 1.0, v[208:209], 1.0
	s_delay_alu instid0(VALU_DEP_1) | instskip(NEXT) | instid1(VALU_DEP_1)
	v_mul_f64 v[231:232], v[229:230], v[227:228]
	v_fma_f64 v[210:211], -v[210:211], v[231:232], v[229:230]
	s_delay_alu instid0(VALU_DEP_1) | instskip(NEXT) | instid1(VALU_DEP_1)
	v_div_fmas_f64 v[210:211], v[210:211], v[227:228], v[231:232]
	v_div_fixup_f64 v[210:211], v[210:211], v[208:209], 1.0
	s_delay_alu instid0(VALU_DEP_1)
	v_mul_f64 v[208:209], v[225:226], v[210:211]
	v_xor_b32_e32 v211, 0x80000000, v211
.LBB102_217:
	s_and_not1_saveexec_b32 s2, s2
	s_cbranch_execz .LBB102_219
; %bb.218:
	s_delay_alu instid0(VALU_DEP_1) | instskip(SKIP_1) | instid1(VALU_DEP_2)
	v_div_scale_f64 v[225:226], null, v[208:209], v[208:209], v[210:211]
	v_div_scale_f64 v[231:232], vcc_lo, v[210:211], v[208:209], v[210:211]
	v_rcp_f64_e32 v[227:228], v[225:226]
	s_waitcnt_depctr 0xfff
	v_fma_f64 v[229:230], -v[225:226], v[227:228], 1.0
	s_delay_alu instid0(VALU_DEP_1) | instskip(NEXT) | instid1(VALU_DEP_1)
	v_fma_f64 v[227:228], v[227:228], v[229:230], v[227:228]
	v_fma_f64 v[229:230], -v[225:226], v[227:228], 1.0
	s_delay_alu instid0(VALU_DEP_1) | instskip(NEXT) | instid1(VALU_DEP_1)
	v_fma_f64 v[227:228], v[227:228], v[229:230], v[227:228]
	v_mul_f64 v[229:230], v[231:232], v[227:228]
	s_delay_alu instid0(VALU_DEP_1) | instskip(NEXT) | instid1(VALU_DEP_1)
	v_fma_f64 v[225:226], -v[225:226], v[229:230], v[231:232]
	v_div_fmas_f64 v[225:226], v[225:226], v[227:228], v[229:230]
	s_delay_alu instid0(VALU_DEP_1) | instskip(NEXT) | instid1(VALU_DEP_1)
	v_div_fixup_f64 v[225:226], v[225:226], v[208:209], v[210:211]
	v_fma_f64 v[208:209], v[210:211], v[225:226], v[208:209]
	s_delay_alu instid0(VALU_DEP_1) | instskip(NEXT) | instid1(VALU_DEP_1)
	v_div_scale_f64 v[210:211], null, v[208:209], v[208:209], 1.0
	v_rcp_f64_e32 v[227:228], v[210:211]
	s_waitcnt_depctr 0xfff
	v_fma_f64 v[229:230], -v[210:211], v[227:228], 1.0
	s_delay_alu instid0(VALU_DEP_1) | instskip(NEXT) | instid1(VALU_DEP_1)
	v_fma_f64 v[227:228], v[227:228], v[229:230], v[227:228]
	v_fma_f64 v[229:230], -v[210:211], v[227:228], 1.0
	s_delay_alu instid0(VALU_DEP_1) | instskip(SKIP_1) | instid1(VALU_DEP_1)
	v_fma_f64 v[227:228], v[227:228], v[229:230], v[227:228]
	v_div_scale_f64 v[229:230], vcc_lo, 1.0, v[208:209], 1.0
	v_mul_f64 v[231:232], v[229:230], v[227:228]
	s_delay_alu instid0(VALU_DEP_1) | instskip(NEXT) | instid1(VALU_DEP_1)
	v_fma_f64 v[210:211], -v[210:211], v[231:232], v[229:230]
	v_div_fmas_f64 v[210:211], v[210:211], v[227:228], v[231:232]
	s_delay_alu instid0(VALU_DEP_1) | instskip(NEXT) | instid1(VALU_DEP_1)
	v_div_fixup_f64 v[208:209], v[210:211], v[208:209], 1.0
	v_mul_f64 v[210:211], v[225:226], -v[208:209]
.LBB102_219:
	s_or_b32 exec_lo, exec_lo, s2
.LBB102_220:
	s_delay_alu instid0(SALU_CYCLE_1) | instskip(NEXT) | instid1(SALU_CYCLE_1)
	s_or_b32 exec_lo, exec_lo, s3
	s_mov_b32 s2, exec_lo
	v_cmpx_ne_u32_e64 v224, v216
	s_xor_b32 s2, exec_lo, s2
	s_cbranch_execz .LBB102_226
; %bb.221:
	s_mov_b32 s3, exec_lo
	v_cmpx_eq_u32_e32 10, v224
	s_cbranch_execz .LBB102_225
; %bb.222:
	v_cmp_ne_u32_e32 vcc_lo, 10, v216
	s_xor_b32 s6, s4, -1
	s_delay_alu instid0(SALU_CYCLE_1) | instskip(NEXT) | instid1(SALU_CYCLE_1)
	s_and_b32 s7, s6, vcc_lo
	s_and_saveexec_b32 s6, s7
	s_cbranch_execz .LBB102_224
; %bb.223:
	v_ashrrev_i32_e32 v217, 31, v216
	s_delay_alu instid0(VALU_DEP_1) | instskip(NEXT) | instid1(VALU_DEP_1)
	v_lshlrev_b64 v[223:224], 2, v[216:217]
	v_add_co_u32 v223, vcc_lo, v214, v223
	s_delay_alu instid0(VALU_DEP_2)
	v_add_co_ci_u32_e32 v224, vcc_lo, v215, v224, vcc_lo
	s_clause 0x1
	flat_load_b32 v217, v[223:224]
	flat_load_b32 v225, v[214:215] offset:40
	s_waitcnt vmcnt(1) lgkmcnt(1)
	flat_store_b32 v[214:215], v217 offset:40
	s_waitcnt vmcnt(0) lgkmcnt(1)
	flat_store_b32 v[223:224], v225
.LBB102_224:
	s_or_b32 exec_lo, exec_lo, s6
	v_mov_b32_e32 v224, v216
	v_mov_b32_e32 v223, v216
.LBB102_225:
	s_or_b32 exec_lo, exec_lo, s3
.LBB102_226:
	s_and_not1_saveexec_b32 s2, s2
	s_cbranch_execz .LBB102_228
; %bb.227:
	v_mov_b32_e32 v224, 10
	ds_store_2addr_b64 v218, v[160:161], v[162:163] offset0:22 offset1:23
	ds_store_2addr_b64 v218, v[156:157], v[158:159] offset0:24 offset1:25
	;; [unrolled: 1-line block ×41, first 2 shown]
.LBB102_228:
	s_or_b32 exec_lo, exec_lo, s2
	s_delay_alu instid0(SALU_CYCLE_1)
	s_mov_b32 s2, exec_lo
	s_waitcnt lgkmcnt(0)
	s_waitcnt_vscnt null, 0x0
	s_barrier
	buffer_gl0_inv
	v_cmpx_lt_i32_e32 10, v224
	s_cbranch_execz .LBB102_230
; %bb.229:
	v_mul_f64 v[216:217], v[210:211], v[166:167]
	v_mul_f64 v[166:167], v[208:209], v[166:167]
	s_delay_alu instid0(VALU_DEP_2) | instskip(NEXT) | instid1(VALU_DEP_2)
	v_fma_f64 v[216:217], v[208:209], v[164:165], -v[216:217]
	v_fma_f64 v[166:167], v[210:211], v[164:165], v[166:167]
	ds_load_2addr_b64 v[208:211], v218 offset0:22 offset1:23
	s_waitcnt lgkmcnt(0)
	v_mul_f64 v[164:165], v[210:211], v[166:167]
	s_delay_alu instid0(VALU_DEP_1) | instskip(SKIP_1) | instid1(VALU_DEP_2)
	v_fma_f64 v[164:165], v[208:209], v[216:217], -v[164:165]
	v_mul_f64 v[208:209], v[208:209], v[166:167]
	v_add_f64 v[160:161], v[160:161], -v[164:165]
	s_delay_alu instid0(VALU_DEP_2) | instskip(NEXT) | instid1(VALU_DEP_1)
	v_fma_f64 v[208:209], v[210:211], v[216:217], v[208:209]
	v_add_f64 v[162:163], v[162:163], -v[208:209]
	ds_load_2addr_b64 v[208:211], v218 offset0:24 offset1:25
	s_waitcnt lgkmcnt(0)
	v_mul_f64 v[164:165], v[210:211], v[166:167]
	s_delay_alu instid0(VALU_DEP_1) | instskip(SKIP_1) | instid1(VALU_DEP_2)
	v_fma_f64 v[164:165], v[208:209], v[216:217], -v[164:165]
	v_mul_f64 v[208:209], v[208:209], v[166:167]
	v_add_f64 v[156:157], v[156:157], -v[164:165]
	s_delay_alu instid0(VALU_DEP_2) | instskip(NEXT) | instid1(VALU_DEP_1)
	v_fma_f64 v[208:209], v[210:211], v[216:217], v[208:209]
	v_add_f64 v[158:159], v[158:159], -v[208:209]
	ds_load_2addr_b64 v[208:211], v218 offset0:26 offset1:27
	s_waitcnt lgkmcnt(0)
	v_mul_f64 v[164:165], v[210:211], v[166:167]
	s_delay_alu instid0(VALU_DEP_1) | instskip(SKIP_1) | instid1(VALU_DEP_2)
	v_fma_f64 v[164:165], v[208:209], v[216:217], -v[164:165]
	v_mul_f64 v[208:209], v[208:209], v[166:167]
	v_add_f64 v[152:153], v[152:153], -v[164:165]
	s_delay_alu instid0(VALU_DEP_2) | instskip(NEXT) | instid1(VALU_DEP_1)
	v_fma_f64 v[208:209], v[210:211], v[216:217], v[208:209]
	v_add_f64 v[154:155], v[154:155], -v[208:209]
	ds_load_2addr_b64 v[208:211], v218 offset0:28 offset1:29
	s_waitcnt lgkmcnt(0)
	v_mul_f64 v[164:165], v[210:211], v[166:167]
	s_delay_alu instid0(VALU_DEP_1) | instskip(SKIP_1) | instid1(VALU_DEP_2)
	v_fma_f64 v[164:165], v[208:209], v[216:217], -v[164:165]
	v_mul_f64 v[208:209], v[208:209], v[166:167]
	v_add_f64 v[148:149], v[148:149], -v[164:165]
	s_delay_alu instid0(VALU_DEP_2) | instskip(NEXT) | instid1(VALU_DEP_1)
	v_fma_f64 v[208:209], v[210:211], v[216:217], v[208:209]
	v_add_f64 v[150:151], v[150:151], -v[208:209]
	ds_load_2addr_b64 v[208:211], v218 offset0:30 offset1:31
	s_waitcnt lgkmcnt(0)
	v_mul_f64 v[164:165], v[210:211], v[166:167]
	s_delay_alu instid0(VALU_DEP_1) | instskip(SKIP_1) | instid1(VALU_DEP_2)
	v_fma_f64 v[164:165], v[208:209], v[216:217], -v[164:165]
	v_mul_f64 v[208:209], v[208:209], v[166:167]
	v_add_f64 v[144:145], v[144:145], -v[164:165]
	s_delay_alu instid0(VALU_DEP_2) | instskip(NEXT) | instid1(VALU_DEP_1)
	v_fma_f64 v[208:209], v[210:211], v[216:217], v[208:209]
	v_add_f64 v[146:147], v[146:147], -v[208:209]
	ds_load_2addr_b64 v[208:211], v218 offset0:32 offset1:33
	s_waitcnt lgkmcnt(0)
	v_mul_f64 v[164:165], v[210:211], v[166:167]
	s_delay_alu instid0(VALU_DEP_1) | instskip(SKIP_1) | instid1(VALU_DEP_2)
	v_fma_f64 v[164:165], v[208:209], v[216:217], -v[164:165]
	v_mul_f64 v[208:209], v[208:209], v[166:167]
	v_add_f64 v[140:141], v[140:141], -v[164:165]
	s_delay_alu instid0(VALU_DEP_2) | instskip(NEXT) | instid1(VALU_DEP_1)
	v_fma_f64 v[208:209], v[210:211], v[216:217], v[208:209]
	v_add_f64 v[142:143], v[142:143], -v[208:209]
	ds_load_2addr_b64 v[208:211], v218 offset0:34 offset1:35
	s_waitcnt lgkmcnt(0)
	v_mul_f64 v[164:165], v[210:211], v[166:167]
	s_delay_alu instid0(VALU_DEP_1) | instskip(SKIP_1) | instid1(VALU_DEP_2)
	v_fma_f64 v[164:165], v[208:209], v[216:217], -v[164:165]
	v_mul_f64 v[208:209], v[208:209], v[166:167]
	v_add_f64 v[136:137], v[136:137], -v[164:165]
	s_delay_alu instid0(VALU_DEP_2) | instskip(NEXT) | instid1(VALU_DEP_1)
	v_fma_f64 v[208:209], v[210:211], v[216:217], v[208:209]
	v_add_f64 v[138:139], v[138:139], -v[208:209]
	ds_load_2addr_b64 v[208:211], v218 offset0:36 offset1:37
	s_waitcnt lgkmcnt(0)
	v_mul_f64 v[164:165], v[210:211], v[166:167]
	s_delay_alu instid0(VALU_DEP_1) | instskip(SKIP_1) | instid1(VALU_DEP_2)
	v_fma_f64 v[164:165], v[208:209], v[216:217], -v[164:165]
	v_mul_f64 v[208:209], v[208:209], v[166:167]
	v_add_f64 v[132:133], v[132:133], -v[164:165]
	s_delay_alu instid0(VALU_DEP_2) | instskip(NEXT) | instid1(VALU_DEP_1)
	v_fma_f64 v[208:209], v[210:211], v[216:217], v[208:209]
	v_add_f64 v[134:135], v[134:135], -v[208:209]
	ds_load_2addr_b64 v[208:211], v218 offset0:38 offset1:39
	s_waitcnt lgkmcnt(0)
	v_mul_f64 v[164:165], v[210:211], v[166:167]
	s_delay_alu instid0(VALU_DEP_1) | instskip(SKIP_1) | instid1(VALU_DEP_2)
	v_fma_f64 v[164:165], v[208:209], v[216:217], -v[164:165]
	v_mul_f64 v[208:209], v[208:209], v[166:167]
	v_add_f64 v[128:129], v[128:129], -v[164:165]
	s_delay_alu instid0(VALU_DEP_2) | instskip(NEXT) | instid1(VALU_DEP_1)
	v_fma_f64 v[208:209], v[210:211], v[216:217], v[208:209]
	v_add_f64 v[130:131], v[130:131], -v[208:209]
	ds_load_2addr_b64 v[208:211], v218 offset0:40 offset1:41
	s_waitcnt lgkmcnt(0)
	v_mul_f64 v[164:165], v[210:211], v[166:167]
	s_delay_alu instid0(VALU_DEP_1) | instskip(SKIP_1) | instid1(VALU_DEP_2)
	v_fma_f64 v[164:165], v[208:209], v[216:217], -v[164:165]
	v_mul_f64 v[208:209], v[208:209], v[166:167]
	v_add_f64 v[124:125], v[124:125], -v[164:165]
	s_delay_alu instid0(VALU_DEP_2) | instskip(NEXT) | instid1(VALU_DEP_1)
	v_fma_f64 v[208:209], v[210:211], v[216:217], v[208:209]
	v_add_f64 v[126:127], v[126:127], -v[208:209]
	ds_load_2addr_b64 v[208:211], v218 offset0:42 offset1:43
	s_waitcnt lgkmcnt(0)
	v_mul_f64 v[164:165], v[210:211], v[166:167]
	s_delay_alu instid0(VALU_DEP_1) | instskip(SKIP_1) | instid1(VALU_DEP_2)
	v_fma_f64 v[164:165], v[208:209], v[216:217], -v[164:165]
	v_mul_f64 v[208:209], v[208:209], v[166:167]
	v_add_f64 v[120:121], v[120:121], -v[164:165]
	s_delay_alu instid0(VALU_DEP_2) | instskip(NEXT) | instid1(VALU_DEP_1)
	v_fma_f64 v[208:209], v[210:211], v[216:217], v[208:209]
	v_add_f64 v[122:123], v[122:123], -v[208:209]
	ds_load_2addr_b64 v[208:211], v218 offset0:44 offset1:45
	s_waitcnt lgkmcnt(0)
	v_mul_f64 v[164:165], v[210:211], v[166:167]
	s_delay_alu instid0(VALU_DEP_1) | instskip(SKIP_1) | instid1(VALU_DEP_2)
	v_fma_f64 v[164:165], v[208:209], v[216:217], -v[164:165]
	v_mul_f64 v[208:209], v[208:209], v[166:167]
	v_add_f64 v[116:117], v[116:117], -v[164:165]
	s_delay_alu instid0(VALU_DEP_2) | instskip(NEXT) | instid1(VALU_DEP_1)
	v_fma_f64 v[208:209], v[210:211], v[216:217], v[208:209]
	v_add_f64 v[118:119], v[118:119], -v[208:209]
	ds_load_2addr_b64 v[208:211], v218 offset0:46 offset1:47
	s_waitcnt lgkmcnt(0)
	v_mul_f64 v[164:165], v[210:211], v[166:167]
	s_delay_alu instid0(VALU_DEP_1) | instskip(SKIP_1) | instid1(VALU_DEP_2)
	v_fma_f64 v[164:165], v[208:209], v[216:217], -v[164:165]
	v_mul_f64 v[208:209], v[208:209], v[166:167]
	v_add_f64 v[112:113], v[112:113], -v[164:165]
	s_delay_alu instid0(VALU_DEP_2) | instskip(NEXT) | instid1(VALU_DEP_1)
	v_fma_f64 v[208:209], v[210:211], v[216:217], v[208:209]
	v_add_f64 v[114:115], v[114:115], -v[208:209]
	ds_load_2addr_b64 v[208:211], v218 offset0:48 offset1:49
	s_waitcnt lgkmcnt(0)
	v_mul_f64 v[164:165], v[210:211], v[166:167]
	s_delay_alu instid0(VALU_DEP_1) | instskip(SKIP_1) | instid1(VALU_DEP_2)
	v_fma_f64 v[164:165], v[208:209], v[216:217], -v[164:165]
	v_mul_f64 v[208:209], v[208:209], v[166:167]
	v_add_f64 v[108:109], v[108:109], -v[164:165]
	s_delay_alu instid0(VALU_DEP_2) | instskip(NEXT) | instid1(VALU_DEP_1)
	v_fma_f64 v[208:209], v[210:211], v[216:217], v[208:209]
	v_add_f64 v[110:111], v[110:111], -v[208:209]
	ds_load_2addr_b64 v[208:211], v218 offset0:50 offset1:51
	s_waitcnt lgkmcnt(0)
	v_mul_f64 v[164:165], v[210:211], v[166:167]
	s_delay_alu instid0(VALU_DEP_1) | instskip(SKIP_1) | instid1(VALU_DEP_2)
	v_fma_f64 v[164:165], v[208:209], v[216:217], -v[164:165]
	v_mul_f64 v[208:209], v[208:209], v[166:167]
	v_add_f64 v[104:105], v[104:105], -v[164:165]
	s_delay_alu instid0(VALU_DEP_2) | instskip(NEXT) | instid1(VALU_DEP_1)
	v_fma_f64 v[208:209], v[210:211], v[216:217], v[208:209]
	v_add_f64 v[106:107], v[106:107], -v[208:209]
	ds_load_2addr_b64 v[208:211], v218 offset0:52 offset1:53
	s_waitcnt lgkmcnt(0)
	v_mul_f64 v[164:165], v[210:211], v[166:167]
	s_delay_alu instid0(VALU_DEP_1) | instskip(SKIP_1) | instid1(VALU_DEP_2)
	v_fma_f64 v[164:165], v[208:209], v[216:217], -v[164:165]
	v_mul_f64 v[208:209], v[208:209], v[166:167]
	v_add_f64 v[100:101], v[100:101], -v[164:165]
	s_delay_alu instid0(VALU_DEP_2) | instskip(NEXT) | instid1(VALU_DEP_1)
	v_fma_f64 v[208:209], v[210:211], v[216:217], v[208:209]
	v_add_f64 v[102:103], v[102:103], -v[208:209]
	ds_load_2addr_b64 v[208:211], v218 offset0:54 offset1:55
	s_waitcnt lgkmcnt(0)
	v_mul_f64 v[164:165], v[210:211], v[166:167]
	s_delay_alu instid0(VALU_DEP_1) | instskip(SKIP_1) | instid1(VALU_DEP_2)
	v_fma_f64 v[164:165], v[208:209], v[216:217], -v[164:165]
	v_mul_f64 v[208:209], v[208:209], v[166:167]
	v_add_f64 v[96:97], v[96:97], -v[164:165]
	s_delay_alu instid0(VALU_DEP_2) | instskip(NEXT) | instid1(VALU_DEP_1)
	v_fma_f64 v[208:209], v[210:211], v[216:217], v[208:209]
	v_add_f64 v[98:99], v[98:99], -v[208:209]
	ds_load_2addr_b64 v[208:211], v218 offset0:56 offset1:57
	s_waitcnt lgkmcnt(0)
	v_mul_f64 v[164:165], v[210:211], v[166:167]
	s_delay_alu instid0(VALU_DEP_1) | instskip(SKIP_1) | instid1(VALU_DEP_2)
	v_fma_f64 v[164:165], v[208:209], v[216:217], -v[164:165]
	v_mul_f64 v[208:209], v[208:209], v[166:167]
	v_add_f64 v[92:93], v[92:93], -v[164:165]
	s_delay_alu instid0(VALU_DEP_2) | instskip(NEXT) | instid1(VALU_DEP_1)
	v_fma_f64 v[208:209], v[210:211], v[216:217], v[208:209]
	v_add_f64 v[94:95], v[94:95], -v[208:209]
	ds_load_2addr_b64 v[208:211], v218 offset0:58 offset1:59
	s_waitcnt lgkmcnt(0)
	v_mul_f64 v[164:165], v[210:211], v[166:167]
	s_delay_alu instid0(VALU_DEP_1) | instskip(SKIP_1) | instid1(VALU_DEP_2)
	v_fma_f64 v[164:165], v[208:209], v[216:217], -v[164:165]
	v_mul_f64 v[208:209], v[208:209], v[166:167]
	v_add_f64 v[88:89], v[88:89], -v[164:165]
	s_delay_alu instid0(VALU_DEP_2) | instskip(NEXT) | instid1(VALU_DEP_1)
	v_fma_f64 v[208:209], v[210:211], v[216:217], v[208:209]
	v_add_f64 v[90:91], v[90:91], -v[208:209]
	ds_load_2addr_b64 v[208:211], v218 offset0:60 offset1:61
	s_waitcnt lgkmcnt(0)
	v_mul_f64 v[164:165], v[210:211], v[166:167]
	s_delay_alu instid0(VALU_DEP_1) | instskip(SKIP_1) | instid1(VALU_DEP_2)
	v_fma_f64 v[164:165], v[208:209], v[216:217], -v[164:165]
	v_mul_f64 v[208:209], v[208:209], v[166:167]
	v_add_f64 v[84:85], v[84:85], -v[164:165]
	s_delay_alu instid0(VALU_DEP_2) | instskip(NEXT) | instid1(VALU_DEP_1)
	v_fma_f64 v[208:209], v[210:211], v[216:217], v[208:209]
	v_add_f64 v[86:87], v[86:87], -v[208:209]
	ds_load_2addr_b64 v[208:211], v218 offset0:62 offset1:63
	s_waitcnt lgkmcnt(0)
	v_mul_f64 v[164:165], v[210:211], v[166:167]
	s_delay_alu instid0(VALU_DEP_1) | instskip(SKIP_1) | instid1(VALU_DEP_2)
	v_fma_f64 v[164:165], v[208:209], v[216:217], -v[164:165]
	v_mul_f64 v[208:209], v[208:209], v[166:167]
	v_add_f64 v[80:81], v[80:81], -v[164:165]
	s_delay_alu instid0(VALU_DEP_2) | instskip(NEXT) | instid1(VALU_DEP_1)
	v_fma_f64 v[208:209], v[210:211], v[216:217], v[208:209]
	v_add_f64 v[82:83], v[82:83], -v[208:209]
	ds_load_2addr_b64 v[208:211], v218 offset0:64 offset1:65
	s_waitcnt lgkmcnt(0)
	v_mul_f64 v[164:165], v[210:211], v[166:167]
	s_delay_alu instid0(VALU_DEP_1) | instskip(SKIP_1) | instid1(VALU_DEP_2)
	v_fma_f64 v[164:165], v[208:209], v[216:217], -v[164:165]
	v_mul_f64 v[208:209], v[208:209], v[166:167]
	v_add_f64 v[76:77], v[76:77], -v[164:165]
	s_delay_alu instid0(VALU_DEP_2) | instskip(NEXT) | instid1(VALU_DEP_1)
	v_fma_f64 v[208:209], v[210:211], v[216:217], v[208:209]
	v_add_f64 v[78:79], v[78:79], -v[208:209]
	ds_load_2addr_b64 v[208:211], v218 offset0:66 offset1:67
	s_waitcnt lgkmcnt(0)
	v_mul_f64 v[164:165], v[210:211], v[166:167]
	s_delay_alu instid0(VALU_DEP_1) | instskip(SKIP_1) | instid1(VALU_DEP_2)
	v_fma_f64 v[164:165], v[208:209], v[216:217], -v[164:165]
	v_mul_f64 v[208:209], v[208:209], v[166:167]
	v_add_f64 v[72:73], v[72:73], -v[164:165]
	s_delay_alu instid0(VALU_DEP_2) | instskip(NEXT) | instid1(VALU_DEP_1)
	v_fma_f64 v[208:209], v[210:211], v[216:217], v[208:209]
	v_add_f64 v[74:75], v[74:75], -v[208:209]
	ds_load_2addr_b64 v[208:211], v218 offset0:68 offset1:69
	s_waitcnt lgkmcnt(0)
	v_mul_f64 v[164:165], v[210:211], v[166:167]
	s_delay_alu instid0(VALU_DEP_1) | instskip(SKIP_1) | instid1(VALU_DEP_2)
	v_fma_f64 v[164:165], v[208:209], v[216:217], -v[164:165]
	v_mul_f64 v[208:209], v[208:209], v[166:167]
	v_add_f64 v[68:69], v[68:69], -v[164:165]
	s_delay_alu instid0(VALU_DEP_2) | instskip(NEXT) | instid1(VALU_DEP_1)
	v_fma_f64 v[208:209], v[210:211], v[216:217], v[208:209]
	v_add_f64 v[70:71], v[70:71], -v[208:209]
	ds_load_2addr_b64 v[208:211], v218 offset0:70 offset1:71
	s_waitcnt lgkmcnt(0)
	v_mul_f64 v[164:165], v[210:211], v[166:167]
	s_delay_alu instid0(VALU_DEP_1) | instskip(SKIP_1) | instid1(VALU_DEP_2)
	v_fma_f64 v[164:165], v[208:209], v[216:217], -v[164:165]
	v_mul_f64 v[208:209], v[208:209], v[166:167]
	v_add_f64 v[64:65], v[64:65], -v[164:165]
	s_delay_alu instid0(VALU_DEP_2) | instskip(NEXT) | instid1(VALU_DEP_1)
	v_fma_f64 v[208:209], v[210:211], v[216:217], v[208:209]
	v_add_f64 v[66:67], v[66:67], -v[208:209]
	ds_load_2addr_b64 v[208:211], v218 offset0:72 offset1:73
	s_waitcnt lgkmcnt(0)
	v_mul_f64 v[164:165], v[210:211], v[166:167]
	s_delay_alu instid0(VALU_DEP_1) | instskip(SKIP_1) | instid1(VALU_DEP_2)
	v_fma_f64 v[164:165], v[208:209], v[216:217], -v[164:165]
	v_mul_f64 v[208:209], v[208:209], v[166:167]
	v_add_f64 v[60:61], v[60:61], -v[164:165]
	s_delay_alu instid0(VALU_DEP_2) | instskip(NEXT) | instid1(VALU_DEP_1)
	v_fma_f64 v[208:209], v[210:211], v[216:217], v[208:209]
	v_add_f64 v[62:63], v[62:63], -v[208:209]
	ds_load_2addr_b64 v[208:211], v218 offset0:74 offset1:75
	s_waitcnt lgkmcnt(0)
	v_mul_f64 v[164:165], v[210:211], v[166:167]
	s_delay_alu instid0(VALU_DEP_1) | instskip(SKIP_1) | instid1(VALU_DEP_2)
	v_fma_f64 v[164:165], v[208:209], v[216:217], -v[164:165]
	v_mul_f64 v[208:209], v[208:209], v[166:167]
	v_add_f64 v[56:57], v[56:57], -v[164:165]
	s_delay_alu instid0(VALU_DEP_2) | instskip(NEXT) | instid1(VALU_DEP_1)
	v_fma_f64 v[208:209], v[210:211], v[216:217], v[208:209]
	v_add_f64 v[58:59], v[58:59], -v[208:209]
	ds_load_2addr_b64 v[208:211], v218 offset0:76 offset1:77
	s_waitcnt lgkmcnt(0)
	v_mul_f64 v[164:165], v[210:211], v[166:167]
	s_delay_alu instid0(VALU_DEP_1) | instskip(SKIP_1) | instid1(VALU_DEP_2)
	v_fma_f64 v[164:165], v[208:209], v[216:217], -v[164:165]
	v_mul_f64 v[208:209], v[208:209], v[166:167]
	v_add_f64 v[52:53], v[52:53], -v[164:165]
	s_delay_alu instid0(VALU_DEP_2) | instskip(NEXT) | instid1(VALU_DEP_1)
	v_fma_f64 v[208:209], v[210:211], v[216:217], v[208:209]
	v_add_f64 v[54:55], v[54:55], -v[208:209]
	ds_load_2addr_b64 v[208:211], v218 offset0:78 offset1:79
	s_waitcnt lgkmcnt(0)
	v_mul_f64 v[164:165], v[210:211], v[166:167]
	s_delay_alu instid0(VALU_DEP_1) | instskip(SKIP_1) | instid1(VALU_DEP_2)
	v_fma_f64 v[164:165], v[208:209], v[216:217], -v[164:165]
	v_mul_f64 v[208:209], v[208:209], v[166:167]
	v_add_f64 v[48:49], v[48:49], -v[164:165]
	s_delay_alu instid0(VALU_DEP_2) | instskip(NEXT) | instid1(VALU_DEP_1)
	v_fma_f64 v[208:209], v[210:211], v[216:217], v[208:209]
	v_add_f64 v[50:51], v[50:51], -v[208:209]
	ds_load_2addr_b64 v[208:211], v218 offset0:80 offset1:81
	s_waitcnt lgkmcnt(0)
	v_mul_f64 v[164:165], v[210:211], v[166:167]
	s_delay_alu instid0(VALU_DEP_1) | instskip(SKIP_1) | instid1(VALU_DEP_2)
	v_fma_f64 v[164:165], v[208:209], v[216:217], -v[164:165]
	v_mul_f64 v[208:209], v[208:209], v[166:167]
	v_add_f64 v[44:45], v[44:45], -v[164:165]
	s_delay_alu instid0(VALU_DEP_2) | instskip(NEXT) | instid1(VALU_DEP_1)
	v_fma_f64 v[208:209], v[210:211], v[216:217], v[208:209]
	v_add_f64 v[46:47], v[46:47], -v[208:209]
	ds_load_2addr_b64 v[208:211], v218 offset0:82 offset1:83
	s_waitcnt lgkmcnt(0)
	v_mul_f64 v[164:165], v[210:211], v[166:167]
	s_delay_alu instid0(VALU_DEP_1) | instskip(SKIP_1) | instid1(VALU_DEP_2)
	v_fma_f64 v[164:165], v[208:209], v[216:217], -v[164:165]
	v_mul_f64 v[208:209], v[208:209], v[166:167]
	v_add_f64 v[40:41], v[40:41], -v[164:165]
	s_delay_alu instid0(VALU_DEP_2) | instskip(NEXT) | instid1(VALU_DEP_1)
	v_fma_f64 v[208:209], v[210:211], v[216:217], v[208:209]
	v_add_f64 v[42:43], v[42:43], -v[208:209]
	ds_load_2addr_b64 v[208:211], v218 offset0:84 offset1:85
	s_waitcnt lgkmcnt(0)
	v_mul_f64 v[164:165], v[210:211], v[166:167]
	s_delay_alu instid0(VALU_DEP_1) | instskip(SKIP_1) | instid1(VALU_DEP_2)
	v_fma_f64 v[164:165], v[208:209], v[216:217], -v[164:165]
	v_mul_f64 v[208:209], v[208:209], v[166:167]
	v_add_f64 v[36:37], v[36:37], -v[164:165]
	s_delay_alu instid0(VALU_DEP_2) | instskip(NEXT) | instid1(VALU_DEP_1)
	v_fma_f64 v[208:209], v[210:211], v[216:217], v[208:209]
	v_add_f64 v[38:39], v[38:39], -v[208:209]
	ds_load_2addr_b64 v[208:211], v218 offset0:86 offset1:87
	s_waitcnt lgkmcnt(0)
	v_mul_f64 v[164:165], v[210:211], v[166:167]
	s_delay_alu instid0(VALU_DEP_1) | instskip(SKIP_1) | instid1(VALU_DEP_2)
	v_fma_f64 v[164:165], v[208:209], v[216:217], -v[164:165]
	v_mul_f64 v[208:209], v[208:209], v[166:167]
	v_add_f64 v[32:33], v[32:33], -v[164:165]
	s_delay_alu instid0(VALU_DEP_2) | instskip(NEXT) | instid1(VALU_DEP_1)
	v_fma_f64 v[208:209], v[210:211], v[216:217], v[208:209]
	v_add_f64 v[34:35], v[34:35], -v[208:209]
	ds_load_2addr_b64 v[208:211], v218 offset0:88 offset1:89
	s_waitcnt lgkmcnt(0)
	v_mul_f64 v[164:165], v[210:211], v[166:167]
	s_delay_alu instid0(VALU_DEP_1) | instskip(SKIP_1) | instid1(VALU_DEP_2)
	v_fma_f64 v[164:165], v[208:209], v[216:217], -v[164:165]
	v_mul_f64 v[208:209], v[208:209], v[166:167]
	v_add_f64 v[28:29], v[28:29], -v[164:165]
	s_delay_alu instid0(VALU_DEP_2) | instskip(NEXT) | instid1(VALU_DEP_1)
	v_fma_f64 v[208:209], v[210:211], v[216:217], v[208:209]
	v_add_f64 v[30:31], v[30:31], -v[208:209]
	ds_load_2addr_b64 v[208:211], v218 offset0:90 offset1:91
	s_waitcnt lgkmcnt(0)
	v_mul_f64 v[164:165], v[210:211], v[166:167]
	s_delay_alu instid0(VALU_DEP_1) | instskip(SKIP_1) | instid1(VALU_DEP_2)
	v_fma_f64 v[164:165], v[208:209], v[216:217], -v[164:165]
	v_mul_f64 v[208:209], v[208:209], v[166:167]
	v_add_f64 v[24:25], v[24:25], -v[164:165]
	s_delay_alu instid0(VALU_DEP_2) | instskip(NEXT) | instid1(VALU_DEP_1)
	v_fma_f64 v[208:209], v[210:211], v[216:217], v[208:209]
	v_add_f64 v[26:27], v[26:27], -v[208:209]
	ds_load_2addr_b64 v[208:211], v218 offset0:92 offset1:93
	s_waitcnt lgkmcnt(0)
	v_mul_f64 v[164:165], v[210:211], v[166:167]
	s_delay_alu instid0(VALU_DEP_1) | instskip(SKIP_1) | instid1(VALU_DEP_2)
	v_fma_f64 v[164:165], v[208:209], v[216:217], -v[164:165]
	v_mul_f64 v[208:209], v[208:209], v[166:167]
	v_add_f64 v[20:21], v[20:21], -v[164:165]
	s_delay_alu instid0(VALU_DEP_2) | instskip(NEXT) | instid1(VALU_DEP_1)
	v_fma_f64 v[208:209], v[210:211], v[216:217], v[208:209]
	v_add_f64 v[22:23], v[22:23], -v[208:209]
	ds_load_2addr_b64 v[208:211], v218 offset0:94 offset1:95
	s_waitcnt lgkmcnt(0)
	v_mul_f64 v[164:165], v[210:211], v[166:167]
	s_delay_alu instid0(VALU_DEP_1) | instskip(SKIP_1) | instid1(VALU_DEP_2)
	v_fma_f64 v[164:165], v[208:209], v[216:217], -v[164:165]
	v_mul_f64 v[208:209], v[208:209], v[166:167]
	v_add_f64 v[16:17], v[16:17], -v[164:165]
	s_delay_alu instid0(VALU_DEP_2) | instskip(NEXT) | instid1(VALU_DEP_1)
	v_fma_f64 v[208:209], v[210:211], v[216:217], v[208:209]
	v_add_f64 v[18:19], v[18:19], -v[208:209]
	ds_load_2addr_b64 v[208:211], v218 offset0:96 offset1:97
	s_waitcnt lgkmcnt(0)
	v_mul_f64 v[164:165], v[210:211], v[166:167]
	s_delay_alu instid0(VALU_DEP_1) | instskip(SKIP_1) | instid1(VALU_DEP_2)
	v_fma_f64 v[164:165], v[208:209], v[216:217], -v[164:165]
	v_mul_f64 v[208:209], v[208:209], v[166:167]
	v_add_f64 v[12:13], v[12:13], -v[164:165]
	s_delay_alu instid0(VALU_DEP_2) | instskip(NEXT) | instid1(VALU_DEP_1)
	v_fma_f64 v[208:209], v[210:211], v[216:217], v[208:209]
	v_add_f64 v[14:15], v[14:15], -v[208:209]
	ds_load_2addr_b64 v[208:211], v218 offset0:98 offset1:99
	s_waitcnt lgkmcnt(0)
	v_mul_f64 v[164:165], v[210:211], v[166:167]
	s_delay_alu instid0(VALU_DEP_1) | instskip(SKIP_1) | instid1(VALU_DEP_2)
	v_fma_f64 v[164:165], v[208:209], v[216:217], -v[164:165]
	v_mul_f64 v[208:209], v[208:209], v[166:167]
	v_add_f64 v[8:9], v[8:9], -v[164:165]
	s_delay_alu instid0(VALU_DEP_2) | instskip(NEXT) | instid1(VALU_DEP_1)
	v_fma_f64 v[208:209], v[210:211], v[216:217], v[208:209]
	v_add_f64 v[10:11], v[10:11], -v[208:209]
	ds_load_2addr_b64 v[208:211], v218 offset0:100 offset1:101
	s_waitcnt lgkmcnt(0)
	v_mul_f64 v[164:165], v[210:211], v[166:167]
	s_delay_alu instid0(VALU_DEP_1) | instskip(SKIP_1) | instid1(VALU_DEP_2)
	v_fma_f64 v[164:165], v[208:209], v[216:217], -v[164:165]
	v_mul_f64 v[208:209], v[208:209], v[166:167]
	v_add_f64 v[4:5], v[4:5], -v[164:165]
	s_delay_alu instid0(VALU_DEP_2) | instskip(NEXT) | instid1(VALU_DEP_1)
	v_fma_f64 v[208:209], v[210:211], v[216:217], v[208:209]
	v_add_f64 v[6:7], v[6:7], -v[208:209]
	ds_load_2addr_b64 v[208:211], v218 offset0:102 offset1:103
	s_waitcnt lgkmcnt(0)
	v_mul_f64 v[164:165], v[210:211], v[166:167]
	s_delay_alu instid0(VALU_DEP_1) | instskip(SKIP_1) | instid1(VALU_DEP_2)
	v_fma_f64 v[164:165], v[208:209], v[216:217], -v[164:165]
	v_mul_f64 v[208:209], v[208:209], v[166:167]
	v_add_f64 v[0:1], v[0:1], -v[164:165]
	s_delay_alu instid0(VALU_DEP_2) | instskip(SKIP_1) | instid1(VALU_DEP_2)
	v_fma_f64 v[208:209], v[210:211], v[216:217], v[208:209]
	v_dual_mov_b32 v164, v216 :: v_dual_mov_b32 v165, v217
	v_add_f64 v[2:3], v[2:3], -v[208:209]
.LBB102_230:
	s_or_b32 exec_lo, exec_lo, s2
	v_lshl_add_u32 v208, v224, 4, v218
	s_barrier
	buffer_gl0_inv
	v_mov_b32_e32 v216, 11
	ds_store_2addr_b64 v208, v[160:161], v[162:163] offset1:1
	s_waitcnt lgkmcnt(0)
	s_barrier
	buffer_gl0_inv
	ds_load_2addr_b64 v[208:211], v218 offset0:22 offset1:23
	s_cmp_lt_i32 s5, 13
	s_cbranch_scc1 .LBB102_233
; %bb.231:
	v_add3_u32 v217, v222, 0, 0xc0
	v_mov_b32_e32 v216, 11
	s_mov_b32 s6, 12
	s_set_inst_prefetch_distance 0x1
	.p2align	6
.LBB102_232:                            ; =>This Inner Loop Header: Depth=1
	ds_load_2addr_b64 v[225:228], v217 offset1:1
	s_waitcnt lgkmcnt(1)
	v_cmp_gt_f64_e32 vcc_lo, 0, v[208:209]
	v_xor_b32_e32 v229, 0x80000000, v209
	v_cmp_gt_f64_e64 s2, 0, v[210:211]
	v_xor_b32_e32 v231, 0x80000000, v211
	v_add_nc_u32_e32 v217, 16, v217
	s_waitcnt lgkmcnt(0)
	v_cmp_gt_f64_e64 s3, 0, v[225:226]
	v_mov_b32_e32 v233, v225
	v_dual_mov_b32 v235, v227 :: v_dual_cndmask_b32 v230, v209, v229
	v_xor_b32_e32 v229, 0x80000000, v226
	v_cndmask_b32_e64 v232, v211, v231, s2
	v_xor_b32_e32 v231, 0x80000000, v228
	s_delay_alu instid0(VALU_DEP_3) | instskip(SKIP_2) | instid1(VALU_DEP_2)
	v_cndmask_b32_e64 v234, v226, v229, s3
	v_cmp_gt_f64_e64 s3, 0, v[227:228]
	v_cndmask_b32_e32 v229, v208, v208, vcc_lo
	v_cndmask_b32_e64 v236, v228, v231, s3
	v_cndmask_b32_e64 v231, v210, v210, s2
	s_delay_alu instid0(VALU_DEP_2) | instskip(NEXT) | instid1(VALU_DEP_2)
	v_add_f64 v[233:234], v[233:234], v[235:236]
	v_add_f64 v[229:230], v[229:230], v[231:232]
	s_delay_alu instid0(VALU_DEP_1) | instskip(SKIP_4) | instid1(SALU_CYCLE_1)
	v_cmp_lt_f64_e32 vcc_lo, v[229:230], v[233:234]
	v_dual_cndmask_b32 v210, v210, v227 :: v_dual_cndmask_b32 v209, v209, v226
	v_dual_cndmask_b32 v208, v208, v225 :: v_dual_cndmask_b32 v211, v211, v228
	v_cndmask_b32_e64 v216, v216, s6, vcc_lo
	s_add_i32 s6, s6, 1
	s_cmp_lg_u32 s5, s6
	s_cbranch_scc1 .LBB102_232
.LBB102_233:
	s_set_inst_prefetch_distance 0x2
	s_waitcnt lgkmcnt(0)
	v_cmp_eq_f64_e32 vcc_lo, 0, v[208:209]
	v_cmp_eq_f64_e64 s2, 0, v[210:211]
	s_delay_alu instid0(VALU_DEP_1) | instskip(NEXT) | instid1(SALU_CYCLE_1)
	s_and_b32 s2, vcc_lo, s2
	s_and_saveexec_b32 s3, s2
	s_delay_alu instid0(SALU_CYCLE_1)
	s_xor_b32 s2, exec_lo, s3
; %bb.234:
	v_cmp_ne_u32_e32 vcc_lo, 0, v221
	v_cndmask_b32_e32 v221, 12, v221, vcc_lo
; %bb.235:
	s_and_not1_saveexec_b32 s3, s2
	s_cbranch_execz .LBB102_241
; %bb.236:
	v_cmp_gt_f64_e32 vcc_lo, 0, v[208:209]
	v_cmp_gt_f64_e64 s2, 0, v[210:211]
	v_xor_b32_e32 v217, 0x80000000, v209
	v_xor_b32_e32 v225, 0x80000000, v211
	s_delay_alu instid0(VALU_DEP_2) | instskip(NEXT) | instid1(VALU_DEP_2)
	v_cndmask_b32_e32 v226, v209, v217, vcc_lo
	v_cndmask_b32_e64 v228, v211, v225, s2
	v_cndmask_b32_e32 v225, v208, v208, vcc_lo
	v_cndmask_b32_e64 v227, v210, v210, s2
	s_mov_b32 s2, exec_lo
	s_delay_alu instid0(VALU_DEP_1)
	v_cmpx_ngt_f64_e32 v[225:226], v[227:228]
	s_xor_b32 s2, exec_lo, s2
	s_cbranch_execz .LBB102_238
; %bb.237:
	v_div_scale_f64 v[225:226], null, v[210:211], v[210:211], v[208:209]
	v_div_scale_f64 v[231:232], vcc_lo, v[208:209], v[210:211], v[208:209]
	s_delay_alu instid0(VALU_DEP_2) | instskip(SKIP_2) | instid1(VALU_DEP_1)
	v_rcp_f64_e32 v[227:228], v[225:226]
	s_waitcnt_depctr 0xfff
	v_fma_f64 v[229:230], -v[225:226], v[227:228], 1.0
	v_fma_f64 v[227:228], v[227:228], v[229:230], v[227:228]
	s_delay_alu instid0(VALU_DEP_1) | instskip(NEXT) | instid1(VALU_DEP_1)
	v_fma_f64 v[229:230], -v[225:226], v[227:228], 1.0
	v_fma_f64 v[227:228], v[227:228], v[229:230], v[227:228]
	s_delay_alu instid0(VALU_DEP_1) | instskip(NEXT) | instid1(VALU_DEP_1)
	v_mul_f64 v[229:230], v[231:232], v[227:228]
	v_fma_f64 v[225:226], -v[225:226], v[229:230], v[231:232]
	s_delay_alu instid0(VALU_DEP_1) | instskip(NEXT) | instid1(VALU_DEP_1)
	v_div_fmas_f64 v[225:226], v[225:226], v[227:228], v[229:230]
	v_div_fixup_f64 v[225:226], v[225:226], v[210:211], v[208:209]
	s_delay_alu instid0(VALU_DEP_1) | instskip(NEXT) | instid1(VALU_DEP_1)
	v_fma_f64 v[208:209], v[208:209], v[225:226], v[210:211]
	v_div_scale_f64 v[210:211], null, v[208:209], v[208:209], 1.0
	s_delay_alu instid0(VALU_DEP_1) | instskip(SKIP_2) | instid1(VALU_DEP_1)
	v_rcp_f64_e32 v[227:228], v[210:211]
	s_waitcnt_depctr 0xfff
	v_fma_f64 v[229:230], -v[210:211], v[227:228], 1.0
	v_fma_f64 v[227:228], v[227:228], v[229:230], v[227:228]
	s_delay_alu instid0(VALU_DEP_1) | instskip(NEXT) | instid1(VALU_DEP_1)
	v_fma_f64 v[229:230], -v[210:211], v[227:228], 1.0
	v_fma_f64 v[227:228], v[227:228], v[229:230], v[227:228]
	v_div_scale_f64 v[229:230], vcc_lo, 1.0, v[208:209], 1.0
	s_delay_alu instid0(VALU_DEP_1) | instskip(NEXT) | instid1(VALU_DEP_1)
	v_mul_f64 v[231:232], v[229:230], v[227:228]
	v_fma_f64 v[210:211], -v[210:211], v[231:232], v[229:230]
	s_delay_alu instid0(VALU_DEP_1) | instskip(NEXT) | instid1(VALU_DEP_1)
	v_div_fmas_f64 v[210:211], v[210:211], v[227:228], v[231:232]
	v_div_fixup_f64 v[210:211], v[210:211], v[208:209], 1.0
	s_delay_alu instid0(VALU_DEP_1)
	v_mul_f64 v[208:209], v[225:226], v[210:211]
	v_xor_b32_e32 v211, 0x80000000, v211
.LBB102_238:
	s_and_not1_saveexec_b32 s2, s2
	s_cbranch_execz .LBB102_240
; %bb.239:
	s_delay_alu instid0(VALU_DEP_1) | instskip(SKIP_1) | instid1(VALU_DEP_2)
	v_div_scale_f64 v[225:226], null, v[208:209], v[208:209], v[210:211]
	v_div_scale_f64 v[231:232], vcc_lo, v[210:211], v[208:209], v[210:211]
	v_rcp_f64_e32 v[227:228], v[225:226]
	s_waitcnt_depctr 0xfff
	v_fma_f64 v[229:230], -v[225:226], v[227:228], 1.0
	s_delay_alu instid0(VALU_DEP_1) | instskip(NEXT) | instid1(VALU_DEP_1)
	v_fma_f64 v[227:228], v[227:228], v[229:230], v[227:228]
	v_fma_f64 v[229:230], -v[225:226], v[227:228], 1.0
	s_delay_alu instid0(VALU_DEP_1) | instskip(NEXT) | instid1(VALU_DEP_1)
	v_fma_f64 v[227:228], v[227:228], v[229:230], v[227:228]
	v_mul_f64 v[229:230], v[231:232], v[227:228]
	s_delay_alu instid0(VALU_DEP_1) | instskip(NEXT) | instid1(VALU_DEP_1)
	v_fma_f64 v[225:226], -v[225:226], v[229:230], v[231:232]
	v_div_fmas_f64 v[225:226], v[225:226], v[227:228], v[229:230]
	s_delay_alu instid0(VALU_DEP_1) | instskip(NEXT) | instid1(VALU_DEP_1)
	v_div_fixup_f64 v[225:226], v[225:226], v[208:209], v[210:211]
	v_fma_f64 v[208:209], v[210:211], v[225:226], v[208:209]
	s_delay_alu instid0(VALU_DEP_1) | instskip(NEXT) | instid1(VALU_DEP_1)
	v_div_scale_f64 v[210:211], null, v[208:209], v[208:209], 1.0
	v_rcp_f64_e32 v[227:228], v[210:211]
	s_waitcnt_depctr 0xfff
	v_fma_f64 v[229:230], -v[210:211], v[227:228], 1.0
	s_delay_alu instid0(VALU_DEP_1) | instskip(NEXT) | instid1(VALU_DEP_1)
	v_fma_f64 v[227:228], v[227:228], v[229:230], v[227:228]
	v_fma_f64 v[229:230], -v[210:211], v[227:228], 1.0
	s_delay_alu instid0(VALU_DEP_1) | instskip(SKIP_1) | instid1(VALU_DEP_1)
	v_fma_f64 v[227:228], v[227:228], v[229:230], v[227:228]
	v_div_scale_f64 v[229:230], vcc_lo, 1.0, v[208:209], 1.0
	v_mul_f64 v[231:232], v[229:230], v[227:228]
	s_delay_alu instid0(VALU_DEP_1) | instskip(NEXT) | instid1(VALU_DEP_1)
	v_fma_f64 v[210:211], -v[210:211], v[231:232], v[229:230]
	v_div_fmas_f64 v[210:211], v[210:211], v[227:228], v[231:232]
	s_delay_alu instid0(VALU_DEP_1) | instskip(NEXT) | instid1(VALU_DEP_1)
	v_div_fixup_f64 v[208:209], v[210:211], v[208:209], 1.0
	v_mul_f64 v[210:211], v[225:226], -v[208:209]
.LBB102_240:
	s_or_b32 exec_lo, exec_lo, s2
.LBB102_241:
	s_delay_alu instid0(SALU_CYCLE_1) | instskip(NEXT) | instid1(SALU_CYCLE_1)
	s_or_b32 exec_lo, exec_lo, s3
	s_mov_b32 s2, exec_lo
	v_cmpx_ne_u32_e64 v224, v216
	s_xor_b32 s2, exec_lo, s2
	s_cbranch_execz .LBB102_247
; %bb.242:
	s_mov_b32 s3, exec_lo
	v_cmpx_eq_u32_e32 11, v224
	s_cbranch_execz .LBB102_246
; %bb.243:
	v_cmp_ne_u32_e32 vcc_lo, 11, v216
	s_xor_b32 s6, s4, -1
	s_delay_alu instid0(SALU_CYCLE_1) | instskip(NEXT) | instid1(SALU_CYCLE_1)
	s_and_b32 s7, s6, vcc_lo
	s_and_saveexec_b32 s6, s7
	s_cbranch_execz .LBB102_245
; %bb.244:
	v_ashrrev_i32_e32 v217, 31, v216
	s_delay_alu instid0(VALU_DEP_1) | instskip(NEXT) | instid1(VALU_DEP_1)
	v_lshlrev_b64 v[223:224], 2, v[216:217]
	v_add_co_u32 v223, vcc_lo, v214, v223
	s_delay_alu instid0(VALU_DEP_2)
	v_add_co_ci_u32_e32 v224, vcc_lo, v215, v224, vcc_lo
	s_clause 0x1
	flat_load_b32 v217, v[223:224]
	flat_load_b32 v225, v[214:215] offset:44
	s_waitcnt vmcnt(1) lgkmcnt(1)
	flat_store_b32 v[214:215], v217 offset:44
	s_waitcnt vmcnt(0) lgkmcnt(1)
	flat_store_b32 v[223:224], v225
.LBB102_245:
	s_or_b32 exec_lo, exec_lo, s6
	v_mov_b32_e32 v224, v216
	v_mov_b32_e32 v223, v216
.LBB102_246:
	s_or_b32 exec_lo, exec_lo, s3
.LBB102_247:
	s_and_not1_saveexec_b32 s2, s2
	s_cbranch_execz .LBB102_249
; %bb.248:
	v_mov_b32_e32 v224, 11
	ds_store_2addr_b64 v218, v[156:157], v[158:159] offset0:24 offset1:25
	ds_store_2addr_b64 v218, v[152:153], v[154:155] offset0:26 offset1:27
	;; [unrolled: 1-line block ×40, first 2 shown]
.LBB102_249:
	s_or_b32 exec_lo, exec_lo, s2
	s_delay_alu instid0(SALU_CYCLE_1)
	s_mov_b32 s2, exec_lo
	s_waitcnt lgkmcnt(0)
	s_waitcnt_vscnt null, 0x0
	s_barrier
	buffer_gl0_inv
	v_cmpx_lt_i32_e32 11, v224
	s_cbranch_execz .LBB102_251
; %bb.250:
	v_mul_f64 v[216:217], v[210:211], v[162:163]
	v_mul_f64 v[162:163], v[208:209], v[162:163]
	s_delay_alu instid0(VALU_DEP_2) | instskip(NEXT) | instid1(VALU_DEP_2)
	v_fma_f64 v[216:217], v[208:209], v[160:161], -v[216:217]
	v_fma_f64 v[162:163], v[210:211], v[160:161], v[162:163]
	ds_load_2addr_b64 v[208:211], v218 offset0:24 offset1:25
	s_waitcnt lgkmcnt(0)
	v_mul_f64 v[160:161], v[210:211], v[162:163]
	s_delay_alu instid0(VALU_DEP_1) | instskip(SKIP_1) | instid1(VALU_DEP_2)
	v_fma_f64 v[160:161], v[208:209], v[216:217], -v[160:161]
	v_mul_f64 v[208:209], v[208:209], v[162:163]
	v_add_f64 v[156:157], v[156:157], -v[160:161]
	s_delay_alu instid0(VALU_DEP_2) | instskip(NEXT) | instid1(VALU_DEP_1)
	v_fma_f64 v[208:209], v[210:211], v[216:217], v[208:209]
	v_add_f64 v[158:159], v[158:159], -v[208:209]
	ds_load_2addr_b64 v[208:211], v218 offset0:26 offset1:27
	s_waitcnt lgkmcnt(0)
	v_mul_f64 v[160:161], v[210:211], v[162:163]
	s_delay_alu instid0(VALU_DEP_1) | instskip(SKIP_1) | instid1(VALU_DEP_2)
	v_fma_f64 v[160:161], v[208:209], v[216:217], -v[160:161]
	v_mul_f64 v[208:209], v[208:209], v[162:163]
	v_add_f64 v[152:153], v[152:153], -v[160:161]
	s_delay_alu instid0(VALU_DEP_2) | instskip(NEXT) | instid1(VALU_DEP_1)
	v_fma_f64 v[208:209], v[210:211], v[216:217], v[208:209]
	v_add_f64 v[154:155], v[154:155], -v[208:209]
	ds_load_2addr_b64 v[208:211], v218 offset0:28 offset1:29
	s_waitcnt lgkmcnt(0)
	v_mul_f64 v[160:161], v[210:211], v[162:163]
	s_delay_alu instid0(VALU_DEP_1) | instskip(SKIP_1) | instid1(VALU_DEP_2)
	v_fma_f64 v[160:161], v[208:209], v[216:217], -v[160:161]
	v_mul_f64 v[208:209], v[208:209], v[162:163]
	v_add_f64 v[148:149], v[148:149], -v[160:161]
	s_delay_alu instid0(VALU_DEP_2) | instskip(NEXT) | instid1(VALU_DEP_1)
	v_fma_f64 v[208:209], v[210:211], v[216:217], v[208:209]
	v_add_f64 v[150:151], v[150:151], -v[208:209]
	ds_load_2addr_b64 v[208:211], v218 offset0:30 offset1:31
	s_waitcnt lgkmcnt(0)
	v_mul_f64 v[160:161], v[210:211], v[162:163]
	s_delay_alu instid0(VALU_DEP_1) | instskip(SKIP_1) | instid1(VALU_DEP_2)
	v_fma_f64 v[160:161], v[208:209], v[216:217], -v[160:161]
	v_mul_f64 v[208:209], v[208:209], v[162:163]
	v_add_f64 v[144:145], v[144:145], -v[160:161]
	s_delay_alu instid0(VALU_DEP_2) | instskip(NEXT) | instid1(VALU_DEP_1)
	v_fma_f64 v[208:209], v[210:211], v[216:217], v[208:209]
	v_add_f64 v[146:147], v[146:147], -v[208:209]
	ds_load_2addr_b64 v[208:211], v218 offset0:32 offset1:33
	s_waitcnt lgkmcnt(0)
	v_mul_f64 v[160:161], v[210:211], v[162:163]
	s_delay_alu instid0(VALU_DEP_1) | instskip(SKIP_1) | instid1(VALU_DEP_2)
	v_fma_f64 v[160:161], v[208:209], v[216:217], -v[160:161]
	v_mul_f64 v[208:209], v[208:209], v[162:163]
	v_add_f64 v[140:141], v[140:141], -v[160:161]
	s_delay_alu instid0(VALU_DEP_2) | instskip(NEXT) | instid1(VALU_DEP_1)
	v_fma_f64 v[208:209], v[210:211], v[216:217], v[208:209]
	v_add_f64 v[142:143], v[142:143], -v[208:209]
	ds_load_2addr_b64 v[208:211], v218 offset0:34 offset1:35
	s_waitcnt lgkmcnt(0)
	v_mul_f64 v[160:161], v[210:211], v[162:163]
	s_delay_alu instid0(VALU_DEP_1) | instskip(SKIP_1) | instid1(VALU_DEP_2)
	v_fma_f64 v[160:161], v[208:209], v[216:217], -v[160:161]
	v_mul_f64 v[208:209], v[208:209], v[162:163]
	v_add_f64 v[136:137], v[136:137], -v[160:161]
	s_delay_alu instid0(VALU_DEP_2) | instskip(NEXT) | instid1(VALU_DEP_1)
	v_fma_f64 v[208:209], v[210:211], v[216:217], v[208:209]
	v_add_f64 v[138:139], v[138:139], -v[208:209]
	ds_load_2addr_b64 v[208:211], v218 offset0:36 offset1:37
	s_waitcnt lgkmcnt(0)
	v_mul_f64 v[160:161], v[210:211], v[162:163]
	s_delay_alu instid0(VALU_DEP_1) | instskip(SKIP_1) | instid1(VALU_DEP_2)
	v_fma_f64 v[160:161], v[208:209], v[216:217], -v[160:161]
	v_mul_f64 v[208:209], v[208:209], v[162:163]
	v_add_f64 v[132:133], v[132:133], -v[160:161]
	s_delay_alu instid0(VALU_DEP_2) | instskip(NEXT) | instid1(VALU_DEP_1)
	v_fma_f64 v[208:209], v[210:211], v[216:217], v[208:209]
	v_add_f64 v[134:135], v[134:135], -v[208:209]
	ds_load_2addr_b64 v[208:211], v218 offset0:38 offset1:39
	s_waitcnt lgkmcnt(0)
	v_mul_f64 v[160:161], v[210:211], v[162:163]
	s_delay_alu instid0(VALU_DEP_1) | instskip(SKIP_1) | instid1(VALU_DEP_2)
	v_fma_f64 v[160:161], v[208:209], v[216:217], -v[160:161]
	v_mul_f64 v[208:209], v[208:209], v[162:163]
	v_add_f64 v[128:129], v[128:129], -v[160:161]
	s_delay_alu instid0(VALU_DEP_2) | instskip(NEXT) | instid1(VALU_DEP_1)
	v_fma_f64 v[208:209], v[210:211], v[216:217], v[208:209]
	v_add_f64 v[130:131], v[130:131], -v[208:209]
	ds_load_2addr_b64 v[208:211], v218 offset0:40 offset1:41
	s_waitcnt lgkmcnt(0)
	v_mul_f64 v[160:161], v[210:211], v[162:163]
	s_delay_alu instid0(VALU_DEP_1) | instskip(SKIP_1) | instid1(VALU_DEP_2)
	v_fma_f64 v[160:161], v[208:209], v[216:217], -v[160:161]
	v_mul_f64 v[208:209], v[208:209], v[162:163]
	v_add_f64 v[124:125], v[124:125], -v[160:161]
	s_delay_alu instid0(VALU_DEP_2) | instskip(NEXT) | instid1(VALU_DEP_1)
	v_fma_f64 v[208:209], v[210:211], v[216:217], v[208:209]
	v_add_f64 v[126:127], v[126:127], -v[208:209]
	ds_load_2addr_b64 v[208:211], v218 offset0:42 offset1:43
	s_waitcnt lgkmcnt(0)
	v_mul_f64 v[160:161], v[210:211], v[162:163]
	s_delay_alu instid0(VALU_DEP_1) | instskip(SKIP_1) | instid1(VALU_DEP_2)
	v_fma_f64 v[160:161], v[208:209], v[216:217], -v[160:161]
	v_mul_f64 v[208:209], v[208:209], v[162:163]
	v_add_f64 v[120:121], v[120:121], -v[160:161]
	s_delay_alu instid0(VALU_DEP_2) | instskip(NEXT) | instid1(VALU_DEP_1)
	v_fma_f64 v[208:209], v[210:211], v[216:217], v[208:209]
	v_add_f64 v[122:123], v[122:123], -v[208:209]
	ds_load_2addr_b64 v[208:211], v218 offset0:44 offset1:45
	s_waitcnt lgkmcnt(0)
	v_mul_f64 v[160:161], v[210:211], v[162:163]
	s_delay_alu instid0(VALU_DEP_1) | instskip(SKIP_1) | instid1(VALU_DEP_2)
	v_fma_f64 v[160:161], v[208:209], v[216:217], -v[160:161]
	v_mul_f64 v[208:209], v[208:209], v[162:163]
	v_add_f64 v[116:117], v[116:117], -v[160:161]
	s_delay_alu instid0(VALU_DEP_2) | instskip(NEXT) | instid1(VALU_DEP_1)
	v_fma_f64 v[208:209], v[210:211], v[216:217], v[208:209]
	v_add_f64 v[118:119], v[118:119], -v[208:209]
	ds_load_2addr_b64 v[208:211], v218 offset0:46 offset1:47
	s_waitcnt lgkmcnt(0)
	v_mul_f64 v[160:161], v[210:211], v[162:163]
	s_delay_alu instid0(VALU_DEP_1) | instskip(SKIP_1) | instid1(VALU_DEP_2)
	v_fma_f64 v[160:161], v[208:209], v[216:217], -v[160:161]
	v_mul_f64 v[208:209], v[208:209], v[162:163]
	v_add_f64 v[112:113], v[112:113], -v[160:161]
	s_delay_alu instid0(VALU_DEP_2) | instskip(NEXT) | instid1(VALU_DEP_1)
	v_fma_f64 v[208:209], v[210:211], v[216:217], v[208:209]
	v_add_f64 v[114:115], v[114:115], -v[208:209]
	ds_load_2addr_b64 v[208:211], v218 offset0:48 offset1:49
	s_waitcnt lgkmcnt(0)
	v_mul_f64 v[160:161], v[210:211], v[162:163]
	s_delay_alu instid0(VALU_DEP_1) | instskip(SKIP_1) | instid1(VALU_DEP_2)
	v_fma_f64 v[160:161], v[208:209], v[216:217], -v[160:161]
	v_mul_f64 v[208:209], v[208:209], v[162:163]
	v_add_f64 v[108:109], v[108:109], -v[160:161]
	s_delay_alu instid0(VALU_DEP_2) | instskip(NEXT) | instid1(VALU_DEP_1)
	v_fma_f64 v[208:209], v[210:211], v[216:217], v[208:209]
	v_add_f64 v[110:111], v[110:111], -v[208:209]
	ds_load_2addr_b64 v[208:211], v218 offset0:50 offset1:51
	s_waitcnt lgkmcnt(0)
	v_mul_f64 v[160:161], v[210:211], v[162:163]
	s_delay_alu instid0(VALU_DEP_1) | instskip(SKIP_1) | instid1(VALU_DEP_2)
	v_fma_f64 v[160:161], v[208:209], v[216:217], -v[160:161]
	v_mul_f64 v[208:209], v[208:209], v[162:163]
	v_add_f64 v[104:105], v[104:105], -v[160:161]
	s_delay_alu instid0(VALU_DEP_2) | instskip(NEXT) | instid1(VALU_DEP_1)
	v_fma_f64 v[208:209], v[210:211], v[216:217], v[208:209]
	v_add_f64 v[106:107], v[106:107], -v[208:209]
	ds_load_2addr_b64 v[208:211], v218 offset0:52 offset1:53
	s_waitcnt lgkmcnt(0)
	v_mul_f64 v[160:161], v[210:211], v[162:163]
	s_delay_alu instid0(VALU_DEP_1) | instskip(SKIP_1) | instid1(VALU_DEP_2)
	v_fma_f64 v[160:161], v[208:209], v[216:217], -v[160:161]
	v_mul_f64 v[208:209], v[208:209], v[162:163]
	v_add_f64 v[100:101], v[100:101], -v[160:161]
	s_delay_alu instid0(VALU_DEP_2) | instskip(NEXT) | instid1(VALU_DEP_1)
	v_fma_f64 v[208:209], v[210:211], v[216:217], v[208:209]
	v_add_f64 v[102:103], v[102:103], -v[208:209]
	ds_load_2addr_b64 v[208:211], v218 offset0:54 offset1:55
	s_waitcnt lgkmcnt(0)
	v_mul_f64 v[160:161], v[210:211], v[162:163]
	s_delay_alu instid0(VALU_DEP_1) | instskip(SKIP_1) | instid1(VALU_DEP_2)
	v_fma_f64 v[160:161], v[208:209], v[216:217], -v[160:161]
	v_mul_f64 v[208:209], v[208:209], v[162:163]
	v_add_f64 v[96:97], v[96:97], -v[160:161]
	s_delay_alu instid0(VALU_DEP_2) | instskip(NEXT) | instid1(VALU_DEP_1)
	v_fma_f64 v[208:209], v[210:211], v[216:217], v[208:209]
	v_add_f64 v[98:99], v[98:99], -v[208:209]
	ds_load_2addr_b64 v[208:211], v218 offset0:56 offset1:57
	s_waitcnt lgkmcnt(0)
	v_mul_f64 v[160:161], v[210:211], v[162:163]
	s_delay_alu instid0(VALU_DEP_1) | instskip(SKIP_1) | instid1(VALU_DEP_2)
	v_fma_f64 v[160:161], v[208:209], v[216:217], -v[160:161]
	v_mul_f64 v[208:209], v[208:209], v[162:163]
	v_add_f64 v[92:93], v[92:93], -v[160:161]
	s_delay_alu instid0(VALU_DEP_2) | instskip(NEXT) | instid1(VALU_DEP_1)
	v_fma_f64 v[208:209], v[210:211], v[216:217], v[208:209]
	v_add_f64 v[94:95], v[94:95], -v[208:209]
	ds_load_2addr_b64 v[208:211], v218 offset0:58 offset1:59
	s_waitcnt lgkmcnt(0)
	v_mul_f64 v[160:161], v[210:211], v[162:163]
	s_delay_alu instid0(VALU_DEP_1) | instskip(SKIP_1) | instid1(VALU_DEP_2)
	v_fma_f64 v[160:161], v[208:209], v[216:217], -v[160:161]
	v_mul_f64 v[208:209], v[208:209], v[162:163]
	v_add_f64 v[88:89], v[88:89], -v[160:161]
	s_delay_alu instid0(VALU_DEP_2) | instskip(NEXT) | instid1(VALU_DEP_1)
	v_fma_f64 v[208:209], v[210:211], v[216:217], v[208:209]
	v_add_f64 v[90:91], v[90:91], -v[208:209]
	ds_load_2addr_b64 v[208:211], v218 offset0:60 offset1:61
	s_waitcnt lgkmcnt(0)
	v_mul_f64 v[160:161], v[210:211], v[162:163]
	s_delay_alu instid0(VALU_DEP_1) | instskip(SKIP_1) | instid1(VALU_DEP_2)
	v_fma_f64 v[160:161], v[208:209], v[216:217], -v[160:161]
	v_mul_f64 v[208:209], v[208:209], v[162:163]
	v_add_f64 v[84:85], v[84:85], -v[160:161]
	s_delay_alu instid0(VALU_DEP_2) | instskip(NEXT) | instid1(VALU_DEP_1)
	v_fma_f64 v[208:209], v[210:211], v[216:217], v[208:209]
	v_add_f64 v[86:87], v[86:87], -v[208:209]
	ds_load_2addr_b64 v[208:211], v218 offset0:62 offset1:63
	s_waitcnt lgkmcnt(0)
	v_mul_f64 v[160:161], v[210:211], v[162:163]
	s_delay_alu instid0(VALU_DEP_1) | instskip(SKIP_1) | instid1(VALU_DEP_2)
	v_fma_f64 v[160:161], v[208:209], v[216:217], -v[160:161]
	v_mul_f64 v[208:209], v[208:209], v[162:163]
	v_add_f64 v[80:81], v[80:81], -v[160:161]
	s_delay_alu instid0(VALU_DEP_2) | instskip(NEXT) | instid1(VALU_DEP_1)
	v_fma_f64 v[208:209], v[210:211], v[216:217], v[208:209]
	v_add_f64 v[82:83], v[82:83], -v[208:209]
	ds_load_2addr_b64 v[208:211], v218 offset0:64 offset1:65
	s_waitcnt lgkmcnt(0)
	v_mul_f64 v[160:161], v[210:211], v[162:163]
	s_delay_alu instid0(VALU_DEP_1) | instskip(SKIP_1) | instid1(VALU_DEP_2)
	v_fma_f64 v[160:161], v[208:209], v[216:217], -v[160:161]
	v_mul_f64 v[208:209], v[208:209], v[162:163]
	v_add_f64 v[76:77], v[76:77], -v[160:161]
	s_delay_alu instid0(VALU_DEP_2) | instskip(NEXT) | instid1(VALU_DEP_1)
	v_fma_f64 v[208:209], v[210:211], v[216:217], v[208:209]
	v_add_f64 v[78:79], v[78:79], -v[208:209]
	ds_load_2addr_b64 v[208:211], v218 offset0:66 offset1:67
	s_waitcnt lgkmcnt(0)
	v_mul_f64 v[160:161], v[210:211], v[162:163]
	s_delay_alu instid0(VALU_DEP_1) | instskip(SKIP_1) | instid1(VALU_DEP_2)
	v_fma_f64 v[160:161], v[208:209], v[216:217], -v[160:161]
	v_mul_f64 v[208:209], v[208:209], v[162:163]
	v_add_f64 v[72:73], v[72:73], -v[160:161]
	s_delay_alu instid0(VALU_DEP_2) | instskip(NEXT) | instid1(VALU_DEP_1)
	v_fma_f64 v[208:209], v[210:211], v[216:217], v[208:209]
	v_add_f64 v[74:75], v[74:75], -v[208:209]
	ds_load_2addr_b64 v[208:211], v218 offset0:68 offset1:69
	s_waitcnt lgkmcnt(0)
	v_mul_f64 v[160:161], v[210:211], v[162:163]
	s_delay_alu instid0(VALU_DEP_1) | instskip(SKIP_1) | instid1(VALU_DEP_2)
	v_fma_f64 v[160:161], v[208:209], v[216:217], -v[160:161]
	v_mul_f64 v[208:209], v[208:209], v[162:163]
	v_add_f64 v[68:69], v[68:69], -v[160:161]
	s_delay_alu instid0(VALU_DEP_2) | instskip(NEXT) | instid1(VALU_DEP_1)
	v_fma_f64 v[208:209], v[210:211], v[216:217], v[208:209]
	v_add_f64 v[70:71], v[70:71], -v[208:209]
	ds_load_2addr_b64 v[208:211], v218 offset0:70 offset1:71
	s_waitcnt lgkmcnt(0)
	v_mul_f64 v[160:161], v[210:211], v[162:163]
	s_delay_alu instid0(VALU_DEP_1) | instskip(SKIP_1) | instid1(VALU_DEP_2)
	v_fma_f64 v[160:161], v[208:209], v[216:217], -v[160:161]
	v_mul_f64 v[208:209], v[208:209], v[162:163]
	v_add_f64 v[64:65], v[64:65], -v[160:161]
	s_delay_alu instid0(VALU_DEP_2) | instskip(NEXT) | instid1(VALU_DEP_1)
	v_fma_f64 v[208:209], v[210:211], v[216:217], v[208:209]
	v_add_f64 v[66:67], v[66:67], -v[208:209]
	ds_load_2addr_b64 v[208:211], v218 offset0:72 offset1:73
	s_waitcnt lgkmcnt(0)
	v_mul_f64 v[160:161], v[210:211], v[162:163]
	s_delay_alu instid0(VALU_DEP_1) | instskip(SKIP_1) | instid1(VALU_DEP_2)
	v_fma_f64 v[160:161], v[208:209], v[216:217], -v[160:161]
	v_mul_f64 v[208:209], v[208:209], v[162:163]
	v_add_f64 v[60:61], v[60:61], -v[160:161]
	s_delay_alu instid0(VALU_DEP_2) | instskip(NEXT) | instid1(VALU_DEP_1)
	v_fma_f64 v[208:209], v[210:211], v[216:217], v[208:209]
	v_add_f64 v[62:63], v[62:63], -v[208:209]
	ds_load_2addr_b64 v[208:211], v218 offset0:74 offset1:75
	s_waitcnt lgkmcnt(0)
	v_mul_f64 v[160:161], v[210:211], v[162:163]
	s_delay_alu instid0(VALU_DEP_1) | instskip(SKIP_1) | instid1(VALU_DEP_2)
	v_fma_f64 v[160:161], v[208:209], v[216:217], -v[160:161]
	v_mul_f64 v[208:209], v[208:209], v[162:163]
	v_add_f64 v[56:57], v[56:57], -v[160:161]
	s_delay_alu instid0(VALU_DEP_2) | instskip(NEXT) | instid1(VALU_DEP_1)
	v_fma_f64 v[208:209], v[210:211], v[216:217], v[208:209]
	v_add_f64 v[58:59], v[58:59], -v[208:209]
	ds_load_2addr_b64 v[208:211], v218 offset0:76 offset1:77
	s_waitcnt lgkmcnt(0)
	v_mul_f64 v[160:161], v[210:211], v[162:163]
	s_delay_alu instid0(VALU_DEP_1) | instskip(SKIP_1) | instid1(VALU_DEP_2)
	v_fma_f64 v[160:161], v[208:209], v[216:217], -v[160:161]
	v_mul_f64 v[208:209], v[208:209], v[162:163]
	v_add_f64 v[52:53], v[52:53], -v[160:161]
	s_delay_alu instid0(VALU_DEP_2) | instskip(NEXT) | instid1(VALU_DEP_1)
	v_fma_f64 v[208:209], v[210:211], v[216:217], v[208:209]
	v_add_f64 v[54:55], v[54:55], -v[208:209]
	ds_load_2addr_b64 v[208:211], v218 offset0:78 offset1:79
	s_waitcnt lgkmcnt(0)
	v_mul_f64 v[160:161], v[210:211], v[162:163]
	s_delay_alu instid0(VALU_DEP_1) | instskip(SKIP_1) | instid1(VALU_DEP_2)
	v_fma_f64 v[160:161], v[208:209], v[216:217], -v[160:161]
	v_mul_f64 v[208:209], v[208:209], v[162:163]
	v_add_f64 v[48:49], v[48:49], -v[160:161]
	s_delay_alu instid0(VALU_DEP_2) | instskip(NEXT) | instid1(VALU_DEP_1)
	v_fma_f64 v[208:209], v[210:211], v[216:217], v[208:209]
	v_add_f64 v[50:51], v[50:51], -v[208:209]
	ds_load_2addr_b64 v[208:211], v218 offset0:80 offset1:81
	s_waitcnt lgkmcnt(0)
	v_mul_f64 v[160:161], v[210:211], v[162:163]
	s_delay_alu instid0(VALU_DEP_1) | instskip(SKIP_1) | instid1(VALU_DEP_2)
	v_fma_f64 v[160:161], v[208:209], v[216:217], -v[160:161]
	v_mul_f64 v[208:209], v[208:209], v[162:163]
	v_add_f64 v[44:45], v[44:45], -v[160:161]
	s_delay_alu instid0(VALU_DEP_2) | instskip(NEXT) | instid1(VALU_DEP_1)
	v_fma_f64 v[208:209], v[210:211], v[216:217], v[208:209]
	v_add_f64 v[46:47], v[46:47], -v[208:209]
	ds_load_2addr_b64 v[208:211], v218 offset0:82 offset1:83
	s_waitcnt lgkmcnt(0)
	v_mul_f64 v[160:161], v[210:211], v[162:163]
	s_delay_alu instid0(VALU_DEP_1) | instskip(SKIP_1) | instid1(VALU_DEP_2)
	v_fma_f64 v[160:161], v[208:209], v[216:217], -v[160:161]
	v_mul_f64 v[208:209], v[208:209], v[162:163]
	v_add_f64 v[40:41], v[40:41], -v[160:161]
	s_delay_alu instid0(VALU_DEP_2) | instskip(NEXT) | instid1(VALU_DEP_1)
	v_fma_f64 v[208:209], v[210:211], v[216:217], v[208:209]
	v_add_f64 v[42:43], v[42:43], -v[208:209]
	ds_load_2addr_b64 v[208:211], v218 offset0:84 offset1:85
	s_waitcnt lgkmcnt(0)
	v_mul_f64 v[160:161], v[210:211], v[162:163]
	s_delay_alu instid0(VALU_DEP_1) | instskip(SKIP_1) | instid1(VALU_DEP_2)
	v_fma_f64 v[160:161], v[208:209], v[216:217], -v[160:161]
	v_mul_f64 v[208:209], v[208:209], v[162:163]
	v_add_f64 v[36:37], v[36:37], -v[160:161]
	s_delay_alu instid0(VALU_DEP_2) | instskip(NEXT) | instid1(VALU_DEP_1)
	v_fma_f64 v[208:209], v[210:211], v[216:217], v[208:209]
	v_add_f64 v[38:39], v[38:39], -v[208:209]
	ds_load_2addr_b64 v[208:211], v218 offset0:86 offset1:87
	s_waitcnt lgkmcnt(0)
	v_mul_f64 v[160:161], v[210:211], v[162:163]
	s_delay_alu instid0(VALU_DEP_1) | instskip(SKIP_1) | instid1(VALU_DEP_2)
	v_fma_f64 v[160:161], v[208:209], v[216:217], -v[160:161]
	v_mul_f64 v[208:209], v[208:209], v[162:163]
	v_add_f64 v[32:33], v[32:33], -v[160:161]
	s_delay_alu instid0(VALU_DEP_2) | instskip(NEXT) | instid1(VALU_DEP_1)
	v_fma_f64 v[208:209], v[210:211], v[216:217], v[208:209]
	v_add_f64 v[34:35], v[34:35], -v[208:209]
	ds_load_2addr_b64 v[208:211], v218 offset0:88 offset1:89
	s_waitcnt lgkmcnt(0)
	v_mul_f64 v[160:161], v[210:211], v[162:163]
	s_delay_alu instid0(VALU_DEP_1) | instskip(SKIP_1) | instid1(VALU_DEP_2)
	v_fma_f64 v[160:161], v[208:209], v[216:217], -v[160:161]
	v_mul_f64 v[208:209], v[208:209], v[162:163]
	v_add_f64 v[28:29], v[28:29], -v[160:161]
	s_delay_alu instid0(VALU_DEP_2) | instskip(NEXT) | instid1(VALU_DEP_1)
	v_fma_f64 v[208:209], v[210:211], v[216:217], v[208:209]
	v_add_f64 v[30:31], v[30:31], -v[208:209]
	ds_load_2addr_b64 v[208:211], v218 offset0:90 offset1:91
	s_waitcnt lgkmcnt(0)
	v_mul_f64 v[160:161], v[210:211], v[162:163]
	s_delay_alu instid0(VALU_DEP_1) | instskip(SKIP_1) | instid1(VALU_DEP_2)
	v_fma_f64 v[160:161], v[208:209], v[216:217], -v[160:161]
	v_mul_f64 v[208:209], v[208:209], v[162:163]
	v_add_f64 v[24:25], v[24:25], -v[160:161]
	s_delay_alu instid0(VALU_DEP_2) | instskip(NEXT) | instid1(VALU_DEP_1)
	v_fma_f64 v[208:209], v[210:211], v[216:217], v[208:209]
	v_add_f64 v[26:27], v[26:27], -v[208:209]
	ds_load_2addr_b64 v[208:211], v218 offset0:92 offset1:93
	s_waitcnt lgkmcnt(0)
	v_mul_f64 v[160:161], v[210:211], v[162:163]
	s_delay_alu instid0(VALU_DEP_1) | instskip(SKIP_1) | instid1(VALU_DEP_2)
	v_fma_f64 v[160:161], v[208:209], v[216:217], -v[160:161]
	v_mul_f64 v[208:209], v[208:209], v[162:163]
	v_add_f64 v[20:21], v[20:21], -v[160:161]
	s_delay_alu instid0(VALU_DEP_2) | instskip(NEXT) | instid1(VALU_DEP_1)
	v_fma_f64 v[208:209], v[210:211], v[216:217], v[208:209]
	v_add_f64 v[22:23], v[22:23], -v[208:209]
	ds_load_2addr_b64 v[208:211], v218 offset0:94 offset1:95
	s_waitcnt lgkmcnt(0)
	v_mul_f64 v[160:161], v[210:211], v[162:163]
	s_delay_alu instid0(VALU_DEP_1) | instskip(SKIP_1) | instid1(VALU_DEP_2)
	v_fma_f64 v[160:161], v[208:209], v[216:217], -v[160:161]
	v_mul_f64 v[208:209], v[208:209], v[162:163]
	v_add_f64 v[16:17], v[16:17], -v[160:161]
	s_delay_alu instid0(VALU_DEP_2) | instskip(NEXT) | instid1(VALU_DEP_1)
	v_fma_f64 v[208:209], v[210:211], v[216:217], v[208:209]
	v_add_f64 v[18:19], v[18:19], -v[208:209]
	ds_load_2addr_b64 v[208:211], v218 offset0:96 offset1:97
	s_waitcnt lgkmcnt(0)
	v_mul_f64 v[160:161], v[210:211], v[162:163]
	s_delay_alu instid0(VALU_DEP_1) | instskip(SKIP_1) | instid1(VALU_DEP_2)
	v_fma_f64 v[160:161], v[208:209], v[216:217], -v[160:161]
	v_mul_f64 v[208:209], v[208:209], v[162:163]
	v_add_f64 v[12:13], v[12:13], -v[160:161]
	s_delay_alu instid0(VALU_DEP_2) | instskip(NEXT) | instid1(VALU_DEP_1)
	v_fma_f64 v[208:209], v[210:211], v[216:217], v[208:209]
	v_add_f64 v[14:15], v[14:15], -v[208:209]
	ds_load_2addr_b64 v[208:211], v218 offset0:98 offset1:99
	s_waitcnt lgkmcnt(0)
	v_mul_f64 v[160:161], v[210:211], v[162:163]
	s_delay_alu instid0(VALU_DEP_1) | instskip(SKIP_1) | instid1(VALU_DEP_2)
	v_fma_f64 v[160:161], v[208:209], v[216:217], -v[160:161]
	v_mul_f64 v[208:209], v[208:209], v[162:163]
	v_add_f64 v[8:9], v[8:9], -v[160:161]
	s_delay_alu instid0(VALU_DEP_2) | instskip(NEXT) | instid1(VALU_DEP_1)
	v_fma_f64 v[208:209], v[210:211], v[216:217], v[208:209]
	v_add_f64 v[10:11], v[10:11], -v[208:209]
	ds_load_2addr_b64 v[208:211], v218 offset0:100 offset1:101
	s_waitcnt lgkmcnt(0)
	v_mul_f64 v[160:161], v[210:211], v[162:163]
	s_delay_alu instid0(VALU_DEP_1) | instskip(SKIP_1) | instid1(VALU_DEP_2)
	v_fma_f64 v[160:161], v[208:209], v[216:217], -v[160:161]
	v_mul_f64 v[208:209], v[208:209], v[162:163]
	v_add_f64 v[4:5], v[4:5], -v[160:161]
	s_delay_alu instid0(VALU_DEP_2) | instskip(NEXT) | instid1(VALU_DEP_1)
	v_fma_f64 v[208:209], v[210:211], v[216:217], v[208:209]
	v_add_f64 v[6:7], v[6:7], -v[208:209]
	ds_load_2addr_b64 v[208:211], v218 offset0:102 offset1:103
	s_waitcnt lgkmcnt(0)
	v_mul_f64 v[160:161], v[210:211], v[162:163]
	s_delay_alu instid0(VALU_DEP_1) | instskip(SKIP_1) | instid1(VALU_DEP_2)
	v_fma_f64 v[160:161], v[208:209], v[216:217], -v[160:161]
	v_mul_f64 v[208:209], v[208:209], v[162:163]
	v_add_f64 v[0:1], v[0:1], -v[160:161]
	s_delay_alu instid0(VALU_DEP_2) | instskip(SKIP_1) | instid1(VALU_DEP_2)
	v_fma_f64 v[208:209], v[210:211], v[216:217], v[208:209]
	v_dual_mov_b32 v160, v216 :: v_dual_mov_b32 v161, v217
	v_add_f64 v[2:3], v[2:3], -v[208:209]
.LBB102_251:
	s_or_b32 exec_lo, exec_lo, s2
	v_lshl_add_u32 v208, v224, 4, v218
	s_barrier
	buffer_gl0_inv
	v_mov_b32_e32 v216, 12
	ds_store_2addr_b64 v208, v[156:157], v[158:159] offset1:1
	s_waitcnt lgkmcnt(0)
	s_barrier
	buffer_gl0_inv
	ds_load_2addr_b64 v[208:211], v218 offset0:24 offset1:25
	s_cmp_lt_i32 s5, 14
	s_cbranch_scc1 .LBB102_254
; %bb.252:
	v_add3_u32 v217, v222, 0, 0xd0
	v_mov_b32_e32 v216, 12
	s_mov_b32 s6, 13
	s_set_inst_prefetch_distance 0x1
	.p2align	6
.LBB102_253:                            ; =>This Inner Loop Header: Depth=1
	ds_load_2addr_b64 v[225:228], v217 offset1:1
	s_waitcnt lgkmcnt(1)
	v_cmp_gt_f64_e32 vcc_lo, 0, v[208:209]
	v_xor_b32_e32 v229, 0x80000000, v209
	v_cmp_gt_f64_e64 s2, 0, v[210:211]
	v_xor_b32_e32 v231, 0x80000000, v211
	v_add_nc_u32_e32 v217, 16, v217
	s_waitcnt lgkmcnt(0)
	v_cmp_gt_f64_e64 s3, 0, v[225:226]
	v_mov_b32_e32 v233, v225
	v_dual_mov_b32 v235, v227 :: v_dual_cndmask_b32 v230, v209, v229
	v_xor_b32_e32 v229, 0x80000000, v226
	v_cndmask_b32_e64 v232, v211, v231, s2
	v_xor_b32_e32 v231, 0x80000000, v228
	s_delay_alu instid0(VALU_DEP_3) | instskip(SKIP_2) | instid1(VALU_DEP_2)
	v_cndmask_b32_e64 v234, v226, v229, s3
	v_cmp_gt_f64_e64 s3, 0, v[227:228]
	v_cndmask_b32_e32 v229, v208, v208, vcc_lo
	v_cndmask_b32_e64 v236, v228, v231, s3
	v_cndmask_b32_e64 v231, v210, v210, s2
	s_delay_alu instid0(VALU_DEP_2) | instskip(NEXT) | instid1(VALU_DEP_2)
	v_add_f64 v[233:234], v[233:234], v[235:236]
	v_add_f64 v[229:230], v[229:230], v[231:232]
	s_delay_alu instid0(VALU_DEP_1) | instskip(SKIP_4) | instid1(SALU_CYCLE_1)
	v_cmp_lt_f64_e32 vcc_lo, v[229:230], v[233:234]
	v_dual_cndmask_b32 v210, v210, v227 :: v_dual_cndmask_b32 v209, v209, v226
	v_dual_cndmask_b32 v208, v208, v225 :: v_dual_cndmask_b32 v211, v211, v228
	v_cndmask_b32_e64 v216, v216, s6, vcc_lo
	s_add_i32 s6, s6, 1
	s_cmp_lg_u32 s5, s6
	s_cbranch_scc1 .LBB102_253
.LBB102_254:
	s_set_inst_prefetch_distance 0x2
	s_waitcnt lgkmcnt(0)
	v_cmp_eq_f64_e32 vcc_lo, 0, v[208:209]
	v_cmp_eq_f64_e64 s2, 0, v[210:211]
	s_delay_alu instid0(VALU_DEP_1) | instskip(NEXT) | instid1(SALU_CYCLE_1)
	s_and_b32 s2, vcc_lo, s2
	s_and_saveexec_b32 s3, s2
	s_delay_alu instid0(SALU_CYCLE_1)
	s_xor_b32 s2, exec_lo, s3
; %bb.255:
	v_cmp_ne_u32_e32 vcc_lo, 0, v221
	v_cndmask_b32_e32 v221, 13, v221, vcc_lo
; %bb.256:
	s_and_not1_saveexec_b32 s3, s2
	s_cbranch_execz .LBB102_262
; %bb.257:
	v_cmp_gt_f64_e32 vcc_lo, 0, v[208:209]
	v_cmp_gt_f64_e64 s2, 0, v[210:211]
	v_xor_b32_e32 v217, 0x80000000, v209
	v_xor_b32_e32 v225, 0x80000000, v211
	s_delay_alu instid0(VALU_DEP_2) | instskip(NEXT) | instid1(VALU_DEP_2)
	v_cndmask_b32_e32 v226, v209, v217, vcc_lo
	v_cndmask_b32_e64 v228, v211, v225, s2
	v_cndmask_b32_e32 v225, v208, v208, vcc_lo
	v_cndmask_b32_e64 v227, v210, v210, s2
	s_mov_b32 s2, exec_lo
	s_delay_alu instid0(VALU_DEP_1)
	v_cmpx_ngt_f64_e32 v[225:226], v[227:228]
	s_xor_b32 s2, exec_lo, s2
	s_cbranch_execz .LBB102_259
; %bb.258:
	v_div_scale_f64 v[225:226], null, v[210:211], v[210:211], v[208:209]
	v_div_scale_f64 v[231:232], vcc_lo, v[208:209], v[210:211], v[208:209]
	s_delay_alu instid0(VALU_DEP_2) | instskip(SKIP_2) | instid1(VALU_DEP_1)
	v_rcp_f64_e32 v[227:228], v[225:226]
	s_waitcnt_depctr 0xfff
	v_fma_f64 v[229:230], -v[225:226], v[227:228], 1.0
	v_fma_f64 v[227:228], v[227:228], v[229:230], v[227:228]
	s_delay_alu instid0(VALU_DEP_1) | instskip(NEXT) | instid1(VALU_DEP_1)
	v_fma_f64 v[229:230], -v[225:226], v[227:228], 1.0
	v_fma_f64 v[227:228], v[227:228], v[229:230], v[227:228]
	s_delay_alu instid0(VALU_DEP_1) | instskip(NEXT) | instid1(VALU_DEP_1)
	v_mul_f64 v[229:230], v[231:232], v[227:228]
	v_fma_f64 v[225:226], -v[225:226], v[229:230], v[231:232]
	s_delay_alu instid0(VALU_DEP_1) | instskip(NEXT) | instid1(VALU_DEP_1)
	v_div_fmas_f64 v[225:226], v[225:226], v[227:228], v[229:230]
	v_div_fixup_f64 v[225:226], v[225:226], v[210:211], v[208:209]
	s_delay_alu instid0(VALU_DEP_1) | instskip(NEXT) | instid1(VALU_DEP_1)
	v_fma_f64 v[208:209], v[208:209], v[225:226], v[210:211]
	v_div_scale_f64 v[210:211], null, v[208:209], v[208:209], 1.0
	s_delay_alu instid0(VALU_DEP_1) | instskip(SKIP_2) | instid1(VALU_DEP_1)
	v_rcp_f64_e32 v[227:228], v[210:211]
	s_waitcnt_depctr 0xfff
	v_fma_f64 v[229:230], -v[210:211], v[227:228], 1.0
	v_fma_f64 v[227:228], v[227:228], v[229:230], v[227:228]
	s_delay_alu instid0(VALU_DEP_1) | instskip(NEXT) | instid1(VALU_DEP_1)
	v_fma_f64 v[229:230], -v[210:211], v[227:228], 1.0
	v_fma_f64 v[227:228], v[227:228], v[229:230], v[227:228]
	v_div_scale_f64 v[229:230], vcc_lo, 1.0, v[208:209], 1.0
	s_delay_alu instid0(VALU_DEP_1) | instskip(NEXT) | instid1(VALU_DEP_1)
	v_mul_f64 v[231:232], v[229:230], v[227:228]
	v_fma_f64 v[210:211], -v[210:211], v[231:232], v[229:230]
	s_delay_alu instid0(VALU_DEP_1) | instskip(NEXT) | instid1(VALU_DEP_1)
	v_div_fmas_f64 v[210:211], v[210:211], v[227:228], v[231:232]
	v_div_fixup_f64 v[210:211], v[210:211], v[208:209], 1.0
	s_delay_alu instid0(VALU_DEP_1)
	v_mul_f64 v[208:209], v[225:226], v[210:211]
	v_xor_b32_e32 v211, 0x80000000, v211
.LBB102_259:
	s_and_not1_saveexec_b32 s2, s2
	s_cbranch_execz .LBB102_261
; %bb.260:
	s_delay_alu instid0(VALU_DEP_1) | instskip(SKIP_1) | instid1(VALU_DEP_2)
	v_div_scale_f64 v[225:226], null, v[208:209], v[208:209], v[210:211]
	v_div_scale_f64 v[231:232], vcc_lo, v[210:211], v[208:209], v[210:211]
	v_rcp_f64_e32 v[227:228], v[225:226]
	s_waitcnt_depctr 0xfff
	v_fma_f64 v[229:230], -v[225:226], v[227:228], 1.0
	s_delay_alu instid0(VALU_DEP_1) | instskip(NEXT) | instid1(VALU_DEP_1)
	v_fma_f64 v[227:228], v[227:228], v[229:230], v[227:228]
	v_fma_f64 v[229:230], -v[225:226], v[227:228], 1.0
	s_delay_alu instid0(VALU_DEP_1) | instskip(NEXT) | instid1(VALU_DEP_1)
	v_fma_f64 v[227:228], v[227:228], v[229:230], v[227:228]
	v_mul_f64 v[229:230], v[231:232], v[227:228]
	s_delay_alu instid0(VALU_DEP_1) | instskip(NEXT) | instid1(VALU_DEP_1)
	v_fma_f64 v[225:226], -v[225:226], v[229:230], v[231:232]
	v_div_fmas_f64 v[225:226], v[225:226], v[227:228], v[229:230]
	s_delay_alu instid0(VALU_DEP_1) | instskip(NEXT) | instid1(VALU_DEP_1)
	v_div_fixup_f64 v[225:226], v[225:226], v[208:209], v[210:211]
	v_fma_f64 v[208:209], v[210:211], v[225:226], v[208:209]
	s_delay_alu instid0(VALU_DEP_1) | instskip(NEXT) | instid1(VALU_DEP_1)
	v_div_scale_f64 v[210:211], null, v[208:209], v[208:209], 1.0
	v_rcp_f64_e32 v[227:228], v[210:211]
	s_waitcnt_depctr 0xfff
	v_fma_f64 v[229:230], -v[210:211], v[227:228], 1.0
	s_delay_alu instid0(VALU_DEP_1) | instskip(NEXT) | instid1(VALU_DEP_1)
	v_fma_f64 v[227:228], v[227:228], v[229:230], v[227:228]
	v_fma_f64 v[229:230], -v[210:211], v[227:228], 1.0
	s_delay_alu instid0(VALU_DEP_1) | instskip(SKIP_1) | instid1(VALU_DEP_1)
	v_fma_f64 v[227:228], v[227:228], v[229:230], v[227:228]
	v_div_scale_f64 v[229:230], vcc_lo, 1.0, v[208:209], 1.0
	v_mul_f64 v[231:232], v[229:230], v[227:228]
	s_delay_alu instid0(VALU_DEP_1) | instskip(NEXT) | instid1(VALU_DEP_1)
	v_fma_f64 v[210:211], -v[210:211], v[231:232], v[229:230]
	v_div_fmas_f64 v[210:211], v[210:211], v[227:228], v[231:232]
	s_delay_alu instid0(VALU_DEP_1) | instskip(NEXT) | instid1(VALU_DEP_1)
	v_div_fixup_f64 v[208:209], v[210:211], v[208:209], 1.0
	v_mul_f64 v[210:211], v[225:226], -v[208:209]
.LBB102_261:
	s_or_b32 exec_lo, exec_lo, s2
.LBB102_262:
	s_delay_alu instid0(SALU_CYCLE_1) | instskip(NEXT) | instid1(SALU_CYCLE_1)
	s_or_b32 exec_lo, exec_lo, s3
	s_mov_b32 s2, exec_lo
	v_cmpx_ne_u32_e64 v224, v216
	s_xor_b32 s2, exec_lo, s2
	s_cbranch_execz .LBB102_268
; %bb.263:
	s_mov_b32 s3, exec_lo
	v_cmpx_eq_u32_e32 12, v224
	s_cbranch_execz .LBB102_267
; %bb.264:
	v_cmp_ne_u32_e32 vcc_lo, 12, v216
	s_xor_b32 s6, s4, -1
	s_delay_alu instid0(SALU_CYCLE_1) | instskip(NEXT) | instid1(SALU_CYCLE_1)
	s_and_b32 s7, s6, vcc_lo
	s_and_saveexec_b32 s6, s7
	s_cbranch_execz .LBB102_266
; %bb.265:
	v_ashrrev_i32_e32 v217, 31, v216
	s_delay_alu instid0(VALU_DEP_1) | instskip(NEXT) | instid1(VALU_DEP_1)
	v_lshlrev_b64 v[223:224], 2, v[216:217]
	v_add_co_u32 v223, vcc_lo, v214, v223
	s_delay_alu instid0(VALU_DEP_2)
	v_add_co_ci_u32_e32 v224, vcc_lo, v215, v224, vcc_lo
	s_clause 0x1
	flat_load_b32 v217, v[223:224]
	flat_load_b32 v225, v[214:215] offset:48
	s_waitcnt vmcnt(1) lgkmcnt(1)
	flat_store_b32 v[214:215], v217 offset:48
	s_waitcnt vmcnt(0) lgkmcnt(1)
	flat_store_b32 v[223:224], v225
.LBB102_266:
	s_or_b32 exec_lo, exec_lo, s6
	v_mov_b32_e32 v224, v216
	v_mov_b32_e32 v223, v216
.LBB102_267:
	s_or_b32 exec_lo, exec_lo, s3
.LBB102_268:
	s_and_not1_saveexec_b32 s2, s2
	s_cbranch_execz .LBB102_270
; %bb.269:
	v_mov_b32_e32 v224, 12
	ds_store_2addr_b64 v218, v[152:153], v[154:155] offset0:26 offset1:27
	ds_store_2addr_b64 v218, v[148:149], v[150:151] offset0:28 offset1:29
	;; [unrolled: 1-line block ×39, first 2 shown]
.LBB102_270:
	s_or_b32 exec_lo, exec_lo, s2
	s_delay_alu instid0(SALU_CYCLE_1)
	s_mov_b32 s2, exec_lo
	s_waitcnt lgkmcnt(0)
	s_waitcnt_vscnt null, 0x0
	s_barrier
	buffer_gl0_inv
	v_cmpx_lt_i32_e32 12, v224
	s_cbranch_execz .LBB102_272
; %bb.271:
	v_mul_f64 v[216:217], v[210:211], v[158:159]
	v_mul_f64 v[158:159], v[208:209], v[158:159]
	s_delay_alu instid0(VALU_DEP_2) | instskip(NEXT) | instid1(VALU_DEP_2)
	v_fma_f64 v[216:217], v[208:209], v[156:157], -v[216:217]
	v_fma_f64 v[158:159], v[210:211], v[156:157], v[158:159]
	ds_load_2addr_b64 v[208:211], v218 offset0:26 offset1:27
	s_waitcnt lgkmcnt(0)
	v_mul_f64 v[156:157], v[210:211], v[158:159]
	s_delay_alu instid0(VALU_DEP_1) | instskip(SKIP_1) | instid1(VALU_DEP_2)
	v_fma_f64 v[156:157], v[208:209], v[216:217], -v[156:157]
	v_mul_f64 v[208:209], v[208:209], v[158:159]
	v_add_f64 v[152:153], v[152:153], -v[156:157]
	s_delay_alu instid0(VALU_DEP_2) | instskip(NEXT) | instid1(VALU_DEP_1)
	v_fma_f64 v[208:209], v[210:211], v[216:217], v[208:209]
	v_add_f64 v[154:155], v[154:155], -v[208:209]
	ds_load_2addr_b64 v[208:211], v218 offset0:28 offset1:29
	s_waitcnt lgkmcnt(0)
	v_mul_f64 v[156:157], v[210:211], v[158:159]
	s_delay_alu instid0(VALU_DEP_1) | instskip(SKIP_1) | instid1(VALU_DEP_2)
	v_fma_f64 v[156:157], v[208:209], v[216:217], -v[156:157]
	v_mul_f64 v[208:209], v[208:209], v[158:159]
	v_add_f64 v[148:149], v[148:149], -v[156:157]
	s_delay_alu instid0(VALU_DEP_2) | instskip(NEXT) | instid1(VALU_DEP_1)
	v_fma_f64 v[208:209], v[210:211], v[216:217], v[208:209]
	v_add_f64 v[150:151], v[150:151], -v[208:209]
	;; [unrolled: 10-line block ×38, first 2 shown]
	ds_load_2addr_b64 v[208:211], v218 offset0:102 offset1:103
	s_waitcnt lgkmcnt(0)
	v_mul_f64 v[156:157], v[210:211], v[158:159]
	s_delay_alu instid0(VALU_DEP_1) | instskip(SKIP_1) | instid1(VALU_DEP_2)
	v_fma_f64 v[156:157], v[208:209], v[216:217], -v[156:157]
	v_mul_f64 v[208:209], v[208:209], v[158:159]
	v_add_f64 v[0:1], v[0:1], -v[156:157]
	s_delay_alu instid0(VALU_DEP_2) | instskip(SKIP_1) | instid1(VALU_DEP_2)
	v_fma_f64 v[208:209], v[210:211], v[216:217], v[208:209]
	v_dual_mov_b32 v156, v216 :: v_dual_mov_b32 v157, v217
	v_add_f64 v[2:3], v[2:3], -v[208:209]
.LBB102_272:
	s_or_b32 exec_lo, exec_lo, s2
	v_lshl_add_u32 v208, v224, 4, v218
	s_barrier
	buffer_gl0_inv
	v_mov_b32_e32 v216, 13
	ds_store_2addr_b64 v208, v[152:153], v[154:155] offset1:1
	s_waitcnt lgkmcnt(0)
	s_barrier
	buffer_gl0_inv
	ds_load_2addr_b64 v[208:211], v218 offset0:26 offset1:27
	s_cmp_lt_i32 s5, 15
	s_cbranch_scc1 .LBB102_275
; %bb.273:
	v_add3_u32 v217, v222, 0, 0xe0
	v_mov_b32_e32 v216, 13
	s_mov_b32 s6, 14
	s_set_inst_prefetch_distance 0x1
	.p2align	6
.LBB102_274:                            ; =>This Inner Loop Header: Depth=1
	ds_load_2addr_b64 v[225:228], v217 offset1:1
	s_waitcnt lgkmcnt(1)
	v_cmp_gt_f64_e32 vcc_lo, 0, v[208:209]
	v_xor_b32_e32 v229, 0x80000000, v209
	v_cmp_gt_f64_e64 s2, 0, v[210:211]
	v_xor_b32_e32 v231, 0x80000000, v211
	v_add_nc_u32_e32 v217, 16, v217
	s_waitcnt lgkmcnt(0)
	v_cmp_gt_f64_e64 s3, 0, v[225:226]
	v_mov_b32_e32 v233, v225
	v_dual_mov_b32 v235, v227 :: v_dual_cndmask_b32 v230, v209, v229
	v_xor_b32_e32 v229, 0x80000000, v226
	v_cndmask_b32_e64 v232, v211, v231, s2
	v_xor_b32_e32 v231, 0x80000000, v228
	s_delay_alu instid0(VALU_DEP_3) | instskip(SKIP_2) | instid1(VALU_DEP_2)
	v_cndmask_b32_e64 v234, v226, v229, s3
	v_cmp_gt_f64_e64 s3, 0, v[227:228]
	v_cndmask_b32_e32 v229, v208, v208, vcc_lo
	v_cndmask_b32_e64 v236, v228, v231, s3
	v_cndmask_b32_e64 v231, v210, v210, s2
	s_delay_alu instid0(VALU_DEP_2) | instskip(NEXT) | instid1(VALU_DEP_2)
	v_add_f64 v[233:234], v[233:234], v[235:236]
	v_add_f64 v[229:230], v[229:230], v[231:232]
	s_delay_alu instid0(VALU_DEP_1) | instskip(SKIP_4) | instid1(SALU_CYCLE_1)
	v_cmp_lt_f64_e32 vcc_lo, v[229:230], v[233:234]
	v_dual_cndmask_b32 v210, v210, v227 :: v_dual_cndmask_b32 v209, v209, v226
	v_dual_cndmask_b32 v208, v208, v225 :: v_dual_cndmask_b32 v211, v211, v228
	v_cndmask_b32_e64 v216, v216, s6, vcc_lo
	s_add_i32 s6, s6, 1
	s_cmp_lg_u32 s5, s6
	s_cbranch_scc1 .LBB102_274
.LBB102_275:
	s_set_inst_prefetch_distance 0x2
	s_waitcnt lgkmcnt(0)
	v_cmp_eq_f64_e32 vcc_lo, 0, v[208:209]
	v_cmp_eq_f64_e64 s2, 0, v[210:211]
	s_delay_alu instid0(VALU_DEP_1) | instskip(NEXT) | instid1(SALU_CYCLE_1)
	s_and_b32 s2, vcc_lo, s2
	s_and_saveexec_b32 s3, s2
	s_delay_alu instid0(SALU_CYCLE_1)
	s_xor_b32 s2, exec_lo, s3
; %bb.276:
	v_cmp_ne_u32_e32 vcc_lo, 0, v221
	v_cndmask_b32_e32 v221, 14, v221, vcc_lo
; %bb.277:
	s_and_not1_saveexec_b32 s3, s2
	s_cbranch_execz .LBB102_283
; %bb.278:
	v_cmp_gt_f64_e32 vcc_lo, 0, v[208:209]
	v_cmp_gt_f64_e64 s2, 0, v[210:211]
	v_xor_b32_e32 v217, 0x80000000, v209
	v_xor_b32_e32 v225, 0x80000000, v211
	s_delay_alu instid0(VALU_DEP_2) | instskip(NEXT) | instid1(VALU_DEP_2)
	v_cndmask_b32_e32 v226, v209, v217, vcc_lo
	v_cndmask_b32_e64 v228, v211, v225, s2
	v_cndmask_b32_e32 v225, v208, v208, vcc_lo
	v_cndmask_b32_e64 v227, v210, v210, s2
	s_mov_b32 s2, exec_lo
	s_delay_alu instid0(VALU_DEP_1)
	v_cmpx_ngt_f64_e32 v[225:226], v[227:228]
	s_xor_b32 s2, exec_lo, s2
	s_cbranch_execz .LBB102_280
; %bb.279:
	v_div_scale_f64 v[225:226], null, v[210:211], v[210:211], v[208:209]
	v_div_scale_f64 v[231:232], vcc_lo, v[208:209], v[210:211], v[208:209]
	s_delay_alu instid0(VALU_DEP_2) | instskip(SKIP_2) | instid1(VALU_DEP_1)
	v_rcp_f64_e32 v[227:228], v[225:226]
	s_waitcnt_depctr 0xfff
	v_fma_f64 v[229:230], -v[225:226], v[227:228], 1.0
	v_fma_f64 v[227:228], v[227:228], v[229:230], v[227:228]
	s_delay_alu instid0(VALU_DEP_1) | instskip(NEXT) | instid1(VALU_DEP_1)
	v_fma_f64 v[229:230], -v[225:226], v[227:228], 1.0
	v_fma_f64 v[227:228], v[227:228], v[229:230], v[227:228]
	s_delay_alu instid0(VALU_DEP_1) | instskip(NEXT) | instid1(VALU_DEP_1)
	v_mul_f64 v[229:230], v[231:232], v[227:228]
	v_fma_f64 v[225:226], -v[225:226], v[229:230], v[231:232]
	s_delay_alu instid0(VALU_DEP_1) | instskip(NEXT) | instid1(VALU_DEP_1)
	v_div_fmas_f64 v[225:226], v[225:226], v[227:228], v[229:230]
	v_div_fixup_f64 v[225:226], v[225:226], v[210:211], v[208:209]
	s_delay_alu instid0(VALU_DEP_1) | instskip(NEXT) | instid1(VALU_DEP_1)
	v_fma_f64 v[208:209], v[208:209], v[225:226], v[210:211]
	v_div_scale_f64 v[210:211], null, v[208:209], v[208:209], 1.0
	s_delay_alu instid0(VALU_DEP_1) | instskip(SKIP_2) | instid1(VALU_DEP_1)
	v_rcp_f64_e32 v[227:228], v[210:211]
	s_waitcnt_depctr 0xfff
	v_fma_f64 v[229:230], -v[210:211], v[227:228], 1.0
	v_fma_f64 v[227:228], v[227:228], v[229:230], v[227:228]
	s_delay_alu instid0(VALU_DEP_1) | instskip(NEXT) | instid1(VALU_DEP_1)
	v_fma_f64 v[229:230], -v[210:211], v[227:228], 1.0
	v_fma_f64 v[227:228], v[227:228], v[229:230], v[227:228]
	v_div_scale_f64 v[229:230], vcc_lo, 1.0, v[208:209], 1.0
	s_delay_alu instid0(VALU_DEP_1) | instskip(NEXT) | instid1(VALU_DEP_1)
	v_mul_f64 v[231:232], v[229:230], v[227:228]
	v_fma_f64 v[210:211], -v[210:211], v[231:232], v[229:230]
	s_delay_alu instid0(VALU_DEP_1) | instskip(NEXT) | instid1(VALU_DEP_1)
	v_div_fmas_f64 v[210:211], v[210:211], v[227:228], v[231:232]
	v_div_fixup_f64 v[210:211], v[210:211], v[208:209], 1.0
	s_delay_alu instid0(VALU_DEP_1)
	v_mul_f64 v[208:209], v[225:226], v[210:211]
	v_xor_b32_e32 v211, 0x80000000, v211
.LBB102_280:
	s_and_not1_saveexec_b32 s2, s2
	s_cbranch_execz .LBB102_282
; %bb.281:
	s_delay_alu instid0(VALU_DEP_1) | instskip(SKIP_1) | instid1(VALU_DEP_2)
	v_div_scale_f64 v[225:226], null, v[208:209], v[208:209], v[210:211]
	v_div_scale_f64 v[231:232], vcc_lo, v[210:211], v[208:209], v[210:211]
	v_rcp_f64_e32 v[227:228], v[225:226]
	s_waitcnt_depctr 0xfff
	v_fma_f64 v[229:230], -v[225:226], v[227:228], 1.0
	s_delay_alu instid0(VALU_DEP_1) | instskip(NEXT) | instid1(VALU_DEP_1)
	v_fma_f64 v[227:228], v[227:228], v[229:230], v[227:228]
	v_fma_f64 v[229:230], -v[225:226], v[227:228], 1.0
	s_delay_alu instid0(VALU_DEP_1) | instskip(NEXT) | instid1(VALU_DEP_1)
	v_fma_f64 v[227:228], v[227:228], v[229:230], v[227:228]
	v_mul_f64 v[229:230], v[231:232], v[227:228]
	s_delay_alu instid0(VALU_DEP_1) | instskip(NEXT) | instid1(VALU_DEP_1)
	v_fma_f64 v[225:226], -v[225:226], v[229:230], v[231:232]
	v_div_fmas_f64 v[225:226], v[225:226], v[227:228], v[229:230]
	s_delay_alu instid0(VALU_DEP_1) | instskip(NEXT) | instid1(VALU_DEP_1)
	v_div_fixup_f64 v[225:226], v[225:226], v[208:209], v[210:211]
	v_fma_f64 v[208:209], v[210:211], v[225:226], v[208:209]
	s_delay_alu instid0(VALU_DEP_1) | instskip(NEXT) | instid1(VALU_DEP_1)
	v_div_scale_f64 v[210:211], null, v[208:209], v[208:209], 1.0
	v_rcp_f64_e32 v[227:228], v[210:211]
	s_waitcnt_depctr 0xfff
	v_fma_f64 v[229:230], -v[210:211], v[227:228], 1.0
	s_delay_alu instid0(VALU_DEP_1) | instskip(NEXT) | instid1(VALU_DEP_1)
	v_fma_f64 v[227:228], v[227:228], v[229:230], v[227:228]
	v_fma_f64 v[229:230], -v[210:211], v[227:228], 1.0
	s_delay_alu instid0(VALU_DEP_1) | instskip(SKIP_1) | instid1(VALU_DEP_1)
	v_fma_f64 v[227:228], v[227:228], v[229:230], v[227:228]
	v_div_scale_f64 v[229:230], vcc_lo, 1.0, v[208:209], 1.0
	v_mul_f64 v[231:232], v[229:230], v[227:228]
	s_delay_alu instid0(VALU_DEP_1) | instskip(NEXT) | instid1(VALU_DEP_1)
	v_fma_f64 v[210:211], -v[210:211], v[231:232], v[229:230]
	v_div_fmas_f64 v[210:211], v[210:211], v[227:228], v[231:232]
	s_delay_alu instid0(VALU_DEP_1) | instskip(NEXT) | instid1(VALU_DEP_1)
	v_div_fixup_f64 v[208:209], v[210:211], v[208:209], 1.0
	v_mul_f64 v[210:211], v[225:226], -v[208:209]
.LBB102_282:
	s_or_b32 exec_lo, exec_lo, s2
.LBB102_283:
	s_delay_alu instid0(SALU_CYCLE_1) | instskip(NEXT) | instid1(SALU_CYCLE_1)
	s_or_b32 exec_lo, exec_lo, s3
	s_mov_b32 s2, exec_lo
	v_cmpx_ne_u32_e64 v224, v216
	s_xor_b32 s2, exec_lo, s2
	s_cbranch_execz .LBB102_289
; %bb.284:
	s_mov_b32 s3, exec_lo
	v_cmpx_eq_u32_e32 13, v224
	s_cbranch_execz .LBB102_288
; %bb.285:
	v_cmp_ne_u32_e32 vcc_lo, 13, v216
	s_xor_b32 s6, s4, -1
	s_delay_alu instid0(SALU_CYCLE_1) | instskip(NEXT) | instid1(SALU_CYCLE_1)
	s_and_b32 s7, s6, vcc_lo
	s_and_saveexec_b32 s6, s7
	s_cbranch_execz .LBB102_287
; %bb.286:
	v_ashrrev_i32_e32 v217, 31, v216
	s_delay_alu instid0(VALU_DEP_1) | instskip(NEXT) | instid1(VALU_DEP_1)
	v_lshlrev_b64 v[223:224], 2, v[216:217]
	v_add_co_u32 v223, vcc_lo, v214, v223
	s_delay_alu instid0(VALU_DEP_2)
	v_add_co_ci_u32_e32 v224, vcc_lo, v215, v224, vcc_lo
	s_clause 0x1
	flat_load_b32 v217, v[223:224]
	flat_load_b32 v225, v[214:215] offset:52
	s_waitcnt vmcnt(1) lgkmcnt(1)
	flat_store_b32 v[214:215], v217 offset:52
	s_waitcnt vmcnt(0) lgkmcnt(1)
	flat_store_b32 v[223:224], v225
.LBB102_287:
	s_or_b32 exec_lo, exec_lo, s6
	v_mov_b32_e32 v224, v216
	v_mov_b32_e32 v223, v216
.LBB102_288:
	s_or_b32 exec_lo, exec_lo, s3
.LBB102_289:
	s_and_not1_saveexec_b32 s2, s2
	s_cbranch_execz .LBB102_291
; %bb.290:
	v_mov_b32_e32 v224, 13
	ds_store_2addr_b64 v218, v[148:149], v[150:151] offset0:28 offset1:29
	ds_store_2addr_b64 v218, v[144:145], v[146:147] offset0:30 offset1:31
	;; [unrolled: 1-line block ×38, first 2 shown]
.LBB102_291:
	s_or_b32 exec_lo, exec_lo, s2
	s_delay_alu instid0(SALU_CYCLE_1)
	s_mov_b32 s2, exec_lo
	s_waitcnt lgkmcnt(0)
	s_waitcnt_vscnt null, 0x0
	s_barrier
	buffer_gl0_inv
	v_cmpx_lt_i32_e32 13, v224
	s_cbranch_execz .LBB102_293
; %bb.292:
	v_mul_f64 v[216:217], v[210:211], v[154:155]
	v_mul_f64 v[154:155], v[208:209], v[154:155]
	s_delay_alu instid0(VALU_DEP_2) | instskip(NEXT) | instid1(VALU_DEP_2)
	v_fma_f64 v[216:217], v[208:209], v[152:153], -v[216:217]
	v_fma_f64 v[154:155], v[210:211], v[152:153], v[154:155]
	ds_load_2addr_b64 v[208:211], v218 offset0:28 offset1:29
	s_waitcnt lgkmcnt(0)
	v_mul_f64 v[152:153], v[210:211], v[154:155]
	s_delay_alu instid0(VALU_DEP_1) | instskip(SKIP_1) | instid1(VALU_DEP_2)
	v_fma_f64 v[152:153], v[208:209], v[216:217], -v[152:153]
	v_mul_f64 v[208:209], v[208:209], v[154:155]
	v_add_f64 v[148:149], v[148:149], -v[152:153]
	s_delay_alu instid0(VALU_DEP_2) | instskip(NEXT) | instid1(VALU_DEP_1)
	v_fma_f64 v[208:209], v[210:211], v[216:217], v[208:209]
	v_add_f64 v[150:151], v[150:151], -v[208:209]
	ds_load_2addr_b64 v[208:211], v218 offset0:30 offset1:31
	s_waitcnt lgkmcnt(0)
	v_mul_f64 v[152:153], v[210:211], v[154:155]
	s_delay_alu instid0(VALU_DEP_1) | instskip(SKIP_1) | instid1(VALU_DEP_2)
	v_fma_f64 v[152:153], v[208:209], v[216:217], -v[152:153]
	v_mul_f64 v[208:209], v[208:209], v[154:155]
	v_add_f64 v[144:145], v[144:145], -v[152:153]
	s_delay_alu instid0(VALU_DEP_2) | instskip(NEXT) | instid1(VALU_DEP_1)
	v_fma_f64 v[208:209], v[210:211], v[216:217], v[208:209]
	v_add_f64 v[146:147], v[146:147], -v[208:209]
	;; [unrolled: 10-line block ×37, first 2 shown]
	ds_load_2addr_b64 v[208:211], v218 offset0:102 offset1:103
	s_waitcnt lgkmcnt(0)
	v_mul_f64 v[152:153], v[210:211], v[154:155]
	s_delay_alu instid0(VALU_DEP_1) | instskip(SKIP_1) | instid1(VALU_DEP_2)
	v_fma_f64 v[152:153], v[208:209], v[216:217], -v[152:153]
	v_mul_f64 v[208:209], v[208:209], v[154:155]
	v_add_f64 v[0:1], v[0:1], -v[152:153]
	s_delay_alu instid0(VALU_DEP_2) | instskip(SKIP_1) | instid1(VALU_DEP_2)
	v_fma_f64 v[208:209], v[210:211], v[216:217], v[208:209]
	v_dual_mov_b32 v152, v216 :: v_dual_mov_b32 v153, v217
	v_add_f64 v[2:3], v[2:3], -v[208:209]
.LBB102_293:
	s_or_b32 exec_lo, exec_lo, s2
	v_lshl_add_u32 v208, v224, 4, v218
	s_barrier
	buffer_gl0_inv
	v_mov_b32_e32 v216, 14
	ds_store_2addr_b64 v208, v[148:149], v[150:151] offset1:1
	s_waitcnt lgkmcnt(0)
	s_barrier
	buffer_gl0_inv
	ds_load_2addr_b64 v[208:211], v218 offset0:28 offset1:29
	s_cmp_lt_i32 s5, 16
	s_cbranch_scc1 .LBB102_296
; %bb.294:
	v_add3_u32 v217, v222, 0, 0xf0
	v_mov_b32_e32 v216, 14
	s_mov_b32 s6, 15
	s_set_inst_prefetch_distance 0x1
	.p2align	6
.LBB102_295:                            ; =>This Inner Loop Header: Depth=1
	ds_load_2addr_b64 v[225:228], v217 offset1:1
	s_waitcnt lgkmcnt(1)
	v_cmp_gt_f64_e32 vcc_lo, 0, v[208:209]
	v_xor_b32_e32 v229, 0x80000000, v209
	v_cmp_gt_f64_e64 s2, 0, v[210:211]
	v_xor_b32_e32 v231, 0x80000000, v211
	v_add_nc_u32_e32 v217, 16, v217
	s_waitcnt lgkmcnt(0)
	v_cmp_gt_f64_e64 s3, 0, v[225:226]
	v_mov_b32_e32 v233, v225
	v_dual_mov_b32 v235, v227 :: v_dual_cndmask_b32 v230, v209, v229
	v_xor_b32_e32 v229, 0x80000000, v226
	v_cndmask_b32_e64 v232, v211, v231, s2
	v_xor_b32_e32 v231, 0x80000000, v228
	s_delay_alu instid0(VALU_DEP_3) | instskip(SKIP_2) | instid1(VALU_DEP_2)
	v_cndmask_b32_e64 v234, v226, v229, s3
	v_cmp_gt_f64_e64 s3, 0, v[227:228]
	v_cndmask_b32_e32 v229, v208, v208, vcc_lo
	v_cndmask_b32_e64 v236, v228, v231, s3
	v_cndmask_b32_e64 v231, v210, v210, s2
	s_delay_alu instid0(VALU_DEP_2) | instskip(NEXT) | instid1(VALU_DEP_2)
	v_add_f64 v[233:234], v[233:234], v[235:236]
	v_add_f64 v[229:230], v[229:230], v[231:232]
	s_delay_alu instid0(VALU_DEP_1) | instskip(SKIP_4) | instid1(SALU_CYCLE_1)
	v_cmp_lt_f64_e32 vcc_lo, v[229:230], v[233:234]
	v_dual_cndmask_b32 v210, v210, v227 :: v_dual_cndmask_b32 v209, v209, v226
	v_dual_cndmask_b32 v208, v208, v225 :: v_dual_cndmask_b32 v211, v211, v228
	v_cndmask_b32_e64 v216, v216, s6, vcc_lo
	s_add_i32 s6, s6, 1
	s_cmp_lg_u32 s5, s6
	s_cbranch_scc1 .LBB102_295
.LBB102_296:
	s_set_inst_prefetch_distance 0x2
	s_waitcnt lgkmcnt(0)
	v_cmp_eq_f64_e32 vcc_lo, 0, v[208:209]
	v_cmp_eq_f64_e64 s2, 0, v[210:211]
	s_delay_alu instid0(VALU_DEP_1) | instskip(NEXT) | instid1(SALU_CYCLE_1)
	s_and_b32 s2, vcc_lo, s2
	s_and_saveexec_b32 s3, s2
	s_delay_alu instid0(SALU_CYCLE_1)
	s_xor_b32 s2, exec_lo, s3
; %bb.297:
	v_cmp_ne_u32_e32 vcc_lo, 0, v221
	v_cndmask_b32_e32 v221, 15, v221, vcc_lo
; %bb.298:
	s_and_not1_saveexec_b32 s3, s2
	s_cbranch_execz .LBB102_304
; %bb.299:
	v_cmp_gt_f64_e32 vcc_lo, 0, v[208:209]
	v_cmp_gt_f64_e64 s2, 0, v[210:211]
	v_xor_b32_e32 v217, 0x80000000, v209
	v_xor_b32_e32 v225, 0x80000000, v211
	s_delay_alu instid0(VALU_DEP_2) | instskip(NEXT) | instid1(VALU_DEP_2)
	v_cndmask_b32_e32 v226, v209, v217, vcc_lo
	v_cndmask_b32_e64 v228, v211, v225, s2
	v_cndmask_b32_e32 v225, v208, v208, vcc_lo
	v_cndmask_b32_e64 v227, v210, v210, s2
	s_mov_b32 s2, exec_lo
	s_delay_alu instid0(VALU_DEP_1)
	v_cmpx_ngt_f64_e32 v[225:226], v[227:228]
	s_xor_b32 s2, exec_lo, s2
	s_cbranch_execz .LBB102_301
; %bb.300:
	v_div_scale_f64 v[225:226], null, v[210:211], v[210:211], v[208:209]
	v_div_scale_f64 v[231:232], vcc_lo, v[208:209], v[210:211], v[208:209]
	s_delay_alu instid0(VALU_DEP_2) | instskip(SKIP_2) | instid1(VALU_DEP_1)
	v_rcp_f64_e32 v[227:228], v[225:226]
	s_waitcnt_depctr 0xfff
	v_fma_f64 v[229:230], -v[225:226], v[227:228], 1.0
	v_fma_f64 v[227:228], v[227:228], v[229:230], v[227:228]
	s_delay_alu instid0(VALU_DEP_1) | instskip(NEXT) | instid1(VALU_DEP_1)
	v_fma_f64 v[229:230], -v[225:226], v[227:228], 1.0
	v_fma_f64 v[227:228], v[227:228], v[229:230], v[227:228]
	s_delay_alu instid0(VALU_DEP_1) | instskip(NEXT) | instid1(VALU_DEP_1)
	v_mul_f64 v[229:230], v[231:232], v[227:228]
	v_fma_f64 v[225:226], -v[225:226], v[229:230], v[231:232]
	s_delay_alu instid0(VALU_DEP_1) | instskip(NEXT) | instid1(VALU_DEP_1)
	v_div_fmas_f64 v[225:226], v[225:226], v[227:228], v[229:230]
	v_div_fixup_f64 v[225:226], v[225:226], v[210:211], v[208:209]
	s_delay_alu instid0(VALU_DEP_1) | instskip(NEXT) | instid1(VALU_DEP_1)
	v_fma_f64 v[208:209], v[208:209], v[225:226], v[210:211]
	v_div_scale_f64 v[210:211], null, v[208:209], v[208:209], 1.0
	s_delay_alu instid0(VALU_DEP_1) | instskip(SKIP_2) | instid1(VALU_DEP_1)
	v_rcp_f64_e32 v[227:228], v[210:211]
	s_waitcnt_depctr 0xfff
	v_fma_f64 v[229:230], -v[210:211], v[227:228], 1.0
	v_fma_f64 v[227:228], v[227:228], v[229:230], v[227:228]
	s_delay_alu instid0(VALU_DEP_1) | instskip(NEXT) | instid1(VALU_DEP_1)
	v_fma_f64 v[229:230], -v[210:211], v[227:228], 1.0
	v_fma_f64 v[227:228], v[227:228], v[229:230], v[227:228]
	v_div_scale_f64 v[229:230], vcc_lo, 1.0, v[208:209], 1.0
	s_delay_alu instid0(VALU_DEP_1) | instskip(NEXT) | instid1(VALU_DEP_1)
	v_mul_f64 v[231:232], v[229:230], v[227:228]
	v_fma_f64 v[210:211], -v[210:211], v[231:232], v[229:230]
	s_delay_alu instid0(VALU_DEP_1) | instskip(NEXT) | instid1(VALU_DEP_1)
	v_div_fmas_f64 v[210:211], v[210:211], v[227:228], v[231:232]
	v_div_fixup_f64 v[210:211], v[210:211], v[208:209], 1.0
	s_delay_alu instid0(VALU_DEP_1)
	v_mul_f64 v[208:209], v[225:226], v[210:211]
	v_xor_b32_e32 v211, 0x80000000, v211
.LBB102_301:
	s_and_not1_saveexec_b32 s2, s2
	s_cbranch_execz .LBB102_303
; %bb.302:
	s_delay_alu instid0(VALU_DEP_1) | instskip(SKIP_1) | instid1(VALU_DEP_2)
	v_div_scale_f64 v[225:226], null, v[208:209], v[208:209], v[210:211]
	v_div_scale_f64 v[231:232], vcc_lo, v[210:211], v[208:209], v[210:211]
	v_rcp_f64_e32 v[227:228], v[225:226]
	s_waitcnt_depctr 0xfff
	v_fma_f64 v[229:230], -v[225:226], v[227:228], 1.0
	s_delay_alu instid0(VALU_DEP_1) | instskip(NEXT) | instid1(VALU_DEP_1)
	v_fma_f64 v[227:228], v[227:228], v[229:230], v[227:228]
	v_fma_f64 v[229:230], -v[225:226], v[227:228], 1.0
	s_delay_alu instid0(VALU_DEP_1) | instskip(NEXT) | instid1(VALU_DEP_1)
	v_fma_f64 v[227:228], v[227:228], v[229:230], v[227:228]
	v_mul_f64 v[229:230], v[231:232], v[227:228]
	s_delay_alu instid0(VALU_DEP_1) | instskip(NEXT) | instid1(VALU_DEP_1)
	v_fma_f64 v[225:226], -v[225:226], v[229:230], v[231:232]
	v_div_fmas_f64 v[225:226], v[225:226], v[227:228], v[229:230]
	s_delay_alu instid0(VALU_DEP_1) | instskip(NEXT) | instid1(VALU_DEP_1)
	v_div_fixup_f64 v[225:226], v[225:226], v[208:209], v[210:211]
	v_fma_f64 v[208:209], v[210:211], v[225:226], v[208:209]
	s_delay_alu instid0(VALU_DEP_1) | instskip(NEXT) | instid1(VALU_DEP_1)
	v_div_scale_f64 v[210:211], null, v[208:209], v[208:209], 1.0
	v_rcp_f64_e32 v[227:228], v[210:211]
	s_waitcnt_depctr 0xfff
	v_fma_f64 v[229:230], -v[210:211], v[227:228], 1.0
	s_delay_alu instid0(VALU_DEP_1) | instskip(NEXT) | instid1(VALU_DEP_1)
	v_fma_f64 v[227:228], v[227:228], v[229:230], v[227:228]
	v_fma_f64 v[229:230], -v[210:211], v[227:228], 1.0
	s_delay_alu instid0(VALU_DEP_1) | instskip(SKIP_1) | instid1(VALU_DEP_1)
	v_fma_f64 v[227:228], v[227:228], v[229:230], v[227:228]
	v_div_scale_f64 v[229:230], vcc_lo, 1.0, v[208:209], 1.0
	v_mul_f64 v[231:232], v[229:230], v[227:228]
	s_delay_alu instid0(VALU_DEP_1) | instskip(NEXT) | instid1(VALU_DEP_1)
	v_fma_f64 v[210:211], -v[210:211], v[231:232], v[229:230]
	v_div_fmas_f64 v[210:211], v[210:211], v[227:228], v[231:232]
	s_delay_alu instid0(VALU_DEP_1) | instskip(NEXT) | instid1(VALU_DEP_1)
	v_div_fixup_f64 v[208:209], v[210:211], v[208:209], 1.0
	v_mul_f64 v[210:211], v[225:226], -v[208:209]
.LBB102_303:
	s_or_b32 exec_lo, exec_lo, s2
.LBB102_304:
	s_delay_alu instid0(SALU_CYCLE_1) | instskip(NEXT) | instid1(SALU_CYCLE_1)
	s_or_b32 exec_lo, exec_lo, s3
	s_mov_b32 s2, exec_lo
	v_cmpx_ne_u32_e64 v224, v216
	s_xor_b32 s2, exec_lo, s2
	s_cbranch_execz .LBB102_310
; %bb.305:
	s_mov_b32 s3, exec_lo
	v_cmpx_eq_u32_e32 14, v224
	s_cbranch_execz .LBB102_309
; %bb.306:
	v_cmp_ne_u32_e32 vcc_lo, 14, v216
	s_xor_b32 s6, s4, -1
	s_delay_alu instid0(SALU_CYCLE_1) | instskip(NEXT) | instid1(SALU_CYCLE_1)
	s_and_b32 s7, s6, vcc_lo
	s_and_saveexec_b32 s6, s7
	s_cbranch_execz .LBB102_308
; %bb.307:
	v_ashrrev_i32_e32 v217, 31, v216
	s_delay_alu instid0(VALU_DEP_1) | instskip(NEXT) | instid1(VALU_DEP_1)
	v_lshlrev_b64 v[223:224], 2, v[216:217]
	v_add_co_u32 v223, vcc_lo, v214, v223
	s_delay_alu instid0(VALU_DEP_2)
	v_add_co_ci_u32_e32 v224, vcc_lo, v215, v224, vcc_lo
	s_clause 0x1
	flat_load_b32 v217, v[223:224]
	flat_load_b32 v225, v[214:215] offset:56
	s_waitcnt vmcnt(1) lgkmcnt(1)
	flat_store_b32 v[214:215], v217 offset:56
	s_waitcnt vmcnt(0) lgkmcnt(1)
	flat_store_b32 v[223:224], v225
.LBB102_308:
	s_or_b32 exec_lo, exec_lo, s6
	v_mov_b32_e32 v224, v216
	v_mov_b32_e32 v223, v216
.LBB102_309:
	s_or_b32 exec_lo, exec_lo, s3
.LBB102_310:
	s_and_not1_saveexec_b32 s2, s2
	s_cbranch_execz .LBB102_312
; %bb.311:
	v_mov_b32_e32 v224, 14
	ds_store_2addr_b64 v218, v[144:145], v[146:147] offset0:30 offset1:31
	ds_store_2addr_b64 v218, v[140:141], v[142:143] offset0:32 offset1:33
	;; [unrolled: 1-line block ×37, first 2 shown]
.LBB102_312:
	s_or_b32 exec_lo, exec_lo, s2
	s_delay_alu instid0(SALU_CYCLE_1)
	s_mov_b32 s2, exec_lo
	s_waitcnt lgkmcnt(0)
	s_waitcnt_vscnt null, 0x0
	s_barrier
	buffer_gl0_inv
	v_cmpx_lt_i32_e32 14, v224
	s_cbranch_execz .LBB102_314
; %bb.313:
	v_mul_f64 v[216:217], v[210:211], v[150:151]
	v_mul_f64 v[150:151], v[208:209], v[150:151]
	s_delay_alu instid0(VALU_DEP_2) | instskip(NEXT) | instid1(VALU_DEP_2)
	v_fma_f64 v[216:217], v[208:209], v[148:149], -v[216:217]
	v_fma_f64 v[150:151], v[210:211], v[148:149], v[150:151]
	ds_load_2addr_b64 v[208:211], v218 offset0:30 offset1:31
	s_waitcnt lgkmcnt(0)
	v_mul_f64 v[148:149], v[210:211], v[150:151]
	s_delay_alu instid0(VALU_DEP_1) | instskip(SKIP_1) | instid1(VALU_DEP_2)
	v_fma_f64 v[148:149], v[208:209], v[216:217], -v[148:149]
	v_mul_f64 v[208:209], v[208:209], v[150:151]
	v_add_f64 v[144:145], v[144:145], -v[148:149]
	s_delay_alu instid0(VALU_DEP_2) | instskip(NEXT) | instid1(VALU_DEP_1)
	v_fma_f64 v[208:209], v[210:211], v[216:217], v[208:209]
	v_add_f64 v[146:147], v[146:147], -v[208:209]
	ds_load_2addr_b64 v[208:211], v218 offset0:32 offset1:33
	s_waitcnt lgkmcnt(0)
	v_mul_f64 v[148:149], v[210:211], v[150:151]
	s_delay_alu instid0(VALU_DEP_1) | instskip(SKIP_1) | instid1(VALU_DEP_2)
	v_fma_f64 v[148:149], v[208:209], v[216:217], -v[148:149]
	v_mul_f64 v[208:209], v[208:209], v[150:151]
	v_add_f64 v[140:141], v[140:141], -v[148:149]
	s_delay_alu instid0(VALU_DEP_2) | instskip(NEXT) | instid1(VALU_DEP_1)
	v_fma_f64 v[208:209], v[210:211], v[216:217], v[208:209]
	v_add_f64 v[142:143], v[142:143], -v[208:209]
	ds_load_2addr_b64 v[208:211], v218 offset0:34 offset1:35
	s_waitcnt lgkmcnt(0)
	v_mul_f64 v[148:149], v[210:211], v[150:151]
	s_delay_alu instid0(VALU_DEP_1) | instskip(SKIP_1) | instid1(VALU_DEP_2)
	v_fma_f64 v[148:149], v[208:209], v[216:217], -v[148:149]
	v_mul_f64 v[208:209], v[208:209], v[150:151]
	v_add_f64 v[136:137], v[136:137], -v[148:149]
	s_delay_alu instid0(VALU_DEP_2) | instskip(NEXT) | instid1(VALU_DEP_1)
	v_fma_f64 v[208:209], v[210:211], v[216:217], v[208:209]
	v_add_f64 v[138:139], v[138:139], -v[208:209]
	ds_load_2addr_b64 v[208:211], v218 offset0:36 offset1:37
	s_waitcnt lgkmcnt(0)
	v_mul_f64 v[148:149], v[210:211], v[150:151]
	s_delay_alu instid0(VALU_DEP_1) | instskip(SKIP_1) | instid1(VALU_DEP_2)
	v_fma_f64 v[148:149], v[208:209], v[216:217], -v[148:149]
	v_mul_f64 v[208:209], v[208:209], v[150:151]
	v_add_f64 v[132:133], v[132:133], -v[148:149]
	s_delay_alu instid0(VALU_DEP_2) | instskip(NEXT) | instid1(VALU_DEP_1)
	v_fma_f64 v[208:209], v[210:211], v[216:217], v[208:209]
	v_add_f64 v[134:135], v[134:135], -v[208:209]
	ds_load_2addr_b64 v[208:211], v218 offset0:38 offset1:39
	s_waitcnt lgkmcnt(0)
	v_mul_f64 v[148:149], v[210:211], v[150:151]
	s_delay_alu instid0(VALU_DEP_1) | instskip(SKIP_1) | instid1(VALU_DEP_2)
	v_fma_f64 v[148:149], v[208:209], v[216:217], -v[148:149]
	v_mul_f64 v[208:209], v[208:209], v[150:151]
	v_add_f64 v[128:129], v[128:129], -v[148:149]
	s_delay_alu instid0(VALU_DEP_2) | instskip(NEXT) | instid1(VALU_DEP_1)
	v_fma_f64 v[208:209], v[210:211], v[216:217], v[208:209]
	v_add_f64 v[130:131], v[130:131], -v[208:209]
	ds_load_2addr_b64 v[208:211], v218 offset0:40 offset1:41
	s_waitcnt lgkmcnt(0)
	v_mul_f64 v[148:149], v[210:211], v[150:151]
	s_delay_alu instid0(VALU_DEP_1) | instskip(SKIP_1) | instid1(VALU_DEP_2)
	v_fma_f64 v[148:149], v[208:209], v[216:217], -v[148:149]
	v_mul_f64 v[208:209], v[208:209], v[150:151]
	v_add_f64 v[124:125], v[124:125], -v[148:149]
	s_delay_alu instid0(VALU_DEP_2) | instskip(NEXT) | instid1(VALU_DEP_1)
	v_fma_f64 v[208:209], v[210:211], v[216:217], v[208:209]
	v_add_f64 v[126:127], v[126:127], -v[208:209]
	ds_load_2addr_b64 v[208:211], v218 offset0:42 offset1:43
	s_waitcnt lgkmcnt(0)
	v_mul_f64 v[148:149], v[210:211], v[150:151]
	s_delay_alu instid0(VALU_DEP_1) | instskip(SKIP_1) | instid1(VALU_DEP_2)
	v_fma_f64 v[148:149], v[208:209], v[216:217], -v[148:149]
	v_mul_f64 v[208:209], v[208:209], v[150:151]
	v_add_f64 v[120:121], v[120:121], -v[148:149]
	s_delay_alu instid0(VALU_DEP_2) | instskip(NEXT) | instid1(VALU_DEP_1)
	v_fma_f64 v[208:209], v[210:211], v[216:217], v[208:209]
	v_add_f64 v[122:123], v[122:123], -v[208:209]
	ds_load_2addr_b64 v[208:211], v218 offset0:44 offset1:45
	s_waitcnt lgkmcnt(0)
	v_mul_f64 v[148:149], v[210:211], v[150:151]
	s_delay_alu instid0(VALU_DEP_1) | instskip(SKIP_1) | instid1(VALU_DEP_2)
	v_fma_f64 v[148:149], v[208:209], v[216:217], -v[148:149]
	v_mul_f64 v[208:209], v[208:209], v[150:151]
	v_add_f64 v[116:117], v[116:117], -v[148:149]
	s_delay_alu instid0(VALU_DEP_2) | instskip(NEXT) | instid1(VALU_DEP_1)
	v_fma_f64 v[208:209], v[210:211], v[216:217], v[208:209]
	v_add_f64 v[118:119], v[118:119], -v[208:209]
	ds_load_2addr_b64 v[208:211], v218 offset0:46 offset1:47
	s_waitcnt lgkmcnt(0)
	v_mul_f64 v[148:149], v[210:211], v[150:151]
	s_delay_alu instid0(VALU_DEP_1) | instskip(SKIP_1) | instid1(VALU_DEP_2)
	v_fma_f64 v[148:149], v[208:209], v[216:217], -v[148:149]
	v_mul_f64 v[208:209], v[208:209], v[150:151]
	v_add_f64 v[112:113], v[112:113], -v[148:149]
	s_delay_alu instid0(VALU_DEP_2) | instskip(NEXT) | instid1(VALU_DEP_1)
	v_fma_f64 v[208:209], v[210:211], v[216:217], v[208:209]
	v_add_f64 v[114:115], v[114:115], -v[208:209]
	ds_load_2addr_b64 v[208:211], v218 offset0:48 offset1:49
	s_waitcnt lgkmcnt(0)
	v_mul_f64 v[148:149], v[210:211], v[150:151]
	s_delay_alu instid0(VALU_DEP_1) | instskip(SKIP_1) | instid1(VALU_DEP_2)
	v_fma_f64 v[148:149], v[208:209], v[216:217], -v[148:149]
	v_mul_f64 v[208:209], v[208:209], v[150:151]
	v_add_f64 v[108:109], v[108:109], -v[148:149]
	s_delay_alu instid0(VALU_DEP_2) | instskip(NEXT) | instid1(VALU_DEP_1)
	v_fma_f64 v[208:209], v[210:211], v[216:217], v[208:209]
	v_add_f64 v[110:111], v[110:111], -v[208:209]
	ds_load_2addr_b64 v[208:211], v218 offset0:50 offset1:51
	s_waitcnt lgkmcnt(0)
	v_mul_f64 v[148:149], v[210:211], v[150:151]
	s_delay_alu instid0(VALU_DEP_1) | instskip(SKIP_1) | instid1(VALU_DEP_2)
	v_fma_f64 v[148:149], v[208:209], v[216:217], -v[148:149]
	v_mul_f64 v[208:209], v[208:209], v[150:151]
	v_add_f64 v[104:105], v[104:105], -v[148:149]
	s_delay_alu instid0(VALU_DEP_2) | instskip(NEXT) | instid1(VALU_DEP_1)
	v_fma_f64 v[208:209], v[210:211], v[216:217], v[208:209]
	v_add_f64 v[106:107], v[106:107], -v[208:209]
	ds_load_2addr_b64 v[208:211], v218 offset0:52 offset1:53
	s_waitcnt lgkmcnt(0)
	v_mul_f64 v[148:149], v[210:211], v[150:151]
	s_delay_alu instid0(VALU_DEP_1) | instskip(SKIP_1) | instid1(VALU_DEP_2)
	v_fma_f64 v[148:149], v[208:209], v[216:217], -v[148:149]
	v_mul_f64 v[208:209], v[208:209], v[150:151]
	v_add_f64 v[100:101], v[100:101], -v[148:149]
	s_delay_alu instid0(VALU_DEP_2) | instskip(NEXT) | instid1(VALU_DEP_1)
	v_fma_f64 v[208:209], v[210:211], v[216:217], v[208:209]
	v_add_f64 v[102:103], v[102:103], -v[208:209]
	ds_load_2addr_b64 v[208:211], v218 offset0:54 offset1:55
	s_waitcnt lgkmcnt(0)
	v_mul_f64 v[148:149], v[210:211], v[150:151]
	s_delay_alu instid0(VALU_DEP_1) | instskip(SKIP_1) | instid1(VALU_DEP_2)
	v_fma_f64 v[148:149], v[208:209], v[216:217], -v[148:149]
	v_mul_f64 v[208:209], v[208:209], v[150:151]
	v_add_f64 v[96:97], v[96:97], -v[148:149]
	s_delay_alu instid0(VALU_DEP_2) | instskip(NEXT) | instid1(VALU_DEP_1)
	v_fma_f64 v[208:209], v[210:211], v[216:217], v[208:209]
	v_add_f64 v[98:99], v[98:99], -v[208:209]
	ds_load_2addr_b64 v[208:211], v218 offset0:56 offset1:57
	s_waitcnt lgkmcnt(0)
	v_mul_f64 v[148:149], v[210:211], v[150:151]
	s_delay_alu instid0(VALU_DEP_1) | instskip(SKIP_1) | instid1(VALU_DEP_2)
	v_fma_f64 v[148:149], v[208:209], v[216:217], -v[148:149]
	v_mul_f64 v[208:209], v[208:209], v[150:151]
	v_add_f64 v[92:93], v[92:93], -v[148:149]
	s_delay_alu instid0(VALU_DEP_2) | instskip(NEXT) | instid1(VALU_DEP_1)
	v_fma_f64 v[208:209], v[210:211], v[216:217], v[208:209]
	v_add_f64 v[94:95], v[94:95], -v[208:209]
	ds_load_2addr_b64 v[208:211], v218 offset0:58 offset1:59
	s_waitcnt lgkmcnt(0)
	v_mul_f64 v[148:149], v[210:211], v[150:151]
	s_delay_alu instid0(VALU_DEP_1) | instskip(SKIP_1) | instid1(VALU_DEP_2)
	v_fma_f64 v[148:149], v[208:209], v[216:217], -v[148:149]
	v_mul_f64 v[208:209], v[208:209], v[150:151]
	v_add_f64 v[88:89], v[88:89], -v[148:149]
	s_delay_alu instid0(VALU_DEP_2) | instskip(NEXT) | instid1(VALU_DEP_1)
	v_fma_f64 v[208:209], v[210:211], v[216:217], v[208:209]
	v_add_f64 v[90:91], v[90:91], -v[208:209]
	ds_load_2addr_b64 v[208:211], v218 offset0:60 offset1:61
	s_waitcnt lgkmcnt(0)
	v_mul_f64 v[148:149], v[210:211], v[150:151]
	s_delay_alu instid0(VALU_DEP_1) | instskip(SKIP_1) | instid1(VALU_DEP_2)
	v_fma_f64 v[148:149], v[208:209], v[216:217], -v[148:149]
	v_mul_f64 v[208:209], v[208:209], v[150:151]
	v_add_f64 v[84:85], v[84:85], -v[148:149]
	s_delay_alu instid0(VALU_DEP_2) | instskip(NEXT) | instid1(VALU_DEP_1)
	v_fma_f64 v[208:209], v[210:211], v[216:217], v[208:209]
	v_add_f64 v[86:87], v[86:87], -v[208:209]
	ds_load_2addr_b64 v[208:211], v218 offset0:62 offset1:63
	s_waitcnt lgkmcnt(0)
	v_mul_f64 v[148:149], v[210:211], v[150:151]
	s_delay_alu instid0(VALU_DEP_1) | instskip(SKIP_1) | instid1(VALU_DEP_2)
	v_fma_f64 v[148:149], v[208:209], v[216:217], -v[148:149]
	v_mul_f64 v[208:209], v[208:209], v[150:151]
	v_add_f64 v[80:81], v[80:81], -v[148:149]
	s_delay_alu instid0(VALU_DEP_2) | instskip(NEXT) | instid1(VALU_DEP_1)
	v_fma_f64 v[208:209], v[210:211], v[216:217], v[208:209]
	v_add_f64 v[82:83], v[82:83], -v[208:209]
	ds_load_2addr_b64 v[208:211], v218 offset0:64 offset1:65
	s_waitcnt lgkmcnt(0)
	v_mul_f64 v[148:149], v[210:211], v[150:151]
	s_delay_alu instid0(VALU_DEP_1) | instskip(SKIP_1) | instid1(VALU_DEP_2)
	v_fma_f64 v[148:149], v[208:209], v[216:217], -v[148:149]
	v_mul_f64 v[208:209], v[208:209], v[150:151]
	v_add_f64 v[76:77], v[76:77], -v[148:149]
	s_delay_alu instid0(VALU_DEP_2) | instskip(NEXT) | instid1(VALU_DEP_1)
	v_fma_f64 v[208:209], v[210:211], v[216:217], v[208:209]
	v_add_f64 v[78:79], v[78:79], -v[208:209]
	ds_load_2addr_b64 v[208:211], v218 offset0:66 offset1:67
	s_waitcnt lgkmcnt(0)
	v_mul_f64 v[148:149], v[210:211], v[150:151]
	s_delay_alu instid0(VALU_DEP_1) | instskip(SKIP_1) | instid1(VALU_DEP_2)
	v_fma_f64 v[148:149], v[208:209], v[216:217], -v[148:149]
	v_mul_f64 v[208:209], v[208:209], v[150:151]
	v_add_f64 v[72:73], v[72:73], -v[148:149]
	s_delay_alu instid0(VALU_DEP_2) | instskip(NEXT) | instid1(VALU_DEP_1)
	v_fma_f64 v[208:209], v[210:211], v[216:217], v[208:209]
	v_add_f64 v[74:75], v[74:75], -v[208:209]
	ds_load_2addr_b64 v[208:211], v218 offset0:68 offset1:69
	s_waitcnt lgkmcnt(0)
	v_mul_f64 v[148:149], v[210:211], v[150:151]
	s_delay_alu instid0(VALU_DEP_1) | instskip(SKIP_1) | instid1(VALU_DEP_2)
	v_fma_f64 v[148:149], v[208:209], v[216:217], -v[148:149]
	v_mul_f64 v[208:209], v[208:209], v[150:151]
	v_add_f64 v[68:69], v[68:69], -v[148:149]
	s_delay_alu instid0(VALU_DEP_2) | instskip(NEXT) | instid1(VALU_DEP_1)
	v_fma_f64 v[208:209], v[210:211], v[216:217], v[208:209]
	v_add_f64 v[70:71], v[70:71], -v[208:209]
	ds_load_2addr_b64 v[208:211], v218 offset0:70 offset1:71
	s_waitcnt lgkmcnt(0)
	v_mul_f64 v[148:149], v[210:211], v[150:151]
	s_delay_alu instid0(VALU_DEP_1) | instskip(SKIP_1) | instid1(VALU_DEP_2)
	v_fma_f64 v[148:149], v[208:209], v[216:217], -v[148:149]
	v_mul_f64 v[208:209], v[208:209], v[150:151]
	v_add_f64 v[64:65], v[64:65], -v[148:149]
	s_delay_alu instid0(VALU_DEP_2) | instskip(NEXT) | instid1(VALU_DEP_1)
	v_fma_f64 v[208:209], v[210:211], v[216:217], v[208:209]
	v_add_f64 v[66:67], v[66:67], -v[208:209]
	ds_load_2addr_b64 v[208:211], v218 offset0:72 offset1:73
	s_waitcnt lgkmcnt(0)
	v_mul_f64 v[148:149], v[210:211], v[150:151]
	s_delay_alu instid0(VALU_DEP_1) | instskip(SKIP_1) | instid1(VALU_DEP_2)
	v_fma_f64 v[148:149], v[208:209], v[216:217], -v[148:149]
	v_mul_f64 v[208:209], v[208:209], v[150:151]
	v_add_f64 v[60:61], v[60:61], -v[148:149]
	s_delay_alu instid0(VALU_DEP_2) | instskip(NEXT) | instid1(VALU_DEP_1)
	v_fma_f64 v[208:209], v[210:211], v[216:217], v[208:209]
	v_add_f64 v[62:63], v[62:63], -v[208:209]
	ds_load_2addr_b64 v[208:211], v218 offset0:74 offset1:75
	s_waitcnt lgkmcnt(0)
	v_mul_f64 v[148:149], v[210:211], v[150:151]
	s_delay_alu instid0(VALU_DEP_1) | instskip(SKIP_1) | instid1(VALU_DEP_2)
	v_fma_f64 v[148:149], v[208:209], v[216:217], -v[148:149]
	v_mul_f64 v[208:209], v[208:209], v[150:151]
	v_add_f64 v[56:57], v[56:57], -v[148:149]
	s_delay_alu instid0(VALU_DEP_2) | instskip(NEXT) | instid1(VALU_DEP_1)
	v_fma_f64 v[208:209], v[210:211], v[216:217], v[208:209]
	v_add_f64 v[58:59], v[58:59], -v[208:209]
	ds_load_2addr_b64 v[208:211], v218 offset0:76 offset1:77
	s_waitcnt lgkmcnt(0)
	v_mul_f64 v[148:149], v[210:211], v[150:151]
	s_delay_alu instid0(VALU_DEP_1) | instskip(SKIP_1) | instid1(VALU_DEP_2)
	v_fma_f64 v[148:149], v[208:209], v[216:217], -v[148:149]
	v_mul_f64 v[208:209], v[208:209], v[150:151]
	v_add_f64 v[52:53], v[52:53], -v[148:149]
	s_delay_alu instid0(VALU_DEP_2) | instskip(NEXT) | instid1(VALU_DEP_1)
	v_fma_f64 v[208:209], v[210:211], v[216:217], v[208:209]
	v_add_f64 v[54:55], v[54:55], -v[208:209]
	ds_load_2addr_b64 v[208:211], v218 offset0:78 offset1:79
	s_waitcnt lgkmcnt(0)
	v_mul_f64 v[148:149], v[210:211], v[150:151]
	s_delay_alu instid0(VALU_DEP_1) | instskip(SKIP_1) | instid1(VALU_DEP_2)
	v_fma_f64 v[148:149], v[208:209], v[216:217], -v[148:149]
	v_mul_f64 v[208:209], v[208:209], v[150:151]
	v_add_f64 v[48:49], v[48:49], -v[148:149]
	s_delay_alu instid0(VALU_DEP_2) | instskip(NEXT) | instid1(VALU_DEP_1)
	v_fma_f64 v[208:209], v[210:211], v[216:217], v[208:209]
	v_add_f64 v[50:51], v[50:51], -v[208:209]
	ds_load_2addr_b64 v[208:211], v218 offset0:80 offset1:81
	s_waitcnt lgkmcnt(0)
	v_mul_f64 v[148:149], v[210:211], v[150:151]
	s_delay_alu instid0(VALU_DEP_1) | instskip(SKIP_1) | instid1(VALU_DEP_2)
	v_fma_f64 v[148:149], v[208:209], v[216:217], -v[148:149]
	v_mul_f64 v[208:209], v[208:209], v[150:151]
	v_add_f64 v[44:45], v[44:45], -v[148:149]
	s_delay_alu instid0(VALU_DEP_2) | instskip(NEXT) | instid1(VALU_DEP_1)
	v_fma_f64 v[208:209], v[210:211], v[216:217], v[208:209]
	v_add_f64 v[46:47], v[46:47], -v[208:209]
	ds_load_2addr_b64 v[208:211], v218 offset0:82 offset1:83
	s_waitcnt lgkmcnt(0)
	v_mul_f64 v[148:149], v[210:211], v[150:151]
	s_delay_alu instid0(VALU_DEP_1) | instskip(SKIP_1) | instid1(VALU_DEP_2)
	v_fma_f64 v[148:149], v[208:209], v[216:217], -v[148:149]
	v_mul_f64 v[208:209], v[208:209], v[150:151]
	v_add_f64 v[40:41], v[40:41], -v[148:149]
	s_delay_alu instid0(VALU_DEP_2) | instskip(NEXT) | instid1(VALU_DEP_1)
	v_fma_f64 v[208:209], v[210:211], v[216:217], v[208:209]
	v_add_f64 v[42:43], v[42:43], -v[208:209]
	ds_load_2addr_b64 v[208:211], v218 offset0:84 offset1:85
	s_waitcnt lgkmcnt(0)
	v_mul_f64 v[148:149], v[210:211], v[150:151]
	s_delay_alu instid0(VALU_DEP_1) | instskip(SKIP_1) | instid1(VALU_DEP_2)
	v_fma_f64 v[148:149], v[208:209], v[216:217], -v[148:149]
	v_mul_f64 v[208:209], v[208:209], v[150:151]
	v_add_f64 v[36:37], v[36:37], -v[148:149]
	s_delay_alu instid0(VALU_DEP_2) | instskip(NEXT) | instid1(VALU_DEP_1)
	v_fma_f64 v[208:209], v[210:211], v[216:217], v[208:209]
	v_add_f64 v[38:39], v[38:39], -v[208:209]
	ds_load_2addr_b64 v[208:211], v218 offset0:86 offset1:87
	s_waitcnt lgkmcnt(0)
	v_mul_f64 v[148:149], v[210:211], v[150:151]
	s_delay_alu instid0(VALU_DEP_1) | instskip(SKIP_1) | instid1(VALU_DEP_2)
	v_fma_f64 v[148:149], v[208:209], v[216:217], -v[148:149]
	v_mul_f64 v[208:209], v[208:209], v[150:151]
	v_add_f64 v[32:33], v[32:33], -v[148:149]
	s_delay_alu instid0(VALU_DEP_2) | instskip(NEXT) | instid1(VALU_DEP_1)
	v_fma_f64 v[208:209], v[210:211], v[216:217], v[208:209]
	v_add_f64 v[34:35], v[34:35], -v[208:209]
	ds_load_2addr_b64 v[208:211], v218 offset0:88 offset1:89
	s_waitcnt lgkmcnt(0)
	v_mul_f64 v[148:149], v[210:211], v[150:151]
	s_delay_alu instid0(VALU_DEP_1) | instskip(SKIP_1) | instid1(VALU_DEP_2)
	v_fma_f64 v[148:149], v[208:209], v[216:217], -v[148:149]
	v_mul_f64 v[208:209], v[208:209], v[150:151]
	v_add_f64 v[28:29], v[28:29], -v[148:149]
	s_delay_alu instid0(VALU_DEP_2) | instskip(NEXT) | instid1(VALU_DEP_1)
	v_fma_f64 v[208:209], v[210:211], v[216:217], v[208:209]
	v_add_f64 v[30:31], v[30:31], -v[208:209]
	ds_load_2addr_b64 v[208:211], v218 offset0:90 offset1:91
	s_waitcnt lgkmcnt(0)
	v_mul_f64 v[148:149], v[210:211], v[150:151]
	s_delay_alu instid0(VALU_DEP_1) | instskip(SKIP_1) | instid1(VALU_DEP_2)
	v_fma_f64 v[148:149], v[208:209], v[216:217], -v[148:149]
	v_mul_f64 v[208:209], v[208:209], v[150:151]
	v_add_f64 v[24:25], v[24:25], -v[148:149]
	s_delay_alu instid0(VALU_DEP_2) | instskip(NEXT) | instid1(VALU_DEP_1)
	v_fma_f64 v[208:209], v[210:211], v[216:217], v[208:209]
	v_add_f64 v[26:27], v[26:27], -v[208:209]
	ds_load_2addr_b64 v[208:211], v218 offset0:92 offset1:93
	s_waitcnt lgkmcnt(0)
	v_mul_f64 v[148:149], v[210:211], v[150:151]
	s_delay_alu instid0(VALU_DEP_1) | instskip(SKIP_1) | instid1(VALU_DEP_2)
	v_fma_f64 v[148:149], v[208:209], v[216:217], -v[148:149]
	v_mul_f64 v[208:209], v[208:209], v[150:151]
	v_add_f64 v[20:21], v[20:21], -v[148:149]
	s_delay_alu instid0(VALU_DEP_2) | instskip(NEXT) | instid1(VALU_DEP_1)
	v_fma_f64 v[208:209], v[210:211], v[216:217], v[208:209]
	v_add_f64 v[22:23], v[22:23], -v[208:209]
	ds_load_2addr_b64 v[208:211], v218 offset0:94 offset1:95
	s_waitcnt lgkmcnt(0)
	v_mul_f64 v[148:149], v[210:211], v[150:151]
	s_delay_alu instid0(VALU_DEP_1) | instskip(SKIP_1) | instid1(VALU_DEP_2)
	v_fma_f64 v[148:149], v[208:209], v[216:217], -v[148:149]
	v_mul_f64 v[208:209], v[208:209], v[150:151]
	v_add_f64 v[16:17], v[16:17], -v[148:149]
	s_delay_alu instid0(VALU_DEP_2) | instskip(NEXT) | instid1(VALU_DEP_1)
	v_fma_f64 v[208:209], v[210:211], v[216:217], v[208:209]
	v_add_f64 v[18:19], v[18:19], -v[208:209]
	ds_load_2addr_b64 v[208:211], v218 offset0:96 offset1:97
	s_waitcnt lgkmcnt(0)
	v_mul_f64 v[148:149], v[210:211], v[150:151]
	s_delay_alu instid0(VALU_DEP_1) | instskip(SKIP_1) | instid1(VALU_DEP_2)
	v_fma_f64 v[148:149], v[208:209], v[216:217], -v[148:149]
	v_mul_f64 v[208:209], v[208:209], v[150:151]
	v_add_f64 v[12:13], v[12:13], -v[148:149]
	s_delay_alu instid0(VALU_DEP_2) | instskip(NEXT) | instid1(VALU_DEP_1)
	v_fma_f64 v[208:209], v[210:211], v[216:217], v[208:209]
	v_add_f64 v[14:15], v[14:15], -v[208:209]
	ds_load_2addr_b64 v[208:211], v218 offset0:98 offset1:99
	s_waitcnt lgkmcnt(0)
	v_mul_f64 v[148:149], v[210:211], v[150:151]
	s_delay_alu instid0(VALU_DEP_1) | instskip(SKIP_1) | instid1(VALU_DEP_2)
	v_fma_f64 v[148:149], v[208:209], v[216:217], -v[148:149]
	v_mul_f64 v[208:209], v[208:209], v[150:151]
	v_add_f64 v[8:9], v[8:9], -v[148:149]
	s_delay_alu instid0(VALU_DEP_2) | instskip(NEXT) | instid1(VALU_DEP_1)
	v_fma_f64 v[208:209], v[210:211], v[216:217], v[208:209]
	v_add_f64 v[10:11], v[10:11], -v[208:209]
	ds_load_2addr_b64 v[208:211], v218 offset0:100 offset1:101
	s_waitcnt lgkmcnt(0)
	v_mul_f64 v[148:149], v[210:211], v[150:151]
	s_delay_alu instid0(VALU_DEP_1) | instskip(SKIP_1) | instid1(VALU_DEP_2)
	v_fma_f64 v[148:149], v[208:209], v[216:217], -v[148:149]
	v_mul_f64 v[208:209], v[208:209], v[150:151]
	v_add_f64 v[4:5], v[4:5], -v[148:149]
	s_delay_alu instid0(VALU_DEP_2) | instskip(NEXT) | instid1(VALU_DEP_1)
	v_fma_f64 v[208:209], v[210:211], v[216:217], v[208:209]
	v_add_f64 v[6:7], v[6:7], -v[208:209]
	ds_load_2addr_b64 v[208:211], v218 offset0:102 offset1:103
	s_waitcnt lgkmcnt(0)
	v_mul_f64 v[148:149], v[210:211], v[150:151]
	s_delay_alu instid0(VALU_DEP_1) | instskip(SKIP_1) | instid1(VALU_DEP_2)
	v_fma_f64 v[148:149], v[208:209], v[216:217], -v[148:149]
	v_mul_f64 v[208:209], v[208:209], v[150:151]
	v_add_f64 v[0:1], v[0:1], -v[148:149]
	s_delay_alu instid0(VALU_DEP_2) | instskip(SKIP_1) | instid1(VALU_DEP_2)
	v_fma_f64 v[208:209], v[210:211], v[216:217], v[208:209]
	v_dual_mov_b32 v148, v216 :: v_dual_mov_b32 v149, v217
	v_add_f64 v[2:3], v[2:3], -v[208:209]
.LBB102_314:
	s_or_b32 exec_lo, exec_lo, s2
	v_lshl_add_u32 v208, v224, 4, v218
	s_barrier
	buffer_gl0_inv
	v_mov_b32_e32 v216, 15
	ds_store_2addr_b64 v208, v[144:145], v[146:147] offset1:1
	s_waitcnt lgkmcnt(0)
	s_barrier
	buffer_gl0_inv
	ds_load_2addr_b64 v[208:211], v218 offset0:30 offset1:31
	s_cmp_lt_i32 s5, 17
	s_cbranch_scc1 .LBB102_317
; %bb.315:
	v_add3_u32 v217, v222, 0, 0x100
	v_mov_b32_e32 v216, 15
	s_mov_b32 s6, 16
	s_set_inst_prefetch_distance 0x1
	.p2align	6
.LBB102_316:                            ; =>This Inner Loop Header: Depth=1
	ds_load_2addr_b64 v[225:228], v217 offset1:1
	s_waitcnt lgkmcnt(1)
	v_cmp_gt_f64_e32 vcc_lo, 0, v[208:209]
	v_xor_b32_e32 v229, 0x80000000, v209
	v_cmp_gt_f64_e64 s2, 0, v[210:211]
	v_xor_b32_e32 v231, 0x80000000, v211
	v_add_nc_u32_e32 v217, 16, v217
	s_waitcnt lgkmcnt(0)
	v_cmp_gt_f64_e64 s3, 0, v[225:226]
	v_mov_b32_e32 v233, v225
	v_dual_mov_b32 v235, v227 :: v_dual_cndmask_b32 v230, v209, v229
	v_xor_b32_e32 v229, 0x80000000, v226
	v_cndmask_b32_e64 v232, v211, v231, s2
	v_xor_b32_e32 v231, 0x80000000, v228
	s_delay_alu instid0(VALU_DEP_3) | instskip(SKIP_2) | instid1(VALU_DEP_2)
	v_cndmask_b32_e64 v234, v226, v229, s3
	v_cmp_gt_f64_e64 s3, 0, v[227:228]
	v_cndmask_b32_e32 v229, v208, v208, vcc_lo
	v_cndmask_b32_e64 v236, v228, v231, s3
	v_cndmask_b32_e64 v231, v210, v210, s2
	s_delay_alu instid0(VALU_DEP_2) | instskip(NEXT) | instid1(VALU_DEP_2)
	v_add_f64 v[233:234], v[233:234], v[235:236]
	v_add_f64 v[229:230], v[229:230], v[231:232]
	s_delay_alu instid0(VALU_DEP_1) | instskip(SKIP_4) | instid1(SALU_CYCLE_1)
	v_cmp_lt_f64_e32 vcc_lo, v[229:230], v[233:234]
	v_dual_cndmask_b32 v210, v210, v227 :: v_dual_cndmask_b32 v209, v209, v226
	v_dual_cndmask_b32 v208, v208, v225 :: v_dual_cndmask_b32 v211, v211, v228
	v_cndmask_b32_e64 v216, v216, s6, vcc_lo
	s_add_i32 s6, s6, 1
	s_cmp_lg_u32 s5, s6
	s_cbranch_scc1 .LBB102_316
.LBB102_317:
	s_set_inst_prefetch_distance 0x2
	s_waitcnt lgkmcnt(0)
	v_cmp_eq_f64_e32 vcc_lo, 0, v[208:209]
	v_cmp_eq_f64_e64 s2, 0, v[210:211]
	s_delay_alu instid0(VALU_DEP_1) | instskip(NEXT) | instid1(SALU_CYCLE_1)
	s_and_b32 s2, vcc_lo, s2
	s_and_saveexec_b32 s3, s2
	s_delay_alu instid0(SALU_CYCLE_1)
	s_xor_b32 s2, exec_lo, s3
; %bb.318:
	v_cmp_ne_u32_e32 vcc_lo, 0, v221
	v_cndmask_b32_e32 v221, 16, v221, vcc_lo
; %bb.319:
	s_and_not1_saveexec_b32 s3, s2
	s_cbranch_execz .LBB102_325
; %bb.320:
	v_cmp_gt_f64_e32 vcc_lo, 0, v[208:209]
	v_cmp_gt_f64_e64 s2, 0, v[210:211]
	v_xor_b32_e32 v217, 0x80000000, v209
	v_xor_b32_e32 v225, 0x80000000, v211
	s_delay_alu instid0(VALU_DEP_2) | instskip(NEXT) | instid1(VALU_DEP_2)
	v_cndmask_b32_e32 v226, v209, v217, vcc_lo
	v_cndmask_b32_e64 v228, v211, v225, s2
	v_cndmask_b32_e32 v225, v208, v208, vcc_lo
	v_cndmask_b32_e64 v227, v210, v210, s2
	s_mov_b32 s2, exec_lo
	s_delay_alu instid0(VALU_DEP_1)
	v_cmpx_ngt_f64_e32 v[225:226], v[227:228]
	s_xor_b32 s2, exec_lo, s2
	s_cbranch_execz .LBB102_322
; %bb.321:
	v_div_scale_f64 v[225:226], null, v[210:211], v[210:211], v[208:209]
	v_div_scale_f64 v[231:232], vcc_lo, v[208:209], v[210:211], v[208:209]
	s_delay_alu instid0(VALU_DEP_2) | instskip(SKIP_2) | instid1(VALU_DEP_1)
	v_rcp_f64_e32 v[227:228], v[225:226]
	s_waitcnt_depctr 0xfff
	v_fma_f64 v[229:230], -v[225:226], v[227:228], 1.0
	v_fma_f64 v[227:228], v[227:228], v[229:230], v[227:228]
	s_delay_alu instid0(VALU_DEP_1) | instskip(NEXT) | instid1(VALU_DEP_1)
	v_fma_f64 v[229:230], -v[225:226], v[227:228], 1.0
	v_fma_f64 v[227:228], v[227:228], v[229:230], v[227:228]
	s_delay_alu instid0(VALU_DEP_1) | instskip(NEXT) | instid1(VALU_DEP_1)
	v_mul_f64 v[229:230], v[231:232], v[227:228]
	v_fma_f64 v[225:226], -v[225:226], v[229:230], v[231:232]
	s_delay_alu instid0(VALU_DEP_1) | instskip(NEXT) | instid1(VALU_DEP_1)
	v_div_fmas_f64 v[225:226], v[225:226], v[227:228], v[229:230]
	v_div_fixup_f64 v[225:226], v[225:226], v[210:211], v[208:209]
	s_delay_alu instid0(VALU_DEP_1) | instskip(NEXT) | instid1(VALU_DEP_1)
	v_fma_f64 v[208:209], v[208:209], v[225:226], v[210:211]
	v_div_scale_f64 v[210:211], null, v[208:209], v[208:209], 1.0
	s_delay_alu instid0(VALU_DEP_1) | instskip(SKIP_2) | instid1(VALU_DEP_1)
	v_rcp_f64_e32 v[227:228], v[210:211]
	s_waitcnt_depctr 0xfff
	v_fma_f64 v[229:230], -v[210:211], v[227:228], 1.0
	v_fma_f64 v[227:228], v[227:228], v[229:230], v[227:228]
	s_delay_alu instid0(VALU_DEP_1) | instskip(NEXT) | instid1(VALU_DEP_1)
	v_fma_f64 v[229:230], -v[210:211], v[227:228], 1.0
	v_fma_f64 v[227:228], v[227:228], v[229:230], v[227:228]
	v_div_scale_f64 v[229:230], vcc_lo, 1.0, v[208:209], 1.0
	s_delay_alu instid0(VALU_DEP_1) | instskip(NEXT) | instid1(VALU_DEP_1)
	v_mul_f64 v[231:232], v[229:230], v[227:228]
	v_fma_f64 v[210:211], -v[210:211], v[231:232], v[229:230]
	s_delay_alu instid0(VALU_DEP_1) | instskip(NEXT) | instid1(VALU_DEP_1)
	v_div_fmas_f64 v[210:211], v[210:211], v[227:228], v[231:232]
	v_div_fixup_f64 v[210:211], v[210:211], v[208:209], 1.0
	s_delay_alu instid0(VALU_DEP_1)
	v_mul_f64 v[208:209], v[225:226], v[210:211]
	v_xor_b32_e32 v211, 0x80000000, v211
.LBB102_322:
	s_and_not1_saveexec_b32 s2, s2
	s_cbranch_execz .LBB102_324
; %bb.323:
	s_delay_alu instid0(VALU_DEP_1) | instskip(SKIP_1) | instid1(VALU_DEP_2)
	v_div_scale_f64 v[225:226], null, v[208:209], v[208:209], v[210:211]
	v_div_scale_f64 v[231:232], vcc_lo, v[210:211], v[208:209], v[210:211]
	v_rcp_f64_e32 v[227:228], v[225:226]
	s_waitcnt_depctr 0xfff
	v_fma_f64 v[229:230], -v[225:226], v[227:228], 1.0
	s_delay_alu instid0(VALU_DEP_1) | instskip(NEXT) | instid1(VALU_DEP_1)
	v_fma_f64 v[227:228], v[227:228], v[229:230], v[227:228]
	v_fma_f64 v[229:230], -v[225:226], v[227:228], 1.0
	s_delay_alu instid0(VALU_DEP_1) | instskip(NEXT) | instid1(VALU_DEP_1)
	v_fma_f64 v[227:228], v[227:228], v[229:230], v[227:228]
	v_mul_f64 v[229:230], v[231:232], v[227:228]
	s_delay_alu instid0(VALU_DEP_1) | instskip(NEXT) | instid1(VALU_DEP_1)
	v_fma_f64 v[225:226], -v[225:226], v[229:230], v[231:232]
	v_div_fmas_f64 v[225:226], v[225:226], v[227:228], v[229:230]
	s_delay_alu instid0(VALU_DEP_1) | instskip(NEXT) | instid1(VALU_DEP_1)
	v_div_fixup_f64 v[225:226], v[225:226], v[208:209], v[210:211]
	v_fma_f64 v[208:209], v[210:211], v[225:226], v[208:209]
	s_delay_alu instid0(VALU_DEP_1) | instskip(NEXT) | instid1(VALU_DEP_1)
	v_div_scale_f64 v[210:211], null, v[208:209], v[208:209], 1.0
	v_rcp_f64_e32 v[227:228], v[210:211]
	s_waitcnt_depctr 0xfff
	v_fma_f64 v[229:230], -v[210:211], v[227:228], 1.0
	s_delay_alu instid0(VALU_DEP_1) | instskip(NEXT) | instid1(VALU_DEP_1)
	v_fma_f64 v[227:228], v[227:228], v[229:230], v[227:228]
	v_fma_f64 v[229:230], -v[210:211], v[227:228], 1.0
	s_delay_alu instid0(VALU_DEP_1) | instskip(SKIP_1) | instid1(VALU_DEP_1)
	v_fma_f64 v[227:228], v[227:228], v[229:230], v[227:228]
	v_div_scale_f64 v[229:230], vcc_lo, 1.0, v[208:209], 1.0
	v_mul_f64 v[231:232], v[229:230], v[227:228]
	s_delay_alu instid0(VALU_DEP_1) | instskip(NEXT) | instid1(VALU_DEP_1)
	v_fma_f64 v[210:211], -v[210:211], v[231:232], v[229:230]
	v_div_fmas_f64 v[210:211], v[210:211], v[227:228], v[231:232]
	s_delay_alu instid0(VALU_DEP_1) | instskip(NEXT) | instid1(VALU_DEP_1)
	v_div_fixup_f64 v[208:209], v[210:211], v[208:209], 1.0
	v_mul_f64 v[210:211], v[225:226], -v[208:209]
.LBB102_324:
	s_or_b32 exec_lo, exec_lo, s2
.LBB102_325:
	s_delay_alu instid0(SALU_CYCLE_1) | instskip(NEXT) | instid1(SALU_CYCLE_1)
	s_or_b32 exec_lo, exec_lo, s3
	s_mov_b32 s2, exec_lo
	v_cmpx_ne_u32_e64 v224, v216
	s_xor_b32 s2, exec_lo, s2
	s_cbranch_execz .LBB102_331
; %bb.326:
	s_mov_b32 s3, exec_lo
	v_cmpx_eq_u32_e32 15, v224
	s_cbranch_execz .LBB102_330
; %bb.327:
	v_cmp_ne_u32_e32 vcc_lo, 15, v216
	s_xor_b32 s6, s4, -1
	s_delay_alu instid0(SALU_CYCLE_1) | instskip(NEXT) | instid1(SALU_CYCLE_1)
	s_and_b32 s7, s6, vcc_lo
	s_and_saveexec_b32 s6, s7
	s_cbranch_execz .LBB102_329
; %bb.328:
	v_ashrrev_i32_e32 v217, 31, v216
	s_delay_alu instid0(VALU_DEP_1) | instskip(NEXT) | instid1(VALU_DEP_1)
	v_lshlrev_b64 v[223:224], 2, v[216:217]
	v_add_co_u32 v223, vcc_lo, v214, v223
	s_delay_alu instid0(VALU_DEP_2)
	v_add_co_ci_u32_e32 v224, vcc_lo, v215, v224, vcc_lo
	s_clause 0x1
	flat_load_b32 v217, v[223:224]
	flat_load_b32 v225, v[214:215] offset:60
	s_waitcnt vmcnt(1) lgkmcnt(1)
	flat_store_b32 v[214:215], v217 offset:60
	s_waitcnt vmcnt(0) lgkmcnt(1)
	flat_store_b32 v[223:224], v225
.LBB102_329:
	s_or_b32 exec_lo, exec_lo, s6
	v_mov_b32_e32 v224, v216
	v_mov_b32_e32 v223, v216
.LBB102_330:
	s_or_b32 exec_lo, exec_lo, s3
.LBB102_331:
	s_and_not1_saveexec_b32 s2, s2
	s_cbranch_execz .LBB102_333
; %bb.332:
	v_mov_b32_e32 v224, 15
	ds_store_2addr_b64 v218, v[140:141], v[142:143] offset0:32 offset1:33
	ds_store_2addr_b64 v218, v[136:137], v[138:139] offset0:34 offset1:35
	;; [unrolled: 1-line block ×36, first 2 shown]
.LBB102_333:
	s_or_b32 exec_lo, exec_lo, s2
	s_delay_alu instid0(SALU_CYCLE_1)
	s_mov_b32 s2, exec_lo
	s_waitcnt lgkmcnt(0)
	s_waitcnt_vscnt null, 0x0
	s_barrier
	buffer_gl0_inv
	v_cmpx_lt_i32_e32 15, v224
	s_cbranch_execz .LBB102_335
; %bb.334:
	v_mul_f64 v[216:217], v[210:211], v[146:147]
	v_mul_f64 v[146:147], v[208:209], v[146:147]
	s_delay_alu instid0(VALU_DEP_2) | instskip(NEXT) | instid1(VALU_DEP_2)
	v_fma_f64 v[216:217], v[208:209], v[144:145], -v[216:217]
	v_fma_f64 v[146:147], v[210:211], v[144:145], v[146:147]
	ds_load_2addr_b64 v[208:211], v218 offset0:32 offset1:33
	s_waitcnt lgkmcnt(0)
	v_mul_f64 v[144:145], v[210:211], v[146:147]
	s_delay_alu instid0(VALU_DEP_1) | instskip(SKIP_1) | instid1(VALU_DEP_2)
	v_fma_f64 v[144:145], v[208:209], v[216:217], -v[144:145]
	v_mul_f64 v[208:209], v[208:209], v[146:147]
	v_add_f64 v[140:141], v[140:141], -v[144:145]
	s_delay_alu instid0(VALU_DEP_2) | instskip(NEXT) | instid1(VALU_DEP_1)
	v_fma_f64 v[208:209], v[210:211], v[216:217], v[208:209]
	v_add_f64 v[142:143], v[142:143], -v[208:209]
	ds_load_2addr_b64 v[208:211], v218 offset0:34 offset1:35
	s_waitcnt lgkmcnt(0)
	v_mul_f64 v[144:145], v[210:211], v[146:147]
	s_delay_alu instid0(VALU_DEP_1) | instskip(SKIP_1) | instid1(VALU_DEP_2)
	v_fma_f64 v[144:145], v[208:209], v[216:217], -v[144:145]
	v_mul_f64 v[208:209], v[208:209], v[146:147]
	v_add_f64 v[136:137], v[136:137], -v[144:145]
	s_delay_alu instid0(VALU_DEP_2) | instskip(NEXT) | instid1(VALU_DEP_1)
	v_fma_f64 v[208:209], v[210:211], v[216:217], v[208:209]
	v_add_f64 v[138:139], v[138:139], -v[208:209]
	;; [unrolled: 10-line block ×35, first 2 shown]
	ds_load_2addr_b64 v[208:211], v218 offset0:102 offset1:103
	s_waitcnt lgkmcnt(0)
	v_mul_f64 v[144:145], v[210:211], v[146:147]
	s_delay_alu instid0(VALU_DEP_1) | instskip(SKIP_1) | instid1(VALU_DEP_2)
	v_fma_f64 v[144:145], v[208:209], v[216:217], -v[144:145]
	v_mul_f64 v[208:209], v[208:209], v[146:147]
	v_add_f64 v[0:1], v[0:1], -v[144:145]
	s_delay_alu instid0(VALU_DEP_2) | instskip(SKIP_1) | instid1(VALU_DEP_2)
	v_fma_f64 v[208:209], v[210:211], v[216:217], v[208:209]
	v_dual_mov_b32 v144, v216 :: v_dual_mov_b32 v145, v217
	v_add_f64 v[2:3], v[2:3], -v[208:209]
.LBB102_335:
	s_or_b32 exec_lo, exec_lo, s2
	v_lshl_add_u32 v208, v224, 4, v218
	s_barrier
	buffer_gl0_inv
	v_mov_b32_e32 v216, 16
	ds_store_2addr_b64 v208, v[140:141], v[142:143] offset1:1
	s_waitcnt lgkmcnt(0)
	s_barrier
	buffer_gl0_inv
	ds_load_2addr_b64 v[208:211], v218 offset0:32 offset1:33
	s_cmp_lt_i32 s5, 18
	s_cbranch_scc1 .LBB102_338
; %bb.336:
	v_add3_u32 v217, v222, 0, 0x110
	v_mov_b32_e32 v216, 16
	s_mov_b32 s6, 17
	s_set_inst_prefetch_distance 0x1
	.p2align	6
.LBB102_337:                            ; =>This Inner Loop Header: Depth=1
	ds_load_2addr_b64 v[225:228], v217 offset1:1
	s_waitcnt lgkmcnt(1)
	v_cmp_gt_f64_e32 vcc_lo, 0, v[208:209]
	v_xor_b32_e32 v229, 0x80000000, v209
	v_cmp_gt_f64_e64 s2, 0, v[210:211]
	v_xor_b32_e32 v231, 0x80000000, v211
	v_add_nc_u32_e32 v217, 16, v217
	s_waitcnt lgkmcnt(0)
	v_cmp_gt_f64_e64 s3, 0, v[225:226]
	v_mov_b32_e32 v233, v225
	v_dual_mov_b32 v235, v227 :: v_dual_cndmask_b32 v230, v209, v229
	v_xor_b32_e32 v229, 0x80000000, v226
	v_cndmask_b32_e64 v232, v211, v231, s2
	v_xor_b32_e32 v231, 0x80000000, v228
	s_delay_alu instid0(VALU_DEP_3) | instskip(SKIP_2) | instid1(VALU_DEP_2)
	v_cndmask_b32_e64 v234, v226, v229, s3
	v_cmp_gt_f64_e64 s3, 0, v[227:228]
	v_cndmask_b32_e32 v229, v208, v208, vcc_lo
	v_cndmask_b32_e64 v236, v228, v231, s3
	v_cndmask_b32_e64 v231, v210, v210, s2
	s_delay_alu instid0(VALU_DEP_2) | instskip(NEXT) | instid1(VALU_DEP_2)
	v_add_f64 v[233:234], v[233:234], v[235:236]
	v_add_f64 v[229:230], v[229:230], v[231:232]
	s_delay_alu instid0(VALU_DEP_1) | instskip(SKIP_4) | instid1(SALU_CYCLE_1)
	v_cmp_lt_f64_e32 vcc_lo, v[229:230], v[233:234]
	v_dual_cndmask_b32 v210, v210, v227 :: v_dual_cndmask_b32 v209, v209, v226
	v_dual_cndmask_b32 v208, v208, v225 :: v_dual_cndmask_b32 v211, v211, v228
	v_cndmask_b32_e64 v216, v216, s6, vcc_lo
	s_add_i32 s6, s6, 1
	s_cmp_lg_u32 s5, s6
	s_cbranch_scc1 .LBB102_337
.LBB102_338:
	s_set_inst_prefetch_distance 0x2
	s_waitcnt lgkmcnt(0)
	v_cmp_eq_f64_e32 vcc_lo, 0, v[208:209]
	v_cmp_eq_f64_e64 s2, 0, v[210:211]
	s_delay_alu instid0(VALU_DEP_1) | instskip(NEXT) | instid1(SALU_CYCLE_1)
	s_and_b32 s2, vcc_lo, s2
	s_and_saveexec_b32 s3, s2
	s_delay_alu instid0(SALU_CYCLE_1)
	s_xor_b32 s2, exec_lo, s3
; %bb.339:
	v_cmp_ne_u32_e32 vcc_lo, 0, v221
	v_cndmask_b32_e32 v221, 17, v221, vcc_lo
; %bb.340:
	s_and_not1_saveexec_b32 s3, s2
	s_cbranch_execz .LBB102_346
; %bb.341:
	v_cmp_gt_f64_e32 vcc_lo, 0, v[208:209]
	v_cmp_gt_f64_e64 s2, 0, v[210:211]
	v_xor_b32_e32 v217, 0x80000000, v209
	v_xor_b32_e32 v225, 0x80000000, v211
	s_delay_alu instid0(VALU_DEP_2) | instskip(NEXT) | instid1(VALU_DEP_2)
	v_cndmask_b32_e32 v226, v209, v217, vcc_lo
	v_cndmask_b32_e64 v228, v211, v225, s2
	v_cndmask_b32_e32 v225, v208, v208, vcc_lo
	v_cndmask_b32_e64 v227, v210, v210, s2
	s_mov_b32 s2, exec_lo
	s_delay_alu instid0(VALU_DEP_1)
	v_cmpx_ngt_f64_e32 v[225:226], v[227:228]
	s_xor_b32 s2, exec_lo, s2
	s_cbranch_execz .LBB102_343
; %bb.342:
	v_div_scale_f64 v[225:226], null, v[210:211], v[210:211], v[208:209]
	v_div_scale_f64 v[231:232], vcc_lo, v[208:209], v[210:211], v[208:209]
	s_delay_alu instid0(VALU_DEP_2) | instskip(SKIP_2) | instid1(VALU_DEP_1)
	v_rcp_f64_e32 v[227:228], v[225:226]
	s_waitcnt_depctr 0xfff
	v_fma_f64 v[229:230], -v[225:226], v[227:228], 1.0
	v_fma_f64 v[227:228], v[227:228], v[229:230], v[227:228]
	s_delay_alu instid0(VALU_DEP_1) | instskip(NEXT) | instid1(VALU_DEP_1)
	v_fma_f64 v[229:230], -v[225:226], v[227:228], 1.0
	v_fma_f64 v[227:228], v[227:228], v[229:230], v[227:228]
	s_delay_alu instid0(VALU_DEP_1) | instskip(NEXT) | instid1(VALU_DEP_1)
	v_mul_f64 v[229:230], v[231:232], v[227:228]
	v_fma_f64 v[225:226], -v[225:226], v[229:230], v[231:232]
	s_delay_alu instid0(VALU_DEP_1) | instskip(NEXT) | instid1(VALU_DEP_1)
	v_div_fmas_f64 v[225:226], v[225:226], v[227:228], v[229:230]
	v_div_fixup_f64 v[225:226], v[225:226], v[210:211], v[208:209]
	s_delay_alu instid0(VALU_DEP_1) | instskip(NEXT) | instid1(VALU_DEP_1)
	v_fma_f64 v[208:209], v[208:209], v[225:226], v[210:211]
	v_div_scale_f64 v[210:211], null, v[208:209], v[208:209], 1.0
	s_delay_alu instid0(VALU_DEP_1) | instskip(SKIP_2) | instid1(VALU_DEP_1)
	v_rcp_f64_e32 v[227:228], v[210:211]
	s_waitcnt_depctr 0xfff
	v_fma_f64 v[229:230], -v[210:211], v[227:228], 1.0
	v_fma_f64 v[227:228], v[227:228], v[229:230], v[227:228]
	s_delay_alu instid0(VALU_DEP_1) | instskip(NEXT) | instid1(VALU_DEP_1)
	v_fma_f64 v[229:230], -v[210:211], v[227:228], 1.0
	v_fma_f64 v[227:228], v[227:228], v[229:230], v[227:228]
	v_div_scale_f64 v[229:230], vcc_lo, 1.0, v[208:209], 1.0
	s_delay_alu instid0(VALU_DEP_1) | instskip(NEXT) | instid1(VALU_DEP_1)
	v_mul_f64 v[231:232], v[229:230], v[227:228]
	v_fma_f64 v[210:211], -v[210:211], v[231:232], v[229:230]
	s_delay_alu instid0(VALU_DEP_1) | instskip(NEXT) | instid1(VALU_DEP_1)
	v_div_fmas_f64 v[210:211], v[210:211], v[227:228], v[231:232]
	v_div_fixup_f64 v[210:211], v[210:211], v[208:209], 1.0
	s_delay_alu instid0(VALU_DEP_1)
	v_mul_f64 v[208:209], v[225:226], v[210:211]
	v_xor_b32_e32 v211, 0x80000000, v211
.LBB102_343:
	s_and_not1_saveexec_b32 s2, s2
	s_cbranch_execz .LBB102_345
; %bb.344:
	s_delay_alu instid0(VALU_DEP_1) | instskip(SKIP_1) | instid1(VALU_DEP_2)
	v_div_scale_f64 v[225:226], null, v[208:209], v[208:209], v[210:211]
	v_div_scale_f64 v[231:232], vcc_lo, v[210:211], v[208:209], v[210:211]
	v_rcp_f64_e32 v[227:228], v[225:226]
	s_waitcnt_depctr 0xfff
	v_fma_f64 v[229:230], -v[225:226], v[227:228], 1.0
	s_delay_alu instid0(VALU_DEP_1) | instskip(NEXT) | instid1(VALU_DEP_1)
	v_fma_f64 v[227:228], v[227:228], v[229:230], v[227:228]
	v_fma_f64 v[229:230], -v[225:226], v[227:228], 1.0
	s_delay_alu instid0(VALU_DEP_1) | instskip(NEXT) | instid1(VALU_DEP_1)
	v_fma_f64 v[227:228], v[227:228], v[229:230], v[227:228]
	v_mul_f64 v[229:230], v[231:232], v[227:228]
	s_delay_alu instid0(VALU_DEP_1) | instskip(NEXT) | instid1(VALU_DEP_1)
	v_fma_f64 v[225:226], -v[225:226], v[229:230], v[231:232]
	v_div_fmas_f64 v[225:226], v[225:226], v[227:228], v[229:230]
	s_delay_alu instid0(VALU_DEP_1) | instskip(NEXT) | instid1(VALU_DEP_1)
	v_div_fixup_f64 v[225:226], v[225:226], v[208:209], v[210:211]
	v_fma_f64 v[208:209], v[210:211], v[225:226], v[208:209]
	s_delay_alu instid0(VALU_DEP_1) | instskip(NEXT) | instid1(VALU_DEP_1)
	v_div_scale_f64 v[210:211], null, v[208:209], v[208:209], 1.0
	v_rcp_f64_e32 v[227:228], v[210:211]
	s_waitcnt_depctr 0xfff
	v_fma_f64 v[229:230], -v[210:211], v[227:228], 1.0
	s_delay_alu instid0(VALU_DEP_1) | instskip(NEXT) | instid1(VALU_DEP_1)
	v_fma_f64 v[227:228], v[227:228], v[229:230], v[227:228]
	v_fma_f64 v[229:230], -v[210:211], v[227:228], 1.0
	s_delay_alu instid0(VALU_DEP_1) | instskip(SKIP_1) | instid1(VALU_DEP_1)
	v_fma_f64 v[227:228], v[227:228], v[229:230], v[227:228]
	v_div_scale_f64 v[229:230], vcc_lo, 1.0, v[208:209], 1.0
	v_mul_f64 v[231:232], v[229:230], v[227:228]
	s_delay_alu instid0(VALU_DEP_1) | instskip(NEXT) | instid1(VALU_DEP_1)
	v_fma_f64 v[210:211], -v[210:211], v[231:232], v[229:230]
	v_div_fmas_f64 v[210:211], v[210:211], v[227:228], v[231:232]
	s_delay_alu instid0(VALU_DEP_1) | instskip(NEXT) | instid1(VALU_DEP_1)
	v_div_fixup_f64 v[208:209], v[210:211], v[208:209], 1.0
	v_mul_f64 v[210:211], v[225:226], -v[208:209]
.LBB102_345:
	s_or_b32 exec_lo, exec_lo, s2
.LBB102_346:
	s_delay_alu instid0(SALU_CYCLE_1) | instskip(NEXT) | instid1(SALU_CYCLE_1)
	s_or_b32 exec_lo, exec_lo, s3
	s_mov_b32 s2, exec_lo
	v_cmpx_ne_u32_e64 v224, v216
	s_xor_b32 s2, exec_lo, s2
	s_cbranch_execz .LBB102_352
; %bb.347:
	s_mov_b32 s3, exec_lo
	v_cmpx_eq_u32_e32 16, v224
	s_cbranch_execz .LBB102_351
; %bb.348:
	v_cmp_ne_u32_e32 vcc_lo, 16, v216
	s_xor_b32 s6, s4, -1
	s_delay_alu instid0(SALU_CYCLE_1) | instskip(NEXT) | instid1(SALU_CYCLE_1)
	s_and_b32 s7, s6, vcc_lo
	s_and_saveexec_b32 s6, s7
	s_cbranch_execz .LBB102_350
; %bb.349:
	v_ashrrev_i32_e32 v217, 31, v216
	s_delay_alu instid0(VALU_DEP_1) | instskip(NEXT) | instid1(VALU_DEP_1)
	v_lshlrev_b64 v[223:224], 2, v[216:217]
	v_add_co_u32 v223, vcc_lo, v214, v223
	s_delay_alu instid0(VALU_DEP_2)
	v_add_co_ci_u32_e32 v224, vcc_lo, v215, v224, vcc_lo
	s_clause 0x1
	flat_load_b32 v217, v[223:224]
	flat_load_b32 v225, v[214:215] offset:64
	s_waitcnt vmcnt(1) lgkmcnt(1)
	flat_store_b32 v[214:215], v217 offset:64
	s_waitcnt vmcnt(0) lgkmcnt(1)
	flat_store_b32 v[223:224], v225
.LBB102_350:
	s_or_b32 exec_lo, exec_lo, s6
	v_mov_b32_e32 v224, v216
	v_mov_b32_e32 v223, v216
.LBB102_351:
	s_or_b32 exec_lo, exec_lo, s3
.LBB102_352:
	s_and_not1_saveexec_b32 s2, s2
	s_cbranch_execz .LBB102_354
; %bb.353:
	v_mov_b32_e32 v224, 16
	ds_store_2addr_b64 v218, v[136:137], v[138:139] offset0:34 offset1:35
	ds_store_2addr_b64 v218, v[132:133], v[134:135] offset0:36 offset1:37
	;; [unrolled: 1-line block ×35, first 2 shown]
.LBB102_354:
	s_or_b32 exec_lo, exec_lo, s2
	s_delay_alu instid0(SALU_CYCLE_1)
	s_mov_b32 s2, exec_lo
	s_waitcnt lgkmcnt(0)
	s_waitcnt_vscnt null, 0x0
	s_barrier
	buffer_gl0_inv
	v_cmpx_lt_i32_e32 16, v224
	s_cbranch_execz .LBB102_356
; %bb.355:
	v_mul_f64 v[216:217], v[210:211], v[142:143]
	v_mul_f64 v[142:143], v[208:209], v[142:143]
	s_delay_alu instid0(VALU_DEP_2) | instskip(NEXT) | instid1(VALU_DEP_2)
	v_fma_f64 v[216:217], v[208:209], v[140:141], -v[216:217]
	v_fma_f64 v[142:143], v[210:211], v[140:141], v[142:143]
	ds_load_2addr_b64 v[208:211], v218 offset0:34 offset1:35
	s_waitcnt lgkmcnt(0)
	v_mul_f64 v[140:141], v[210:211], v[142:143]
	s_delay_alu instid0(VALU_DEP_1) | instskip(SKIP_1) | instid1(VALU_DEP_2)
	v_fma_f64 v[140:141], v[208:209], v[216:217], -v[140:141]
	v_mul_f64 v[208:209], v[208:209], v[142:143]
	v_add_f64 v[136:137], v[136:137], -v[140:141]
	s_delay_alu instid0(VALU_DEP_2) | instskip(NEXT) | instid1(VALU_DEP_1)
	v_fma_f64 v[208:209], v[210:211], v[216:217], v[208:209]
	v_add_f64 v[138:139], v[138:139], -v[208:209]
	ds_load_2addr_b64 v[208:211], v218 offset0:36 offset1:37
	s_waitcnt lgkmcnt(0)
	v_mul_f64 v[140:141], v[210:211], v[142:143]
	s_delay_alu instid0(VALU_DEP_1) | instskip(SKIP_1) | instid1(VALU_DEP_2)
	v_fma_f64 v[140:141], v[208:209], v[216:217], -v[140:141]
	v_mul_f64 v[208:209], v[208:209], v[142:143]
	v_add_f64 v[132:133], v[132:133], -v[140:141]
	s_delay_alu instid0(VALU_DEP_2) | instskip(NEXT) | instid1(VALU_DEP_1)
	v_fma_f64 v[208:209], v[210:211], v[216:217], v[208:209]
	v_add_f64 v[134:135], v[134:135], -v[208:209]
	;; [unrolled: 10-line block ×34, first 2 shown]
	ds_load_2addr_b64 v[208:211], v218 offset0:102 offset1:103
	s_waitcnt lgkmcnt(0)
	v_mul_f64 v[140:141], v[210:211], v[142:143]
	s_delay_alu instid0(VALU_DEP_1) | instskip(SKIP_1) | instid1(VALU_DEP_2)
	v_fma_f64 v[140:141], v[208:209], v[216:217], -v[140:141]
	v_mul_f64 v[208:209], v[208:209], v[142:143]
	v_add_f64 v[0:1], v[0:1], -v[140:141]
	s_delay_alu instid0(VALU_DEP_2) | instskip(SKIP_1) | instid1(VALU_DEP_2)
	v_fma_f64 v[208:209], v[210:211], v[216:217], v[208:209]
	v_dual_mov_b32 v140, v216 :: v_dual_mov_b32 v141, v217
	v_add_f64 v[2:3], v[2:3], -v[208:209]
.LBB102_356:
	s_or_b32 exec_lo, exec_lo, s2
	v_lshl_add_u32 v208, v224, 4, v218
	s_barrier
	buffer_gl0_inv
	v_mov_b32_e32 v216, 17
	ds_store_2addr_b64 v208, v[136:137], v[138:139] offset1:1
	s_waitcnt lgkmcnt(0)
	s_barrier
	buffer_gl0_inv
	ds_load_2addr_b64 v[208:211], v218 offset0:34 offset1:35
	s_cmp_lt_i32 s5, 19
	s_cbranch_scc1 .LBB102_359
; %bb.357:
	v_add3_u32 v217, v222, 0, 0x120
	v_mov_b32_e32 v216, 17
	s_mov_b32 s6, 18
	s_set_inst_prefetch_distance 0x1
	.p2align	6
.LBB102_358:                            ; =>This Inner Loop Header: Depth=1
	ds_load_2addr_b64 v[225:228], v217 offset1:1
	s_waitcnt lgkmcnt(1)
	v_cmp_gt_f64_e32 vcc_lo, 0, v[208:209]
	v_xor_b32_e32 v229, 0x80000000, v209
	v_cmp_gt_f64_e64 s2, 0, v[210:211]
	v_xor_b32_e32 v231, 0x80000000, v211
	v_add_nc_u32_e32 v217, 16, v217
	s_waitcnt lgkmcnt(0)
	v_cmp_gt_f64_e64 s3, 0, v[225:226]
	v_mov_b32_e32 v233, v225
	v_dual_mov_b32 v235, v227 :: v_dual_cndmask_b32 v230, v209, v229
	v_xor_b32_e32 v229, 0x80000000, v226
	v_cndmask_b32_e64 v232, v211, v231, s2
	v_xor_b32_e32 v231, 0x80000000, v228
	s_delay_alu instid0(VALU_DEP_3) | instskip(SKIP_2) | instid1(VALU_DEP_2)
	v_cndmask_b32_e64 v234, v226, v229, s3
	v_cmp_gt_f64_e64 s3, 0, v[227:228]
	v_cndmask_b32_e32 v229, v208, v208, vcc_lo
	v_cndmask_b32_e64 v236, v228, v231, s3
	v_cndmask_b32_e64 v231, v210, v210, s2
	s_delay_alu instid0(VALU_DEP_2) | instskip(NEXT) | instid1(VALU_DEP_2)
	v_add_f64 v[233:234], v[233:234], v[235:236]
	v_add_f64 v[229:230], v[229:230], v[231:232]
	s_delay_alu instid0(VALU_DEP_1) | instskip(SKIP_4) | instid1(SALU_CYCLE_1)
	v_cmp_lt_f64_e32 vcc_lo, v[229:230], v[233:234]
	v_dual_cndmask_b32 v210, v210, v227 :: v_dual_cndmask_b32 v209, v209, v226
	v_dual_cndmask_b32 v208, v208, v225 :: v_dual_cndmask_b32 v211, v211, v228
	v_cndmask_b32_e64 v216, v216, s6, vcc_lo
	s_add_i32 s6, s6, 1
	s_cmp_lg_u32 s5, s6
	s_cbranch_scc1 .LBB102_358
.LBB102_359:
	s_set_inst_prefetch_distance 0x2
	s_waitcnt lgkmcnt(0)
	v_cmp_eq_f64_e32 vcc_lo, 0, v[208:209]
	v_cmp_eq_f64_e64 s2, 0, v[210:211]
	s_delay_alu instid0(VALU_DEP_1) | instskip(NEXT) | instid1(SALU_CYCLE_1)
	s_and_b32 s2, vcc_lo, s2
	s_and_saveexec_b32 s3, s2
	s_delay_alu instid0(SALU_CYCLE_1)
	s_xor_b32 s2, exec_lo, s3
; %bb.360:
	v_cmp_ne_u32_e32 vcc_lo, 0, v221
	v_cndmask_b32_e32 v221, 18, v221, vcc_lo
; %bb.361:
	s_and_not1_saveexec_b32 s3, s2
	s_cbranch_execz .LBB102_367
; %bb.362:
	v_cmp_gt_f64_e32 vcc_lo, 0, v[208:209]
	v_cmp_gt_f64_e64 s2, 0, v[210:211]
	v_xor_b32_e32 v217, 0x80000000, v209
	v_xor_b32_e32 v225, 0x80000000, v211
	s_delay_alu instid0(VALU_DEP_2) | instskip(NEXT) | instid1(VALU_DEP_2)
	v_cndmask_b32_e32 v226, v209, v217, vcc_lo
	v_cndmask_b32_e64 v228, v211, v225, s2
	v_cndmask_b32_e32 v225, v208, v208, vcc_lo
	v_cndmask_b32_e64 v227, v210, v210, s2
	s_mov_b32 s2, exec_lo
	s_delay_alu instid0(VALU_DEP_1)
	v_cmpx_ngt_f64_e32 v[225:226], v[227:228]
	s_xor_b32 s2, exec_lo, s2
	s_cbranch_execz .LBB102_364
; %bb.363:
	v_div_scale_f64 v[225:226], null, v[210:211], v[210:211], v[208:209]
	v_div_scale_f64 v[231:232], vcc_lo, v[208:209], v[210:211], v[208:209]
	s_delay_alu instid0(VALU_DEP_2) | instskip(SKIP_2) | instid1(VALU_DEP_1)
	v_rcp_f64_e32 v[227:228], v[225:226]
	s_waitcnt_depctr 0xfff
	v_fma_f64 v[229:230], -v[225:226], v[227:228], 1.0
	v_fma_f64 v[227:228], v[227:228], v[229:230], v[227:228]
	s_delay_alu instid0(VALU_DEP_1) | instskip(NEXT) | instid1(VALU_DEP_1)
	v_fma_f64 v[229:230], -v[225:226], v[227:228], 1.0
	v_fma_f64 v[227:228], v[227:228], v[229:230], v[227:228]
	s_delay_alu instid0(VALU_DEP_1) | instskip(NEXT) | instid1(VALU_DEP_1)
	v_mul_f64 v[229:230], v[231:232], v[227:228]
	v_fma_f64 v[225:226], -v[225:226], v[229:230], v[231:232]
	s_delay_alu instid0(VALU_DEP_1) | instskip(NEXT) | instid1(VALU_DEP_1)
	v_div_fmas_f64 v[225:226], v[225:226], v[227:228], v[229:230]
	v_div_fixup_f64 v[225:226], v[225:226], v[210:211], v[208:209]
	s_delay_alu instid0(VALU_DEP_1) | instskip(NEXT) | instid1(VALU_DEP_1)
	v_fma_f64 v[208:209], v[208:209], v[225:226], v[210:211]
	v_div_scale_f64 v[210:211], null, v[208:209], v[208:209], 1.0
	s_delay_alu instid0(VALU_DEP_1) | instskip(SKIP_2) | instid1(VALU_DEP_1)
	v_rcp_f64_e32 v[227:228], v[210:211]
	s_waitcnt_depctr 0xfff
	v_fma_f64 v[229:230], -v[210:211], v[227:228], 1.0
	v_fma_f64 v[227:228], v[227:228], v[229:230], v[227:228]
	s_delay_alu instid0(VALU_DEP_1) | instskip(NEXT) | instid1(VALU_DEP_1)
	v_fma_f64 v[229:230], -v[210:211], v[227:228], 1.0
	v_fma_f64 v[227:228], v[227:228], v[229:230], v[227:228]
	v_div_scale_f64 v[229:230], vcc_lo, 1.0, v[208:209], 1.0
	s_delay_alu instid0(VALU_DEP_1) | instskip(NEXT) | instid1(VALU_DEP_1)
	v_mul_f64 v[231:232], v[229:230], v[227:228]
	v_fma_f64 v[210:211], -v[210:211], v[231:232], v[229:230]
	s_delay_alu instid0(VALU_DEP_1) | instskip(NEXT) | instid1(VALU_DEP_1)
	v_div_fmas_f64 v[210:211], v[210:211], v[227:228], v[231:232]
	v_div_fixup_f64 v[210:211], v[210:211], v[208:209], 1.0
	s_delay_alu instid0(VALU_DEP_1)
	v_mul_f64 v[208:209], v[225:226], v[210:211]
	v_xor_b32_e32 v211, 0x80000000, v211
.LBB102_364:
	s_and_not1_saveexec_b32 s2, s2
	s_cbranch_execz .LBB102_366
; %bb.365:
	s_delay_alu instid0(VALU_DEP_1) | instskip(SKIP_1) | instid1(VALU_DEP_2)
	v_div_scale_f64 v[225:226], null, v[208:209], v[208:209], v[210:211]
	v_div_scale_f64 v[231:232], vcc_lo, v[210:211], v[208:209], v[210:211]
	v_rcp_f64_e32 v[227:228], v[225:226]
	s_waitcnt_depctr 0xfff
	v_fma_f64 v[229:230], -v[225:226], v[227:228], 1.0
	s_delay_alu instid0(VALU_DEP_1) | instskip(NEXT) | instid1(VALU_DEP_1)
	v_fma_f64 v[227:228], v[227:228], v[229:230], v[227:228]
	v_fma_f64 v[229:230], -v[225:226], v[227:228], 1.0
	s_delay_alu instid0(VALU_DEP_1) | instskip(NEXT) | instid1(VALU_DEP_1)
	v_fma_f64 v[227:228], v[227:228], v[229:230], v[227:228]
	v_mul_f64 v[229:230], v[231:232], v[227:228]
	s_delay_alu instid0(VALU_DEP_1) | instskip(NEXT) | instid1(VALU_DEP_1)
	v_fma_f64 v[225:226], -v[225:226], v[229:230], v[231:232]
	v_div_fmas_f64 v[225:226], v[225:226], v[227:228], v[229:230]
	s_delay_alu instid0(VALU_DEP_1) | instskip(NEXT) | instid1(VALU_DEP_1)
	v_div_fixup_f64 v[225:226], v[225:226], v[208:209], v[210:211]
	v_fma_f64 v[208:209], v[210:211], v[225:226], v[208:209]
	s_delay_alu instid0(VALU_DEP_1) | instskip(NEXT) | instid1(VALU_DEP_1)
	v_div_scale_f64 v[210:211], null, v[208:209], v[208:209], 1.0
	v_rcp_f64_e32 v[227:228], v[210:211]
	s_waitcnt_depctr 0xfff
	v_fma_f64 v[229:230], -v[210:211], v[227:228], 1.0
	s_delay_alu instid0(VALU_DEP_1) | instskip(NEXT) | instid1(VALU_DEP_1)
	v_fma_f64 v[227:228], v[227:228], v[229:230], v[227:228]
	v_fma_f64 v[229:230], -v[210:211], v[227:228], 1.0
	s_delay_alu instid0(VALU_DEP_1) | instskip(SKIP_1) | instid1(VALU_DEP_1)
	v_fma_f64 v[227:228], v[227:228], v[229:230], v[227:228]
	v_div_scale_f64 v[229:230], vcc_lo, 1.0, v[208:209], 1.0
	v_mul_f64 v[231:232], v[229:230], v[227:228]
	s_delay_alu instid0(VALU_DEP_1) | instskip(NEXT) | instid1(VALU_DEP_1)
	v_fma_f64 v[210:211], -v[210:211], v[231:232], v[229:230]
	v_div_fmas_f64 v[210:211], v[210:211], v[227:228], v[231:232]
	s_delay_alu instid0(VALU_DEP_1) | instskip(NEXT) | instid1(VALU_DEP_1)
	v_div_fixup_f64 v[208:209], v[210:211], v[208:209], 1.0
	v_mul_f64 v[210:211], v[225:226], -v[208:209]
.LBB102_366:
	s_or_b32 exec_lo, exec_lo, s2
.LBB102_367:
	s_delay_alu instid0(SALU_CYCLE_1) | instskip(NEXT) | instid1(SALU_CYCLE_1)
	s_or_b32 exec_lo, exec_lo, s3
	s_mov_b32 s2, exec_lo
	v_cmpx_ne_u32_e64 v224, v216
	s_xor_b32 s2, exec_lo, s2
	s_cbranch_execz .LBB102_373
; %bb.368:
	s_mov_b32 s3, exec_lo
	v_cmpx_eq_u32_e32 17, v224
	s_cbranch_execz .LBB102_372
; %bb.369:
	v_cmp_ne_u32_e32 vcc_lo, 17, v216
	s_xor_b32 s6, s4, -1
	s_delay_alu instid0(SALU_CYCLE_1) | instskip(NEXT) | instid1(SALU_CYCLE_1)
	s_and_b32 s7, s6, vcc_lo
	s_and_saveexec_b32 s6, s7
	s_cbranch_execz .LBB102_371
; %bb.370:
	v_ashrrev_i32_e32 v217, 31, v216
	s_delay_alu instid0(VALU_DEP_1) | instskip(NEXT) | instid1(VALU_DEP_1)
	v_lshlrev_b64 v[223:224], 2, v[216:217]
	v_add_co_u32 v223, vcc_lo, v214, v223
	s_delay_alu instid0(VALU_DEP_2)
	v_add_co_ci_u32_e32 v224, vcc_lo, v215, v224, vcc_lo
	s_clause 0x1
	flat_load_b32 v217, v[223:224]
	flat_load_b32 v225, v[214:215] offset:68
	s_waitcnt vmcnt(1) lgkmcnt(1)
	flat_store_b32 v[214:215], v217 offset:68
	s_waitcnt vmcnt(0) lgkmcnt(1)
	flat_store_b32 v[223:224], v225
.LBB102_371:
	s_or_b32 exec_lo, exec_lo, s6
	v_mov_b32_e32 v224, v216
	v_mov_b32_e32 v223, v216
.LBB102_372:
	s_or_b32 exec_lo, exec_lo, s3
.LBB102_373:
	s_and_not1_saveexec_b32 s2, s2
	s_cbranch_execz .LBB102_375
; %bb.374:
	v_mov_b32_e32 v224, 17
	ds_store_2addr_b64 v218, v[132:133], v[134:135] offset0:36 offset1:37
	ds_store_2addr_b64 v218, v[128:129], v[130:131] offset0:38 offset1:39
	;; [unrolled: 1-line block ×34, first 2 shown]
.LBB102_375:
	s_or_b32 exec_lo, exec_lo, s2
	s_delay_alu instid0(SALU_CYCLE_1)
	s_mov_b32 s2, exec_lo
	s_waitcnt lgkmcnt(0)
	s_waitcnt_vscnt null, 0x0
	s_barrier
	buffer_gl0_inv
	v_cmpx_lt_i32_e32 17, v224
	s_cbranch_execz .LBB102_377
; %bb.376:
	v_mul_f64 v[216:217], v[210:211], v[138:139]
	v_mul_f64 v[138:139], v[208:209], v[138:139]
	s_delay_alu instid0(VALU_DEP_2) | instskip(NEXT) | instid1(VALU_DEP_2)
	v_fma_f64 v[216:217], v[208:209], v[136:137], -v[216:217]
	v_fma_f64 v[138:139], v[210:211], v[136:137], v[138:139]
	ds_load_2addr_b64 v[208:211], v218 offset0:36 offset1:37
	s_waitcnt lgkmcnt(0)
	v_mul_f64 v[136:137], v[210:211], v[138:139]
	s_delay_alu instid0(VALU_DEP_1) | instskip(SKIP_1) | instid1(VALU_DEP_2)
	v_fma_f64 v[136:137], v[208:209], v[216:217], -v[136:137]
	v_mul_f64 v[208:209], v[208:209], v[138:139]
	v_add_f64 v[132:133], v[132:133], -v[136:137]
	s_delay_alu instid0(VALU_DEP_2) | instskip(NEXT) | instid1(VALU_DEP_1)
	v_fma_f64 v[208:209], v[210:211], v[216:217], v[208:209]
	v_add_f64 v[134:135], v[134:135], -v[208:209]
	ds_load_2addr_b64 v[208:211], v218 offset0:38 offset1:39
	s_waitcnt lgkmcnt(0)
	v_mul_f64 v[136:137], v[210:211], v[138:139]
	s_delay_alu instid0(VALU_DEP_1) | instskip(SKIP_1) | instid1(VALU_DEP_2)
	v_fma_f64 v[136:137], v[208:209], v[216:217], -v[136:137]
	v_mul_f64 v[208:209], v[208:209], v[138:139]
	v_add_f64 v[128:129], v[128:129], -v[136:137]
	s_delay_alu instid0(VALU_DEP_2) | instskip(NEXT) | instid1(VALU_DEP_1)
	v_fma_f64 v[208:209], v[210:211], v[216:217], v[208:209]
	v_add_f64 v[130:131], v[130:131], -v[208:209]
	;; [unrolled: 10-line block ×33, first 2 shown]
	ds_load_2addr_b64 v[208:211], v218 offset0:102 offset1:103
	s_waitcnt lgkmcnt(0)
	v_mul_f64 v[136:137], v[210:211], v[138:139]
	s_delay_alu instid0(VALU_DEP_1) | instskip(SKIP_1) | instid1(VALU_DEP_2)
	v_fma_f64 v[136:137], v[208:209], v[216:217], -v[136:137]
	v_mul_f64 v[208:209], v[208:209], v[138:139]
	v_add_f64 v[0:1], v[0:1], -v[136:137]
	s_delay_alu instid0(VALU_DEP_2) | instskip(SKIP_1) | instid1(VALU_DEP_2)
	v_fma_f64 v[208:209], v[210:211], v[216:217], v[208:209]
	v_dual_mov_b32 v136, v216 :: v_dual_mov_b32 v137, v217
	v_add_f64 v[2:3], v[2:3], -v[208:209]
.LBB102_377:
	s_or_b32 exec_lo, exec_lo, s2
	v_lshl_add_u32 v208, v224, 4, v218
	s_barrier
	buffer_gl0_inv
	v_mov_b32_e32 v216, 18
	ds_store_2addr_b64 v208, v[132:133], v[134:135] offset1:1
	s_waitcnt lgkmcnt(0)
	s_barrier
	buffer_gl0_inv
	ds_load_2addr_b64 v[208:211], v218 offset0:36 offset1:37
	s_cmp_lt_i32 s5, 20
	s_cbranch_scc1 .LBB102_380
; %bb.378:
	v_add3_u32 v217, v222, 0, 0x130
	v_mov_b32_e32 v216, 18
	s_mov_b32 s6, 19
	s_set_inst_prefetch_distance 0x1
	.p2align	6
.LBB102_379:                            ; =>This Inner Loop Header: Depth=1
	ds_load_2addr_b64 v[225:228], v217 offset1:1
	s_waitcnt lgkmcnt(1)
	v_cmp_gt_f64_e32 vcc_lo, 0, v[208:209]
	v_xor_b32_e32 v229, 0x80000000, v209
	v_cmp_gt_f64_e64 s2, 0, v[210:211]
	v_xor_b32_e32 v231, 0x80000000, v211
	v_add_nc_u32_e32 v217, 16, v217
	s_waitcnt lgkmcnt(0)
	v_cmp_gt_f64_e64 s3, 0, v[225:226]
	v_mov_b32_e32 v233, v225
	v_dual_mov_b32 v235, v227 :: v_dual_cndmask_b32 v230, v209, v229
	v_xor_b32_e32 v229, 0x80000000, v226
	v_cndmask_b32_e64 v232, v211, v231, s2
	v_xor_b32_e32 v231, 0x80000000, v228
	s_delay_alu instid0(VALU_DEP_3) | instskip(SKIP_2) | instid1(VALU_DEP_2)
	v_cndmask_b32_e64 v234, v226, v229, s3
	v_cmp_gt_f64_e64 s3, 0, v[227:228]
	v_cndmask_b32_e32 v229, v208, v208, vcc_lo
	v_cndmask_b32_e64 v236, v228, v231, s3
	v_cndmask_b32_e64 v231, v210, v210, s2
	s_delay_alu instid0(VALU_DEP_2) | instskip(NEXT) | instid1(VALU_DEP_2)
	v_add_f64 v[233:234], v[233:234], v[235:236]
	v_add_f64 v[229:230], v[229:230], v[231:232]
	s_delay_alu instid0(VALU_DEP_1) | instskip(SKIP_4) | instid1(SALU_CYCLE_1)
	v_cmp_lt_f64_e32 vcc_lo, v[229:230], v[233:234]
	v_dual_cndmask_b32 v210, v210, v227 :: v_dual_cndmask_b32 v209, v209, v226
	v_dual_cndmask_b32 v208, v208, v225 :: v_dual_cndmask_b32 v211, v211, v228
	v_cndmask_b32_e64 v216, v216, s6, vcc_lo
	s_add_i32 s6, s6, 1
	s_cmp_lg_u32 s5, s6
	s_cbranch_scc1 .LBB102_379
.LBB102_380:
	s_set_inst_prefetch_distance 0x2
	s_waitcnt lgkmcnt(0)
	v_cmp_eq_f64_e32 vcc_lo, 0, v[208:209]
	v_cmp_eq_f64_e64 s2, 0, v[210:211]
	s_delay_alu instid0(VALU_DEP_1) | instskip(NEXT) | instid1(SALU_CYCLE_1)
	s_and_b32 s2, vcc_lo, s2
	s_and_saveexec_b32 s3, s2
	s_delay_alu instid0(SALU_CYCLE_1)
	s_xor_b32 s2, exec_lo, s3
; %bb.381:
	v_cmp_ne_u32_e32 vcc_lo, 0, v221
	v_cndmask_b32_e32 v221, 19, v221, vcc_lo
; %bb.382:
	s_and_not1_saveexec_b32 s3, s2
	s_cbranch_execz .LBB102_388
; %bb.383:
	v_cmp_gt_f64_e32 vcc_lo, 0, v[208:209]
	v_cmp_gt_f64_e64 s2, 0, v[210:211]
	v_xor_b32_e32 v217, 0x80000000, v209
	v_xor_b32_e32 v225, 0x80000000, v211
	s_delay_alu instid0(VALU_DEP_2) | instskip(NEXT) | instid1(VALU_DEP_2)
	v_cndmask_b32_e32 v226, v209, v217, vcc_lo
	v_cndmask_b32_e64 v228, v211, v225, s2
	v_cndmask_b32_e32 v225, v208, v208, vcc_lo
	v_cndmask_b32_e64 v227, v210, v210, s2
	s_mov_b32 s2, exec_lo
	s_delay_alu instid0(VALU_DEP_1)
	v_cmpx_ngt_f64_e32 v[225:226], v[227:228]
	s_xor_b32 s2, exec_lo, s2
	s_cbranch_execz .LBB102_385
; %bb.384:
	v_div_scale_f64 v[225:226], null, v[210:211], v[210:211], v[208:209]
	v_div_scale_f64 v[231:232], vcc_lo, v[208:209], v[210:211], v[208:209]
	s_delay_alu instid0(VALU_DEP_2) | instskip(SKIP_2) | instid1(VALU_DEP_1)
	v_rcp_f64_e32 v[227:228], v[225:226]
	s_waitcnt_depctr 0xfff
	v_fma_f64 v[229:230], -v[225:226], v[227:228], 1.0
	v_fma_f64 v[227:228], v[227:228], v[229:230], v[227:228]
	s_delay_alu instid0(VALU_DEP_1) | instskip(NEXT) | instid1(VALU_DEP_1)
	v_fma_f64 v[229:230], -v[225:226], v[227:228], 1.0
	v_fma_f64 v[227:228], v[227:228], v[229:230], v[227:228]
	s_delay_alu instid0(VALU_DEP_1) | instskip(NEXT) | instid1(VALU_DEP_1)
	v_mul_f64 v[229:230], v[231:232], v[227:228]
	v_fma_f64 v[225:226], -v[225:226], v[229:230], v[231:232]
	s_delay_alu instid0(VALU_DEP_1) | instskip(NEXT) | instid1(VALU_DEP_1)
	v_div_fmas_f64 v[225:226], v[225:226], v[227:228], v[229:230]
	v_div_fixup_f64 v[225:226], v[225:226], v[210:211], v[208:209]
	s_delay_alu instid0(VALU_DEP_1) | instskip(NEXT) | instid1(VALU_DEP_1)
	v_fma_f64 v[208:209], v[208:209], v[225:226], v[210:211]
	v_div_scale_f64 v[210:211], null, v[208:209], v[208:209], 1.0
	s_delay_alu instid0(VALU_DEP_1) | instskip(SKIP_2) | instid1(VALU_DEP_1)
	v_rcp_f64_e32 v[227:228], v[210:211]
	s_waitcnt_depctr 0xfff
	v_fma_f64 v[229:230], -v[210:211], v[227:228], 1.0
	v_fma_f64 v[227:228], v[227:228], v[229:230], v[227:228]
	s_delay_alu instid0(VALU_DEP_1) | instskip(NEXT) | instid1(VALU_DEP_1)
	v_fma_f64 v[229:230], -v[210:211], v[227:228], 1.0
	v_fma_f64 v[227:228], v[227:228], v[229:230], v[227:228]
	v_div_scale_f64 v[229:230], vcc_lo, 1.0, v[208:209], 1.0
	s_delay_alu instid0(VALU_DEP_1) | instskip(NEXT) | instid1(VALU_DEP_1)
	v_mul_f64 v[231:232], v[229:230], v[227:228]
	v_fma_f64 v[210:211], -v[210:211], v[231:232], v[229:230]
	s_delay_alu instid0(VALU_DEP_1) | instskip(NEXT) | instid1(VALU_DEP_1)
	v_div_fmas_f64 v[210:211], v[210:211], v[227:228], v[231:232]
	v_div_fixup_f64 v[210:211], v[210:211], v[208:209], 1.0
	s_delay_alu instid0(VALU_DEP_1)
	v_mul_f64 v[208:209], v[225:226], v[210:211]
	v_xor_b32_e32 v211, 0x80000000, v211
.LBB102_385:
	s_and_not1_saveexec_b32 s2, s2
	s_cbranch_execz .LBB102_387
; %bb.386:
	s_delay_alu instid0(VALU_DEP_1) | instskip(SKIP_1) | instid1(VALU_DEP_2)
	v_div_scale_f64 v[225:226], null, v[208:209], v[208:209], v[210:211]
	v_div_scale_f64 v[231:232], vcc_lo, v[210:211], v[208:209], v[210:211]
	v_rcp_f64_e32 v[227:228], v[225:226]
	s_waitcnt_depctr 0xfff
	v_fma_f64 v[229:230], -v[225:226], v[227:228], 1.0
	s_delay_alu instid0(VALU_DEP_1) | instskip(NEXT) | instid1(VALU_DEP_1)
	v_fma_f64 v[227:228], v[227:228], v[229:230], v[227:228]
	v_fma_f64 v[229:230], -v[225:226], v[227:228], 1.0
	s_delay_alu instid0(VALU_DEP_1) | instskip(NEXT) | instid1(VALU_DEP_1)
	v_fma_f64 v[227:228], v[227:228], v[229:230], v[227:228]
	v_mul_f64 v[229:230], v[231:232], v[227:228]
	s_delay_alu instid0(VALU_DEP_1) | instskip(NEXT) | instid1(VALU_DEP_1)
	v_fma_f64 v[225:226], -v[225:226], v[229:230], v[231:232]
	v_div_fmas_f64 v[225:226], v[225:226], v[227:228], v[229:230]
	s_delay_alu instid0(VALU_DEP_1) | instskip(NEXT) | instid1(VALU_DEP_1)
	v_div_fixup_f64 v[225:226], v[225:226], v[208:209], v[210:211]
	v_fma_f64 v[208:209], v[210:211], v[225:226], v[208:209]
	s_delay_alu instid0(VALU_DEP_1) | instskip(NEXT) | instid1(VALU_DEP_1)
	v_div_scale_f64 v[210:211], null, v[208:209], v[208:209], 1.0
	v_rcp_f64_e32 v[227:228], v[210:211]
	s_waitcnt_depctr 0xfff
	v_fma_f64 v[229:230], -v[210:211], v[227:228], 1.0
	s_delay_alu instid0(VALU_DEP_1) | instskip(NEXT) | instid1(VALU_DEP_1)
	v_fma_f64 v[227:228], v[227:228], v[229:230], v[227:228]
	v_fma_f64 v[229:230], -v[210:211], v[227:228], 1.0
	s_delay_alu instid0(VALU_DEP_1) | instskip(SKIP_1) | instid1(VALU_DEP_1)
	v_fma_f64 v[227:228], v[227:228], v[229:230], v[227:228]
	v_div_scale_f64 v[229:230], vcc_lo, 1.0, v[208:209], 1.0
	v_mul_f64 v[231:232], v[229:230], v[227:228]
	s_delay_alu instid0(VALU_DEP_1) | instskip(NEXT) | instid1(VALU_DEP_1)
	v_fma_f64 v[210:211], -v[210:211], v[231:232], v[229:230]
	v_div_fmas_f64 v[210:211], v[210:211], v[227:228], v[231:232]
	s_delay_alu instid0(VALU_DEP_1) | instskip(NEXT) | instid1(VALU_DEP_1)
	v_div_fixup_f64 v[208:209], v[210:211], v[208:209], 1.0
	v_mul_f64 v[210:211], v[225:226], -v[208:209]
.LBB102_387:
	s_or_b32 exec_lo, exec_lo, s2
.LBB102_388:
	s_delay_alu instid0(SALU_CYCLE_1) | instskip(NEXT) | instid1(SALU_CYCLE_1)
	s_or_b32 exec_lo, exec_lo, s3
	s_mov_b32 s2, exec_lo
	v_cmpx_ne_u32_e64 v224, v216
	s_xor_b32 s2, exec_lo, s2
	s_cbranch_execz .LBB102_394
; %bb.389:
	s_mov_b32 s3, exec_lo
	v_cmpx_eq_u32_e32 18, v224
	s_cbranch_execz .LBB102_393
; %bb.390:
	v_cmp_ne_u32_e32 vcc_lo, 18, v216
	s_xor_b32 s6, s4, -1
	s_delay_alu instid0(SALU_CYCLE_1) | instskip(NEXT) | instid1(SALU_CYCLE_1)
	s_and_b32 s7, s6, vcc_lo
	s_and_saveexec_b32 s6, s7
	s_cbranch_execz .LBB102_392
; %bb.391:
	v_ashrrev_i32_e32 v217, 31, v216
	s_delay_alu instid0(VALU_DEP_1) | instskip(NEXT) | instid1(VALU_DEP_1)
	v_lshlrev_b64 v[223:224], 2, v[216:217]
	v_add_co_u32 v223, vcc_lo, v214, v223
	s_delay_alu instid0(VALU_DEP_2)
	v_add_co_ci_u32_e32 v224, vcc_lo, v215, v224, vcc_lo
	s_clause 0x1
	flat_load_b32 v217, v[223:224]
	flat_load_b32 v225, v[214:215] offset:72
	s_waitcnt vmcnt(1) lgkmcnt(1)
	flat_store_b32 v[214:215], v217 offset:72
	s_waitcnt vmcnt(0) lgkmcnt(1)
	flat_store_b32 v[223:224], v225
.LBB102_392:
	s_or_b32 exec_lo, exec_lo, s6
	v_mov_b32_e32 v224, v216
	v_mov_b32_e32 v223, v216
.LBB102_393:
	s_or_b32 exec_lo, exec_lo, s3
.LBB102_394:
	s_and_not1_saveexec_b32 s2, s2
	s_cbranch_execz .LBB102_396
; %bb.395:
	v_mov_b32_e32 v224, 18
	ds_store_2addr_b64 v218, v[128:129], v[130:131] offset0:38 offset1:39
	ds_store_2addr_b64 v218, v[124:125], v[126:127] offset0:40 offset1:41
	;; [unrolled: 1-line block ×33, first 2 shown]
.LBB102_396:
	s_or_b32 exec_lo, exec_lo, s2
	s_delay_alu instid0(SALU_CYCLE_1)
	s_mov_b32 s2, exec_lo
	s_waitcnt lgkmcnt(0)
	s_waitcnt_vscnt null, 0x0
	s_barrier
	buffer_gl0_inv
	v_cmpx_lt_i32_e32 18, v224
	s_cbranch_execz .LBB102_398
; %bb.397:
	v_mul_f64 v[216:217], v[210:211], v[134:135]
	v_mul_f64 v[134:135], v[208:209], v[134:135]
	s_delay_alu instid0(VALU_DEP_2) | instskip(NEXT) | instid1(VALU_DEP_2)
	v_fma_f64 v[216:217], v[208:209], v[132:133], -v[216:217]
	v_fma_f64 v[134:135], v[210:211], v[132:133], v[134:135]
	ds_load_2addr_b64 v[208:211], v218 offset0:38 offset1:39
	s_waitcnt lgkmcnt(0)
	v_mul_f64 v[132:133], v[210:211], v[134:135]
	s_delay_alu instid0(VALU_DEP_1) | instskip(SKIP_1) | instid1(VALU_DEP_2)
	v_fma_f64 v[132:133], v[208:209], v[216:217], -v[132:133]
	v_mul_f64 v[208:209], v[208:209], v[134:135]
	v_add_f64 v[128:129], v[128:129], -v[132:133]
	s_delay_alu instid0(VALU_DEP_2) | instskip(NEXT) | instid1(VALU_DEP_1)
	v_fma_f64 v[208:209], v[210:211], v[216:217], v[208:209]
	v_add_f64 v[130:131], v[130:131], -v[208:209]
	ds_load_2addr_b64 v[208:211], v218 offset0:40 offset1:41
	s_waitcnt lgkmcnt(0)
	v_mul_f64 v[132:133], v[210:211], v[134:135]
	s_delay_alu instid0(VALU_DEP_1) | instskip(SKIP_1) | instid1(VALU_DEP_2)
	v_fma_f64 v[132:133], v[208:209], v[216:217], -v[132:133]
	v_mul_f64 v[208:209], v[208:209], v[134:135]
	v_add_f64 v[124:125], v[124:125], -v[132:133]
	s_delay_alu instid0(VALU_DEP_2) | instskip(NEXT) | instid1(VALU_DEP_1)
	v_fma_f64 v[208:209], v[210:211], v[216:217], v[208:209]
	v_add_f64 v[126:127], v[126:127], -v[208:209]
	;; [unrolled: 10-line block ×32, first 2 shown]
	ds_load_2addr_b64 v[208:211], v218 offset0:102 offset1:103
	s_waitcnt lgkmcnt(0)
	v_mul_f64 v[132:133], v[210:211], v[134:135]
	s_delay_alu instid0(VALU_DEP_1) | instskip(SKIP_1) | instid1(VALU_DEP_2)
	v_fma_f64 v[132:133], v[208:209], v[216:217], -v[132:133]
	v_mul_f64 v[208:209], v[208:209], v[134:135]
	v_add_f64 v[0:1], v[0:1], -v[132:133]
	s_delay_alu instid0(VALU_DEP_2) | instskip(SKIP_1) | instid1(VALU_DEP_2)
	v_fma_f64 v[208:209], v[210:211], v[216:217], v[208:209]
	v_dual_mov_b32 v132, v216 :: v_dual_mov_b32 v133, v217
	v_add_f64 v[2:3], v[2:3], -v[208:209]
.LBB102_398:
	s_or_b32 exec_lo, exec_lo, s2
	v_lshl_add_u32 v208, v224, 4, v218
	s_barrier
	buffer_gl0_inv
	v_mov_b32_e32 v216, 19
	ds_store_2addr_b64 v208, v[128:129], v[130:131] offset1:1
	s_waitcnt lgkmcnt(0)
	s_barrier
	buffer_gl0_inv
	ds_load_2addr_b64 v[208:211], v218 offset0:38 offset1:39
	s_cmp_lt_i32 s5, 21
	s_cbranch_scc1 .LBB102_401
; %bb.399:
	v_add3_u32 v217, v222, 0, 0x140
	v_mov_b32_e32 v216, 19
	s_mov_b32 s6, 20
	s_set_inst_prefetch_distance 0x1
	.p2align	6
.LBB102_400:                            ; =>This Inner Loop Header: Depth=1
	ds_load_2addr_b64 v[225:228], v217 offset1:1
	s_waitcnt lgkmcnt(1)
	v_cmp_gt_f64_e32 vcc_lo, 0, v[208:209]
	v_xor_b32_e32 v229, 0x80000000, v209
	v_cmp_gt_f64_e64 s2, 0, v[210:211]
	v_xor_b32_e32 v231, 0x80000000, v211
	v_add_nc_u32_e32 v217, 16, v217
	s_waitcnt lgkmcnt(0)
	v_cmp_gt_f64_e64 s3, 0, v[225:226]
	v_mov_b32_e32 v233, v225
	v_dual_mov_b32 v235, v227 :: v_dual_cndmask_b32 v230, v209, v229
	v_xor_b32_e32 v229, 0x80000000, v226
	v_cndmask_b32_e64 v232, v211, v231, s2
	v_xor_b32_e32 v231, 0x80000000, v228
	s_delay_alu instid0(VALU_DEP_3) | instskip(SKIP_2) | instid1(VALU_DEP_2)
	v_cndmask_b32_e64 v234, v226, v229, s3
	v_cmp_gt_f64_e64 s3, 0, v[227:228]
	v_cndmask_b32_e32 v229, v208, v208, vcc_lo
	v_cndmask_b32_e64 v236, v228, v231, s3
	v_cndmask_b32_e64 v231, v210, v210, s2
	s_delay_alu instid0(VALU_DEP_2) | instskip(NEXT) | instid1(VALU_DEP_2)
	v_add_f64 v[233:234], v[233:234], v[235:236]
	v_add_f64 v[229:230], v[229:230], v[231:232]
	s_delay_alu instid0(VALU_DEP_1) | instskip(SKIP_4) | instid1(SALU_CYCLE_1)
	v_cmp_lt_f64_e32 vcc_lo, v[229:230], v[233:234]
	v_dual_cndmask_b32 v210, v210, v227 :: v_dual_cndmask_b32 v209, v209, v226
	v_dual_cndmask_b32 v208, v208, v225 :: v_dual_cndmask_b32 v211, v211, v228
	v_cndmask_b32_e64 v216, v216, s6, vcc_lo
	s_add_i32 s6, s6, 1
	s_cmp_lg_u32 s5, s6
	s_cbranch_scc1 .LBB102_400
.LBB102_401:
	s_set_inst_prefetch_distance 0x2
	s_waitcnt lgkmcnt(0)
	v_cmp_eq_f64_e32 vcc_lo, 0, v[208:209]
	v_cmp_eq_f64_e64 s2, 0, v[210:211]
	s_delay_alu instid0(VALU_DEP_1) | instskip(NEXT) | instid1(SALU_CYCLE_1)
	s_and_b32 s2, vcc_lo, s2
	s_and_saveexec_b32 s3, s2
	s_delay_alu instid0(SALU_CYCLE_1)
	s_xor_b32 s2, exec_lo, s3
; %bb.402:
	v_cmp_ne_u32_e32 vcc_lo, 0, v221
	v_cndmask_b32_e32 v221, 20, v221, vcc_lo
; %bb.403:
	s_and_not1_saveexec_b32 s3, s2
	s_cbranch_execz .LBB102_409
; %bb.404:
	v_cmp_gt_f64_e32 vcc_lo, 0, v[208:209]
	v_cmp_gt_f64_e64 s2, 0, v[210:211]
	v_xor_b32_e32 v217, 0x80000000, v209
	v_xor_b32_e32 v225, 0x80000000, v211
	s_delay_alu instid0(VALU_DEP_2) | instskip(NEXT) | instid1(VALU_DEP_2)
	v_cndmask_b32_e32 v226, v209, v217, vcc_lo
	v_cndmask_b32_e64 v228, v211, v225, s2
	v_cndmask_b32_e32 v225, v208, v208, vcc_lo
	v_cndmask_b32_e64 v227, v210, v210, s2
	s_mov_b32 s2, exec_lo
	s_delay_alu instid0(VALU_DEP_1)
	v_cmpx_ngt_f64_e32 v[225:226], v[227:228]
	s_xor_b32 s2, exec_lo, s2
	s_cbranch_execz .LBB102_406
; %bb.405:
	v_div_scale_f64 v[225:226], null, v[210:211], v[210:211], v[208:209]
	v_div_scale_f64 v[231:232], vcc_lo, v[208:209], v[210:211], v[208:209]
	s_delay_alu instid0(VALU_DEP_2) | instskip(SKIP_2) | instid1(VALU_DEP_1)
	v_rcp_f64_e32 v[227:228], v[225:226]
	s_waitcnt_depctr 0xfff
	v_fma_f64 v[229:230], -v[225:226], v[227:228], 1.0
	v_fma_f64 v[227:228], v[227:228], v[229:230], v[227:228]
	s_delay_alu instid0(VALU_DEP_1) | instskip(NEXT) | instid1(VALU_DEP_1)
	v_fma_f64 v[229:230], -v[225:226], v[227:228], 1.0
	v_fma_f64 v[227:228], v[227:228], v[229:230], v[227:228]
	s_delay_alu instid0(VALU_DEP_1) | instskip(NEXT) | instid1(VALU_DEP_1)
	v_mul_f64 v[229:230], v[231:232], v[227:228]
	v_fma_f64 v[225:226], -v[225:226], v[229:230], v[231:232]
	s_delay_alu instid0(VALU_DEP_1) | instskip(NEXT) | instid1(VALU_DEP_1)
	v_div_fmas_f64 v[225:226], v[225:226], v[227:228], v[229:230]
	v_div_fixup_f64 v[225:226], v[225:226], v[210:211], v[208:209]
	s_delay_alu instid0(VALU_DEP_1) | instskip(NEXT) | instid1(VALU_DEP_1)
	v_fma_f64 v[208:209], v[208:209], v[225:226], v[210:211]
	v_div_scale_f64 v[210:211], null, v[208:209], v[208:209], 1.0
	s_delay_alu instid0(VALU_DEP_1) | instskip(SKIP_2) | instid1(VALU_DEP_1)
	v_rcp_f64_e32 v[227:228], v[210:211]
	s_waitcnt_depctr 0xfff
	v_fma_f64 v[229:230], -v[210:211], v[227:228], 1.0
	v_fma_f64 v[227:228], v[227:228], v[229:230], v[227:228]
	s_delay_alu instid0(VALU_DEP_1) | instskip(NEXT) | instid1(VALU_DEP_1)
	v_fma_f64 v[229:230], -v[210:211], v[227:228], 1.0
	v_fma_f64 v[227:228], v[227:228], v[229:230], v[227:228]
	v_div_scale_f64 v[229:230], vcc_lo, 1.0, v[208:209], 1.0
	s_delay_alu instid0(VALU_DEP_1) | instskip(NEXT) | instid1(VALU_DEP_1)
	v_mul_f64 v[231:232], v[229:230], v[227:228]
	v_fma_f64 v[210:211], -v[210:211], v[231:232], v[229:230]
	s_delay_alu instid0(VALU_DEP_1) | instskip(NEXT) | instid1(VALU_DEP_1)
	v_div_fmas_f64 v[210:211], v[210:211], v[227:228], v[231:232]
	v_div_fixup_f64 v[210:211], v[210:211], v[208:209], 1.0
	s_delay_alu instid0(VALU_DEP_1)
	v_mul_f64 v[208:209], v[225:226], v[210:211]
	v_xor_b32_e32 v211, 0x80000000, v211
.LBB102_406:
	s_and_not1_saveexec_b32 s2, s2
	s_cbranch_execz .LBB102_408
; %bb.407:
	s_delay_alu instid0(VALU_DEP_1) | instskip(SKIP_1) | instid1(VALU_DEP_2)
	v_div_scale_f64 v[225:226], null, v[208:209], v[208:209], v[210:211]
	v_div_scale_f64 v[231:232], vcc_lo, v[210:211], v[208:209], v[210:211]
	v_rcp_f64_e32 v[227:228], v[225:226]
	s_waitcnt_depctr 0xfff
	v_fma_f64 v[229:230], -v[225:226], v[227:228], 1.0
	s_delay_alu instid0(VALU_DEP_1) | instskip(NEXT) | instid1(VALU_DEP_1)
	v_fma_f64 v[227:228], v[227:228], v[229:230], v[227:228]
	v_fma_f64 v[229:230], -v[225:226], v[227:228], 1.0
	s_delay_alu instid0(VALU_DEP_1) | instskip(NEXT) | instid1(VALU_DEP_1)
	v_fma_f64 v[227:228], v[227:228], v[229:230], v[227:228]
	v_mul_f64 v[229:230], v[231:232], v[227:228]
	s_delay_alu instid0(VALU_DEP_1) | instskip(NEXT) | instid1(VALU_DEP_1)
	v_fma_f64 v[225:226], -v[225:226], v[229:230], v[231:232]
	v_div_fmas_f64 v[225:226], v[225:226], v[227:228], v[229:230]
	s_delay_alu instid0(VALU_DEP_1) | instskip(NEXT) | instid1(VALU_DEP_1)
	v_div_fixup_f64 v[225:226], v[225:226], v[208:209], v[210:211]
	v_fma_f64 v[208:209], v[210:211], v[225:226], v[208:209]
	s_delay_alu instid0(VALU_DEP_1) | instskip(NEXT) | instid1(VALU_DEP_1)
	v_div_scale_f64 v[210:211], null, v[208:209], v[208:209], 1.0
	v_rcp_f64_e32 v[227:228], v[210:211]
	s_waitcnt_depctr 0xfff
	v_fma_f64 v[229:230], -v[210:211], v[227:228], 1.0
	s_delay_alu instid0(VALU_DEP_1) | instskip(NEXT) | instid1(VALU_DEP_1)
	v_fma_f64 v[227:228], v[227:228], v[229:230], v[227:228]
	v_fma_f64 v[229:230], -v[210:211], v[227:228], 1.0
	s_delay_alu instid0(VALU_DEP_1) | instskip(SKIP_1) | instid1(VALU_DEP_1)
	v_fma_f64 v[227:228], v[227:228], v[229:230], v[227:228]
	v_div_scale_f64 v[229:230], vcc_lo, 1.0, v[208:209], 1.0
	v_mul_f64 v[231:232], v[229:230], v[227:228]
	s_delay_alu instid0(VALU_DEP_1) | instskip(NEXT) | instid1(VALU_DEP_1)
	v_fma_f64 v[210:211], -v[210:211], v[231:232], v[229:230]
	v_div_fmas_f64 v[210:211], v[210:211], v[227:228], v[231:232]
	s_delay_alu instid0(VALU_DEP_1) | instskip(NEXT) | instid1(VALU_DEP_1)
	v_div_fixup_f64 v[208:209], v[210:211], v[208:209], 1.0
	v_mul_f64 v[210:211], v[225:226], -v[208:209]
.LBB102_408:
	s_or_b32 exec_lo, exec_lo, s2
.LBB102_409:
	s_delay_alu instid0(SALU_CYCLE_1) | instskip(NEXT) | instid1(SALU_CYCLE_1)
	s_or_b32 exec_lo, exec_lo, s3
	s_mov_b32 s2, exec_lo
	v_cmpx_ne_u32_e64 v224, v216
	s_xor_b32 s2, exec_lo, s2
	s_cbranch_execz .LBB102_415
; %bb.410:
	s_mov_b32 s3, exec_lo
	v_cmpx_eq_u32_e32 19, v224
	s_cbranch_execz .LBB102_414
; %bb.411:
	v_cmp_ne_u32_e32 vcc_lo, 19, v216
	s_xor_b32 s6, s4, -1
	s_delay_alu instid0(SALU_CYCLE_1) | instskip(NEXT) | instid1(SALU_CYCLE_1)
	s_and_b32 s7, s6, vcc_lo
	s_and_saveexec_b32 s6, s7
	s_cbranch_execz .LBB102_413
; %bb.412:
	v_ashrrev_i32_e32 v217, 31, v216
	s_delay_alu instid0(VALU_DEP_1) | instskip(NEXT) | instid1(VALU_DEP_1)
	v_lshlrev_b64 v[223:224], 2, v[216:217]
	v_add_co_u32 v223, vcc_lo, v214, v223
	s_delay_alu instid0(VALU_DEP_2)
	v_add_co_ci_u32_e32 v224, vcc_lo, v215, v224, vcc_lo
	s_clause 0x1
	flat_load_b32 v217, v[223:224]
	flat_load_b32 v225, v[214:215] offset:76
	s_waitcnt vmcnt(1) lgkmcnt(1)
	flat_store_b32 v[214:215], v217 offset:76
	s_waitcnt vmcnt(0) lgkmcnt(1)
	flat_store_b32 v[223:224], v225
.LBB102_413:
	s_or_b32 exec_lo, exec_lo, s6
	v_mov_b32_e32 v224, v216
	v_mov_b32_e32 v223, v216
.LBB102_414:
	s_or_b32 exec_lo, exec_lo, s3
.LBB102_415:
	s_and_not1_saveexec_b32 s2, s2
	s_cbranch_execz .LBB102_417
; %bb.416:
	v_mov_b32_e32 v224, 19
	ds_store_2addr_b64 v218, v[124:125], v[126:127] offset0:40 offset1:41
	ds_store_2addr_b64 v218, v[120:121], v[122:123] offset0:42 offset1:43
	;; [unrolled: 1-line block ×32, first 2 shown]
.LBB102_417:
	s_or_b32 exec_lo, exec_lo, s2
	s_delay_alu instid0(SALU_CYCLE_1)
	s_mov_b32 s2, exec_lo
	s_waitcnt lgkmcnt(0)
	s_waitcnt_vscnt null, 0x0
	s_barrier
	buffer_gl0_inv
	v_cmpx_lt_i32_e32 19, v224
	s_cbranch_execz .LBB102_419
; %bb.418:
	v_mul_f64 v[216:217], v[210:211], v[130:131]
	v_mul_f64 v[130:131], v[208:209], v[130:131]
	s_delay_alu instid0(VALU_DEP_2) | instskip(NEXT) | instid1(VALU_DEP_2)
	v_fma_f64 v[216:217], v[208:209], v[128:129], -v[216:217]
	v_fma_f64 v[130:131], v[210:211], v[128:129], v[130:131]
	ds_load_2addr_b64 v[208:211], v218 offset0:40 offset1:41
	s_waitcnt lgkmcnt(0)
	v_mul_f64 v[128:129], v[210:211], v[130:131]
	s_delay_alu instid0(VALU_DEP_1) | instskip(SKIP_1) | instid1(VALU_DEP_2)
	v_fma_f64 v[128:129], v[208:209], v[216:217], -v[128:129]
	v_mul_f64 v[208:209], v[208:209], v[130:131]
	v_add_f64 v[124:125], v[124:125], -v[128:129]
	s_delay_alu instid0(VALU_DEP_2) | instskip(NEXT) | instid1(VALU_DEP_1)
	v_fma_f64 v[208:209], v[210:211], v[216:217], v[208:209]
	v_add_f64 v[126:127], v[126:127], -v[208:209]
	ds_load_2addr_b64 v[208:211], v218 offset0:42 offset1:43
	s_waitcnt lgkmcnt(0)
	v_mul_f64 v[128:129], v[210:211], v[130:131]
	s_delay_alu instid0(VALU_DEP_1) | instskip(SKIP_1) | instid1(VALU_DEP_2)
	v_fma_f64 v[128:129], v[208:209], v[216:217], -v[128:129]
	v_mul_f64 v[208:209], v[208:209], v[130:131]
	v_add_f64 v[120:121], v[120:121], -v[128:129]
	s_delay_alu instid0(VALU_DEP_2) | instskip(NEXT) | instid1(VALU_DEP_1)
	v_fma_f64 v[208:209], v[210:211], v[216:217], v[208:209]
	v_add_f64 v[122:123], v[122:123], -v[208:209]
	;; [unrolled: 10-line block ×31, first 2 shown]
	ds_load_2addr_b64 v[208:211], v218 offset0:102 offset1:103
	s_waitcnt lgkmcnt(0)
	v_mul_f64 v[128:129], v[210:211], v[130:131]
	s_delay_alu instid0(VALU_DEP_1) | instskip(SKIP_1) | instid1(VALU_DEP_2)
	v_fma_f64 v[128:129], v[208:209], v[216:217], -v[128:129]
	v_mul_f64 v[208:209], v[208:209], v[130:131]
	v_add_f64 v[0:1], v[0:1], -v[128:129]
	s_delay_alu instid0(VALU_DEP_2) | instskip(SKIP_1) | instid1(VALU_DEP_2)
	v_fma_f64 v[208:209], v[210:211], v[216:217], v[208:209]
	v_dual_mov_b32 v128, v216 :: v_dual_mov_b32 v129, v217
	v_add_f64 v[2:3], v[2:3], -v[208:209]
.LBB102_419:
	s_or_b32 exec_lo, exec_lo, s2
	v_lshl_add_u32 v208, v224, 4, v218
	s_barrier
	buffer_gl0_inv
	v_mov_b32_e32 v216, 20
	ds_store_2addr_b64 v208, v[124:125], v[126:127] offset1:1
	s_waitcnt lgkmcnt(0)
	s_barrier
	buffer_gl0_inv
	ds_load_2addr_b64 v[208:211], v218 offset0:40 offset1:41
	s_cmp_lt_i32 s5, 22
	s_cbranch_scc1 .LBB102_422
; %bb.420:
	v_add3_u32 v217, v222, 0, 0x150
	v_mov_b32_e32 v216, 20
	s_mov_b32 s6, 21
	s_set_inst_prefetch_distance 0x1
	.p2align	6
.LBB102_421:                            ; =>This Inner Loop Header: Depth=1
	ds_load_2addr_b64 v[225:228], v217 offset1:1
	s_waitcnt lgkmcnt(1)
	v_cmp_gt_f64_e32 vcc_lo, 0, v[208:209]
	v_xor_b32_e32 v229, 0x80000000, v209
	v_cmp_gt_f64_e64 s2, 0, v[210:211]
	v_xor_b32_e32 v231, 0x80000000, v211
	v_add_nc_u32_e32 v217, 16, v217
	s_waitcnt lgkmcnt(0)
	v_cmp_gt_f64_e64 s3, 0, v[225:226]
	v_mov_b32_e32 v233, v225
	v_dual_mov_b32 v235, v227 :: v_dual_cndmask_b32 v230, v209, v229
	v_xor_b32_e32 v229, 0x80000000, v226
	v_cndmask_b32_e64 v232, v211, v231, s2
	v_xor_b32_e32 v231, 0x80000000, v228
	s_delay_alu instid0(VALU_DEP_3) | instskip(SKIP_2) | instid1(VALU_DEP_2)
	v_cndmask_b32_e64 v234, v226, v229, s3
	v_cmp_gt_f64_e64 s3, 0, v[227:228]
	v_cndmask_b32_e32 v229, v208, v208, vcc_lo
	v_cndmask_b32_e64 v236, v228, v231, s3
	v_cndmask_b32_e64 v231, v210, v210, s2
	s_delay_alu instid0(VALU_DEP_2) | instskip(NEXT) | instid1(VALU_DEP_2)
	v_add_f64 v[233:234], v[233:234], v[235:236]
	v_add_f64 v[229:230], v[229:230], v[231:232]
	s_delay_alu instid0(VALU_DEP_1) | instskip(SKIP_4) | instid1(SALU_CYCLE_1)
	v_cmp_lt_f64_e32 vcc_lo, v[229:230], v[233:234]
	v_dual_cndmask_b32 v210, v210, v227 :: v_dual_cndmask_b32 v209, v209, v226
	v_dual_cndmask_b32 v208, v208, v225 :: v_dual_cndmask_b32 v211, v211, v228
	v_cndmask_b32_e64 v216, v216, s6, vcc_lo
	s_add_i32 s6, s6, 1
	s_cmp_lg_u32 s5, s6
	s_cbranch_scc1 .LBB102_421
.LBB102_422:
	s_set_inst_prefetch_distance 0x2
	s_waitcnt lgkmcnt(0)
	v_cmp_eq_f64_e32 vcc_lo, 0, v[208:209]
	v_cmp_eq_f64_e64 s2, 0, v[210:211]
	s_delay_alu instid0(VALU_DEP_1) | instskip(NEXT) | instid1(SALU_CYCLE_1)
	s_and_b32 s2, vcc_lo, s2
	s_and_saveexec_b32 s3, s2
	s_delay_alu instid0(SALU_CYCLE_1)
	s_xor_b32 s2, exec_lo, s3
; %bb.423:
	v_cmp_ne_u32_e32 vcc_lo, 0, v221
	v_cndmask_b32_e32 v221, 21, v221, vcc_lo
; %bb.424:
	s_and_not1_saveexec_b32 s3, s2
	s_cbranch_execz .LBB102_430
; %bb.425:
	v_cmp_gt_f64_e32 vcc_lo, 0, v[208:209]
	v_cmp_gt_f64_e64 s2, 0, v[210:211]
	v_xor_b32_e32 v217, 0x80000000, v209
	v_xor_b32_e32 v225, 0x80000000, v211
	s_delay_alu instid0(VALU_DEP_2) | instskip(NEXT) | instid1(VALU_DEP_2)
	v_cndmask_b32_e32 v226, v209, v217, vcc_lo
	v_cndmask_b32_e64 v228, v211, v225, s2
	v_cndmask_b32_e32 v225, v208, v208, vcc_lo
	v_cndmask_b32_e64 v227, v210, v210, s2
	s_mov_b32 s2, exec_lo
	s_delay_alu instid0(VALU_DEP_1)
	v_cmpx_ngt_f64_e32 v[225:226], v[227:228]
	s_xor_b32 s2, exec_lo, s2
	s_cbranch_execz .LBB102_427
; %bb.426:
	v_div_scale_f64 v[225:226], null, v[210:211], v[210:211], v[208:209]
	v_div_scale_f64 v[231:232], vcc_lo, v[208:209], v[210:211], v[208:209]
	s_delay_alu instid0(VALU_DEP_2) | instskip(SKIP_2) | instid1(VALU_DEP_1)
	v_rcp_f64_e32 v[227:228], v[225:226]
	s_waitcnt_depctr 0xfff
	v_fma_f64 v[229:230], -v[225:226], v[227:228], 1.0
	v_fma_f64 v[227:228], v[227:228], v[229:230], v[227:228]
	s_delay_alu instid0(VALU_DEP_1) | instskip(NEXT) | instid1(VALU_DEP_1)
	v_fma_f64 v[229:230], -v[225:226], v[227:228], 1.0
	v_fma_f64 v[227:228], v[227:228], v[229:230], v[227:228]
	s_delay_alu instid0(VALU_DEP_1) | instskip(NEXT) | instid1(VALU_DEP_1)
	v_mul_f64 v[229:230], v[231:232], v[227:228]
	v_fma_f64 v[225:226], -v[225:226], v[229:230], v[231:232]
	s_delay_alu instid0(VALU_DEP_1) | instskip(NEXT) | instid1(VALU_DEP_1)
	v_div_fmas_f64 v[225:226], v[225:226], v[227:228], v[229:230]
	v_div_fixup_f64 v[225:226], v[225:226], v[210:211], v[208:209]
	s_delay_alu instid0(VALU_DEP_1) | instskip(NEXT) | instid1(VALU_DEP_1)
	v_fma_f64 v[208:209], v[208:209], v[225:226], v[210:211]
	v_div_scale_f64 v[210:211], null, v[208:209], v[208:209], 1.0
	s_delay_alu instid0(VALU_DEP_1) | instskip(SKIP_2) | instid1(VALU_DEP_1)
	v_rcp_f64_e32 v[227:228], v[210:211]
	s_waitcnt_depctr 0xfff
	v_fma_f64 v[229:230], -v[210:211], v[227:228], 1.0
	v_fma_f64 v[227:228], v[227:228], v[229:230], v[227:228]
	s_delay_alu instid0(VALU_DEP_1) | instskip(NEXT) | instid1(VALU_DEP_1)
	v_fma_f64 v[229:230], -v[210:211], v[227:228], 1.0
	v_fma_f64 v[227:228], v[227:228], v[229:230], v[227:228]
	v_div_scale_f64 v[229:230], vcc_lo, 1.0, v[208:209], 1.0
	s_delay_alu instid0(VALU_DEP_1) | instskip(NEXT) | instid1(VALU_DEP_1)
	v_mul_f64 v[231:232], v[229:230], v[227:228]
	v_fma_f64 v[210:211], -v[210:211], v[231:232], v[229:230]
	s_delay_alu instid0(VALU_DEP_1) | instskip(NEXT) | instid1(VALU_DEP_1)
	v_div_fmas_f64 v[210:211], v[210:211], v[227:228], v[231:232]
	v_div_fixup_f64 v[210:211], v[210:211], v[208:209], 1.0
	s_delay_alu instid0(VALU_DEP_1)
	v_mul_f64 v[208:209], v[225:226], v[210:211]
	v_xor_b32_e32 v211, 0x80000000, v211
.LBB102_427:
	s_and_not1_saveexec_b32 s2, s2
	s_cbranch_execz .LBB102_429
; %bb.428:
	s_delay_alu instid0(VALU_DEP_1) | instskip(SKIP_1) | instid1(VALU_DEP_2)
	v_div_scale_f64 v[225:226], null, v[208:209], v[208:209], v[210:211]
	v_div_scale_f64 v[231:232], vcc_lo, v[210:211], v[208:209], v[210:211]
	v_rcp_f64_e32 v[227:228], v[225:226]
	s_waitcnt_depctr 0xfff
	v_fma_f64 v[229:230], -v[225:226], v[227:228], 1.0
	s_delay_alu instid0(VALU_DEP_1) | instskip(NEXT) | instid1(VALU_DEP_1)
	v_fma_f64 v[227:228], v[227:228], v[229:230], v[227:228]
	v_fma_f64 v[229:230], -v[225:226], v[227:228], 1.0
	s_delay_alu instid0(VALU_DEP_1) | instskip(NEXT) | instid1(VALU_DEP_1)
	v_fma_f64 v[227:228], v[227:228], v[229:230], v[227:228]
	v_mul_f64 v[229:230], v[231:232], v[227:228]
	s_delay_alu instid0(VALU_DEP_1) | instskip(NEXT) | instid1(VALU_DEP_1)
	v_fma_f64 v[225:226], -v[225:226], v[229:230], v[231:232]
	v_div_fmas_f64 v[225:226], v[225:226], v[227:228], v[229:230]
	s_delay_alu instid0(VALU_DEP_1) | instskip(NEXT) | instid1(VALU_DEP_1)
	v_div_fixup_f64 v[225:226], v[225:226], v[208:209], v[210:211]
	v_fma_f64 v[208:209], v[210:211], v[225:226], v[208:209]
	s_delay_alu instid0(VALU_DEP_1) | instskip(NEXT) | instid1(VALU_DEP_1)
	v_div_scale_f64 v[210:211], null, v[208:209], v[208:209], 1.0
	v_rcp_f64_e32 v[227:228], v[210:211]
	s_waitcnt_depctr 0xfff
	v_fma_f64 v[229:230], -v[210:211], v[227:228], 1.0
	s_delay_alu instid0(VALU_DEP_1) | instskip(NEXT) | instid1(VALU_DEP_1)
	v_fma_f64 v[227:228], v[227:228], v[229:230], v[227:228]
	v_fma_f64 v[229:230], -v[210:211], v[227:228], 1.0
	s_delay_alu instid0(VALU_DEP_1) | instskip(SKIP_1) | instid1(VALU_DEP_1)
	v_fma_f64 v[227:228], v[227:228], v[229:230], v[227:228]
	v_div_scale_f64 v[229:230], vcc_lo, 1.0, v[208:209], 1.0
	v_mul_f64 v[231:232], v[229:230], v[227:228]
	s_delay_alu instid0(VALU_DEP_1) | instskip(NEXT) | instid1(VALU_DEP_1)
	v_fma_f64 v[210:211], -v[210:211], v[231:232], v[229:230]
	v_div_fmas_f64 v[210:211], v[210:211], v[227:228], v[231:232]
	s_delay_alu instid0(VALU_DEP_1) | instskip(NEXT) | instid1(VALU_DEP_1)
	v_div_fixup_f64 v[208:209], v[210:211], v[208:209], 1.0
	v_mul_f64 v[210:211], v[225:226], -v[208:209]
.LBB102_429:
	s_or_b32 exec_lo, exec_lo, s2
.LBB102_430:
	s_delay_alu instid0(SALU_CYCLE_1) | instskip(NEXT) | instid1(SALU_CYCLE_1)
	s_or_b32 exec_lo, exec_lo, s3
	s_mov_b32 s2, exec_lo
	v_cmpx_ne_u32_e64 v224, v216
	s_xor_b32 s2, exec_lo, s2
	s_cbranch_execz .LBB102_436
; %bb.431:
	s_mov_b32 s3, exec_lo
	v_cmpx_eq_u32_e32 20, v224
	s_cbranch_execz .LBB102_435
; %bb.432:
	v_cmp_ne_u32_e32 vcc_lo, 20, v216
	s_xor_b32 s6, s4, -1
	s_delay_alu instid0(SALU_CYCLE_1) | instskip(NEXT) | instid1(SALU_CYCLE_1)
	s_and_b32 s7, s6, vcc_lo
	s_and_saveexec_b32 s6, s7
	s_cbranch_execz .LBB102_434
; %bb.433:
	v_ashrrev_i32_e32 v217, 31, v216
	s_delay_alu instid0(VALU_DEP_1) | instskip(NEXT) | instid1(VALU_DEP_1)
	v_lshlrev_b64 v[223:224], 2, v[216:217]
	v_add_co_u32 v223, vcc_lo, v214, v223
	s_delay_alu instid0(VALU_DEP_2)
	v_add_co_ci_u32_e32 v224, vcc_lo, v215, v224, vcc_lo
	s_clause 0x1
	flat_load_b32 v217, v[223:224]
	flat_load_b32 v225, v[214:215] offset:80
	s_waitcnt vmcnt(1) lgkmcnt(1)
	flat_store_b32 v[214:215], v217 offset:80
	s_waitcnt vmcnt(0) lgkmcnt(1)
	flat_store_b32 v[223:224], v225
.LBB102_434:
	s_or_b32 exec_lo, exec_lo, s6
	v_mov_b32_e32 v224, v216
	v_mov_b32_e32 v223, v216
.LBB102_435:
	s_or_b32 exec_lo, exec_lo, s3
.LBB102_436:
	s_and_not1_saveexec_b32 s2, s2
	s_cbranch_execz .LBB102_438
; %bb.437:
	v_mov_b32_e32 v224, 20
	ds_store_2addr_b64 v218, v[120:121], v[122:123] offset0:42 offset1:43
	ds_store_2addr_b64 v218, v[116:117], v[118:119] offset0:44 offset1:45
	;; [unrolled: 1-line block ×31, first 2 shown]
.LBB102_438:
	s_or_b32 exec_lo, exec_lo, s2
	s_delay_alu instid0(SALU_CYCLE_1)
	s_mov_b32 s2, exec_lo
	s_waitcnt lgkmcnt(0)
	s_waitcnt_vscnt null, 0x0
	s_barrier
	buffer_gl0_inv
	v_cmpx_lt_i32_e32 20, v224
	s_cbranch_execz .LBB102_440
; %bb.439:
	v_mul_f64 v[216:217], v[210:211], v[126:127]
	v_mul_f64 v[126:127], v[208:209], v[126:127]
	s_delay_alu instid0(VALU_DEP_2) | instskip(NEXT) | instid1(VALU_DEP_2)
	v_fma_f64 v[216:217], v[208:209], v[124:125], -v[216:217]
	v_fma_f64 v[126:127], v[210:211], v[124:125], v[126:127]
	ds_load_2addr_b64 v[208:211], v218 offset0:42 offset1:43
	s_waitcnt lgkmcnt(0)
	v_mul_f64 v[124:125], v[210:211], v[126:127]
	s_delay_alu instid0(VALU_DEP_1) | instskip(SKIP_1) | instid1(VALU_DEP_2)
	v_fma_f64 v[124:125], v[208:209], v[216:217], -v[124:125]
	v_mul_f64 v[208:209], v[208:209], v[126:127]
	v_add_f64 v[120:121], v[120:121], -v[124:125]
	s_delay_alu instid0(VALU_DEP_2) | instskip(NEXT) | instid1(VALU_DEP_1)
	v_fma_f64 v[208:209], v[210:211], v[216:217], v[208:209]
	v_add_f64 v[122:123], v[122:123], -v[208:209]
	ds_load_2addr_b64 v[208:211], v218 offset0:44 offset1:45
	s_waitcnt lgkmcnt(0)
	v_mul_f64 v[124:125], v[210:211], v[126:127]
	s_delay_alu instid0(VALU_DEP_1) | instskip(SKIP_1) | instid1(VALU_DEP_2)
	v_fma_f64 v[124:125], v[208:209], v[216:217], -v[124:125]
	v_mul_f64 v[208:209], v[208:209], v[126:127]
	v_add_f64 v[116:117], v[116:117], -v[124:125]
	s_delay_alu instid0(VALU_DEP_2) | instskip(NEXT) | instid1(VALU_DEP_1)
	v_fma_f64 v[208:209], v[210:211], v[216:217], v[208:209]
	v_add_f64 v[118:119], v[118:119], -v[208:209]
	;; [unrolled: 10-line block ×30, first 2 shown]
	ds_load_2addr_b64 v[208:211], v218 offset0:102 offset1:103
	s_waitcnt lgkmcnt(0)
	v_mul_f64 v[124:125], v[210:211], v[126:127]
	s_delay_alu instid0(VALU_DEP_1) | instskip(SKIP_1) | instid1(VALU_DEP_2)
	v_fma_f64 v[124:125], v[208:209], v[216:217], -v[124:125]
	v_mul_f64 v[208:209], v[208:209], v[126:127]
	v_add_f64 v[0:1], v[0:1], -v[124:125]
	s_delay_alu instid0(VALU_DEP_2) | instskip(SKIP_1) | instid1(VALU_DEP_2)
	v_fma_f64 v[208:209], v[210:211], v[216:217], v[208:209]
	v_dual_mov_b32 v124, v216 :: v_dual_mov_b32 v125, v217
	v_add_f64 v[2:3], v[2:3], -v[208:209]
.LBB102_440:
	s_or_b32 exec_lo, exec_lo, s2
	v_lshl_add_u32 v208, v224, 4, v218
	s_barrier
	buffer_gl0_inv
	v_mov_b32_e32 v216, 21
	ds_store_2addr_b64 v208, v[120:121], v[122:123] offset1:1
	s_waitcnt lgkmcnt(0)
	s_barrier
	buffer_gl0_inv
	ds_load_2addr_b64 v[208:211], v218 offset0:42 offset1:43
	s_cmp_lt_i32 s5, 23
	s_cbranch_scc1 .LBB102_443
; %bb.441:
	v_add3_u32 v217, v222, 0, 0x160
	v_mov_b32_e32 v216, 21
	s_mov_b32 s6, 22
	s_set_inst_prefetch_distance 0x1
	.p2align	6
.LBB102_442:                            ; =>This Inner Loop Header: Depth=1
	ds_load_2addr_b64 v[225:228], v217 offset1:1
	s_waitcnt lgkmcnt(1)
	v_cmp_gt_f64_e32 vcc_lo, 0, v[208:209]
	v_xor_b32_e32 v229, 0x80000000, v209
	v_cmp_gt_f64_e64 s2, 0, v[210:211]
	v_xor_b32_e32 v231, 0x80000000, v211
	v_add_nc_u32_e32 v217, 16, v217
	s_waitcnt lgkmcnt(0)
	v_cmp_gt_f64_e64 s3, 0, v[225:226]
	v_mov_b32_e32 v233, v225
	v_dual_mov_b32 v235, v227 :: v_dual_cndmask_b32 v230, v209, v229
	v_xor_b32_e32 v229, 0x80000000, v226
	v_cndmask_b32_e64 v232, v211, v231, s2
	v_xor_b32_e32 v231, 0x80000000, v228
	s_delay_alu instid0(VALU_DEP_3) | instskip(SKIP_2) | instid1(VALU_DEP_2)
	v_cndmask_b32_e64 v234, v226, v229, s3
	v_cmp_gt_f64_e64 s3, 0, v[227:228]
	v_cndmask_b32_e32 v229, v208, v208, vcc_lo
	v_cndmask_b32_e64 v236, v228, v231, s3
	v_cndmask_b32_e64 v231, v210, v210, s2
	s_delay_alu instid0(VALU_DEP_2) | instskip(NEXT) | instid1(VALU_DEP_2)
	v_add_f64 v[233:234], v[233:234], v[235:236]
	v_add_f64 v[229:230], v[229:230], v[231:232]
	s_delay_alu instid0(VALU_DEP_1) | instskip(SKIP_4) | instid1(SALU_CYCLE_1)
	v_cmp_lt_f64_e32 vcc_lo, v[229:230], v[233:234]
	v_dual_cndmask_b32 v210, v210, v227 :: v_dual_cndmask_b32 v209, v209, v226
	v_dual_cndmask_b32 v208, v208, v225 :: v_dual_cndmask_b32 v211, v211, v228
	v_cndmask_b32_e64 v216, v216, s6, vcc_lo
	s_add_i32 s6, s6, 1
	s_cmp_lg_u32 s5, s6
	s_cbranch_scc1 .LBB102_442
.LBB102_443:
	s_set_inst_prefetch_distance 0x2
	s_waitcnt lgkmcnt(0)
	v_cmp_eq_f64_e32 vcc_lo, 0, v[208:209]
	v_cmp_eq_f64_e64 s2, 0, v[210:211]
	s_delay_alu instid0(VALU_DEP_1) | instskip(NEXT) | instid1(SALU_CYCLE_1)
	s_and_b32 s2, vcc_lo, s2
	s_and_saveexec_b32 s3, s2
	s_delay_alu instid0(SALU_CYCLE_1)
	s_xor_b32 s2, exec_lo, s3
; %bb.444:
	v_cmp_ne_u32_e32 vcc_lo, 0, v221
	v_cndmask_b32_e32 v221, 22, v221, vcc_lo
; %bb.445:
	s_and_not1_saveexec_b32 s3, s2
	s_cbranch_execz .LBB102_451
; %bb.446:
	v_cmp_gt_f64_e32 vcc_lo, 0, v[208:209]
	v_cmp_gt_f64_e64 s2, 0, v[210:211]
	v_xor_b32_e32 v217, 0x80000000, v209
	v_xor_b32_e32 v225, 0x80000000, v211
	s_delay_alu instid0(VALU_DEP_2) | instskip(NEXT) | instid1(VALU_DEP_2)
	v_cndmask_b32_e32 v226, v209, v217, vcc_lo
	v_cndmask_b32_e64 v228, v211, v225, s2
	v_cndmask_b32_e32 v225, v208, v208, vcc_lo
	v_cndmask_b32_e64 v227, v210, v210, s2
	s_mov_b32 s2, exec_lo
	s_delay_alu instid0(VALU_DEP_1)
	v_cmpx_ngt_f64_e32 v[225:226], v[227:228]
	s_xor_b32 s2, exec_lo, s2
	s_cbranch_execz .LBB102_448
; %bb.447:
	v_div_scale_f64 v[225:226], null, v[210:211], v[210:211], v[208:209]
	v_div_scale_f64 v[231:232], vcc_lo, v[208:209], v[210:211], v[208:209]
	s_delay_alu instid0(VALU_DEP_2) | instskip(SKIP_2) | instid1(VALU_DEP_1)
	v_rcp_f64_e32 v[227:228], v[225:226]
	s_waitcnt_depctr 0xfff
	v_fma_f64 v[229:230], -v[225:226], v[227:228], 1.0
	v_fma_f64 v[227:228], v[227:228], v[229:230], v[227:228]
	s_delay_alu instid0(VALU_DEP_1) | instskip(NEXT) | instid1(VALU_DEP_1)
	v_fma_f64 v[229:230], -v[225:226], v[227:228], 1.0
	v_fma_f64 v[227:228], v[227:228], v[229:230], v[227:228]
	s_delay_alu instid0(VALU_DEP_1) | instskip(NEXT) | instid1(VALU_DEP_1)
	v_mul_f64 v[229:230], v[231:232], v[227:228]
	v_fma_f64 v[225:226], -v[225:226], v[229:230], v[231:232]
	s_delay_alu instid0(VALU_DEP_1) | instskip(NEXT) | instid1(VALU_DEP_1)
	v_div_fmas_f64 v[225:226], v[225:226], v[227:228], v[229:230]
	v_div_fixup_f64 v[225:226], v[225:226], v[210:211], v[208:209]
	s_delay_alu instid0(VALU_DEP_1) | instskip(NEXT) | instid1(VALU_DEP_1)
	v_fma_f64 v[208:209], v[208:209], v[225:226], v[210:211]
	v_div_scale_f64 v[210:211], null, v[208:209], v[208:209], 1.0
	s_delay_alu instid0(VALU_DEP_1) | instskip(SKIP_2) | instid1(VALU_DEP_1)
	v_rcp_f64_e32 v[227:228], v[210:211]
	s_waitcnt_depctr 0xfff
	v_fma_f64 v[229:230], -v[210:211], v[227:228], 1.0
	v_fma_f64 v[227:228], v[227:228], v[229:230], v[227:228]
	s_delay_alu instid0(VALU_DEP_1) | instskip(NEXT) | instid1(VALU_DEP_1)
	v_fma_f64 v[229:230], -v[210:211], v[227:228], 1.0
	v_fma_f64 v[227:228], v[227:228], v[229:230], v[227:228]
	v_div_scale_f64 v[229:230], vcc_lo, 1.0, v[208:209], 1.0
	s_delay_alu instid0(VALU_DEP_1) | instskip(NEXT) | instid1(VALU_DEP_1)
	v_mul_f64 v[231:232], v[229:230], v[227:228]
	v_fma_f64 v[210:211], -v[210:211], v[231:232], v[229:230]
	s_delay_alu instid0(VALU_DEP_1) | instskip(NEXT) | instid1(VALU_DEP_1)
	v_div_fmas_f64 v[210:211], v[210:211], v[227:228], v[231:232]
	v_div_fixup_f64 v[210:211], v[210:211], v[208:209], 1.0
	s_delay_alu instid0(VALU_DEP_1)
	v_mul_f64 v[208:209], v[225:226], v[210:211]
	v_xor_b32_e32 v211, 0x80000000, v211
.LBB102_448:
	s_and_not1_saveexec_b32 s2, s2
	s_cbranch_execz .LBB102_450
; %bb.449:
	s_delay_alu instid0(VALU_DEP_1) | instskip(SKIP_1) | instid1(VALU_DEP_2)
	v_div_scale_f64 v[225:226], null, v[208:209], v[208:209], v[210:211]
	v_div_scale_f64 v[231:232], vcc_lo, v[210:211], v[208:209], v[210:211]
	v_rcp_f64_e32 v[227:228], v[225:226]
	s_waitcnt_depctr 0xfff
	v_fma_f64 v[229:230], -v[225:226], v[227:228], 1.0
	s_delay_alu instid0(VALU_DEP_1) | instskip(NEXT) | instid1(VALU_DEP_1)
	v_fma_f64 v[227:228], v[227:228], v[229:230], v[227:228]
	v_fma_f64 v[229:230], -v[225:226], v[227:228], 1.0
	s_delay_alu instid0(VALU_DEP_1) | instskip(NEXT) | instid1(VALU_DEP_1)
	v_fma_f64 v[227:228], v[227:228], v[229:230], v[227:228]
	v_mul_f64 v[229:230], v[231:232], v[227:228]
	s_delay_alu instid0(VALU_DEP_1) | instskip(NEXT) | instid1(VALU_DEP_1)
	v_fma_f64 v[225:226], -v[225:226], v[229:230], v[231:232]
	v_div_fmas_f64 v[225:226], v[225:226], v[227:228], v[229:230]
	s_delay_alu instid0(VALU_DEP_1) | instskip(NEXT) | instid1(VALU_DEP_1)
	v_div_fixup_f64 v[225:226], v[225:226], v[208:209], v[210:211]
	v_fma_f64 v[208:209], v[210:211], v[225:226], v[208:209]
	s_delay_alu instid0(VALU_DEP_1) | instskip(NEXT) | instid1(VALU_DEP_1)
	v_div_scale_f64 v[210:211], null, v[208:209], v[208:209], 1.0
	v_rcp_f64_e32 v[227:228], v[210:211]
	s_waitcnt_depctr 0xfff
	v_fma_f64 v[229:230], -v[210:211], v[227:228], 1.0
	s_delay_alu instid0(VALU_DEP_1) | instskip(NEXT) | instid1(VALU_DEP_1)
	v_fma_f64 v[227:228], v[227:228], v[229:230], v[227:228]
	v_fma_f64 v[229:230], -v[210:211], v[227:228], 1.0
	s_delay_alu instid0(VALU_DEP_1) | instskip(SKIP_1) | instid1(VALU_DEP_1)
	v_fma_f64 v[227:228], v[227:228], v[229:230], v[227:228]
	v_div_scale_f64 v[229:230], vcc_lo, 1.0, v[208:209], 1.0
	v_mul_f64 v[231:232], v[229:230], v[227:228]
	s_delay_alu instid0(VALU_DEP_1) | instskip(NEXT) | instid1(VALU_DEP_1)
	v_fma_f64 v[210:211], -v[210:211], v[231:232], v[229:230]
	v_div_fmas_f64 v[210:211], v[210:211], v[227:228], v[231:232]
	s_delay_alu instid0(VALU_DEP_1) | instskip(NEXT) | instid1(VALU_DEP_1)
	v_div_fixup_f64 v[208:209], v[210:211], v[208:209], 1.0
	v_mul_f64 v[210:211], v[225:226], -v[208:209]
.LBB102_450:
	s_or_b32 exec_lo, exec_lo, s2
.LBB102_451:
	s_delay_alu instid0(SALU_CYCLE_1) | instskip(NEXT) | instid1(SALU_CYCLE_1)
	s_or_b32 exec_lo, exec_lo, s3
	s_mov_b32 s2, exec_lo
	v_cmpx_ne_u32_e64 v224, v216
	s_xor_b32 s2, exec_lo, s2
	s_cbranch_execz .LBB102_457
; %bb.452:
	s_mov_b32 s3, exec_lo
	v_cmpx_eq_u32_e32 21, v224
	s_cbranch_execz .LBB102_456
; %bb.453:
	v_cmp_ne_u32_e32 vcc_lo, 21, v216
	s_xor_b32 s6, s4, -1
	s_delay_alu instid0(SALU_CYCLE_1) | instskip(NEXT) | instid1(SALU_CYCLE_1)
	s_and_b32 s7, s6, vcc_lo
	s_and_saveexec_b32 s6, s7
	s_cbranch_execz .LBB102_455
; %bb.454:
	v_ashrrev_i32_e32 v217, 31, v216
	s_delay_alu instid0(VALU_DEP_1) | instskip(NEXT) | instid1(VALU_DEP_1)
	v_lshlrev_b64 v[223:224], 2, v[216:217]
	v_add_co_u32 v223, vcc_lo, v214, v223
	s_delay_alu instid0(VALU_DEP_2)
	v_add_co_ci_u32_e32 v224, vcc_lo, v215, v224, vcc_lo
	s_clause 0x1
	flat_load_b32 v217, v[223:224]
	flat_load_b32 v225, v[214:215] offset:84
	s_waitcnt vmcnt(1) lgkmcnt(1)
	flat_store_b32 v[214:215], v217 offset:84
	s_waitcnt vmcnt(0) lgkmcnt(1)
	flat_store_b32 v[223:224], v225
.LBB102_455:
	s_or_b32 exec_lo, exec_lo, s6
	v_mov_b32_e32 v224, v216
	v_mov_b32_e32 v223, v216
.LBB102_456:
	s_or_b32 exec_lo, exec_lo, s3
.LBB102_457:
	s_and_not1_saveexec_b32 s2, s2
	s_cbranch_execz .LBB102_459
; %bb.458:
	v_mov_b32_e32 v224, 21
	ds_store_2addr_b64 v218, v[116:117], v[118:119] offset0:44 offset1:45
	ds_store_2addr_b64 v218, v[112:113], v[114:115] offset0:46 offset1:47
	;; [unrolled: 1-line block ×30, first 2 shown]
.LBB102_459:
	s_or_b32 exec_lo, exec_lo, s2
	s_delay_alu instid0(SALU_CYCLE_1)
	s_mov_b32 s2, exec_lo
	s_waitcnt lgkmcnt(0)
	s_waitcnt_vscnt null, 0x0
	s_barrier
	buffer_gl0_inv
	v_cmpx_lt_i32_e32 21, v224
	s_cbranch_execz .LBB102_461
; %bb.460:
	v_mul_f64 v[216:217], v[210:211], v[122:123]
	v_mul_f64 v[122:123], v[208:209], v[122:123]
	s_delay_alu instid0(VALU_DEP_2) | instskip(NEXT) | instid1(VALU_DEP_2)
	v_fma_f64 v[216:217], v[208:209], v[120:121], -v[216:217]
	v_fma_f64 v[122:123], v[210:211], v[120:121], v[122:123]
	ds_load_2addr_b64 v[208:211], v218 offset0:44 offset1:45
	s_waitcnt lgkmcnt(0)
	v_mul_f64 v[120:121], v[210:211], v[122:123]
	s_delay_alu instid0(VALU_DEP_1) | instskip(SKIP_1) | instid1(VALU_DEP_2)
	v_fma_f64 v[120:121], v[208:209], v[216:217], -v[120:121]
	v_mul_f64 v[208:209], v[208:209], v[122:123]
	v_add_f64 v[116:117], v[116:117], -v[120:121]
	s_delay_alu instid0(VALU_DEP_2) | instskip(NEXT) | instid1(VALU_DEP_1)
	v_fma_f64 v[208:209], v[210:211], v[216:217], v[208:209]
	v_add_f64 v[118:119], v[118:119], -v[208:209]
	ds_load_2addr_b64 v[208:211], v218 offset0:46 offset1:47
	s_waitcnt lgkmcnt(0)
	v_mul_f64 v[120:121], v[210:211], v[122:123]
	s_delay_alu instid0(VALU_DEP_1) | instskip(SKIP_1) | instid1(VALU_DEP_2)
	v_fma_f64 v[120:121], v[208:209], v[216:217], -v[120:121]
	v_mul_f64 v[208:209], v[208:209], v[122:123]
	v_add_f64 v[112:113], v[112:113], -v[120:121]
	s_delay_alu instid0(VALU_DEP_2) | instskip(NEXT) | instid1(VALU_DEP_1)
	v_fma_f64 v[208:209], v[210:211], v[216:217], v[208:209]
	v_add_f64 v[114:115], v[114:115], -v[208:209]
	;; [unrolled: 10-line block ×29, first 2 shown]
	ds_load_2addr_b64 v[208:211], v218 offset0:102 offset1:103
	s_waitcnt lgkmcnt(0)
	v_mul_f64 v[120:121], v[210:211], v[122:123]
	s_delay_alu instid0(VALU_DEP_1) | instskip(SKIP_1) | instid1(VALU_DEP_2)
	v_fma_f64 v[120:121], v[208:209], v[216:217], -v[120:121]
	v_mul_f64 v[208:209], v[208:209], v[122:123]
	v_add_f64 v[0:1], v[0:1], -v[120:121]
	s_delay_alu instid0(VALU_DEP_2) | instskip(SKIP_1) | instid1(VALU_DEP_2)
	v_fma_f64 v[208:209], v[210:211], v[216:217], v[208:209]
	v_dual_mov_b32 v120, v216 :: v_dual_mov_b32 v121, v217
	v_add_f64 v[2:3], v[2:3], -v[208:209]
.LBB102_461:
	s_or_b32 exec_lo, exec_lo, s2
	v_lshl_add_u32 v208, v224, 4, v218
	s_barrier
	buffer_gl0_inv
	v_mov_b32_e32 v216, 22
	ds_store_2addr_b64 v208, v[116:117], v[118:119] offset1:1
	s_waitcnt lgkmcnt(0)
	s_barrier
	buffer_gl0_inv
	ds_load_2addr_b64 v[208:211], v218 offset0:44 offset1:45
	s_cmp_lt_i32 s5, 24
	s_cbranch_scc1 .LBB102_464
; %bb.462:
	v_add3_u32 v217, v222, 0, 0x170
	v_mov_b32_e32 v216, 22
	s_mov_b32 s6, 23
	s_set_inst_prefetch_distance 0x1
	.p2align	6
.LBB102_463:                            ; =>This Inner Loop Header: Depth=1
	ds_load_2addr_b64 v[225:228], v217 offset1:1
	s_waitcnt lgkmcnt(1)
	v_cmp_gt_f64_e32 vcc_lo, 0, v[208:209]
	v_xor_b32_e32 v229, 0x80000000, v209
	v_cmp_gt_f64_e64 s2, 0, v[210:211]
	v_xor_b32_e32 v231, 0x80000000, v211
	v_add_nc_u32_e32 v217, 16, v217
	s_waitcnt lgkmcnt(0)
	v_cmp_gt_f64_e64 s3, 0, v[225:226]
	v_mov_b32_e32 v233, v225
	v_dual_mov_b32 v235, v227 :: v_dual_cndmask_b32 v230, v209, v229
	v_xor_b32_e32 v229, 0x80000000, v226
	v_cndmask_b32_e64 v232, v211, v231, s2
	v_xor_b32_e32 v231, 0x80000000, v228
	s_delay_alu instid0(VALU_DEP_3) | instskip(SKIP_2) | instid1(VALU_DEP_2)
	v_cndmask_b32_e64 v234, v226, v229, s3
	v_cmp_gt_f64_e64 s3, 0, v[227:228]
	v_cndmask_b32_e32 v229, v208, v208, vcc_lo
	v_cndmask_b32_e64 v236, v228, v231, s3
	v_cndmask_b32_e64 v231, v210, v210, s2
	s_delay_alu instid0(VALU_DEP_2) | instskip(NEXT) | instid1(VALU_DEP_2)
	v_add_f64 v[233:234], v[233:234], v[235:236]
	v_add_f64 v[229:230], v[229:230], v[231:232]
	s_delay_alu instid0(VALU_DEP_1) | instskip(SKIP_4) | instid1(SALU_CYCLE_1)
	v_cmp_lt_f64_e32 vcc_lo, v[229:230], v[233:234]
	v_dual_cndmask_b32 v210, v210, v227 :: v_dual_cndmask_b32 v209, v209, v226
	v_dual_cndmask_b32 v208, v208, v225 :: v_dual_cndmask_b32 v211, v211, v228
	v_cndmask_b32_e64 v216, v216, s6, vcc_lo
	s_add_i32 s6, s6, 1
	s_cmp_lg_u32 s5, s6
	s_cbranch_scc1 .LBB102_463
.LBB102_464:
	s_set_inst_prefetch_distance 0x2
	s_waitcnt lgkmcnt(0)
	v_cmp_eq_f64_e32 vcc_lo, 0, v[208:209]
	v_cmp_eq_f64_e64 s2, 0, v[210:211]
	s_delay_alu instid0(VALU_DEP_1) | instskip(NEXT) | instid1(SALU_CYCLE_1)
	s_and_b32 s2, vcc_lo, s2
	s_and_saveexec_b32 s3, s2
	s_delay_alu instid0(SALU_CYCLE_1)
	s_xor_b32 s2, exec_lo, s3
; %bb.465:
	v_cmp_ne_u32_e32 vcc_lo, 0, v221
	v_cndmask_b32_e32 v221, 23, v221, vcc_lo
; %bb.466:
	s_and_not1_saveexec_b32 s3, s2
	s_cbranch_execz .LBB102_472
; %bb.467:
	v_cmp_gt_f64_e32 vcc_lo, 0, v[208:209]
	v_cmp_gt_f64_e64 s2, 0, v[210:211]
	v_xor_b32_e32 v217, 0x80000000, v209
	v_xor_b32_e32 v225, 0x80000000, v211
	s_delay_alu instid0(VALU_DEP_2) | instskip(NEXT) | instid1(VALU_DEP_2)
	v_cndmask_b32_e32 v226, v209, v217, vcc_lo
	v_cndmask_b32_e64 v228, v211, v225, s2
	v_cndmask_b32_e32 v225, v208, v208, vcc_lo
	v_cndmask_b32_e64 v227, v210, v210, s2
	s_mov_b32 s2, exec_lo
	s_delay_alu instid0(VALU_DEP_1)
	v_cmpx_ngt_f64_e32 v[225:226], v[227:228]
	s_xor_b32 s2, exec_lo, s2
	s_cbranch_execz .LBB102_469
; %bb.468:
	v_div_scale_f64 v[225:226], null, v[210:211], v[210:211], v[208:209]
	v_div_scale_f64 v[231:232], vcc_lo, v[208:209], v[210:211], v[208:209]
	s_delay_alu instid0(VALU_DEP_2) | instskip(SKIP_2) | instid1(VALU_DEP_1)
	v_rcp_f64_e32 v[227:228], v[225:226]
	s_waitcnt_depctr 0xfff
	v_fma_f64 v[229:230], -v[225:226], v[227:228], 1.0
	v_fma_f64 v[227:228], v[227:228], v[229:230], v[227:228]
	s_delay_alu instid0(VALU_DEP_1) | instskip(NEXT) | instid1(VALU_DEP_1)
	v_fma_f64 v[229:230], -v[225:226], v[227:228], 1.0
	v_fma_f64 v[227:228], v[227:228], v[229:230], v[227:228]
	s_delay_alu instid0(VALU_DEP_1) | instskip(NEXT) | instid1(VALU_DEP_1)
	v_mul_f64 v[229:230], v[231:232], v[227:228]
	v_fma_f64 v[225:226], -v[225:226], v[229:230], v[231:232]
	s_delay_alu instid0(VALU_DEP_1) | instskip(NEXT) | instid1(VALU_DEP_1)
	v_div_fmas_f64 v[225:226], v[225:226], v[227:228], v[229:230]
	v_div_fixup_f64 v[225:226], v[225:226], v[210:211], v[208:209]
	s_delay_alu instid0(VALU_DEP_1) | instskip(NEXT) | instid1(VALU_DEP_1)
	v_fma_f64 v[208:209], v[208:209], v[225:226], v[210:211]
	v_div_scale_f64 v[210:211], null, v[208:209], v[208:209], 1.0
	s_delay_alu instid0(VALU_DEP_1) | instskip(SKIP_2) | instid1(VALU_DEP_1)
	v_rcp_f64_e32 v[227:228], v[210:211]
	s_waitcnt_depctr 0xfff
	v_fma_f64 v[229:230], -v[210:211], v[227:228], 1.0
	v_fma_f64 v[227:228], v[227:228], v[229:230], v[227:228]
	s_delay_alu instid0(VALU_DEP_1) | instskip(NEXT) | instid1(VALU_DEP_1)
	v_fma_f64 v[229:230], -v[210:211], v[227:228], 1.0
	v_fma_f64 v[227:228], v[227:228], v[229:230], v[227:228]
	v_div_scale_f64 v[229:230], vcc_lo, 1.0, v[208:209], 1.0
	s_delay_alu instid0(VALU_DEP_1) | instskip(NEXT) | instid1(VALU_DEP_1)
	v_mul_f64 v[231:232], v[229:230], v[227:228]
	v_fma_f64 v[210:211], -v[210:211], v[231:232], v[229:230]
	s_delay_alu instid0(VALU_DEP_1) | instskip(NEXT) | instid1(VALU_DEP_1)
	v_div_fmas_f64 v[210:211], v[210:211], v[227:228], v[231:232]
	v_div_fixup_f64 v[210:211], v[210:211], v[208:209], 1.0
	s_delay_alu instid0(VALU_DEP_1)
	v_mul_f64 v[208:209], v[225:226], v[210:211]
	v_xor_b32_e32 v211, 0x80000000, v211
.LBB102_469:
	s_and_not1_saveexec_b32 s2, s2
	s_cbranch_execz .LBB102_471
; %bb.470:
	s_delay_alu instid0(VALU_DEP_1) | instskip(SKIP_1) | instid1(VALU_DEP_2)
	v_div_scale_f64 v[225:226], null, v[208:209], v[208:209], v[210:211]
	v_div_scale_f64 v[231:232], vcc_lo, v[210:211], v[208:209], v[210:211]
	v_rcp_f64_e32 v[227:228], v[225:226]
	s_waitcnt_depctr 0xfff
	v_fma_f64 v[229:230], -v[225:226], v[227:228], 1.0
	s_delay_alu instid0(VALU_DEP_1) | instskip(NEXT) | instid1(VALU_DEP_1)
	v_fma_f64 v[227:228], v[227:228], v[229:230], v[227:228]
	v_fma_f64 v[229:230], -v[225:226], v[227:228], 1.0
	s_delay_alu instid0(VALU_DEP_1) | instskip(NEXT) | instid1(VALU_DEP_1)
	v_fma_f64 v[227:228], v[227:228], v[229:230], v[227:228]
	v_mul_f64 v[229:230], v[231:232], v[227:228]
	s_delay_alu instid0(VALU_DEP_1) | instskip(NEXT) | instid1(VALU_DEP_1)
	v_fma_f64 v[225:226], -v[225:226], v[229:230], v[231:232]
	v_div_fmas_f64 v[225:226], v[225:226], v[227:228], v[229:230]
	s_delay_alu instid0(VALU_DEP_1) | instskip(NEXT) | instid1(VALU_DEP_1)
	v_div_fixup_f64 v[225:226], v[225:226], v[208:209], v[210:211]
	v_fma_f64 v[208:209], v[210:211], v[225:226], v[208:209]
	s_delay_alu instid0(VALU_DEP_1) | instskip(NEXT) | instid1(VALU_DEP_1)
	v_div_scale_f64 v[210:211], null, v[208:209], v[208:209], 1.0
	v_rcp_f64_e32 v[227:228], v[210:211]
	s_waitcnt_depctr 0xfff
	v_fma_f64 v[229:230], -v[210:211], v[227:228], 1.0
	s_delay_alu instid0(VALU_DEP_1) | instskip(NEXT) | instid1(VALU_DEP_1)
	v_fma_f64 v[227:228], v[227:228], v[229:230], v[227:228]
	v_fma_f64 v[229:230], -v[210:211], v[227:228], 1.0
	s_delay_alu instid0(VALU_DEP_1) | instskip(SKIP_1) | instid1(VALU_DEP_1)
	v_fma_f64 v[227:228], v[227:228], v[229:230], v[227:228]
	v_div_scale_f64 v[229:230], vcc_lo, 1.0, v[208:209], 1.0
	v_mul_f64 v[231:232], v[229:230], v[227:228]
	s_delay_alu instid0(VALU_DEP_1) | instskip(NEXT) | instid1(VALU_DEP_1)
	v_fma_f64 v[210:211], -v[210:211], v[231:232], v[229:230]
	v_div_fmas_f64 v[210:211], v[210:211], v[227:228], v[231:232]
	s_delay_alu instid0(VALU_DEP_1) | instskip(NEXT) | instid1(VALU_DEP_1)
	v_div_fixup_f64 v[208:209], v[210:211], v[208:209], 1.0
	v_mul_f64 v[210:211], v[225:226], -v[208:209]
.LBB102_471:
	s_or_b32 exec_lo, exec_lo, s2
.LBB102_472:
	s_delay_alu instid0(SALU_CYCLE_1) | instskip(NEXT) | instid1(SALU_CYCLE_1)
	s_or_b32 exec_lo, exec_lo, s3
	s_mov_b32 s2, exec_lo
	v_cmpx_ne_u32_e64 v224, v216
	s_xor_b32 s2, exec_lo, s2
	s_cbranch_execz .LBB102_478
; %bb.473:
	s_mov_b32 s3, exec_lo
	v_cmpx_eq_u32_e32 22, v224
	s_cbranch_execz .LBB102_477
; %bb.474:
	v_cmp_ne_u32_e32 vcc_lo, 22, v216
	s_xor_b32 s6, s4, -1
	s_delay_alu instid0(SALU_CYCLE_1) | instskip(NEXT) | instid1(SALU_CYCLE_1)
	s_and_b32 s7, s6, vcc_lo
	s_and_saveexec_b32 s6, s7
	s_cbranch_execz .LBB102_476
; %bb.475:
	v_ashrrev_i32_e32 v217, 31, v216
	s_delay_alu instid0(VALU_DEP_1) | instskip(NEXT) | instid1(VALU_DEP_1)
	v_lshlrev_b64 v[223:224], 2, v[216:217]
	v_add_co_u32 v223, vcc_lo, v214, v223
	s_delay_alu instid0(VALU_DEP_2)
	v_add_co_ci_u32_e32 v224, vcc_lo, v215, v224, vcc_lo
	s_clause 0x1
	flat_load_b32 v217, v[223:224]
	flat_load_b32 v225, v[214:215] offset:88
	s_waitcnt vmcnt(1) lgkmcnt(1)
	flat_store_b32 v[214:215], v217 offset:88
	s_waitcnt vmcnt(0) lgkmcnt(1)
	flat_store_b32 v[223:224], v225
.LBB102_476:
	s_or_b32 exec_lo, exec_lo, s6
	v_mov_b32_e32 v224, v216
	v_mov_b32_e32 v223, v216
.LBB102_477:
	s_or_b32 exec_lo, exec_lo, s3
.LBB102_478:
	s_and_not1_saveexec_b32 s2, s2
	s_cbranch_execz .LBB102_480
; %bb.479:
	v_mov_b32_e32 v224, 22
	ds_store_2addr_b64 v218, v[112:113], v[114:115] offset0:46 offset1:47
	ds_store_2addr_b64 v218, v[108:109], v[110:111] offset0:48 offset1:49
	;; [unrolled: 1-line block ×29, first 2 shown]
.LBB102_480:
	s_or_b32 exec_lo, exec_lo, s2
	s_delay_alu instid0(SALU_CYCLE_1)
	s_mov_b32 s2, exec_lo
	s_waitcnt lgkmcnt(0)
	s_waitcnt_vscnt null, 0x0
	s_barrier
	buffer_gl0_inv
	v_cmpx_lt_i32_e32 22, v224
	s_cbranch_execz .LBB102_482
; %bb.481:
	v_mul_f64 v[216:217], v[210:211], v[118:119]
	v_mul_f64 v[118:119], v[208:209], v[118:119]
	s_delay_alu instid0(VALU_DEP_2) | instskip(NEXT) | instid1(VALU_DEP_2)
	v_fma_f64 v[216:217], v[208:209], v[116:117], -v[216:217]
	v_fma_f64 v[118:119], v[210:211], v[116:117], v[118:119]
	ds_load_2addr_b64 v[208:211], v218 offset0:46 offset1:47
	s_waitcnt lgkmcnt(0)
	v_mul_f64 v[116:117], v[210:211], v[118:119]
	s_delay_alu instid0(VALU_DEP_1) | instskip(SKIP_1) | instid1(VALU_DEP_2)
	v_fma_f64 v[116:117], v[208:209], v[216:217], -v[116:117]
	v_mul_f64 v[208:209], v[208:209], v[118:119]
	v_add_f64 v[112:113], v[112:113], -v[116:117]
	s_delay_alu instid0(VALU_DEP_2) | instskip(NEXT) | instid1(VALU_DEP_1)
	v_fma_f64 v[208:209], v[210:211], v[216:217], v[208:209]
	v_add_f64 v[114:115], v[114:115], -v[208:209]
	ds_load_2addr_b64 v[208:211], v218 offset0:48 offset1:49
	s_waitcnt lgkmcnt(0)
	v_mul_f64 v[116:117], v[210:211], v[118:119]
	s_delay_alu instid0(VALU_DEP_1) | instskip(SKIP_1) | instid1(VALU_DEP_2)
	v_fma_f64 v[116:117], v[208:209], v[216:217], -v[116:117]
	v_mul_f64 v[208:209], v[208:209], v[118:119]
	v_add_f64 v[108:109], v[108:109], -v[116:117]
	s_delay_alu instid0(VALU_DEP_2) | instskip(NEXT) | instid1(VALU_DEP_1)
	v_fma_f64 v[208:209], v[210:211], v[216:217], v[208:209]
	v_add_f64 v[110:111], v[110:111], -v[208:209]
	;; [unrolled: 10-line block ×28, first 2 shown]
	ds_load_2addr_b64 v[208:211], v218 offset0:102 offset1:103
	s_waitcnt lgkmcnt(0)
	v_mul_f64 v[116:117], v[210:211], v[118:119]
	s_delay_alu instid0(VALU_DEP_1) | instskip(SKIP_1) | instid1(VALU_DEP_2)
	v_fma_f64 v[116:117], v[208:209], v[216:217], -v[116:117]
	v_mul_f64 v[208:209], v[208:209], v[118:119]
	v_add_f64 v[0:1], v[0:1], -v[116:117]
	s_delay_alu instid0(VALU_DEP_2) | instskip(SKIP_1) | instid1(VALU_DEP_2)
	v_fma_f64 v[208:209], v[210:211], v[216:217], v[208:209]
	v_dual_mov_b32 v116, v216 :: v_dual_mov_b32 v117, v217
	v_add_f64 v[2:3], v[2:3], -v[208:209]
.LBB102_482:
	s_or_b32 exec_lo, exec_lo, s2
	v_lshl_add_u32 v208, v224, 4, v218
	s_barrier
	buffer_gl0_inv
	v_mov_b32_e32 v216, 23
	ds_store_2addr_b64 v208, v[112:113], v[114:115] offset1:1
	s_waitcnt lgkmcnt(0)
	s_barrier
	buffer_gl0_inv
	ds_load_2addr_b64 v[208:211], v218 offset0:46 offset1:47
	s_cmp_lt_i32 s5, 25
	s_cbranch_scc1 .LBB102_485
; %bb.483:
	v_add3_u32 v217, v222, 0, 0x180
	v_mov_b32_e32 v216, 23
	s_mov_b32 s6, 24
	s_set_inst_prefetch_distance 0x1
	.p2align	6
.LBB102_484:                            ; =>This Inner Loop Header: Depth=1
	ds_load_2addr_b64 v[225:228], v217 offset1:1
	s_waitcnt lgkmcnt(1)
	v_cmp_gt_f64_e32 vcc_lo, 0, v[208:209]
	v_xor_b32_e32 v229, 0x80000000, v209
	v_cmp_gt_f64_e64 s2, 0, v[210:211]
	v_xor_b32_e32 v231, 0x80000000, v211
	v_add_nc_u32_e32 v217, 16, v217
	s_waitcnt lgkmcnt(0)
	v_cmp_gt_f64_e64 s3, 0, v[225:226]
	v_mov_b32_e32 v233, v225
	v_dual_mov_b32 v235, v227 :: v_dual_cndmask_b32 v230, v209, v229
	v_xor_b32_e32 v229, 0x80000000, v226
	v_cndmask_b32_e64 v232, v211, v231, s2
	v_xor_b32_e32 v231, 0x80000000, v228
	s_delay_alu instid0(VALU_DEP_3) | instskip(SKIP_2) | instid1(VALU_DEP_2)
	v_cndmask_b32_e64 v234, v226, v229, s3
	v_cmp_gt_f64_e64 s3, 0, v[227:228]
	v_cndmask_b32_e32 v229, v208, v208, vcc_lo
	v_cndmask_b32_e64 v236, v228, v231, s3
	v_cndmask_b32_e64 v231, v210, v210, s2
	s_delay_alu instid0(VALU_DEP_2) | instskip(NEXT) | instid1(VALU_DEP_2)
	v_add_f64 v[233:234], v[233:234], v[235:236]
	v_add_f64 v[229:230], v[229:230], v[231:232]
	s_delay_alu instid0(VALU_DEP_1) | instskip(SKIP_4) | instid1(SALU_CYCLE_1)
	v_cmp_lt_f64_e32 vcc_lo, v[229:230], v[233:234]
	v_dual_cndmask_b32 v210, v210, v227 :: v_dual_cndmask_b32 v209, v209, v226
	v_dual_cndmask_b32 v208, v208, v225 :: v_dual_cndmask_b32 v211, v211, v228
	v_cndmask_b32_e64 v216, v216, s6, vcc_lo
	s_add_i32 s6, s6, 1
	s_cmp_lg_u32 s5, s6
	s_cbranch_scc1 .LBB102_484
.LBB102_485:
	s_set_inst_prefetch_distance 0x2
	s_waitcnt lgkmcnt(0)
	v_cmp_eq_f64_e32 vcc_lo, 0, v[208:209]
	v_cmp_eq_f64_e64 s2, 0, v[210:211]
	s_delay_alu instid0(VALU_DEP_1) | instskip(NEXT) | instid1(SALU_CYCLE_1)
	s_and_b32 s2, vcc_lo, s2
	s_and_saveexec_b32 s3, s2
	s_delay_alu instid0(SALU_CYCLE_1)
	s_xor_b32 s2, exec_lo, s3
; %bb.486:
	v_cmp_ne_u32_e32 vcc_lo, 0, v221
	v_cndmask_b32_e32 v221, 24, v221, vcc_lo
; %bb.487:
	s_and_not1_saveexec_b32 s3, s2
	s_cbranch_execz .LBB102_493
; %bb.488:
	v_cmp_gt_f64_e32 vcc_lo, 0, v[208:209]
	v_cmp_gt_f64_e64 s2, 0, v[210:211]
	v_xor_b32_e32 v217, 0x80000000, v209
	v_xor_b32_e32 v225, 0x80000000, v211
	s_delay_alu instid0(VALU_DEP_2) | instskip(NEXT) | instid1(VALU_DEP_2)
	v_cndmask_b32_e32 v226, v209, v217, vcc_lo
	v_cndmask_b32_e64 v228, v211, v225, s2
	v_cndmask_b32_e32 v225, v208, v208, vcc_lo
	v_cndmask_b32_e64 v227, v210, v210, s2
	s_mov_b32 s2, exec_lo
	s_delay_alu instid0(VALU_DEP_1)
	v_cmpx_ngt_f64_e32 v[225:226], v[227:228]
	s_xor_b32 s2, exec_lo, s2
	s_cbranch_execz .LBB102_490
; %bb.489:
	v_div_scale_f64 v[225:226], null, v[210:211], v[210:211], v[208:209]
	v_div_scale_f64 v[231:232], vcc_lo, v[208:209], v[210:211], v[208:209]
	s_delay_alu instid0(VALU_DEP_2) | instskip(SKIP_2) | instid1(VALU_DEP_1)
	v_rcp_f64_e32 v[227:228], v[225:226]
	s_waitcnt_depctr 0xfff
	v_fma_f64 v[229:230], -v[225:226], v[227:228], 1.0
	v_fma_f64 v[227:228], v[227:228], v[229:230], v[227:228]
	s_delay_alu instid0(VALU_DEP_1) | instskip(NEXT) | instid1(VALU_DEP_1)
	v_fma_f64 v[229:230], -v[225:226], v[227:228], 1.0
	v_fma_f64 v[227:228], v[227:228], v[229:230], v[227:228]
	s_delay_alu instid0(VALU_DEP_1) | instskip(NEXT) | instid1(VALU_DEP_1)
	v_mul_f64 v[229:230], v[231:232], v[227:228]
	v_fma_f64 v[225:226], -v[225:226], v[229:230], v[231:232]
	s_delay_alu instid0(VALU_DEP_1) | instskip(NEXT) | instid1(VALU_DEP_1)
	v_div_fmas_f64 v[225:226], v[225:226], v[227:228], v[229:230]
	v_div_fixup_f64 v[225:226], v[225:226], v[210:211], v[208:209]
	s_delay_alu instid0(VALU_DEP_1) | instskip(NEXT) | instid1(VALU_DEP_1)
	v_fma_f64 v[208:209], v[208:209], v[225:226], v[210:211]
	v_div_scale_f64 v[210:211], null, v[208:209], v[208:209], 1.0
	s_delay_alu instid0(VALU_DEP_1) | instskip(SKIP_2) | instid1(VALU_DEP_1)
	v_rcp_f64_e32 v[227:228], v[210:211]
	s_waitcnt_depctr 0xfff
	v_fma_f64 v[229:230], -v[210:211], v[227:228], 1.0
	v_fma_f64 v[227:228], v[227:228], v[229:230], v[227:228]
	s_delay_alu instid0(VALU_DEP_1) | instskip(NEXT) | instid1(VALU_DEP_1)
	v_fma_f64 v[229:230], -v[210:211], v[227:228], 1.0
	v_fma_f64 v[227:228], v[227:228], v[229:230], v[227:228]
	v_div_scale_f64 v[229:230], vcc_lo, 1.0, v[208:209], 1.0
	s_delay_alu instid0(VALU_DEP_1) | instskip(NEXT) | instid1(VALU_DEP_1)
	v_mul_f64 v[231:232], v[229:230], v[227:228]
	v_fma_f64 v[210:211], -v[210:211], v[231:232], v[229:230]
	s_delay_alu instid0(VALU_DEP_1) | instskip(NEXT) | instid1(VALU_DEP_1)
	v_div_fmas_f64 v[210:211], v[210:211], v[227:228], v[231:232]
	v_div_fixup_f64 v[210:211], v[210:211], v[208:209], 1.0
	s_delay_alu instid0(VALU_DEP_1)
	v_mul_f64 v[208:209], v[225:226], v[210:211]
	v_xor_b32_e32 v211, 0x80000000, v211
.LBB102_490:
	s_and_not1_saveexec_b32 s2, s2
	s_cbranch_execz .LBB102_492
; %bb.491:
	s_delay_alu instid0(VALU_DEP_1) | instskip(SKIP_1) | instid1(VALU_DEP_2)
	v_div_scale_f64 v[225:226], null, v[208:209], v[208:209], v[210:211]
	v_div_scale_f64 v[231:232], vcc_lo, v[210:211], v[208:209], v[210:211]
	v_rcp_f64_e32 v[227:228], v[225:226]
	s_waitcnt_depctr 0xfff
	v_fma_f64 v[229:230], -v[225:226], v[227:228], 1.0
	s_delay_alu instid0(VALU_DEP_1) | instskip(NEXT) | instid1(VALU_DEP_1)
	v_fma_f64 v[227:228], v[227:228], v[229:230], v[227:228]
	v_fma_f64 v[229:230], -v[225:226], v[227:228], 1.0
	s_delay_alu instid0(VALU_DEP_1) | instskip(NEXT) | instid1(VALU_DEP_1)
	v_fma_f64 v[227:228], v[227:228], v[229:230], v[227:228]
	v_mul_f64 v[229:230], v[231:232], v[227:228]
	s_delay_alu instid0(VALU_DEP_1) | instskip(NEXT) | instid1(VALU_DEP_1)
	v_fma_f64 v[225:226], -v[225:226], v[229:230], v[231:232]
	v_div_fmas_f64 v[225:226], v[225:226], v[227:228], v[229:230]
	s_delay_alu instid0(VALU_DEP_1) | instskip(NEXT) | instid1(VALU_DEP_1)
	v_div_fixup_f64 v[225:226], v[225:226], v[208:209], v[210:211]
	v_fma_f64 v[208:209], v[210:211], v[225:226], v[208:209]
	s_delay_alu instid0(VALU_DEP_1) | instskip(NEXT) | instid1(VALU_DEP_1)
	v_div_scale_f64 v[210:211], null, v[208:209], v[208:209], 1.0
	v_rcp_f64_e32 v[227:228], v[210:211]
	s_waitcnt_depctr 0xfff
	v_fma_f64 v[229:230], -v[210:211], v[227:228], 1.0
	s_delay_alu instid0(VALU_DEP_1) | instskip(NEXT) | instid1(VALU_DEP_1)
	v_fma_f64 v[227:228], v[227:228], v[229:230], v[227:228]
	v_fma_f64 v[229:230], -v[210:211], v[227:228], 1.0
	s_delay_alu instid0(VALU_DEP_1) | instskip(SKIP_1) | instid1(VALU_DEP_1)
	v_fma_f64 v[227:228], v[227:228], v[229:230], v[227:228]
	v_div_scale_f64 v[229:230], vcc_lo, 1.0, v[208:209], 1.0
	v_mul_f64 v[231:232], v[229:230], v[227:228]
	s_delay_alu instid0(VALU_DEP_1) | instskip(NEXT) | instid1(VALU_DEP_1)
	v_fma_f64 v[210:211], -v[210:211], v[231:232], v[229:230]
	v_div_fmas_f64 v[210:211], v[210:211], v[227:228], v[231:232]
	s_delay_alu instid0(VALU_DEP_1) | instskip(NEXT) | instid1(VALU_DEP_1)
	v_div_fixup_f64 v[208:209], v[210:211], v[208:209], 1.0
	v_mul_f64 v[210:211], v[225:226], -v[208:209]
.LBB102_492:
	s_or_b32 exec_lo, exec_lo, s2
.LBB102_493:
	s_delay_alu instid0(SALU_CYCLE_1) | instskip(NEXT) | instid1(SALU_CYCLE_1)
	s_or_b32 exec_lo, exec_lo, s3
	s_mov_b32 s2, exec_lo
	v_cmpx_ne_u32_e64 v224, v216
	s_xor_b32 s2, exec_lo, s2
	s_cbranch_execz .LBB102_499
; %bb.494:
	s_mov_b32 s3, exec_lo
	v_cmpx_eq_u32_e32 23, v224
	s_cbranch_execz .LBB102_498
; %bb.495:
	v_cmp_ne_u32_e32 vcc_lo, 23, v216
	s_xor_b32 s6, s4, -1
	s_delay_alu instid0(SALU_CYCLE_1) | instskip(NEXT) | instid1(SALU_CYCLE_1)
	s_and_b32 s7, s6, vcc_lo
	s_and_saveexec_b32 s6, s7
	s_cbranch_execz .LBB102_497
; %bb.496:
	v_ashrrev_i32_e32 v217, 31, v216
	s_delay_alu instid0(VALU_DEP_1) | instskip(NEXT) | instid1(VALU_DEP_1)
	v_lshlrev_b64 v[223:224], 2, v[216:217]
	v_add_co_u32 v223, vcc_lo, v214, v223
	s_delay_alu instid0(VALU_DEP_2)
	v_add_co_ci_u32_e32 v224, vcc_lo, v215, v224, vcc_lo
	s_clause 0x1
	flat_load_b32 v217, v[223:224]
	flat_load_b32 v225, v[214:215] offset:92
	s_waitcnt vmcnt(1) lgkmcnt(1)
	flat_store_b32 v[214:215], v217 offset:92
	s_waitcnt vmcnt(0) lgkmcnt(1)
	flat_store_b32 v[223:224], v225
.LBB102_497:
	s_or_b32 exec_lo, exec_lo, s6
	v_mov_b32_e32 v224, v216
	v_mov_b32_e32 v223, v216
.LBB102_498:
	s_or_b32 exec_lo, exec_lo, s3
.LBB102_499:
	s_and_not1_saveexec_b32 s2, s2
	s_cbranch_execz .LBB102_501
; %bb.500:
	v_mov_b32_e32 v224, 23
	ds_store_2addr_b64 v218, v[108:109], v[110:111] offset0:48 offset1:49
	ds_store_2addr_b64 v218, v[104:105], v[106:107] offset0:50 offset1:51
	;; [unrolled: 1-line block ×28, first 2 shown]
.LBB102_501:
	s_or_b32 exec_lo, exec_lo, s2
	s_delay_alu instid0(SALU_CYCLE_1)
	s_mov_b32 s2, exec_lo
	s_waitcnt lgkmcnt(0)
	s_waitcnt_vscnt null, 0x0
	s_barrier
	buffer_gl0_inv
	v_cmpx_lt_i32_e32 23, v224
	s_cbranch_execz .LBB102_503
; %bb.502:
	v_mul_f64 v[216:217], v[210:211], v[114:115]
	v_mul_f64 v[114:115], v[208:209], v[114:115]
	s_delay_alu instid0(VALU_DEP_2) | instskip(NEXT) | instid1(VALU_DEP_2)
	v_fma_f64 v[216:217], v[208:209], v[112:113], -v[216:217]
	v_fma_f64 v[114:115], v[210:211], v[112:113], v[114:115]
	ds_load_2addr_b64 v[208:211], v218 offset0:48 offset1:49
	s_waitcnt lgkmcnt(0)
	v_mul_f64 v[112:113], v[210:211], v[114:115]
	s_delay_alu instid0(VALU_DEP_1) | instskip(SKIP_1) | instid1(VALU_DEP_2)
	v_fma_f64 v[112:113], v[208:209], v[216:217], -v[112:113]
	v_mul_f64 v[208:209], v[208:209], v[114:115]
	v_add_f64 v[108:109], v[108:109], -v[112:113]
	s_delay_alu instid0(VALU_DEP_2) | instskip(NEXT) | instid1(VALU_DEP_1)
	v_fma_f64 v[208:209], v[210:211], v[216:217], v[208:209]
	v_add_f64 v[110:111], v[110:111], -v[208:209]
	ds_load_2addr_b64 v[208:211], v218 offset0:50 offset1:51
	s_waitcnt lgkmcnt(0)
	v_mul_f64 v[112:113], v[210:211], v[114:115]
	s_delay_alu instid0(VALU_DEP_1) | instskip(SKIP_1) | instid1(VALU_DEP_2)
	v_fma_f64 v[112:113], v[208:209], v[216:217], -v[112:113]
	v_mul_f64 v[208:209], v[208:209], v[114:115]
	v_add_f64 v[104:105], v[104:105], -v[112:113]
	s_delay_alu instid0(VALU_DEP_2) | instskip(NEXT) | instid1(VALU_DEP_1)
	v_fma_f64 v[208:209], v[210:211], v[216:217], v[208:209]
	v_add_f64 v[106:107], v[106:107], -v[208:209]
	ds_load_2addr_b64 v[208:211], v218 offset0:52 offset1:53
	s_waitcnt lgkmcnt(0)
	v_mul_f64 v[112:113], v[210:211], v[114:115]
	s_delay_alu instid0(VALU_DEP_1) | instskip(SKIP_1) | instid1(VALU_DEP_2)
	v_fma_f64 v[112:113], v[208:209], v[216:217], -v[112:113]
	v_mul_f64 v[208:209], v[208:209], v[114:115]
	v_add_f64 v[100:101], v[100:101], -v[112:113]
	s_delay_alu instid0(VALU_DEP_2) | instskip(NEXT) | instid1(VALU_DEP_1)
	v_fma_f64 v[208:209], v[210:211], v[216:217], v[208:209]
	v_add_f64 v[102:103], v[102:103], -v[208:209]
	ds_load_2addr_b64 v[208:211], v218 offset0:54 offset1:55
	s_waitcnt lgkmcnt(0)
	v_mul_f64 v[112:113], v[210:211], v[114:115]
	s_delay_alu instid0(VALU_DEP_1) | instskip(SKIP_1) | instid1(VALU_DEP_2)
	v_fma_f64 v[112:113], v[208:209], v[216:217], -v[112:113]
	v_mul_f64 v[208:209], v[208:209], v[114:115]
	v_add_f64 v[96:97], v[96:97], -v[112:113]
	s_delay_alu instid0(VALU_DEP_2) | instskip(NEXT) | instid1(VALU_DEP_1)
	v_fma_f64 v[208:209], v[210:211], v[216:217], v[208:209]
	v_add_f64 v[98:99], v[98:99], -v[208:209]
	ds_load_2addr_b64 v[208:211], v218 offset0:56 offset1:57
	s_waitcnt lgkmcnt(0)
	v_mul_f64 v[112:113], v[210:211], v[114:115]
	s_delay_alu instid0(VALU_DEP_1) | instskip(SKIP_1) | instid1(VALU_DEP_2)
	v_fma_f64 v[112:113], v[208:209], v[216:217], -v[112:113]
	v_mul_f64 v[208:209], v[208:209], v[114:115]
	v_add_f64 v[92:93], v[92:93], -v[112:113]
	s_delay_alu instid0(VALU_DEP_2) | instskip(NEXT) | instid1(VALU_DEP_1)
	v_fma_f64 v[208:209], v[210:211], v[216:217], v[208:209]
	v_add_f64 v[94:95], v[94:95], -v[208:209]
	ds_load_2addr_b64 v[208:211], v218 offset0:58 offset1:59
	s_waitcnt lgkmcnt(0)
	v_mul_f64 v[112:113], v[210:211], v[114:115]
	s_delay_alu instid0(VALU_DEP_1) | instskip(SKIP_1) | instid1(VALU_DEP_2)
	v_fma_f64 v[112:113], v[208:209], v[216:217], -v[112:113]
	v_mul_f64 v[208:209], v[208:209], v[114:115]
	v_add_f64 v[88:89], v[88:89], -v[112:113]
	s_delay_alu instid0(VALU_DEP_2) | instskip(NEXT) | instid1(VALU_DEP_1)
	v_fma_f64 v[208:209], v[210:211], v[216:217], v[208:209]
	v_add_f64 v[90:91], v[90:91], -v[208:209]
	ds_load_2addr_b64 v[208:211], v218 offset0:60 offset1:61
	s_waitcnt lgkmcnt(0)
	v_mul_f64 v[112:113], v[210:211], v[114:115]
	s_delay_alu instid0(VALU_DEP_1) | instskip(SKIP_1) | instid1(VALU_DEP_2)
	v_fma_f64 v[112:113], v[208:209], v[216:217], -v[112:113]
	v_mul_f64 v[208:209], v[208:209], v[114:115]
	v_add_f64 v[84:85], v[84:85], -v[112:113]
	s_delay_alu instid0(VALU_DEP_2) | instskip(NEXT) | instid1(VALU_DEP_1)
	v_fma_f64 v[208:209], v[210:211], v[216:217], v[208:209]
	v_add_f64 v[86:87], v[86:87], -v[208:209]
	ds_load_2addr_b64 v[208:211], v218 offset0:62 offset1:63
	s_waitcnt lgkmcnt(0)
	v_mul_f64 v[112:113], v[210:211], v[114:115]
	s_delay_alu instid0(VALU_DEP_1) | instskip(SKIP_1) | instid1(VALU_DEP_2)
	v_fma_f64 v[112:113], v[208:209], v[216:217], -v[112:113]
	v_mul_f64 v[208:209], v[208:209], v[114:115]
	v_add_f64 v[80:81], v[80:81], -v[112:113]
	s_delay_alu instid0(VALU_DEP_2) | instskip(NEXT) | instid1(VALU_DEP_1)
	v_fma_f64 v[208:209], v[210:211], v[216:217], v[208:209]
	v_add_f64 v[82:83], v[82:83], -v[208:209]
	ds_load_2addr_b64 v[208:211], v218 offset0:64 offset1:65
	s_waitcnt lgkmcnt(0)
	v_mul_f64 v[112:113], v[210:211], v[114:115]
	s_delay_alu instid0(VALU_DEP_1) | instskip(SKIP_1) | instid1(VALU_DEP_2)
	v_fma_f64 v[112:113], v[208:209], v[216:217], -v[112:113]
	v_mul_f64 v[208:209], v[208:209], v[114:115]
	v_add_f64 v[76:77], v[76:77], -v[112:113]
	s_delay_alu instid0(VALU_DEP_2) | instskip(NEXT) | instid1(VALU_DEP_1)
	v_fma_f64 v[208:209], v[210:211], v[216:217], v[208:209]
	v_add_f64 v[78:79], v[78:79], -v[208:209]
	ds_load_2addr_b64 v[208:211], v218 offset0:66 offset1:67
	s_waitcnt lgkmcnt(0)
	v_mul_f64 v[112:113], v[210:211], v[114:115]
	s_delay_alu instid0(VALU_DEP_1) | instskip(SKIP_1) | instid1(VALU_DEP_2)
	v_fma_f64 v[112:113], v[208:209], v[216:217], -v[112:113]
	v_mul_f64 v[208:209], v[208:209], v[114:115]
	v_add_f64 v[72:73], v[72:73], -v[112:113]
	s_delay_alu instid0(VALU_DEP_2) | instskip(NEXT) | instid1(VALU_DEP_1)
	v_fma_f64 v[208:209], v[210:211], v[216:217], v[208:209]
	v_add_f64 v[74:75], v[74:75], -v[208:209]
	ds_load_2addr_b64 v[208:211], v218 offset0:68 offset1:69
	s_waitcnt lgkmcnt(0)
	v_mul_f64 v[112:113], v[210:211], v[114:115]
	s_delay_alu instid0(VALU_DEP_1) | instskip(SKIP_1) | instid1(VALU_DEP_2)
	v_fma_f64 v[112:113], v[208:209], v[216:217], -v[112:113]
	v_mul_f64 v[208:209], v[208:209], v[114:115]
	v_add_f64 v[68:69], v[68:69], -v[112:113]
	s_delay_alu instid0(VALU_DEP_2) | instskip(NEXT) | instid1(VALU_DEP_1)
	v_fma_f64 v[208:209], v[210:211], v[216:217], v[208:209]
	v_add_f64 v[70:71], v[70:71], -v[208:209]
	ds_load_2addr_b64 v[208:211], v218 offset0:70 offset1:71
	s_waitcnt lgkmcnt(0)
	v_mul_f64 v[112:113], v[210:211], v[114:115]
	s_delay_alu instid0(VALU_DEP_1) | instskip(SKIP_1) | instid1(VALU_DEP_2)
	v_fma_f64 v[112:113], v[208:209], v[216:217], -v[112:113]
	v_mul_f64 v[208:209], v[208:209], v[114:115]
	v_add_f64 v[64:65], v[64:65], -v[112:113]
	s_delay_alu instid0(VALU_DEP_2) | instskip(NEXT) | instid1(VALU_DEP_1)
	v_fma_f64 v[208:209], v[210:211], v[216:217], v[208:209]
	v_add_f64 v[66:67], v[66:67], -v[208:209]
	ds_load_2addr_b64 v[208:211], v218 offset0:72 offset1:73
	s_waitcnt lgkmcnt(0)
	v_mul_f64 v[112:113], v[210:211], v[114:115]
	s_delay_alu instid0(VALU_DEP_1) | instskip(SKIP_1) | instid1(VALU_DEP_2)
	v_fma_f64 v[112:113], v[208:209], v[216:217], -v[112:113]
	v_mul_f64 v[208:209], v[208:209], v[114:115]
	v_add_f64 v[60:61], v[60:61], -v[112:113]
	s_delay_alu instid0(VALU_DEP_2) | instskip(NEXT) | instid1(VALU_DEP_1)
	v_fma_f64 v[208:209], v[210:211], v[216:217], v[208:209]
	v_add_f64 v[62:63], v[62:63], -v[208:209]
	ds_load_2addr_b64 v[208:211], v218 offset0:74 offset1:75
	s_waitcnt lgkmcnt(0)
	v_mul_f64 v[112:113], v[210:211], v[114:115]
	s_delay_alu instid0(VALU_DEP_1) | instskip(SKIP_1) | instid1(VALU_DEP_2)
	v_fma_f64 v[112:113], v[208:209], v[216:217], -v[112:113]
	v_mul_f64 v[208:209], v[208:209], v[114:115]
	v_add_f64 v[56:57], v[56:57], -v[112:113]
	s_delay_alu instid0(VALU_DEP_2) | instskip(NEXT) | instid1(VALU_DEP_1)
	v_fma_f64 v[208:209], v[210:211], v[216:217], v[208:209]
	v_add_f64 v[58:59], v[58:59], -v[208:209]
	ds_load_2addr_b64 v[208:211], v218 offset0:76 offset1:77
	s_waitcnt lgkmcnt(0)
	v_mul_f64 v[112:113], v[210:211], v[114:115]
	s_delay_alu instid0(VALU_DEP_1) | instskip(SKIP_1) | instid1(VALU_DEP_2)
	v_fma_f64 v[112:113], v[208:209], v[216:217], -v[112:113]
	v_mul_f64 v[208:209], v[208:209], v[114:115]
	v_add_f64 v[52:53], v[52:53], -v[112:113]
	s_delay_alu instid0(VALU_DEP_2) | instskip(NEXT) | instid1(VALU_DEP_1)
	v_fma_f64 v[208:209], v[210:211], v[216:217], v[208:209]
	v_add_f64 v[54:55], v[54:55], -v[208:209]
	ds_load_2addr_b64 v[208:211], v218 offset0:78 offset1:79
	s_waitcnt lgkmcnt(0)
	v_mul_f64 v[112:113], v[210:211], v[114:115]
	s_delay_alu instid0(VALU_DEP_1) | instskip(SKIP_1) | instid1(VALU_DEP_2)
	v_fma_f64 v[112:113], v[208:209], v[216:217], -v[112:113]
	v_mul_f64 v[208:209], v[208:209], v[114:115]
	v_add_f64 v[48:49], v[48:49], -v[112:113]
	s_delay_alu instid0(VALU_DEP_2) | instskip(NEXT) | instid1(VALU_DEP_1)
	v_fma_f64 v[208:209], v[210:211], v[216:217], v[208:209]
	v_add_f64 v[50:51], v[50:51], -v[208:209]
	ds_load_2addr_b64 v[208:211], v218 offset0:80 offset1:81
	s_waitcnt lgkmcnt(0)
	v_mul_f64 v[112:113], v[210:211], v[114:115]
	s_delay_alu instid0(VALU_DEP_1) | instskip(SKIP_1) | instid1(VALU_DEP_2)
	v_fma_f64 v[112:113], v[208:209], v[216:217], -v[112:113]
	v_mul_f64 v[208:209], v[208:209], v[114:115]
	v_add_f64 v[44:45], v[44:45], -v[112:113]
	s_delay_alu instid0(VALU_DEP_2) | instskip(NEXT) | instid1(VALU_DEP_1)
	v_fma_f64 v[208:209], v[210:211], v[216:217], v[208:209]
	v_add_f64 v[46:47], v[46:47], -v[208:209]
	ds_load_2addr_b64 v[208:211], v218 offset0:82 offset1:83
	s_waitcnt lgkmcnt(0)
	v_mul_f64 v[112:113], v[210:211], v[114:115]
	s_delay_alu instid0(VALU_DEP_1) | instskip(SKIP_1) | instid1(VALU_DEP_2)
	v_fma_f64 v[112:113], v[208:209], v[216:217], -v[112:113]
	v_mul_f64 v[208:209], v[208:209], v[114:115]
	v_add_f64 v[40:41], v[40:41], -v[112:113]
	s_delay_alu instid0(VALU_DEP_2) | instskip(NEXT) | instid1(VALU_DEP_1)
	v_fma_f64 v[208:209], v[210:211], v[216:217], v[208:209]
	v_add_f64 v[42:43], v[42:43], -v[208:209]
	ds_load_2addr_b64 v[208:211], v218 offset0:84 offset1:85
	s_waitcnt lgkmcnt(0)
	v_mul_f64 v[112:113], v[210:211], v[114:115]
	s_delay_alu instid0(VALU_DEP_1) | instskip(SKIP_1) | instid1(VALU_DEP_2)
	v_fma_f64 v[112:113], v[208:209], v[216:217], -v[112:113]
	v_mul_f64 v[208:209], v[208:209], v[114:115]
	v_add_f64 v[36:37], v[36:37], -v[112:113]
	s_delay_alu instid0(VALU_DEP_2) | instskip(NEXT) | instid1(VALU_DEP_1)
	v_fma_f64 v[208:209], v[210:211], v[216:217], v[208:209]
	v_add_f64 v[38:39], v[38:39], -v[208:209]
	ds_load_2addr_b64 v[208:211], v218 offset0:86 offset1:87
	s_waitcnt lgkmcnt(0)
	v_mul_f64 v[112:113], v[210:211], v[114:115]
	s_delay_alu instid0(VALU_DEP_1) | instskip(SKIP_1) | instid1(VALU_DEP_2)
	v_fma_f64 v[112:113], v[208:209], v[216:217], -v[112:113]
	v_mul_f64 v[208:209], v[208:209], v[114:115]
	v_add_f64 v[32:33], v[32:33], -v[112:113]
	s_delay_alu instid0(VALU_DEP_2) | instskip(NEXT) | instid1(VALU_DEP_1)
	v_fma_f64 v[208:209], v[210:211], v[216:217], v[208:209]
	v_add_f64 v[34:35], v[34:35], -v[208:209]
	ds_load_2addr_b64 v[208:211], v218 offset0:88 offset1:89
	s_waitcnt lgkmcnt(0)
	v_mul_f64 v[112:113], v[210:211], v[114:115]
	s_delay_alu instid0(VALU_DEP_1) | instskip(SKIP_1) | instid1(VALU_DEP_2)
	v_fma_f64 v[112:113], v[208:209], v[216:217], -v[112:113]
	v_mul_f64 v[208:209], v[208:209], v[114:115]
	v_add_f64 v[28:29], v[28:29], -v[112:113]
	s_delay_alu instid0(VALU_DEP_2) | instskip(NEXT) | instid1(VALU_DEP_1)
	v_fma_f64 v[208:209], v[210:211], v[216:217], v[208:209]
	v_add_f64 v[30:31], v[30:31], -v[208:209]
	ds_load_2addr_b64 v[208:211], v218 offset0:90 offset1:91
	s_waitcnt lgkmcnt(0)
	v_mul_f64 v[112:113], v[210:211], v[114:115]
	s_delay_alu instid0(VALU_DEP_1) | instskip(SKIP_1) | instid1(VALU_DEP_2)
	v_fma_f64 v[112:113], v[208:209], v[216:217], -v[112:113]
	v_mul_f64 v[208:209], v[208:209], v[114:115]
	v_add_f64 v[24:25], v[24:25], -v[112:113]
	s_delay_alu instid0(VALU_DEP_2) | instskip(NEXT) | instid1(VALU_DEP_1)
	v_fma_f64 v[208:209], v[210:211], v[216:217], v[208:209]
	v_add_f64 v[26:27], v[26:27], -v[208:209]
	ds_load_2addr_b64 v[208:211], v218 offset0:92 offset1:93
	s_waitcnt lgkmcnt(0)
	v_mul_f64 v[112:113], v[210:211], v[114:115]
	s_delay_alu instid0(VALU_DEP_1) | instskip(SKIP_1) | instid1(VALU_DEP_2)
	v_fma_f64 v[112:113], v[208:209], v[216:217], -v[112:113]
	v_mul_f64 v[208:209], v[208:209], v[114:115]
	v_add_f64 v[20:21], v[20:21], -v[112:113]
	s_delay_alu instid0(VALU_DEP_2) | instskip(NEXT) | instid1(VALU_DEP_1)
	v_fma_f64 v[208:209], v[210:211], v[216:217], v[208:209]
	v_add_f64 v[22:23], v[22:23], -v[208:209]
	ds_load_2addr_b64 v[208:211], v218 offset0:94 offset1:95
	s_waitcnt lgkmcnt(0)
	v_mul_f64 v[112:113], v[210:211], v[114:115]
	s_delay_alu instid0(VALU_DEP_1) | instskip(SKIP_1) | instid1(VALU_DEP_2)
	v_fma_f64 v[112:113], v[208:209], v[216:217], -v[112:113]
	v_mul_f64 v[208:209], v[208:209], v[114:115]
	v_add_f64 v[16:17], v[16:17], -v[112:113]
	s_delay_alu instid0(VALU_DEP_2) | instskip(NEXT) | instid1(VALU_DEP_1)
	v_fma_f64 v[208:209], v[210:211], v[216:217], v[208:209]
	v_add_f64 v[18:19], v[18:19], -v[208:209]
	ds_load_2addr_b64 v[208:211], v218 offset0:96 offset1:97
	s_waitcnt lgkmcnt(0)
	v_mul_f64 v[112:113], v[210:211], v[114:115]
	s_delay_alu instid0(VALU_DEP_1) | instskip(SKIP_1) | instid1(VALU_DEP_2)
	v_fma_f64 v[112:113], v[208:209], v[216:217], -v[112:113]
	v_mul_f64 v[208:209], v[208:209], v[114:115]
	v_add_f64 v[12:13], v[12:13], -v[112:113]
	s_delay_alu instid0(VALU_DEP_2) | instskip(NEXT) | instid1(VALU_DEP_1)
	v_fma_f64 v[208:209], v[210:211], v[216:217], v[208:209]
	v_add_f64 v[14:15], v[14:15], -v[208:209]
	ds_load_2addr_b64 v[208:211], v218 offset0:98 offset1:99
	s_waitcnt lgkmcnt(0)
	v_mul_f64 v[112:113], v[210:211], v[114:115]
	s_delay_alu instid0(VALU_DEP_1) | instskip(SKIP_1) | instid1(VALU_DEP_2)
	v_fma_f64 v[112:113], v[208:209], v[216:217], -v[112:113]
	v_mul_f64 v[208:209], v[208:209], v[114:115]
	v_add_f64 v[8:9], v[8:9], -v[112:113]
	s_delay_alu instid0(VALU_DEP_2) | instskip(NEXT) | instid1(VALU_DEP_1)
	v_fma_f64 v[208:209], v[210:211], v[216:217], v[208:209]
	v_add_f64 v[10:11], v[10:11], -v[208:209]
	ds_load_2addr_b64 v[208:211], v218 offset0:100 offset1:101
	s_waitcnt lgkmcnt(0)
	v_mul_f64 v[112:113], v[210:211], v[114:115]
	s_delay_alu instid0(VALU_DEP_1) | instskip(SKIP_1) | instid1(VALU_DEP_2)
	v_fma_f64 v[112:113], v[208:209], v[216:217], -v[112:113]
	v_mul_f64 v[208:209], v[208:209], v[114:115]
	v_add_f64 v[4:5], v[4:5], -v[112:113]
	s_delay_alu instid0(VALU_DEP_2) | instskip(NEXT) | instid1(VALU_DEP_1)
	v_fma_f64 v[208:209], v[210:211], v[216:217], v[208:209]
	v_add_f64 v[6:7], v[6:7], -v[208:209]
	ds_load_2addr_b64 v[208:211], v218 offset0:102 offset1:103
	s_waitcnt lgkmcnt(0)
	v_mul_f64 v[112:113], v[210:211], v[114:115]
	s_delay_alu instid0(VALU_DEP_1) | instskip(SKIP_1) | instid1(VALU_DEP_2)
	v_fma_f64 v[112:113], v[208:209], v[216:217], -v[112:113]
	v_mul_f64 v[208:209], v[208:209], v[114:115]
	v_add_f64 v[0:1], v[0:1], -v[112:113]
	s_delay_alu instid0(VALU_DEP_2) | instskip(SKIP_1) | instid1(VALU_DEP_2)
	v_fma_f64 v[208:209], v[210:211], v[216:217], v[208:209]
	v_dual_mov_b32 v112, v216 :: v_dual_mov_b32 v113, v217
	v_add_f64 v[2:3], v[2:3], -v[208:209]
.LBB102_503:
	s_or_b32 exec_lo, exec_lo, s2
	v_lshl_add_u32 v208, v224, 4, v218
	s_barrier
	buffer_gl0_inv
	v_mov_b32_e32 v216, 24
	ds_store_2addr_b64 v208, v[108:109], v[110:111] offset1:1
	s_waitcnt lgkmcnt(0)
	s_barrier
	buffer_gl0_inv
	ds_load_2addr_b64 v[208:211], v218 offset0:48 offset1:49
	s_cmp_lt_i32 s5, 26
	s_cbranch_scc1 .LBB102_506
; %bb.504:
	v_add3_u32 v217, v222, 0, 0x190
	v_mov_b32_e32 v216, 24
	s_mov_b32 s6, 25
	s_set_inst_prefetch_distance 0x1
	.p2align	6
.LBB102_505:                            ; =>This Inner Loop Header: Depth=1
	ds_load_2addr_b64 v[225:228], v217 offset1:1
	s_waitcnt lgkmcnt(1)
	v_cmp_gt_f64_e32 vcc_lo, 0, v[208:209]
	v_xor_b32_e32 v229, 0x80000000, v209
	v_cmp_gt_f64_e64 s2, 0, v[210:211]
	v_xor_b32_e32 v231, 0x80000000, v211
	v_add_nc_u32_e32 v217, 16, v217
	s_waitcnt lgkmcnt(0)
	v_cmp_gt_f64_e64 s3, 0, v[225:226]
	v_mov_b32_e32 v233, v225
	v_dual_mov_b32 v235, v227 :: v_dual_cndmask_b32 v230, v209, v229
	v_xor_b32_e32 v229, 0x80000000, v226
	v_cndmask_b32_e64 v232, v211, v231, s2
	v_xor_b32_e32 v231, 0x80000000, v228
	s_delay_alu instid0(VALU_DEP_3) | instskip(SKIP_2) | instid1(VALU_DEP_2)
	v_cndmask_b32_e64 v234, v226, v229, s3
	v_cmp_gt_f64_e64 s3, 0, v[227:228]
	v_cndmask_b32_e32 v229, v208, v208, vcc_lo
	v_cndmask_b32_e64 v236, v228, v231, s3
	v_cndmask_b32_e64 v231, v210, v210, s2
	s_delay_alu instid0(VALU_DEP_2) | instskip(NEXT) | instid1(VALU_DEP_2)
	v_add_f64 v[233:234], v[233:234], v[235:236]
	v_add_f64 v[229:230], v[229:230], v[231:232]
	s_delay_alu instid0(VALU_DEP_1) | instskip(SKIP_4) | instid1(SALU_CYCLE_1)
	v_cmp_lt_f64_e32 vcc_lo, v[229:230], v[233:234]
	v_dual_cndmask_b32 v210, v210, v227 :: v_dual_cndmask_b32 v209, v209, v226
	v_dual_cndmask_b32 v208, v208, v225 :: v_dual_cndmask_b32 v211, v211, v228
	v_cndmask_b32_e64 v216, v216, s6, vcc_lo
	s_add_i32 s6, s6, 1
	s_cmp_lg_u32 s5, s6
	s_cbranch_scc1 .LBB102_505
.LBB102_506:
	s_set_inst_prefetch_distance 0x2
	s_waitcnt lgkmcnt(0)
	v_cmp_eq_f64_e32 vcc_lo, 0, v[208:209]
	v_cmp_eq_f64_e64 s2, 0, v[210:211]
	s_delay_alu instid0(VALU_DEP_1) | instskip(NEXT) | instid1(SALU_CYCLE_1)
	s_and_b32 s2, vcc_lo, s2
	s_and_saveexec_b32 s3, s2
	s_delay_alu instid0(SALU_CYCLE_1)
	s_xor_b32 s2, exec_lo, s3
; %bb.507:
	v_cmp_ne_u32_e32 vcc_lo, 0, v221
	v_cndmask_b32_e32 v221, 25, v221, vcc_lo
; %bb.508:
	s_and_not1_saveexec_b32 s3, s2
	s_cbranch_execz .LBB102_514
; %bb.509:
	v_cmp_gt_f64_e32 vcc_lo, 0, v[208:209]
	v_cmp_gt_f64_e64 s2, 0, v[210:211]
	v_xor_b32_e32 v217, 0x80000000, v209
	v_xor_b32_e32 v225, 0x80000000, v211
	s_delay_alu instid0(VALU_DEP_2) | instskip(NEXT) | instid1(VALU_DEP_2)
	v_cndmask_b32_e32 v226, v209, v217, vcc_lo
	v_cndmask_b32_e64 v228, v211, v225, s2
	v_cndmask_b32_e32 v225, v208, v208, vcc_lo
	v_cndmask_b32_e64 v227, v210, v210, s2
	s_mov_b32 s2, exec_lo
	s_delay_alu instid0(VALU_DEP_1)
	v_cmpx_ngt_f64_e32 v[225:226], v[227:228]
	s_xor_b32 s2, exec_lo, s2
	s_cbranch_execz .LBB102_511
; %bb.510:
	v_div_scale_f64 v[225:226], null, v[210:211], v[210:211], v[208:209]
	v_div_scale_f64 v[231:232], vcc_lo, v[208:209], v[210:211], v[208:209]
	s_delay_alu instid0(VALU_DEP_2) | instskip(SKIP_2) | instid1(VALU_DEP_1)
	v_rcp_f64_e32 v[227:228], v[225:226]
	s_waitcnt_depctr 0xfff
	v_fma_f64 v[229:230], -v[225:226], v[227:228], 1.0
	v_fma_f64 v[227:228], v[227:228], v[229:230], v[227:228]
	s_delay_alu instid0(VALU_DEP_1) | instskip(NEXT) | instid1(VALU_DEP_1)
	v_fma_f64 v[229:230], -v[225:226], v[227:228], 1.0
	v_fma_f64 v[227:228], v[227:228], v[229:230], v[227:228]
	s_delay_alu instid0(VALU_DEP_1) | instskip(NEXT) | instid1(VALU_DEP_1)
	v_mul_f64 v[229:230], v[231:232], v[227:228]
	v_fma_f64 v[225:226], -v[225:226], v[229:230], v[231:232]
	s_delay_alu instid0(VALU_DEP_1) | instskip(NEXT) | instid1(VALU_DEP_1)
	v_div_fmas_f64 v[225:226], v[225:226], v[227:228], v[229:230]
	v_div_fixup_f64 v[225:226], v[225:226], v[210:211], v[208:209]
	s_delay_alu instid0(VALU_DEP_1) | instskip(NEXT) | instid1(VALU_DEP_1)
	v_fma_f64 v[208:209], v[208:209], v[225:226], v[210:211]
	v_div_scale_f64 v[210:211], null, v[208:209], v[208:209], 1.0
	s_delay_alu instid0(VALU_DEP_1) | instskip(SKIP_2) | instid1(VALU_DEP_1)
	v_rcp_f64_e32 v[227:228], v[210:211]
	s_waitcnt_depctr 0xfff
	v_fma_f64 v[229:230], -v[210:211], v[227:228], 1.0
	v_fma_f64 v[227:228], v[227:228], v[229:230], v[227:228]
	s_delay_alu instid0(VALU_DEP_1) | instskip(NEXT) | instid1(VALU_DEP_1)
	v_fma_f64 v[229:230], -v[210:211], v[227:228], 1.0
	v_fma_f64 v[227:228], v[227:228], v[229:230], v[227:228]
	v_div_scale_f64 v[229:230], vcc_lo, 1.0, v[208:209], 1.0
	s_delay_alu instid0(VALU_DEP_1) | instskip(NEXT) | instid1(VALU_DEP_1)
	v_mul_f64 v[231:232], v[229:230], v[227:228]
	v_fma_f64 v[210:211], -v[210:211], v[231:232], v[229:230]
	s_delay_alu instid0(VALU_DEP_1) | instskip(NEXT) | instid1(VALU_DEP_1)
	v_div_fmas_f64 v[210:211], v[210:211], v[227:228], v[231:232]
	v_div_fixup_f64 v[210:211], v[210:211], v[208:209], 1.0
	s_delay_alu instid0(VALU_DEP_1)
	v_mul_f64 v[208:209], v[225:226], v[210:211]
	v_xor_b32_e32 v211, 0x80000000, v211
.LBB102_511:
	s_and_not1_saveexec_b32 s2, s2
	s_cbranch_execz .LBB102_513
; %bb.512:
	s_delay_alu instid0(VALU_DEP_1) | instskip(SKIP_1) | instid1(VALU_DEP_2)
	v_div_scale_f64 v[225:226], null, v[208:209], v[208:209], v[210:211]
	v_div_scale_f64 v[231:232], vcc_lo, v[210:211], v[208:209], v[210:211]
	v_rcp_f64_e32 v[227:228], v[225:226]
	s_waitcnt_depctr 0xfff
	v_fma_f64 v[229:230], -v[225:226], v[227:228], 1.0
	s_delay_alu instid0(VALU_DEP_1) | instskip(NEXT) | instid1(VALU_DEP_1)
	v_fma_f64 v[227:228], v[227:228], v[229:230], v[227:228]
	v_fma_f64 v[229:230], -v[225:226], v[227:228], 1.0
	s_delay_alu instid0(VALU_DEP_1) | instskip(NEXT) | instid1(VALU_DEP_1)
	v_fma_f64 v[227:228], v[227:228], v[229:230], v[227:228]
	v_mul_f64 v[229:230], v[231:232], v[227:228]
	s_delay_alu instid0(VALU_DEP_1) | instskip(NEXT) | instid1(VALU_DEP_1)
	v_fma_f64 v[225:226], -v[225:226], v[229:230], v[231:232]
	v_div_fmas_f64 v[225:226], v[225:226], v[227:228], v[229:230]
	s_delay_alu instid0(VALU_DEP_1) | instskip(NEXT) | instid1(VALU_DEP_1)
	v_div_fixup_f64 v[225:226], v[225:226], v[208:209], v[210:211]
	v_fma_f64 v[208:209], v[210:211], v[225:226], v[208:209]
	s_delay_alu instid0(VALU_DEP_1) | instskip(NEXT) | instid1(VALU_DEP_1)
	v_div_scale_f64 v[210:211], null, v[208:209], v[208:209], 1.0
	v_rcp_f64_e32 v[227:228], v[210:211]
	s_waitcnt_depctr 0xfff
	v_fma_f64 v[229:230], -v[210:211], v[227:228], 1.0
	s_delay_alu instid0(VALU_DEP_1) | instskip(NEXT) | instid1(VALU_DEP_1)
	v_fma_f64 v[227:228], v[227:228], v[229:230], v[227:228]
	v_fma_f64 v[229:230], -v[210:211], v[227:228], 1.0
	s_delay_alu instid0(VALU_DEP_1) | instskip(SKIP_1) | instid1(VALU_DEP_1)
	v_fma_f64 v[227:228], v[227:228], v[229:230], v[227:228]
	v_div_scale_f64 v[229:230], vcc_lo, 1.0, v[208:209], 1.0
	v_mul_f64 v[231:232], v[229:230], v[227:228]
	s_delay_alu instid0(VALU_DEP_1) | instskip(NEXT) | instid1(VALU_DEP_1)
	v_fma_f64 v[210:211], -v[210:211], v[231:232], v[229:230]
	v_div_fmas_f64 v[210:211], v[210:211], v[227:228], v[231:232]
	s_delay_alu instid0(VALU_DEP_1) | instskip(NEXT) | instid1(VALU_DEP_1)
	v_div_fixup_f64 v[208:209], v[210:211], v[208:209], 1.0
	v_mul_f64 v[210:211], v[225:226], -v[208:209]
.LBB102_513:
	s_or_b32 exec_lo, exec_lo, s2
.LBB102_514:
	s_delay_alu instid0(SALU_CYCLE_1) | instskip(NEXT) | instid1(SALU_CYCLE_1)
	s_or_b32 exec_lo, exec_lo, s3
	s_mov_b32 s2, exec_lo
	v_cmpx_ne_u32_e64 v224, v216
	s_xor_b32 s2, exec_lo, s2
	s_cbranch_execz .LBB102_520
; %bb.515:
	s_mov_b32 s3, exec_lo
	v_cmpx_eq_u32_e32 24, v224
	s_cbranch_execz .LBB102_519
; %bb.516:
	v_cmp_ne_u32_e32 vcc_lo, 24, v216
	s_xor_b32 s6, s4, -1
	s_delay_alu instid0(SALU_CYCLE_1) | instskip(NEXT) | instid1(SALU_CYCLE_1)
	s_and_b32 s7, s6, vcc_lo
	s_and_saveexec_b32 s6, s7
	s_cbranch_execz .LBB102_518
; %bb.517:
	v_ashrrev_i32_e32 v217, 31, v216
	s_delay_alu instid0(VALU_DEP_1) | instskip(NEXT) | instid1(VALU_DEP_1)
	v_lshlrev_b64 v[223:224], 2, v[216:217]
	v_add_co_u32 v223, vcc_lo, v214, v223
	s_delay_alu instid0(VALU_DEP_2)
	v_add_co_ci_u32_e32 v224, vcc_lo, v215, v224, vcc_lo
	s_clause 0x1
	flat_load_b32 v217, v[223:224]
	flat_load_b32 v225, v[214:215] offset:96
	s_waitcnt vmcnt(1) lgkmcnt(1)
	flat_store_b32 v[214:215], v217 offset:96
	s_waitcnt vmcnt(0) lgkmcnt(1)
	flat_store_b32 v[223:224], v225
.LBB102_518:
	s_or_b32 exec_lo, exec_lo, s6
	v_mov_b32_e32 v224, v216
	v_mov_b32_e32 v223, v216
.LBB102_519:
	s_or_b32 exec_lo, exec_lo, s3
.LBB102_520:
	s_and_not1_saveexec_b32 s2, s2
	s_cbranch_execz .LBB102_522
; %bb.521:
	v_mov_b32_e32 v224, 24
	ds_store_2addr_b64 v218, v[104:105], v[106:107] offset0:50 offset1:51
	ds_store_2addr_b64 v218, v[100:101], v[102:103] offset0:52 offset1:53
	;; [unrolled: 1-line block ×27, first 2 shown]
.LBB102_522:
	s_or_b32 exec_lo, exec_lo, s2
	s_delay_alu instid0(SALU_CYCLE_1)
	s_mov_b32 s2, exec_lo
	s_waitcnt lgkmcnt(0)
	s_waitcnt_vscnt null, 0x0
	s_barrier
	buffer_gl0_inv
	v_cmpx_lt_i32_e32 24, v224
	s_cbranch_execz .LBB102_524
; %bb.523:
	v_mul_f64 v[216:217], v[210:211], v[110:111]
	v_mul_f64 v[110:111], v[208:209], v[110:111]
	s_delay_alu instid0(VALU_DEP_2) | instskip(NEXT) | instid1(VALU_DEP_2)
	v_fma_f64 v[216:217], v[208:209], v[108:109], -v[216:217]
	v_fma_f64 v[110:111], v[210:211], v[108:109], v[110:111]
	ds_load_2addr_b64 v[208:211], v218 offset0:50 offset1:51
	s_waitcnt lgkmcnt(0)
	v_mul_f64 v[108:109], v[210:211], v[110:111]
	s_delay_alu instid0(VALU_DEP_1) | instskip(SKIP_1) | instid1(VALU_DEP_2)
	v_fma_f64 v[108:109], v[208:209], v[216:217], -v[108:109]
	v_mul_f64 v[208:209], v[208:209], v[110:111]
	v_add_f64 v[104:105], v[104:105], -v[108:109]
	s_delay_alu instid0(VALU_DEP_2) | instskip(NEXT) | instid1(VALU_DEP_1)
	v_fma_f64 v[208:209], v[210:211], v[216:217], v[208:209]
	v_add_f64 v[106:107], v[106:107], -v[208:209]
	ds_load_2addr_b64 v[208:211], v218 offset0:52 offset1:53
	s_waitcnt lgkmcnt(0)
	v_mul_f64 v[108:109], v[210:211], v[110:111]
	s_delay_alu instid0(VALU_DEP_1) | instskip(SKIP_1) | instid1(VALU_DEP_2)
	v_fma_f64 v[108:109], v[208:209], v[216:217], -v[108:109]
	v_mul_f64 v[208:209], v[208:209], v[110:111]
	v_add_f64 v[100:101], v[100:101], -v[108:109]
	s_delay_alu instid0(VALU_DEP_2) | instskip(NEXT) | instid1(VALU_DEP_1)
	v_fma_f64 v[208:209], v[210:211], v[216:217], v[208:209]
	v_add_f64 v[102:103], v[102:103], -v[208:209]
	;; [unrolled: 10-line block ×26, first 2 shown]
	ds_load_2addr_b64 v[208:211], v218 offset0:102 offset1:103
	s_waitcnt lgkmcnt(0)
	v_mul_f64 v[108:109], v[210:211], v[110:111]
	s_delay_alu instid0(VALU_DEP_1) | instskip(SKIP_1) | instid1(VALU_DEP_2)
	v_fma_f64 v[108:109], v[208:209], v[216:217], -v[108:109]
	v_mul_f64 v[208:209], v[208:209], v[110:111]
	v_add_f64 v[0:1], v[0:1], -v[108:109]
	s_delay_alu instid0(VALU_DEP_2) | instskip(SKIP_1) | instid1(VALU_DEP_2)
	v_fma_f64 v[208:209], v[210:211], v[216:217], v[208:209]
	v_dual_mov_b32 v108, v216 :: v_dual_mov_b32 v109, v217
	v_add_f64 v[2:3], v[2:3], -v[208:209]
.LBB102_524:
	s_or_b32 exec_lo, exec_lo, s2
	v_lshl_add_u32 v208, v224, 4, v218
	s_barrier
	buffer_gl0_inv
	v_mov_b32_e32 v216, 25
	ds_store_2addr_b64 v208, v[104:105], v[106:107] offset1:1
	s_waitcnt lgkmcnt(0)
	s_barrier
	buffer_gl0_inv
	ds_load_2addr_b64 v[208:211], v218 offset0:50 offset1:51
	s_cmp_lt_i32 s5, 27
	s_cbranch_scc1 .LBB102_527
; %bb.525:
	v_add3_u32 v217, v222, 0, 0x1a0
	v_mov_b32_e32 v216, 25
	s_mov_b32 s6, 26
	s_set_inst_prefetch_distance 0x1
	.p2align	6
.LBB102_526:                            ; =>This Inner Loop Header: Depth=1
	ds_load_2addr_b64 v[225:228], v217 offset1:1
	s_waitcnt lgkmcnt(1)
	v_cmp_gt_f64_e32 vcc_lo, 0, v[208:209]
	v_xor_b32_e32 v229, 0x80000000, v209
	v_cmp_gt_f64_e64 s2, 0, v[210:211]
	v_xor_b32_e32 v231, 0x80000000, v211
	v_add_nc_u32_e32 v217, 16, v217
	s_waitcnt lgkmcnt(0)
	v_cmp_gt_f64_e64 s3, 0, v[225:226]
	v_mov_b32_e32 v233, v225
	v_dual_mov_b32 v235, v227 :: v_dual_cndmask_b32 v230, v209, v229
	v_xor_b32_e32 v229, 0x80000000, v226
	v_cndmask_b32_e64 v232, v211, v231, s2
	v_xor_b32_e32 v231, 0x80000000, v228
	s_delay_alu instid0(VALU_DEP_3) | instskip(SKIP_2) | instid1(VALU_DEP_2)
	v_cndmask_b32_e64 v234, v226, v229, s3
	v_cmp_gt_f64_e64 s3, 0, v[227:228]
	v_cndmask_b32_e32 v229, v208, v208, vcc_lo
	v_cndmask_b32_e64 v236, v228, v231, s3
	v_cndmask_b32_e64 v231, v210, v210, s2
	s_delay_alu instid0(VALU_DEP_2) | instskip(NEXT) | instid1(VALU_DEP_2)
	v_add_f64 v[233:234], v[233:234], v[235:236]
	v_add_f64 v[229:230], v[229:230], v[231:232]
	s_delay_alu instid0(VALU_DEP_1) | instskip(SKIP_4) | instid1(SALU_CYCLE_1)
	v_cmp_lt_f64_e32 vcc_lo, v[229:230], v[233:234]
	v_dual_cndmask_b32 v210, v210, v227 :: v_dual_cndmask_b32 v209, v209, v226
	v_dual_cndmask_b32 v208, v208, v225 :: v_dual_cndmask_b32 v211, v211, v228
	v_cndmask_b32_e64 v216, v216, s6, vcc_lo
	s_add_i32 s6, s6, 1
	s_cmp_lg_u32 s5, s6
	s_cbranch_scc1 .LBB102_526
.LBB102_527:
	s_set_inst_prefetch_distance 0x2
	s_waitcnt lgkmcnt(0)
	v_cmp_eq_f64_e32 vcc_lo, 0, v[208:209]
	v_cmp_eq_f64_e64 s2, 0, v[210:211]
	s_delay_alu instid0(VALU_DEP_1) | instskip(NEXT) | instid1(SALU_CYCLE_1)
	s_and_b32 s2, vcc_lo, s2
	s_and_saveexec_b32 s3, s2
	s_delay_alu instid0(SALU_CYCLE_1)
	s_xor_b32 s2, exec_lo, s3
; %bb.528:
	v_cmp_ne_u32_e32 vcc_lo, 0, v221
	v_cndmask_b32_e32 v221, 26, v221, vcc_lo
; %bb.529:
	s_and_not1_saveexec_b32 s3, s2
	s_cbranch_execz .LBB102_535
; %bb.530:
	v_cmp_gt_f64_e32 vcc_lo, 0, v[208:209]
	v_cmp_gt_f64_e64 s2, 0, v[210:211]
	v_xor_b32_e32 v217, 0x80000000, v209
	v_xor_b32_e32 v225, 0x80000000, v211
	s_delay_alu instid0(VALU_DEP_2) | instskip(NEXT) | instid1(VALU_DEP_2)
	v_cndmask_b32_e32 v226, v209, v217, vcc_lo
	v_cndmask_b32_e64 v228, v211, v225, s2
	v_cndmask_b32_e32 v225, v208, v208, vcc_lo
	v_cndmask_b32_e64 v227, v210, v210, s2
	s_mov_b32 s2, exec_lo
	s_delay_alu instid0(VALU_DEP_1)
	v_cmpx_ngt_f64_e32 v[225:226], v[227:228]
	s_xor_b32 s2, exec_lo, s2
	s_cbranch_execz .LBB102_532
; %bb.531:
	v_div_scale_f64 v[225:226], null, v[210:211], v[210:211], v[208:209]
	v_div_scale_f64 v[231:232], vcc_lo, v[208:209], v[210:211], v[208:209]
	s_delay_alu instid0(VALU_DEP_2) | instskip(SKIP_2) | instid1(VALU_DEP_1)
	v_rcp_f64_e32 v[227:228], v[225:226]
	s_waitcnt_depctr 0xfff
	v_fma_f64 v[229:230], -v[225:226], v[227:228], 1.0
	v_fma_f64 v[227:228], v[227:228], v[229:230], v[227:228]
	s_delay_alu instid0(VALU_DEP_1) | instskip(NEXT) | instid1(VALU_DEP_1)
	v_fma_f64 v[229:230], -v[225:226], v[227:228], 1.0
	v_fma_f64 v[227:228], v[227:228], v[229:230], v[227:228]
	s_delay_alu instid0(VALU_DEP_1) | instskip(NEXT) | instid1(VALU_DEP_1)
	v_mul_f64 v[229:230], v[231:232], v[227:228]
	v_fma_f64 v[225:226], -v[225:226], v[229:230], v[231:232]
	s_delay_alu instid0(VALU_DEP_1) | instskip(NEXT) | instid1(VALU_DEP_1)
	v_div_fmas_f64 v[225:226], v[225:226], v[227:228], v[229:230]
	v_div_fixup_f64 v[225:226], v[225:226], v[210:211], v[208:209]
	s_delay_alu instid0(VALU_DEP_1) | instskip(NEXT) | instid1(VALU_DEP_1)
	v_fma_f64 v[208:209], v[208:209], v[225:226], v[210:211]
	v_div_scale_f64 v[210:211], null, v[208:209], v[208:209], 1.0
	s_delay_alu instid0(VALU_DEP_1) | instskip(SKIP_2) | instid1(VALU_DEP_1)
	v_rcp_f64_e32 v[227:228], v[210:211]
	s_waitcnt_depctr 0xfff
	v_fma_f64 v[229:230], -v[210:211], v[227:228], 1.0
	v_fma_f64 v[227:228], v[227:228], v[229:230], v[227:228]
	s_delay_alu instid0(VALU_DEP_1) | instskip(NEXT) | instid1(VALU_DEP_1)
	v_fma_f64 v[229:230], -v[210:211], v[227:228], 1.0
	v_fma_f64 v[227:228], v[227:228], v[229:230], v[227:228]
	v_div_scale_f64 v[229:230], vcc_lo, 1.0, v[208:209], 1.0
	s_delay_alu instid0(VALU_DEP_1) | instskip(NEXT) | instid1(VALU_DEP_1)
	v_mul_f64 v[231:232], v[229:230], v[227:228]
	v_fma_f64 v[210:211], -v[210:211], v[231:232], v[229:230]
	s_delay_alu instid0(VALU_DEP_1) | instskip(NEXT) | instid1(VALU_DEP_1)
	v_div_fmas_f64 v[210:211], v[210:211], v[227:228], v[231:232]
	v_div_fixup_f64 v[210:211], v[210:211], v[208:209], 1.0
	s_delay_alu instid0(VALU_DEP_1)
	v_mul_f64 v[208:209], v[225:226], v[210:211]
	v_xor_b32_e32 v211, 0x80000000, v211
.LBB102_532:
	s_and_not1_saveexec_b32 s2, s2
	s_cbranch_execz .LBB102_534
; %bb.533:
	s_delay_alu instid0(VALU_DEP_1) | instskip(SKIP_1) | instid1(VALU_DEP_2)
	v_div_scale_f64 v[225:226], null, v[208:209], v[208:209], v[210:211]
	v_div_scale_f64 v[231:232], vcc_lo, v[210:211], v[208:209], v[210:211]
	v_rcp_f64_e32 v[227:228], v[225:226]
	s_waitcnt_depctr 0xfff
	v_fma_f64 v[229:230], -v[225:226], v[227:228], 1.0
	s_delay_alu instid0(VALU_DEP_1) | instskip(NEXT) | instid1(VALU_DEP_1)
	v_fma_f64 v[227:228], v[227:228], v[229:230], v[227:228]
	v_fma_f64 v[229:230], -v[225:226], v[227:228], 1.0
	s_delay_alu instid0(VALU_DEP_1) | instskip(NEXT) | instid1(VALU_DEP_1)
	v_fma_f64 v[227:228], v[227:228], v[229:230], v[227:228]
	v_mul_f64 v[229:230], v[231:232], v[227:228]
	s_delay_alu instid0(VALU_DEP_1) | instskip(NEXT) | instid1(VALU_DEP_1)
	v_fma_f64 v[225:226], -v[225:226], v[229:230], v[231:232]
	v_div_fmas_f64 v[225:226], v[225:226], v[227:228], v[229:230]
	s_delay_alu instid0(VALU_DEP_1) | instskip(NEXT) | instid1(VALU_DEP_1)
	v_div_fixup_f64 v[225:226], v[225:226], v[208:209], v[210:211]
	v_fma_f64 v[208:209], v[210:211], v[225:226], v[208:209]
	s_delay_alu instid0(VALU_DEP_1) | instskip(NEXT) | instid1(VALU_DEP_1)
	v_div_scale_f64 v[210:211], null, v[208:209], v[208:209], 1.0
	v_rcp_f64_e32 v[227:228], v[210:211]
	s_waitcnt_depctr 0xfff
	v_fma_f64 v[229:230], -v[210:211], v[227:228], 1.0
	s_delay_alu instid0(VALU_DEP_1) | instskip(NEXT) | instid1(VALU_DEP_1)
	v_fma_f64 v[227:228], v[227:228], v[229:230], v[227:228]
	v_fma_f64 v[229:230], -v[210:211], v[227:228], 1.0
	s_delay_alu instid0(VALU_DEP_1) | instskip(SKIP_1) | instid1(VALU_DEP_1)
	v_fma_f64 v[227:228], v[227:228], v[229:230], v[227:228]
	v_div_scale_f64 v[229:230], vcc_lo, 1.0, v[208:209], 1.0
	v_mul_f64 v[231:232], v[229:230], v[227:228]
	s_delay_alu instid0(VALU_DEP_1) | instskip(NEXT) | instid1(VALU_DEP_1)
	v_fma_f64 v[210:211], -v[210:211], v[231:232], v[229:230]
	v_div_fmas_f64 v[210:211], v[210:211], v[227:228], v[231:232]
	s_delay_alu instid0(VALU_DEP_1) | instskip(NEXT) | instid1(VALU_DEP_1)
	v_div_fixup_f64 v[208:209], v[210:211], v[208:209], 1.0
	v_mul_f64 v[210:211], v[225:226], -v[208:209]
.LBB102_534:
	s_or_b32 exec_lo, exec_lo, s2
.LBB102_535:
	s_delay_alu instid0(SALU_CYCLE_1) | instskip(NEXT) | instid1(SALU_CYCLE_1)
	s_or_b32 exec_lo, exec_lo, s3
	s_mov_b32 s2, exec_lo
	v_cmpx_ne_u32_e64 v224, v216
	s_xor_b32 s2, exec_lo, s2
	s_cbranch_execz .LBB102_541
; %bb.536:
	s_mov_b32 s3, exec_lo
	v_cmpx_eq_u32_e32 25, v224
	s_cbranch_execz .LBB102_540
; %bb.537:
	v_cmp_ne_u32_e32 vcc_lo, 25, v216
	s_xor_b32 s6, s4, -1
	s_delay_alu instid0(SALU_CYCLE_1) | instskip(NEXT) | instid1(SALU_CYCLE_1)
	s_and_b32 s7, s6, vcc_lo
	s_and_saveexec_b32 s6, s7
	s_cbranch_execz .LBB102_539
; %bb.538:
	v_ashrrev_i32_e32 v217, 31, v216
	s_delay_alu instid0(VALU_DEP_1) | instskip(NEXT) | instid1(VALU_DEP_1)
	v_lshlrev_b64 v[223:224], 2, v[216:217]
	v_add_co_u32 v223, vcc_lo, v214, v223
	s_delay_alu instid0(VALU_DEP_2)
	v_add_co_ci_u32_e32 v224, vcc_lo, v215, v224, vcc_lo
	s_clause 0x1
	flat_load_b32 v217, v[223:224]
	flat_load_b32 v225, v[214:215] offset:100
	s_waitcnt vmcnt(1) lgkmcnt(1)
	flat_store_b32 v[214:215], v217 offset:100
	s_waitcnt vmcnt(0) lgkmcnt(1)
	flat_store_b32 v[223:224], v225
.LBB102_539:
	s_or_b32 exec_lo, exec_lo, s6
	v_mov_b32_e32 v224, v216
	v_mov_b32_e32 v223, v216
.LBB102_540:
	s_or_b32 exec_lo, exec_lo, s3
.LBB102_541:
	s_and_not1_saveexec_b32 s2, s2
	s_cbranch_execz .LBB102_543
; %bb.542:
	v_mov_b32_e32 v224, 25
	ds_store_2addr_b64 v218, v[100:101], v[102:103] offset0:52 offset1:53
	ds_store_2addr_b64 v218, v[96:97], v[98:99] offset0:54 offset1:55
	;; [unrolled: 1-line block ×26, first 2 shown]
.LBB102_543:
	s_or_b32 exec_lo, exec_lo, s2
	s_delay_alu instid0(SALU_CYCLE_1)
	s_mov_b32 s2, exec_lo
	s_waitcnt lgkmcnt(0)
	s_waitcnt_vscnt null, 0x0
	s_barrier
	buffer_gl0_inv
	v_cmpx_lt_i32_e32 25, v224
	s_cbranch_execz .LBB102_545
; %bb.544:
	v_mul_f64 v[216:217], v[210:211], v[106:107]
	v_mul_f64 v[106:107], v[208:209], v[106:107]
	s_delay_alu instid0(VALU_DEP_2) | instskip(NEXT) | instid1(VALU_DEP_2)
	v_fma_f64 v[216:217], v[208:209], v[104:105], -v[216:217]
	v_fma_f64 v[106:107], v[210:211], v[104:105], v[106:107]
	ds_load_2addr_b64 v[208:211], v218 offset0:52 offset1:53
	s_waitcnt lgkmcnt(0)
	v_mul_f64 v[104:105], v[210:211], v[106:107]
	s_delay_alu instid0(VALU_DEP_1) | instskip(SKIP_1) | instid1(VALU_DEP_2)
	v_fma_f64 v[104:105], v[208:209], v[216:217], -v[104:105]
	v_mul_f64 v[208:209], v[208:209], v[106:107]
	v_add_f64 v[100:101], v[100:101], -v[104:105]
	s_delay_alu instid0(VALU_DEP_2) | instskip(NEXT) | instid1(VALU_DEP_1)
	v_fma_f64 v[208:209], v[210:211], v[216:217], v[208:209]
	v_add_f64 v[102:103], v[102:103], -v[208:209]
	ds_load_2addr_b64 v[208:211], v218 offset0:54 offset1:55
	s_waitcnt lgkmcnt(0)
	v_mul_f64 v[104:105], v[210:211], v[106:107]
	s_delay_alu instid0(VALU_DEP_1) | instskip(SKIP_1) | instid1(VALU_DEP_2)
	v_fma_f64 v[104:105], v[208:209], v[216:217], -v[104:105]
	v_mul_f64 v[208:209], v[208:209], v[106:107]
	v_add_f64 v[96:97], v[96:97], -v[104:105]
	s_delay_alu instid0(VALU_DEP_2) | instskip(NEXT) | instid1(VALU_DEP_1)
	v_fma_f64 v[208:209], v[210:211], v[216:217], v[208:209]
	v_add_f64 v[98:99], v[98:99], -v[208:209]
	ds_load_2addr_b64 v[208:211], v218 offset0:56 offset1:57
	s_waitcnt lgkmcnt(0)
	v_mul_f64 v[104:105], v[210:211], v[106:107]
	s_delay_alu instid0(VALU_DEP_1) | instskip(SKIP_1) | instid1(VALU_DEP_2)
	v_fma_f64 v[104:105], v[208:209], v[216:217], -v[104:105]
	v_mul_f64 v[208:209], v[208:209], v[106:107]
	v_add_f64 v[92:93], v[92:93], -v[104:105]
	s_delay_alu instid0(VALU_DEP_2) | instskip(NEXT) | instid1(VALU_DEP_1)
	v_fma_f64 v[208:209], v[210:211], v[216:217], v[208:209]
	v_add_f64 v[94:95], v[94:95], -v[208:209]
	ds_load_2addr_b64 v[208:211], v218 offset0:58 offset1:59
	s_waitcnt lgkmcnt(0)
	v_mul_f64 v[104:105], v[210:211], v[106:107]
	s_delay_alu instid0(VALU_DEP_1) | instskip(SKIP_1) | instid1(VALU_DEP_2)
	v_fma_f64 v[104:105], v[208:209], v[216:217], -v[104:105]
	v_mul_f64 v[208:209], v[208:209], v[106:107]
	v_add_f64 v[88:89], v[88:89], -v[104:105]
	s_delay_alu instid0(VALU_DEP_2) | instskip(NEXT) | instid1(VALU_DEP_1)
	v_fma_f64 v[208:209], v[210:211], v[216:217], v[208:209]
	v_add_f64 v[90:91], v[90:91], -v[208:209]
	ds_load_2addr_b64 v[208:211], v218 offset0:60 offset1:61
	s_waitcnt lgkmcnt(0)
	v_mul_f64 v[104:105], v[210:211], v[106:107]
	s_delay_alu instid0(VALU_DEP_1) | instskip(SKIP_1) | instid1(VALU_DEP_2)
	v_fma_f64 v[104:105], v[208:209], v[216:217], -v[104:105]
	v_mul_f64 v[208:209], v[208:209], v[106:107]
	v_add_f64 v[84:85], v[84:85], -v[104:105]
	s_delay_alu instid0(VALU_DEP_2) | instskip(NEXT) | instid1(VALU_DEP_1)
	v_fma_f64 v[208:209], v[210:211], v[216:217], v[208:209]
	v_add_f64 v[86:87], v[86:87], -v[208:209]
	ds_load_2addr_b64 v[208:211], v218 offset0:62 offset1:63
	s_waitcnt lgkmcnt(0)
	v_mul_f64 v[104:105], v[210:211], v[106:107]
	s_delay_alu instid0(VALU_DEP_1) | instskip(SKIP_1) | instid1(VALU_DEP_2)
	v_fma_f64 v[104:105], v[208:209], v[216:217], -v[104:105]
	v_mul_f64 v[208:209], v[208:209], v[106:107]
	v_add_f64 v[80:81], v[80:81], -v[104:105]
	s_delay_alu instid0(VALU_DEP_2) | instskip(NEXT) | instid1(VALU_DEP_1)
	v_fma_f64 v[208:209], v[210:211], v[216:217], v[208:209]
	v_add_f64 v[82:83], v[82:83], -v[208:209]
	ds_load_2addr_b64 v[208:211], v218 offset0:64 offset1:65
	s_waitcnt lgkmcnt(0)
	v_mul_f64 v[104:105], v[210:211], v[106:107]
	s_delay_alu instid0(VALU_DEP_1) | instskip(SKIP_1) | instid1(VALU_DEP_2)
	v_fma_f64 v[104:105], v[208:209], v[216:217], -v[104:105]
	v_mul_f64 v[208:209], v[208:209], v[106:107]
	v_add_f64 v[76:77], v[76:77], -v[104:105]
	s_delay_alu instid0(VALU_DEP_2) | instskip(NEXT) | instid1(VALU_DEP_1)
	v_fma_f64 v[208:209], v[210:211], v[216:217], v[208:209]
	v_add_f64 v[78:79], v[78:79], -v[208:209]
	ds_load_2addr_b64 v[208:211], v218 offset0:66 offset1:67
	s_waitcnt lgkmcnt(0)
	v_mul_f64 v[104:105], v[210:211], v[106:107]
	s_delay_alu instid0(VALU_DEP_1) | instskip(SKIP_1) | instid1(VALU_DEP_2)
	v_fma_f64 v[104:105], v[208:209], v[216:217], -v[104:105]
	v_mul_f64 v[208:209], v[208:209], v[106:107]
	v_add_f64 v[72:73], v[72:73], -v[104:105]
	s_delay_alu instid0(VALU_DEP_2) | instskip(NEXT) | instid1(VALU_DEP_1)
	v_fma_f64 v[208:209], v[210:211], v[216:217], v[208:209]
	v_add_f64 v[74:75], v[74:75], -v[208:209]
	ds_load_2addr_b64 v[208:211], v218 offset0:68 offset1:69
	s_waitcnt lgkmcnt(0)
	v_mul_f64 v[104:105], v[210:211], v[106:107]
	s_delay_alu instid0(VALU_DEP_1) | instskip(SKIP_1) | instid1(VALU_DEP_2)
	v_fma_f64 v[104:105], v[208:209], v[216:217], -v[104:105]
	v_mul_f64 v[208:209], v[208:209], v[106:107]
	v_add_f64 v[68:69], v[68:69], -v[104:105]
	s_delay_alu instid0(VALU_DEP_2) | instskip(NEXT) | instid1(VALU_DEP_1)
	v_fma_f64 v[208:209], v[210:211], v[216:217], v[208:209]
	v_add_f64 v[70:71], v[70:71], -v[208:209]
	ds_load_2addr_b64 v[208:211], v218 offset0:70 offset1:71
	s_waitcnt lgkmcnt(0)
	v_mul_f64 v[104:105], v[210:211], v[106:107]
	s_delay_alu instid0(VALU_DEP_1) | instskip(SKIP_1) | instid1(VALU_DEP_2)
	v_fma_f64 v[104:105], v[208:209], v[216:217], -v[104:105]
	v_mul_f64 v[208:209], v[208:209], v[106:107]
	v_add_f64 v[64:65], v[64:65], -v[104:105]
	s_delay_alu instid0(VALU_DEP_2) | instskip(NEXT) | instid1(VALU_DEP_1)
	v_fma_f64 v[208:209], v[210:211], v[216:217], v[208:209]
	v_add_f64 v[66:67], v[66:67], -v[208:209]
	ds_load_2addr_b64 v[208:211], v218 offset0:72 offset1:73
	s_waitcnt lgkmcnt(0)
	v_mul_f64 v[104:105], v[210:211], v[106:107]
	s_delay_alu instid0(VALU_DEP_1) | instskip(SKIP_1) | instid1(VALU_DEP_2)
	v_fma_f64 v[104:105], v[208:209], v[216:217], -v[104:105]
	v_mul_f64 v[208:209], v[208:209], v[106:107]
	v_add_f64 v[60:61], v[60:61], -v[104:105]
	s_delay_alu instid0(VALU_DEP_2) | instskip(NEXT) | instid1(VALU_DEP_1)
	v_fma_f64 v[208:209], v[210:211], v[216:217], v[208:209]
	v_add_f64 v[62:63], v[62:63], -v[208:209]
	ds_load_2addr_b64 v[208:211], v218 offset0:74 offset1:75
	s_waitcnt lgkmcnt(0)
	v_mul_f64 v[104:105], v[210:211], v[106:107]
	s_delay_alu instid0(VALU_DEP_1) | instskip(SKIP_1) | instid1(VALU_DEP_2)
	v_fma_f64 v[104:105], v[208:209], v[216:217], -v[104:105]
	v_mul_f64 v[208:209], v[208:209], v[106:107]
	v_add_f64 v[56:57], v[56:57], -v[104:105]
	s_delay_alu instid0(VALU_DEP_2) | instskip(NEXT) | instid1(VALU_DEP_1)
	v_fma_f64 v[208:209], v[210:211], v[216:217], v[208:209]
	v_add_f64 v[58:59], v[58:59], -v[208:209]
	ds_load_2addr_b64 v[208:211], v218 offset0:76 offset1:77
	s_waitcnt lgkmcnt(0)
	v_mul_f64 v[104:105], v[210:211], v[106:107]
	s_delay_alu instid0(VALU_DEP_1) | instskip(SKIP_1) | instid1(VALU_DEP_2)
	v_fma_f64 v[104:105], v[208:209], v[216:217], -v[104:105]
	v_mul_f64 v[208:209], v[208:209], v[106:107]
	v_add_f64 v[52:53], v[52:53], -v[104:105]
	s_delay_alu instid0(VALU_DEP_2) | instskip(NEXT) | instid1(VALU_DEP_1)
	v_fma_f64 v[208:209], v[210:211], v[216:217], v[208:209]
	v_add_f64 v[54:55], v[54:55], -v[208:209]
	ds_load_2addr_b64 v[208:211], v218 offset0:78 offset1:79
	s_waitcnt lgkmcnt(0)
	v_mul_f64 v[104:105], v[210:211], v[106:107]
	s_delay_alu instid0(VALU_DEP_1) | instskip(SKIP_1) | instid1(VALU_DEP_2)
	v_fma_f64 v[104:105], v[208:209], v[216:217], -v[104:105]
	v_mul_f64 v[208:209], v[208:209], v[106:107]
	v_add_f64 v[48:49], v[48:49], -v[104:105]
	s_delay_alu instid0(VALU_DEP_2) | instskip(NEXT) | instid1(VALU_DEP_1)
	v_fma_f64 v[208:209], v[210:211], v[216:217], v[208:209]
	v_add_f64 v[50:51], v[50:51], -v[208:209]
	ds_load_2addr_b64 v[208:211], v218 offset0:80 offset1:81
	s_waitcnt lgkmcnt(0)
	v_mul_f64 v[104:105], v[210:211], v[106:107]
	s_delay_alu instid0(VALU_DEP_1) | instskip(SKIP_1) | instid1(VALU_DEP_2)
	v_fma_f64 v[104:105], v[208:209], v[216:217], -v[104:105]
	v_mul_f64 v[208:209], v[208:209], v[106:107]
	v_add_f64 v[44:45], v[44:45], -v[104:105]
	s_delay_alu instid0(VALU_DEP_2) | instskip(NEXT) | instid1(VALU_DEP_1)
	v_fma_f64 v[208:209], v[210:211], v[216:217], v[208:209]
	v_add_f64 v[46:47], v[46:47], -v[208:209]
	ds_load_2addr_b64 v[208:211], v218 offset0:82 offset1:83
	s_waitcnt lgkmcnt(0)
	v_mul_f64 v[104:105], v[210:211], v[106:107]
	s_delay_alu instid0(VALU_DEP_1) | instskip(SKIP_1) | instid1(VALU_DEP_2)
	v_fma_f64 v[104:105], v[208:209], v[216:217], -v[104:105]
	v_mul_f64 v[208:209], v[208:209], v[106:107]
	v_add_f64 v[40:41], v[40:41], -v[104:105]
	s_delay_alu instid0(VALU_DEP_2) | instskip(NEXT) | instid1(VALU_DEP_1)
	v_fma_f64 v[208:209], v[210:211], v[216:217], v[208:209]
	v_add_f64 v[42:43], v[42:43], -v[208:209]
	ds_load_2addr_b64 v[208:211], v218 offset0:84 offset1:85
	s_waitcnt lgkmcnt(0)
	v_mul_f64 v[104:105], v[210:211], v[106:107]
	s_delay_alu instid0(VALU_DEP_1) | instskip(SKIP_1) | instid1(VALU_DEP_2)
	v_fma_f64 v[104:105], v[208:209], v[216:217], -v[104:105]
	v_mul_f64 v[208:209], v[208:209], v[106:107]
	v_add_f64 v[36:37], v[36:37], -v[104:105]
	s_delay_alu instid0(VALU_DEP_2) | instskip(NEXT) | instid1(VALU_DEP_1)
	v_fma_f64 v[208:209], v[210:211], v[216:217], v[208:209]
	v_add_f64 v[38:39], v[38:39], -v[208:209]
	ds_load_2addr_b64 v[208:211], v218 offset0:86 offset1:87
	s_waitcnt lgkmcnt(0)
	v_mul_f64 v[104:105], v[210:211], v[106:107]
	s_delay_alu instid0(VALU_DEP_1) | instskip(SKIP_1) | instid1(VALU_DEP_2)
	v_fma_f64 v[104:105], v[208:209], v[216:217], -v[104:105]
	v_mul_f64 v[208:209], v[208:209], v[106:107]
	v_add_f64 v[32:33], v[32:33], -v[104:105]
	s_delay_alu instid0(VALU_DEP_2) | instskip(NEXT) | instid1(VALU_DEP_1)
	v_fma_f64 v[208:209], v[210:211], v[216:217], v[208:209]
	v_add_f64 v[34:35], v[34:35], -v[208:209]
	ds_load_2addr_b64 v[208:211], v218 offset0:88 offset1:89
	s_waitcnt lgkmcnt(0)
	v_mul_f64 v[104:105], v[210:211], v[106:107]
	s_delay_alu instid0(VALU_DEP_1) | instskip(SKIP_1) | instid1(VALU_DEP_2)
	v_fma_f64 v[104:105], v[208:209], v[216:217], -v[104:105]
	v_mul_f64 v[208:209], v[208:209], v[106:107]
	v_add_f64 v[28:29], v[28:29], -v[104:105]
	s_delay_alu instid0(VALU_DEP_2) | instskip(NEXT) | instid1(VALU_DEP_1)
	v_fma_f64 v[208:209], v[210:211], v[216:217], v[208:209]
	v_add_f64 v[30:31], v[30:31], -v[208:209]
	ds_load_2addr_b64 v[208:211], v218 offset0:90 offset1:91
	s_waitcnt lgkmcnt(0)
	v_mul_f64 v[104:105], v[210:211], v[106:107]
	s_delay_alu instid0(VALU_DEP_1) | instskip(SKIP_1) | instid1(VALU_DEP_2)
	v_fma_f64 v[104:105], v[208:209], v[216:217], -v[104:105]
	v_mul_f64 v[208:209], v[208:209], v[106:107]
	v_add_f64 v[24:25], v[24:25], -v[104:105]
	s_delay_alu instid0(VALU_DEP_2) | instskip(NEXT) | instid1(VALU_DEP_1)
	v_fma_f64 v[208:209], v[210:211], v[216:217], v[208:209]
	v_add_f64 v[26:27], v[26:27], -v[208:209]
	ds_load_2addr_b64 v[208:211], v218 offset0:92 offset1:93
	s_waitcnt lgkmcnt(0)
	v_mul_f64 v[104:105], v[210:211], v[106:107]
	s_delay_alu instid0(VALU_DEP_1) | instskip(SKIP_1) | instid1(VALU_DEP_2)
	v_fma_f64 v[104:105], v[208:209], v[216:217], -v[104:105]
	v_mul_f64 v[208:209], v[208:209], v[106:107]
	v_add_f64 v[20:21], v[20:21], -v[104:105]
	s_delay_alu instid0(VALU_DEP_2) | instskip(NEXT) | instid1(VALU_DEP_1)
	v_fma_f64 v[208:209], v[210:211], v[216:217], v[208:209]
	v_add_f64 v[22:23], v[22:23], -v[208:209]
	ds_load_2addr_b64 v[208:211], v218 offset0:94 offset1:95
	s_waitcnt lgkmcnt(0)
	v_mul_f64 v[104:105], v[210:211], v[106:107]
	s_delay_alu instid0(VALU_DEP_1) | instskip(SKIP_1) | instid1(VALU_DEP_2)
	v_fma_f64 v[104:105], v[208:209], v[216:217], -v[104:105]
	v_mul_f64 v[208:209], v[208:209], v[106:107]
	v_add_f64 v[16:17], v[16:17], -v[104:105]
	s_delay_alu instid0(VALU_DEP_2) | instskip(NEXT) | instid1(VALU_DEP_1)
	v_fma_f64 v[208:209], v[210:211], v[216:217], v[208:209]
	v_add_f64 v[18:19], v[18:19], -v[208:209]
	ds_load_2addr_b64 v[208:211], v218 offset0:96 offset1:97
	s_waitcnt lgkmcnt(0)
	v_mul_f64 v[104:105], v[210:211], v[106:107]
	s_delay_alu instid0(VALU_DEP_1) | instskip(SKIP_1) | instid1(VALU_DEP_2)
	v_fma_f64 v[104:105], v[208:209], v[216:217], -v[104:105]
	v_mul_f64 v[208:209], v[208:209], v[106:107]
	v_add_f64 v[12:13], v[12:13], -v[104:105]
	s_delay_alu instid0(VALU_DEP_2) | instskip(NEXT) | instid1(VALU_DEP_1)
	v_fma_f64 v[208:209], v[210:211], v[216:217], v[208:209]
	v_add_f64 v[14:15], v[14:15], -v[208:209]
	ds_load_2addr_b64 v[208:211], v218 offset0:98 offset1:99
	s_waitcnt lgkmcnt(0)
	v_mul_f64 v[104:105], v[210:211], v[106:107]
	s_delay_alu instid0(VALU_DEP_1) | instskip(SKIP_1) | instid1(VALU_DEP_2)
	v_fma_f64 v[104:105], v[208:209], v[216:217], -v[104:105]
	v_mul_f64 v[208:209], v[208:209], v[106:107]
	v_add_f64 v[8:9], v[8:9], -v[104:105]
	s_delay_alu instid0(VALU_DEP_2) | instskip(NEXT) | instid1(VALU_DEP_1)
	v_fma_f64 v[208:209], v[210:211], v[216:217], v[208:209]
	v_add_f64 v[10:11], v[10:11], -v[208:209]
	ds_load_2addr_b64 v[208:211], v218 offset0:100 offset1:101
	s_waitcnt lgkmcnt(0)
	v_mul_f64 v[104:105], v[210:211], v[106:107]
	s_delay_alu instid0(VALU_DEP_1) | instskip(SKIP_1) | instid1(VALU_DEP_2)
	v_fma_f64 v[104:105], v[208:209], v[216:217], -v[104:105]
	v_mul_f64 v[208:209], v[208:209], v[106:107]
	v_add_f64 v[4:5], v[4:5], -v[104:105]
	s_delay_alu instid0(VALU_DEP_2) | instskip(NEXT) | instid1(VALU_DEP_1)
	v_fma_f64 v[208:209], v[210:211], v[216:217], v[208:209]
	v_add_f64 v[6:7], v[6:7], -v[208:209]
	ds_load_2addr_b64 v[208:211], v218 offset0:102 offset1:103
	s_waitcnt lgkmcnt(0)
	v_mul_f64 v[104:105], v[210:211], v[106:107]
	s_delay_alu instid0(VALU_DEP_1) | instskip(SKIP_1) | instid1(VALU_DEP_2)
	v_fma_f64 v[104:105], v[208:209], v[216:217], -v[104:105]
	v_mul_f64 v[208:209], v[208:209], v[106:107]
	v_add_f64 v[0:1], v[0:1], -v[104:105]
	s_delay_alu instid0(VALU_DEP_2) | instskip(SKIP_1) | instid1(VALU_DEP_2)
	v_fma_f64 v[208:209], v[210:211], v[216:217], v[208:209]
	v_dual_mov_b32 v104, v216 :: v_dual_mov_b32 v105, v217
	v_add_f64 v[2:3], v[2:3], -v[208:209]
.LBB102_545:
	s_or_b32 exec_lo, exec_lo, s2
	v_lshl_add_u32 v208, v224, 4, v218
	s_barrier
	buffer_gl0_inv
	v_mov_b32_e32 v216, 26
	ds_store_2addr_b64 v208, v[100:101], v[102:103] offset1:1
	s_waitcnt lgkmcnt(0)
	s_barrier
	buffer_gl0_inv
	ds_load_2addr_b64 v[208:211], v218 offset0:52 offset1:53
	s_cmp_lt_i32 s5, 28
	s_cbranch_scc1 .LBB102_548
; %bb.546:
	v_add3_u32 v217, v222, 0, 0x1b0
	v_mov_b32_e32 v216, 26
	s_mov_b32 s6, 27
	s_set_inst_prefetch_distance 0x1
	.p2align	6
.LBB102_547:                            ; =>This Inner Loop Header: Depth=1
	ds_load_2addr_b64 v[225:228], v217 offset1:1
	s_waitcnt lgkmcnt(1)
	v_cmp_gt_f64_e32 vcc_lo, 0, v[208:209]
	v_xor_b32_e32 v229, 0x80000000, v209
	v_cmp_gt_f64_e64 s2, 0, v[210:211]
	v_xor_b32_e32 v231, 0x80000000, v211
	v_add_nc_u32_e32 v217, 16, v217
	s_waitcnt lgkmcnt(0)
	v_cmp_gt_f64_e64 s3, 0, v[225:226]
	v_mov_b32_e32 v233, v225
	v_dual_mov_b32 v235, v227 :: v_dual_cndmask_b32 v230, v209, v229
	v_xor_b32_e32 v229, 0x80000000, v226
	v_cndmask_b32_e64 v232, v211, v231, s2
	v_xor_b32_e32 v231, 0x80000000, v228
	s_delay_alu instid0(VALU_DEP_3) | instskip(SKIP_2) | instid1(VALU_DEP_2)
	v_cndmask_b32_e64 v234, v226, v229, s3
	v_cmp_gt_f64_e64 s3, 0, v[227:228]
	v_cndmask_b32_e32 v229, v208, v208, vcc_lo
	v_cndmask_b32_e64 v236, v228, v231, s3
	v_cndmask_b32_e64 v231, v210, v210, s2
	s_delay_alu instid0(VALU_DEP_2) | instskip(NEXT) | instid1(VALU_DEP_2)
	v_add_f64 v[233:234], v[233:234], v[235:236]
	v_add_f64 v[229:230], v[229:230], v[231:232]
	s_delay_alu instid0(VALU_DEP_1) | instskip(SKIP_4) | instid1(SALU_CYCLE_1)
	v_cmp_lt_f64_e32 vcc_lo, v[229:230], v[233:234]
	v_dual_cndmask_b32 v210, v210, v227 :: v_dual_cndmask_b32 v209, v209, v226
	v_dual_cndmask_b32 v208, v208, v225 :: v_dual_cndmask_b32 v211, v211, v228
	v_cndmask_b32_e64 v216, v216, s6, vcc_lo
	s_add_i32 s6, s6, 1
	s_cmp_lg_u32 s5, s6
	s_cbranch_scc1 .LBB102_547
.LBB102_548:
	s_set_inst_prefetch_distance 0x2
	s_waitcnt lgkmcnt(0)
	v_cmp_eq_f64_e32 vcc_lo, 0, v[208:209]
	v_cmp_eq_f64_e64 s2, 0, v[210:211]
	s_delay_alu instid0(VALU_DEP_1) | instskip(NEXT) | instid1(SALU_CYCLE_1)
	s_and_b32 s2, vcc_lo, s2
	s_and_saveexec_b32 s3, s2
	s_delay_alu instid0(SALU_CYCLE_1)
	s_xor_b32 s2, exec_lo, s3
; %bb.549:
	v_cmp_ne_u32_e32 vcc_lo, 0, v221
	v_cndmask_b32_e32 v221, 27, v221, vcc_lo
; %bb.550:
	s_and_not1_saveexec_b32 s3, s2
	s_cbranch_execz .LBB102_556
; %bb.551:
	v_cmp_gt_f64_e32 vcc_lo, 0, v[208:209]
	v_cmp_gt_f64_e64 s2, 0, v[210:211]
	v_xor_b32_e32 v217, 0x80000000, v209
	v_xor_b32_e32 v225, 0x80000000, v211
	s_delay_alu instid0(VALU_DEP_2) | instskip(NEXT) | instid1(VALU_DEP_2)
	v_cndmask_b32_e32 v226, v209, v217, vcc_lo
	v_cndmask_b32_e64 v228, v211, v225, s2
	v_cndmask_b32_e32 v225, v208, v208, vcc_lo
	v_cndmask_b32_e64 v227, v210, v210, s2
	s_mov_b32 s2, exec_lo
	s_delay_alu instid0(VALU_DEP_1)
	v_cmpx_ngt_f64_e32 v[225:226], v[227:228]
	s_xor_b32 s2, exec_lo, s2
	s_cbranch_execz .LBB102_553
; %bb.552:
	v_div_scale_f64 v[225:226], null, v[210:211], v[210:211], v[208:209]
	v_div_scale_f64 v[231:232], vcc_lo, v[208:209], v[210:211], v[208:209]
	s_delay_alu instid0(VALU_DEP_2) | instskip(SKIP_2) | instid1(VALU_DEP_1)
	v_rcp_f64_e32 v[227:228], v[225:226]
	s_waitcnt_depctr 0xfff
	v_fma_f64 v[229:230], -v[225:226], v[227:228], 1.0
	v_fma_f64 v[227:228], v[227:228], v[229:230], v[227:228]
	s_delay_alu instid0(VALU_DEP_1) | instskip(NEXT) | instid1(VALU_DEP_1)
	v_fma_f64 v[229:230], -v[225:226], v[227:228], 1.0
	v_fma_f64 v[227:228], v[227:228], v[229:230], v[227:228]
	s_delay_alu instid0(VALU_DEP_1) | instskip(NEXT) | instid1(VALU_DEP_1)
	v_mul_f64 v[229:230], v[231:232], v[227:228]
	v_fma_f64 v[225:226], -v[225:226], v[229:230], v[231:232]
	s_delay_alu instid0(VALU_DEP_1) | instskip(NEXT) | instid1(VALU_DEP_1)
	v_div_fmas_f64 v[225:226], v[225:226], v[227:228], v[229:230]
	v_div_fixup_f64 v[225:226], v[225:226], v[210:211], v[208:209]
	s_delay_alu instid0(VALU_DEP_1) | instskip(NEXT) | instid1(VALU_DEP_1)
	v_fma_f64 v[208:209], v[208:209], v[225:226], v[210:211]
	v_div_scale_f64 v[210:211], null, v[208:209], v[208:209], 1.0
	s_delay_alu instid0(VALU_DEP_1) | instskip(SKIP_2) | instid1(VALU_DEP_1)
	v_rcp_f64_e32 v[227:228], v[210:211]
	s_waitcnt_depctr 0xfff
	v_fma_f64 v[229:230], -v[210:211], v[227:228], 1.0
	v_fma_f64 v[227:228], v[227:228], v[229:230], v[227:228]
	s_delay_alu instid0(VALU_DEP_1) | instskip(NEXT) | instid1(VALU_DEP_1)
	v_fma_f64 v[229:230], -v[210:211], v[227:228], 1.0
	v_fma_f64 v[227:228], v[227:228], v[229:230], v[227:228]
	v_div_scale_f64 v[229:230], vcc_lo, 1.0, v[208:209], 1.0
	s_delay_alu instid0(VALU_DEP_1) | instskip(NEXT) | instid1(VALU_DEP_1)
	v_mul_f64 v[231:232], v[229:230], v[227:228]
	v_fma_f64 v[210:211], -v[210:211], v[231:232], v[229:230]
	s_delay_alu instid0(VALU_DEP_1) | instskip(NEXT) | instid1(VALU_DEP_1)
	v_div_fmas_f64 v[210:211], v[210:211], v[227:228], v[231:232]
	v_div_fixup_f64 v[210:211], v[210:211], v[208:209], 1.0
	s_delay_alu instid0(VALU_DEP_1)
	v_mul_f64 v[208:209], v[225:226], v[210:211]
	v_xor_b32_e32 v211, 0x80000000, v211
.LBB102_553:
	s_and_not1_saveexec_b32 s2, s2
	s_cbranch_execz .LBB102_555
; %bb.554:
	s_delay_alu instid0(VALU_DEP_1) | instskip(SKIP_1) | instid1(VALU_DEP_2)
	v_div_scale_f64 v[225:226], null, v[208:209], v[208:209], v[210:211]
	v_div_scale_f64 v[231:232], vcc_lo, v[210:211], v[208:209], v[210:211]
	v_rcp_f64_e32 v[227:228], v[225:226]
	s_waitcnt_depctr 0xfff
	v_fma_f64 v[229:230], -v[225:226], v[227:228], 1.0
	s_delay_alu instid0(VALU_DEP_1) | instskip(NEXT) | instid1(VALU_DEP_1)
	v_fma_f64 v[227:228], v[227:228], v[229:230], v[227:228]
	v_fma_f64 v[229:230], -v[225:226], v[227:228], 1.0
	s_delay_alu instid0(VALU_DEP_1) | instskip(NEXT) | instid1(VALU_DEP_1)
	v_fma_f64 v[227:228], v[227:228], v[229:230], v[227:228]
	v_mul_f64 v[229:230], v[231:232], v[227:228]
	s_delay_alu instid0(VALU_DEP_1) | instskip(NEXT) | instid1(VALU_DEP_1)
	v_fma_f64 v[225:226], -v[225:226], v[229:230], v[231:232]
	v_div_fmas_f64 v[225:226], v[225:226], v[227:228], v[229:230]
	s_delay_alu instid0(VALU_DEP_1) | instskip(NEXT) | instid1(VALU_DEP_1)
	v_div_fixup_f64 v[225:226], v[225:226], v[208:209], v[210:211]
	v_fma_f64 v[208:209], v[210:211], v[225:226], v[208:209]
	s_delay_alu instid0(VALU_DEP_1) | instskip(NEXT) | instid1(VALU_DEP_1)
	v_div_scale_f64 v[210:211], null, v[208:209], v[208:209], 1.0
	v_rcp_f64_e32 v[227:228], v[210:211]
	s_waitcnt_depctr 0xfff
	v_fma_f64 v[229:230], -v[210:211], v[227:228], 1.0
	s_delay_alu instid0(VALU_DEP_1) | instskip(NEXT) | instid1(VALU_DEP_1)
	v_fma_f64 v[227:228], v[227:228], v[229:230], v[227:228]
	v_fma_f64 v[229:230], -v[210:211], v[227:228], 1.0
	s_delay_alu instid0(VALU_DEP_1) | instskip(SKIP_1) | instid1(VALU_DEP_1)
	v_fma_f64 v[227:228], v[227:228], v[229:230], v[227:228]
	v_div_scale_f64 v[229:230], vcc_lo, 1.0, v[208:209], 1.0
	v_mul_f64 v[231:232], v[229:230], v[227:228]
	s_delay_alu instid0(VALU_DEP_1) | instskip(NEXT) | instid1(VALU_DEP_1)
	v_fma_f64 v[210:211], -v[210:211], v[231:232], v[229:230]
	v_div_fmas_f64 v[210:211], v[210:211], v[227:228], v[231:232]
	s_delay_alu instid0(VALU_DEP_1) | instskip(NEXT) | instid1(VALU_DEP_1)
	v_div_fixup_f64 v[208:209], v[210:211], v[208:209], 1.0
	v_mul_f64 v[210:211], v[225:226], -v[208:209]
.LBB102_555:
	s_or_b32 exec_lo, exec_lo, s2
.LBB102_556:
	s_delay_alu instid0(SALU_CYCLE_1) | instskip(NEXT) | instid1(SALU_CYCLE_1)
	s_or_b32 exec_lo, exec_lo, s3
	s_mov_b32 s2, exec_lo
	v_cmpx_ne_u32_e64 v224, v216
	s_xor_b32 s2, exec_lo, s2
	s_cbranch_execz .LBB102_562
; %bb.557:
	s_mov_b32 s3, exec_lo
	v_cmpx_eq_u32_e32 26, v224
	s_cbranch_execz .LBB102_561
; %bb.558:
	v_cmp_ne_u32_e32 vcc_lo, 26, v216
	s_xor_b32 s6, s4, -1
	s_delay_alu instid0(SALU_CYCLE_1) | instskip(NEXT) | instid1(SALU_CYCLE_1)
	s_and_b32 s7, s6, vcc_lo
	s_and_saveexec_b32 s6, s7
	s_cbranch_execz .LBB102_560
; %bb.559:
	v_ashrrev_i32_e32 v217, 31, v216
	s_delay_alu instid0(VALU_DEP_1) | instskip(NEXT) | instid1(VALU_DEP_1)
	v_lshlrev_b64 v[223:224], 2, v[216:217]
	v_add_co_u32 v223, vcc_lo, v214, v223
	s_delay_alu instid0(VALU_DEP_2)
	v_add_co_ci_u32_e32 v224, vcc_lo, v215, v224, vcc_lo
	s_clause 0x1
	flat_load_b32 v217, v[223:224]
	flat_load_b32 v225, v[214:215] offset:104
	s_waitcnt vmcnt(1) lgkmcnt(1)
	flat_store_b32 v[214:215], v217 offset:104
	s_waitcnt vmcnt(0) lgkmcnt(1)
	flat_store_b32 v[223:224], v225
.LBB102_560:
	s_or_b32 exec_lo, exec_lo, s6
	v_mov_b32_e32 v224, v216
	v_mov_b32_e32 v223, v216
.LBB102_561:
	s_or_b32 exec_lo, exec_lo, s3
.LBB102_562:
	s_and_not1_saveexec_b32 s2, s2
	s_cbranch_execz .LBB102_564
; %bb.563:
	v_mov_b32_e32 v224, 26
	ds_store_2addr_b64 v218, v[96:97], v[98:99] offset0:54 offset1:55
	ds_store_2addr_b64 v218, v[92:93], v[94:95] offset0:56 offset1:57
	ds_store_2addr_b64 v218, v[88:89], v[90:91] offset0:58 offset1:59
	ds_store_2addr_b64 v218, v[84:85], v[86:87] offset0:60 offset1:61
	ds_store_2addr_b64 v218, v[80:81], v[82:83] offset0:62 offset1:63
	ds_store_2addr_b64 v218, v[76:77], v[78:79] offset0:64 offset1:65
	ds_store_2addr_b64 v218, v[72:73], v[74:75] offset0:66 offset1:67
	ds_store_2addr_b64 v218, v[68:69], v[70:71] offset0:68 offset1:69
	ds_store_2addr_b64 v218, v[64:65], v[66:67] offset0:70 offset1:71
	ds_store_2addr_b64 v218, v[60:61], v[62:63] offset0:72 offset1:73
	ds_store_2addr_b64 v218, v[56:57], v[58:59] offset0:74 offset1:75
	ds_store_2addr_b64 v218, v[52:53], v[54:55] offset0:76 offset1:77
	ds_store_2addr_b64 v218, v[48:49], v[50:51] offset0:78 offset1:79
	ds_store_2addr_b64 v218, v[44:45], v[46:47] offset0:80 offset1:81
	ds_store_2addr_b64 v218, v[40:41], v[42:43] offset0:82 offset1:83
	ds_store_2addr_b64 v218, v[36:37], v[38:39] offset0:84 offset1:85
	ds_store_2addr_b64 v218, v[32:33], v[34:35] offset0:86 offset1:87
	ds_store_2addr_b64 v218, v[28:29], v[30:31] offset0:88 offset1:89
	ds_store_2addr_b64 v218, v[24:25], v[26:27] offset0:90 offset1:91
	ds_store_2addr_b64 v218, v[20:21], v[22:23] offset0:92 offset1:93
	ds_store_2addr_b64 v218, v[16:17], v[18:19] offset0:94 offset1:95
	ds_store_2addr_b64 v218, v[12:13], v[14:15] offset0:96 offset1:97
	ds_store_2addr_b64 v218, v[8:9], v[10:11] offset0:98 offset1:99
	ds_store_2addr_b64 v218, v[4:5], v[6:7] offset0:100 offset1:101
	ds_store_2addr_b64 v218, v[0:1], v[2:3] offset0:102 offset1:103
.LBB102_564:
	s_or_b32 exec_lo, exec_lo, s2
	s_delay_alu instid0(SALU_CYCLE_1)
	s_mov_b32 s2, exec_lo
	s_waitcnt lgkmcnt(0)
	s_waitcnt_vscnt null, 0x0
	s_barrier
	buffer_gl0_inv
	v_cmpx_lt_i32_e32 26, v224
	s_cbranch_execz .LBB102_566
; %bb.565:
	v_mul_f64 v[216:217], v[210:211], v[102:103]
	v_mul_f64 v[102:103], v[208:209], v[102:103]
	s_delay_alu instid0(VALU_DEP_2) | instskip(NEXT) | instid1(VALU_DEP_2)
	v_fma_f64 v[216:217], v[208:209], v[100:101], -v[216:217]
	v_fma_f64 v[102:103], v[210:211], v[100:101], v[102:103]
	ds_load_2addr_b64 v[208:211], v218 offset0:54 offset1:55
	s_waitcnt lgkmcnt(0)
	v_mul_f64 v[100:101], v[210:211], v[102:103]
	s_delay_alu instid0(VALU_DEP_1) | instskip(SKIP_1) | instid1(VALU_DEP_2)
	v_fma_f64 v[100:101], v[208:209], v[216:217], -v[100:101]
	v_mul_f64 v[208:209], v[208:209], v[102:103]
	v_add_f64 v[96:97], v[96:97], -v[100:101]
	s_delay_alu instid0(VALU_DEP_2) | instskip(NEXT) | instid1(VALU_DEP_1)
	v_fma_f64 v[208:209], v[210:211], v[216:217], v[208:209]
	v_add_f64 v[98:99], v[98:99], -v[208:209]
	ds_load_2addr_b64 v[208:211], v218 offset0:56 offset1:57
	s_waitcnt lgkmcnt(0)
	v_mul_f64 v[100:101], v[210:211], v[102:103]
	s_delay_alu instid0(VALU_DEP_1) | instskip(SKIP_1) | instid1(VALU_DEP_2)
	v_fma_f64 v[100:101], v[208:209], v[216:217], -v[100:101]
	v_mul_f64 v[208:209], v[208:209], v[102:103]
	v_add_f64 v[92:93], v[92:93], -v[100:101]
	s_delay_alu instid0(VALU_DEP_2) | instskip(NEXT) | instid1(VALU_DEP_1)
	v_fma_f64 v[208:209], v[210:211], v[216:217], v[208:209]
	v_add_f64 v[94:95], v[94:95], -v[208:209]
	;; [unrolled: 10-line block ×24, first 2 shown]
	ds_load_2addr_b64 v[208:211], v218 offset0:102 offset1:103
	s_waitcnt lgkmcnt(0)
	v_mul_f64 v[100:101], v[210:211], v[102:103]
	s_delay_alu instid0(VALU_DEP_1) | instskip(SKIP_1) | instid1(VALU_DEP_2)
	v_fma_f64 v[100:101], v[208:209], v[216:217], -v[100:101]
	v_mul_f64 v[208:209], v[208:209], v[102:103]
	v_add_f64 v[0:1], v[0:1], -v[100:101]
	s_delay_alu instid0(VALU_DEP_2) | instskip(SKIP_1) | instid1(VALU_DEP_2)
	v_fma_f64 v[208:209], v[210:211], v[216:217], v[208:209]
	v_dual_mov_b32 v100, v216 :: v_dual_mov_b32 v101, v217
	v_add_f64 v[2:3], v[2:3], -v[208:209]
.LBB102_566:
	s_or_b32 exec_lo, exec_lo, s2
	v_lshl_add_u32 v208, v224, 4, v218
	s_barrier
	buffer_gl0_inv
	v_mov_b32_e32 v216, 27
	ds_store_2addr_b64 v208, v[96:97], v[98:99] offset1:1
	s_waitcnt lgkmcnt(0)
	s_barrier
	buffer_gl0_inv
	ds_load_2addr_b64 v[208:211], v218 offset0:54 offset1:55
	s_cmp_lt_i32 s5, 29
	s_cbranch_scc1 .LBB102_569
; %bb.567:
	v_add3_u32 v217, v222, 0, 0x1c0
	v_mov_b32_e32 v216, 27
	s_mov_b32 s6, 28
	s_set_inst_prefetch_distance 0x1
	.p2align	6
.LBB102_568:                            ; =>This Inner Loop Header: Depth=1
	ds_load_2addr_b64 v[225:228], v217 offset1:1
	s_waitcnt lgkmcnt(1)
	v_cmp_gt_f64_e32 vcc_lo, 0, v[208:209]
	v_xor_b32_e32 v229, 0x80000000, v209
	v_cmp_gt_f64_e64 s2, 0, v[210:211]
	v_xor_b32_e32 v231, 0x80000000, v211
	v_add_nc_u32_e32 v217, 16, v217
	s_waitcnt lgkmcnt(0)
	v_cmp_gt_f64_e64 s3, 0, v[225:226]
	v_mov_b32_e32 v233, v225
	v_dual_mov_b32 v235, v227 :: v_dual_cndmask_b32 v230, v209, v229
	v_xor_b32_e32 v229, 0x80000000, v226
	v_cndmask_b32_e64 v232, v211, v231, s2
	v_xor_b32_e32 v231, 0x80000000, v228
	s_delay_alu instid0(VALU_DEP_3) | instskip(SKIP_2) | instid1(VALU_DEP_2)
	v_cndmask_b32_e64 v234, v226, v229, s3
	v_cmp_gt_f64_e64 s3, 0, v[227:228]
	v_cndmask_b32_e32 v229, v208, v208, vcc_lo
	v_cndmask_b32_e64 v236, v228, v231, s3
	v_cndmask_b32_e64 v231, v210, v210, s2
	s_delay_alu instid0(VALU_DEP_2) | instskip(NEXT) | instid1(VALU_DEP_2)
	v_add_f64 v[233:234], v[233:234], v[235:236]
	v_add_f64 v[229:230], v[229:230], v[231:232]
	s_delay_alu instid0(VALU_DEP_1) | instskip(SKIP_4) | instid1(SALU_CYCLE_1)
	v_cmp_lt_f64_e32 vcc_lo, v[229:230], v[233:234]
	v_dual_cndmask_b32 v210, v210, v227 :: v_dual_cndmask_b32 v209, v209, v226
	v_dual_cndmask_b32 v208, v208, v225 :: v_dual_cndmask_b32 v211, v211, v228
	v_cndmask_b32_e64 v216, v216, s6, vcc_lo
	s_add_i32 s6, s6, 1
	s_cmp_lg_u32 s5, s6
	s_cbranch_scc1 .LBB102_568
.LBB102_569:
	s_set_inst_prefetch_distance 0x2
	s_waitcnt lgkmcnt(0)
	v_cmp_eq_f64_e32 vcc_lo, 0, v[208:209]
	v_cmp_eq_f64_e64 s2, 0, v[210:211]
	s_delay_alu instid0(VALU_DEP_1) | instskip(NEXT) | instid1(SALU_CYCLE_1)
	s_and_b32 s2, vcc_lo, s2
	s_and_saveexec_b32 s3, s2
	s_delay_alu instid0(SALU_CYCLE_1)
	s_xor_b32 s2, exec_lo, s3
; %bb.570:
	v_cmp_ne_u32_e32 vcc_lo, 0, v221
	v_cndmask_b32_e32 v221, 28, v221, vcc_lo
; %bb.571:
	s_and_not1_saveexec_b32 s3, s2
	s_cbranch_execz .LBB102_577
; %bb.572:
	v_cmp_gt_f64_e32 vcc_lo, 0, v[208:209]
	v_cmp_gt_f64_e64 s2, 0, v[210:211]
	v_xor_b32_e32 v217, 0x80000000, v209
	v_xor_b32_e32 v225, 0x80000000, v211
	s_delay_alu instid0(VALU_DEP_2) | instskip(NEXT) | instid1(VALU_DEP_2)
	v_cndmask_b32_e32 v226, v209, v217, vcc_lo
	v_cndmask_b32_e64 v228, v211, v225, s2
	v_cndmask_b32_e32 v225, v208, v208, vcc_lo
	v_cndmask_b32_e64 v227, v210, v210, s2
	s_mov_b32 s2, exec_lo
	s_delay_alu instid0(VALU_DEP_1)
	v_cmpx_ngt_f64_e32 v[225:226], v[227:228]
	s_xor_b32 s2, exec_lo, s2
	s_cbranch_execz .LBB102_574
; %bb.573:
	v_div_scale_f64 v[225:226], null, v[210:211], v[210:211], v[208:209]
	v_div_scale_f64 v[231:232], vcc_lo, v[208:209], v[210:211], v[208:209]
	s_delay_alu instid0(VALU_DEP_2) | instskip(SKIP_2) | instid1(VALU_DEP_1)
	v_rcp_f64_e32 v[227:228], v[225:226]
	s_waitcnt_depctr 0xfff
	v_fma_f64 v[229:230], -v[225:226], v[227:228], 1.0
	v_fma_f64 v[227:228], v[227:228], v[229:230], v[227:228]
	s_delay_alu instid0(VALU_DEP_1) | instskip(NEXT) | instid1(VALU_DEP_1)
	v_fma_f64 v[229:230], -v[225:226], v[227:228], 1.0
	v_fma_f64 v[227:228], v[227:228], v[229:230], v[227:228]
	s_delay_alu instid0(VALU_DEP_1) | instskip(NEXT) | instid1(VALU_DEP_1)
	v_mul_f64 v[229:230], v[231:232], v[227:228]
	v_fma_f64 v[225:226], -v[225:226], v[229:230], v[231:232]
	s_delay_alu instid0(VALU_DEP_1) | instskip(NEXT) | instid1(VALU_DEP_1)
	v_div_fmas_f64 v[225:226], v[225:226], v[227:228], v[229:230]
	v_div_fixup_f64 v[225:226], v[225:226], v[210:211], v[208:209]
	s_delay_alu instid0(VALU_DEP_1) | instskip(NEXT) | instid1(VALU_DEP_1)
	v_fma_f64 v[208:209], v[208:209], v[225:226], v[210:211]
	v_div_scale_f64 v[210:211], null, v[208:209], v[208:209], 1.0
	s_delay_alu instid0(VALU_DEP_1) | instskip(SKIP_2) | instid1(VALU_DEP_1)
	v_rcp_f64_e32 v[227:228], v[210:211]
	s_waitcnt_depctr 0xfff
	v_fma_f64 v[229:230], -v[210:211], v[227:228], 1.0
	v_fma_f64 v[227:228], v[227:228], v[229:230], v[227:228]
	s_delay_alu instid0(VALU_DEP_1) | instskip(NEXT) | instid1(VALU_DEP_1)
	v_fma_f64 v[229:230], -v[210:211], v[227:228], 1.0
	v_fma_f64 v[227:228], v[227:228], v[229:230], v[227:228]
	v_div_scale_f64 v[229:230], vcc_lo, 1.0, v[208:209], 1.0
	s_delay_alu instid0(VALU_DEP_1) | instskip(NEXT) | instid1(VALU_DEP_1)
	v_mul_f64 v[231:232], v[229:230], v[227:228]
	v_fma_f64 v[210:211], -v[210:211], v[231:232], v[229:230]
	s_delay_alu instid0(VALU_DEP_1) | instskip(NEXT) | instid1(VALU_DEP_1)
	v_div_fmas_f64 v[210:211], v[210:211], v[227:228], v[231:232]
	v_div_fixup_f64 v[210:211], v[210:211], v[208:209], 1.0
	s_delay_alu instid0(VALU_DEP_1)
	v_mul_f64 v[208:209], v[225:226], v[210:211]
	v_xor_b32_e32 v211, 0x80000000, v211
.LBB102_574:
	s_and_not1_saveexec_b32 s2, s2
	s_cbranch_execz .LBB102_576
; %bb.575:
	s_delay_alu instid0(VALU_DEP_1) | instskip(SKIP_1) | instid1(VALU_DEP_2)
	v_div_scale_f64 v[225:226], null, v[208:209], v[208:209], v[210:211]
	v_div_scale_f64 v[231:232], vcc_lo, v[210:211], v[208:209], v[210:211]
	v_rcp_f64_e32 v[227:228], v[225:226]
	s_waitcnt_depctr 0xfff
	v_fma_f64 v[229:230], -v[225:226], v[227:228], 1.0
	s_delay_alu instid0(VALU_DEP_1) | instskip(NEXT) | instid1(VALU_DEP_1)
	v_fma_f64 v[227:228], v[227:228], v[229:230], v[227:228]
	v_fma_f64 v[229:230], -v[225:226], v[227:228], 1.0
	s_delay_alu instid0(VALU_DEP_1) | instskip(NEXT) | instid1(VALU_DEP_1)
	v_fma_f64 v[227:228], v[227:228], v[229:230], v[227:228]
	v_mul_f64 v[229:230], v[231:232], v[227:228]
	s_delay_alu instid0(VALU_DEP_1) | instskip(NEXT) | instid1(VALU_DEP_1)
	v_fma_f64 v[225:226], -v[225:226], v[229:230], v[231:232]
	v_div_fmas_f64 v[225:226], v[225:226], v[227:228], v[229:230]
	s_delay_alu instid0(VALU_DEP_1) | instskip(NEXT) | instid1(VALU_DEP_1)
	v_div_fixup_f64 v[225:226], v[225:226], v[208:209], v[210:211]
	v_fma_f64 v[208:209], v[210:211], v[225:226], v[208:209]
	s_delay_alu instid0(VALU_DEP_1) | instskip(NEXT) | instid1(VALU_DEP_1)
	v_div_scale_f64 v[210:211], null, v[208:209], v[208:209], 1.0
	v_rcp_f64_e32 v[227:228], v[210:211]
	s_waitcnt_depctr 0xfff
	v_fma_f64 v[229:230], -v[210:211], v[227:228], 1.0
	s_delay_alu instid0(VALU_DEP_1) | instskip(NEXT) | instid1(VALU_DEP_1)
	v_fma_f64 v[227:228], v[227:228], v[229:230], v[227:228]
	v_fma_f64 v[229:230], -v[210:211], v[227:228], 1.0
	s_delay_alu instid0(VALU_DEP_1) | instskip(SKIP_1) | instid1(VALU_DEP_1)
	v_fma_f64 v[227:228], v[227:228], v[229:230], v[227:228]
	v_div_scale_f64 v[229:230], vcc_lo, 1.0, v[208:209], 1.0
	v_mul_f64 v[231:232], v[229:230], v[227:228]
	s_delay_alu instid0(VALU_DEP_1) | instskip(NEXT) | instid1(VALU_DEP_1)
	v_fma_f64 v[210:211], -v[210:211], v[231:232], v[229:230]
	v_div_fmas_f64 v[210:211], v[210:211], v[227:228], v[231:232]
	s_delay_alu instid0(VALU_DEP_1) | instskip(NEXT) | instid1(VALU_DEP_1)
	v_div_fixup_f64 v[208:209], v[210:211], v[208:209], 1.0
	v_mul_f64 v[210:211], v[225:226], -v[208:209]
.LBB102_576:
	s_or_b32 exec_lo, exec_lo, s2
.LBB102_577:
	s_delay_alu instid0(SALU_CYCLE_1) | instskip(NEXT) | instid1(SALU_CYCLE_1)
	s_or_b32 exec_lo, exec_lo, s3
	s_mov_b32 s2, exec_lo
	v_cmpx_ne_u32_e64 v224, v216
	s_xor_b32 s2, exec_lo, s2
	s_cbranch_execz .LBB102_583
; %bb.578:
	s_mov_b32 s3, exec_lo
	v_cmpx_eq_u32_e32 27, v224
	s_cbranch_execz .LBB102_582
; %bb.579:
	v_cmp_ne_u32_e32 vcc_lo, 27, v216
	s_xor_b32 s6, s4, -1
	s_delay_alu instid0(SALU_CYCLE_1) | instskip(NEXT) | instid1(SALU_CYCLE_1)
	s_and_b32 s7, s6, vcc_lo
	s_and_saveexec_b32 s6, s7
	s_cbranch_execz .LBB102_581
; %bb.580:
	v_ashrrev_i32_e32 v217, 31, v216
	s_delay_alu instid0(VALU_DEP_1) | instskip(NEXT) | instid1(VALU_DEP_1)
	v_lshlrev_b64 v[223:224], 2, v[216:217]
	v_add_co_u32 v223, vcc_lo, v214, v223
	s_delay_alu instid0(VALU_DEP_2)
	v_add_co_ci_u32_e32 v224, vcc_lo, v215, v224, vcc_lo
	s_clause 0x1
	flat_load_b32 v217, v[223:224]
	flat_load_b32 v225, v[214:215] offset:108
	s_waitcnt vmcnt(1) lgkmcnt(1)
	flat_store_b32 v[214:215], v217 offset:108
	s_waitcnt vmcnt(0) lgkmcnt(1)
	flat_store_b32 v[223:224], v225
.LBB102_581:
	s_or_b32 exec_lo, exec_lo, s6
	v_mov_b32_e32 v224, v216
	v_mov_b32_e32 v223, v216
.LBB102_582:
	s_or_b32 exec_lo, exec_lo, s3
.LBB102_583:
	s_and_not1_saveexec_b32 s2, s2
	s_cbranch_execz .LBB102_585
; %bb.584:
	v_mov_b32_e32 v224, 27
	ds_store_2addr_b64 v218, v[92:93], v[94:95] offset0:56 offset1:57
	ds_store_2addr_b64 v218, v[88:89], v[90:91] offset0:58 offset1:59
	;; [unrolled: 1-line block ×24, first 2 shown]
.LBB102_585:
	s_or_b32 exec_lo, exec_lo, s2
	s_delay_alu instid0(SALU_CYCLE_1)
	s_mov_b32 s2, exec_lo
	s_waitcnt lgkmcnt(0)
	s_waitcnt_vscnt null, 0x0
	s_barrier
	buffer_gl0_inv
	v_cmpx_lt_i32_e32 27, v224
	s_cbranch_execz .LBB102_587
; %bb.586:
	v_mul_f64 v[216:217], v[210:211], v[98:99]
	v_mul_f64 v[98:99], v[208:209], v[98:99]
	s_delay_alu instid0(VALU_DEP_2) | instskip(NEXT) | instid1(VALU_DEP_2)
	v_fma_f64 v[216:217], v[208:209], v[96:97], -v[216:217]
	v_fma_f64 v[98:99], v[210:211], v[96:97], v[98:99]
	ds_load_2addr_b64 v[208:211], v218 offset0:56 offset1:57
	s_waitcnt lgkmcnt(0)
	v_mul_f64 v[96:97], v[210:211], v[98:99]
	s_delay_alu instid0(VALU_DEP_1) | instskip(SKIP_1) | instid1(VALU_DEP_2)
	v_fma_f64 v[96:97], v[208:209], v[216:217], -v[96:97]
	v_mul_f64 v[208:209], v[208:209], v[98:99]
	v_add_f64 v[92:93], v[92:93], -v[96:97]
	s_delay_alu instid0(VALU_DEP_2) | instskip(NEXT) | instid1(VALU_DEP_1)
	v_fma_f64 v[208:209], v[210:211], v[216:217], v[208:209]
	v_add_f64 v[94:95], v[94:95], -v[208:209]
	ds_load_2addr_b64 v[208:211], v218 offset0:58 offset1:59
	s_waitcnt lgkmcnt(0)
	v_mul_f64 v[96:97], v[210:211], v[98:99]
	s_delay_alu instid0(VALU_DEP_1) | instskip(SKIP_1) | instid1(VALU_DEP_2)
	v_fma_f64 v[96:97], v[208:209], v[216:217], -v[96:97]
	v_mul_f64 v[208:209], v[208:209], v[98:99]
	v_add_f64 v[88:89], v[88:89], -v[96:97]
	s_delay_alu instid0(VALU_DEP_2) | instskip(NEXT) | instid1(VALU_DEP_1)
	v_fma_f64 v[208:209], v[210:211], v[216:217], v[208:209]
	v_add_f64 v[90:91], v[90:91], -v[208:209]
	;; [unrolled: 10-line block ×23, first 2 shown]
	ds_load_2addr_b64 v[208:211], v218 offset0:102 offset1:103
	s_waitcnt lgkmcnt(0)
	v_mul_f64 v[96:97], v[210:211], v[98:99]
	s_delay_alu instid0(VALU_DEP_1) | instskip(SKIP_1) | instid1(VALU_DEP_2)
	v_fma_f64 v[96:97], v[208:209], v[216:217], -v[96:97]
	v_mul_f64 v[208:209], v[208:209], v[98:99]
	v_add_f64 v[0:1], v[0:1], -v[96:97]
	s_delay_alu instid0(VALU_DEP_2) | instskip(SKIP_1) | instid1(VALU_DEP_2)
	v_fma_f64 v[208:209], v[210:211], v[216:217], v[208:209]
	v_dual_mov_b32 v96, v216 :: v_dual_mov_b32 v97, v217
	v_add_f64 v[2:3], v[2:3], -v[208:209]
.LBB102_587:
	s_or_b32 exec_lo, exec_lo, s2
	v_lshl_add_u32 v208, v224, 4, v218
	s_barrier
	buffer_gl0_inv
	v_mov_b32_e32 v216, 28
	ds_store_2addr_b64 v208, v[92:93], v[94:95] offset1:1
	s_waitcnt lgkmcnt(0)
	s_barrier
	buffer_gl0_inv
	ds_load_2addr_b64 v[208:211], v218 offset0:56 offset1:57
	s_cmp_lt_i32 s5, 30
	s_cbranch_scc1 .LBB102_590
; %bb.588:
	v_add3_u32 v217, v222, 0, 0x1d0
	v_mov_b32_e32 v216, 28
	s_mov_b32 s6, 29
	s_set_inst_prefetch_distance 0x1
	.p2align	6
.LBB102_589:                            ; =>This Inner Loop Header: Depth=1
	ds_load_2addr_b64 v[225:228], v217 offset1:1
	s_waitcnt lgkmcnt(1)
	v_cmp_gt_f64_e32 vcc_lo, 0, v[208:209]
	v_xor_b32_e32 v229, 0x80000000, v209
	v_cmp_gt_f64_e64 s2, 0, v[210:211]
	v_xor_b32_e32 v231, 0x80000000, v211
	v_add_nc_u32_e32 v217, 16, v217
	s_waitcnt lgkmcnt(0)
	v_cmp_gt_f64_e64 s3, 0, v[225:226]
	v_mov_b32_e32 v233, v225
	v_dual_mov_b32 v235, v227 :: v_dual_cndmask_b32 v230, v209, v229
	v_xor_b32_e32 v229, 0x80000000, v226
	v_cndmask_b32_e64 v232, v211, v231, s2
	v_xor_b32_e32 v231, 0x80000000, v228
	s_delay_alu instid0(VALU_DEP_3) | instskip(SKIP_2) | instid1(VALU_DEP_2)
	v_cndmask_b32_e64 v234, v226, v229, s3
	v_cmp_gt_f64_e64 s3, 0, v[227:228]
	v_cndmask_b32_e32 v229, v208, v208, vcc_lo
	v_cndmask_b32_e64 v236, v228, v231, s3
	v_cndmask_b32_e64 v231, v210, v210, s2
	s_delay_alu instid0(VALU_DEP_2) | instskip(NEXT) | instid1(VALU_DEP_2)
	v_add_f64 v[233:234], v[233:234], v[235:236]
	v_add_f64 v[229:230], v[229:230], v[231:232]
	s_delay_alu instid0(VALU_DEP_1) | instskip(SKIP_4) | instid1(SALU_CYCLE_1)
	v_cmp_lt_f64_e32 vcc_lo, v[229:230], v[233:234]
	v_dual_cndmask_b32 v210, v210, v227 :: v_dual_cndmask_b32 v209, v209, v226
	v_dual_cndmask_b32 v208, v208, v225 :: v_dual_cndmask_b32 v211, v211, v228
	v_cndmask_b32_e64 v216, v216, s6, vcc_lo
	s_add_i32 s6, s6, 1
	s_cmp_lg_u32 s5, s6
	s_cbranch_scc1 .LBB102_589
.LBB102_590:
	s_set_inst_prefetch_distance 0x2
	s_waitcnt lgkmcnt(0)
	v_cmp_eq_f64_e32 vcc_lo, 0, v[208:209]
	v_cmp_eq_f64_e64 s2, 0, v[210:211]
	s_delay_alu instid0(VALU_DEP_1) | instskip(NEXT) | instid1(SALU_CYCLE_1)
	s_and_b32 s2, vcc_lo, s2
	s_and_saveexec_b32 s3, s2
	s_delay_alu instid0(SALU_CYCLE_1)
	s_xor_b32 s2, exec_lo, s3
; %bb.591:
	v_cmp_ne_u32_e32 vcc_lo, 0, v221
	v_cndmask_b32_e32 v221, 29, v221, vcc_lo
; %bb.592:
	s_and_not1_saveexec_b32 s3, s2
	s_cbranch_execz .LBB102_598
; %bb.593:
	v_cmp_gt_f64_e32 vcc_lo, 0, v[208:209]
	v_cmp_gt_f64_e64 s2, 0, v[210:211]
	v_xor_b32_e32 v217, 0x80000000, v209
	v_xor_b32_e32 v225, 0x80000000, v211
	s_delay_alu instid0(VALU_DEP_2) | instskip(NEXT) | instid1(VALU_DEP_2)
	v_cndmask_b32_e32 v226, v209, v217, vcc_lo
	v_cndmask_b32_e64 v228, v211, v225, s2
	v_cndmask_b32_e32 v225, v208, v208, vcc_lo
	v_cndmask_b32_e64 v227, v210, v210, s2
	s_mov_b32 s2, exec_lo
	s_delay_alu instid0(VALU_DEP_1)
	v_cmpx_ngt_f64_e32 v[225:226], v[227:228]
	s_xor_b32 s2, exec_lo, s2
	s_cbranch_execz .LBB102_595
; %bb.594:
	v_div_scale_f64 v[225:226], null, v[210:211], v[210:211], v[208:209]
	v_div_scale_f64 v[231:232], vcc_lo, v[208:209], v[210:211], v[208:209]
	s_delay_alu instid0(VALU_DEP_2) | instskip(SKIP_2) | instid1(VALU_DEP_1)
	v_rcp_f64_e32 v[227:228], v[225:226]
	s_waitcnt_depctr 0xfff
	v_fma_f64 v[229:230], -v[225:226], v[227:228], 1.0
	v_fma_f64 v[227:228], v[227:228], v[229:230], v[227:228]
	s_delay_alu instid0(VALU_DEP_1) | instskip(NEXT) | instid1(VALU_DEP_1)
	v_fma_f64 v[229:230], -v[225:226], v[227:228], 1.0
	v_fma_f64 v[227:228], v[227:228], v[229:230], v[227:228]
	s_delay_alu instid0(VALU_DEP_1) | instskip(NEXT) | instid1(VALU_DEP_1)
	v_mul_f64 v[229:230], v[231:232], v[227:228]
	v_fma_f64 v[225:226], -v[225:226], v[229:230], v[231:232]
	s_delay_alu instid0(VALU_DEP_1) | instskip(NEXT) | instid1(VALU_DEP_1)
	v_div_fmas_f64 v[225:226], v[225:226], v[227:228], v[229:230]
	v_div_fixup_f64 v[225:226], v[225:226], v[210:211], v[208:209]
	s_delay_alu instid0(VALU_DEP_1) | instskip(NEXT) | instid1(VALU_DEP_1)
	v_fma_f64 v[208:209], v[208:209], v[225:226], v[210:211]
	v_div_scale_f64 v[210:211], null, v[208:209], v[208:209], 1.0
	s_delay_alu instid0(VALU_DEP_1) | instskip(SKIP_2) | instid1(VALU_DEP_1)
	v_rcp_f64_e32 v[227:228], v[210:211]
	s_waitcnt_depctr 0xfff
	v_fma_f64 v[229:230], -v[210:211], v[227:228], 1.0
	v_fma_f64 v[227:228], v[227:228], v[229:230], v[227:228]
	s_delay_alu instid0(VALU_DEP_1) | instskip(NEXT) | instid1(VALU_DEP_1)
	v_fma_f64 v[229:230], -v[210:211], v[227:228], 1.0
	v_fma_f64 v[227:228], v[227:228], v[229:230], v[227:228]
	v_div_scale_f64 v[229:230], vcc_lo, 1.0, v[208:209], 1.0
	s_delay_alu instid0(VALU_DEP_1) | instskip(NEXT) | instid1(VALU_DEP_1)
	v_mul_f64 v[231:232], v[229:230], v[227:228]
	v_fma_f64 v[210:211], -v[210:211], v[231:232], v[229:230]
	s_delay_alu instid0(VALU_DEP_1) | instskip(NEXT) | instid1(VALU_DEP_1)
	v_div_fmas_f64 v[210:211], v[210:211], v[227:228], v[231:232]
	v_div_fixup_f64 v[210:211], v[210:211], v[208:209], 1.0
	s_delay_alu instid0(VALU_DEP_1)
	v_mul_f64 v[208:209], v[225:226], v[210:211]
	v_xor_b32_e32 v211, 0x80000000, v211
.LBB102_595:
	s_and_not1_saveexec_b32 s2, s2
	s_cbranch_execz .LBB102_597
; %bb.596:
	s_delay_alu instid0(VALU_DEP_1) | instskip(SKIP_1) | instid1(VALU_DEP_2)
	v_div_scale_f64 v[225:226], null, v[208:209], v[208:209], v[210:211]
	v_div_scale_f64 v[231:232], vcc_lo, v[210:211], v[208:209], v[210:211]
	v_rcp_f64_e32 v[227:228], v[225:226]
	s_waitcnt_depctr 0xfff
	v_fma_f64 v[229:230], -v[225:226], v[227:228], 1.0
	s_delay_alu instid0(VALU_DEP_1) | instskip(NEXT) | instid1(VALU_DEP_1)
	v_fma_f64 v[227:228], v[227:228], v[229:230], v[227:228]
	v_fma_f64 v[229:230], -v[225:226], v[227:228], 1.0
	s_delay_alu instid0(VALU_DEP_1) | instskip(NEXT) | instid1(VALU_DEP_1)
	v_fma_f64 v[227:228], v[227:228], v[229:230], v[227:228]
	v_mul_f64 v[229:230], v[231:232], v[227:228]
	s_delay_alu instid0(VALU_DEP_1) | instskip(NEXT) | instid1(VALU_DEP_1)
	v_fma_f64 v[225:226], -v[225:226], v[229:230], v[231:232]
	v_div_fmas_f64 v[225:226], v[225:226], v[227:228], v[229:230]
	s_delay_alu instid0(VALU_DEP_1) | instskip(NEXT) | instid1(VALU_DEP_1)
	v_div_fixup_f64 v[225:226], v[225:226], v[208:209], v[210:211]
	v_fma_f64 v[208:209], v[210:211], v[225:226], v[208:209]
	s_delay_alu instid0(VALU_DEP_1) | instskip(NEXT) | instid1(VALU_DEP_1)
	v_div_scale_f64 v[210:211], null, v[208:209], v[208:209], 1.0
	v_rcp_f64_e32 v[227:228], v[210:211]
	s_waitcnt_depctr 0xfff
	v_fma_f64 v[229:230], -v[210:211], v[227:228], 1.0
	s_delay_alu instid0(VALU_DEP_1) | instskip(NEXT) | instid1(VALU_DEP_1)
	v_fma_f64 v[227:228], v[227:228], v[229:230], v[227:228]
	v_fma_f64 v[229:230], -v[210:211], v[227:228], 1.0
	s_delay_alu instid0(VALU_DEP_1) | instskip(SKIP_1) | instid1(VALU_DEP_1)
	v_fma_f64 v[227:228], v[227:228], v[229:230], v[227:228]
	v_div_scale_f64 v[229:230], vcc_lo, 1.0, v[208:209], 1.0
	v_mul_f64 v[231:232], v[229:230], v[227:228]
	s_delay_alu instid0(VALU_DEP_1) | instskip(NEXT) | instid1(VALU_DEP_1)
	v_fma_f64 v[210:211], -v[210:211], v[231:232], v[229:230]
	v_div_fmas_f64 v[210:211], v[210:211], v[227:228], v[231:232]
	s_delay_alu instid0(VALU_DEP_1) | instskip(NEXT) | instid1(VALU_DEP_1)
	v_div_fixup_f64 v[208:209], v[210:211], v[208:209], 1.0
	v_mul_f64 v[210:211], v[225:226], -v[208:209]
.LBB102_597:
	s_or_b32 exec_lo, exec_lo, s2
.LBB102_598:
	s_delay_alu instid0(SALU_CYCLE_1) | instskip(NEXT) | instid1(SALU_CYCLE_1)
	s_or_b32 exec_lo, exec_lo, s3
	s_mov_b32 s2, exec_lo
	v_cmpx_ne_u32_e64 v224, v216
	s_xor_b32 s2, exec_lo, s2
	s_cbranch_execz .LBB102_604
; %bb.599:
	s_mov_b32 s3, exec_lo
	v_cmpx_eq_u32_e32 28, v224
	s_cbranch_execz .LBB102_603
; %bb.600:
	v_cmp_ne_u32_e32 vcc_lo, 28, v216
	s_xor_b32 s6, s4, -1
	s_delay_alu instid0(SALU_CYCLE_1) | instskip(NEXT) | instid1(SALU_CYCLE_1)
	s_and_b32 s7, s6, vcc_lo
	s_and_saveexec_b32 s6, s7
	s_cbranch_execz .LBB102_602
; %bb.601:
	v_ashrrev_i32_e32 v217, 31, v216
	s_delay_alu instid0(VALU_DEP_1) | instskip(NEXT) | instid1(VALU_DEP_1)
	v_lshlrev_b64 v[223:224], 2, v[216:217]
	v_add_co_u32 v223, vcc_lo, v214, v223
	s_delay_alu instid0(VALU_DEP_2)
	v_add_co_ci_u32_e32 v224, vcc_lo, v215, v224, vcc_lo
	s_clause 0x1
	flat_load_b32 v217, v[223:224]
	flat_load_b32 v225, v[214:215] offset:112
	s_waitcnt vmcnt(1) lgkmcnt(1)
	flat_store_b32 v[214:215], v217 offset:112
	s_waitcnt vmcnt(0) lgkmcnt(1)
	flat_store_b32 v[223:224], v225
.LBB102_602:
	s_or_b32 exec_lo, exec_lo, s6
	v_mov_b32_e32 v224, v216
	v_mov_b32_e32 v223, v216
.LBB102_603:
	s_or_b32 exec_lo, exec_lo, s3
.LBB102_604:
	s_and_not1_saveexec_b32 s2, s2
	s_cbranch_execz .LBB102_606
; %bb.605:
	v_mov_b32_e32 v224, 28
	ds_store_2addr_b64 v218, v[88:89], v[90:91] offset0:58 offset1:59
	ds_store_2addr_b64 v218, v[84:85], v[86:87] offset0:60 offset1:61
	;; [unrolled: 1-line block ×23, first 2 shown]
.LBB102_606:
	s_or_b32 exec_lo, exec_lo, s2
	s_delay_alu instid0(SALU_CYCLE_1)
	s_mov_b32 s2, exec_lo
	s_waitcnt lgkmcnt(0)
	s_waitcnt_vscnt null, 0x0
	s_barrier
	buffer_gl0_inv
	v_cmpx_lt_i32_e32 28, v224
	s_cbranch_execz .LBB102_608
; %bb.607:
	v_mul_f64 v[216:217], v[210:211], v[94:95]
	v_mul_f64 v[94:95], v[208:209], v[94:95]
	s_delay_alu instid0(VALU_DEP_2) | instskip(NEXT) | instid1(VALU_DEP_2)
	v_fma_f64 v[216:217], v[208:209], v[92:93], -v[216:217]
	v_fma_f64 v[94:95], v[210:211], v[92:93], v[94:95]
	ds_load_2addr_b64 v[208:211], v218 offset0:58 offset1:59
	s_waitcnt lgkmcnt(0)
	v_mul_f64 v[92:93], v[210:211], v[94:95]
	s_delay_alu instid0(VALU_DEP_1) | instskip(SKIP_1) | instid1(VALU_DEP_2)
	v_fma_f64 v[92:93], v[208:209], v[216:217], -v[92:93]
	v_mul_f64 v[208:209], v[208:209], v[94:95]
	v_add_f64 v[88:89], v[88:89], -v[92:93]
	s_delay_alu instid0(VALU_DEP_2) | instskip(NEXT) | instid1(VALU_DEP_1)
	v_fma_f64 v[208:209], v[210:211], v[216:217], v[208:209]
	v_add_f64 v[90:91], v[90:91], -v[208:209]
	ds_load_2addr_b64 v[208:211], v218 offset0:60 offset1:61
	s_waitcnt lgkmcnt(0)
	v_mul_f64 v[92:93], v[210:211], v[94:95]
	s_delay_alu instid0(VALU_DEP_1) | instskip(SKIP_1) | instid1(VALU_DEP_2)
	v_fma_f64 v[92:93], v[208:209], v[216:217], -v[92:93]
	v_mul_f64 v[208:209], v[208:209], v[94:95]
	v_add_f64 v[84:85], v[84:85], -v[92:93]
	s_delay_alu instid0(VALU_DEP_2) | instskip(NEXT) | instid1(VALU_DEP_1)
	v_fma_f64 v[208:209], v[210:211], v[216:217], v[208:209]
	v_add_f64 v[86:87], v[86:87], -v[208:209]
	;; [unrolled: 10-line block ×22, first 2 shown]
	ds_load_2addr_b64 v[208:211], v218 offset0:102 offset1:103
	s_waitcnt lgkmcnt(0)
	v_mul_f64 v[92:93], v[210:211], v[94:95]
	s_delay_alu instid0(VALU_DEP_1) | instskip(SKIP_1) | instid1(VALU_DEP_2)
	v_fma_f64 v[92:93], v[208:209], v[216:217], -v[92:93]
	v_mul_f64 v[208:209], v[208:209], v[94:95]
	v_add_f64 v[0:1], v[0:1], -v[92:93]
	s_delay_alu instid0(VALU_DEP_2) | instskip(SKIP_1) | instid1(VALU_DEP_2)
	v_fma_f64 v[208:209], v[210:211], v[216:217], v[208:209]
	v_dual_mov_b32 v92, v216 :: v_dual_mov_b32 v93, v217
	v_add_f64 v[2:3], v[2:3], -v[208:209]
.LBB102_608:
	s_or_b32 exec_lo, exec_lo, s2
	v_lshl_add_u32 v208, v224, 4, v218
	s_barrier
	buffer_gl0_inv
	v_mov_b32_e32 v216, 29
	ds_store_2addr_b64 v208, v[88:89], v[90:91] offset1:1
	s_waitcnt lgkmcnt(0)
	s_barrier
	buffer_gl0_inv
	ds_load_2addr_b64 v[208:211], v218 offset0:58 offset1:59
	s_cmp_lt_i32 s5, 31
	s_cbranch_scc1 .LBB102_611
; %bb.609:
	v_add3_u32 v217, v222, 0, 0x1e0
	v_mov_b32_e32 v216, 29
	s_mov_b32 s6, 30
	s_set_inst_prefetch_distance 0x1
	.p2align	6
.LBB102_610:                            ; =>This Inner Loop Header: Depth=1
	ds_load_2addr_b64 v[225:228], v217 offset1:1
	s_waitcnt lgkmcnt(1)
	v_cmp_gt_f64_e32 vcc_lo, 0, v[208:209]
	v_xor_b32_e32 v229, 0x80000000, v209
	v_cmp_gt_f64_e64 s2, 0, v[210:211]
	v_xor_b32_e32 v231, 0x80000000, v211
	v_add_nc_u32_e32 v217, 16, v217
	s_waitcnt lgkmcnt(0)
	v_cmp_gt_f64_e64 s3, 0, v[225:226]
	v_mov_b32_e32 v233, v225
	v_dual_mov_b32 v235, v227 :: v_dual_cndmask_b32 v230, v209, v229
	v_xor_b32_e32 v229, 0x80000000, v226
	v_cndmask_b32_e64 v232, v211, v231, s2
	v_xor_b32_e32 v231, 0x80000000, v228
	s_delay_alu instid0(VALU_DEP_3) | instskip(SKIP_2) | instid1(VALU_DEP_2)
	v_cndmask_b32_e64 v234, v226, v229, s3
	v_cmp_gt_f64_e64 s3, 0, v[227:228]
	v_cndmask_b32_e32 v229, v208, v208, vcc_lo
	v_cndmask_b32_e64 v236, v228, v231, s3
	v_cndmask_b32_e64 v231, v210, v210, s2
	s_delay_alu instid0(VALU_DEP_2) | instskip(NEXT) | instid1(VALU_DEP_2)
	v_add_f64 v[233:234], v[233:234], v[235:236]
	v_add_f64 v[229:230], v[229:230], v[231:232]
	s_delay_alu instid0(VALU_DEP_1) | instskip(SKIP_4) | instid1(SALU_CYCLE_1)
	v_cmp_lt_f64_e32 vcc_lo, v[229:230], v[233:234]
	v_dual_cndmask_b32 v210, v210, v227 :: v_dual_cndmask_b32 v209, v209, v226
	v_dual_cndmask_b32 v208, v208, v225 :: v_dual_cndmask_b32 v211, v211, v228
	v_cndmask_b32_e64 v216, v216, s6, vcc_lo
	s_add_i32 s6, s6, 1
	s_cmp_lg_u32 s5, s6
	s_cbranch_scc1 .LBB102_610
.LBB102_611:
	s_set_inst_prefetch_distance 0x2
	s_waitcnt lgkmcnt(0)
	v_cmp_eq_f64_e32 vcc_lo, 0, v[208:209]
	v_cmp_eq_f64_e64 s2, 0, v[210:211]
	s_delay_alu instid0(VALU_DEP_1) | instskip(NEXT) | instid1(SALU_CYCLE_1)
	s_and_b32 s2, vcc_lo, s2
	s_and_saveexec_b32 s3, s2
	s_delay_alu instid0(SALU_CYCLE_1)
	s_xor_b32 s2, exec_lo, s3
; %bb.612:
	v_cmp_ne_u32_e32 vcc_lo, 0, v221
	v_cndmask_b32_e32 v221, 30, v221, vcc_lo
; %bb.613:
	s_and_not1_saveexec_b32 s3, s2
	s_cbranch_execz .LBB102_619
; %bb.614:
	v_cmp_gt_f64_e32 vcc_lo, 0, v[208:209]
	v_cmp_gt_f64_e64 s2, 0, v[210:211]
	v_xor_b32_e32 v217, 0x80000000, v209
	v_xor_b32_e32 v225, 0x80000000, v211
	s_delay_alu instid0(VALU_DEP_2) | instskip(NEXT) | instid1(VALU_DEP_2)
	v_cndmask_b32_e32 v226, v209, v217, vcc_lo
	v_cndmask_b32_e64 v228, v211, v225, s2
	v_cndmask_b32_e32 v225, v208, v208, vcc_lo
	v_cndmask_b32_e64 v227, v210, v210, s2
	s_mov_b32 s2, exec_lo
	s_delay_alu instid0(VALU_DEP_1)
	v_cmpx_ngt_f64_e32 v[225:226], v[227:228]
	s_xor_b32 s2, exec_lo, s2
	s_cbranch_execz .LBB102_616
; %bb.615:
	v_div_scale_f64 v[225:226], null, v[210:211], v[210:211], v[208:209]
	v_div_scale_f64 v[231:232], vcc_lo, v[208:209], v[210:211], v[208:209]
	s_delay_alu instid0(VALU_DEP_2) | instskip(SKIP_2) | instid1(VALU_DEP_1)
	v_rcp_f64_e32 v[227:228], v[225:226]
	s_waitcnt_depctr 0xfff
	v_fma_f64 v[229:230], -v[225:226], v[227:228], 1.0
	v_fma_f64 v[227:228], v[227:228], v[229:230], v[227:228]
	s_delay_alu instid0(VALU_DEP_1) | instskip(NEXT) | instid1(VALU_DEP_1)
	v_fma_f64 v[229:230], -v[225:226], v[227:228], 1.0
	v_fma_f64 v[227:228], v[227:228], v[229:230], v[227:228]
	s_delay_alu instid0(VALU_DEP_1) | instskip(NEXT) | instid1(VALU_DEP_1)
	v_mul_f64 v[229:230], v[231:232], v[227:228]
	v_fma_f64 v[225:226], -v[225:226], v[229:230], v[231:232]
	s_delay_alu instid0(VALU_DEP_1) | instskip(NEXT) | instid1(VALU_DEP_1)
	v_div_fmas_f64 v[225:226], v[225:226], v[227:228], v[229:230]
	v_div_fixup_f64 v[225:226], v[225:226], v[210:211], v[208:209]
	s_delay_alu instid0(VALU_DEP_1) | instskip(NEXT) | instid1(VALU_DEP_1)
	v_fma_f64 v[208:209], v[208:209], v[225:226], v[210:211]
	v_div_scale_f64 v[210:211], null, v[208:209], v[208:209], 1.0
	s_delay_alu instid0(VALU_DEP_1) | instskip(SKIP_2) | instid1(VALU_DEP_1)
	v_rcp_f64_e32 v[227:228], v[210:211]
	s_waitcnt_depctr 0xfff
	v_fma_f64 v[229:230], -v[210:211], v[227:228], 1.0
	v_fma_f64 v[227:228], v[227:228], v[229:230], v[227:228]
	s_delay_alu instid0(VALU_DEP_1) | instskip(NEXT) | instid1(VALU_DEP_1)
	v_fma_f64 v[229:230], -v[210:211], v[227:228], 1.0
	v_fma_f64 v[227:228], v[227:228], v[229:230], v[227:228]
	v_div_scale_f64 v[229:230], vcc_lo, 1.0, v[208:209], 1.0
	s_delay_alu instid0(VALU_DEP_1) | instskip(NEXT) | instid1(VALU_DEP_1)
	v_mul_f64 v[231:232], v[229:230], v[227:228]
	v_fma_f64 v[210:211], -v[210:211], v[231:232], v[229:230]
	s_delay_alu instid0(VALU_DEP_1) | instskip(NEXT) | instid1(VALU_DEP_1)
	v_div_fmas_f64 v[210:211], v[210:211], v[227:228], v[231:232]
	v_div_fixup_f64 v[210:211], v[210:211], v[208:209], 1.0
	s_delay_alu instid0(VALU_DEP_1)
	v_mul_f64 v[208:209], v[225:226], v[210:211]
	v_xor_b32_e32 v211, 0x80000000, v211
.LBB102_616:
	s_and_not1_saveexec_b32 s2, s2
	s_cbranch_execz .LBB102_618
; %bb.617:
	s_delay_alu instid0(VALU_DEP_1) | instskip(SKIP_1) | instid1(VALU_DEP_2)
	v_div_scale_f64 v[225:226], null, v[208:209], v[208:209], v[210:211]
	v_div_scale_f64 v[231:232], vcc_lo, v[210:211], v[208:209], v[210:211]
	v_rcp_f64_e32 v[227:228], v[225:226]
	s_waitcnt_depctr 0xfff
	v_fma_f64 v[229:230], -v[225:226], v[227:228], 1.0
	s_delay_alu instid0(VALU_DEP_1) | instskip(NEXT) | instid1(VALU_DEP_1)
	v_fma_f64 v[227:228], v[227:228], v[229:230], v[227:228]
	v_fma_f64 v[229:230], -v[225:226], v[227:228], 1.0
	s_delay_alu instid0(VALU_DEP_1) | instskip(NEXT) | instid1(VALU_DEP_1)
	v_fma_f64 v[227:228], v[227:228], v[229:230], v[227:228]
	v_mul_f64 v[229:230], v[231:232], v[227:228]
	s_delay_alu instid0(VALU_DEP_1) | instskip(NEXT) | instid1(VALU_DEP_1)
	v_fma_f64 v[225:226], -v[225:226], v[229:230], v[231:232]
	v_div_fmas_f64 v[225:226], v[225:226], v[227:228], v[229:230]
	s_delay_alu instid0(VALU_DEP_1) | instskip(NEXT) | instid1(VALU_DEP_1)
	v_div_fixup_f64 v[225:226], v[225:226], v[208:209], v[210:211]
	v_fma_f64 v[208:209], v[210:211], v[225:226], v[208:209]
	s_delay_alu instid0(VALU_DEP_1) | instskip(NEXT) | instid1(VALU_DEP_1)
	v_div_scale_f64 v[210:211], null, v[208:209], v[208:209], 1.0
	v_rcp_f64_e32 v[227:228], v[210:211]
	s_waitcnt_depctr 0xfff
	v_fma_f64 v[229:230], -v[210:211], v[227:228], 1.0
	s_delay_alu instid0(VALU_DEP_1) | instskip(NEXT) | instid1(VALU_DEP_1)
	v_fma_f64 v[227:228], v[227:228], v[229:230], v[227:228]
	v_fma_f64 v[229:230], -v[210:211], v[227:228], 1.0
	s_delay_alu instid0(VALU_DEP_1) | instskip(SKIP_1) | instid1(VALU_DEP_1)
	v_fma_f64 v[227:228], v[227:228], v[229:230], v[227:228]
	v_div_scale_f64 v[229:230], vcc_lo, 1.0, v[208:209], 1.0
	v_mul_f64 v[231:232], v[229:230], v[227:228]
	s_delay_alu instid0(VALU_DEP_1) | instskip(NEXT) | instid1(VALU_DEP_1)
	v_fma_f64 v[210:211], -v[210:211], v[231:232], v[229:230]
	v_div_fmas_f64 v[210:211], v[210:211], v[227:228], v[231:232]
	s_delay_alu instid0(VALU_DEP_1) | instskip(NEXT) | instid1(VALU_DEP_1)
	v_div_fixup_f64 v[208:209], v[210:211], v[208:209], 1.0
	v_mul_f64 v[210:211], v[225:226], -v[208:209]
.LBB102_618:
	s_or_b32 exec_lo, exec_lo, s2
.LBB102_619:
	s_delay_alu instid0(SALU_CYCLE_1) | instskip(NEXT) | instid1(SALU_CYCLE_1)
	s_or_b32 exec_lo, exec_lo, s3
	s_mov_b32 s2, exec_lo
	v_cmpx_ne_u32_e64 v224, v216
	s_xor_b32 s2, exec_lo, s2
	s_cbranch_execz .LBB102_625
; %bb.620:
	s_mov_b32 s3, exec_lo
	v_cmpx_eq_u32_e32 29, v224
	s_cbranch_execz .LBB102_624
; %bb.621:
	v_cmp_ne_u32_e32 vcc_lo, 29, v216
	s_xor_b32 s6, s4, -1
	s_delay_alu instid0(SALU_CYCLE_1) | instskip(NEXT) | instid1(SALU_CYCLE_1)
	s_and_b32 s7, s6, vcc_lo
	s_and_saveexec_b32 s6, s7
	s_cbranch_execz .LBB102_623
; %bb.622:
	v_ashrrev_i32_e32 v217, 31, v216
	s_delay_alu instid0(VALU_DEP_1) | instskip(NEXT) | instid1(VALU_DEP_1)
	v_lshlrev_b64 v[223:224], 2, v[216:217]
	v_add_co_u32 v223, vcc_lo, v214, v223
	s_delay_alu instid0(VALU_DEP_2)
	v_add_co_ci_u32_e32 v224, vcc_lo, v215, v224, vcc_lo
	s_clause 0x1
	flat_load_b32 v217, v[223:224]
	flat_load_b32 v225, v[214:215] offset:116
	s_waitcnt vmcnt(1) lgkmcnt(1)
	flat_store_b32 v[214:215], v217 offset:116
	s_waitcnt vmcnt(0) lgkmcnt(1)
	flat_store_b32 v[223:224], v225
.LBB102_623:
	s_or_b32 exec_lo, exec_lo, s6
	v_mov_b32_e32 v224, v216
	v_mov_b32_e32 v223, v216
.LBB102_624:
	s_or_b32 exec_lo, exec_lo, s3
.LBB102_625:
	s_and_not1_saveexec_b32 s2, s2
	s_cbranch_execz .LBB102_627
; %bb.626:
	v_mov_b32_e32 v224, 29
	ds_store_2addr_b64 v218, v[84:85], v[86:87] offset0:60 offset1:61
	ds_store_2addr_b64 v218, v[80:81], v[82:83] offset0:62 offset1:63
	;; [unrolled: 1-line block ×22, first 2 shown]
.LBB102_627:
	s_or_b32 exec_lo, exec_lo, s2
	s_delay_alu instid0(SALU_CYCLE_1)
	s_mov_b32 s2, exec_lo
	s_waitcnt lgkmcnt(0)
	s_waitcnt_vscnt null, 0x0
	s_barrier
	buffer_gl0_inv
	v_cmpx_lt_i32_e32 29, v224
	s_cbranch_execz .LBB102_629
; %bb.628:
	v_mul_f64 v[216:217], v[210:211], v[90:91]
	v_mul_f64 v[90:91], v[208:209], v[90:91]
	s_delay_alu instid0(VALU_DEP_2) | instskip(NEXT) | instid1(VALU_DEP_2)
	v_fma_f64 v[216:217], v[208:209], v[88:89], -v[216:217]
	v_fma_f64 v[90:91], v[210:211], v[88:89], v[90:91]
	ds_load_2addr_b64 v[208:211], v218 offset0:60 offset1:61
	s_waitcnt lgkmcnt(0)
	v_mul_f64 v[88:89], v[210:211], v[90:91]
	s_delay_alu instid0(VALU_DEP_1) | instskip(SKIP_1) | instid1(VALU_DEP_2)
	v_fma_f64 v[88:89], v[208:209], v[216:217], -v[88:89]
	v_mul_f64 v[208:209], v[208:209], v[90:91]
	v_add_f64 v[84:85], v[84:85], -v[88:89]
	s_delay_alu instid0(VALU_DEP_2) | instskip(NEXT) | instid1(VALU_DEP_1)
	v_fma_f64 v[208:209], v[210:211], v[216:217], v[208:209]
	v_add_f64 v[86:87], v[86:87], -v[208:209]
	ds_load_2addr_b64 v[208:211], v218 offset0:62 offset1:63
	s_waitcnt lgkmcnt(0)
	v_mul_f64 v[88:89], v[210:211], v[90:91]
	s_delay_alu instid0(VALU_DEP_1) | instskip(SKIP_1) | instid1(VALU_DEP_2)
	v_fma_f64 v[88:89], v[208:209], v[216:217], -v[88:89]
	v_mul_f64 v[208:209], v[208:209], v[90:91]
	v_add_f64 v[80:81], v[80:81], -v[88:89]
	s_delay_alu instid0(VALU_DEP_2) | instskip(NEXT) | instid1(VALU_DEP_1)
	v_fma_f64 v[208:209], v[210:211], v[216:217], v[208:209]
	v_add_f64 v[82:83], v[82:83], -v[208:209]
	;; [unrolled: 10-line block ×21, first 2 shown]
	ds_load_2addr_b64 v[208:211], v218 offset0:102 offset1:103
	s_waitcnt lgkmcnt(0)
	v_mul_f64 v[88:89], v[210:211], v[90:91]
	s_delay_alu instid0(VALU_DEP_1) | instskip(SKIP_1) | instid1(VALU_DEP_2)
	v_fma_f64 v[88:89], v[208:209], v[216:217], -v[88:89]
	v_mul_f64 v[208:209], v[208:209], v[90:91]
	v_add_f64 v[0:1], v[0:1], -v[88:89]
	s_delay_alu instid0(VALU_DEP_2) | instskip(SKIP_1) | instid1(VALU_DEP_2)
	v_fma_f64 v[208:209], v[210:211], v[216:217], v[208:209]
	v_dual_mov_b32 v88, v216 :: v_dual_mov_b32 v89, v217
	v_add_f64 v[2:3], v[2:3], -v[208:209]
.LBB102_629:
	s_or_b32 exec_lo, exec_lo, s2
	v_lshl_add_u32 v208, v224, 4, v218
	s_barrier
	buffer_gl0_inv
	v_mov_b32_e32 v216, 30
	ds_store_2addr_b64 v208, v[84:85], v[86:87] offset1:1
	s_waitcnt lgkmcnt(0)
	s_barrier
	buffer_gl0_inv
	ds_load_2addr_b64 v[208:211], v218 offset0:60 offset1:61
	s_cmp_lt_i32 s5, 32
	s_cbranch_scc1 .LBB102_632
; %bb.630:
	v_add3_u32 v217, v222, 0, 0x1f0
	v_mov_b32_e32 v216, 30
	s_mov_b32 s6, 31
	s_set_inst_prefetch_distance 0x1
	.p2align	6
.LBB102_631:                            ; =>This Inner Loop Header: Depth=1
	ds_load_2addr_b64 v[225:228], v217 offset1:1
	s_waitcnt lgkmcnt(1)
	v_cmp_gt_f64_e32 vcc_lo, 0, v[208:209]
	v_xor_b32_e32 v229, 0x80000000, v209
	v_cmp_gt_f64_e64 s2, 0, v[210:211]
	v_xor_b32_e32 v231, 0x80000000, v211
	v_add_nc_u32_e32 v217, 16, v217
	s_waitcnt lgkmcnt(0)
	v_cmp_gt_f64_e64 s3, 0, v[225:226]
	v_mov_b32_e32 v233, v225
	v_dual_mov_b32 v235, v227 :: v_dual_cndmask_b32 v230, v209, v229
	v_xor_b32_e32 v229, 0x80000000, v226
	v_cndmask_b32_e64 v232, v211, v231, s2
	v_xor_b32_e32 v231, 0x80000000, v228
	s_delay_alu instid0(VALU_DEP_3) | instskip(SKIP_2) | instid1(VALU_DEP_2)
	v_cndmask_b32_e64 v234, v226, v229, s3
	v_cmp_gt_f64_e64 s3, 0, v[227:228]
	v_cndmask_b32_e32 v229, v208, v208, vcc_lo
	v_cndmask_b32_e64 v236, v228, v231, s3
	v_cndmask_b32_e64 v231, v210, v210, s2
	s_delay_alu instid0(VALU_DEP_2) | instskip(NEXT) | instid1(VALU_DEP_2)
	v_add_f64 v[233:234], v[233:234], v[235:236]
	v_add_f64 v[229:230], v[229:230], v[231:232]
	s_delay_alu instid0(VALU_DEP_1) | instskip(SKIP_4) | instid1(SALU_CYCLE_1)
	v_cmp_lt_f64_e32 vcc_lo, v[229:230], v[233:234]
	v_dual_cndmask_b32 v210, v210, v227 :: v_dual_cndmask_b32 v209, v209, v226
	v_dual_cndmask_b32 v208, v208, v225 :: v_dual_cndmask_b32 v211, v211, v228
	v_cndmask_b32_e64 v216, v216, s6, vcc_lo
	s_add_i32 s6, s6, 1
	s_cmp_lg_u32 s5, s6
	s_cbranch_scc1 .LBB102_631
.LBB102_632:
	s_set_inst_prefetch_distance 0x2
	s_waitcnt lgkmcnt(0)
	v_cmp_eq_f64_e32 vcc_lo, 0, v[208:209]
	v_cmp_eq_f64_e64 s2, 0, v[210:211]
	s_delay_alu instid0(VALU_DEP_1) | instskip(NEXT) | instid1(SALU_CYCLE_1)
	s_and_b32 s2, vcc_lo, s2
	s_and_saveexec_b32 s3, s2
	s_delay_alu instid0(SALU_CYCLE_1)
	s_xor_b32 s2, exec_lo, s3
; %bb.633:
	v_cmp_ne_u32_e32 vcc_lo, 0, v221
	v_cndmask_b32_e32 v221, 31, v221, vcc_lo
; %bb.634:
	s_and_not1_saveexec_b32 s3, s2
	s_cbranch_execz .LBB102_640
; %bb.635:
	v_cmp_gt_f64_e32 vcc_lo, 0, v[208:209]
	v_cmp_gt_f64_e64 s2, 0, v[210:211]
	v_xor_b32_e32 v217, 0x80000000, v209
	v_xor_b32_e32 v225, 0x80000000, v211
	s_delay_alu instid0(VALU_DEP_2) | instskip(NEXT) | instid1(VALU_DEP_2)
	v_cndmask_b32_e32 v226, v209, v217, vcc_lo
	v_cndmask_b32_e64 v228, v211, v225, s2
	v_cndmask_b32_e32 v225, v208, v208, vcc_lo
	v_cndmask_b32_e64 v227, v210, v210, s2
	s_mov_b32 s2, exec_lo
	s_delay_alu instid0(VALU_DEP_1)
	v_cmpx_ngt_f64_e32 v[225:226], v[227:228]
	s_xor_b32 s2, exec_lo, s2
	s_cbranch_execz .LBB102_637
; %bb.636:
	v_div_scale_f64 v[225:226], null, v[210:211], v[210:211], v[208:209]
	v_div_scale_f64 v[231:232], vcc_lo, v[208:209], v[210:211], v[208:209]
	s_delay_alu instid0(VALU_DEP_2) | instskip(SKIP_2) | instid1(VALU_DEP_1)
	v_rcp_f64_e32 v[227:228], v[225:226]
	s_waitcnt_depctr 0xfff
	v_fma_f64 v[229:230], -v[225:226], v[227:228], 1.0
	v_fma_f64 v[227:228], v[227:228], v[229:230], v[227:228]
	s_delay_alu instid0(VALU_DEP_1) | instskip(NEXT) | instid1(VALU_DEP_1)
	v_fma_f64 v[229:230], -v[225:226], v[227:228], 1.0
	v_fma_f64 v[227:228], v[227:228], v[229:230], v[227:228]
	s_delay_alu instid0(VALU_DEP_1) | instskip(NEXT) | instid1(VALU_DEP_1)
	v_mul_f64 v[229:230], v[231:232], v[227:228]
	v_fma_f64 v[225:226], -v[225:226], v[229:230], v[231:232]
	s_delay_alu instid0(VALU_DEP_1) | instskip(NEXT) | instid1(VALU_DEP_1)
	v_div_fmas_f64 v[225:226], v[225:226], v[227:228], v[229:230]
	v_div_fixup_f64 v[225:226], v[225:226], v[210:211], v[208:209]
	s_delay_alu instid0(VALU_DEP_1) | instskip(NEXT) | instid1(VALU_DEP_1)
	v_fma_f64 v[208:209], v[208:209], v[225:226], v[210:211]
	v_div_scale_f64 v[210:211], null, v[208:209], v[208:209], 1.0
	s_delay_alu instid0(VALU_DEP_1) | instskip(SKIP_2) | instid1(VALU_DEP_1)
	v_rcp_f64_e32 v[227:228], v[210:211]
	s_waitcnt_depctr 0xfff
	v_fma_f64 v[229:230], -v[210:211], v[227:228], 1.0
	v_fma_f64 v[227:228], v[227:228], v[229:230], v[227:228]
	s_delay_alu instid0(VALU_DEP_1) | instskip(NEXT) | instid1(VALU_DEP_1)
	v_fma_f64 v[229:230], -v[210:211], v[227:228], 1.0
	v_fma_f64 v[227:228], v[227:228], v[229:230], v[227:228]
	v_div_scale_f64 v[229:230], vcc_lo, 1.0, v[208:209], 1.0
	s_delay_alu instid0(VALU_DEP_1) | instskip(NEXT) | instid1(VALU_DEP_1)
	v_mul_f64 v[231:232], v[229:230], v[227:228]
	v_fma_f64 v[210:211], -v[210:211], v[231:232], v[229:230]
	s_delay_alu instid0(VALU_DEP_1) | instskip(NEXT) | instid1(VALU_DEP_1)
	v_div_fmas_f64 v[210:211], v[210:211], v[227:228], v[231:232]
	v_div_fixup_f64 v[210:211], v[210:211], v[208:209], 1.0
	s_delay_alu instid0(VALU_DEP_1)
	v_mul_f64 v[208:209], v[225:226], v[210:211]
	v_xor_b32_e32 v211, 0x80000000, v211
.LBB102_637:
	s_and_not1_saveexec_b32 s2, s2
	s_cbranch_execz .LBB102_639
; %bb.638:
	s_delay_alu instid0(VALU_DEP_1) | instskip(SKIP_1) | instid1(VALU_DEP_2)
	v_div_scale_f64 v[225:226], null, v[208:209], v[208:209], v[210:211]
	v_div_scale_f64 v[231:232], vcc_lo, v[210:211], v[208:209], v[210:211]
	v_rcp_f64_e32 v[227:228], v[225:226]
	s_waitcnt_depctr 0xfff
	v_fma_f64 v[229:230], -v[225:226], v[227:228], 1.0
	s_delay_alu instid0(VALU_DEP_1) | instskip(NEXT) | instid1(VALU_DEP_1)
	v_fma_f64 v[227:228], v[227:228], v[229:230], v[227:228]
	v_fma_f64 v[229:230], -v[225:226], v[227:228], 1.0
	s_delay_alu instid0(VALU_DEP_1) | instskip(NEXT) | instid1(VALU_DEP_1)
	v_fma_f64 v[227:228], v[227:228], v[229:230], v[227:228]
	v_mul_f64 v[229:230], v[231:232], v[227:228]
	s_delay_alu instid0(VALU_DEP_1) | instskip(NEXT) | instid1(VALU_DEP_1)
	v_fma_f64 v[225:226], -v[225:226], v[229:230], v[231:232]
	v_div_fmas_f64 v[225:226], v[225:226], v[227:228], v[229:230]
	s_delay_alu instid0(VALU_DEP_1) | instskip(NEXT) | instid1(VALU_DEP_1)
	v_div_fixup_f64 v[225:226], v[225:226], v[208:209], v[210:211]
	v_fma_f64 v[208:209], v[210:211], v[225:226], v[208:209]
	s_delay_alu instid0(VALU_DEP_1) | instskip(NEXT) | instid1(VALU_DEP_1)
	v_div_scale_f64 v[210:211], null, v[208:209], v[208:209], 1.0
	v_rcp_f64_e32 v[227:228], v[210:211]
	s_waitcnt_depctr 0xfff
	v_fma_f64 v[229:230], -v[210:211], v[227:228], 1.0
	s_delay_alu instid0(VALU_DEP_1) | instskip(NEXT) | instid1(VALU_DEP_1)
	v_fma_f64 v[227:228], v[227:228], v[229:230], v[227:228]
	v_fma_f64 v[229:230], -v[210:211], v[227:228], 1.0
	s_delay_alu instid0(VALU_DEP_1) | instskip(SKIP_1) | instid1(VALU_DEP_1)
	v_fma_f64 v[227:228], v[227:228], v[229:230], v[227:228]
	v_div_scale_f64 v[229:230], vcc_lo, 1.0, v[208:209], 1.0
	v_mul_f64 v[231:232], v[229:230], v[227:228]
	s_delay_alu instid0(VALU_DEP_1) | instskip(NEXT) | instid1(VALU_DEP_1)
	v_fma_f64 v[210:211], -v[210:211], v[231:232], v[229:230]
	v_div_fmas_f64 v[210:211], v[210:211], v[227:228], v[231:232]
	s_delay_alu instid0(VALU_DEP_1) | instskip(NEXT) | instid1(VALU_DEP_1)
	v_div_fixup_f64 v[208:209], v[210:211], v[208:209], 1.0
	v_mul_f64 v[210:211], v[225:226], -v[208:209]
.LBB102_639:
	s_or_b32 exec_lo, exec_lo, s2
.LBB102_640:
	s_delay_alu instid0(SALU_CYCLE_1) | instskip(NEXT) | instid1(SALU_CYCLE_1)
	s_or_b32 exec_lo, exec_lo, s3
	s_mov_b32 s2, exec_lo
	v_cmpx_ne_u32_e64 v224, v216
	s_xor_b32 s2, exec_lo, s2
	s_cbranch_execz .LBB102_646
; %bb.641:
	s_mov_b32 s3, exec_lo
	v_cmpx_eq_u32_e32 30, v224
	s_cbranch_execz .LBB102_645
; %bb.642:
	v_cmp_ne_u32_e32 vcc_lo, 30, v216
	s_xor_b32 s6, s4, -1
	s_delay_alu instid0(SALU_CYCLE_1) | instskip(NEXT) | instid1(SALU_CYCLE_1)
	s_and_b32 s7, s6, vcc_lo
	s_and_saveexec_b32 s6, s7
	s_cbranch_execz .LBB102_644
; %bb.643:
	v_ashrrev_i32_e32 v217, 31, v216
	s_delay_alu instid0(VALU_DEP_1) | instskip(NEXT) | instid1(VALU_DEP_1)
	v_lshlrev_b64 v[223:224], 2, v[216:217]
	v_add_co_u32 v223, vcc_lo, v214, v223
	s_delay_alu instid0(VALU_DEP_2)
	v_add_co_ci_u32_e32 v224, vcc_lo, v215, v224, vcc_lo
	s_clause 0x1
	flat_load_b32 v217, v[223:224]
	flat_load_b32 v225, v[214:215] offset:120
	s_waitcnt vmcnt(1) lgkmcnt(1)
	flat_store_b32 v[214:215], v217 offset:120
	s_waitcnt vmcnt(0) lgkmcnt(1)
	flat_store_b32 v[223:224], v225
.LBB102_644:
	s_or_b32 exec_lo, exec_lo, s6
	v_mov_b32_e32 v224, v216
	v_mov_b32_e32 v223, v216
.LBB102_645:
	s_or_b32 exec_lo, exec_lo, s3
.LBB102_646:
	s_and_not1_saveexec_b32 s2, s2
	s_cbranch_execz .LBB102_648
; %bb.647:
	v_mov_b32_e32 v224, 30
	ds_store_2addr_b64 v218, v[80:81], v[82:83] offset0:62 offset1:63
	ds_store_2addr_b64 v218, v[76:77], v[78:79] offset0:64 offset1:65
	;; [unrolled: 1-line block ×21, first 2 shown]
.LBB102_648:
	s_or_b32 exec_lo, exec_lo, s2
	s_delay_alu instid0(SALU_CYCLE_1)
	s_mov_b32 s2, exec_lo
	s_waitcnt lgkmcnt(0)
	s_waitcnt_vscnt null, 0x0
	s_barrier
	buffer_gl0_inv
	v_cmpx_lt_i32_e32 30, v224
	s_cbranch_execz .LBB102_650
; %bb.649:
	v_mul_f64 v[216:217], v[210:211], v[86:87]
	v_mul_f64 v[86:87], v[208:209], v[86:87]
	s_delay_alu instid0(VALU_DEP_2) | instskip(NEXT) | instid1(VALU_DEP_2)
	v_fma_f64 v[216:217], v[208:209], v[84:85], -v[216:217]
	v_fma_f64 v[86:87], v[210:211], v[84:85], v[86:87]
	ds_load_2addr_b64 v[208:211], v218 offset0:62 offset1:63
	s_waitcnt lgkmcnt(0)
	v_mul_f64 v[84:85], v[210:211], v[86:87]
	s_delay_alu instid0(VALU_DEP_1) | instskip(SKIP_1) | instid1(VALU_DEP_2)
	v_fma_f64 v[84:85], v[208:209], v[216:217], -v[84:85]
	v_mul_f64 v[208:209], v[208:209], v[86:87]
	v_add_f64 v[80:81], v[80:81], -v[84:85]
	s_delay_alu instid0(VALU_DEP_2) | instskip(NEXT) | instid1(VALU_DEP_1)
	v_fma_f64 v[208:209], v[210:211], v[216:217], v[208:209]
	v_add_f64 v[82:83], v[82:83], -v[208:209]
	ds_load_2addr_b64 v[208:211], v218 offset0:64 offset1:65
	s_waitcnt lgkmcnt(0)
	v_mul_f64 v[84:85], v[210:211], v[86:87]
	s_delay_alu instid0(VALU_DEP_1) | instskip(SKIP_1) | instid1(VALU_DEP_2)
	v_fma_f64 v[84:85], v[208:209], v[216:217], -v[84:85]
	v_mul_f64 v[208:209], v[208:209], v[86:87]
	v_add_f64 v[76:77], v[76:77], -v[84:85]
	s_delay_alu instid0(VALU_DEP_2) | instskip(NEXT) | instid1(VALU_DEP_1)
	v_fma_f64 v[208:209], v[210:211], v[216:217], v[208:209]
	v_add_f64 v[78:79], v[78:79], -v[208:209]
	;; [unrolled: 10-line block ×20, first 2 shown]
	ds_load_2addr_b64 v[208:211], v218 offset0:102 offset1:103
	s_waitcnt lgkmcnt(0)
	v_mul_f64 v[84:85], v[210:211], v[86:87]
	s_delay_alu instid0(VALU_DEP_1) | instskip(SKIP_1) | instid1(VALU_DEP_2)
	v_fma_f64 v[84:85], v[208:209], v[216:217], -v[84:85]
	v_mul_f64 v[208:209], v[208:209], v[86:87]
	v_add_f64 v[0:1], v[0:1], -v[84:85]
	s_delay_alu instid0(VALU_DEP_2) | instskip(SKIP_1) | instid1(VALU_DEP_2)
	v_fma_f64 v[208:209], v[210:211], v[216:217], v[208:209]
	v_dual_mov_b32 v84, v216 :: v_dual_mov_b32 v85, v217
	v_add_f64 v[2:3], v[2:3], -v[208:209]
.LBB102_650:
	s_or_b32 exec_lo, exec_lo, s2
	v_lshl_add_u32 v208, v224, 4, v218
	s_barrier
	buffer_gl0_inv
	v_mov_b32_e32 v216, 31
	ds_store_2addr_b64 v208, v[80:81], v[82:83] offset1:1
	s_waitcnt lgkmcnt(0)
	s_barrier
	buffer_gl0_inv
	ds_load_2addr_b64 v[208:211], v218 offset0:62 offset1:63
	s_cmp_lt_i32 s5, 33
	s_cbranch_scc1 .LBB102_653
; %bb.651:
	v_add3_u32 v217, v222, 0, 0x200
	v_mov_b32_e32 v216, 31
	s_mov_b32 s6, 32
	s_set_inst_prefetch_distance 0x1
	.p2align	6
.LBB102_652:                            ; =>This Inner Loop Header: Depth=1
	ds_load_2addr_b64 v[225:228], v217 offset1:1
	s_waitcnt lgkmcnt(1)
	v_cmp_gt_f64_e32 vcc_lo, 0, v[208:209]
	v_xor_b32_e32 v229, 0x80000000, v209
	v_cmp_gt_f64_e64 s2, 0, v[210:211]
	v_xor_b32_e32 v231, 0x80000000, v211
	v_add_nc_u32_e32 v217, 16, v217
	s_waitcnt lgkmcnt(0)
	v_cmp_gt_f64_e64 s3, 0, v[225:226]
	v_mov_b32_e32 v233, v225
	v_dual_mov_b32 v235, v227 :: v_dual_cndmask_b32 v230, v209, v229
	v_xor_b32_e32 v229, 0x80000000, v226
	v_cndmask_b32_e64 v232, v211, v231, s2
	v_xor_b32_e32 v231, 0x80000000, v228
	s_delay_alu instid0(VALU_DEP_3) | instskip(SKIP_2) | instid1(VALU_DEP_2)
	v_cndmask_b32_e64 v234, v226, v229, s3
	v_cmp_gt_f64_e64 s3, 0, v[227:228]
	v_cndmask_b32_e32 v229, v208, v208, vcc_lo
	v_cndmask_b32_e64 v236, v228, v231, s3
	v_cndmask_b32_e64 v231, v210, v210, s2
	s_delay_alu instid0(VALU_DEP_2) | instskip(NEXT) | instid1(VALU_DEP_2)
	v_add_f64 v[233:234], v[233:234], v[235:236]
	v_add_f64 v[229:230], v[229:230], v[231:232]
	s_delay_alu instid0(VALU_DEP_1) | instskip(SKIP_4) | instid1(SALU_CYCLE_1)
	v_cmp_lt_f64_e32 vcc_lo, v[229:230], v[233:234]
	v_dual_cndmask_b32 v210, v210, v227 :: v_dual_cndmask_b32 v209, v209, v226
	v_dual_cndmask_b32 v208, v208, v225 :: v_dual_cndmask_b32 v211, v211, v228
	v_cndmask_b32_e64 v216, v216, s6, vcc_lo
	s_add_i32 s6, s6, 1
	s_cmp_lg_u32 s5, s6
	s_cbranch_scc1 .LBB102_652
.LBB102_653:
	s_set_inst_prefetch_distance 0x2
	s_waitcnt lgkmcnt(0)
	v_cmp_eq_f64_e32 vcc_lo, 0, v[208:209]
	v_cmp_eq_f64_e64 s2, 0, v[210:211]
	s_delay_alu instid0(VALU_DEP_1) | instskip(NEXT) | instid1(SALU_CYCLE_1)
	s_and_b32 s2, vcc_lo, s2
	s_and_saveexec_b32 s3, s2
	s_delay_alu instid0(SALU_CYCLE_1)
	s_xor_b32 s2, exec_lo, s3
; %bb.654:
	v_cmp_ne_u32_e32 vcc_lo, 0, v221
	v_cndmask_b32_e32 v221, 32, v221, vcc_lo
; %bb.655:
	s_and_not1_saveexec_b32 s3, s2
	s_cbranch_execz .LBB102_661
; %bb.656:
	v_cmp_gt_f64_e32 vcc_lo, 0, v[208:209]
	v_cmp_gt_f64_e64 s2, 0, v[210:211]
	v_xor_b32_e32 v217, 0x80000000, v209
	v_xor_b32_e32 v225, 0x80000000, v211
	s_delay_alu instid0(VALU_DEP_2) | instskip(NEXT) | instid1(VALU_DEP_2)
	v_cndmask_b32_e32 v226, v209, v217, vcc_lo
	v_cndmask_b32_e64 v228, v211, v225, s2
	v_cndmask_b32_e32 v225, v208, v208, vcc_lo
	v_cndmask_b32_e64 v227, v210, v210, s2
	s_mov_b32 s2, exec_lo
	s_delay_alu instid0(VALU_DEP_1)
	v_cmpx_ngt_f64_e32 v[225:226], v[227:228]
	s_xor_b32 s2, exec_lo, s2
	s_cbranch_execz .LBB102_658
; %bb.657:
	v_div_scale_f64 v[225:226], null, v[210:211], v[210:211], v[208:209]
	v_div_scale_f64 v[231:232], vcc_lo, v[208:209], v[210:211], v[208:209]
	s_delay_alu instid0(VALU_DEP_2) | instskip(SKIP_2) | instid1(VALU_DEP_1)
	v_rcp_f64_e32 v[227:228], v[225:226]
	s_waitcnt_depctr 0xfff
	v_fma_f64 v[229:230], -v[225:226], v[227:228], 1.0
	v_fma_f64 v[227:228], v[227:228], v[229:230], v[227:228]
	s_delay_alu instid0(VALU_DEP_1) | instskip(NEXT) | instid1(VALU_DEP_1)
	v_fma_f64 v[229:230], -v[225:226], v[227:228], 1.0
	v_fma_f64 v[227:228], v[227:228], v[229:230], v[227:228]
	s_delay_alu instid0(VALU_DEP_1) | instskip(NEXT) | instid1(VALU_DEP_1)
	v_mul_f64 v[229:230], v[231:232], v[227:228]
	v_fma_f64 v[225:226], -v[225:226], v[229:230], v[231:232]
	s_delay_alu instid0(VALU_DEP_1) | instskip(NEXT) | instid1(VALU_DEP_1)
	v_div_fmas_f64 v[225:226], v[225:226], v[227:228], v[229:230]
	v_div_fixup_f64 v[225:226], v[225:226], v[210:211], v[208:209]
	s_delay_alu instid0(VALU_DEP_1) | instskip(NEXT) | instid1(VALU_DEP_1)
	v_fma_f64 v[208:209], v[208:209], v[225:226], v[210:211]
	v_div_scale_f64 v[210:211], null, v[208:209], v[208:209], 1.0
	s_delay_alu instid0(VALU_DEP_1) | instskip(SKIP_2) | instid1(VALU_DEP_1)
	v_rcp_f64_e32 v[227:228], v[210:211]
	s_waitcnt_depctr 0xfff
	v_fma_f64 v[229:230], -v[210:211], v[227:228], 1.0
	v_fma_f64 v[227:228], v[227:228], v[229:230], v[227:228]
	s_delay_alu instid0(VALU_DEP_1) | instskip(NEXT) | instid1(VALU_DEP_1)
	v_fma_f64 v[229:230], -v[210:211], v[227:228], 1.0
	v_fma_f64 v[227:228], v[227:228], v[229:230], v[227:228]
	v_div_scale_f64 v[229:230], vcc_lo, 1.0, v[208:209], 1.0
	s_delay_alu instid0(VALU_DEP_1) | instskip(NEXT) | instid1(VALU_DEP_1)
	v_mul_f64 v[231:232], v[229:230], v[227:228]
	v_fma_f64 v[210:211], -v[210:211], v[231:232], v[229:230]
	s_delay_alu instid0(VALU_DEP_1) | instskip(NEXT) | instid1(VALU_DEP_1)
	v_div_fmas_f64 v[210:211], v[210:211], v[227:228], v[231:232]
	v_div_fixup_f64 v[210:211], v[210:211], v[208:209], 1.0
	s_delay_alu instid0(VALU_DEP_1)
	v_mul_f64 v[208:209], v[225:226], v[210:211]
	v_xor_b32_e32 v211, 0x80000000, v211
.LBB102_658:
	s_and_not1_saveexec_b32 s2, s2
	s_cbranch_execz .LBB102_660
; %bb.659:
	s_delay_alu instid0(VALU_DEP_1) | instskip(SKIP_1) | instid1(VALU_DEP_2)
	v_div_scale_f64 v[225:226], null, v[208:209], v[208:209], v[210:211]
	v_div_scale_f64 v[231:232], vcc_lo, v[210:211], v[208:209], v[210:211]
	v_rcp_f64_e32 v[227:228], v[225:226]
	s_waitcnt_depctr 0xfff
	v_fma_f64 v[229:230], -v[225:226], v[227:228], 1.0
	s_delay_alu instid0(VALU_DEP_1) | instskip(NEXT) | instid1(VALU_DEP_1)
	v_fma_f64 v[227:228], v[227:228], v[229:230], v[227:228]
	v_fma_f64 v[229:230], -v[225:226], v[227:228], 1.0
	s_delay_alu instid0(VALU_DEP_1) | instskip(NEXT) | instid1(VALU_DEP_1)
	v_fma_f64 v[227:228], v[227:228], v[229:230], v[227:228]
	v_mul_f64 v[229:230], v[231:232], v[227:228]
	s_delay_alu instid0(VALU_DEP_1) | instskip(NEXT) | instid1(VALU_DEP_1)
	v_fma_f64 v[225:226], -v[225:226], v[229:230], v[231:232]
	v_div_fmas_f64 v[225:226], v[225:226], v[227:228], v[229:230]
	s_delay_alu instid0(VALU_DEP_1) | instskip(NEXT) | instid1(VALU_DEP_1)
	v_div_fixup_f64 v[225:226], v[225:226], v[208:209], v[210:211]
	v_fma_f64 v[208:209], v[210:211], v[225:226], v[208:209]
	s_delay_alu instid0(VALU_DEP_1) | instskip(NEXT) | instid1(VALU_DEP_1)
	v_div_scale_f64 v[210:211], null, v[208:209], v[208:209], 1.0
	v_rcp_f64_e32 v[227:228], v[210:211]
	s_waitcnt_depctr 0xfff
	v_fma_f64 v[229:230], -v[210:211], v[227:228], 1.0
	s_delay_alu instid0(VALU_DEP_1) | instskip(NEXT) | instid1(VALU_DEP_1)
	v_fma_f64 v[227:228], v[227:228], v[229:230], v[227:228]
	v_fma_f64 v[229:230], -v[210:211], v[227:228], 1.0
	s_delay_alu instid0(VALU_DEP_1) | instskip(SKIP_1) | instid1(VALU_DEP_1)
	v_fma_f64 v[227:228], v[227:228], v[229:230], v[227:228]
	v_div_scale_f64 v[229:230], vcc_lo, 1.0, v[208:209], 1.0
	v_mul_f64 v[231:232], v[229:230], v[227:228]
	s_delay_alu instid0(VALU_DEP_1) | instskip(NEXT) | instid1(VALU_DEP_1)
	v_fma_f64 v[210:211], -v[210:211], v[231:232], v[229:230]
	v_div_fmas_f64 v[210:211], v[210:211], v[227:228], v[231:232]
	s_delay_alu instid0(VALU_DEP_1) | instskip(NEXT) | instid1(VALU_DEP_1)
	v_div_fixup_f64 v[208:209], v[210:211], v[208:209], 1.0
	v_mul_f64 v[210:211], v[225:226], -v[208:209]
.LBB102_660:
	s_or_b32 exec_lo, exec_lo, s2
.LBB102_661:
	s_delay_alu instid0(SALU_CYCLE_1) | instskip(NEXT) | instid1(SALU_CYCLE_1)
	s_or_b32 exec_lo, exec_lo, s3
	s_mov_b32 s2, exec_lo
	v_cmpx_ne_u32_e64 v224, v216
	s_xor_b32 s2, exec_lo, s2
	s_cbranch_execz .LBB102_667
; %bb.662:
	s_mov_b32 s3, exec_lo
	v_cmpx_eq_u32_e32 31, v224
	s_cbranch_execz .LBB102_666
; %bb.663:
	v_cmp_ne_u32_e32 vcc_lo, 31, v216
	s_xor_b32 s6, s4, -1
	s_delay_alu instid0(SALU_CYCLE_1) | instskip(NEXT) | instid1(SALU_CYCLE_1)
	s_and_b32 s7, s6, vcc_lo
	s_and_saveexec_b32 s6, s7
	s_cbranch_execz .LBB102_665
; %bb.664:
	v_ashrrev_i32_e32 v217, 31, v216
	s_delay_alu instid0(VALU_DEP_1) | instskip(NEXT) | instid1(VALU_DEP_1)
	v_lshlrev_b64 v[223:224], 2, v[216:217]
	v_add_co_u32 v223, vcc_lo, v214, v223
	s_delay_alu instid0(VALU_DEP_2)
	v_add_co_ci_u32_e32 v224, vcc_lo, v215, v224, vcc_lo
	s_clause 0x1
	flat_load_b32 v217, v[223:224]
	flat_load_b32 v225, v[214:215] offset:124
	s_waitcnt vmcnt(1) lgkmcnt(1)
	flat_store_b32 v[214:215], v217 offset:124
	s_waitcnt vmcnt(0) lgkmcnt(1)
	flat_store_b32 v[223:224], v225
.LBB102_665:
	s_or_b32 exec_lo, exec_lo, s6
	v_mov_b32_e32 v224, v216
	v_mov_b32_e32 v223, v216
.LBB102_666:
	s_or_b32 exec_lo, exec_lo, s3
.LBB102_667:
	s_and_not1_saveexec_b32 s2, s2
	s_cbranch_execz .LBB102_669
; %bb.668:
	v_mov_b32_e32 v224, 31
	ds_store_2addr_b64 v218, v[76:77], v[78:79] offset0:64 offset1:65
	ds_store_2addr_b64 v218, v[72:73], v[74:75] offset0:66 offset1:67
	ds_store_2addr_b64 v218, v[68:69], v[70:71] offset0:68 offset1:69
	ds_store_2addr_b64 v218, v[64:65], v[66:67] offset0:70 offset1:71
	ds_store_2addr_b64 v218, v[60:61], v[62:63] offset0:72 offset1:73
	ds_store_2addr_b64 v218, v[56:57], v[58:59] offset0:74 offset1:75
	ds_store_2addr_b64 v218, v[52:53], v[54:55] offset0:76 offset1:77
	ds_store_2addr_b64 v218, v[48:49], v[50:51] offset0:78 offset1:79
	ds_store_2addr_b64 v218, v[44:45], v[46:47] offset0:80 offset1:81
	ds_store_2addr_b64 v218, v[40:41], v[42:43] offset0:82 offset1:83
	ds_store_2addr_b64 v218, v[36:37], v[38:39] offset0:84 offset1:85
	ds_store_2addr_b64 v218, v[32:33], v[34:35] offset0:86 offset1:87
	ds_store_2addr_b64 v218, v[28:29], v[30:31] offset0:88 offset1:89
	ds_store_2addr_b64 v218, v[24:25], v[26:27] offset0:90 offset1:91
	ds_store_2addr_b64 v218, v[20:21], v[22:23] offset0:92 offset1:93
	ds_store_2addr_b64 v218, v[16:17], v[18:19] offset0:94 offset1:95
	ds_store_2addr_b64 v218, v[12:13], v[14:15] offset0:96 offset1:97
	ds_store_2addr_b64 v218, v[8:9], v[10:11] offset0:98 offset1:99
	ds_store_2addr_b64 v218, v[4:5], v[6:7] offset0:100 offset1:101
	ds_store_2addr_b64 v218, v[0:1], v[2:3] offset0:102 offset1:103
.LBB102_669:
	s_or_b32 exec_lo, exec_lo, s2
	s_delay_alu instid0(SALU_CYCLE_1)
	s_mov_b32 s2, exec_lo
	s_waitcnt lgkmcnt(0)
	s_waitcnt_vscnt null, 0x0
	s_barrier
	buffer_gl0_inv
	v_cmpx_lt_i32_e32 31, v224
	s_cbranch_execz .LBB102_671
; %bb.670:
	v_mul_f64 v[216:217], v[210:211], v[82:83]
	v_mul_f64 v[82:83], v[208:209], v[82:83]
	s_delay_alu instid0(VALU_DEP_2) | instskip(NEXT) | instid1(VALU_DEP_2)
	v_fma_f64 v[216:217], v[208:209], v[80:81], -v[216:217]
	v_fma_f64 v[82:83], v[210:211], v[80:81], v[82:83]
	ds_load_2addr_b64 v[208:211], v218 offset0:64 offset1:65
	s_waitcnt lgkmcnt(0)
	v_mul_f64 v[80:81], v[210:211], v[82:83]
	s_delay_alu instid0(VALU_DEP_1) | instskip(SKIP_1) | instid1(VALU_DEP_2)
	v_fma_f64 v[80:81], v[208:209], v[216:217], -v[80:81]
	v_mul_f64 v[208:209], v[208:209], v[82:83]
	v_add_f64 v[76:77], v[76:77], -v[80:81]
	s_delay_alu instid0(VALU_DEP_2) | instskip(NEXT) | instid1(VALU_DEP_1)
	v_fma_f64 v[208:209], v[210:211], v[216:217], v[208:209]
	v_add_f64 v[78:79], v[78:79], -v[208:209]
	ds_load_2addr_b64 v[208:211], v218 offset0:66 offset1:67
	s_waitcnt lgkmcnt(0)
	v_mul_f64 v[80:81], v[210:211], v[82:83]
	s_delay_alu instid0(VALU_DEP_1) | instskip(SKIP_1) | instid1(VALU_DEP_2)
	v_fma_f64 v[80:81], v[208:209], v[216:217], -v[80:81]
	v_mul_f64 v[208:209], v[208:209], v[82:83]
	v_add_f64 v[72:73], v[72:73], -v[80:81]
	s_delay_alu instid0(VALU_DEP_2) | instskip(NEXT) | instid1(VALU_DEP_1)
	v_fma_f64 v[208:209], v[210:211], v[216:217], v[208:209]
	v_add_f64 v[74:75], v[74:75], -v[208:209]
	;; [unrolled: 10-line block ×19, first 2 shown]
	ds_load_2addr_b64 v[208:211], v218 offset0:102 offset1:103
	s_waitcnt lgkmcnt(0)
	v_mul_f64 v[80:81], v[210:211], v[82:83]
	s_delay_alu instid0(VALU_DEP_1) | instskip(SKIP_1) | instid1(VALU_DEP_2)
	v_fma_f64 v[80:81], v[208:209], v[216:217], -v[80:81]
	v_mul_f64 v[208:209], v[208:209], v[82:83]
	v_add_f64 v[0:1], v[0:1], -v[80:81]
	s_delay_alu instid0(VALU_DEP_2) | instskip(SKIP_1) | instid1(VALU_DEP_2)
	v_fma_f64 v[208:209], v[210:211], v[216:217], v[208:209]
	v_dual_mov_b32 v80, v216 :: v_dual_mov_b32 v81, v217
	v_add_f64 v[2:3], v[2:3], -v[208:209]
.LBB102_671:
	s_or_b32 exec_lo, exec_lo, s2
	v_lshl_add_u32 v208, v224, 4, v218
	s_barrier
	buffer_gl0_inv
	v_mov_b32_e32 v216, 32
	ds_store_2addr_b64 v208, v[76:77], v[78:79] offset1:1
	s_waitcnt lgkmcnt(0)
	s_barrier
	buffer_gl0_inv
	ds_load_2addr_b64 v[208:211], v218 offset0:64 offset1:65
	s_cmp_lt_i32 s5, 34
	s_cbranch_scc1 .LBB102_674
; %bb.672:
	v_add3_u32 v217, v222, 0, 0x210
	v_mov_b32_e32 v216, 32
	s_mov_b32 s6, 33
	s_set_inst_prefetch_distance 0x1
	.p2align	6
.LBB102_673:                            ; =>This Inner Loop Header: Depth=1
	ds_load_2addr_b64 v[225:228], v217 offset1:1
	s_waitcnt lgkmcnt(1)
	v_cmp_gt_f64_e32 vcc_lo, 0, v[208:209]
	v_xor_b32_e32 v229, 0x80000000, v209
	v_cmp_gt_f64_e64 s2, 0, v[210:211]
	v_xor_b32_e32 v231, 0x80000000, v211
	v_add_nc_u32_e32 v217, 16, v217
	s_waitcnt lgkmcnt(0)
	v_cmp_gt_f64_e64 s3, 0, v[225:226]
	v_mov_b32_e32 v233, v225
	v_dual_mov_b32 v235, v227 :: v_dual_cndmask_b32 v230, v209, v229
	v_xor_b32_e32 v229, 0x80000000, v226
	v_cndmask_b32_e64 v232, v211, v231, s2
	v_xor_b32_e32 v231, 0x80000000, v228
	s_delay_alu instid0(VALU_DEP_3) | instskip(SKIP_2) | instid1(VALU_DEP_2)
	v_cndmask_b32_e64 v234, v226, v229, s3
	v_cmp_gt_f64_e64 s3, 0, v[227:228]
	v_cndmask_b32_e32 v229, v208, v208, vcc_lo
	v_cndmask_b32_e64 v236, v228, v231, s3
	v_cndmask_b32_e64 v231, v210, v210, s2
	s_delay_alu instid0(VALU_DEP_2) | instskip(NEXT) | instid1(VALU_DEP_2)
	v_add_f64 v[233:234], v[233:234], v[235:236]
	v_add_f64 v[229:230], v[229:230], v[231:232]
	s_delay_alu instid0(VALU_DEP_1) | instskip(SKIP_4) | instid1(SALU_CYCLE_1)
	v_cmp_lt_f64_e32 vcc_lo, v[229:230], v[233:234]
	v_dual_cndmask_b32 v210, v210, v227 :: v_dual_cndmask_b32 v209, v209, v226
	v_dual_cndmask_b32 v208, v208, v225 :: v_dual_cndmask_b32 v211, v211, v228
	v_cndmask_b32_e64 v216, v216, s6, vcc_lo
	s_add_i32 s6, s6, 1
	s_cmp_lg_u32 s5, s6
	s_cbranch_scc1 .LBB102_673
.LBB102_674:
	s_set_inst_prefetch_distance 0x2
	s_waitcnt lgkmcnt(0)
	v_cmp_eq_f64_e32 vcc_lo, 0, v[208:209]
	v_cmp_eq_f64_e64 s2, 0, v[210:211]
	s_delay_alu instid0(VALU_DEP_1) | instskip(NEXT) | instid1(SALU_CYCLE_1)
	s_and_b32 s2, vcc_lo, s2
	s_and_saveexec_b32 s3, s2
	s_delay_alu instid0(SALU_CYCLE_1)
	s_xor_b32 s2, exec_lo, s3
; %bb.675:
	v_cmp_ne_u32_e32 vcc_lo, 0, v221
	v_cndmask_b32_e32 v221, 33, v221, vcc_lo
; %bb.676:
	s_and_not1_saveexec_b32 s3, s2
	s_cbranch_execz .LBB102_682
; %bb.677:
	v_cmp_gt_f64_e32 vcc_lo, 0, v[208:209]
	v_cmp_gt_f64_e64 s2, 0, v[210:211]
	v_xor_b32_e32 v217, 0x80000000, v209
	v_xor_b32_e32 v225, 0x80000000, v211
	s_delay_alu instid0(VALU_DEP_2) | instskip(NEXT) | instid1(VALU_DEP_2)
	v_cndmask_b32_e32 v226, v209, v217, vcc_lo
	v_cndmask_b32_e64 v228, v211, v225, s2
	v_cndmask_b32_e32 v225, v208, v208, vcc_lo
	v_cndmask_b32_e64 v227, v210, v210, s2
	s_mov_b32 s2, exec_lo
	s_delay_alu instid0(VALU_DEP_1)
	v_cmpx_ngt_f64_e32 v[225:226], v[227:228]
	s_xor_b32 s2, exec_lo, s2
	s_cbranch_execz .LBB102_679
; %bb.678:
	v_div_scale_f64 v[225:226], null, v[210:211], v[210:211], v[208:209]
	v_div_scale_f64 v[231:232], vcc_lo, v[208:209], v[210:211], v[208:209]
	s_delay_alu instid0(VALU_DEP_2) | instskip(SKIP_2) | instid1(VALU_DEP_1)
	v_rcp_f64_e32 v[227:228], v[225:226]
	s_waitcnt_depctr 0xfff
	v_fma_f64 v[229:230], -v[225:226], v[227:228], 1.0
	v_fma_f64 v[227:228], v[227:228], v[229:230], v[227:228]
	s_delay_alu instid0(VALU_DEP_1) | instskip(NEXT) | instid1(VALU_DEP_1)
	v_fma_f64 v[229:230], -v[225:226], v[227:228], 1.0
	v_fma_f64 v[227:228], v[227:228], v[229:230], v[227:228]
	s_delay_alu instid0(VALU_DEP_1) | instskip(NEXT) | instid1(VALU_DEP_1)
	v_mul_f64 v[229:230], v[231:232], v[227:228]
	v_fma_f64 v[225:226], -v[225:226], v[229:230], v[231:232]
	s_delay_alu instid0(VALU_DEP_1) | instskip(NEXT) | instid1(VALU_DEP_1)
	v_div_fmas_f64 v[225:226], v[225:226], v[227:228], v[229:230]
	v_div_fixup_f64 v[225:226], v[225:226], v[210:211], v[208:209]
	s_delay_alu instid0(VALU_DEP_1) | instskip(NEXT) | instid1(VALU_DEP_1)
	v_fma_f64 v[208:209], v[208:209], v[225:226], v[210:211]
	v_div_scale_f64 v[210:211], null, v[208:209], v[208:209], 1.0
	s_delay_alu instid0(VALU_DEP_1) | instskip(SKIP_2) | instid1(VALU_DEP_1)
	v_rcp_f64_e32 v[227:228], v[210:211]
	s_waitcnt_depctr 0xfff
	v_fma_f64 v[229:230], -v[210:211], v[227:228], 1.0
	v_fma_f64 v[227:228], v[227:228], v[229:230], v[227:228]
	s_delay_alu instid0(VALU_DEP_1) | instskip(NEXT) | instid1(VALU_DEP_1)
	v_fma_f64 v[229:230], -v[210:211], v[227:228], 1.0
	v_fma_f64 v[227:228], v[227:228], v[229:230], v[227:228]
	v_div_scale_f64 v[229:230], vcc_lo, 1.0, v[208:209], 1.0
	s_delay_alu instid0(VALU_DEP_1) | instskip(NEXT) | instid1(VALU_DEP_1)
	v_mul_f64 v[231:232], v[229:230], v[227:228]
	v_fma_f64 v[210:211], -v[210:211], v[231:232], v[229:230]
	s_delay_alu instid0(VALU_DEP_1) | instskip(NEXT) | instid1(VALU_DEP_1)
	v_div_fmas_f64 v[210:211], v[210:211], v[227:228], v[231:232]
	v_div_fixup_f64 v[210:211], v[210:211], v[208:209], 1.0
	s_delay_alu instid0(VALU_DEP_1)
	v_mul_f64 v[208:209], v[225:226], v[210:211]
	v_xor_b32_e32 v211, 0x80000000, v211
.LBB102_679:
	s_and_not1_saveexec_b32 s2, s2
	s_cbranch_execz .LBB102_681
; %bb.680:
	s_delay_alu instid0(VALU_DEP_1) | instskip(SKIP_1) | instid1(VALU_DEP_2)
	v_div_scale_f64 v[225:226], null, v[208:209], v[208:209], v[210:211]
	v_div_scale_f64 v[231:232], vcc_lo, v[210:211], v[208:209], v[210:211]
	v_rcp_f64_e32 v[227:228], v[225:226]
	s_waitcnt_depctr 0xfff
	v_fma_f64 v[229:230], -v[225:226], v[227:228], 1.0
	s_delay_alu instid0(VALU_DEP_1) | instskip(NEXT) | instid1(VALU_DEP_1)
	v_fma_f64 v[227:228], v[227:228], v[229:230], v[227:228]
	v_fma_f64 v[229:230], -v[225:226], v[227:228], 1.0
	s_delay_alu instid0(VALU_DEP_1) | instskip(NEXT) | instid1(VALU_DEP_1)
	v_fma_f64 v[227:228], v[227:228], v[229:230], v[227:228]
	v_mul_f64 v[229:230], v[231:232], v[227:228]
	s_delay_alu instid0(VALU_DEP_1) | instskip(NEXT) | instid1(VALU_DEP_1)
	v_fma_f64 v[225:226], -v[225:226], v[229:230], v[231:232]
	v_div_fmas_f64 v[225:226], v[225:226], v[227:228], v[229:230]
	s_delay_alu instid0(VALU_DEP_1) | instskip(NEXT) | instid1(VALU_DEP_1)
	v_div_fixup_f64 v[225:226], v[225:226], v[208:209], v[210:211]
	v_fma_f64 v[208:209], v[210:211], v[225:226], v[208:209]
	s_delay_alu instid0(VALU_DEP_1) | instskip(NEXT) | instid1(VALU_DEP_1)
	v_div_scale_f64 v[210:211], null, v[208:209], v[208:209], 1.0
	v_rcp_f64_e32 v[227:228], v[210:211]
	s_waitcnt_depctr 0xfff
	v_fma_f64 v[229:230], -v[210:211], v[227:228], 1.0
	s_delay_alu instid0(VALU_DEP_1) | instskip(NEXT) | instid1(VALU_DEP_1)
	v_fma_f64 v[227:228], v[227:228], v[229:230], v[227:228]
	v_fma_f64 v[229:230], -v[210:211], v[227:228], 1.0
	s_delay_alu instid0(VALU_DEP_1) | instskip(SKIP_1) | instid1(VALU_DEP_1)
	v_fma_f64 v[227:228], v[227:228], v[229:230], v[227:228]
	v_div_scale_f64 v[229:230], vcc_lo, 1.0, v[208:209], 1.0
	v_mul_f64 v[231:232], v[229:230], v[227:228]
	s_delay_alu instid0(VALU_DEP_1) | instskip(NEXT) | instid1(VALU_DEP_1)
	v_fma_f64 v[210:211], -v[210:211], v[231:232], v[229:230]
	v_div_fmas_f64 v[210:211], v[210:211], v[227:228], v[231:232]
	s_delay_alu instid0(VALU_DEP_1) | instskip(NEXT) | instid1(VALU_DEP_1)
	v_div_fixup_f64 v[208:209], v[210:211], v[208:209], 1.0
	v_mul_f64 v[210:211], v[225:226], -v[208:209]
.LBB102_681:
	s_or_b32 exec_lo, exec_lo, s2
.LBB102_682:
	s_delay_alu instid0(SALU_CYCLE_1) | instskip(NEXT) | instid1(SALU_CYCLE_1)
	s_or_b32 exec_lo, exec_lo, s3
	s_mov_b32 s2, exec_lo
	v_cmpx_ne_u32_e64 v224, v216
	s_xor_b32 s2, exec_lo, s2
	s_cbranch_execz .LBB102_688
; %bb.683:
	s_mov_b32 s3, exec_lo
	v_cmpx_eq_u32_e32 32, v224
	s_cbranch_execz .LBB102_687
; %bb.684:
	v_cmp_ne_u32_e32 vcc_lo, 32, v216
	s_xor_b32 s6, s4, -1
	s_delay_alu instid0(SALU_CYCLE_1) | instskip(NEXT) | instid1(SALU_CYCLE_1)
	s_and_b32 s7, s6, vcc_lo
	s_and_saveexec_b32 s6, s7
	s_cbranch_execz .LBB102_686
; %bb.685:
	v_ashrrev_i32_e32 v217, 31, v216
	s_delay_alu instid0(VALU_DEP_1) | instskip(NEXT) | instid1(VALU_DEP_1)
	v_lshlrev_b64 v[223:224], 2, v[216:217]
	v_add_co_u32 v223, vcc_lo, v214, v223
	s_delay_alu instid0(VALU_DEP_2)
	v_add_co_ci_u32_e32 v224, vcc_lo, v215, v224, vcc_lo
	s_clause 0x1
	flat_load_b32 v217, v[223:224]
	flat_load_b32 v225, v[214:215] offset:128
	s_waitcnt vmcnt(1) lgkmcnt(1)
	flat_store_b32 v[214:215], v217 offset:128
	s_waitcnt vmcnt(0) lgkmcnt(1)
	flat_store_b32 v[223:224], v225
.LBB102_686:
	s_or_b32 exec_lo, exec_lo, s6
	v_mov_b32_e32 v224, v216
	v_mov_b32_e32 v223, v216
.LBB102_687:
	s_or_b32 exec_lo, exec_lo, s3
.LBB102_688:
	s_and_not1_saveexec_b32 s2, s2
	s_cbranch_execz .LBB102_690
; %bb.689:
	v_mov_b32_e32 v224, 32
	ds_store_2addr_b64 v218, v[72:73], v[74:75] offset0:66 offset1:67
	ds_store_2addr_b64 v218, v[68:69], v[70:71] offset0:68 offset1:69
	;; [unrolled: 1-line block ×19, first 2 shown]
.LBB102_690:
	s_or_b32 exec_lo, exec_lo, s2
	s_delay_alu instid0(SALU_CYCLE_1)
	s_mov_b32 s2, exec_lo
	s_waitcnt lgkmcnt(0)
	s_waitcnt_vscnt null, 0x0
	s_barrier
	buffer_gl0_inv
	v_cmpx_lt_i32_e32 32, v224
	s_cbranch_execz .LBB102_692
; %bb.691:
	v_mul_f64 v[216:217], v[210:211], v[78:79]
	v_mul_f64 v[78:79], v[208:209], v[78:79]
	s_delay_alu instid0(VALU_DEP_2) | instskip(NEXT) | instid1(VALU_DEP_2)
	v_fma_f64 v[216:217], v[208:209], v[76:77], -v[216:217]
	v_fma_f64 v[78:79], v[210:211], v[76:77], v[78:79]
	ds_load_2addr_b64 v[208:211], v218 offset0:66 offset1:67
	s_waitcnt lgkmcnt(0)
	v_mul_f64 v[76:77], v[210:211], v[78:79]
	s_delay_alu instid0(VALU_DEP_1) | instskip(SKIP_1) | instid1(VALU_DEP_2)
	v_fma_f64 v[76:77], v[208:209], v[216:217], -v[76:77]
	v_mul_f64 v[208:209], v[208:209], v[78:79]
	v_add_f64 v[72:73], v[72:73], -v[76:77]
	s_delay_alu instid0(VALU_DEP_2) | instskip(NEXT) | instid1(VALU_DEP_1)
	v_fma_f64 v[208:209], v[210:211], v[216:217], v[208:209]
	v_add_f64 v[74:75], v[74:75], -v[208:209]
	ds_load_2addr_b64 v[208:211], v218 offset0:68 offset1:69
	s_waitcnt lgkmcnt(0)
	v_mul_f64 v[76:77], v[210:211], v[78:79]
	s_delay_alu instid0(VALU_DEP_1) | instskip(SKIP_1) | instid1(VALU_DEP_2)
	v_fma_f64 v[76:77], v[208:209], v[216:217], -v[76:77]
	v_mul_f64 v[208:209], v[208:209], v[78:79]
	v_add_f64 v[68:69], v[68:69], -v[76:77]
	s_delay_alu instid0(VALU_DEP_2) | instskip(NEXT) | instid1(VALU_DEP_1)
	v_fma_f64 v[208:209], v[210:211], v[216:217], v[208:209]
	v_add_f64 v[70:71], v[70:71], -v[208:209]
	;; [unrolled: 10-line block ×18, first 2 shown]
	ds_load_2addr_b64 v[208:211], v218 offset0:102 offset1:103
	s_waitcnt lgkmcnt(0)
	v_mul_f64 v[76:77], v[210:211], v[78:79]
	s_delay_alu instid0(VALU_DEP_1) | instskip(SKIP_1) | instid1(VALU_DEP_2)
	v_fma_f64 v[76:77], v[208:209], v[216:217], -v[76:77]
	v_mul_f64 v[208:209], v[208:209], v[78:79]
	v_add_f64 v[0:1], v[0:1], -v[76:77]
	s_delay_alu instid0(VALU_DEP_2) | instskip(SKIP_1) | instid1(VALU_DEP_2)
	v_fma_f64 v[208:209], v[210:211], v[216:217], v[208:209]
	v_dual_mov_b32 v76, v216 :: v_dual_mov_b32 v77, v217
	v_add_f64 v[2:3], v[2:3], -v[208:209]
.LBB102_692:
	s_or_b32 exec_lo, exec_lo, s2
	v_lshl_add_u32 v208, v224, 4, v218
	s_barrier
	buffer_gl0_inv
	v_mov_b32_e32 v216, 33
	ds_store_2addr_b64 v208, v[72:73], v[74:75] offset1:1
	s_waitcnt lgkmcnt(0)
	s_barrier
	buffer_gl0_inv
	ds_load_2addr_b64 v[208:211], v218 offset0:66 offset1:67
	s_cmp_lt_i32 s5, 35
	s_cbranch_scc1 .LBB102_695
; %bb.693:
	v_add3_u32 v217, v222, 0, 0x220
	v_mov_b32_e32 v216, 33
	s_mov_b32 s6, 34
	s_set_inst_prefetch_distance 0x1
	.p2align	6
.LBB102_694:                            ; =>This Inner Loop Header: Depth=1
	ds_load_2addr_b64 v[225:228], v217 offset1:1
	s_waitcnt lgkmcnt(1)
	v_cmp_gt_f64_e32 vcc_lo, 0, v[208:209]
	v_xor_b32_e32 v229, 0x80000000, v209
	v_cmp_gt_f64_e64 s2, 0, v[210:211]
	v_xor_b32_e32 v231, 0x80000000, v211
	v_add_nc_u32_e32 v217, 16, v217
	s_waitcnt lgkmcnt(0)
	v_cmp_gt_f64_e64 s3, 0, v[225:226]
	v_mov_b32_e32 v233, v225
	v_dual_mov_b32 v235, v227 :: v_dual_cndmask_b32 v230, v209, v229
	v_xor_b32_e32 v229, 0x80000000, v226
	v_cndmask_b32_e64 v232, v211, v231, s2
	v_xor_b32_e32 v231, 0x80000000, v228
	s_delay_alu instid0(VALU_DEP_3) | instskip(SKIP_2) | instid1(VALU_DEP_2)
	v_cndmask_b32_e64 v234, v226, v229, s3
	v_cmp_gt_f64_e64 s3, 0, v[227:228]
	v_cndmask_b32_e32 v229, v208, v208, vcc_lo
	v_cndmask_b32_e64 v236, v228, v231, s3
	v_cndmask_b32_e64 v231, v210, v210, s2
	s_delay_alu instid0(VALU_DEP_2) | instskip(NEXT) | instid1(VALU_DEP_2)
	v_add_f64 v[233:234], v[233:234], v[235:236]
	v_add_f64 v[229:230], v[229:230], v[231:232]
	s_delay_alu instid0(VALU_DEP_1) | instskip(SKIP_4) | instid1(SALU_CYCLE_1)
	v_cmp_lt_f64_e32 vcc_lo, v[229:230], v[233:234]
	v_dual_cndmask_b32 v210, v210, v227 :: v_dual_cndmask_b32 v209, v209, v226
	v_dual_cndmask_b32 v208, v208, v225 :: v_dual_cndmask_b32 v211, v211, v228
	v_cndmask_b32_e64 v216, v216, s6, vcc_lo
	s_add_i32 s6, s6, 1
	s_cmp_lg_u32 s5, s6
	s_cbranch_scc1 .LBB102_694
.LBB102_695:
	s_set_inst_prefetch_distance 0x2
	s_waitcnt lgkmcnt(0)
	v_cmp_eq_f64_e32 vcc_lo, 0, v[208:209]
	v_cmp_eq_f64_e64 s2, 0, v[210:211]
	s_delay_alu instid0(VALU_DEP_1) | instskip(NEXT) | instid1(SALU_CYCLE_1)
	s_and_b32 s2, vcc_lo, s2
	s_and_saveexec_b32 s3, s2
	s_delay_alu instid0(SALU_CYCLE_1)
	s_xor_b32 s2, exec_lo, s3
; %bb.696:
	v_cmp_ne_u32_e32 vcc_lo, 0, v221
	v_cndmask_b32_e32 v221, 34, v221, vcc_lo
; %bb.697:
	s_and_not1_saveexec_b32 s3, s2
	s_cbranch_execz .LBB102_703
; %bb.698:
	v_cmp_gt_f64_e32 vcc_lo, 0, v[208:209]
	v_cmp_gt_f64_e64 s2, 0, v[210:211]
	v_xor_b32_e32 v217, 0x80000000, v209
	v_xor_b32_e32 v225, 0x80000000, v211
	s_delay_alu instid0(VALU_DEP_2) | instskip(NEXT) | instid1(VALU_DEP_2)
	v_cndmask_b32_e32 v226, v209, v217, vcc_lo
	v_cndmask_b32_e64 v228, v211, v225, s2
	v_cndmask_b32_e32 v225, v208, v208, vcc_lo
	v_cndmask_b32_e64 v227, v210, v210, s2
	s_mov_b32 s2, exec_lo
	s_delay_alu instid0(VALU_DEP_1)
	v_cmpx_ngt_f64_e32 v[225:226], v[227:228]
	s_xor_b32 s2, exec_lo, s2
	s_cbranch_execz .LBB102_700
; %bb.699:
	v_div_scale_f64 v[225:226], null, v[210:211], v[210:211], v[208:209]
	v_div_scale_f64 v[231:232], vcc_lo, v[208:209], v[210:211], v[208:209]
	s_delay_alu instid0(VALU_DEP_2) | instskip(SKIP_2) | instid1(VALU_DEP_1)
	v_rcp_f64_e32 v[227:228], v[225:226]
	s_waitcnt_depctr 0xfff
	v_fma_f64 v[229:230], -v[225:226], v[227:228], 1.0
	v_fma_f64 v[227:228], v[227:228], v[229:230], v[227:228]
	s_delay_alu instid0(VALU_DEP_1) | instskip(NEXT) | instid1(VALU_DEP_1)
	v_fma_f64 v[229:230], -v[225:226], v[227:228], 1.0
	v_fma_f64 v[227:228], v[227:228], v[229:230], v[227:228]
	s_delay_alu instid0(VALU_DEP_1) | instskip(NEXT) | instid1(VALU_DEP_1)
	v_mul_f64 v[229:230], v[231:232], v[227:228]
	v_fma_f64 v[225:226], -v[225:226], v[229:230], v[231:232]
	s_delay_alu instid0(VALU_DEP_1) | instskip(NEXT) | instid1(VALU_DEP_1)
	v_div_fmas_f64 v[225:226], v[225:226], v[227:228], v[229:230]
	v_div_fixup_f64 v[225:226], v[225:226], v[210:211], v[208:209]
	s_delay_alu instid0(VALU_DEP_1) | instskip(NEXT) | instid1(VALU_DEP_1)
	v_fma_f64 v[208:209], v[208:209], v[225:226], v[210:211]
	v_div_scale_f64 v[210:211], null, v[208:209], v[208:209], 1.0
	s_delay_alu instid0(VALU_DEP_1) | instskip(SKIP_2) | instid1(VALU_DEP_1)
	v_rcp_f64_e32 v[227:228], v[210:211]
	s_waitcnt_depctr 0xfff
	v_fma_f64 v[229:230], -v[210:211], v[227:228], 1.0
	v_fma_f64 v[227:228], v[227:228], v[229:230], v[227:228]
	s_delay_alu instid0(VALU_DEP_1) | instskip(NEXT) | instid1(VALU_DEP_1)
	v_fma_f64 v[229:230], -v[210:211], v[227:228], 1.0
	v_fma_f64 v[227:228], v[227:228], v[229:230], v[227:228]
	v_div_scale_f64 v[229:230], vcc_lo, 1.0, v[208:209], 1.0
	s_delay_alu instid0(VALU_DEP_1) | instskip(NEXT) | instid1(VALU_DEP_1)
	v_mul_f64 v[231:232], v[229:230], v[227:228]
	v_fma_f64 v[210:211], -v[210:211], v[231:232], v[229:230]
	s_delay_alu instid0(VALU_DEP_1) | instskip(NEXT) | instid1(VALU_DEP_1)
	v_div_fmas_f64 v[210:211], v[210:211], v[227:228], v[231:232]
	v_div_fixup_f64 v[210:211], v[210:211], v[208:209], 1.0
	s_delay_alu instid0(VALU_DEP_1)
	v_mul_f64 v[208:209], v[225:226], v[210:211]
	v_xor_b32_e32 v211, 0x80000000, v211
.LBB102_700:
	s_and_not1_saveexec_b32 s2, s2
	s_cbranch_execz .LBB102_702
; %bb.701:
	s_delay_alu instid0(VALU_DEP_1) | instskip(SKIP_1) | instid1(VALU_DEP_2)
	v_div_scale_f64 v[225:226], null, v[208:209], v[208:209], v[210:211]
	v_div_scale_f64 v[231:232], vcc_lo, v[210:211], v[208:209], v[210:211]
	v_rcp_f64_e32 v[227:228], v[225:226]
	s_waitcnt_depctr 0xfff
	v_fma_f64 v[229:230], -v[225:226], v[227:228], 1.0
	s_delay_alu instid0(VALU_DEP_1) | instskip(NEXT) | instid1(VALU_DEP_1)
	v_fma_f64 v[227:228], v[227:228], v[229:230], v[227:228]
	v_fma_f64 v[229:230], -v[225:226], v[227:228], 1.0
	s_delay_alu instid0(VALU_DEP_1) | instskip(NEXT) | instid1(VALU_DEP_1)
	v_fma_f64 v[227:228], v[227:228], v[229:230], v[227:228]
	v_mul_f64 v[229:230], v[231:232], v[227:228]
	s_delay_alu instid0(VALU_DEP_1) | instskip(NEXT) | instid1(VALU_DEP_1)
	v_fma_f64 v[225:226], -v[225:226], v[229:230], v[231:232]
	v_div_fmas_f64 v[225:226], v[225:226], v[227:228], v[229:230]
	s_delay_alu instid0(VALU_DEP_1) | instskip(NEXT) | instid1(VALU_DEP_1)
	v_div_fixup_f64 v[225:226], v[225:226], v[208:209], v[210:211]
	v_fma_f64 v[208:209], v[210:211], v[225:226], v[208:209]
	s_delay_alu instid0(VALU_DEP_1) | instskip(NEXT) | instid1(VALU_DEP_1)
	v_div_scale_f64 v[210:211], null, v[208:209], v[208:209], 1.0
	v_rcp_f64_e32 v[227:228], v[210:211]
	s_waitcnt_depctr 0xfff
	v_fma_f64 v[229:230], -v[210:211], v[227:228], 1.0
	s_delay_alu instid0(VALU_DEP_1) | instskip(NEXT) | instid1(VALU_DEP_1)
	v_fma_f64 v[227:228], v[227:228], v[229:230], v[227:228]
	v_fma_f64 v[229:230], -v[210:211], v[227:228], 1.0
	s_delay_alu instid0(VALU_DEP_1) | instskip(SKIP_1) | instid1(VALU_DEP_1)
	v_fma_f64 v[227:228], v[227:228], v[229:230], v[227:228]
	v_div_scale_f64 v[229:230], vcc_lo, 1.0, v[208:209], 1.0
	v_mul_f64 v[231:232], v[229:230], v[227:228]
	s_delay_alu instid0(VALU_DEP_1) | instskip(NEXT) | instid1(VALU_DEP_1)
	v_fma_f64 v[210:211], -v[210:211], v[231:232], v[229:230]
	v_div_fmas_f64 v[210:211], v[210:211], v[227:228], v[231:232]
	s_delay_alu instid0(VALU_DEP_1) | instskip(NEXT) | instid1(VALU_DEP_1)
	v_div_fixup_f64 v[208:209], v[210:211], v[208:209], 1.0
	v_mul_f64 v[210:211], v[225:226], -v[208:209]
.LBB102_702:
	s_or_b32 exec_lo, exec_lo, s2
.LBB102_703:
	s_delay_alu instid0(SALU_CYCLE_1) | instskip(NEXT) | instid1(SALU_CYCLE_1)
	s_or_b32 exec_lo, exec_lo, s3
	s_mov_b32 s2, exec_lo
	v_cmpx_ne_u32_e64 v224, v216
	s_xor_b32 s2, exec_lo, s2
	s_cbranch_execz .LBB102_709
; %bb.704:
	s_mov_b32 s3, exec_lo
	v_cmpx_eq_u32_e32 33, v224
	s_cbranch_execz .LBB102_708
; %bb.705:
	v_cmp_ne_u32_e32 vcc_lo, 33, v216
	s_xor_b32 s6, s4, -1
	s_delay_alu instid0(SALU_CYCLE_1) | instskip(NEXT) | instid1(SALU_CYCLE_1)
	s_and_b32 s7, s6, vcc_lo
	s_and_saveexec_b32 s6, s7
	s_cbranch_execz .LBB102_707
; %bb.706:
	v_ashrrev_i32_e32 v217, 31, v216
	s_delay_alu instid0(VALU_DEP_1) | instskip(NEXT) | instid1(VALU_DEP_1)
	v_lshlrev_b64 v[223:224], 2, v[216:217]
	v_add_co_u32 v223, vcc_lo, v214, v223
	s_delay_alu instid0(VALU_DEP_2)
	v_add_co_ci_u32_e32 v224, vcc_lo, v215, v224, vcc_lo
	s_clause 0x1
	flat_load_b32 v217, v[223:224]
	flat_load_b32 v225, v[214:215] offset:132
	s_waitcnt vmcnt(1) lgkmcnt(1)
	flat_store_b32 v[214:215], v217 offset:132
	s_waitcnt vmcnt(0) lgkmcnt(1)
	flat_store_b32 v[223:224], v225
.LBB102_707:
	s_or_b32 exec_lo, exec_lo, s6
	v_mov_b32_e32 v224, v216
	v_mov_b32_e32 v223, v216
.LBB102_708:
	s_or_b32 exec_lo, exec_lo, s3
.LBB102_709:
	s_and_not1_saveexec_b32 s2, s2
	s_cbranch_execz .LBB102_711
; %bb.710:
	v_mov_b32_e32 v224, 33
	ds_store_2addr_b64 v218, v[68:69], v[70:71] offset0:68 offset1:69
	ds_store_2addr_b64 v218, v[64:65], v[66:67] offset0:70 offset1:71
	;; [unrolled: 1-line block ×18, first 2 shown]
.LBB102_711:
	s_or_b32 exec_lo, exec_lo, s2
	s_delay_alu instid0(SALU_CYCLE_1)
	s_mov_b32 s2, exec_lo
	s_waitcnt lgkmcnt(0)
	s_waitcnt_vscnt null, 0x0
	s_barrier
	buffer_gl0_inv
	v_cmpx_lt_i32_e32 33, v224
	s_cbranch_execz .LBB102_713
; %bb.712:
	v_mul_f64 v[216:217], v[210:211], v[74:75]
	v_mul_f64 v[74:75], v[208:209], v[74:75]
	s_delay_alu instid0(VALU_DEP_2) | instskip(NEXT) | instid1(VALU_DEP_2)
	v_fma_f64 v[216:217], v[208:209], v[72:73], -v[216:217]
	v_fma_f64 v[74:75], v[210:211], v[72:73], v[74:75]
	ds_load_2addr_b64 v[208:211], v218 offset0:68 offset1:69
	s_waitcnt lgkmcnt(0)
	v_mul_f64 v[72:73], v[210:211], v[74:75]
	s_delay_alu instid0(VALU_DEP_1) | instskip(SKIP_1) | instid1(VALU_DEP_2)
	v_fma_f64 v[72:73], v[208:209], v[216:217], -v[72:73]
	v_mul_f64 v[208:209], v[208:209], v[74:75]
	v_add_f64 v[68:69], v[68:69], -v[72:73]
	s_delay_alu instid0(VALU_DEP_2) | instskip(NEXT) | instid1(VALU_DEP_1)
	v_fma_f64 v[208:209], v[210:211], v[216:217], v[208:209]
	v_add_f64 v[70:71], v[70:71], -v[208:209]
	ds_load_2addr_b64 v[208:211], v218 offset0:70 offset1:71
	s_waitcnt lgkmcnt(0)
	v_mul_f64 v[72:73], v[210:211], v[74:75]
	s_delay_alu instid0(VALU_DEP_1) | instskip(SKIP_1) | instid1(VALU_DEP_2)
	v_fma_f64 v[72:73], v[208:209], v[216:217], -v[72:73]
	v_mul_f64 v[208:209], v[208:209], v[74:75]
	v_add_f64 v[64:65], v[64:65], -v[72:73]
	s_delay_alu instid0(VALU_DEP_2) | instskip(NEXT) | instid1(VALU_DEP_1)
	v_fma_f64 v[208:209], v[210:211], v[216:217], v[208:209]
	v_add_f64 v[66:67], v[66:67], -v[208:209]
	;; [unrolled: 10-line block ×17, first 2 shown]
	ds_load_2addr_b64 v[208:211], v218 offset0:102 offset1:103
	s_waitcnt lgkmcnt(0)
	v_mul_f64 v[72:73], v[210:211], v[74:75]
	s_delay_alu instid0(VALU_DEP_1) | instskip(SKIP_1) | instid1(VALU_DEP_2)
	v_fma_f64 v[72:73], v[208:209], v[216:217], -v[72:73]
	v_mul_f64 v[208:209], v[208:209], v[74:75]
	v_add_f64 v[0:1], v[0:1], -v[72:73]
	s_delay_alu instid0(VALU_DEP_2) | instskip(SKIP_1) | instid1(VALU_DEP_2)
	v_fma_f64 v[208:209], v[210:211], v[216:217], v[208:209]
	v_dual_mov_b32 v72, v216 :: v_dual_mov_b32 v73, v217
	v_add_f64 v[2:3], v[2:3], -v[208:209]
.LBB102_713:
	s_or_b32 exec_lo, exec_lo, s2
	v_lshl_add_u32 v208, v224, 4, v218
	s_barrier
	buffer_gl0_inv
	v_mov_b32_e32 v216, 34
	ds_store_2addr_b64 v208, v[68:69], v[70:71] offset1:1
	s_waitcnt lgkmcnt(0)
	s_barrier
	buffer_gl0_inv
	ds_load_2addr_b64 v[208:211], v218 offset0:68 offset1:69
	s_cmp_lt_i32 s5, 36
	s_cbranch_scc1 .LBB102_716
; %bb.714:
	v_add3_u32 v217, v222, 0, 0x230
	v_mov_b32_e32 v216, 34
	s_mov_b32 s6, 35
	s_set_inst_prefetch_distance 0x1
	.p2align	6
.LBB102_715:                            ; =>This Inner Loop Header: Depth=1
	ds_load_2addr_b64 v[225:228], v217 offset1:1
	s_waitcnt lgkmcnt(1)
	v_cmp_gt_f64_e32 vcc_lo, 0, v[208:209]
	v_xor_b32_e32 v229, 0x80000000, v209
	v_cmp_gt_f64_e64 s2, 0, v[210:211]
	v_xor_b32_e32 v231, 0x80000000, v211
	v_add_nc_u32_e32 v217, 16, v217
	s_waitcnt lgkmcnt(0)
	v_cmp_gt_f64_e64 s3, 0, v[225:226]
	v_mov_b32_e32 v233, v225
	v_dual_mov_b32 v235, v227 :: v_dual_cndmask_b32 v230, v209, v229
	v_xor_b32_e32 v229, 0x80000000, v226
	v_cndmask_b32_e64 v232, v211, v231, s2
	v_xor_b32_e32 v231, 0x80000000, v228
	s_delay_alu instid0(VALU_DEP_3) | instskip(SKIP_2) | instid1(VALU_DEP_2)
	v_cndmask_b32_e64 v234, v226, v229, s3
	v_cmp_gt_f64_e64 s3, 0, v[227:228]
	v_cndmask_b32_e32 v229, v208, v208, vcc_lo
	v_cndmask_b32_e64 v236, v228, v231, s3
	v_cndmask_b32_e64 v231, v210, v210, s2
	s_delay_alu instid0(VALU_DEP_2) | instskip(NEXT) | instid1(VALU_DEP_2)
	v_add_f64 v[233:234], v[233:234], v[235:236]
	v_add_f64 v[229:230], v[229:230], v[231:232]
	s_delay_alu instid0(VALU_DEP_1) | instskip(SKIP_4) | instid1(SALU_CYCLE_1)
	v_cmp_lt_f64_e32 vcc_lo, v[229:230], v[233:234]
	v_dual_cndmask_b32 v210, v210, v227 :: v_dual_cndmask_b32 v209, v209, v226
	v_dual_cndmask_b32 v208, v208, v225 :: v_dual_cndmask_b32 v211, v211, v228
	v_cndmask_b32_e64 v216, v216, s6, vcc_lo
	s_add_i32 s6, s6, 1
	s_cmp_lg_u32 s5, s6
	s_cbranch_scc1 .LBB102_715
.LBB102_716:
	s_set_inst_prefetch_distance 0x2
	s_waitcnt lgkmcnt(0)
	v_cmp_eq_f64_e32 vcc_lo, 0, v[208:209]
	v_cmp_eq_f64_e64 s2, 0, v[210:211]
	s_delay_alu instid0(VALU_DEP_1) | instskip(NEXT) | instid1(SALU_CYCLE_1)
	s_and_b32 s2, vcc_lo, s2
	s_and_saveexec_b32 s3, s2
	s_delay_alu instid0(SALU_CYCLE_1)
	s_xor_b32 s2, exec_lo, s3
; %bb.717:
	v_cmp_ne_u32_e32 vcc_lo, 0, v221
	v_cndmask_b32_e32 v221, 35, v221, vcc_lo
; %bb.718:
	s_and_not1_saveexec_b32 s3, s2
	s_cbranch_execz .LBB102_724
; %bb.719:
	v_cmp_gt_f64_e32 vcc_lo, 0, v[208:209]
	v_cmp_gt_f64_e64 s2, 0, v[210:211]
	v_xor_b32_e32 v217, 0x80000000, v209
	v_xor_b32_e32 v225, 0x80000000, v211
	s_delay_alu instid0(VALU_DEP_2) | instskip(NEXT) | instid1(VALU_DEP_2)
	v_cndmask_b32_e32 v226, v209, v217, vcc_lo
	v_cndmask_b32_e64 v228, v211, v225, s2
	v_cndmask_b32_e32 v225, v208, v208, vcc_lo
	v_cndmask_b32_e64 v227, v210, v210, s2
	s_mov_b32 s2, exec_lo
	s_delay_alu instid0(VALU_DEP_1)
	v_cmpx_ngt_f64_e32 v[225:226], v[227:228]
	s_xor_b32 s2, exec_lo, s2
	s_cbranch_execz .LBB102_721
; %bb.720:
	v_div_scale_f64 v[225:226], null, v[210:211], v[210:211], v[208:209]
	v_div_scale_f64 v[231:232], vcc_lo, v[208:209], v[210:211], v[208:209]
	s_delay_alu instid0(VALU_DEP_2) | instskip(SKIP_2) | instid1(VALU_DEP_1)
	v_rcp_f64_e32 v[227:228], v[225:226]
	s_waitcnt_depctr 0xfff
	v_fma_f64 v[229:230], -v[225:226], v[227:228], 1.0
	v_fma_f64 v[227:228], v[227:228], v[229:230], v[227:228]
	s_delay_alu instid0(VALU_DEP_1) | instskip(NEXT) | instid1(VALU_DEP_1)
	v_fma_f64 v[229:230], -v[225:226], v[227:228], 1.0
	v_fma_f64 v[227:228], v[227:228], v[229:230], v[227:228]
	s_delay_alu instid0(VALU_DEP_1) | instskip(NEXT) | instid1(VALU_DEP_1)
	v_mul_f64 v[229:230], v[231:232], v[227:228]
	v_fma_f64 v[225:226], -v[225:226], v[229:230], v[231:232]
	s_delay_alu instid0(VALU_DEP_1) | instskip(NEXT) | instid1(VALU_DEP_1)
	v_div_fmas_f64 v[225:226], v[225:226], v[227:228], v[229:230]
	v_div_fixup_f64 v[225:226], v[225:226], v[210:211], v[208:209]
	s_delay_alu instid0(VALU_DEP_1) | instskip(NEXT) | instid1(VALU_DEP_1)
	v_fma_f64 v[208:209], v[208:209], v[225:226], v[210:211]
	v_div_scale_f64 v[210:211], null, v[208:209], v[208:209], 1.0
	s_delay_alu instid0(VALU_DEP_1) | instskip(SKIP_2) | instid1(VALU_DEP_1)
	v_rcp_f64_e32 v[227:228], v[210:211]
	s_waitcnt_depctr 0xfff
	v_fma_f64 v[229:230], -v[210:211], v[227:228], 1.0
	v_fma_f64 v[227:228], v[227:228], v[229:230], v[227:228]
	s_delay_alu instid0(VALU_DEP_1) | instskip(NEXT) | instid1(VALU_DEP_1)
	v_fma_f64 v[229:230], -v[210:211], v[227:228], 1.0
	v_fma_f64 v[227:228], v[227:228], v[229:230], v[227:228]
	v_div_scale_f64 v[229:230], vcc_lo, 1.0, v[208:209], 1.0
	s_delay_alu instid0(VALU_DEP_1) | instskip(NEXT) | instid1(VALU_DEP_1)
	v_mul_f64 v[231:232], v[229:230], v[227:228]
	v_fma_f64 v[210:211], -v[210:211], v[231:232], v[229:230]
	s_delay_alu instid0(VALU_DEP_1) | instskip(NEXT) | instid1(VALU_DEP_1)
	v_div_fmas_f64 v[210:211], v[210:211], v[227:228], v[231:232]
	v_div_fixup_f64 v[210:211], v[210:211], v[208:209], 1.0
	s_delay_alu instid0(VALU_DEP_1)
	v_mul_f64 v[208:209], v[225:226], v[210:211]
	v_xor_b32_e32 v211, 0x80000000, v211
.LBB102_721:
	s_and_not1_saveexec_b32 s2, s2
	s_cbranch_execz .LBB102_723
; %bb.722:
	s_delay_alu instid0(VALU_DEP_1) | instskip(SKIP_1) | instid1(VALU_DEP_2)
	v_div_scale_f64 v[225:226], null, v[208:209], v[208:209], v[210:211]
	v_div_scale_f64 v[231:232], vcc_lo, v[210:211], v[208:209], v[210:211]
	v_rcp_f64_e32 v[227:228], v[225:226]
	s_waitcnt_depctr 0xfff
	v_fma_f64 v[229:230], -v[225:226], v[227:228], 1.0
	s_delay_alu instid0(VALU_DEP_1) | instskip(NEXT) | instid1(VALU_DEP_1)
	v_fma_f64 v[227:228], v[227:228], v[229:230], v[227:228]
	v_fma_f64 v[229:230], -v[225:226], v[227:228], 1.0
	s_delay_alu instid0(VALU_DEP_1) | instskip(NEXT) | instid1(VALU_DEP_1)
	v_fma_f64 v[227:228], v[227:228], v[229:230], v[227:228]
	v_mul_f64 v[229:230], v[231:232], v[227:228]
	s_delay_alu instid0(VALU_DEP_1) | instskip(NEXT) | instid1(VALU_DEP_1)
	v_fma_f64 v[225:226], -v[225:226], v[229:230], v[231:232]
	v_div_fmas_f64 v[225:226], v[225:226], v[227:228], v[229:230]
	s_delay_alu instid0(VALU_DEP_1) | instskip(NEXT) | instid1(VALU_DEP_1)
	v_div_fixup_f64 v[225:226], v[225:226], v[208:209], v[210:211]
	v_fma_f64 v[208:209], v[210:211], v[225:226], v[208:209]
	s_delay_alu instid0(VALU_DEP_1) | instskip(NEXT) | instid1(VALU_DEP_1)
	v_div_scale_f64 v[210:211], null, v[208:209], v[208:209], 1.0
	v_rcp_f64_e32 v[227:228], v[210:211]
	s_waitcnt_depctr 0xfff
	v_fma_f64 v[229:230], -v[210:211], v[227:228], 1.0
	s_delay_alu instid0(VALU_DEP_1) | instskip(NEXT) | instid1(VALU_DEP_1)
	v_fma_f64 v[227:228], v[227:228], v[229:230], v[227:228]
	v_fma_f64 v[229:230], -v[210:211], v[227:228], 1.0
	s_delay_alu instid0(VALU_DEP_1) | instskip(SKIP_1) | instid1(VALU_DEP_1)
	v_fma_f64 v[227:228], v[227:228], v[229:230], v[227:228]
	v_div_scale_f64 v[229:230], vcc_lo, 1.0, v[208:209], 1.0
	v_mul_f64 v[231:232], v[229:230], v[227:228]
	s_delay_alu instid0(VALU_DEP_1) | instskip(NEXT) | instid1(VALU_DEP_1)
	v_fma_f64 v[210:211], -v[210:211], v[231:232], v[229:230]
	v_div_fmas_f64 v[210:211], v[210:211], v[227:228], v[231:232]
	s_delay_alu instid0(VALU_DEP_1) | instskip(NEXT) | instid1(VALU_DEP_1)
	v_div_fixup_f64 v[208:209], v[210:211], v[208:209], 1.0
	v_mul_f64 v[210:211], v[225:226], -v[208:209]
.LBB102_723:
	s_or_b32 exec_lo, exec_lo, s2
.LBB102_724:
	s_delay_alu instid0(SALU_CYCLE_1) | instskip(NEXT) | instid1(SALU_CYCLE_1)
	s_or_b32 exec_lo, exec_lo, s3
	s_mov_b32 s2, exec_lo
	v_cmpx_ne_u32_e64 v224, v216
	s_xor_b32 s2, exec_lo, s2
	s_cbranch_execz .LBB102_730
; %bb.725:
	s_mov_b32 s3, exec_lo
	v_cmpx_eq_u32_e32 34, v224
	s_cbranch_execz .LBB102_729
; %bb.726:
	v_cmp_ne_u32_e32 vcc_lo, 34, v216
	s_xor_b32 s6, s4, -1
	s_delay_alu instid0(SALU_CYCLE_1) | instskip(NEXT) | instid1(SALU_CYCLE_1)
	s_and_b32 s7, s6, vcc_lo
	s_and_saveexec_b32 s6, s7
	s_cbranch_execz .LBB102_728
; %bb.727:
	v_ashrrev_i32_e32 v217, 31, v216
	s_delay_alu instid0(VALU_DEP_1) | instskip(NEXT) | instid1(VALU_DEP_1)
	v_lshlrev_b64 v[223:224], 2, v[216:217]
	v_add_co_u32 v223, vcc_lo, v214, v223
	s_delay_alu instid0(VALU_DEP_2)
	v_add_co_ci_u32_e32 v224, vcc_lo, v215, v224, vcc_lo
	s_clause 0x1
	flat_load_b32 v217, v[223:224]
	flat_load_b32 v225, v[214:215] offset:136
	s_waitcnt vmcnt(1) lgkmcnt(1)
	flat_store_b32 v[214:215], v217 offset:136
	s_waitcnt vmcnt(0) lgkmcnt(1)
	flat_store_b32 v[223:224], v225
.LBB102_728:
	s_or_b32 exec_lo, exec_lo, s6
	v_mov_b32_e32 v224, v216
	v_mov_b32_e32 v223, v216
.LBB102_729:
	s_or_b32 exec_lo, exec_lo, s3
.LBB102_730:
	s_and_not1_saveexec_b32 s2, s2
	s_cbranch_execz .LBB102_732
; %bb.731:
	v_mov_b32_e32 v224, 34
	ds_store_2addr_b64 v218, v[64:65], v[66:67] offset0:70 offset1:71
	ds_store_2addr_b64 v218, v[60:61], v[62:63] offset0:72 offset1:73
	;; [unrolled: 1-line block ×17, first 2 shown]
.LBB102_732:
	s_or_b32 exec_lo, exec_lo, s2
	s_delay_alu instid0(SALU_CYCLE_1)
	s_mov_b32 s2, exec_lo
	s_waitcnt lgkmcnt(0)
	s_waitcnt_vscnt null, 0x0
	s_barrier
	buffer_gl0_inv
	v_cmpx_lt_i32_e32 34, v224
	s_cbranch_execz .LBB102_734
; %bb.733:
	v_mul_f64 v[216:217], v[210:211], v[70:71]
	v_mul_f64 v[70:71], v[208:209], v[70:71]
	s_delay_alu instid0(VALU_DEP_2) | instskip(NEXT) | instid1(VALU_DEP_2)
	v_fma_f64 v[216:217], v[208:209], v[68:69], -v[216:217]
	v_fma_f64 v[70:71], v[210:211], v[68:69], v[70:71]
	ds_load_2addr_b64 v[208:211], v218 offset0:70 offset1:71
	s_waitcnt lgkmcnt(0)
	v_mul_f64 v[68:69], v[210:211], v[70:71]
	s_delay_alu instid0(VALU_DEP_1) | instskip(SKIP_1) | instid1(VALU_DEP_2)
	v_fma_f64 v[68:69], v[208:209], v[216:217], -v[68:69]
	v_mul_f64 v[208:209], v[208:209], v[70:71]
	v_add_f64 v[64:65], v[64:65], -v[68:69]
	s_delay_alu instid0(VALU_DEP_2) | instskip(NEXT) | instid1(VALU_DEP_1)
	v_fma_f64 v[208:209], v[210:211], v[216:217], v[208:209]
	v_add_f64 v[66:67], v[66:67], -v[208:209]
	ds_load_2addr_b64 v[208:211], v218 offset0:72 offset1:73
	s_waitcnt lgkmcnt(0)
	v_mul_f64 v[68:69], v[210:211], v[70:71]
	s_delay_alu instid0(VALU_DEP_1) | instskip(SKIP_1) | instid1(VALU_DEP_2)
	v_fma_f64 v[68:69], v[208:209], v[216:217], -v[68:69]
	v_mul_f64 v[208:209], v[208:209], v[70:71]
	v_add_f64 v[60:61], v[60:61], -v[68:69]
	s_delay_alu instid0(VALU_DEP_2) | instskip(NEXT) | instid1(VALU_DEP_1)
	v_fma_f64 v[208:209], v[210:211], v[216:217], v[208:209]
	v_add_f64 v[62:63], v[62:63], -v[208:209]
	;; [unrolled: 10-line block ×16, first 2 shown]
	ds_load_2addr_b64 v[208:211], v218 offset0:102 offset1:103
	s_waitcnt lgkmcnt(0)
	v_mul_f64 v[68:69], v[210:211], v[70:71]
	s_delay_alu instid0(VALU_DEP_1) | instskip(SKIP_1) | instid1(VALU_DEP_2)
	v_fma_f64 v[68:69], v[208:209], v[216:217], -v[68:69]
	v_mul_f64 v[208:209], v[208:209], v[70:71]
	v_add_f64 v[0:1], v[0:1], -v[68:69]
	s_delay_alu instid0(VALU_DEP_2) | instskip(SKIP_1) | instid1(VALU_DEP_2)
	v_fma_f64 v[208:209], v[210:211], v[216:217], v[208:209]
	v_dual_mov_b32 v68, v216 :: v_dual_mov_b32 v69, v217
	v_add_f64 v[2:3], v[2:3], -v[208:209]
.LBB102_734:
	s_or_b32 exec_lo, exec_lo, s2
	v_lshl_add_u32 v208, v224, 4, v218
	s_barrier
	buffer_gl0_inv
	v_mov_b32_e32 v216, 35
	ds_store_2addr_b64 v208, v[64:65], v[66:67] offset1:1
	s_waitcnt lgkmcnt(0)
	s_barrier
	buffer_gl0_inv
	ds_load_2addr_b64 v[208:211], v218 offset0:70 offset1:71
	s_cmp_lt_i32 s5, 37
	s_cbranch_scc1 .LBB102_737
; %bb.735:
	v_add3_u32 v217, v222, 0, 0x240
	v_mov_b32_e32 v216, 35
	s_mov_b32 s6, 36
	s_set_inst_prefetch_distance 0x1
	.p2align	6
.LBB102_736:                            ; =>This Inner Loop Header: Depth=1
	ds_load_2addr_b64 v[225:228], v217 offset1:1
	s_waitcnt lgkmcnt(1)
	v_cmp_gt_f64_e32 vcc_lo, 0, v[208:209]
	v_xor_b32_e32 v229, 0x80000000, v209
	v_cmp_gt_f64_e64 s2, 0, v[210:211]
	v_xor_b32_e32 v231, 0x80000000, v211
	v_add_nc_u32_e32 v217, 16, v217
	s_waitcnt lgkmcnt(0)
	v_cmp_gt_f64_e64 s3, 0, v[225:226]
	v_mov_b32_e32 v233, v225
	v_dual_mov_b32 v235, v227 :: v_dual_cndmask_b32 v230, v209, v229
	v_xor_b32_e32 v229, 0x80000000, v226
	v_cndmask_b32_e64 v232, v211, v231, s2
	v_xor_b32_e32 v231, 0x80000000, v228
	s_delay_alu instid0(VALU_DEP_3) | instskip(SKIP_2) | instid1(VALU_DEP_2)
	v_cndmask_b32_e64 v234, v226, v229, s3
	v_cmp_gt_f64_e64 s3, 0, v[227:228]
	v_cndmask_b32_e32 v229, v208, v208, vcc_lo
	v_cndmask_b32_e64 v236, v228, v231, s3
	v_cndmask_b32_e64 v231, v210, v210, s2
	s_delay_alu instid0(VALU_DEP_2) | instskip(NEXT) | instid1(VALU_DEP_2)
	v_add_f64 v[233:234], v[233:234], v[235:236]
	v_add_f64 v[229:230], v[229:230], v[231:232]
	s_delay_alu instid0(VALU_DEP_1) | instskip(SKIP_4) | instid1(SALU_CYCLE_1)
	v_cmp_lt_f64_e32 vcc_lo, v[229:230], v[233:234]
	v_dual_cndmask_b32 v210, v210, v227 :: v_dual_cndmask_b32 v209, v209, v226
	v_dual_cndmask_b32 v208, v208, v225 :: v_dual_cndmask_b32 v211, v211, v228
	v_cndmask_b32_e64 v216, v216, s6, vcc_lo
	s_add_i32 s6, s6, 1
	s_cmp_lg_u32 s5, s6
	s_cbranch_scc1 .LBB102_736
.LBB102_737:
	s_set_inst_prefetch_distance 0x2
	s_waitcnt lgkmcnt(0)
	v_cmp_eq_f64_e32 vcc_lo, 0, v[208:209]
	v_cmp_eq_f64_e64 s2, 0, v[210:211]
	s_delay_alu instid0(VALU_DEP_1) | instskip(NEXT) | instid1(SALU_CYCLE_1)
	s_and_b32 s2, vcc_lo, s2
	s_and_saveexec_b32 s3, s2
	s_delay_alu instid0(SALU_CYCLE_1)
	s_xor_b32 s2, exec_lo, s3
; %bb.738:
	v_cmp_ne_u32_e32 vcc_lo, 0, v221
	v_cndmask_b32_e32 v221, 36, v221, vcc_lo
; %bb.739:
	s_and_not1_saveexec_b32 s3, s2
	s_cbranch_execz .LBB102_745
; %bb.740:
	v_cmp_gt_f64_e32 vcc_lo, 0, v[208:209]
	v_cmp_gt_f64_e64 s2, 0, v[210:211]
	v_xor_b32_e32 v217, 0x80000000, v209
	v_xor_b32_e32 v225, 0x80000000, v211
	s_delay_alu instid0(VALU_DEP_2) | instskip(NEXT) | instid1(VALU_DEP_2)
	v_cndmask_b32_e32 v226, v209, v217, vcc_lo
	v_cndmask_b32_e64 v228, v211, v225, s2
	v_cndmask_b32_e32 v225, v208, v208, vcc_lo
	v_cndmask_b32_e64 v227, v210, v210, s2
	s_mov_b32 s2, exec_lo
	s_delay_alu instid0(VALU_DEP_1)
	v_cmpx_ngt_f64_e32 v[225:226], v[227:228]
	s_xor_b32 s2, exec_lo, s2
	s_cbranch_execz .LBB102_742
; %bb.741:
	v_div_scale_f64 v[225:226], null, v[210:211], v[210:211], v[208:209]
	v_div_scale_f64 v[231:232], vcc_lo, v[208:209], v[210:211], v[208:209]
	s_delay_alu instid0(VALU_DEP_2) | instskip(SKIP_2) | instid1(VALU_DEP_1)
	v_rcp_f64_e32 v[227:228], v[225:226]
	s_waitcnt_depctr 0xfff
	v_fma_f64 v[229:230], -v[225:226], v[227:228], 1.0
	v_fma_f64 v[227:228], v[227:228], v[229:230], v[227:228]
	s_delay_alu instid0(VALU_DEP_1) | instskip(NEXT) | instid1(VALU_DEP_1)
	v_fma_f64 v[229:230], -v[225:226], v[227:228], 1.0
	v_fma_f64 v[227:228], v[227:228], v[229:230], v[227:228]
	s_delay_alu instid0(VALU_DEP_1) | instskip(NEXT) | instid1(VALU_DEP_1)
	v_mul_f64 v[229:230], v[231:232], v[227:228]
	v_fma_f64 v[225:226], -v[225:226], v[229:230], v[231:232]
	s_delay_alu instid0(VALU_DEP_1) | instskip(NEXT) | instid1(VALU_DEP_1)
	v_div_fmas_f64 v[225:226], v[225:226], v[227:228], v[229:230]
	v_div_fixup_f64 v[225:226], v[225:226], v[210:211], v[208:209]
	s_delay_alu instid0(VALU_DEP_1) | instskip(NEXT) | instid1(VALU_DEP_1)
	v_fma_f64 v[208:209], v[208:209], v[225:226], v[210:211]
	v_div_scale_f64 v[210:211], null, v[208:209], v[208:209], 1.0
	s_delay_alu instid0(VALU_DEP_1) | instskip(SKIP_2) | instid1(VALU_DEP_1)
	v_rcp_f64_e32 v[227:228], v[210:211]
	s_waitcnt_depctr 0xfff
	v_fma_f64 v[229:230], -v[210:211], v[227:228], 1.0
	v_fma_f64 v[227:228], v[227:228], v[229:230], v[227:228]
	s_delay_alu instid0(VALU_DEP_1) | instskip(NEXT) | instid1(VALU_DEP_1)
	v_fma_f64 v[229:230], -v[210:211], v[227:228], 1.0
	v_fma_f64 v[227:228], v[227:228], v[229:230], v[227:228]
	v_div_scale_f64 v[229:230], vcc_lo, 1.0, v[208:209], 1.0
	s_delay_alu instid0(VALU_DEP_1) | instskip(NEXT) | instid1(VALU_DEP_1)
	v_mul_f64 v[231:232], v[229:230], v[227:228]
	v_fma_f64 v[210:211], -v[210:211], v[231:232], v[229:230]
	s_delay_alu instid0(VALU_DEP_1) | instskip(NEXT) | instid1(VALU_DEP_1)
	v_div_fmas_f64 v[210:211], v[210:211], v[227:228], v[231:232]
	v_div_fixup_f64 v[210:211], v[210:211], v[208:209], 1.0
	s_delay_alu instid0(VALU_DEP_1)
	v_mul_f64 v[208:209], v[225:226], v[210:211]
	v_xor_b32_e32 v211, 0x80000000, v211
.LBB102_742:
	s_and_not1_saveexec_b32 s2, s2
	s_cbranch_execz .LBB102_744
; %bb.743:
	s_delay_alu instid0(VALU_DEP_1) | instskip(SKIP_1) | instid1(VALU_DEP_2)
	v_div_scale_f64 v[225:226], null, v[208:209], v[208:209], v[210:211]
	v_div_scale_f64 v[231:232], vcc_lo, v[210:211], v[208:209], v[210:211]
	v_rcp_f64_e32 v[227:228], v[225:226]
	s_waitcnt_depctr 0xfff
	v_fma_f64 v[229:230], -v[225:226], v[227:228], 1.0
	s_delay_alu instid0(VALU_DEP_1) | instskip(NEXT) | instid1(VALU_DEP_1)
	v_fma_f64 v[227:228], v[227:228], v[229:230], v[227:228]
	v_fma_f64 v[229:230], -v[225:226], v[227:228], 1.0
	s_delay_alu instid0(VALU_DEP_1) | instskip(NEXT) | instid1(VALU_DEP_1)
	v_fma_f64 v[227:228], v[227:228], v[229:230], v[227:228]
	v_mul_f64 v[229:230], v[231:232], v[227:228]
	s_delay_alu instid0(VALU_DEP_1) | instskip(NEXT) | instid1(VALU_DEP_1)
	v_fma_f64 v[225:226], -v[225:226], v[229:230], v[231:232]
	v_div_fmas_f64 v[225:226], v[225:226], v[227:228], v[229:230]
	s_delay_alu instid0(VALU_DEP_1) | instskip(NEXT) | instid1(VALU_DEP_1)
	v_div_fixup_f64 v[225:226], v[225:226], v[208:209], v[210:211]
	v_fma_f64 v[208:209], v[210:211], v[225:226], v[208:209]
	s_delay_alu instid0(VALU_DEP_1) | instskip(NEXT) | instid1(VALU_DEP_1)
	v_div_scale_f64 v[210:211], null, v[208:209], v[208:209], 1.0
	v_rcp_f64_e32 v[227:228], v[210:211]
	s_waitcnt_depctr 0xfff
	v_fma_f64 v[229:230], -v[210:211], v[227:228], 1.0
	s_delay_alu instid0(VALU_DEP_1) | instskip(NEXT) | instid1(VALU_DEP_1)
	v_fma_f64 v[227:228], v[227:228], v[229:230], v[227:228]
	v_fma_f64 v[229:230], -v[210:211], v[227:228], 1.0
	s_delay_alu instid0(VALU_DEP_1) | instskip(SKIP_1) | instid1(VALU_DEP_1)
	v_fma_f64 v[227:228], v[227:228], v[229:230], v[227:228]
	v_div_scale_f64 v[229:230], vcc_lo, 1.0, v[208:209], 1.0
	v_mul_f64 v[231:232], v[229:230], v[227:228]
	s_delay_alu instid0(VALU_DEP_1) | instskip(NEXT) | instid1(VALU_DEP_1)
	v_fma_f64 v[210:211], -v[210:211], v[231:232], v[229:230]
	v_div_fmas_f64 v[210:211], v[210:211], v[227:228], v[231:232]
	s_delay_alu instid0(VALU_DEP_1) | instskip(NEXT) | instid1(VALU_DEP_1)
	v_div_fixup_f64 v[208:209], v[210:211], v[208:209], 1.0
	v_mul_f64 v[210:211], v[225:226], -v[208:209]
.LBB102_744:
	s_or_b32 exec_lo, exec_lo, s2
.LBB102_745:
	s_delay_alu instid0(SALU_CYCLE_1) | instskip(NEXT) | instid1(SALU_CYCLE_1)
	s_or_b32 exec_lo, exec_lo, s3
	s_mov_b32 s2, exec_lo
	v_cmpx_ne_u32_e64 v224, v216
	s_xor_b32 s2, exec_lo, s2
	s_cbranch_execz .LBB102_751
; %bb.746:
	s_mov_b32 s3, exec_lo
	v_cmpx_eq_u32_e32 35, v224
	s_cbranch_execz .LBB102_750
; %bb.747:
	v_cmp_ne_u32_e32 vcc_lo, 35, v216
	s_xor_b32 s6, s4, -1
	s_delay_alu instid0(SALU_CYCLE_1) | instskip(NEXT) | instid1(SALU_CYCLE_1)
	s_and_b32 s7, s6, vcc_lo
	s_and_saveexec_b32 s6, s7
	s_cbranch_execz .LBB102_749
; %bb.748:
	v_ashrrev_i32_e32 v217, 31, v216
	s_delay_alu instid0(VALU_DEP_1) | instskip(NEXT) | instid1(VALU_DEP_1)
	v_lshlrev_b64 v[223:224], 2, v[216:217]
	v_add_co_u32 v223, vcc_lo, v214, v223
	s_delay_alu instid0(VALU_DEP_2)
	v_add_co_ci_u32_e32 v224, vcc_lo, v215, v224, vcc_lo
	s_clause 0x1
	flat_load_b32 v217, v[223:224]
	flat_load_b32 v225, v[214:215] offset:140
	s_waitcnt vmcnt(1) lgkmcnt(1)
	flat_store_b32 v[214:215], v217 offset:140
	s_waitcnt vmcnt(0) lgkmcnt(1)
	flat_store_b32 v[223:224], v225
.LBB102_749:
	s_or_b32 exec_lo, exec_lo, s6
	v_mov_b32_e32 v224, v216
	v_mov_b32_e32 v223, v216
.LBB102_750:
	s_or_b32 exec_lo, exec_lo, s3
.LBB102_751:
	s_and_not1_saveexec_b32 s2, s2
	s_cbranch_execz .LBB102_753
; %bb.752:
	v_mov_b32_e32 v224, 35
	ds_store_2addr_b64 v218, v[60:61], v[62:63] offset0:72 offset1:73
	ds_store_2addr_b64 v218, v[56:57], v[58:59] offset0:74 offset1:75
	ds_store_2addr_b64 v218, v[52:53], v[54:55] offset0:76 offset1:77
	ds_store_2addr_b64 v218, v[48:49], v[50:51] offset0:78 offset1:79
	ds_store_2addr_b64 v218, v[44:45], v[46:47] offset0:80 offset1:81
	ds_store_2addr_b64 v218, v[40:41], v[42:43] offset0:82 offset1:83
	ds_store_2addr_b64 v218, v[36:37], v[38:39] offset0:84 offset1:85
	ds_store_2addr_b64 v218, v[32:33], v[34:35] offset0:86 offset1:87
	ds_store_2addr_b64 v218, v[28:29], v[30:31] offset0:88 offset1:89
	ds_store_2addr_b64 v218, v[24:25], v[26:27] offset0:90 offset1:91
	ds_store_2addr_b64 v218, v[20:21], v[22:23] offset0:92 offset1:93
	ds_store_2addr_b64 v218, v[16:17], v[18:19] offset0:94 offset1:95
	ds_store_2addr_b64 v218, v[12:13], v[14:15] offset0:96 offset1:97
	ds_store_2addr_b64 v218, v[8:9], v[10:11] offset0:98 offset1:99
	ds_store_2addr_b64 v218, v[4:5], v[6:7] offset0:100 offset1:101
	ds_store_2addr_b64 v218, v[0:1], v[2:3] offset0:102 offset1:103
.LBB102_753:
	s_or_b32 exec_lo, exec_lo, s2
	s_delay_alu instid0(SALU_CYCLE_1)
	s_mov_b32 s2, exec_lo
	s_waitcnt lgkmcnt(0)
	s_waitcnt_vscnt null, 0x0
	s_barrier
	buffer_gl0_inv
	v_cmpx_lt_i32_e32 35, v224
	s_cbranch_execz .LBB102_755
; %bb.754:
	v_mul_f64 v[216:217], v[208:209], v[66:67]
	v_mul_f64 v[66:67], v[210:211], v[66:67]
	s_delay_alu instid0(VALU_DEP_2) | instskip(NEXT) | instid1(VALU_DEP_2)
	v_fma_f64 v[216:217], v[210:211], v[64:65], v[216:217]
	v_fma_f64 v[64:65], v[208:209], v[64:65], -v[66:67]
	ds_load_2addr_b64 v[208:211], v218 offset0:72 offset1:73
	s_waitcnt lgkmcnt(0)
	v_mul_f64 v[66:67], v[210:211], v[216:217]
	s_delay_alu instid0(VALU_DEP_1) | instskip(SKIP_1) | instid1(VALU_DEP_2)
	v_fma_f64 v[66:67], v[208:209], v[64:65], -v[66:67]
	v_mul_f64 v[208:209], v[208:209], v[216:217]
	v_add_f64 v[60:61], v[60:61], -v[66:67]
	s_delay_alu instid0(VALU_DEP_2) | instskip(NEXT) | instid1(VALU_DEP_1)
	v_fma_f64 v[208:209], v[210:211], v[64:65], v[208:209]
	v_add_f64 v[62:63], v[62:63], -v[208:209]
	ds_load_2addr_b64 v[208:211], v218 offset0:74 offset1:75
	s_waitcnt lgkmcnt(0)
	v_mul_f64 v[66:67], v[210:211], v[216:217]
	s_delay_alu instid0(VALU_DEP_1) | instskip(SKIP_1) | instid1(VALU_DEP_2)
	v_fma_f64 v[66:67], v[208:209], v[64:65], -v[66:67]
	v_mul_f64 v[208:209], v[208:209], v[216:217]
	v_add_f64 v[56:57], v[56:57], -v[66:67]
	s_delay_alu instid0(VALU_DEP_2) | instskip(NEXT) | instid1(VALU_DEP_1)
	v_fma_f64 v[208:209], v[210:211], v[64:65], v[208:209]
	v_add_f64 v[58:59], v[58:59], -v[208:209]
	;; [unrolled: 10-line block ×15, first 2 shown]
	ds_load_2addr_b64 v[208:211], v218 offset0:102 offset1:103
	s_waitcnt lgkmcnt(0)
	v_mul_f64 v[66:67], v[210:211], v[216:217]
	s_delay_alu instid0(VALU_DEP_1) | instskip(SKIP_1) | instid1(VALU_DEP_2)
	v_fma_f64 v[66:67], v[208:209], v[64:65], -v[66:67]
	v_mul_f64 v[208:209], v[208:209], v[216:217]
	v_add_f64 v[0:1], v[0:1], -v[66:67]
	s_delay_alu instid0(VALU_DEP_2) | instskip(SKIP_1) | instid1(VALU_DEP_2)
	v_fma_f64 v[208:209], v[210:211], v[64:65], v[208:209]
	v_dual_mov_b32 v66, v216 :: v_dual_mov_b32 v67, v217
	v_add_f64 v[2:3], v[2:3], -v[208:209]
.LBB102_755:
	s_or_b32 exec_lo, exec_lo, s2
	v_lshl_add_u32 v208, v224, 4, v218
	s_barrier
	buffer_gl0_inv
	v_mov_b32_e32 v216, 36
	ds_store_2addr_b64 v208, v[60:61], v[62:63] offset1:1
	s_waitcnt lgkmcnt(0)
	s_barrier
	buffer_gl0_inv
	ds_load_2addr_b64 v[208:211], v218 offset0:72 offset1:73
	s_cmp_lt_i32 s5, 38
	s_cbranch_scc1 .LBB102_758
; %bb.756:
	v_add3_u32 v217, v222, 0, 0x250
	v_mov_b32_e32 v216, 36
	s_mov_b32 s6, 37
	s_set_inst_prefetch_distance 0x1
	.p2align	6
.LBB102_757:                            ; =>This Inner Loop Header: Depth=1
	ds_load_2addr_b64 v[225:228], v217 offset1:1
	s_waitcnt lgkmcnt(1)
	v_cmp_gt_f64_e32 vcc_lo, 0, v[208:209]
	v_xor_b32_e32 v229, 0x80000000, v209
	v_cmp_gt_f64_e64 s2, 0, v[210:211]
	v_xor_b32_e32 v231, 0x80000000, v211
	v_add_nc_u32_e32 v217, 16, v217
	s_waitcnt lgkmcnt(0)
	v_cmp_gt_f64_e64 s3, 0, v[225:226]
	v_mov_b32_e32 v233, v225
	v_dual_mov_b32 v235, v227 :: v_dual_cndmask_b32 v230, v209, v229
	v_xor_b32_e32 v229, 0x80000000, v226
	v_cndmask_b32_e64 v232, v211, v231, s2
	v_xor_b32_e32 v231, 0x80000000, v228
	s_delay_alu instid0(VALU_DEP_3) | instskip(SKIP_2) | instid1(VALU_DEP_2)
	v_cndmask_b32_e64 v234, v226, v229, s3
	v_cmp_gt_f64_e64 s3, 0, v[227:228]
	v_cndmask_b32_e32 v229, v208, v208, vcc_lo
	v_cndmask_b32_e64 v236, v228, v231, s3
	v_cndmask_b32_e64 v231, v210, v210, s2
	s_delay_alu instid0(VALU_DEP_2) | instskip(NEXT) | instid1(VALU_DEP_2)
	v_add_f64 v[233:234], v[233:234], v[235:236]
	v_add_f64 v[229:230], v[229:230], v[231:232]
	s_delay_alu instid0(VALU_DEP_1) | instskip(SKIP_4) | instid1(SALU_CYCLE_1)
	v_cmp_lt_f64_e32 vcc_lo, v[229:230], v[233:234]
	v_dual_cndmask_b32 v210, v210, v227 :: v_dual_cndmask_b32 v209, v209, v226
	v_dual_cndmask_b32 v208, v208, v225 :: v_dual_cndmask_b32 v211, v211, v228
	v_cndmask_b32_e64 v216, v216, s6, vcc_lo
	s_add_i32 s6, s6, 1
	s_cmp_lg_u32 s5, s6
	s_cbranch_scc1 .LBB102_757
.LBB102_758:
	s_set_inst_prefetch_distance 0x2
	s_waitcnt lgkmcnt(0)
	v_cmp_eq_f64_e32 vcc_lo, 0, v[208:209]
	v_cmp_eq_f64_e64 s2, 0, v[210:211]
	s_delay_alu instid0(VALU_DEP_1) | instskip(NEXT) | instid1(SALU_CYCLE_1)
	s_and_b32 s2, vcc_lo, s2
	s_and_saveexec_b32 s3, s2
	s_delay_alu instid0(SALU_CYCLE_1)
	s_xor_b32 s2, exec_lo, s3
; %bb.759:
	v_cmp_ne_u32_e32 vcc_lo, 0, v221
	v_cndmask_b32_e32 v221, 37, v221, vcc_lo
; %bb.760:
	s_and_not1_saveexec_b32 s3, s2
	s_cbranch_execz .LBB102_766
; %bb.761:
	v_cmp_gt_f64_e32 vcc_lo, 0, v[208:209]
	v_cmp_gt_f64_e64 s2, 0, v[210:211]
	v_xor_b32_e32 v217, 0x80000000, v209
	v_xor_b32_e32 v225, 0x80000000, v211
	s_delay_alu instid0(VALU_DEP_2) | instskip(NEXT) | instid1(VALU_DEP_2)
	v_cndmask_b32_e32 v226, v209, v217, vcc_lo
	v_cndmask_b32_e64 v228, v211, v225, s2
	v_cndmask_b32_e32 v225, v208, v208, vcc_lo
	v_cndmask_b32_e64 v227, v210, v210, s2
	s_mov_b32 s2, exec_lo
	s_delay_alu instid0(VALU_DEP_1)
	v_cmpx_ngt_f64_e32 v[225:226], v[227:228]
	s_xor_b32 s2, exec_lo, s2
	s_cbranch_execz .LBB102_763
; %bb.762:
	v_div_scale_f64 v[225:226], null, v[210:211], v[210:211], v[208:209]
	v_div_scale_f64 v[231:232], vcc_lo, v[208:209], v[210:211], v[208:209]
	s_delay_alu instid0(VALU_DEP_2) | instskip(SKIP_2) | instid1(VALU_DEP_1)
	v_rcp_f64_e32 v[227:228], v[225:226]
	s_waitcnt_depctr 0xfff
	v_fma_f64 v[229:230], -v[225:226], v[227:228], 1.0
	v_fma_f64 v[227:228], v[227:228], v[229:230], v[227:228]
	s_delay_alu instid0(VALU_DEP_1) | instskip(NEXT) | instid1(VALU_DEP_1)
	v_fma_f64 v[229:230], -v[225:226], v[227:228], 1.0
	v_fma_f64 v[227:228], v[227:228], v[229:230], v[227:228]
	s_delay_alu instid0(VALU_DEP_1) | instskip(NEXT) | instid1(VALU_DEP_1)
	v_mul_f64 v[229:230], v[231:232], v[227:228]
	v_fma_f64 v[225:226], -v[225:226], v[229:230], v[231:232]
	s_delay_alu instid0(VALU_DEP_1) | instskip(NEXT) | instid1(VALU_DEP_1)
	v_div_fmas_f64 v[225:226], v[225:226], v[227:228], v[229:230]
	v_div_fixup_f64 v[225:226], v[225:226], v[210:211], v[208:209]
	s_delay_alu instid0(VALU_DEP_1) | instskip(NEXT) | instid1(VALU_DEP_1)
	v_fma_f64 v[208:209], v[208:209], v[225:226], v[210:211]
	v_div_scale_f64 v[210:211], null, v[208:209], v[208:209], 1.0
	s_delay_alu instid0(VALU_DEP_1) | instskip(SKIP_2) | instid1(VALU_DEP_1)
	v_rcp_f64_e32 v[227:228], v[210:211]
	s_waitcnt_depctr 0xfff
	v_fma_f64 v[229:230], -v[210:211], v[227:228], 1.0
	v_fma_f64 v[227:228], v[227:228], v[229:230], v[227:228]
	s_delay_alu instid0(VALU_DEP_1) | instskip(NEXT) | instid1(VALU_DEP_1)
	v_fma_f64 v[229:230], -v[210:211], v[227:228], 1.0
	v_fma_f64 v[227:228], v[227:228], v[229:230], v[227:228]
	v_div_scale_f64 v[229:230], vcc_lo, 1.0, v[208:209], 1.0
	s_delay_alu instid0(VALU_DEP_1) | instskip(NEXT) | instid1(VALU_DEP_1)
	v_mul_f64 v[231:232], v[229:230], v[227:228]
	v_fma_f64 v[210:211], -v[210:211], v[231:232], v[229:230]
	s_delay_alu instid0(VALU_DEP_1) | instskip(NEXT) | instid1(VALU_DEP_1)
	v_div_fmas_f64 v[210:211], v[210:211], v[227:228], v[231:232]
	v_div_fixup_f64 v[210:211], v[210:211], v[208:209], 1.0
	s_delay_alu instid0(VALU_DEP_1)
	v_mul_f64 v[208:209], v[225:226], v[210:211]
	v_xor_b32_e32 v211, 0x80000000, v211
.LBB102_763:
	s_and_not1_saveexec_b32 s2, s2
	s_cbranch_execz .LBB102_765
; %bb.764:
	s_delay_alu instid0(VALU_DEP_1) | instskip(SKIP_1) | instid1(VALU_DEP_2)
	v_div_scale_f64 v[225:226], null, v[208:209], v[208:209], v[210:211]
	v_div_scale_f64 v[231:232], vcc_lo, v[210:211], v[208:209], v[210:211]
	v_rcp_f64_e32 v[227:228], v[225:226]
	s_waitcnt_depctr 0xfff
	v_fma_f64 v[229:230], -v[225:226], v[227:228], 1.0
	s_delay_alu instid0(VALU_DEP_1) | instskip(NEXT) | instid1(VALU_DEP_1)
	v_fma_f64 v[227:228], v[227:228], v[229:230], v[227:228]
	v_fma_f64 v[229:230], -v[225:226], v[227:228], 1.0
	s_delay_alu instid0(VALU_DEP_1) | instskip(NEXT) | instid1(VALU_DEP_1)
	v_fma_f64 v[227:228], v[227:228], v[229:230], v[227:228]
	v_mul_f64 v[229:230], v[231:232], v[227:228]
	s_delay_alu instid0(VALU_DEP_1) | instskip(NEXT) | instid1(VALU_DEP_1)
	v_fma_f64 v[225:226], -v[225:226], v[229:230], v[231:232]
	v_div_fmas_f64 v[225:226], v[225:226], v[227:228], v[229:230]
	s_delay_alu instid0(VALU_DEP_1) | instskip(NEXT) | instid1(VALU_DEP_1)
	v_div_fixup_f64 v[225:226], v[225:226], v[208:209], v[210:211]
	v_fma_f64 v[208:209], v[210:211], v[225:226], v[208:209]
	s_delay_alu instid0(VALU_DEP_1) | instskip(NEXT) | instid1(VALU_DEP_1)
	v_div_scale_f64 v[210:211], null, v[208:209], v[208:209], 1.0
	v_rcp_f64_e32 v[227:228], v[210:211]
	s_waitcnt_depctr 0xfff
	v_fma_f64 v[229:230], -v[210:211], v[227:228], 1.0
	s_delay_alu instid0(VALU_DEP_1) | instskip(NEXT) | instid1(VALU_DEP_1)
	v_fma_f64 v[227:228], v[227:228], v[229:230], v[227:228]
	v_fma_f64 v[229:230], -v[210:211], v[227:228], 1.0
	s_delay_alu instid0(VALU_DEP_1) | instskip(SKIP_1) | instid1(VALU_DEP_1)
	v_fma_f64 v[227:228], v[227:228], v[229:230], v[227:228]
	v_div_scale_f64 v[229:230], vcc_lo, 1.0, v[208:209], 1.0
	v_mul_f64 v[231:232], v[229:230], v[227:228]
	s_delay_alu instid0(VALU_DEP_1) | instskip(NEXT) | instid1(VALU_DEP_1)
	v_fma_f64 v[210:211], -v[210:211], v[231:232], v[229:230]
	v_div_fmas_f64 v[210:211], v[210:211], v[227:228], v[231:232]
	s_delay_alu instid0(VALU_DEP_1) | instskip(NEXT) | instid1(VALU_DEP_1)
	v_div_fixup_f64 v[208:209], v[210:211], v[208:209], 1.0
	v_mul_f64 v[210:211], v[225:226], -v[208:209]
.LBB102_765:
	s_or_b32 exec_lo, exec_lo, s2
.LBB102_766:
	s_delay_alu instid0(SALU_CYCLE_1) | instskip(NEXT) | instid1(SALU_CYCLE_1)
	s_or_b32 exec_lo, exec_lo, s3
	s_mov_b32 s2, exec_lo
	v_cmpx_ne_u32_e64 v224, v216
	s_xor_b32 s2, exec_lo, s2
	s_cbranch_execz .LBB102_772
; %bb.767:
	s_mov_b32 s3, exec_lo
	v_cmpx_eq_u32_e32 36, v224
	s_cbranch_execz .LBB102_771
; %bb.768:
	v_cmp_ne_u32_e32 vcc_lo, 36, v216
	s_xor_b32 s6, s4, -1
	s_delay_alu instid0(SALU_CYCLE_1) | instskip(NEXT) | instid1(SALU_CYCLE_1)
	s_and_b32 s7, s6, vcc_lo
	s_and_saveexec_b32 s6, s7
	s_cbranch_execz .LBB102_770
; %bb.769:
	v_ashrrev_i32_e32 v217, 31, v216
	s_delay_alu instid0(VALU_DEP_1) | instskip(NEXT) | instid1(VALU_DEP_1)
	v_lshlrev_b64 v[223:224], 2, v[216:217]
	v_add_co_u32 v223, vcc_lo, v214, v223
	s_delay_alu instid0(VALU_DEP_2)
	v_add_co_ci_u32_e32 v224, vcc_lo, v215, v224, vcc_lo
	s_clause 0x1
	flat_load_b32 v217, v[223:224]
	flat_load_b32 v225, v[214:215] offset:144
	s_waitcnt vmcnt(1) lgkmcnt(1)
	flat_store_b32 v[214:215], v217 offset:144
	s_waitcnt vmcnt(0) lgkmcnt(1)
	flat_store_b32 v[223:224], v225
.LBB102_770:
	s_or_b32 exec_lo, exec_lo, s6
	v_mov_b32_e32 v224, v216
	v_mov_b32_e32 v223, v216
.LBB102_771:
	s_or_b32 exec_lo, exec_lo, s3
.LBB102_772:
	s_and_not1_saveexec_b32 s2, s2
	s_cbranch_execz .LBB102_774
; %bb.773:
	v_mov_b32_e32 v224, 36
	ds_store_2addr_b64 v218, v[56:57], v[58:59] offset0:74 offset1:75
	ds_store_2addr_b64 v218, v[52:53], v[54:55] offset0:76 offset1:77
	;; [unrolled: 1-line block ×15, first 2 shown]
.LBB102_774:
	s_or_b32 exec_lo, exec_lo, s2
	s_delay_alu instid0(SALU_CYCLE_1)
	s_mov_b32 s2, exec_lo
	s_waitcnt lgkmcnt(0)
	s_waitcnt_vscnt null, 0x0
	s_barrier
	buffer_gl0_inv
	v_cmpx_lt_i32_e32 36, v224
	s_cbranch_execz .LBB102_776
; %bb.775:
	v_mul_f64 v[216:217], v[208:209], v[62:63]
	v_mul_f64 v[62:63], v[210:211], v[62:63]
	s_delay_alu instid0(VALU_DEP_2) | instskip(NEXT) | instid1(VALU_DEP_2)
	v_fma_f64 v[216:217], v[210:211], v[60:61], v[216:217]
	v_fma_f64 v[60:61], v[208:209], v[60:61], -v[62:63]
	ds_load_2addr_b64 v[208:211], v218 offset0:74 offset1:75
	s_waitcnt lgkmcnt(0)
	v_mul_f64 v[62:63], v[210:211], v[216:217]
	s_delay_alu instid0(VALU_DEP_1) | instskip(SKIP_1) | instid1(VALU_DEP_2)
	v_fma_f64 v[62:63], v[208:209], v[60:61], -v[62:63]
	v_mul_f64 v[208:209], v[208:209], v[216:217]
	v_add_f64 v[56:57], v[56:57], -v[62:63]
	s_delay_alu instid0(VALU_DEP_2) | instskip(NEXT) | instid1(VALU_DEP_1)
	v_fma_f64 v[208:209], v[210:211], v[60:61], v[208:209]
	v_add_f64 v[58:59], v[58:59], -v[208:209]
	ds_load_2addr_b64 v[208:211], v218 offset0:76 offset1:77
	s_waitcnt lgkmcnt(0)
	v_mul_f64 v[62:63], v[210:211], v[216:217]
	s_delay_alu instid0(VALU_DEP_1) | instskip(SKIP_1) | instid1(VALU_DEP_2)
	v_fma_f64 v[62:63], v[208:209], v[60:61], -v[62:63]
	v_mul_f64 v[208:209], v[208:209], v[216:217]
	v_add_f64 v[52:53], v[52:53], -v[62:63]
	s_delay_alu instid0(VALU_DEP_2) | instskip(NEXT) | instid1(VALU_DEP_1)
	v_fma_f64 v[208:209], v[210:211], v[60:61], v[208:209]
	v_add_f64 v[54:55], v[54:55], -v[208:209]
	;; [unrolled: 10-line block ×14, first 2 shown]
	ds_load_2addr_b64 v[208:211], v218 offset0:102 offset1:103
	s_waitcnt lgkmcnt(0)
	v_mul_f64 v[62:63], v[210:211], v[216:217]
	s_delay_alu instid0(VALU_DEP_1) | instskip(SKIP_1) | instid1(VALU_DEP_2)
	v_fma_f64 v[62:63], v[208:209], v[60:61], -v[62:63]
	v_mul_f64 v[208:209], v[208:209], v[216:217]
	v_add_f64 v[0:1], v[0:1], -v[62:63]
	s_delay_alu instid0(VALU_DEP_2) | instskip(SKIP_1) | instid1(VALU_DEP_2)
	v_fma_f64 v[208:209], v[210:211], v[60:61], v[208:209]
	v_dual_mov_b32 v62, v216 :: v_dual_mov_b32 v63, v217
	v_add_f64 v[2:3], v[2:3], -v[208:209]
.LBB102_776:
	s_or_b32 exec_lo, exec_lo, s2
	v_lshl_add_u32 v208, v224, 4, v218
	s_barrier
	buffer_gl0_inv
	v_mov_b32_e32 v216, 37
	ds_store_2addr_b64 v208, v[56:57], v[58:59] offset1:1
	s_waitcnt lgkmcnt(0)
	s_barrier
	buffer_gl0_inv
	ds_load_2addr_b64 v[208:211], v218 offset0:74 offset1:75
	s_cmp_lt_i32 s5, 39
	s_cbranch_scc1 .LBB102_779
; %bb.777:
	v_add3_u32 v217, v222, 0, 0x260
	v_mov_b32_e32 v216, 37
	s_mov_b32 s6, 38
	s_set_inst_prefetch_distance 0x1
	.p2align	6
.LBB102_778:                            ; =>This Inner Loop Header: Depth=1
	ds_load_2addr_b64 v[225:228], v217 offset1:1
	s_waitcnt lgkmcnt(1)
	v_cmp_gt_f64_e32 vcc_lo, 0, v[208:209]
	v_xor_b32_e32 v229, 0x80000000, v209
	v_cmp_gt_f64_e64 s2, 0, v[210:211]
	v_xor_b32_e32 v231, 0x80000000, v211
	v_add_nc_u32_e32 v217, 16, v217
	s_waitcnt lgkmcnt(0)
	v_cmp_gt_f64_e64 s3, 0, v[225:226]
	v_mov_b32_e32 v233, v225
	v_dual_mov_b32 v235, v227 :: v_dual_cndmask_b32 v230, v209, v229
	v_xor_b32_e32 v229, 0x80000000, v226
	v_cndmask_b32_e64 v232, v211, v231, s2
	v_xor_b32_e32 v231, 0x80000000, v228
	s_delay_alu instid0(VALU_DEP_3) | instskip(SKIP_2) | instid1(VALU_DEP_2)
	v_cndmask_b32_e64 v234, v226, v229, s3
	v_cmp_gt_f64_e64 s3, 0, v[227:228]
	v_cndmask_b32_e32 v229, v208, v208, vcc_lo
	v_cndmask_b32_e64 v236, v228, v231, s3
	v_cndmask_b32_e64 v231, v210, v210, s2
	s_delay_alu instid0(VALU_DEP_2) | instskip(NEXT) | instid1(VALU_DEP_2)
	v_add_f64 v[233:234], v[233:234], v[235:236]
	v_add_f64 v[229:230], v[229:230], v[231:232]
	s_delay_alu instid0(VALU_DEP_1) | instskip(SKIP_4) | instid1(SALU_CYCLE_1)
	v_cmp_lt_f64_e32 vcc_lo, v[229:230], v[233:234]
	v_dual_cndmask_b32 v210, v210, v227 :: v_dual_cndmask_b32 v209, v209, v226
	v_dual_cndmask_b32 v208, v208, v225 :: v_dual_cndmask_b32 v211, v211, v228
	v_cndmask_b32_e64 v216, v216, s6, vcc_lo
	s_add_i32 s6, s6, 1
	s_cmp_lg_u32 s5, s6
	s_cbranch_scc1 .LBB102_778
.LBB102_779:
	s_set_inst_prefetch_distance 0x2
	s_waitcnt lgkmcnt(0)
	v_cmp_eq_f64_e32 vcc_lo, 0, v[208:209]
	v_cmp_eq_f64_e64 s2, 0, v[210:211]
	s_delay_alu instid0(VALU_DEP_1) | instskip(NEXT) | instid1(SALU_CYCLE_1)
	s_and_b32 s2, vcc_lo, s2
	s_and_saveexec_b32 s3, s2
	s_delay_alu instid0(SALU_CYCLE_1)
	s_xor_b32 s2, exec_lo, s3
; %bb.780:
	v_cmp_ne_u32_e32 vcc_lo, 0, v221
	v_cndmask_b32_e32 v221, 38, v221, vcc_lo
; %bb.781:
	s_and_not1_saveexec_b32 s3, s2
	s_cbranch_execz .LBB102_787
; %bb.782:
	v_cmp_gt_f64_e32 vcc_lo, 0, v[208:209]
	v_cmp_gt_f64_e64 s2, 0, v[210:211]
	v_xor_b32_e32 v217, 0x80000000, v209
	v_xor_b32_e32 v225, 0x80000000, v211
	s_delay_alu instid0(VALU_DEP_2) | instskip(NEXT) | instid1(VALU_DEP_2)
	v_cndmask_b32_e32 v226, v209, v217, vcc_lo
	v_cndmask_b32_e64 v228, v211, v225, s2
	v_cndmask_b32_e32 v225, v208, v208, vcc_lo
	v_cndmask_b32_e64 v227, v210, v210, s2
	s_mov_b32 s2, exec_lo
	s_delay_alu instid0(VALU_DEP_1)
	v_cmpx_ngt_f64_e32 v[225:226], v[227:228]
	s_xor_b32 s2, exec_lo, s2
	s_cbranch_execz .LBB102_784
; %bb.783:
	v_div_scale_f64 v[225:226], null, v[210:211], v[210:211], v[208:209]
	v_div_scale_f64 v[231:232], vcc_lo, v[208:209], v[210:211], v[208:209]
	s_delay_alu instid0(VALU_DEP_2) | instskip(SKIP_2) | instid1(VALU_DEP_1)
	v_rcp_f64_e32 v[227:228], v[225:226]
	s_waitcnt_depctr 0xfff
	v_fma_f64 v[229:230], -v[225:226], v[227:228], 1.0
	v_fma_f64 v[227:228], v[227:228], v[229:230], v[227:228]
	s_delay_alu instid0(VALU_DEP_1) | instskip(NEXT) | instid1(VALU_DEP_1)
	v_fma_f64 v[229:230], -v[225:226], v[227:228], 1.0
	v_fma_f64 v[227:228], v[227:228], v[229:230], v[227:228]
	s_delay_alu instid0(VALU_DEP_1) | instskip(NEXT) | instid1(VALU_DEP_1)
	v_mul_f64 v[229:230], v[231:232], v[227:228]
	v_fma_f64 v[225:226], -v[225:226], v[229:230], v[231:232]
	s_delay_alu instid0(VALU_DEP_1) | instskip(NEXT) | instid1(VALU_DEP_1)
	v_div_fmas_f64 v[225:226], v[225:226], v[227:228], v[229:230]
	v_div_fixup_f64 v[225:226], v[225:226], v[210:211], v[208:209]
	s_delay_alu instid0(VALU_DEP_1) | instskip(NEXT) | instid1(VALU_DEP_1)
	v_fma_f64 v[208:209], v[208:209], v[225:226], v[210:211]
	v_div_scale_f64 v[210:211], null, v[208:209], v[208:209], 1.0
	s_delay_alu instid0(VALU_DEP_1) | instskip(SKIP_2) | instid1(VALU_DEP_1)
	v_rcp_f64_e32 v[227:228], v[210:211]
	s_waitcnt_depctr 0xfff
	v_fma_f64 v[229:230], -v[210:211], v[227:228], 1.0
	v_fma_f64 v[227:228], v[227:228], v[229:230], v[227:228]
	s_delay_alu instid0(VALU_DEP_1) | instskip(NEXT) | instid1(VALU_DEP_1)
	v_fma_f64 v[229:230], -v[210:211], v[227:228], 1.0
	v_fma_f64 v[227:228], v[227:228], v[229:230], v[227:228]
	v_div_scale_f64 v[229:230], vcc_lo, 1.0, v[208:209], 1.0
	s_delay_alu instid0(VALU_DEP_1) | instskip(NEXT) | instid1(VALU_DEP_1)
	v_mul_f64 v[231:232], v[229:230], v[227:228]
	v_fma_f64 v[210:211], -v[210:211], v[231:232], v[229:230]
	s_delay_alu instid0(VALU_DEP_1) | instskip(NEXT) | instid1(VALU_DEP_1)
	v_div_fmas_f64 v[210:211], v[210:211], v[227:228], v[231:232]
	v_div_fixup_f64 v[210:211], v[210:211], v[208:209], 1.0
	s_delay_alu instid0(VALU_DEP_1)
	v_mul_f64 v[208:209], v[225:226], v[210:211]
	v_xor_b32_e32 v211, 0x80000000, v211
.LBB102_784:
	s_and_not1_saveexec_b32 s2, s2
	s_cbranch_execz .LBB102_786
; %bb.785:
	s_delay_alu instid0(VALU_DEP_1) | instskip(SKIP_1) | instid1(VALU_DEP_2)
	v_div_scale_f64 v[225:226], null, v[208:209], v[208:209], v[210:211]
	v_div_scale_f64 v[231:232], vcc_lo, v[210:211], v[208:209], v[210:211]
	v_rcp_f64_e32 v[227:228], v[225:226]
	s_waitcnt_depctr 0xfff
	v_fma_f64 v[229:230], -v[225:226], v[227:228], 1.0
	s_delay_alu instid0(VALU_DEP_1) | instskip(NEXT) | instid1(VALU_DEP_1)
	v_fma_f64 v[227:228], v[227:228], v[229:230], v[227:228]
	v_fma_f64 v[229:230], -v[225:226], v[227:228], 1.0
	s_delay_alu instid0(VALU_DEP_1) | instskip(NEXT) | instid1(VALU_DEP_1)
	v_fma_f64 v[227:228], v[227:228], v[229:230], v[227:228]
	v_mul_f64 v[229:230], v[231:232], v[227:228]
	s_delay_alu instid0(VALU_DEP_1) | instskip(NEXT) | instid1(VALU_DEP_1)
	v_fma_f64 v[225:226], -v[225:226], v[229:230], v[231:232]
	v_div_fmas_f64 v[225:226], v[225:226], v[227:228], v[229:230]
	s_delay_alu instid0(VALU_DEP_1) | instskip(NEXT) | instid1(VALU_DEP_1)
	v_div_fixup_f64 v[225:226], v[225:226], v[208:209], v[210:211]
	v_fma_f64 v[208:209], v[210:211], v[225:226], v[208:209]
	s_delay_alu instid0(VALU_DEP_1) | instskip(NEXT) | instid1(VALU_DEP_1)
	v_div_scale_f64 v[210:211], null, v[208:209], v[208:209], 1.0
	v_rcp_f64_e32 v[227:228], v[210:211]
	s_waitcnt_depctr 0xfff
	v_fma_f64 v[229:230], -v[210:211], v[227:228], 1.0
	s_delay_alu instid0(VALU_DEP_1) | instskip(NEXT) | instid1(VALU_DEP_1)
	v_fma_f64 v[227:228], v[227:228], v[229:230], v[227:228]
	v_fma_f64 v[229:230], -v[210:211], v[227:228], 1.0
	s_delay_alu instid0(VALU_DEP_1) | instskip(SKIP_1) | instid1(VALU_DEP_1)
	v_fma_f64 v[227:228], v[227:228], v[229:230], v[227:228]
	v_div_scale_f64 v[229:230], vcc_lo, 1.0, v[208:209], 1.0
	v_mul_f64 v[231:232], v[229:230], v[227:228]
	s_delay_alu instid0(VALU_DEP_1) | instskip(NEXT) | instid1(VALU_DEP_1)
	v_fma_f64 v[210:211], -v[210:211], v[231:232], v[229:230]
	v_div_fmas_f64 v[210:211], v[210:211], v[227:228], v[231:232]
	s_delay_alu instid0(VALU_DEP_1) | instskip(NEXT) | instid1(VALU_DEP_1)
	v_div_fixup_f64 v[208:209], v[210:211], v[208:209], 1.0
	v_mul_f64 v[210:211], v[225:226], -v[208:209]
.LBB102_786:
	s_or_b32 exec_lo, exec_lo, s2
.LBB102_787:
	s_delay_alu instid0(SALU_CYCLE_1) | instskip(NEXT) | instid1(SALU_CYCLE_1)
	s_or_b32 exec_lo, exec_lo, s3
	s_mov_b32 s2, exec_lo
	v_cmpx_ne_u32_e64 v224, v216
	s_xor_b32 s2, exec_lo, s2
	s_cbranch_execz .LBB102_793
; %bb.788:
	s_mov_b32 s3, exec_lo
	v_cmpx_eq_u32_e32 37, v224
	s_cbranch_execz .LBB102_792
; %bb.789:
	v_cmp_ne_u32_e32 vcc_lo, 37, v216
	s_xor_b32 s6, s4, -1
	s_delay_alu instid0(SALU_CYCLE_1) | instskip(NEXT) | instid1(SALU_CYCLE_1)
	s_and_b32 s7, s6, vcc_lo
	s_and_saveexec_b32 s6, s7
	s_cbranch_execz .LBB102_791
; %bb.790:
	v_ashrrev_i32_e32 v217, 31, v216
	s_delay_alu instid0(VALU_DEP_1) | instskip(NEXT) | instid1(VALU_DEP_1)
	v_lshlrev_b64 v[223:224], 2, v[216:217]
	v_add_co_u32 v223, vcc_lo, v214, v223
	s_delay_alu instid0(VALU_DEP_2)
	v_add_co_ci_u32_e32 v224, vcc_lo, v215, v224, vcc_lo
	s_clause 0x1
	flat_load_b32 v217, v[223:224]
	flat_load_b32 v225, v[214:215] offset:148
	s_waitcnt vmcnt(1) lgkmcnt(1)
	flat_store_b32 v[214:215], v217 offset:148
	s_waitcnt vmcnt(0) lgkmcnt(1)
	flat_store_b32 v[223:224], v225
.LBB102_791:
	s_or_b32 exec_lo, exec_lo, s6
	v_mov_b32_e32 v224, v216
	v_mov_b32_e32 v223, v216
.LBB102_792:
	s_or_b32 exec_lo, exec_lo, s3
.LBB102_793:
	s_and_not1_saveexec_b32 s2, s2
	s_cbranch_execz .LBB102_795
; %bb.794:
	v_mov_b32_e32 v224, 37
	ds_store_2addr_b64 v218, v[52:53], v[54:55] offset0:76 offset1:77
	ds_store_2addr_b64 v218, v[48:49], v[50:51] offset0:78 offset1:79
	;; [unrolled: 1-line block ×14, first 2 shown]
.LBB102_795:
	s_or_b32 exec_lo, exec_lo, s2
	s_delay_alu instid0(SALU_CYCLE_1)
	s_mov_b32 s2, exec_lo
	s_waitcnt lgkmcnt(0)
	s_waitcnt_vscnt null, 0x0
	s_barrier
	buffer_gl0_inv
	v_cmpx_lt_i32_e32 37, v224
	s_cbranch_execz .LBB102_797
; %bb.796:
	v_mul_f64 v[216:217], v[208:209], v[58:59]
	v_mul_f64 v[58:59], v[210:211], v[58:59]
	s_delay_alu instid0(VALU_DEP_2) | instskip(NEXT) | instid1(VALU_DEP_2)
	v_fma_f64 v[216:217], v[210:211], v[56:57], v[216:217]
	v_fma_f64 v[56:57], v[208:209], v[56:57], -v[58:59]
	ds_load_2addr_b64 v[208:211], v218 offset0:76 offset1:77
	s_waitcnt lgkmcnt(0)
	v_mul_f64 v[58:59], v[210:211], v[216:217]
	s_delay_alu instid0(VALU_DEP_1) | instskip(SKIP_1) | instid1(VALU_DEP_2)
	v_fma_f64 v[58:59], v[208:209], v[56:57], -v[58:59]
	v_mul_f64 v[208:209], v[208:209], v[216:217]
	v_add_f64 v[52:53], v[52:53], -v[58:59]
	s_delay_alu instid0(VALU_DEP_2) | instskip(NEXT) | instid1(VALU_DEP_1)
	v_fma_f64 v[208:209], v[210:211], v[56:57], v[208:209]
	v_add_f64 v[54:55], v[54:55], -v[208:209]
	ds_load_2addr_b64 v[208:211], v218 offset0:78 offset1:79
	s_waitcnt lgkmcnt(0)
	v_mul_f64 v[58:59], v[210:211], v[216:217]
	s_delay_alu instid0(VALU_DEP_1) | instskip(SKIP_1) | instid1(VALU_DEP_2)
	v_fma_f64 v[58:59], v[208:209], v[56:57], -v[58:59]
	v_mul_f64 v[208:209], v[208:209], v[216:217]
	v_add_f64 v[48:49], v[48:49], -v[58:59]
	s_delay_alu instid0(VALU_DEP_2) | instskip(NEXT) | instid1(VALU_DEP_1)
	v_fma_f64 v[208:209], v[210:211], v[56:57], v[208:209]
	v_add_f64 v[50:51], v[50:51], -v[208:209]
	ds_load_2addr_b64 v[208:211], v218 offset0:80 offset1:81
	s_waitcnt lgkmcnt(0)
	v_mul_f64 v[58:59], v[210:211], v[216:217]
	s_delay_alu instid0(VALU_DEP_1) | instskip(SKIP_1) | instid1(VALU_DEP_2)
	v_fma_f64 v[58:59], v[208:209], v[56:57], -v[58:59]
	v_mul_f64 v[208:209], v[208:209], v[216:217]
	v_add_f64 v[44:45], v[44:45], -v[58:59]
	s_delay_alu instid0(VALU_DEP_2) | instskip(NEXT) | instid1(VALU_DEP_1)
	v_fma_f64 v[208:209], v[210:211], v[56:57], v[208:209]
	v_add_f64 v[46:47], v[46:47], -v[208:209]
	ds_load_2addr_b64 v[208:211], v218 offset0:82 offset1:83
	s_waitcnt lgkmcnt(0)
	v_mul_f64 v[58:59], v[210:211], v[216:217]
	s_delay_alu instid0(VALU_DEP_1) | instskip(SKIP_1) | instid1(VALU_DEP_2)
	v_fma_f64 v[58:59], v[208:209], v[56:57], -v[58:59]
	v_mul_f64 v[208:209], v[208:209], v[216:217]
	v_add_f64 v[40:41], v[40:41], -v[58:59]
	s_delay_alu instid0(VALU_DEP_2) | instskip(NEXT) | instid1(VALU_DEP_1)
	v_fma_f64 v[208:209], v[210:211], v[56:57], v[208:209]
	v_add_f64 v[42:43], v[42:43], -v[208:209]
	ds_load_2addr_b64 v[208:211], v218 offset0:84 offset1:85
	s_waitcnt lgkmcnt(0)
	v_mul_f64 v[58:59], v[210:211], v[216:217]
	s_delay_alu instid0(VALU_DEP_1) | instskip(SKIP_1) | instid1(VALU_DEP_2)
	v_fma_f64 v[58:59], v[208:209], v[56:57], -v[58:59]
	v_mul_f64 v[208:209], v[208:209], v[216:217]
	v_add_f64 v[36:37], v[36:37], -v[58:59]
	s_delay_alu instid0(VALU_DEP_2) | instskip(NEXT) | instid1(VALU_DEP_1)
	v_fma_f64 v[208:209], v[210:211], v[56:57], v[208:209]
	v_add_f64 v[38:39], v[38:39], -v[208:209]
	ds_load_2addr_b64 v[208:211], v218 offset0:86 offset1:87
	s_waitcnt lgkmcnt(0)
	v_mul_f64 v[58:59], v[210:211], v[216:217]
	s_delay_alu instid0(VALU_DEP_1) | instskip(SKIP_1) | instid1(VALU_DEP_2)
	v_fma_f64 v[58:59], v[208:209], v[56:57], -v[58:59]
	v_mul_f64 v[208:209], v[208:209], v[216:217]
	v_add_f64 v[32:33], v[32:33], -v[58:59]
	s_delay_alu instid0(VALU_DEP_2) | instskip(NEXT) | instid1(VALU_DEP_1)
	v_fma_f64 v[208:209], v[210:211], v[56:57], v[208:209]
	v_add_f64 v[34:35], v[34:35], -v[208:209]
	ds_load_2addr_b64 v[208:211], v218 offset0:88 offset1:89
	s_waitcnt lgkmcnt(0)
	v_mul_f64 v[58:59], v[210:211], v[216:217]
	s_delay_alu instid0(VALU_DEP_1) | instskip(SKIP_1) | instid1(VALU_DEP_2)
	v_fma_f64 v[58:59], v[208:209], v[56:57], -v[58:59]
	v_mul_f64 v[208:209], v[208:209], v[216:217]
	v_add_f64 v[28:29], v[28:29], -v[58:59]
	s_delay_alu instid0(VALU_DEP_2) | instskip(NEXT) | instid1(VALU_DEP_1)
	v_fma_f64 v[208:209], v[210:211], v[56:57], v[208:209]
	v_add_f64 v[30:31], v[30:31], -v[208:209]
	ds_load_2addr_b64 v[208:211], v218 offset0:90 offset1:91
	s_waitcnt lgkmcnt(0)
	v_mul_f64 v[58:59], v[210:211], v[216:217]
	s_delay_alu instid0(VALU_DEP_1) | instskip(SKIP_1) | instid1(VALU_DEP_2)
	v_fma_f64 v[58:59], v[208:209], v[56:57], -v[58:59]
	v_mul_f64 v[208:209], v[208:209], v[216:217]
	v_add_f64 v[24:25], v[24:25], -v[58:59]
	s_delay_alu instid0(VALU_DEP_2) | instskip(NEXT) | instid1(VALU_DEP_1)
	v_fma_f64 v[208:209], v[210:211], v[56:57], v[208:209]
	v_add_f64 v[26:27], v[26:27], -v[208:209]
	ds_load_2addr_b64 v[208:211], v218 offset0:92 offset1:93
	s_waitcnt lgkmcnt(0)
	v_mul_f64 v[58:59], v[210:211], v[216:217]
	s_delay_alu instid0(VALU_DEP_1) | instskip(SKIP_1) | instid1(VALU_DEP_2)
	v_fma_f64 v[58:59], v[208:209], v[56:57], -v[58:59]
	v_mul_f64 v[208:209], v[208:209], v[216:217]
	v_add_f64 v[20:21], v[20:21], -v[58:59]
	s_delay_alu instid0(VALU_DEP_2) | instskip(NEXT) | instid1(VALU_DEP_1)
	v_fma_f64 v[208:209], v[210:211], v[56:57], v[208:209]
	v_add_f64 v[22:23], v[22:23], -v[208:209]
	ds_load_2addr_b64 v[208:211], v218 offset0:94 offset1:95
	s_waitcnt lgkmcnt(0)
	v_mul_f64 v[58:59], v[210:211], v[216:217]
	s_delay_alu instid0(VALU_DEP_1) | instskip(SKIP_1) | instid1(VALU_DEP_2)
	v_fma_f64 v[58:59], v[208:209], v[56:57], -v[58:59]
	v_mul_f64 v[208:209], v[208:209], v[216:217]
	v_add_f64 v[16:17], v[16:17], -v[58:59]
	s_delay_alu instid0(VALU_DEP_2) | instskip(NEXT) | instid1(VALU_DEP_1)
	v_fma_f64 v[208:209], v[210:211], v[56:57], v[208:209]
	v_add_f64 v[18:19], v[18:19], -v[208:209]
	ds_load_2addr_b64 v[208:211], v218 offset0:96 offset1:97
	s_waitcnt lgkmcnt(0)
	v_mul_f64 v[58:59], v[210:211], v[216:217]
	s_delay_alu instid0(VALU_DEP_1) | instskip(SKIP_1) | instid1(VALU_DEP_2)
	v_fma_f64 v[58:59], v[208:209], v[56:57], -v[58:59]
	v_mul_f64 v[208:209], v[208:209], v[216:217]
	v_add_f64 v[12:13], v[12:13], -v[58:59]
	s_delay_alu instid0(VALU_DEP_2) | instskip(NEXT) | instid1(VALU_DEP_1)
	v_fma_f64 v[208:209], v[210:211], v[56:57], v[208:209]
	v_add_f64 v[14:15], v[14:15], -v[208:209]
	ds_load_2addr_b64 v[208:211], v218 offset0:98 offset1:99
	s_waitcnt lgkmcnt(0)
	v_mul_f64 v[58:59], v[210:211], v[216:217]
	s_delay_alu instid0(VALU_DEP_1) | instskip(SKIP_1) | instid1(VALU_DEP_2)
	v_fma_f64 v[58:59], v[208:209], v[56:57], -v[58:59]
	v_mul_f64 v[208:209], v[208:209], v[216:217]
	v_add_f64 v[8:9], v[8:9], -v[58:59]
	s_delay_alu instid0(VALU_DEP_2) | instskip(NEXT) | instid1(VALU_DEP_1)
	v_fma_f64 v[208:209], v[210:211], v[56:57], v[208:209]
	v_add_f64 v[10:11], v[10:11], -v[208:209]
	ds_load_2addr_b64 v[208:211], v218 offset0:100 offset1:101
	s_waitcnt lgkmcnt(0)
	v_mul_f64 v[58:59], v[210:211], v[216:217]
	s_delay_alu instid0(VALU_DEP_1) | instskip(SKIP_1) | instid1(VALU_DEP_2)
	v_fma_f64 v[58:59], v[208:209], v[56:57], -v[58:59]
	v_mul_f64 v[208:209], v[208:209], v[216:217]
	v_add_f64 v[4:5], v[4:5], -v[58:59]
	s_delay_alu instid0(VALU_DEP_2) | instskip(NEXT) | instid1(VALU_DEP_1)
	v_fma_f64 v[208:209], v[210:211], v[56:57], v[208:209]
	v_add_f64 v[6:7], v[6:7], -v[208:209]
	ds_load_2addr_b64 v[208:211], v218 offset0:102 offset1:103
	s_waitcnt lgkmcnt(0)
	v_mul_f64 v[58:59], v[210:211], v[216:217]
	s_delay_alu instid0(VALU_DEP_1) | instskip(SKIP_1) | instid1(VALU_DEP_2)
	v_fma_f64 v[58:59], v[208:209], v[56:57], -v[58:59]
	v_mul_f64 v[208:209], v[208:209], v[216:217]
	v_add_f64 v[0:1], v[0:1], -v[58:59]
	s_delay_alu instid0(VALU_DEP_2) | instskip(SKIP_1) | instid1(VALU_DEP_2)
	v_fma_f64 v[208:209], v[210:211], v[56:57], v[208:209]
	v_dual_mov_b32 v58, v216 :: v_dual_mov_b32 v59, v217
	v_add_f64 v[2:3], v[2:3], -v[208:209]
.LBB102_797:
	s_or_b32 exec_lo, exec_lo, s2
	v_lshl_add_u32 v208, v224, 4, v218
	s_barrier
	buffer_gl0_inv
	v_mov_b32_e32 v216, 38
	ds_store_2addr_b64 v208, v[52:53], v[54:55] offset1:1
	s_waitcnt lgkmcnt(0)
	s_barrier
	buffer_gl0_inv
	ds_load_2addr_b64 v[208:211], v218 offset0:76 offset1:77
	s_cmp_lt_i32 s5, 40
	s_cbranch_scc1 .LBB102_800
; %bb.798:
	v_add3_u32 v217, v222, 0, 0x270
	v_mov_b32_e32 v216, 38
	s_mov_b32 s6, 39
	s_set_inst_prefetch_distance 0x1
	.p2align	6
.LBB102_799:                            ; =>This Inner Loop Header: Depth=1
	ds_load_2addr_b64 v[225:228], v217 offset1:1
	s_waitcnt lgkmcnt(1)
	v_cmp_gt_f64_e32 vcc_lo, 0, v[208:209]
	v_xor_b32_e32 v229, 0x80000000, v209
	v_cmp_gt_f64_e64 s2, 0, v[210:211]
	v_xor_b32_e32 v231, 0x80000000, v211
	v_add_nc_u32_e32 v217, 16, v217
	s_waitcnt lgkmcnt(0)
	v_cmp_gt_f64_e64 s3, 0, v[225:226]
	v_mov_b32_e32 v233, v225
	v_dual_mov_b32 v235, v227 :: v_dual_cndmask_b32 v230, v209, v229
	v_xor_b32_e32 v229, 0x80000000, v226
	v_cndmask_b32_e64 v232, v211, v231, s2
	v_xor_b32_e32 v231, 0x80000000, v228
	s_delay_alu instid0(VALU_DEP_3) | instskip(SKIP_2) | instid1(VALU_DEP_2)
	v_cndmask_b32_e64 v234, v226, v229, s3
	v_cmp_gt_f64_e64 s3, 0, v[227:228]
	v_cndmask_b32_e32 v229, v208, v208, vcc_lo
	v_cndmask_b32_e64 v236, v228, v231, s3
	v_cndmask_b32_e64 v231, v210, v210, s2
	s_delay_alu instid0(VALU_DEP_2) | instskip(NEXT) | instid1(VALU_DEP_2)
	v_add_f64 v[233:234], v[233:234], v[235:236]
	v_add_f64 v[229:230], v[229:230], v[231:232]
	s_delay_alu instid0(VALU_DEP_1) | instskip(SKIP_4) | instid1(SALU_CYCLE_1)
	v_cmp_lt_f64_e32 vcc_lo, v[229:230], v[233:234]
	v_dual_cndmask_b32 v210, v210, v227 :: v_dual_cndmask_b32 v209, v209, v226
	v_dual_cndmask_b32 v208, v208, v225 :: v_dual_cndmask_b32 v211, v211, v228
	v_cndmask_b32_e64 v216, v216, s6, vcc_lo
	s_add_i32 s6, s6, 1
	s_cmp_lg_u32 s5, s6
	s_cbranch_scc1 .LBB102_799
.LBB102_800:
	s_set_inst_prefetch_distance 0x2
	s_waitcnt lgkmcnt(0)
	v_cmp_eq_f64_e32 vcc_lo, 0, v[208:209]
	v_cmp_eq_f64_e64 s2, 0, v[210:211]
	s_delay_alu instid0(VALU_DEP_1) | instskip(NEXT) | instid1(SALU_CYCLE_1)
	s_and_b32 s2, vcc_lo, s2
	s_and_saveexec_b32 s3, s2
	s_delay_alu instid0(SALU_CYCLE_1)
	s_xor_b32 s2, exec_lo, s3
; %bb.801:
	v_cmp_ne_u32_e32 vcc_lo, 0, v221
	v_cndmask_b32_e32 v221, 39, v221, vcc_lo
; %bb.802:
	s_and_not1_saveexec_b32 s3, s2
	s_cbranch_execz .LBB102_808
; %bb.803:
	v_cmp_gt_f64_e32 vcc_lo, 0, v[208:209]
	v_cmp_gt_f64_e64 s2, 0, v[210:211]
	v_xor_b32_e32 v217, 0x80000000, v209
	v_xor_b32_e32 v225, 0x80000000, v211
	s_delay_alu instid0(VALU_DEP_2) | instskip(NEXT) | instid1(VALU_DEP_2)
	v_cndmask_b32_e32 v226, v209, v217, vcc_lo
	v_cndmask_b32_e64 v228, v211, v225, s2
	v_cndmask_b32_e32 v225, v208, v208, vcc_lo
	v_cndmask_b32_e64 v227, v210, v210, s2
	s_mov_b32 s2, exec_lo
	s_delay_alu instid0(VALU_DEP_1)
	v_cmpx_ngt_f64_e32 v[225:226], v[227:228]
	s_xor_b32 s2, exec_lo, s2
	s_cbranch_execz .LBB102_805
; %bb.804:
	v_div_scale_f64 v[225:226], null, v[210:211], v[210:211], v[208:209]
	v_div_scale_f64 v[231:232], vcc_lo, v[208:209], v[210:211], v[208:209]
	s_delay_alu instid0(VALU_DEP_2) | instskip(SKIP_2) | instid1(VALU_DEP_1)
	v_rcp_f64_e32 v[227:228], v[225:226]
	s_waitcnt_depctr 0xfff
	v_fma_f64 v[229:230], -v[225:226], v[227:228], 1.0
	v_fma_f64 v[227:228], v[227:228], v[229:230], v[227:228]
	s_delay_alu instid0(VALU_DEP_1) | instskip(NEXT) | instid1(VALU_DEP_1)
	v_fma_f64 v[229:230], -v[225:226], v[227:228], 1.0
	v_fma_f64 v[227:228], v[227:228], v[229:230], v[227:228]
	s_delay_alu instid0(VALU_DEP_1) | instskip(NEXT) | instid1(VALU_DEP_1)
	v_mul_f64 v[229:230], v[231:232], v[227:228]
	v_fma_f64 v[225:226], -v[225:226], v[229:230], v[231:232]
	s_delay_alu instid0(VALU_DEP_1) | instskip(NEXT) | instid1(VALU_DEP_1)
	v_div_fmas_f64 v[225:226], v[225:226], v[227:228], v[229:230]
	v_div_fixup_f64 v[225:226], v[225:226], v[210:211], v[208:209]
	s_delay_alu instid0(VALU_DEP_1) | instskip(NEXT) | instid1(VALU_DEP_1)
	v_fma_f64 v[208:209], v[208:209], v[225:226], v[210:211]
	v_div_scale_f64 v[210:211], null, v[208:209], v[208:209], 1.0
	s_delay_alu instid0(VALU_DEP_1) | instskip(SKIP_2) | instid1(VALU_DEP_1)
	v_rcp_f64_e32 v[227:228], v[210:211]
	s_waitcnt_depctr 0xfff
	v_fma_f64 v[229:230], -v[210:211], v[227:228], 1.0
	v_fma_f64 v[227:228], v[227:228], v[229:230], v[227:228]
	s_delay_alu instid0(VALU_DEP_1) | instskip(NEXT) | instid1(VALU_DEP_1)
	v_fma_f64 v[229:230], -v[210:211], v[227:228], 1.0
	v_fma_f64 v[227:228], v[227:228], v[229:230], v[227:228]
	v_div_scale_f64 v[229:230], vcc_lo, 1.0, v[208:209], 1.0
	s_delay_alu instid0(VALU_DEP_1) | instskip(NEXT) | instid1(VALU_DEP_1)
	v_mul_f64 v[231:232], v[229:230], v[227:228]
	v_fma_f64 v[210:211], -v[210:211], v[231:232], v[229:230]
	s_delay_alu instid0(VALU_DEP_1) | instskip(NEXT) | instid1(VALU_DEP_1)
	v_div_fmas_f64 v[210:211], v[210:211], v[227:228], v[231:232]
	v_div_fixup_f64 v[210:211], v[210:211], v[208:209], 1.0
	s_delay_alu instid0(VALU_DEP_1)
	v_mul_f64 v[208:209], v[225:226], v[210:211]
	v_xor_b32_e32 v211, 0x80000000, v211
.LBB102_805:
	s_and_not1_saveexec_b32 s2, s2
	s_cbranch_execz .LBB102_807
; %bb.806:
	s_delay_alu instid0(VALU_DEP_1) | instskip(SKIP_1) | instid1(VALU_DEP_2)
	v_div_scale_f64 v[225:226], null, v[208:209], v[208:209], v[210:211]
	v_div_scale_f64 v[231:232], vcc_lo, v[210:211], v[208:209], v[210:211]
	v_rcp_f64_e32 v[227:228], v[225:226]
	s_waitcnt_depctr 0xfff
	v_fma_f64 v[229:230], -v[225:226], v[227:228], 1.0
	s_delay_alu instid0(VALU_DEP_1) | instskip(NEXT) | instid1(VALU_DEP_1)
	v_fma_f64 v[227:228], v[227:228], v[229:230], v[227:228]
	v_fma_f64 v[229:230], -v[225:226], v[227:228], 1.0
	s_delay_alu instid0(VALU_DEP_1) | instskip(NEXT) | instid1(VALU_DEP_1)
	v_fma_f64 v[227:228], v[227:228], v[229:230], v[227:228]
	v_mul_f64 v[229:230], v[231:232], v[227:228]
	s_delay_alu instid0(VALU_DEP_1) | instskip(NEXT) | instid1(VALU_DEP_1)
	v_fma_f64 v[225:226], -v[225:226], v[229:230], v[231:232]
	v_div_fmas_f64 v[225:226], v[225:226], v[227:228], v[229:230]
	s_delay_alu instid0(VALU_DEP_1) | instskip(NEXT) | instid1(VALU_DEP_1)
	v_div_fixup_f64 v[225:226], v[225:226], v[208:209], v[210:211]
	v_fma_f64 v[208:209], v[210:211], v[225:226], v[208:209]
	s_delay_alu instid0(VALU_DEP_1) | instskip(NEXT) | instid1(VALU_DEP_1)
	v_div_scale_f64 v[210:211], null, v[208:209], v[208:209], 1.0
	v_rcp_f64_e32 v[227:228], v[210:211]
	s_waitcnt_depctr 0xfff
	v_fma_f64 v[229:230], -v[210:211], v[227:228], 1.0
	s_delay_alu instid0(VALU_DEP_1) | instskip(NEXT) | instid1(VALU_DEP_1)
	v_fma_f64 v[227:228], v[227:228], v[229:230], v[227:228]
	v_fma_f64 v[229:230], -v[210:211], v[227:228], 1.0
	s_delay_alu instid0(VALU_DEP_1) | instskip(SKIP_1) | instid1(VALU_DEP_1)
	v_fma_f64 v[227:228], v[227:228], v[229:230], v[227:228]
	v_div_scale_f64 v[229:230], vcc_lo, 1.0, v[208:209], 1.0
	v_mul_f64 v[231:232], v[229:230], v[227:228]
	s_delay_alu instid0(VALU_DEP_1) | instskip(NEXT) | instid1(VALU_DEP_1)
	v_fma_f64 v[210:211], -v[210:211], v[231:232], v[229:230]
	v_div_fmas_f64 v[210:211], v[210:211], v[227:228], v[231:232]
	s_delay_alu instid0(VALU_DEP_1) | instskip(NEXT) | instid1(VALU_DEP_1)
	v_div_fixup_f64 v[208:209], v[210:211], v[208:209], 1.0
	v_mul_f64 v[210:211], v[225:226], -v[208:209]
.LBB102_807:
	s_or_b32 exec_lo, exec_lo, s2
.LBB102_808:
	s_delay_alu instid0(SALU_CYCLE_1) | instskip(NEXT) | instid1(SALU_CYCLE_1)
	s_or_b32 exec_lo, exec_lo, s3
	s_mov_b32 s2, exec_lo
	v_cmpx_ne_u32_e64 v224, v216
	s_xor_b32 s2, exec_lo, s2
	s_cbranch_execz .LBB102_814
; %bb.809:
	s_mov_b32 s3, exec_lo
	v_cmpx_eq_u32_e32 38, v224
	s_cbranch_execz .LBB102_813
; %bb.810:
	v_cmp_ne_u32_e32 vcc_lo, 38, v216
	s_xor_b32 s6, s4, -1
	s_delay_alu instid0(SALU_CYCLE_1) | instskip(NEXT) | instid1(SALU_CYCLE_1)
	s_and_b32 s7, s6, vcc_lo
	s_and_saveexec_b32 s6, s7
	s_cbranch_execz .LBB102_812
; %bb.811:
	v_ashrrev_i32_e32 v217, 31, v216
	s_delay_alu instid0(VALU_DEP_1) | instskip(NEXT) | instid1(VALU_DEP_1)
	v_lshlrev_b64 v[223:224], 2, v[216:217]
	v_add_co_u32 v223, vcc_lo, v214, v223
	s_delay_alu instid0(VALU_DEP_2)
	v_add_co_ci_u32_e32 v224, vcc_lo, v215, v224, vcc_lo
	s_clause 0x1
	flat_load_b32 v217, v[223:224]
	flat_load_b32 v225, v[214:215] offset:152
	s_waitcnt vmcnt(1) lgkmcnt(1)
	flat_store_b32 v[214:215], v217 offset:152
	s_waitcnt vmcnt(0) lgkmcnt(1)
	flat_store_b32 v[223:224], v225
.LBB102_812:
	s_or_b32 exec_lo, exec_lo, s6
	v_mov_b32_e32 v224, v216
	v_mov_b32_e32 v223, v216
.LBB102_813:
	s_or_b32 exec_lo, exec_lo, s3
.LBB102_814:
	s_and_not1_saveexec_b32 s2, s2
	s_cbranch_execz .LBB102_816
; %bb.815:
	v_mov_b32_e32 v224, 38
	ds_store_2addr_b64 v218, v[48:49], v[50:51] offset0:78 offset1:79
	ds_store_2addr_b64 v218, v[44:45], v[46:47] offset0:80 offset1:81
	;; [unrolled: 1-line block ×13, first 2 shown]
.LBB102_816:
	s_or_b32 exec_lo, exec_lo, s2
	s_delay_alu instid0(SALU_CYCLE_1)
	s_mov_b32 s2, exec_lo
	s_waitcnt lgkmcnt(0)
	s_waitcnt_vscnt null, 0x0
	s_barrier
	buffer_gl0_inv
	v_cmpx_lt_i32_e32 38, v224
	s_cbranch_execz .LBB102_818
; %bb.817:
	v_mul_f64 v[216:217], v[208:209], v[54:55]
	v_mul_f64 v[54:55], v[210:211], v[54:55]
	s_delay_alu instid0(VALU_DEP_2) | instskip(NEXT) | instid1(VALU_DEP_2)
	v_fma_f64 v[216:217], v[210:211], v[52:53], v[216:217]
	v_fma_f64 v[52:53], v[208:209], v[52:53], -v[54:55]
	ds_load_2addr_b64 v[208:211], v218 offset0:78 offset1:79
	s_waitcnt lgkmcnt(0)
	v_mul_f64 v[54:55], v[210:211], v[216:217]
	s_delay_alu instid0(VALU_DEP_1) | instskip(SKIP_1) | instid1(VALU_DEP_2)
	v_fma_f64 v[54:55], v[208:209], v[52:53], -v[54:55]
	v_mul_f64 v[208:209], v[208:209], v[216:217]
	v_add_f64 v[48:49], v[48:49], -v[54:55]
	s_delay_alu instid0(VALU_DEP_2) | instskip(NEXT) | instid1(VALU_DEP_1)
	v_fma_f64 v[208:209], v[210:211], v[52:53], v[208:209]
	v_add_f64 v[50:51], v[50:51], -v[208:209]
	ds_load_2addr_b64 v[208:211], v218 offset0:80 offset1:81
	s_waitcnt lgkmcnt(0)
	v_mul_f64 v[54:55], v[210:211], v[216:217]
	s_delay_alu instid0(VALU_DEP_1) | instskip(SKIP_1) | instid1(VALU_DEP_2)
	v_fma_f64 v[54:55], v[208:209], v[52:53], -v[54:55]
	v_mul_f64 v[208:209], v[208:209], v[216:217]
	v_add_f64 v[44:45], v[44:45], -v[54:55]
	s_delay_alu instid0(VALU_DEP_2) | instskip(NEXT) | instid1(VALU_DEP_1)
	v_fma_f64 v[208:209], v[210:211], v[52:53], v[208:209]
	v_add_f64 v[46:47], v[46:47], -v[208:209]
	;; [unrolled: 10-line block ×12, first 2 shown]
	ds_load_2addr_b64 v[208:211], v218 offset0:102 offset1:103
	s_waitcnt lgkmcnt(0)
	v_mul_f64 v[54:55], v[210:211], v[216:217]
	s_delay_alu instid0(VALU_DEP_1) | instskip(SKIP_1) | instid1(VALU_DEP_2)
	v_fma_f64 v[54:55], v[208:209], v[52:53], -v[54:55]
	v_mul_f64 v[208:209], v[208:209], v[216:217]
	v_add_f64 v[0:1], v[0:1], -v[54:55]
	s_delay_alu instid0(VALU_DEP_2) | instskip(SKIP_1) | instid1(VALU_DEP_2)
	v_fma_f64 v[208:209], v[210:211], v[52:53], v[208:209]
	v_dual_mov_b32 v54, v216 :: v_dual_mov_b32 v55, v217
	v_add_f64 v[2:3], v[2:3], -v[208:209]
.LBB102_818:
	s_or_b32 exec_lo, exec_lo, s2
	v_lshl_add_u32 v208, v224, 4, v218
	s_barrier
	buffer_gl0_inv
	v_mov_b32_e32 v216, 39
	ds_store_2addr_b64 v208, v[48:49], v[50:51] offset1:1
	s_waitcnt lgkmcnt(0)
	s_barrier
	buffer_gl0_inv
	ds_load_2addr_b64 v[208:211], v218 offset0:78 offset1:79
	s_cmp_lt_i32 s5, 41
	s_cbranch_scc1 .LBB102_821
; %bb.819:
	v_add3_u32 v217, v222, 0, 0x280
	v_mov_b32_e32 v216, 39
	s_mov_b32 s6, 40
	s_set_inst_prefetch_distance 0x1
	.p2align	6
.LBB102_820:                            ; =>This Inner Loop Header: Depth=1
	ds_load_2addr_b64 v[225:228], v217 offset1:1
	s_waitcnt lgkmcnt(1)
	v_cmp_gt_f64_e32 vcc_lo, 0, v[208:209]
	v_xor_b32_e32 v229, 0x80000000, v209
	v_cmp_gt_f64_e64 s2, 0, v[210:211]
	v_xor_b32_e32 v231, 0x80000000, v211
	v_add_nc_u32_e32 v217, 16, v217
	s_waitcnt lgkmcnt(0)
	v_cmp_gt_f64_e64 s3, 0, v[225:226]
	v_mov_b32_e32 v233, v225
	v_dual_mov_b32 v235, v227 :: v_dual_cndmask_b32 v230, v209, v229
	v_xor_b32_e32 v229, 0x80000000, v226
	v_cndmask_b32_e64 v232, v211, v231, s2
	v_xor_b32_e32 v231, 0x80000000, v228
	s_delay_alu instid0(VALU_DEP_3) | instskip(SKIP_2) | instid1(VALU_DEP_2)
	v_cndmask_b32_e64 v234, v226, v229, s3
	v_cmp_gt_f64_e64 s3, 0, v[227:228]
	v_cndmask_b32_e32 v229, v208, v208, vcc_lo
	v_cndmask_b32_e64 v236, v228, v231, s3
	v_cndmask_b32_e64 v231, v210, v210, s2
	s_delay_alu instid0(VALU_DEP_2) | instskip(NEXT) | instid1(VALU_DEP_2)
	v_add_f64 v[233:234], v[233:234], v[235:236]
	v_add_f64 v[229:230], v[229:230], v[231:232]
	s_delay_alu instid0(VALU_DEP_1) | instskip(SKIP_4) | instid1(SALU_CYCLE_1)
	v_cmp_lt_f64_e32 vcc_lo, v[229:230], v[233:234]
	v_dual_cndmask_b32 v210, v210, v227 :: v_dual_cndmask_b32 v209, v209, v226
	v_dual_cndmask_b32 v208, v208, v225 :: v_dual_cndmask_b32 v211, v211, v228
	v_cndmask_b32_e64 v216, v216, s6, vcc_lo
	s_add_i32 s6, s6, 1
	s_cmp_lg_u32 s5, s6
	s_cbranch_scc1 .LBB102_820
.LBB102_821:
	s_set_inst_prefetch_distance 0x2
	s_waitcnt lgkmcnt(0)
	v_cmp_eq_f64_e32 vcc_lo, 0, v[208:209]
	v_cmp_eq_f64_e64 s2, 0, v[210:211]
	s_delay_alu instid0(VALU_DEP_1) | instskip(NEXT) | instid1(SALU_CYCLE_1)
	s_and_b32 s2, vcc_lo, s2
	s_and_saveexec_b32 s3, s2
	s_delay_alu instid0(SALU_CYCLE_1)
	s_xor_b32 s2, exec_lo, s3
; %bb.822:
	v_cmp_ne_u32_e32 vcc_lo, 0, v221
	v_cndmask_b32_e32 v221, 40, v221, vcc_lo
; %bb.823:
	s_and_not1_saveexec_b32 s3, s2
	s_cbranch_execz .LBB102_829
; %bb.824:
	v_cmp_gt_f64_e32 vcc_lo, 0, v[208:209]
	v_cmp_gt_f64_e64 s2, 0, v[210:211]
	v_xor_b32_e32 v217, 0x80000000, v209
	v_xor_b32_e32 v225, 0x80000000, v211
	s_delay_alu instid0(VALU_DEP_2) | instskip(NEXT) | instid1(VALU_DEP_2)
	v_cndmask_b32_e32 v226, v209, v217, vcc_lo
	v_cndmask_b32_e64 v228, v211, v225, s2
	v_cndmask_b32_e32 v225, v208, v208, vcc_lo
	v_cndmask_b32_e64 v227, v210, v210, s2
	s_mov_b32 s2, exec_lo
	s_delay_alu instid0(VALU_DEP_1)
	v_cmpx_ngt_f64_e32 v[225:226], v[227:228]
	s_xor_b32 s2, exec_lo, s2
	s_cbranch_execz .LBB102_826
; %bb.825:
	v_div_scale_f64 v[225:226], null, v[210:211], v[210:211], v[208:209]
	v_div_scale_f64 v[231:232], vcc_lo, v[208:209], v[210:211], v[208:209]
	s_delay_alu instid0(VALU_DEP_2) | instskip(SKIP_2) | instid1(VALU_DEP_1)
	v_rcp_f64_e32 v[227:228], v[225:226]
	s_waitcnt_depctr 0xfff
	v_fma_f64 v[229:230], -v[225:226], v[227:228], 1.0
	v_fma_f64 v[227:228], v[227:228], v[229:230], v[227:228]
	s_delay_alu instid0(VALU_DEP_1) | instskip(NEXT) | instid1(VALU_DEP_1)
	v_fma_f64 v[229:230], -v[225:226], v[227:228], 1.0
	v_fma_f64 v[227:228], v[227:228], v[229:230], v[227:228]
	s_delay_alu instid0(VALU_DEP_1) | instskip(NEXT) | instid1(VALU_DEP_1)
	v_mul_f64 v[229:230], v[231:232], v[227:228]
	v_fma_f64 v[225:226], -v[225:226], v[229:230], v[231:232]
	s_delay_alu instid0(VALU_DEP_1) | instskip(NEXT) | instid1(VALU_DEP_1)
	v_div_fmas_f64 v[225:226], v[225:226], v[227:228], v[229:230]
	v_div_fixup_f64 v[225:226], v[225:226], v[210:211], v[208:209]
	s_delay_alu instid0(VALU_DEP_1) | instskip(NEXT) | instid1(VALU_DEP_1)
	v_fma_f64 v[208:209], v[208:209], v[225:226], v[210:211]
	v_div_scale_f64 v[210:211], null, v[208:209], v[208:209], 1.0
	s_delay_alu instid0(VALU_DEP_1) | instskip(SKIP_2) | instid1(VALU_DEP_1)
	v_rcp_f64_e32 v[227:228], v[210:211]
	s_waitcnt_depctr 0xfff
	v_fma_f64 v[229:230], -v[210:211], v[227:228], 1.0
	v_fma_f64 v[227:228], v[227:228], v[229:230], v[227:228]
	s_delay_alu instid0(VALU_DEP_1) | instskip(NEXT) | instid1(VALU_DEP_1)
	v_fma_f64 v[229:230], -v[210:211], v[227:228], 1.0
	v_fma_f64 v[227:228], v[227:228], v[229:230], v[227:228]
	v_div_scale_f64 v[229:230], vcc_lo, 1.0, v[208:209], 1.0
	s_delay_alu instid0(VALU_DEP_1) | instskip(NEXT) | instid1(VALU_DEP_1)
	v_mul_f64 v[231:232], v[229:230], v[227:228]
	v_fma_f64 v[210:211], -v[210:211], v[231:232], v[229:230]
	s_delay_alu instid0(VALU_DEP_1) | instskip(NEXT) | instid1(VALU_DEP_1)
	v_div_fmas_f64 v[210:211], v[210:211], v[227:228], v[231:232]
	v_div_fixup_f64 v[210:211], v[210:211], v[208:209], 1.0
	s_delay_alu instid0(VALU_DEP_1)
	v_mul_f64 v[208:209], v[225:226], v[210:211]
	v_xor_b32_e32 v211, 0x80000000, v211
.LBB102_826:
	s_and_not1_saveexec_b32 s2, s2
	s_cbranch_execz .LBB102_828
; %bb.827:
	s_delay_alu instid0(VALU_DEP_1) | instskip(SKIP_1) | instid1(VALU_DEP_2)
	v_div_scale_f64 v[225:226], null, v[208:209], v[208:209], v[210:211]
	v_div_scale_f64 v[231:232], vcc_lo, v[210:211], v[208:209], v[210:211]
	v_rcp_f64_e32 v[227:228], v[225:226]
	s_waitcnt_depctr 0xfff
	v_fma_f64 v[229:230], -v[225:226], v[227:228], 1.0
	s_delay_alu instid0(VALU_DEP_1) | instskip(NEXT) | instid1(VALU_DEP_1)
	v_fma_f64 v[227:228], v[227:228], v[229:230], v[227:228]
	v_fma_f64 v[229:230], -v[225:226], v[227:228], 1.0
	s_delay_alu instid0(VALU_DEP_1) | instskip(NEXT) | instid1(VALU_DEP_1)
	v_fma_f64 v[227:228], v[227:228], v[229:230], v[227:228]
	v_mul_f64 v[229:230], v[231:232], v[227:228]
	s_delay_alu instid0(VALU_DEP_1) | instskip(NEXT) | instid1(VALU_DEP_1)
	v_fma_f64 v[225:226], -v[225:226], v[229:230], v[231:232]
	v_div_fmas_f64 v[225:226], v[225:226], v[227:228], v[229:230]
	s_delay_alu instid0(VALU_DEP_1) | instskip(NEXT) | instid1(VALU_DEP_1)
	v_div_fixup_f64 v[225:226], v[225:226], v[208:209], v[210:211]
	v_fma_f64 v[208:209], v[210:211], v[225:226], v[208:209]
	s_delay_alu instid0(VALU_DEP_1) | instskip(NEXT) | instid1(VALU_DEP_1)
	v_div_scale_f64 v[210:211], null, v[208:209], v[208:209], 1.0
	v_rcp_f64_e32 v[227:228], v[210:211]
	s_waitcnt_depctr 0xfff
	v_fma_f64 v[229:230], -v[210:211], v[227:228], 1.0
	s_delay_alu instid0(VALU_DEP_1) | instskip(NEXT) | instid1(VALU_DEP_1)
	v_fma_f64 v[227:228], v[227:228], v[229:230], v[227:228]
	v_fma_f64 v[229:230], -v[210:211], v[227:228], 1.0
	s_delay_alu instid0(VALU_DEP_1) | instskip(SKIP_1) | instid1(VALU_DEP_1)
	v_fma_f64 v[227:228], v[227:228], v[229:230], v[227:228]
	v_div_scale_f64 v[229:230], vcc_lo, 1.0, v[208:209], 1.0
	v_mul_f64 v[231:232], v[229:230], v[227:228]
	s_delay_alu instid0(VALU_DEP_1) | instskip(NEXT) | instid1(VALU_DEP_1)
	v_fma_f64 v[210:211], -v[210:211], v[231:232], v[229:230]
	v_div_fmas_f64 v[210:211], v[210:211], v[227:228], v[231:232]
	s_delay_alu instid0(VALU_DEP_1) | instskip(NEXT) | instid1(VALU_DEP_1)
	v_div_fixup_f64 v[208:209], v[210:211], v[208:209], 1.0
	v_mul_f64 v[210:211], v[225:226], -v[208:209]
.LBB102_828:
	s_or_b32 exec_lo, exec_lo, s2
.LBB102_829:
	s_delay_alu instid0(SALU_CYCLE_1) | instskip(NEXT) | instid1(SALU_CYCLE_1)
	s_or_b32 exec_lo, exec_lo, s3
	s_mov_b32 s2, exec_lo
	v_cmpx_ne_u32_e64 v224, v216
	s_xor_b32 s2, exec_lo, s2
	s_cbranch_execz .LBB102_835
; %bb.830:
	s_mov_b32 s3, exec_lo
	v_cmpx_eq_u32_e32 39, v224
	s_cbranch_execz .LBB102_834
; %bb.831:
	v_cmp_ne_u32_e32 vcc_lo, 39, v216
	s_xor_b32 s6, s4, -1
	s_delay_alu instid0(SALU_CYCLE_1) | instskip(NEXT) | instid1(SALU_CYCLE_1)
	s_and_b32 s7, s6, vcc_lo
	s_and_saveexec_b32 s6, s7
	s_cbranch_execz .LBB102_833
; %bb.832:
	v_ashrrev_i32_e32 v217, 31, v216
	s_delay_alu instid0(VALU_DEP_1) | instskip(NEXT) | instid1(VALU_DEP_1)
	v_lshlrev_b64 v[223:224], 2, v[216:217]
	v_add_co_u32 v223, vcc_lo, v214, v223
	s_delay_alu instid0(VALU_DEP_2)
	v_add_co_ci_u32_e32 v224, vcc_lo, v215, v224, vcc_lo
	s_clause 0x1
	flat_load_b32 v217, v[223:224]
	flat_load_b32 v225, v[214:215] offset:156
	s_waitcnt vmcnt(1) lgkmcnt(1)
	flat_store_b32 v[214:215], v217 offset:156
	s_waitcnt vmcnt(0) lgkmcnt(1)
	flat_store_b32 v[223:224], v225
.LBB102_833:
	s_or_b32 exec_lo, exec_lo, s6
	v_mov_b32_e32 v224, v216
	v_mov_b32_e32 v223, v216
.LBB102_834:
	s_or_b32 exec_lo, exec_lo, s3
.LBB102_835:
	s_and_not1_saveexec_b32 s2, s2
	s_cbranch_execz .LBB102_837
; %bb.836:
	v_mov_b32_e32 v224, 39
	ds_store_2addr_b64 v218, v[44:45], v[46:47] offset0:80 offset1:81
	ds_store_2addr_b64 v218, v[40:41], v[42:43] offset0:82 offset1:83
	;; [unrolled: 1-line block ×12, first 2 shown]
.LBB102_837:
	s_or_b32 exec_lo, exec_lo, s2
	s_delay_alu instid0(SALU_CYCLE_1)
	s_mov_b32 s2, exec_lo
	s_waitcnt lgkmcnt(0)
	s_waitcnt_vscnt null, 0x0
	s_barrier
	buffer_gl0_inv
	v_cmpx_lt_i32_e32 39, v224
	s_cbranch_execz .LBB102_839
; %bb.838:
	v_mul_f64 v[216:217], v[208:209], v[50:51]
	v_mul_f64 v[50:51], v[210:211], v[50:51]
	s_delay_alu instid0(VALU_DEP_2) | instskip(NEXT) | instid1(VALU_DEP_2)
	v_fma_f64 v[216:217], v[210:211], v[48:49], v[216:217]
	v_fma_f64 v[48:49], v[208:209], v[48:49], -v[50:51]
	ds_load_2addr_b64 v[208:211], v218 offset0:80 offset1:81
	s_waitcnt lgkmcnt(0)
	v_mul_f64 v[50:51], v[210:211], v[216:217]
	s_delay_alu instid0(VALU_DEP_1) | instskip(SKIP_1) | instid1(VALU_DEP_2)
	v_fma_f64 v[50:51], v[208:209], v[48:49], -v[50:51]
	v_mul_f64 v[208:209], v[208:209], v[216:217]
	v_add_f64 v[44:45], v[44:45], -v[50:51]
	s_delay_alu instid0(VALU_DEP_2) | instskip(NEXT) | instid1(VALU_DEP_1)
	v_fma_f64 v[208:209], v[210:211], v[48:49], v[208:209]
	v_add_f64 v[46:47], v[46:47], -v[208:209]
	ds_load_2addr_b64 v[208:211], v218 offset0:82 offset1:83
	s_waitcnt lgkmcnt(0)
	v_mul_f64 v[50:51], v[210:211], v[216:217]
	s_delay_alu instid0(VALU_DEP_1) | instskip(SKIP_1) | instid1(VALU_DEP_2)
	v_fma_f64 v[50:51], v[208:209], v[48:49], -v[50:51]
	v_mul_f64 v[208:209], v[208:209], v[216:217]
	v_add_f64 v[40:41], v[40:41], -v[50:51]
	s_delay_alu instid0(VALU_DEP_2) | instskip(NEXT) | instid1(VALU_DEP_1)
	v_fma_f64 v[208:209], v[210:211], v[48:49], v[208:209]
	v_add_f64 v[42:43], v[42:43], -v[208:209]
	;; [unrolled: 10-line block ×11, first 2 shown]
	ds_load_2addr_b64 v[208:211], v218 offset0:102 offset1:103
	s_waitcnt lgkmcnt(0)
	v_mul_f64 v[50:51], v[210:211], v[216:217]
	s_delay_alu instid0(VALU_DEP_1) | instskip(SKIP_1) | instid1(VALU_DEP_2)
	v_fma_f64 v[50:51], v[208:209], v[48:49], -v[50:51]
	v_mul_f64 v[208:209], v[208:209], v[216:217]
	v_add_f64 v[0:1], v[0:1], -v[50:51]
	s_delay_alu instid0(VALU_DEP_2) | instskip(SKIP_1) | instid1(VALU_DEP_2)
	v_fma_f64 v[208:209], v[210:211], v[48:49], v[208:209]
	v_dual_mov_b32 v50, v216 :: v_dual_mov_b32 v51, v217
	v_add_f64 v[2:3], v[2:3], -v[208:209]
.LBB102_839:
	s_or_b32 exec_lo, exec_lo, s2
	v_lshl_add_u32 v208, v224, 4, v218
	s_barrier
	buffer_gl0_inv
	v_mov_b32_e32 v216, 40
	ds_store_2addr_b64 v208, v[44:45], v[46:47] offset1:1
	s_waitcnt lgkmcnt(0)
	s_barrier
	buffer_gl0_inv
	ds_load_2addr_b64 v[208:211], v218 offset0:80 offset1:81
	s_cmp_lt_i32 s5, 42
	s_cbranch_scc1 .LBB102_842
; %bb.840:
	v_add3_u32 v217, v222, 0, 0x290
	v_mov_b32_e32 v216, 40
	s_mov_b32 s6, 41
	s_set_inst_prefetch_distance 0x1
	.p2align	6
.LBB102_841:                            ; =>This Inner Loop Header: Depth=1
	ds_load_2addr_b64 v[225:228], v217 offset1:1
	s_waitcnt lgkmcnt(1)
	v_cmp_gt_f64_e32 vcc_lo, 0, v[208:209]
	v_xor_b32_e32 v229, 0x80000000, v209
	v_cmp_gt_f64_e64 s2, 0, v[210:211]
	v_xor_b32_e32 v231, 0x80000000, v211
	v_add_nc_u32_e32 v217, 16, v217
	s_waitcnt lgkmcnt(0)
	v_cmp_gt_f64_e64 s3, 0, v[225:226]
	v_mov_b32_e32 v233, v225
	v_dual_mov_b32 v235, v227 :: v_dual_cndmask_b32 v230, v209, v229
	v_xor_b32_e32 v229, 0x80000000, v226
	v_cndmask_b32_e64 v232, v211, v231, s2
	v_xor_b32_e32 v231, 0x80000000, v228
	s_delay_alu instid0(VALU_DEP_3) | instskip(SKIP_2) | instid1(VALU_DEP_2)
	v_cndmask_b32_e64 v234, v226, v229, s3
	v_cmp_gt_f64_e64 s3, 0, v[227:228]
	v_cndmask_b32_e32 v229, v208, v208, vcc_lo
	v_cndmask_b32_e64 v236, v228, v231, s3
	v_cndmask_b32_e64 v231, v210, v210, s2
	s_delay_alu instid0(VALU_DEP_2) | instskip(NEXT) | instid1(VALU_DEP_2)
	v_add_f64 v[233:234], v[233:234], v[235:236]
	v_add_f64 v[229:230], v[229:230], v[231:232]
	s_delay_alu instid0(VALU_DEP_1) | instskip(SKIP_4) | instid1(SALU_CYCLE_1)
	v_cmp_lt_f64_e32 vcc_lo, v[229:230], v[233:234]
	v_dual_cndmask_b32 v210, v210, v227 :: v_dual_cndmask_b32 v209, v209, v226
	v_dual_cndmask_b32 v208, v208, v225 :: v_dual_cndmask_b32 v211, v211, v228
	v_cndmask_b32_e64 v216, v216, s6, vcc_lo
	s_add_i32 s6, s6, 1
	s_cmp_lg_u32 s5, s6
	s_cbranch_scc1 .LBB102_841
.LBB102_842:
	s_set_inst_prefetch_distance 0x2
	s_waitcnt lgkmcnt(0)
	v_cmp_eq_f64_e32 vcc_lo, 0, v[208:209]
	v_cmp_eq_f64_e64 s2, 0, v[210:211]
	s_delay_alu instid0(VALU_DEP_1) | instskip(NEXT) | instid1(SALU_CYCLE_1)
	s_and_b32 s2, vcc_lo, s2
	s_and_saveexec_b32 s3, s2
	s_delay_alu instid0(SALU_CYCLE_1)
	s_xor_b32 s2, exec_lo, s3
; %bb.843:
	v_cmp_ne_u32_e32 vcc_lo, 0, v221
	v_cndmask_b32_e32 v221, 41, v221, vcc_lo
; %bb.844:
	s_and_not1_saveexec_b32 s3, s2
	s_cbranch_execz .LBB102_850
; %bb.845:
	v_cmp_gt_f64_e32 vcc_lo, 0, v[208:209]
	v_cmp_gt_f64_e64 s2, 0, v[210:211]
	v_xor_b32_e32 v217, 0x80000000, v209
	v_xor_b32_e32 v225, 0x80000000, v211
	s_delay_alu instid0(VALU_DEP_2) | instskip(NEXT) | instid1(VALU_DEP_2)
	v_cndmask_b32_e32 v226, v209, v217, vcc_lo
	v_cndmask_b32_e64 v228, v211, v225, s2
	v_cndmask_b32_e32 v225, v208, v208, vcc_lo
	v_cndmask_b32_e64 v227, v210, v210, s2
	s_mov_b32 s2, exec_lo
	s_delay_alu instid0(VALU_DEP_1)
	v_cmpx_ngt_f64_e32 v[225:226], v[227:228]
	s_xor_b32 s2, exec_lo, s2
	s_cbranch_execz .LBB102_847
; %bb.846:
	v_div_scale_f64 v[225:226], null, v[210:211], v[210:211], v[208:209]
	v_div_scale_f64 v[231:232], vcc_lo, v[208:209], v[210:211], v[208:209]
	s_delay_alu instid0(VALU_DEP_2) | instskip(SKIP_2) | instid1(VALU_DEP_1)
	v_rcp_f64_e32 v[227:228], v[225:226]
	s_waitcnt_depctr 0xfff
	v_fma_f64 v[229:230], -v[225:226], v[227:228], 1.0
	v_fma_f64 v[227:228], v[227:228], v[229:230], v[227:228]
	s_delay_alu instid0(VALU_DEP_1) | instskip(NEXT) | instid1(VALU_DEP_1)
	v_fma_f64 v[229:230], -v[225:226], v[227:228], 1.0
	v_fma_f64 v[227:228], v[227:228], v[229:230], v[227:228]
	s_delay_alu instid0(VALU_DEP_1) | instskip(NEXT) | instid1(VALU_DEP_1)
	v_mul_f64 v[229:230], v[231:232], v[227:228]
	v_fma_f64 v[225:226], -v[225:226], v[229:230], v[231:232]
	s_delay_alu instid0(VALU_DEP_1) | instskip(NEXT) | instid1(VALU_DEP_1)
	v_div_fmas_f64 v[225:226], v[225:226], v[227:228], v[229:230]
	v_div_fixup_f64 v[225:226], v[225:226], v[210:211], v[208:209]
	s_delay_alu instid0(VALU_DEP_1) | instskip(NEXT) | instid1(VALU_DEP_1)
	v_fma_f64 v[208:209], v[208:209], v[225:226], v[210:211]
	v_div_scale_f64 v[210:211], null, v[208:209], v[208:209], 1.0
	s_delay_alu instid0(VALU_DEP_1) | instskip(SKIP_2) | instid1(VALU_DEP_1)
	v_rcp_f64_e32 v[227:228], v[210:211]
	s_waitcnt_depctr 0xfff
	v_fma_f64 v[229:230], -v[210:211], v[227:228], 1.0
	v_fma_f64 v[227:228], v[227:228], v[229:230], v[227:228]
	s_delay_alu instid0(VALU_DEP_1) | instskip(NEXT) | instid1(VALU_DEP_1)
	v_fma_f64 v[229:230], -v[210:211], v[227:228], 1.0
	v_fma_f64 v[227:228], v[227:228], v[229:230], v[227:228]
	v_div_scale_f64 v[229:230], vcc_lo, 1.0, v[208:209], 1.0
	s_delay_alu instid0(VALU_DEP_1) | instskip(NEXT) | instid1(VALU_DEP_1)
	v_mul_f64 v[231:232], v[229:230], v[227:228]
	v_fma_f64 v[210:211], -v[210:211], v[231:232], v[229:230]
	s_delay_alu instid0(VALU_DEP_1) | instskip(NEXT) | instid1(VALU_DEP_1)
	v_div_fmas_f64 v[210:211], v[210:211], v[227:228], v[231:232]
	v_div_fixup_f64 v[210:211], v[210:211], v[208:209], 1.0
	s_delay_alu instid0(VALU_DEP_1)
	v_mul_f64 v[208:209], v[225:226], v[210:211]
	v_xor_b32_e32 v211, 0x80000000, v211
.LBB102_847:
	s_and_not1_saveexec_b32 s2, s2
	s_cbranch_execz .LBB102_849
; %bb.848:
	s_delay_alu instid0(VALU_DEP_1) | instskip(SKIP_1) | instid1(VALU_DEP_2)
	v_div_scale_f64 v[225:226], null, v[208:209], v[208:209], v[210:211]
	v_div_scale_f64 v[231:232], vcc_lo, v[210:211], v[208:209], v[210:211]
	v_rcp_f64_e32 v[227:228], v[225:226]
	s_waitcnt_depctr 0xfff
	v_fma_f64 v[229:230], -v[225:226], v[227:228], 1.0
	s_delay_alu instid0(VALU_DEP_1) | instskip(NEXT) | instid1(VALU_DEP_1)
	v_fma_f64 v[227:228], v[227:228], v[229:230], v[227:228]
	v_fma_f64 v[229:230], -v[225:226], v[227:228], 1.0
	s_delay_alu instid0(VALU_DEP_1) | instskip(NEXT) | instid1(VALU_DEP_1)
	v_fma_f64 v[227:228], v[227:228], v[229:230], v[227:228]
	v_mul_f64 v[229:230], v[231:232], v[227:228]
	s_delay_alu instid0(VALU_DEP_1) | instskip(NEXT) | instid1(VALU_DEP_1)
	v_fma_f64 v[225:226], -v[225:226], v[229:230], v[231:232]
	v_div_fmas_f64 v[225:226], v[225:226], v[227:228], v[229:230]
	s_delay_alu instid0(VALU_DEP_1) | instskip(NEXT) | instid1(VALU_DEP_1)
	v_div_fixup_f64 v[225:226], v[225:226], v[208:209], v[210:211]
	v_fma_f64 v[208:209], v[210:211], v[225:226], v[208:209]
	s_delay_alu instid0(VALU_DEP_1) | instskip(NEXT) | instid1(VALU_DEP_1)
	v_div_scale_f64 v[210:211], null, v[208:209], v[208:209], 1.0
	v_rcp_f64_e32 v[227:228], v[210:211]
	s_waitcnt_depctr 0xfff
	v_fma_f64 v[229:230], -v[210:211], v[227:228], 1.0
	s_delay_alu instid0(VALU_DEP_1) | instskip(NEXT) | instid1(VALU_DEP_1)
	v_fma_f64 v[227:228], v[227:228], v[229:230], v[227:228]
	v_fma_f64 v[229:230], -v[210:211], v[227:228], 1.0
	s_delay_alu instid0(VALU_DEP_1) | instskip(SKIP_1) | instid1(VALU_DEP_1)
	v_fma_f64 v[227:228], v[227:228], v[229:230], v[227:228]
	v_div_scale_f64 v[229:230], vcc_lo, 1.0, v[208:209], 1.0
	v_mul_f64 v[231:232], v[229:230], v[227:228]
	s_delay_alu instid0(VALU_DEP_1) | instskip(NEXT) | instid1(VALU_DEP_1)
	v_fma_f64 v[210:211], -v[210:211], v[231:232], v[229:230]
	v_div_fmas_f64 v[210:211], v[210:211], v[227:228], v[231:232]
	s_delay_alu instid0(VALU_DEP_1) | instskip(NEXT) | instid1(VALU_DEP_1)
	v_div_fixup_f64 v[208:209], v[210:211], v[208:209], 1.0
	v_mul_f64 v[210:211], v[225:226], -v[208:209]
.LBB102_849:
	s_or_b32 exec_lo, exec_lo, s2
.LBB102_850:
	s_delay_alu instid0(SALU_CYCLE_1) | instskip(NEXT) | instid1(SALU_CYCLE_1)
	s_or_b32 exec_lo, exec_lo, s3
	s_mov_b32 s2, exec_lo
	v_cmpx_ne_u32_e64 v224, v216
	s_xor_b32 s2, exec_lo, s2
	s_cbranch_execz .LBB102_856
; %bb.851:
	s_mov_b32 s3, exec_lo
	v_cmpx_eq_u32_e32 40, v224
	s_cbranch_execz .LBB102_855
; %bb.852:
	v_cmp_ne_u32_e32 vcc_lo, 40, v216
	s_xor_b32 s6, s4, -1
	s_delay_alu instid0(SALU_CYCLE_1) | instskip(NEXT) | instid1(SALU_CYCLE_1)
	s_and_b32 s7, s6, vcc_lo
	s_and_saveexec_b32 s6, s7
	s_cbranch_execz .LBB102_854
; %bb.853:
	v_ashrrev_i32_e32 v217, 31, v216
	s_delay_alu instid0(VALU_DEP_1) | instskip(NEXT) | instid1(VALU_DEP_1)
	v_lshlrev_b64 v[223:224], 2, v[216:217]
	v_add_co_u32 v223, vcc_lo, v214, v223
	s_delay_alu instid0(VALU_DEP_2)
	v_add_co_ci_u32_e32 v224, vcc_lo, v215, v224, vcc_lo
	s_clause 0x1
	flat_load_b32 v217, v[223:224]
	flat_load_b32 v225, v[214:215] offset:160
	s_waitcnt vmcnt(1) lgkmcnt(1)
	flat_store_b32 v[214:215], v217 offset:160
	s_waitcnt vmcnt(0) lgkmcnt(1)
	flat_store_b32 v[223:224], v225
.LBB102_854:
	s_or_b32 exec_lo, exec_lo, s6
	v_mov_b32_e32 v224, v216
	v_mov_b32_e32 v223, v216
.LBB102_855:
	s_or_b32 exec_lo, exec_lo, s3
.LBB102_856:
	s_and_not1_saveexec_b32 s2, s2
	s_cbranch_execz .LBB102_858
; %bb.857:
	v_mov_b32_e32 v224, 40
	ds_store_2addr_b64 v218, v[40:41], v[42:43] offset0:82 offset1:83
	ds_store_2addr_b64 v218, v[36:37], v[38:39] offset0:84 offset1:85
	ds_store_2addr_b64 v218, v[32:33], v[34:35] offset0:86 offset1:87
	ds_store_2addr_b64 v218, v[28:29], v[30:31] offset0:88 offset1:89
	ds_store_2addr_b64 v218, v[24:25], v[26:27] offset0:90 offset1:91
	ds_store_2addr_b64 v218, v[20:21], v[22:23] offset0:92 offset1:93
	ds_store_2addr_b64 v218, v[16:17], v[18:19] offset0:94 offset1:95
	ds_store_2addr_b64 v218, v[12:13], v[14:15] offset0:96 offset1:97
	ds_store_2addr_b64 v218, v[8:9], v[10:11] offset0:98 offset1:99
	ds_store_2addr_b64 v218, v[4:5], v[6:7] offset0:100 offset1:101
	ds_store_2addr_b64 v218, v[0:1], v[2:3] offset0:102 offset1:103
.LBB102_858:
	s_or_b32 exec_lo, exec_lo, s2
	s_delay_alu instid0(SALU_CYCLE_1)
	s_mov_b32 s2, exec_lo
	s_waitcnt lgkmcnt(0)
	s_waitcnt_vscnt null, 0x0
	s_barrier
	buffer_gl0_inv
	v_cmpx_lt_i32_e32 40, v224
	s_cbranch_execz .LBB102_860
; %bb.859:
	v_mul_f64 v[216:217], v[208:209], v[46:47]
	v_mul_f64 v[46:47], v[210:211], v[46:47]
	s_delay_alu instid0(VALU_DEP_2) | instskip(NEXT) | instid1(VALU_DEP_2)
	v_fma_f64 v[216:217], v[210:211], v[44:45], v[216:217]
	v_fma_f64 v[44:45], v[208:209], v[44:45], -v[46:47]
	ds_load_2addr_b64 v[208:211], v218 offset0:82 offset1:83
	s_waitcnt lgkmcnt(0)
	v_mul_f64 v[46:47], v[210:211], v[216:217]
	s_delay_alu instid0(VALU_DEP_1) | instskip(SKIP_1) | instid1(VALU_DEP_2)
	v_fma_f64 v[46:47], v[208:209], v[44:45], -v[46:47]
	v_mul_f64 v[208:209], v[208:209], v[216:217]
	v_add_f64 v[40:41], v[40:41], -v[46:47]
	s_delay_alu instid0(VALU_DEP_2) | instskip(NEXT) | instid1(VALU_DEP_1)
	v_fma_f64 v[208:209], v[210:211], v[44:45], v[208:209]
	v_add_f64 v[42:43], v[42:43], -v[208:209]
	ds_load_2addr_b64 v[208:211], v218 offset0:84 offset1:85
	s_waitcnt lgkmcnt(0)
	v_mul_f64 v[46:47], v[210:211], v[216:217]
	s_delay_alu instid0(VALU_DEP_1) | instskip(SKIP_1) | instid1(VALU_DEP_2)
	v_fma_f64 v[46:47], v[208:209], v[44:45], -v[46:47]
	v_mul_f64 v[208:209], v[208:209], v[216:217]
	v_add_f64 v[36:37], v[36:37], -v[46:47]
	s_delay_alu instid0(VALU_DEP_2) | instskip(NEXT) | instid1(VALU_DEP_1)
	v_fma_f64 v[208:209], v[210:211], v[44:45], v[208:209]
	v_add_f64 v[38:39], v[38:39], -v[208:209]
	;; [unrolled: 10-line block ×10, first 2 shown]
	ds_load_2addr_b64 v[208:211], v218 offset0:102 offset1:103
	s_waitcnt lgkmcnt(0)
	v_mul_f64 v[46:47], v[210:211], v[216:217]
	s_delay_alu instid0(VALU_DEP_1) | instskip(SKIP_1) | instid1(VALU_DEP_2)
	v_fma_f64 v[46:47], v[208:209], v[44:45], -v[46:47]
	v_mul_f64 v[208:209], v[208:209], v[216:217]
	v_add_f64 v[0:1], v[0:1], -v[46:47]
	s_delay_alu instid0(VALU_DEP_2) | instskip(SKIP_1) | instid1(VALU_DEP_2)
	v_fma_f64 v[208:209], v[210:211], v[44:45], v[208:209]
	v_dual_mov_b32 v46, v216 :: v_dual_mov_b32 v47, v217
	v_add_f64 v[2:3], v[2:3], -v[208:209]
.LBB102_860:
	s_or_b32 exec_lo, exec_lo, s2
	v_lshl_add_u32 v208, v224, 4, v218
	s_barrier
	buffer_gl0_inv
	v_mov_b32_e32 v216, 41
	ds_store_2addr_b64 v208, v[40:41], v[42:43] offset1:1
	s_waitcnt lgkmcnt(0)
	s_barrier
	buffer_gl0_inv
	ds_load_2addr_b64 v[208:211], v218 offset0:82 offset1:83
	s_cmp_lt_i32 s5, 43
	s_cbranch_scc1 .LBB102_863
; %bb.861:
	v_add3_u32 v217, v222, 0, 0x2a0
	v_mov_b32_e32 v216, 41
	s_mov_b32 s6, 42
	s_set_inst_prefetch_distance 0x1
	.p2align	6
.LBB102_862:                            ; =>This Inner Loop Header: Depth=1
	ds_load_2addr_b64 v[225:228], v217 offset1:1
	s_waitcnt lgkmcnt(1)
	v_cmp_gt_f64_e32 vcc_lo, 0, v[208:209]
	v_xor_b32_e32 v229, 0x80000000, v209
	v_cmp_gt_f64_e64 s2, 0, v[210:211]
	v_xor_b32_e32 v231, 0x80000000, v211
	v_add_nc_u32_e32 v217, 16, v217
	s_waitcnt lgkmcnt(0)
	v_cmp_gt_f64_e64 s3, 0, v[225:226]
	v_mov_b32_e32 v233, v225
	v_dual_mov_b32 v235, v227 :: v_dual_cndmask_b32 v230, v209, v229
	v_xor_b32_e32 v229, 0x80000000, v226
	v_cndmask_b32_e64 v232, v211, v231, s2
	v_xor_b32_e32 v231, 0x80000000, v228
	s_delay_alu instid0(VALU_DEP_3) | instskip(SKIP_2) | instid1(VALU_DEP_2)
	v_cndmask_b32_e64 v234, v226, v229, s3
	v_cmp_gt_f64_e64 s3, 0, v[227:228]
	v_cndmask_b32_e32 v229, v208, v208, vcc_lo
	v_cndmask_b32_e64 v236, v228, v231, s3
	v_cndmask_b32_e64 v231, v210, v210, s2
	s_delay_alu instid0(VALU_DEP_2) | instskip(NEXT) | instid1(VALU_DEP_2)
	v_add_f64 v[233:234], v[233:234], v[235:236]
	v_add_f64 v[229:230], v[229:230], v[231:232]
	s_delay_alu instid0(VALU_DEP_1) | instskip(SKIP_4) | instid1(SALU_CYCLE_1)
	v_cmp_lt_f64_e32 vcc_lo, v[229:230], v[233:234]
	v_dual_cndmask_b32 v210, v210, v227 :: v_dual_cndmask_b32 v209, v209, v226
	v_dual_cndmask_b32 v208, v208, v225 :: v_dual_cndmask_b32 v211, v211, v228
	v_cndmask_b32_e64 v216, v216, s6, vcc_lo
	s_add_i32 s6, s6, 1
	s_cmp_lg_u32 s5, s6
	s_cbranch_scc1 .LBB102_862
.LBB102_863:
	s_set_inst_prefetch_distance 0x2
	s_waitcnt lgkmcnt(0)
	v_cmp_eq_f64_e32 vcc_lo, 0, v[208:209]
	v_cmp_eq_f64_e64 s2, 0, v[210:211]
	s_delay_alu instid0(VALU_DEP_1) | instskip(NEXT) | instid1(SALU_CYCLE_1)
	s_and_b32 s2, vcc_lo, s2
	s_and_saveexec_b32 s3, s2
	s_delay_alu instid0(SALU_CYCLE_1)
	s_xor_b32 s2, exec_lo, s3
; %bb.864:
	v_cmp_ne_u32_e32 vcc_lo, 0, v221
	v_cndmask_b32_e32 v221, 42, v221, vcc_lo
; %bb.865:
	s_and_not1_saveexec_b32 s3, s2
	s_cbranch_execz .LBB102_871
; %bb.866:
	v_cmp_gt_f64_e32 vcc_lo, 0, v[208:209]
	v_cmp_gt_f64_e64 s2, 0, v[210:211]
	v_xor_b32_e32 v217, 0x80000000, v209
	v_xor_b32_e32 v225, 0x80000000, v211
	s_delay_alu instid0(VALU_DEP_2) | instskip(NEXT) | instid1(VALU_DEP_2)
	v_cndmask_b32_e32 v226, v209, v217, vcc_lo
	v_cndmask_b32_e64 v228, v211, v225, s2
	v_cndmask_b32_e32 v225, v208, v208, vcc_lo
	v_cndmask_b32_e64 v227, v210, v210, s2
	s_mov_b32 s2, exec_lo
	s_delay_alu instid0(VALU_DEP_1)
	v_cmpx_ngt_f64_e32 v[225:226], v[227:228]
	s_xor_b32 s2, exec_lo, s2
	s_cbranch_execz .LBB102_868
; %bb.867:
	v_div_scale_f64 v[225:226], null, v[210:211], v[210:211], v[208:209]
	v_div_scale_f64 v[231:232], vcc_lo, v[208:209], v[210:211], v[208:209]
	s_delay_alu instid0(VALU_DEP_2) | instskip(SKIP_2) | instid1(VALU_DEP_1)
	v_rcp_f64_e32 v[227:228], v[225:226]
	s_waitcnt_depctr 0xfff
	v_fma_f64 v[229:230], -v[225:226], v[227:228], 1.0
	v_fma_f64 v[227:228], v[227:228], v[229:230], v[227:228]
	s_delay_alu instid0(VALU_DEP_1) | instskip(NEXT) | instid1(VALU_DEP_1)
	v_fma_f64 v[229:230], -v[225:226], v[227:228], 1.0
	v_fma_f64 v[227:228], v[227:228], v[229:230], v[227:228]
	s_delay_alu instid0(VALU_DEP_1) | instskip(NEXT) | instid1(VALU_DEP_1)
	v_mul_f64 v[229:230], v[231:232], v[227:228]
	v_fma_f64 v[225:226], -v[225:226], v[229:230], v[231:232]
	s_delay_alu instid0(VALU_DEP_1) | instskip(NEXT) | instid1(VALU_DEP_1)
	v_div_fmas_f64 v[225:226], v[225:226], v[227:228], v[229:230]
	v_div_fixup_f64 v[225:226], v[225:226], v[210:211], v[208:209]
	s_delay_alu instid0(VALU_DEP_1) | instskip(NEXT) | instid1(VALU_DEP_1)
	v_fma_f64 v[208:209], v[208:209], v[225:226], v[210:211]
	v_div_scale_f64 v[210:211], null, v[208:209], v[208:209], 1.0
	s_delay_alu instid0(VALU_DEP_1) | instskip(SKIP_2) | instid1(VALU_DEP_1)
	v_rcp_f64_e32 v[227:228], v[210:211]
	s_waitcnt_depctr 0xfff
	v_fma_f64 v[229:230], -v[210:211], v[227:228], 1.0
	v_fma_f64 v[227:228], v[227:228], v[229:230], v[227:228]
	s_delay_alu instid0(VALU_DEP_1) | instskip(NEXT) | instid1(VALU_DEP_1)
	v_fma_f64 v[229:230], -v[210:211], v[227:228], 1.0
	v_fma_f64 v[227:228], v[227:228], v[229:230], v[227:228]
	v_div_scale_f64 v[229:230], vcc_lo, 1.0, v[208:209], 1.0
	s_delay_alu instid0(VALU_DEP_1) | instskip(NEXT) | instid1(VALU_DEP_1)
	v_mul_f64 v[231:232], v[229:230], v[227:228]
	v_fma_f64 v[210:211], -v[210:211], v[231:232], v[229:230]
	s_delay_alu instid0(VALU_DEP_1) | instskip(NEXT) | instid1(VALU_DEP_1)
	v_div_fmas_f64 v[210:211], v[210:211], v[227:228], v[231:232]
	v_div_fixup_f64 v[210:211], v[210:211], v[208:209], 1.0
	s_delay_alu instid0(VALU_DEP_1)
	v_mul_f64 v[208:209], v[225:226], v[210:211]
	v_xor_b32_e32 v211, 0x80000000, v211
.LBB102_868:
	s_and_not1_saveexec_b32 s2, s2
	s_cbranch_execz .LBB102_870
; %bb.869:
	s_delay_alu instid0(VALU_DEP_1) | instskip(SKIP_1) | instid1(VALU_DEP_2)
	v_div_scale_f64 v[225:226], null, v[208:209], v[208:209], v[210:211]
	v_div_scale_f64 v[231:232], vcc_lo, v[210:211], v[208:209], v[210:211]
	v_rcp_f64_e32 v[227:228], v[225:226]
	s_waitcnt_depctr 0xfff
	v_fma_f64 v[229:230], -v[225:226], v[227:228], 1.0
	s_delay_alu instid0(VALU_DEP_1) | instskip(NEXT) | instid1(VALU_DEP_1)
	v_fma_f64 v[227:228], v[227:228], v[229:230], v[227:228]
	v_fma_f64 v[229:230], -v[225:226], v[227:228], 1.0
	s_delay_alu instid0(VALU_DEP_1) | instskip(NEXT) | instid1(VALU_DEP_1)
	v_fma_f64 v[227:228], v[227:228], v[229:230], v[227:228]
	v_mul_f64 v[229:230], v[231:232], v[227:228]
	s_delay_alu instid0(VALU_DEP_1) | instskip(NEXT) | instid1(VALU_DEP_1)
	v_fma_f64 v[225:226], -v[225:226], v[229:230], v[231:232]
	v_div_fmas_f64 v[225:226], v[225:226], v[227:228], v[229:230]
	s_delay_alu instid0(VALU_DEP_1) | instskip(NEXT) | instid1(VALU_DEP_1)
	v_div_fixup_f64 v[225:226], v[225:226], v[208:209], v[210:211]
	v_fma_f64 v[208:209], v[210:211], v[225:226], v[208:209]
	s_delay_alu instid0(VALU_DEP_1) | instskip(NEXT) | instid1(VALU_DEP_1)
	v_div_scale_f64 v[210:211], null, v[208:209], v[208:209], 1.0
	v_rcp_f64_e32 v[227:228], v[210:211]
	s_waitcnt_depctr 0xfff
	v_fma_f64 v[229:230], -v[210:211], v[227:228], 1.0
	s_delay_alu instid0(VALU_DEP_1) | instskip(NEXT) | instid1(VALU_DEP_1)
	v_fma_f64 v[227:228], v[227:228], v[229:230], v[227:228]
	v_fma_f64 v[229:230], -v[210:211], v[227:228], 1.0
	s_delay_alu instid0(VALU_DEP_1) | instskip(SKIP_1) | instid1(VALU_DEP_1)
	v_fma_f64 v[227:228], v[227:228], v[229:230], v[227:228]
	v_div_scale_f64 v[229:230], vcc_lo, 1.0, v[208:209], 1.0
	v_mul_f64 v[231:232], v[229:230], v[227:228]
	s_delay_alu instid0(VALU_DEP_1) | instskip(NEXT) | instid1(VALU_DEP_1)
	v_fma_f64 v[210:211], -v[210:211], v[231:232], v[229:230]
	v_div_fmas_f64 v[210:211], v[210:211], v[227:228], v[231:232]
	s_delay_alu instid0(VALU_DEP_1) | instskip(NEXT) | instid1(VALU_DEP_1)
	v_div_fixup_f64 v[208:209], v[210:211], v[208:209], 1.0
	v_mul_f64 v[210:211], v[225:226], -v[208:209]
.LBB102_870:
	s_or_b32 exec_lo, exec_lo, s2
.LBB102_871:
	s_delay_alu instid0(SALU_CYCLE_1) | instskip(NEXT) | instid1(SALU_CYCLE_1)
	s_or_b32 exec_lo, exec_lo, s3
	s_mov_b32 s2, exec_lo
	v_cmpx_ne_u32_e64 v224, v216
	s_xor_b32 s2, exec_lo, s2
	s_cbranch_execz .LBB102_877
; %bb.872:
	s_mov_b32 s3, exec_lo
	v_cmpx_eq_u32_e32 41, v224
	s_cbranch_execz .LBB102_876
; %bb.873:
	v_cmp_ne_u32_e32 vcc_lo, 41, v216
	s_xor_b32 s6, s4, -1
	s_delay_alu instid0(SALU_CYCLE_1) | instskip(NEXT) | instid1(SALU_CYCLE_1)
	s_and_b32 s7, s6, vcc_lo
	s_and_saveexec_b32 s6, s7
	s_cbranch_execz .LBB102_875
; %bb.874:
	v_ashrrev_i32_e32 v217, 31, v216
	s_delay_alu instid0(VALU_DEP_1) | instskip(NEXT) | instid1(VALU_DEP_1)
	v_lshlrev_b64 v[223:224], 2, v[216:217]
	v_add_co_u32 v223, vcc_lo, v214, v223
	s_delay_alu instid0(VALU_DEP_2)
	v_add_co_ci_u32_e32 v224, vcc_lo, v215, v224, vcc_lo
	s_clause 0x1
	flat_load_b32 v217, v[223:224]
	flat_load_b32 v225, v[214:215] offset:164
	s_waitcnt vmcnt(1) lgkmcnt(1)
	flat_store_b32 v[214:215], v217 offset:164
	s_waitcnt vmcnt(0) lgkmcnt(1)
	flat_store_b32 v[223:224], v225
.LBB102_875:
	s_or_b32 exec_lo, exec_lo, s6
	v_mov_b32_e32 v224, v216
	v_mov_b32_e32 v223, v216
.LBB102_876:
	s_or_b32 exec_lo, exec_lo, s3
.LBB102_877:
	s_and_not1_saveexec_b32 s2, s2
	s_cbranch_execz .LBB102_879
; %bb.878:
	v_mov_b32_e32 v224, 41
	ds_store_2addr_b64 v218, v[36:37], v[38:39] offset0:84 offset1:85
	ds_store_2addr_b64 v218, v[32:33], v[34:35] offset0:86 offset1:87
	;; [unrolled: 1-line block ×10, first 2 shown]
.LBB102_879:
	s_or_b32 exec_lo, exec_lo, s2
	s_delay_alu instid0(SALU_CYCLE_1)
	s_mov_b32 s2, exec_lo
	s_waitcnt lgkmcnt(0)
	s_waitcnt_vscnt null, 0x0
	s_barrier
	buffer_gl0_inv
	v_cmpx_lt_i32_e32 41, v224
	s_cbranch_execz .LBB102_881
; %bb.880:
	v_mul_f64 v[216:217], v[208:209], v[42:43]
	v_mul_f64 v[42:43], v[210:211], v[42:43]
	s_delay_alu instid0(VALU_DEP_2) | instskip(NEXT) | instid1(VALU_DEP_2)
	v_fma_f64 v[216:217], v[210:211], v[40:41], v[216:217]
	v_fma_f64 v[40:41], v[208:209], v[40:41], -v[42:43]
	ds_load_2addr_b64 v[208:211], v218 offset0:84 offset1:85
	s_waitcnt lgkmcnt(0)
	v_mul_f64 v[42:43], v[210:211], v[216:217]
	s_delay_alu instid0(VALU_DEP_1) | instskip(SKIP_1) | instid1(VALU_DEP_2)
	v_fma_f64 v[42:43], v[208:209], v[40:41], -v[42:43]
	v_mul_f64 v[208:209], v[208:209], v[216:217]
	v_add_f64 v[36:37], v[36:37], -v[42:43]
	s_delay_alu instid0(VALU_DEP_2) | instskip(NEXT) | instid1(VALU_DEP_1)
	v_fma_f64 v[208:209], v[210:211], v[40:41], v[208:209]
	v_add_f64 v[38:39], v[38:39], -v[208:209]
	ds_load_2addr_b64 v[208:211], v218 offset0:86 offset1:87
	s_waitcnt lgkmcnt(0)
	v_mul_f64 v[42:43], v[210:211], v[216:217]
	s_delay_alu instid0(VALU_DEP_1) | instskip(SKIP_1) | instid1(VALU_DEP_2)
	v_fma_f64 v[42:43], v[208:209], v[40:41], -v[42:43]
	v_mul_f64 v[208:209], v[208:209], v[216:217]
	v_add_f64 v[32:33], v[32:33], -v[42:43]
	s_delay_alu instid0(VALU_DEP_2) | instskip(NEXT) | instid1(VALU_DEP_1)
	v_fma_f64 v[208:209], v[210:211], v[40:41], v[208:209]
	v_add_f64 v[34:35], v[34:35], -v[208:209]
	;; [unrolled: 10-line block ×9, first 2 shown]
	ds_load_2addr_b64 v[208:211], v218 offset0:102 offset1:103
	s_waitcnt lgkmcnt(0)
	v_mul_f64 v[42:43], v[210:211], v[216:217]
	s_delay_alu instid0(VALU_DEP_1) | instskip(SKIP_1) | instid1(VALU_DEP_2)
	v_fma_f64 v[42:43], v[208:209], v[40:41], -v[42:43]
	v_mul_f64 v[208:209], v[208:209], v[216:217]
	v_add_f64 v[0:1], v[0:1], -v[42:43]
	s_delay_alu instid0(VALU_DEP_2) | instskip(SKIP_1) | instid1(VALU_DEP_2)
	v_fma_f64 v[208:209], v[210:211], v[40:41], v[208:209]
	v_dual_mov_b32 v42, v216 :: v_dual_mov_b32 v43, v217
	v_add_f64 v[2:3], v[2:3], -v[208:209]
.LBB102_881:
	s_or_b32 exec_lo, exec_lo, s2
	v_lshl_add_u32 v208, v224, 4, v218
	s_barrier
	buffer_gl0_inv
	v_mov_b32_e32 v216, 42
	ds_store_2addr_b64 v208, v[36:37], v[38:39] offset1:1
	s_waitcnt lgkmcnt(0)
	s_barrier
	buffer_gl0_inv
	ds_load_2addr_b64 v[208:211], v218 offset0:84 offset1:85
	s_cmp_lt_i32 s5, 44
	s_cbranch_scc1 .LBB102_884
; %bb.882:
	v_add3_u32 v217, v222, 0, 0x2b0
	v_mov_b32_e32 v216, 42
	s_mov_b32 s6, 43
	s_set_inst_prefetch_distance 0x1
	.p2align	6
.LBB102_883:                            ; =>This Inner Loop Header: Depth=1
	ds_load_2addr_b64 v[225:228], v217 offset1:1
	s_waitcnt lgkmcnt(1)
	v_cmp_gt_f64_e32 vcc_lo, 0, v[208:209]
	v_xor_b32_e32 v229, 0x80000000, v209
	v_cmp_gt_f64_e64 s2, 0, v[210:211]
	v_xor_b32_e32 v231, 0x80000000, v211
	v_add_nc_u32_e32 v217, 16, v217
	s_waitcnt lgkmcnt(0)
	v_cmp_gt_f64_e64 s3, 0, v[225:226]
	v_mov_b32_e32 v233, v225
	v_dual_mov_b32 v235, v227 :: v_dual_cndmask_b32 v230, v209, v229
	v_xor_b32_e32 v229, 0x80000000, v226
	v_cndmask_b32_e64 v232, v211, v231, s2
	v_xor_b32_e32 v231, 0x80000000, v228
	s_delay_alu instid0(VALU_DEP_3) | instskip(SKIP_2) | instid1(VALU_DEP_2)
	v_cndmask_b32_e64 v234, v226, v229, s3
	v_cmp_gt_f64_e64 s3, 0, v[227:228]
	v_cndmask_b32_e32 v229, v208, v208, vcc_lo
	v_cndmask_b32_e64 v236, v228, v231, s3
	v_cndmask_b32_e64 v231, v210, v210, s2
	s_delay_alu instid0(VALU_DEP_2) | instskip(NEXT) | instid1(VALU_DEP_2)
	v_add_f64 v[233:234], v[233:234], v[235:236]
	v_add_f64 v[229:230], v[229:230], v[231:232]
	s_delay_alu instid0(VALU_DEP_1) | instskip(SKIP_4) | instid1(SALU_CYCLE_1)
	v_cmp_lt_f64_e32 vcc_lo, v[229:230], v[233:234]
	v_dual_cndmask_b32 v210, v210, v227 :: v_dual_cndmask_b32 v209, v209, v226
	v_dual_cndmask_b32 v208, v208, v225 :: v_dual_cndmask_b32 v211, v211, v228
	v_cndmask_b32_e64 v216, v216, s6, vcc_lo
	s_add_i32 s6, s6, 1
	s_cmp_lg_u32 s5, s6
	s_cbranch_scc1 .LBB102_883
.LBB102_884:
	s_set_inst_prefetch_distance 0x2
	s_waitcnt lgkmcnt(0)
	v_cmp_eq_f64_e32 vcc_lo, 0, v[208:209]
	v_cmp_eq_f64_e64 s2, 0, v[210:211]
	s_delay_alu instid0(VALU_DEP_1) | instskip(NEXT) | instid1(SALU_CYCLE_1)
	s_and_b32 s2, vcc_lo, s2
	s_and_saveexec_b32 s3, s2
	s_delay_alu instid0(SALU_CYCLE_1)
	s_xor_b32 s2, exec_lo, s3
; %bb.885:
	v_cmp_ne_u32_e32 vcc_lo, 0, v221
	v_cndmask_b32_e32 v221, 43, v221, vcc_lo
; %bb.886:
	s_and_not1_saveexec_b32 s3, s2
	s_cbranch_execz .LBB102_892
; %bb.887:
	v_cmp_gt_f64_e32 vcc_lo, 0, v[208:209]
	v_cmp_gt_f64_e64 s2, 0, v[210:211]
	v_xor_b32_e32 v217, 0x80000000, v209
	v_xor_b32_e32 v225, 0x80000000, v211
	s_delay_alu instid0(VALU_DEP_2) | instskip(NEXT) | instid1(VALU_DEP_2)
	v_cndmask_b32_e32 v226, v209, v217, vcc_lo
	v_cndmask_b32_e64 v228, v211, v225, s2
	v_cndmask_b32_e32 v225, v208, v208, vcc_lo
	v_cndmask_b32_e64 v227, v210, v210, s2
	s_mov_b32 s2, exec_lo
	s_delay_alu instid0(VALU_DEP_1)
	v_cmpx_ngt_f64_e32 v[225:226], v[227:228]
	s_xor_b32 s2, exec_lo, s2
	s_cbranch_execz .LBB102_889
; %bb.888:
	v_div_scale_f64 v[225:226], null, v[210:211], v[210:211], v[208:209]
	v_div_scale_f64 v[231:232], vcc_lo, v[208:209], v[210:211], v[208:209]
	s_delay_alu instid0(VALU_DEP_2) | instskip(SKIP_2) | instid1(VALU_DEP_1)
	v_rcp_f64_e32 v[227:228], v[225:226]
	s_waitcnt_depctr 0xfff
	v_fma_f64 v[229:230], -v[225:226], v[227:228], 1.0
	v_fma_f64 v[227:228], v[227:228], v[229:230], v[227:228]
	s_delay_alu instid0(VALU_DEP_1) | instskip(NEXT) | instid1(VALU_DEP_1)
	v_fma_f64 v[229:230], -v[225:226], v[227:228], 1.0
	v_fma_f64 v[227:228], v[227:228], v[229:230], v[227:228]
	s_delay_alu instid0(VALU_DEP_1) | instskip(NEXT) | instid1(VALU_DEP_1)
	v_mul_f64 v[229:230], v[231:232], v[227:228]
	v_fma_f64 v[225:226], -v[225:226], v[229:230], v[231:232]
	s_delay_alu instid0(VALU_DEP_1) | instskip(NEXT) | instid1(VALU_DEP_1)
	v_div_fmas_f64 v[225:226], v[225:226], v[227:228], v[229:230]
	v_div_fixup_f64 v[225:226], v[225:226], v[210:211], v[208:209]
	s_delay_alu instid0(VALU_DEP_1) | instskip(NEXT) | instid1(VALU_DEP_1)
	v_fma_f64 v[208:209], v[208:209], v[225:226], v[210:211]
	v_div_scale_f64 v[210:211], null, v[208:209], v[208:209], 1.0
	s_delay_alu instid0(VALU_DEP_1) | instskip(SKIP_2) | instid1(VALU_DEP_1)
	v_rcp_f64_e32 v[227:228], v[210:211]
	s_waitcnt_depctr 0xfff
	v_fma_f64 v[229:230], -v[210:211], v[227:228], 1.0
	v_fma_f64 v[227:228], v[227:228], v[229:230], v[227:228]
	s_delay_alu instid0(VALU_DEP_1) | instskip(NEXT) | instid1(VALU_DEP_1)
	v_fma_f64 v[229:230], -v[210:211], v[227:228], 1.0
	v_fma_f64 v[227:228], v[227:228], v[229:230], v[227:228]
	v_div_scale_f64 v[229:230], vcc_lo, 1.0, v[208:209], 1.0
	s_delay_alu instid0(VALU_DEP_1) | instskip(NEXT) | instid1(VALU_DEP_1)
	v_mul_f64 v[231:232], v[229:230], v[227:228]
	v_fma_f64 v[210:211], -v[210:211], v[231:232], v[229:230]
	s_delay_alu instid0(VALU_DEP_1) | instskip(NEXT) | instid1(VALU_DEP_1)
	v_div_fmas_f64 v[210:211], v[210:211], v[227:228], v[231:232]
	v_div_fixup_f64 v[210:211], v[210:211], v[208:209], 1.0
	s_delay_alu instid0(VALU_DEP_1)
	v_mul_f64 v[208:209], v[225:226], v[210:211]
	v_xor_b32_e32 v211, 0x80000000, v211
.LBB102_889:
	s_and_not1_saveexec_b32 s2, s2
	s_cbranch_execz .LBB102_891
; %bb.890:
	s_delay_alu instid0(VALU_DEP_1) | instskip(SKIP_1) | instid1(VALU_DEP_2)
	v_div_scale_f64 v[225:226], null, v[208:209], v[208:209], v[210:211]
	v_div_scale_f64 v[231:232], vcc_lo, v[210:211], v[208:209], v[210:211]
	v_rcp_f64_e32 v[227:228], v[225:226]
	s_waitcnt_depctr 0xfff
	v_fma_f64 v[229:230], -v[225:226], v[227:228], 1.0
	s_delay_alu instid0(VALU_DEP_1) | instskip(NEXT) | instid1(VALU_DEP_1)
	v_fma_f64 v[227:228], v[227:228], v[229:230], v[227:228]
	v_fma_f64 v[229:230], -v[225:226], v[227:228], 1.0
	s_delay_alu instid0(VALU_DEP_1) | instskip(NEXT) | instid1(VALU_DEP_1)
	v_fma_f64 v[227:228], v[227:228], v[229:230], v[227:228]
	v_mul_f64 v[229:230], v[231:232], v[227:228]
	s_delay_alu instid0(VALU_DEP_1) | instskip(NEXT) | instid1(VALU_DEP_1)
	v_fma_f64 v[225:226], -v[225:226], v[229:230], v[231:232]
	v_div_fmas_f64 v[225:226], v[225:226], v[227:228], v[229:230]
	s_delay_alu instid0(VALU_DEP_1) | instskip(NEXT) | instid1(VALU_DEP_1)
	v_div_fixup_f64 v[225:226], v[225:226], v[208:209], v[210:211]
	v_fma_f64 v[208:209], v[210:211], v[225:226], v[208:209]
	s_delay_alu instid0(VALU_DEP_1) | instskip(NEXT) | instid1(VALU_DEP_1)
	v_div_scale_f64 v[210:211], null, v[208:209], v[208:209], 1.0
	v_rcp_f64_e32 v[227:228], v[210:211]
	s_waitcnt_depctr 0xfff
	v_fma_f64 v[229:230], -v[210:211], v[227:228], 1.0
	s_delay_alu instid0(VALU_DEP_1) | instskip(NEXT) | instid1(VALU_DEP_1)
	v_fma_f64 v[227:228], v[227:228], v[229:230], v[227:228]
	v_fma_f64 v[229:230], -v[210:211], v[227:228], 1.0
	s_delay_alu instid0(VALU_DEP_1) | instskip(SKIP_1) | instid1(VALU_DEP_1)
	v_fma_f64 v[227:228], v[227:228], v[229:230], v[227:228]
	v_div_scale_f64 v[229:230], vcc_lo, 1.0, v[208:209], 1.0
	v_mul_f64 v[231:232], v[229:230], v[227:228]
	s_delay_alu instid0(VALU_DEP_1) | instskip(NEXT) | instid1(VALU_DEP_1)
	v_fma_f64 v[210:211], -v[210:211], v[231:232], v[229:230]
	v_div_fmas_f64 v[210:211], v[210:211], v[227:228], v[231:232]
	s_delay_alu instid0(VALU_DEP_1) | instskip(NEXT) | instid1(VALU_DEP_1)
	v_div_fixup_f64 v[208:209], v[210:211], v[208:209], 1.0
	v_mul_f64 v[210:211], v[225:226], -v[208:209]
.LBB102_891:
	s_or_b32 exec_lo, exec_lo, s2
.LBB102_892:
	s_delay_alu instid0(SALU_CYCLE_1) | instskip(NEXT) | instid1(SALU_CYCLE_1)
	s_or_b32 exec_lo, exec_lo, s3
	s_mov_b32 s2, exec_lo
	v_cmpx_ne_u32_e64 v224, v216
	s_xor_b32 s2, exec_lo, s2
	s_cbranch_execz .LBB102_898
; %bb.893:
	s_mov_b32 s3, exec_lo
	v_cmpx_eq_u32_e32 42, v224
	s_cbranch_execz .LBB102_897
; %bb.894:
	v_cmp_ne_u32_e32 vcc_lo, 42, v216
	s_xor_b32 s6, s4, -1
	s_delay_alu instid0(SALU_CYCLE_1) | instskip(NEXT) | instid1(SALU_CYCLE_1)
	s_and_b32 s7, s6, vcc_lo
	s_and_saveexec_b32 s6, s7
	s_cbranch_execz .LBB102_896
; %bb.895:
	v_ashrrev_i32_e32 v217, 31, v216
	s_delay_alu instid0(VALU_DEP_1) | instskip(NEXT) | instid1(VALU_DEP_1)
	v_lshlrev_b64 v[223:224], 2, v[216:217]
	v_add_co_u32 v223, vcc_lo, v214, v223
	s_delay_alu instid0(VALU_DEP_2)
	v_add_co_ci_u32_e32 v224, vcc_lo, v215, v224, vcc_lo
	s_clause 0x1
	flat_load_b32 v217, v[223:224]
	flat_load_b32 v225, v[214:215] offset:168
	s_waitcnt vmcnt(1) lgkmcnt(1)
	flat_store_b32 v[214:215], v217 offset:168
	s_waitcnt vmcnt(0) lgkmcnt(1)
	flat_store_b32 v[223:224], v225
.LBB102_896:
	s_or_b32 exec_lo, exec_lo, s6
	v_mov_b32_e32 v224, v216
	v_mov_b32_e32 v223, v216
.LBB102_897:
	s_or_b32 exec_lo, exec_lo, s3
.LBB102_898:
	s_and_not1_saveexec_b32 s2, s2
	s_cbranch_execz .LBB102_900
; %bb.899:
	v_mov_b32_e32 v224, 42
	ds_store_2addr_b64 v218, v[32:33], v[34:35] offset0:86 offset1:87
	ds_store_2addr_b64 v218, v[28:29], v[30:31] offset0:88 offset1:89
	ds_store_2addr_b64 v218, v[24:25], v[26:27] offset0:90 offset1:91
	ds_store_2addr_b64 v218, v[20:21], v[22:23] offset0:92 offset1:93
	ds_store_2addr_b64 v218, v[16:17], v[18:19] offset0:94 offset1:95
	ds_store_2addr_b64 v218, v[12:13], v[14:15] offset0:96 offset1:97
	ds_store_2addr_b64 v218, v[8:9], v[10:11] offset0:98 offset1:99
	ds_store_2addr_b64 v218, v[4:5], v[6:7] offset0:100 offset1:101
	ds_store_2addr_b64 v218, v[0:1], v[2:3] offset0:102 offset1:103
.LBB102_900:
	s_or_b32 exec_lo, exec_lo, s2
	s_delay_alu instid0(SALU_CYCLE_1)
	s_mov_b32 s2, exec_lo
	s_waitcnt lgkmcnt(0)
	s_waitcnt_vscnt null, 0x0
	s_barrier
	buffer_gl0_inv
	v_cmpx_lt_i32_e32 42, v224
	s_cbranch_execz .LBB102_902
; %bb.901:
	v_mul_f64 v[216:217], v[208:209], v[38:39]
	v_mul_f64 v[38:39], v[210:211], v[38:39]
	s_delay_alu instid0(VALU_DEP_2) | instskip(NEXT) | instid1(VALU_DEP_2)
	v_fma_f64 v[216:217], v[210:211], v[36:37], v[216:217]
	v_fma_f64 v[36:37], v[208:209], v[36:37], -v[38:39]
	ds_load_2addr_b64 v[208:211], v218 offset0:86 offset1:87
	s_waitcnt lgkmcnt(0)
	v_mul_f64 v[38:39], v[210:211], v[216:217]
	s_delay_alu instid0(VALU_DEP_1) | instskip(SKIP_1) | instid1(VALU_DEP_2)
	v_fma_f64 v[38:39], v[208:209], v[36:37], -v[38:39]
	v_mul_f64 v[208:209], v[208:209], v[216:217]
	v_add_f64 v[32:33], v[32:33], -v[38:39]
	s_delay_alu instid0(VALU_DEP_2) | instskip(NEXT) | instid1(VALU_DEP_1)
	v_fma_f64 v[208:209], v[210:211], v[36:37], v[208:209]
	v_add_f64 v[34:35], v[34:35], -v[208:209]
	ds_load_2addr_b64 v[208:211], v218 offset0:88 offset1:89
	s_waitcnt lgkmcnt(0)
	v_mul_f64 v[38:39], v[210:211], v[216:217]
	s_delay_alu instid0(VALU_DEP_1) | instskip(SKIP_1) | instid1(VALU_DEP_2)
	v_fma_f64 v[38:39], v[208:209], v[36:37], -v[38:39]
	v_mul_f64 v[208:209], v[208:209], v[216:217]
	v_add_f64 v[28:29], v[28:29], -v[38:39]
	s_delay_alu instid0(VALU_DEP_2) | instskip(NEXT) | instid1(VALU_DEP_1)
	v_fma_f64 v[208:209], v[210:211], v[36:37], v[208:209]
	v_add_f64 v[30:31], v[30:31], -v[208:209]
	;; [unrolled: 10-line block ×8, first 2 shown]
	ds_load_2addr_b64 v[208:211], v218 offset0:102 offset1:103
	s_waitcnt lgkmcnt(0)
	v_mul_f64 v[38:39], v[210:211], v[216:217]
	s_delay_alu instid0(VALU_DEP_1) | instskip(SKIP_1) | instid1(VALU_DEP_2)
	v_fma_f64 v[38:39], v[208:209], v[36:37], -v[38:39]
	v_mul_f64 v[208:209], v[208:209], v[216:217]
	v_add_f64 v[0:1], v[0:1], -v[38:39]
	s_delay_alu instid0(VALU_DEP_2) | instskip(SKIP_1) | instid1(VALU_DEP_2)
	v_fma_f64 v[208:209], v[210:211], v[36:37], v[208:209]
	v_dual_mov_b32 v38, v216 :: v_dual_mov_b32 v39, v217
	v_add_f64 v[2:3], v[2:3], -v[208:209]
.LBB102_902:
	s_or_b32 exec_lo, exec_lo, s2
	v_lshl_add_u32 v208, v224, 4, v218
	s_barrier
	buffer_gl0_inv
	v_mov_b32_e32 v216, 43
	ds_store_2addr_b64 v208, v[32:33], v[34:35] offset1:1
	s_waitcnt lgkmcnt(0)
	s_barrier
	buffer_gl0_inv
	ds_load_2addr_b64 v[208:211], v218 offset0:86 offset1:87
	s_cmp_lt_i32 s5, 45
	s_cbranch_scc1 .LBB102_905
; %bb.903:
	v_add3_u32 v217, v222, 0, 0x2c0
	v_mov_b32_e32 v216, 43
	s_mov_b32 s6, 44
	s_set_inst_prefetch_distance 0x1
	.p2align	6
.LBB102_904:                            ; =>This Inner Loop Header: Depth=1
	ds_load_2addr_b64 v[225:228], v217 offset1:1
	s_waitcnt lgkmcnt(1)
	v_cmp_gt_f64_e32 vcc_lo, 0, v[208:209]
	v_xor_b32_e32 v229, 0x80000000, v209
	v_cmp_gt_f64_e64 s2, 0, v[210:211]
	v_xor_b32_e32 v231, 0x80000000, v211
	v_add_nc_u32_e32 v217, 16, v217
	s_waitcnt lgkmcnt(0)
	v_cmp_gt_f64_e64 s3, 0, v[225:226]
	v_mov_b32_e32 v233, v225
	v_dual_mov_b32 v235, v227 :: v_dual_cndmask_b32 v230, v209, v229
	v_xor_b32_e32 v229, 0x80000000, v226
	v_cndmask_b32_e64 v232, v211, v231, s2
	v_xor_b32_e32 v231, 0x80000000, v228
	s_delay_alu instid0(VALU_DEP_3) | instskip(SKIP_2) | instid1(VALU_DEP_2)
	v_cndmask_b32_e64 v234, v226, v229, s3
	v_cmp_gt_f64_e64 s3, 0, v[227:228]
	v_cndmask_b32_e32 v229, v208, v208, vcc_lo
	v_cndmask_b32_e64 v236, v228, v231, s3
	v_cndmask_b32_e64 v231, v210, v210, s2
	s_delay_alu instid0(VALU_DEP_2) | instskip(NEXT) | instid1(VALU_DEP_2)
	v_add_f64 v[233:234], v[233:234], v[235:236]
	v_add_f64 v[229:230], v[229:230], v[231:232]
	s_delay_alu instid0(VALU_DEP_1) | instskip(SKIP_4) | instid1(SALU_CYCLE_1)
	v_cmp_lt_f64_e32 vcc_lo, v[229:230], v[233:234]
	v_dual_cndmask_b32 v210, v210, v227 :: v_dual_cndmask_b32 v209, v209, v226
	v_dual_cndmask_b32 v208, v208, v225 :: v_dual_cndmask_b32 v211, v211, v228
	v_cndmask_b32_e64 v216, v216, s6, vcc_lo
	s_add_i32 s6, s6, 1
	s_cmp_lg_u32 s5, s6
	s_cbranch_scc1 .LBB102_904
.LBB102_905:
	s_set_inst_prefetch_distance 0x2
	s_waitcnt lgkmcnt(0)
	v_cmp_eq_f64_e32 vcc_lo, 0, v[208:209]
	v_cmp_eq_f64_e64 s2, 0, v[210:211]
	s_delay_alu instid0(VALU_DEP_1) | instskip(NEXT) | instid1(SALU_CYCLE_1)
	s_and_b32 s2, vcc_lo, s2
	s_and_saveexec_b32 s3, s2
	s_delay_alu instid0(SALU_CYCLE_1)
	s_xor_b32 s2, exec_lo, s3
; %bb.906:
	v_cmp_ne_u32_e32 vcc_lo, 0, v221
	v_cndmask_b32_e32 v221, 44, v221, vcc_lo
; %bb.907:
	s_and_not1_saveexec_b32 s3, s2
	s_cbranch_execz .LBB102_913
; %bb.908:
	v_cmp_gt_f64_e32 vcc_lo, 0, v[208:209]
	v_cmp_gt_f64_e64 s2, 0, v[210:211]
	v_xor_b32_e32 v217, 0x80000000, v209
	v_xor_b32_e32 v225, 0x80000000, v211
	s_delay_alu instid0(VALU_DEP_2) | instskip(NEXT) | instid1(VALU_DEP_2)
	v_cndmask_b32_e32 v226, v209, v217, vcc_lo
	v_cndmask_b32_e64 v228, v211, v225, s2
	v_cndmask_b32_e32 v225, v208, v208, vcc_lo
	v_cndmask_b32_e64 v227, v210, v210, s2
	s_mov_b32 s2, exec_lo
	s_delay_alu instid0(VALU_DEP_1)
	v_cmpx_ngt_f64_e32 v[225:226], v[227:228]
	s_xor_b32 s2, exec_lo, s2
	s_cbranch_execz .LBB102_910
; %bb.909:
	v_div_scale_f64 v[225:226], null, v[210:211], v[210:211], v[208:209]
	v_div_scale_f64 v[231:232], vcc_lo, v[208:209], v[210:211], v[208:209]
	s_delay_alu instid0(VALU_DEP_2) | instskip(SKIP_2) | instid1(VALU_DEP_1)
	v_rcp_f64_e32 v[227:228], v[225:226]
	s_waitcnt_depctr 0xfff
	v_fma_f64 v[229:230], -v[225:226], v[227:228], 1.0
	v_fma_f64 v[227:228], v[227:228], v[229:230], v[227:228]
	s_delay_alu instid0(VALU_DEP_1) | instskip(NEXT) | instid1(VALU_DEP_1)
	v_fma_f64 v[229:230], -v[225:226], v[227:228], 1.0
	v_fma_f64 v[227:228], v[227:228], v[229:230], v[227:228]
	s_delay_alu instid0(VALU_DEP_1) | instskip(NEXT) | instid1(VALU_DEP_1)
	v_mul_f64 v[229:230], v[231:232], v[227:228]
	v_fma_f64 v[225:226], -v[225:226], v[229:230], v[231:232]
	s_delay_alu instid0(VALU_DEP_1) | instskip(NEXT) | instid1(VALU_DEP_1)
	v_div_fmas_f64 v[225:226], v[225:226], v[227:228], v[229:230]
	v_div_fixup_f64 v[225:226], v[225:226], v[210:211], v[208:209]
	s_delay_alu instid0(VALU_DEP_1) | instskip(NEXT) | instid1(VALU_DEP_1)
	v_fma_f64 v[208:209], v[208:209], v[225:226], v[210:211]
	v_div_scale_f64 v[210:211], null, v[208:209], v[208:209], 1.0
	s_delay_alu instid0(VALU_DEP_1) | instskip(SKIP_2) | instid1(VALU_DEP_1)
	v_rcp_f64_e32 v[227:228], v[210:211]
	s_waitcnt_depctr 0xfff
	v_fma_f64 v[229:230], -v[210:211], v[227:228], 1.0
	v_fma_f64 v[227:228], v[227:228], v[229:230], v[227:228]
	s_delay_alu instid0(VALU_DEP_1) | instskip(NEXT) | instid1(VALU_DEP_1)
	v_fma_f64 v[229:230], -v[210:211], v[227:228], 1.0
	v_fma_f64 v[227:228], v[227:228], v[229:230], v[227:228]
	v_div_scale_f64 v[229:230], vcc_lo, 1.0, v[208:209], 1.0
	s_delay_alu instid0(VALU_DEP_1) | instskip(NEXT) | instid1(VALU_DEP_1)
	v_mul_f64 v[231:232], v[229:230], v[227:228]
	v_fma_f64 v[210:211], -v[210:211], v[231:232], v[229:230]
	s_delay_alu instid0(VALU_DEP_1) | instskip(NEXT) | instid1(VALU_DEP_1)
	v_div_fmas_f64 v[210:211], v[210:211], v[227:228], v[231:232]
	v_div_fixup_f64 v[210:211], v[210:211], v[208:209], 1.0
	s_delay_alu instid0(VALU_DEP_1)
	v_mul_f64 v[208:209], v[225:226], v[210:211]
	v_xor_b32_e32 v211, 0x80000000, v211
.LBB102_910:
	s_and_not1_saveexec_b32 s2, s2
	s_cbranch_execz .LBB102_912
; %bb.911:
	s_delay_alu instid0(VALU_DEP_1) | instskip(SKIP_1) | instid1(VALU_DEP_2)
	v_div_scale_f64 v[225:226], null, v[208:209], v[208:209], v[210:211]
	v_div_scale_f64 v[231:232], vcc_lo, v[210:211], v[208:209], v[210:211]
	v_rcp_f64_e32 v[227:228], v[225:226]
	s_waitcnt_depctr 0xfff
	v_fma_f64 v[229:230], -v[225:226], v[227:228], 1.0
	s_delay_alu instid0(VALU_DEP_1) | instskip(NEXT) | instid1(VALU_DEP_1)
	v_fma_f64 v[227:228], v[227:228], v[229:230], v[227:228]
	v_fma_f64 v[229:230], -v[225:226], v[227:228], 1.0
	s_delay_alu instid0(VALU_DEP_1) | instskip(NEXT) | instid1(VALU_DEP_1)
	v_fma_f64 v[227:228], v[227:228], v[229:230], v[227:228]
	v_mul_f64 v[229:230], v[231:232], v[227:228]
	s_delay_alu instid0(VALU_DEP_1) | instskip(NEXT) | instid1(VALU_DEP_1)
	v_fma_f64 v[225:226], -v[225:226], v[229:230], v[231:232]
	v_div_fmas_f64 v[225:226], v[225:226], v[227:228], v[229:230]
	s_delay_alu instid0(VALU_DEP_1) | instskip(NEXT) | instid1(VALU_DEP_1)
	v_div_fixup_f64 v[225:226], v[225:226], v[208:209], v[210:211]
	v_fma_f64 v[208:209], v[210:211], v[225:226], v[208:209]
	s_delay_alu instid0(VALU_DEP_1) | instskip(NEXT) | instid1(VALU_DEP_1)
	v_div_scale_f64 v[210:211], null, v[208:209], v[208:209], 1.0
	v_rcp_f64_e32 v[227:228], v[210:211]
	s_waitcnt_depctr 0xfff
	v_fma_f64 v[229:230], -v[210:211], v[227:228], 1.0
	s_delay_alu instid0(VALU_DEP_1) | instskip(NEXT) | instid1(VALU_DEP_1)
	v_fma_f64 v[227:228], v[227:228], v[229:230], v[227:228]
	v_fma_f64 v[229:230], -v[210:211], v[227:228], 1.0
	s_delay_alu instid0(VALU_DEP_1) | instskip(SKIP_1) | instid1(VALU_DEP_1)
	v_fma_f64 v[227:228], v[227:228], v[229:230], v[227:228]
	v_div_scale_f64 v[229:230], vcc_lo, 1.0, v[208:209], 1.0
	v_mul_f64 v[231:232], v[229:230], v[227:228]
	s_delay_alu instid0(VALU_DEP_1) | instskip(NEXT) | instid1(VALU_DEP_1)
	v_fma_f64 v[210:211], -v[210:211], v[231:232], v[229:230]
	v_div_fmas_f64 v[210:211], v[210:211], v[227:228], v[231:232]
	s_delay_alu instid0(VALU_DEP_1) | instskip(NEXT) | instid1(VALU_DEP_1)
	v_div_fixup_f64 v[208:209], v[210:211], v[208:209], 1.0
	v_mul_f64 v[210:211], v[225:226], -v[208:209]
.LBB102_912:
	s_or_b32 exec_lo, exec_lo, s2
.LBB102_913:
	s_delay_alu instid0(SALU_CYCLE_1) | instskip(NEXT) | instid1(SALU_CYCLE_1)
	s_or_b32 exec_lo, exec_lo, s3
	s_mov_b32 s2, exec_lo
	v_cmpx_ne_u32_e64 v224, v216
	s_xor_b32 s2, exec_lo, s2
	s_cbranch_execz .LBB102_919
; %bb.914:
	s_mov_b32 s3, exec_lo
	v_cmpx_eq_u32_e32 43, v224
	s_cbranch_execz .LBB102_918
; %bb.915:
	v_cmp_ne_u32_e32 vcc_lo, 43, v216
	s_xor_b32 s6, s4, -1
	s_delay_alu instid0(SALU_CYCLE_1) | instskip(NEXT) | instid1(SALU_CYCLE_1)
	s_and_b32 s7, s6, vcc_lo
	s_and_saveexec_b32 s6, s7
	s_cbranch_execz .LBB102_917
; %bb.916:
	v_ashrrev_i32_e32 v217, 31, v216
	s_delay_alu instid0(VALU_DEP_1) | instskip(NEXT) | instid1(VALU_DEP_1)
	v_lshlrev_b64 v[223:224], 2, v[216:217]
	v_add_co_u32 v223, vcc_lo, v214, v223
	s_delay_alu instid0(VALU_DEP_2)
	v_add_co_ci_u32_e32 v224, vcc_lo, v215, v224, vcc_lo
	s_clause 0x1
	flat_load_b32 v217, v[223:224]
	flat_load_b32 v225, v[214:215] offset:172
	s_waitcnt vmcnt(1) lgkmcnt(1)
	flat_store_b32 v[214:215], v217 offset:172
	s_waitcnt vmcnt(0) lgkmcnt(1)
	flat_store_b32 v[223:224], v225
.LBB102_917:
	s_or_b32 exec_lo, exec_lo, s6
	v_mov_b32_e32 v224, v216
	v_mov_b32_e32 v223, v216
.LBB102_918:
	s_or_b32 exec_lo, exec_lo, s3
.LBB102_919:
	s_and_not1_saveexec_b32 s2, s2
	s_cbranch_execz .LBB102_921
; %bb.920:
	v_mov_b32_e32 v224, 43
	ds_store_2addr_b64 v218, v[28:29], v[30:31] offset0:88 offset1:89
	ds_store_2addr_b64 v218, v[24:25], v[26:27] offset0:90 offset1:91
	ds_store_2addr_b64 v218, v[20:21], v[22:23] offset0:92 offset1:93
	ds_store_2addr_b64 v218, v[16:17], v[18:19] offset0:94 offset1:95
	ds_store_2addr_b64 v218, v[12:13], v[14:15] offset0:96 offset1:97
	ds_store_2addr_b64 v218, v[8:9], v[10:11] offset0:98 offset1:99
	ds_store_2addr_b64 v218, v[4:5], v[6:7] offset0:100 offset1:101
	ds_store_2addr_b64 v218, v[0:1], v[2:3] offset0:102 offset1:103
.LBB102_921:
	s_or_b32 exec_lo, exec_lo, s2
	s_delay_alu instid0(SALU_CYCLE_1)
	s_mov_b32 s2, exec_lo
	s_waitcnt lgkmcnt(0)
	s_waitcnt_vscnt null, 0x0
	s_barrier
	buffer_gl0_inv
	v_cmpx_lt_i32_e32 43, v224
	s_cbranch_execz .LBB102_923
; %bb.922:
	v_mul_f64 v[216:217], v[208:209], v[34:35]
	v_mul_f64 v[34:35], v[210:211], v[34:35]
	s_delay_alu instid0(VALU_DEP_2) | instskip(NEXT) | instid1(VALU_DEP_2)
	v_fma_f64 v[216:217], v[210:211], v[32:33], v[216:217]
	v_fma_f64 v[32:33], v[208:209], v[32:33], -v[34:35]
	ds_load_2addr_b64 v[208:211], v218 offset0:88 offset1:89
	s_waitcnt lgkmcnt(0)
	v_mul_f64 v[34:35], v[210:211], v[216:217]
	s_delay_alu instid0(VALU_DEP_1) | instskip(SKIP_1) | instid1(VALU_DEP_2)
	v_fma_f64 v[34:35], v[208:209], v[32:33], -v[34:35]
	v_mul_f64 v[208:209], v[208:209], v[216:217]
	v_add_f64 v[28:29], v[28:29], -v[34:35]
	s_delay_alu instid0(VALU_DEP_2) | instskip(NEXT) | instid1(VALU_DEP_1)
	v_fma_f64 v[208:209], v[210:211], v[32:33], v[208:209]
	v_add_f64 v[30:31], v[30:31], -v[208:209]
	ds_load_2addr_b64 v[208:211], v218 offset0:90 offset1:91
	s_waitcnt lgkmcnt(0)
	v_mul_f64 v[34:35], v[210:211], v[216:217]
	s_delay_alu instid0(VALU_DEP_1) | instskip(SKIP_1) | instid1(VALU_DEP_2)
	v_fma_f64 v[34:35], v[208:209], v[32:33], -v[34:35]
	v_mul_f64 v[208:209], v[208:209], v[216:217]
	v_add_f64 v[24:25], v[24:25], -v[34:35]
	s_delay_alu instid0(VALU_DEP_2) | instskip(NEXT) | instid1(VALU_DEP_1)
	v_fma_f64 v[208:209], v[210:211], v[32:33], v[208:209]
	v_add_f64 v[26:27], v[26:27], -v[208:209]
	;; [unrolled: 10-line block ×7, first 2 shown]
	ds_load_2addr_b64 v[208:211], v218 offset0:102 offset1:103
	s_waitcnt lgkmcnt(0)
	v_mul_f64 v[34:35], v[210:211], v[216:217]
	s_delay_alu instid0(VALU_DEP_1) | instskip(SKIP_1) | instid1(VALU_DEP_2)
	v_fma_f64 v[34:35], v[208:209], v[32:33], -v[34:35]
	v_mul_f64 v[208:209], v[208:209], v[216:217]
	v_add_f64 v[0:1], v[0:1], -v[34:35]
	s_delay_alu instid0(VALU_DEP_2) | instskip(SKIP_1) | instid1(VALU_DEP_2)
	v_fma_f64 v[208:209], v[210:211], v[32:33], v[208:209]
	v_dual_mov_b32 v34, v216 :: v_dual_mov_b32 v35, v217
	v_add_f64 v[2:3], v[2:3], -v[208:209]
.LBB102_923:
	s_or_b32 exec_lo, exec_lo, s2
	v_lshl_add_u32 v208, v224, 4, v218
	s_barrier
	buffer_gl0_inv
	v_mov_b32_e32 v216, 44
	ds_store_2addr_b64 v208, v[28:29], v[30:31] offset1:1
	s_waitcnt lgkmcnt(0)
	s_barrier
	buffer_gl0_inv
	ds_load_2addr_b64 v[208:211], v218 offset0:88 offset1:89
	s_cmp_lt_i32 s5, 46
	s_cbranch_scc1 .LBB102_926
; %bb.924:
	v_add3_u32 v217, v222, 0, 0x2d0
	v_mov_b32_e32 v216, 44
	s_mov_b32 s6, 45
	s_set_inst_prefetch_distance 0x1
	.p2align	6
.LBB102_925:                            ; =>This Inner Loop Header: Depth=1
	ds_load_2addr_b64 v[225:228], v217 offset1:1
	s_waitcnt lgkmcnt(1)
	v_cmp_gt_f64_e32 vcc_lo, 0, v[208:209]
	v_xor_b32_e32 v229, 0x80000000, v209
	v_cmp_gt_f64_e64 s2, 0, v[210:211]
	v_xor_b32_e32 v231, 0x80000000, v211
	v_add_nc_u32_e32 v217, 16, v217
	s_waitcnt lgkmcnt(0)
	v_cmp_gt_f64_e64 s3, 0, v[225:226]
	v_mov_b32_e32 v233, v225
	v_dual_mov_b32 v235, v227 :: v_dual_cndmask_b32 v230, v209, v229
	v_xor_b32_e32 v229, 0x80000000, v226
	v_cndmask_b32_e64 v232, v211, v231, s2
	v_xor_b32_e32 v231, 0x80000000, v228
	s_delay_alu instid0(VALU_DEP_3) | instskip(SKIP_2) | instid1(VALU_DEP_2)
	v_cndmask_b32_e64 v234, v226, v229, s3
	v_cmp_gt_f64_e64 s3, 0, v[227:228]
	v_cndmask_b32_e32 v229, v208, v208, vcc_lo
	v_cndmask_b32_e64 v236, v228, v231, s3
	v_cndmask_b32_e64 v231, v210, v210, s2
	s_delay_alu instid0(VALU_DEP_2) | instskip(NEXT) | instid1(VALU_DEP_2)
	v_add_f64 v[233:234], v[233:234], v[235:236]
	v_add_f64 v[229:230], v[229:230], v[231:232]
	s_delay_alu instid0(VALU_DEP_1) | instskip(SKIP_4) | instid1(SALU_CYCLE_1)
	v_cmp_lt_f64_e32 vcc_lo, v[229:230], v[233:234]
	v_dual_cndmask_b32 v210, v210, v227 :: v_dual_cndmask_b32 v209, v209, v226
	v_dual_cndmask_b32 v208, v208, v225 :: v_dual_cndmask_b32 v211, v211, v228
	v_cndmask_b32_e64 v216, v216, s6, vcc_lo
	s_add_i32 s6, s6, 1
	s_cmp_lg_u32 s5, s6
	s_cbranch_scc1 .LBB102_925
.LBB102_926:
	s_set_inst_prefetch_distance 0x2
	s_waitcnt lgkmcnt(0)
	v_cmp_eq_f64_e32 vcc_lo, 0, v[208:209]
	v_cmp_eq_f64_e64 s2, 0, v[210:211]
	s_delay_alu instid0(VALU_DEP_1) | instskip(NEXT) | instid1(SALU_CYCLE_1)
	s_and_b32 s2, vcc_lo, s2
	s_and_saveexec_b32 s3, s2
	s_delay_alu instid0(SALU_CYCLE_1)
	s_xor_b32 s2, exec_lo, s3
; %bb.927:
	v_cmp_ne_u32_e32 vcc_lo, 0, v221
	v_cndmask_b32_e32 v221, 45, v221, vcc_lo
; %bb.928:
	s_and_not1_saveexec_b32 s3, s2
	s_cbranch_execz .LBB102_934
; %bb.929:
	v_cmp_gt_f64_e32 vcc_lo, 0, v[208:209]
	v_cmp_gt_f64_e64 s2, 0, v[210:211]
	v_xor_b32_e32 v217, 0x80000000, v209
	v_xor_b32_e32 v225, 0x80000000, v211
	s_delay_alu instid0(VALU_DEP_2) | instskip(NEXT) | instid1(VALU_DEP_2)
	v_cndmask_b32_e32 v226, v209, v217, vcc_lo
	v_cndmask_b32_e64 v228, v211, v225, s2
	v_cndmask_b32_e32 v225, v208, v208, vcc_lo
	v_cndmask_b32_e64 v227, v210, v210, s2
	s_mov_b32 s2, exec_lo
	s_delay_alu instid0(VALU_DEP_1)
	v_cmpx_ngt_f64_e32 v[225:226], v[227:228]
	s_xor_b32 s2, exec_lo, s2
	s_cbranch_execz .LBB102_931
; %bb.930:
	v_div_scale_f64 v[225:226], null, v[210:211], v[210:211], v[208:209]
	v_div_scale_f64 v[231:232], vcc_lo, v[208:209], v[210:211], v[208:209]
	s_delay_alu instid0(VALU_DEP_2) | instskip(SKIP_2) | instid1(VALU_DEP_1)
	v_rcp_f64_e32 v[227:228], v[225:226]
	s_waitcnt_depctr 0xfff
	v_fma_f64 v[229:230], -v[225:226], v[227:228], 1.0
	v_fma_f64 v[227:228], v[227:228], v[229:230], v[227:228]
	s_delay_alu instid0(VALU_DEP_1) | instskip(NEXT) | instid1(VALU_DEP_1)
	v_fma_f64 v[229:230], -v[225:226], v[227:228], 1.0
	v_fma_f64 v[227:228], v[227:228], v[229:230], v[227:228]
	s_delay_alu instid0(VALU_DEP_1) | instskip(NEXT) | instid1(VALU_DEP_1)
	v_mul_f64 v[229:230], v[231:232], v[227:228]
	v_fma_f64 v[225:226], -v[225:226], v[229:230], v[231:232]
	s_delay_alu instid0(VALU_DEP_1) | instskip(NEXT) | instid1(VALU_DEP_1)
	v_div_fmas_f64 v[225:226], v[225:226], v[227:228], v[229:230]
	v_div_fixup_f64 v[225:226], v[225:226], v[210:211], v[208:209]
	s_delay_alu instid0(VALU_DEP_1) | instskip(NEXT) | instid1(VALU_DEP_1)
	v_fma_f64 v[208:209], v[208:209], v[225:226], v[210:211]
	v_div_scale_f64 v[210:211], null, v[208:209], v[208:209], 1.0
	s_delay_alu instid0(VALU_DEP_1) | instskip(SKIP_2) | instid1(VALU_DEP_1)
	v_rcp_f64_e32 v[227:228], v[210:211]
	s_waitcnt_depctr 0xfff
	v_fma_f64 v[229:230], -v[210:211], v[227:228], 1.0
	v_fma_f64 v[227:228], v[227:228], v[229:230], v[227:228]
	s_delay_alu instid0(VALU_DEP_1) | instskip(NEXT) | instid1(VALU_DEP_1)
	v_fma_f64 v[229:230], -v[210:211], v[227:228], 1.0
	v_fma_f64 v[227:228], v[227:228], v[229:230], v[227:228]
	v_div_scale_f64 v[229:230], vcc_lo, 1.0, v[208:209], 1.0
	s_delay_alu instid0(VALU_DEP_1) | instskip(NEXT) | instid1(VALU_DEP_1)
	v_mul_f64 v[231:232], v[229:230], v[227:228]
	v_fma_f64 v[210:211], -v[210:211], v[231:232], v[229:230]
	s_delay_alu instid0(VALU_DEP_1) | instskip(NEXT) | instid1(VALU_DEP_1)
	v_div_fmas_f64 v[210:211], v[210:211], v[227:228], v[231:232]
	v_div_fixup_f64 v[210:211], v[210:211], v[208:209], 1.0
	s_delay_alu instid0(VALU_DEP_1)
	v_mul_f64 v[208:209], v[225:226], v[210:211]
	v_xor_b32_e32 v211, 0x80000000, v211
.LBB102_931:
	s_and_not1_saveexec_b32 s2, s2
	s_cbranch_execz .LBB102_933
; %bb.932:
	s_delay_alu instid0(VALU_DEP_1) | instskip(SKIP_1) | instid1(VALU_DEP_2)
	v_div_scale_f64 v[225:226], null, v[208:209], v[208:209], v[210:211]
	v_div_scale_f64 v[231:232], vcc_lo, v[210:211], v[208:209], v[210:211]
	v_rcp_f64_e32 v[227:228], v[225:226]
	s_waitcnt_depctr 0xfff
	v_fma_f64 v[229:230], -v[225:226], v[227:228], 1.0
	s_delay_alu instid0(VALU_DEP_1) | instskip(NEXT) | instid1(VALU_DEP_1)
	v_fma_f64 v[227:228], v[227:228], v[229:230], v[227:228]
	v_fma_f64 v[229:230], -v[225:226], v[227:228], 1.0
	s_delay_alu instid0(VALU_DEP_1) | instskip(NEXT) | instid1(VALU_DEP_1)
	v_fma_f64 v[227:228], v[227:228], v[229:230], v[227:228]
	v_mul_f64 v[229:230], v[231:232], v[227:228]
	s_delay_alu instid0(VALU_DEP_1) | instskip(NEXT) | instid1(VALU_DEP_1)
	v_fma_f64 v[225:226], -v[225:226], v[229:230], v[231:232]
	v_div_fmas_f64 v[225:226], v[225:226], v[227:228], v[229:230]
	s_delay_alu instid0(VALU_DEP_1) | instskip(NEXT) | instid1(VALU_DEP_1)
	v_div_fixup_f64 v[225:226], v[225:226], v[208:209], v[210:211]
	v_fma_f64 v[208:209], v[210:211], v[225:226], v[208:209]
	s_delay_alu instid0(VALU_DEP_1) | instskip(NEXT) | instid1(VALU_DEP_1)
	v_div_scale_f64 v[210:211], null, v[208:209], v[208:209], 1.0
	v_rcp_f64_e32 v[227:228], v[210:211]
	s_waitcnt_depctr 0xfff
	v_fma_f64 v[229:230], -v[210:211], v[227:228], 1.0
	s_delay_alu instid0(VALU_DEP_1) | instskip(NEXT) | instid1(VALU_DEP_1)
	v_fma_f64 v[227:228], v[227:228], v[229:230], v[227:228]
	v_fma_f64 v[229:230], -v[210:211], v[227:228], 1.0
	s_delay_alu instid0(VALU_DEP_1) | instskip(SKIP_1) | instid1(VALU_DEP_1)
	v_fma_f64 v[227:228], v[227:228], v[229:230], v[227:228]
	v_div_scale_f64 v[229:230], vcc_lo, 1.0, v[208:209], 1.0
	v_mul_f64 v[231:232], v[229:230], v[227:228]
	s_delay_alu instid0(VALU_DEP_1) | instskip(NEXT) | instid1(VALU_DEP_1)
	v_fma_f64 v[210:211], -v[210:211], v[231:232], v[229:230]
	v_div_fmas_f64 v[210:211], v[210:211], v[227:228], v[231:232]
	s_delay_alu instid0(VALU_DEP_1) | instskip(NEXT) | instid1(VALU_DEP_1)
	v_div_fixup_f64 v[208:209], v[210:211], v[208:209], 1.0
	v_mul_f64 v[210:211], v[225:226], -v[208:209]
.LBB102_933:
	s_or_b32 exec_lo, exec_lo, s2
.LBB102_934:
	s_delay_alu instid0(SALU_CYCLE_1) | instskip(NEXT) | instid1(SALU_CYCLE_1)
	s_or_b32 exec_lo, exec_lo, s3
	s_mov_b32 s2, exec_lo
	v_cmpx_ne_u32_e64 v224, v216
	s_xor_b32 s2, exec_lo, s2
	s_cbranch_execz .LBB102_940
; %bb.935:
	s_mov_b32 s3, exec_lo
	v_cmpx_eq_u32_e32 44, v224
	s_cbranch_execz .LBB102_939
; %bb.936:
	v_cmp_ne_u32_e32 vcc_lo, 44, v216
	s_xor_b32 s6, s4, -1
	s_delay_alu instid0(SALU_CYCLE_1) | instskip(NEXT) | instid1(SALU_CYCLE_1)
	s_and_b32 s7, s6, vcc_lo
	s_and_saveexec_b32 s6, s7
	s_cbranch_execz .LBB102_938
; %bb.937:
	v_ashrrev_i32_e32 v217, 31, v216
	s_delay_alu instid0(VALU_DEP_1) | instskip(NEXT) | instid1(VALU_DEP_1)
	v_lshlrev_b64 v[223:224], 2, v[216:217]
	v_add_co_u32 v223, vcc_lo, v214, v223
	s_delay_alu instid0(VALU_DEP_2)
	v_add_co_ci_u32_e32 v224, vcc_lo, v215, v224, vcc_lo
	s_clause 0x1
	flat_load_b32 v217, v[223:224]
	flat_load_b32 v225, v[214:215] offset:176
	s_waitcnt vmcnt(1) lgkmcnt(1)
	flat_store_b32 v[214:215], v217 offset:176
	s_waitcnt vmcnt(0) lgkmcnt(1)
	flat_store_b32 v[223:224], v225
.LBB102_938:
	s_or_b32 exec_lo, exec_lo, s6
	v_mov_b32_e32 v224, v216
	v_mov_b32_e32 v223, v216
.LBB102_939:
	s_or_b32 exec_lo, exec_lo, s3
.LBB102_940:
	s_and_not1_saveexec_b32 s2, s2
	s_cbranch_execz .LBB102_942
; %bb.941:
	v_mov_b32_e32 v224, 44
	ds_store_2addr_b64 v218, v[24:25], v[26:27] offset0:90 offset1:91
	ds_store_2addr_b64 v218, v[20:21], v[22:23] offset0:92 offset1:93
	;; [unrolled: 1-line block ×7, first 2 shown]
.LBB102_942:
	s_or_b32 exec_lo, exec_lo, s2
	s_delay_alu instid0(SALU_CYCLE_1)
	s_mov_b32 s2, exec_lo
	s_waitcnt lgkmcnt(0)
	s_waitcnt_vscnt null, 0x0
	s_barrier
	buffer_gl0_inv
	v_cmpx_lt_i32_e32 44, v224
	s_cbranch_execz .LBB102_944
; %bb.943:
	v_mul_f64 v[216:217], v[208:209], v[30:31]
	v_mul_f64 v[30:31], v[210:211], v[30:31]
	s_delay_alu instid0(VALU_DEP_2) | instskip(NEXT) | instid1(VALU_DEP_2)
	v_fma_f64 v[216:217], v[210:211], v[28:29], v[216:217]
	v_fma_f64 v[28:29], v[208:209], v[28:29], -v[30:31]
	ds_load_2addr_b64 v[208:211], v218 offset0:90 offset1:91
	s_waitcnt lgkmcnt(0)
	v_mul_f64 v[30:31], v[210:211], v[216:217]
	s_delay_alu instid0(VALU_DEP_1) | instskip(SKIP_1) | instid1(VALU_DEP_2)
	v_fma_f64 v[30:31], v[208:209], v[28:29], -v[30:31]
	v_mul_f64 v[208:209], v[208:209], v[216:217]
	v_add_f64 v[24:25], v[24:25], -v[30:31]
	s_delay_alu instid0(VALU_DEP_2) | instskip(NEXT) | instid1(VALU_DEP_1)
	v_fma_f64 v[208:209], v[210:211], v[28:29], v[208:209]
	v_add_f64 v[26:27], v[26:27], -v[208:209]
	ds_load_2addr_b64 v[208:211], v218 offset0:92 offset1:93
	s_waitcnt lgkmcnt(0)
	v_mul_f64 v[30:31], v[210:211], v[216:217]
	s_delay_alu instid0(VALU_DEP_1) | instskip(SKIP_1) | instid1(VALU_DEP_2)
	v_fma_f64 v[30:31], v[208:209], v[28:29], -v[30:31]
	v_mul_f64 v[208:209], v[208:209], v[216:217]
	v_add_f64 v[20:21], v[20:21], -v[30:31]
	s_delay_alu instid0(VALU_DEP_2) | instskip(NEXT) | instid1(VALU_DEP_1)
	v_fma_f64 v[208:209], v[210:211], v[28:29], v[208:209]
	v_add_f64 v[22:23], v[22:23], -v[208:209]
	;; [unrolled: 10-line block ×6, first 2 shown]
	ds_load_2addr_b64 v[208:211], v218 offset0:102 offset1:103
	s_waitcnt lgkmcnt(0)
	v_mul_f64 v[30:31], v[210:211], v[216:217]
	s_delay_alu instid0(VALU_DEP_1) | instskip(SKIP_1) | instid1(VALU_DEP_2)
	v_fma_f64 v[30:31], v[208:209], v[28:29], -v[30:31]
	v_mul_f64 v[208:209], v[208:209], v[216:217]
	v_add_f64 v[0:1], v[0:1], -v[30:31]
	s_delay_alu instid0(VALU_DEP_2) | instskip(SKIP_1) | instid1(VALU_DEP_2)
	v_fma_f64 v[208:209], v[210:211], v[28:29], v[208:209]
	v_dual_mov_b32 v30, v216 :: v_dual_mov_b32 v31, v217
	v_add_f64 v[2:3], v[2:3], -v[208:209]
.LBB102_944:
	s_or_b32 exec_lo, exec_lo, s2
	v_lshl_add_u32 v208, v224, 4, v218
	s_barrier
	buffer_gl0_inv
	v_mov_b32_e32 v216, 45
	ds_store_2addr_b64 v208, v[24:25], v[26:27] offset1:1
	s_waitcnt lgkmcnt(0)
	s_barrier
	buffer_gl0_inv
	ds_load_2addr_b64 v[208:211], v218 offset0:90 offset1:91
	s_cmp_lt_i32 s5, 47
	s_cbranch_scc1 .LBB102_947
; %bb.945:
	v_add3_u32 v217, v222, 0, 0x2e0
	v_mov_b32_e32 v216, 45
	s_mov_b32 s6, 46
	s_set_inst_prefetch_distance 0x1
	.p2align	6
.LBB102_946:                            ; =>This Inner Loop Header: Depth=1
	ds_load_2addr_b64 v[225:228], v217 offset1:1
	s_waitcnt lgkmcnt(1)
	v_cmp_gt_f64_e32 vcc_lo, 0, v[208:209]
	v_xor_b32_e32 v229, 0x80000000, v209
	v_cmp_gt_f64_e64 s2, 0, v[210:211]
	v_xor_b32_e32 v231, 0x80000000, v211
	v_add_nc_u32_e32 v217, 16, v217
	s_waitcnt lgkmcnt(0)
	v_cmp_gt_f64_e64 s3, 0, v[225:226]
	v_mov_b32_e32 v233, v225
	v_dual_mov_b32 v235, v227 :: v_dual_cndmask_b32 v230, v209, v229
	v_xor_b32_e32 v229, 0x80000000, v226
	v_cndmask_b32_e64 v232, v211, v231, s2
	v_xor_b32_e32 v231, 0x80000000, v228
	s_delay_alu instid0(VALU_DEP_3) | instskip(SKIP_2) | instid1(VALU_DEP_2)
	v_cndmask_b32_e64 v234, v226, v229, s3
	v_cmp_gt_f64_e64 s3, 0, v[227:228]
	v_cndmask_b32_e32 v229, v208, v208, vcc_lo
	v_cndmask_b32_e64 v236, v228, v231, s3
	v_cndmask_b32_e64 v231, v210, v210, s2
	s_delay_alu instid0(VALU_DEP_2) | instskip(NEXT) | instid1(VALU_DEP_2)
	v_add_f64 v[233:234], v[233:234], v[235:236]
	v_add_f64 v[229:230], v[229:230], v[231:232]
	s_delay_alu instid0(VALU_DEP_1) | instskip(SKIP_4) | instid1(SALU_CYCLE_1)
	v_cmp_lt_f64_e32 vcc_lo, v[229:230], v[233:234]
	v_dual_cndmask_b32 v210, v210, v227 :: v_dual_cndmask_b32 v209, v209, v226
	v_dual_cndmask_b32 v208, v208, v225 :: v_dual_cndmask_b32 v211, v211, v228
	v_cndmask_b32_e64 v216, v216, s6, vcc_lo
	s_add_i32 s6, s6, 1
	s_cmp_lg_u32 s5, s6
	s_cbranch_scc1 .LBB102_946
.LBB102_947:
	s_set_inst_prefetch_distance 0x2
	s_waitcnt lgkmcnt(0)
	v_cmp_eq_f64_e32 vcc_lo, 0, v[208:209]
	v_cmp_eq_f64_e64 s2, 0, v[210:211]
	s_delay_alu instid0(VALU_DEP_1) | instskip(NEXT) | instid1(SALU_CYCLE_1)
	s_and_b32 s2, vcc_lo, s2
	s_and_saveexec_b32 s3, s2
	s_delay_alu instid0(SALU_CYCLE_1)
	s_xor_b32 s2, exec_lo, s3
; %bb.948:
	v_cmp_ne_u32_e32 vcc_lo, 0, v221
	v_cndmask_b32_e32 v221, 46, v221, vcc_lo
; %bb.949:
	s_and_not1_saveexec_b32 s3, s2
	s_cbranch_execz .LBB102_955
; %bb.950:
	v_cmp_gt_f64_e32 vcc_lo, 0, v[208:209]
	v_cmp_gt_f64_e64 s2, 0, v[210:211]
	v_xor_b32_e32 v217, 0x80000000, v209
	v_xor_b32_e32 v225, 0x80000000, v211
	s_delay_alu instid0(VALU_DEP_2) | instskip(NEXT) | instid1(VALU_DEP_2)
	v_cndmask_b32_e32 v226, v209, v217, vcc_lo
	v_cndmask_b32_e64 v228, v211, v225, s2
	v_cndmask_b32_e32 v225, v208, v208, vcc_lo
	v_cndmask_b32_e64 v227, v210, v210, s2
	s_mov_b32 s2, exec_lo
	s_delay_alu instid0(VALU_DEP_1)
	v_cmpx_ngt_f64_e32 v[225:226], v[227:228]
	s_xor_b32 s2, exec_lo, s2
	s_cbranch_execz .LBB102_952
; %bb.951:
	v_div_scale_f64 v[225:226], null, v[210:211], v[210:211], v[208:209]
	v_div_scale_f64 v[231:232], vcc_lo, v[208:209], v[210:211], v[208:209]
	s_delay_alu instid0(VALU_DEP_2) | instskip(SKIP_2) | instid1(VALU_DEP_1)
	v_rcp_f64_e32 v[227:228], v[225:226]
	s_waitcnt_depctr 0xfff
	v_fma_f64 v[229:230], -v[225:226], v[227:228], 1.0
	v_fma_f64 v[227:228], v[227:228], v[229:230], v[227:228]
	s_delay_alu instid0(VALU_DEP_1) | instskip(NEXT) | instid1(VALU_DEP_1)
	v_fma_f64 v[229:230], -v[225:226], v[227:228], 1.0
	v_fma_f64 v[227:228], v[227:228], v[229:230], v[227:228]
	s_delay_alu instid0(VALU_DEP_1) | instskip(NEXT) | instid1(VALU_DEP_1)
	v_mul_f64 v[229:230], v[231:232], v[227:228]
	v_fma_f64 v[225:226], -v[225:226], v[229:230], v[231:232]
	s_delay_alu instid0(VALU_DEP_1) | instskip(NEXT) | instid1(VALU_DEP_1)
	v_div_fmas_f64 v[225:226], v[225:226], v[227:228], v[229:230]
	v_div_fixup_f64 v[225:226], v[225:226], v[210:211], v[208:209]
	s_delay_alu instid0(VALU_DEP_1) | instskip(NEXT) | instid1(VALU_DEP_1)
	v_fma_f64 v[208:209], v[208:209], v[225:226], v[210:211]
	v_div_scale_f64 v[210:211], null, v[208:209], v[208:209], 1.0
	s_delay_alu instid0(VALU_DEP_1) | instskip(SKIP_2) | instid1(VALU_DEP_1)
	v_rcp_f64_e32 v[227:228], v[210:211]
	s_waitcnt_depctr 0xfff
	v_fma_f64 v[229:230], -v[210:211], v[227:228], 1.0
	v_fma_f64 v[227:228], v[227:228], v[229:230], v[227:228]
	s_delay_alu instid0(VALU_DEP_1) | instskip(NEXT) | instid1(VALU_DEP_1)
	v_fma_f64 v[229:230], -v[210:211], v[227:228], 1.0
	v_fma_f64 v[227:228], v[227:228], v[229:230], v[227:228]
	v_div_scale_f64 v[229:230], vcc_lo, 1.0, v[208:209], 1.0
	s_delay_alu instid0(VALU_DEP_1) | instskip(NEXT) | instid1(VALU_DEP_1)
	v_mul_f64 v[231:232], v[229:230], v[227:228]
	v_fma_f64 v[210:211], -v[210:211], v[231:232], v[229:230]
	s_delay_alu instid0(VALU_DEP_1) | instskip(NEXT) | instid1(VALU_DEP_1)
	v_div_fmas_f64 v[210:211], v[210:211], v[227:228], v[231:232]
	v_div_fixup_f64 v[210:211], v[210:211], v[208:209], 1.0
	s_delay_alu instid0(VALU_DEP_1)
	v_mul_f64 v[208:209], v[225:226], v[210:211]
	v_xor_b32_e32 v211, 0x80000000, v211
.LBB102_952:
	s_and_not1_saveexec_b32 s2, s2
	s_cbranch_execz .LBB102_954
; %bb.953:
	s_delay_alu instid0(VALU_DEP_1) | instskip(SKIP_1) | instid1(VALU_DEP_2)
	v_div_scale_f64 v[225:226], null, v[208:209], v[208:209], v[210:211]
	v_div_scale_f64 v[231:232], vcc_lo, v[210:211], v[208:209], v[210:211]
	v_rcp_f64_e32 v[227:228], v[225:226]
	s_waitcnt_depctr 0xfff
	v_fma_f64 v[229:230], -v[225:226], v[227:228], 1.0
	s_delay_alu instid0(VALU_DEP_1) | instskip(NEXT) | instid1(VALU_DEP_1)
	v_fma_f64 v[227:228], v[227:228], v[229:230], v[227:228]
	v_fma_f64 v[229:230], -v[225:226], v[227:228], 1.0
	s_delay_alu instid0(VALU_DEP_1) | instskip(NEXT) | instid1(VALU_DEP_1)
	v_fma_f64 v[227:228], v[227:228], v[229:230], v[227:228]
	v_mul_f64 v[229:230], v[231:232], v[227:228]
	s_delay_alu instid0(VALU_DEP_1) | instskip(NEXT) | instid1(VALU_DEP_1)
	v_fma_f64 v[225:226], -v[225:226], v[229:230], v[231:232]
	v_div_fmas_f64 v[225:226], v[225:226], v[227:228], v[229:230]
	s_delay_alu instid0(VALU_DEP_1) | instskip(NEXT) | instid1(VALU_DEP_1)
	v_div_fixup_f64 v[225:226], v[225:226], v[208:209], v[210:211]
	v_fma_f64 v[208:209], v[210:211], v[225:226], v[208:209]
	s_delay_alu instid0(VALU_DEP_1) | instskip(NEXT) | instid1(VALU_DEP_1)
	v_div_scale_f64 v[210:211], null, v[208:209], v[208:209], 1.0
	v_rcp_f64_e32 v[227:228], v[210:211]
	s_waitcnt_depctr 0xfff
	v_fma_f64 v[229:230], -v[210:211], v[227:228], 1.0
	s_delay_alu instid0(VALU_DEP_1) | instskip(NEXT) | instid1(VALU_DEP_1)
	v_fma_f64 v[227:228], v[227:228], v[229:230], v[227:228]
	v_fma_f64 v[229:230], -v[210:211], v[227:228], 1.0
	s_delay_alu instid0(VALU_DEP_1) | instskip(SKIP_1) | instid1(VALU_DEP_1)
	v_fma_f64 v[227:228], v[227:228], v[229:230], v[227:228]
	v_div_scale_f64 v[229:230], vcc_lo, 1.0, v[208:209], 1.0
	v_mul_f64 v[231:232], v[229:230], v[227:228]
	s_delay_alu instid0(VALU_DEP_1) | instskip(NEXT) | instid1(VALU_DEP_1)
	v_fma_f64 v[210:211], -v[210:211], v[231:232], v[229:230]
	v_div_fmas_f64 v[210:211], v[210:211], v[227:228], v[231:232]
	s_delay_alu instid0(VALU_DEP_1) | instskip(NEXT) | instid1(VALU_DEP_1)
	v_div_fixup_f64 v[208:209], v[210:211], v[208:209], 1.0
	v_mul_f64 v[210:211], v[225:226], -v[208:209]
.LBB102_954:
	s_or_b32 exec_lo, exec_lo, s2
.LBB102_955:
	s_delay_alu instid0(SALU_CYCLE_1) | instskip(NEXT) | instid1(SALU_CYCLE_1)
	s_or_b32 exec_lo, exec_lo, s3
	s_mov_b32 s2, exec_lo
	v_cmpx_ne_u32_e64 v224, v216
	s_xor_b32 s2, exec_lo, s2
	s_cbranch_execz .LBB102_961
; %bb.956:
	s_mov_b32 s3, exec_lo
	v_cmpx_eq_u32_e32 45, v224
	s_cbranch_execz .LBB102_960
; %bb.957:
	v_cmp_ne_u32_e32 vcc_lo, 45, v216
	s_xor_b32 s6, s4, -1
	s_delay_alu instid0(SALU_CYCLE_1) | instskip(NEXT) | instid1(SALU_CYCLE_1)
	s_and_b32 s7, s6, vcc_lo
	s_and_saveexec_b32 s6, s7
	s_cbranch_execz .LBB102_959
; %bb.958:
	v_ashrrev_i32_e32 v217, 31, v216
	s_delay_alu instid0(VALU_DEP_1) | instskip(NEXT) | instid1(VALU_DEP_1)
	v_lshlrev_b64 v[223:224], 2, v[216:217]
	v_add_co_u32 v223, vcc_lo, v214, v223
	s_delay_alu instid0(VALU_DEP_2)
	v_add_co_ci_u32_e32 v224, vcc_lo, v215, v224, vcc_lo
	s_clause 0x1
	flat_load_b32 v217, v[223:224]
	flat_load_b32 v225, v[214:215] offset:180
	s_waitcnt vmcnt(1) lgkmcnt(1)
	flat_store_b32 v[214:215], v217 offset:180
	s_waitcnt vmcnt(0) lgkmcnt(1)
	flat_store_b32 v[223:224], v225
.LBB102_959:
	s_or_b32 exec_lo, exec_lo, s6
	v_mov_b32_e32 v224, v216
	v_mov_b32_e32 v223, v216
.LBB102_960:
	s_or_b32 exec_lo, exec_lo, s3
.LBB102_961:
	s_and_not1_saveexec_b32 s2, s2
	s_cbranch_execz .LBB102_963
; %bb.962:
	v_mov_b32_e32 v224, 45
	ds_store_2addr_b64 v218, v[20:21], v[22:23] offset0:92 offset1:93
	ds_store_2addr_b64 v218, v[16:17], v[18:19] offset0:94 offset1:95
	ds_store_2addr_b64 v218, v[12:13], v[14:15] offset0:96 offset1:97
	ds_store_2addr_b64 v218, v[8:9], v[10:11] offset0:98 offset1:99
	ds_store_2addr_b64 v218, v[4:5], v[6:7] offset0:100 offset1:101
	ds_store_2addr_b64 v218, v[0:1], v[2:3] offset0:102 offset1:103
.LBB102_963:
	s_or_b32 exec_lo, exec_lo, s2
	s_delay_alu instid0(SALU_CYCLE_1)
	s_mov_b32 s2, exec_lo
	s_waitcnt lgkmcnt(0)
	s_waitcnt_vscnt null, 0x0
	s_barrier
	buffer_gl0_inv
	v_cmpx_lt_i32_e32 45, v224
	s_cbranch_execz .LBB102_965
; %bb.964:
	v_mul_f64 v[216:217], v[208:209], v[26:27]
	v_mul_f64 v[26:27], v[210:211], v[26:27]
	s_delay_alu instid0(VALU_DEP_2) | instskip(NEXT) | instid1(VALU_DEP_2)
	v_fma_f64 v[216:217], v[210:211], v[24:25], v[216:217]
	v_fma_f64 v[24:25], v[208:209], v[24:25], -v[26:27]
	ds_load_2addr_b64 v[208:211], v218 offset0:92 offset1:93
	s_waitcnt lgkmcnt(0)
	v_mul_f64 v[26:27], v[210:211], v[216:217]
	s_delay_alu instid0(VALU_DEP_1) | instskip(SKIP_1) | instid1(VALU_DEP_2)
	v_fma_f64 v[26:27], v[208:209], v[24:25], -v[26:27]
	v_mul_f64 v[208:209], v[208:209], v[216:217]
	v_add_f64 v[20:21], v[20:21], -v[26:27]
	s_delay_alu instid0(VALU_DEP_2) | instskip(NEXT) | instid1(VALU_DEP_1)
	v_fma_f64 v[208:209], v[210:211], v[24:25], v[208:209]
	v_add_f64 v[22:23], v[22:23], -v[208:209]
	ds_load_2addr_b64 v[208:211], v218 offset0:94 offset1:95
	s_waitcnt lgkmcnt(0)
	v_mul_f64 v[26:27], v[210:211], v[216:217]
	s_delay_alu instid0(VALU_DEP_1) | instskip(SKIP_1) | instid1(VALU_DEP_2)
	v_fma_f64 v[26:27], v[208:209], v[24:25], -v[26:27]
	v_mul_f64 v[208:209], v[208:209], v[216:217]
	v_add_f64 v[16:17], v[16:17], -v[26:27]
	s_delay_alu instid0(VALU_DEP_2) | instskip(NEXT) | instid1(VALU_DEP_1)
	v_fma_f64 v[208:209], v[210:211], v[24:25], v[208:209]
	v_add_f64 v[18:19], v[18:19], -v[208:209]
	ds_load_2addr_b64 v[208:211], v218 offset0:96 offset1:97
	s_waitcnt lgkmcnt(0)
	v_mul_f64 v[26:27], v[210:211], v[216:217]
	s_delay_alu instid0(VALU_DEP_1) | instskip(SKIP_1) | instid1(VALU_DEP_2)
	v_fma_f64 v[26:27], v[208:209], v[24:25], -v[26:27]
	v_mul_f64 v[208:209], v[208:209], v[216:217]
	v_add_f64 v[12:13], v[12:13], -v[26:27]
	s_delay_alu instid0(VALU_DEP_2) | instskip(NEXT) | instid1(VALU_DEP_1)
	v_fma_f64 v[208:209], v[210:211], v[24:25], v[208:209]
	v_add_f64 v[14:15], v[14:15], -v[208:209]
	ds_load_2addr_b64 v[208:211], v218 offset0:98 offset1:99
	s_waitcnt lgkmcnt(0)
	v_mul_f64 v[26:27], v[210:211], v[216:217]
	s_delay_alu instid0(VALU_DEP_1) | instskip(SKIP_1) | instid1(VALU_DEP_2)
	v_fma_f64 v[26:27], v[208:209], v[24:25], -v[26:27]
	v_mul_f64 v[208:209], v[208:209], v[216:217]
	v_add_f64 v[8:9], v[8:9], -v[26:27]
	s_delay_alu instid0(VALU_DEP_2) | instskip(NEXT) | instid1(VALU_DEP_1)
	v_fma_f64 v[208:209], v[210:211], v[24:25], v[208:209]
	v_add_f64 v[10:11], v[10:11], -v[208:209]
	ds_load_2addr_b64 v[208:211], v218 offset0:100 offset1:101
	s_waitcnt lgkmcnt(0)
	v_mul_f64 v[26:27], v[210:211], v[216:217]
	s_delay_alu instid0(VALU_DEP_1) | instskip(SKIP_1) | instid1(VALU_DEP_2)
	v_fma_f64 v[26:27], v[208:209], v[24:25], -v[26:27]
	v_mul_f64 v[208:209], v[208:209], v[216:217]
	v_add_f64 v[4:5], v[4:5], -v[26:27]
	s_delay_alu instid0(VALU_DEP_2) | instskip(NEXT) | instid1(VALU_DEP_1)
	v_fma_f64 v[208:209], v[210:211], v[24:25], v[208:209]
	v_add_f64 v[6:7], v[6:7], -v[208:209]
	ds_load_2addr_b64 v[208:211], v218 offset0:102 offset1:103
	s_waitcnt lgkmcnt(0)
	v_mul_f64 v[26:27], v[210:211], v[216:217]
	s_delay_alu instid0(VALU_DEP_1) | instskip(SKIP_1) | instid1(VALU_DEP_2)
	v_fma_f64 v[26:27], v[208:209], v[24:25], -v[26:27]
	v_mul_f64 v[208:209], v[208:209], v[216:217]
	v_add_f64 v[0:1], v[0:1], -v[26:27]
	s_delay_alu instid0(VALU_DEP_2) | instskip(SKIP_1) | instid1(VALU_DEP_2)
	v_fma_f64 v[208:209], v[210:211], v[24:25], v[208:209]
	v_dual_mov_b32 v26, v216 :: v_dual_mov_b32 v27, v217
	v_add_f64 v[2:3], v[2:3], -v[208:209]
.LBB102_965:
	s_or_b32 exec_lo, exec_lo, s2
	v_lshl_add_u32 v208, v224, 4, v218
	s_barrier
	buffer_gl0_inv
	v_mov_b32_e32 v216, 46
	ds_store_2addr_b64 v208, v[20:21], v[22:23] offset1:1
	s_waitcnt lgkmcnt(0)
	s_barrier
	buffer_gl0_inv
	ds_load_2addr_b64 v[208:211], v218 offset0:92 offset1:93
	s_cmp_lt_i32 s5, 48
	s_cbranch_scc1 .LBB102_968
; %bb.966:
	v_add3_u32 v217, v222, 0, 0x2f0
	v_mov_b32_e32 v216, 46
	s_mov_b32 s6, 47
	s_set_inst_prefetch_distance 0x1
	.p2align	6
.LBB102_967:                            ; =>This Inner Loop Header: Depth=1
	ds_load_2addr_b64 v[225:228], v217 offset1:1
	s_waitcnt lgkmcnt(1)
	v_cmp_gt_f64_e32 vcc_lo, 0, v[208:209]
	v_xor_b32_e32 v229, 0x80000000, v209
	v_cmp_gt_f64_e64 s2, 0, v[210:211]
	v_xor_b32_e32 v231, 0x80000000, v211
	v_add_nc_u32_e32 v217, 16, v217
	s_waitcnt lgkmcnt(0)
	v_cmp_gt_f64_e64 s3, 0, v[225:226]
	v_mov_b32_e32 v233, v225
	v_dual_mov_b32 v235, v227 :: v_dual_cndmask_b32 v230, v209, v229
	v_xor_b32_e32 v229, 0x80000000, v226
	v_cndmask_b32_e64 v232, v211, v231, s2
	v_xor_b32_e32 v231, 0x80000000, v228
	s_delay_alu instid0(VALU_DEP_3) | instskip(SKIP_2) | instid1(VALU_DEP_2)
	v_cndmask_b32_e64 v234, v226, v229, s3
	v_cmp_gt_f64_e64 s3, 0, v[227:228]
	v_cndmask_b32_e32 v229, v208, v208, vcc_lo
	v_cndmask_b32_e64 v236, v228, v231, s3
	v_cndmask_b32_e64 v231, v210, v210, s2
	s_delay_alu instid0(VALU_DEP_2) | instskip(NEXT) | instid1(VALU_DEP_2)
	v_add_f64 v[233:234], v[233:234], v[235:236]
	v_add_f64 v[229:230], v[229:230], v[231:232]
	s_delay_alu instid0(VALU_DEP_1) | instskip(SKIP_4) | instid1(SALU_CYCLE_1)
	v_cmp_lt_f64_e32 vcc_lo, v[229:230], v[233:234]
	v_dual_cndmask_b32 v210, v210, v227 :: v_dual_cndmask_b32 v209, v209, v226
	v_dual_cndmask_b32 v208, v208, v225 :: v_dual_cndmask_b32 v211, v211, v228
	v_cndmask_b32_e64 v216, v216, s6, vcc_lo
	s_add_i32 s6, s6, 1
	s_cmp_lg_u32 s5, s6
	s_cbranch_scc1 .LBB102_967
.LBB102_968:
	s_set_inst_prefetch_distance 0x2
	s_waitcnt lgkmcnt(0)
	v_cmp_eq_f64_e32 vcc_lo, 0, v[208:209]
	v_cmp_eq_f64_e64 s2, 0, v[210:211]
	s_delay_alu instid0(VALU_DEP_1) | instskip(NEXT) | instid1(SALU_CYCLE_1)
	s_and_b32 s2, vcc_lo, s2
	s_and_saveexec_b32 s3, s2
	s_delay_alu instid0(SALU_CYCLE_1)
	s_xor_b32 s2, exec_lo, s3
; %bb.969:
	v_cmp_ne_u32_e32 vcc_lo, 0, v221
	v_cndmask_b32_e32 v221, 47, v221, vcc_lo
; %bb.970:
	s_and_not1_saveexec_b32 s3, s2
	s_cbranch_execz .LBB102_976
; %bb.971:
	v_cmp_gt_f64_e32 vcc_lo, 0, v[208:209]
	v_cmp_gt_f64_e64 s2, 0, v[210:211]
	v_xor_b32_e32 v217, 0x80000000, v209
	v_xor_b32_e32 v225, 0x80000000, v211
	s_delay_alu instid0(VALU_DEP_2) | instskip(NEXT) | instid1(VALU_DEP_2)
	v_cndmask_b32_e32 v226, v209, v217, vcc_lo
	v_cndmask_b32_e64 v228, v211, v225, s2
	v_cndmask_b32_e32 v225, v208, v208, vcc_lo
	v_cndmask_b32_e64 v227, v210, v210, s2
	s_mov_b32 s2, exec_lo
	s_delay_alu instid0(VALU_DEP_1)
	v_cmpx_ngt_f64_e32 v[225:226], v[227:228]
	s_xor_b32 s2, exec_lo, s2
	s_cbranch_execz .LBB102_973
; %bb.972:
	v_div_scale_f64 v[225:226], null, v[210:211], v[210:211], v[208:209]
	v_div_scale_f64 v[231:232], vcc_lo, v[208:209], v[210:211], v[208:209]
	s_delay_alu instid0(VALU_DEP_2) | instskip(SKIP_2) | instid1(VALU_DEP_1)
	v_rcp_f64_e32 v[227:228], v[225:226]
	s_waitcnt_depctr 0xfff
	v_fma_f64 v[229:230], -v[225:226], v[227:228], 1.0
	v_fma_f64 v[227:228], v[227:228], v[229:230], v[227:228]
	s_delay_alu instid0(VALU_DEP_1) | instskip(NEXT) | instid1(VALU_DEP_1)
	v_fma_f64 v[229:230], -v[225:226], v[227:228], 1.0
	v_fma_f64 v[227:228], v[227:228], v[229:230], v[227:228]
	s_delay_alu instid0(VALU_DEP_1) | instskip(NEXT) | instid1(VALU_DEP_1)
	v_mul_f64 v[229:230], v[231:232], v[227:228]
	v_fma_f64 v[225:226], -v[225:226], v[229:230], v[231:232]
	s_delay_alu instid0(VALU_DEP_1) | instskip(NEXT) | instid1(VALU_DEP_1)
	v_div_fmas_f64 v[225:226], v[225:226], v[227:228], v[229:230]
	v_div_fixup_f64 v[225:226], v[225:226], v[210:211], v[208:209]
	s_delay_alu instid0(VALU_DEP_1) | instskip(NEXT) | instid1(VALU_DEP_1)
	v_fma_f64 v[208:209], v[208:209], v[225:226], v[210:211]
	v_div_scale_f64 v[210:211], null, v[208:209], v[208:209], 1.0
	s_delay_alu instid0(VALU_DEP_1) | instskip(SKIP_2) | instid1(VALU_DEP_1)
	v_rcp_f64_e32 v[227:228], v[210:211]
	s_waitcnt_depctr 0xfff
	v_fma_f64 v[229:230], -v[210:211], v[227:228], 1.0
	v_fma_f64 v[227:228], v[227:228], v[229:230], v[227:228]
	s_delay_alu instid0(VALU_DEP_1) | instskip(NEXT) | instid1(VALU_DEP_1)
	v_fma_f64 v[229:230], -v[210:211], v[227:228], 1.0
	v_fma_f64 v[227:228], v[227:228], v[229:230], v[227:228]
	v_div_scale_f64 v[229:230], vcc_lo, 1.0, v[208:209], 1.0
	s_delay_alu instid0(VALU_DEP_1) | instskip(NEXT) | instid1(VALU_DEP_1)
	v_mul_f64 v[231:232], v[229:230], v[227:228]
	v_fma_f64 v[210:211], -v[210:211], v[231:232], v[229:230]
	s_delay_alu instid0(VALU_DEP_1) | instskip(NEXT) | instid1(VALU_DEP_1)
	v_div_fmas_f64 v[210:211], v[210:211], v[227:228], v[231:232]
	v_div_fixup_f64 v[210:211], v[210:211], v[208:209], 1.0
	s_delay_alu instid0(VALU_DEP_1)
	v_mul_f64 v[208:209], v[225:226], v[210:211]
	v_xor_b32_e32 v211, 0x80000000, v211
.LBB102_973:
	s_and_not1_saveexec_b32 s2, s2
	s_cbranch_execz .LBB102_975
; %bb.974:
	s_delay_alu instid0(VALU_DEP_1) | instskip(SKIP_1) | instid1(VALU_DEP_2)
	v_div_scale_f64 v[225:226], null, v[208:209], v[208:209], v[210:211]
	v_div_scale_f64 v[231:232], vcc_lo, v[210:211], v[208:209], v[210:211]
	v_rcp_f64_e32 v[227:228], v[225:226]
	s_waitcnt_depctr 0xfff
	v_fma_f64 v[229:230], -v[225:226], v[227:228], 1.0
	s_delay_alu instid0(VALU_DEP_1) | instskip(NEXT) | instid1(VALU_DEP_1)
	v_fma_f64 v[227:228], v[227:228], v[229:230], v[227:228]
	v_fma_f64 v[229:230], -v[225:226], v[227:228], 1.0
	s_delay_alu instid0(VALU_DEP_1) | instskip(NEXT) | instid1(VALU_DEP_1)
	v_fma_f64 v[227:228], v[227:228], v[229:230], v[227:228]
	v_mul_f64 v[229:230], v[231:232], v[227:228]
	s_delay_alu instid0(VALU_DEP_1) | instskip(NEXT) | instid1(VALU_DEP_1)
	v_fma_f64 v[225:226], -v[225:226], v[229:230], v[231:232]
	v_div_fmas_f64 v[225:226], v[225:226], v[227:228], v[229:230]
	s_delay_alu instid0(VALU_DEP_1) | instskip(NEXT) | instid1(VALU_DEP_1)
	v_div_fixup_f64 v[225:226], v[225:226], v[208:209], v[210:211]
	v_fma_f64 v[208:209], v[210:211], v[225:226], v[208:209]
	s_delay_alu instid0(VALU_DEP_1) | instskip(NEXT) | instid1(VALU_DEP_1)
	v_div_scale_f64 v[210:211], null, v[208:209], v[208:209], 1.0
	v_rcp_f64_e32 v[227:228], v[210:211]
	s_waitcnt_depctr 0xfff
	v_fma_f64 v[229:230], -v[210:211], v[227:228], 1.0
	s_delay_alu instid0(VALU_DEP_1) | instskip(NEXT) | instid1(VALU_DEP_1)
	v_fma_f64 v[227:228], v[227:228], v[229:230], v[227:228]
	v_fma_f64 v[229:230], -v[210:211], v[227:228], 1.0
	s_delay_alu instid0(VALU_DEP_1) | instskip(SKIP_1) | instid1(VALU_DEP_1)
	v_fma_f64 v[227:228], v[227:228], v[229:230], v[227:228]
	v_div_scale_f64 v[229:230], vcc_lo, 1.0, v[208:209], 1.0
	v_mul_f64 v[231:232], v[229:230], v[227:228]
	s_delay_alu instid0(VALU_DEP_1) | instskip(NEXT) | instid1(VALU_DEP_1)
	v_fma_f64 v[210:211], -v[210:211], v[231:232], v[229:230]
	v_div_fmas_f64 v[210:211], v[210:211], v[227:228], v[231:232]
	s_delay_alu instid0(VALU_DEP_1) | instskip(NEXT) | instid1(VALU_DEP_1)
	v_div_fixup_f64 v[208:209], v[210:211], v[208:209], 1.0
	v_mul_f64 v[210:211], v[225:226], -v[208:209]
.LBB102_975:
	s_or_b32 exec_lo, exec_lo, s2
.LBB102_976:
	s_delay_alu instid0(SALU_CYCLE_1) | instskip(NEXT) | instid1(SALU_CYCLE_1)
	s_or_b32 exec_lo, exec_lo, s3
	s_mov_b32 s2, exec_lo
	v_cmpx_ne_u32_e64 v224, v216
	s_xor_b32 s2, exec_lo, s2
	s_cbranch_execz .LBB102_982
; %bb.977:
	s_mov_b32 s3, exec_lo
	v_cmpx_eq_u32_e32 46, v224
	s_cbranch_execz .LBB102_981
; %bb.978:
	v_cmp_ne_u32_e32 vcc_lo, 46, v216
	s_xor_b32 s6, s4, -1
	s_delay_alu instid0(SALU_CYCLE_1) | instskip(NEXT) | instid1(SALU_CYCLE_1)
	s_and_b32 s7, s6, vcc_lo
	s_and_saveexec_b32 s6, s7
	s_cbranch_execz .LBB102_980
; %bb.979:
	v_ashrrev_i32_e32 v217, 31, v216
	s_delay_alu instid0(VALU_DEP_1) | instskip(NEXT) | instid1(VALU_DEP_1)
	v_lshlrev_b64 v[223:224], 2, v[216:217]
	v_add_co_u32 v223, vcc_lo, v214, v223
	s_delay_alu instid0(VALU_DEP_2)
	v_add_co_ci_u32_e32 v224, vcc_lo, v215, v224, vcc_lo
	s_clause 0x1
	flat_load_b32 v217, v[223:224]
	flat_load_b32 v225, v[214:215] offset:184
	s_waitcnt vmcnt(1) lgkmcnt(1)
	flat_store_b32 v[214:215], v217 offset:184
	s_waitcnt vmcnt(0) lgkmcnt(1)
	flat_store_b32 v[223:224], v225
.LBB102_980:
	s_or_b32 exec_lo, exec_lo, s6
	v_mov_b32_e32 v224, v216
	v_mov_b32_e32 v223, v216
.LBB102_981:
	s_or_b32 exec_lo, exec_lo, s3
.LBB102_982:
	s_and_not1_saveexec_b32 s2, s2
	s_cbranch_execz .LBB102_984
; %bb.983:
	v_mov_b32_e32 v224, 46
	ds_store_2addr_b64 v218, v[16:17], v[18:19] offset0:94 offset1:95
	ds_store_2addr_b64 v218, v[12:13], v[14:15] offset0:96 offset1:97
	;; [unrolled: 1-line block ×5, first 2 shown]
.LBB102_984:
	s_or_b32 exec_lo, exec_lo, s2
	s_delay_alu instid0(SALU_CYCLE_1)
	s_mov_b32 s2, exec_lo
	s_waitcnt lgkmcnt(0)
	s_waitcnt_vscnt null, 0x0
	s_barrier
	buffer_gl0_inv
	v_cmpx_lt_i32_e32 46, v224
	s_cbranch_execz .LBB102_986
; %bb.985:
	v_mul_f64 v[216:217], v[208:209], v[22:23]
	v_mul_f64 v[22:23], v[210:211], v[22:23]
	s_delay_alu instid0(VALU_DEP_2) | instskip(NEXT) | instid1(VALU_DEP_2)
	v_fma_f64 v[216:217], v[210:211], v[20:21], v[216:217]
	v_fma_f64 v[20:21], v[208:209], v[20:21], -v[22:23]
	ds_load_2addr_b64 v[208:211], v218 offset0:94 offset1:95
	s_waitcnt lgkmcnt(0)
	v_mul_f64 v[22:23], v[210:211], v[216:217]
	s_delay_alu instid0(VALU_DEP_1) | instskip(SKIP_1) | instid1(VALU_DEP_2)
	v_fma_f64 v[22:23], v[208:209], v[20:21], -v[22:23]
	v_mul_f64 v[208:209], v[208:209], v[216:217]
	v_add_f64 v[16:17], v[16:17], -v[22:23]
	s_delay_alu instid0(VALU_DEP_2) | instskip(NEXT) | instid1(VALU_DEP_1)
	v_fma_f64 v[208:209], v[210:211], v[20:21], v[208:209]
	v_add_f64 v[18:19], v[18:19], -v[208:209]
	ds_load_2addr_b64 v[208:211], v218 offset0:96 offset1:97
	s_waitcnt lgkmcnt(0)
	v_mul_f64 v[22:23], v[210:211], v[216:217]
	s_delay_alu instid0(VALU_DEP_1) | instskip(SKIP_1) | instid1(VALU_DEP_2)
	v_fma_f64 v[22:23], v[208:209], v[20:21], -v[22:23]
	v_mul_f64 v[208:209], v[208:209], v[216:217]
	v_add_f64 v[12:13], v[12:13], -v[22:23]
	s_delay_alu instid0(VALU_DEP_2) | instskip(NEXT) | instid1(VALU_DEP_1)
	v_fma_f64 v[208:209], v[210:211], v[20:21], v[208:209]
	v_add_f64 v[14:15], v[14:15], -v[208:209]
	ds_load_2addr_b64 v[208:211], v218 offset0:98 offset1:99
	s_waitcnt lgkmcnt(0)
	v_mul_f64 v[22:23], v[210:211], v[216:217]
	s_delay_alu instid0(VALU_DEP_1) | instskip(SKIP_1) | instid1(VALU_DEP_2)
	v_fma_f64 v[22:23], v[208:209], v[20:21], -v[22:23]
	v_mul_f64 v[208:209], v[208:209], v[216:217]
	v_add_f64 v[8:9], v[8:9], -v[22:23]
	s_delay_alu instid0(VALU_DEP_2) | instskip(NEXT) | instid1(VALU_DEP_1)
	v_fma_f64 v[208:209], v[210:211], v[20:21], v[208:209]
	v_add_f64 v[10:11], v[10:11], -v[208:209]
	ds_load_2addr_b64 v[208:211], v218 offset0:100 offset1:101
	s_waitcnt lgkmcnt(0)
	v_mul_f64 v[22:23], v[210:211], v[216:217]
	s_delay_alu instid0(VALU_DEP_1) | instskip(SKIP_1) | instid1(VALU_DEP_2)
	v_fma_f64 v[22:23], v[208:209], v[20:21], -v[22:23]
	v_mul_f64 v[208:209], v[208:209], v[216:217]
	v_add_f64 v[4:5], v[4:5], -v[22:23]
	s_delay_alu instid0(VALU_DEP_2) | instskip(NEXT) | instid1(VALU_DEP_1)
	v_fma_f64 v[208:209], v[210:211], v[20:21], v[208:209]
	v_add_f64 v[6:7], v[6:7], -v[208:209]
	ds_load_2addr_b64 v[208:211], v218 offset0:102 offset1:103
	s_waitcnt lgkmcnt(0)
	v_mul_f64 v[22:23], v[210:211], v[216:217]
	s_delay_alu instid0(VALU_DEP_1) | instskip(SKIP_1) | instid1(VALU_DEP_2)
	v_fma_f64 v[22:23], v[208:209], v[20:21], -v[22:23]
	v_mul_f64 v[208:209], v[208:209], v[216:217]
	v_add_f64 v[0:1], v[0:1], -v[22:23]
	s_delay_alu instid0(VALU_DEP_2) | instskip(SKIP_1) | instid1(VALU_DEP_2)
	v_fma_f64 v[208:209], v[210:211], v[20:21], v[208:209]
	v_dual_mov_b32 v22, v216 :: v_dual_mov_b32 v23, v217
	v_add_f64 v[2:3], v[2:3], -v[208:209]
.LBB102_986:
	s_or_b32 exec_lo, exec_lo, s2
	v_lshl_add_u32 v208, v224, 4, v218
	s_barrier
	buffer_gl0_inv
	v_mov_b32_e32 v216, 47
	ds_store_2addr_b64 v208, v[16:17], v[18:19] offset1:1
	s_waitcnt lgkmcnt(0)
	s_barrier
	buffer_gl0_inv
	ds_load_2addr_b64 v[208:211], v218 offset0:94 offset1:95
	s_cmp_lt_i32 s5, 49
	s_cbranch_scc1 .LBB102_989
; %bb.987:
	v_add3_u32 v217, v222, 0, 0x300
	v_mov_b32_e32 v216, 47
	s_mov_b32 s6, 48
	s_set_inst_prefetch_distance 0x1
	.p2align	6
.LBB102_988:                            ; =>This Inner Loop Header: Depth=1
	ds_load_2addr_b64 v[225:228], v217 offset1:1
	s_waitcnt lgkmcnt(1)
	v_cmp_gt_f64_e32 vcc_lo, 0, v[208:209]
	v_xor_b32_e32 v229, 0x80000000, v209
	v_cmp_gt_f64_e64 s2, 0, v[210:211]
	v_xor_b32_e32 v231, 0x80000000, v211
	v_add_nc_u32_e32 v217, 16, v217
	s_waitcnt lgkmcnt(0)
	v_cmp_gt_f64_e64 s3, 0, v[225:226]
	v_mov_b32_e32 v233, v225
	v_dual_mov_b32 v235, v227 :: v_dual_cndmask_b32 v230, v209, v229
	v_xor_b32_e32 v229, 0x80000000, v226
	v_cndmask_b32_e64 v232, v211, v231, s2
	v_xor_b32_e32 v231, 0x80000000, v228
	s_delay_alu instid0(VALU_DEP_3) | instskip(SKIP_2) | instid1(VALU_DEP_2)
	v_cndmask_b32_e64 v234, v226, v229, s3
	v_cmp_gt_f64_e64 s3, 0, v[227:228]
	v_cndmask_b32_e32 v229, v208, v208, vcc_lo
	v_cndmask_b32_e64 v236, v228, v231, s3
	v_cndmask_b32_e64 v231, v210, v210, s2
	s_delay_alu instid0(VALU_DEP_2) | instskip(NEXT) | instid1(VALU_DEP_2)
	v_add_f64 v[233:234], v[233:234], v[235:236]
	v_add_f64 v[229:230], v[229:230], v[231:232]
	s_delay_alu instid0(VALU_DEP_1) | instskip(SKIP_4) | instid1(SALU_CYCLE_1)
	v_cmp_lt_f64_e32 vcc_lo, v[229:230], v[233:234]
	v_dual_cndmask_b32 v210, v210, v227 :: v_dual_cndmask_b32 v209, v209, v226
	v_dual_cndmask_b32 v208, v208, v225 :: v_dual_cndmask_b32 v211, v211, v228
	v_cndmask_b32_e64 v216, v216, s6, vcc_lo
	s_add_i32 s6, s6, 1
	s_cmp_lg_u32 s5, s6
	s_cbranch_scc1 .LBB102_988
.LBB102_989:
	s_set_inst_prefetch_distance 0x2
	s_waitcnt lgkmcnt(0)
	v_cmp_eq_f64_e32 vcc_lo, 0, v[208:209]
	v_cmp_eq_f64_e64 s2, 0, v[210:211]
	s_delay_alu instid0(VALU_DEP_1) | instskip(NEXT) | instid1(SALU_CYCLE_1)
	s_and_b32 s2, vcc_lo, s2
	s_and_saveexec_b32 s3, s2
	s_delay_alu instid0(SALU_CYCLE_1)
	s_xor_b32 s2, exec_lo, s3
; %bb.990:
	v_cmp_ne_u32_e32 vcc_lo, 0, v221
	v_cndmask_b32_e32 v221, 48, v221, vcc_lo
; %bb.991:
	s_and_not1_saveexec_b32 s3, s2
	s_cbranch_execz .LBB102_997
; %bb.992:
	v_cmp_gt_f64_e32 vcc_lo, 0, v[208:209]
	v_cmp_gt_f64_e64 s2, 0, v[210:211]
	v_xor_b32_e32 v217, 0x80000000, v209
	v_xor_b32_e32 v225, 0x80000000, v211
	s_delay_alu instid0(VALU_DEP_2) | instskip(NEXT) | instid1(VALU_DEP_2)
	v_cndmask_b32_e32 v226, v209, v217, vcc_lo
	v_cndmask_b32_e64 v228, v211, v225, s2
	v_cndmask_b32_e32 v225, v208, v208, vcc_lo
	v_cndmask_b32_e64 v227, v210, v210, s2
	s_mov_b32 s2, exec_lo
	s_delay_alu instid0(VALU_DEP_1)
	v_cmpx_ngt_f64_e32 v[225:226], v[227:228]
	s_xor_b32 s2, exec_lo, s2
	s_cbranch_execz .LBB102_994
; %bb.993:
	v_div_scale_f64 v[225:226], null, v[210:211], v[210:211], v[208:209]
	v_div_scale_f64 v[231:232], vcc_lo, v[208:209], v[210:211], v[208:209]
	s_delay_alu instid0(VALU_DEP_2) | instskip(SKIP_2) | instid1(VALU_DEP_1)
	v_rcp_f64_e32 v[227:228], v[225:226]
	s_waitcnt_depctr 0xfff
	v_fma_f64 v[229:230], -v[225:226], v[227:228], 1.0
	v_fma_f64 v[227:228], v[227:228], v[229:230], v[227:228]
	s_delay_alu instid0(VALU_DEP_1) | instskip(NEXT) | instid1(VALU_DEP_1)
	v_fma_f64 v[229:230], -v[225:226], v[227:228], 1.0
	v_fma_f64 v[227:228], v[227:228], v[229:230], v[227:228]
	s_delay_alu instid0(VALU_DEP_1) | instskip(NEXT) | instid1(VALU_DEP_1)
	v_mul_f64 v[229:230], v[231:232], v[227:228]
	v_fma_f64 v[225:226], -v[225:226], v[229:230], v[231:232]
	s_delay_alu instid0(VALU_DEP_1) | instskip(NEXT) | instid1(VALU_DEP_1)
	v_div_fmas_f64 v[225:226], v[225:226], v[227:228], v[229:230]
	v_div_fixup_f64 v[225:226], v[225:226], v[210:211], v[208:209]
	s_delay_alu instid0(VALU_DEP_1) | instskip(NEXT) | instid1(VALU_DEP_1)
	v_fma_f64 v[208:209], v[208:209], v[225:226], v[210:211]
	v_div_scale_f64 v[210:211], null, v[208:209], v[208:209], 1.0
	s_delay_alu instid0(VALU_DEP_1) | instskip(SKIP_2) | instid1(VALU_DEP_1)
	v_rcp_f64_e32 v[227:228], v[210:211]
	s_waitcnt_depctr 0xfff
	v_fma_f64 v[229:230], -v[210:211], v[227:228], 1.0
	v_fma_f64 v[227:228], v[227:228], v[229:230], v[227:228]
	s_delay_alu instid0(VALU_DEP_1) | instskip(NEXT) | instid1(VALU_DEP_1)
	v_fma_f64 v[229:230], -v[210:211], v[227:228], 1.0
	v_fma_f64 v[227:228], v[227:228], v[229:230], v[227:228]
	v_div_scale_f64 v[229:230], vcc_lo, 1.0, v[208:209], 1.0
	s_delay_alu instid0(VALU_DEP_1) | instskip(NEXT) | instid1(VALU_DEP_1)
	v_mul_f64 v[231:232], v[229:230], v[227:228]
	v_fma_f64 v[210:211], -v[210:211], v[231:232], v[229:230]
	s_delay_alu instid0(VALU_DEP_1) | instskip(NEXT) | instid1(VALU_DEP_1)
	v_div_fmas_f64 v[210:211], v[210:211], v[227:228], v[231:232]
	v_div_fixup_f64 v[210:211], v[210:211], v[208:209], 1.0
	s_delay_alu instid0(VALU_DEP_1)
	v_mul_f64 v[208:209], v[225:226], v[210:211]
	v_xor_b32_e32 v211, 0x80000000, v211
.LBB102_994:
	s_and_not1_saveexec_b32 s2, s2
	s_cbranch_execz .LBB102_996
; %bb.995:
	s_delay_alu instid0(VALU_DEP_1) | instskip(SKIP_1) | instid1(VALU_DEP_2)
	v_div_scale_f64 v[225:226], null, v[208:209], v[208:209], v[210:211]
	v_div_scale_f64 v[231:232], vcc_lo, v[210:211], v[208:209], v[210:211]
	v_rcp_f64_e32 v[227:228], v[225:226]
	s_waitcnt_depctr 0xfff
	v_fma_f64 v[229:230], -v[225:226], v[227:228], 1.0
	s_delay_alu instid0(VALU_DEP_1) | instskip(NEXT) | instid1(VALU_DEP_1)
	v_fma_f64 v[227:228], v[227:228], v[229:230], v[227:228]
	v_fma_f64 v[229:230], -v[225:226], v[227:228], 1.0
	s_delay_alu instid0(VALU_DEP_1) | instskip(NEXT) | instid1(VALU_DEP_1)
	v_fma_f64 v[227:228], v[227:228], v[229:230], v[227:228]
	v_mul_f64 v[229:230], v[231:232], v[227:228]
	s_delay_alu instid0(VALU_DEP_1) | instskip(NEXT) | instid1(VALU_DEP_1)
	v_fma_f64 v[225:226], -v[225:226], v[229:230], v[231:232]
	v_div_fmas_f64 v[225:226], v[225:226], v[227:228], v[229:230]
	s_delay_alu instid0(VALU_DEP_1) | instskip(NEXT) | instid1(VALU_DEP_1)
	v_div_fixup_f64 v[225:226], v[225:226], v[208:209], v[210:211]
	v_fma_f64 v[208:209], v[210:211], v[225:226], v[208:209]
	s_delay_alu instid0(VALU_DEP_1) | instskip(NEXT) | instid1(VALU_DEP_1)
	v_div_scale_f64 v[210:211], null, v[208:209], v[208:209], 1.0
	v_rcp_f64_e32 v[227:228], v[210:211]
	s_waitcnt_depctr 0xfff
	v_fma_f64 v[229:230], -v[210:211], v[227:228], 1.0
	s_delay_alu instid0(VALU_DEP_1) | instskip(NEXT) | instid1(VALU_DEP_1)
	v_fma_f64 v[227:228], v[227:228], v[229:230], v[227:228]
	v_fma_f64 v[229:230], -v[210:211], v[227:228], 1.0
	s_delay_alu instid0(VALU_DEP_1) | instskip(SKIP_1) | instid1(VALU_DEP_1)
	v_fma_f64 v[227:228], v[227:228], v[229:230], v[227:228]
	v_div_scale_f64 v[229:230], vcc_lo, 1.0, v[208:209], 1.0
	v_mul_f64 v[231:232], v[229:230], v[227:228]
	s_delay_alu instid0(VALU_DEP_1) | instskip(NEXT) | instid1(VALU_DEP_1)
	v_fma_f64 v[210:211], -v[210:211], v[231:232], v[229:230]
	v_div_fmas_f64 v[210:211], v[210:211], v[227:228], v[231:232]
	s_delay_alu instid0(VALU_DEP_1) | instskip(NEXT) | instid1(VALU_DEP_1)
	v_div_fixup_f64 v[208:209], v[210:211], v[208:209], 1.0
	v_mul_f64 v[210:211], v[225:226], -v[208:209]
.LBB102_996:
	s_or_b32 exec_lo, exec_lo, s2
.LBB102_997:
	s_delay_alu instid0(SALU_CYCLE_1) | instskip(NEXT) | instid1(SALU_CYCLE_1)
	s_or_b32 exec_lo, exec_lo, s3
	s_mov_b32 s2, exec_lo
	v_cmpx_ne_u32_e64 v224, v216
	s_xor_b32 s2, exec_lo, s2
	s_cbranch_execz .LBB102_1003
; %bb.998:
	s_mov_b32 s3, exec_lo
	v_cmpx_eq_u32_e32 47, v224
	s_cbranch_execz .LBB102_1002
; %bb.999:
	v_cmp_ne_u32_e32 vcc_lo, 47, v216
	s_xor_b32 s6, s4, -1
	s_delay_alu instid0(SALU_CYCLE_1) | instskip(NEXT) | instid1(SALU_CYCLE_1)
	s_and_b32 s7, s6, vcc_lo
	s_and_saveexec_b32 s6, s7
	s_cbranch_execz .LBB102_1001
; %bb.1000:
	v_ashrrev_i32_e32 v217, 31, v216
	s_delay_alu instid0(VALU_DEP_1) | instskip(NEXT) | instid1(VALU_DEP_1)
	v_lshlrev_b64 v[223:224], 2, v[216:217]
	v_add_co_u32 v223, vcc_lo, v214, v223
	s_delay_alu instid0(VALU_DEP_2)
	v_add_co_ci_u32_e32 v224, vcc_lo, v215, v224, vcc_lo
	s_clause 0x1
	flat_load_b32 v217, v[223:224]
	flat_load_b32 v225, v[214:215] offset:188
	s_waitcnt vmcnt(1) lgkmcnt(1)
	flat_store_b32 v[214:215], v217 offset:188
	s_waitcnt vmcnt(0) lgkmcnt(1)
	flat_store_b32 v[223:224], v225
.LBB102_1001:
	s_or_b32 exec_lo, exec_lo, s6
	v_mov_b32_e32 v224, v216
	v_mov_b32_e32 v223, v216
.LBB102_1002:
	s_or_b32 exec_lo, exec_lo, s3
.LBB102_1003:
	s_and_not1_saveexec_b32 s2, s2
	s_cbranch_execz .LBB102_1005
; %bb.1004:
	v_mov_b32_e32 v224, 47
	ds_store_2addr_b64 v218, v[12:13], v[14:15] offset0:96 offset1:97
	ds_store_2addr_b64 v218, v[8:9], v[10:11] offset0:98 offset1:99
	;; [unrolled: 1-line block ×4, first 2 shown]
.LBB102_1005:
	s_or_b32 exec_lo, exec_lo, s2
	s_delay_alu instid0(SALU_CYCLE_1)
	s_mov_b32 s2, exec_lo
	s_waitcnt lgkmcnt(0)
	s_waitcnt_vscnt null, 0x0
	s_barrier
	buffer_gl0_inv
	v_cmpx_lt_i32_e32 47, v224
	s_cbranch_execz .LBB102_1007
; %bb.1006:
	v_mul_f64 v[216:217], v[208:209], v[18:19]
	v_mul_f64 v[18:19], v[210:211], v[18:19]
	ds_load_2addr_b64 v[225:228], v218 offset0:96 offset1:97
	ds_load_2addr_b64 v[229:232], v218 offset0:98 offset1:99
	;; [unrolled: 1-line block ×4, first 2 shown]
	v_fma_f64 v[210:211], v[210:211], v[16:17], v[216:217]
	v_fma_f64 v[16:17], v[208:209], v[16:17], -v[18:19]
	s_waitcnt lgkmcnt(3)
	s_delay_alu instid0(VALU_DEP_2)
	v_mul_f64 v[18:19], v[227:228], v[210:211]
	v_mul_f64 v[208:209], v[225:226], v[210:211]
	s_waitcnt lgkmcnt(2)
	v_mul_f64 v[216:217], v[231:232], v[210:211]
	v_mul_f64 v[241:242], v[229:230], v[210:211]
	s_waitcnt lgkmcnt(1)
	;; [unrolled: 3-line block ×3, first 2 shown]
	v_mul_f64 v[247:248], v[239:240], v[210:211]
	v_mul_f64 v[249:250], v[237:238], v[210:211]
	v_fma_f64 v[18:19], v[225:226], v[16:17], -v[18:19]
	v_fma_f64 v[208:209], v[227:228], v[16:17], v[208:209]
	v_fma_f64 v[216:217], v[229:230], v[16:17], -v[216:217]
	v_fma_f64 v[225:226], v[231:232], v[16:17], v[241:242]
	;; [unrolled: 2-line block ×4, first 2 shown]
	v_add_f64 v[12:13], v[12:13], -v[18:19]
	v_add_f64 v[14:15], v[14:15], -v[208:209]
	;; [unrolled: 1-line block ×8, first 2 shown]
	v_dual_mov_b32 v18, v210 :: v_dual_mov_b32 v19, v211
.LBB102_1007:
	s_or_b32 exec_lo, exec_lo, s2
	v_lshl_add_u32 v208, v224, 4, v218
	s_barrier
	buffer_gl0_inv
	v_mov_b32_e32 v216, 48
	ds_store_2addr_b64 v208, v[12:13], v[14:15] offset1:1
	s_waitcnt lgkmcnt(0)
	s_barrier
	buffer_gl0_inv
	ds_load_2addr_b64 v[208:211], v218 offset0:96 offset1:97
	s_cmp_lt_i32 s5, 50
	s_cbranch_scc1 .LBB102_1010
; %bb.1008:
	v_add3_u32 v217, v222, 0, 0x310
	v_mov_b32_e32 v216, 48
	s_mov_b32 s6, 49
	s_set_inst_prefetch_distance 0x1
	.p2align	6
.LBB102_1009:                           ; =>This Inner Loop Header: Depth=1
	ds_load_2addr_b64 v[225:228], v217 offset1:1
	s_waitcnt lgkmcnt(1)
	v_cmp_gt_f64_e32 vcc_lo, 0, v[208:209]
	v_xor_b32_e32 v229, 0x80000000, v209
	v_cmp_gt_f64_e64 s2, 0, v[210:211]
	v_xor_b32_e32 v231, 0x80000000, v211
	v_add_nc_u32_e32 v217, 16, v217
	s_waitcnt lgkmcnt(0)
	v_cmp_gt_f64_e64 s3, 0, v[225:226]
	v_mov_b32_e32 v233, v225
	v_dual_mov_b32 v235, v227 :: v_dual_cndmask_b32 v230, v209, v229
	v_xor_b32_e32 v229, 0x80000000, v226
	v_cndmask_b32_e64 v232, v211, v231, s2
	v_xor_b32_e32 v231, 0x80000000, v228
	s_delay_alu instid0(VALU_DEP_3) | instskip(SKIP_2) | instid1(VALU_DEP_2)
	v_cndmask_b32_e64 v234, v226, v229, s3
	v_cmp_gt_f64_e64 s3, 0, v[227:228]
	v_cndmask_b32_e32 v229, v208, v208, vcc_lo
	v_cndmask_b32_e64 v236, v228, v231, s3
	v_cndmask_b32_e64 v231, v210, v210, s2
	s_delay_alu instid0(VALU_DEP_2) | instskip(NEXT) | instid1(VALU_DEP_2)
	v_add_f64 v[233:234], v[233:234], v[235:236]
	v_add_f64 v[229:230], v[229:230], v[231:232]
	s_delay_alu instid0(VALU_DEP_1) | instskip(SKIP_4) | instid1(SALU_CYCLE_1)
	v_cmp_lt_f64_e32 vcc_lo, v[229:230], v[233:234]
	v_dual_cndmask_b32 v210, v210, v227 :: v_dual_cndmask_b32 v209, v209, v226
	v_dual_cndmask_b32 v208, v208, v225 :: v_dual_cndmask_b32 v211, v211, v228
	v_cndmask_b32_e64 v216, v216, s6, vcc_lo
	s_add_i32 s6, s6, 1
	s_cmp_lg_u32 s5, s6
	s_cbranch_scc1 .LBB102_1009
.LBB102_1010:
	s_set_inst_prefetch_distance 0x2
	s_waitcnt lgkmcnt(0)
	v_cmp_eq_f64_e32 vcc_lo, 0, v[208:209]
	v_cmp_eq_f64_e64 s2, 0, v[210:211]
	s_delay_alu instid0(VALU_DEP_1) | instskip(NEXT) | instid1(SALU_CYCLE_1)
	s_and_b32 s2, vcc_lo, s2
	s_and_saveexec_b32 s3, s2
	s_delay_alu instid0(SALU_CYCLE_1)
	s_xor_b32 s2, exec_lo, s3
; %bb.1011:
	v_cmp_ne_u32_e32 vcc_lo, 0, v221
	v_cndmask_b32_e32 v221, 49, v221, vcc_lo
; %bb.1012:
	s_and_not1_saveexec_b32 s3, s2
	s_cbranch_execz .LBB102_1018
; %bb.1013:
	v_cmp_gt_f64_e32 vcc_lo, 0, v[208:209]
	v_cmp_gt_f64_e64 s2, 0, v[210:211]
	v_xor_b32_e32 v217, 0x80000000, v209
	v_xor_b32_e32 v225, 0x80000000, v211
	s_delay_alu instid0(VALU_DEP_2) | instskip(NEXT) | instid1(VALU_DEP_2)
	v_cndmask_b32_e32 v226, v209, v217, vcc_lo
	v_cndmask_b32_e64 v228, v211, v225, s2
	v_cndmask_b32_e32 v225, v208, v208, vcc_lo
	v_cndmask_b32_e64 v227, v210, v210, s2
	s_mov_b32 s2, exec_lo
	s_delay_alu instid0(VALU_DEP_1)
	v_cmpx_ngt_f64_e32 v[225:226], v[227:228]
	s_xor_b32 s2, exec_lo, s2
	s_cbranch_execz .LBB102_1015
; %bb.1014:
	v_div_scale_f64 v[225:226], null, v[210:211], v[210:211], v[208:209]
	v_div_scale_f64 v[231:232], vcc_lo, v[208:209], v[210:211], v[208:209]
	s_delay_alu instid0(VALU_DEP_2) | instskip(SKIP_2) | instid1(VALU_DEP_1)
	v_rcp_f64_e32 v[227:228], v[225:226]
	s_waitcnt_depctr 0xfff
	v_fma_f64 v[229:230], -v[225:226], v[227:228], 1.0
	v_fma_f64 v[227:228], v[227:228], v[229:230], v[227:228]
	s_delay_alu instid0(VALU_DEP_1) | instskip(NEXT) | instid1(VALU_DEP_1)
	v_fma_f64 v[229:230], -v[225:226], v[227:228], 1.0
	v_fma_f64 v[227:228], v[227:228], v[229:230], v[227:228]
	s_delay_alu instid0(VALU_DEP_1) | instskip(NEXT) | instid1(VALU_DEP_1)
	v_mul_f64 v[229:230], v[231:232], v[227:228]
	v_fma_f64 v[225:226], -v[225:226], v[229:230], v[231:232]
	s_delay_alu instid0(VALU_DEP_1) | instskip(NEXT) | instid1(VALU_DEP_1)
	v_div_fmas_f64 v[225:226], v[225:226], v[227:228], v[229:230]
	v_div_fixup_f64 v[225:226], v[225:226], v[210:211], v[208:209]
	s_delay_alu instid0(VALU_DEP_1) | instskip(NEXT) | instid1(VALU_DEP_1)
	v_fma_f64 v[208:209], v[208:209], v[225:226], v[210:211]
	v_div_scale_f64 v[210:211], null, v[208:209], v[208:209], 1.0
	s_delay_alu instid0(VALU_DEP_1) | instskip(SKIP_2) | instid1(VALU_DEP_1)
	v_rcp_f64_e32 v[227:228], v[210:211]
	s_waitcnt_depctr 0xfff
	v_fma_f64 v[229:230], -v[210:211], v[227:228], 1.0
	v_fma_f64 v[227:228], v[227:228], v[229:230], v[227:228]
	s_delay_alu instid0(VALU_DEP_1) | instskip(NEXT) | instid1(VALU_DEP_1)
	v_fma_f64 v[229:230], -v[210:211], v[227:228], 1.0
	v_fma_f64 v[227:228], v[227:228], v[229:230], v[227:228]
	v_div_scale_f64 v[229:230], vcc_lo, 1.0, v[208:209], 1.0
	s_delay_alu instid0(VALU_DEP_1) | instskip(NEXT) | instid1(VALU_DEP_1)
	v_mul_f64 v[231:232], v[229:230], v[227:228]
	v_fma_f64 v[210:211], -v[210:211], v[231:232], v[229:230]
	s_delay_alu instid0(VALU_DEP_1) | instskip(NEXT) | instid1(VALU_DEP_1)
	v_div_fmas_f64 v[210:211], v[210:211], v[227:228], v[231:232]
	v_div_fixup_f64 v[210:211], v[210:211], v[208:209], 1.0
	s_delay_alu instid0(VALU_DEP_1)
	v_mul_f64 v[208:209], v[225:226], v[210:211]
	v_xor_b32_e32 v211, 0x80000000, v211
.LBB102_1015:
	s_and_not1_saveexec_b32 s2, s2
	s_cbranch_execz .LBB102_1017
; %bb.1016:
	s_delay_alu instid0(VALU_DEP_1) | instskip(SKIP_1) | instid1(VALU_DEP_2)
	v_div_scale_f64 v[225:226], null, v[208:209], v[208:209], v[210:211]
	v_div_scale_f64 v[231:232], vcc_lo, v[210:211], v[208:209], v[210:211]
	v_rcp_f64_e32 v[227:228], v[225:226]
	s_waitcnt_depctr 0xfff
	v_fma_f64 v[229:230], -v[225:226], v[227:228], 1.0
	s_delay_alu instid0(VALU_DEP_1) | instskip(NEXT) | instid1(VALU_DEP_1)
	v_fma_f64 v[227:228], v[227:228], v[229:230], v[227:228]
	v_fma_f64 v[229:230], -v[225:226], v[227:228], 1.0
	s_delay_alu instid0(VALU_DEP_1) | instskip(NEXT) | instid1(VALU_DEP_1)
	v_fma_f64 v[227:228], v[227:228], v[229:230], v[227:228]
	v_mul_f64 v[229:230], v[231:232], v[227:228]
	s_delay_alu instid0(VALU_DEP_1) | instskip(NEXT) | instid1(VALU_DEP_1)
	v_fma_f64 v[225:226], -v[225:226], v[229:230], v[231:232]
	v_div_fmas_f64 v[225:226], v[225:226], v[227:228], v[229:230]
	s_delay_alu instid0(VALU_DEP_1) | instskip(NEXT) | instid1(VALU_DEP_1)
	v_div_fixup_f64 v[225:226], v[225:226], v[208:209], v[210:211]
	v_fma_f64 v[208:209], v[210:211], v[225:226], v[208:209]
	s_delay_alu instid0(VALU_DEP_1) | instskip(NEXT) | instid1(VALU_DEP_1)
	v_div_scale_f64 v[210:211], null, v[208:209], v[208:209], 1.0
	v_rcp_f64_e32 v[227:228], v[210:211]
	s_waitcnt_depctr 0xfff
	v_fma_f64 v[229:230], -v[210:211], v[227:228], 1.0
	s_delay_alu instid0(VALU_DEP_1) | instskip(NEXT) | instid1(VALU_DEP_1)
	v_fma_f64 v[227:228], v[227:228], v[229:230], v[227:228]
	v_fma_f64 v[229:230], -v[210:211], v[227:228], 1.0
	s_delay_alu instid0(VALU_DEP_1) | instskip(SKIP_1) | instid1(VALU_DEP_1)
	v_fma_f64 v[227:228], v[227:228], v[229:230], v[227:228]
	v_div_scale_f64 v[229:230], vcc_lo, 1.0, v[208:209], 1.0
	v_mul_f64 v[231:232], v[229:230], v[227:228]
	s_delay_alu instid0(VALU_DEP_1) | instskip(NEXT) | instid1(VALU_DEP_1)
	v_fma_f64 v[210:211], -v[210:211], v[231:232], v[229:230]
	v_div_fmas_f64 v[210:211], v[210:211], v[227:228], v[231:232]
	s_delay_alu instid0(VALU_DEP_1) | instskip(NEXT) | instid1(VALU_DEP_1)
	v_div_fixup_f64 v[208:209], v[210:211], v[208:209], 1.0
	v_mul_f64 v[210:211], v[225:226], -v[208:209]
.LBB102_1017:
	s_or_b32 exec_lo, exec_lo, s2
.LBB102_1018:
	s_delay_alu instid0(SALU_CYCLE_1) | instskip(NEXT) | instid1(SALU_CYCLE_1)
	s_or_b32 exec_lo, exec_lo, s3
	s_mov_b32 s2, exec_lo
	v_cmpx_ne_u32_e64 v224, v216
	s_xor_b32 s2, exec_lo, s2
	s_cbranch_execz .LBB102_1024
; %bb.1019:
	s_mov_b32 s3, exec_lo
	v_cmpx_eq_u32_e32 48, v224
	s_cbranch_execz .LBB102_1023
; %bb.1020:
	v_cmp_ne_u32_e32 vcc_lo, 48, v216
	s_xor_b32 s6, s4, -1
	s_delay_alu instid0(SALU_CYCLE_1) | instskip(NEXT) | instid1(SALU_CYCLE_1)
	s_and_b32 s7, s6, vcc_lo
	s_and_saveexec_b32 s6, s7
	s_cbranch_execz .LBB102_1022
; %bb.1021:
	v_ashrrev_i32_e32 v217, 31, v216
	s_delay_alu instid0(VALU_DEP_1) | instskip(NEXT) | instid1(VALU_DEP_1)
	v_lshlrev_b64 v[223:224], 2, v[216:217]
	v_add_co_u32 v223, vcc_lo, v214, v223
	s_delay_alu instid0(VALU_DEP_2)
	v_add_co_ci_u32_e32 v224, vcc_lo, v215, v224, vcc_lo
	s_clause 0x1
	flat_load_b32 v217, v[223:224]
	flat_load_b32 v225, v[214:215] offset:192
	s_waitcnt vmcnt(1) lgkmcnt(1)
	flat_store_b32 v[214:215], v217 offset:192
	s_waitcnt vmcnt(0) lgkmcnt(1)
	flat_store_b32 v[223:224], v225
.LBB102_1022:
	s_or_b32 exec_lo, exec_lo, s6
	v_mov_b32_e32 v224, v216
	v_mov_b32_e32 v223, v216
.LBB102_1023:
	s_or_b32 exec_lo, exec_lo, s3
.LBB102_1024:
	s_and_not1_saveexec_b32 s2, s2
	s_cbranch_execz .LBB102_1026
; %bb.1025:
	v_mov_b32_e32 v224, 48
	ds_store_2addr_b64 v218, v[8:9], v[10:11] offset0:98 offset1:99
	ds_store_2addr_b64 v218, v[4:5], v[6:7] offset0:100 offset1:101
	;; [unrolled: 1-line block ×3, first 2 shown]
.LBB102_1026:
	s_or_b32 exec_lo, exec_lo, s2
	s_delay_alu instid0(SALU_CYCLE_1)
	s_mov_b32 s2, exec_lo
	s_waitcnt lgkmcnt(0)
	s_waitcnt_vscnt null, 0x0
	s_barrier
	buffer_gl0_inv
	v_cmpx_lt_i32_e32 48, v224
	s_cbranch_execz .LBB102_1028
; %bb.1027:
	v_mul_f64 v[216:217], v[208:209], v[14:15]
	v_mul_f64 v[14:15], v[210:211], v[14:15]
	ds_load_2addr_b64 v[225:228], v218 offset0:98 offset1:99
	ds_load_2addr_b64 v[229:232], v218 offset0:100 offset1:101
	ds_load_2addr_b64 v[233:236], v218 offset0:102 offset1:103
	v_fma_f64 v[210:211], v[210:211], v[12:13], v[216:217]
	v_fma_f64 v[12:13], v[208:209], v[12:13], -v[14:15]
	s_waitcnt lgkmcnt(2)
	s_delay_alu instid0(VALU_DEP_2)
	v_mul_f64 v[14:15], v[227:228], v[210:211]
	v_mul_f64 v[208:209], v[225:226], v[210:211]
	s_waitcnt lgkmcnt(1)
	v_mul_f64 v[216:217], v[231:232], v[210:211]
	v_mul_f64 v[237:238], v[229:230], v[210:211]
	s_waitcnt lgkmcnt(0)
	v_mul_f64 v[239:240], v[235:236], v[210:211]
	v_mul_f64 v[241:242], v[233:234], v[210:211]
	v_fma_f64 v[14:15], v[225:226], v[12:13], -v[14:15]
	v_fma_f64 v[208:209], v[227:228], v[12:13], v[208:209]
	v_fma_f64 v[216:217], v[229:230], v[12:13], -v[216:217]
	v_fma_f64 v[225:226], v[231:232], v[12:13], v[237:238]
	;; [unrolled: 2-line block ×3, first 2 shown]
	v_add_f64 v[8:9], v[8:9], -v[14:15]
	v_add_f64 v[10:11], v[10:11], -v[208:209]
	;; [unrolled: 1-line block ×6, first 2 shown]
	v_dual_mov_b32 v14, v210 :: v_dual_mov_b32 v15, v211
.LBB102_1028:
	s_or_b32 exec_lo, exec_lo, s2
	v_lshl_add_u32 v208, v224, 4, v218
	s_barrier
	buffer_gl0_inv
	v_mov_b32_e32 v216, 49
	ds_store_2addr_b64 v208, v[8:9], v[10:11] offset1:1
	s_waitcnt lgkmcnt(0)
	s_barrier
	buffer_gl0_inv
	ds_load_2addr_b64 v[208:211], v218 offset0:98 offset1:99
	s_cmp_lt_i32 s5, 51
	s_cbranch_scc1 .LBB102_1031
; %bb.1029:
	v_add3_u32 v217, v222, 0, 0x320
	v_mov_b32_e32 v216, 49
	s_mov_b32 s6, 50
	s_set_inst_prefetch_distance 0x1
	.p2align	6
.LBB102_1030:                           ; =>This Inner Loop Header: Depth=1
	ds_load_2addr_b64 v[225:228], v217 offset1:1
	s_waitcnt lgkmcnt(1)
	v_cmp_gt_f64_e32 vcc_lo, 0, v[208:209]
	v_xor_b32_e32 v229, 0x80000000, v209
	v_cmp_gt_f64_e64 s2, 0, v[210:211]
	v_xor_b32_e32 v231, 0x80000000, v211
	v_add_nc_u32_e32 v217, 16, v217
	s_waitcnt lgkmcnt(0)
	v_cmp_gt_f64_e64 s3, 0, v[225:226]
	v_mov_b32_e32 v233, v225
	v_dual_mov_b32 v235, v227 :: v_dual_cndmask_b32 v230, v209, v229
	v_xor_b32_e32 v229, 0x80000000, v226
	v_cndmask_b32_e64 v232, v211, v231, s2
	v_xor_b32_e32 v231, 0x80000000, v228
	s_delay_alu instid0(VALU_DEP_3) | instskip(SKIP_2) | instid1(VALU_DEP_2)
	v_cndmask_b32_e64 v234, v226, v229, s3
	v_cmp_gt_f64_e64 s3, 0, v[227:228]
	v_cndmask_b32_e32 v229, v208, v208, vcc_lo
	v_cndmask_b32_e64 v236, v228, v231, s3
	v_cndmask_b32_e64 v231, v210, v210, s2
	s_delay_alu instid0(VALU_DEP_2) | instskip(NEXT) | instid1(VALU_DEP_2)
	v_add_f64 v[233:234], v[233:234], v[235:236]
	v_add_f64 v[229:230], v[229:230], v[231:232]
	s_delay_alu instid0(VALU_DEP_1) | instskip(SKIP_4) | instid1(SALU_CYCLE_1)
	v_cmp_lt_f64_e32 vcc_lo, v[229:230], v[233:234]
	v_dual_cndmask_b32 v210, v210, v227 :: v_dual_cndmask_b32 v209, v209, v226
	v_dual_cndmask_b32 v208, v208, v225 :: v_dual_cndmask_b32 v211, v211, v228
	v_cndmask_b32_e64 v216, v216, s6, vcc_lo
	s_add_i32 s6, s6, 1
	s_cmp_lg_u32 s5, s6
	s_cbranch_scc1 .LBB102_1030
.LBB102_1031:
	s_set_inst_prefetch_distance 0x2
	s_waitcnt lgkmcnt(0)
	v_cmp_eq_f64_e32 vcc_lo, 0, v[208:209]
	v_cmp_eq_f64_e64 s2, 0, v[210:211]
	s_delay_alu instid0(VALU_DEP_1) | instskip(NEXT) | instid1(SALU_CYCLE_1)
	s_and_b32 s2, vcc_lo, s2
	s_and_saveexec_b32 s3, s2
	s_delay_alu instid0(SALU_CYCLE_1)
	s_xor_b32 s2, exec_lo, s3
; %bb.1032:
	v_cmp_ne_u32_e32 vcc_lo, 0, v221
	v_cndmask_b32_e32 v221, 50, v221, vcc_lo
; %bb.1033:
	s_and_not1_saveexec_b32 s3, s2
	s_cbranch_execz .LBB102_1039
; %bb.1034:
	v_cmp_gt_f64_e32 vcc_lo, 0, v[208:209]
	v_cmp_gt_f64_e64 s2, 0, v[210:211]
	v_xor_b32_e32 v217, 0x80000000, v209
	v_xor_b32_e32 v225, 0x80000000, v211
	s_delay_alu instid0(VALU_DEP_2) | instskip(NEXT) | instid1(VALU_DEP_2)
	v_cndmask_b32_e32 v226, v209, v217, vcc_lo
	v_cndmask_b32_e64 v228, v211, v225, s2
	v_cndmask_b32_e32 v225, v208, v208, vcc_lo
	v_cndmask_b32_e64 v227, v210, v210, s2
	s_mov_b32 s2, exec_lo
	s_delay_alu instid0(VALU_DEP_1)
	v_cmpx_ngt_f64_e32 v[225:226], v[227:228]
	s_xor_b32 s2, exec_lo, s2
	s_cbranch_execz .LBB102_1036
; %bb.1035:
	v_div_scale_f64 v[225:226], null, v[210:211], v[210:211], v[208:209]
	v_div_scale_f64 v[231:232], vcc_lo, v[208:209], v[210:211], v[208:209]
	s_delay_alu instid0(VALU_DEP_2) | instskip(SKIP_2) | instid1(VALU_DEP_1)
	v_rcp_f64_e32 v[227:228], v[225:226]
	s_waitcnt_depctr 0xfff
	v_fma_f64 v[229:230], -v[225:226], v[227:228], 1.0
	v_fma_f64 v[227:228], v[227:228], v[229:230], v[227:228]
	s_delay_alu instid0(VALU_DEP_1) | instskip(NEXT) | instid1(VALU_DEP_1)
	v_fma_f64 v[229:230], -v[225:226], v[227:228], 1.0
	v_fma_f64 v[227:228], v[227:228], v[229:230], v[227:228]
	s_delay_alu instid0(VALU_DEP_1) | instskip(NEXT) | instid1(VALU_DEP_1)
	v_mul_f64 v[229:230], v[231:232], v[227:228]
	v_fma_f64 v[225:226], -v[225:226], v[229:230], v[231:232]
	s_delay_alu instid0(VALU_DEP_1) | instskip(NEXT) | instid1(VALU_DEP_1)
	v_div_fmas_f64 v[225:226], v[225:226], v[227:228], v[229:230]
	v_div_fixup_f64 v[225:226], v[225:226], v[210:211], v[208:209]
	s_delay_alu instid0(VALU_DEP_1) | instskip(NEXT) | instid1(VALU_DEP_1)
	v_fma_f64 v[208:209], v[208:209], v[225:226], v[210:211]
	v_div_scale_f64 v[210:211], null, v[208:209], v[208:209], 1.0
	s_delay_alu instid0(VALU_DEP_1) | instskip(SKIP_2) | instid1(VALU_DEP_1)
	v_rcp_f64_e32 v[227:228], v[210:211]
	s_waitcnt_depctr 0xfff
	v_fma_f64 v[229:230], -v[210:211], v[227:228], 1.0
	v_fma_f64 v[227:228], v[227:228], v[229:230], v[227:228]
	s_delay_alu instid0(VALU_DEP_1) | instskip(NEXT) | instid1(VALU_DEP_1)
	v_fma_f64 v[229:230], -v[210:211], v[227:228], 1.0
	v_fma_f64 v[227:228], v[227:228], v[229:230], v[227:228]
	v_div_scale_f64 v[229:230], vcc_lo, 1.0, v[208:209], 1.0
	s_delay_alu instid0(VALU_DEP_1) | instskip(NEXT) | instid1(VALU_DEP_1)
	v_mul_f64 v[231:232], v[229:230], v[227:228]
	v_fma_f64 v[210:211], -v[210:211], v[231:232], v[229:230]
	s_delay_alu instid0(VALU_DEP_1) | instskip(NEXT) | instid1(VALU_DEP_1)
	v_div_fmas_f64 v[210:211], v[210:211], v[227:228], v[231:232]
	v_div_fixup_f64 v[210:211], v[210:211], v[208:209], 1.0
	s_delay_alu instid0(VALU_DEP_1)
	v_mul_f64 v[208:209], v[225:226], v[210:211]
	v_xor_b32_e32 v211, 0x80000000, v211
.LBB102_1036:
	s_and_not1_saveexec_b32 s2, s2
	s_cbranch_execz .LBB102_1038
; %bb.1037:
	s_delay_alu instid0(VALU_DEP_1) | instskip(SKIP_1) | instid1(VALU_DEP_2)
	v_div_scale_f64 v[225:226], null, v[208:209], v[208:209], v[210:211]
	v_div_scale_f64 v[231:232], vcc_lo, v[210:211], v[208:209], v[210:211]
	v_rcp_f64_e32 v[227:228], v[225:226]
	s_waitcnt_depctr 0xfff
	v_fma_f64 v[229:230], -v[225:226], v[227:228], 1.0
	s_delay_alu instid0(VALU_DEP_1) | instskip(NEXT) | instid1(VALU_DEP_1)
	v_fma_f64 v[227:228], v[227:228], v[229:230], v[227:228]
	v_fma_f64 v[229:230], -v[225:226], v[227:228], 1.0
	s_delay_alu instid0(VALU_DEP_1) | instskip(NEXT) | instid1(VALU_DEP_1)
	v_fma_f64 v[227:228], v[227:228], v[229:230], v[227:228]
	v_mul_f64 v[229:230], v[231:232], v[227:228]
	s_delay_alu instid0(VALU_DEP_1) | instskip(NEXT) | instid1(VALU_DEP_1)
	v_fma_f64 v[225:226], -v[225:226], v[229:230], v[231:232]
	v_div_fmas_f64 v[225:226], v[225:226], v[227:228], v[229:230]
	s_delay_alu instid0(VALU_DEP_1) | instskip(NEXT) | instid1(VALU_DEP_1)
	v_div_fixup_f64 v[225:226], v[225:226], v[208:209], v[210:211]
	v_fma_f64 v[208:209], v[210:211], v[225:226], v[208:209]
	s_delay_alu instid0(VALU_DEP_1) | instskip(NEXT) | instid1(VALU_DEP_1)
	v_div_scale_f64 v[210:211], null, v[208:209], v[208:209], 1.0
	v_rcp_f64_e32 v[227:228], v[210:211]
	s_waitcnt_depctr 0xfff
	v_fma_f64 v[229:230], -v[210:211], v[227:228], 1.0
	s_delay_alu instid0(VALU_DEP_1) | instskip(NEXT) | instid1(VALU_DEP_1)
	v_fma_f64 v[227:228], v[227:228], v[229:230], v[227:228]
	v_fma_f64 v[229:230], -v[210:211], v[227:228], 1.0
	s_delay_alu instid0(VALU_DEP_1) | instskip(SKIP_1) | instid1(VALU_DEP_1)
	v_fma_f64 v[227:228], v[227:228], v[229:230], v[227:228]
	v_div_scale_f64 v[229:230], vcc_lo, 1.0, v[208:209], 1.0
	v_mul_f64 v[231:232], v[229:230], v[227:228]
	s_delay_alu instid0(VALU_DEP_1) | instskip(NEXT) | instid1(VALU_DEP_1)
	v_fma_f64 v[210:211], -v[210:211], v[231:232], v[229:230]
	v_div_fmas_f64 v[210:211], v[210:211], v[227:228], v[231:232]
	s_delay_alu instid0(VALU_DEP_1) | instskip(NEXT) | instid1(VALU_DEP_1)
	v_div_fixup_f64 v[208:209], v[210:211], v[208:209], 1.0
	v_mul_f64 v[210:211], v[225:226], -v[208:209]
.LBB102_1038:
	s_or_b32 exec_lo, exec_lo, s2
.LBB102_1039:
	s_delay_alu instid0(SALU_CYCLE_1) | instskip(NEXT) | instid1(SALU_CYCLE_1)
	s_or_b32 exec_lo, exec_lo, s3
	s_mov_b32 s2, exec_lo
	v_cmpx_ne_u32_e64 v224, v216
	s_xor_b32 s2, exec_lo, s2
	s_cbranch_execz .LBB102_1045
; %bb.1040:
	s_mov_b32 s3, exec_lo
	v_cmpx_eq_u32_e32 49, v224
	s_cbranch_execz .LBB102_1044
; %bb.1041:
	v_cmp_ne_u32_e32 vcc_lo, 49, v216
	s_xor_b32 s6, s4, -1
	s_delay_alu instid0(SALU_CYCLE_1) | instskip(NEXT) | instid1(SALU_CYCLE_1)
	s_and_b32 s7, s6, vcc_lo
	s_and_saveexec_b32 s6, s7
	s_cbranch_execz .LBB102_1043
; %bb.1042:
	v_ashrrev_i32_e32 v217, 31, v216
	s_delay_alu instid0(VALU_DEP_1) | instskip(NEXT) | instid1(VALU_DEP_1)
	v_lshlrev_b64 v[223:224], 2, v[216:217]
	v_add_co_u32 v223, vcc_lo, v214, v223
	s_delay_alu instid0(VALU_DEP_2)
	v_add_co_ci_u32_e32 v224, vcc_lo, v215, v224, vcc_lo
	s_clause 0x1
	flat_load_b32 v217, v[223:224]
	flat_load_b32 v225, v[214:215] offset:196
	s_waitcnt vmcnt(1) lgkmcnt(1)
	flat_store_b32 v[214:215], v217 offset:196
	s_waitcnt vmcnt(0) lgkmcnt(1)
	flat_store_b32 v[223:224], v225
.LBB102_1043:
	s_or_b32 exec_lo, exec_lo, s6
	v_mov_b32_e32 v224, v216
	v_mov_b32_e32 v223, v216
.LBB102_1044:
	s_or_b32 exec_lo, exec_lo, s3
.LBB102_1045:
	s_and_not1_saveexec_b32 s2, s2
	s_cbranch_execz .LBB102_1047
; %bb.1046:
	v_mov_b32_e32 v224, 49
	ds_store_2addr_b64 v218, v[4:5], v[6:7] offset0:100 offset1:101
	ds_store_2addr_b64 v218, v[0:1], v[2:3] offset0:102 offset1:103
.LBB102_1047:
	s_or_b32 exec_lo, exec_lo, s2
	s_delay_alu instid0(SALU_CYCLE_1)
	s_mov_b32 s2, exec_lo
	s_waitcnt lgkmcnt(0)
	s_waitcnt_vscnt null, 0x0
	s_barrier
	buffer_gl0_inv
	v_cmpx_lt_i32_e32 49, v224
	s_cbranch_execz .LBB102_1049
; %bb.1048:
	v_mul_f64 v[216:217], v[208:209], v[10:11]
	v_mul_f64 v[10:11], v[210:211], v[10:11]
	ds_load_2addr_b64 v[225:228], v218 offset0:100 offset1:101
	ds_load_2addr_b64 v[229:232], v218 offset0:102 offset1:103
	v_fma_f64 v[210:211], v[210:211], v[8:9], v[216:217]
	v_fma_f64 v[8:9], v[208:209], v[8:9], -v[10:11]
	s_waitcnt lgkmcnt(1)
	s_delay_alu instid0(VALU_DEP_2) | instskip(SKIP_4) | instid1(VALU_DEP_4)
	v_mul_f64 v[10:11], v[227:228], v[210:211]
	v_mul_f64 v[208:209], v[225:226], v[210:211]
	s_waitcnt lgkmcnt(0)
	v_mul_f64 v[216:217], v[231:232], v[210:211]
	v_mul_f64 v[233:234], v[229:230], v[210:211]
	v_fma_f64 v[10:11], v[225:226], v[8:9], -v[10:11]
	s_delay_alu instid0(VALU_DEP_4) | instskip(NEXT) | instid1(VALU_DEP_4)
	v_fma_f64 v[208:209], v[227:228], v[8:9], v[208:209]
	v_fma_f64 v[216:217], v[229:230], v[8:9], -v[216:217]
	s_delay_alu instid0(VALU_DEP_4) | instskip(NEXT) | instid1(VALU_DEP_4)
	v_fma_f64 v[225:226], v[231:232], v[8:9], v[233:234]
	v_add_f64 v[4:5], v[4:5], -v[10:11]
	s_delay_alu instid0(VALU_DEP_4) | instskip(NEXT) | instid1(VALU_DEP_4)
	v_add_f64 v[6:7], v[6:7], -v[208:209]
	v_add_f64 v[0:1], v[0:1], -v[216:217]
	s_delay_alu instid0(VALU_DEP_4)
	v_add_f64 v[2:3], v[2:3], -v[225:226]
	v_dual_mov_b32 v10, v210 :: v_dual_mov_b32 v11, v211
.LBB102_1049:
	s_or_b32 exec_lo, exec_lo, s2
	v_lshl_add_u32 v208, v224, 4, v218
	s_barrier
	buffer_gl0_inv
	v_mov_b32_e32 v216, 50
	ds_store_2addr_b64 v208, v[4:5], v[6:7] offset1:1
	s_waitcnt lgkmcnt(0)
	s_barrier
	buffer_gl0_inv
	ds_load_2addr_b64 v[208:211], v218 offset0:100 offset1:101
	s_cmp_lt_i32 s5, 52
	s_cbranch_scc1 .LBB102_1052
; %bb.1050:
	v_add3_u32 v217, v222, 0, 0x330
	v_mov_b32_e32 v216, 50
	s_mov_b32 s6, 51
	s_set_inst_prefetch_distance 0x1
	.p2align	6
.LBB102_1051:                           ; =>This Inner Loop Header: Depth=1
	ds_load_2addr_b64 v[225:228], v217 offset1:1
	s_waitcnt lgkmcnt(1)
	v_cmp_gt_f64_e32 vcc_lo, 0, v[208:209]
	v_xor_b32_e32 v229, 0x80000000, v209
	v_cmp_gt_f64_e64 s2, 0, v[210:211]
	v_xor_b32_e32 v231, 0x80000000, v211
	v_add_nc_u32_e32 v217, 16, v217
	s_waitcnt lgkmcnt(0)
	v_cmp_gt_f64_e64 s3, 0, v[225:226]
	v_mov_b32_e32 v233, v225
	v_dual_mov_b32 v235, v227 :: v_dual_cndmask_b32 v230, v209, v229
	v_xor_b32_e32 v229, 0x80000000, v226
	v_cndmask_b32_e64 v232, v211, v231, s2
	v_xor_b32_e32 v231, 0x80000000, v228
	s_delay_alu instid0(VALU_DEP_3) | instskip(SKIP_2) | instid1(VALU_DEP_2)
	v_cndmask_b32_e64 v234, v226, v229, s3
	v_cmp_gt_f64_e64 s3, 0, v[227:228]
	v_cndmask_b32_e32 v229, v208, v208, vcc_lo
	v_cndmask_b32_e64 v236, v228, v231, s3
	v_cndmask_b32_e64 v231, v210, v210, s2
	s_delay_alu instid0(VALU_DEP_2) | instskip(NEXT) | instid1(VALU_DEP_2)
	v_add_f64 v[233:234], v[233:234], v[235:236]
	v_add_f64 v[229:230], v[229:230], v[231:232]
	s_delay_alu instid0(VALU_DEP_1) | instskip(SKIP_4) | instid1(SALU_CYCLE_1)
	v_cmp_lt_f64_e32 vcc_lo, v[229:230], v[233:234]
	v_dual_cndmask_b32 v210, v210, v227 :: v_dual_cndmask_b32 v209, v209, v226
	v_dual_cndmask_b32 v208, v208, v225 :: v_dual_cndmask_b32 v211, v211, v228
	v_cndmask_b32_e64 v216, v216, s6, vcc_lo
	s_add_i32 s6, s6, 1
	s_cmp_lg_u32 s5, s6
	s_cbranch_scc1 .LBB102_1051
.LBB102_1052:
	s_set_inst_prefetch_distance 0x2
	s_waitcnt lgkmcnt(0)
	v_cmp_eq_f64_e32 vcc_lo, 0, v[208:209]
	v_cmp_eq_f64_e64 s2, 0, v[210:211]
	s_delay_alu instid0(VALU_DEP_1) | instskip(NEXT) | instid1(SALU_CYCLE_1)
	s_and_b32 s2, vcc_lo, s2
	s_and_saveexec_b32 s3, s2
	s_delay_alu instid0(SALU_CYCLE_1)
	s_xor_b32 s2, exec_lo, s3
; %bb.1053:
	v_cmp_ne_u32_e32 vcc_lo, 0, v221
	v_cndmask_b32_e32 v221, 51, v221, vcc_lo
; %bb.1054:
	s_and_not1_saveexec_b32 s3, s2
	s_cbranch_execz .LBB102_1060
; %bb.1055:
	v_cmp_gt_f64_e32 vcc_lo, 0, v[208:209]
	v_cmp_gt_f64_e64 s2, 0, v[210:211]
	v_xor_b32_e32 v217, 0x80000000, v209
	v_xor_b32_e32 v225, 0x80000000, v211
	s_delay_alu instid0(VALU_DEP_2) | instskip(NEXT) | instid1(VALU_DEP_2)
	v_cndmask_b32_e32 v226, v209, v217, vcc_lo
	v_cndmask_b32_e64 v228, v211, v225, s2
	v_cndmask_b32_e32 v225, v208, v208, vcc_lo
	v_cndmask_b32_e64 v227, v210, v210, s2
	s_mov_b32 s2, exec_lo
	s_delay_alu instid0(VALU_DEP_1)
	v_cmpx_ngt_f64_e32 v[225:226], v[227:228]
	s_xor_b32 s2, exec_lo, s2
	s_cbranch_execz .LBB102_1057
; %bb.1056:
	v_div_scale_f64 v[225:226], null, v[210:211], v[210:211], v[208:209]
	v_div_scale_f64 v[231:232], vcc_lo, v[208:209], v[210:211], v[208:209]
	s_delay_alu instid0(VALU_DEP_2) | instskip(SKIP_2) | instid1(VALU_DEP_1)
	v_rcp_f64_e32 v[227:228], v[225:226]
	s_waitcnt_depctr 0xfff
	v_fma_f64 v[229:230], -v[225:226], v[227:228], 1.0
	v_fma_f64 v[227:228], v[227:228], v[229:230], v[227:228]
	s_delay_alu instid0(VALU_DEP_1) | instskip(NEXT) | instid1(VALU_DEP_1)
	v_fma_f64 v[229:230], -v[225:226], v[227:228], 1.0
	v_fma_f64 v[227:228], v[227:228], v[229:230], v[227:228]
	s_delay_alu instid0(VALU_DEP_1) | instskip(NEXT) | instid1(VALU_DEP_1)
	v_mul_f64 v[229:230], v[231:232], v[227:228]
	v_fma_f64 v[225:226], -v[225:226], v[229:230], v[231:232]
	s_delay_alu instid0(VALU_DEP_1) | instskip(NEXT) | instid1(VALU_DEP_1)
	v_div_fmas_f64 v[225:226], v[225:226], v[227:228], v[229:230]
	v_div_fixup_f64 v[225:226], v[225:226], v[210:211], v[208:209]
	s_delay_alu instid0(VALU_DEP_1) | instskip(NEXT) | instid1(VALU_DEP_1)
	v_fma_f64 v[208:209], v[208:209], v[225:226], v[210:211]
	v_div_scale_f64 v[210:211], null, v[208:209], v[208:209], 1.0
	s_delay_alu instid0(VALU_DEP_1) | instskip(SKIP_2) | instid1(VALU_DEP_1)
	v_rcp_f64_e32 v[227:228], v[210:211]
	s_waitcnt_depctr 0xfff
	v_fma_f64 v[229:230], -v[210:211], v[227:228], 1.0
	v_fma_f64 v[227:228], v[227:228], v[229:230], v[227:228]
	s_delay_alu instid0(VALU_DEP_1) | instskip(NEXT) | instid1(VALU_DEP_1)
	v_fma_f64 v[229:230], -v[210:211], v[227:228], 1.0
	v_fma_f64 v[227:228], v[227:228], v[229:230], v[227:228]
	v_div_scale_f64 v[229:230], vcc_lo, 1.0, v[208:209], 1.0
	s_delay_alu instid0(VALU_DEP_1) | instskip(NEXT) | instid1(VALU_DEP_1)
	v_mul_f64 v[231:232], v[229:230], v[227:228]
	v_fma_f64 v[210:211], -v[210:211], v[231:232], v[229:230]
	s_delay_alu instid0(VALU_DEP_1) | instskip(NEXT) | instid1(VALU_DEP_1)
	v_div_fmas_f64 v[210:211], v[210:211], v[227:228], v[231:232]
	v_div_fixup_f64 v[210:211], v[210:211], v[208:209], 1.0
	s_delay_alu instid0(VALU_DEP_1)
	v_mul_f64 v[208:209], v[225:226], v[210:211]
	v_xor_b32_e32 v211, 0x80000000, v211
.LBB102_1057:
	s_and_not1_saveexec_b32 s2, s2
	s_cbranch_execz .LBB102_1059
; %bb.1058:
	s_delay_alu instid0(VALU_DEP_1) | instskip(SKIP_1) | instid1(VALU_DEP_2)
	v_div_scale_f64 v[225:226], null, v[208:209], v[208:209], v[210:211]
	v_div_scale_f64 v[231:232], vcc_lo, v[210:211], v[208:209], v[210:211]
	v_rcp_f64_e32 v[227:228], v[225:226]
	s_waitcnt_depctr 0xfff
	v_fma_f64 v[229:230], -v[225:226], v[227:228], 1.0
	s_delay_alu instid0(VALU_DEP_1) | instskip(NEXT) | instid1(VALU_DEP_1)
	v_fma_f64 v[227:228], v[227:228], v[229:230], v[227:228]
	v_fma_f64 v[229:230], -v[225:226], v[227:228], 1.0
	s_delay_alu instid0(VALU_DEP_1) | instskip(NEXT) | instid1(VALU_DEP_1)
	v_fma_f64 v[227:228], v[227:228], v[229:230], v[227:228]
	v_mul_f64 v[229:230], v[231:232], v[227:228]
	s_delay_alu instid0(VALU_DEP_1) | instskip(NEXT) | instid1(VALU_DEP_1)
	v_fma_f64 v[225:226], -v[225:226], v[229:230], v[231:232]
	v_div_fmas_f64 v[225:226], v[225:226], v[227:228], v[229:230]
	s_delay_alu instid0(VALU_DEP_1) | instskip(NEXT) | instid1(VALU_DEP_1)
	v_div_fixup_f64 v[225:226], v[225:226], v[208:209], v[210:211]
	v_fma_f64 v[208:209], v[210:211], v[225:226], v[208:209]
	s_delay_alu instid0(VALU_DEP_1) | instskip(NEXT) | instid1(VALU_DEP_1)
	v_div_scale_f64 v[210:211], null, v[208:209], v[208:209], 1.0
	v_rcp_f64_e32 v[227:228], v[210:211]
	s_waitcnt_depctr 0xfff
	v_fma_f64 v[229:230], -v[210:211], v[227:228], 1.0
	s_delay_alu instid0(VALU_DEP_1) | instskip(NEXT) | instid1(VALU_DEP_1)
	v_fma_f64 v[227:228], v[227:228], v[229:230], v[227:228]
	v_fma_f64 v[229:230], -v[210:211], v[227:228], 1.0
	s_delay_alu instid0(VALU_DEP_1) | instskip(SKIP_1) | instid1(VALU_DEP_1)
	v_fma_f64 v[227:228], v[227:228], v[229:230], v[227:228]
	v_div_scale_f64 v[229:230], vcc_lo, 1.0, v[208:209], 1.0
	v_mul_f64 v[231:232], v[229:230], v[227:228]
	s_delay_alu instid0(VALU_DEP_1) | instskip(NEXT) | instid1(VALU_DEP_1)
	v_fma_f64 v[210:211], -v[210:211], v[231:232], v[229:230]
	v_div_fmas_f64 v[210:211], v[210:211], v[227:228], v[231:232]
	s_delay_alu instid0(VALU_DEP_1) | instskip(NEXT) | instid1(VALU_DEP_1)
	v_div_fixup_f64 v[208:209], v[210:211], v[208:209], 1.0
	v_mul_f64 v[210:211], v[225:226], -v[208:209]
.LBB102_1059:
	s_or_b32 exec_lo, exec_lo, s2
.LBB102_1060:
	s_delay_alu instid0(SALU_CYCLE_1) | instskip(NEXT) | instid1(SALU_CYCLE_1)
	s_or_b32 exec_lo, exec_lo, s3
	s_mov_b32 s2, exec_lo
	v_cmpx_ne_u32_e64 v224, v216
	s_xor_b32 s2, exec_lo, s2
	s_cbranch_execz .LBB102_1066
; %bb.1061:
	s_mov_b32 s3, exec_lo
	v_cmpx_eq_u32_e32 50, v224
	s_cbranch_execz .LBB102_1065
; %bb.1062:
	v_cmp_ne_u32_e32 vcc_lo, 50, v216
	s_xor_b32 s6, s4, -1
	s_delay_alu instid0(SALU_CYCLE_1) | instskip(NEXT) | instid1(SALU_CYCLE_1)
	s_and_b32 s7, s6, vcc_lo
	s_and_saveexec_b32 s6, s7
	s_cbranch_execz .LBB102_1064
; %bb.1063:
	v_ashrrev_i32_e32 v217, 31, v216
	s_delay_alu instid0(VALU_DEP_1) | instskip(NEXT) | instid1(VALU_DEP_1)
	v_lshlrev_b64 v[223:224], 2, v[216:217]
	v_add_co_u32 v223, vcc_lo, v214, v223
	s_delay_alu instid0(VALU_DEP_2)
	v_add_co_ci_u32_e32 v224, vcc_lo, v215, v224, vcc_lo
	s_clause 0x1
	flat_load_b32 v217, v[223:224]
	flat_load_b32 v225, v[214:215] offset:200
	s_waitcnt vmcnt(1) lgkmcnt(1)
	flat_store_b32 v[214:215], v217 offset:200
	s_waitcnt vmcnt(0) lgkmcnt(1)
	flat_store_b32 v[223:224], v225
.LBB102_1064:
	s_or_b32 exec_lo, exec_lo, s6
	v_mov_b32_e32 v224, v216
	v_mov_b32_e32 v223, v216
.LBB102_1065:
	s_or_b32 exec_lo, exec_lo, s3
.LBB102_1066:
	s_and_not1_saveexec_b32 s2, s2
	s_cbranch_execz .LBB102_1068
; %bb.1067:
	v_mov_b32_e32 v224, 50
	ds_store_2addr_b64 v218, v[0:1], v[2:3] offset0:102 offset1:103
.LBB102_1068:
	s_or_b32 exec_lo, exec_lo, s2
	s_delay_alu instid0(SALU_CYCLE_1)
	s_mov_b32 s2, exec_lo
	s_waitcnt lgkmcnt(0)
	s_waitcnt_vscnt null, 0x0
	s_barrier
	buffer_gl0_inv
	v_cmpx_lt_i32_e32 50, v224
	s_cbranch_execz .LBB102_1070
; %bb.1069:
	v_mul_f64 v[216:217], v[208:209], v[6:7]
	v_mul_f64 v[6:7], v[210:211], v[6:7]
	ds_load_2addr_b64 v[225:228], v218 offset0:102 offset1:103
	v_fma_f64 v[210:211], v[210:211], v[4:5], v[216:217]
	v_fma_f64 v[4:5], v[208:209], v[4:5], -v[6:7]
	s_waitcnt lgkmcnt(0)
	s_delay_alu instid0(VALU_DEP_2) | instskip(SKIP_1) | instid1(VALU_DEP_2)
	v_mul_f64 v[6:7], v[227:228], v[210:211]
	v_mul_f64 v[208:209], v[225:226], v[210:211]
	v_fma_f64 v[6:7], v[225:226], v[4:5], -v[6:7]
	s_delay_alu instid0(VALU_DEP_2) | instskip(NEXT) | instid1(VALU_DEP_2)
	v_fma_f64 v[208:209], v[227:228], v[4:5], v[208:209]
	v_add_f64 v[0:1], v[0:1], -v[6:7]
	s_delay_alu instid0(VALU_DEP_2)
	v_add_f64 v[2:3], v[2:3], -v[208:209]
	v_dual_mov_b32 v6, v210 :: v_dual_mov_b32 v7, v211
.LBB102_1070:
	s_or_b32 exec_lo, exec_lo, s2
	v_lshl_add_u32 v208, v224, 4, v218
	s_barrier
	buffer_gl0_inv
	v_mov_b32_e32 v216, 51
	ds_store_2addr_b64 v208, v[0:1], v[2:3] offset1:1
	s_waitcnt lgkmcnt(0)
	s_barrier
	buffer_gl0_inv
	ds_load_2addr_b64 v[208:211], v218 offset0:102 offset1:103
	s_cmp_lt_i32 s5, 53
	s_cbranch_scc1 .LBB102_1073
; %bb.1071:
	v_add3_u32 v217, v222, 0, 0x340
	v_mov_b32_e32 v216, 51
	s_mov_b32 s6, 52
	s_set_inst_prefetch_distance 0x1
	.p2align	6
.LBB102_1072:                           ; =>This Inner Loop Header: Depth=1
	ds_load_2addr_b64 v[225:228], v217 offset1:1
	s_waitcnt lgkmcnt(1)
	v_cmp_gt_f64_e32 vcc_lo, 0, v[208:209]
	v_xor_b32_e32 v218, 0x80000000, v209
	v_cmp_gt_f64_e64 s2, 0, v[210:211]
	v_xor_b32_e32 v222, 0x80000000, v211
	v_add_nc_u32_e32 v217, 16, v217
	s_waitcnt lgkmcnt(0)
	v_cmp_gt_f64_e64 s3, 0, v[225:226]
	v_mov_b32_e32 v233, v225
	v_dual_mov_b32 v235, v227 :: v_dual_cndmask_b32 v230, v209, v218
	v_xor_b32_e32 v218, 0x80000000, v226
	v_cndmask_b32_e64 v232, v211, v222, s2
	v_xor_b32_e32 v222, 0x80000000, v228
	v_cndmask_b32_e32 v229, v208, v208, vcc_lo
	v_cndmask_b32_e64 v231, v210, v210, s2
	s_delay_alu instid0(VALU_DEP_1) | instskip(SKIP_2) | instid1(VALU_DEP_1)
	v_add_f64 v[229:230], v[229:230], v[231:232]
	v_cndmask_b32_e64 v234, v226, v218, s3
	v_cmp_gt_f64_e64 s3, 0, v[227:228]
	v_cndmask_b32_e64 v236, v228, v222, s3
	s_delay_alu instid0(VALU_DEP_1) | instskip(NEXT) | instid1(VALU_DEP_1)
	v_add_f64 v[233:234], v[233:234], v[235:236]
	v_cmp_lt_f64_e32 vcc_lo, v[229:230], v[233:234]
	v_dual_cndmask_b32 v210, v210, v227 :: v_dual_cndmask_b32 v209, v209, v226
	v_dual_cndmask_b32 v208, v208, v225 :: v_dual_cndmask_b32 v211, v211, v228
	v_cndmask_b32_e64 v216, v216, s6, vcc_lo
	s_add_i32 s6, s6, 1
	s_delay_alu instid0(SALU_CYCLE_1)
	s_cmp_lg_u32 s5, s6
	s_cbranch_scc1 .LBB102_1072
.LBB102_1073:
	s_set_inst_prefetch_distance 0x2
	s_waitcnt lgkmcnt(0)
	v_cmp_eq_f64_e32 vcc_lo, 0, v[208:209]
	v_cmp_eq_f64_e64 s2, 0, v[210:211]
	s_delay_alu instid0(VALU_DEP_1) | instskip(NEXT) | instid1(SALU_CYCLE_1)
	s_and_b32 s2, vcc_lo, s2
	s_and_saveexec_b32 s3, s2
	s_delay_alu instid0(SALU_CYCLE_1)
	s_xor_b32 s2, exec_lo, s3
; %bb.1074:
	v_cmp_ne_u32_e32 vcc_lo, 0, v221
	v_cndmask_b32_e32 v221, 52, v221, vcc_lo
; %bb.1075:
	s_and_not1_saveexec_b32 s3, s2
	s_cbranch_execz .LBB102_1081
; %bb.1076:
	v_cmp_gt_f64_e32 vcc_lo, 0, v[208:209]
	v_cmp_gt_f64_e64 s2, 0, v[210:211]
	v_xor_b32_e32 v217, 0x80000000, v209
	v_xor_b32_e32 v222, 0x80000000, v211
	s_delay_alu instid0(VALU_DEP_2) | instskip(NEXT) | instid1(VALU_DEP_2)
	v_dual_cndmask_b32 v218, v209, v217 :: v_dual_cndmask_b32 v217, v208, v208
	v_cndmask_b32_e64 v226, v211, v222, s2
	v_cndmask_b32_e64 v225, v210, v210, s2
	s_mov_b32 s2, exec_lo
	s_delay_alu instid0(VALU_DEP_1)
	v_cmpx_ngt_f64_e32 v[217:218], v[225:226]
	s_xor_b32 s2, exec_lo, s2
	s_cbranch_execz .LBB102_1078
; %bb.1077:
	v_div_scale_f64 v[217:218], null, v[210:211], v[210:211], v[208:209]
	v_div_scale_f64 v[229:230], vcc_lo, v[208:209], v[210:211], v[208:209]
	s_delay_alu instid0(VALU_DEP_2) | instskip(SKIP_2) | instid1(VALU_DEP_1)
	v_rcp_f64_e32 v[225:226], v[217:218]
	s_waitcnt_depctr 0xfff
	v_fma_f64 v[227:228], -v[217:218], v[225:226], 1.0
	v_fma_f64 v[225:226], v[225:226], v[227:228], v[225:226]
	s_delay_alu instid0(VALU_DEP_1) | instskip(NEXT) | instid1(VALU_DEP_1)
	v_fma_f64 v[227:228], -v[217:218], v[225:226], 1.0
	v_fma_f64 v[225:226], v[225:226], v[227:228], v[225:226]
	s_delay_alu instid0(VALU_DEP_1) | instskip(NEXT) | instid1(VALU_DEP_1)
	v_mul_f64 v[227:228], v[229:230], v[225:226]
	v_fma_f64 v[217:218], -v[217:218], v[227:228], v[229:230]
	s_delay_alu instid0(VALU_DEP_1) | instskip(NEXT) | instid1(VALU_DEP_1)
	v_div_fmas_f64 v[217:218], v[217:218], v[225:226], v[227:228]
	v_div_fixup_f64 v[217:218], v[217:218], v[210:211], v[208:209]
	s_delay_alu instid0(VALU_DEP_1) | instskip(NEXT) | instid1(VALU_DEP_1)
	v_fma_f64 v[208:209], v[208:209], v[217:218], v[210:211]
	v_div_scale_f64 v[210:211], null, v[208:209], v[208:209], 1.0
	s_delay_alu instid0(VALU_DEP_1) | instskip(SKIP_2) | instid1(VALU_DEP_1)
	v_rcp_f64_e32 v[225:226], v[210:211]
	s_waitcnt_depctr 0xfff
	v_fma_f64 v[227:228], -v[210:211], v[225:226], 1.0
	v_fma_f64 v[225:226], v[225:226], v[227:228], v[225:226]
	s_delay_alu instid0(VALU_DEP_1) | instskip(NEXT) | instid1(VALU_DEP_1)
	v_fma_f64 v[227:228], -v[210:211], v[225:226], 1.0
	v_fma_f64 v[225:226], v[225:226], v[227:228], v[225:226]
	v_div_scale_f64 v[227:228], vcc_lo, 1.0, v[208:209], 1.0
	s_delay_alu instid0(VALU_DEP_1) | instskip(NEXT) | instid1(VALU_DEP_1)
	v_mul_f64 v[229:230], v[227:228], v[225:226]
	v_fma_f64 v[210:211], -v[210:211], v[229:230], v[227:228]
	s_delay_alu instid0(VALU_DEP_1) | instskip(NEXT) | instid1(VALU_DEP_1)
	v_div_fmas_f64 v[210:211], v[210:211], v[225:226], v[229:230]
	v_div_fixup_f64 v[210:211], v[210:211], v[208:209], 1.0
	s_delay_alu instid0(VALU_DEP_1)
	v_mul_f64 v[208:209], v[217:218], v[210:211]
	v_xor_b32_e32 v211, 0x80000000, v211
.LBB102_1078:
	s_and_not1_saveexec_b32 s2, s2
	s_cbranch_execz .LBB102_1080
; %bb.1079:
	s_delay_alu instid0(VALU_DEP_1) | instskip(SKIP_1) | instid1(VALU_DEP_2)
	v_div_scale_f64 v[217:218], null, v[208:209], v[208:209], v[210:211]
	v_div_scale_f64 v[229:230], vcc_lo, v[210:211], v[208:209], v[210:211]
	v_rcp_f64_e32 v[225:226], v[217:218]
	s_waitcnt_depctr 0xfff
	v_fma_f64 v[227:228], -v[217:218], v[225:226], 1.0
	s_delay_alu instid0(VALU_DEP_1) | instskip(NEXT) | instid1(VALU_DEP_1)
	v_fma_f64 v[225:226], v[225:226], v[227:228], v[225:226]
	v_fma_f64 v[227:228], -v[217:218], v[225:226], 1.0
	s_delay_alu instid0(VALU_DEP_1) | instskip(NEXT) | instid1(VALU_DEP_1)
	v_fma_f64 v[225:226], v[225:226], v[227:228], v[225:226]
	v_mul_f64 v[227:228], v[229:230], v[225:226]
	s_delay_alu instid0(VALU_DEP_1) | instskip(NEXT) | instid1(VALU_DEP_1)
	v_fma_f64 v[217:218], -v[217:218], v[227:228], v[229:230]
	v_div_fmas_f64 v[217:218], v[217:218], v[225:226], v[227:228]
	s_delay_alu instid0(VALU_DEP_1) | instskip(NEXT) | instid1(VALU_DEP_1)
	v_div_fixup_f64 v[217:218], v[217:218], v[208:209], v[210:211]
	v_fma_f64 v[208:209], v[210:211], v[217:218], v[208:209]
	s_delay_alu instid0(VALU_DEP_1) | instskip(NEXT) | instid1(VALU_DEP_1)
	v_div_scale_f64 v[210:211], null, v[208:209], v[208:209], 1.0
	v_rcp_f64_e32 v[225:226], v[210:211]
	s_waitcnt_depctr 0xfff
	v_fma_f64 v[227:228], -v[210:211], v[225:226], 1.0
	s_delay_alu instid0(VALU_DEP_1) | instskip(NEXT) | instid1(VALU_DEP_1)
	v_fma_f64 v[225:226], v[225:226], v[227:228], v[225:226]
	v_fma_f64 v[227:228], -v[210:211], v[225:226], 1.0
	s_delay_alu instid0(VALU_DEP_1) | instskip(SKIP_1) | instid1(VALU_DEP_1)
	v_fma_f64 v[225:226], v[225:226], v[227:228], v[225:226]
	v_div_scale_f64 v[227:228], vcc_lo, 1.0, v[208:209], 1.0
	v_mul_f64 v[229:230], v[227:228], v[225:226]
	s_delay_alu instid0(VALU_DEP_1) | instskip(NEXT) | instid1(VALU_DEP_1)
	v_fma_f64 v[210:211], -v[210:211], v[229:230], v[227:228]
	v_div_fmas_f64 v[210:211], v[210:211], v[225:226], v[229:230]
	s_delay_alu instid0(VALU_DEP_1) | instskip(NEXT) | instid1(VALU_DEP_1)
	v_div_fixup_f64 v[208:209], v[210:211], v[208:209], 1.0
	v_mul_f64 v[210:211], v[217:218], -v[208:209]
.LBB102_1080:
	s_or_b32 exec_lo, exec_lo, s2
.LBB102_1081:
	s_delay_alu instid0(SALU_CYCLE_1)
	s_or_b32 exec_lo, exec_lo, s3
	v_mov_b32_e32 v217, 51
	s_mov_b32 s2, exec_lo
	v_cmpx_ne_u32_e64 v224, v216
	s_cbranch_execz .LBB102_1087
; %bb.1082:
	s_mov_b32 s3, exec_lo
	v_cmpx_eq_u32_e32 51, v224
	s_cbranch_execz .LBB102_1086
; %bb.1083:
	v_cmp_ne_u32_e32 vcc_lo, 51, v216
	s_xor_b32 s4, s4, -1
	s_delay_alu instid0(SALU_CYCLE_1) | instskip(NEXT) | instid1(SALU_CYCLE_1)
	s_and_b32 s5, s4, vcc_lo
	s_and_saveexec_b32 s4, s5
	s_cbranch_execz .LBB102_1085
; %bb.1084:
	v_ashrrev_i32_e32 v217, 31, v216
	s_delay_alu instid0(VALU_DEP_1) | instskip(NEXT) | instid1(VALU_DEP_1)
	v_lshlrev_b64 v[217:218], 2, v[216:217]
	v_add_co_u32 v217, vcc_lo, v214, v217
	s_delay_alu instid0(VALU_DEP_2)
	v_add_co_ci_u32_e32 v218, vcc_lo, v215, v218, vcc_lo
	s_clause 0x1
	flat_load_b32 v222, v[217:218]
	flat_load_b32 v223, v[214:215] offset:204
	s_waitcnt vmcnt(1) lgkmcnt(1)
	flat_store_b32 v[214:215], v222 offset:204
	s_waitcnt vmcnt(0) lgkmcnt(1)
	flat_store_b32 v[217:218], v223
.LBB102_1085:
	s_or_b32 exec_lo, exec_lo, s4
	v_mov_b32_e32 v224, v216
	v_mov_b32_e32 v223, v216
.LBB102_1086:
	s_or_b32 exec_lo, exec_lo, s3
	s_delay_alu instid0(VALU_DEP_2)
	v_mov_b32_e32 v217, v224
.LBB102_1087:
	s_or_b32 exec_lo, exec_lo, s2
	s_delay_alu instid0(SALU_CYCLE_1)
	s_mov_b32 s2, exec_lo
	s_waitcnt lgkmcnt(0)
	s_waitcnt_vscnt null, 0x0
	s_barrier
	buffer_gl0_inv
	v_cmpx_lt_i32_e32 51, v217
; %bb.1088:
	v_mul_f64 v[214:215], v[210:211], v[2:3]
	v_mul_f64 v[2:3], v[208:209], v[2:3]
	s_delay_alu instid0(VALU_DEP_2) | instskip(NEXT) | instid1(VALU_DEP_2)
	v_fma_f64 v[208:209], v[208:209], v[0:1], -v[214:215]
	v_fma_f64 v[2:3], v[210:211], v[0:1], v[2:3]
	s_delay_alu instid0(VALU_DEP_2)
	v_dual_mov_b32 v0, v208 :: v_dual_mov_b32 v1, v209
; %bb.1089:
	s_or_b32 exec_lo, exec_lo, s2
	s_load_b256 s[0:7], s[0:1], 0x28
	v_ashrrev_i32_e32 v218, 31, v217
	s_mov_b32 s9, exec_lo
	s_waitcnt lgkmcnt(0)
	s_barrier
	buffer_gl0_inv
	v_cmpx_gt_i32_e32 52, v217
	s_cbranch_execz .LBB102_1091
; %bb.1090:
	v_mul_lo_u32 v210, v213, s4
	v_mul_lo_u32 v211, v212, s5
	v_mad_u64_u32 v[208:209], null, v212, s4, 0
	s_lshl_b64 s[2:3], s[2:3], 2
	s_delay_alu instid0(SALU_CYCLE_1) | instskip(SKIP_1) | instid1(VALU_DEP_1)
	s_add_u32 s0, s2, s0
	s_addc_u32 s1, s3, s1
	v_add3_u32 v209, v209, v211, v210
	v_lshlrev_b64 v[210:211], 2, v[217:218]
	s_delay_alu instid0(VALU_DEP_2) | instskip(NEXT) | instid1(VALU_DEP_1)
	v_lshlrev_b64 v[208:209], 2, v[208:209]
	v_add_co_u32 v208, vcc_lo, s0, v208
	s_delay_alu instid0(VALU_DEP_2) | instskip(NEXT) | instid1(VALU_DEP_2)
	v_add_co_ci_u32_e32 v209, vcc_lo, s1, v209, vcc_lo
	v_add_co_u32 v208, vcc_lo, v208, v210
	s_delay_alu instid0(VALU_DEP_2)
	v_add_co_ci_u32_e32 v209, vcc_lo, v209, v211, vcc_lo
	v_add3_u32 v210, v223, s13, 1
	global_store_b32 v[208:209], v210, off
.LBB102_1091:
	s_or_b32 exec_lo, exec_lo, s9
	s_delay_alu instid0(SALU_CYCLE_1)
	s_mov_b32 s1, exec_lo
	v_cmpx_eq_u32_e32 0, v217
	s_cbranch_execz .LBB102_1094
; %bb.1092:
	v_lshlrev_b64 v[208:209], 2, v[212:213]
	v_cmp_lt_i32_e64 s0, 0, v221
	s_delay_alu instid0(VALU_DEP_2) | instskip(NEXT) | instid1(VALU_DEP_3)
	v_add_co_u32 v208, vcc_lo, s6, v208
	v_add_co_ci_u32_e32 v209, vcc_lo, s7, v209, vcc_lo
	global_load_b32 v210, v[208:209], off
	s_waitcnt vmcnt(0)
	v_cmp_eq_u32_e32 vcc_lo, 0, v210
	s_and_b32 s0, vcc_lo, s0
	s_delay_alu instid0(SALU_CYCLE_1)
	s_and_b32 exec_lo, exec_lo, s0
	s_cbranch_execz .LBB102_1094
; %bb.1093:
	v_add_nc_u32_e32 v210, s13, v221
	global_store_b32 v[208:209], v210, off
.LBB102_1094:
	s_or_b32 exec_lo, exec_lo, s1
	v_add3_u32 v208, s8, s8, v217
	v_lshlrev_b64 v[210:211], 4, v[217:218]
	s_delay_alu instid0(VALU_DEP_2) | instskip(SKIP_1) | instid1(VALU_DEP_3)
	v_add_nc_u32_e32 v212, s8, v208
	v_ashrrev_i32_e32 v209, 31, v208
	v_add_co_u32 v210, vcc_lo, v219, v210
	s_delay_alu instid0(VALU_DEP_4) | instskip(NEXT) | instid1(VALU_DEP_4)
	v_add_co_ci_u32_e32 v211, vcc_lo, v220, v211, vcc_lo
	v_add_nc_u32_e32 v216, s8, v212
	s_delay_alu instid0(VALU_DEP_3) | instskip(SKIP_1) | instid1(VALU_DEP_4)
	v_add_co_u32 v214, vcc_lo, v210, s10
	v_ashrrev_i32_e32 v213, 31, v212
	v_add_co_ci_u32_e32 v215, vcc_lo, s11, v211, vcc_lo
	v_lshlrev_b64 v[208:209], 4, v[208:209]
	v_ashrrev_i32_e32 v217, 31, v216
	s_clause 0x1
	global_store_b128 v[210:211], v[200:203], off
	global_store_b128 v[214:215], v[204:207], off
	v_lshlrev_b64 v[200:201], 4, v[212:213]
	v_add_nc_u32_e32 v206, s8, v216
	v_add_co_u32 v202, vcc_lo, v219, v208
	v_lshlrev_b64 v[204:205], 4, v[216:217]
	v_add_co_ci_u32_e32 v203, vcc_lo, v220, v209, vcc_lo
	v_add_co_u32 v200, vcc_lo, v219, v200
	v_add_co_ci_u32_e32 v201, vcc_lo, v220, v201, vcc_lo
	s_delay_alu instid0(VALU_DEP_4)
	v_add_co_u32 v204, vcc_lo, v219, v204
	v_add_nc_u32_e32 v208, s8, v206
	v_add_co_ci_u32_e32 v205, vcc_lo, v220, v205, vcc_lo
	v_ashrrev_i32_e32 v207, 31, v206
	global_store_b128 v[202:203], v[196:199], off
	v_ashrrev_i32_e32 v209, 31, v208
	s_clause 0x1
	global_store_b128 v[200:201], v[192:195], off
	global_store_b128 v[204:205], v[188:191], off
	v_add_nc_u32_e32 v190, s8, v208
	v_lshlrev_b64 v[196:197], 4, v[206:207]
	v_lshlrev_b64 v[188:189], 4, v[208:209]
	s_delay_alu instid0(VALU_DEP_3) | instskip(SKIP_1) | instid1(VALU_DEP_4)
	v_add_nc_u32_e32 v194, s8, v190
	v_ashrrev_i32_e32 v191, 31, v190
	v_add_co_u32 v192, vcc_lo, v219, v196
	v_add_co_ci_u32_e32 v193, vcc_lo, v220, v197, vcc_lo
	s_delay_alu instid0(VALU_DEP_4)
	v_add_nc_u32_e32 v196, s8, v194
	v_add_co_u32 v188, vcc_lo, v219, v188
	v_ashrrev_i32_e32 v195, 31, v194
	v_add_co_ci_u32_e32 v189, vcc_lo, v220, v189, vcc_lo
	v_lshlrev_b64 v[190:191], 4, v[190:191]
	v_ashrrev_i32_e32 v197, 31, v196
	s_clause 0x1
	global_store_b128 v[192:193], v[184:187], off
	global_store_b128 v[188:189], v[180:183], off
	v_lshlrev_b64 v[180:181], 4, v[194:195]
	v_add_nc_u32_e32 v186, s8, v196
	v_add_co_u32 v182, vcc_lo, v219, v190
	v_lshlrev_b64 v[184:185], 4, v[196:197]
	v_add_co_ci_u32_e32 v183, vcc_lo, v220, v191, vcc_lo
	v_add_co_u32 v180, vcc_lo, v219, v180
	v_add_co_ci_u32_e32 v181, vcc_lo, v220, v181, vcc_lo
	s_delay_alu instid0(VALU_DEP_4)
	v_add_co_u32 v184, vcc_lo, v219, v184
	v_add_nc_u32_e32 v188, s8, v186
	v_add_co_ci_u32_e32 v185, vcc_lo, v220, v185, vcc_lo
	v_ashrrev_i32_e32 v187, 31, v186
	global_store_b128 v[182:183], v[176:179], off
	v_ashrrev_i32_e32 v189, 31, v188
	s_clause 0x1
	global_store_b128 v[180:181], v[172:175], off
	global_store_b128 v[184:185], v[168:171], off
	v_add_nc_u32_e32 v170, s8, v188
	v_lshlrev_b64 v[176:177], 4, v[186:187]
	v_lshlrev_b64 v[168:169], 4, v[188:189]
	s_delay_alu instid0(VALU_DEP_3) | instskip(SKIP_1) | instid1(VALU_DEP_4)
	v_add_nc_u32_e32 v174, s8, v170
	v_ashrrev_i32_e32 v171, 31, v170
	v_add_co_u32 v172, vcc_lo, v219, v176
	v_add_co_ci_u32_e32 v173, vcc_lo, v220, v177, vcc_lo
	s_delay_alu instid0(VALU_DEP_4)
	v_add_nc_u32_e32 v176, s8, v174
	;; [unrolled: 35-line block ×8, first 2 shown]
	v_add_co_u32 v48, vcc_lo, v219, v48
	v_ashrrev_i32_e32 v55, 31, v54
	v_add_co_ci_u32_e32 v49, vcc_lo, v220, v49, vcc_lo
	v_lshlrev_b64 v[50:51], 4, v[50:51]
	v_ashrrev_i32_e32 v57, 31, v56
	s_clause 0x1
	global_store_b128 v[52:53], v[44:47], off
	global_store_b128 v[48:49], v[40:43], off
	v_lshlrev_b64 v[40:41], 4, v[54:55]
	v_add_nc_u32_e32 v46, s8, v56
	v_add_co_u32 v42, vcc_lo, v219, v50
	v_lshlrev_b64 v[44:45], 4, v[56:57]
	v_add_co_ci_u32_e32 v43, vcc_lo, v220, v51, vcc_lo
	v_add_co_u32 v40, vcc_lo, v219, v40
	v_add_nc_u32_e32 v48, s8, v46
	v_add_co_ci_u32_e32 v41, vcc_lo, v220, v41, vcc_lo
	v_ashrrev_i32_e32 v47, 31, v46
	v_add_co_u32 v44, vcc_lo, v219, v44
	v_add_co_ci_u32_e32 v45, vcc_lo, v220, v45, vcc_lo
	v_ashrrev_i32_e32 v49, 31, v48
	global_store_b128 v[42:43], v[36:39], off
	v_lshlrev_b64 v[36:37], 4, v[46:47]
	s_clause 0x1
	global_store_b128 v[40:41], v[32:35], off
	global_store_b128 v[44:45], v[28:31], off
	v_add_nc_u32_e32 v30, s8, v48
	v_lshlrev_b64 v[28:29], 4, v[48:49]
	v_add_co_u32 v32, vcc_lo, v219, v36
	s_delay_alu instid0(VALU_DEP_3) | instskip(SKIP_1) | instid1(VALU_DEP_4)
	v_add_nc_u32_e32 v34, s8, v30
	v_add_co_ci_u32_e32 v33, vcc_lo, v220, v37, vcc_lo
	v_add_co_u32 v28, vcc_lo, v219, v28
	v_add_co_ci_u32_e32 v29, vcc_lo, v220, v29, vcc_lo
	s_delay_alu instid0(VALU_DEP_4)
	v_add_nc_u32_e32 v36, s8, v34
	v_ashrrev_i32_e32 v31, 31, v30
	s_clause 0x1
	global_store_b128 v[32:33], v[24:27], off
	global_store_b128 v[28:29], v[20:23], off
	v_ashrrev_i32_e32 v35, 31, v34
	v_add_nc_u32_e32 v22, s8, v36
	v_lshlrev_b64 v[24:25], 4, v[30:31]
	v_ashrrev_i32_e32 v37, 31, v36
	s_delay_alu instid0(VALU_DEP_4) | instskip(NEXT) | instid1(VALU_DEP_4)
	v_lshlrev_b64 v[20:21], 4, v[34:35]
	v_add_nc_u32_e32 v28, s8, v22
	v_ashrrev_i32_e32 v23, 31, v22
	v_add_co_u32 v24, vcc_lo, v219, v24
	v_lshlrev_b64 v[26:27], 4, v[36:37]
	s_delay_alu instid0(VALU_DEP_4)
	v_ashrrev_i32_e32 v29, 31, v28
	v_add_co_ci_u32_e32 v25, vcc_lo, v220, v25, vcc_lo
	v_add_co_u32 v20, vcc_lo, v219, v20
	v_lshlrev_b64 v[22:23], 4, v[22:23]
	v_add_co_ci_u32_e32 v21, vcc_lo, v220, v21, vcc_lo
	v_add_co_u32 v26, vcc_lo, v219, v26
	v_lshlrev_b64 v[28:29], 4, v[28:29]
	v_add_co_ci_u32_e32 v27, vcc_lo, v220, v27, vcc_lo
	v_add_co_u32 v22, vcc_lo, v219, v22
	v_add_co_ci_u32_e32 v23, vcc_lo, v220, v23, vcc_lo
	s_delay_alu instid0(VALU_DEP_4)
	v_add_co_u32 v28, vcc_lo, v219, v28
	v_add_co_ci_u32_e32 v29, vcc_lo, v220, v29, vcc_lo
	s_clause 0x4
	global_store_b128 v[24:25], v[16:19], off
	global_store_b128 v[20:21], v[12:15], off
	;; [unrolled: 1-line block ×5, first 2 shown]
.LBB102_1095:
	s_nop 0
	s_sendmsg sendmsg(MSG_DEALLOC_VGPRS)
	s_endpgm
	.section	.rodata,"a",@progbits
	.p2align	6, 0x0
	.amdhsa_kernel _ZN9rocsolver6v33100L18getf2_small_kernelILi52E19rocblas_complex_numIdEiiPKPS3_EEvT1_T3_lS7_lPS7_llPT2_S7_S7_S9_l
		.amdhsa_group_segment_fixed_size 0
		.amdhsa_private_segment_fixed_size 0
		.amdhsa_kernarg_size 352
		.amdhsa_user_sgpr_count 14
		.amdhsa_user_sgpr_dispatch_ptr 0
		.amdhsa_user_sgpr_queue_ptr 0
		.amdhsa_user_sgpr_kernarg_segment_ptr 1
		.amdhsa_user_sgpr_dispatch_id 0
		.amdhsa_user_sgpr_private_segment_size 0
		.amdhsa_wavefront_size32 1
		.amdhsa_uses_dynamic_stack 0
		.amdhsa_enable_private_segment 0
		.amdhsa_system_sgpr_workgroup_id_x 1
		.amdhsa_system_sgpr_workgroup_id_y 1
		.amdhsa_system_sgpr_workgroup_id_z 0
		.amdhsa_system_sgpr_workgroup_info 0
		.amdhsa_system_vgpr_workitem_id 1
		.amdhsa_next_free_vgpr 252
		.amdhsa_next_free_sgpr 18
		.amdhsa_reserve_vcc 1
		.amdhsa_float_round_mode_32 0
		.amdhsa_float_round_mode_16_64 0
		.amdhsa_float_denorm_mode_32 3
		.amdhsa_float_denorm_mode_16_64 3
		.amdhsa_dx10_clamp 1
		.amdhsa_ieee_mode 1
		.amdhsa_fp16_overflow 0
		.amdhsa_workgroup_processor_mode 1
		.amdhsa_memory_ordered 1
		.amdhsa_forward_progress 0
		.amdhsa_shared_vgpr_count 0
		.amdhsa_exception_fp_ieee_invalid_op 0
		.amdhsa_exception_fp_denorm_src 0
		.amdhsa_exception_fp_ieee_div_zero 0
		.amdhsa_exception_fp_ieee_overflow 0
		.amdhsa_exception_fp_ieee_underflow 0
		.amdhsa_exception_fp_ieee_inexact 0
		.amdhsa_exception_int_div_zero 0
	.end_amdhsa_kernel
	.section	.text._ZN9rocsolver6v33100L18getf2_small_kernelILi52E19rocblas_complex_numIdEiiPKPS3_EEvT1_T3_lS7_lPS7_llPT2_S7_S7_S9_l,"axG",@progbits,_ZN9rocsolver6v33100L18getf2_small_kernelILi52E19rocblas_complex_numIdEiiPKPS3_EEvT1_T3_lS7_lPS7_llPT2_S7_S7_S9_l,comdat
.Lfunc_end102:
	.size	_ZN9rocsolver6v33100L18getf2_small_kernelILi52E19rocblas_complex_numIdEiiPKPS3_EEvT1_T3_lS7_lPS7_llPT2_S7_S7_S9_l, .Lfunc_end102-_ZN9rocsolver6v33100L18getf2_small_kernelILi52E19rocblas_complex_numIdEiiPKPS3_EEvT1_T3_lS7_lPS7_llPT2_S7_S7_S9_l
                                        ; -- End function
	.section	.AMDGPU.csdata,"",@progbits
; Kernel info:
; codeLenInByte = 165448
; NumSgprs: 20
; NumVgprs: 252
; ScratchSize: 0
; MemoryBound: 0
; FloatMode: 240
; IeeeMode: 1
; LDSByteSize: 0 bytes/workgroup (compile time only)
; SGPRBlocks: 2
; VGPRBlocks: 31
; NumSGPRsForWavesPerEU: 20
; NumVGPRsForWavesPerEU: 252
; Occupancy: 5
; WaveLimiterHint : 1
; COMPUTE_PGM_RSRC2:SCRATCH_EN: 0
; COMPUTE_PGM_RSRC2:USER_SGPR: 14
; COMPUTE_PGM_RSRC2:TRAP_HANDLER: 0
; COMPUTE_PGM_RSRC2:TGID_X_EN: 1
; COMPUTE_PGM_RSRC2:TGID_Y_EN: 1
; COMPUTE_PGM_RSRC2:TGID_Z_EN: 0
; COMPUTE_PGM_RSRC2:TIDIG_COMP_CNT: 1
	.section	.text._ZN9rocsolver6v33100L23getf2_npvt_small_kernelILi52E19rocblas_complex_numIdEiiPKPS3_EEvT1_T3_lS7_lPT2_S7_S7_,"axG",@progbits,_ZN9rocsolver6v33100L23getf2_npvt_small_kernelILi52E19rocblas_complex_numIdEiiPKPS3_EEvT1_T3_lS7_lPT2_S7_S7_,comdat
	.globl	_ZN9rocsolver6v33100L23getf2_npvt_small_kernelILi52E19rocblas_complex_numIdEiiPKPS3_EEvT1_T3_lS7_lPT2_S7_S7_ ; -- Begin function _ZN9rocsolver6v33100L23getf2_npvt_small_kernelILi52E19rocblas_complex_numIdEiiPKPS3_EEvT1_T3_lS7_lPT2_S7_S7_
	.p2align	8
	.type	_ZN9rocsolver6v33100L23getf2_npvt_small_kernelILi52E19rocblas_complex_numIdEiiPKPS3_EEvT1_T3_lS7_lPT2_S7_S7_,@function
_ZN9rocsolver6v33100L23getf2_npvt_small_kernelILi52E19rocblas_complex_numIdEiiPKPS3_EEvT1_T3_lS7_lPT2_S7_S7_: ; @_ZN9rocsolver6v33100L23getf2_npvt_small_kernelILi52E19rocblas_complex_numIdEiiPKPS3_EEvT1_T3_lS7_lPT2_S7_S7_
; %bb.0:
	s_clause 0x1
	s_load_b32 s2, s[0:1], 0x44
	s_load_b64 s[12:13], s[0:1], 0x30
	v_bfe_u32 v1, v0, 10, 10
	s_waitcnt lgkmcnt(0)
	s_lshr_b32 s8, s2, 16
	s_mov_b32 s2, exec_lo
	s_delay_alu instid0(VALU_DEP_1) | instskip(NEXT) | instid1(VALU_DEP_1)
	v_mad_u64_u32 v[230:231], null, s15, s8, v[1:2]
	v_cmpx_gt_i32_e64 s12, v230
	s_cbranch_execnz .LBB103_1
; %bb.474:
	s_getpc_b64 s[16:17]
.Lpost_getpc11:
	s_add_u32 s16, s16, (.LBB103_473-.Lpost_getpc11)&4294967295
	s_addc_u32 s17, s17, (.LBB103_473-.Lpost_getpc11)>>32
	s_setpc_b64 s[16:17]
.LBB103_1:
	s_clause 0x1
	s_load_b128 s[4:7], s[0:1], 0x8
	s_load_b32 s2, s[0:1], 0x18
	v_ashrrev_i32_e32 v231, 31, v230
	v_and_b32_e32 v226, 0x3ff, v0
	s_mulk_i32 s8, 0x340
	v_mad_u32_u24 v228, 0x340, v1, 0
	s_delay_alu instid0(VALU_DEP_3) | instskip(SKIP_1) | instid1(VALU_DEP_1)
	v_lshlrev_b64 v[2:3], 3, v[230:231]
	s_waitcnt lgkmcnt(0)
	v_add_co_u32 v2, vcc_lo, s4, v2
	s_delay_alu instid0(VALU_DEP_2)
	v_add_co_ci_u32_e32 v3, vcc_lo, s5, v3, vcc_lo
	v_add3_u32 v4, s2, s2, v226
	s_lshl_b64 s[4:5], s[6:7], 4
	s_ashr_i32 s3, s2, 31
	global_load_b64 v[2:3], v[2:3], off
	v_add_nc_u32_e32 v8, s2, v4
	v_ashrrev_i32_e32 v5, 31, v4
	s_delay_alu instid0(VALU_DEP_2) | instskip(SKIP_1) | instid1(VALU_DEP_3)
	v_add_nc_u32_e32 v13, s2, v8
	v_ashrrev_i32_e32 v9, 31, v8
	v_lshlrev_b64 v[6:7], 4, v[4:5]
	s_delay_alu instid0(VALU_DEP_3) | instskip(SKIP_1) | instid1(VALU_DEP_4)
	v_add_nc_u32_e32 v10, s2, v13
	v_ashrrev_i32_e32 v14, 31, v13
	v_lshlrev_b64 v[8:9], 4, v[8:9]
	s_delay_alu instid0(VALU_DEP_3) | instskip(SKIP_1) | instid1(VALU_DEP_4)
	;; [unrolled: 4-line block ×9, first 2 shown]
	v_add_nc_u32_e32 v26, s2, v29
	v_ashrrev_i32_e32 v30, 31, v29
	v_lshlrev_b64 v[24:25], 4, v[24:25]
	s_delay_alu instid0(VALU_DEP_3) | instskip(NEXT) | instid1(VALU_DEP_3)
	v_add_nc_u32_e32 v28, s2, v26
	v_lshlrev_b64 v[20:21], 4, v[29:30]
	v_ashrrev_i32_e32 v27, 31, v26
	s_delay_alu instid0(VALU_DEP_3) | instskip(SKIP_1) | instid1(VALU_DEP_3)
	v_add_nc_u32_e32 v32, s2, v28
	v_ashrrev_i32_e32 v29, 31, v28
	v_lshlrev_b64 v[26:27], 4, v[26:27]
	s_delay_alu instid0(VALU_DEP_3) | instskip(NEXT) | instid1(VALU_DEP_3)
	v_add_nc_u32_e32 v39, s2, v32
	v_lshlrev_b64 v[30:31], 4, v[28:29]
	v_ashrrev_i32_e32 v33, 31, v32
	s_delay_alu instid0(VALU_DEP_3) | instskip(SKIP_1) | instid1(VALU_DEP_3)
	;; [unrolled: 8-line block ×3, first 2 shown]
	v_add_nc_u32_e32 v36, s2, v38
	v_ashrrev_i32_e32 v39, 31, v38
	v_lshlrev_b64 v[34:35], 4, v[34:35]
	s_delay_alu instid0(VALU_DEP_3) | instskip(SKIP_1) | instid1(VALU_DEP_4)
	v_add_nc_u32_e32 v47, s2, v36
	v_ashrrev_i32_e32 v37, 31, v36
	v_lshlrev_b64 v[38:39], 4, v[38:39]
	s_delay_alu instid0(VALU_DEP_3) | instskip(SKIP_1) | instid1(VALU_DEP_4)
	v_add_nc_u32_e32 v42, s2, v47
	v_ashrrev_i32_e32 v48, 31, v47
	v_lshlrev_b64 v[40:41], 4, v[36:37]
	s_delay_alu instid0(VALU_DEP_3) | instskip(NEXT) | instid1(VALU_DEP_3)
	v_add_nc_u32_e32 v46, s2, v42
	v_lshlrev_b64 v[36:37], 4, v[47:48]
	v_ashrrev_i32_e32 v43, 31, v42
	s_delay_alu instid0(VALU_DEP_3) | instskip(SKIP_1) | instid1(VALU_DEP_3)
	v_add_nc_u32_e32 v44, s2, v46
	v_ashrrev_i32_e32 v47, 31, v46
	v_lshlrev_b64 v[42:43], 4, v[42:43]
	s_delay_alu instid0(VALU_DEP_3) | instskip(SKIP_1) | instid1(VALU_DEP_4)
	v_add_nc_u32_e32 v50, s2, v44
	v_ashrrev_i32_e32 v45, 31, v44
	v_lshlrev_b64 v[46:47], 4, v[46:47]
	s_delay_alu instid0(VALU_DEP_3) | instskip(SKIP_1) | instid1(VALU_DEP_4)
	;; [unrolled: 4-line block ×3, first 2 shown]
	v_add_nc_u32_e32 v54, s2, v52
	v_ashrrev_i32_e32 v53, 31, v52
	v_lshlrev_b64 v[44:45], 4, v[50:51]
	s_delay_alu instid0(VALU_DEP_3) | instskip(NEXT) | instid1(VALU_DEP_3)
	v_add_nc_u32_e32 v56, s2, v54
	v_lshlrev_b64 v[50:51], 4, v[52:53]
	v_ashrrev_i32_e32 v55, 31, v54
	s_delay_alu instid0(VALU_DEP_3) | instskip(SKIP_1) | instid1(VALU_DEP_3)
	v_add_nc_u32_e32 v58, s2, v56
	v_ashrrev_i32_e32 v57, 31, v56
	v_lshlrev_b64 v[54:55], 4, v[54:55]
	s_delay_alu instid0(VALU_DEP_3) | instskip(SKIP_1) | instid1(VALU_DEP_4)
	v_add_nc_u32_e32 v60, s2, v58
	v_ashrrev_i32_e32 v59, 31, v58
	v_lshlrev_b64 v[56:57], 4, v[56:57]
	s_delay_alu instid0(VALU_DEP_3) | instskip(SKIP_1) | instid1(VALU_DEP_4)
	v_add_nc_u32_e32 v62, s2, v60
	v_ashrrev_i32_e32 v61, 31, v60
	v_lshlrev_b64 v[52:53], 4, v[58:59]
	s_delay_alu instid0(VALU_DEP_3) | instskip(NEXT) | instid1(VALU_DEP_3)
	v_add_nc_u32_e32 v64, s2, v62
	v_lshlrev_b64 v[58:59], 4, v[60:61]
	v_ashrrev_i32_e32 v63, 31, v62
	s_delay_alu instid0(VALU_DEP_3) | instskip(SKIP_1) | instid1(VALU_DEP_3)
	v_add_nc_u32_e32 v66, s2, v64
	v_ashrrev_i32_e32 v65, 31, v64
	v_lshlrev_b64 v[62:63], 4, v[62:63]
	s_delay_alu instid0(VALU_DEP_3) | instskip(SKIP_1) | instid1(VALU_DEP_4)
	v_add_nc_u32_e32 v68, s2, v66
	v_ashrrev_i32_e32 v67, 31, v66
	v_lshlrev_b64 v[64:65], 4, v[64:65]
	s_delay_alu instid0(VALU_DEP_3) | instskip(NEXT) | instid1(VALU_DEP_3)
	v_add_nc_u32_e32 v70, s2, v68
	v_lshlrev_b64 v[60:61], 4, v[66:67]
	v_ashrrev_i32_e32 v69, 31, v68
	s_delay_alu instid0(VALU_DEP_3) | instskip(SKIP_1) | instid1(VALU_DEP_3)
	v_add_nc_u32_e32 v72, s2, v70
	v_ashrrev_i32_e32 v71, 31, v70
	v_lshlrev_b64 v[68:69], 4, v[68:69]
	s_delay_alu instid0(VALU_DEP_3) | instskip(SKIP_1) | instid1(VALU_DEP_4)
	v_add_nc_u32_e32 v74, s2, v72
	v_ashrrev_i32_e32 v73, 31, v72
	v_lshlrev_b64 v[70:71], 4, v[70:71]
	s_delay_alu instid0(VALU_DEP_3) | instskip(SKIP_1) | instid1(VALU_DEP_4)
	v_add_nc_u32_e32 v76, s2, v74
	v_ashrrev_i32_e32 v75, 31, v74
	v_lshlrev_b64 v[72:73], 4, v[72:73]
	s_delay_alu instid0(VALU_DEP_3) | instskip(SKIP_1) | instid1(VALU_DEP_4)
	v_add_nc_u32_e32 v78, s2, v76
	v_ashrrev_i32_e32 v77, 31, v76
	v_lshlrev_b64 v[74:75], 4, v[74:75]
	s_delay_alu instid0(VALU_DEP_3) | instskip(SKIP_1) | instid1(VALU_DEP_4)
	v_add_nc_u32_e32 v80, s2, v78
	v_ashrrev_i32_e32 v79, 31, v78
	v_lshlrev_b64 v[76:77], 4, v[76:77]
	s_delay_alu instid0(VALU_DEP_3) | instskip(SKIP_1) | instid1(VALU_DEP_4)
	v_add_nc_u32_e32 v82, s2, v80
	v_ashrrev_i32_e32 v81, 31, v80
	v_lshlrev_b64 v[78:79], 4, v[78:79]
	s_delay_alu instid0(VALU_DEP_3) | instskip(SKIP_1) | instid1(VALU_DEP_4)
	v_add_nc_u32_e32 v84, s2, v82
	v_ashrrev_i32_e32 v83, 31, v82
	v_lshlrev_b64 v[80:81], 4, v[80:81]
	s_delay_alu instid0(VALU_DEP_3) | instskip(SKIP_1) | instid1(VALU_DEP_4)
	v_add_nc_u32_e32 v86, s2, v84
	v_ashrrev_i32_e32 v85, 31, v84
	v_lshlrev_b64 v[82:83], 4, v[82:83]
	s_delay_alu instid0(VALU_DEP_3) | instskip(SKIP_1) | instid1(VALU_DEP_4)
	v_add_nc_u32_e32 v66, s2, v86
	v_ashrrev_i32_e32 v87, 31, v86
	v_lshlrev_b64 v[84:85], 4, v[84:85]
	s_delay_alu instid0(VALU_DEP_3) | instskip(SKIP_1) | instid1(VALU_DEP_4)
	v_add_nc_u32_e32 v88, s2, v66
	v_ashrrev_i32_e32 v67, 31, v66
	v_lshlrev_b64 v[86:87], 4, v[86:87]
	s_delay_alu instid0(VALU_DEP_3) | instskip(SKIP_1) | instid1(VALU_DEP_4)
	v_add_nc_u32_e32 v90, s2, v88
	v_ashrrev_i32_e32 v89, 31, v88
	v_lshlrev_b64 v[66:67], 4, v[66:67]
	s_delay_alu instid0(VALU_DEP_3) | instskip(SKIP_1) | instid1(VALU_DEP_4)
	v_add_nc_u32_e32 v92, s2, v90
	v_ashrrev_i32_e32 v91, 31, v90
	v_lshlrev_b64 v[88:89], 4, v[88:89]
	s_delay_alu instid0(VALU_DEP_3) | instskip(SKIP_1) | instid1(VALU_DEP_4)
	v_add_nc_u32_e32 v94, s2, v92
	v_ashrrev_i32_e32 v93, 31, v92
	v_lshlrev_b64 v[90:91], 4, v[90:91]
	s_delay_alu instid0(VALU_DEP_3) | instskip(SKIP_1) | instid1(VALU_DEP_4)
	v_add_nc_u32_e32 v96, s2, v94
	v_ashrrev_i32_e32 v95, 31, v94
	v_lshlrev_b64 v[92:93], 4, v[92:93]
	s_delay_alu instid0(VALU_DEP_3) | instskip(SKIP_1) | instid1(VALU_DEP_4)
	v_add_nc_u32_e32 v98, s2, v96
	v_ashrrev_i32_e32 v97, 31, v96
	v_lshlrev_b64 v[94:95], 4, v[94:95]
	s_delay_alu instid0(VALU_DEP_3) | instskip(SKIP_1) | instid1(VALU_DEP_4)
	v_add_nc_u32_e32 v100, s2, v98
	v_ashrrev_i32_e32 v99, 31, v98
	v_lshlrev_b64 v[96:97], 4, v[96:97]
	s_delay_alu instid0(VALU_DEP_3) | instskip(SKIP_1) | instid1(VALU_DEP_4)
	v_ashrrev_i32_e32 v101, 31, v100
	v_add_nc_u32_e32 v102, s2, v100
	v_lshlrev_b64 v[98:99], 4, v[98:99]
	s_lshl_b64 s[2:3], s[2:3], 4
	s_delay_alu instid0(VALU_DEP_2) | instskip(SKIP_4) | instid1(VALU_DEP_3)
	v_ashrrev_i32_e32 v103, 31, v102
	s_waitcnt vmcnt(0)
	v_add_co_u32 v0, vcc_lo, v2, s4
	v_add_co_ci_u32_e32 v104, vcc_lo, s5, v3, vcc_lo
	v_lshlrev_b64 v[2:3], 4, v[100:101]
	v_add_co_u32 v149, vcc_lo, v0, v6
	s_delay_alu instid0(VALU_DEP_3)
	v_add_co_ci_u32_e32 v150, vcc_lo, v104, v7, vcc_lo
	v_add_co_u32 v147, vcc_lo, v0, v8
	v_add_co_ci_u32_e32 v148, vcc_lo, v104, v9, vcc_lo
	v_add_co_u32 v145, vcc_lo, v0, v4
	;; [unrolled: 2-line block ×47, first 2 shown]
	v_lshlrev_b64 v[4:5], 4, v[102:103]
	v_add_co_ci_u32_e32 v7, vcc_lo, v104, v99, vcc_lo
	v_add_co_u32 v200, vcc_lo, v0, v2
	v_lshlrev_b32_e32 v2, 4, v226
	v_add_co_ci_u32_e32 v201, vcc_lo, v104, v3, vcc_lo
	v_add_co_u32 v202, vcc_lo, v0, v4
	v_add_co_ci_u32_e32 v203, vcc_lo, v104, v5, vcc_lo
	s_delay_alu instid0(VALU_DEP_4) | instskip(SKIP_2) | instid1(VALU_DEP_3)
	v_add_co_u32 v2, vcc_lo, v0, v2
	v_add_co_ci_u32_e32 v3, vcc_lo, 0, v104, vcc_lo
	v_lshlrev_b32_e32 v0, 4, v1
	v_add_co_u32 v4, vcc_lo, v2, s2
	s_delay_alu instid0(VALU_DEP_3) | instskip(NEXT) | instid1(VALU_DEP_3)
	v_add_co_ci_u32_e32 v5, vcc_lo, s3, v3, vcc_lo
	v_add3_u32 v227, 0, s8, v0
	scratch_store_b64 off, v[2:3], off offset:424 ; 8-byte Folded Spill
	global_load_b128 v[0:3], v[2:3], off
	v_cmp_ne_u32_e64 s3, 0, v226
	v_cmp_eq_u32_e64 s2, 0, v226
	s_waitcnt vmcnt(0)
	s_clause 0x1
	scratch_store_b128 off, v[0:3], off offset:16
	scratch_store_b64 off, v[4:5], off offset:432
	global_load_b128 v[0:3], v[4:5], off
	s_waitcnt vmcnt(0)
	s_clause 0x1f
	scratch_store_b128 off, v[0:3], off
	scratch_store_b64 off, v[149:150], off offset:416
	scratch_store_b64 off, v[147:148], off offset:408
	;; [unrolled: 1-line block ×31, first 2 shown]
	s_clause 0x10
	scratch_store_b64 off, v[38:39], off offset:168
	scratch_store_b64 off, v[36:37], off offset:160
	;; [unrolled: 1-line block ×17, first 2 shown]
	s_clause 0x1f
	global_load_b128 v[196:199], v[149:150], off
	global_load_b128 v[192:195], v[147:148], off
	global_load_b128 v[188:191], v[145:146], off
	global_load_b128 v[184:187], v[143:144], off
	global_load_b128 v[180:183], v[141:142], off
	global_load_b128 v[176:179], v[139:140], off
	global_load_b128 v[172:175], v[137:138], off
	global_load_b128 v[168:171], v[135:136], off
	global_load_b128 v[164:167], v[133:134], off
	global_load_b128 v[160:163], v[131:132], off
	global_load_b128 v[156:159], v[129:130], off
	global_load_b128 v[152:155], v[127:128], off
	global_load_b128 v[148:151], v[125:126], off
	global_load_b128 v[144:147], v[123:124], off
	global_load_b128 v[140:143], v[121:122], off
	global_load_b128 v[136:139], v[119:120], off
	global_load_b128 v[132:135], v[117:118], off
	global_load_b128 v[128:131], v[115:116], off
	global_load_b128 v[124:127], v[113:114], off
	global_load_b128 v[120:123], v[111:112], off
	global_load_b128 v[116:119], v[109:110], off
	global_load_b128 v[112:115], v[107:108], off
	global_load_b128 v[108:111], v[105:106], off
	global_load_b128 v[104:107], v[100:101], off
	global_load_b128 v[100:103], v[54:55], off
	global_load_b128 v[96:99], v[50:51], off
	global_load_b128 v[92:95], v[48:49], off
	global_load_b128 v[88:91], v[46:47], off
	global_load_b128 v[84:87], v[44:45], off
	global_load_b128 v[80:83], v[42:43], off
	global_load_b128 v[76:79], v[40:41], off
	global_load_b128 v[72:75], v[38:39], off
	s_clause 0x11
	global_load_b128 v[68:71], v[36:37], off
	global_load_b128 v[64:67], v[34:35], off
	;; [unrolled: 1-line block ×18, first 2 shown]
	scratch_store_b64 off, v[202:203], off offset:32 ; 8-byte Folded Spill
	s_and_saveexec_b32 s5, s2
	s_cbranch_execz .LBB103_8
; %bb.2:
	scratch_load_b128 v[202:205], off, off offset:16 ; 16-byte Folded Reload
	s_waitcnt vmcnt(0)
	ds_store_2addr_b64 v227, v[202:203], v[204:205] offset1:1
	scratch_load_b128 v[202:205], off, off  ; 16-byte Folded Reload
	s_waitcnt vmcnt(0)
	ds_store_2addr_b64 v228, v[202:203], v[204:205] offset0:2 offset1:3
	ds_store_2addr_b64 v228, v[196:197], v[198:199] offset0:4 offset1:5
	;; [unrolled: 1-line block ×51, first 2 shown]
	ds_load_2addr_b64 v[208:211], v227 offset1:1
	s_waitcnt lgkmcnt(0)
	v_cmp_neq_f64_e32 vcc_lo, 0, v[208:209]
	v_cmp_neq_f64_e64 s4, 0, v[210:211]
	s_delay_alu instid0(VALU_DEP_1) | instskip(NEXT) | instid1(SALU_CYCLE_1)
	s_or_b32 s4, vcc_lo, s4
	s_and_b32 exec_lo, exec_lo, s4
	s_cbranch_execz .LBB103_8
; %bb.3:
	v_cmp_gt_f64_e32 vcc_lo, 0, v[208:209]
	v_xor_b32_e32 v204, 0x80000000, v209
	s_mov_b32 s4, exec_lo
                                        ; implicit-def: $vgpr216_vgpr217
	s_delay_alu instid0(VALU_DEP_1) | instskip(SKIP_3) | instid1(VALU_DEP_1)
	v_cndmask_b32_e32 v213, v209, v204, vcc_lo
	v_cndmask_b32_e32 v212, v208, v208, vcc_lo
	v_cmp_gt_f64_e32 vcc_lo, 0, v[210:211]
	v_xor_b32_e32 v204, 0x80000000, v211
	v_dual_cndmask_b32 v214, v210, v210 :: v_dual_cndmask_b32 v215, v211, v204
	s_delay_alu instid0(VALU_DEP_1)
	v_cmpx_ngt_f64_e32 v[212:213], v[214:215]
	s_xor_b32 s4, exec_lo, s4
                                        ; implicit-def: $vgpr212_vgpr213_vgpr214_vgpr215
	s_cbranch_execz .LBB103_5
; %bb.4:
	v_div_scale_f64 v[212:213], null, v[210:211], v[210:211], v[208:209]
	v_div_scale_f64 v[218:219], vcc_lo, v[208:209], v[210:211], v[208:209]
	s_delay_alu instid0(VALU_DEP_2) | instskip(SKIP_2) | instid1(VALU_DEP_1)
	v_rcp_f64_e32 v[214:215], v[212:213]
	s_waitcnt_depctr 0xfff
	v_fma_f64 v[216:217], -v[212:213], v[214:215], 1.0
	v_fma_f64 v[214:215], v[214:215], v[216:217], v[214:215]
	s_delay_alu instid0(VALU_DEP_1) | instskip(NEXT) | instid1(VALU_DEP_1)
	v_fma_f64 v[216:217], -v[212:213], v[214:215], 1.0
	v_fma_f64 v[214:215], v[214:215], v[216:217], v[214:215]
	s_delay_alu instid0(VALU_DEP_1) | instskip(NEXT) | instid1(VALU_DEP_1)
	v_mul_f64 v[216:217], v[218:219], v[214:215]
	v_fma_f64 v[212:213], -v[212:213], v[216:217], v[218:219]
	s_delay_alu instid0(VALU_DEP_1) | instskip(NEXT) | instid1(VALU_DEP_1)
	v_div_fmas_f64 v[212:213], v[212:213], v[214:215], v[216:217]
	v_div_fixup_f64 v[212:213], v[212:213], v[210:211], v[208:209]
	s_delay_alu instid0(VALU_DEP_1) | instskip(NEXT) | instid1(VALU_DEP_1)
	v_fma_f64 v[208:209], v[208:209], v[212:213], v[210:211]
	v_div_scale_f64 v[210:211], null, v[208:209], v[208:209], 1.0
	s_delay_alu instid0(VALU_DEP_1) | instskip(SKIP_2) | instid1(VALU_DEP_1)
	v_rcp_f64_e32 v[214:215], v[210:211]
	s_waitcnt_depctr 0xfff
	v_fma_f64 v[216:217], -v[210:211], v[214:215], 1.0
	v_fma_f64 v[214:215], v[214:215], v[216:217], v[214:215]
	s_delay_alu instid0(VALU_DEP_1) | instskip(NEXT) | instid1(VALU_DEP_1)
	v_fma_f64 v[216:217], -v[210:211], v[214:215], 1.0
	v_fma_f64 v[214:215], v[214:215], v[216:217], v[214:215]
	v_div_scale_f64 v[216:217], vcc_lo, 1.0, v[208:209], 1.0
	s_delay_alu instid0(VALU_DEP_1) | instskip(NEXT) | instid1(VALU_DEP_1)
	v_mul_f64 v[218:219], v[216:217], v[214:215]
	v_fma_f64 v[210:211], -v[210:211], v[218:219], v[216:217]
	s_delay_alu instid0(VALU_DEP_1) | instskip(NEXT) | instid1(VALU_DEP_1)
	v_div_fmas_f64 v[210:211], v[210:211], v[214:215], v[218:219]
	v_div_fixup_f64 v[214:215], v[210:211], v[208:209], 1.0
                                        ; implicit-def: $vgpr208_vgpr209
	s_delay_alu instid0(VALU_DEP_1)
	v_mul_f64 v[216:217], v[212:213], v[214:215]
	v_xor_b32_e32 v215, 0x80000000, v215
.LBB103_5:
	s_and_not1_saveexec_b32 s4, s4
	s_cbranch_execz .LBB103_7
; %bb.6:
	v_div_scale_f64 v[212:213], null, v[208:209], v[208:209], v[210:211]
	v_div_scale_f64 v[218:219], vcc_lo, v[210:211], v[208:209], v[210:211]
	s_delay_alu instid0(VALU_DEP_2) | instskip(SKIP_2) | instid1(VALU_DEP_1)
	v_rcp_f64_e32 v[214:215], v[212:213]
	s_waitcnt_depctr 0xfff
	v_fma_f64 v[216:217], -v[212:213], v[214:215], 1.0
	v_fma_f64 v[214:215], v[214:215], v[216:217], v[214:215]
	s_delay_alu instid0(VALU_DEP_1) | instskip(NEXT) | instid1(VALU_DEP_1)
	v_fma_f64 v[216:217], -v[212:213], v[214:215], 1.0
	v_fma_f64 v[214:215], v[214:215], v[216:217], v[214:215]
	s_delay_alu instid0(VALU_DEP_1) | instskip(NEXT) | instid1(VALU_DEP_1)
	v_mul_f64 v[216:217], v[218:219], v[214:215]
	v_fma_f64 v[212:213], -v[212:213], v[216:217], v[218:219]
	s_delay_alu instid0(VALU_DEP_1) | instskip(NEXT) | instid1(VALU_DEP_1)
	v_div_fmas_f64 v[212:213], v[212:213], v[214:215], v[216:217]
	v_div_fixup_f64 v[212:213], v[212:213], v[208:209], v[210:211]
	s_delay_alu instid0(VALU_DEP_1) | instskip(NEXT) | instid1(VALU_DEP_1)
	v_fma_f64 v[208:209], v[210:211], v[212:213], v[208:209]
	v_div_scale_f64 v[210:211], null, v[208:209], v[208:209], 1.0
	s_delay_alu instid0(VALU_DEP_1) | instskip(SKIP_2) | instid1(VALU_DEP_1)
	v_rcp_f64_e32 v[214:215], v[210:211]
	s_waitcnt_depctr 0xfff
	v_fma_f64 v[216:217], -v[210:211], v[214:215], 1.0
	v_fma_f64 v[214:215], v[214:215], v[216:217], v[214:215]
	s_delay_alu instid0(VALU_DEP_1) | instskip(NEXT) | instid1(VALU_DEP_1)
	v_fma_f64 v[216:217], -v[210:211], v[214:215], 1.0
	v_fma_f64 v[214:215], v[214:215], v[216:217], v[214:215]
	v_div_scale_f64 v[216:217], vcc_lo, 1.0, v[208:209], 1.0
	s_delay_alu instid0(VALU_DEP_1) | instskip(NEXT) | instid1(VALU_DEP_1)
	v_mul_f64 v[218:219], v[216:217], v[214:215]
	v_fma_f64 v[210:211], -v[210:211], v[218:219], v[216:217]
	s_delay_alu instid0(VALU_DEP_1) | instskip(NEXT) | instid1(VALU_DEP_1)
	v_div_fmas_f64 v[210:211], v[210:211], v[214:215], v[218:219]
	v_div_fixup_f64 v[216:217], v[210:211], v[208:209], 1.0
	s_delay_alu instid0(VALU_DEP_1)
	v_mul_f64 v[214:215], v[212:213], -v[216:217]
.LBB103_7:
	s_or_b32 exec_lo, exec_lo, s4
	ds_store_2addr_b64 v227, v[216:217], v[214:215] offset1:1
.LBB103_8:
	s_or_b32 exec_lo, exec_lo, s5
	s_waitcnt vmcnt(0) lgkmcnt(0)
	s_waitcnt_vscnt null, 0x0
	s_barrier
	buffer_gl0_inv
	ds_load_2addr_b64 v[202:205], v227 offset1:1
	s_waitcnt lgkmcnt(0)
	scratch_store_b128 off, v[202:205], off offset:440 ; 16-byte Folded Spill
	s_and_saveexec_b32 s4, s3
	s_cbranch_execz .LBB103_10
; %bb.9:
	s_clause 0x1
	scratch_load_b128 v[204:207], off, off offset:16
	scratch_load_b128 v[210:213], off, off offset:440
	s_waitcnt vmcnt(0)
	v_mul_f64 v[208:209], v[212:213], v[206:207]
	v_mul_f64 v[206:207], v[210:211], v[206:207]
	s_delay_alu instid0(VALU_DEP_2) | instskip(NEXT) | instid1(VALU_DEP_2)
	v_fma_f64 v[208:209], v[210:211], v[204:205], -v[208:209]
	v_fma_f64 v[206:207], v[212:213], v[204:205], v[206:207]
	ds_load_2addr_b64 v[210:213], v228 offset0:2 offset1:3
	s_waitcnt lgkmcnt(0)
	v_mul_f64 v[204:205], v[212:213], v[206:207]
	s_delay_alu instid0(VALU_DEP_1) | instskip(SKIP_1) | instid1(VALU_DEP_1)
	v_fma_f64 v[204:205], v[210:211], v[208:209], -v[204:205]
	v_mul_f64 v[210:211], v[210:211], v[206:207]
	v_fma_f64 v[210:211], v[212:213], v[208:209], v[210:211]
	scratch_load_b128 v[212:215], off, off  ; 16-byte Folded Reload
	s_waitcnt vmcnt(0)
	v_add_f64 v[212:213], v[212:213], -v[204:205]
	v_add_f64 v[214:215], v[214:215], -v[210:211]
	scratch_store_b128 off, v[212:215], off ; 16-byte Folded Spill
	ds_load_2addr_b64 v[210:213], v228 offset0:4 offset1:5
	s_waitcnt lgkmcnt(0)
	v_mul_f64 v[204:205], v[212:213], v[206:207]
	s_delay_alu instid0(VALU_DEP_1) | instskip(SKIP_1) | instid1(VALU_DEP_2)
	v_fma_f64 v[204:205], v[210:211], v[208:209], -v[204:205]
	v_mul_f64 v[210:211], v[210:211], v[206:207]
	v_add_f64 v[196:197], v[196:197], -v[204:205]
	s_delay_alu instid0(VALU_DEP_2) | instskip(NEXT) | instid1(VALU_DEP_1)
	v_fma_f64 v[210:211], v[212:213], v[208:209], v[210:211]
	v_add_f64 v[198:199], v[198:199], -v[210:211]
	ds_load_2addr_b64 v[210:213], v228 offset0:6 offset1:7
	s_waitcnt lgkmcnt(0)
	v_mul_f64 v[204:205], v[212:213], v[206:207]
	s_delay_alu instid0(VALU_DEP_1) | instskip(SKIP_1) | instid1(VALU_DEP_2)
	v_fma_f64 v[204:205], v[210:211], v[208:209], -v[204:205]
	v_mul_f64 v[210:211], v[210:211], v[206:207]
	v_add_f64 v[192:193], v[192:193], -v[204:205]
	s_delay_alu instid0(VALU_DEP_2) | instskip(NEXT) | instid1(VALU_DEP_1)
	v_fma_f64 v[210:211], v[212:213], v[208:209], v[210:211]
	v_add_f64 v[194:195], v[194:195], -v[210:211]
	;; [unrolled: 10-line block ×49, first 2 shown]
	ds_load_2addr_b64 v[210:213], v228 offset0:102 offset1:103
	s_waitcnt lgkmcnt(0)
	v_mul_f64 v[204:205], v[212:213], v[206:207]
	s_delay_alu instid0(VALU_DEP_1) | instskip(SKIP_1) | instid1(VALU_DEP_2)
	v_fma_f64 v[204:205], v[210:211], v[208:209], -v[204:205]
	v_mul_f64 v[210:211], v[210:211], v[206:207]
	v_add_f64 v[0:1], v[0:1], -v[204:205]
	s_delay_alu instid0(VALU_DEP_2)
	v_fma_f64 v[210:211], v[212:213], v[208:209], v[210:211]
	v_dual_mov_b32 v204, v208 :: v_dual_mov_b32 v205, v209
	scratch_store_b128 off, v[204:207], off offset:16 ; 16-byte Folded Spill
	v_add_f64 v[2:3], v[2:3], -v[210:211]
.LBB103_10:
	s_or_b32 exec_lo, exec_lo, s4
	s_delay_alu instid0(SALU_CYCLE_1)
	s_mov_b32 s4, exec_lo
	s_waitcnt_vscnt null, 0x0
	s_barrier
	buffer_gl0_inv
	v_cmpx_eq_u32_e32 1, v226
	s_cbranch_execz .LBB103_17
; %bb.11:
	scratch_load_b128 v[202:205], off, off  ; 16-byte Folded Reload
	s_waitcnt vmcnt(0)
	ds_store_2addr_b64 v227, v[202:203], v[204:205] offset1:1
	ds_store_2addr_b64 v228, v[196:197], v[198:199] offset0:4 offset1:5
	ds_store_2addr_b64 v228, v[192:193], v[194:195] offset0:6 offset1:7
	;; [unrolled: 1-line block ×50, first 2 shown]
	ds_load_2addr_b64 v[208:211], v227 offset1:1
	s_waitcnt lgkmcnt(0)
	v_cmp_neq_f64_e32 vcc_lo, 0, v[208:209]
	v_cmp_neq_f64_e64 s3, 0, v[210:211]
	s_delay_alu instid0(VALU_DEP_1) | instskip(NEXT) | instid1(SALU_CYCLE_1)
	s_or_b32 s3, vcc_lo, s3
	s_and_b32 exec_lo, exec_lo, s3
	s_cbranch_execz .LBB103_17
; %bb.12:
	v_cmp_gt_f64_e32 vcc_lo, 0, v[208:209]
	v_xor_b32_e32 v204, 0x80000000, v209
	s_mov_b32 s3, exec_lo
                                        ; implicit-def: $vgpr216_vgpr217
	s_delay_alu instid0(VALU_DEP_1) | instskip(SKIP_3) | instid1(VALU_DEP_1)
	v_cndmask_b32_e32 v213, v209, v204, vcc_lo
	v_cndmask_b32_e32 v212, v208, v208, vcc_lo
	v_cmp_gt_f64_e32 vcc_lo, 0, v[210:211]
	v_xor_b32_e32 v204, 0x80000000, v211
	v_dual_cndmask_b32 v214, v210, v210 :: v_dual_cndmask_b32 v215, v211, v204
	s_delay_alu instid0(VALU_DEP_1)
	v_cmpx_ngt_f64_e32 v[212:213], v[214:215]
	s_xor_b32 s3, exec_lo, s3
                                        ; implicit-def: $vgpr212_vgpr213_vgpr214_vgpr215
	s_cbranch_execz .LBB103_14
; %bb.13:
	v_div_scale_f64 v[212:213], null, v[210:211], v[210:211], v[208:209]
	v_div_scale_f64 v[218:219], vcc_lo, v[208:209], v[210:211], v[208:209]
	s_delay_alu instid0(VALU_DEP_2) | instskip(SKIP_2) | instid1(VALU_DEP_1)
	v_rcp_f64_e32 v[214:215], v[212:213]
	s_waitcnt_depctr 0xfff
	v_fma_f64 v[216:217], -v[212:213], v[214:215], 1.0
	v_fma_f64 v[214:215], v[214:215], v[216:217], v[214:215]
	s_delay_alu instid0(VALU_DEP_1) | instskip(NEXT) | instid1(VALU_DEP_1)
	v_fma_f64 v[216:217], -v[212:213], v[214:215], 1.0
	v_fma_f64 v[214:215], v[214:215], v[216:217], v[214:215]
	s_delay_alu instid0(VALU_DEP_1) | instskip(NEXT) | instid1(VALU_DEP_1)
	v_mul_f64 v[216:217], v[218:219], v[214:215]
	v_fma_f64 v[212:213], -v[212:213], v[216:217], v[218:219]
	s_delay_alu instid0(VALU_DEP_1) | instskip(NEXT) | instid1(VALU_DEP_1)
	v_div_fmas_f64 v[212:213], v[212:213], v[214:215], v[216:217]
	v_div_fixup_f64 v[212:213], v[212:213], v[210:211], v[208:209]
	s_delay_alu instid0(VALU_DEP_1) | instskip(NEXT) | instid1(VALU_DEP_1)
	v_fma_f64 v[208:209], v[208:209], v[212:213], v[210:211]
	v_div_scale_f64 v[210:211], null, v[208:209], v[208:209], 1.0
	s_delay_alu instid0(VALU_DEP_1) | instskip(SKIP_2) | instid1(VALU_DEP_1)
	v_rcp_f64_e32 v[214:215], v[210:211]
	s_waitcnt_depctr 0xfff
	v_fma_f64 v[216:217], -v[210:211], v[214:215], 1.0
	v_fma_f64 v[214:215], v[214:215], v[216:217], v[214:215]
	s_delay_alu instid0(VALU_DEP_1) | instskip(NEXT) | instid1(VALU_DEP_1)
	v_fma_f64 v[216:217], -v[210:211], v[214:215], 1.0
	v_fma_f64 v[214:215], v[214:215], v[216:217], v[214:215]
	v_div_scale_f64 v[216:217], vcc_lo, 1.0, v[208:209], 1.0
	s_delay_alu instid0(VALU_DEP_1) | instskip(NEXT) | instid1(VALU_DEP_1)
	v_mul_f64 v[218:219], v[216:217], v[214:215]
	v_fma_f64 v[210:211], -v[210:211], v[218:219], v[216:217]
	s_delay_alu instid0(VALU_DEP_1) | instskip(NEXT) | instid1(VALU_DEP_1)
	v_div_fmas_f64 v[210:211], v[210:211], v[214:215], v[218:219]
	v_div_fixup_f64 v[214:215], v[210:211], v[208:209], 1.0
                                        ; implicit-def: $vgpr208_vgpr209
	s_delay_alu instid0(VALU_DEP_1)
	v_mul_f64 v[216:217], v[212:213], v[214:215]
	v_xor_b32_e32 v215, 0x80000000, v215
.LBB103_14:
	s_and_not1_saveexec_b32 s3, s3
	s_cbranch_execz .LBB103_16
; %bb.15:
	v_div_scale_f64 v[212:213], null, v[208:209], v[208:209], v[210:211]
	v_div_scale_f64 v[218:219], vcc_lo, v[210:211], v[208:209], v[210:211]
	s_delay_alu instid0(VALU_DEP_2) | instskip(SKIP_2) | instid1(VALU_DEP_1)
	v_rcp_f64_e32 v[214:215], v[212:213]
	s_waitcnt_depctr 0xfff
	v_fma_f64 v[216:217], -v[212:213], v[214:215], 1.0
	v_fma_f64 v[214:215], v[214:215], v[216:217], v[214:215]
	s_delay_alu instid0(VALU_DEP_1) | instskip(NEXT) | instid1(VALU_DEP_1)
	v_fma_f64 v[216:217], -v[212:213], v[214:215], 1.0
	v_fma_f64 v[214:215], v[214:215], v[216:217], v[214:215]
	s_delay_alu instid0(VALU_DEP_1) | instskip(NEXT) | instid1(VALU_DEP_1)
	v_mul_f64 v[216:217], v[218:219], v[214:215]
	v_fma_f64 v[212:213], -v[212:213], v[216:217], v[218:219]
	s_delay_alu instid0(VALU_DEP_1) | instskip(NEXT) | instid1(VALU_DEP_1)
	v_div_fmas_f64 v[212:213], v[212:213], v[214:215], v[216:217]
	v_div_fixup_f64 v[212:213], v[212:213], v[208:209], v[210:211]
	s_delay_alu instid0(VALU_DEP_1) | instskip(NEXT) | instid1(VALU_DEP_1)
	v_fma_f64 v[208:209], v[210:211], v[212:213], v[208:209]
	v_div_scale_f64 v[210:211], null, v[208:209], v[208:209], 1.0
	s_delay_alu instid0(VALU_DEP_1) | instskip(SKIP_2) | instid1(VALU_DEP_1)
	v_rcp_f64_e32 v[214:215], v[210:211]
	s_waitcnt_depctr 0xfff
	v_fma_f64 v[216:217], -v[210:211], v[214:215], 1.0
	v_fma_f64 v[214:215], v[214:215], v[216:217], v[214:215]
	s_delay_alu instid0(VALU_DEP_1) | instskip(NEXT) | instid1(VALU_DEP_1)
	v_fma_f64 v[216:217], -v[210:211], v[214:215], 1.0
	v_fma_f64 v[214:215], v[214:215], v[216:217], v[214:215]
	v_div_scale_f64 v[216:217], vcc_lo, 1.0, v[208:209], 1.0
	s_delay_alu instid0(VALU_DEP_1) | instskip(NEXT) | instid1(VALU_DEP_1)
	v_mul_f64 v[218:219], v[216:217], v[214:215]
	v_fma_f64 v[210:211], -v[210:211], v[218:219], v[216:217]
	s_delay_alu instid0(VALU_DEP_1) | instskip(NEXT) | instid1(VALU_DEP_1)
	v_div_fmas_f64 v[210:211], v[210:211], v[214:215], v[218:219]
	v_div_fixup_f64 v[216:217], v[210:211], v[208:209], 1.0
	s_delay_alu instid0(VALU_DEP_1)
	v_mul_f64 v[214:215], v[212:213], -v[216:217]
.LBB103_16:
	s_or_b32 exec_lo, exec_lo, s3
	ds_store_2addr_b64 v227, v[216:217], v[214:215] offset1:1
.LBB103_17:
	s_or_b32 exec_lo, exec_lo, s4
	s_waitcnt lgkmcnt(0)
	s_barrier
	buffer_gl0_inv
	ds_load_2addr_b64 v[202:205], v227 offset1:1
	s_mov_b32 s3, exec_lo
	s_waitcnt lgkmcnt(0)
	scratch_store_b128 off, v[202:205], off offset:456 ; 16-byte Folded Spill
	v_cmpx_lt_u32_e32 1, v226
	s_cbranch_execz .LBB103_19
; %bb.18:
	s_clause 0x1
	scratch_load_b128 v[212:215], off, off
	scratch_load_b128 v[216:219], off, off offset:456
	v_dual_mov_b32 v205, v201 :: v_dual_mov_b32 v204, v200
	s_waitcnt vmcnt(0)
	v_mul_f64 v[202:203], v[216:217], v[214:215]
	v_mul_f64 v[208:209], v[218:219], v[214:215]
	s_delay_alu instid0(VALU_DEP_2) | instskip(NEXT) | instid1(VALU_DEP_2)
	v_fma_f64 v[214:215], v[218:219], v[212:213], v[202:203]
	v_fma_f64 v[208:209], v[216:217], v[212:213], -v[208:209]
	ds_load_2addr_b64 v[210:213], v228 offset0:4 offset1:5
	s_waitcnt lgkmcnt(0)
	v_mul_f64 v[200:201], v[212:213], v[214:215]
	s_delay_alu instid0(VALU_DEP_1) | instskip(SKIP_1) | instid1(VALU_DEP_2)
	v_fma_f64 v[200:201], v[210:211], v[208:209], -v[200:201]
	v_mul_f64 v[210:211], v[210:211], v[214:215]
	v_add_f64 v[196:197], v[196:197], -v[200:201]
	s_delay_alu instid0(VALU_DEP_2) | instskip(NEXT) | instid1(VALU_DEP_1)
	v_fma_f64 v[210:211], v[212:213], v[208:209], v[210:211]
	v_add_f64 v[198:199], v[198:199], -v[210:211]
	ds_load_2addr_b64 v[210:213], v228 offset0:6 offset1:7
	s_waitcnt lgkmcnt(0)
	v_mul_f64 v[200:201], v[212:213], v[214:215]
	s_delay_alu instid0(VALU_DEP_1) | instskip(SKIP_1) | instid1(VALU_DEP_2)
	v_fma_f64 v[200:201], v[210:211], v[208:209], -v[200:201]
	v_mul_f64 v[210:211], v[210:211], v[214:215]
	v_add_f64 v[192:193], v[192:193], -v[200:201]
	s_delay_alu instid0(VALU_DEP_2) | instskip(NEXT) | instid1(VALU_DEP_1)
	v_fma_f64 v[210:211], v[212:213], v[208:209], v[210:211]
	v_add_f64 v[194:195], v[194:195], -v[210:211]
	;; [unrolled: 10-line block ×49, first 2 shown]
	ds_load_2addr_b64 v[210:213], v228 offset0:102 offset1:103
	s_waitcnt lgkmcnt(0)
	v_mul_f64 v[200:201], v[212:213], v[214:215]
	s_delay_alu instid0(VALU_DEP_1) | instskip(SKIP_1) | instid1(VALU_DEP_2)
	v_fma_f64 v[200:201], v[210:211], v[208:209], -v[200:201]
	v_mul_f64 v[210:211], v[210:211], v[214:215]
	v_add_f64 v[0:1], v[0:1], -v[200:201]
	s_delay_alu instid0(VALU_DEP_2)
	v_fma_f64 v[210:211], v[212:213], v[208:209], v[210:211]
	v_dual_mov_b32 v200, v204 :: v_dual_mov_b32 v201, v205
	v_dual_mov_b32 v213, v209 :: v_dual_mov_b32 v212, v208
	scratch_store_b128 off, v[212:215], off ; 16-byte Folded Spill
	v_add_f64 v[2:3], v[2:3], -v[210:211]
.LBB103_19:
	s_or_b32 exec_lo, exec_lo, s3
	s_delay_alu instid0(SALU_CYCLE_1)
	s_mov_b32 s4, exec_lo
	s_waitcnt_vscnt null, 0x0
	s_barrier
	buffer_gl0_inv
	v_cmpx_eq_u32_e32 2, v226
	s_cbranch_execz .LBB103_26
; %bb.20:
	ds_store_2addr_b64 v227, v[196:197], v[198:199] offset1:1
	ds_store_2addr_b64 v228, v[192:193], v[194:195] offset0:6 offset1:7
	ds_store_2addr_b64 v228, v[188:189], v[190:191] offset0:8 offset1:9
	;; [unrolled: 1-line block ×49, first 2 shown]
	ds_load_2addr_b64 v[208:211], v227 offset1:1
	s_waitcnt lgkmcnt(0)
	v_cmp_neq_f64_e32 vcc_lo, 0, v[208:209]
	v_cmp_neq_f64_e64 s3, 0, v[210:211]
	s_delay_alu instid0(VALU_DEP_1) | instskip(NEXT) | instid1(SALU_CYCLE_1)
	s_or_b32 s3, vcc_lo, s3
	s_and_b32 exec_lo, exec_lo, s3
	s_cbranch_execz .LBB103_26
; %bb.21:
	v_cmp_gt_f64_e32 vcc_lo, 0, v[208:209]
	v_xor_b32_e32 v204, 0x80000000, v209
	s_mov_b32 s3, exec_lo
                                        ; implicit-def: $vgpr216_vgpr217
	s_delay_alu instid0(VALU_DEP_1) | instskip(SKIP_3) | instid1(VALU_DEP_1)
	v_cndmask_b32_e32 v213, v209, v204, vcc_lo
	v_cndmask_b32_e32 v212, v208, v208, vcc_lo
	v_cmp_gt_f64_e32 vcc_lo, 0, v[210:211]
	v_xor_b32_e32 v204, 0x80000000, v211
	v_dual_cndmask_b32 v214, v210, v210 :: v_dual_cndmask_b32 v215, v211, v204
	s_delay_alu instid0(VALU_DEP_1)
	v_cmpx_ngt_f64_e32 v[212:213], v[214:215]
	s_xor_b32 s3, exec_lo, s3
                                        ; implicit-def: $vgpr212_vgpr213_vgpr214_vgpr215
	s_cbranch_execz .LBB103_23
; %bb.22:
	v_div_scale_f64 v[212:213], null, v[210:211], v[210:211], v[208:209]
	v_div_scale_f64 v[218:219], vcc_lo, v[208:209], v[210:211], v[208:209]
	s_delay_alu instid0(VALU_DEP_2) | instskip(SKIP_2) | instid1(VALU_DEP_1)
	v_rcp_f64_e32 v[214:215], v[212:213]
	s_waitcnt_depctr 0xfff
	v_fma_f64 v[216:217], -v[212:213], v[214:215], 1.0
	v_fma_f64 v[214:215], v[214:215], v[216:217], v[214:215]
	s_delay_alu instid0(VALU_DEP_1) | instskip(NEXT) | instid1(VALU_DEP_1)
	v_fma_f64 v[216:217], -v[212:213], v[214:215], 1.0
	v_fma_f64 v[214:215], v[214:215], v[216:217], v[214:215]
	s_delay_alu instid0(VALU_DEP_1) | instskip(NEXT) | instid1(VALU_DEP_1)
	v_mul_f64 v[216:217], v[218:219], v[214:215]
	v_fma_f64 v[212:213], -v[212:213], v[216:217], v[218:219]
	s_delay_alu instid0(VALU_DEP_1) | instskip(NEXT) | instid1(VALU_DEP_1)
	v_div_fmas_f64 v[212:213], v[212:213], v[214:215], v[216:217]
	v_div_fixup_f64 v[212:213], v[212:213], v[210:211], v[208:209]
	s_delay_alu instid0(VALU_DEP_1) | instskip(NEXT) | instid1(VALU_DEP_1)
	v_fma_f64 v[208:209], v[208:209], v[212:213], v[210:211]
	v_div_scale_f64 v[210:211], null, v[208:209], v[208:209], 1.0
	s_delay_alu instid0(VALU_DEP_1) | instskip(SKIP_2) | instid1(VALU_DEP_1)
	v_rcp_f64_e32 v[214:215], v[210:211]
	s_waitcnt_depctr 0xfff
	v_fma_f64 v[216:217], -v[210:211], v[214:215], 1.0
	v_fma_f64 v[214:215], v[214:215], v[216:217], v[214:215]
	s_delay_alu instid0(VALU_DEP_1) | instskip(NEXT) | instid1(VALU_DEP_1)
	v_fma_f64 v[216:217], -v[210:211], v[214:215], 1.0
	v_fma_f64 v[214:215], v[214:215], v[216:217], v[214:215]
	v_div_scale_f64 v[216:217], vcc_lo, 1.0, v[208:209], 1.0
	s_delay_alu instid0(VALU_DEP_1) | instskip(NEXT) | instid1(VALU_DEP_1)
	v_mul_f64 v[218:219], v[216:217], v[214:215]
	v_fma_f64 v[210:211], -v[210:211], v[218:219], v[216:217]
	s_delay_alu instid0(VALU_DEP_1) | instskip(NEXT) | instid1(VALU_DEP_1)
	v_div_fmas_f64 v[210:211], v[210:211], v[214:215], v[218:219]
	v_div_fixup_f64 v[214:215], v[210:211], v[208:209], 1.0
                                        ; implicit-def: $vgpr208_vgpr209
	s_delay_alu instid0(VALU_DEP_1)
	v_mul_f64 v[216:217], v[212:213], v[214:215]
	v_xor_b32_e32 v215, 0x80000000, v215
.LBB103_23:
	s_and_not1_saveexec_b32 s3, s3
	s_cbranch_execz .LBB103_25
; %bb.24:
	v_div_scale_f64 v[212:213], null, v[208:209], v[208:209], v[210:211]
	v_div_scale_f64 v[218:219], vcc_lo, v[210:211], v[208:209], v[210:211]
	s_delay_alu instid0(VALU_DEP_2) | instskip(SKIP_2) | instid1(VALU_DEP_1)
	v_rcp_f64_e32 v[214:215], v[212:213]
	s_waitcnt_depctr 0xfff
	v_fma_f64 v[216:217], -v[212:213], v[214:215], 1.0
	v_fma_f64 v[214:215], v[214:215], v[216:217], v[214:215]
	s_delay_alu instid0(VALU_DEP_1) | instskip(NEXT) | instid1(VALU_DEP_1)
	v_fma_f64 v[216:217], -v[212:213], v[214:215], 1.0
	v_fma_f64 v[214:215], v[214:215], v[216:217], v[214:215]
	s_delay_alu instid0(VALU_DEP_1) | instskip(NEXT) | instid1(VALU_DEP_1)
	v_mul_f64 v[216:217], v[218:219], v[214:215]
	v_fma_f64 v[212:213], -v[212:213], v[216:217], v[218:219]
	s_delay_alu instid0(VALU_DEP_1) | instskip(NEXT) | instid1(VALU_DEP_1)
	v_div_fmas_f64 v[212:213], v[212:213], v[214:215], v[216:217]
	v_div_fixup_f64 v[212:213], v[212:213], v[208:209], v[210:211]
	s_delay_alu instid0(VALU_DEP_1) | instskip(NEXT) | instid1(VALU_DEP_1)
	v_fma_f64 v[208:209], v[210:211], v[212:213], v[208:209]
	v_div_scale_f64 v[210:211], null, v[208:209], v[208:209], 1.0
	s_delay_alu instid0(VALU_DEP_1) | instskip(SKIP_2) | instid1(VALU_DEP_1)
	v_rcp_f64_e32 v[214:215], v[210:211]
	s_waitcnt_depctr 0xfff
	v_fma_f64 v[216:217], -v[210:211], v[214:215], 1.0
	v_fma_f64 v[214:215], v[214:215], v[216:217], v[214:215]
	s_delay_alu instid0(VALU_DEP_1) | instskip(NEXT) | instid1(VALU_DEP_1)
	v_fma_f64 v[216:217], -v[210:211], v[214:215], 1.0
	v_fma_f64 v[214:215], v[214:215], v[216:217], v[214:215]
	v_div_scale_f64 v[216:217], vcc_lo, 1.0, v[208:209], 1.0
	s_delay_alu instid0(VALU_DEP_1) | instskip(NEXT) | instid1(VALU_DEP_1)
	v_mul_f64 v[218:219], v[216:217], v[214:215]
	v_fma_f64 v[210:211], -v[210:211], v[218:219], v[216:217]
	s_delay_alu instid0(VALU_DEP_1) | instskip(NEXT) | instid1(VALU_DEP_1)
	v_div_fmas_f64 v[210:211], v[210:211], v[214:215], v[218:219]
	v_div_fixup_f64 v[216:217], v[210:211], v[208:209], 1.0
	s_delay_alu instid0(VALU_DEP_1)
	v_mul_f64 v[214:215], v[212:213], -v[216:217]
.LBB103_25:
	s_or_b32 exec_lo, exec_lo, s3
	ds_store_2addr_b64 v227, v[216:217], v[214:215] offset1:1
.LBB103_26:
	s_or_b32 exec_lo, exec_lo, s4
	s_waitcnt lgkmcnt(0)
	s_barrier
	buffer_gl0_inv
	ds_load_2addr_b64 v[202:205], v227 offset1:1
	s_mov_b32 s3, exec_lo
	s_waitcnt lgkmcnt(0)
	scratch_store_b128 off, v[202:205], off offset:472 ; 16-byte Folded Spill
	v_cmpx_lt_u32_e32 2, v226
	s_cbranch_execz .LBB103_28
; %bb.27:
	scratch_load_b128 v[202:205], off, off offset:472 ; 16-byte Folded Reload
	ds_load_2addr_b64 v[210:213], v228 offset0:6 offset1:7
	s_waitcnt vmcnt(0)
	v_mul_f64 v[208:209], v[204:205], v[198:199]
	v_mul_f64 v[198:199], v[202:203], v[198:199]
	s_delay_alu instid0(VALU_DEP_2) | instskip(NEXT) | instid1(VALU_DEP_2)
	v_fma_f64 v[208:209], v[202:203], v[196:197], -v[208:209]
	v_fma_f64 v[198:199], v[204:205], v[196:197], v[198:199]
	s_waitcnt lgkmcnt(0)
	s_delay_alu instid0(VALU_DEP_1) | instskip(NEXT) | instid1(VALU_DEP_1)
	v_mul_f64 v[196:197], v[212:213], v[198:199]
	v_fma_f64 v[196:197], v[210:211], v[208:209], -v[196:197]
	v_mul_f64 v[210:211], v[210:211], v[198:199]
	s_delay_alu instid0(VALU_DEP_2) | instskip(NEXT) | instid1(VALU_DEP_2)
	v_add_f64 v[192:193], v[192:193], -v[196:197]
	v_fma_f64 v[210:211], v[212:213], v[208:209], v[210:211]
	s_delay_alu instid0(VALU_DEP_1) | instskip(SKIP_3) | instid1(VALU_DEP_1)
	v_add_f64 v[194:195], v[194:195], -v[210:211]
	ds_load_2addr_b64 v[210:213], v228 offset0:8 offset1:9
	s_waitcnt lgkmcnt(0)
	v_mul_f64 v[196:197], v[212:213], v[198:199]
	v_fma_f64 v[196:197], v[210:211], v[208:209], -v[196:197]
	v_mul_f64 v[210:211], v[210:211], v[198:199]
	s_delay_alu instid0(VALU_DEP_2) | instskip(NEXT) | instid1(VALU_DEP_2)
	v_add_f64 v[188:189], v[188:189], -v[196:197]
	v_fma_f64 v[210:211], v[212:213], v[208:209], v[210:211]
	s_delay_alu instid0(VALU_DEP_1) | instskip(SKIP_3) | instid1(VALU_DEP_1)
	v_add_f64 v[190:191], v[190:191], -v[210:211]
	ds_load_2addr_b64 v[210:213], v228 offset0:10 offset1:11
	s_waitcnt lgkmcnt(0)
	;; [unrolled: 10-line block ×48, first 2 shown]
	v_mul_f64 v[196:197], v[212:213], v[198:199]
	v_fma_f64 v[196:197], v[210:211], v[208:209], -v[196:197]
	v_mul_f64 v[210:211], v[210:211], v[198:199]
	s_delay_alu instid0(VALU_DEP_2) | instskip(NEXT) | instid1(VALU_DEP_2)
	v_add_f64 v[0:1], v[0:1], -v[196:197]
	v_fma_f64 v[210:211], v[212:213], v[208:209], v[210:211]
	v_dual_mov_b32 v196, v208 :: v_dual_mov_b32 v197, v209
	s_delay_alu instid0(VALU_DEP_2)
	v_add_f64 v[2:3], v[2:3], -v[210:211]
.LBB103_28:
	s_or_b32 exec_lo, exec_lo, s3
	s_delay_alu instid0(SALU_CYCLE_1)
	s_mov_b32 s4, exec_lo
	s_waitcnt_vscnt null, 0x0
	s_barrier
	buffer_gl0_inv
	v_cmpx_eq_u32_e32 3, v226
	s_cbranch_execz .LBB103_35
; %bb.29:
	ds_store_2addr_b64 v227, v[192:193], v[194:195] offset1:1
	ds_store_2addr_b64 v228, v[188:189], v[190:191] offset0:8 offset1:9
	ds_store_2addr_b64 v228, v[184:185], v[186:187] offset0:10 offset1:11
	;; [unrolled: 1-line block ×48, first 2 shown]
	ds_load_2addr_b64 v[208:211], v227 offset1:1
	s_waitcnt lgkmcnt(0)
	v_cmp_neq_f64_e32 vcc_lo, 0, v[208:209]
	v_cmp_neq_f64_e64 s3, 0, v[210:211]
	s_delay_alu instid0(VALU_DEP_1) | instskip(NEXT) | instid1(SALU_CYCLE_1)
	s_or_b32 s3, vcc_lo, s3
	s_and_b32 exec_lo, exec_lo, s3
	s_cbranch_execz .LBB103_35
; %bb.30:
	v_cmp_gt_f64_e32 vcc_lo, 0, v[208:209]
	v_xor_b32_e32 v204, 0x80000000, v209
	s_mov_b32 s3, exec_lo
                                        ; implicit-def: $vgpr216_vgpr217
	s_delay_alu instid0(VALU_DEP_1) | instskip(SKIP_3) | instid1(VALU_DEP_1)
	v_cndmask_b32_e32 v213, v209, v204, vcc_lo
	v_cndmask_b32_e32 v212, v208, v208, vcc_lo
	v_cmp_gt_f64_e32 vcc_lo, 0, v[210:211]
	v_xor_b32_e32 v204, 0x80000000, v211
	v_dual_cndmask_b32 v214, v210, v210 :: v_dual_cndmask_b32 v215, v211, v204
	s_delay_alu instid0(VALU_DEP_1)
	v_cmpx_ngt_f64_e32 v[212:213], v[214:215]
	s_xor_b32 s3, exec_lo, s3
                                        ; implicit-def: $vgpr212_vgpr213_vgpr214_vgpr215
	s_cbranch_execz .LBB103_32
; %bb.31:
	v_div_scale_f64 v[212:213], null, v[210:211], v[210:211], v[208:209]
	v_div_scale_f64 v[218:219], vcc_lo, v[208:209], v[210:211], v[208:209]
	s_delay_alu instid0(VALU_DEP_2) | instskip(SKIP_2) | instid1(VALU_DEP_1)
	v_rcp_f64_e32 v[214:215], v[212:213]
	s_waitcnt_depctr 0xfff
	v_fma_f64 v[216:217], -v[212:213], v[214:215], 1.0
	v_fma_f64 v[214:215], v[214:215], v[216:217], v[214:215]
	s_delay_alu instid0(VALU_DEP_1) | instskip(NEXT) | instid1(VALU_DEP_1)
	v_fma_f64 v[216:217], -v[212:213], v[214:215], 1.0
	v_fma_f64 v[214:215], v[214:215], v[216:217], v[214:215]
	s_delay_alu instid0(VALU_DEP_1) | instskip(NEXT) | instid1(VALU_DEP_1)
	v_mul_f64 v[216:217], v[218:219], v[214:215]
	v_fma_f64 v[212:213], -v[212:213], v[216:217], v[218:219]
	s_delay_alu instid0(VALU_DEP_1) | instskip(NEXT) | instid1(VALU_DEP_1)
	v_div_fmas_f64 v[212:213], v[212:213], v[214:215], v[216:217]
	v_div_fixup_f64 v[212:213], v[212:213], v[210:211], v[208:209]
	s_delay_alu instid0(VALU_DEP_1) | instskip(NEXT) | instid1(VALU_DEP_1)
	v_fma_f64 v[208:209], v[208:209], v[212:213], v[210:211]
	v_div_scale_f64 v[210:211], null, v[208:209], v[208:209], 1.0
	s_delay_alu instid0(VALU_DEP_1) | instskip(SKIP_2) | instid1(VALU_DEP_1)
	v_rcp_f64_e32 v[214:215], v[210:211]
	s_waitcnt_depctr 0xfff
	v_fma_f64 v[216:217], -v[210:211], v[214:215], 1.0
	v_fma_f64 v[214:215], v[214:215], v[216:217], v[214:215]
	s_delay_alu instid0(VALU_DEP_1) | instskip(NEXT) | instid1(VALU_DEP_1)
	v_fma_f64 v[216:217], -v[210:211], v[214:215], 1.0
	v_fma_f64 v[214:215], v[214:215], v[216:217], v[214:215]
	v_div_scale_f64 v[216:217], vcc_lo, 1.0, v[208:209], 1.0
	s_delay_alu instid0(VALU_DEP_1) | instskip(NEXT) | instid1(VALU_DEP_1)
	v_mul_f64 v[218:219], v[216:217], v[214:215]
	v_fma_f64 v[210:211], -v[210:211], v[218:219], v[216:217]
	s_delay_alu instid0(VALU_DEP_1) | instskip(NEXT) | instid1(VALU_DEP_1)
	v_div_fmas_f64 v[210:211], v[210:211], v[214:215], v[218:219]
	v_div_fixup_f64 v[214:215], v[210:211], v[208:209], 1.0
                                        ; implicit-def: $vgpr208_vgpr209
	s_delay_alu instid0(VALU_DEP_1)
	v_mul_f64 v[216:217], v[212:213], v[214:215]
	v_xor_b32_e32 v215, 0x80000000, v215
.LBB103_32:
	s_and_not1_saveexec_b32 s3, s3
	s_cbranch_execz .LBB103_34
; %bb.33:
	v_div_scale_f64 v[212:213], null, v[208:209], v[208:209], v[210:211]
	v_div_scale_f64 v[218:219], vcc_lo, v[210:211], v[208:209], v[210:211]
	s_delay_alu instid0(VALU_DEP_2) | instskip(SKIP_2) | instid1(VALU_DEP_1)
	v_rcp_f64_e32 v[214:215], v[212:213]
	s_waitcnt_depctr 0xfff
	v_fma_f64 v[216:217], -v[212:213], v[214:215], 1.0
	v_fma_f64 v[214:215], v[214:215], v[216:217], v[214:215]
	s_delay_alu instid0(VALU_DEP_1) | instskip(NEXT) | instid1(VALU_DEP_1)
	v_fma_f64 v[216:217], -v[212:213], v[214:215], 1.0
	v_fma_f64 v[214:215], v[214:215], v[216:217], v[214:215]
	s_delay_alu instid0(VALU_DEP_1) | instskip(NEXT) | instid1(VALU_DEP_1)
	v_mul_f64 v[216:217], v[218:219], v[214:215]
	v_fma_f64 v[212:213], -v[212:213], v[216:217], v[218:219]
	s_delay_alu instid0(VALU_DEP_1) | instskip(NEXT) | instid1(VALU_DEP_1)
	v_div_fmas_f64 v[212:213], v[212:213], v[214:215], v[216:217]
	v_div_fixup_f64 v[212:213], v[212:213], v[208:209], v[210:211]
	s_delay_alu instid0(VALU_DEP_1) | instskip(NEXT) | instid1(VALU_DEP_1)
	v_fma_f64 v[208:209], v[210:211], v[212:213], v[208:209]
	v_div_scale_f64 v[210:211], null, v[208:209], v[208:209], 1.0
	s_delay_alu instid0(VALU_DEP_1) | instskip(SKIP_2) | instid1(VALU_DEP_1)
	v_rcp_f64_e32 v[214:215], v[210:211]
	s_waitcnt_depctr 0xfff
	v_fma_f64 v[216:217], -v[210:211], v[214:215], 1.0
	v_fma_f64 v[214:215], v[214:215], v[216:217], v[214:215]
	s_delay_alu instid0(VALU_DEP_1) | instskip(NEXT) | instid1(VALU_DEP_1)
	v_fma_f64 v[216:217], -v[210:211], v[214:215], 1.0
	v_fma_f64 v[214:215], v[214:215], v[216:217], v[214:215]
	v_div_scale_f64 v[216:217], vcc_lo, 1.0, v[208:209], 1.0
	s_delay_alu instid0(VALU_DEP_1) | instskip(NEXT) | instid1(VALU_DEP_1)
	v_mul_f64 v[218:219], v[216:217], v[214:215]
	v_fma_f64 v[210:211], -v[210:211], v[218:219], v[216:217]
	s_delay_alu instid0(VALU_DEP_1) | instskip(NEXT) | instid1(VALU_DEP_1)
	v_div_fmas_f64 v[210:211], v[210:211], v[214:215], v[218:219]
	v_div_fixup_f64 v[216:217], v[210:211], v[208:209], 1.0
	s_delay_alu instid0(VALU_DEP_1)
	v_mul_f64 v[214:215], v[212:213], -v[216:217]
.LBB103_34:
	s_or_b32 exec_lo, exec_lo, s3
	ds_store_2addr_b64 v227, v[216:217], v[214:215] offset1:1
.LBB103_35:
	s_or_b32 exec_lo, exec_lo, s4
	s_waitcnt lgkmcnt(0)
	s_barrier
	buffer_gl0_inv
	ds_load_2addr_b64 v[202:205], v227 offset1:1
	s_mov_b32 s3, exec_lo
	s_waitcnt lgkmcnt(0)
	scratch_store_b128 off, v[202:205], off offset:488 ; 16-byte Folded Spill
	v_cmpx_lt_u32_e32 3, v226
	s_cbranch_execz .LBB103_37
; %bb.36:
	scratch_load_b128 v[202:205], off, off offset:488 ; 16-byte Folded Reload
	ds_load_2addr_b64 v[210:213], v228 offset0:8 offset1:9
	s_waitcnt vmcnt(0)
	v_mul_f64 v[208:209], v[204:205], v[194:195]
	v_mul_f64 v[194:195], v[202:203], v[194:195]
	s_delay_alu instid0(VALU_DEP_2) | instskip(NEXT) | instid1(VALU_DEP_2)
	v_fma_f64 v[208:209], v[202:203], v[192:193], -v[208:209]
	v_fma_f64 v[194:195], v[204:205], v[192:193], v[194:195]
	s_waitcnt lgkmcnt(0)
	s_delay_alu instid0(VALU_DEP_1) | instskip(NEXT) | instid1(VALU_DEP_1)
	v_mul_f64 v[192:193], v[212:213], v[194:195]
	v_fma_f64 v[192:193], v[210:211], v[208:209], -v[192:193]
	v_mul_f64 v[210:211], v[210:211], v[194:195]
	s_delay_alu instid0(VALU_DEP_2) | instskip(NEXT) | instid1(VALU_DEP_2)
	v_add_f64 v[188:189], v[188:189], -v[192:193]
	v_fma_f64 v[210:211], v[212:213], v[208:209], v[210:211]
	s_delay_alu instid0(VALU_DEP_1) | instskip(SKIP_3) | instid1(VALU_DEP_1)
	v_add_f64 v[190:191], v[190:191], -v[210:211]
	ds_load_2addr_b64 v[210:213], v228 offset0:10 offset1:11
	s_waitcnt lgkmcnt(0)
	v_mul_f64 v[192:193], v[212:213], v[194:195]
	v_fma_f64 v[192:193], v[210:211], v[208:209], -v[192:193]
	v_mul_f64 v[210:211], v[210:211], v[194:195]
	s_delay_alu instid0(VALU_DEP_2) | instskip(NEXT) | instid1(VALU_DEP_2)
	v_add_f64 v[184:185], v[184:185], -v[192:193]
	v_fma_f64 v[210:211], v[212:213], v[208:209], v[210:211]
	s_delay_alu instid0(VALU_DEP_1) | instskip(SKIP_3) | instid1(VALU_DEP_1)
	v_add_f64 v[186:187], v[186:187], -v[210:211]
	ds_load_2addr_b64 v[210:213], v228 offset0:12 offset1:13
	s_waitcnt lgkmcnt(0)
	v_mul_f64 v[192:193], v[212:213], v[194:195]
	v_fma_f64 v[192:193], v[210:211], v[208:209], -v[192:193]
	v_mul_f64 v[210:211], v[210:211], v[194:195]
	s_delay_alu instid0(VALU_DEP_2) | instskip(NEXT) | instid1(VALU_DEP_2)
	v_add_f64 v[180:181], v[180:181], -v[192:193]
	v_fma_f64 v[210:211], v[212:213], v[208:209], v[210:211]
	s_delay_alu instid0(VALU_DEP_1) | instskip(SKIP_3) | instid1(VALU_DEP_1)
	v_add_f64 v[182:183], v[182:183], -v[210:211]
	ds_load_2addr_b64 v[210:213], v228 offset0:14 offset1:15
	s_waitcnt lgkmcnt(0)
	v_mul_f64 v[192:193], v[212:213], v[194:195]
	v_fma_f64 v[192:193], v[210:211], v[208:209], -v[192:193]
	v_mul_f64 v[210:211], v[210:211], v[194:195]
	s_delay_alu instid0(VALU_DEP_2) | instskip(NEXT) | instid1(VALU_DEP_2)
	v_add_f64 v[176:177], v[176:177], -v[192:193]
	v_fma_f64 v[210:211], v[212:213], v[208:209], v[210:211]
	s_delay_alu instid0(VALU_DEP_1) | instskip(SKIP_3) | instid1(VALU_DEP_1)
	v_add_f64 v[178:179], v[178:179], -v[210:211]
	ds_load_2addr_b64 v[210:213], v228 offset0:16 offset1:17
	s_waitcnt lgkmcnt(0)
	v_mul_f64 v[192:193], v[212:213], v[194:195]
	v_fma_f64 v[192:193], v[210:211], v[208:209], -v[192:193]
	v_mul_f64 v[210:211], v[210:211], v[194:195]
	s_delay_alu instid0(VALU_DEP_2) | instskip(NEXT) | instid1(VALU_DEP_2)
	v_add_f64 v[172:173], v[172:173], -v[192:193]
	v_fma_f64 v[210:211], v[212:213], v[208:209], v[210:211]
	s_delay_alu instid0(VALU_DEP_1) | instskip(SKIP_3) | instid1(VALU_DEP_1)
	v_add_f64 v[174:175], v[174:175], -v[210:211]
	ds_load_2addr_b64 v[210:213], v228 offset0:18 offset1:19
	s_waitcnt lgkmcnt(0)
	v_mul_f64 v[192:193], v[212:213], v[194:195]
	v_fma_f64 v[192:193], v[210:211], v[208:209], -v[192:193]
	v_mul_f64 v[210:211], v[210:211], v[194:195]
	s_delay_alu instid0(VALU_DEP_2) | instskip(NEXT) | instid1(VALU_DEP_2)
	v_add_f64 v[168:169], v[168:169], -v[192:193]
	v_fma_f64 v[210:211], v[212:213], v[208:209], v[210:211]
	s_delay_alu instid0(VALU_DEP_1) | instskip(SKIP_3) | instid1(VALU_DEP_1)
	v_add_f64 v[170:171], v[170:171], -v[210:211]
	ds_load_2addr_b64 v[210:213], v228 offset0:20 offset1:21
	s_waitcnt lgkmcnt(0)
	v_mul_f64 v[192:193], v[212:213], v[194:195]
	v_fma_f64 v[192:193], v[210:211], v[208:209], -v[192:193]
	v_mul_f64 v[210:211], v[210:211], v[194:195]
	s_delay_alu instid0(VALU_DEP_2) | instskip(NEXT) | instid1(VALU_DEP_2)
	v_add_f64 v[164:165], v[164:165], -v[192:193]
	v_fma_f64 v[210:211], v[212:213], v[208:209], v[210:211]
	s_delay_alu instid0(VALU_DEP_1) | instskip(SKIP_3) | instid1(VALU_DEP_1)
	v_add_f64 v[166:167], v[166:167], -v[210:211]
	ds_load_2addr_b64 v[210:213], v228 offset0:22 offset1:23
	s_waitcnt lgkmcnt(0)
	v_mul_f64 v[192:193], v[212:213], v[194:195]
	v_fma_f64 v[192:193], v[210:211], v[208:209], -v[192:193]
	v_mul_f64 v[210:211], v[210:211], v[194:195]
	s_delay_alu instid0(VALU_DEP_2) | instskip(NEXT) | instid1(VALU_DEP_2)
	v_add_f64 v[160:161], v[160:161], -v[192:193]
	v_fma_f64 v[210:211], v[212:213], v[208:209], v[210:211]
	s_delay_alu instid0(VALU_DEP_1) | instskip(SKIP_3) | instid1(VALU_DEP_1)
	v_add_f64 v[162:163], v[162:163], -v[210:211]
	ds_load_2addr_b64 v[210:213], v228 offset0:24 offset1:25
	s_waitcnt lgkmcnt(0)
	v_mul_f64 v[192:193], v[212:213], v[194:195]
	v_fma_f64 v[192:193], v[210:211], v[208:209], -v[192:193]
	v_mul_f64 v[210:211], v[210:211], v[194:195]
	s_delay_alu instid0(VALU_DEP_2) | instskip(NEXT) | instid1(VALU_DEP_2)
	v_add_f64 v[156:157], v[156:157], -v[192:193]
	v_fma_f64 v[210:211], v[212:213], v[208:209], v[210:211]
	s_delay_alu instid0(VALU_DEP_1) | instskip(SKIP_3) | instid1(VALU_DEP_1)
	v_add_f64 v[158:159], v[158:159], -v[210:211]
	ds_load_2addr_b64 v[210:213], v228 offset0:26 offset1:27
	s_waitcnt lgkmcnt(0)
	v_mul_f64 v[192:193], v[212:213], v[194:195]
	v_fma_f64 v[192:193], v[210:211], v[208:209], -v[192:193]
	v_mul_f64 v[210:211], v[210:211], v[194:195]
	s_delay_alu instid0(VALU_DEP_2) | instskip(NEXT) | instid1(VALU_DEP_2)
	v_add_f64 v[152:153], v[152:153], -v[192:193]
	v_fma_f64 v[210:211], v[212:213], v[208:209], v[210:211]
	s_delay_alu instid0(VALU_DEP_1) | instskip(SKIP_3) | instid1(VALU_DEP_1)
	v_add_f64 v[154:155], v[154:155], -v[210:211]
	ds_load_2addr_b64 v[210:213], v228 offset0:28 offset1:29
	s_waitcnt lgkmcnt(0)
	v_mul_f64 v[192:193], v[212:213], v[194:195]
	v_fma_f64 v[192:193], v[210:211], v[208:209], -v[192:193]
	v_mul_f64 v[210:211], v[210:211], v[194:195]
	s_delay_alu instid0(VALU_DEP_2) | instskip(NEXT) | instid1(VALU_DEP_2)
	v_add_f64 v[148:149], v[148:149], -v[192:193]
	v_fma_f64 v[210:211], v[212:213], v[208:209], v[210:211]
	s_delay_alu instid0(VALU_DEP_1) | instskip(SKIP_3) | instid1(VALU_DEP_1)
	v_add_f64 v[150:151], v[150:151], -v[210:211]
	ds_load_2addr_b64 v[210:213], v228 offset0:30 offset1:31
	s_waitcnt lgkmcnt(0)
	v_mul_f64 v[192:193], v[212:213], v[194:195]
	v_fma_f64 v[192:193], v[210:211], v[208:209], -v[192:193]
	v_mul_f64 v[210:211], v[210:211], v[194:195]
	s_delay_alu instid0(VALU_DEP_2) | instskip(NEXT) | instid1(VALU_DEP_2)
	v_add_f64 v[144:145], v[144:145], -v[192:193]
	v_fma_f64 v[210:211], v[212:213], v[208:209], v[210:211]
	s_delay_alu instid0(VALU_DEP_1) | instskip(SKIP_3) | instid1(VALU_DEP_1)
	v_add_f64 v[146:147], v[146:147], -v[210:211]
	ds_load_2addr_b64 v[210:213], v228 offset0:32 offset1:33
	s_waitcnt lgkmcnt(0)
	v_mul_f64 v[192:193], v[212:213], v[194:195]
	v_fma_f64 v[192:193], v[210:211], v[208:209], -v[192:193]
	v_mul_f64 v[210:211], v[210:211], v[194:195]
	s_delay_alu instid0(VALU_DEP_2) | instskip(NEXT) | instid1(VALU_DEP_2)
	v_add_f64 v[140:141], v[140:141], -v[192:193]
	v_fma_f64 v[210:211], v[212:213], v[208:209], v[210:211]
	s_delay_alu instid0(VALU_DEP_1) | instskip(SKIP_3) | instid1(VALU_DEP_1)
	v_add_f64 v[142:143], v[142:143], -v[210:211]
	ds_load_2addr_b64 v[210:213], v228 offset0:34 offset1:35
	s_waitcnt lgkmcnt(0)
	v_mul_f64 v[192:193], v[212:213], v[194:195]
	v_fma_f64 v[192:193], v[210:211], v[208:209], -v[192:193]
	v_mul_f64 v[210:211], v[210:211], v[194:195]
	s_delay_alu instid0(VALU_DEP_2) | instskip(NEXT) | instid1(VALU_DEP_2)
	v_add_f64 v[136:137], v[136:137], -v[192:193]
	v_fma_f64 v[210:211], v[212:213], v[208:209], v[210:211]
	s_delay_alu instid0(VALU_DEP_1) | instskip(SKIP_3) | instid1(VALU_DEP_1)
	v_add_f64 v[138:139], v[138:139], -v[210:211]
	ds_load_2addr_b64 v[210:213], v228 offset0:36 offset1:37
	s_waitcnt lgkmcnt(0)
	v_mul_f64 v[192:193], v[212:213], v[194:195]
	v_fma_f64 v[192:193], v[210:211], v[208:209], -v[192:193]
	v_mul_f64 v[210:211], v[210:211], v[194:195]
	s_delay_alu instid0(VALU_DEP_2) | instskip(NEXT) | instid1(VALU_DEP_2)
	v_add_f64 v[132:133], v[132:133], -v[192:193]
	v_fma_f64 v[210:211], v[212:213], v[208:209], v[210:211]
	s_delay_alu instid0(VALU_DEP_1) | instskip(SKIP_3) | instid1(VALU_DEP_1)
	v_add_f64 v[134:135], v[134:135], -v[210:211]
	ds_load_2addr_b64 v[210:213], v228 offset0:38 offset1:39
	s_waitcnt lgkmcnt(0)
	v_mul_f64 v[192:193], v[212:213], v[194:195]
	v_fma_f64 v[192:193], v[210:211], v[208:209], -v[192:193]
	v_mul_f64 v[210:211], v[210:211], v[194:195]
	s_delay_alu instid0(VALU_DEP_2) | instskip(NEXT) | instid1(VALU_DEP_2)
	v_add_f64 v[128:129], v[128:129], -v[192:193]
	v_fma_f64 v[210:211], v[212:213], v[208:209], v[210:211]
	s_delay_alu instid0(VALU_DEP_1) | instskip(SKIP_3) | instid1(VALU_DEP_1)
	v_add_f64 v[130:131], v[130:131], -v[210:211]
	ds_load_2addr_b64 v[210:213], v228 offset0:40 offset1:41
	s_waitcnt lgkmcnt(0)
	v_mul_f64 v[192:193], v[212:213], v[194:195]
	v_fma_f64 v[192:193], v[210:211], v[208:209], -v[192:193]
	v_mul_f64 v[210:211], v[210:211], v[194:195]
	s_delay_alu instid0(VALU_DEP_2) | instskip(NEXT) | instid1(VALU_DEP_2)
	v_add_f64 v[124:125], v[124:125], -v[192:193]
	v_fma_f64 v[210:211], v[212:213], v[208:209], v[210:211]
	s_delay_alu instid0(VALU_DEP_1) | instskip(SKIP_3) | instid1(VALU_DEP_1)
	v_add_f64 v[126:127], v[126:127], -v[210:211]
	ds_load_2addr_b64 v[210:213], v228 offset0:42 offset1:43
	s_waitcnt lgkmcnt(0)
	v_mul_f64 v[192:193], v[212:213], v[194:195]
	v_fma_f64 v[192:193], v[210:211], v[208:209], -v[192:193]
	v_mul_f64 v[210:211], v[210:211], v[194:195]
	s_delay_alu instid0(VALU_DEP_2) | instskip(NEXT) | instid1(VALU_DEP_2)
	v_add_f64 v[120:121], v[120:121], -v[192:193]
	v_fma_f64 v[210:211], v[212:213], v[208:209], v[210:211]
	s_delay_alu instid0(VALU_DEP_1) | instskip(SKIP_3) | instid1(VALU_DEP_1)
	v_add_f64 v[122:123], v[122:123], -v[210:211]
	ds_load_2addr_b64 v[210:213], v228 offset0:44 offset1:45
	s_waitcnt lgkmcnt(0)
	v_mul_f64 v[192:193], v[212:213], v[194:195]
	v_fma_f64 v[192:193], v[210:211], v[208:209], -v[192:193]
	v_mul_f64 v[210:211], v[210:211], v[194:195]
	s_delay_alu instid0(VALU_DEP_2) | instskip(NEXT) | instid1(VALU_DEP_2)
	v_add_f64 v[116:117], v[116:117], -v[192:193]
	v_fma_f64 v[210:211], v[212:213], v[208:209], v[210:211]
	s_delay_alu instid0(VALU_DEP_1) | instskip(SKIP_3) | instid1(VALU_DEP_1)
	v_add_f64 v[118:119], v[118:119], -v[210:211]
	ds_load_2addr_b64 v[210:213], v228 offset0:46 offset1:47
	s_waitcnt lgkmcnt(0)
	v_mul_f64 v[192:193], v[212:213], v[194:195]
	v_fma_f64 v[192:193], v[210:211], v[208:209], -v[192:193]
	v_mul_f64 v[210:211], v[210:211], v[194:195]
	s_delay_alu instid0(VALU_DEP_2) | instskip(NEXT) | instid1(VALU_DEP_2)
	v_add_f64 v[112:113], v[112:113], -v[192:193]
	v_fma_f64 v[210:211], v[212:213], v[208:209], v[210:211]
	s_delay_alu instid0(VALU_DEP_1) | instskip(SKIP_3) | instid1(VALU_DEP_1)
	v_add_f64 v[114:115], v[114:115], -v[210:211]
	ds_load_2addr_b64 v[210:213], v228 offset0:48 offset1:49
	s_waitcnt lgkmcnt(0)
	v_mul_f64 v[192:193], v[212:213], v[194:195]
	v_fma_f64 v[192:193], v[210:211], v[208:209], -v[192:193]
	v_mul_f64 v[210:211], v[210:211], v[194:195]
	s_delay_alu instid0(VALU_DEP_2) | instskip(NEXT) | instid1(VALU_DEP_2)
	v_add_f64 v[108:109], v[108:109], -v[192:193]
	v_fma_f64 v[210:211], v[212:213], v[208:209], v[210:211]
	s_delay_alu instid0(VALU_DEP_1) | instskip(SKIP_3) | instid1(VALU_DEP_1)
	v_add_f64 v[110:111], v[110:111], -v[210:211]
	ds_load_2addr_b64 v[210:213], v228 offset0:50 offset1:51
	s_waitcnt lgkmcnt(0)
	v_mul_f64 v[192:193], v[212:213], v[194:195]
	v_fma_f64 v[192:193], v[210:211], v[208:209], -v[192:193]
	v_mul_f64 v[210:211], v[210:211], v[194:195]
	s_delay_alu instid0(VALU_DEP_2) | instskip(NEXT) | instid1(VALU_DEP_2)
	v_add_f64 v[104:105], v[104:105], -v[192:193]
	v_fma_f64 v[210:211], v[212:213], v[208:209], v[210:211]
	s_delay_alu instid0(VALU_DEP_1) | instskip(SKIP_3) | instid1(VALU_DEP_1)
	v_add_f64 v[106:107], v[106:107], -v[210:211]
	ds_load_2addr_b64 v[210:213], v228 offset0:52 offset1:53
	s_waitcnt lgkmcnt(0)
	v_mul_f64 v[192:193], v[212:213], v[194:195]
	v_fma_f64 v[192:193], v[210:211], v[208:209], -v[192:193]
	v_mul_f64 v[210:211], v[210:211], v[194:195]
	s_delay_alu instid0(VALU_DEP_2) | instskip(NEXT) | instid1(VALU_DEP_2)
	v_add_f64 v[100:101], v[100:101], -v[192:193]
	v_fma_f64 v[210:211], v[212:213], v[208:209], v[210:211]
	s_delay_alu instid0(VALU_DEP_1) | instskip(SKIP_3) | instid1(VALU_DEP_1)
	v_add_f64 v[102:103], v[102:103], -v[210:211]
	ds_load_2addr_b64 v[210:213], v228 offset0:54 offset1:55
	s_waitcnt lgkmcnt(0)
	v_mul_f64 v[192:193], v[212:213], v[194:195]
	v_fma_f64 v[192:193], v[210:211], v[208:209], -v[192:193]
	v_mul_f64 v[210:211], v[210:211], v[194:195]
	s_delay_alu instid0(VALU_DEP_2) | instskip(NEXT) | instid1(VALU_DEP_2)
	v_add_f64 v[96:97], v[96:97], -v[192:193]
	v_fma_f64 v[210:211], v[212:213], v[208:209], v[210:211]
	s_delay_alu instid0(VALU_DEP_1) | instskip(SKIP_3) | instid1(VALU_DEP_1)
	v_add_f64 v[98:99], v[98:99], -v[210:211]
	ds_load_2addr_b64 v[210:213], v228 offset0:56 offset1:57
	s_waitcnt lgkmcnt(0)
	v_mul_f64 v[192:193], v[212:213], v[194:195]
	v_fma_f64 v[192:193], v[210:211], v[208:209], -v[192:193]
	v_mul_f64 v[210:211], v[210:211], v[194:195]
	s_delay_alu instid0(VALU_DEP_2) | instskip(NEXT) | instid1(VALU_DEP_2)
	v_add_f64 v[92:93], v[92:93], -v[192:193]
	v_fma_f64 v[210:211], v[212:213], v[208:209], v[210:211]
	s_delay_alu instid0(VALU_DEP_1) | instskip(SKIP_3) | instid1(VALU_DEP_1)
	v_add_f64 v[94:95], v[94:95], -v[210:211]
	ds_load_2addr_b64 v[210:213], v228 offset0:58 offset1:59
	s_waitcnt lgkmcnt(0)
	v_mul_f64 v[192:193], v[212:213], v[194:195]
	v_fma_f64 v[192:193], v[210:211], v[208:209], -v[192:193]
	v_mul_f64 v[210:211], v[210:211], v[194:195]
	s_delay_alu instid0(VALU_DEP_2) | instskip(NEXT) | instid1(VALU_DEP_2)
	v_add_f64 v[88:89], v[88:89], -v[192:193]
	v_fma_f64 v[210:211], v[212:213], v[208:209], v[210:211]
	s_delay_alu instid0(VALU_DEP_1) | instskip(SKIP_3) | instid1(VALU_DEP_1)
	v_add_f64 v[90:91], v[90:91], -v[210:211]
	ds_load_2addr_b64 v[210:213], v228 offset0:60 offset1:61
	s_waitcnt lgkmcnt(0)
	v_mul_f64 v[192:193], v[212:213], v[194:195]
	v_fma_f64 v[192:193], v[210:211], v[208:209], -v[192:193]
	v_mul_f64 v[210:211], v[210:211], v[194:195]
	s_delay_alu instid0(VALU_DEP_2) | instskip(NEXT) | instid1(VALU_DEP_2)
	v_add_f64 v[84:85], v[84:85], -v[192:193]
	v_fma_f64 v[210:211], v[212:213], v[208:209], v[210:211]
	s_delay_alu instid0(VALU_DEP_1) | instskip(SKIP_3) | instid1(VALU_DEP_1)
	v_add_f64 v[86:87], v[86:87], -v[210:211]
	ds_load_2addr_b64 v[210:213], v228 offset0:62 offset1:63
	s_waitcnt lgkmcnt(0)
	v_mul_f64 v[192:193], v[212:213], v[194:195]
	v_fma_f64 v[192:193], v[210:211], v[208:209], -v[192:193]
	v_mul_f64 v[210:211], v[210:211], v[194:195]
	s_delay_alu instid0(VALU_DEP_2) | instskip(NEXT) | instid1(VALU_DEP_2)
	v_add_f64 v[80:81], v[80:81], -v[192:193]
	v_fma_f64 v[210:211], v[212:213], v[208:209], v[210:211]
	s_delay_alu instid0(VALU_DEP_1) | instskip(SKIP_3) | instid1(VALU_DEP_1)
	v_add_f64 v[82:83], v[82:83], -v[210:211]
	ds_load_2addr_b64 v[210:213], v228 offset0:64 offset1:65
	s_waitcnt lgkmcnt(0)
	v_mul_f64 v[192:193], v[212:213], v[194:195]
	v_fma_f64 v[192:193], v[210:211], v[208:209], -v[192:193]
	v_mul_f64 v[210:211], v[210:211], v[194:195]
	s_delay_alu instid0(VALU_DEP_2) | instskip(NEXT) | instid1(VALU_DEP_2)
	v_add_f64 v[76:77], v[76:77], -v[192:193]
	v_fma_f64 v[210:211], v[212:213], v[208:209], v[210:211]
	s_delay_alu instid0(VALU_DEP_1) | instskip(SKIP_3) | instid1(VALU_DEP_1)
	v_add_f64 v[78:79], v[78:79], -v[210:211]
	ds_load_2addr_b64 v[210:213], v228 offset0:66 offset1:67
	s_waitcnt lgkmcnt(0)
	v_mul_f64 v[192:193], v[212:213], v[194:195]
	v_fma_f64 v[192:193], v[210:211], v[208:209], -v[192:193]
	v_mul_f64 v[210:211], v[210:211], v[194:195]
	s_delay_alu instid0(VALU_DEP_2) | instskip(NEXT) | instid1(VALU_DEP_2)
	v_add_f64 v[72:73], v[72:73], -v[192:193]
	v_fma_f64 v[210:211], v[212:213], v[208:209], v[210:211]
	s_delay_alu instid0(VALU_DEP_1) | instskip(SKIP_3) | instid1(VALU_DEP_1)
	v_add_f64 v[74:75], v[74:75], -v[210:211]
	ds_load_2addr_b64 v[210:213], v228 offset0:68 offset1:69
	s_waitcnt lgkmcnt(0)
	v_mul_f64 v[192:193], v[212:213], v[194:195]
	v_fma_f64 v[192:193], v[210:211], v[208:209], -v[192:193]
	v_mul_f64 v[210:211], v[210:211], v[194:195]
	s_delay_alu instid0(VALU_DEP_2) | instskip(NEXT) | instid1(VALU_DEP_2)
	v_add_f64 v[68:69], v[68:69], -v[192:193]
	v_fma_f64 v[210:211], v[212:213], v[208:209], v[210:211]
	s_delay_alu instid0(VALU_DEP_1) | instskip(SKIP_3) | instid1(VALU_DEP_1)
	v_add_f64 v[70:71], v[70:71], -v[210:211]
	ds_load_2addr_b64 v[210:213], v228 offset0:70 offset1:71
	s_waitcnt lgkmcnt(0)
	v_mul_f64 v[192:193], v[212:213], v[194:195]
	v_fma_f64 v[192:193], v[210:211], v[208:209], -v[192:193]
	v_mul_f64 v[210:211], v[210:211], v[194:195]
	s_delay_alu instid0(VALU_DEP_2) | instskip(NEXT) | instid1(VALU_DEP_2)
	v_add_f64 v[64:65], v[64:65], -v[192:193]
	v_fma_f64 v[210:211], v[212:213], v[208:209], v[210:211]
	s_delay_alu instid0(VALU_DEP_1) | instskip(SKIP_3) | instid1(VALU_DEP_1)
	v_add_f64 v[66:67], v[66:67], -v[210:211]
	ds_load_2addr_b64 v[210:213], v228 offset0:72 offset1:73
	s_waitcnt lgkmcnt(0)
	v_mul_f64 v[192:193], v[212:213], v[194:195]
	v_fma_f64 v[192:193], v[210:211], v[208:209], -v[192:193]
	v_mul_f64 v[210:211], v[210:211], v[194:195]
	s_delay_alu instid0(VALU_DEP_2) | instskip(NEXT) | instid1(VALU_DEP_2)
	v_add_f64 v[60:61], v[60:61], -v[192:193]
	v_fma_f64 v[210:211], v[212:213], v[208:209], v[210:211]
	s_delay_alu instid0(VALU_DEP_1) | instskip(SKIP_3) | instid1(VALU_DEP_1)
	v_add_f64 v[62:63], v[62:63], -v[210:211]
	ds_load_2addr_b64 v[210:213], v228 offset0:74 offset1:75
	s_waitcnt lgkmcnt(0)
	v_mul_f64 v[192:193], v[212:213], v[194:195]
	v_fma_f64 v[192:193], v[210:211], v[208:209], -v[192:193]
	v_mul_f64 v[210:211], v[210:211], v[194:195]
	s_delay_alu instid0(VALU_DEP_2) | instskip(NEXT) | instid1(VALU_DEP_2)
	v_add_f64 v[56:57], v[56:57], -v[192:193]
	v_fma_f64 v[210:211], v[212:213], v[208:209], v[210:211]
	s_delay_alu instid0(VALU_DEP_1) | instskip(SKIP_3) | instid1(VALU_DEP_1)
	v_add_f64 v[58:59], v[58:59], -v[210:211]
	ds_load_2addr_b64 v[210:213], v228 offset0:76 offset1:77
	s_waitcnt lgkmcnt(0)
	v_mul_f64 v[192:193], v[212:213], v[194:195]
	v_fma_f64 v[192:193], v[210:211], v[208:209], -v[192:193]
	v_mul_f64 v[210:211], v[210:211], v[194:195]
	s_delay_alu instid0(VALU_DEP_2) | instskip(NEXT) | instid1(VALU_DEP_2)
	v_add_f64 v[52:53], v[52:53], -v[192:193]
	v_fma_f64 v[210:211], v[212:213], v[208:209], v[210:211]
	s_delay_alu instid0(VALU_DEP_1) | instskip(SKIP_3) | instid1(VALU_DEP_1)
	v_add_f64 v[54:55], v[54:55], -v[210:211]
	ds_load_2addr_b64 v[210:213], v228 offset0:78 offset1:79
	s_waitcnt lgkmcnt(0)
	v_mul_f64 v[192:193], v[212:213], v[194:195]
	v_fma_f64 v[192:193], v[210:211], v[208:209], -v[192:193]
	v_mul_f64 v[210:211], v[210:211], v[194:195]
	s_delay_alu instid0(VALU_DEP_2) | instskip(NEXT) | instid1(VALU_DEP_2)
	v_add_f64 v[48:49], v[48:49], -v[192:193]
	v_fma_f64 v[210:211], v[212:213], v[208:209], v[210:211]
	s_delay_alu instid0(VALU_DEP_1) | instskip(SKIP_3) | instid1(VALU_DEP_1)
	v_add_f64 v[50:51], v[50:51], -v[210:211]
	ds_load_2addr_b64 v[210:213], v228 offset0:80 offset1:81
	s_waitcnt lgkmcnt(0)
	v_mul_f64 v[192:193], v[212:213], v[194:195]
	v_fma_f64 v[192:193], v[210:211], v[208:209], -v[192:193]
	v_mul_f64 v[210:211], v[210:211], v[194:195]
	s_delay_alu instid0(VALU_DEP_2) | instskip(NEXT) | instid1(VALU_DEP_2)
	v_add_f64 v[44:45], v[44:45], -v[192:193]
	v_fma_f64 v[210:211], v[212:213], v[208:209], v[210:211]
	s_delay_alu instid0(VALU_DEP_1) | instskip(SKIP_3) | instid1(VALU_DEP_1)
	v_add_f64 v[46:47], v[46:47], -v[210:211]
	ds_load_2addr_b64 v[210:213], v228 offset0:82 offset1:83
	s_waitcnt lgkmcnt(0)
	v_mul_f64 v[192:193], v[212:213], v[194:195]
	v_fma_f64 v[192:193], v[210:211], v[208:209], -v[192:193]
	v_mul_f64 v[210:211], v[210:211], v[194:195]
	s_delay_alu instid0(VALU_DEP_2) | instskip(NEXT) | instid1(VALU_DEP_2)
	v_add_f64 v[40:41], v[40:41], -v[192:193]
	v_fma_f64 v[210:211], v[212:213], v[208:209], v[210:211]
	s_delay_alu instid0(VALU_DEP_1) | instskip(SKIP_3) | instid1(VALU_DEP_1)
	v_add_f64 v[42:43], v[42:43], -v[210:211]
	ds_load_2addr_b64 v[210:213], v228 offset0:84 offset1:85
	s_waitcnt lgkmcnt(0)
	v_mul_f64 v[192:193], v[212:213], v[194:195]
	v_fma_f64 v[192:193], v[210:211], v[208:209], -v[192:193]
	v_mul_f64 v[210:211], v[210:211], v[194:195]
	s_delay_alu instid0(VALU_DEP_2) | instskip(NEXT) | instid1(VALU_DEP_2)
	v_add_f64 v[36:37], v[36:37], -v[192:193]
	v_fma_f64 v[210:211], v[212:213], v[208:209], v[210:211]
	s_delay_alu instid0(VALU_DEP_1) | instskip(SKIP_3) | instid1(VALU_DEP_1)
	v_add_f64 v[38:39], v[38:39], -v[210:211]
	ds_load_2addr_b64 v[210:213], v228 offset0:86 offset1:87
	s_waitcnt lgkmcnt(0)
	v_mul_f64 v[192:193], v[212:213], v[194:195]
	v_fma_f64 v[192:193], v[210:211], v[208:209], -v[192:193]
	v_mul_f64 v[210:211], v[210:211], v[194:195]
	s_delay_alu instid0(VALU_DEP_2) | instskip(NEXT) | instid1(VALU_DEP_2)
	v_add_f64 v[32:33], v[32:33], -v[192:193]
	v_fma_f64 v[210:211], v[212:213], v[208:209], v[210:211]
	s_delay_alu instid0(VALU_DEP_1) | instskip(SKIP_3) | instid1(VALU_DEP_1)
	v_add_f64 v[34:35], v[34:35], -v[210:211]
	ds_load_2addr_b64 v[210:213], v228 offset0:88 offset1:89
	s_waitcnt lgkmcnt(0)
	v_mul_f64 v[192:193], v[212:213], v[194:195]
	v_fma_f64 v[192:193], v[210:211], v[208:209], -v[192:193]
	v_mul_f64 v[210:211], v[210:211], v[194:195]
	s_delay_alu instid0(VALU_DEP_2) | instskip(NEXT) | instid1(VALU_DEP_2)
	v_add_f64 v[28:29], v[28:29], -v[192:193]
	v_fma_f64 v[210:211], v[212:213], v[208:209], v[210:211]
	s_delay_alu instid0(VALU_DEP_1) | instskip(SKIP_3) | instid1(VALU_DEP_1)
	v_add_f64 v[30:31], v[30:31], -v[210:211]
	ds_load_2addr_b64 v[210:213], v228 offset0:90 offset1:91
	s_waitcnt lgkmcnt(0)
	v_mul_f64 v[192:193], v[212:213], v[194:195]
	v_fma_f64 v[192:193], v[210:211], v[208:209], -v[192:193]
	v_mul_f64 v[210:211], v[210:211], v[194:195]
	s_delay_alu instid0(VALU_DEP_2) | instskip(NEXT) | instid1(VALU_DEP_2)
	v_add_f64 v[24:25], v[24:25], -v[192:193]
	v_fma_f64 v[210:211], v[212:213], v[208:209], v[210:211]
	s_delay_alu instid0(VALU_DEP_1) | instskip(SKIP_3) | instid1(VALU_DEP_1)
	v_add_f64 v[26:27], v[26:27], -v[210:211]
	ds_load_2addr_b64 v[210:213], v228 offset0:92 offset1:93
	s_waitcnt lgkmcnt(0)
	v_mul_f64 v[192:193], v[212:213], v[194:195]
	v_fma_f64 v[192:193], v[210:211], v[208:209], -v[192:193]
	v_mul_f64 v[210:211], v[210:211], v[194:195]
	s_delay_alu instid0(VALU_DEP_2) | instskip(NEXT) | instid1(VALU_DEP_2)
	v_add_f64 v[20:21], v[20:21], -v[192:193]
	v_fma_f64 v[210:211], v[212:213], v[208:209], v[210:211]
	s_delay_alu instid0(VALU_DEP_1) | instskip(SKIP_3) | instid1(VALU_DEP_1)
	v_add_f64 v[22:23], v[22:23], -v[210:211]
	ds_load_2addr_b64 v[210:213], v228 offset0:94 offset1:95
	s_waitcnt lgkmcnt(0)
	v_mul_f64 v[192:193], v[212:213], v[194:195]
	v_fma_f64 v[192:193], v[210:211], v[208:209], -v[192:193]
	v_mul_f64 v[210:211], v[210:211], v[194:195]
	s_delay_alu instid0(VALU_DEP_2) | instskip(NEXT) | instid1(VALU_DEP_2)
	v_add_f64 v[16:17], v[16:17], -v[192:193]
	v_fma_f64 v[210:211], v[212:213], v[208:209], v[210:211]
	s_delay_alu instid0(VALU_DEP_1) | instskip(SKIP_3) | instid1(VALU_DEP_1)
	v_add_f64 v[18:19], v[18:19], -v[210:211]
	ds_load_2addr_b64 v[210:213], v228 offset0:96 offset1:97
	s_waitcnt lgkmcnt(0)
	v_mul_f64 v[192:193], v[212:213], v[194:195]
	v_fma_f64 v[192:193], v[210:211], v[208:209], -v[192:193]
	v_mul_f64 v[210:211], v[210:211], v[194:195]
	s_delay_alu instid0(VALU_DEP_2) | instskip(NEXT) | instid1(VALU_DEP_2)
	v_add_f64 v[12:13], v[12:13], -v[192:193]
	v_fma_f64 v[210:211], v[212:213], v[208:209], v[210:211]
	s_delay_alu instid0(VALU_DEP_1) | instskip(SKIP_3) | instid1(VALU_DEP_1)
	v_add_f64 v[14:15], v[14:15], -v[210:211]
	ds_load_2addr_b64 v[210:213], v228 offset0:98 offset1:99
	s_waitcnt lgkmcnt(0)
	v_mul_f64 v[192:193], v[212:213], v[194:195]
	v_fma_f64 v[192:193], v[210:211], v[208:209], -v[192:193]
	v_mul_f64 v[210:211], v[210:211], v[194:195]
	s_delay_alu instid0(VALU_DEP_2) | instskip(NEXT) | instid1(VALU_DEP_2)
	v_add_f64 v[8:9], v[8:9], -v[192:193]
	v_fma_f64 v[210:211], v[212:213], v[208:209], v[210:211]
	s_delay_alu instid0(VALU_DEP_1) | instskip(SKIP_3) | instid1(VALU_DEP_1)
	v_add_f64 v[10:11], v[10:11], -v[210:211]
	ds_load_2addr_b64 v[210:213], v228 offset0:100 offset1:101
	s_waitcnt lgkmcnt(0)
	v_mul_f64 v[192:193], v[212:213], v[194:195]
	v_fma_f64 v[192:193], v[210:211], v[208:209], -v[192:193]
	v_mul_f64 v[210:211], v[210:211], v[194:195]
	s_delay_alu instid0(VALU_DEP_2) | instskip(NEXT) | instid1(VALU_DEP_2)
	v_add_f64 v[4:5], v[4:5], -v[192:193]
	v_fma_f64 v[210:211], v[212:213], v[208:209], v[210:211]
	s_delay_alu instid0(VALU_DEP_1) | instskip(SKIP_3) | instid1(VALU_DEP_1)
	v_add_f64 v[6:7], v[6:7], -v[210:211]
	ds_load_2addr_b64 v[210:213], v228 offset0:102 offset1:103
	s_waitcnt lgkmcnt(0)
	v_mul_f64 v[192:193], v[212:213], v[194:195]
	v_fma_f64 v[192:193], v[210:211], v[208:209], -v[192:193]
	v_mul_f64 v[210:211], v[210:211], v[194:195]
	s_delay_alu instid0(VALU_DEP_2) | instskip(NEXT) | instid1(VALU_DEP_2)
	v_add_f64 v[0:1], v[0:1], -v[192:193]
	v_fma_f64 v[210:211], v[212:213], v[208:209], v[210:211]
	v_dual_mov_b32 v192, v208 :: v_dual_mov_b32 v193, v209
	s_delay_alu instid0(VALU_DEP_2)
	v_add_f64 v[2:3], v[2:3], -v[210:211]
.LBB103_37:
	s_or_b32 exec_lo, exec_lo, s3
	s_delay_alu instid0(SALU_CYCLE_1)
	s_mov_b32 s4, exec_lo
	s_waitcnt_vscnt null, 0x0
	s_barrier
	buffer_gl0_inv
	v_cmpx_eq_u32_e32 4, v226
	s_cbranch_execz .LBB103_44
; %bb.38:
	ds_store_2addr_b64 v227, v[188:189], v[190:191] offset1:1
	ds_store_2addr_b64 v228, v[184:185], v[186:187] offset0:10 offset1:11
	ds_store_2addr_b64 v228, v[180:181], v[182:183] offset0:12 offset1:13
	;; [unrolled: 1-line block ×47, first 2 shown]
	ds_load_2addr_b64 v[208:211], v227 offset1:1
	s_waitcnt lgkmcnt(0)
	v_cmp_neq_f64_e32 vcc_lo, 0, v[208:209]
	v_cmp_neq_f64_e64 s3, 0, v[210:211]
	s_delay_alu instid0(VALU_DEP_1) | instskip(NEXT) | instid1(SALU_CYCLE_1)
	s_or_b32 s3, vcc_lo, s3
	s_and_b32 exec_lo, exec_lo, s3
	s_cbranch_execz .LBB103_44
; %bb.39:
	v_cmp_gt_f64_e32 vcc_lo, 0, v[208:209]
	v_xor_b32_e32 v204, 0x80000000, v209
	s_mov_b32 s3, exec_lo
                                        ; implicit-def: $vgpr216_vgpr217
	s_delay_alu instid0(VALU_DEP_1) | instskip(SKIP_3) | instid1(VALU_DEP_1)
	v_cndmask_b32_e32 v213, v209, v204, vcc_lo
	v_cndmask_b32_e32 v212, v208, v208, vcc_lo
	v_cmp_gt_f64_e32 vcc_lo, 0, v[210:211]
	v_xor_b32_e32 v204, 0x80000000, v211
	v_dual_cndmask_b32 v214, v210, v210 :: v_dual_cndmask_b32 v215, v211, v204
	s_delay_alu instid0(VALU_DEP_1)
	v_cmpx_ngt_f64_e32 v[212:213], v[214:215]
	s_xor_b32 s3, exec_lo, s3
                                        ; implicit-def: $vgpr212_vgpr213_vgpr214_vgpr215
	s_cbranch_execz .LBB103_41
; %bb.40:
	v_div_scale_f64 v[212:213], null, v[210:211], v[210:211], v[208:209]
	v_div_scale_f64 v[218:219], vcc_lo, v[208:209], v[210:211], v[208:209]
	s_delay_alu instid0(VALU_DEP_2) | instskip(SKIP_2) | instid1(VALU_DEP_1)
	v_rcp_f64_e32 v[214:215], v[212:213]
	s_waitcnt_depctr 0xfff
	v_fma_f64 v[216:217], -v[212:213], v[214:215], 1.0
	v_fma_f64 v[214:215], v[214:215], v[216:217], v[214:215]
	s_delay_alu instid0(VALU_DEP_1) | instskip(NEXT) | instid1(VALU_DEP_1)
	v_fma_f64 v[216:217], -v[212:213], v[214:215], 1.0
	v_fma_f64 v[214:215], v[214:215], v[216:217], v[214:215]
	s_delay_alu instid0(VALU_DEP_1) | instskip(NEXT) | instid1(VALU_DEP_1)
	v_mul_f64 v[216:217], v[218:219], v[214:215]
	v_fma_f64 v[212:213], -v[212:213], v[216:217], v[218:219]
	s_delay_alu instid0(VALU_DEP_1) | instskip(NEXT) | instid1(VALU_DEP_1)
	v_div_fmas_f64 v[212:213], v[212:213], v[214:215], v[216:217]
	v_div_fixup_f64 v[212:213], v[212:213], v[210:211], v[208:209]
	s_delay_alu instid0(VALU_DEP_1) | instskip(NEXT) | instid1(VALU_DEP_1)
	v_fma_f64 v[208:209], v[208:209], v[212:213], v[210:211]
	v_div_scale_f64 v[210:211], null, v[208:209], v[208:209], 1.0
	s_delay_alu instid0(VALU_DEP_1) | instskip(SKIP_2) | instid1(VALU_DEP_1)
	v_rcp_f64_e32 v[214:215], v[210:211]
	s_waitcnt_depctr 0xfff
	v_fma_f64 v[216:217], -v[210:211], v[214:215], 1.0
	v_fma_f64 v[214:215], v[214:215], v[216:217], v[214:215]
	s_delay_alu instid0(VALU_DEP_1) | instskip(NEXT) | instid1(VALU_DEP_1)
	v_fma_f64 v[216:217], -v[210:211], v[214:215], 1.0
	v_fma_f64 v[214:215], v[214:215], v[216:217], v[214:215]
	v_div_scale_f64 v[216:217], vcc_lo, 1.0, v[208:209], 1.0
	s_delay_alu instid0(VALU_DEP_1) | instskip(NEXT) | instid1(VALU_DEP_1)
	v_mul_f64 v[218:219], v[216:217], v[214:215]
	v_fma_f64 v[210:211], -v[210:211], v[218:219], v[216:217]
	s_delay_alu instid0(VALU_DEP_1) | instskip(NEXT) | instid1(VALU_DEP_1)
	v_div_fmas_f64 v[210:211], v[210:211], v[214:215], v[218:219]
	v_div_fixup_f64 v[214:215], v[210:211], v[208:209], 1.0
                                        ; implicit-def: $vgpr208_vgpr209
	s_delay_alu instid0(VALU_DEP_1)
	v_mul_f64 v[216:217], v[212:213], v[214:215]
	v_xor_b32_e32 v215, 0x80000000, v215
.LBB103_41:
	s_and_not1_saveexec_b32 s3, s3
	s_cbranch_execz .LBB103_43
; %bb.42:
	v_div_scale_f64 v[212:213], null, v[208:209], v[208:209], v[210:211]
	v_div_scale_f64 v[218:219], vcc_lo, v[210:211], v[208:209], v[210:211]
	s_delay_alu instid0(VALU_DEP_2) | instskip(SKIP_2) | instid1(VALU_DEP_1)
	v_rcp_f64_e32 v[214:215], v[212:213]
	s_waitcnt_depctr 0xfff
	v_fma_f64 v[216:217], -v[212:213], v[214:215], 1.0
	v_fma_f64 v[214:215], v[214:215], v[216:217], v[214:215]
	s_delay_alu instid0(VALU_DEP_1) | instskip(NEXT) | instid1(VALU_DEP_1)
	v_fma_f64 v[216:217], -v[212:213], v[214:215], 1.0
	v_fma_f64 v[214:215], v[214:215], v[216:217], v[214:215]
	s_delay_alu instid0(VALU_DEP_1) | instskip(NEXT) | instid1(VALU_DEP_1)
	v_mul_f64 v[216:217], v[218:219], v[214:215]
	v_fma_f64 v[212:213], -v[212:213], v[216:217], v[218:219]
	s_delay_alu instid0(VALU_DEP_1) | instskip(NEXT) | instid1(VALU_DEP_1)
	v_div_fmas_f64 v[212:213], v[212:213], v[214:215], v[216:217]
	v_div_fixup_f64 v[212:213], v[212:213], v[208:209], v[210:211]
	s_delay_alu instid0(VALU_DEP_1) | instskip(NEXT) | instid1(VALU_DEP_1)
	v_fma_f64 v[208:209], v[210:211], v[212:213], v[208:209]
	v_div_scale_f64 v[210:211], null, v[208:209], v[208:209], 1.0
	s_delay_alu instid0(VALU_DEP_1) | instskip(SKIP_2) | instid1(VALU_DEP_1)
	v_rcp_f64_e32 v[214:215], v[210:211]
	s_waitcnt_depctr 0xfff
	v_fma_f64 v[216:217], -v[210:211], v[214:215], 1.0
	v_fma_f64 v[214:215], v[214:215], v[216:217], v[214:215]
	s_delay_alu instid0(VALU_DEP_1) | instskip(NEXT) | instid1(VALU_DEP_1)
	v_fma_f64 v[216:217], -v[210:211], v[214:215], 1.0
	v_fma_f64 v[214:215], v[214:215], v[216:217], v[214:215]
	v_div_scale_f64 v[216:217], vcc_lo, 1.0, v[208:209], 1.0
	s_delay_alu instid0(VALU_DEP_1) | instskip(NEXT) | instid1(VALU_DEP_1)
	v_mul_f64 v[218:219], v[216:217], v[214:215]
	v_fma_f64 v[210:211], -v[210:211], v[218:219], v[216:217]
	s_delay_alu instid0(VALU_DEP_1) | instskip(NEXT) | instid1(VALU_DEP_1)
	v_div_fmas_f64 v[210:211], v[210:211], v[214:215], v[218:219]
	v_div_fixup_f64 v[216:217], v[210:211], v[208:209], 1.0
	s_delay_alu instid0(VALU_DEP_1)
	v_mul_f64 v[214:215], v[212:213], -v[216:217]
.LBB103_43:
	s_or_b32 exec_lo, exec_lo, s3
	ds_store_2addr_b64 v227, v[216:217], v[214:215] offset1:1
.LBB103_44:
	s_or_b32 exec_lo, exec_lo, s4
	s_waitcnt lgkmcnt(0)
	s_barrier
	buffer_gl0_inv
	ds_load_2addr_b64 v[202:205], v227 offset1:1
	s_mov_b32 s3, exec_lo
	s_waitcnt lgkmcnt(0)
	scratch_store_b128 off, v[202:205], off offset:504 ; 16-byte Folded Spill
	v_cmpx_lt_u32_e32 4, v226
	s_cbranch_execz .LBB103_46
; %bb.45:
	scratch_load_b128 v[202:205], off, off offset:504 ; 16-byte Folded Reload
	ds_load_2addr_b64 v[210:213], v228 offset0:10 offset1:11
	s_waitcnt vmcnt(0)
	v_mul_f64 v[208:209], v[204:205], v[190:191]
	v_mul_f64 v[190:191], v[202:203], v[190:191]
	s_delay_alu instid0(VALU_DEP_2) | instskip(NEXT) | instid1(VALU_DEP_2)
	v_fma_f64 v[208:209], v[202:203], v[188:189], -v[208:209]
	v_fma_f64 v[190:191], v[204:205], v[188:189], v[190:191]
	s_waitcnt lgkmcnt(0)
	s_delay_alu instid0(VALU_DEP_1) | instskip(NEXT) | instid1(VALU_DEP_1)
	v_mul_f64 v[188:189], v[212:213], v[190:191]
	v_fma_f64 v[188:189], v[210:211], v[208:209], -v[188:189]
	v_mul_f64 v[210:211], v[210:211], v[190:191]
	s_delay_alu instid0(VALU_DEP_2) | instskip(NEXT) | instid1(VALU_DEP_2)
	v_add_f64 v[184:185], v[184:185], -v[188:189]
	v_fma_f64 v[210:211], v[212:213], v[208:209], v[210:211]
	s_delay_alu instid0(VALU_DEP_1) | instskip(SKIP_3) | instid1(VALU_DEP_1)
	v_add_f64 v[186:187], v[186:187], -v[210:211]
	ds_load_2addr_b64 v[210:213], v228 offset0:12 offset1:13
	s_waitcnt lgkmcnt(0)
	v_mul_f64 v[188:189], v[212:213], v[190:191]
	v_fma_f64 v[188:189], v[210:211], v[208:209], -v[188:189]
	v_mul_f64 v[210:211], v[210:211], v[190:191]
	s_delay_alu instid0(VALU_DEP_2) | instskip(NEXT) | instid1(VALU_DEP_2)
	v_add_f64 v[180:181], v[180:181], -v[188:189]
	v_fma_f64 v[210:211], v[212:213], v[208:209], v[210:211]
	s_delay_alu instid0(VALU_DEP_1) | instskip(SKIP_3) | instid1(VALU_DEP_1)
	v_add_f64 v[182:183], v[182:183], -v[210:211]
	ds_load_2addr_b64 v[210:213], v228 offset0:14 offset1:15
	s_waitcnt lgkmcnt(0)
	;; [unrolled: 10-line block ×46, first 2 shown]
	v_mul_f64 v[188:189], v[212:213], v[190:191]
	v_fma_f64 v[188:189], v[210:211], v[208:209], -v[188:189]
	v_mul_f64 v[210:211], v[210:211], v[190:191]
	s_delay_alu instid0(VALU_DEP_2) | instskip(NEXT) | instid1(VALU_DEP_2)
	v_add_f64 v[0:1], v[0:1], -v[188:189]
	v_fma_f64 v[210:211], v[212:213], v[208:209], v[210:211]
	v_dual_mov_b32 v188, v208 :: v_dual_mov_b32 v189, v209
	s_delay_alu instid0(VALU_DEP_2)
	v_add_f64 v[2:3], v[2:3], -v[210:211]
.LBB103_46:
	s_or_b32 exec_lo, exec_lo, s3
	s_delay_alu instid0(SALU_CYCLE_1)
	s_mov_b32 s4, exec_lo
	s_waitcnt_vscnt null, 0x0
	s_barrier
	buffer_gl0_inv
	v_cmpx_eq_u32_e32 5, v226
	s_cbranch_execz .LBB103_53
; %bb.47:
	ds_store_2addr_b64 v227, v[184:185], v[186:187] offset1:1
	ds_store_2addr_b64 v228, v[180:181], v[182:183] offset0:12 offset1:13
	ds_store_2addr_b64 v228, v[176:177], v[178:179] offset0:14 offset1:15
	;; [unrolled: 1-line block ×46, first 2 shown]
	ds_load_2addr_b64 v[208:211], v227 offset1:1
	s_waitcnt lgkmcnt(0)
	v_cmp_neq_f64_e32 vcc_lo, 0, v[208:209]
	v_cmp_neq_f64_e64 s3, 0, v[210:211]
	s_delay_alu instid0(VALU_DEP_1) | instskip(NEXT) | instid1(SALU_CYCLE_1)
	s_or_b32 s3, vcc_lo, s3
	s_and_b32 exec_lo, exec_lo, s3
	s_cbranch_execz .LBB103_53
; %bb.48:
	v_cmp_gt_f64_e32 vcc_lo, 0, v[208:209]
	v_xor_b32_e32 v204, 0x80000000, v209
	s_mov_b32 s3, exec_lo
                                        ; implicit-def: $vgpr216_vgpr217
	s_delay_alu instid0(VALU_DEP_1) | instskip(SKIP_3) | instid1(VALU_DEP_1)
	v_cndmask_b32_e32 v213, v209, v204, vcc_lo
	v_cndmask_b32_e32 v212, v208, v208, vcc_lo
	v_cmp_gt_f64_e32 vcc_lo, 0, v[210:211]
	v_xor_b32_e32 v204, 0x80000000, v211
	v_dual_cndmask_b32 v214, v210, v210 :: v_dual_cndmask_b32 v215, v211, v204
	s_delay_alu instid0(VALU_DEP_1)
	v_cmpx_ngt_f64_e32 v[212:213], v[214:215]
	s_xor_b32 s3, exec_lo, s3
                                        ; implicit-def: $vgpr212_vgpr213_vgpr214_vgpr215
	s_cbranch_execz .LBB103_50
; %bb.49:
	v_div_scale_f64 v[212:213], null, v[210:211], v[210:211], v[208:209]
	v_div_scale_f64 v[218:219], vcc_lo, v[208:209], v[210:211], v[208:209]
	s_delay_alu instid0(VALU_DEP_2) | instskip(SKIP_2) | instid1(VALU_DEP_1)
	v_rcp_f64_e32 v[214:215], v[212:213]
	s_waitcnt_depctr 0xfff
	v_fma_f64 v[216:217], -v[212:213], v[214:215], 1.0
	v_fma_f64 v[214:215], v[214:215], v[216:217], v[214:215]
	s_delay_alu instid0(VALU_DEP_1) | instskip(NEXT) | instid1(VALU_DEP_1)
	v_fma_f64 v[216:217], -v[212:213], v[214:215], 1.0
	v_fma_f64 v[214:215], v[214:215], v[216:217], v[214:215]
	s_delay_alu instid0(VALU_DEP_1) | instskip(NEXT) | instid1(VALU_DEP_1)
	v_mul_f64 v[216:217], v[218:219], v[214:215]
	v_fma_f64 v[212:213], -v[212:213], v[216:217], v[218:219]
	s_delay_alu instid0(VALU_DEP_1) | instskip(NEXT) | instid1(VALU_DEP_1)
	v_div_fmas_f64 v[212:213], v[212:213], v[214:215], v[216:217]
	v_div_fixup_f64 v[212:213], v[212:213], v[210:211], v[208:209]
	s_delay_alu instid0(VALU_DEP_1) | instskip(NEXT) | instid1(VALU_DEP_1)
	v_fma_f64 v[208:209], v[208:209], v[212:213], v[210:211]
	v_div_scale_f64 v[210:211], null, v[208:209], v[208:209], 1.0
	s_delay_alu instid0(VALU_DEP_1) | instskip(SKIP_2) | instid1(VALU_DEP_1)
	v_rcp_f64_e32 v[214:215], v[210:211]
	s_waitcnt_depctr 0xfff
	v_fma_f64 v[216:217], -v[210:211], v[214:215], 1.0
	v_fma_f64 v[214:215], v[214:215], v[216:217], v[214:215]
	s_delay_alu instid0(VALU_DEP_1) | instskip(NEXT) | instid1(VALU_DEP_1)
	v_fma_f64 v[216:217], -v[210:211], v[214:215], 1.0
	v_fma_f64 v[214:215], v[214:215], v[216:217], v[214:215]
	v_div_scale_f64 v[216:217], vcc_lo, 1.0, v[208:209], 1.0
	s_delay_alu instid0(VALU_DEP_1) | instskip(NEXT) | instid1(VALU_DEP_1)
	v_mul_f64 v[218:219], v[216:217], v[214:215]
	v_fma_f64 v[210:211], -v[210:211], v[218:219], v[216:217]
	s_delay_alu instid0(VALU_DEP_1) | instskip(NEXT) | instid1(VALU_DEP_1)
	v_div_fmas_f64 v[210:211], v[210:211], v[214:215], v[218:219]
	v_div_fixup_f64 v[214:215], v[210:211], v[208:209], 1.0
                                        ; implicit-def: $vgpr208_vgpr209
	s_delay_alu instid0(VALU_DEP_1)
	v_mul_f64 v[216:217], v[212:213], v[214:215]
	v_xor_b32_e32 v215, 0x80000000, v215
.LBB103_50:
	s_and_not1_saveexec_b32 s3, s3
	s_cbranch_execz .LBB103_52
; %bb.51:
	v_div_scale_f64 v[212:213], null, v[208:209], v[208:209], v[210:211]
	v_div_scale_f64 v[218:219], vcc_lo, v[210:211], v[208:209], v[210:211]
	s_delay_alu instid0(VALU_DEP_2) | instskip(SKIP_2) | instid1(VALU_DEP_1)
	v_rcp_f64_e32 v[214:215], v[212:213]
	s_waitcnt_depctr 0xfff
	v_fma_f64 v[216:217], -v[212:213], v[214:215], 1.0
	v_fma_f64 v[214:215], v[214:215], v[216:217], v[214:215]
	s_delay_alu instid0(VALU_DEP_1) | instskip(NEXT) | instid1(VALU_DEP_1)
	v_fma_f64 v[216:217], -v[212:213], v[214:215], 1.0
	v_fma_f64 v[214:215], v[214:215], v[216:217], v[214:215]
	s_delay_alu instid0(VALU_DEP_1) | instskip(NEXT) | instid1(VALU_DEP_1)
	v_mul_f64 v[216:217], v[218:219], v[214:215]
	v_fma_f64 v[212:213], -v[212:213], v[216:217], v[218:219]
	s_delay_alu instid0(VALU_DEP_1) | instskip(NEXT) | instid1(VALU_DEP_1)
	v_div_fmas_f64 v[212:213], v[212:213], v[214:215], v[216:217]
	v_div_fixup_f64 v[212:213], v[212:213], v[208:209], v[210:211]
	s_delay_alu instid0(VALU_DEP_1) | instskip(NEXT) | instid1(VALU_DEP_1)
	v_fma_f64 v[208:209], v[210:211], v[212:213], v[208:209]
	v_div_scale_f64 v[210:211], null, v[208:209], v[208:209], 1.0
	s_delay_alu instid0(VALU_DEP_1) | instskip(SKIP_2) | instid1(VALU_DEP_1)
	v_rcp_f64_e32 v[214:215], v[210:211]
	s_waitcnt_depctr 0xfff
	v_fma_f64 v[216:217], -v[210:211], v[214:215], 1.0
	v_fma_f64 v[214:215], v[214:215], v[216:217], v[214:215]
	s_delay_alu instid0(VALU_DEP_1) | instskip(NEXT) | instid1(VALU_DEP_1)
	v_fma_f64 v[216:217], -v[210:211], v[214:215], 1.0
	v_fma_f64 v[214:215], v[214:215], v[216:217], v[214:215]
	v_div_scale_f64 v[216:217], vcc_lo, 1.0, v[208:209], 1.0
	s_delay_alu instid0(VALU_DEP_1) | instskip(NEXT) | instid1(VALU_DEP_1)
	v_mul_f64 v[218:219], v[216:217], v[214:215]
	v_fma_f64 v[210:211], -v[210:211], v[218:219], v[216:217]
	s_delay_alu instid0(VALU_DEP_1) | instskip(NEXT) | instid1(VALU_DEP_1)
	v_div_fmas_f64 v[210:211], v[210:211], v[214:215], v[218:219]
	v_div_fixup_f64 v[216:217], v[210:211], v[208:209], 1.0
	s_delay_alu instid0(VALU_DEP_1)
	v_mul_f64 v[214:215], v[212:213], -v[216:217]
.LBB103_52:
	s_or_b32 exec_lo, exec_lo, s3
	ds_store_2addr_b64 v227, v[216:217], v[214:215] offset1:1
.LBB103_53:
	s_or_b32 exec_lo, exec_lo, s4
	s_waitcnt lgkmcnt(0)
	s_barrier
	buffer_gl0_inv
	ds_load_2addr_b64 v[202:205], v227 offset1:1
	s_mov_b32 s3, exec_lo
	s_waitcnt lgkmcnt(0)
	scratch_store_b128 off, v[202:205], off offset:520 ; 16-byte Folded Spill
	v_cmpx_lt_u32_e32 5, v226
	s_cbranch_execz .LBB103_55
; %bb.54:
	scratch_load_b128 v[202:205], off, off offset:520 ; 16-byte Folded Reload
	ds_load_2addr_b64 v[210:213], v228 offset0:12 offset1:13
	s_waitcnt vmcnt(0)
	v_mul_f64 v[208:209], v[204:205], v[186:187]
	v_mul_f64 v[186:187], v[202:203], v[186:187]
	s_delay_alu instid0(VALU_DEP_2) | instskip(NEXT) | instid1(VALU_DEP_2)
	v_fma_f64 v[208:209], v[202:203], v[184:185], -v[208:209]
	v_fma_f64 v[186:187], v[204:205], v[184:185], v[186:187]
	s_waitcnt lgkmcnt(0)
	s_delay_alu instid0(VALU_DEP_1) | instskip(NEXT) | instid1(VALU_DEP_1)
	v_mul_f64 v[184:185], v[212:213], v[186:187]
	v_fma_f64 v[184:185], v[210:211], v[208:209], -v[184:185]
	v_mul_f64 v[210:211], v[210:211], v[186:187]
	s_delay_alu instid0(VALU_DEP_2) | instskip(NEXT) | instid1(VALU_DEP_2)
	v_add_f64 v[180:181], v[180:181], -v[184:185]
	v_fma_f64 v[210:211], v[212:213], v[208:209], v[210:211]
	s_delay_alu instid0(VALU_DEP_1) | instskip(SKIP_3) | instid1(VALU_DEP_1)
	v_add_f64 v[182:183], v[182:183], -v[210:211]
	ds_load_2addr_b64 v[210:213], v228 offset0:14 offset1:15
	s_waitcnt lgkmcnt(0)
	v_mul_f64 v[184:185], v[212:213], v[186:187]
	v_fma_f64 v[184:185], v[210:211], v[208:209], -v[184:185]
	v_mul_f64 v[210:211], v[210:211], v[186:187]
	s_delay_alu instid0(VALU_DEP_2) | instskip(NEXT) | instid1(VALU_DEP_2)
	v_add_f64 v[176:177], v[176:177], -v[184:185]
	v_fma_f64 v[210:211], v[212:213], v[208:209], v[210:211]
	s_delay_alu instid0(VALU_DEP_1) | instskip(SKIP_3) | instid1(VALU_DEP_1)
	v_add_f64 v[178:179], v[178:179], -v[210:211]
	ds_load_2addr_b64 v[210:213], v228 offset0:16 offset1:17
	s_waitcnt lgkmcnt(0)
	;; [unrolled: 10-line block ×45, first 2 shown]
	v_mul_f64 v[184:185], v[212:213], v[186:187]
	v_fma_f64 v[184:185], v[210:211], v[208:209], -v[184:185]
	v_mul_f64 v[210:211], v[210:211], v[186:187]
	s_delay_alu instid0(VALU_DEP_2) | instskip(NEXT) | instid1(VALU_DEP_2)
	v_add_f64 v[0:1], v[0:1], -v[184:185]
	v_fma_f64 v[210:211], v[212:213], v[208:209], v[210:211]
	v_dual_mov_b32 v184, v208 :: v_dual_mov_b32 v185, v209
	s_delay_alu instid0(VALU_DEP_2)
	v_add_f64 v[2:3], v[2:3], -v[210:211]
.LBB103_55:
	s_or_b32 exec_lo, exec_lo, s3
	s_delay_alu instid0(SALU_CYCLE_1)
	s_mov_b32 s4, exec_lo
	s_waitcnt_vscnt null, 0x0
	s_barrier
	buffer_gl0_inv
	v_cmpx_eq_u32_e32 6, v226
	s_cbranch_execz .LBB103_62
; %bb.56:
	ds_store_2addr_b64 v227, v[180:181], v[182:183] offset1:1
	ds_store_2addr_b64 v228, v[176:177], v[178:179] offset0:14 offset1:15
	ds_store_2addr_b64 v228, v[172:173], v[174:175] offset0:16 offset1:17
	;; [unrolled: 1-line block ×45, first 2 shown]
	ds_load_2addr_b64 v[208:211], v227 offset1:1
	s_waitcnt lgkmcnt(0)
	v_cmp_neq_f64_e32 vcc_lo, 0, v[208:209]
	v_cmp_neq_f64_e64 s3, 0, v[210:211]
	s_delay_alu instid0(VALU_DEP_1) | instskip(NEXT) | instid1(SALU_CYCLE_1)
	s_or_b32 s3, vcc_lo, s3
	s_and_b32 exec_lo, exec_lo, s3
	s_cbranch_execz .LBB103_62
; %bb.57:
	v_cmp_gt_f64_e32 vcc_lo, 0, v[208:209]
	v_xor_b32_e32 v204, 0x80000000, v209
	s_mov_b32 s3, exec_lo
                                        ; implicit-def: $vgpr216_vgpr217
	s_delay_alu instid0(VALU_DEP_1) | instskip(SKIP_3) | instid1(VALU_DEP_1)
	v_cndmask_b32_e32 v213, v209, v204, vcc_lo
	v_cndmask_b32_e32 v212, v208, v208, vcc_lo
	v_cmp_gt_f64_e32 vcc_lo, 0, v[210:211]
	v_xor_b32_e32 v204, 0x80000000, v211
	v_dual_cndmask_b32 v214, v210, v210 :: v_dual_cndmask_b32 v215, v211, v204
	s_delay_alu instid0(VALU_DEP_1)
	v_cmpx_ngt_f64_e32 v[212:213], v[214:215]
	s_xor_b32 s3, exec_lo, s3
                                        ; implicit-def: $vgpr212_vgpr213_vgpr214_vgpr215
	s_cbranch_execz .LBB103_59
; %bb.58:
	v_div_scale_f64 v[212:213], null, v[210:211], v[210:211], v[208:209]
	v_div_scale_f64 v[218:219], vcc_lo, v[208:209], v[210:211], v[208:209]
	s_delay_alu instid0(VALU_DEP_2) | instskip(SKIP_2) | instid1(VALU_DEP_1)
	v_rcp_f64_e32 v[214:215], v[212:213]
	s_waitcnt_depctr 0xfff
	v_fma_f64 v[216:217], -v[212:213], v[214:215], 1.0
	v_fma_f64 v[214:215], v[214:215], v[216:217], v[214:215]
	s_delay_alu instid0(VALU_DEP_1) | instskip(NEXT) | instid1(VALU_DEP_1)
	v_fma_f64 v[216:217], -v[212:213], v[214:215], 1.0
	v_fma_f64 v[214:215], v[214:215], v[216:217], v[214:215]
	s_delay_alu instid0(VALU_DEP_1) | instskip(NEXT) | instid1(VALU_DEP_1)
	v_mul_f64 v[216:217], v[218:219], v[214:215]
	v_fma_f64 v[212:213], -v[212:213], v[216:217], v[218:219]
	s_delay_alu instid0(VALU_DEP_1) | instskip(NEXT) | instid1(VALU_DEP_1)
	v_div_fmas_f64 v[212:213], v[212:213], v[214:215], v[216:217]
	v_div_fixup_f64 v[212:213], v[212:213], v[210:211], v[208:209]
	s_delay_alu instid0(VALU_DEP_1) | instskip(NEXT) | instid1(VALU_DEP_1)
	v_fma_f64 v[208:209], v[208:209], v[212:213], v[210:211]
	v_div_scale_f64 v[210:211], null, v[208:209], v[208:209], 1.0
	s_delay_alu instid0(VALU_DEP_1) | instskip(SKIP_2) | instid1(VALU_DEP_1)
	v_rcp_f64_e32 v[214:215], v[210:211]
	s_waitcnt_depctr 0xfff
	v_fma_f64 v[216:217], -v[210:211], v[214:215], 1.0
	v_fma_f64 v[214:215], v[214:215], v[216:217], v[214:215]
	s_delay_alu instid0(VALU_DEP_1) | instskip(NEXT) | instid1(VALU_DEP_1)
	v_fma_f64 v[216:217], -v[210:211], v[214:215], 1.0
	v_fma_f64 v[214:215], v[214:215], v[216:217], v[214:215]
	v_div_scale_f64 v[216:217], vcc_lo, 1.0, v[208:209], 1.0
	s_delay_alu instid0(VALU_DEP_1) | instskip(NEXT) | instid1(VALU_DEP_1)
	v_mul_f64 v[218:219], v[216:217], v[214:215]
	v_fma_f64 v[210:211], -v[210:211], v[218:219], v[216:217]
	s_delay_alu instid0(VALU_DEP_1) | instskip(NEXT) | instid1(VALU_DEP_1)
	v_div_fmas_f64 v[210:211], v[210:211], v[214:215], v[218:219]
	v_div_fixup_f64 v[214:215], v[210:211], v[208:209], 1.0
                                        ; implicit-def: $vgpr208_vgpr209
	s_delay_alu instid0(VALU_DEP_1)
	v_mul_f64 v[216:217], v[212:213], v[214:215]
	v_xor_b32_e32 v215, 0x80000000, v215
.LBB103_59:
	s_and_not1_saveexec_b32 s3, s3
	s_cbranch_execz .LBB103_61
; %bb.60:
	v_div_scale_f64 v[212:213], null, v[208:209], v[208:209], v[210:211]
	v_div_scale_f64 v[218:219], vcc_lo, v[210:211], v[208:209], v[210:211]
	s_delay_alu instid0(VALU_DEP_2) | instskip(SKIP_2) | instid1(VALU_DEP_1)
	v_rcp_f64_e32 v[214:215], v[212:213]
	s_waitcnt_depctr 0xfff
	v_fma_f64 v[216:217], -v[212:213], v[214:215], 1.0
	v_fma_f64 v[214:215], v[214:215], v[216:217], v[214:215]
	s_delay_alu instid0(VALU_DEP_1) | instskip(NEXT) | instid1(VALU_DEP_1)
	v_fma_f64 v[216:217], -v[212:213], v[214:215], 1.0
	v_fma_f64 v[214:215], v[214:215], v[216:217], v[214:215]
	s_delay_alu instid0(VALU_DEP_1) | instskip(NEXT) | instid1(VALU_DEP_1)
	v_mul_f64 v[216:217], v[218:219], v[214:215]
	v_fma_f64 v[212:213], -v[212:213], v[216:217], v[218:219]
	s_delay_alu instid0(VALU_DEP_1) | instskip(NEXT) | instid1(VALU_DEP_1)
	v_div_fmas_f64 v[212:213], v[212:213], v[214:215], v[216:217]
	v_div_fixup_f64 v[212:213], v[212:213], v[208:209], v[210:211]
	s_delay_alu instid0(VALU_DEP_1) | instskip(NEXT) | instid1(VALU_DEP_1)
	v_fma_f64 v[208:209], v[210:211], v[212:213], v[208:209]
	v_div_scale_f64 v[210:211], null, v[208:209], v[208:209], 1.0
	s_delay_alu instid0(VALU_DEP_1) | instskip(SKIP_2) | instid1(VALU_DEP_1)
	v_rcp_f64_e32 v[214:215], v[210:211]
	s_waitcnt_depctr 0xfff
	v_fma_f64 v[216:217], -v[210:211], v[214:215], 1.0
	v_fma_f64 v[214:215], v[214:215], v[216:217], v[214:215]
	s_delay_alu instid0(VALU_DEP_1) | instskip(NEXT) | instid1(VALU_DEP_1)
	v_fma_f64 v[216:217], -v[210:211], v[214:215], 1.0
	v_fma_f64 v[214:215], v[214:215], v[216:217], v[214:215]
	v_div_scale_f64 v[216:217], vcc_lo, 1.0, v[208:209], 1.0
	s_delay_alu instid0(VALU_DEP_1) | instskip(NEXT) | instid1(VALU_DEP_1)
	v_mul_f64 v[218:219], v[216:217], v[214:215]
	v_fma_f64 v[210:211], -v[210:211], v[218:219], v[216:217]
	s_delay_alu instid0(VALU_DEP_1) | instskip(NEXT) | instid1(VALU_DEP_1)
	v_div_fmas_f64 v[210:211], v[210:211], v[214:215], v[218:219]
	v_div_fixup_f64 v[216:217], v[210:211], v[208:209], 1.0
	s_delay_alu instid0(VALU_DEP_1)
	v_mul_f64 v[214:215], v[212:213], -v[216:217]
.LBB103_61:
	s_or_b32 exec_lo, exec_lo, s3
	ds_store_2addr_b64 v227, v[216:217], v[214:215] offset1:1
.LBB103_62:
	s_or_b32 exec_lo, exec_lo, s4
	s_waitcnt lgkmcnt(0)
	s_barrier
	buffer_gl0_inv
	ds_load_2addr_b64 v[202:205], v227 offset1:1
	s_mov_b32 s3, exec_lo
	s_waitcnt lgkmcnt(0)
	scratch_store_b128 off, v[202:205], off offset:536 ; 16-byte Folded Spill
	v_cmpx_lt_u32_e32 6, v226
	s_cbranch_execz .LBB103_64
; %bb.63:
	scratch_load_b128 v[202:205], off, off offset:536 ; 16-byte Folded Reload
	ds_load_2addr_b64 v[210:213], v228 offset0:14 offset1:15
	s_waitcnt vmcnt(0)
	v_mul_f64 v[208:209], v[204:205], v[182:183]
	v_mul_f64 v[182:183], v[202:203], v[182:183]
	s_delay_alu instid0(VALU_DEP_2) | instskip(NEXT) | instid1(VALU_DEP_2)
	v_fma_f64 v[208:209], v[202:203], v[180:181], -v[208:209]
	v_fma_f64 v[182:183], v[204:205], v[180:181], v[182:183]
	s_waitcnt lgkmcnt(0)
	s_delay_alu instid0(VALU_DEP_1) | instskip(NEXT) | instid1(VALU_DEP_1)
	v_mul_f64 v[180:181], v[212:213], v[182:183]
	v_fma_f64 v[180:181], v[210:211], v[208:209], -v[180:181]
	v_mul_f64 v[210:211], v[210:211], v[182:183]
	s_delay_alu instid0(VALU_DEP_2) | instskip(NEXT) | instid1(VALU_DEP_2)
	v_add_f64 v[176:177], v[176:177], -v[180:181]
	v_fma_f64 v[210:211], v[212:213], v[208:209], v[210:211]
	s_delay_alu instid0(VALU_DEP_1) | instskip(SKIP_3) | instid1(VALU_DEP_1)
	v_add_f64 v[178:179], v[178:179], -v[210:211]
	ds_load_2addr_b64 v[210:213], v228 offset0:16 offset1:17
	s_waitcnt lgkmcnt(0)
	v_mul_f64 v[180:181], v[212:213], v[182:183]
	v_fma_f64 v[180:181], v[210:211], v[208:209], -v[180:181]
	v_mul_f64 v[210:211], v[210:211], v[182:183]
	s_delay_alu instid0(VALU_DEP_2) | instskip(NEXT) | instid1(VALU_DEP_2)
	v_add_f64 v[172:173], v[172:173], -v[180:181]
	v_fma_f64 v[210:211], v[212:213], v[208:209], v[210:211]
	s_delay_alu instid0(VALU_DEP_1) | instskip(SKIP_3) | instid1(VALU_DEP_1)
	v_add_f64 v[174:175], v[174:175], -v[210:211]
	ds_load_2addr_b64 v[210:213], v228 offset0:18 offset1:19
	s_waitcnt lgkmcnt(0)
	;; [unrolled: 10-line block ×44, first 2 shown]
	v_mul_f64 v[180:181], v[212:213], v[182:183]
	v_fma_f64 v[180:181], v[210:211], v[208:209], -v[180:181]
	v_mul_f64 v[210:211], v[210:211], v[182:183]
	s_delay_alu instid0(VALU_DEP_2) | instskip(NEXT) | instid1(VALU_DEP_2)
	v_add_f64 v[0:1], v[0:1], -v[180:181]
	v_fma_f64 v[210:211], v[212:213], v[208:209], v[210:211]
	v_dual_mov_b32 v180, v208 :: v_dual_mov_b32 v181, v209
	s_delay_alu instid0(VALU_DEP_2)
	v_add_f64 v[2:3], v[2:3], -v[210:211]
.LBB103_64:
	s_or_b32 exec_lo, exec_lo, s3
	s_delay_alu instid0(SALU_CYCLE_1)
	s_mov_b32 s4, exec_lo
	s_waitcnt_vscnt null, 0x0
	s_barrier
	buffer_gl0_inv
	v_cmpx_eq_u32_e32 7, v226
	s_cbranch_execz .LBB103_71
; %bb.65:
	ds_store_2addr_b64 v227, v[176:177], v[178:179] offset1:1
	ds_store_2addr_b64 v228, v[172:173], v[174:175] offset0:16 offset1:17
	ds_store_2addr_b64 v228, v[168:169], v[170:171] offset0:18 offset1:19
	;; [unrolled: 1-line block ×44, first 2 shown]
	ds_load_2addr_b64 v[208:211], v227 offset1:1
	s_waitcnt lgkmcnt(0)
	v_cmp_neq_f64_e32 vcc_lo, 0, v[208:209]
	v_cmp_neq_f64_e64 s3, 0, v[210:211]
	s_delay_alu instid0(VALU_DEP_1) | instskip(NEXT) | instid1(SALU_CYCLE_1)
	s_or_b32 s3, vcc_lo, s3
	s_and_b32 exec_lo, exec_lo, s3
	s_cbranch_execz .LBB103_71
; %bb.66:
	v_cmp_gt_f64_e32 vcc_lo, 0, v[208:209]
	v_xor_b32_e32 v204, 0x80000000, v209
	s_mov_b32 s3, exec_lo
                                        ; implicit-def: $vgpr216_vgpr217
	s_delay_alu instid0(VALU_DEP_1) | instskip(SKIP_3) | instid1(VALU_DEP_1)
	v_cndmask_b32_e32 v213, v209, v204, vcc_lo
	v_cndmask_b32_e32 v212, v208, v208, vcc_lo
	v_cmp_gt_f64_e32 vcc_lo, 0, v[210:211]
	v_xor_b32_e32 v204, 0x80000000, v211
	v_dual_cndmask_b32 v214, v210, v210 :: v_dual_cndmask_b32 v215, v211, v204
	s_delay_alu instid0(VALU_DEP_1)
	v_cmpx_ngt_f64_e32 v[212:213], v[214:215]
	s_xor_b32 s3, exec_lo, s3
                                        ; implicit-def: $vgpr212_vgpr213_vgpr214_vgpr215
	s_cbranch_execz .LBB103_68
; %bb.67:
	v_div_scale_f64 v[212:213], null, v[210:211], v[210:211], v[208:209]
	v_div_scale_f64 v[218:219], vcc_lo, v[208:209], v[210:211], v[208:209]
	s_delay_alu instid0(VALU_DEP_2) | instskip(SKIP_2) | instid1(VALU_DEP_1)
	v_rcp_f64_e32 v[214:215], v[212:213]
	s_waitcnt_depctr 0xfff
	v_fma_f64 v[216:217], -v[212:213], v[214:215], 1.0
	v_fma_f64 v[214:215], v[214:215], v[216:217], v[214:215]
	s_delay_alu instid0(VALU_DEP_1) | instskip(NEXT) | instid1(VALU_DEP_1)
	v_fma_f64 v[216:217], -v[212:213], v[214:215], 1.0
	v_fma_f64 v[214:215], v[214:215], v[216:217], v[214:215]
	s_delay_alu instid0(VALU_DEP_1) | instskip(NEXT) | instid1(VALU_DEP_1)
	v_mul_f64 v[216:217], v[218:219], v[214:215]
	v_fma_f64 v[212:213], -v[212:213], v[216:217], v[218:219]
	s_delay_alu instid0(VALU_DEP_1) | instskip(NEXT) | instid1(VALU_DEP_1)
	v_div_fmas_f64 v[212:213], v[212:213], v[214:215], v[216:217]
	v_div_fixup_f64 v[212:213], v[212:213], v[210:211], v[208:209]
	s_delay_alu instid0(VALU_DEP_1) | instskip(NEXT) | instid1(VALU_DEP_1)
	v_fma_f64 v[208:209], v[208:209], v[212:213], v[210:211]
	v_div_scale_f64 v[210:211], null, v[208:209], v[208:209], 1.0
	s_delay_alu instid0(VALU_DEP_1) | instskip(SKIP_2) | instid1(VALU_DEP_1)
	v_rcp_f64_e32 v[214:215], v[210:211]
	s_waitcnt_depctr 0xfff
	v_fma_f64 v[216:217], -v[210:211], v[214:215], 1.0
	v_fma_f64 v[214:215], v[214:215], v[216:217], v[214:215]
	s_delay_alu instid0(VALU_DEP_1) | instskip(NEXT) | instid1(VALU_DEP_1)
	v_fma_f64 v[216:217], -v[210:211], v[214:215], 1.0
	v_fma_f64 v[214:215], v[214:215], v[216:217], v[214:215]
	v_div_scale_f64 v[216:217], vcc_lo, 1.0, v[208:209], 1.0
	s_delay_alu instid0(VALU_DEP_1) | instskip(NEXT) | instid1(VALU_DEP_1)
	v_mul_f64 v[218:219], v[216:217], v[214:215]
	v_fma_f64 v[210:211], -v[210:211], v[218:219], v[216:217]
	s_delay_alu instid0(VALU_DEP_1) | instskip(NEXT) | instid1(VALU_DEP_1)
	v_div_fmas_f64 v[210:211], v[210:211], v[214:215], v[218:219]
	v_div_fixup_f64 v[214:215], v[210:211], v[208:209], 1.0
                                        ; implicit-def: $vgpr208_vgpr209
	s_delay_alu instid0(VALU_DEP_1)
	v_mul_f64 v[216:217], v[212:213], v[214:215]
	v_xor_b32_e32 v215, 0x80000000, v215
.LBB103_68:
	s_and_not1_saveexec_b32 s3, s3
	s_cbranch_execz .LBB103_70
; %bb.69:
	v_div_scale_f64 v[212:213], null, v[208:209], v[208:209], v[210:211]
	v_div_scale_f64 v[218:219], vcc_lo, v[210:211], v[208:209], v[210:211]
	s_delay_alu instid0(VALU_DEP_2) | instskip(SKIP_2) | instid1(VALU_DEP_1)
	v_rcp_f64_e32 v[214:215], v[212:213]
	s_waitcnt_depctr 0xfff
	v_fma_f64 v[216:217], -v[212:213], v[214:215], 1.0
	v_fma_f64 v[214:215], v[214:215], v[216:217], v[214:215]
	s_delay_alu instid0(VALU_DEP_1) | instskip(NEXT) | instid1(VALU_DEP_1)
	v_fma_f64 v[216:217], -v[212:213], v[214:215], 1.0
	v_fma_f64 v[214:215], v[214:215], v[216:217], v[214:215]
	s_delay_alu instid0(VALU_DEP_1) | instskip(NEXT) | instid1(VALU_DEP_1)
	v_mul_f64 v[216:217], v[218:219], v[214:215]
	v_fma_f64 v[212:213], -v[212:213], v[216:217], v[218:219]
	s_delay_alu instid0(VALU_DEP_1) | instskip(NEXT) | instid1(VALU_DEP_1)
	v_div_fmas_f64 v[212:213], v[212:213], v[214:215], v[216:217]
	v_div_fixup_f64 v[212:213], v[212:213], v[208:209], v[210:211]
	s_delay_alu instid0(VALU_DEP_1) | instskip(NEXT) | instid1(VALU_DEP_1)
	v_fma_f64 v[208:209], v[210:211], v[212:213], v[208:209]
	v_div_scale_f64 v[210:211], null, v[208:209], v[208:209], 1.0
	s_delay_alu instid0(VALU_DEP_1) | instskip(SKIP_2) | instid1(VALU_DEP_1)
	v_rcp_f64_e32 v[214:215], v[210:211]
	s_waitcnt_depctr 0xfff
	v_fma_f64 v[216:217], -v[210:211], v[214:215], 1.0
	v_fma_f64 v[214:215], v[214:215], v[216:217], v[214:215]
	s_delay_alu instid0(VALU_DEP_1) | instskip(NEXT) | instid1(VALU_DEP_1)
	v_fma_f64 v[216:217], -v[210:211], v[214:215], 1.0
	v_fma_f64 v[214:215], v[214:215], v[216:217], v[214:215]
	v_div_scale_f64 v[216:217], vcc_lo, 1.0, v[208:209], 1.0
	s_delay_alu instid0(VALU_DEP_1) | instskip(NEXT) | instid1(VALU_DEP_1)
	v_mul_f64 v[218:219], v[216:217], v[214:215]
	v_fma_f64 v[210:211], -v[210:211], v[218:219], v[216:217]
	s_delay_alu instid0(VALU_DEP_1) | instskip(NEXT) | instid1(VALU_DEP_1)
	v_div_fmas_f64 v[210:211], v[210:211], v[214:215], v[218:219]
	v_div_fixup_f64 v[216:217], v[210:211], v[208:209], 1.0
	s_delay_alu instid0(VALU_DEP_1)
	v_mul_f64 v[214:215], v[212:213], -v[216:217]
.LBB103_70:
	s_or_b32 exec_lo, exec_lo, s3
	ds_store_2addr_b64 v227, v[216:217], v[214:215] offset1:1
.LBB103_71:
	s_or_b32 exec_lo, exec_lo, s4
	s_waitcnt lgkmcnt(0)
	s_barrier
	buffer_gl0_inv
	ds_load_2addr_b64 v[202:205], v227 offset1:1
	s_mov_b32 s3, exec_lo
	s_waitcnt lgkmcnt(0)
	scratch_store_b128 off, v[202:205], off offset:552 ; 16-byte Folded Spill
	v_cmpx_lt_u32_e32 7, v226
	s_cbranch_execz .LBB103_73
; %bb.72:
	scratch_load_b128 v[202:205], off, off offset:552 ; 16-byte Folded Reload
	ds_load_2addr_b64 v[210:213], v228 offset0:16 offset1:17
	s_waitcnt vmcnt(0)
	v_mul_f64 v[208:209], v[204:205], v[178:179]
	v_mul_f64 v[178:179], v[202:203], v[178:179]
	s_delay_alu instid0(VALU_DEP_2) | instskip(NEXT) | instid1(VALU_DEP_2)
	v_fma_f64 v[208:209], v[202:203], v[176:177], -v[208:209]
	v_fma_f64 v[178:179], v[204:205], v[176:177], v[178:179]
	s_waitcnt lgkmcnt(0)
	s_delay_alu instid0(VALU_DEP_1) | instskip(NEXT) | instid1(VALU_DEP_1)
	v_mul_f64 v[176:177], v[212:213], v[178:179]
	v_fma_f64 v[176:177], v[210:211], v[208:209], -v[176:177]
	v_mul_f64 v[210:211], v[210:211], v[178:179]
	s_delay_alu instid0(VALU_DEP_2) | instskip(NEXT) | instid1(VALU_DEP_2)
	v_add_f64 v[172:173], v[172:173], -v[176:177]
	v_fma_f64 v[210:211], v[212:213], v[208:209], v[210:211]
	s_delay_alu instid0(VALU_DEP_1) | instskip(SKIP_3) | instid1(VALU_DEP_1)
	v_add_f64 v[174:175], v[174:175], -v[210:211]
	ds_load_2addr_b64 v[210:213], v228 offset0:18 offset1:19
	s_waitcnt lgkmcnt(0)
	v_mul_f64 v[176:177], v[212:213], v[178:179]
	v_fma_f64 v[176:177], v[210:211], v[208:209], -v[176:177]
	v_mul_f64 v[210:211], v[210:211], v[178:179]
	s_delay_alu instid0(VALU_DEP_2) | instskip(NEXT) | instid1(VALU_DEP_2)
	v_add_f64 v[168:169], v[168:169], -v[176:177]
	v_fma_f64 v[210:211], v[212:213], v[208:209], v[210:211]
	s_delay_alu instid0(VALU_DEP_1) | instskip(SKIP_3) | instid1(VALU_DEP_1)
	v_add_f64 v[170:171], v[170:171], -v[210:211]
	ds_load_2addr_b64 v[210:213], v228 offset0:20 offset1:21
	s_waitcnt lgkmcnt(0)
	;; [unrolled: 10-line block ×43, first 2 shown]
	v_mul_f64 v[176:177], v[212:213], v[178:179]
	v_fma_f64 v[176:177], v[210:211], v[208:209], -v[176:177]
	v_mul_f64 v[210:211], v[210:211], v[178:179]
	s_delay_alu instid0(VALU_DEP_2) | instskip(NEXT) | instid1(VALU_DEP_2)
	v_add_f64 v[0:1], v[0:1], -v[176:177]
	v_fma_f64 v[210:211], v[212:213], v[208:209], v[210:211]
	v_dual_mov_b32 v176, v208 :: v_dual_mov_b32 v177, v209
	s_delay_alu instid0(VALU_DEP_2)
	v_add_f64 v[2:3], v[2:3], -v[210:211]
.LBB103_73:
	s_or_b32 exec_lo, exec_lo, s3
	s_delay_alu instid0(SALU_CYCLE_1)
	s_mov_b32 s4, exec_lo
	s_waitcnt_vscnt null, 0x0
	s_barrier
	buffer_gl0_inv
	v_cmpx_eq_u32_e32 8, v226
	s_cbranch_execz .LBB103_80
; %bb.74:
	ds_store_2addr_b64 v227, v[172:173], v[174:175] offset1:1
	ds_store_2addr_b64 v228, v[168:169], v[170:171] offset0:18 offset1:19
	ds_store_2addr_b64 v228, v[164:165], v[166:167] offset0:20 offset1:21
	;; [unrolled: 1-line block ×43, first 2 shown]
	ds_load_2addr_b64 v[208:211], v227 offset1:1
	s_waitcnt lgkmcnt(0)
	v_cmp_neq_f64_e32 vcc_lo, 0, v[208:209]
	v_cmp_neq_f64_e64 s3, 0, v[210:211]
	s_delay_alu instid0(VALU_DEP_1) | instskip(NEXT) | instid1(SALU_CYCLE_1)
	s_or_b32 s3, vcc_lo, s3
	s_and_b32 exec_lo, exec_lo, s3
	s_cbranch_execz .LBB103_80
; %bb.75:
	v_cmp_gt_f64_e32 vcc_lo, 0, v[208:209]
	v_xor_b32_e32 v204, 0x80000000, v209
	s_mov_b32 s3, exec_lo
                                        ; implicit-def: $vgpr216_vgpr217
	s_delay_alu instid0(VALU_DEP_1) | instskip(SKIP_3) | instid1(VALU_DEP_1)
	v_cndmask_b32_e32 v213, v209, v204, vcc_lo
	v_cndmask_b32_e32 v212, v208, v208, vcc_lo
	v_cmp_gt_f64_e32 vcc_lo, 0, v[210:211]
	v_xor_b32_e32 v204, 0x80000000, v211
	v_dual_cndmask_b32 v214, v210, v210 :: v_dual_cndmask_b32 v215, v211, v204
	s_delay_alu instid0(VALU_DEP_1)
	v_cmpx_ngt_f64_e32 v[212:213], v[214:215]
	s_xor_b32 s3, exec_lo, s3
                                        ; implicit-def: $vgpr212_vgpr213_vgpr214_vgpr215
	s_cbranch_execz .LBB103_77
; %bb.76:
	v_div_scale_f64 v[212:213], null, v[210:211], v[210:211], v[208:209]
	v_div_scale_f64 v[218:219], vcc_lo, v[208:209], v[210:211], v[208:209]
	s_delay_alu instid0(VALU_DEP_2) | instskip(SKIP_2) | instid1(VALU_DEP_1)
	v_rcp_f64_e32 v[214:215], v[212:213]
	s_waitcnt_depctr 0xfff
	v_fma_f64 v[216:217], -v[212:213], v[214:215], 1.0
	v_fma_f64 v[214:215], v[214:215], v[216:217], v[214:215]
	s_delay_alu instid0(VALU_DEP_1) | instskip(NEXT) | instid1(VALU_DEP_1)
	v_fma_f64 v[216:217], -v[212:213], v[214:215], 1.0
	v_fma_f64 v[214:215], v[214:215], v[216:217], v[214:215]
	s_delay_alu instid0(VALU_DEP_1) | instskip(NEXT) | instid1(VALU_DEP_1)
	v_mul_f64 v[216:217], v[218:219], v[214:215]
	v_fma_f64 v[212:213], -v[212:213], v[216:217], v[218:219]
	s_delay_alu instid0(VALU_DEP_1) | instskip(NEXT) | instid1(VALU_DEP_1)
	v_div_fmas_f64 v[212:213], v[212:213], v[214:215], v[216:217]
	v_div_fixup_f64 v[212:213], v[212:213], v[210:211], v[208:209]
	s_delay_alu instid0(VALU_DEP_1) | instskip(NEXT) | instid1(VALU_DEP_1)
	v_fma_f64 v[208:209], v[208:209], v[212:213], v[210:211]
	v_div_scale_f64 v[210:211], null, v[208:209], v[208:209], 1.0
	s_delay_alu instid0(VALU_DEP_1) | instskip(SKIP_2) | instid1(VALU_DEP_1)
	v_rcp_f64_e32 v[214:215], v[210:211]
	s_waitcnt_depctr 0xfff
	v_fma_f64 v[216:217], -v[210:211], v[214:215], 1.0
	v_fma_f64 v[214:215], v[214:215], v[216:217], v[214:215]
	s_delay_alu instid0(VALU_DEP_1) | instskip(NEXT) | instid1(VALU_DEP_1)
	v_fma_f64 v[216:217], -v[210:211], v[214:215], 1.0
	v_fma_f64 v[214:215], v[214:215], v[216:217], v[214:215]
	v_div_scale_f64 v[216:217], vcc_lo, 1.0, v[208:209], 1.0
	s_delay_alu instid0(VALU_DEP_1) | instskip(NEXT) | instid1(VALU_DEP_1)
	v_mul_f64 v[218:219], v[216:217], v[214:215]
	v_fma_f64 v[210:211], -v[210:211], v[218:219], v[216:217]
	s_delay_alu instid0(VALU_DEP_1) | instskip(NEXT) | instid1(VALU_DEP_1)
	v_div_fmas_f64 v[210:211], v[210:211], v[214:215], v[218:219]
	v_div_fixup_f64 v[214:215], v[210:211], v[208:209], 1.0
                                        ; implicit-def: $vgpr208_vgpr209
	s_delay_alu instid0(VALU_DEP_1)
	v_mul_f64 v[216:217], v[212:213], v[214:215]
	v_xor_b32_e32 v215, 0x80000000, v215
.LBB103_77:
	s_and_not1_saveexec_b32 s3, s3
	s_cbranch_execz .LBB103_79
; %bb.78:
	v_div_scale_f64 v[212:213], null, v[208:209], v[208:209], v[210:211]
	v_div_scale_f64 v[218:219], vcc_lo, v[210:211], v[208:209], v[210:211]
	s_delay_alu instid0(VALU_DEP_2) | instskip(SKIP_2) | instid1(VALU_DEP_1)
	v_rcp_f64_e32 v[214:215], v[212:213]
	s_waitcnt_depctr 0xfff
	v_fma_f64 v[216:217], -v[212:213], v[214:215], 1.0
	v_fma_f64 v[214:215], v[214:215], v[216:217], v[214:215]
	s_delay_alu instid0(VALU_DEP_1) | instskip(NEXT) | instid1(VALU_DEP_1)
	v_fma_f64 v[216:217], -v[212:213], v[214:215], 1.0
	v_fma_f64 v[214:215], v[214:215], v[216:217], v[214:215]
	s_delay_alu instid0(VALU_DEP_1) | instskip(NEXT) | instid1(VALU_DEP_1)
	v_mul_f64 v[216:217], v[218:219], v[214:215]
	v_fma_f64 v[212:213], -v[212:213], v[216:217], v[218:219]
	s_delay_alu instid0(VALU_DEP_1) | instskip(NEXT) | instid1(VALU_DEP_1)
	v_div_fmas_f64 v[212:213], v[212:213], v[214:215], v[216:217]
	v_div_fixup_f64 v[212:213], v[212:213], v[208:209], v[210:211]
	s_delay_alu instid0(VALU_DEP_1) | instskip(NEXT) | instid1(VALU_DEP_1)
	v_fma_f64 v[208:209], v[210:211], v[212:213], v[208:209]
	v_div_scale_f64 v[210:211], null, v[208:209], v[208:209], 1.0
	s_delay_alu instid0(VALU_DEP_1) | instskip(SKIP_2) | instid1(VALU_DEP_1)
	v_rcp_f64_e32 v[214:215], v[210:211]
	s_waitcnt_depctr 0xfff
	v_fma_f64 v[216:217], -v[210:211], v[214:215], 1.0
	v_fma_f64 v[214:215], v[214:215], v[216:217], v[214:215]
	s_delay_alu instid0(VALU_DEP_1) | instskip(NEXT) | instid1(VALU_DEP_1)
	v_fma_f64 v[216:217], -v[210:211], v[214:215], 1.0
	v_fma_f64 v[214:215], v[214:215], v[216:217], v[214:215]
	v_div_scale_f64 v[216:217], vcc_lo, 1.0, v[208:209], 1.0
	s_delay_alu instid0(VALU_DEP_1) | instskip(NEXT) | instid1(VALU_DEP_1)
	v_mul_f64 v[218:219], v[216:217], v[214:215]
	v_fma_f64 v[210:211], -v[210:211], v[218:219], v[216:217]
	s_delay_alu instid0(VALU_DEP_1) | instskip(NEXT) | instid1(VALU_DEP_1)
	v_div_fmas_f64 v[210:211], v[210:211], v[214:215], v[218:219]
	v_div_fixup_f64 v[216:217], v[210:211], v[208:209], 1.0
	s_delay_alu instid0(VALU_DEP_1)
	v_mul_f64 v[214:215], v[212:213], -v[216:217]
.LBB103_79:
	s_or_b32 exec_lo, exec_lo, s3
	ds_store_2addr_b64 v227, v[216:217], v[214:215] offset1:1
.LBB103_80:
	s_or_b32 exec_lo, exec_lo, s4
	s_waitcnt lgkmcnt(0)
	s_barrier
	buffer_gl0_inv
	ds_load_2addr_b64 v[202:205], v227 offset1:1
	s_mov_b32 s3, exec_lo
	s_waitcnt lgkmcnt(0)
	scratch_store_b128 off, v[202:205], off offset:568 ; 16-byte Folded Spill
	v_cmpx_lt_u32_e32 8, v226
	s_cbranch_execz .LBB103_82
; %bb.81:
	scratch_load_b128 v[202:205], off, off offset:568 ; 16-byte Folded Reload
	ds_load_2addr_b64 v[210:213], v228 offset0:18 offset1:19
	s_waitcnt vmcnt(0)
	v_mul_f64 v[208:209], v[204:205], v[174:175]
	v_mul_f64 v[174:175], v[202:203], v[174:175]
	s_delay_alu instid0(VALU_DEP_2) | instskip(NEXT) | instid1(VALU_DEP_2)
	v_fma_f64 v[208:209], v[202:203], v[172:173], -v[208:209]
	v_fma_f64 v[174:175], v[204:205], v[172:173], v[174:175]
	s_waitcnt lgkmcnt(0)
	s_delay_alu instid0(VALU_DEP_1) | instskip(NEXT) | instid1(VALU_DEP_1)
	v_mul_f64 v[172:173], v[212:213], v[174:175]
	v_fma_f64 v[172:173], v[210:211], v[208:209], -v[172:173]
	v_mul_f64 v[210:211], v[210:211], v[174:175]
	s_delay_alu instid0(VALU_DEP_2) | instskip(NEXT) | instid1(VALU_DEP_2)
	v_add_f64 v[168:169], v[168:169], -v[172:173]
	v_fma_f64 v[210:211], v[212:213], v[208:209], v[210:211]
	s_delay_alu instid0(VALU_DEP_1) | instskip(SKIP_3) | instid1(VALU_DEP_1)
	v_add_f64 v[170:171], v[170:171], -v[210:211]
	ds_load_2addr_b64 v[210:213], v228 offset0:20 offset1:21
	s_waitcnt lgkmcnt(0)
	v_mul_f64 v[172:173], v[212:213], v[174:175]
	v_fma_f64 v[172:173], v[210:211], v[208:209], -v[172:173]
	v_mul_f64 v[210:211], v[210:211], v[174:175]
	s_delay_alu instid0(VALU_DEP_2) | instskip(NEXT) | instid1(VALU_DEP_2)
	v_add_f64 v[164:165], v[164:165], -v[172:173]
	v_fma_f64 v[210:211], v[212:213], v[208:209], v[210:211]
	s_delay_alu instid0(VALU_DEP_1) | instskip(SKIP_3) | instid1(VALU_DEP_1)
	v_add_f64 v[166:167], v[166:167], -v[210:211]
	ds_load_2addr_b64 v[210:213], v228 offset0:22 offset1:23
	s_waitcnt lgkmcnt(0)
	;; [unrolled: 10-line block ×42, first 2 shown]
	v_mul_f64 v[172:173], v[212:213], v[174:175]
	v_fma_f64 v[172:173], v[210:211], v[208:209], -v[172:173]
	v_mul_f64 v[210:211], v[210:211], v[174:175]
	s_delay_alu instid0(VALU_DEP_2) | instskip(NEXT) | instid1(VALU_DEP_2)
	v_add_f64 v[0:1], v[0:1], -v[172:173]
	v_fma_f64 v[210:211], v[212:213], v[208:209], v[210:211]
	v_dual_mov_b32 v172, v208 :: v_dual_mov_b32 v173, v209
	s_delay_alu instid0(VALU_DEP_2)
	v_add_f64 v[2:3], v[2:3], -v[210:211]
.LBB103_82:
	s_or_b32 exec_lo, exec_lo, s3
	s_delay_alu instid0(SALU_CYCLE_1)
	s_mov_b32 s4, exec_lo
	s_waitcnt_vscnt null, 0x0
	s_barrier
	buffer_gl0_inv
	v_cmpx_eq_u32_e32 9, v226
	s_cbranch_execz .LBB103_89
; %bb.83:
	ds_store_2addr_b64 v227, v[168:169], v[170:171] offset1:1
	ds_store_2addr_b64 v228, v[164:165], v[166:167] offset0:20 offset1:21
	ds_store_2addr_b64 v228, v[160:161], v[162:163] offset0:22 offset1:23
	;; [unrolled: 1-line block ×42, first 2 shown]
	ds_load_2addr_b64 v[208:211], v227 offset1:1
	s_waitcnt lgkmcnt(0)
	v_cmp_neq_f64_e32 vcc_lo, 0, v[208:209]
	v_cmp_neq_f64_e64 s3, 0, v[210:211]
	s_delay_alu instid0(VALU_DEP_1) | instskip(NEXT) | instid1(SALU_CYCLE_1)
	s_or_b32 s3, vcc_lo, s3
	s_and_b32 exec_lo, exec_lo, s3
	s_cbranch_execz .LBB103_89
; %bb.84:
	v_cmp_gt_f64_e32 vcc_lo, 0, v[208:209]
	v_xor_b32_e32 v204, 0x80000000, v209
	s_mov_b32 s3, exec_lo
                                        ; implicit-def: $vgpr216_vgpr217
	s_delay_alu instid0(VALU_DEP_1) | instskip(SKIP_3) | instid1(VALU_DEP_1)
	v_cndmask_b32_e32 v213, v209, v204, vcc_lo
	v_cndmask_b32_e32 v212, v208, v208, vcc_lo
	v_cmp_gt_f64_e32 vcc_lo, 0, v[210:211]
	v_xor_b32_e32 v204, 0x80000000, v211
	v_dual_cndmask_b32 v214, v210, v210 :: v_dual_cndmask_b32 v215, v211, v204
	s_delay_alu instid0(VALU_DEP_1)
	v_cmpx_ngt_f64_e32 v[212:213], v[214:215]
	s_xor_b32 s3, exec_lo, s3
                                        ; implicit-def: $vgpr212_vgpr213_vgpr214_vgpr215
	s_cbranch_execz .LBB103_86
; %bb.85:
	v_div_scale_f64 v[212:213], null, v[210:211], v[210:211], v[208:209]
	v_div_scale_f64 v[218:219], vcc_lo, v[208:209], v[210:211], v[208:209]
	s_delay_alu instid0(VALU_DEP_2) | instskip(SKIP_2) | instid1(VALU_DEP_1)
	v_rcp_f64_e32 v[214:215], v[212:213]
	s_waitcnt_depctr 0xfff
	v_fma_f64 v[216:217], -v[212:213], v[214:215], 1.0
	v_fma_f64 v[214:215], v[214:215], v[216:217], v[214:215]
	s_delay_alu instid0(VALU_DEP_1) | instskip(NEXT) | instid1(VALU_DEP_1)
	v_fma_f64 v[216:217], -v[212:213], v[214:215], 1.0
	v_fma_f64 v[214:215], v[214:215], v[216:217], v[214:215]
	s_delay_alu instid0(VALU_DEP_1) | instskip(NEXT) | instid1(VALU_DEP_1)
	v_mul_f64 v[216:217], v[218:219], v[214:215]
	v_fma_f64 v[212:213], -v[212:213], v[216:217], v[218:219]
	s_delay_alu instid0(VALU_DEP_1) | instskip(NEXT) | instid1(VALU_DEP_1)
	v_div_fmas_f64 v[212:213], v[212:213], v[214:215], v[216:217]
	v_div_fixup_f64 v[212:213], v[212:213], v[210:211], v[208:209]
	s_delay_alu instid0(VALU_DEP_1) | instskip(NEXT) | instid1(VALU_DEP_1)
	v_fma_f64 v[208:209], v[208:209], v[212:213], v[210:211]
	v_div_scale_f64 v[210:211], null, v[208:209], v[208:209], 1.0
	s_delay_alu instid0(VALU_DEP_1) | instskip(SKIP_2) | instid1(VALU_DEP_1)
	v_rcp_f64_e32 v[214:215], v[210:211]
	s_waitcnt_depctr 0xfff
	v_fma_f64 v[216:217], -v[210:211], v[214:215], 1.0
	v_fma_f64 v[214:215], v[214:215], v[216:217], v[214:215]
	s_delay_alu instid0(VALU_DEP_1) | instskip(NEXT) | instid1(VALU_DEP_1)
	v_fma_f64 v[216:217], -v[210:211], v[214:215], 1.0
	v_fma_f64 v[214:215], v[214:215], v[216:217], v[214:215]
	v_div_scale_f64 v[216:217], vcc_lo, 1.0, v[208:209], 1.0
	s_delay_alu instid0(VALU_DEP_1) | instskip(NEXT) | instid1(VALU_DEP_1)
	v_mul_f64 v[218:219], v[216:217], v[214:215]
	v_fma_f64 v[210:211], -v[210:211], v[218:219], v[216:217]
	s_delay_alu instid0(VALU_DEP_1) | instskip(NEXT) | instid1(VALU_DEP_1)
	v_div_fmas_f64 v[210:211], v[210:211], v[214:215], v[218:219]
	v_div_fixup_f64 v[214:215], v[210:211], v[208:209], 1.0
                                        ; implicit-def: $vgpr208_vgpr209
	s_delay_alu instid0(VALU_DEP_1)
	v_mul_f64 v[216:217], v[212:213], v[214:215]
	v_xor_b32_e32 v215, 0x80000000, v215
.LBB103_86:
	s_and_not1_saveexec_b32 s3, s3
	s_cbranch_execz .LBB103_88
; %bb.87:
	v_div_scale_f64 v[212:213], null, v[208:209], v[208:209], v[210:211]
	v_div_scale_f64 v[218:219], vcc_lo, v[210:211], v[208:209], v[210:211]
	s_delay_alu instid0(VALU_DEP_2) | instskip(SKIP_2) | instid1(VALU_DEP_1)
	v_rcp_f64_e32 v[214:215], v[212:213]
	s_waitcnt_depctr 0xfff
	v_fma_f64 v[216:217], -v[212:213], v[214:215], 1.0
	v_fma_f64 v[214:215], v[214:215], v[216:217], v[214:215]
	s_delay_alu instid0(VALU_DEP_1) | instskip(NEXT) | instid1(VALU_DEP_1)
	v_fma_f64 v[216:217], -v[212:213], v[214:215], 1.0
	v_fma_f64 v[214:215], v[214:215], v[216:217], v[214:215]
	s_delay_alu instid0(VALU_DEP_1) | instskip(NEXT) | instid1(VALU_DEP_1)
	v_mul_f64 v[216:217], v[218:219], v[214:215]
	v_fma_f64 v[212:213], -v[212:213], v[216:217], v[218:219]
	s_delay_alu instid0(VALU_DEP_1) | instskip(NEXT) | instid1(VALU_DEP_1)
	v_div_fmas_f64 v[212:213], v[212:213], v[214:215], v[216:217]
	v_div_fixup_f64 v[212:213], v[212:213], v[208:209], v[210:211]
	s_delay_alu instid0(VALU_DEP_1) | instskip(NEXT) | instid1(VALU_DEP_1)
	v_fma_f64 v[208:209], v[210:211], v[212:213], v[208:209]
	v_div_scale_f64 v[210:211], null, v[208:209], v[208:209], 1.0
	s_delay_alu instid0(VALU_DEP_1) | instskip(SKIP_2) | instid1(VALU_DEP_1)
	v_rcp_f64_e32 v[214:215], v[210:211]
	s_waitcnt_depctr 0xfff
	v_fma_f64 v[216:217], -v[210:211], v[214:215], 1.0
	v_fma_f64 v[214:215], v[214:215], v[216:217], v[214:215]
	s_delay_alu instid0(VALU_DEP_1) | instskip(NEXT) | instid1(VALU_DEP_1)
	v_fma_f64 v[216:217], -v[210:211], v[214:215], 1.0
	v_fma_f64 v[214:215], v[214:215], v[216:217], v[214:215]
	v_div_scale_f64 v[216:217], vcc_lo, 1.0, v[208:209], 1.0
	s_delay_alu instid0(VALU_DEP_1) | instskip(NEXT) | instid1(VALU_DEP_1)
	v_mul_f64 v[218:219], v[216:217], v[214:215]
	v_fma_f64 v[210:211], -v[210:211], v[218:219], v[216:217]
	s_delay_alu instid0(VALU_DEP_1) | instskip(NEXT) | instid1(VALU_DEP_1)
	v_div_fmas_f64 v[210:211], v[210:211], v[214:215], v[218:219]
	v_div_fixup_f64 v[216:217], v[210:211], v[208:209], 1.0
	s_delay_alu instid0(VALU_DEP_1)
	v_mul_f64 v[214:215], v[212:213], -v[216:217]
.LBB103_88:
	s_or_b32 exec_lo, exec_lo, s3
	ds_store_2addr_b64 v227, v[216:217], v[214:215] offset1:1
.LBB103_89:
	s_or_b32 exec_lo, exec_lo, s4
	s_waitcnt lgkmcnt(0)
	s_barrier
	buffer_gl0_inv
	ds_load_2addr_b64 v[202:205], v227 offset1:1
	s_mov_b32 s3, exec_lo
	s_waitcnt lgkmcnt(0)
	scratch_store_b128 off, v[202:205], off offset:584 ; 16-byte Folded Spill
	v_cmpx_lt_u32_e32 9, v226
	s_cbranch_execz .LBB103_91
; %bb.90:
	scratch_load_b128 v[202:205], off, off offset:584 ; 16-byte Folded Reload
	ds_load_2addr_b64 v[210:213], v228 offset0:20 offset1:21
	s_waitcnt vmcnt(0)
	v_mul_f64 v[208:209], v[204:205], v[170:171]
	v_mul_f64 v[170:171], v[202:203], v[170:171]
	s_delay_alu instid0(VALU_DEP_2) | instskip(NEXT) | instid1(VALU_DEP_2)
	v_fma_f64 v[208:209], v[202:203], v[168:169], -v[208:209]
	v_fma_f64 v[170:171], v[204:205], v[168:169], v[170:171]
	s_waitcnt lgkmcnt(0)
	s_delay_alu instid0(VALU_DEP_1) | instskip(NEXT) | instid1(VALU_DEP_1)
	v_mul_f64 v[168:169], v[212:213], v[170:171]
	v_fma_f64 v[168:169], v[210:211], v[208:209], -v[168:169]
	v_mul_f64 v[210:211], v[210:211], v[170:171]
	s_delay_alu instid0(VALU_DEP_2) | instskip(NEXT) | instid1(VALU_DEP_2)
	v_add_f64 v[164:165], v[164:165], -v[168:169]
	v_fma_f64 v[210:211], v[212:213], v[208:209], v[210:211]
	s_delay_alu instid0(VALU_DEP_1) | instskip(SKIP_3) | instid1(VALU_DEP_1)
	v_add_f64 v[166:167], v[166:167], -v[210:211]
	ds_load_2addr_b64 v[210:213], v228 offset0:22 offset1:23
	s_waitcnt lgkmcnt(0)
	v_mul_f64 v[168:169], v[212:213], v[170:171]
	v_fma_f64 v[168:169], v[210:211], v[208:209], -v[168:169]
	v_mul_f64 v[210:211], v[210:211], v[170:171]
	s_delay_alu instid0(VALU_DEP_2) | instskip(NEXT) | instid1(VALU_DEP_2)
	v_add_f64 v[160:161], v[160:161], -v[168:169]
	v_fma_f64 v[210:211], v[212:213], v[208:209], v[210:211]
	s_delay_alu instid0(VALU_DEP_1) | instskip(SKIP_3) | instid1(VALU_DEP_1)
	v_add_f64 v[162:163], v[162:163], -v[210:211]
	ds_load_2addr_b64 v[210:213], v228 offset0:24 offset1:25
	s_waitcnt lgkmcnt(0)
	;; [unrolled: 10-line block ×41, first 2 shown]
	v_mul_f64 v[168:169], v[212:213], v[170:171]
	v_fma_f64 v[168:169], v[210:211], v[208:209], -v[168:169]
	v_mul_f64 v[210:211], v[210:211], v[170:171]
	s_delay_alu instid0(VALU_DEP_2) | instskip(NEXT) | instid1(VALU_DEP_2)
	v_add_f64 v[0:1], v[0:1], -v[168:169]
	v_fma_f64 v[210:211], v[212:213], v[208:209], v[210:211]
	v_dual_mov_b32 v168, v208 :: v_dual_mov_b32 v169, v209
	s_delay_alu instid0(VALU_DEP_2)
	v_add_f64 v[2:3], v[2:3], -v[210:211]
.LBB103_91:
	s_or_b32 exec_lo, exec_lo, s3
	s_delay_alu instid0(SALU_CYCLE_1)
	s_mov_b32 s4, exec_lo
	s_waitcnt_vscnt null, 0x0
	s_barrier
	buffer_gl0_inv
	v_cmpx_eq_u32_e32 10, v226
	s_cbranch_execz .LBB103_98
; %bb.92:
	ds_store_2addr_b64 v227, v[164:165], v[166:167] offset1:1
	ds_store_2addr_b64 v228, v[160:161], v[162:163] offset0:22 offset1:23
	ds_store_2addr_b64 v228, v[156:157], v[158:159] offset0:24 offset1:25
	;; [unrolled: 1-line block ×41, first 2 shown]
	ds_load_2addr_b64 v[208:211], v227 offset1:1
	s_waitcnt lgkmcnt(0)
	v_cmp_neq_f64_e32 vcc_lo, 0, v[208:209]
	v_cmp_neq_f64_e64 s3, 0, v[210:211]
	s_delay_alu instid0(VALU_DEP_1) | instskip(NEXT) | instid1(SALU_CYCLE_1)
	s_or_b32 s3, vcc_lo, s3
	s_and_b32 exec_lo, exec_lo, s3
	s_cbranch_execz .LBB103_98
; %bb.93:
	v_cmp_gt_f64_e32 vcc_lo, 0, v[208:209]
	v_xor_b32_e32 v204, 0x80000000, v209
	s_mov_b32 s3, exec_lo
                                        ; implicit-def: $vgpr216_vgpr217
	s_delay_alu instid0(VALU_DEP_1) | instskip(SKIP_3) | instid1(VALU_DEP_1)
	v_cndmask_b32_e32 v213, v209, v204, vcc_lo
	v_cndmask_b32_e32 v212, v208, v208, vcc_lo
	v_cmp_gt_f64_e32 vcc_lo, 0, v[210:211]
	v_xor_b32_e32 v204, 0x80000000, v211
	v_dual_cndmask_b32 v214, v210, v210 :: v_dual_cndmask_b32 v215, v211, v204
	s_delay_alu instid0(VALU_DEP_1)
	v_cmpx_ngt_f64_e32 v[212:213], v[214:215]
	s_xor_b32 s3, exec_lo, s3
                                        ; implicit-def: $vgpr212_vgpr213_vgpr214_vgpr215
	s_cbranch_execz .LBB103_95
; %bb.94:
	v_div_scale_f64 v[212:213], null, v[210:211], v[210:211], v[208:209]
	v_div_scale_f64 v[218:219], vcc_lo, v[208:209], v[210:211], v[208:209]
	s_delay_alu instid0(VALU_DEP_2) | instskip(SKIP_2) | instid1(VALU_DEP_1)
	v_rcp_f64_e32 v[214:215], v[212:213]
	s_waitcnt_depctr 0xfff
	v_fma_f64 v[216:217], -v[212:213], v[214:215], 1.0
	v_fma_f64 v[214:215], v[214:215], v[216:217], v[214:215]
	s_delay_alu instid0(VALU_DEP_1) | instskip(NEXT) | instid1(VALU_DEP_1)
	v_fma_f64 v[216:217], -v[212:213], v[214:215], 1.0
	v_fma_f64 v[214:215], v[214:215], v[216:217], v[214:215]
	s_delay_alu instid0(VALU_DEP_1) | instskip(NEXT) | instid1(VALU_DEP_1)
	v_mul_f64 v[216:217], v[218:219], v[214:215]
	v_fma_f64 v[212:213], -v[212:213], v[216:217], v[218:219]
	s_delay_alu instid0(VALU_DEP_1) | instskip(NEXT) | instid1(VALU_DEP_1)
	v_div_fmas_f64 v[212:213], v[212:213], v[214:215], v[216:217]
	v_div_fixup_f64 v[212:213], v[212:213], v[210:211], v[208:209]
	s_delay_alu instid0(VALU_DEP_1) | instskip(NEXT) | instid1(VALU_DEP_1)
	v_fma_f64 v[208:209], v[208:209], v[212:213], v[210:211]
	v_div_scale_f64 v[210:211], null, v[208:209], v[208:209], 1.0
	s_delay_alu instid0(VALU_DEP_1) | instskip(SKIP_2) | instid1(VALU_DEP_1)
	v_rcp_f64_e32 v[214:215], v[210:211]
	s_waitcnt_depctr 0xfff
	v_fma_f64 v[216:217], -v[210:211], v[214:215], 1.0
	v_fma_f64 v[214:215], v[214:215], v[216:217], v[214:215]
	s_delay_alu instid0(VALU_DEP_1) | instskip(NEXT) | instid1(VALU_DEP_1)
	v_fma_f64 v[216:217], -v[210:211], v[214:215], 1.0
	v_fma_f64 v[214:215], v[214:215], v[216:217], v[214:215]
	v_div_scale_f64 v[216:217], vcc_lo, 1.0, v[208:209], 1.0
	s_delay_alu instid0(VALU_DEP_1) | instskip(NEXT) | instid1(VALU_DEP_1)
	v_mul_f64 v[218:219], v[216:217], v[214:215]
	v_fma_f64 v[210:211], -v[210:211], v[218:219], v[216:217]
	s_delay_alu instid0(VALU_DEP_1) | instskip(NEXT) | instid1(VALU_DEP_1)
	v_div_fmas_f64 v[210:211], v[210:211], v[214:215], v[218:219]
	v_div_fixup_f64 v[214:215], v[210:211], v[208:209], 1.0
                                        ; implicit-def: $vgpr208_vgpr209
	s_delay_alu instid0(VALU_DEP_1)
	v_mul_f64 v[216:217], v[212:213], v[214:215]
	v_xor_b32_e32 v215, 0x80000000, v215
.LBB103_95:
	s_and_not1_saveexec_b32 s3, s3
	s_cbranch_execz .LBB103_97
; %bb.96:
	v_div_scale_f64 v[212:213], null, v[208:209], v[208:209], v[210:211]
	v_div_scale_f64 v[218:219], vcc_lo, v[210:211], v[208:209], v[210:211]
	s_delay_alu instid0(VALU_DEP_2) | instskip(SKIP_2) | instid1(VALU_DEP_1)
	v_rcp_f64_e32 v[214:215], v[212:213]
	s_waitcnt_depctr 0xfff
	v_fma_f64 v[216:217], -v[212:213], v[214:215], 1.0
	v_fma_f64 v[214:215], v[214:215], v[216:217], v[214:215]
	s_delay_alu instid0(VALU_DEP_1) | instskip(NEXT) | instid1(VALU_DEP_1)
	v_fma_f64 v[216:217], -v[212:213], v[214:215], 1.0
	v_fma_f64 v[214:215], v[214:215], v[216:217], v[214:215]
	s_delay_alu instid0(VALU_DEP_1) | instskip(NEXT) | instid1(VALU_DEP_1)
	v_mul_f64 v[216:217], v[218:219], v[214:215]
	v_fma_f64 v[212:213], -v[212:213], v[216:217], v[218:219]
	s_delay_alu instid0(VALU_DEP_1) | instskip(NEXT) | instid1(VALU_DEP_1)
	v_div_fmas_f64 v[212:213], v[212:213], v[214:215], v[216:217]
	v_div_fixup_f64 v[212:213], v[212:213], v[208:209], v[210:211]
	s_delay_alu instid0(VALU_DEP_1) | instskip(NEXT) | instid1(VALU_DEP_1)
	v_fma_f64 v[208:209], v[210:211], v[212:213], v[208:209]
	v_div_scale_f64 v[210:211], null, v[208:209], v[208:209], 1.0
	s_delay_alu instid0(VALU_DEP_1) | instskip(SKIP_2) | instid1(VALU_DEP_1)
	v_rcp_f64_e32 v[214:215], v[210:211]
	s_waitcnt_depctr 0xfff
	v_fma_f64 v[216:217], -v[210:211], v[214:215], 1.0
	v_fma_f64 v[214:215], v[214:215], v[216:217], v[214:215]
	s_delay_alu instid0(VALU_DEP_1) | instskip(NEXT) | instid1(VALU_DEP_1)
	v_fma_f64 v[216:217], -v[210:211], v[214:215], 1.0
	v_fma_f64 v[214:215], v[214:215], v[216:217], v[214:215]
	v_div_scale_f64 v[216:217], vcc_lo, 1.0, v[208:209], 1.0
	s_delay_alu instid0(VALU_DEP_1) | instskip(NEXT) | instid1(VALU_DEP_1)
	v_mul_f64 v[218:219], v[216:217], v[214:215]
	v_fma_f64 v[210:211], -v[210:211], v[218:219], v[216:217]
	s_delay_alu instid0(VALU_DEP_1) | instskip(NEXT) | instid1(VALU_DEP_1)
	v_div_fmas_f64 v[210:211], v[210:211], v[214:215], v[218:219]
	v_div_fixup_f64 v[216:217], v[210:211], v[208:209], 1.0
	s_delay_alu instid0(VALU_DEP_1)
	v_mul_f64 v[214:215], v[212:213], -v[216:217]
.LBB103_97:
	s_or_b32 exec_lo, exec_lo, s3
	ds_store_2addr_b64 v227, v[216:217], v[214:215] offset1:1
.LBB103_98:
	s_or_b32 exec_lo, exec_lo, s4
	s_waitcnt lgkmcnt(0)
	s_barrier
	buffer_gl0_inv
	ds_load_2addr_b64 v[202:205], v227 offset1:1
	s_mov_b32 s3, exec_lo
	s_waitcnt lgkmcnt(0)
	scratch_store_b128 off, v[202:205], off offset:600 ; 16-byte Folded Spill
	v_cmpx_lt_u32_e32 10, v226
	s_cbranch_execz .LBB103_100
; %bb.99:
	scratch_load_b128 v[202:205], off, off offset:600 ; 16-byte Folded Reload
	ds_load_2addr_b64 v[210:213], v228 offset0:22 offset1:23
	s_waitcnt vmcnt(0)
	v_mul_f64 v[208:209], v[204:205], v[166:167]
	v_mul_f64 v[166:167], v[202:203], v[166:167]
	s_delay_alu instid0(VALU_DEP_2) | instskip(NEXT) | instid1(VALU_DEP_2)
	v_fma_f64 v[208:209], v[202:203], v[164:165], -v[208:209]
	v_fma_f64 v[166:167], v[204:205], v[164:165], v[166:167]
	s_waitcnt lgkmcnt(0)
	s_delay_alu instid0(VALU_DEP_1) | instskip(NEXT) | instid1(VALU_DEP_1)
	v_mul_f64 v[164:165], v[212:213], v[166:167]
	v_fma_f64 v[164:165], v[210:211], v[208:209], -v[164:165]
	v_mul_f64 v[210:211], v[210:211], v[166:167]
	s_delay_alu instid0(VALU_DEP_2) | instskip(NEXT) | instid1(VALU_DEP_2)
	v_add_f64 v[160:161], v[160:161], -v[164:165]
	v_fma_f64 v[210:211], v[212:213], v[208:209], v[210:211]
	s_delay_alu instid0(VALU_DEP_1) | instskip(SKIP_3) | instid1(VALU_DEP_1)
	v_add_f64 v[162:163], v[162:163], -v[210:211]
	ds_load_2addr_b64 v[210:213], v228 offset0:24 offset1:25
	s_waitcnt lgkmcnt(0)
	v_mul_f64 v[164:165], v[212:213], v[166:167]
	v_fma_f64 v[164:165], v[210:211], v[208:209], -v[164:165]
	v_mul_f64 v[210:211], v[210:211], v[166:167]
	s_delay_alu instid0(VALU_DEP_2) | instskip(NEXT) | instid1(VALU_DEP_2)
	v_add_f64 v[156:157], v[156:157], -v[164:165]
	v_fma_f64 v[210:211], v[212:213], v[208:209], v[210:211]
	s_delay_alu instid0(VALU_DEP_1) | instskip(SKIP_3) | instid1(VALU_DEP_1)
	v_add_f64 v[158:159], v[158:159], -v[210:211]
	ds_load_2addr_b64 v[210:213], v228 offset0:26 offset1:27
	s_waitcnt lgkmcnt(0)
	;; [unrolled: 10-line block ×40, first 2 shown]
	v_mul_f64 v[164:165], v[212:213], v[166:167]
	v_fma_f64 v[164:165], v[210:211], v[208:209], -v[164:165]
	v_mul_f64 v[210:211], v[210:211], v[166:167]
	s_delay_alu instid0(VALU_DEP_2) | instskip(NEXT) | instid1(VALU_DEP_2)
	v_add_f64 v[0:1], v[0:1], -v[164:165]
	v_fma_f64 v[210:211], v[212:213], v[208:209], v[210:211]
	v_dual_mov_b32 v164, v208 :: v_dual_mov_b32 v165, v209
	s_delay_alu instid0(VALU_DEP_2)
	v_add_f64 v[2:3], v[2:3], -v[210:211]
.LBB103_100:
	s_or_b32 exec_lo, exec_lo, s3
	s_delay_alu instid0(SALU_CYCLE_1)
	s_mov_b32 s4, exec_lo
	s_waitcnt_vscnt null, 0x0
	s_barrier
	buffer_gl0_inv
	v_cmpx_eq_u32_e32 11, v226
	s_cbranch_execz .LBB103_107
; %bb.101:
	ds_store_2addr_b64 v227, v[160:161], v[162:163] offset1:1
	ds_store_2addr_b64 v228, v[156:157], v[158:159] offset0:24 offset1:25
	ds_store_2addr_b64 v228, v[152:153], v[154:155] offset0:26 offset1:27
	;; [unrolled: 1-line block ×40, first 2 shown]
	ds_load_2addr_b64 v[208:211], v227 offset1:1
	s_waitcnt lgkmcnt(0)
	v_cmp_neq_f64_e32 vcc_lo, 0, v[208:209]
	v_cmp_neq_f64_e64 s3, 0, v[210:211]
	s_delay_alu instid0(VALU_DEP_1) | instskip(NEXT) | instid1(SALU_CYCLE_1)
	s_or_b32 s3, vcc_lo, s3
	s_and_b32 exec_lo, exec_lo, s3
	s_cbranch_execz .LBB103_107
; %bb.102:
	v_cmp_gt_f64_e32 vcc_lo, 0, v[208:209]
	v_xor_b32_e32 v204, 0x80000000, v209
	s_mov_b32 s3, exec_lo
                                        ; implicit-def: $vgpr216_vgpr217
	s_delay_alu instid0(VALU_DEP_1) | instskip(SKIP_3) | instid1(VALU_DEP_1)
	v_cndmask_b32_e32 v213, v209, v204, vcc_lo
	v_cndmask_b32_e32 v212, v208, v208, vcc_lo
	v_cmp_gt_f64_e32 vcc_lo, 0, v[210:211]
	v_xor_b32_e32 v204, 0x80000000, v211
	v_dual_cndmask_b32 v214, v210, v210 :: v_dual_cndmask_b32 v215, v211, v204
	s_delay_alu instid0(VALU_DEP_1)
	v_cmpx_ngt_f64_e32 v[212:213], v[214:215]
	s_xor_b32 s3, exec_lo, s3
                                        ; implicit-def: $vgpr212_vgpr213_vgpr214_vgpr215
	s_cbranch_execz .LBB103_104
; %bb.103:
	v_div_scale_f64 v[212:213], null, v[210:211], v[210:211], v[208:209]
	v_div_scale_f64 v[218:219], vcc_lo, v[208:209], v[210:211], v[208:209]
	s_delay_alu instid0(VALU_DEP_2) | instskip(SKIP_2) | instid1(VALU_DEP_1)
	v_rcp_f64_e32 v[214:215], v[212:213]
	s_waitcnt_depctr 0xfff
	v_fma_f64 v[216:217], -v[212:213], v[214:215], 1.0
	v_fma_f64 v[214:215], v[214:215], v[216:217], v[214:215]
	s_delay_alu instid0(VALU_DEP_1) | instskip(NEXT) | instid1(VALU_DEP_1)
	v_fma_f64 v[216:217], -v[212:213], v[214:215], 1.0
	v_fma_f64 v[214:215], v[214:215], v[216:217], v[214:215]
	s_delay_alu instid0(VALU_DEP_1) | instskip(NEXT) | instid1(VALU_DEP_1)
	v_mul_f64 v[216:217], v[218:219], v[214:215]
	v_fma_f64 v[212:213], -v[212:213], v[216:217], v[218:219]
	s_delay_alu instid0(VALU_DEP_1) | instskip(NEXT) | instid1(VALU_DEP_1)
	v_div_fmas_f64 v[212:213], v[212:213], v[214:215], v[216:217]
	v_div_fixup_f64 v[212:213], v[212:213], v[210:211], v[208:209]
	s_delay_alu instid0(VALU_DEP_1) | instskip(NEXT) | instid1(VALU_DEP_1)
	v_fma_f64 v[208:209], v[208:209], v[212:213], v[210:211]
	v_div_scale_f64 v[210:211], null, v[208:209], v[208:209], 1.0
	s_delay_alu instid0(VALU_DEP_1) | instskip(SKIP_2) | instid1(VALU_DEP_1)
	v_rcp_f64_e32 v[214:215], v[210:211]
	s_waitcnt_depctr 0xfff
	v_fma_f64 v[216:217], -v[210:211], v[214:215], 1.0
	v_fma_f64 v[214:215], v[214:215], v[216:217], v[214:215]
	s_delay_alu instid0(VALU_DEP_1) | instskip(NEXT) | instid1(VALU_DEP_1)
	v_fma_f64 v[216:217], -v[210:211], v[214:215], 1.0
	v_fma_f64 v[214:215], v[214:215], v[216:217], v[214:215]
	v_div_scale_f64 v[216:217], vcc_lo, 1.0, v[208:209], 1.0
	s_delay_alu instid0(VALU_DEP_1) | instskip(NEXT) | instid1(VALU_DEP_1)
	v_mul_f64 v[218:219], v[216:217], v[214:215]
	v_fma_f64 v[210:211], -v[210:211], v[218:219], v[216:217]
	s_delay_alu instid0(VALU_DEP_1) | instskip(NEXT) | instid1(VALU_DEP_1)
	v_div_fmas_f64 v[210:211], v[210:211], v[214:215], v[218:219]
	v_div_fixup_f64 v[214:215], v[210:211], v[208:209], 1.0
                                        ; implicit-def: $vgpr208_vgpr209
	s_delay_alu instid0(VALU_DEP_1)
	v_mul_f64 v[216:217], v[212:213], v[214:215]
	v_xor_b32_e32 v215, 0x80000000, v215
.LBB103_104:
	s_and_not1_saveexec_b32 s3, s3
	s_cbranch_execz .LBB103_106
; %bb.105:
	v_div_scale_f64 v[212:213], null, v[208:209], v[208:209], v[210:211]
	v_div_scale_f64 v[218:219], vcc_lo, v[210:211], v[208:209], v[210:211]
	s_delay_alu instid0(VALU_DEP_2) | instskip(SKIP_2) | instid1(VALU_DEP_1)
	v_rcp_f64_e32 v[214:215], v[212:213]
	s_waitcnt_depctr 0xfff
	v_fma_f64 v[216:217], -v[212:213], v[214:215], 1.0
	v_fma_f64 v[214:215], v[214:215], v[216:217], v[214:215]
	s_delay_alu instid0(VALU_DEP_1) | instskip(NEXT) | instid1(VALU_DEP_1)
	v_fma_f64 v[216:217], -v[212:213], v[214:215], 1.0
	v_fma_f64 v[214:215], v[214:215], v[216:217], v[214:215]
	s_delay_alu instid0(VALU_DEP_1) | instskip(NEXT) | instid1(VALU_DEP_1)
	v_mul_f64 v[216:217], v[218:219], v[214:215]
	v_fma_f64 v[212:213], -v[212:213], v[216:217], v[218:219]
	s_delay_alu instid0(VALU_DEP_1) | instskip(NEXT) | instid1(VALU_DEP_1)
	v_div_fmas_f64 v[212:213], v[212:213], v[214:215], v[216:217]
	v_div_fixup_f64 v[212:213], v[212:213], v[208:209], v[210:211]
	s_delay_alu instid0(VALU_DEP_1) | instskip(NEXT) | instid1(VALU_DEP_1)
	v_fma_f64 v[208:209], v[210:211], v[212:213], v[208:209]
	v_div_scale_f64 v[210:211], null, v[208:209], v[208:209], 1.0
	s_delay_alu instid0(VALU_DEP_1) | instskip(SKIP_2) | instid1(VALU_DEP_1)
	v_rcp_f64_e32 v[214:215], v[210:211]
	s_waitcnt_depctr 0xfff
	v_fma_f64 v[216:217], -v[210:211], v[214:215], 1.0
	v_fma_f64 v[214:215], v[214:215], v[216:217], v[214:215]
	s_delay_alu instid0(VALU_DEP_1) | instskip(NEXT) | instid1(VALU_DEP_1)
	v_fma_f64 v[216:217], -v[210:211], v[214:215], 1.0
	v_fma_f64 v[214:215], v[214:215], v[216:217], v[214:215]
	v_div_scale_f64 v[216:217], vcc_lo, 1.0, v[208:209], 1.0
	s_delay_alu instid0(VALU_DEP_1) | instskip(NEXT) | instid1(VALU_DEP_1)
	v_mul_f64 v[218:219], v[216:217], v[214:215]
	v_fma_f64 v[210:211], -v[210:211], v[218:219], v[216:217]
	s_delay_alu instid0(VALU_DEP_1) | instskip(NEXT) | instid1(VALU_DEP_1)
	v_div_fmas_f64 v[210:211], v[210:211], v[214:215], v[218:219]
	v_div_fixup_f64 v[216:217], v[210:211], v[208:209], 1.0
	s_delay_alu instid0(VALU_DEP_1)
	v_mul_f64 v[214:215], v[212:213], -v[216:217]
.LBB103_106:
	s_or_b32 exec_lo, exec_lo, s3
	ds_store_2addr_b64 v227, v[216:217], v[214:215] offset1:1
.LBB103_107:
	s_or_b32 exec_lo, exec_lo, s4
	s_waitcnt lgkmcnt(0)
	s_barrier
	buffer_gl0_inv
	ds_load_2addr_b64 v[202:205], v227 offset1:1
	s_mov_b32 s3, exec_lo
	s_waitcnt lgkmcnt(0)
	scratch_store_b128 off, v[202:205], off offset:616 ; 16-byte Folded Spill
	v_cmpx_lt_u32_e32 11, v226
	s_cbranch_execz .LBB103_109
; %bb.108:
	scratch_load_b128 v[202:205], off, off offset:616 ; 16-byte Folded Reload
	ds_load_2addr_b64 v[210:213], v228 offset0:24 offset1:25
	s_waitcnt vmcnt(0)
	v_mul_f64 v[208:209], v[204:205], v[162:163]
	v_mul_f64 v[162:163], v[202:203], v[162:163]
	s_delay_alu instid0(VALU_DEP_2) | instskip(NEXT) | instid1(VALU_DEP_2)
	v_fma_f64 v[208:209], v[202:203], v[160:161], -v[208:209]
	v_fma_f64 v[162:163], v[204:205], v[160:161], v[162:163]
	s_waitcnt lgkmcnt(0)
	s_delay_alu instid0(VALU_DEP_1) | instskip(NEXT) | instid1(VALU_DEP_1)
	v_mul_f64 v[160:161], v[212:213], v[162:163]
	v_fma_f64 v[160:161], v[210:211], v[208:209], -v[160:161]
	v_mul_f64 v[210:211], v[210:211], v[162:163]
	s_delay_alu instid0(VALU_DEP_2) | instskip(NEXT) | instid1(VALU_DEP_2)
	v_add_f64 v[156:157], v[156:157], -v[160:161]
	v_fma_f64 v[210:211], v[212:213], v[208:209], v[210:211]
	s_delay_alu instid0(VALU_DEP_1) | instskip(SKIP_3) | instid1(VALU_DEP_1)
	v_add_f64 v[158:159], v[158:159], -v[210:211]
	ds_load_2addr_b64 v[210:213], v228 offset0:26 offset1:27
	s_waitcnt lgkmcnt(0)
	v_mul_f64 v[160:161], v[212:213], v[162:163]
	v_fma_f64 v[160:161], v[210:211], v[208:209], -v[160:161]
	v_mul_f64 v[210:211], v[210:211], v[162:163]
	s_delay_alu instid0(VALU_DEP_2) | instskip(NEXT) | instid1(VALU_DEP_2)
	v_add_f64 v[152:153], v[152:153], -v[160:161]
	v_fma_f64 v[210:211], v[212:213], v[208:209], v[210:211]
	s_delay_alu instid0(VALU_DEP_1) | instskip(SKIP_3) | instid1(VALU_DEP_1)
	v_add_f64 v[154:155], v[154:155], -v[210:211]
	ds_load_2addr_b64 v[210:213], v228 offset0:28 offset1:29
	s_waitcnt lgkmcnt(0)
	;; [unrolled: 10-line block ×39, first 2 shown]
	v_mul_f64 v[160:161], v[212:213], v[162:163]
	v_fma_f64 v[160:161], v[210:211], v[208:209], -v[160:161]
	v_mul_f64 v[210:211], v[210:211], v[162:163]
	s_delay_alu instid0(VALU_DEP_2) | instskip(NEXT) | instid1(VALU_DEP_2)
	v_add_f64 v[0:1], v[0:1], -v[160:161]
	v_fma_f64 v[210:211], v[212:213], v[208:209], v[210:211]
	v_dual_mov_b32 v160, v208 :: v_dual_mov_b32 v161, v209
	s_delay_alu instid0(VALU_DEP_2)
	v_add_f64 v[2:3], v[2:3], -v[210:211]
.LBB103_109:
	s_or_b32 exec_lo, exec_lo, s3
	s_delay_alu instid0(SALU_CYCLE_1)
	s_mov_b32 s4, exec_lo
	s_waitcnt_vscnt null, 0x0
	s_barrier
	buffer_gl0_inv
	v_cmpx_eq_u32_e32 12, v226
	s_cbranch_execz .LBB103_116
; %bb.110:
	ds_store_2addr_b64 v227, v[156:157], v[158:159] offset1:1
	ds_store_2addr_b64 v228, v[152:153], v[154:155] offset0:26 offset1:27
	ds_store_2addr_b64 v228, v[148:149], v[150:151] offset0:28 offset1:29
	;; [unrolled: 1-line block ×39, first 2 shown]
	ds_load_2addr_b64 v[208:211], v227 offset1:1
	s_waitcnt lgkmcnt(0)
	v_cmp_neq_f64_e32 vcc_lo, 0, v[208:209]
	v_cmp_neq_f64_e64 s3, 0, v[210:211]
	s_delay_alu instid0(VALU_DEP_1) | instskip(NEXT) | instid1(SALU_CYCLE_1)
	s_or_b32 s3, vcc_lo, s3
	s_and_b32 exec_lo, exec_lo, s3
	s_cbranch_execz .LBB103_116
; %bb.111:
	v_cmp_gt_f64_e32 vcc_lo, 0, v[208:209]
	v_xor_b32_e32 v204, 0x80000000, v209
	s_mov_b32 s3, exec_lo
                                        ; implicit-def: $vgpr216_vgpr217
	s_delay_alu instid0(VALU_DEP_1) | instskip(SKIP_3) | instid1(VALU_DEP_1)
	v_cndmask_b32_e32 v213, v209, v204, vcc_lo
	v_cndmask_b32_e32 v212, v208, v208, vcc_lo
	v_cmp_gt_f64_e32 vcc_lo, 0, v[210:211]
	v_xor_b32_e32 v204, 0x80000000, v211
	v_dual_cndmask_b32 v214, v210, v210 :: v_dual_cndmask_b32 v215, v211, v204
	s_delay_alu instid0(VALU_DEP_1)
	v_cmpx_ngt_f64_e32 v[212:213], v[214:215]
	s_xor_b32 s3, exec_lo, s3
                                        ; implicit-def: $vgpr212_vgpr213_vgpr214_vgpr215
	s_cbranch_execz .LBB103_113
; %bb.112:
	v_div_scale_f64 v[212:213], null, v[210:211], v[210:211], v[208:209]
	v_div_scale_f64 v[218:219], vcc_lo, v[208:209], v[210:211], v[208:209]
	s_delay_alu instid0(VALU_DEP_2) | instskip(SKIP_2) | instid1(VALU_DEP_1)
	v_rcp_f64_e32 v[214:215], v[212:213]
	s_waitcnt_depctr 0xfff
	v_fma_f64 v[216:217], -v[212:213], v[214:215], 1.0
	v_fma_f64 v[214:215], v[214:215], v[216:217], v[214:215]
	s_delay_alu instid0(VALU_DEP_1) | instskip(NEXT) | instid1(VALU_DEP_1)
	v_fma_f64 v[216:217], -v[212:213], v[214:215], 1.0
	v_fma_f64 v[214:215], v[214:215], v[216:217], v[214:215]
	s_delay_alu instid0(VALU_DEP_1) | instskip(NEXT) | instid1(VALU_DEP_1)
	v_mul_f64 v[216:217], v[218:219], v[214:215]
	v_fma_f64 v[212:213], -v[212:213], v[216:217], v[218:219]
	s_delay_alu instid0(VALU_DEP_1) | instskip(NEXT) | instid1(VALU_DEP_1)
	v_div_fmas_f64 v[212:213], v[212:213], v[214:215], v[216:217]
	v_div_fixup_f64 v[212:213], v[212:213], v[210:211], v[208:209]
	s_delay_alu instid0(VALU_DEP_1) | instskip(NEXT) | instid1(VALU_DEP_1)
	v_fma_f64 v[208:209], v[208:209], v[212:213], v[210:211]
	v_div_scale_f64 v[210:211], null, v[208:209], v[208:209], 1.0
	s_delay_alu instid0(VALU_DEP_1) | instskip(SKIP_2) | instid1(VALU_DEP_1)
	v_rcp_f64_e32 v[214:215], v[210:211]
	s_waitcnt_depctr 0xfff
	v_fma_f64 v[216:217], -v[210:211], v[214:215], 1.0
	v_fma_f64 v[214:215], v[214:215], v[216:217], v[214:215]
	s_delay_alu instid0(VALU_DEP_1) | instskip(NEXT) | instid1(VALU_DEP_1)
	v_fma_f64 v[216:217], -v[210:211], v[214:215], 1.0
	v_fma_f64 v[214:215], v[214:215], v[216:217], v[214:215]
	v_div_scale_f64 v[216:217], vcc_lo, 1.0, v[208:209], 1.0
	s_delay_alu instid0(VALU_DEP_1) | instskip(NEXT) | instid1(VALU_DEP_1)
	v_mul_f64 v[218:219], v[216:217], v[214:215]
	v_fma_f64 v[210:211], -v[210:211], v[218:219], v[216:217]
	s_delay_alu instid0(VALU_DEP_1) | instskip(NEXT) | instid1(VALU_DEP_1)
	v_div_fmas_f64 v[210:211], v[210:211], v[214:215], v[218:219]
	v_div_fixup_f64 v[214:215], v[210:211], v[208:209], 1.0
                                        ; implicit-def: $vgpr208_vgpr209
	s_delay_alu instid0(VALU_DEP_1)
	v_mul_f64 v[216:217], v[212:213], v[214:215]
	v_xor_b32_e32 v215, 0x80000000, v215
.LBB103_113:
	s_and_not1_saveexec_b32 s3, s3
	s_cbranch_execz .LBB103_115
; %bb.114:
	v_div_scale_f64 v[212:213], null, v[208:209], v[208:209], v[210:211]
	v_div_scale_f64 v[218:219], vcc_lo, v[210:211], v[208:209], v[210:211]
	s_delay_alu instid0(VALU_DEP_2) | instskip(SKIP_2) | instid1(VALU_DEP_1)
	v_rcp_f64_e32 v[214:215], v[212:213]
	s_waitcnt_depctr 0xfff
	v_fma_f64 v[216:217], -v[212:213], v[214:215], 1.0
	v_fma_f64 v[214:215], v[214:215], v[216:217], v[214:215]
	s_delay_alu instid0(VALU_DEP_1) | instskip(NEXT) | instid1(VALU_DEP_1)
	v_fma_f64 v[216:217], -v[212:213], v[214:215], 1.0
	v_fma_f64 v[214:215], v[214:215], v[216:217], v[214:215]
	s_delay_alu instid0(VALU_DEP_1) | instskip(NEXT) | instid1(VALU_DEP_1)
	v_mul_f64 v[216:217], v[218:219], v[214:215]
	v_fma_f64 v[212:213], -v[212:213], v[216:217], v[218:219]
	s_delay_alu instid0(VALU_DEP_1) | instskip(NEXT) | instid1(VALU_DEP_1)
	v_div_fmas_f64 v[212:213], v[212:213], v[214:215], v[216:217]
	v_div_fixup_f64 v[212:213], v[212:213], v[208:209], v[210:211]
	s_delay_alu instid0(VALU_DEP_1) | instskip(NEXT) | instid1(VALU_DEP_1)
	v_fma_f64 v[208:209], v[210:211], v[212:213], v[208:209]
	v_div_scale_f64 v[210:211], null, v[208:209], v[208:209], 1.0
	s_delay_alu instid0(VALU_DEP_1) | instskip(SKIP_2) | instid1(VALU_DEP_1)
	v_rcp_f64_e32 v[214:215], v[210:211]
	s_waitcnt_depctr 0xfff
	v_fma_f64 v[216:217], -v[210:211], v[214:215], 1.0
	v_fma_f64 v[214:215], v[214:215], v[216:217], v[214:215]
	s_delay_alu instid0(VALU_DEP_1) | instskip(NEXT) | instid1(VALU_DEP_1)
	v_fma_f64 v[216:217], -v[210:211], v[214:215], 1.0
	v_fma_f64 v[214:215], v[214:215], v[216:217], v[214:215]
	v_div_scale_f64 v[216:217], vcc_lo, 1.0, v[208:209], 1.0
	s_delay_alu instid0(VALU_DEP_1) | instskip(NEXT) | instid1(VALU_DEP_1)
	v_mul_f64 v[218:219], v[216:217], v[214:215]
	v_fma_f64 v[210:211], -v[210:211], v[218:219], v[216:217]
	s_delay_alu instid0(VALU_DEP_1) | instskip(NEXT) | instid1(VALU_DEP_1)
	v_div_fmas_f64 v[210:211], v[210:211], v[214:215], v[218:219]
	v_div_fixup_f64 v[216:217], v[210:211], v[208:209], 1.0
	s_delay_alu instid0(VALU_DEP_1)
	v_mul_f64 v[214:215], v[212:213], -v[216:217]
.LBB103_115:
	s_or_b32 exec_lo, exec_lo, s3
	ds_store_2addr_b64 v227, v[216:217], v[214:215] offset1:1
.LBB103_116:
	s_or_b32 exec_lo, exec_lo, s4
	s_waitcnt lgkmcnt(0)
	s_barrier
	buffer_gl0_inv
	ds_load_2addr_b64 v[202:205], v227 offset1:1
	s_mov_b32 s3, exec_lo
	s_waitcnt lgkmcnt(0)
	scratch_store_b128 off, v[202:205], off offset:632 ; 16-byte Folded Spill
	v_cmpx_lt_u32_e32 12, v226
	s_cbranch_execz .LBB103_118
; %bb.117:
	scratch_load_b128 v[202:205], off, off offset:632 ; 16-byte Folded Reload
	ds_load_2addr_b64 v[210:213], v228 offset0:26 offset1:27
	s_waitcnt vmcnt(0)
	v_mul_f64 v[208:209], v[204:205], v[158:159]
	v_mul_f64 v[158:159], v[202:203], v[158:159]
	s_delay_alu instid0(VALU_DEP_2) | instskip(NEXT) | instid1(VALU_DEP_2)
	v_fma_f64 v[208:209], v[202:203], v[156:157], -v[208:209]
	v_fma_f64 v[158:159], v[204:205], v[156:157], v[158:159]
	s_waitcnt lgkmcnt(0)
	s_delay_alu instid0(VALU_DEP_1) | instskip(NEXT) | instid1(VALU_DEP_1)
	v_mul_f64 v[156:157], v[212:213], v[158:159]
	v_fma_f64 v[156:157], v[210:211], v[208:209], -v[156:157]
	v_mul_f64 v[210:211], v[210:211], v[158:159]
	s_delay_alu instid0(VALU_DEP_2) | instskip(NEXT) | instid1(VALU_DEP_2)
	v_add_f64 v[152:153], v[152:153], -v[156:157]
	v_fma_f64 v[210:211], v[212:213], v[208:209], v[210:211]
	s_delay_alu instid0(VALU_DEP_1) | instskip(SKIP_3) | instid1(VALU_DEP_1)
	v_add_f64 v[154:155], v[154:155], -v[210:211]
	ds_load_2addr_b64 v[210:213], v228 offset0:28 offset1:29
	s_waitcnt lgkmcnt(0)
	v_mul_f64 v[156:157], v[212:213], v[158:159]
	v_fma_f64 v[156:157], v[210:211], v[208:209], -v[156:157]
	v_mul_f64 v[210:211], v[210:211], v[158:159]
	s_delay_alu instid0(VALU_DEP_2) | instskip(NEXT) | instid1(VALU_DEP_2)
	v_add_f64 v[148:149], v[148:149], -v[156:157]
	v_fma_f64 v[210:211], v[212:213], v[208:209], v[210:211]
	s_delay_alu instid0(VALU_DEP_1) | instskip(SKIP_3) | instid1(VALU_DEP_1)
	v_add_f64 v[150:151], v[150:151], -v[210:211]
	ds_load_2addr_b64 v[210:213], v228 offset0:30 offset1:31
	s_waitcnt lgkmcnt(0)
	;; [unrolled: 10-line block ×38, first 2 shown]
	v_mul_f64 v[156:157], v[212:213], v[158:159]
	v_fma_f64 v[156:157], v[210:211], v[208:209], -v[156:157]
	v_mul_f64 v[210:211], v[210:211], v[158:159]
	s_delay_alu instid0(VALU_DEP_2) | instskip(NEXT) | instid1(VALU_DEP_2)
	v_add_f64 v[0:1], v[0:1], -v[156:157]
	v_fma_f64 v[210:211], v[212:213], v[208:209], v[210:211]
	v_dual_mov_b32 v156, v208 :: v_dual_mov_b32 v157, v209
	s_delay_alu instid0(VALU_DEP_2)
	v_add_f64 v[2:3], v[2:3], -v[210:211]
.LBB103_118:
	s_or_b32 exec_lo, exec_lo, s3
	s_delay_alu instid0(SALU_CYCLE_1)
	s_mov_b32 s4, exec_lo
	s_waitcnt_vscnt null, 0x0
	s_barrier
	buffer_gl0_inv
	v_cmpx_eq_u32_e32 13, v226
	s_cbranch_execz .LBB103_125
; %bb.119:
	ds_store_2addr_b64 v227, v[152:153], v[154:155] offset1:1
	ds_store_2addr_b64 v228, v[148:149], v[150:151] offset0:28 offset1:29
	ds_store_2addr_b64 v228, v[144:145], v[146:147] offset0:30 offset1:31
	;; [unrolled: 1-line block ×38, first 2 shown]
	ds_load_2addr_b64 v[208:211], v227 offset1:1
	s_waitcnt lgkmcnt(0)
	v_cmp_neq_f64_e32 vcc_lo, 0, v[208:209]
	v_cmp_neq_f64_e64 s3, 0, v[210:211]
	s_delay_alu instid0(VALU_DEP_1) | instskip(NEXT) | instid1(SALU_CYCLE_1)
	s_or_b32 s3, vcc_lo, s3
	s_and_b32 exec_lo, exec_lo, s3
	s_cbranch_execz .LBB103_125
; %bb.120:
	v_cmp_gt_f64_e32 vcc_lo, 0, v[208:209]
	v_xor_b32_e32 v204, 0x80000000, v209
	s_mov_b32 s3, exec_lo
                                        ; implicit-def: $vgpr216_vgpr217
	s_delay_alu instid0(VALU_DEP_1) | instskip(SKIP_3) | instid1(VALU_DEP_1)
	v_cndmask_b32_e32 v213, v209, v204, vcc_lo
	v_cndmask_b32_e32 v212, v208, v208, vcc_lo
	v_cmp_gt_f64_e32 vcc_lo, 0, v[210:211]
	v_xor_b32_e32 v204, 0x80000000, v211
	v_dual_cndmask_b32 v214, v210, v210 :: v_dual_cndmask_b32 v215, v211, v204
	s_delay_alu instid0(VALU_DEP_1)
	v_cmpx_ngt_f64_e32 v[212:213], v[214:215]
	s_xor_b32 s3, exec_lo, s3
                                        ; implicit-def: $vgpr212_vgpr213_vgpr214_vgpr215
	s_cbranch_execz .LBB103_122
; %bb.121:
	v_div_scale_f64 v[212:213], null, v[210:211], v[210:211], v[208:209]
	v_div_scale_f64 v[218:219], vcc_lo, v[208:209], v[210:211], v[208:209]
	s_delay_alu instid0(VALU_DEP_2) | instskip(SKIP_2) | instid1(VALU_DEP_1)
	v_rcp_f64_e32 v[214:215], v[212:213]
	s_waitcnt_depctr 0xfff
	v_fma_f64 v[216:217], -v[212:213], v[214:215], 1.0
	v_fma_f64 v[214:215], v[214:215], v[216:217], v[214:215]
	s_delay_alu instid0(VALU_DEP_1) | instskip(NEXT) | instid1(VALU_DEP_1)
	v_fma_f64 v[216:217], -v[212:213], v[214:215], 1.0
	v_fma_f64 v[214:215], v[214:215], v[216:217], v[214:215]
	s_delay_alu instid0(VALU_DEP_1) | instskip(NEXT) | instid1(VALU_DEP_1)
	v_mul_f64 v[216:217], v[218:219], v[214:215]
	v_fma_f64 v[212:213], -v[212:213], v[216:217], v[218:219]
	s_delay_alu instid0(VALU_DEP_1) | instskip(NEXT) | instid1(VALU_DEP_1)
	v_div_fmas_f64 v[212:213], v[212:213], v[214:215], v[216:217]
	v_div_fixup_f64 v[212:213], v[212:213], v[210:211], v[208:209]
	s_delay_alu instid0(VALU_DEP_1) | instskip(NEXT) | instid1(VALU_DEP_1)
	v_fma_f64 v[208:209], v[208:209], v[212:213], v[210:211]
	v_div_scale_f64 v[210:211], null, v[208:209], v[208:209], 1.0
	s_delay_alu instid0(VALU_DEP_1) | instskip(SKIP_2) | instid1(VALU_DEP_1)
	v_rcp_f64_e32 v[214:215], v[210:211]
	s_waitcnt_depctr 0xfff
	v_fma_f64 v[216:217], -v[210:211], v[214:215], 1.0
	v_fma_f64 v[214:215], v[214:215], v[216:217], v[214:215]
	s_delay_alu instid0(VALU_DEP_1) | instskip(NEXT) | instid1(VALU_DEP_1)
	v_fma_f64 v[216:217], -v[210:211], v[214:215], 1.0
	v_fma_f64 v[214:215], v[214:215], v[216:217], v[214:215]
	v_div_scale_f64 v[216:217], vcc_lo, 1.0, v[208:209], 1.0
	s_delay_alu instid0(VALU_DEP_1) | instskip(NEXT) | instid1(VALU_DEP_1)
	v_mul_f64 v[218:219], v[216:217], v[214:215]
	v_fma_f64 v[210:211], -v[210:211], v[218:219], v[216:217]
	s_delay_alu instid0(VALU_DEP_1) | instskip(NEXT) | instid1(VALU_DEP_1)
	v_div_fmas_f64 v[210:211], v[210:211], v[214:215], v[218:219]
	v_div_fixup_f64 v[214:215], v[210:211], v[208:209], 1.0
                                        ; implicit-def: $vgpr208_vgpr209
	s_delay_alu instid0(VALU_DEP_1)
	v_mul_f64 v[216:217], v[212:213], v[214:215]
	v_xor_b32_e32 v215, 0x80000000, v215
.LBB103_122:
	s_and_not1_saveexec_b32 s3, s3
	s_cbranch_execz .LBB103_124
; %bb.123:
	v_div_scale_f64 v[212:213], null, v[208:209], v[208:209], v[210:211]
	v_div_scale_f64 v[218:219], vcc_lo, v[210:211], v[208:209], v[210:211]
	s_delay_alu instid0(VALU_DEP_2) | instskip(SKIP_2) | instid1(VALU_DEP_1)
	v_rcp_f64_e32 v[214:215], v[212:213]
	s_waitcnt_depctr 0xfff
	v_fma_f64 v[216:217], -v[212:213], v[214:215], 1.0
	v_fma_f64 v[214:215], v[214:215], v[216:217], v[214:215]
	s_delay_alu instid0(VALU_DEP_1) | instskip(NEXT) | instid1(VALU_DEP_1)
	v_fma_f64 v[216:217], -v[212:213], v[214:215], 1.0
	v_fma_f64 v[214:215], v[214:215], v[216:217], v[214:215]
	s_delay_alu instid0(VALU_DEP_1) | instskip(NEXT) | instid1(VALU_DEP_1)
	v_mul_f64 v[216:217], v[218:219], v[214:215]
	v_fma_f64 v[212:213], -v[212:213], v[216:217], v[218:219]
	s_delay_alu instid0(VALU_DEP_1) | instskip(NEXT) | instid1(VALU_DEP_1)
	v_div_fmas_f64 v[212:213], v[212:213], v[214:215], v[216:217]
	v_div_fixup_f64 v[212:213], v[212:213], v[208:209], v[210:211]
	s_delay_alu instid0(VALU_DEP_1) | instskip(NEXT) | instid1(VALU_DEP_1)
	v_fma_f64 v[208:209], v[210:211], v[212:213], v[208:209]
	v_div_scale_f64 v[210:211], null, v[208:209], v[208:209], 1.0
	s_delay_alu instid0(VALU_DEP_1) | instskip(SKIP_2) | instid1(VALU_DEP_1)
	v_rcp_f64_e32 v[214:215], v[210:211]
	s_waitcnt_depctr 0xfff
	v_fma_f64 v[216:217], -v[210:211], v[214:215], 1.0
	v_fma_f64 v[214:215], v[214:215], v[216:217], v[214:215]
	s_delay_alu instid0(VALU_DEP_1) | instskip(NEXT) | instid1(VALU_DEP_1)
	v_fma_f64 v[216:217], -v[210:211], v[214:215], 1.0
	v_fma_f64 v[214:215], v[214:215], v[216:217], v[214:215]
	v_div_scale_f64 v[216:217], vcc_lo, 1.0, v[208:209], 1.0
	s_delay_alu instid0(VALU_DEP_1) | instskip(NEXT) | instid1(VALU_DEP_1)
	v_mul_f64 v[218:219], v[216:217], v[214:215]
	v_fma_f64 v[210:211], -v[210:211], v[218:219], v[216:217]
	s_delay_alu instid0(VALU_DEP_1) | instskip(NEXT) | instid1(VALU_DEP_1)
	v_div_fmas_f64 v[210:211], v[210:211], v[214:215], v[218:219]
	v_div_fixup_f64 v[216:217], v[210:211], v[208:209], 1.0
	s_delay_alu instid0(VALU_DEP_1)
	v_mul_f64 v[214:215], v[212:213], -v[216:217]
.LBB103_124:
	s_or_b32 exec_lo, exec_lo, s3
	ds_store_2addr_b64 v227, v[216:217], v[214:215] offset1:1
.LBB103_125:
	s_or_b32 exec_lo, exec_lo, s4
	s_waitcnt lgkmcnt(0)
	s_barrier
	buffer_gl0_inv
	ds_load_2addr_b64 v[202:205], v227 offset1:1
	s_mov_b32 s3, exec_lo
	s_waitcnt lgkmcnt(0)
	scratch_store_b128 off, v[202:205], off offset:648 ; 16-byte Folded Spill
	v_cmpx_lt_u32_e32 13, v226
	s_cbranch_execz .LBB103_127
; %bb.126:
	scratch_load_b128 v[202:205], off, off offset:648 ; 16-byte Folded Reload
	ds_load_2addr_b64 v[210:213], v228 offset0:28 offset1:29
	s_waitcnt vmcnt(0)
	v_mul_f64 v[208:209], v[204:205], v[154:155]
	v_mul_f64 v[154:155], v[202:203], v[154:155]
	s_delay_alu instid0(VALU_DEP_2) | instskip(NEXT) | instid1(VALU_DEP_2)
	v_fma_f64 v[208:209], v[202:203], v[152:153], -v[208:209]
	v_fma_f64 v[154:155], v[204:205], v[152:153], v[154:155]
	s_waitcnt lgkmcnt(0)
	s_delay_alu instid0(VALU_DEP_1) | instskip(NEXT) | instid1(VALU_DEP_1)
	v_mul_f64 v[152:153], v[212:213], v[154:155]
	v_fma_f64 v[152:153], v[210:211], v[208:209], -v[152:153]
	v_mul_f64 v[210:211], v[210:211], v[154:155]
	s_delay_alu instid0(VALU_DEP_2) | instskip(NEXT) | instid1(VALU_DEP_2)
	v_add_f64 v[148:149], v[148:149], -v[152:153]
	v_fma_f64 v[210:211], v[212:213], v[208:209], v[210:211]
	s_delay_alu instid0(VALU_DEP_1) | instskip(SKIP_3) | instid1(VALU_DEP_1)
	v_add_f64 v[150:151], v[150:151], -v[210:211]
	ds_load_2addr_b64 v[210:213], v228 offset0:30 offset1:31
	s_waitcnt lgkmcnt(0)
	v_mul_f64 v[152:153], v[212:213], v[154:155]
	v_fma_f64 v[152:153], v[210:211], v[208:209], -v[152:153]
	v_mul_f64 v[210:211], v[210:211], v[154:155]
	s_delay_alu instid0(VALU_DEP_2) | instskip(NEXT) | instid1(VALU_DEP_2)
	v_add_f64 v[144:145], v[144:145], -v[152:153]
	v_fma_f64 v[210:211], v[212:213], v[208:209], v[210:211]
	s_delay_alu instid0(VALU_DEP_1) | instskip(SKIP_3) | instid1(VALU_DEP_1)
	v_add_f64 v[146:147], v[146:147], -v[210:211]
	ds_load_2addr_b64 v[210:213], v228 offset0:32 offset1:33
	s_waitcnt lgkmcnt(0)
	;; [unrolled: 10-line block ×37, first 2 shown]
	v_mul_f64 v[152:153], v[212:213], v[154:155]
	v_fma_f64 v[152:153], v[210:211], v[208:209], -v[152:153]
	v_mul_f64 v[210:211], v[210:211], v[154:155]
	s_delay_alu instid0(VALU_DEP_2) | instskip(NEXT) | instid1(VALU_DEP_2)
	v_add_f64 v[0:1], v[0:1], -v[152:153]
	v_fma_f64 v[210:211], v[212:213], v[208:209], v[210:211]
	v_dual_mov_b32 v152, v208 :: v_dual_mov_b32 v153, v209
	s_delay_alu instid0(VALU_DEP_2)
	v_add_f64 v[2:3], v[2:3], -v[210:211]
.LBB103_127:
	s_or_b32 exec_lo, exec_lo, s3
	s_delay_alu instid0(SALU_CYCLE_1)
	s_mov_b32 s4, exec_lo
	s_waitcnt_vscnt null, 0x0
	s_barrier
	buffer_gl0_inv
	v_cmpx_eq_u32_e32 14, v226
	s_cbranch_execz .LBB103_134
; %bb.128:
	ds_store_2addr_b64 v227, v[148:149], v[150:151] offset1:1
	ds_store_2addr_b64 v228, v[144:145], v[146:147] offset0:30 offset1:31
	ds_store_2addr_b64 v228, v[140:141], v[142:143] offset0:32 offset1:33
	ds_store_2addr_b64 v228, v[136:137], v[138:139] offset0:34 offset1:35
	ds_store_2addr_b64 v228, v[132:133], v[134:135] offset0:36 offset1:37
	ds_store_2addr_b64 v228, v[128:129], v[130:131] offset0:38 offset1:39
	ds_store_2addr_b64 v228, v[124:125], v[126:127] offset0:40 offset1:41
	ds_store_2addr_b64 v228, v[120:121], v[122:123] offset0:42 offset1:43
	ds_store_2addr_b64 v228, v[116:117], v[118:119] offset0:44 offset1:45
	ds_store_2addr_b64 v228, v[112:113], v[114:115] offset0:46 offset1:47
	ds_store_2addr_b64 v228, v[108:109], v[110:111] offset0:48 offset1:49
	ds_store_2addr_b64 v228, v[104:105], v[106:107] offset0:50 offset1:51
	ds_store_2addr_b64 v228, v[100:101], v[102:103] offset0:52 offset1:53
	ds_store_2addr_b64 v228, v[96:97], v[98:99] offset0:54 offset1:55
	ds_store_2addr_b64 v228, v[92:93], v[94:95] offset0:56 offset1:57
	ds_store_2addr_b64 v228, v[88:89], v[90:91] offset0:58 offset1:59
	ds_store_2addr_b64 v228, v[84:85], v[86:87] offset0:60 offset1:61
	ds_store_2addr_b64 v228, v[80:81], v[82:83] offset0:62 offset1:63
	ds_store_2addr_b64 v228, v[76:77], v[78:79] offset0:64 offset1:65
	ds_store_2addr_b64 v228, v[72:73], v[74:75] offset0:66 offset1:67
	ds_store_2addr_b64 v228, v[68:69], v[70:71] offset0:68 offset1:69
	ds_store_2addr_b64 v228, v[64:65], v[66:67] offset0:70 offset1:71
	ds_store_2addr_b64 v228, v[60:61], v[62:63] offset0:72 offset1:73
	ds_store_2addr_b64 v228, v[56:57], v[58:59] offset0:74 offset1:75
	ds_store_2addr_b64 v228, v[52:53], v[54:55] offset0:76 offset1:77
	ds_store_2addr_b64 v228, v[48:49], v[50:51] offset0:78 offset1:79
	ds_store_2addr_b64 v228, v[44:45], v[46:47] offset0:80 offset1:81
	ds_store_2addr_b64 v228, v[40:41], v[42:43] offset0:82 offset1:83
	ds_store_2addr_b64 v228, v[36:37], v[38:39] offset0:84 offset1:85
	ds_store_2addr_b64 v228, v[32:33], v[34:35] offset0:86 offset1:87
	ds_store_2addr_b64 v228, v[28:29], v[30:31] offset0:88 offset1:89
	ds_store_2addr_b64 v228, v[24:25], v[26:27] offset0:90 offset1:91
	ds_store_2addr_b64 v228, v[20:21], v[22:23] offset0:92 offset1:93
	ds_store_2addr_b64 v228, v[16:17], v[18:19] offset0:94 offset1:95
	ds_store_2addr_b64 v228, v[12:13], v[14:15] offset0:96 offset1:97
	ds_store_2addr_b64 v228, v[8:9], v[10:11] offset0:98 offset1:99
	ds_store_2addr_b64 v228, v[4:5], v[6:7] offset0:100 offset1:101
	ds_store_2addr_b64 v228, v[0:1], v[2:3] offset0:102 offset1:103
	ds_load_2addr_b64 v[208:211], v227 offset1:1
	s_waitcnt lgkmcnt(0)
	v_cmp_neq_f64_e32 vcc_lo, 0, v[208:209]
	v_cmp_neq_f64_e64 s3, 0, v[210:211]
	s_delay_alu instid0(VALU_DEP_1) | instskip(NEXT) | instid1(SALU_CYCLE_1)
	s_or_b32 s3, vcc_lo, s3
	s_and_b32 exec_lo, exec_lo, s3
	s_cbranch_execz .LBB103_134
; %bb.129:
	v_cmp_gt_f64_e32 vcc_lo, 0, v[208:209]
	v_xor_b32_e32 v204, 0x80000000, v209
	s_mov_b32 s3, exec_lo
                                        ; implicit-def: $vgpr216_vgpr217
	s_delay_alu instid0(VALU_DEP_1) | instskip(SKIP_3) | instid1(VALU_DEP_1)
	v_cndmask_b32_e32 v213, v209, v204, vcc_lo
	v_cndmask_b32_e32 v212, v208, v208, vcc_lo
	v_cmp_gt_f64_e32 vcc_lo, 0, v[210:211]
	v_xor_b32_e32 v204, 0x80000000, v211
	v_dual_cndmask_b32 v214, v210, v210 :: v_dual_cndmask_b32 v215, v211, v204
	s_delay_alu instid0(VALU_DEP_1)
	v_cmpx_ngt_f64_e32 v[212:213], v[214:215]
	s_xor_b32 s3, exec_lo, s3
                                        ; implicit-def: $vgpr212_vgpr213_vgpr214_vgpr215
	s_cbranch_execz .LBB103_131
; %bb.130:
	v_div_scale_f64 v[212:213], null, v[210:211], v[210:211], v[208:209]
	v_div_scale_f64 v[218:219], vcc_lo, v[208:209], v[210:211], v[208:209]
	s_delay_alu instid0(VALU_DEP_2) | instskip(SKIP_2) | instid1(VALU_DEP_1)
	v_rcp_f64_e32 v[214:215], v[212:213]
	s_waitcnt_depctr 0xfff
	v_fma_f64 v[216:217], -v[212:213], v[214:215], 1.0
	v_fma_f64 v[214:215], v[214:215], v[216:217], v[214:215]
	s_delay_alu instid0(VALU_DEP_1) | instskip(NEXT) | instid1(VALU_DEP_1)
	v_fma_f64 v[216:217], -v[212:213], v[214:215], 1.0
	v_fma_f64 v[214:215], v[214:215], v[216:217], v[214:215]
	s_delay_alu instid0(VALU_DEP_1) | instskip(NEXT) | instid1(VALU_DEP_1)
	v_mul_f64 v[216:217], v[218:219], v[214:215]
	v_fma_f64 v[212:213], -v[212:213], v[216:217], v[218:219]
	s_delay_alu instid0(VALU_DEP_1) | instskip(NEXT) | instid1(VALU_DEP_1)
	v_div_fmas_f64 v[212:213], v[212:213], v[214:215], v[216:217]
	v_div_fixup_f64 v[212:213], v[212:213], v[210:211], v[208:209]
	s_delay_alu instid0(VALU_DEP_1) | instskip(NEXT) | instid1(VALU_DEP_1)
	v_fma_f64 v[208:209], v[208:209], v[212:213], v[210:211]
	v_div_scale_f64 v[210:211], null, v[208:209], v[208:209], 1.0
	s_delay_alu instid0(VALU_DEP_1) | instskip(SKIP_2) | instid1(VALU_DEP_1)
	v_rcp_f64_e32 v[214:215], v[210:211]
	s_waitcnt_depctr 0xfff
	v_fma_f64 v[216:217], -v[210:211], v[214:215], 1.0
	v_fma_f64 v[214:215], v[214:215], v[216:217], v[214:215]
	s_delay_alu instid0(VALU_DEP_1) | instskip(NEXT) | instid1(VALU_DEP_1)
	v_fma_f64 v[216:217], -v[210:211], v[214:215], 1.0
	v_fma_f64 v[214:215], v[214:215], v[216:217], v[214:215]
	v_div_scale_f64 v[216:217], vcc_lo, 1.0, v[208:209], 1.0
	s_delay_alu instid0(VALU_DEP_1) | instskip(NEXT) | instid1(VALU_DEP_1)
	v_mul_f64 v[218:219], v[216:217], v[214:215]
	v_fma_f64 v[210:211], -v[210:211], v[218:219], v[216:217]
	s_delay_alu instid0(VALU_DEP_1) | instskip(NEXT) | instid1(VALU_DEP_1)
	v_div_fmas_f64 v[210:211], v[210:211], v[214:215], v[218:219]
	v_div_fixup_f64 v[214:215], v[210:211], v[208:209], 1.0
                                        ; implicit-def: $vgpr208_vgpr209
	s_delay_alu instid0(VALU_DEP_1)
	v_mul_f64 v[216:217], v[212:213], v[214:215]
	v_xor_b32_e32 v215, 0x80000000, v215
.LBB103_131:
	s_and_not1_saveexec_b32 s3, s3
	s_cbranch_execz .LBB103_133
; %bb.132:
	v_div_scale_f64 v[212:213], null, v[208:209], v[208:209], v[210:211]
	v_div_scale_f64 v[218:219], vcc_lo, v[210:211], v[208:209], v[210:211]
	s_delay_alu instid0(VALU_DEP_2) | instskip(SKIP_2) | instid1(VALU_DEP_1)
	v_rcp_f64_e32 v[214:215], v[212:213]
	s_waitcnt_depctr 0xfff
	v_fma_f64 v[216:217], -v[212:213], v[214:215], 1.0
	v_fma_f64 v[214:215], v[214:215], v[216:217], v[214:215]
	s_delay_alu instid0(VALU_DEP_1) | instskip(NEXT) | instid1(VALU_DEP_1)
	v_fma_f64 v[216:217], -v[212:213], v[214:215], 1.0
	v_fma_f64 v[214:215], v[214:215], v[216:217], v[214:215]
	s_delay_alu instid0(VALU_DEP_1) | instskip(NEXT) | instid1(VALU_DEP_1)
	v_mul_f64 v[216:217], v[218:219], v[214:215]
	v_fma_f64 v[212:213], -v[212:213], v[216:217], v[218:219]
	s_delay_alu instid0(VALU_DEP_1) | instskip(NEXT) | instid1(VALU_DEP_1)
	v_div_fmas_f64 v[212:213], v[212:213], v[214:215], v[216:217]
	v_div_fixup_f64 v[212:213], v[212:213], v[208:209], v[210:211]
	s_delay_alu instid0(VALU_DEP_1) | instskip(NEXT) | instid1(VALU_DEP_1)
	v_fma_f64 v[208:209], v[210:211], v[212:213], v[208:209]
	v_div_scale_f64 v[210:211], null, v[208:209], v[208:209], 1.0
	s_delay_alu instid0(VALU_DEP_1) | instskip(SKIP_2) | instid1(VALU_DEP_1)
	v_rcp_f64_e32 v[214:215], v[210:211]
	s_waitcnt_depctr 0xfff
	v_fma_f64 v[216:217], -v[210:211], v[214:215], 1.0
	v_fma_f64 v[214:215], v[214:215], v[216:217], v[214:215]
	s_delay_alu instid0(VALU_DEP_1) | instskip(NEXT) | instid1(VALU_DEP_1)
	v_fma_f64 v[216:217], -v[210:211], v[214:215], 1.0
	v_fma_f64 v[214:215], v[214:215], v[216:217], v[214:215]
	v_div_scale_f64 v[216:217], vcc_lo, 1.0, v[208:209], 1.0
	s_delay_alu instid0(VALU_DEP_1) | instskip(NEXT) | instid1(VALU_DEP_1)
	v_mul_f64 v[218:219], v[216:217], v[214:215]
	v_fma_f64 v[210:211], -v[210:211], v[218:219], v[216:217]
	s_delay_alu instid0(VALU_DEP_1) | instskip(NEXT) | instid1(VALU_DEP_1)
	v_div_fmas_f64 v[210:211], v[210:211], v[214:215], v[218:219]
	v_div_fixup_f64 v[216:217], v[210:211], v[208:209], 1.0
	s_delay_alu instid0(VALU_DEP_1)
	v_mul_f64 v[214:215], v[212:213], -v[216:217]
.LBB103_133:
	s_or_b32 exec_lo, exec_lo, s3
	ds_store_2addr_b64 v227, v[216:217], v[214:215] offset1:1
.LBB103_134:
	s_or_b32 exec_lo, exec_lo, s4
	s_waitcnt lgkmcnt(0)
	s_barrier
	buffer_gl0_inv
	ds_load_2addr_b64 v[202:205], v227 offset1:1
	s_mov_b32 s3, exec_lo
	s_waitcnt lgkmcnt(0)
	scratch_store_b128 off, v[202:205], off offset:664 ; 16-byte Folded Spill
	v_cmpx_lt_u32_e32 14, v226
	s_cbranch_execz .LBB103_136
; %bb.135:
	scratch_load_b128 v[202:205], off, off offset:664 ; 16-byte Folded Reload
	ds_load_2addr_b64 v[210:213], v228 offset0:30 offset1:31
	s_waitcnt vmcnt(0)
	v_mul_f64 v[208:209], v[204:205], v[150:151]
	v_mul_f64 v[150:151], v[202:203], v[150:151]
	s_delay_alu instid0(VALU_DEP_2) | instskip(NEXT) | instid1(VALU_DEP_2)
	v_fma_f64 v[208:209], v[202:203], v[148:149], -v[208:209]
	v_fma_f64 v[150:151], v[204:205], v[148:149], v[150:151]
	s_waitcnt lgkmcnt(0)
	s_delay_alu instid0(VALU_DEP_1) | instskip(NEXT) | instid1(VALU_DEP_1)
	v_mul_f64 v[148:149], v[212:213], v[150:151]
	v_fma_f64 v[148:149], v[210:211], v[208:209], -v[148:149]
	v_mul_f64 v[210:211], v[210:211], v[150:151]
	s_delay_alu instid0(VALU_DEP_2) | instskip(NEXT) | instid1(VALU_DEP_2)
	v_add_f64 v[144:145], v[144:145], -v[148:149]
	v_fma_f64 v[210:211], v[212:213], v[208:209], v[210:211]
	s_delay_alu instid0(VALU_DEP_1) | instskip(SKIP_3) | instid1(VALU_DEP_1)
	v_add_f64 v[146:147], v[146:147], -v[210:211]
	ds_load_2addr_b64 v[210:213], v228 offset0:32 offset1:33
	s_waitcnt lgkmcnt(0)
	v_mul_f64 v[148:149], v[212:213], v[150:151]
	v_fma_f64 v[148:149], v[210:211], v[208:209], -v[148:149]
	v_mul_f64 v[210:211], v[210:211], v[150:151]
	s_delay_alu instid0(VALU_DEP_2) | instskip(NEXT) | instid1(VALU_DEP_2)
	v_add_f64 v[140:141], v[140:141], -v[148:149]
	v_fma_f64 v[210:211], v[212:213], v[208:209], v[210:211]
	s_delay_alu instid0(VALU_DEP_1) | instskip(SKIP_3) | instid1(VALU_DEP_1)
	v_add_f64 v[142:143], v[142:143], -v[210:211]
	ds_load_2addr_b64 v[210:213], v228 offset0:34 offset1:35
	s_waitcnt lgkmcnt(0)
	;; [unrolled: 10-line block ×36, first 2 shown]
	v_mul_f64 v[148:149], v[212:213], v[150:151]
	v_fma_f64 v[148:149], v[210:211], v[208:209], -v[148:149]
	v_mul_f64 v[210:211], v[210:211], v[150:151]
	s_delay_alu instid0(VALU_DEP_2) | instskip(NEXT) | instid1(VALU_DEP_2)
	v_add_f64 v[0:1], v[0:1], -v[148:149]
	v_fma_f64 v[210:211], v[212:213], v[208:209], v[210:211]
	v_dual_mov_b32 v148, v208 :: v_dual_mov_b32 v149, v209
	s_delay_alu instid0(VALU_DEP_2)
	v_add_f64 v[2:3], v[2:3], -v[210:211]
.LBB103_136:
	s_or_b32 exec_lo, exec_lo, s3
	s_delay_alu instid0(SALU_CYCLE_1)
	s_mov_b32 s4, exec_lo
	s_waitcnt_vscnt null, 0x0
	s_barrier
	buffer_gl0_inv
	v_cmpx_eq_u32_e32 15, v226
	s_cbranch_execz .LBB103_143
; %bb.137:
	ds_store_2addr_b64 v227, v[144:145], v[146:147] offset1:1
	ds_store_2addr_b64 v228, v[140:141], v[142:143] offset0:32 offset1:33
	ds_store_2addr_b64 v228, v[136:137], v[138:139] offset0:34 offset1:35
	;; [unrolled: 1-line block ×36, first 2 shown]
	ds_load_2addr_b64 v[208:211], v227 offset1:1
	s_waitcnt lgkmcnt(0)
	v_cmp_neq_f64_e32 vcc_lo, 0, v[208:209]
	v_cmp_neq_f64_e64 s3, 0, v[210:211]
	s_delay_alu instid0(VALU_DEP_1) | instskip(NEXT) | instid1(SALU_CYCLE_1)
	s_or_b32 s3, vcc_lo, s3
	s_and_b32 exec_lo, exec_lo, s3
	s_cbranch_execz .LBB103_143
; %bb.138:
	v_cmp_gt_f64_e32 vcc_lo, 0, v[208:209]
	v_xor_b32_e32 v204, 0x80000000, v209
	s_mov_b32 s3, exec_lo
                                        ; implicit-def: $vgpr216_vgpr217
	s_delay_alu instid0(VALU_DEP_1) | instskip(SKIP_3) | instid1(VALU_DEP_1)
	v_cndmask_b32_e32 v213, v209, v204, vcc_lo
	v_cndmask_b32_e32 v212, v208, v208, vcc_lo
	v_cmp_gt_f64_e32 vcc_lo, 0, v[210:211]
	v_xor_b32_e32 v204, 0x80000000, v211
	v_dual_cndmask_b32 v214, v210, v210 :: v_dual_cndmask_b32 v215, v211, v204
	s_delay_alu instid0(VALU_DEP_1)
	v_cmpx_ngt_f64_e32 v[212:213], v[214:215]
	s_xor_b32 s3, exec_lo, s3
                                        ; implicit-def: $vgpr212_vgpr213_vgpr214_vgpr215
	s_cbranch_execz .LBB103_140
; %bb.139:
	v_div_scale_f64 v[212:213], null, v[210:211], v[210:211], v[208:209]
	v_div_scale_f64 v[218:219], vcc_lo, v[208:209], v[210:211], v[208:209]
	s_delay_alu instid0(VALU_DEP_2) | instskip(SKIP_2) | instid1(VALU_DEP_1)
	v_rcp_f64_e32 v[214:215], v[212:213]
	s_waitcnt_depctr 0xfff
	v_fma_f64 v[216:217], -v[212:213], v[214:215], 1.0
	v_fma_f64 v[214:215], v[214:215], v[216:217], v[214:215]
	s_delay_alu instid0(VALU_DEP_1) | instskip(NEXT) | instid1(VALU_DEP_1)
	v_fma_f64 v[216:217], -v[212:213], v[214:215], 1.0
	v_fma_f64 v[214:215], v[214:215], v[216:217], v[214:215]
	s_delay_alu instid0(VALU_DEP_1) | instskip(NEXT) | instid1(VALU_DEP_1)
	v_mul_f64 v[216:217], v[218:219], v[214:215]
	v_fma_f64 v[212:213], -v[212:213], v[216:217], v[218:219]
	s_delay_alu instid0(VALU_DEP_1) | instskip(NEXT) | instid1(VALU_DEP_1)
	v_div_fmas_f64 v[212:213], v[212:213], v[214:215], v[216:217]
	v_div_fixup_f64 v[212:213], v[212:213], v[210:211], v[208:209]
	s_delay_alu instid0(VALU_DEP_1) | instskip(NEXT) | instid1(VALU_DEP_1)
	v_fma_f64 v[208:209], v[208:209], v[212:213], v[210:211]
	v_div_scale_f64 v[210:211], null, v[208:209], v[208:209], 1.0
	s_delay_alu instid0(VALU_DEP_1) | instskip(SKIP_2) | instid1(VALU_DEP_1)
	v_rcp_f64_e32 v[214:215], v[210:211]
	s_waitcnt_depctr 0xfff
	v_fma_f64 v[216:217], -v[210:211], v[214:215], 1.0
	v_fma_f64 v[214:215], v[214:215], v[216:217], v[214:215]
	s_delay_alu instid0(VALU_DEP_1) | instskip(NEXT) | instid1(VALU_DEP_1)
	v_fma_f64 v[216:217], -v[210:211], v[214:215], 1.0
	v_fma_f64 v[214:215], v[214:215], v[216:217], v[214:215]
	v_div_scale_f64 v[216:217], vcc_lo, 1.0, v[208:209], 1.0
	s_delay_alu instid0(VALU_DEP_1) | instskip(NEXT) | instid1(VALU_DEP_1)
	v_mul_f64 v[218:219], v[216:217], v[214:215]
	v_fma_f64 v[210:211], -v[210:211], v[218:219], v[216:217]
	s_delay_alu instid0(VALU_DEP_1) | instskip(NEXT) | instid1(VALU_DEP_1)
	v_div_fmas_f64 v[210:211], v[210:211], v[214:215], v[218:219]
	v_div_fixup_f64 v[214:215], v[210:211], v[208:209], 1.0
                                        ; implicit-def: $vgpr208_vgpr209
	s_delay_alu instid0(VALU_DEP_1)
	v_mul_f64 v[216:217], v[212:213], v[214:215]
	v_xor_b32_e32 v215, 0x80000000, v215
.LBB103_140:
	s_and_not1_saveexec_b32 s3, s3
	s_cbranch_execz .LBB103_142
; %bb.141:
	v_div_scale_f64 v[212:213], null, v[208:209], v[208:209], v[210:211]
	v_div_scale_f64 v[218:219], vcc_lo, v[210:211], v[208:209], v[210:211]
	s_delay_alu instid0(VALU_DEP_2) | instskip(SKIP_2) | instid1(VALU_DEP_1)
	v_rcp_f64_e32 v[214:215], v[212:213]
	s_waitcnt_depctr 0xfff
	v_fma_f64 v[216:217], -v[212:213], v[214:215], 1.0
	v_fma_f64 v[214:215], v[214:215], v[216:217], v[214:215]
	s_delay_alu instid0(VALU_DEP_1) | instskip(NEXT) | instid1(VALU_DEP_1)
	v_fma_f64 v[216:217], -v[212:213], v[214:215], 1.0
	v_fma_f64 v[214:215], v[214:215], v[216:217], v[214:215]
	s_delay_alu instid0(VALU_DEP_1) | instskip(NEXT) | instid1(VALU_DEP_1)
	v_mul_f64 v[216:217], v[218:219], v[214:215]
	v_fma_f64 v[212:213], -v[212:213], v[216:217], v[218:219]
	s_delay_alu instid0(VALU_DEP_1) | instskip(NEXT) | instid1(VALU_DEP_1)
	v_div_fmas_f64 v[212:213], v[212:213], v[214:215], v[216:217]
	v_div_fixup_f64 v[212:213], v[212:213], v[208:209], v[210:211]
	s_delay_alu instid0(VALU_DEP_1) | instskip(NEXT) | instid1(VALU_DEP_1)
	v_fma_f64 v[208:209], v[210:211], v[212:213], v[208:209]
	v_div_scale_f64 v[210:211], null, v[208:209], v[208:209], 1.0
	s_delay_alu instid0(VALU_DEP_1) | instskip(SKIP_2) | instid1(VALU_DEP_1)
	v_rcp_f64_e32 v[214:215], v[210:211]
	s_waitcnt_depctr 0xfff
	v_fma_f64 v[216:217], -v[210:211], v[214:215], 1.0
	v_fma_f64 v[214:215], v[214:215], v[216:217], v[214:215]
	s_delay_alu instid0(VALU_DEP_1) | instskip(NEXT) | instid1(VALU_DEP_1)
	v_fma_f64 v[216:217], -v[210:211], v[214:215], 1.0
	v_fma_f64 v[214:215], v[214:215], v[216:217], v[214:215]
	v_div_scale_f64 v[216:217], vcc_lo, 1.0, v[208:209], 1.0
	s_delay_alu instid0(VALU_DEP_1) | instskip(NEXT) | instid1(VALU_DEP_1)
	v_mul_f64 v[218:219], v[216:217], v[214:215]
	v_fma_f64 v[210:211], -v[210:211], v[218:219], v[216:217]
	s_delay_alu instid0(VALU_DEP_1) | instskip(NEXT) | instid1(VALU_DEP_1)
	v_div_fmas_f64 v[210:211], v[210:211], v[214:215], v[218:219]
	v_div_fixup_f64 v[216:217], v[210:211], v[208:209], 1.0
	s_delay_alu instid0(VALU_DEP_1)
	v_mul_f64 v[214:215], v[212:213], -v[216:217]
.LBB103_142:
	s_or_b32 exec_lo, exec_lo, s3
	ds_store_2addr_b64 v227, v[216:217], v[214:215] offset1:1
.LBB103_143:
	s_or_b32 exec_lo, exec_lo, s4
	s_waitcnt lgkmcnt(0)
	s_barrier
	buffer_gl0_inv
	ds_load_2addr_b64 v[202:205], v227 offset1:1
	s_mov_b32 s3, exec_lo
	s_waitcnt lgkmcnt(0)
	scratch_store_b128 off, v[202:205], off offset:680 ; 16-byte Folded Spill
	v_cmpx_lt_u32_e32 15, v226
	s_cbranch_execz .LBB103_145
; %bb.144:
	scratch_load_b128 v[202:205], off, off offset:680 ; 16-byte Folded Reload
	ds_load_2addr_b64 v[210:213], v228 offset0:32 offset1:33
	s_waitcnt vmcnt(0)
	v_mul_f64 v[208:209], v[204:205], v[146:147]
	v_mul_f64 v[146:147], v[202:203], v[146:147]
	s_delay_alu instid0(VALU_DEP_2) | instskip(NEXT) | instid1(VALU_DEP_2)
	v_fma_f64 v[208:209], v[202:203], v[144:145], -v[208:209]
	v_fma_f64 v[146:147], v[204:205], v[144:145], v[146:147]
	s_waitcnt lgkmcnt(0)
	s_delay_alu instid0(VALU_DEP_1) | instskip(NEXT) | instid1(VALU_DEP_1)
	v_mul_f64 v[144:145], v[212:213], v[146:147]
	v_fma_f64 v[144:145], v[210:211], v[208:209], -v[144:145]
	v_mul_f64 v[210:211], v[210:211], v[146:147]
	s_delay_alu instid0(VALU_DEP_2) | instskip(NEXT) | instid1(VALU_DEP_2)
	v_add_f64 v[140:141], v[140:141], -v[144:145]
	v_fma_f64 v[210:211], v[212:213], v[208:209], v[210:211]
	s_delay_alu instid0(VALU_DEP_1) | instskip(SKIP_3) | instid1(VALU_DEP_1)
	v_add_f64 v[142:143], v[142:143], -v[210:211]
	ds_load_2addr_b64 v[210:213], v228 offset0:34 offset1:35
	s_waitcnt lgkmcnt(0)
	v_mul_f64 v[144:145], v[212:213], v[146:147]
	v_fma_f64 v[144:145], v[210:211], v[208:209], -v[144:145]
	v_mul_f64 v[210:211], v[210:211], v[146:147]
	s_delay_alu instid0(VALU_DEP_2) | instskip(NEXT) | instid1(VALU_DEP_2)
	v_add_f64 v[136:137], v[136:137], -v[144:145]
	v_fma_f64 v[210:211], v[212:213], v[208:209], v[210:211]
	s_delay_alu instid0(VALU_DEP_1) | instskip(SKIP_3) | instid1(VALU_DEP_1)
	v_add_f64 v[138:139], v[138:139], -v[210:211]
	ds_load_2addr_b64 v[210:213], v228 offset0:36 offset1:37
	s_waitcnt lgkmcnt(0)
	;; [unrolled: 10-line block ×35, first 2 shown]
	v_mul_f64 v[144:145], v[212:213], v[146:147]
	v_fma_f64 v[144:145], v[210:211], v[208:209], -v[144:145]
	v_mul_f64 v[210:211], v[210:211], v[146:147]
	s_delay_alu instid0(VALU_DEP_2) | instskip(NEXT) | instid1(VALU_DEP_2)
	v_add_f64 v[0:1], v[0:1], -v[144:145]
	v_fma_f64 v[210:211], v[212:213], v[208:209], v[210:211]
	v_dual_mov_b32 v144, v208 :: v_dual_mov_b32 v145, v209
	s_delay_alu instid0(VALU_DEP_2)
	v_add_f64 v[2:3], v[2:3], -v[210:211]
.LBB103_145:
	s_or_b32 exec_lo, exec_lo, s3
	s_delay_alu instid0(SALU_CYCLE_1)
	s_mov_b32 s4, exec_lo
	s_waitcnt_vscnt null, 0x0
	s_barrier
	buffer_gl0_inv
	v_cmpx_eq_u32_e32 16, v226
	s_cbranch_execz .LBB103_152
; %bb.146:
	ds_store_2addr_b64 v227, v[140:141], v[142:143] offset1:1
	ds_store_2addr_b64 v228, v[136:137], v[138:139] offset0:34 offset1:35
	ds_store_2addr_b64 v228, v[132:133], v[134:135] offset0:36 offset1:37
	;; [unrolled: 1-line block ×35, first 2 shown]
	ds_load_2addr_b64 v[208:211], v227 offset1:1
	s_waitcnt lgkmcnt(0)
	v_cmp_neq_f64_e32 vcc_lo, 0, v[208:209]
	v_cmp_neq_f64_e64 s3, 0, v[210:211]
	s_delay_alu instid0(VALU_DEP_1) | instskip(NEXT) | instid1(SALU_CYCLE_1)
	s_or_b32 s3, vcc_lo, s3
	s_and_b32 exec_lo, exec_lo, s3
	s_cbranch_execz .LBB103_152
; %bb.147:
	v_cmp_gt_f64_e32 vcc_lo, 0, v[208:209]
	v_xor_b32_e32 v204, 0x80000000, v209
	s_mov_b32 s3, exec_lo
                                        ; implicit-def: $vgpr216_vgpr217
	s_delay_alu instid0(VALU_DEP_1) | instskip(SKIP_3) | instid1(VALU_DEP_1)
	v_cndmask_b32_e32 v213, v209, v204, vcc_lo
	v_cndmask_b32_e32 v212, v208, v208, vcc_lo
	v_cmp_gt_f64_e32 vcc_lo, 0, v[210:211]
	v_xor_b32_e32 v204, 0x80000000, v211
	v_dual_cndmask_b32 v214, v210, v210 :: v_dual_cndmask_b32 v215, v211, v204
	s_delay_alu instid0(VALU_DEP_1)
	v_cmpx_ngt_f64_e32 v[212:213], v[214:215]
	s_xor_b32 s3, exec_lo, s3
                                        ; implicit-def: $vgpr212_vgpr213_vgpr214_vgpr215
	s_cbranch_execz .LBB103_149
; %bb.148:
	v_div_scale_f64 v[212:213], null, v[210:211], v[210:211], v[208:209]
	v_div_scale_f64 v[218:219], vcc_lo, v[208:209], v[210:211], v[208:209]
	s_delay_alu instid0(VALU_DEP_2) | instskip(SKIP_2) | instid1(VALU_DEP_1)
	v_rcp_f64_e32 v[214:215], v[212:213]
	s_waitcnt_depctr 0xfff
	v_fma_f64 v[216:217], -v[212:213], v[214:215], 1.0
	v_fma_f64 v[214:215], v[214:215], v[216:217], v[214:215]
	s_delay_alu instid0(VALU_DEP_1) | instskip(NEXT) | instid1(VALU_DEP_1)
	v_fma_f64 v[216:217], -v[212:213], v[214:215], 1.0
	v_fma_f64 v[214:215], v[214:215], v[216:217], v[214:215]
	s_delay_alu instid0(VALU_DEP_1) | instskip(NEXT) | instid1(VALU_DEP_1)
	v_mul_f64 v[216:217], v[218:219], v[214:215]
	v_fma_f64 v[212:213], -v[212:213], v[216:217], v[218:219]
	s_delay_alu instid0(VALU_DEP_1) | instskip(NEXT) | instid1(VALU_DEP_1)
	v_div_fmas_f64 v[212:213], v[212:213], v[214:215], v[216:217]
	v_div_fixup_f64 v[212:213], v[212:213], v[210:211], v[208:209]
	s_delay_alu instid0(VALU_DEP_1) | instskip(NEXT) | instid1(VALU_DEP_1)
	v_fma_f64 v[208:209], v[208:209], v[212:213], v[210:211]
	v_div_scale_f64 v[210:211], null, v[208:209], v[208:209], 1.0
	s_delay_alu instid0(VALU_DEP_1) | instskip(SKIP_2) | instid1(VALU_DEP_1)
	v_rcp_f64_e32 v[214:215], v[210:211]
	s_waitcnt_depctr 0xfff
	v_fma_f64 v[216:217], -v[210:211], v[214:215], 1.0
	v_fma_f64 v[214:215], v[214:215], v[216:217], v[214:215]
	s_delay_alu instid0(VALU_DEP_1) | instskip(NEXT) | instid1(VALU_DEP_1)
	v_fma_f64 v[216:217], -v[210:211], v[214:215], 1.0
	v_fma_f64 v[214:215], v[214:215], v[216:217], v[214:215]
	v_div_scale_f64 v[216:217], vcc_lo, 1.0, v[208:209], 1.0
	s_delay_alu instid0(VALU_DEP_1) | instskip(NEXT) | instid1(VALU_DEP_1)
	v_mul_f64 v[218:219], v[216:217], v[214:215]
	v_fma_f64 v[210:211], -v[210:211], v[218:219], v[216:217]
	s_delay_alu instid0(VALU_DEP_1) | instskip(NEXT) | instid1(VALU_DEP_1)
	v_div_fmas_f64 v[210:211], v[210:211], v[214:215], v[218:219]
	v_div_fixup_f64 v[214:215], v[210:211], v[208:209], 1.0
                                        ; implicit-def: $vgpr208_vgpr209
	s_delay_alu instid0(VALU_DEP_1)
	v_mul_f64 v[216:217], v[212:213], v[214:215]
	v_xor_b32_e32 v215, 0x80000000, v215
.LBB103_149:
	s_and_not1_saveexec_b32 s3, s3
	s_cbranch_execz .LBB103_151
; %bb.150:
	v_div_scale_f64 v[212:213], null, v[208:209], v[208:209], v[210:211]
	v_div_scale_f64 v[218:219], vcc_lo, v[210:211], v[208:209], v[210:211]
	s_delay_alu instid0(VALU_DEP_2) | instskip(SKIP_2) | instid1(VALU_DEP_1)
	v_rcp_f64_e32 v[214:215], v[212:213]
	s_waitcnt_depctr 0xfff
	v_fma_f64 v[216:217], -v[212:213], v[214:215], 1.0
	v_fma_f64 v[214:215], v[214:215], v[216:217], v[214:215]
	s_delay_alu instid0(VALU_DEP_1) | instskip(NEXT) | instid1(VALU_DEP_1)
	v_fma_f64 v[216:217], -v[212:213], v[214:215], 1.0
	v_fma_f64 v[214:215], v[214:215], v[216:217], v[214:215]
	s_delay_alu instid0(VALU_DEP_1) | instskip(NEXT) | instid1(VALU_DEP_1)
	v_mul_f64 v[216:217], v[218:219], v[214:215]
	v_fma_f64 v[212:213], -v[212:213], v[216:217], v[218:219]
	s_delay_alu instid0(VALU_DEP_1) | instskip(NEXT) | instid1(VALU_DEP_1)
	v_div_fmas_f64 v[212:213], v[212:213], v[214:215], v[216:217]
	v_div_fixup_f64 v[212:213], v[212:213], v[208:209], v[210:211]
	s_delay_alu instid0(VALU_DEP_1) | instskip(NEXT) | instid1(VALU_DEP_1)
	v_fma_f64 v[208:209], v[210:211], v[212:213], v[208:209]
	v_div_scale_f64 v[210:211], null, v[208:209], v[208:209], 1.0
	s_delay_alu instid0(VALU_DEP_1) | instskip(SKIP_2) | instid1(VALU_DEP_1)
	v_rcp_f64_e32 v[214:215], v[210:211]
	s_waitcnt_depctr 0xfff
	v_fma_f64 v[216:217], -v[210:211], v[214:215], 1.0
	v_fma_f64 v[214:215], v[214:215], v[216:217], v[214:215]
	s_delay_alu instid0(VALU_DEP_1) | instskip(NEXT) | instid1(VALU_DEP_1)
	v_fma_f64 v[216:217], -v[210:211], v[214:215], 1.0
	v_fma_f64 v[214:215], v[214:215], v[216:217], v[214:215]
	v_div_scale_f64 v[216:217], vcc_lo, 1.0, v[208:209], 1.0
	s_delay_alu instid0(VALU_DEP_1) | instskip(NEXT) | instid1(VALU_DEP_1)
	v_mul_f64 v[218:219], v[216:217], v[214:215]
	v_fma_f64 v[210:211], -v[210:211], v[218:219], v[216:217]
	s_delay_alu instid0(VALU_DEP_1) | instskip(NEXT) | instid1(VALU_DEP_1)
	v_div_fmas_f64 v[210:211], v[210:211], v[214:215], v[218:219]
	v_div_fixup_f64 v[216:217], v[210:211], v[208:209], 1.0
	s_delay_alu instid0(VALU_DEP_1)
	v_mul_f64 v[214:215], v[212:213], -v[216:217]
.LBB103_151:
	s_or_b32 exec_lo, exec_lo, s3
	ds_store_2addr_b64 v227, v[216:217], v[214:215] offset1:1
.LBB103_152:
	s_or_b32 exec_lo, exec_lo, s4
	s_waitcnt lgkmcnt(0)
	s_barrier
	buffer_gl0_inv
	ds_load_2addr_b64 v[202:205], v227 offset1:1
	s_mov_b32 s3, exec_lo
	s_waitcnt lgkmcnt(0)
	scratch_store_b128 off, v[202:205], off offset:696 ; 16-byte Folded Spill
	v_cmpx_lt_u32_e32 16, v226
	s_cbranch_execz .LBB103_154
; %bb.153:
	scratch_load_b128 v[202:205], off, off offset:696 ; 16-byte Folded Reload
	ds_load_2addr_b64 v[210:213], v228 offset0:34 offset1:35
	s_waitcnt vmcnt(0)
	v_mul_f64 v[208:209], v[204:205], v[142:143]
	v_mul_f64 v[142:143], v[202:203], v[142:143]
	s_delay_alu instid0(VALU_DEP_2) | instskip(NEXT) | instid1(VALU_DEP_2)
	v_fma_f64 v[208:209], v[202:203], v[140:141], -v[208:209]
	v_fma_f64 v[142:143], v[204:205], v[140:141], v[142:143]
	s_waitcnt lgkmcnt(0)
	s_delay_alu instid0(VALU_DEP_1) | instskip(NEXT) | instid1(VALU_DEP_1)
	v_mul_f64 v[140:141], v[212:213], v[142:143]
	v_fma_f64 v[140:141], v[210:211], v[208:209], -v[140:141]
	v_mul_f64 v[210:211], v[210:211], v[142:143]
	s_delay_alu instid0(VALU_DEP_2) | instskip(NEXT) | instid1(VALU_DEP_2)
	v_add_f64 v[136:137], v[136:137], -v[140:141]
	v_fma_f64 v[210:211], v[212:213], v[208:209], v[210:211]
	s_delay_alu instid0(VALU_DEP_1) | instskip(SKIP_3) | instid1(VALU_DEP_1)
	v_add_f64 v[138:139], v[138:139], -v[210:211]
	ds_load_2addr_b64 v[210:213], v228 offset0:36 offset1:37
	s_waitcnt lgkmcnt(0)
	v_mul_f64 v[140:141], v[212:213], v[142:143]
	v_fma_f64 v[140:141], v[210:211], v[208:209], -v[140:141]
	v_mul_f64 v[210:211], v[210:211], v[142:143]
	s_delay_alu instid0(VALU_DEP_2) | instskip(NEXT) | instid1(VALU_DEP_2)
	v_add_f64 v[132:133], v[132:133], -v[140:141]
	v_fma_f64 v[210:211], v[212:213], v[208:209], v[210:211]
	s_delay_alu instid0(VALU_DEP_1) | instskip(SKIP_3) | instid1(VALU_DEP_1)
	v_add_f64 v[134:135], v[134:135], -v[210:211]
	ds_load_2addr_b64 v[210:213], v228 offset0:38 offset1:39
	s_waitcnt lgkmcnt(0)
	;; [unrolled: 10-line block ×34, first 2 shown]
	v_mul_f64 v[140:141], v[212:213], v[142:143]
	v_fma_f64 v[140:141], v[210:211], v[208:209], -v[140:141]
	v_mul_f64 v[210:211], v[210:211], v[142:143]
	s_delay_alu instid0(VALU_DEP_2) | instskip(NEXT) | instid1(VALU_DEP_2)
	v_add_f64 v[0:1], v[0:1], -v[140:141]
	v_fma_f64 v[210:211], v[212:213], v[208:209], v[210:211]
	v_dual_mov_b32 v140, v208 :: v_dual_mov_b32 v141, v209
	s_delay_alu instid0(VALU_DEP_2)
	v_add_f64 v[2:3], v[2:3], -v[210:211]
.LBB103_154:
	s_or_b32 exec_lo, exec_lo, s3
	s_delay_alu instid0(SALU_CYCLE_1)
	s_mov_b32 s4, exec_lo
	s_waitcnt_vscnt null, 0x0
	s_barrier
	buffer_gl0_inv
	v_cmpx_eq_u32_e32 17, v226
	s_cbranch_execz .LBB103_161
; %bb.155:
	ds_store_2addr_b64 v227, v[136:137], v[138:139] offset1:1
	ds_store_2addr_b64 v228, v[132:133], v[134:135] offset0:36 offset1:37
	ds_store_2addr_b64 v228, v[128:129], v[130:131] offset0:38 offset1:39
	;; [unrolled: 1-line block ×34, first 2 shown]
	ds_load_2addr_b64 v[208:211], v227 offset1:1
	s_waitcnt lgkmcnt(0)
	v_cmp_neq_f64_e32 vcc_lo, 0, v[208:209]
	v_cmp_neq_f64_e64 s3, 0, v[210:211]
	s_delay_alu instid0(VALU_DEP_1) | instskip(NEXT) | instid1(SALU_CYCLE_1)
	s_or_b32 s3, vcc_lo, s3
	s_and_b32 exec_lo, exec_lo, s3
	s_cbranch_execz .LBB103_161
; %bb.156:
	v_cmp_gt_f64_e32 vcc_lo, 0, v[208:209]
	v_xor_b32_e32 v204, 0x80000000, v209
	s_mov_b32 s3, exec_lo
                                        ; implicit-def: $vgpr216_vgpr217
	s_delay_alu instid0(VALU_DEP_1) | instskip(SKIP_3) | instid1(VALU_DEP_1)
	v_cndmask_b32_e32 v213, v209, v204, vcc_lo
	v_cndmask_b32_e32 v212, v208, v208, vcc_lo
	v_cmp_gt_f64_e32 vcc_lo, 0, v[210:211]
	v_xor_b32_e32 v204, 0x80000000, v211
	v_dual_cndmask_b32 v214, v210, v210 :: v_dual_cndmask_b32 v215, v211, v204
	s_delay_alu instid0(VALU_DEP_1)
	v_cmpx_ngt_f64_e32 v[212:213], v[214:215]
	s_xor_b32 s3, exec_lo, s3
                                        ; implicit-def: $vgpr212_vgpr213_vgpr214_vgpr215
	s_cbranch_execz .LBB103_158
; %bb.157:
	v_div_scale_f64 v[212:213], null, v[210:211], v[210:211], v[208:209]
	v_div_scale_f64 v[218:219], vcc_lo, v[208:209], v[210:211], v[208:209]
	s_delay_alu instid0(VALU_DEP_2) | instskip(SKIP_2) | instid1(VALU_DEP_1)
	v_rcp_f64_e32 v[214:215], v[212:213]
	s_waitcnt_depctr 0xfff
	v_fma_f64 v[216:217], -v[212:213], v[214:215], 1.0
	v_fma_f64 v[214:215], v[214:215], v[216:217], v[214:215]
	s_delay_alu instid0(VALU_DEP_1) | instskip(NEXT) | instid1(VALU_DEP_1)
	v_fma_f64 v[216:217], -v[212:213], v[214:215], 1.0
	v_fma_f64 v[214:215], v[214:215], v[216:217], v[214:215]
	s_delay_alu instid0(VALU_DEP_1) | instskip(NEXT) | instid1(VALU_DEP_1)
	v_mul_f64 v[216:217], v[218:219], v[214:215]
	v_fma_f64 v[212:213], -v[212:213], v[216:217], v[218:219]
	s_delay_alu instid0(VALU_DEP_1) | instskip(NEXT) | instid1(VALU_DEP_1)
	v_div_fmas_f64 v[212:213], v[212:213], v[214:215], v[216:217]
	v_div_fixup_f64 v[212:213], v[212:213], v[210:211], v[208:209]
	s_delay_alu instid0(VALU_DEP_1) | instskip(NEXT) | instid1(VALU_DEP_1)
	v_fma_f64 v[208:209], v[208:209], v[212:213], v[210:211]
	v_div_scale_f64 v[210:211], null, v[208:209], v[208:209], 1.0
	s_delay_alu instid0(VALU_DEP_1) | instskip(SKIP_2) | instid1(VALU_DEP_1)
	v_rcp_f64_e32 v[214:215], v[210:211]
	s_waitcnt_depctr 0xfff
	v_fma_f64 v[216:217], -v[210:211], v[214:215], 1.0
	v_fma_f64 v[214:215], v[214:215], v[216:217], v[214:215]
	s_delay_alu instid0(VALU_DEP_1) | instskip(NEXT) | instid1(VALU_DEP_1)
	v_fma_f64 v[216:217], -v[210:211], v[214:215], 1.0
	v_fma_f64 v[214:215], v[214:215], v[216:217], v[214:215]
	v_div_scale_f64 v[216:217], vcc_lo, 1.0, v[208:209], 1.0
	s_delay_alu instid0(VALU_DEP_1) | instskip(NEXT) | instid1(VALU_DEP_1)
	v_mul_f64 v[218:219], v[216:217], v[214:215]
	v_fma_f64 v[210:211], -v[210:211], v[218:219], v[216:217]
	s_delay_alu instid0(VALU_DEP_1) | instskip(NEXT) | instid1(VALU_DEP_1)
	v_div_fmas_f64 v[210:211], v[210:211], v[214:215], v[218:219]
	v_div_fixup_f64 v[214:215], v[210:211], v[208:209], 1.0
                                        ; implicit-def: $vgpr208_vgpr209
	s_delay_alu instid0(VALU_DEP_1)
	v_mul_f64 v[216:217], v[212:213], v[214:215]
	v_xor_b32_e32 v215, 0x80000000, v215
.LBB103_158:
	s_and_not1_saveexec_b32 s3, s3
	s_cbranch_execz .LBB103_160
; %bb.159:
	v_div_scale_f64 v[212:213], null, v[208:209], v[208:209], v[210:211]
	v_div_scale_f64 v[218:219], vcc_lo, v[210:211], v[208:209], v[210:211]
	s_delay_alu instid0(VALU_DEP_2) | instskip(SKIP_2) | instid1(VALU_DEP_1)
	v_rcp_f64_e32 v[214:215], v[212:213]
	s_waitcnt_depctr 0xfff
	v_fma_f64 v[216:217], -v[212:213], v[214:215], 1.0
	v_fma_f64 v[214:215], v[214:215], v[216:217], v[214:215]
	s_delay_alu instid0(VALU_DEP_1) | instskip(NEXT) | instid1(VALU_DEP_1)
	v_fma_f64 v[216:217], -v[212:213], v[214:215], 1.0
	v_fma_f64 v[214:215], v[214:215], v[216:217], v[214:215]
	s_delay_alu instid0(VALU_DEP_1) | instskip(NEXT) | instid1(VALU_DEP_1)
	v_mul_f64 v[216:217], v[218:219], v[214:215]
	v_fma_f64 v[212:213], -v[212:213], v[216:217], v[218:219]
	s_delay_alu instid0(VALU_DEP_1) | instskip(NEXT) | instid1(VALU_DEP_1)
	v_div_fmas_f64 v[212:213], v[212:213], v[214:215], v[216:217]
	v_div_fixup_f64 v[212:213], v[212:213], v[208:209], v[210:211]
	s_delay_alu instid0(VALU_DEP_1) | instskip(NEXT) | instid1(VALU_DEP_1)
	v_fma_f64 v[208:209], v[210:211], v[212:213], v[208:209]
	v_div_scale_f64 v[210:211], null, v[208:209], v[208:209], 1.0
	s_delay_alu instid0(VALU_DEP_1) | instskip(SKIP_2) | instid1(VALU_DEP_1)
	v_rcp_f64_e32 v[214:215], v[210:211]
	s_waitcnt_depctr 0xfff
	v_fma_f64 v[216:217], -v[210:211], v[214:215], 1.0
	v_fma_f64 v[214:215], v[214:215], v[216:217], v[214:215]
	s_delay_alu instid0(VALU_DEP_1) | instskip(NEXT) | instid1(VALU_DEP_1)
	v_fma_f64 v[216:217], -v[210:211], v[214:215], 1.0
	v_fma_f64 v[214:215], v[214:215], v[216:217], v[214:215]
	v_div_scale_f64 v[216:217], vcc_lo, 1.0, v[208:209], 1.0
	s_delay_alu instid0(VALU_DEP_1) | instskip(NEXT) | instid1(VALU_DEP_1)
	v_mul_f64 v[218:219], v[216:217], v[214:215]
	v_fma_f64 v[210:211], -v[210:211], v[218:219], v[216:217]
	s_delay_alu instid0(VALU_DEP_1) | instskip(NEXT) | instid1(VALU_DEP_1)
	v_div_fmas_f64 v[210:211], v[210:211], v[214:215], v[218:219]
	v_div_fixup_f64 v[216:217], v[210:211], v[208:209], 1.0
	s_delay_alu instid0(VALU_DEP_1)
	v_mul_f64 v[214:215], v[212:213], -v[216:217]
.LBB103_160:
	s_or_b32 exec_lo, exec_lo, s3
	ds_store_2addr_b64 v227, v[216:217], v[214:215] offset1:1
.LBB103_161:
	s_or_b32 exec_lo, exec_lo, s4
	s_waitcnt lgkmcnt(0)
	s_barrier
	buffer_gl0_inv
	ds_load_2addr_b64 v[202:205], v227 offset1:1
	s_mov_b32 s3, exec_lo
	s_waitcnt lgkmcnt(0)
	scratch_store_b128 off, v[202:205], off offset:712 ; 16-byte Folded Spill
	v_cmpx_lt_u32_e32 17, v226
	s_cbranch_execz .LBB103_163
; %bb.162:
	scratch_load_b128 v[202:205], off, off offset:712 ; 16-byte Folded Reload
	ds_load_2addr_b64 v[210:213], v228 offset0:36 offset1:37
	s_waitcnt vmcnt(0)
	v_mul_f64 v[208:209], v[204:205], v[138:139]
	v_mul_f64 v[138:139], v[202:203], v[138:139]
	s_delay_alu instid0(VALU_DEP_2) | instskip(NEXT) | instid1(VALU_DEP_2)
	v_fma_f64 v[208:209], v[202:203], v[136:137], -v[208:209]
	v_fma_f64 v[138:139], v[204:205], v[136:137], v[138:139]
	s_waitcnt lgkmcnt(0)
	s_delay_alu instid0(VALU_DEP_1) | instskip(NEXT) | instid1(VALU_DEP_1)
	v_mul_f64 v[136:137], v[212:213], v[138:139]
	v_fma_f64 v[136:137], v[210:211], v[208:209], -v[136:137]
	v_mul_f64 v[210:211], v[210:211], v[138:139]
	s_delay_alu instid0(VALU_DEP_2) | instskip(NEXT) | instid1(VALU_DEP_2)
	v_add_f64 v[132:133], v[132:133], -v[136:137]
	v_fma_f64 v[210:211], v[212:213], v[208:209], v[210:211]
	s_delay_alu instid0(VALU_DEP_1) | instskip(SKIP_3) | instid1(VALU_DEP_1)
	v_add_f64 v[134:135], v[134:135], -v[210:211]
	ds_load_2addr_b64 v[210:213], v228 offset0:38 offset1:39
	s_waitcnt lgkmcnt(0)
	v_mul_f64 v[136:137], v[212:213], v[138:139]
	v_fma_f64 v[136:137], v[210:211], v[208:209], -v[136:137]
	v_mul_f64 v[210:211], v[210:211], v[138:139]
	s_delay_alu instid0(VALU_DEP_2) | instskip(NEXT) | instid1(VALU_DEP_2)
	v_add_f64 v[128:129], v[128:129], -v[136:137]
	v_fma_f64 v[210:211], v[212:213], v[208:209], v[210:211]
	s_delay_alu instid0(VALU_DEP_1) | instskip(SKIP_3) | instid1(VALU_DEP_1)
	v_add_f64 v[130:131], v[130:131], -v[210:211]
	ds_load_2addr_b64 v[210:213], v228 offset0:40 offset1:41
	s_waitcnt lgkmcnt(0)
	;; [unrolled: 10-line block ×33, first 2 shown]
	v_mul_f64 v[136:137], v[212:213], v[138:139]
	v_fma_f64 v[136:137], v[210:211], v[208:209], -v[136:137]
	v_mul_f64 v[210:211], v[210:211], v[138:139]
	s_delay_alu instid0(VALU_DEP_2) | instskip(NEXT) | instid1(VALU_DEP_2)
	v_add_f64 v[0:1], v[0:1], -v[136:137]
	v_fma_f64 v[210:211], v[212:213], v[208:209], v[210:211]
	v_dual_mov_b32 v136, v208 :: v_dual_mov_b32 v137, v209
	s_delay_alu instid0(VALU_DEP_2)
	v_add_f64 v[2:3], v[2:3], -v[210:211]
.LBB103_163:
	s_or_b32 exec_lo, exec_lo, s3
	s_delay_alu instid0(SALU_CYCLE_1)
	s_mov_b32 s4, exec_lo
	s_waitcnt_vscnt null, 0x0
	s_barrier
	buffer_gl0_inv
	v_cmpx_eq_u32_e32 18, v226
	s_cbranch_execz .LBB103_170
; %bb.164:
	ds_store_2addr_b64 v227, v[132:133], v[134:135] offset1:1
	ds_store_2addr_b64 v228, v[128:129], v[130:131] offset0:38 offset1:39
	ds_store_2addr_b64 v228, v[124:125], v[126:127] offset0:40 offset1:41
	;; [unrolled: 1-line block ×33, first 2 shown]
	ds_load_2addr_b64 v[208:211], v227 offset1:1
	s_waitcnt lgkmcnt(0)
	v_cmp_neq_f64_e32 vcc_lo, 0, v[208:209]
	v_cmp_neq_f64_e64 s3, 0, v[210:211]
	s_delay_alu instid0(VALU_DEP_1) | instskip(NEXT) | instid1(SALU_CYCLE_1)
	s_or_b32 s3, vcc_lo, s3
	s_and_b32 exec_lo, exec_lo, s3
	s_cbranch_execz .LBB103_170
; %bb.165:
	v_cmp_gt_f64_e32 vcc_lo, 0, v[208:209]
	v_xor_b32_e32 v204, 0x80000000, v209
	s_mov_b32 s3, exec_lo
                                        ; implicit-def: $vgpr216_vgpr217
	s_delay_alu instid0(VALU_DEP_1) | instskip(SKIP_3) | instid1(VALU_DEP_1)
	v_cndmask_b32_e32 v213, v209, v204, vcc_lo
	v_cndmask_b32_e32 v212, v208, v208, vcc_lo
	v_cmp_gt_f64_e32 vcc_lo, 0, v[210:211]
	v_xor_b32_e32 v204, 0x80000000, v211
	v_dual_cndmask_b32 v214, v210, v210 :: v_dual_cndmask_b32 v215, v211, v204
	s_delay_alu instid0(VALU_DEP_1)
	v_cmpx_ngt_f64_e32 v[212:213], v[214:215]
	s_xor_b32 s3, exec_lo, s3
                                        ; implicit-def: $vgpr212_vgpr213_vgpr214_vgpr215
	s_cbranch_execz .LBB103_167
; %bb.166:
	v_div_scale_f64 v[212:213], null, v[210:211], v[210:211], v[208:209]
	v_div_scale_f64 v[218:219], vcc_lo, v[208:209], v[210:211], v[208:209]
	s_delay_alu instid0(VALU_DEP_2) | instskip(SKIP_2) | instid1(VALU_DEP_1)
	v_rcp_f64_e32 v[214:215], v[212:213]
	s_waitcnt_depctr 0xfff
	v_fma_f64 v[216:217], -v[212:213], v[214:215], 1.0
	v_fma_f64 v[214:215], v[214:215], v[216:217], v[214:215]
	s_delay_alu instid0(VALU_DEP_1) | instskip(NEXT) | instid1(VALU_DEP_1)
	v_fma_f64 v[216:217], -v[212:213], v[214:215], 1.0
	v_fma_f64 v[214:215], v[214:215], v[216:217], v[214:215]
	s_delay_alu instid0(VALU_DEP_1) | instskip(NEXT) | instid1(VALU_DEP_1)
	v_mul_f64 v[216:217], v[218:219], v[214:215]
	v_fma_f64 v[212:213], -v[212:213], v[216:217], v[218:219]
	s_delay_alu instid0(VALU_DEP_1) | instskip(NEXT) | instid1(VALU_DEP_1)
	v_div_fmas_f64 v[212:213], v[212:213], v[214:215], v[216:217]
	v_div_fixup_f64 v[212:213], v[212:213], v[210:211], v[208:209]
	s_delay_alu instid0(VALU_DEP_1) | instskip(NEXT) | instid1(VALU_DEP_1)
	v_fma_f64 v[208:209], v[208:209], v[212:213], v[210:211]
	v_div_scale_f64 v[210:211], null, v[208:209], v[208:209], 1.0
	s_delay_alu instid0(VALU_DEP_1) | instskip(SKIP_2) | instid1(VALU_DEP_1)
	v_rcp_f64_e32 v[214:215], v[210:211]
	s_waitcnt_depctr 0xfff
	v_fma_f64 v[216:217], -v[210:211], v[214:215], 1.0
	v_fma_f64 v[214:215], v[214:215], v[216:217], v[214:215]
	s_delay_alu instid0(VALU_DEP_1) | instskip(NEXT) | instid1(VALU_DEP_1)
	v_fma_f64 v[216:217], -v[210:211], v[214:215], 1.0
	v_fma_f64 v[214:215], v[214:215], v[216:217], v[214:215]
	v_div_scale_f64 v[216:217], vcc_lo, 1.0, v[208:209], 1.0
	s_delay_alu instid0(VALU_DEP_1) | instskip(NEXT) | instid1(VALU_DEP_1)
	v_mul_f64 v[218:219], v[216:217], v[214:215]
	v_fma_f64 v[210:211], -v[210:211], v[218:219], v[216:217]
	s_delay_alu instid0(VALU_DEP_1) | instskip(NEXT) | instid1(VALU_DEP_1)
	v_div_fmas_f64 v[210:211], v[210:211], v[214:215], v[218:219]
	v_div_fixup_f64 v[214:215], v[210:211], v[208:209], 1.0
                                        ; implicit-def: $vgpr208_vgpr209
	s_delay_alu instid0(VALU_DEP_1)
	v_mul_f64 v[216:217], v[212:213], v[214:215]
	v_xor_b32_e32 v215, 0x80000000, v215
.LBB103_167:
	s_and_not1_saveexec_b32 s3, s3
	s_cbranch_execz .LBB103_169
; %bb.168:
	v_div_scale_f64 v[212:213], null, v[208:209], v[208:209], v[210:211]
	v_div_scale_f64 v[218:219], vcc_lo, v[210:211], v[208:209], v[210:211]
	s_delay_alu instid0(VALU_DEP_2) | instskip(SKIP_2) | instid1(VALU_DEP_1)
	v_rcp_f64_e32 v[214:215], v[212:213]
	s_waitcnt_depctr 0xfff
	v_fma_f64 v[216:217], -v[212:213], v[214:215], 1.0
	v_fma_f64 v[214:215], v[214:215], v[216:217], v[214:215]
	s_delay_alu instid0(VALU_DEP_1) | instskip(NEXT) | instid1(VALU_DEP_1)
	v_fma_f64 v[216:217], -v[212:213], v[214:215], 1.0
	v_fma_f64 v[214:215], v[214:215], v[216:217], v[214:215]
	s_delay_alu instid0(VALU_DEP_1) | instskip(NEXT) | instid1(VALU_DEP_1)
	v_mul_f64 v[216:217], v[218:219], v[214:215]
	v_fma_f64 v[212:213], -v[212:213], v[216:217], v[218:219]
	s_delay_alu instid0(VALU_DEP_1) | instskip(NEXT) | instid1(VALU_DEP_1)
	v_div_fmas_f64 v[212:213], v[212:213], v[214:215], v[216:217]
	v_div_fixup_f64 v[212:213], v[212:213], v[208:209], v[210:211]
	s_delay_alu instid0(VALU_DEP_1) | instskip(NEXT) | instid1(VALU_DEP_1)
	v_fma_f64 v[208:209], v[210:211], v[212:213], v[208:209]
	v_div_scale_f64 v[210:211], null, v[208:209], v[208:209], 1.0
	s_delay_alu instid0(VALU_DEP_1) | instskip(SKIP_2) | instid1(VALU_DEP_1)
	v_rcp_f64_e32 v[214:215], v[210:211]
	s_waitcnt_depctr 0xfff
	v_fma_f64 v[216:217], -v[210:211], v[214:215], 1.0
	v_fma_f64 v[214:215], v[214:215], v[216:217], v[214:215]
	s_delay_alu instid0(VALU_DEP_1) | instskip(NEXT) | instid1(VALU_DEP_1)
	v_fma_f64 v[216:217], -v[210:211], v[214:215], 1.0
	v_fma_f64 v[214:215], v[214:215], v[216:217], v[214:215]
	v_div_scale_f64 v[216:217], vcc_lo, 1.0, v[208:209], 1.0
	s_delay_alu instid0(VALU_DEP_1) | instskip(NEXT) | instid1(VALU_DEP_1)
	v_mul_f64 v[218:219], v[216:217], v[214:215]
	v_fma_f64 v[210:211], -v[210:211], v[218:219], v[216:217]
	s_delay_alu instid0(VALU_DEP_1) | instskip(NEXT) | instid1(VALU_DEP_1)
	v_div_fmas_f64 v[210:211], v[210:211], v[214:215], v[218:219]
	v_div_fixup_f64 v[216:217], v[210:211], v[208:209], 1.0
	s_delay_alu instid0(VALU_DEP_1)
	v_mul_f64 v[214:215], v[212:213], -v[216:217]
.LBB103_169:
	s_or_b32 exec_lo, exec_lo, s3
	ds_store_2addr_b64 v227, v[216:217], v[214:215] offset1:1
.LBB103_170:
	s_or_b32 exec_lo, exec_lo, s4
	s_waitcnt lgkmcnt(0)
	s_barrier
	buffer_gl0_inv
	ds_load_2addr_b64 v[202:205], v227 offset1:1
	s_mov_b32 s3, exec_lo
	s_waitcnt lgkmcnt(0)
	scratch_store_b128 off, v[202:205], off offset:728 ; 16-byte Folded Spill
	v_cmpx_lt_u32_e32 18, v226
	s_cbranch_execz .LBB103_172
; %bb.171:
	scratch_load_b128 v[202:205], off, off offset:728 ; 16-byte Folded Reload
	ds_load_2addr_b64 v[210:213], v228 offset0:38 offset1:39
	s_waitcnt vmcnt(0)
	v_mul_f64 v[208:209], v[204:205], v[134:135]
	v_mul_f64 v[134:135], v[202:203], v[134:135]
	s_delay_alu instid0(VALU_DEP_2) | instskip(NEXT) | instid1(VALU_DEP_2)
	v_fma_f64 v[208:209], v[202:203], v[132:133], -v[208:209]
	v_fma_f64 v[134:135], v[204:205], v[132:133], v[134:135]
	s_waitcnt lgkmcnt(0)
	s_delay_alu instid0(VALU_DEP_1) | instskip(NEXT) | instid1(VALU_DEP_1)
	v_mul_f64 v[132:133], v[212:213], v[134:135]
	v_fma_f64 v[132:133], v[210:211], v[208:209], -v[132:133]
	v_mul_f64 v[210:211], v[210:211], v[134:135]
	s_delay_alu instid0(VALU_DEP_2) | instskip(NEXT) | instid1(VALU_DEP_2)
	v_add_f64 v[128:129], v[128:129], -v[132:133]
	v_fma_f64 v[210:211], v[212:213], v[208:209], v[210:211]
	s_delay_alu instid0(VALU_DEP_1) | instskip(SKIP_3) | instid1(VALU_DEP_1)
	v_add_f64 v[130:131], v[130:131], -v[210:211]
	ds_load_2addr_b64 v[210:213], v228 offset0:40 offset1:41
	s_waitcnt lgkmcnt(0)
	v_mul_f64 v[132:133], v[212:213], v[134:135]
	v_fma_f64 v[132:133], v[210:211], v[208:209], -v[132:133]
	v_mul_f64 v[210:211], v[210:211], v[134:135]
	s_delay_alu instid0(VALU_DEP_2) | instskip(NEXT) | instid1(VALU_DEP_2)
	v_add_f64 v[124:125], v[124:125], -v[132:133]
	v_fma_f64 v[210:211], v[212:213], v[208:209], v[210:211]
	s_delay_alu instid0(VALU_DEP_1) | instskip(SKIP_3) | instid1(VALU_DEP_1)
	v_add_f64 v[126:127], v[126:127], -v[210:211]
	ds_load_2addr_b64 v[210:213], v228 offset0:42 offset1:43
	s_waitcnt lgkmcnt(0)
	;; [unrolled: 10-line block ×32, first 2 shown]
	v_mul_f64 v[132:133], v[212:213], v[134:135]
	v_fma_f64 v[132:133], v[210:211], v[208:209], -v[132:133]
	v_mul_f64 v[210:211], v[210:211], v[134:135]
	s_delay_alu instid0(VALU_DEP_2) | instskip(NEXT) | instid1(VALU_DEP_2)
	v_add_f64 v[0:1], v[0:1], -v[132:133]
	v_fma_f64 v[210:211], v[212:213], v[208:209], v[210:211]
	v_dual_mov_b32 v132, v208 :: v_dual_mov_b32 v133, v209
	s_delay_alu instid0(VALU_DEP_2)
	v_add_f64 v[2:3], v[2:3], -v[210:211]
.LBB103_172:
	s_or_b32 exec_lo, exec_lo, s3
	s_delay_alu instid0(SALU_CYCLE_1)
	s_mov_b32 s4, exec_lo
	s_waitcnt_vscnt null, 0x0
	s_barrier
	buffer_gl0_inv
	v_cmpx_eq_u32_e32 19, v226
	s_cbranch_execz .LBB103_179
; %bb.173:
	ds_store_2addr_b64 v227, v[128:129], v[130:131] offset1:1
	ds_store_2addr_b64 v228, v[124:125], v[126:127] offset0:40 offset1:41
	ds_store_2addr_b64 v228, v[120:121], v[122:123] offset0:42 offset1:43
	ds_store_2addr_b64 v228, v[116:117], v[118:119] offset0:44 offset1:45
	ds_store_2addr_b64 v228, v[112:113], v[114:115] offset0:46 offset1:47
	ds_store_2addr_b64 v228, v[108:109], v[110:111] offset0:48 offset1:49
	ds_store_2addr_b64 v228, v[104:105], v[106:107] offset0:50 offset1:51
	ds_store_2addr_b64 v228, v[100:101], v[102:103] offset0:52 offset1:53
	ds_store_2addr_b64 v228, v[96:97], v[98:99] offset0:54 offset1:55
	ds_store_2addr_b64 v228, v[92:93], v[94:95] offset0:56 offset1:57
	ds_store_2addr_b64 v228, v[88:89], v[90:91] offset0:58 offset1:59
	ds_store_2addr_b64 v228, v[84:85], v[86:87] offset0:60 offset1:61
	ds_store_2addr_b64 v228, v[80:81], v[82:83] offset0:62 offset1:63
	ds_store_2addr_b64 v228, v[76:77], v[78:79] offset0:64 offset1:65
	ds_store_2addr_b64 v228, v[72:73], v[74:75] offset0:66 offset1:67
	ds_store_2addr_b64 v228, v[68:69], v[70:71] offset0:68 offset1:69
	ds_store_2addr_b64 v228, v[64:65], v[66:67] offset0:70 offset1:71
	ds_store_2addr_b64 v228, v[60:61], v[62:63] offset0:72 offset1:73
	ds_store_2addr_b64 v228, v[56:57], v[58:59] offset0:74 offset1:75
	ds_store_2addr_b64 v228, v[52:53], v[54:55] offset0:76 offset1:77
	ds_store_2addr_b64 v228, v[48:49], v[50:51] offset0:78 offset1:79
	ds_store_2addr_b64 v228, v[44:45], v[46:47] offset0:80 offset1:81
	ds_store_2addr_b64 v228, v[40:41], v[42:43] offset0:82 offset1:83
	ds_store_2addr_b64 v228, v[36:37], v[38:39] offset0:84 offset1:85
	ds_store_2addr_b64 v228, v[32:33], v[34:35] offset0:86 offset1:87
	ds_store_2addr_b64 v228, v[28:29], v[30:31] offset0:88 offset1:89
	ds_store_2addr_b64 v228, v[24:25], v[26:27] offset0:90 offset1:91
	ds_store_2addr_b64 v228, v[20:21], v[22:23] offset0:92 offset1:93
	ds_store_2addr_b64 v228, v[16:17], v[18:19] offset0:94 offset1:95
	ds_store_2addr_b64 v228, v[12:13], v[14:15] offset0:96 offset1:97
	ds_store_2addr_b64 v228, v[8:9], v[10:11] offset0:98 offset1:99
	ds_store_2addr_b64 v228, v[4:5], v[6:7] offset0:100 offset1:101
	ds_store_2addr_b64 v228, v[0:1], v[2:3] offset0:102 offset1:103
	ds_load_2addr_b64 v[208:211], v227 offset1:1
	s_waitcnt lgkmcnt(0)
	v_cmp_neq_f64_e32 vcc_lo, 0, v[208:209]
	v_cmp_neq_f64_e64 s3, 0, v[210:211]
	s_delay_alu instid0(VALU_DEP_1) | instskip(NEXT) | instid1(SALU_CYCLE_1)
	s_or_b32 s3, vcc_lo, s3
	s_and_b32 exec_lo, exec_lo, s3
	s_cbranch_execz .LBB103_179
; %bb.174:
	v_cmp_gt_f64_e32 vcc_lo, 0, v[208:209]
	v_xor_b32_e32 v204, 0x80000000, v209
	s_mov_b32 s3, exec_lo
                                        ; implicit-def: $vgpr216_vgpr217
	s_delay_alu instid0(VALU_DEP_1) | instskip(SKIP_3) | instid1(VALU_DEP_1)
	v_cndmask_b32_e32 v213, v209, v204, vcc_lo
	v_cndmask_b32_e32 v212, v208, v208, vcc_lo
	v_cmp_gt_f64_e32 vcc_lo, 0, v[210:211]
	v_xor_b32_e32 v204, 0x80000000, v211
	v_dual_cndmask_b32 v214, v210, v210 :: v_dual_cndmask_b32 v215, v211, v204
	s_delay_alu instid0(VALU_DEP_1)
	v_cmpx_ngt_f64_e32 v[212:213], v[214:215]
	s_xor_b32 s3, exec_lo, s3
                                        ; implicit-def: $vgpr212_vgpr213_vgpr214_vgpr215
	s_cbranch_execz .LBB103_176
; %bb.175:
	v_div_scale_f64 v[212:213], null, v[210:211], v[210:211], v[208:209]
	v_div_scale_f64 v[218:219], vcc_lo, v[208:209], v[210:211], v[208:209]
	s_delay_alu instid0(VALU_DEP_2) | instskip(SKIP_2) | instid1(VALU_DEP_1)
	v_rcp_f64_e32 v[214:215], v[212:213]
	s_waitcnt_depctr 0xfff
	v_fma_f64 v[216:217], -v[212:213], v[214:215], 1.0
	v_fma_f64 v[214:215], v[214:215], v[216:217], v[214:215]
	s_delay_alu instid0(VALU_DEP_1) | instskip(NEXT) | instid1(VALU_DEP_1)
	v_fma_f64 v[216:217], -v[212:213], v[214:215], 1.0
	v_fma_f64 v[214:215], v[214:215], v[216:217], v[214:215]
	s_delay_alu instid0(VALU_DEP_1) | instskip(NEXT) | instid1(VALU_DEP_1)
	v_mul_f64 v[216:217], v[218:219], v[214:215]
	v_fma_f64 v[212:213], -v[212:213], v[216:217], v[218:219]
	s_delay_alu instid0(VALU_DEP_1) | instskip(NEXT) | instid1(VALU_DEP_1)
	v_div_fmas_f64 v[212:213], v[212:213], v[214:215], v[216:217]
	v_div_fixup_f64 v[212:213], v[212:213], v[210:211], v[208:209]
	s_delay_alu instid0(VALU_DEP_1) | instskip(NEXT) | instid1(VALU_DEP_1)
	v_fma_f64 v[208:209], v[208:209], v[212:213], v[210:211]
	v_div_scale_f64 v[210:211], null, v[208:209], v[208:209], 1.0
	s_delay_alu instid0(VALU_DEP_1) | instskip(SKIP_2) | instid1(VALU_DEP_1)
	v_rcp_f64_e32 v[214:215], v[210:211]
	s_waitcnt_depctr 0xfff
	v_fma_f64 v[216:217], -v[210:211], v[214:215], 1.0
	v_fma_f64 v[214:215], v[214:215], v[216:217], v[214:215]
	s_delay_alu instid0(VALU_DEP_1) | instskip(NEXT) | instid1(VALU_DEP_1)
	v_fma_f64 v[216:217], -v[210:211], v[214:215], 1.0
	v_fma_f64 v[214:215], v[214:215], v[216:217], v[214:215]
	v_div_scale_f64 v[216:217], vcc_lo, 1.0, v[208:209], 1.0
	s_delay_alu instid0(VALU_DEP_1) | instskip(NEXT) | instid1(VALU_DEP_1)
	v_mul_f64 v[218:219], v[216:217], v[214:215]
	v_fma_f64 v[210:211], -v[210:211], v[218:219], v[216:217]
	s_delay_alu instid0(VALU_DEP_1) | instskip(NEXT) | instid1(VALU_DEP_1)
	v_div_fmas_f64 v[210:211], v[210:211], v[214:215], v[218:219]
	v_div_fixup_f64 v[214:215], v[210:211], v[208:209], 1.0
                                        ; implicit-def: $vgpr208_vgpr209
	s_delay_alu instid0(VALU_DEP_1)
	v_mul_f64 v[216:217], v[212:213], v[214:215]
	v_xor_b32_e32 v215, 0x80000000, v215
.LBB103_176:
	s_and_not1_saveexec_b32 s3, s3
	s_cbranch_execz .LBB103_178
; %bb.177:
	v_div_scale_f64 v[212:213], null, v[208:209], v[208:209], v[210:211]
	v_div_scale_f64 v[218:219], vcc_lo, v[210:211], v[208:209], v[210:211]
	s_delay_alu instid0(VALU_DEP_2) | instskip(SKIP_2) | instid1(VALU_DEP_1)
	v_rcp_f64_e32 v[214:215], v[212:213]
	s_waitcnt_depctr 0xfff
	v_fma_f64 v[216:217], -v[212:213], v[214:215], 1.0
	v_fma_f64 v[214:215], v[214:215], v[216:217], v[214:215]
	s_delay_alu instid0(VALU_DEP_1) | instskip(NEXT) | instid1(VALU_DEP_1)
	v_fma_f64 v[216:217], -v[212:213], v[214:215], 1.0
	v_fma_f64 v[214:215], v[214:215], v[216:217], v[214:215]
	s_delay_alu instid0(VALU_DEP_1) | instskip(NEXT) | instid1(VALU_DEP_1)
	v_mul_f64 v[216:217], v[218:219], v[214:215]
	v_fma_f64 v[212:213], -v[212:213], v[216:217], v[218:219]
	s_delay_alu instid0(VALU_DEP_1) | instskip(NEXT) | instid1(VALU_DEP_1)
	v_div_fmas_f64 v[212:213], v[212:213], v[214:215], v[216:217]
	v_div_fixup_f64 v[212:213], v[212:213], v[208:209], v[210:211]
	s_delay_alu instid0(VALU_DEP_1) | instskip(NEXT) | instid1(VALU_DEP_1)
	v_fma_f64 v[208:209], v[210:211], v[212:213], v[208:209]
	v_div_scale_f64 v[210:211], null, v[208:209], v[208:209], 1.0
	s_delay_alu instid0(VALU_DEP_1) | instskip(SKIP_2) | instid1(VALU_DEP_1)
	v_rcp_f64_e32 v[214:215], v[210:211]
	s_waitcnt_depctr 0xfff
	v_fma_f64 v[216:217], -v[210:211], v[214:215], 1.0
	v_fma_f64 v[214:215], v[214:215], v[216:217], v[214:215]
	s_delay_alu instid0(VALU_DEP_1) | instskip(NEXT) | instid1(VALU_DEP_1)
	v_fma_f64 v[216:217], -v[210:211], v[214:215], 1.0
	v_fma_f64 v[214:215], v[214:215], v[216:217], v[214:215]
	v_div_scale_f64 v[216:217], vcc_lo, 1.0, v[208:209], 1.0
	s_delay_alu instid0(VALU_DEP_1) | instskip(NEXT) | instid1(VALU_DEP_1)
	v_mul_f64 v[218:219], v[216:217], v[214:215]
	v_fma_f64 v[210:211], -v[210:211], v[218:219], v[216:217]
	s_delay_alu instid0(VALU_DEP_1) | instskip(NEXT) | instid1(VALU_DEP_1)
	v_div_fmas_f64 v[210:211], v[210:211], v[214:215], v[218:219]
	v_div_fixup_f64 v[216:217], v[210:211], v[208:209], 1.0
	s_delay_alu instid0(VALU_DEP_1)
	v_mul_f64 v[214:215], v[212:213], -v[216:217]
.LBB103_178:
	s_or_b32 exec_lo, exec_lo, s3
	ds_store_2addr_b64 v227, v[216:217], v[214:215] offset1:1
.LBB103_179:
	s_or_b32 exec_lo, exec_lo, s4
	s_waitcnt lgkmcnt(0)
	s_barrier
	buffer_gl0_inv
	ds_load_2addr_b64 v[202:205], v227 offset1:1
	s_mov_b32 s3, exec_lo
	s_waitcnt lgkmcnt(0)
	scratch_store_b128 off, v[202:205], off offset:744 ; 16-byte Folded Spill
	v_cmpx_lt_u32_e32 19, v226
	s_cbranch_execz .LBB103_181
; %bb.180:
	scratch_load_b128 v[202:205], off, off offset:744 ; 16-byte Folded Reload
	ds_load_2addr_b64 v[210:213], v228 offset0:40 offset1:41
	s_waitcnt vmcnt(0)
	v_mul_f64 v[208:209], v[204:205], v[130:131]
	v_mul_f64 v[130:131], v[202:203], v[130:131]
	s_delay_alu instid0(VALU_DEP_2) | instskip(NEXT) | instid1(VALU_DEP_2)
	v_fma_f64 v[208:209], v[202:203], v[128:129], -v[208:209]
	v_fma_f64 v[130:131], v[204:205], v[128:129], v[130:131]
	s_waitcnt lgkmcnt(0)
	s_delay_alu instid0(VALU_DEP_1) | instskip(NEXT) | instid1(VALU_DEP_1)
	v_mul_f64 v[128:129], v[212:213], v[130:131]
	v_fma_f64 v[128:129], v[210:211], v[208:209], -v[128:129]
	v_mul_f64 v[210:211], v[210:211], v[130:131]
	s_delay_alu instid0(VALU_DEP_2) | instskip(NEXT) | instid1(VALU_DEP_2)
	v_add_f64 v[124:125], v[124:125], -v[128:129]
	v_fma_f64 v[210:211], v[212:213], v[208:209], v[210:211]
	s_delay_alu instid0(VALU_DEP_1) | instskip(SKIP_3) | instid1(VALU_DEP_1)
	v_add_f64 v[126:127], v[126:127], -v[210:211]
	ds_load_2addr_b64 v[210:213], v228 offset0:42 offset1:43
	s_waitcnt lgkmcnt(0)
	v_mul_f64 v[128:129], v[212:213], v[130:131]
	v_fma_f64 v[128:129], v[210:211], v[208:209], -v[128:129]
	v_mul_f64 v[210:211], v[210:211], v[130:131]
	s_delay_alu instid0(VALU_DEP_2) | instskip(NEXT) | instid1(VALU_DEP_2)
	v_add_f64 v[120:121], v[120:121], -v[128:129]
	v_fma_f64 v[210:211], v[212:213], v[208:209], v[210:211]
	s_delay_alu instid0(VALU_DEP_1) | instskip(SKIP_3) | instid1(VALU_DEP_1)
	v_add_f64 v[122:123], v[122:123], -v[210:211]
	ds_load_2addr_b64 v[210:213], v228 offset0:44 offset1:45
	s_waitcnt lgkmcnt(0)
	;; [unrolled: 10-line block ×31, first 2 shown]
	v_mul_f64 v[128:129], v[212:213], v[130:131]
	v_fma_f64 v[128:129], v[210:211], v[208:209], -v[128:129]
	v_mul_f64 v[210:211], v[210:211], v[130:131]
	s_delay_alu instid0(VALU_DEP_2) | instskip(NEXT) | instid1(VALU_DEP_2)
	v_add_f64 v[0:1], v[0:1], -v[128:129]
	v_fma_f64 v[210:211], v[212:213], v[208:209], v[210:211]
	v_dual_mov_b32 v128, v208 :: v_dual_mov_b32 v129, v209
	s_delay_alu instid0(VALU_DEP_2)
	v_add_f64 v[2:3], v[2:3], -v[210:211]
.LBB103_181:
	s_or_b32 exec_lo, exec_lo, s3
	s_delay_alu instid0(SALU_CYCLE_1)
	s_mov_b32 s4, exec_lo
	s_waitcnt_vscnt null, 0x0
	s_barrier
	buffer_gl0_inv
	v_cmpx_eq_u32_e32 20, v226
	s_cbranch_execz .LBB103_188
; %bb.182:
	ds_store_2addr_b64 v227, v[124:125], v[126:127] offset1:1
	ds_store_2addr_b64 v228, v[120:121], v[122:123] offset0:42 offset1:43
	ds_store_2addr_b64 v228, v[116:117], v[118:119] offset0:44 offset1:45
	;; [unrolled: 1-line block ×31, first 2 shown]
	ds_load_2addr_b64 v[208:211], v227 offset1:1
	s_waitcnt lgkmcnt(0)
	v_cmp_neq_f64_e32 vcc_lo, 0, v[208:209]
	v_cmp_neq_f64_e64 s3, 0, v[210:211]
	s_delay_alu instid0(VALU_DEP_1) | instskip(NEXT) | instid1(SALU_CYCLE_1)
	s_or_b32 s3, vcc_lo, s3
	s_and_b32 exec_lo, exec_lo, s3
	s_cbranch_execz .LBB103_188
; %bb.183:
	v_cmp_gt_f64_e32 vcc_lo, 0, v[208:209]
	v_xor_b32_e32 v204, 0x80000000, v209
	s_mov_b32 s3, exec_lo
                                        ; implicit-def: $vgpr216_vgpr217
	s_delay_alu instid0(VALU_DEP_1) | instskip(SKIP_3) | instid1(VALU_DEP_1)
	v_cndmask_b32_e32 v213, v209, v204, vcc_lo
	v_cndmask_b32_e32 v212, v208, v208, vcc_lo
	v_cmp_gt_f64_e32 vcc_lo, 0, v[210:211]
	v_xor_b32_e32 v204, 0x80000000, v211
	v_dual_cndmask_b32 v214, v210, v210 :: v_dual_cndmask_b32 v215, v211, v204
	s_delay_alu instid0(VALU_DEP_1)
	v_cmpx_ngt_f64_e32 v[212:213], v[214:215]
	s_xor_b32 s3, exec_lo, s3
                                        ; implicit-def: $vgpr212_vgpr213_vgpr214_vgpr215
	s_cbranch_execz .LBB103_185
; %bb.184:
	v_div_scale_f64 v[212:213], null, v[210:211], v[210:211], v[208:209]
	v_div_scale_f64 v[218:219], vcc_lo, v[208:209], v[210:211], v[208:209]
	s_delay_alu instid0(VALU_DEP_2) | instskip(SKIP_2) | instid1(VALU_DEP_1)
	v_rcp_f64_e32 v[214:215], v[212:213]
	s_waitcnt_depctr 0xfff
	v_fma_f64 v[216:217], -v[212:213], v[214:215], 1.0
	v_fma_f64 v[214:215], v[214:215], v[216:217], v[214:215]
	s_delay_alu instid0(VALU_DEP_1) | instskip(NEXT) | instid1(VALU_DEP_1)
	v_fma_f64 v[216:217], -v[212:213], v[214:215], 1.0
	v_fma_f64 v[214:215], v[214:215], v[216:217], v[214:215]
	s_delay_alu instid0(VALU_DEP_1) | instskip(NEXT) | instid1(VALU_DEP_1)
	v_mul_f64 v[216:217], v[218:219], v[214:215]
	v_fma_f64 v[212:213], -v[212:213], v[216:217], v[218:219]
	s_delay_alu instid0(VALU_DEP_1) | instskip(NEXT) | instid1(VALU_DEP_1)
	v_div_fmas_f64 v[212:213], v[212:213], v[214:215], v[216:217]
	v_div_fixup_f64 v[212:213], v[212:213], v[210:211], v[208:209]
	s_delay_alu instid0(VALU_DEP_1) | instskip(NEXT) | instid1(VALU_DEP_1)
	v_fma_f64 v[208:209], v[208:209], v[212:213], v[210:211]
	v_div_scale_f64 v[210:211], null, v[208:209], v[208:209], 1.0
	s_delay_alu instid0(VALU_DEP_1) | instskip(SKIP_2) | instid1(VALU_DEP_1)
	v_rcp_f64_e32 v[214:215], v[210:211]
	s_waitcnt_depctr 0xfff
	v_fma_f64 v[216:217], -v[210:211], v[214:215], 1.0
	v_fma_f64 v[214:215], v[214:215], v[216:217], v[214:215]
	s_delay_alu instid0(VALU_DEP_1) | instskip(NEXT) | instid1(VALU_DEP_1)
	v_fma_f64 v[216:217], -v[210:211], v[214:215], 1.0
	v_fma_f64 v[214:215], v[214:215], v[216:217], v[214:215]
	v_div_scale_f64 v[216:217], vcc_lo, 1.0, v[208:209], 1.0
	s_delay_alu instid0(VALU_DEP_1) | instskip(NEXT) | instid1(VALU_DEP_1)
	v_mul_f64 v[218:219], v[216:217], v[214:215]
	v_fma_f64 v[210:211], -v[210:211], v[218:219], v[216:217]
	s_delay_alu instid0(VALU_DEP_1) | instskip(NEXT) | instid1(VALU_DEP_1)
	v_div_fmas_f64 v[210:211], v[210:211], v[214:215], v[218:219]
	v_div_fixup_f64 v[214:215], v[210:211], v[208:209], 1.0
                                        ; implicit-def: $vgpr208_vgpr209
	s_delay_alu instid0(VALU_DEP_1)
	v_mul_f64 v[216:217], v[212:213], v[214:215]
	v_xor_b32_e32 v215, 0x80000000, v215
.LBB103_185:
	s_and_not1_saveexec_b32 s3, s3
	s_cbranch_execz .LBB103_187
; %bb.186:
	v_div_scale_f64 v[212:213], null, v[208:209], v[208:209], v[210:211]
	v_div_scale_f64 v[218:219], vcc_lo, v[210:211], v[208:209], v[210:211]
	s_delay_alu instid0(VALU_DEP_2) | instskip(SKIP_2) | instid1(VALU_DEP_1)
	v_rcp_f64_e32 v[214:215], v[212:213]
	s_waitcnt_depctr 0xfff
	v_fma_f64 v[216:217], -v[212:213], v[214:215], 1.0
	v_fma_f64 v[214:215], v[214:215], v[216:217], v[214:215]
	s_delay_alu instid0(VALU_DEP_1) | instskip(NEXT) | instid1(VALU_DEP_1)
	v_fma_f64 v[216:217], -v[212:213], v[214:215], 1.0
	v_fma_f64 v[214:215], v[214:215], v[216:217], v[214:215]
	s_delay_alu instid0(VALU_DEP_1) | instskip(NEXT) | instid1(VALU_DEP_1)
	v_mul_f64 v[216:217], v[218:219], v[214:215]
	v_fma_f64 v[212:213], -v[212:213], v[216:217], v[218:219]
	s_delay_alu instid0(VALU_DEP_1) | instskip(NEXT) | instid1(VALU_DEP_1)
	v_div_fmas_f64 v[212:213], v[212:213], v[214:215], v[216:217]
	v_div_fixup_f64 v[212:213], v[212:213], v[208:209], v[210:211]
	s_delay_alu instid0(VALU_DEP_1) | instskip(NEXT) | instid1(VALU_DEP_1)
	v_fma_f64 v[208:209], v[210:211], v[212:213], v[208:209]
	v_div_scale_f64 v[210:211], null, v[208:209], v[208:209], 1.0
	s_delay_alu instid0(VALU_DEP_1) | instskip(SKIP_2) | instid1(VALU_DEP_1)
	v_rcp_f64_e32 v[214:215], v[210:211]
	s_waitcnt_depctr 0xfff
	v_fma_f64 v[216:217], -v[210:211], v[214:215], 1.0
	v_fma_f64 v[214:215], v[214:215], v[216:217], v[214:215]
	s_delay_alu instid0(VALU_DEP_1) | instskip(NEXT) | instid1(VALU_DEP_1)
	v_fma_f64 v[216:217], -v[210:211], v[214:215], 1.0
	v_fma_f64 v[214:215], v[214:215], v[216:217], v[214:215]
	v_div_scale_f64 v[216:217], vcc_lo, 1.0, v[208:209], 1.0
	s_delay_alu instid0(VALU_DEP_1) | instskip(NEXT) | instid1(VALU_DEP_1)
	v_mul_f64 v[218:219], v[216:217], v[214:215]
	v_fma_f64 v[210:211], -v[210:211], v[218:219], v[216:217]
	s_delay_alu instid0(VALU_DEP_1) | instskip(NEXT) | instid1(VALU_DEP_1)
	v_div_fmas_f64 v[210:211], v[210:211], v[214:215], v[218:219]
	v_div_fixup_f64 v[216:217], v[210:211], v[208:209], 1.0
	s_delay_alu instid0(VALU_DEP_1)
	v_mul_f64 v[214:215], v[212:213], -v[216:217]
.LBB103_187:
	s_or_b32 exec_lo, exec_lo, s3
	ds_store_2addr_b64 v227, v[216:217], v[214:215] offset1:1
.LBB103_188:
	s_or_b32 exec_lo, exec_lo, s4
	s_waitcnt lgkmcnt(0)
	s_barrier
	buffer_gl0_inv
	ds_load_2addr_b64 v[202:205], v227 offset1:1
	s_mov_b32 s3, exec_lo
	s_waitcnt lgkmcnt(0)
	scratch_store_b128 off, v[202:205], off offset:760 ; 16-byte Folded Spill
	v_cmpx_lt_u32_e32 20, v226
	s_cbranch_execz .LBB103_190
; %bb.189:
	scratch_load_b128 v[202:205], off, off offset:760 ; 16-byte Folded Reload
	ds_load_2addr_b64 v[210:213], v228 offset0:42 offset1:43
	s_waitcnt vmcnt(0)
	v_mul_f64 v[208:209], v[204:205], v[126:127]
	v_mul_f64 v[126:127], v[202:203], v[126:127]
	s_delay_alu instid0(VALU_DEP_2) | instskip(NEXT) | instid1(VALU_DEP_2)
	v_fma_f64 v[208:209], v[202:203], v[124:125], -v[208:209]
	v_fma_f64 v[126:127], v[204:205], v[124:125], v[126:127]
	s_waitcnt lgkmcnt(0)
	s_delay_alu instid0(VALU_DEP_1) | instskip(NEXT) | instid1(VALU_DEP_1)
	v_mul_f64 v[124:125], v[212:213], v[126:127]
	v_fma_f64 v[124:125], v[210:211], v[208:209], -v[124:125]
	v_mul_f64 v[210:211], v[210:211], v[126:127]
	s_delay_alu instid0(VALU_DEP_2) | instskip(NEXT) | instid1(VALU_DEP_2)
	v_add_f64 v[120:121], v[120:121], -v[124:125]
	v_fma_f64 v[210:211], v[212:213], v[208:209], v[210:211]
	s_delay_alu instid0(VALU_DEP_1) | instskip(SKIP_3) | instid1(VALU_DEP_1)
	v_add_f64 v[122:123], v[122:123], -v[210:211]
	ds_load_2addr_b64 v[210:213], v228 offset0:44 offset1:45
	s_waitcnt lgkmcnt(0)
	v_mul_f64 v[124:125], v[212:213], v[126:127]
	v_fma_f64 v[124:125], v[210:211], v[208:209], -v[124:125]
	v_mul_f64 v[210:211], v[210:211], v[126:127]
	s_delay_alu instid0(VALU_DEP_2) | instskip(NEXT) | instid1(VALU_DEP_2)
	v_add_f64 v[116:117], v[116:117], -v[124:125]
	v_fma_f64 v[210:211], v[212:213], v[208:209], v[210:211]
	s_delay_alu instid0(VALU_DEP_1) | instskip(SKIP_3) | instid1(VALU_DEP_1)
	v_add_f64 v[118:119], v[118:119], -v[210:211]
	ds_load_2addr_b64 v[210:213], v228 offset0:46 offset1:47
	s_waitcnt lgkmcnt(0)
	;; [unrolled: 10-line block ×30, first 2 shown]
	v_mul_f64 v[124:125], v[212:213], v[126:127]
	v_fma_f64 v[124:125], v[210:211], v[208:209], -v[124:125]
	v_mul_f64 v[210:211], v[210:211], v[126:127]
	s_delay_alu instid0(VALU_DEP_2) | instskip(NEXT) | instid1(VALU_DEP_2)
	v_add_f64 v[0:1], v[0:1], -v[124:125]
	v_fma_f64 v[210:211], v[212:213], v[208:209], v[210:211]
	v_dual_mov_b32 v124, v208 :: v_dual_mov_b32 v125, v209
	s_delay_alu instid0(VALU_DEP_2)
	v_add_f64 v[2:3], v[2:3], -v[210:211]
.LBB103_190:
	s_or_b32 exec_lo, exec_lo, s3
	s_delay_alu instid0(SALU_CYCLE_1)
	s_mov_b32 s4, exec_lo
	s_waitcnt_vscnt null, 0x0
	s_barrier
	buffer_gl0_inv
	v_cmpx_eq_u32_e32 21, v226
	s_cbranch_execz .LBB103_197
; %bb.191:
	ds_store_2addr_b64 v227, v[120:121], v[122:123] offset1:1
	ds_store_2addr_b64 v228, v[116:117], v[118:119] offset0:44 offset1:45
	ds_store_2addr_b64 v228, v[112:113], v[114:115] offset0:46 offset1:47
	;; [unrolled: 1-line block ×30, first 2 shown]
	ds_load_2addr_b64 v[208:211], v227 offset1:1
	s_waitcnt lgkmcnt(0)
	v_cmp_neq_f64_e32 vcc_lo, 0, v[208:209]
	v_cmp_neq_f64_e64 s3, 0, v[210:211]
	s_delay_alu instid0(VALU_DEP_1) | instskip(NEXT) | instid1(SALU_CYCLE_1)
	s_or_b32 s3, vcc_lo, s3
	s_and_b32 exec_lo, exec_lo, s3
	s_cbranch_execz .LBB103_197
; %bb.192:
	v_cmp_gt_f64_e32 vcc_lo, 0, v[208:209]
	v_xor_b32_e32 v204, 0x80000000, v209
	s_mov_b32 s3, exec_lo
                                        ; implicit-def: $vgpr216_vgpr217
	s_delay_alu instid0(VALU_DEP_1) | instskip(SKIP_3) | instid1(VALU_DEP_1)
	v_cndmask_b32_e32 v213, v209, v204, vcc_lo
	v_cndmask_b32_e32 v212, v208, v208, vcc_lo
	v_cmp_gt_f64_e32 vcc_lo, 0, v[210:211]
	v_xor_b32_e32 v204, 0x80000000, v211
	v_dual_cndmask_b32 v214, v210, v210 :: v_dual_cndmask_b32 v215, v211, v204
	s_delay_alu instid0(VALU_DEP_1)
	v_cmpx_ngt_f64_e32 v[212:213], v[214:215]
	s_xor_b32 s3, exec_lo, s3
                                        ; implicit-def: $vgpr212_vgpr213_vgpr214_vgpr215
	s_cbranch_execz .LBB103_194
; %bb.193:
	v_div_scale_f64 v[212:213], null, v[210:211], v[210:211], v[208:209]
	v_div_scale_f64 v[218:219], vcc_lo, v[208:209], v[210:211], v[208:209]
	s_delay_alu instid0(VALU_DEP_2) | instskip(SKIP_2) | instid1(VALU_DEP_1)
	v_rcp_f64_e32 v[214:215], v[212:213]
	s_waitcnt_depctr 0xfff
	v_fma_f64 v[216:217], -v[212:213], v[214:215], 1.0
	v_fma_f64 v[214:215], v[214:215], v[216:217], v[214:215]
	s_delay_alu instid0(VALU_DEP_1) | instskip(NEXT) | instid1(VALU_DEP_1)
	v_fma_f64 v[216:217], -v[212:213], v[214:215], 1.0
	v_fma_f64 v[214:215], v[214:215], v[216:217], v[214:215]
	s_delay_alu instid0(VALU_DEP_1) | instskip(NEXT) | instid1(VALU_DEP_1)
	v_mul_f64 v[216:217], v[218:219], v[214:215]
	v_fma_f64 v[212:213], -v[212:213], v[216:217], v[218:219]
	s_delay_alu instid0(VALU_DEP_1) | instskip(NEXT) | instid1(VALU_DEP_1)
	v_div_fmas_f64 v[212:213], v[212:213], v[214:215], v[216:217]
	v_div_fixup_f64 v[212:213], v[212:213], v[210:211], v[208:209]
	s_delay_alu instid0(VALU_DEP_1) | instskip(NEXT) | instid1(VALU_DEP_1)
	v_fma_f64 v[208:209], v[208:209], v[212:213], v[210:211]
	v_div_scale_f64 v[210:211], null, v[208:209], v[208:209], 1.0
	s_delay_alu instid0(VALU_DEP_1) | instskip(SKIP_2) | instid1(VALU_DEP_1)
	v_rcp_f64_e32 v[214:215], v[210:211]
	s_waitcnt_depctr 0xfff
	v_fma_f64 v[216:217], -v[210:211], v[214:215], 1.0
	v_fma_f64 v[214:215], v[214:215], v[216:217], v[214:215]
	s_delay_alu instid0(VALU_DEP_1) | instskip(NEXT) | instid1(VALU_DEP_1)
	v_fma_f64 v[216:217], -v[210:211], v[214:215], 1.0
	v_fma_f64 v[214:215], v[214:215], v[216:217], v[214:215]
	v_div_scale_f64 v[216:217], vcc_lo, 1.0, v[208:209], 1.0
	s_delay_alu instid0(VALU_DEP_1) | instskip(NEXT) | instid1(VALU_DEP_1)
	v_mul_f64 v[218:219], v[216:217], v[214:215]
	v_fma_f64 v[210:211], -v[210:211], v[218:219], v[216:217]
	s_delay_alu instid0(VALU_DEP_1) | instskip(NEXT) | instid1(VALU_DEP_1)
	v_div_fmas_f64 v[210:211], v[210:211], v[214:215], v[218:219]
	v_div_fixup_f64 v[214:215], v[210:211], v[208:209], 1.0
                                        ; implicit-def: $vgpr208_vgpr209
	s_delay_alu instid0(VALU_DEP_1)
	v_mul_f64 v[216:217], v[212:213], v[214:215]
	v_xor_b32_e32 v215, 0x80000000, v215
.LBB103_194:
	s_and_not1_saveexec_b32 s3, s3
	s_cbranch_execz .LBB103_196
; %bb.195:
	v_div_scale_f64 v[212:213], null, v[208:209], v[208:209], v[210:211]
	v_div_scale_f64 v[218:219], vcc_lo, v[210:211], v[208:209], v[210:211]
	s_delay_alu instid0(VALU_DEP_2) | instskip(SKIP_2) | instid1(VALU_DEP_1)
	v_rcp_f64_e32 v[214:215], v[212:213]
	s_waitcnt_depctr 0xfff
	v_fma_f64 v[216:217], -v[212:213], v[214:215], 1.0
	v_fma_f64 v[214:215], v[214:215], v[216:217], v[214:215]
	s_delay_alu instid0(VALU_DEP_1) | instskip(NEXT) | instid1(VALU_DEP_1)
	v_fma_f64 v[216:217], -v[212:213], v[214:215], 1.0
	v_fma_f64 v[214:215], v[214:215], v[216:217], v[214:215]
	s_delay_alu instid0(VALU_DEP_1) | instskip(NEXT) | instid1(VALU_DEP_1)
	v_mul_f64 v[216:217], v[218:219], v[214:215]
	v_fma_f64 v[212:213], -v[212:213], v[216:217], v[218:219]
	s_delay_alu instid0(VALU_DEP_1) | instskip(NEXT) | instid1(VALU_DEP_1)
	v_div_fmas_f64 v[212:213], v[212:213], v[214:215], v[216:217]
	v_div_fixup_f64 v[212:213], v[212:213], v[208:209], v[210:211]
	s_delay_alu instid0(VALU_DEP_1) | instskip(NEXT) | instid1(VALU_DEP_1)
	v_fma_f64 v[208:209], v[210:211], v[212:213], v[208:209]
	v_div_scale_f64 v[210:211], null, v[208:209], v[208:209], 1.0
	s_delay_alu instid0(VALU_DEP_1) | instskip(SKIP_2) | instid1(VALU_DEP_1)
	v_rcp_f64_e32 v[214:215], v[210:211]
	s_waitcnt_depctr 0xfff
	v_fma_f64 v[216:217], -v[210:211], v[214:215], 1.0
	v_fma_f64 v[214:215], v[214:215], v[216:217], v[214:215]
	s_delay_alu instid0(VALU_DEP_1) | instskip(NEXT) | instid1(VALU_DEP_1)
	v_fma_f64 v[216:217], -v[210:211], v[214:215], 1.0
	v_fma_f64 v[214:215], v[214:215], v[216:217], v[214:215]
	v_div_scale_f64 v[216:217], vcc_lo, 1.0, v[208:209], 1.0
	s_delay_alu instid0(VALU_DEP_1) | instskip(NEXT) | instid1(VALU_DEP_1)
	v_mul_f64 v[218:219], v[216:217], v[214:215]
	v_fma_f64 v[210:211], -v[210:211], v[218:219], v[216:217]
	s_delay_alu instid0(VALU_DEP_1) | instskip(NEXT) | instid1(VALU_DEP_1)
	v_div_fmas_f64 v[210:211], v[210:211], v[214:215], v[218:219]
	v_div_fixup_f64 v[216:217], v[210:211], v[208:209], 1.0
	s_delay_alu instid0(VALU_DEP_1)
	v_mul_f64 v[214:215], v[212:213], -v[216:217]
.LBB103_196:
	s_or_b32 exec_lo, exec_lo, s3
	ds_store_2addr_b64 v227, v[216:217], v[214:215] offset1:1
.LBB103_197:
	s_or_b32 exec_lo, exec_lo, s4
	s_waitcnt lgkmcnt(0)
	s_barrier
	buffer_gl0_inv
	ds_load_2addr_b64 v[202:205], v227 offset1:1
	s_mov_b32 s3, exec_lo
	s_waitcnt lgkmcnt(0)
	scratch_store_b128 off, v[202:205], off offset:776 ; 16-byte Folded Spill
	v_cmpx_lt_u32_e32 21, v226
	s_cbranch_execz .LBB103_199
; %bb.198:
	scratch_load_b128 v[202:205], off, off offset:776 ; 16-byte Folded Reload
	ds_load_2addr_b64 v[210:213], v228 offset0:44 offset1:45
	s_waitcnt vmcnt(0)
	v_mul_f64 v[208:209], v[204:205], v[122:123]
	v_mul_f64 v[122:123], v[202:203], v[122:123]
	s_delay_alu instid0(VALU_DEP_2) | instskip(NEXT) | instid1(VALU_DEP_2)
	v_fma_f64 v[208:209], v[202:203], v[120:121], -v[208:209]
	v_fma_f64 v[122:123], v[204:205], v[120:121], v[122:123]
	s_waitcnt lgkmcnt(0)
	s_delay_alu instid0(VALU_DEP_1) | instskip(NEXT) | instid1(VALU_DEP_1)
	v_mul_f64 v[120:121], v[212:213], v[122:123]
	v_fma_f64 v[120:121], v[210:211], v[208:209], -v[120:121]
	v_mul_f64 v[210:211], v[210:211], v[122:123]
	s_delay_alu instid0(VALU_DEP_2) | instskip(NEXT) | instid1(VALU_DEP_2)
	v_add_f64 v[116:117], v[116:117], -v[120:121]
	v_fma_f64 v[210:211], v[212:213], v[208:209], v[210:211]
	s_delay_alu instid0(VALU_DEP_1) | instskip(SKIP_3) | instid1(VALU_DEP_1)
	v_add_f64 v[118:119], v[118:119], -v[210:211]
	ds_load_2addr_b64 v[210:213], v228 offset0:46 offset1:47
	s_waitcnt lgkmcnt(0)
	v_mul_f64 v[120:121], v[212:213], v[122:123]
	v_fma_f64 v[120:121], v[210:211], v[208:209], -v[120:121]
	v_mul_f64 v[210:211], v[210:211], v[122:123]
	s_delay_alu instid0(VALU_DEP_2) | instskip(NEXT) | instid1(VALU_DEP_2)
	v_add_f64 v[112:113], v[112:113], -v[120:121]
	v_fma_f64 v[210:211], v[212:213], v[208:209], v[210:211]
	s_delay_alu instid0(VALU_DEP_1) | instskip(SKIP_3) | instid1(VALU_DEP_1)
	v_add_f64 v[114:115], v[114:115], -v[210:211]
	ds_load_2addr_b64 v[210:213], v228 offset0:48 offset1:49
	s_waitcnt lgkmcnt(0)
	;; [unrolled: 10-line block ×29, first 2 shown]
	v_mul_f64 v[120:121], v[212:213], v[122:123]
	v_fma_f64 v[120:121], v[210:211], v[208:209], -v[120:121]
	v_mul_f64 v[210:211], v[210:211], v[122:123]
	s_delay_alu instid0(VALU_DEP_2) | instskip(NEXT) | instid1(VALU_DEP_2)
	v_add_f64 v[0:1], v[0:1], -v[120:121]
	v_fma_f64 v[210:211], v[212:213], v[208:209], v[210:211]
	v_dual_mov_b32 v120, v208 :: v_dual_mov_b32 v121, v209
	s_delay_alu instid0(VALU_DEP_2)
	v_add_f64 v[2:3], v[2:3], -v[210:211]
.LBB103_199:
	s_or_b32 exec_lo, exec_lo, s3
	s_delay_alu instid0(SALU_CYCLE_1)
	s_mov_b32 s4, exec_lo
	s_waitcnt_vscnt null, 0x0
	s_barrier
	buffer_gl0_inv
	v_cmpx_eq_u32_e32 22, v226
	s_cbranch_execz .LBB103_206
; %bb.200:
	ds_store_2addr_b64 v227, v[116:117], v[118:119] offset1:1
	ds_store_2addr_b64 v228, v[112:113], v[114:115] offset0:46 offset1:47
	ds_store_2addr_b64 v228, v[108:109], v[110:111] offset0:48 offset1:49
	;; [unrolled: 1-line block ×29, first 2 shown]
	ds_load_2addr_b64 v[208:211], v227 offset1:1
	s_waitcnt lgkmcnt(0)
	v_cmp_neq_f64_e32 vcc_lo, 0, v[208:209]
	v_cmp_neq_f64_e64 s3, 0, v[210:211]
	s_delay_alu instid0(VALU_DEP_1) | instskip(NEXT) | instid1(SALU_CYCLE_1)
	s_or_b32 s3, vcc_lo, s3
	s_and_b32 exec_lo, exec_lo, s3
	s_cbranch_execz .LBB103_206
; %bb.201:
	v_cmp_gt_f64_e32 vcc_lo, 0, v[208:209]
	v_xor_b32_e32 v204, 0x80000000, v209
	s_mov_b32 s3, exec_lo
                                        ; implicit-def: $vgpr216_vgpr217
	s_delay_alu instid0(VALU_DEP_1) | instskip(SKIP_3) | instid1(VALU_DEP_1)
	v_cndmask_b32_e32 v213, v209, v204, vcc_lo
	v_cndmask_b32_e32 v212, v208, v208, vcc_lo
	v_cmp_gt_f64_e32 vcc_lo, 0, v[210:211]
	v_xor_b32_e32 v204, 0x80000000, v211
	v_dual_cndmask_b32 v214, v210, v210 :: v_dual_cndmask_b32 v215, v211, v204
	s_delay_alu instid0(VALU_DEP_1)
	v_cmpx_ngt_f64_e32 v[212:213], v[214:215]
	s_xor_b32 s3, exec_lo, s3
                                        ; implicit-def: $vgpr212_vgpr213_vgpr214_vgpr215
	s_cbranch_execz .LBB103_203
; %bb.202:
	v_div_scale_f64 v[212:213], null, v[210:211], v[210:211], v[208:209]
	v_div_scale_f64 v[218:219], vcc_lo, v[208:209], v[210:211], v[208:209]
	s_delay_alu instid0(VALU_DEP_2) | instskip(SKIP_2) | instid1(VALU_DEP_1)
	v_rcp_f64_e32 v[214:215], v[212:213]
	s_waitcnt_depctr 0xfff
	v_fma_f64 v[216:217], -v[212:213], v[214:215], 1.0
	v_fma_f64 v[214:215], v[214:215], v[216:217], v[214:215]
	s_delay_alu instid0(VALU_DEP_1) | instskip(NEXT) | instid1(VALU_DEP_1)
	v_fma_f64 v[216:217], -v[212:213], v[214:215], 1.0
	v_fma_f64 v[214:215], v[214:215], v[216:217], v[214:215]
	s_delay_alu instid0(VALU_DEP_1) | instskip(NEXT) | instid1(VALU_DEP_1)
	v_mul_f64 v[216:217], v[218:219], v[214:215]
	v_fma_f64 v[212:213], -v[212:213], v[216:217], v[218:219]
	s_delay_alu instid0(VALU_DEP_1) | instskip(NEXT) | instid1(VALU_DEP_1)
	v_div_fmas_f64 v[212:213], v[212:213], v[214:215], v[216:217]
	v_div_fixup_f64 v[212:213], v[212:213], v[210:211], v[208:209]
	s_delay_alu instid0(VALU_DEP_1) | instskip(NEXT) | instid1(VALU_DEP_1)
	v_fma_f64 v[208:209], v[208:209], v[212:213], v[210:211]
	v_div_scale_f64 v[210:211], null, v[208:209], v[208:209], 1.0
	s_delay_alu instid0(VALU_DEP_1) | instskip(SKIP_2) | instid1(VALU_DEP_1)
	v_rcp_f64_e32 v[214:215], v[210:211]
	s_waitcnt_depctr 0xfff
	v_fma_f64 v[216:217], -v[210:211], v[214:215], 1.0
	v_fma_f64 v[214:215], v[214:215], v[216:217], v[214:215]
	s_delay_alu instid0(VALU_DEP_1) | instskip(NEXT) | instid1(VALU_DEP_1)
	v_fma_f64 v[216:217], -v[210:211], v[214:215], 1.0
	v_fma_f64 v[214:215], v[214:215], v[216:217], v[214:215]
	v_div_scale_f64 v[216:217], vcc_lo, 1.0, v[208:209], 1.0
	s_delay_alu instid0(VALU_DEP_1) | instskip(NEXT) | instid1(VALU_DEP_1)
	v_mul_f64 v[218:219], v[216:217], v[214:215]
	v_fma_f64 v[210:211], -v[210:211], v[218:219], v[216:217]
	s_delay_alu instid0(VALU_DEP_1) | instskip(NEXT) | instid1(VALU_DEP_1)
	v_div_fmas_f64 v[210:211], v[210:211], v[214:215], v[218:219]
	v_div_fixup_f64 v[214:215], v[210:211], v[208:209], 1.0
                                        ; implicit-def: $vgpr208_vgpr209
	s_delay_alu instid0(VALU_DEP_1)
	v_mul_f64 v[216:217], v[212:213], v[214:215]
	v_xor_b32_e32 v215, 0x80000000, v215
.LBB103_203:
	s_and_not1_saveexec_b32 s3, s3
	s_cbranch_execz .LBB103_205
; %bb.204:
	v_div_scale_f64 v[212:213], null, v[208:209], v[208:209], v[210:211]
	v_div_scale_f64 v[218:219], vcc_lo, v[210:211], v[208:209], v[210:211]
	s_delay_alu instid0(VALU_DEP_2) | instskip(SKIP_2) | instid1(VALU_DEP_1)
	v_rcp_f64_e32 v[214:215], v[212:213]
	s_waitcnt_depctr 0xfff
	v_fma_f64 v[216:217], -v[212:213], v[214:215], 1.0
	v_fma_f64 v[214:215], v[214:215], v[216:217], v[214:215]
	s_delay_alu instid0(VALU_DEP_1) | instskip(NEXT) | instid1(VALU_DEP_1)
	v_fma_f64 v[216:217], -v[212:213], v[214:215], 1.0
	v_fma_f64 v[214:215], v[214:215], v[216:217], v[214:215]
	s_delay_alu instid0(VALU_DEP_1) | instskip(NEXT) | instid1(VALU_DEP_1)
	v_mul_f64 v[216:217], v[218:219], v[214:215]
	v_fma_f64 v[212:213], -v[212:213], v[216:217], v[218:219]
	s_delay_alu instid0(VALU_DEP_1) | instskip(NEXT) | instid1(VALU_DEP_1)
	v_div_fmas_f64 v[212:213], v[212:213], v[214:215], v[216:217]
	v_div_fixup_f64 v[212:213], v[212:213], v[208:209], v[210:211]
	s_delay_alu instid0(VALU_DEP_1) | instskip(NEXT) | instid1(VALU_DEP_1)
	v_fma_f64 v[208:209], v[210:211], v[212:213], v[208:209]
	v_div_scale_f64 v[210:211], null, v[208:209], v[208:209], 1.0
	s_delay_alu instid0(VALU_DEP_1) | instskip(SKIP_2) | instid1(VALU_DEP_1)
	v_rcp_f64_e32 v[214:215], v[210:211]
	s_waitcnt_depctr 0xfff
	v_fma_f64 v[216:217], -v[210:211], v[214:215], 1.0
	v_fma_f64 v[214:215], v[214:215], v[216:217], v[214:215]
	s_delay_alu instid0(VALU_DEP_1) | instskip(NEXT) | instid1(VALU_DEP_1)
	v_fma_f64 v[216:217], -v[210:211], v[214:215], 1.0
	v_fma_f64 v[214:215], v[214:215], v[216:217], v[214:215]
	v_div_scale_f64 v[216:217], vcc_lo, 1.0, v[208:209], 1.0
	s_delay_alu instid0(VALU_DEP_1) | instskip(NEXT) | instid1(VALU_DEP_1)
	v_mul_f64 v[218:219], v[216:217], v[214:215]
	v_fma_f64 v[210:211], -v[210:211], v[218:219], v[216:217]
	s_delay_alu instid0(VALU_DEP_1) | instskip(NEXT) | instid1(VALU_DEP_1)
	v_div_fmas_f64 v[210:211], v[210:211], v[214:215], v[218:219]
	v_div_fixup_f64 v[216:217], v[210:211], v[208:209], 1.0
	s_delay_alu instid0(VALU_DEP_1)
	v_mul_f64 v[214:215], v[212:213], -v[216:217]
.LBB103_205:
	s_or_b32 exec_lo, exec_lo, s3
	ds_store_2addr_b64 v227, v[216:217], v[214:215] offset1:1
.LBB103_206:
	s_or_b32 exec_lo, exec_lo, s4
	s_waitcnt lgkmcnt(0)
	s_barrier
	buffer_gl0_inv
	ds_load_2addr_b64 v[202:205], v227 offset1:1
	s_mov_b32 s3, exec_lo
	s_waitcnt lgkmcnt(0)
	scratch_store_b128 off, v[202:205], off offset:792 ; 16-byte Folded Spill
	v_cmpx_lt_u32_e32 22, v226
	s_cbranch_execz .LBB103_208
; %bb.207:
	scratch_load_b128 v[202:205], off, off offset:792 ; 16-byte Folded Reload
	ds_load_2addr_b64 v[210:213], v228 offset0:46 offset1:47
	s_waitcnt vmcnt(0)
	v_mul_f64 v[208:209], v[204:205], v[118:119]
	v_mul_f64 v[118:119], v[202:203], v[118:119]
	s_delay_alu instid0(VALU_DEP_2) | instskip(NEXT) | instid1(VALU_DEP_2)
	v_fma_f64 v[208:209], v[202:203], v[116:117], -v[208:209]
	v_fma_f64 v[118:119], v[204:205], v[116:117], v[118:119]
	s_waitcnt lgkmcnt(0)
	s_delay_alu instid0(VALU_DEP_1) | instskip(NEXT) | instid1(VALU_DEP_1)
	v_mul_f64 v[116:117], v[212:213], v[118:119]
	v_fma_f64 v[116:117], v[210:211], v[208:209], -v[116:117]
	v_mul_f64 v[210:211], v[210:211], v[118:119]
	s_delay_alu instid0(VALU_DEP_2) | instskip(NEXT) | instid1(VALU_DEP_2)
	v_add_f64 v[112:113], v[112:113], -v[116:117]
	v_fma_f64 v[210:211], v[212:213], v[208:209], v[210:211]
	s_delay_alu instid0(VALU_DEP_1) | instskip(SKIP_3) | instid1(VALU_DEP_1)
	v_add_f64 v[114:115], v[114:115], -v[210:211]
	ds_load_2addr_b64 v[210:213], v228 offset0:48 offset1:49
	s_waitcnt lgkmcnt(0)
	v_mul_f64 v[116:117], v[212:213], v[118:119]
	v_fma_f64 v[116:117], v[210:211], v[208:209], -v[116:117]
	v_mul_f64 v[210:211], v[210:211], v[118:119]
	s_delay_alu instid0(VALU_DEP_2) | instskip(NEXT) | instid1(VALU_DEP_2)
	v_add_f64 v[108:109], v[108:109], -v[116:117]
	v_fma_f64 v[210:211], v[212:213], v[208:209], v[210:211]
	s_delay_alu instid0(VALU_DEP_1) | instskip(SKIP_3) | instid1(VALU_DEP_1)
	v_add_f64 v[110:111], v[110:111], -v[210:211]
	ds_load_2addr_b64 v[210:213], v228 offset0:50 offset1:51
	s_waitcnt lgkmcnt(0)
	v_mul_f64 v[116:117], v[212:213], v[118:119]
	v_fma_f64 v[116:117], v[210:211], v[208:209], -v[116:117]
	v_mul_f64 v[210:211], v[210:211], v[118:119]
	s_delay_alu instid0(VALU_DEP_2) | instskip(NEXT) | instid1(VALU_DEP_2)
	v_add_f64 v[104:105], v[104:105], -v[116:117]
	v_fma_f64 v[210:211], v[212:213], v[208:209], v[210:211]
	s_delay_alu instid0(VALU_DEP_1) | instskip(SKIP_3) | instid1(VALU_DEP_1)
	v_add_f64 v[106:107], v[106:107], -v[210:211]
	ds_load_2addr_b64 v[210:213], v228 offset0:52 offset1:53
	s_waitcnt lgkmcnt(0)
	v_mul_f64 v[116:117], v[212:213], v[118:119]
	v_fma_f64 v[116:117], v[210:211], v[208:209], -v[116:117]
	v_mul_f64 v[210:211], v[210:211], v[118:119]
	s_delay_alu instid0(VALU_DEP_2) | instskip(NEXT) | instid1(VALU_DEP_2)
	v_add_f64 v[100:101], v[100:101], -v[116:117]
	v_fma_f64 v[210:211], v[212:213], v[208:209], v[210:211]
	s_delay_alu instid0(VALU_DEP_1) | instskip(SKIP_3) | instid1(VALU_DEP_1)
	v_add_f64 v[102:103], v[102:103], -v[210:211]
	ds_load_2addr_b64 v[210:213], v228 offset0:54 offset1:55
	s_waitcnt lgkmcnt(0)
	v_mul_f64 v[116:117], v[212:213], v[118:119]
	v_fma_f64 v[116:117], v[210:211], v[208:209], -v[116:117]
	v_mul_f64 v[210:211], v[210:211], v[118:119]
	s_delay_alu instid0(VALU_DEP_2) | instskip(NEXT) | instid1(VALU_DEP_2)
	v_add_f64 v[96:97], v[96:97], -v[116:117]
	v_fma_f64 v[210:211], v[212:213], v[208:209], v[210:211]
	s_delay_alu instid0(VALU_DEP_1) | instskip(SKIP_3) | instid1(VALU_DEP_1)
	v_add_f64 v[98:99], v[98:99], -v[210:211]
	ds_load_2addr_b64 v[210:213], v228 offset0:56 offset1:57
	s_waitcnt lgkmcnt(0)
	v_mul_f64 v[116:117], v[212:213], v[118:119]
	v_fma_f64 v[116:117], v[210:211], v[208:209], -v[116:117]
	v_mul_f64 v[210:211], v[210:211], v[118:119]
	s_delay_alu instid0(VALU_DEP_2) | instskip(NEXT) | instid1(VALU_DEP_2)
	v_add_f64 v[92:93], v[92:93], -v[116:117]
	v_fma_f64 v[210:211], v[212:213], v[208:209], v[210:211]
	s_delay_alu instid0(VALU_DEP_1) | instskip(SKIP_3) | instid1(VALU_DEP_1)
	v_add_f64 v[94:95], v[94:95], -v[210:211]
	ds_load_2addr_b64 v[210:213], v228 offset0:58 offset1:59
	s_waitcnt lgkmcnt(0)
	v_mul_f64 v[116:117], v[212:213], v[118:119]
	v_fma_f64 v[116:117], v[210:211], v[208:209], -v[116:117]
	v_mul_f64 v[210:211], v[210:211], v[118:119]
	s_delay_alu instid0(VALU_DEP_2) | instskip(NEXT) | instid1(VALU_DEP_2)
	v_add_f64 v[88:89], v[88:89], -v[116:117]
	v_fma_f64 v[210:211], v[212:213], v[208:209], v[210:211]
	s_delay_alu instid0(VALU_DEP_1) | instskip(SKIP_3) | instid1(VALU_DEP_1)
	v_add_f64 v[90:91], v[90:91], -v[210:211]
	ds_load_2addr_b64 v[210:213], v228 offset0:60 offset1:61
	s_waitcnt lgkmcnt(0)
	v_mul_f64 v[116:117], v[212:213], v[118:119]
	v_fma_f64 v[116:117], v[210:211], v[208:209], -v[116:117]
	v_mul_f64 v[210:211], v[210:211], v[118:119]
	s_delay_alu instid0(VALU_DEP_2) | instskip(NEXT) | instid1(VALU_DEP_2)
	v_add_f64 v[84:85], v[84:85], -v[116:117]
	v_fma_f64 v[210:211], v[212:213], v[208:209], v[210:211]
	s_delay_alu instid0(VALU_DEP_1) | instskip(SKIP_3) | instid1(VALU_DEP_1)
	v_add_f64 v[86:87], v[86:87], -v[210:211]
	ds_load_2addr_b64 v[210:213], v228 offset0:62 offset1:63
	s_waitcnt lgkmcnt(0)
	v_mul_f64 v[116:117], v[212:213], v[118:119]
	v_fma_f64 v[116:117], v[210:211], v[208:209], -v[116:117]
	v_mul_f64 v[210:211], v[210:211], v[118:119]
	s_delay_alu instid0(VALU_DEP_2) | instskip(NEXT) | instid1(VALU_DEP_2)
	v_add_f64 v[80:81], v[80:81], -v[116:117]
	v_fma_f64 v[210:211], v[212:213], v[208:209], v[210:211]
	s_delay_alu instid0(VALU_DEP_1) | instskip(SKIP_3) | instid1(VALU_DEP_1)
	v_add_f64 v[82:83], v[82:83], -v[210:211]
	ds_load_2addr_b64 v[210:213], v228 offset0:64 offset1:65
	s_waitcnt lgkmcnt(0)
	v_mul_f64 v[116:117], v[212:213], v[118:119]
	v_fma_f64 v[116:117], v[210:211], v[208:209], -v[116:117]
	v_mul_f64 v[210:211], v[210:211], v[118:119]
	s_delay_alu instid0(VALU_DEP_2) | instskip(NEXT) | instid1(VALU_DEP_2)
	v_add_f64 v[76:77], v[76:77], -v[116:117]
	v_fma_f64 v[210:211], v[212:213], v[208:209], v[210:211]
	s_delay_alu instid0(VALU_DEP_1) | instskip(SKIP_3) | instid1(VALU_DEP_1)
	v_add_f64 v[78:79], v[78:79], -v[210:211]
	ds_load_2addr_b64 v[210:213], v228 offset0:66 offset1:67
	s_waitcnt lgkmcnt(0)
	v_mul_f64 v[116:117], v[212:213], v[118:119]
	v_fma_f64 v[116:117], v[210:211], v[208:209], -v[116:117]
	v_mul_f64 v[210:211], v[210:211], v[118:119]
	s_delay_alu instid0(VALU_DEP_2) | instskip(NEXT) | instid1(VALU_DEP_2)
	v_add_f64 v[72:73], v[72:73], -v[116:117]
	v_fma_f64 v[210:211], v[212:213], v[208:209], v[210:211]
	s_delay_alu instid0(VALU_DEP_1) | instskip(SKIP_3) | instid1(VALU_DEP_1)
	v_add_f64 v[74:75], v[74:75], -v[210:211]
	ds_load_2addr_b64 v[210:213], v228 offset0:68 offset1:69
	s_waitcnt lgkmcnt(0)
	v_mul_f64 v[116:117], v[212:213], v[118:119]
	v_fma_f64 v[116:117], v[210:211], v[208:209], -v[116:117]
	v_mul_f64 v[210:211], v[210:211], v[118:119]
	s_delay_alu instid0(VALU_DEP_2) | instskip(NEXT) | instid1(VALU_DEP_2)
	v_add_f64 v[68:69], v[68:69], -v[116:117]
	v_fma_f64 v[210:211], v[212:213], v[208:209], v[210:211]
	s_delay_alu instid0(VALU_DEP_1) | instskip(SKIP_3) | instid1(VALU_DEP_1)
	v_add_f64 v[70:71], v[70:71], -v[210:211]
	ds_load_2addr_b64 v[210:213], v228 offset0:70 offset1:71
	s_waitcnt lgkmcnt(0)
	v_mul_f64 v[116:117], v[212:213], v[118:119]
	v_fma_f64 v[116:117], v[210:211], v[208:209], -v[116:117]
	v_mul_f64 v[210:211], v[210:211], v[118:119]
	s_delay_alu instid0(VALU_DEP_2) | instskip(NEXT) | instid1(VALU_DEP_2)
	v_add_f64 v[64:65], v[64:65], -v[116:117]
	v_fma_f64 v[210:211], v[212:213], v[208:209], v[210:211]
	s_delay_alu instid0(VALU_DEP_1) | instskip(SKIP_3) | instid1(VALU_DEP_1)
	v_add_f64 v[66:67], v[66:67], -v[210:211]
	ds_load_2addr_b64 v[210:213], v228 offset0:72 offset1:73
	s_waitcnt lgkmcnt(0)
	v_mul_f64 v[116:117], v[212:213], v[118:119]
	v_fma_f64 v[116:117], v[210:211], v[208:209], -v[116:117]
	v_mul_f64 v[210:211], v[210:211], v[118:119]
	s_delay_alu instid0(VALU_DEP_2) | instskip(NEXT) | instid1(VALU_DEP_2)
	v_add_f64 v[60:61], v[60:61], -v[116:117]
	v_fma_f64 v[210:211], v[212:213], v[208:209], v[210:211]
	s_delay_alu instid0(VALU_DEP_1) | instskip(SKIP_3) | instid1(VALU_DEP_1)
	v_add_f64 v[62:63], v[62:63], -v[210:211]
	ds_load_2addr_b64 v[210:213], v228 offset0:74 offset1:75
	s_waitcnt lgkmcnt(0)
	v_mul_f64 v[116:117], v[212:213], v[118:119]
	v_fma_f64 v[116:117], v[210:211], v[208:209], -v[116:117]
	v_mul_f64 v[210:211], v[210:211], v[118:119]
	s_delay_alu instid0(VALU_DEP_2) | instskip(NEXT) | instid1(VALU_DEP_2)
	v_add_f64 v[56:57], v[56:57], -v[116:117]
	v_fma_f64 v[210:211], v[212:213], v[208:209], v[210:211]
	s_delay_alu instid0(VALU_DEP_1) | instskip(SKIP_3) | instid1(VALU_DEP_1)
	v_add_f64 v[58:59], v[58:59], -v[210:211]
	ds_load_2addr_b64 v[210:213], v228 offset0:76 offset1:77
	s_waitcnt lgkmcnt(0)
	v_mul_f64 v[116:117], v[212:213], v[118:119]
	v_fma_f64 v[116:117], v[210:211], v[208:209], -v[116:117]
	v_mul_f64 v[210:211], v[210:211], v[118:119]
	s_delay_alu instid0(VALU_DEP_2) | instskip(NEXT) | instid1(VALU_DEP_2)
	v_add_f64 v[52:53], v[52:53], -v[116:117]
	v_fma_f64 v[210:211], v[212:213], v[208:209], v[210:211]
	s_delay_alu instid0(VALU_DEP_1) | instskip(SKIP_3) | instid1(VALU_DEP_1)
	v_add_f64 v[54:55], v[54:55], -v[210:211]
	ds_load_2addr_b64 v[210:213], v228 offset0:78 offset1:79
	s_waitcnt lgkmcnt(0)
	v_mul_f64 v[116:117], v[212:213], v[118:119]
	v_fma_f64 v[116:117], v[210:211], v[208:209], -v[116:117]
	v_mul_f64 v[210:211], v[210:211], v[118:119]
	s_delay_alu instid0(VALU_DEP_2) | instskip(NEXT) | instid1(VALU_DEP_2)
	v_add_f64 v[48:49], v[48:49], -v[116:117]
	v_fma_f64 v[210:211], v[212:213], v[208:209], v[210:211]
	s_delay_alu instid0(VALU_DEP_1) | instskip(SKIP_3) | instid1(VALU_DEP_1)
	v_add_f64 v[50:51], v[50:51], -v[210:211]
	ds_load_2addr_b64 v[210:213], v228 offset0:80 offset1:81
	s_waitcnt lgkmcnt(0)
	v_mul_f64 v[116:117], v[212:213], v[118:119]
	v_fma_f64 v[116:117], v[210:211], v[208:209], -v[116:117]
	v_mul_f64 v[210:211], v[210:211], v[118:119]
	s_delay_alu instid0(VALU_DEP_2) | instskip(NEXT) | instid1(VALU_DEP_2)
	v_add_f64 v[44:45], v[44:45], -v[116:117]
	v_fma_f64 v[210:211], v[212:213], v[208:209], v[210:211]
	s_delay_alu instid0(VALU_DEP_1) | instskip(SKIP_3) | instid1(VALU_DEP_1)
	v_add_f64 v[46:47], v[46:47], -v[210:211]
	ds_load_2addr_b64 v[210:213], v228 offset0:82 offset1:83
	s_waitcnt lgkmcnt(0)
	v_mul_f64 v[116:117], v[212:213], v[118:119]
	v_fma_f64 v[116:117], v[210:211], v[208:209], -v[116:117]
	v_mul_f64 v[210:211], v[210:211], v[118:119]
	s_delay_alu instid0(VALU_DEP_2) | instskip(NEXT) | instid1(VALU_DEP_2)
	v_add_f64 v[40:41], v[40:41], -v[116:117]
	v_fma_f64 v[210:211], v[212:213], v[208:209], v[210:211]
	s_delay_alu instid0(VALU_DEP_1) | instskip(SKIP_3) | instid1(VALU_DEP_1)
	v_add_f64 v[42:43], v[42:43], -v[210:211]
	ds_load_2addr_b64 v[210:213], v228 offset0:84 offset1:85
	s_waitcnt lgkmcnt(0)
	v_mul_f64 v[116:117], v[212:213], v[118:119]
	v_fma_f64 v[116:117], v[210:211], v[208:209], -v[116:117]
	v_mul_f64 v[210:211], v[210:211], v[118:119]
	s_delay_alu instid0(VALU_DEP_2) | instskip(NEXT) | instid1(VALU_DEP_2)
	v_add_f64 v[36:37], v[36:37], -v[116:117]
	v_fma_f64 v[210:211], v[212:213], v[208:209], v[210:211]
	s_delay_alu instid0(VALU_DEP_1) | instskip(SKIP_3) | instid1(VALU_DEP_1)
	v_add_f64 v[38:39], v[38:39], -v[210:211]
	ds_load_2addr_b64 v[210:213], v228 offset0:86 offset1:87
	s_waitcnt lgkmcnt(0)
	v_mul_f64 v[116:117], v[212:213], v[118:119]
	v_fma_f64 v[116:117], v[210:211], v[208:209], -v[116:117]
	v_mul_f64 v[210:211], v[210:211], v[118:119]
	s_delay_alu instid0(VALU_DEP_2) | instskip(NEXT) | instid1(VALU_DEP_2)
	v_add_f64 v[32:33], v[32:33], -v[116:117]
	v_fma_f64 v[210:211], v[212:213], v[208:209], v[210:211]
	s_delay_alu instid0(VALU_DEP_1) | instskip(SKIP_3) | instid1(VALU_DEP_1)
	v_add_f64 v[34:35], v[34:35], -v[210:211]
	ds_load_2addr_b64 v[210:213], v228 offset0:88 offset1:89
	s_waitcnt lgkmcnt(0)
	v_mul_f64 v[116:117], v[212:213], v[118:119]
	v_fma_f64 v[116:117], v[210:211], v[208:209], -v[116:117]
	v_mul_f64 v[210:211], v[210:211], v[118:119]
	s_delay_alu instid0(VALU_DEP_2) | instskip(NEXT) | instid1(VALU_DEP_2)
	v_add_f64 v[28:29], v[28:29], -v[116:117]
	v_fma_f64 v[210:211], v[212:213], v[208:209], v[210:211]
	s_delay_alu instid0(VALU_DEP_1) | instskip(SKIP_3) | instid1(VALU_DEP_1)
	v_add_f64 v[30:31], v[30:31], -v[210:211]
	ds_load_2addr_b64 v[210:213], v228 offset0:90 offset1:91
	s_waitcnt lgkmcnt(0)
	v_mul_f64 v[116:117], v[212:213], v[118:119]
	v_fma_f64 v[116:117], v[210:211], v[208:209], -v[116:117]
	v_mul_f64 v[210:211], v[210:211], v[118:119]
	s_delay_alu instid0(VALU_DEP_2) | instskip(NEXT) | instid1(VALU_DEP_2)
	v_add_f64 v[24:25], v[24:25], -v[116:117]
	v_fma_f64 v[210:211], v[212:213], v[208:209], v[210:211]
	s_delay_alu instid0(VALU_DEP_1) | instskip(SKIP_3) | instid1(VALU_DEP_1)
	v_add_f64 v[26:27], v[26:27], -v[210:211]
	ds_load_2addr_b64 v[210:213], v228 offset0:92 offset1:93
	s_waitcnt lgkmcnt(0)
	v_mul_f64 v[116:117], v[212:213], v[118:119]
	v_fma_f64 v[116:117], v[210:211], v[208:209], -v[116:117]
	v_mul_f64 v[210:211], v[210:211], v[118:119]
	s_delay_alu instid0(VALU_DEP_2) | instskip(NEXT) | instid1(VALU_DEP_2)
	v_add_f64 v[20:21], v[20:21], -v[116:117]
	v_fma_f64 v[210:211], v[212:213], v[208:209], v[210:211]
	s_delay_alu instid0(VALU_DEP_1) | instskip(SKIP_3) | instid1(VALU_DEP_1)
	v_add_f64 v[22:23], v[22:23], -v[210:211]
	ds_load_2addr_b64 v[210:213], v228 offset0:94 offset1:95
	s_waitcnt lgkmcnt(0)
	v_mul_f64 v[116:117], v[212:213], v[118:119]
	v_fma_f64 v[116:117], v[210:211], v[208:209], -v[116:117]
	v_mul_f64 v[210:211], v[210:211], v[118:119]
	s_delay_alu instid0(VALU_DEP_2) | instskip(NEXT) | instid1(VALU_DEP_2)
	v_add_f64 v[16:17], v[16:17], -v[116:117]
	v_fma_f64 v[210:211], v[212:213], v[208:209], v[210:211]
	s_delay_alu instid0(VALU_DEP_1) | instskip(SKIP_3) | instid1(VALU_DEP_1)
	v_add_f64 v[18:19], v[18:19], -v[210:211]
	ds_load_2addr_b64 v[210:213], v228 offset0:96 offset1:97
	s_waitcnt lgkmcnt(0)
	v_mul_f64 v[116:117], v[212:213], v[118:119]
	v_fma_f64 v[116:117], v[210:211], v[208:209], -v[116:117]
	v_mul_f64 v[210:211], v[210:211], v[118:119]
	s_delay_alu instid0(VALU_DEP_2) | instskip(NEXT) | instid1(VALU_DEP_2)
	v_add_f64 v[12:13], v[12:13], -v[116:117]
	v_fma_f64 v[210:211], v[212:213], v[208:209], v[210:211]
	s_delay_alu instid0(VALU_DEP_1) | instskip(SKIP_3) | instid1(VALU_DEP_1)
	v_add_f64 v[14:15], v[14:15], -v[210:211]
	ds_load_2addr_b64 v[210:213], v228 offset0:98 offset1:99
	s_waitcnt lgkmcnt(0)
	v_mul_f64 v[116:117], v[212:213], v[118:119]
	v_fma_f64 v[116:117], v[210:211], v[208:209], -v[116:117]
	v_mul_f64 v[210:211], v[210:211], v[118:119]
	s_delay_alu instid0(VALU_DEP_2) | instskip(NEXT) | instid1(VALU_DEP_2)
	v_add_f64 v[8:9], v[8:9], -v[116:117]
	v_fma_f64 v[210:211], v[212:213], v[208:209], v[210:211]
	s_delay_alu instid0(VALU_DEP_1) | instskip(SKIP_3) | instid1(VALU_DEP_1)
	v_add_f64 v[10:11], v[10:11], -v[210:211]
	ds_load_2addr_b64 v[210:213], v228 offset0:100 offset1:101
	s_waitcnt lgkmcnt(0)
	v_mul_f64 v[116:117], v[212:213], v[118:119]
	v_fma_f64 v[116:117], v[210:211], v[208:209], -v[116:117]
	v_mul_f64 v[210:211], v[210:211], v[118:119]
	s_delay_alu instid0(VALU_DEP_2) | instskip(NEXT) | instid1(VALU_DEP_2)
	v_add_f64 v[4:5], v[4:5], -v[116:117]
	v_fma_f64 v[210:211], v[212:213], v[208:209], v[210:211]
	s_delay_alu instid0(VALU_DEP_1) | instskip(SKIP_3) | instid1(VALU_DEP_1)
	v_add_f64 v[6:7], v[6:7], -v[210:211]
	ds_load_2addr_b64 v[210:213], v228 offset0:102 offset1:103
	s_waitcnt lgkmcnt(0)
	v_mul_f64 v[116:117], v[212:213], v[118:119]
	v_fma_f64 v[116:117], v[210:211], v[208:209], -v[116:117]
	v_mul_f64 v[210:211], v[210:211], v[118:119]
	s_delay_alu instid0(VALU_DEP_2) | instskip(NEXT) | instid1(VALU_DEP_2)
	v_add_f64 v[0:1], v[0:1], -v[116:117]
	v_fma_f64 v[210:211], v[212:213], v[208:209], v[210:211]
	v_dual_mov_b32 v116, v208 :: v_dual_mov_b32 v117, v209
	s_delay_alu instid0(VALU_DEP_2)
	v_add_f64 v[2:3], v[2:3], -v[210:211]
.LBB103_208:
	s_or_b32 exec_lo, exec_lo, s3
	s_delay_alu instid0(SALU_CYCLE_1)
	s_mov_b32 s4, exec_lo
	s_waitcnt_vscnt null, 0x0
	s_barrier
	buffer_gl0_inv
	v_cmpx_eq_u32_e32 23, v226
	s_cbranch_execz .LBB103_215
; %bb.209:
	ds_store_2addr_b64 v227, v[112:113], v[114:115] offset1:1
	ds_store_2addr_b64 v228, v[108:109], v[110:111] offset0:48 offset1:49
	ds_store_2addr_b64 v228, v[104:105], v[106:107] offset0:50 offset1:51
	;; [unrolled: 1-line block ×28, first 2 shown]
	ds_load_2addr_b64 v[208:211], v227 offset1:1
	s_waitcnt lgkmcnt(0)
	v_cmp_neq_f64_e32 vcc_lo, 0, v[208:209]
	v_cmp_neq_f64_e64 s3, 0, v[210:211]
	s_delay_alu instid0(VALU_DEP_1) | instskip(NEXT) | instid1(SALU_CYCLE_1)
	s_or_b32 s3, vcc_lo, s3
	s_and_b32 exec_lo, exec_lo, s3
	s_cbranch_execz .LBB103_215
; %bb.210:
	v_cmp_gt_f64_e32 vcc_lo, 0, v[208:209]
	v_xor_b32_e32 v204, 0x80000000, v209
	s_mov_b32 s3, exec_lo
                                        ; implicit-def: $vgpr216_vgpr217
	s_delay_alu instid0(VALU_DEP_1) | instskip(SKIP_3) | instid1(VALU_DEP_1)
	v_cndmask_b32_e32 v213, v209, v204, vcc_lo
	v_cndmask_b32_e32 v212, v208, v208, vcc_lo
	v_cmp_gt_f64_e32 vcc_lo, 0, v[210:211]
	v_xor_b32_e32 v204, 0x80000000, v211
	v_dual_cndmask_b32 v214, v210, v210 :: v_dual_cndmask_b32 v215, v211, v204
	s_delay_alu instid0(VALU_DEP_1)
	v_cmpx_ngt_f64_e32 v[212:213], v[214:215]
	s_xor_b32 s3, exec_lo, s3
                                        ; implicit-def: $vgpr212_vgpr213_vgpr214_vgpr215
	s_cbranch_execz .LBB103_212
; %bb.211:
	v_div_scale_f64 v[212:213], null, v[210:211], v[210:211], v[208:209]
	v_div_scale_f64 v[218:219], vcc_lo, v[208:209], v[210:211], v[208:209]
	s_delay_alu instid0(VALU_DEP_2) | instskip(SKIP_2) | instid1(VALU_DEP_1)
	v_rcp_f64_e32 v[214:215], v[212:213]
	s_waitcnt_depctr 0xfff
	v_fma_f64 v[216:217], -v[212:213], v[214:215], 1.0
	v_fma_f64 v[214:215], v[214:215], v[216:217], v[214:215]
	s_delay_alu instid0(VALU_DEP_1) | instskip(NEXT) | instid1(VALU_DEP_1)
	v_fma_f64 v[216:217], -v[212:213], v[214:215], 1.0
	v_fma_f64 v[214:215], v[214:215], v[216:217], v[214:215]
	s_delay_alu instid0(VALU_DEP_1) | instskip(NEXT) | instid1(VALU_DEP_1)
	v_mul_f64 v[216:217], v[218:219], v[214:215]
	v_fma_f64 v[212:213], -v[212:213], v[216:217], v[218:219]
	s_delay_alu instid0(VALU_DEP_1) | instskip(NEXT) | instid1(VALU_DEP_1)
	v_div_fmas_f64 v[212:213], v[212:213], v[214:215], v[216:217]
	v_div_fixup_f64 v[212:213], v[212:213], v[210:211], v[208:209]
	s_delay_alu instid0(VALU_DEP_1) | instskip(NEXT) | instid1(VALU_DEP_1)
	v_fma_f64 v[208:209], v[208:209], v[212:213], v[210:211]
	v_div_scale_f64 v[210:211], null, v[208:209], v[208:209], 1.0
	s_delay_alu instid0(VALU_DEP_1) | instskip(SKIP_2) | instid1(VALU_DEP_1)
	v_rcp_f64_e32 v[214:215], v[210:211]
	s_waitcnt_depctr 0xfff
	v_fma_f64 v[216:217], -v[210:211], v[214:215], 1.0
	v_fma_f64 v[214:215], v[214:215], v[216:217], v[214:215]
	s_delay_alu instid0(VALU_DEP_1) | instskip(NEXT) | instid1(VALU_DEP_1)
	v_fma_f64 v[216:217], -v[210:211], v[214:215], 1.0
	v_fma_f64 v[214:215], v[214:215], v[216:217], v[214:215]
	v_div_scale_f64 v[216:217], vcc_lo, 1.0, v[208:209], 1.0
	s_delay_alu instid0(VALU_DEP_1) | instskip(NEXT) | instid1(VALU_DEP_1)
	v_mul_f64 v[218:219], v[216:217], v[214:215]
	v_fma_f64 v[210:211], -v[210:211], v[218:219], v[216:217]
	s_delay_alu instid0(VALU_DEP_1) | instskip(NEXT) | instid1(VALU_DEP_1)
	v_div_fmas_f64 v[210:211], v[210:211], v[214:215], v[218:219]
	v_div_fixup_f64 v[214:215], v[210:211], v[208:209], 1.0
                                        ; implicit-def: $vgpr208_vgpr209
	s_delay_alu instid0(VALU_DEP_1)
	v_mul_f64 v[216:217], v[212:213], v[214:215]
	v_xor_b32_e32 v215, 0x80000000, v215
.LBB103_212:
	s_and_not1_saveexec_b32 s3, s3
	s_cbranch_execz .LBB103_214
; %bb.213:
	v_div_scale_f64 v[212:213], null, v[208:209], v[208:209], v[210:211]
	v_div_scale_f64 v[218:219], vcc_lo, v[210:211], v[208:209], v[210:211]
	s_delay_alu instid0(VALU_DEP_2) | instskip(SKIP_2) | instid1(VALU_DEP_1)
	v_rcp_f64_e32 v[214:215], v[212:213]
	s_waitcnt_depctr 0xfff
	v_fma_f64 v[216:217], -v[212:213], v[214:215], 1.0
	v_fma_f64 v[214:215], v[214:215], v[216:217], v[214:215]
	s_delay_alu instid0(VALU_DEP_1) | instskip(NEXT) | instid1(VALU_DEP_1)
	v_fma_f64 v[216:217], -v[212:213], v[214:215], 1.0
	v_fma_f64 v[214:215], v[214:215], v[216:217], v[214:215]
	s_delay_alu instid0(VALU_DEP_1) | instskip(NEXT) | instid1(VALU_DEP_1)
	v_mul_f64 v[216:217], v[218:219], v[214:215]
	v_fma_f64 v[212:213], -v[212:213], v[216:217], v[218:219]
	s_delay_alu instid0(VALU_DEP_1) | instskip(NEXT) | instid1(VALU_DEP_1)
	v_div_fmas_f64 v[212:213], v[212:213], v[214:215], v[216:217]
	v_div_fixup_f64 v[212:213], v[212:213], v[208:209], v[210:211]
	s_delay_alu instid0(VALU_DEP_1) | instskip(NEXT) | instid1(VALU_DEP_1)
	v_fma_f64 v[208:209], v[210:211], v[212:213], v[208:209]
	v_div_scale_f64 v[210:211], null, v[208:209], v[208:209], 1.0
	s_delay_alu instid0(VALU_DEP_1) | instskip(SKIP_2) | instid1(VALU_DEP_1)
	v_rcp_f64_e32 v[214:215], v[210:211]
	s_waitcnt_depctr 0xfff
	v_fma_f64 v[216:217], -v[210:211], v[214:215], 1.0
	v_fma_f64 v[214:215], v[214:215], v[216:217], v[214:215]
	s_delay_alu instid0(VALU_DEP_1) | instskip(NEXT) | instid1(VALU_DEP_1)
	v_fma_f64 v[216:217], -v[210:211], v[214:215], 1.0
	v_fma_f64 v[214:215], v[214:215], v[216:217], v[214:215]
	v_div_scale_f64 v[216:217], vcc_lo, 1.0, v[208:209], 1.0
	s_delay_alu instid0(VALU_DEP_1) | instskip(NEXT) | instid1(VALU_DEP_1)
	v_mul_f64 v[218:219], v[216:217], v[214:215]
	v_fma_f64 v[210:211], -v[210:211], v[218:219], v[216:217]
	s_delay_alu instid0(VALU_DEP_1) | instskip(NEXT) | instid1(VALU_DEP_1)
	v_div_fmas_f64 v[210:211], v[210:211], v[214:215], v[218:219]
	v_div_fixup_f64 v[216:217], v[210:211], v[208:209], 1.0
	s_delay_alu instid0(VALU_DEP_1)
	v_mul_f64 v[214:215], v[212:213], -v[216:217]
.LBB103_214:
	s_or_b32 exec_lo, exec_lo, s3
	ds_store_2addr_b64 v227, v[216:217], v[214:215] offset1:1
.LBB103_215:
	s_or_b32 exec_lo, exec_lo, s4
	s_waitcnt lgkmcnt(0)
	s_barrier
	buffer_gl0_inv
	ds_load_2addr_b64 v[202:205], v227 offset1:1
	s_mov_b32 s3, exec_lo
	s_waitcnt lgkmcnt(0)
	scratch_store_b128 off, v[202:205], off offset:808 ; 16-byte Folded Spill
	v_cmpx_lt_u32_e32 23, v226
	s_cbranch_execz .LBB103_217
; %bb.216:
	scratch_load_b128 v[202:205], off, off offset:808 ; 16-byte Folded Reload
	ds_load_2addr_b64 v[210:213], v228 offset0:48 offset1:49
	s_waitcnt vmcnt(0)
	v_mul_f64 v[208:209], v[204:205], v[114:115]
	v_mul_f64 v[114:115], v[202:203], v[114:115]
	s_delay_alu instid0(VALU_DEP_2) | instskip(NEXT) | instid1(VALU_DEP_2)
	v_fma_f64 v[208:209], v[202:203], v[112:113], -v[208:209]
	v_fma_f64 v[114:115], v[204:205], v[112:113], v[114:115]
	s_waitcnt lgkmcnt(0)
	s_delay_alu instid0(VALU_DEP_1) | instskip(NEXT) | instid1(VALU_DEP_1)
	v_mul_f64 v[112:113], v[212:213], v[114:115]
	v_fma_f64 v[112:113], v[210:211], v[208:209], -v[112:113]
	v_mul_f64 v[210:211], v[210:211], v[114:115]
	s_delay_alu instid0(VALU_DEP_2) | instskip(NEXT) | instid1(VALU_DEP_2)
	v_add_f64 v[108:109], v[108:109], -v[112:113]
	v_fma_f64 v[210:211], v[212:213], v[208:209], v[210:211]
	s_delay_alu instid0(VALU_DEP_1) | instskip(SKIP_3) | instid1(VALU_DEP_1)
	v_add_f64 v[110:111], v[110:111], -v[210:211]
	ds_load_2addr_b64 v[210:213], v228 offset0:50 offset1:51
	s_waitcnt lgkmcnt(0)
	v_mul_f64 v[112:113], v[212:213], v[114:115]
	v_fma_f64 v[112:113], v[210:211], v[208:209], -v[112:113]
	v_mul_f64 v[210:211], v[210:211], v[114:115]
	s_delay_alu instid0(VALU_DEP_2) | instskip(NEXT) | instid1(VALU_DEP_2)
	v_add_f64 v[104:105], v[104:105], -v[112:113]
	v_fma_f64 v[210:211], v[212:213], v[208:209], v[210:211]
	s_delay_alu instid0(VALU_DEP_1) | instskip(SKIP_3) | instid1(VALU_DEP_1)
	v_add_f64 v[106:107], v[106:107], -v[210:211]
	ds_load_2addr_b64 v[210:213], v228 offset0:52 offset1:53
	s_waitcnt lgkmcnt(0)
	;; [unrolled: 10-line block ×27, first 2 shown]
	v_mul_f64 v[112:113], v[212:213], v[114:115]
	v_fma_f64 v[112:113], v[210:211], v[208:209], -v[112:113]
	v_mul_f64 v[210:211], v[210:211], v[114:115]
	s_delay_alu instid0(VALU_DEP_2) | instskip(NEXT) | instid1(VALU_DEP_2)
	v_add_f64 v[0:1], v[0:1], -v[112:113]
	v_fma_f64 v[210:211], v[212:213], v[208:209], v[210:211]
	v_dual_mov_b32 v112, v208 :: v_dual_mov_b32 v113, v209
	s_delay_alu instid0(VALU_DEP_2)
	v_add_f64 v[2:3], v[2:3], -v[210:211]
.LBB103_217:
	s_or_b32 exec_lo, exec_lo, s3
	s_delay_alu instid0(SALU_CYCLE_1)
	s_mov_b32 s4, exec_lo
	s_waitcnt_vscnt null, 0x0
	s_barrier
	buffer_gl0_inv
	v_cmpx_eq_u32_e32 24, v226
	s_cbranch_execz .LBB103_224
; %bb.218:
	ds_store_2addr_b64 v227, v[108:109], v[110:111] offset1:1
	ds_store_2addr_b64 v228, v[104:105], v[106:107] offset0:50 offset1:51
	ds_store_2addr_b64 v228, v[100:101], v[102:103] offset0:52 offset1:53
	;; [unrolled: 1-line block ×27, first 2 shown]
	ds_load_2addr_b64 v[208:211], v227 offset1:1
	s_waitcnt lgkmcnt(0)
	v_cmp_neq_f64_e32 vcc_lo, 0, v[208:209]
	v_cmp_neq_f64_e64 s3, 0, v[210:211]
	s_delay_alu instid0(VALU_DEP_1) | instskip(NEXT) | instid1(SALU_CYCLE_1)
	s_or_b32 s3, vcc_lo, s3
	s_and_b32 exec_lo, exec_lo, s3
	s_cbranch_execz .LBB103_224
; %bb.219:
	v_cmp_gt_f64_e32 vcc_lo, 0, v[208:209]
	v_xor_b32_e32 v204, 0x80000000, v209
	s_mov_b32 s3, exec_lo
                                        ; implicit-def: $vgpr216_vgpr217
	s_delay_alu instid0(VALU_DEP_1) | instskip(SKIP_3) | instid1(VALU_DEP_1)
	v_cndmask_b32_e32 v213, v209, v204, vcc_lo
	v_cndmask_b32_e32 v212, v208, v208, vcc_lo
	v_cmp_gt_f64_e32 vcc_lo, 0, v[210:211]
	v_xor_b32_e32 v204, 0x80000000, v211
	v_dual_cndmask_b32 v214, v210, v210 :: v_dual_cndmask_b32 v215, v211, v204
	s_delay_alu instid0(VALU_DEP_1)
	v_cmpx_ngt_f64_e32 v[212:213], v[214:215]
	s_xor_b32 s3, exec_lo, s3
                                        ; implicit-def: $vgpr212_vgpr213_vgpr214_vgpr215
	s_cbranch_execz .LBB103_221
; %bb.220:
	v_div_scale_f64 v[212:213], null, v[210:211], v[210:211], v[208:209]
	v_div_scale_f64 v[218:219], vcc_lo, v[208:209], v[210:211], v[208:209]
	s_delay_alu instid0(VALU_DEP_2) | instskip(SKIP_2) | instid1(VALU_DEP_1)
	v_rcp_f64_e32 v[214:215], v[212:213]
	s_waitcnt_depctr 0xfff
	v_fma_f64 v[216:217], -v[212:213], v[214:215], 1.0
	v_fma_f64 v[214:215], v[214:215], v[216:217], v[214:215]
	s_delay_alu instid0(VALU_DEP_1) | instskip(NEXT) | instid1(VALU_DEP_1)
	v_fma_f64 v[216:217], -v[212:213], v[214:215], 1.0
	v_fma_f64 v[214:215], v[214:215], v[216:217], v[214:215]
	s_delay_alu instid0(VALU_DEP_1) | instskip(NEXT) | instid1(VALU_DEP_1)
	v_mul_f64 v[216:217], v[218:219], v[214:215]
	v_fma_f64 v[212:213], -v[212:213], v[216:217], v[218:219]
	s_delay_alu instid0(VALU_DEP_1) | instskip(NEXT) | instid1(VALU_DEP_1)
	v_div_fmas_f64 v[212:213], v[212:213], v[214:215], v[216:217]
	v_div_fixup_f64 v[212:213], v[212:213], v[210:211], v[208:209]
	s_delay_alu instid0(VALU_DEP_1) | instskip(NEXT) | instid1(VALU_DEP_1)
	v_fma_f64 v[208:209], v[208:209], v[212:213], v[210:211]
	v_div_scale_f64 v[210:211], null, v[208:209], v[208:209], 1.0
	s_delay_alu instid0(VALU_DEP_1) | instskip(SKIP_2) | instid1(VALU_DEP_1)
	v_rcp_f64_e32 v[214:215], v[210:211]
	s_waitcnt_depctr 0xfff
	v_fma_f64 v[216:217], -v[210:211], v[214:215], 1.0
	v_fma_f64 v[214:215], v[214:215], v[216:217], v[214:215]
	s_delay_alu instid0(VALU_DEP_1) | instskip(NEXT) | instid1(VALU_DEP_1)
	v_fma_f64 v[216:217], -v[210:211], v[214:215], 1.0
	v_fma_f64 v[214:215], v[214:215], v[216:217], v[214:215]
	v_div_scale_f64 v[216:217], vcc_lo, 1.0, v[208:209], 1.0
	s_delay_alu instid0(VALU_DEP_1) | instskip(NEXT) | instid1(VALU_DEP_1)
	v_mul_f64 v[218:219], v[216:217], v[214:215]
	v_fma_f64 v[210:211], -v[210:211], v[218:219], v[216:217]
	s_delay_alu instid0(VALU_DEP_1) | instskip(NEXT) | instid1(VALU_DEP_1)
	v_div_fmas_f64 v[210:211], v[210:211], v[214:215], v[218:219]
	v_div_fixup_f64 v[214:215], v[210:211], v[208:209], 1.0
                                        ; implicit-def: $vgpr208_vgpr209
	s_delay_alu instid0(VALU_DEP_1)
	v_mul_f64 v[216:217], v[212:213], v[214:215]
	v_xor_b32_e32 v215, 0x80000000, v215
.LBB103_221:
	s_and_not1_saveexec_b32 s3, s3
	s_cbranch_execz .LBB103_223
; %bb.222:
	v_div_scale_f64 v[212:213], null, v[208:209], v[208:209], v[210:211]
	v_div_scale_f64 v[218:219], vcc_lo, v[210:211], v[208:209], v[210:211]
	s_delay_alu instid0(VALU_DEP_2) | instskip(SKIP_2) | instid1(VALU_DEP_1)
	v_rcp_f64_e32 v[214:215], v[212:213]
	s_waitcnt_depctr 0xfff
	v_fma_f64 v[216:217], -v[212:213], v[214:215], 1.0
	v_fma_f64 v[214:215], v[214:215], v[216:217], v[214:215]
	s_delay_alu instid0(VALU_DEP_1) | instskip(NEXT) | instid1(VALU_DEP_1)
	v_fma_f64 v[216:217], -v[212:213], v[214:215], 1.0
	v_fma_f64 v[214:215], v[214:215], v[216:217], v[214:215]
	s_delay_alu instid0(VALU_DEP_1) | instskip(NEXT) | instid1(VALU_DEP_1)
	v_mul_f64 v[216:217], v[218:219], v[214:215]
	v_fma_f64 v[212:213], -v[212:213], v[216:217], v[218:219]
	s_delay_alu instid0(VALU_DEP_1) | instskip(NEXT) | instid1(VALU_DEP_1)
	v_div_fmas_f64 v[212:213], v[212:213], v[214:215], v[216:217]
	v_div_fixup_f64 v[212:213], v[212:213], v[208:209], v[210:211]
	s_delay_alu instid0(VALU_DEP_1) | instskip(NEXT) | instid1(VALU_DEP_1)
	v_fma_f64 v[208:209], v[210:211], v[212:213], v[208:209]
	v_div_scale_f64 v[210:211], null, v[208:209], v[208:209], 1.0
	s_delay_alu instid0(VALU_DEP_1) | instskip(SKIP_2) | instid1(VALU_DEP_1)
	v_rcp_f64_e32 v[214:215], v[210:211]
	s_waitcnt_depctr 0xfff
	v_fma_f64 v[216:217], -v[210:211], v[214:215], 1.0
	v_fma_f64 v[214:215], v[214:215], v[216:217], v[214:215]
	s_delay_alu instid0(VALU_DEP_1) | instskip(NEXT) | instid1(VALU_DEP_1)
	v_fma_f64 v[216:217], -v[210:211], v[214:215], 1.0
	v_fma_f64 v[214:215], v[214:215], v[216:217], v[214:215]
	v_div_scale_f64 v[216:217], vcc_lo, 1.0, v[208:209], 1.0
	s_delay_alu instid0(VALU_DEP_1) | instskip(NEXT) | instid1(VALU_DEP_1)
	v_mul_f64 v[218:219], v[216:217], v[214:215]
	v_fma_f64 v[210:211], -v[210:211], v[218:219], v[216:217]
	s_delay_alu instid0(VALU_DEP_1) | instskip(NEXT) | instid1(VALU_DEP_1)
	v_div_fmas_f64 v[210:211], v[210:211], v[214:215], v[218:219]
	v_div_fixup_f64 v[216:217], v[210:211], v[208:209], 1.0
	s_delay_alu instid0(VALU_DEP_1)
	v_mul_f64 v[214:215], v[212:213], -v[216:217]
.LBB103_223:
	s_or_b32 exec_lo, exec_lo, s3
	ds_store_2addr_b64 v227, v[216:217], v[214:215] offset1:1
.LBB103_224:
	s_or_b32 exec_lo, exec_lo, s4
	s_waitcnt lgkmcnt(0)
	s_barrier
	buffer_gl0_inv
	ds_load_2addr_b64 v[202:205], v227 offset1:1
	s_mov_b32 s3, exec_lo
	s_waitcnt lgkmcnt(0)
	scratch_store_b128 off, v[202:205], off offset:824 ; 16-byte Folded Spill
	v_cmpx_lt_u32_e32 24, v226
	s_cbranch_execz .LBB103_226
; %bb.225:
	scratch_load_b128 v[202:205], off, off offset:824 ; 16-byte Folded Reload
	ds_load_2addr_b64 v[210:213], v228 offset0:50 offset1:51
	s_waitcnt vmcnt(0)
	v_mul_f64 v[208:209], v[204:205], v[110:111]
	v_mul_f64 v[110:111], v[202:203], v[110:111]
	s_delay_alu instid0(VALU_DEP_2) | instskip(NEXT) | instid1(VALU_DEP_2)
	v_fma_f64 v[208:209], v[202:203], v[108:109], -v[208:209]
	v_fma_f64 v[110:111], v[204:205], v[108:109], v[110:111]
	s_waitcnt lgkmcnt(0)
	s_delay_alu instid0(VALU_DEP_1) | instskip(NEXT) | instid1(VALU_DEP_1)
	v_mul_f64 v[108:109], v[212:213], v[110:111]
	v_fma_f64 v[108:109], v[210:211], v[208:209], -v[108:109]
	v_mul_f64 v[210:211], v[210:211], v[110:111]
	s_delay_alu instid0(VALU_DEP_2) | instskip(NEXT) | instid1(VALU_DEP_2)
	v_add_f64 v[104:105], v[104:105], -v[108:109]
	v_fma_f64 v[210:211], v[212:213], v[208:209], v[210:211]
	s_delay_alu instid0(VALU_DEP_1) | instskip(SKIP_3) | instid1(VALU_DEP_1)
	v_add_f64 v[106:107], v[106:107], -v[210:211]
	ds_load_2addr_b64 v[210:213], v228 offset0:52 offset1:53
	s_waitcnt lgkmcnt(0)
	v_mul_f64 v[108:109], v[212:213], v[110:111]
	v_fma_f64 v[108:109], v[210:211], v[208:209], -v[108:109]
	v_mul_f64 v[210:211], v[210:211], v[110:111]
	s_delay_alu instid0(VALU_DEP_2) | instskip(NEXT) | instid1(VALU_DEP_2)
	v_add_f64 v[100:101], v[100:101], -v[108:109]
	v_fma_f64 v[210:211], v[212:213], v[208:209], v[210:211]
	s_delay_alu instid0(VALU_DEP_1) | instskip(SKIP_3) | instid1(VALU_DEP_1)
	v_add_f64 v[102:103], v[102:103], -v[210:211]
	ds_load_2addr_b64 v[210:213], v228 offset0:54 offset1:55
	s_waitcnt lgkmcnt(0)
	;; [unrolled: 10-line block ×26, first 2 shown]
	v_mul_f64 v[108:109], v[212:213], v[110:111]
	v_fma_f64 v[108:109], v[210:211], v[208:209], -v[108:109]
	v_mul_f64 v[210:211], v[210:211], v[110:111]
	s_delay_alu instid0(VALU_DEP_2) | instskip(NEXT) | instid1(VALU_DEP_2)
	v_add_f64 v[0:1], v[0:1], -v[108:109]
	v_fma_f64 v[210:211], v[212:213], v[208:209], v[210:211]
	v_dual_mov_b32 v108, v208 :: v_dual_mov_b32 v109, v209
	s_delay_alu instid0(VALU_DEP_2)
	v_add_f64 v[2:3], v[2:3], -v[210:211]
.LBB103_226:
	s_or_b32 exec_lo, exec_lo, s3
	s_delay_alu instid0(SALU_CYCLE_1)
	s_mov_b32 s4, exec_lo
	s_waitcnt_vscnt null, 0x0
	s_barrier
	buffer_gl0_inv
	v_cmpx_eq_u32_e32 25, v226
	s_cbranch_execz .LBB103_233
; %bb.227:
	ds_store_2addr_b64 v227, v[104:105], v[106:107] offset1:1
	ds_store_2addr_b64 v228, v[100:101], v[102:103] offset0:52 offset1:53
	ds_store_2addr_b64 v228, v[96:97], v[98:99] offset0:54 offset1:55
	;; [unrolled: 1-line block ×26, first 2 shown]
	ds_load_2addr_b64 v[208:211], v227 offset1:1
	s_waitcnt lgkmcnt(0)
	v_cmp_neq_f64_e32 vcc_lo, 0, v[208:209]
	v_cmp_neq_f64_e64 s3, 0, v[210:211]
	s_delay_alu instid0(VALU_DEP_1) | instskip(NEXT) | instid1(SALU_CYCLE_1)
	s_or_b32 s3, vcc_lo, s3
	s_and_b32 exec_lo, exec_lo, s3
	s_cbranch_execz .LBB103_233
; %bb.228:
	v_cmp_gt_f64_e32 vcc_lo, 0, v[208:209]
	v_xor_b32_e32 v204, 0x80000000, v209
	s_mov_b32 s3, exec_lo
                                        ; implicit-def: $vgpr216_vgpr217
	s_delay_alu instid0(VALU_DEP_1) | instskip(SKIP_3) | instid1(VALU_DEP_1)
	v_cndmask_b32_e32 v213, v209, v204, vcc_lo
	v_cndmask_b32_e32 v212, v208, v208, vcc_lo
	v_cmp_gt_f64_e32 vcc_lo, 0, v[210:211]
	v_xor_b32_e32 v204, 0x80000000, v211
	v_dual_cndmask_b32 v214, v210, v210 :: v_dual_cndmask_b32 v215, v211, v204
	s_delay_alu instid0(VALU_DEP_1)
	v_cmpx_ngt_f64_e32 v[212:213], v[214:215]
	s_xor_b32 s3, exec_lo, s3
                                        ; implicit-def: $vgpr212_vgpr213_vgpr214_vgpr215
	s_cbranch_execz .LBB103_230
; %bb.229:
	v_div_scale_f64 v[212:213], null, v[210:211], v[210:211], v[208:209]
	v_div_scale_f64 v[218:219], vcc_lo, v[208:209], v[210:211], v[208:209]
	s_delay_alu instid0(VALU_DEP_2) | instskip(SKIP_2) | instid1(VALU_DEP_1)
	v_rcp_f64_e32 v[214:215], v[212:213]
	s_waitcnt_depctr 0xfff
	v_fma_f64 v[216:217], -v[212:213], v[214:215], 1.0
	v_fma_f64 v[214:215], v[214:215], v[216:217], v[214:215]
	s_delay_alu instid0(VALU_DEP_1) | instskip(NEXT) | instid1(VALU_DEP_1)
	v_fma_f64 v[216:217], -v[212:213], v[214:215], 1.0
	v_fma_f64 v[214:215], v[214:215], v[216:217], v[214:215]
	s_delay_alu instid0(VALU_DEP_1) | instskip(NEXT) | instid1(VALU_DEP_1)
	v_mul_f64 v[216:217], v[218:219], v[214:215]
	v_fma_f64 v[212:213], -v[212:213], v[216:217], v[218:219]
	s_delay_alu instid0(VALU_DEP_1) | instskip(NEXT) | instid1(VALU_DEP_1)
	v_div_fmas_f64 v[212:213], v[212:213], v[214:215], v[216:217]
	v_div_fixup_f64 v[212:213], v[212:213], v[210:211], v[208:209]
	s_delay_alu instid0(VALU_DEP_1) | instskip(NEXT) | instid1(VALU_DEP_1)
	v_fma_f64 v[208:209], v[208:209], v[212:213], v[210:211]
	v_div_scale_f64 v[210:211], null, v[208:209], v[208:209], 1.0
	s_delay_alu instid0(VALU_DEP_1) | instskip(SKIP_2) | instid1(VALU_DEP_1)
	v_rcp_f64_e32 v[214:215], v[210:211]
	s_waitcnt_depctr 0xfff
	v_fma_f64 v[216:217], -v[210:211], v[214:215], 1.0
	v_fma_f64 v[214:215], v[214:215], v[216:217], v[214:215]
	s_delay_alu instid0(VALU_DEP_1) | instskip(NEXT) | instid1(VALU_DEP_1)
	v_fma_f64 v[216:217], -v[210:211], v[214:215], 1.0
	v_fma_f64 v[214:215], v[214:215], v[216:217], v[214:215]
	v_div_scale_f64 v[216:217], vcc_lo, 1.0, v[208:209], 1.0
	s_delay_alu instid0(VALU_DEP_1) | instskip(NEXT) | instid1(VALU_DEP_1)
	v_mul_f64 v[218:219], v[216:217], v[214:215]
	v_fma_f64 v[210:211], -v[210:211], v[218:219], v[216:217]
	s_delay_alu instid0(VALU_DEP_1) | instskip(NEXT) | instid1(VALU_DEP_1)
	v_div_fmas_f64 v[210:211], v[210:211], v[214:215], v[218:219]
	v_div_fixup_f64 v[214:215], v[210:211], v[208:209], 1.0
                                        ; implicit-def: $vgpr208_vgpr209
	s_delay_alu instid0(VALU_DEP_1)
	v_mul_f64 v[216:217], v[212:213], v[214:215]
	v_xor_b32_e32 v215, 0x80000000, v215
.LBB103_230:
	s_and_not1_saveexec_b32 s3, s3
	s_cbranch_execz .LBB103_232
; %bb.231:
	v_div_scale_f64 v[212:213], null, v[208:209], v[208:209], v[210:211]
	v_div_scale_f64 v[218:219], vcc_lo, v[210:211], v[208:209], v[210:211]
	s_delay_alu instid0(VALU_DEP_2) | instskip(SKIP_2) | instid1(VALU_DEP_1)
	v_rcp_f64_e32 v[214:215], v[212:213]
	s_waitcnt_depctr 0xfff
	v_fma_f64 v[216:217], -v[212:213], v[214:215], 1.0
	v_fma_f64 v[214:215], v[214:215], v[216:217], v[214:215]
	s_delay_alu instid0(VALU_DEP_1) | instskip(NEXT) | instid1(VALU_DEP_1)
	v_fma_f64 v[216:217], -v[212:213], v[214:215], 1.0
	v_fma_f64 v[214:215], v[214:215], v[216:217], v[214:215]
	s_delay_alu instid0(VALU_DEP_1) | instskip(NEXT) | instid1(VALU_DEP_1)
	v_mul_f64 v[216:217], v[218:219], v[214:215]
	v_fma_f64 v[212:213], -v[212:213], v[216:217], v[218:219]
	s_delay_alu instid0(VALU_DEP_1) | instskip(NEXT) | instid1(VALU_DEP_1)
	v_div_fmas_f64 v[212:213], v[212:213], v[214:215], v[216:217]
	v_div_fixup_f64 v[212:213], v[212:213], v[208:209], v[210:211]
	s_delay_alu instid0(VALU_DEP_1) | instskip(NEXT) | instid1(VALU_DEP_1)
	v_fma_f64 v[208:209], v[210:211], v[212:213], v[208:209]
	v_div_scale_f64 v[210:211], null, v[208:209], v[208:209], 1.0
	s_delay_alu instid0(VALU_DEP_1) | instskip(SKIP_2) | instid1(VALU_DEP_1)
	v_rcp_f64_e32 v[214:215], v[210:211]
	s_waitcnt_depctr 0xfff
	v_fma_f64 v[216:217], -v[210:211], v[214:215], 1.0
	v_fma_f64 v[214:215], v[214:215], v[216:217], v[214:215]
	s_delay_alu instid0(VALU_DEP_1) | instskip(NEXT) | instid1(VALU_DEP_1)
	v_fma_f64 v[216:217], -v[210:211], v[214:215], 1.0
	v_fma_f64 v[214:215], v[214:215], v[216:217], v[214:215]
	v_div_scale_f64 v[216:217], vcc_lo, 1.0, v[208:209], 1.0
	s_delay_alu instid0(VALU_DEP_1) | instskip(NEXT) | instid1(VALU_DEP_1)
	v_mul_f64 v[218:219], v[216:217], v[214:215]
	v_fma_f64 v[210:211], -v[210:211], v[218:219], v[216:217]
	s_delay_alu instid0(VALU_DEP_1) | instskip(NEXT) | instid1(VALU_DEP_1)
	v_div_fmas_f64 v[210:211], v[210:211], v[214:215], v[218:219]
	v_div_fixup_f64 v[216:217], v[210:211], v[208:209], 1.0
	s_delay_alu instid0(VALU_DEP_1)
	v_mul_f64 v[214:215], v[212:213], -v[216:217]
.LBB103_232:
	s_or_b32 exec_lo, exec_lo, s3
	ds_store_2addr_b64 v227, v[216:217], v[214:215] offset1:1
.LBB103_233:
	s_or_b32 exec_lo, exec_lo, s4
	s_waitcnt lgkmcnt(0)
	s_barrier
	buffer_gl0_inv
	ds_load_2addr_b64 v[202:205], v227 offset1:1
	s_mov_b32 s3, exec_lo
	s_waitcnt lgkmcnt(0)
	scratch_store_b128 off, v[202:205], off offset:840 ; 16-byte Folded Spill
	v_cmpx_lt_u32_e32 25, v226
	s_cbranch_execz .LBB103_235
; %bb.234:
	scratch_load_b128 v[202:205], off, off offset:840 ; 16-byte Folded Reload
	ds_load_2addr_b64 v[210:213], v228 offset0:52 offset1:53
	s_waitcnt vmcnt(0)
	v_mul_f64 v[208:209], v[204:205], v[106:107]
	v_mul_f64 v[106:107], v[202:203], v[106:107]
	s_delay_alu instid0(VALU_DEP_2) | instskip(NEXT) | instid1(VALU_DEP_2)
	v_fma_f64 v[208:209], v[202:203], v[104:105], -v[208:209]
	v_fma_f64 v[106:107], v[204:205], v[104:105], v[106:107]
	s_waitcnt lgkmcnt(0)
	s_delay_alu instid0(VALU_DEP_1) | instskip(NEXT) | instid1(VALU_DEP_1)
	v_mul_f64 v[104:105], v[212:213], v[106:107]
	v_fma_f64 v[104:105], v[210:211], v[208:209], -v[104:105]
	v_mul_f64 v[210:211], v[210:211], v[106:107]
	s_delay_alu instid0(VALU_DEP_2) | instskip(NEXT) | instid1(VALU_DEP_2)
	v_add_f64 v[100:101], v[100:101], -v[104:105]
	v_fma_f64 v[210:211], v[212:213], v[208:209], v[210:211]
	s_delay_alu instid0(VALU_DEP_1) | instskip(SKIP_3) | instid1(VALU_DEP_1)
	v_add_f64 v[102:103], v[102:103], -v[210:211]
	ds_load_2addr_b64 v[210:213], v228 offset0:54 offset1:55
	s_waitcnt lgkmcnt(0)
	v_mul_f64 v[104:105], v[212:213], v[106:107]
	v_fma_f64 v[104:105], v[210:211], v[208:209], -v[104:105]
	v_mul_f64 v[210:211], v[210:211], v[106:107]
	s_delay_alu instid0(VALU_DEP_2) | instskip(NEXT) | instid1(VALU_DEP_2)
	v_add_f64 v[96:97], v[96:97], -v[104:105]
	v_fma_f64 v[210:211], v[212:213], v[208:209], v[210:211]
	s_delay_alu instid0(VALU_DEP_1) | instskip(SKIP_3) | instid1(VALU_DEP_1)
	v_add_f64 v[98:99], v[98:99], -v[210:211]
	ds_load_2addr_b64 v[210:213], v228 offset0:56 offset1:57
	s_waitcnt lgkmcnt(0)
	;; [unrolled: 10-line block ×25, first 2 shown]
	v_mul_f64 v[104:105], v[212:213], v[106:107]
	v_fma_f64 v[104:105], v[210:211], v[208:209], -v[104:105]
	v_mul_f64 v[210:211], v[210:211], v[106:107]
	s_delay_alu instid0(VALU_DEP_2) | instskip(NEXT) | instid1(VALU_DEP_2)
	v_add_f64 v[0:1], v[0:1], -v[104:105]
	v_fma_f64 v[210:211], v[212:213], v[208:209], v[210:211]
	v_dual_mov_b32 v104, v208 :: v_dual_mov_b32 v105, v209
	s_delay_alu instid0(VALU_DEP_2)
	v_add_f64 v[2:3], v[2:3], -v[210:211]
.LBB103_235:
	s_or_b32 exec_lo, exec_lo, s3
	s_delay_alu instid0(SALU_CYCLE_1)
	s_mov_b32 s4, exec_lo
	s_waitcnt_vscnt null, 0x0
	s_barrier
	buffer_gl0_inv
	v_cmpx_eq_u32_e32 26, v226
	s_cbranch_execz .LBB103_242
; %bb.236:
	ds_store_2addr_b64 v227, v[100:101], v[102:103] offset1:1
	ds_store_2addr_b64 v228, v[96:97], v[98:99] offset0:54 offset1:55
	ds_store_2addr_b64 v228, v[92:93], v[94:95] offset0:56 offset1:57
	;; [unrolled: 1-line block ×25, first 2 shown]
	ds_load_2addr_b64 v[208:211], v227 offset1:1
	s_waitcnt lgkmcnt(0)
	v_cmp_neq_f64_e32 vcc_lo, 0, v[208:209]
	v_cmp_neq_f64_e64 s3, 0, v[210:211]
	s_delay_alu instid0(VALU_DEP_1) | instskip(NEXT) | instid1(SALU_CYCLE_1)
	s_or_b32 s3, vcc_lo, s3
	s_and_b32 exec_lo, exec_lo, s3
	s_cbranch_execz .LBB103_242
; %bb.237:
	v_cmp_gt_f64_e32 vcc_lo, 0, v[208:209]
	v_xor_b32_e32 v204, 0x80000000, v209
	s_mov_b32 s3, exec_lo
                                        ; implicit-def: $vgpr216_vgpr217
	s_delay_alu instid0(VALU_DEP_1) | instskip(SKIP_3) | instid1(VALU_DEP_1)
	v_cndmask_b32_e32 v213, v209, v204, vcc_lo
	v_cndmask_b32_e32 v212, v208, v208, vcc_lo
	v_cmp_gt_f64_e32 vcc_lo, 0, v[210:211]
	v_xor_b32_e32 v204, 0x80000000, v211
	v_dual_cndmask_b32 v214, v210, v210 :: v_dual_cndmask_b32 v215, v211, v204
	s_delay_alu instid0(VALU_DEP_1)
	v_cmpx_ngt_f64_e32 v[212:213], v[214:215]
	s_xor_b32 s3, exec_lo, s3
                                        ; implicit-def: $vgpr212_vgpr213_vgpr214_vgpr215
	s_cbranch_execz .LBB103_239
; %bb.238:
	v_div_scale_f64 v[212:213], null, v[210:211], v[210:211], v[208:209]
	v_div_scale_f64 v[218:219], vcc_lo, v[208:209], v[210:211], v[208:209]
	s_delay_alu instid0(VALU_DEP_2) | instskip(SKIP_2) | instid1(VALU_DEP_1)
	v_rcp_f64_e32 v[214:215], v[212:213]
	s_waitcnt_depctr 0xfff
	v_fma_f64 v[216:217], -v[212:213], v[214:215], 1.0
	v_fma_f64 v[214:215], v[214:215], v[216:217], v[214:215]
	s_delay_alu instid0(VALU_DEP_1) | instskip(NEXT) | instid1(VALU_DEP_1)
	v_fma_f64 v[216:217], -v[212:213], v[214:215], 1.0
	v_fma_f64 v[214:215], v[214:215], v[216:217], v[214:215]
	s_delay_alu instid0(VALU_DEP_1) | instskip(NEXT) | instid1(VALU_DEP_1)
	v_mul_f64 v[216:217], v[218:219], v[214:215]
	v_fma_f64 v[212:213], -v[212:213], v[216:217], v[218:219]
	s_delay_alu instid0(VALU_DEP_1) | instskip(NEXT) | instid1(VALU_DEP_1)
	v_div_fmas_f64 v[212:213], v[212:213], v[214:215], v[216:217]
	v_div_fixup_f64 v[212:213], v[212:213], v[210:211], v[208:209]
	s_delay_alu instid0(VALU_DEP_1) | instskip(NEXT) | instid1(VALU_DEP_1)
	v_fma_f64 v[208:209], v[208:209], v[212:213], v[210:211]
	v_div_scale_f64 v[210:211], null, v[208:209], v[208:209], 1.0
	s_delay_alu instid0(VALU_DEP_1) | instskip(SKIP_2) | instid1(VALU_DEP_1)
	v_rcp_f64_e32 v[214:215], v[210:211]
	s_waitcnt_depctr 0xfff
	v_fma_f64 v[216:217], -v[210:211], v[214:215], 1.0
	v_fma_f64 v[214:215], v[214:215], v[216:217], v[214:215]
	s_delay_alu instid0(VALU_DEP_1) | instskip(NEXT) | instid1(VALU_DEP_1)
	v_fma_f64 v[216:217], -v[210:211], v[214:215], 1.0
	v_fma_f64 v[214:215], v[214:215], v[216:217], v[214:215]
	v_div_scale_f64 v[216:217], vcc_lo, 1.0, v[208:209], 1.0
	s_delay_alu instid0(VALU_DEP_1) | instskip(NEXT) | instid1(VALU_DEP_1)
	v_mul_f64 v[218:219], v[216:217], v[214:215]
	v_fma_f64 v[210:211], -v[210:211], v[218:219], v[216:217]
	s_delay_alu instid0(VALU_DEP_1) | instskip(NEXT) | instid1(VALU_DEP_1)
	v_div_fmas_f64 v[210:211], v[210:211], v[214:215], v[218:219]
	v_div_fixup_f64 v[214:215], v[210:211], v[208:209], 1.0
                                        ; implicit-def: $vgpr208_vgpr209
	s_delay_alu instid0(VALU_DEP_1)
	v_mul_f64 v[216:217], v[212:213], v[214:215]
	v_xor_b32_e32 v215, 0x80000000, v215
.LBB103_239:
	s_and_not1_saveexec_b32 s3, s3
	s_cbranch_execz .LBB103_241
; %bb.240:
	v_div_scale_f64 v[212:213], null, v[208:209], v[208:209], v[210:211]
	v_div_scale_f64 v[218:219], vcc_lo, v[210:211], v[208:209], v[210:211]
	s_delay_alu instid0(VALU_DEP_2) | instskip(SKIP_2) | instid1(VALU_DEP_1)
	v_rcp_f64_e32 v[214:215], v[212:213]
	s_waitcnt_depctr 0xfff
	v_fma_f64 v[216:217], -v[212:213], v[214:215], 1.0
	v_fma_f64 v[214:215], v[214:215], v[216:217], v[214:215]
	s_delay_alu instid0(VALU_DEP_1) | instskip(NEXT) | instid1(VALU_DEP_1)
	v_fma_f64 v[216:217], -v[212:213], v[214:215], 1.0
	v_fma_f64 v[214:215], v[214:215], v[216:217], v[214:215]
	s_delay_alu instid0(VALU_DEP_1) | instskip(NEXT) | instid1(VALU_DEP_1)
	v_mul_f64 v[216:217], v[218:219], v[214:215]
	v_fma_f64 v[212:213], -v[212:213], v[216:217], v[218:219]
	s_delay_alu instid0(VALU_DEP_1) | instskip(NEXT) | instid1(VALU_DEP_1)
	v_div_fmas_f64 v[212:213], v[212:213], v[214:215], v[216:217]
	v_div_fixup_f64 v[212:213], v[212:213], v[208:209], v[210:211]
	s_delay_alu instid0(VALU_DEP_1) | instskip(NEXT) | instid1(VALU_DEP_1)
	v_fma_f64 v[208:209], v[210:211], v[212:213], v[208:209]
	v_div_scale_f64 v[210:211], null, v[208:209], v[208:209], 1.0
	s_delay_alu instid0(VALU_DEP_1) | instskip(SKIP_2) | instid1(VALU_DEP_1)
	v_rcp_f64_e32 v[214:215], v[210:211]
	s_waitcnt_depctr 0xfff
	v_fma_f64 v[216:217], -v[210:211], v[214:215], 1.0
	v_fma_f64 v[214:215], v[214:215], v[216:217], v[214:215]
	s_delay_alu instid0(VALU_DEP_1) | instskip(NEXT) | instid1(VALU_DEP_1)
	v_fma_f64 v[216:217], -v[210:211], v[214:215], 1.0
	v_fma_f64 v[214:215], v[214:215], v[216:217], v[214:215]
	v_div_scale_f64 v[216:217], vcc_lo, 1.0, v[208:209], 1.0
	s_delay_alu instid0(VALU_DEP_1) | instskip(NEXT) | instid1(VALU_DEP_1)
	v_mul_f64 v[218:219], v[216:217], v[214:215]
	v_fma_f64 v[210:211], -v[210:211], v[218:219], v[216:217]
	s_delay_alu instid0(VALU_DEP_1) | instskip(NEXT) | instid1(VALU_DEP_1)
	v_div_fmas_f64 v[210:211], v[210:211], v[214:215], v[218:219]
	v_div_fixup_f64 v[216:217], v[210:211], v[208:209], 1.0
	s_delay_alu instid0(VALU_DEP_1)
	v_mul_f64 v[214:215], v[212:213], -v[216:217]
.LBB103_241:
	s_or_b32 exec_lo, exec_lo, s3
	ds_store_2addr_b64 v227, v[216:217], v[214:215] offset1:1
.LBB103_242:
	s_or_b32 exec_lo, exec_lo, s4
	s_waitcnt lgkmcnt(0)
	s_barrier
	buffer_gl0_inv
	ds_load_2addr_b64 v[202:205], v227 offset1:1
	s_mov_b32 s3, exec_lo
	s_waitcnt lgkmcnt(0)
	scratch_store_b128 off, v[202:205], off offset:856 ; 16-byte Folded Spill
	v_cmpx_lt_u32_e32 26, v226
	s_cbranch_execz .LBB103_244
; %bb.243:
	scratch_load_b128 v[202:205], off, off offset:856 ; 16-byte Folded Reload
	ds_load_2addr_b64 v[210:213], v228 offset0:54 offset1:55
	s_waitcnt vmcnt(0)
	v_mul_f64 v[208:209], v[204:205], v[102:103]
	v_mul_f64 v[102:103], v[202:203], v[102:103]
	s_delay_alu instid0(VALU_DEP_2) | instskip(NEXT) | instid1(VALU_DEP_2)
	v_fma_f64 v[208:209], v[202:203], v[100:101], -v[208:209]
	v_fma_f64 v[102:103], v[204:205], v[100:101], v[102:103]
	s_waitcnt lgkmcnt(0)
	s_delay_alu instid0(VALU_DEP_1) | instskip(NEXT) | instid1(VALU_DEP_1)
	v_mul_f64 v[100:101], v[212:213], v[102:103]
	v_fma_f64 v[100:101], v[210:211], v[208:209], -v[100:101]
	v_mul_f64 v[210:211], v[210:211], v[102:103]
	s_delay_alu instid0(VALU_DEP_2) | instskip(NEXT) | instid1(VALU_DEP_2)
	v_add_f64 v[96:97], v[96:97], -v[100:101]
	v_fma_f64 v[210:211], v[212:213], v[208:209], v[210:211]
	s_delay_alu instid0(VALU_DEP_1) | instskip(SKIP_3) | instid1(VALU_DEP_1)
	v_add_f64 v[98:99], v[98:99], -v[210:211]
	ds_load_2addr_b64 v[210:213], v228 offset0:56 offset1:57
	s_waitcnt lgkmcnt(0)
	v_mul_f64 v[100:101], v[212:213], v[102:103]
	v_fma_f64 v[100:101], v[210:211], v[208:209], -v[100:101]
	v_mul_f64 v[210:211], v[210:211], v[102:103]
	s_delay_alu instid0(VALU_DEP_2) | instskip(NEXT) | instid1(VALU_DEP_2)
	v_add_f64 v[92:93], v[92:93], -v[100:101]
	v_fma_f64 v[210:211], v[212:213], v[208:209], v[210:211]
	s_delay_alu instid0(VALU_DEP_1) | instskip(SKIP_3) | instid1(VALU_DEP_1)
	v_add_f64 v[94:95], v[94:95], -v[210:211]
	ds_load_2addr_b64 v[210:213], v228 offset0:58 offset1:59
	s_waitcnt lgkmcnt(0)
	;; [unrolled: 10-line block ×24, first 2 shown]
	v_mul_f64 v[100:101], v[212:213], v[102:103]
	v_fma_f64 v[100:101], v[210:211], v[208:209], -v[100:101]
	v_mul_f64 v[210:211], v[210:211], v[102:103]
	s_delay_alu instid0(VALU_DEP_2) | instskip(NEXT) | instid1(VALU_DEP_2)
	v_add_f64 v[0:1], v[0:1], -v[100:101]
	v_fma_f64 v[210:211], v[212:213], v[208:209], v[210:211]
	v_dual_mov_b32 v100, v208 :: v_dual_mov_b32 v101, v209
	s_delay_alu instid0(VALU_DEP_2)
	v_add_f64 v[2:3], v[2:3], -v[210:211]
.LBB103_244:
	s_or_b32 exec_lo, exec_lo, s3
	s_delay_alu instid0(SALU_CYCLE_1)
	s_mov_b32 s4, exec_lo
	s_waitcnt_vscnt null, 0x0
	s_barrier
	buffer_gl0_inv
	v_cmpx_eq_u32_e32 27, v226
	s_cbranch_execz .LBB103_251
; %bb.245:
	ds_store_2addr_b64 v227, v[96:97], v[98:99] offset1:1
	ds_store_2addr_b64 v228, v[92:93], v[94:95] offset0:56 offset1:57
	ds_store_2addr_b64 v228, v[88:89], v[90:91] offset0:58 offset1:59
	;; [unrolled: 1-line block ×24, first 2 shown]
	ds_load_2addr_b64 v[208:211], v227 offset1:1
	s_waitcnt lgkmcnt(0)
	v_cmp_neq_f64_e32 vcc_lo, 0, v[208:209]
	v_cmp_neq_f64_e64 s3, 0, v[210:211]
	s_delay_alu instid0(VALU_DEP_1) | instskip(NEXT) | instid1(SALU_CYCLE_1)
	s_or_b32 s3, vcc_lo, s3
	s_and_b32 exec_lo, exec_lo, s3
	s_cbranch_execz .LBB103_251
; %bb.246:
	v_cmp_gt_f64_e32 vcc_lo, 0, v[208:209]
	v_xor_b32_e32 v204, 0x80000000, v209
	s_mov_b32 s3, exec_lo
                                        ; implicit-def: $vgpr216_vgpr217
	s_delay_alu instid0(VALU_DEP_1) | instskip(SKIP_3) | instid1(VALU_DEP_1)
	v_cndmask_b32_e32 v213, v209, v204, vcc_lo
	v_cndmask_b32_e32 v212, v208, v208, vcc_lo
	v_cmp_gt_f64_e32 vcc_lo, 0, v[210:211]
	v_xor_b32_e32 v204, 0x80000000, v211
	v_dual_cndmask_b32 v214, v210, v210 :: v_dual_cndmask_b32 v215, v211, v204
	s_delay_alu instid0(VALU_DEP_1)
	v_cmpx_ngt_f64_e32 v[212:213], v[214:215]
	s_xor_b32 s3, exec_lo, s3
                                        ; implicit-def: $vgpr212_vgpr213_vgpr214_vgpr215
	s_cbranch_execz .LBB103_248
; %bb.247:
	v_div_scale_f64 v[212:213], null, v[210:211], v[210:211], v[208:209]
	v_div_scale_f64 v[218:219], vcc_lo, v[208:209], v[210:211], v[208:209]
	s_delay_alu instid0(VALU_DEP_2) | instskip(SKIP_2) | instid1(VALU_DEP_1)
	v_rcp_f64_e32 v[214:215], v[212:213]
	s_waitcnt_depctr 0xfff
	v_fma_f64 v[216:217], -v[212:213], v[214:215], 1.0
	v_fma_f64 v[214:215], v[214:215], v[216:217], v[214:215]
	s_delay_alu instid0(VALU_DEP_1) | instskip(NEXT) | instid1(VALU_DEP_1)
	v_fma_f64 v[216:217], -v[212:213], v[214:215], 1.0
	v_fma_f64 v[214:215], v[214:215], v[216:217], v[214:215]
	s_delay_alu instid0(VALU_DEP_1) | instskip(NEXT) | instid1(VALU_DEP_1)
	v_mul_f64 v[216:217], v[218:219], v[214:215]
	v_fma_f64 v[212:213], -v[212:213], v[216:217], v[218:219]
	s_delay_alu instid0(VALU_DEP_1) | instskip(NEXT) | instid1(VALU_DEP_1)
	v_div_fmas_f64 v[212:213], v[212:213], v[214:215], v[216:217]
	v_div_fixup_f64 v[212:213], v[212:213], v[210:211], v[208:209]
	s_delay_alu instid0(VALU_DEP_1) | instskip(NEXT) | instid1(VALU_DEP_1)
	v_fma_f64 v[208:209], v[208:209], v[212:213], v[210:211]
	v_div_scale_f64 v[210:211], null, v[208:209], v[208:209], 1.0
	s_delay_alu instid0(VALU_DEP_1) | instskip(SKIP_2) | instid1(VALU_DEP_1)
	v_rcp_f64_e32 v[214:215], v[210:211]
	s_waitcnt_depctr 0xfff
	v_fma_f64 v[216:217], -v[210:211], v[214:215], 1.0
	v_fma_f64 v[214:215], v[214:215], v[216:217], v[214:215]
	s_delay_alu instid0(VALU_DEP_1) | instskip(NEXT) | instid1(VALU_DEP_1)
	v_fma_f64 v[216:217], -v[210:211], v[214:215], 1.0
	v_fma_f64 v[214:215], v[214:215], v[216:217], v[214:215]
	v_div_scale_f64 v[216:217], vcc_lo, 1.0, v[208:209], 1.0
	s_delay_alu instid0(VALU_DEP_1) | instskip(NEXT) | instid1(VALU_DEP_1)
	v_mul_f64 v[218:219], v[216:217], v[214:215]
	v_fma_f64 v[210:211], -v[210:211], v[218:219], v[216:217]
	s_delay_alu instid0(VALU_DEP_1) | instskip(NEXT) | instid1(VALU_DEP_1)
	v_div_fmas_f64 v[210:211], v[210:211], v[214:215], v[218:219]
	v_div_fixup_f64 v[214:215], v[210:211], v[208:209], 1.0
                                        ; implicit-def: $vgpr208_vgpr209
	s_delay_alu instid0(VALU_DEP_1)
	v_mul_f64 v[216:217], v[212:213], v[214:215]
	v_xor_b32_e32 v215, 0x80000000, v215
.LBB103_248:
	s_and_not1_saveexec_b32 s3, s3
	s_cbranch_execz .LBB103_250
; %bb.249:
	v_div_scale_f64 v[212:213], null, v[208:209], v[208:209], v[210:211]
	v_div_scale_f64 v[218:219], vcc_lo, v[210:211], v[208:209], v[210:211]
	s_delay_alu instid0(VALU_DEP_2) | instskip(SKIP_2) | instid1(VALU_DEP_1)
	v_rcp_f64_e32 v[214:215], v[212:213]
	s_waitcnt_depctr 0xfff
	v_fma_f64 v[216:217], -v[212:213], v[214:215], 1.0
	v_fma_f64 v[214:215], v[214:215], v[216:217], v[214:215]
	s_delay_alu instid0(VALU_DEP_1) | instskip(NEXT) | instid1(VALU_DEP_1)
	v_fma_f64 v[216:217], -v[212:213], v[214:215], 1.0
	v_fma_f64 v[214:215], v[214:215], v[216:217], v[214:215]
	s_delay_alu instid0(VALU_DEP_1) | instskip(NEXT) | instid1(VALU_DEP_1)
	v_mul_f64 v[216:217], v[218:219], v[214:215]
	v_fma_f64 v[212:213], -v[212:213], v[216:217], v[218:219]
	s_delay_alu instid0(VALU_DEP_1) | instskip(NEXT) | instid1(VALU_DEP_1)
	v_div_fmas_f64 v[212:213], v[212:213], v[214:215], v[216:217]
	v_div_fixup_f64 v[212:213], v[212:213], v[208:209], v[210:211]
	s_delay_alu instid0(VALU_DEP_1) | instskip(NEXT) | instid1(VALU_DEP_1)
	v_fma_f64 v[208:209], v[210:211], v[212:213], v[208:209]
	v_div_scale_f64 v[210:211], null, v[208:209], v[208:209], 1.0
	s_delay_alu instid0(VALU_DEP_1) | instskip(SKIP_2) | instid1(VALU_DEP_1)
	v_rcp_f64_e32 v[214:215], v[210:211]
	s_waitcnt_depctr 0xfff
	v_fma_f64 v[216:217], -v[210:211], v[214:215], 1.0
	v_fma_f64 v[214:215], v[214:215], v[216:217], v[214:215]
	s_delay_alu instid0(VALU_DEP_1) | instskip(NEXT) | instid1(VALU_DEP_1)
	v_fma_f64 v[216:217], -v[210:211], v[214:215], 1.0
	v_fma_f64 v[214:215], v[214:215], v[216:217], v[214:215]
	v_div_scale_f64 v[216:217], vcc_lo, 1.0, v[208:209], 1.0
	s_delay_alu instid0(VALU_DEP_1) | instskip(NEXT) | instid1(VALU_DEP_1)
	v_mul_f64 v[218:219], v[216:217], v[214:215]
	v_fma_f64 v[210:211], -v[210:211], v[218:219], v[216:217]
	s_delay_alu instid0(VALU_DEP_1) | instskip(NEXT) | instid1(VALU_DEP_1)
	v_div_fmas_f64 v[210:211], v[210:211], v[214:215], v[218:219]
	v_div_fixup_f64 v[216:217], v[210:211], v[208:209], 1.0
	s_delay_alu instid0(VALU_DEP_1)
	v_mul_f64 v[214:215], v[212:213], -v[216:217]
.LBB103_250:
	s_or_b32 exec_lo, exec_lo, s3
	ds_store_2addr_b64 v227, v[216:217], v[214:215] offset1:1
.LBB103_251:
	s_or_b32 exec_lo, exec_lo, s4
	s_waitcnt lgkmcnt(0)
	s_barrier
	buffer_gl0_inv
	ds_load_2addr_b64 v[202:205], v227 offset1:1
	s_mov_b32 s3, exec_lo
	s_waitcnt lgkmcnt(0)
	scratch_store_b128 off, v[202:205], off offset:872 ; 16-byte Folded Spill
	v_cmpx_lt_u32_e32 27, v226
	s_cbranch_execz .LBB103_253
; %bb.252:
	scratch_load_b128 v[202:205], off, off offset:872 ; 16-byte Folded Reload
	ds_load_2addr_b64 v[210:213], v228 offset0:56 offset1:57
	s_waitcnt vmcnt(0)
	v_mul_f64 v[208:209], v[204:205], v[98:99]
	v_mul_f64 v[98:99], v[202:203], v[98:99]
	s_delay_alu instid0(VALU_DEP_2) | instskip(NEXT) | instid1(VALU_DEP_2)
	v_fma_f64 v[208:209], v[202:203], v[96:97], -v[208:209]
	v_fma_f64 v[98:99], v[204:205], v[96:97], v[98:99]
	s_waitcnt lgkmcnt(0)
	s_delay_alu instid0(VALU_DEP_1) | instskip(NEXT) | instid1(VALU_DEP_1)
	v_mul_f64 v[96:97], v[212:213], v[98:99]
	v_fma_f64 v[96:97], v[210:211], v[208:209], -v[96:97]
	v_mul_f64 v[210:211], v[210:211], v[98:99]
	s_delay_alu instid0(VALU_DEP_2) | instskip(NEXT) | instid1(VALU_DEP_2)
	v_add_f64 v[92:93], v[92:93], -v[96:97]
	v_fma_f64 v[210:211], v[212:213], v[208:209], v[210:211]
	s_delay_alu instid0(VALU_DEP_1) | instskip(SKIP_3) | instid1(VALU_DEP_1)
	v_add_f64 v[94:95], v[94:95], -v[210:211]
	ds_load_2addr_b64 v[210:213], v228 offset0:58 offset1:59
	s_waitcnt lgkmcnt(0)
	v_mul_f64 v[96:97], v[212:213], v[98:99]
	v_fma_f64 v[96:97], v[210:211], v[208:209], -v[96:97]
	v_mul_f64 v[210:211], v[210:211], v[98:99]
	s_delay_alu instid0(VALU_DEP_2) | instskip(NEXT) | instid1(VALU_DEP_2)
	v_add_f64 v[88:89], v[88:89], -v[96:97]
	v_fma_f64 v[210:211], v[212:213], v[208:209], v[210:211]
	s_delay_alu instid0(VALU_DEP_1) | instskip(SKIP_3) | instid1(VALU_DEP_1)
	v_add_f64 v[90:91], v[90:91], -v[210:211]
	ds_load_2addr_b64 v[210:213], v228 offset0:60 offset1:61
	s_waitcnt lgkmcnt(0)
	;; [unrolled: 10-line block ×23, first 2 shown]
	v_mul_f64 v[96:97], v[212:213], v[98:99]
	v_fma_f64 v[96:97], v[210:211], v[208:209], -v[96:97]
	v_mul_f64 v[210:211], v[210:211], v[98:99]
	s_delay_alu instid0(VALU_DEP_2) | instskip(NEXT) | instid1(VALU_DEP_2)
	v_add_f64 v[0:1], v[0:1], -v[96:97]
	v_fma_f64 v[210:211], v[212:213], v[208:209], v[210:211]
	v_dual_mov_b32 v96, v208 :: v_dual_mov_b32 v97, v209
	s_delay_alu instid0(VALU_DEP_2)
	v_add_f64 v[2:3], v[2:3], -v[210:211]
.LBB103_253:
	s_or_b32 exec_lo, exec_lo, s3
	s_delay_alu instid0(SALU_CYCLE_1)
	s_mov_b32 s4, exec_lo
	s_waitcnt_vscnt null, 0x0
	s_barrier
	buffer_gl0_inv
	v_cmpx_eq_u32_e32 28, v226
	s_cbranch_execz .LBB103_260
; %bb.254:
	ds_store_2addr_b64 v227, v[92:93], v[94:95] offset1:1
	ds_store_2addr_b64 v228, v[88:89], v[90:91] offset0:58 offset1:59
	ds_store_2addr_b64 v228, v[84:85], v[86:87] offset0:60 offset1:61
	;; [unrolled: 1-line block ×23, first 2 shown]
	ds_load_2addr_b64 v[208:211], v227 offset1:1
	s_waitcnt lgkmcnt(0)
	v_cmp_neq_f64_e32 vcc_lo, 0, v[208:209]
	v_cmp_neq_f64_e64 s3, 0, v[210:211]
	s_delay_alu instid0(VALU_DEP_1) | instskip(NEXT) | instid1(SALU_CYCLE_1)
	s_or_b32 s3, vcc_lo, s3
	s_and_b32 exec_lo, exec_lo, s3
	s_cbranch_execz .LBB103_260
; %bb.255:
	v_cmp_gt_f64_e32 vcc_lo, 0, v[208:209]
	v_xor_b32_e32 v204, 0x80000000, v209
	s_mov_b32 s3, exec_lo
                                        ; implicit-def: $vgpr216_vgpr217
	s_delay_alu instid0(VALU_DEP_1) | instskip(SKIP_3) | instid1(VALU_DEP_1)
	v_cndmask_b32_e32 v213, v209, v204, vcc_lo
	v_cndmask_b32_e32 v212, v208, v208, vcc_lo
	v_cmp_gt_f64_e32 vcc_lo, 0, v[210:211]
	v_xor_b32_e32 v204, 0x80000000, v211
	v_dual_cndmask_b32 v214, v210, v210 :: v_dual_cndmask_b32 v215, v211, v204
	s_delay_alu instid0(VALU_DEP_1)
	v_cmpx_ngt_f64_e32 v[212:213], v[214:215]
	s_xor_b32 s3, exec_lo, s3
                                        ; implicit-def: $vgpr212_vgpr213_vgpr214_vgpr215
	s_cbranch_execz .LBB103_257
; %bb.256:
	v_div_scale_f64 v[212:213], null, v[210:211], v[210:211], v[208:209]
	v_div_scale_f64 v[218:219], vcc_lo, v[208:209], v[210:211], v[208:209]
	s_delay_alu instid0(VALU_DEP_2) | instskip(SKIP_2) | instid1(VALU_DEP_1)
	v_rcp_f64_e32 v[214:215], v[212:213]
	s_waitcnt_depctr 0xfff
	v_fma_f64 v[216:217], -v[212:213], v[214:215], 1.0
	v_fma_f64 v[214:215], v[214:215], v[216:217], v[214:215]
	s_delay_alu instid0(VALU_DEP_1) | instskip(NEXT) | instid1(VALU_DEP_1)
	v_fma_f64 v[216:217], -v[212:213], v[214:215], 1.0
	v_fma_f64 v[214:215], v[214:215], v[216:217], v[214:215]
	s_delay_alu instid0(VALU_DEP_1) | instskip(NEXT) | instid1(VALU_DEP_1)
	v_mul_f64 v[216:217], v[218:219], v[214:215]
	v_fma_f64 v[212:213], -v[212:213], v[216:217], v[218:219]
	s_delay_alu instid0(VALU_DEP_1) | instskip(NEXT) | instid1(VALU_DEP_1)
	v_div_fmas_f64 v[212:213], v[212:213], v[214:215], v[216:217]
	v_div_fixup_f64 v[212:213], v[212:213], v[210:211], v[208:209]
	s_delay_alu instid0(VALU_DEP_1) | instskip(NEXT) | instid1(VALU_DEP_1)
	v_fma_f64 v[208:209], v[208:209], v[212:213], v[210:211]
	v_div_scale_f64 v[210:211], null, v[208:209], v[208:209], 1.0
	s_delay_alu instid0(VALU_DEP_1) | instskip(SKIP_2) | instid1(VALU_DEP_1)
	v_rcp_f64_e32 v[214:215], v[210:211]
	s_waitcnt_depctr 0xfff
	v_fma_f64 v[216:217], -v[210:211], v[214:215], 1.0
	v_fma_f64 v[214:215], v[214:215], v[216:217], v[214:215]
	s_delay_alu instid0(VALU_DEP_1) | instskip(NEXT) | instid1(VALU_DEP_1)
	v_fma_f64 v[216:217], -v[210:211], v[214:215], 1.0
	v_fma_f64 v[214:215], v[214:215], v[216:217], v[214:215]
	v_div_scale_f64 v[216:217], vcc_lo, 1.0, v[208:209], 1.0
	s_delay_alu instid0(VALU_DEP_1) | instskip(NEXT) | instid1(VALU_DEP_1)
	v_mul_f64 v[218:219], v[216:217], v[214:215]
	v_fma_f64 v[210:211], -v[210:211], v[218:219], v[216:217]
	s_delay_alu instid0(VALU_DEP_1) | instskip(NEXT) | instid1(VALU_DEP_1)
	v_div_fmas_f64 v[210:211], v[210:211], v[214:215], v[218:219]
	v_div_fixup_f64 v[214:215], v[210:211], v[208:209], 1.0
                                        ; implicit-def: $vgpr208_vgpr209
	s_delay_alu instid0(VALU_DEP_1)
	v_mul_f64 v[216:217], v[212:213], v[214:215]
	v_xor_b32_e32 v215, 0x80000000, v215
.LBB103_257:
	s_and_not1_saveexec_b32 s3, s3
	s_cbranch_execz .LBB103_259
; %bb.258:
	v_div_scale_f64 v[212:213], null, v[208:209], v[208:209], v[210:211]
	v_div_scale_f64 v[218:219], vcc_lo, v[210:211], v[208:209], v[210:211]
	s_delay_alu instid0(VALU_DEP_2) | instskip(SKIP_2) | instid1(VALU_DEP_1)
	v_rcp_f64_e32 v[214:215], v[212:213]
	s_waitcnt_depctr 0xfff
	v_fma_f64 v[216:217], -v[212:213], v[214:215], 1.0
	v_fma_f64 v[214:215], v[214:215], v[216:217], v[214:215]
	s_delay_alu instid0(VALU_DEP_1) | instskip(NEXT) | instid1(VALU_DEP_1)
	v_fma_f64 v[216:217], -v[212:213], v[214:215], 1.0
	v_fma_f64 v[214:215], v[214:215], v[216:217], v[214:215]
	s_delay_alu instid0(VALU_DEP_1) | instskip(NEXT) | instid1(VALU_DEP_1)
	v_mul_f64 v[216:217], v[218:219], v[214:215]
	v_fma_f64 v[212:213], -v[212:213], v[216:217], v[218:219]
	s_delay_alu instid0(VALU_DEP_1) | instskip(NEXT) | instid1(VALU_DEP_1)
	v_div_fmas_f64 v[212:213], v[212:213], v[214:215], v[216:217]
	v_div_fixup_f64 v[212:213], v[212:213], v[208:209], v[210:211]
	s_delay_alu instid0(VALU_DEP_1) | instskip(NEXT) | instid1(VALU_DEP_1)
	v_fma_f64 v[208:209], v[210:211], v[212:213], v[208:209]
	v_div_scale_f64 v[210:211], null, v[208:209], v[208:209], 1.0
	s_delay_alu instid0(VALU_DEP_1) | instskip(SKIP_2) | instid1(VALU_DEP_1)
	v_rcp_f64_e32 v[214:215], v[210:211]
	s_waitcnt_depctr 0xfff
	v_fma_f64 v[216:217], -v[210:211], v[214:215], 1.0
	v_fma_f64 v[214:215], v[214:215], v[216:217], v[214:215]
	s_delay_alu instid0(VALU_DEP_1) | instskip(NEXT) | instid1(VALU_DEP_1)
	v_fma_f64 v[216:217], -v[210:211], v[214:215], 1.0
	v_fma_f64 v[214:215], v[214:215], v[216:217], v[214:215]
	v_div_scale_f64 v[216:217], vcc_lo, 1.0, v[208:209], 1.0
	s_delay_alu instid0(VALU_DEP_1) | instskip(NEXT) | instid1(VALU_DEP_1)
	v_mul_f64 v[218:219], v[216:217], v[214:215]
	v_fma_f64 v[210:211], -v[210:211], v[218:219], v[216:217]
	s_delay_alu instid0(VALU_DEP_1) | instskip(NEXT) | instid1(VALU_DEP_1)
	v_div_fmas_f64 v[210:211], v[210:211], v[214:215], v[218:219]
	v_div_fixup_f64 v[216:217], v[210:211], v[208:209], 1.0
	s_delay_alu instid0(VALU_DEP_1)
	v_mul_f64 v[214:215], v[212:213], -v[216:217]
.LBB103_259:
	s_or_b32 exec_lo, exec_lo, s3
	ds_store_2addr_b64 v227, v[216:217], v[214:215] offset1:1
.LBB103_260:
	s_or_b32 exec_lo, exec_lo, s4
	s_waitcnt lgkmcnt(0)
	s_barrier
	buffer_gl0_inv
	ds_load_2addr_b64 v[202:205], v227 offset1:1
	s_mov_b32 s3, exec_lo
	s_waitcnt lgkmcnt(0)
	scratch_store_b128 off, v[202:205], off offset:888 ; 16-byte Folded Spill
	v_cmpx_lt_u32_e32 28, v226
	s_cbranch_execz .LBB103_262
; %bb.261:
	scratch_load_b128 v[202:205], off, off offset:888 ; 16-byte Folded Reload
	ds_load_2addr_b64 v[210:213], v228 offset0:58 offset1:59
	s_waitcnt vmcnt(0)
	v_mul_f64 v[208:209], v[204:205], v[94:95]
	v_mul_f64 v[94:95], v[202:203], v[94:95]
	s_delay_alu instid0(VALU_DEP_2) | instskip(NEXT) | instid1(VALU_DEP_2)
	v_fma_f64 v[208:209], v[202:203], v[92:93], -v[208:209]
	v_fma_f64 v[94:95], v[204:205], v[92:93], v[94:95]
	s_waitcnt lgkmcnt(0)
	s_delay_alu instid0(VALU_DEP_1) | instskip(NEXT) | instid1(VALU_DEP_1)
	v_mul_f64 v[92:93], v[212:213], v[94:95]
	v_fma_f64 v[92:93], v[210:211], v[208:209], -v[92:93]
	v_mul_f64 v[210:211], v[210:211], v[94:95]
	s_delay_alu instid0(VALU_DEP_2) | instskip(NEXT) | instid1(VALU_DEP_2)
	v_add_f64 v[88:89], v[88:89], -v[92:93]
	v_fma_f64 v[210:211], v[212:213], v[208:209], v[210:211]
	s_delay_alu instid0(VALU_DEP_1) | instskip(SKIP_3) | instid1(VALU_DEP_1)
	v_add_f64 v[90:91], v[90:91], -v[210:211]
	ds_load_2addr_b64 v[210:213], v228 offset0:60 offset1:61
	s_waitcnt lgkmcnt(0)
	v_mul_f64 v[92:93], v[212:213], v[94:95]
	v_fma_f64 v[92:93], v[210:211], v[208:209], -v[92:93]
	v_mul_f64 v[210:211], v[210:211], v[94:95]
	s_delay_alu instid0(VALU_DEP_2) | instskip(NEXT) | instid1(VALU_DEP_2)
	v_add_f64 v[84:85], v[84:85], -v[92:93]
	v_fma_f64 v[210:211], v[212:213], v[208:209], v[210:211]
	s_delay_alu instid0(VALU_DEP_1) | instskip(SKIP_3) | instid1(VALU_DEP_1)
	v_add_f64 v[86:87], v[86:87], -v[210:211]
	ds_load_2addr_b64 v[210:213], v228 offset0:62 offset1:63
	s_waitcnt lgkmcnt(0)
	;; [unrolled: 10-line block ×22, first 2 shown]
	v_mul_f64 v[92:93], v[212:213], v[94:95]
	v_fma_f64 v[92:93], v[210:211], v[208:209], -v[92:93]
	v_mul_f64 v[210:211], v[210:211], v[94:95]
	s_delay_alu instid0(VALU_DEP_2) | instskip(NEXT) | instid1(VALU_DEP_2)
	v_add_f64 v[0:1], v[0:1], -v[92:93]
	v_fma_f64 v[210:211], v[212:213], v[208:209], v[210:211]
	v_dual_mov_b32 v92, v208 :: v_dual_mov_b32 v93, v209
	s_delay_alu instid0(VALU_DEP_2)
	v_add_f64 v[2:3], v[2:3], -v[210:211]
.LBB103_262:
	s_or_b32 exec_lo, exec_lo, s3
	s_delay_alu instid0(SALU_CYCLE_1)
	s_mov_b32 s4, exec_lo
	s_waitcnt_vscnt null, 0x0
	s_barrier
	buffer_gl0_inv
	v_cmpx_eq_u32_e32 29, v226
	s_cbranch_execz .LBB103_269
; %bb.263:
	ds_store_2addr_b64 v227, v[88:89], v[90:91] offset1:1
	ds_store_2addr_b64 v228, v[84:85], v[86:87] offset0:60 offset1:61
	ds_store_2addr_b64 v228, v[80:81], v[82:83] offset0:62 offset1:63
	;; [unrolled: 1-line block ×22, first 2 shown]
	ds_load_2addr_b64 v[208:211], v227 offset1:1
	s_waitcnt lgkmcnt(0)
	v_cmp_neq_f64_e32 vcc_lo, 0, v[208:209]
	v_cmp_neq_f64_e64 s3, 0, v[210:211]
	s_delay_alu instid0(VALU_DEP_1) | instskip(NEXT) | instid1(SALU_CYCLE_1)
	s_or_b32 s3, vcc_lo, s3
	s_and_b32 exec_lo, exec_lo, s3
	s_cbranch_execz .LBB103_269
; %bb.264:
	v_cmp_gt_f64_e32 vcc_lo, 0, v[208:209]
	v_xor_b32_e32 v204, 0x80000000, v209
	s_mov_b32 s3, exec_lo
                                        ; implicit-def: $vgpr216_vgpr217
	s_delay_alu instid0(VALU_DEP_1) | instskip(SKIP_3) | instid1(VALU_DEP_1)
	v_cndmask_b32_e32 v213, v209, v204, vcc_lo
	v_cndmask_b32_e32 v212, v208, v208, vcc_lo
	v_cmp_gt_f64_e32 vcc_lo, 0, v[210:211]
	v_xor_b32_e32 v204, 0x80000000, v211
	v_dual_cndmask_b32 v214, v210, v210 :: v_dual_cndmask_b32 v215, v211, v204
	s_delay_alu instid0(VALU_DEP_1)
	v_cmpx_ngt_f64_e32 v[212:213], v[214:215]
	s_xor_b32 s3, exec_lo, s3
                                        ; implicit-def: $vgpr212_vgpr213_vgpr214_vgpr215
	s_cbranch_execz .LBB103_266
; %bb.265:
	v_div_scale_f64 v[212:213], null, v[210:211], v[210:211], v[208:209]
	v_div_scale_f64 v[218:219], vcc_lo, v[208:209], v[210:211], v[208:209]
	s_delay_alu instid0(VALU_DEP_2) | instskip(SKIP_2) | instid1(VALU_DEP_1)
	v_rcp_f64_e32 v[214:215], v[212:213]
	s_waitcnt_depctr 0xfff
	v_fma_f64 v[216:217], -v[212:213], v[214:215], 1.0
	v_fma_f64 v[214:215], v[214:215], v[216:217], v[214:215]
	s_delay_alu instid0(VALU_DEP_1) | instskip(NEXT) | instid1(VALU_DEP_1)
	v_fma_f64 v[216:217], -v[212:213], v[214:215], 1.0
	v_fma_f64 v[214:215], v[214:215], v[216:217], v[214:215]
	s_delay_alu instid0(VALU_DEP_1) | instskip(NEXT) | instid1(VALU_DEP_1)
	v_mul_f64 v[216:217], v[218:219], v[214:215]
	v_fma_f64 v[212:213], -v[212:213], v[216:217], v[218:219]
	s_delay_alu instid0(VALU_DEP_1) | instskip(NEXT) | instid1(VALU_DEP_1)
	v_div_fmas_f64 v[212:213], v[212:213], v[214:215], v[216:217]
	v_div_fixup_f64 v[212:213], v[212:213], v[210:211], v[208:209]
	s_delay_alu instid0(VALU_DEP_1) | instskip(NEXT) | instid1(VALU_DEP_1)
	v_fma_f64 v[208:209], v[208:209], v[212:213], v[210:211]
	v_div_scale_f64 v[210:211], null, v[208:209], v[208:209], 1.0
	s_delay_alu instid0(VALU_DEP_1) | instskip(SKIP_2) | instid1(VALU_DEP_1)
	v_rcp_f64_e32 v[214:215], v[210:211]
	s_waitcnt_depctr 0xfff
	v_fma_f64 v[216:217], -v[210:211], v[214:215], 1.0
	v_fma_f64 v[214:215], v[214:215], v[216:217], v[214:215]
	s_delay_alu instid0(VALU_DEP_1) | instskip(NEXT) | instid1(VALU_DEP_1)
	v_fma_f64 v[216:217], -v[210:211], v[214:215], 1.0
	v_fma_f64 v[214:215], v[214:215], v[216:217], v[214:215]
	v_div_scale_f64 v[216:217], vcc_lo, 1.0, v[208:209], 1.0
	s_delay_alu instid0(VALU_DEP_1) | instskip(NEXT) | instid1(VALU_DEP_1)
	v_mul_f64 v[218:219], v[216:217], v[214:215]
	v_fma_f64 v[210:211], -v[210:211], v[218:219], v[216:217]
	s_delay_alu instid0(VALU_DEP_1) | instskip(NEXT) | instid1(VALU_DEP_1)
	v_div_fmas_f64 v[210:211], v[210:211], v[214:215], v[218:219]
	v_div_fixup_f64 v[214:215], v[210:211], v[208:209], 1.0
                                        ; implicit-def: $vgpr208_vgpr209
	s_delay_alu instid0(VALU_DEP_1)
	v_mul_f64 v[216:217], v[212:213], v[214:215]
	v_xor_b32_e32 v215, 0x80000000, v215
.LBB103_266:
	s_and_not1_saveexec_b32 s3, s3
	s_cbranch_execz .LBB103_268
; %bb.267:
	v_div_scale_f64 v[212:213], null, v[208:209], v[208:209], v[210:211]
	v_div_scale_f64 v[218:219], vcc_lo, v[210:211], v[208:209], v[210:211]
	s_delay_alu instid0(VALU_DEP_2) | instskip(SKIP_2) | instid1(VALU_DEP_1)
	v_rcp_f64_e32 v[214:215], v[212:213]
	s_waitcnt_depctr 0xfff
	v_fma_f64 v[216:217], -v[212:213], v[214:215], 1.0
	v_fma_f64 v[214:215], v[214:215], v[216:217], v[214:215]
	s_delay_alu instid0(VALU_DEP_1) | instskip(NEXT) | instid1(VALU_DEP_1)
	v_fma_f64 v[216:217], -v[212:213], v[214:215], 1.0
	v_fma_f64 v[214:215], v[214:215], v[216:217], v[214:215]
	s_delay_alu instid0(VALU_DEP_1) | instskip(NEXT) | instid1(VALU_DEP_1)
	v_mul_f64 v[216:217], v[218:219], v[214:215]
	v_fma_f64 v[212:213], -v[212:213], v[216:217], v[218:219]
	s_delay_alu instid0(VALU_DEP_1) | instskip(NEXT) | instid1(VALU_DEP_1)
	v_div_fmas_f64 v[212:213], v[212:213], v[214:215], v[216:217]
	v_div_fixup_f64 v[212:213], v[212:213], v[208:209], v[210:211]
	s_delay_alu instid0(VALU_DEP_1) | instskip(NEXT) | instid1(VALU_DEP_1)
	v_fma_f64 v[208:209], v[210:211], v[212:213], v[208:209]
	v_div_scale_f64 v[210:211], null, v[208:209], v[208:209], 1.0
	s_delay_alu instid0(VALU_DEP_1) | instskip(SKIP_2) | instid1(VALU_DEP_1)
	v_rcp_f64_e32 v[214:215], v[210:211]
	s_waitcnt_depctr 0xfff
	v_fma_f64 v[216:217], -v[210:211], v[214:215], 1.0
	v_fma_f64 v[214:215], v[214:215], v[216:217], v[214:215]
	s_delay_alu instid0(VALU_DEP_1) | instskip(NEXT) | instid1(VALU_DEP_1)
	v_fma_f64 v[216:217], -v[210:211], v[214:215], 1.0
	v_fma_f64 v[214:215], v[214:215], v[216:217], v[214:215]
	v_div_scale_f64 v[216:217], vcc_lo, 1.0, v[208:209], 1.0
	s_delay_alu instid0(VALU_DEP_1) | instskip(NEXT) | instid1(VALU_DEP_1)
	v_mul_f64 v[218:219], v[216:217], v[214:215]
	v_fma_f64 v[210:211], -v[210:211], v[218:219], v[216:217]
	s_delay_alu instid0(VALU_DEP_1) | instskip(NEXT) | instid1(VALU_DEP_1)
	v_div_fmas_f64 v[210:211], v[210:211], v[214:215], v[218:219]
	v_div_fixup_f64 v[216:217], v[210:211], v[208:209], 1.0
	s_delay_alu instid0(VALU_DEP_1)
	v_mul_f64 v[214:215], v[212:213], -v[216:217]
.LBB103_268:
	s_or_b32 exec_lo, exec_lo, s3
	ds_store_2addr_b64 v227, v[216:217], v[214:215] offset1:1
.LBB103_269:
	s_or_b32 exec_lo, exec_lo, s4
	s_waitcnt lgkmcnt(0)
	s_barrier
	buffer_gl0_inv
	ds_load_2addr_b64 v[202:205], v227 offset1:1
	s_mov_b32 s3, exec_lo
	s_waitcnt lgkmcnt(0)
	scratch_store_b128 off, v[202:205], off offset:904 ; 16-byte Folded Spill
	v_cmpx_lt_u32_e32 29, v226
	s_cbranch_execz .LBB103_271
; %bb.270:
	scratch_load_b128 v[202:205], off, off offset:904 ; 16-byte Folded Reload
	ds_load_2addr_b64 v[210:213], v228 offset0:60 offset1:61
	s_waitcnt vmcnt(0)
	v_mul_f64 v[208:209], v[204:205], v[90:91]
	v_mul_f64 v[90:91], v[202:203], v[90:91]
	s_delay_alu instid0(VALU_DEP_2) | instskip(NEXT) | instid1(VALU_DEP_2)
	v_fma_f64 v[208:209], v[202:203], v[88:89], -v[208:209]
	v_fma_f64 v[90:91], v[204:205], v[88:89], v[90:91]
	s_waitcnt lgkmcnt(0)
	s_delay_alu instid0(VALU_DEP_1) | instskip(NEXT) | instid1(VALU_DEP_1)
	v_mul_f64 v[88:89], v[212:213], v[90:91]
	v_fma_f64 v[88:89], v[210:211], v[208:209], -v[88:89]
	v_mul_f64 v[210:211], v[210:211], v[90:91]
	s_delay_alu instid0(VALU_DEP_2) | instskip(NEXT) | instid1(VALU_DEP_2)
	v_add_f64 v[84:85], v[84:85], -v[88:89]
	v_fma_f64 v[210:211], v[212:213], v[208:209], v[210:211]
	s_delay_alu instid0(VALU_DEP_1) | instskip(SKIP_3) | instid1(VALU_DEP_1)
	v_add_f64 v[86:87], v[86:87], -v[210:211]
	ds_load_2addr_b64 v[210:213], v228 offset0:62 offset1:63
	s_waitcnt lgkmcnt(0)
	v_mul_f64 v[88:89], v[212:213], v[90:91]
	v_fma_f64 v[88:89], v[210:211], v[208:209], -v[88:89]
	v_mul_f64 v[210:211], v[210:211], v[90:91]
	s_delay_alu instid0(VALU_DEP_2) | instskip(NEXT) | instid1(VALU_DEP_2)
	v_add_f64 v[80:81], v[80:81], -v[88:89]
	v_fma_f64 v[210:211], v[212:213], v[208:209], v[210:211]
	s_delay_alu instid0(VALU_DEP_1) | instskip(SKIP_3) | instid1(VALU_DEP_1)
	v_add_f64 v[82:83], v[82:83], -v[210:211]
	ds_load_2addr_b64 v[210:213], v228 offset0:64 offset1:65
	s_waitcnt lgkmcnt(0)
	;; [unrolled: 10-line block ×21, first 2 shown]
	v_mul_f64 v[88:89], v[212:213], v[90:91]
	v_fma_f64 v[88:89], v[210:211], v[208:209], -v[88:89]
	v_mul_f64 v[210:211], v[210:211], v[90:91]
	s_delay_alu instid0(VALU_DEP_2) | instskip(NEXT) | instid1(VALU_DEP_2)
	v_add_f64 v[0:1], v[0:1], -v[88:89]
	v_fma_f64 v[210:211], v[212:213], v[208:209], v[210:211]
	v_dual_mov_b32 v88, v208 :: v_dual_mov_b32 v89, v209
	s_delay_alu instid0(VALU_DEP_2)
	v_add_f64 v[2:3], v[2:3], -v[210:211]
.LBB103_271:
	s_or_b32 exec_lo, exec_lo, s3
	s_delay_alu instid0(SALU_CYCLE_1)
	s_mov_b32 s4, exec_lo
	s_waitcnt_vscnt null, 0x0
	s_barrier
	buffer_gl0_inv
	v_cmpx_eq_u32_e32 30, v226
	s_cbranch_execz .LBB103_278
; %bb.272:
	ds_store_2addr_b64 v227, v[84:85], v[86:87] offset1:1
	ds_store_2addr_b64 v228, v[80:81], v[82:83] offset0:62 offset1:63
	ds_store_2addr_b64 v228, v[76:77], v[78:79] offset0:64 offset1:65
	;; [unrolled: 1-line block ×21, first 2 shown]
	ds_load_2addr_b64 v[208:211], v227 offset1:1
	s_waitcnt lgkmcnt(0)
	v_cmp_neq_f64_e32 vcc_lo, 0, v[208:209]
	v_cmp_neq_f64_e64 s3, 0, v[210:211]
	s_delay_alu instid0(VALU_DEP_1) | instskip(NEXT) | instid1(SALU_CYCLE_1)
	s_or_b32 s3, vcc_lo, s3
	s_and_b32 exec_lo, exec_lo, s3
	s_cbranch_execz .LBB103_278
; %bb.273:
	v_cmp_gt_f64_e32 vcc_lo, 0, v[208:209]
	v_xor_b32_e32 v204, 0x80000000, v209
	s_mov_b32 s3, exec_lo
                                        ; implicit-def: $vgpr216_vgpr217
	s_delay_alu instid0(VALU_DEP_1) | instskip(SKIP_3) | instid1(VALU_DEP_1)
	v_cndmask_b32_e32 v213, v209, v204, vcc_lo
	v_cndmask_b32_e32 v212, v208, v208, vcc_lo
	v_cmp_gt_f64_e32 vcc_lo, 0, v[210:211]
	v_xor_b32_e32 v204, 0x80000000, v211
	v_dual_cndmask_b32 v214, v210, v210 :: v_dual_cndmask_b32 v215, v211, v204
	s_delay_alu instid0(VALU_DEP_1)
	v_cmpx_ngt_f64_e32 v[212:213], v[214:215]
	s_xor_b32 s3, exec_lo, s3
                                        ; implicit-def: $vgpr212_vgpr213_vgpr214_vgpr215
	s_cbranch_execz .LBB103_275
; %bb.274:
	v_div_scale_f64 v[212:213], null, v[210:211], v[210:211], v[208:209]
	v_div_scale_f64 v[218:219], vcc_lo, v[208:209], v[210:211], v[208:209]
	s_delay_alu instid0(VALU_DEP_2) | instskip(SKIP_2) | instid1(VALU_DEP_1)
	v_rcp_f64_e32 v[214:215], v[212:213]
	s_waitcnt_depctr 0xfff
	v_fma_f64 v[216:217], -v[212:213], v[214:215], 1.0
	v_fma_f64 v[214:215], v[214:215], v[216:217], v[214:215]
	s_delay_alu instid0(VALU_DEP_1) | instskip(NEXT) | instid1(VALU_DEP_1)
	v_fma_f64 v[216:217], -v[212:213], v[214:215], 1.0
	v_fma_f64 v[214:215], v[214:215], v[216:217], v[214:215]
	s_delay_alu instid0(VALU_DEP_1) | instskip(NEXT) | instid1(VALU_DEP_1)
	v_mul_f64 v[216:217], v[218:219], v[214:215]
	v_fma_f64 v[212:213], -v[212:213], v[216:217], v[218:219]
	s_delay_alu instid0(VALU_DEP_1) | instskip(NEXT) | instid1(VALU_DEP_1)
	v_div_fmas_f64 v[212:213], v[212:213], v[214:215], v[216:217]
	v_div_fixup_f64 v[212:213], v[212:213], v[210:211], v[208:209]
	s_delay_alu instid0(VALU_DEP_1) | instskip(NEXT) | instid1(VALU_DEP_1)
	v_fma_f64 v[208:209], v[208:209], v[212:213], v[210:211]
	v_div_scale_f64 v[210:211], null, v[208:209], v[208:209], 1.0
	s_delay_alu instid0(VALU_DEP_1) | instskip(SKIP_2) | instid1(VALU_DEP_1)
	v_rcp_f64_e32 v[214:215], v[210:211]
	s_waitcnt_depctr 0xfff
	v_fma_f64 v[216:217], -v[210:211], v[214:215], 1.0
	v_fma_f64 v[214:215], v[214:215], v[216:217], v[214:215]
	s_delay_alu instid0(VALU_DEP_1) | instskip(NEXT) | instid1(VALU_DEP_1)
	v_fma_f64 v[216:217], -v[210:211], v[214:215], 1.0
	v_fma_f64 v[214:215], v[214:215], v[216:217], v[214:215]
	v_div_scale_f64 v[216:217], vcc_lo, 1.0, v[208:209], 1.0
	s_delay_alu instid0(VALU_DEP_1) | instskip(NEXT) | instid1(VALU_DEP_1)
	v_mul_f64 v[218:219], v[216:217], v[214:215]
	v_fma_f64 v[210:211], -v[210:211], v[218:219], v[216:217]
	s_delay_alu instid0(VALU_DEP_1) | instskip(NEXT) | instid1(VALU_DEP_1)
	v_div_fmas_f64 v[210:211], v[210:211], v[214:215], v[218:219]
	v_div_fixup_f64 v[214:215], v[210:211], v[208:209], 1.0
                                        ; implicit-def: $vgpr208_vgpr209
	s_delay_alu instid0(VALU_DEP_1)
	v_mul_f64 v[216:217], v[212:213], v[214:215]
	v_xor_b32_e32 v215, 0x80000000, v215
.LBB103_275:
	s_and_not1_saveexec_b32 s3, s3
	s_cbranch_execz .LBB103_277
; %bb.276:
	v_div_scale_f64 v[212:213], null, v[208:209], v[208:209], v[210:211]
	v_div_scale_f64 v[218:219], vcc_lo, v[210:211], v[208:209], v[210:211]
	s_delay_alu instid0(VALU_DEP_2) | instskip(SKIP_2) | instid1(VALU_DEP_1)
	v_rcp_f64_e32 v[214:215], v[212:213]
	s_waitcnt_depctr 0xfff
	v_fma_f64 v[216:217], -v[212:213], v[214:215], 1.0
	v_fma_f64 v[214:215], v[214:215], v[216:217], v[214:215]
	s_delay_alu instid0(VALU_DEP_1) | instskip(NEXT) | instid1(VALU_DEP_1)
	v_fma_f64 v[216:217], -v[212:213], v[214:215], 1.0
	v_fma_f64 v[214:215], v[214:215], v[216:217], v[214:215]
	s_delay_alu instid0(VALU_DEP_1) | instskip(NEXT) | instid1(VALU_DEP_1)
	v_mul_f64 v[216:217], v[218:219], v[214:215]
	v_fma_f64 v[212:213], -v[212:213], v[216:217], v[218:219]
	s_delay_alu instid0(VALU_DEP_1) | instskip(NEXT) | instid1(VALU_DEP_1)
	v_div_fmas_f64 v[212:213], v[212:213], v[214:215], v[216:217]
	v_div_fixup_f64 v[212:213], v[212:213], v[208:209], v[210:211]
	s_delay_alu instid0(VALU_DEP_1) | instskip(NEXT) | instid1(VALU_DEP_1)
	v_fma_f64 v[208:209], v[210:211], v[212:213], v[208:209]
	v_div_scale_f64 v[210:211], null, v[208:209], v[208:209], 1.0
	s_delay_alu instid0(VALU_DEP_1) | instskip(SKIP_2) | instid1(VALU_DEP_1)
	v_rcp_f64_e32 v[214:215], v[210:211]
	s_waitcnt_depctr 0xfff
	v_fma_f64 v[216:217], -v[210:211], v[214:215], 1.0
	v_fma_f64 v[214:215], v[214:215], v[216:217], v[214:215]
	s_delay_alu instid0(VALU_DEP_1) | instskip(NEXT) | instid1(VALU_DEP_1)
	v_fma_f64 v[216:217], -v[210:211], v[214:215], 1.0
	v_fma_f64 v[214:215], v[214:215], v[216:217], v[214:215]
	v_div_scale_f64 v[216:217], vcc_lo, 1.0, v[208:209], 1.0
	s_delay_alu instid0(VALU_DEP_1) | instskip(NEXT) | instid1(VALU_DEP_1)
	v_mul_f64 v[218:219], v[216:217], v[214:215]
	v_fma_f64 v[210:211], -v[210:211], v[218:219], v[216:217]
	s_delay_alu instid0(VALU_DEP_1) | instskip(NEXT) | instid1(VALU_DEP_1)
	v_div_fmas_f64 v[210:211], v[210:211], v[214:215], v[218:219]
	v_div_fixup_f64 v[216:217], v[210:211], v[208:209], 1.0
	s_delay_alu instid0(VALU_DEP_1)
	v_mul_f64 v[214:215], v[212:213], -v[216:217]
.LBB103_277:
	s_or_b32 exec_lo, exec_lo, s3
	ds_store_2addr_b64 v227, v[216:217], v[214:215] offset1:1
.LBB103_278:
	s_or_b32 exec_lo, exec_lo, s4
	s_waitcnt lgkmcnt(0)
	s_barrier
	buffer_gl0_inv
	ds_load_2addr_b64 v[202:205], v227 offset1:1
	s_mov_b32 s3, exec_lo
	s_waitcnt lgkmcnt(0)
	scratch_store_b128 off, v[202:205], off offset:920 ; 16-byte Folded Spill
	v_cmpx_lt_u32_e32 30, v226
	s_cbranch_execz .LBB103_280
; %bb.279:
	scratch_load_b128 v[202:205], off, off offset:920 ; 16-byte Folded Reload
	ds_load_2addr_b64 v[210:213], v228 offset0:62 offset1:63
	s_waitcnt vmcnt(0)
	v_mul_f64 v[208:209], v[204:205], v[86:87]
	v_mul_f64 v[86:87], v[202:203], v[86:87]
	s_delay_alu instid0(VALU_DEP_2) | instskip(NEXT) | instid1(VALU_DEP_2)
	v_fma_f64 v[208:209], v[202:203], v[84:85], -v[208:209]
	v_fma_f64 v[86:87], v[204:205], v[84:85], v[86:87]
	s_waitcnt lgkmcnt(0)
	s_delay_alu instid0(VALU_DEP_1) | instskip(NEXT) | instid1(VALU_DEP_1)
	v_mul_f64 v[84:85], v[212:213], v[86:87]
	v_fma_f64 v[84:85], v[210:211], v[208:209], -v[84:85]
	v_mul_f64 v[210:211], v[210:211], v[86:87]
	s_delay_alu instid0(VALU_DEP_2) | instskip(NEXT) | instid1(VALU_DEP_2)
	v_add_f64 v[80:81], v[80:81], -v[84:85]
	v_fma_f64 v[210:211], v[212:213], v[208:209], v[210:211]
	s_delay_alu instid0(VALU_DEP_1) | instskip(SKIP_3) | instid1(VALU_DEP_1)
	v_add_f64 v[82:83], v[82:83], -v[210:211]
	ds_load_2addr_b64 v[210:213], v228 offset0:64 offset1:65
	s_waitcnt lgkmcnt(0)
	v_mul_f64 v[84:85], v[212:213], v[86:87]
	v_fma_f64 v[84:85], v[210:211], v[208:209], -v[84:85]
	v_mul_f64 v[210:211], v[210:211], v[86:87]
	s_delay_alu instid0(VALU_DEP_2) | instskip(NEXT) | instid1(VALU_DEP_2)
	v_add_f64 v[76:77], v[76:77], -v[84:85]
	v_fma_f64 v[210:211], v[212:213], v[208:209], v[210:211]
	s_delay_alu instid0(VALU_DEP_1) | instskip(SKIP_3) | instid1(VALU_DEP_1)
	v_add_f64 v[78:79], v[78:79], -v[210:211]
	ds_load_2addr_b64 v[210:213], v228 offset0:66 offset1:67
	s_waitcnt lgkmcnt(0)
	;; [unrolled: 10-line block ×20, first 2 shown]
	v_mul_f64 v[84:85], v[212:213], v[86:87]
	v_fma_f64 v[84:85], v[210:211], v[208:209], -v[84:85]
	v_mul_f64 v[210:211], v[210:211], v[86:87]
	s_delay_alu instid0(VALU_DEP_2) | instskip(NEXT) | instid1(VALU_DEP_2)
	v_add_f64 v[0:1], v[0:1], -v[84:85]
	v_fma_f64 v[210:211], v[212:213], v[208:209], v[210:211]
	v_dual_mov_b32 v84, v208 :: v_dual_mov_b32 v85, v209
	s_delay_alu instid0(VALU_DEP_2)
	v_add_f64 v[2:3], v[2:3], -v[210:211]
.LBB103_280:
	s_or_b32 exec_lo, exec_lo, s3
	s_delay_alu instid0(SALU_CYCLE_1)
	s_mov_b32 s4, exec_lo
	s_waitcnt_vscnt null, 0x0
	s_barrier
	buffer_gl0_inv
	v_cmpx_eq_u32_e32 31, v226
	s_cbranch_execz .LBB103_287
; %bb.281:
	ds_store_2addr_b64 v227, v[80:81], v[82:83] offset1:1
	ds_store_2addr_b64 v228, v[76:77], v[78:79] offset0:64 offset1:65
	ds_store_2addr_b64 v228, v[72:73], v[74:75] offset0:66 offset1:67
	ds_store_2addr_b64 v228, v[68:69], v[70:71] offset0:68 offset1:69
	ds_store_2addr_b64 v228, v[64:65], v[66:67] offset0:70 offset1:71
	ds_store_2addr_b64 v228, v[60:61], v[62:63] offset0:72 offset1:73
	ds_store_2addr_b64 v228, v[56:57], v[58:59] offset0:74 offset1:75
	ds_store_2addr_b64 v228, v[52:53], v[54:55] offset0:76 offset1:77
	ds_store_2addr_b64 v228, v[48:49], v[50:51] offset0:78 offset1:79
	ds_store_2addr_b64 v228, v[44:45], v[46:47] offset0:80 offset1:81
	ds_store_2addr_b64 v228, v[40:41], v[42:43] offset0:82 offset1:83
	ds_store_2addr_b64 v228, v[36:37], v[38:39] offset0:84 offset1:85
	ds_store_2addr_b64 v228, v[32:33], v[34:35] offset0:86 offset1:87
	ds_store_2addr_b64 v228, v[28:29], v[30:31] offset0:88 offset1:89
	ds_store_2addr_b64 v228, v[24:25], v[26:27] offset0:90 offset1:91
	ds_store_2addr_b64 v228, v[20:21], v[22:23] offset0:92 offset1:93
	ds_store_2addr_b64 v228, v[16:17], v[18:19] offset0:94 offset1:95
	ds_store_2addr_b64 v228, v[12:13], v[14:15] offset0:96 offset1:97
	ds_store_2addr_b64 v228, v[8:9], v[10:11] offset0:98 offset1:99
	ds_store_2addr_b64 v228, v[4:5], v[6:7] offset0:100 offset1:101
	ds_store_2addr_b64 v228, v[0:1], v[2:3] offset0:102 offset1:103
	ds_load_2addr_b64 v[208:211], v227 offset1:1
	s_waitcnt lgkmcnt(0)
	v_cmp_neq_f64_e32 vcc_lo, 0, v[208:209]
	v_cmp_neq_f64_e64 s3, 0, v[210:211]
	s_delay_alu instid0(VALU_DEP_1) | instskip(NEXT) | instid1(SALU_CYCLE_1)
	s_or_b32 s3, vcc_lo, s3
	s_and_b32 exec_lo, exec_lo, s3
	s_cbranch_execz .LBB103_287
; %bb.282:
	v_cmp_gt_f64_e32 vcc_lo, 0, v[208:209]
	v_xor_b32_e32 v204, 0x80000000, v209
	s_mov_b32 s3, exec_lo
                                        ; implicit-def: $vgpr216_vgpr217
	s_delay_alu instid0(VALU_DEP_1) | instskip(SKIP_3) | instid1(VALU_DEP_1)
	v_cndmask_b32_e32 v213, v209, v204, vcc_lo
	v_cndmask_b32_e32 v212, v208, v208, vcc_lo
	v_cmp_gt_f64_e32 vcc_lo, 0, v[210:211]
	v_xor_b32_e32 v204, 0x80000000, v211
	v_dual_cndmask_b32 v214, v210, v210 :: v_dual_cndmask_b32 v215, v211, v204
	s_delay_alu instid0(VALU_DEP_1)
	v_cmpx_ngt_f64_e32 v[212:213], v[214:215]
	s_xor_b32 s3, exec_lo, s3
                                        ; implicit-def: $vgpr212_vgpr213_vgpr214_vgpr215
	s_cbranch_execz .LBB103_284
; %bb.283:
	v_div_scale_f64 v[212:213], null, v[210:211], v[210:211], v[208:209]
	v_div_scale_f64 v[218:219], vcc_lo, v[208:209], v[210:211], v[208:209]
	s_delay_alu instid0(VALU_DEP_2) | instskip(SKIP_2) | instid1(VALU_DEP_1)
	v_rcp_f64_e32 v[214:215], v[212:213]
	s_waitcnt_depctr 0xfff
	v_fma_f64 v[216:217], -v[212:213], v[214:215], 1.0
	v_fma_f64 v[214:215], v[214:215], v[216:217], v[214:215]
	s_delay_alu instid0(VALU_DEP_1) | instskip(NEXT) | instid1(VALU_DEP_1)
	v_fma_f64 v[216:217], -v[212:213], v[214:215], 1.0
	v_fma_f64 v[214:215], v[214:215], v[216:217], v[214:215]
	s_delay_alu instid0(VALU_DEP_1) | instskip(NEXT) | instid1(VALU_DEP_1)
	v_mul_f64 v[216:217], v[218:219], v[214:215]
	v_fma_f64 v[212:213], -v[212:213], v[216:217], v[218:219]
	s_delay_alu instid0(VALU_DEP_1) | instskip(NEXT) | instid1(VALU_DEP_1)
	v_div_fmas_f64 v[212:213], v[212:213], v[214:215], v[216:217]
	v_div_fixup_f64 v[212:213], v[212:213], v[210:211], v[208:209]
	s_delay_alu instid0(VALU_DEP_1) | instskip(NEXT) | instid1(VALU_DEP_1)
	v_fma_f64 v[208:209], v[208:209], v[212:213], v[210:211]
	v_div_scale_f64 v[210:211], null, v[208:209], v[208:209], 1.0
	s_delay_alu instid0(VALU_DEP_1) | instskip(SKIP_2) | instid1(VALU_DEP_1)
	v_rcp_f64_e32 v[214:215], v[210:211]
	s_waitcnt_depctr 0xfff
	v_fma_f64 v[216:217], -v[210:211], v[214:215], 1.0
	v_fma_f64 v[214:215], v[214:215], v[216:217], v[214:215]
	s_delay_alu instid0(VALU_DEP_1) | instskip(NEXT) | instid1(VALU_DEP_1)
	v_fma_f64 v[216:217], -v[210:211], v[214:215], 1.0
	v_fma_f64 v[214:215], v[214:215], v[216:217], v[214:215]
	v_div_scale_f64 v[216:217], vcc_lo, 1.0, v[208:209], 1.0
	s_delay_alu instid0(VALU_DEP_1) | instskip(NEXT) | instid1(VALU_DEP_1)
	v_mul_f64 v[218:219], v[216:217], v[214:215]
	v_fma_f64 v[210:211], -v[210:211], v[218:219], v[216:217]
	s_delay_alu instid0(VALU_DEP_1) | instskip(NEXT) | instid1(VALU_DEP_1)
	v_div_fmas_f64 v[210:211], v[210:211], v[214:215], v[218:219]
	v_div_fixup_f64 v[214:215], v[210:211], v[208:209], 1.0
                                        ; implicit-def: $vgpr208_vgpr209
	s_delay_alu instid0(VALU_DEP_1)
	v_mul_f64 v[216:217], v[212:213], v[214:215]
	v_xor_b32_e32 v215, 0x80000000, v215
.LBB103_284:
	s_and_not1_saveexec_b32 s3, s3
	s_cbranch_execz .LBB103_286
; %bb.285:
	v_div_scale_f64 v[212:213], null, v[208:209], v[208:209], v[210:211]
	v_div_scale_f64 v[218:219], vcc_lo, v[210:211], v[208:209], v[210:211]
	s_delay_alu instid0(VALU_DEP_2) | instskip(SKIP_2) | instid1(VALU_DEP_1)
	v_rcp_f64_e32 v[214:215], v[212:213]
	s_waitcnt_depctr 0xfff
	v_fma_f64 v[216:217], -v[212:213], v[214:215], 1.0
	v_fma_f64 v[214:215], v[214:215], v[216:217], v[214:215]
	s_delay_alu instid0(VALU_DEP_1) | instskip(NEXT) | instid1(VALU_DEP_1)
	v_fma_f64 v[216:217], -v[212:213], v[214:215], 1.0
	v_fma_f64 v[214:215], v[214:215], v[216:217], v[214:215]
	s_delay_alu instid0(VALU_DEP_1) | instskip(NEXT) | instid1(VALU_DEP_1)
	v_mul_f64 v[216:217], v[218:219], v[214:215]
	v_fma_f64 v[212:213], -v[212:213], v[216:217], v[218:219]
	s_delay_alu instid0(VALU_DEP_1) | instskip(NEXT) | instid1(VALU_DEP_1)
	v_div_fmas_f64 v[212:213], v[212:213], v[214:215], v[216:217]
	v_div_fixup_f64 v[212:213], v[212:213], v[208:209], v[210:211]
	s_delay_alu instid0(VALU_DEP_1) | instskip(NEXT) | instid1(VALU_DEP_1)
	v_fma_f64 v[208:209], v[210:211], v[212:213], v[208:209]
	v_div_scale_f64 v[210:211], null, v[208:209], v[208:209], 1.0
	s_delay_alu instid0(VALU_DEP_1) | instskip(SKIP_2) | instid1(VALU_DEP_1)
	v_rcp_f64_e32 v[214:215], v[210:211]
	s_waitcnt_depctr 0xfff
	v_fma_f64 v[216:217], -v[210:211], v[214:215], 1.0
	v_fma_f64 v[214:215], v[214:215], v[216:217], v[214:215]
	s_delay_alu instid0(VALU_DEP_1) | instskip(NEXT) | instid1(VALU_DEP_1)
	v_fma_f64 v[216:217], -v[210:211], v[214:215], 1.0
	v_fma_f64 v[214:215], v[214:215], v[216:217], v[214:215]
	v_div_scale_f64 v[216:217], vcc_lo, 1.0, v[208:209], 1.0
	s_delay_alu instid0(VALU_DEP_1) | instskip(NEXT) | instid1(VALU_DEP_1)
	v_mul_f64 v[218:219], v[216:217], v[214:215]
	v_fma_f64 v[210:211], -v[210:211], v[218:219], v[216:217]
	s_delay_alu instid0(VALU_DEP_1) | instskip(NEXT) | instid1(VALU_DEP_1)
	v_div_fmas_f64 v[210:211], v[210:211], v[214:215], v[218:219]
	v_div_fixup_f64 v[216:217], v[210:211], v[208:209], 1.0
	s_delay_alu instid0(VALU_DEP_1)
	v_mul_f64 v[214:215], v[212:213], -v[216:217]
.LBB103_286:
	s_or_b32 exec_lo, exec_lo, s3
	ds_store_2addr_b64 v227, v[216:217], v[214:215] offset1:1
.LBB103_287:
	s_or_b32 exec_lo, exec_lo, s4
	s_waitcnt lgkmcnt(0)
	s_barrier
	buffer_gl0_inv
	ds_load_2addr_b64 v[202:205], v227 offset1:1
	s_mov_b32 s3, exec_lo
	s_waitcnt lgkmcnt(0)
	scratch_store_b128 off, v[202:205], off offset:936 ; 16-byte Folded Spill
	v_cmpx_lt_u32_e32 31, v226
	s_cbranch_execz .LBB103_289
; %bb.288:
	scratch_load_b128 v[202:205], off, off offset:936 ; 16-byte Folded Reload
	ds_load_2addr_b64 v[210:213], v228 offset0:64 offset1:65
	s_waitcnt vmcnt(0)
	v_mul_f64 v[208:209], v[204:205], v[82:83]
	v_mul_f64 v[82:83], v[202:203], v[82:83]
	s_delay_alu instid0(VALU_DEP_2) | instskip(NEXT) | instid1(VALU_DEP_2)
	v_fma_f64 v[208:209], v[202:203], v[80:81], -v[208:209]
	v_fma_f64 v[82:83], v[204:205], v[80:81], v[82:83]
	s_waitcnt lgkmcnt(0)
	s_delay_alu instid0(VALU_DEP_1) | instskip(NEXT) | instid1(VALU_DEP_1)
	v_mul_f64 v[80:81], v[212:213], v[82:83]
	v_fma_f64 v[80:81], v[210:211], v[208:209], -v[80:81]
	v_mul_f64 v[210:211], v[210:211], v[82:83]
	s_delay_alu instid0(VALU_DEP_2) | instskip(NEXT) | instid1(VALU_DEP_2)
	v_add_f64 v[76:77], v[76:77], -v[80:81]
	v_fma_f64 v[210:211], v[212:213], v[208:209], v[210:211]
	s_delay_alu instid0(VALU_DEP_1) | instskip(SKIP_3) | instid1(VALU_DEP_1)
	v_add_f64 v[78:79], v[78:79], -v[210:211]
	ds_load_2addr_b64 v[210:213], v228 offset0:66 offset1:67
	s_waitcnt lgkmcnt(0)
	v_mul_f64 v[80:81], v[212:213], v[82:83]
	v_fma_f64 v[80:81], v[210:211], v[208:209], -v[80:81]
	v_mul_f64 v[210:211], v[210:211], v[82:83]
	s_delay_alu instid0(VALU_DEP_2) | instskip(NEXT) | instid1(VALU_DEP_2)
	v_add_f64 v[72:73], v[72:73], -v[80:81]
	v_fma_f64 v[210:211], v[212:213], v[208:209], v[210:211]
	s_delay_alu instid0(VALU_DEP_1) | instskip(SKIP_3) | instid1(VALU_DEP_1)
	v_add_f64 v[74:75], v[74:75], -v[210:211]
	ds_load_2addr_b64 v[210:213], v228 offset0:68 offset1:69
	s_waitcnt lgkmcnt(0)
	;; [unrolled: 10-line block ×19, first 2 shown]
	v_mul_f64 v[80:81], v[212:213], v[82:83]
	v_fma_f64 v[80:81], v[210:211], v[208:209], -v[80:81]
	v_mul_f64 v[210:211], v[210:211], v[82:83]
	s_delay_alu instid0(VALU_DEP_2) | instskip(NEXT) | instid1(VALU_DEP_2)
	v_add_f64 v[0:1], v[0:1], -v[80:81]
	v_fma_f64 v[210:211], v[212:213], v[208:209], v[210:211]
	v_dual_mov_b32 v80, v208 :: v_dual_mov_b32 v81, v209
	s_delay_alu instid0(VALU_DEP_2)
	v_add_f64 v[2:3], v[2:3], -v[210:211]
.LBB103_289:
	s_or_b32 exec_lo, exec_lo, s3
	s_delay_alu instid0(SALU_CYCLE_1)
	s_mov_b32 s4, exec_lo
	s_waitcnt_vscnt null, 0x0
	s_barrier
	buffer_gl0_inv
	v_cmpx_eq_u32_e32 32, v226
	s_cbranch_execz .LBB103_296
; %bb.290:
	ds_store_2addr_b64 v227, v[76:77], v[78:79] offset1:1
	ds_store_2addr_b64 v228, v[72:73], v[74:75] offset0:66 offset1:67
	ds_store_2addr_b64 v228, v[68:69], v[70:71] offset0:68 offset1:69
	ds_store_2addr_b64 v228, v[64:65], v[66:67] offset0:70 offset1:71
	ds_store_2addr_b64 v228, v[60:61], v[62:63] offset0:72 offset1:73
	ds_store_2addr_b64 v228, v[56:57], v[58:59] offset0:74 offset1:75
	ds_store_2addr_b64 v228, v[52:53], v[54:55] offset0:76 offset1:77
	ds_store_2addr_b64 v228, v[48:49], v[50:51] offset0:78 offset1:79
	ds_store_2addr_b64 v228, v[44:45], v[46:47] offset0:80 offset1:81
	ds_store_2addr_b64 v228, v[40:41], v[42:43] offset0:82 offset1:83
	ds_store_2addr_b64 v228, v[36:37], v[38:39] offset0:84 offset1:85
	ds_store_2addr_b64 v228, v[32:33], v[34:35] offset0:86 offset1:87
	ds_store_2addr_b64 v228, v[28:29], v[30:31] offset0:88 offset1:89
	ds_store_2addr_b64 v228, v[24:25], v[26:27] offset0:90 offset1:91
	ds_store_2addr_b64 v228, v[20:21], v[22:23] offset0:92 offset1:93
	ds_store_2addr_b64 v228, v[16:17], v[18:19] offset0:94 offset1:95
	ds_store_2addr_b64 v228, v[12:13], v[14:15] offset0:96 offset1:97
	ds_store_2addr_b64 v228, v[8:9], v[10:11] offset0:98 offset1:99
	ds_store_2addr_b64 v228, v[4:5], v[6:7] offset0:100 offset1:101
	ds_store_2addr_b64 v228, v[0:1], v[2:3] offset0:102 offset1:103
	ds_load_2addr_b64 v[208:211], v227 offset1:1
	s_waitcnt lgkmcnt(0)
	v_cmp_neq_f64_e32 vcc_lo, 0, v[208:209]
	v_cmp_neq_f64_e64 s3, 0, v[210:211]
	s_delay_alu instid0(VALU_DEP_1) | instskip(NEXT) | instid1(SALU_CYCLE_1)
	s_or_b32 s3, vcc_lo, s3
	s_and_b32 exec_lo, exec_lo, s3
	s_cbranch_execz .LBB103_296
; %bb.291:
	v_cmp_gt_f64_e32 vcc_lo, 0, v[208:209]
	v_xor_b32_e32 v204, 0x80000000, v209
	s_mov_b32 s3, exec_lo
                                        ; implicit-def: $vgpr216_vgpr217
	s_delay_alu instid0(VALU_DEP_1) | instskip(SKIP_3) | instid1(VALU_DEP_1)
	v_cndmask_b32_e32 v213, v209, v204, vcc_lo
	v_cndmask_b32_e32 v212, v208, v208, vcc_lo
	v_cmp_gt_f64_e32 vcc_lo, 0, v[210:211]
	v_xor_b32_e32 v204, 0x80000000, v211
	v_dual_cndmask_b32 v214, v210, v210 :: v_dual_cndmask_b32 v215, v211, v204
	s_delay_alu instid0(VALU_DEP_1)
	v_cmpx_ngt_f64_e32 v[212:213], v[214:215]
	s_xor_b32 s3, exec_lo, s3
                                        ; implicit-def: $vgpr212_vgpr213_vgpr214_vgpr215
	s_cbranch_execz .LBB103_293
; %bb.292:
	v_div_scale_f64 v[212:213], null, v[210:211], v[210:211], v[208:209]
	v_div_scale_f64 v[218:219], vcc_lo, v[208:209], v[210:211], v[208:209]
	s_delay_alu instid0(VALU_DEP_2) | instskip(SKIP_2) | instid1(VALU_DEP_1)
	v_rcp_f64_e32 v[214:215], v[212:213]
	s_waitcnt_depctr 0xfff
	v_fma_f64 v[216:217], -v[212:213], v[214:215], 1.0
	v_fma_f64 v[214:215], v[214:215], v[216:217], v[214:215]
	s_delay_alu instid0(VALU_DEP_1) | instskip(NEXT) | instid1(VALU_DEP_1)
	v_fma_f64 v[216:217], -v[212:213], v[214:215], 1.0
	v_fma_f64 v[214:215], v[214:215], v[216:217], v[214:215]
	s_delay_alu instid0(VALU_DEP_1) | instskip(NEXT) | instid1(VALU_DEP_1)
	v_mul_f64 v[216:217], v[218:219], v[214:215]
	v_fma_f64 v[212:213], -v[212:213], v[216:217], v[218:219]
	s_delay_alu instid0(VALU_DEP_1) | instskip(NEXT) | instid1(VALU_DEP_1)
	v_div_fmas_f64 v[212:213], v[212:213], v[214:215], v[216:217]
	v_div_fixup_f64 v[212:213], v[212:213], v[210:211], v[208:209]
	s_delay_alu instid0(VALU_DEP_1) | instskip(NEXT) | instid1(VALU_DEP_1)
	v_fma_f64 v[208:209], v[208:209], v[212:213], v[210:211]
	v_div_scale_f64 v[210:211], null, v[208:209], v[208:209], 1.0
	s_delay_alu instid0(VALU_DEP_1) | instskip(SKIP_2) | instid1(VALU_DEP_1)
	v_rcp_f64_e32 v[214:215], v[210:211]
	s_waitcnt_depctr 0xfff
	v_fma_f64 v[216:217], -v[210:211], v[214:215], 1.0
	v_fma_f64 v[214:215], v[214:215], v[216:217], v[214:215]
	s_delay_alu instid0(VALU_DEP_1) | instskip(NEXT) | instid1(VALU_DEP_1)
	v_fma_f64 v[216:217], -v[210:211], v[214:215], 1.0
	v_fma_f64 v[214:215], v[214:215], v[216:217], v[214:215]
	v_div_scale_f64 v[216:217], vcc_lo, 1.0, v[208:209], 1.0
	s_delay_alu instid0(VALU_DEP_1) | instskip(NEXT) | instid1(VALU_DEP_1)
	v_mul_f64 v[218:219], v[216:217], v[214:215]
	v_fma_f64 v[210:211], -v[210:211], v[218:219], v[216:217]
	s_delay_alu instid0(VALU_DEP_1) | instskip(NEXT) | instid1(VALU_DEP_1)
	v_div_fmas_f64 v[210:211], v[210:211], v[214:215], v[218:219]
	v_div_fixup_f64 v[214:215], v[210:211], v[208:209], 1.0
                                        ; implicit-def: $vgpr208_vgpr209
	s_delay_alu instid0(VALU_DEP_1)
	v_mul_f64 v[216:217], v[212:213], v[214:215]
	v_xor_b32_e32 v215, 0x80000000, v215
.LBB103_293:
	s_and_not1_saveexec_b32 s3, s3
	s_cbranch_execz .LBB103_295
; %bb.294:
	v_div_scale_f64 v[212:213], null, v[208:209], v[208:209], v[210:211]
	v_div_scale_f64 v[218:219], vcc_lo, v[210:211], v[208:209], v[210:211]
	s_delay_alu instid0(VALU_DEP_2) | instskip(SKIP_2) | instid1(VALU_DEP_1)
	v_rcp_f64_e32 v[214:215], v[212:213]
	s_waitcnt_depctr 0xfff
	v_fma_f64 v[216:217], -v[212:213], v[214:215], 1.0
	v_fma_f64 v[214:215], v[214:215], v[216:217], v[214:215]
	s_delay_alu instid0(VALU_DEP_1) | instskip(NEXT) | instid1(VALU_DEP_1)
	v_fma_f64 v[216:217], -v[212:213], v[214:215], 1.0
	v_fma_f64 v[214:215], v[214:215], v[216:217], v[214:215]
	s_delay_alu instid0(VALU_DEP_1) | instskip(NEXT) | instid1(VALU_DEP_1)
	v_mul_f64 v[216:217], v[218:219], v[214:215]
	v_fma_f64 v[212:213], -v[212:213], v[216:217], v[218:219]
	s_delay_alu instid0(VALU_DEP_1) | instskip(NEXT) | instid1(VALU_DEP_1)
	v_div_fmas_f64 v[212:213], v[212:213], v[214:215], v[216:217]
	v_div_fixup_f64 v[212:213], v[212:213], v[208:209], v[210:211]
	s_delay_alu instid0(VALU_DEP_1) | instskip(NEXT) | instid1(VALU_DEP_1)
	v_fma_f64 v[208:209], v[210:211], v[212:213], v[208:209]
	v_div_scale_f64 v[210:211], null, v[208:209], v[208:209], 1.0
	s_delay_alu instid0(VALU_DEP_1) | instskip(SKIP_2) | instid1(VALU_DEP_1)
	v_rcp_f64_e32 v[214:215], v[210:211]
	s_waitcnt_depctr 0xfff
	v_fma_f64 v[216:217], -v[210:211], v[214:215], 1.0
	v_fma_f64 v[214:215], v[214:215], v[216:217], v[214:215]
	s_delay_alu instid0(VALU_DEP_1) | instskip(NEXT) | instid1(VALU_DEP_1)
	v_fma_f64 v[216:217], -v[210:211], v[214:215], 1.0
	v_fma_f64 v[214:215], v[214:215], v[216:217], v[214:215]
	v_div_scale_f64 v[216:217], vcc_lo, 1.0, v[208:209], 1.0
	s_delay_alu instid0(VALU_DEP_1) | instskip(NEXT) | instid1(VALU_DEP_1)
	v_mul_f64 v[218:219], v[216:217], v[214:215]
	v_fma_f64 v[210:211], -v[210:211], v[218:219], v[216:217]
	s_delay_alu instid0(VALU_DEP_1) | instskip(NEXT) | instid1(VALU_DEP_1)
	v_div_fmas_f64 v[210:211], v[210:211], v[214:215], v[218:219]
	v_div_fixup_f64 v[216:217], v[210:211], v[208:209], 1.0
	s_delay_alu instid0(VALU_DEP_1)
	v_mul_f64 v[214:215], v[212:213], -v[216:217]
.LBB103_295:
	s_or_b32 exec_lo, exec_lo, s3
	ds_store_2addr_b64 v227, v[216:217], v[214:215] offset1:1
.LBB103_296:
	s_or_b32 exec_lo, exec_lo, s4
	s_waitcnt lgkmcnt(0)
	s_barrier
	buffer_gl0_inv
	ds_load_2addr_b64 v[202:205], v227 offset1:1
	s_mov_b32 s3, exec_lo
	s_waitcnt lgkmcnt(0)
	scratch_store_b128 off, v[202:205], off offset:952 ; 16-byte Folded Spill
	v_cmpx_lt_u32_e32 32, v226
	s_cbranch_execz .LBB103_298
; %bb.297:
	scratch_load_b128 v[202:205], off, off offset:952 ; 16-byte Folded Reload
	ds_load_2addr_b64 v[210:213], v228 offset0:66 offset1:67
	s_waitcnt vmcnt(0)
	v_mul_f64 v[208:209], v[204:205], v[78:79]
	v_mul_f64 v[78:79], v[202:203], v[78:79]
	s_delay_alu instid0(VALU_DEP_2) | instskip(NEXT) | instid1(VALU_DEP_2)
	v_fma_f64 v[208:209], v[202:203], v[76:77], -v[208:209]
	v_fma_f64 v[78:79], v[204:205], v[76:77], v[78:79]
	s_waitcnt lgkmcnt(0)
	s_delay_alu instid0(VALU_DEP_1) | instskip(NEXT) | instid1(VALU_DEP_1)
	v_mul_f64 v[76:77], v[212:213], v[78:79]
	v_fma_f64 v[76:77], v[210:211], v[208:209], -v[76:77]
	v_mul_f64 v[210:211], v[210:211], v[78:79]
	s_delay_alu instid0(VALU_DEP_2) | instskip(NEXT) | instid1(VALU_DEP_2)
	v_add_f64 v[72:73], v[72:73], -v[76:77]
	v_fma_f64 v[210:211], v[212:213], v[208:209], v[210:211]
	s_delay_alu instid0(VALU_DEP_1) | instskip(SKIP_3) | instid1(VALU_DEP_1)
	v_add_f64 v[74:75], v[74:75], -v[210:211]
	ds_load_2addr_b64 v[210:213], v228 offset0:68 offset1:69
	s_waitcnt lgkmcnt(0)
	v_mul_f64 v[76:77], v[212:213], v[78:79]
	v_fma_f64 v[76:77], v[210:211], v[208:209], -v[76:77]
	v_mul_f64 v[210:211], v[210:211], v[78:79]
	s_delay_alu instid0(VALU_DEP_2) | instskip(NEXT) | instid1(VALU_DEP_2)
	v_add_f64 v[68:69], v[68:69], -v[76:77]
	v_fma_f64 v[210:211], v[212:213], v[208:209], v[210:211]
	s_delay_alu instid0(VALU_DEP_1) | instskip(SKIP_3) | instid1(VALU_DEP_1)
	v_add_f64 v[70:71], v[70:71], -v[210:211]
	ds_load_2addr_b64 v[210:213], v228 offset0:70 offset1:71
	s_waitcnt lgkmcnt(0)
	;; [unrolled: 10-line block ×18, first 2 shown]
	v_mul_f64 v[76:77], v[212:213], v[78:79]
	v_fma_f64 v[76:77], v[210:211], v[208:209], -v[76:77]
	v_mul_f64 v[210:211], v[210:211], v[78:79]
	s_delay_alu instid0(VALU_DEP_2) | instskip(NEXT) | instid1(VALU_DEP_2)
	v_add_f64 v[0:1], v[0:1], -v[76:77]
	v_fma_f64 v[210:211], v[212:213], v[208:209], v[210:211]
	v_dual_mov_b32 v76, v208 :: v_dual_mov_b32 v77, v209
	s_delay_alu instid0(VALU_DEP_2)
	v_add_f64 v[2:3], v[2:3], -v[210:211]
.LBB103_298:
	s_or_b32 exec_lo, exec_lo, s3
	s_delay_alu instid0(SALU_CYCLE_1)
	s_mov_b32 s4, exec_lo
	s_waitcnt_vscnt null, 0x0
	s_barrier
	buffer_gl0_inv
	v_cmpx_eq_u32_e32 33, v226
	s_cbranch_execz .LBB103_305
; %bb.299:
	ds_store_2addr_b64 v227, v[72:73], v[74:75] offset1:1
	ds_store_2addr_b64 v228, v[68:69], v[70:71] offset0:68 offset1:69
	ds_store_2addr_b64 v228, v[64:65], v[66:67] offset0:70 offset1:71
	;; [unrolled: 1-line block ×18, first 2 shown]
	ds_load_2addr_b64 v[208:211], v227 offset1:1
	s_waitcnt lgkmcnt(0)
	v_cmp_neq_f64_e32 vcc_lo, 0, v[208:209]
	v_cmp_neq_f64_e64 s3, 0, v[210:211]
	s_delay_alu instid0(VALU_DEP_1) | instskip(NEXT) | instid1(SALU_CYCLE_1)
	s_or_b32 s3, vcc_lo, s3
	s_and_b32 exec_lo, exec_lo, s3
	s_cbranch_execz .LBB103_305
; %bb.300:
	v_cmp_gt_f64_e32 vcc_lo, 0, v[208:209]
	v_xor_b32_e32 v204, 0x80000000, v209
	s_mov_b32 s3, exec_lo
                                        ; implicit-def: $vgpr216_vgpr217
	s_delay_alu instid0(VALU_DEP_1) | instskip(SKIP_3) | instid1(VALU_DEP_1)
	v_cndmask_b32_e32 v213, v209, v204, vcc_lo
	v_cndmask_b32_e32 v212, v208, v208, vcc_lo
	v_cmp_gt_f64_e32 vcc_lo, 0, v[210:211]
	v_xor_b32_e32 v204, 0x80000000, v211
	v_dual_cndmask_b32 v214, v210, v210 :: v_dual_cndmask_b32 v215, v211, v204
	s_delay_alu instid0(VALU_DEP_1)
	v_cmpx_ngt_f64_e32 v[212:213], v[214:215]
	s_xor_b32 s3, exec_lo, s3
                                        ; implicit-def: $vgpr212_vgpr213_vgpr214_vgpr215
	s_cbranch_execz .LBB103_302
; %bb.301:
	v_div_scale_f64 v[212:213], null, v[210:211], v[210:211], v[208:209]
	v_div_scale_f64 v[218:219], vcc_lo, v[208:209], v[210:211], v[208:209]
	s_delay_alu instid0(VALU_DEP_2) | instskip(SKIP_2) | instid1(VALU_DEP_1)
	v_rcp_f64_e32 v[214:215], v[212:213]
	s_waitcnt_depctr 0xfff
	v_fma_f64 v[216:217], -v[212:213], v[214:215], 1.0
	v_fma_f64 v[214:215], v[214:215], v[216:217], v[214:215]
	s_delay_alu instid0(VALU_DEP_1) | instskip(NEXT) | instid1(VALU_DEP_1)
	v_fma_f64 v[216:217], -v[212:213], v[214:215], 1.0
	v_fma_f64 v[214:215], v[214:215], v[216:217], v[214:215]
	s_delay_alu instid0(VALU_DEP_1) | instskip(NEXT) | instid1(VALU_DEP_1)
	v_mul_f64 v[216:217], v[218:219], v[214:215]
	v_fma_f64 v[212:213], -v[212:213], v[216:217], v[218:219]
	s_delay_alu instid0(VALU_DEP_1) | instskip(NEXT) | instid1(VALU_DEP_1)
	v_div_fmas_f64 v[212:213], v[212:213], v[214:215], v[216:217]
	v_div_fixup_f64 v[212:213], v[212:213], v[210:211], v[208:209]
	s_delay_alu instid0(VALU_DEP_1) | instskip(NEXT) | instid1(VALU_DEP_1)
	v_fma_f64 v[208:209], v[208:209], v[212:213], v[210:211]
	v_div_scale_f64 v[210:211], null, v[208:209], v[208:209], 1.0
	s_delay_alu instid0(VALU_DEP_1) | instskip(SKIP_2) | instid1(VALU_DEP_1)
	v_rcp_f64_e32 v[214:215], v[210:211]
	s_waitcnt_depctr 0xfff
	v_fma_f64 v[216:217], -v[210:211], v[214:215], 1.0
	v_fma_f64 v[214:215], v[214:215], v[216:217], v[214:215]
	s_delay_alu instid0(VALU_DEP_1) | instskip(NEXT) | instid1(VALU_DEP_1)
	v_fma_f64 v[216:217], -v[210:211], v[214:215], 1.0
	v_fma_f64 v[214:215], v[214:215], v[216:217], v[214:215]
	v_div_scale_f64 v[216:217], vcc_lo, 1.0, v[208:209], 1.0
	s_delay_alu instid0(VALU_DEP_1) | instskip(NEXT) | instid1(VALU_DEP_1)
	v_mul_f64 v[218:219], v[216:217], v[214:215]
	v_fma_f64 v[210:211], -v[210:211], v[218:219], v[216:217]
	s_delay_alu instid0(VALU_DEP_1) | instskip(NEXT) | instid1(VALU_DEP_1)
	v_div_fmas_f64 v[210:211], v[210:211], v[214:215], v[218:219]
	v_div_fixup_f64 v[214:215], v[210:211], v[208:209], 1.0
                                        ; implicit-def: $vgpr208_vgpr209
	s_delay_alu instid0(VALU_DEP_1)
	v_mul_f64 v[216:217], v[212:213], v[214:215]
	v_xor_b32_e32 v215, 0x80000000, v215
.LBB103_302:
	s_and_not1_saveexec_b32 s3, s3
	s_cbranch_execz .LBB103_304
; %bb.303:
	v_div_scale_f64 v[212:213], null, v[208:209], v[208:209], v[210:211]
	v_div_scale_f64 v[218:219], vcc_lo, v[210:211], v[208:209], v[210:211]
	s_delay_alu instid0(VALU_DEP_2) | instskip(SKIP_2) | instid1(VALU_DEP_1)
	v_rcp_f64_e32 v[214:215], v[212:213]
	s_waitcnt_depctr 0xfff
	v_fma_f64 v[216:217], -v[212:213], v[214:215], 1.0
	v_fma_f64 v[214:215], v[214:215], v[216:217], v[214:215]
	s_delay_alu instid0(VALU_DEP_1) | instskip(NEXT) | instid1(VALU_DEP_1)
	v_fma_f64 v[216:217], -v[212:213], v[214:215], 1.0
	v_fma_f64 v[214:215], v[214:215], v[216:217], v[214:215]
	s_delay_alu instid0(VALU_DEP_1) | instskip(NEXT) | instid1(VALU_DEP_1)
	v_mul_f64 v[216:217], v[218:219], v[214:215]
	v_fma_f64 v[212:213], -v[212:213], v[216:217], v[218:219]
	s_delay_alu instid0(VALU_DEP_1) | instskip(NEXT) | instid1(VALU_DEP_1)
	v_div_fmas_f64 v[212:213], v[212:213], v[214:215], v[216:217]
	v_div_fixup_f64 v[212:213], v[212:213], v[208:209], v[210:211]
	s_delay_alu instid0(VALU_DEP_1) | instskip(NEXT) | instid1(VALU_DEP_1)
	v_fma_f64 v[208:209], v[210:211], v[212:213], v[208:209]
	v_div_scale_f64 v[210:211], null, v[208:209], v[208:209], 1.0
	s_delay_alu instid0(VALU_DEP_1) | instskip(SKIP_2) | instid1(VALU_DEP_1)
	v_rcp_f64_e32 v[214:215], v[210:211]
	s_waitcnt_depctr 0xfff
	v_fma_f64 v[216:217], -v[210:211], v[214:215], 1.0
	v_fma_f64 v[214:215], v[214:215], v[216:217], v[214:215]
	s_delay_alu instid0(VALU_DEP_1) | instskip(NEXT) | instid1(VALU_DEP_1)
	v_fma_f64 v[216:217], -v[210:211], v[214:215], 1.0
	v_fma_f64 v[214:215], v[214:215], v[216:217], v[214:215]
	v_div_scale_f64 v[216:217], vcc_lo, 1.0, v[208:209], 1.0
	s_delay_alu instid0(VALU_DEP_1) | instskip(NEXT) | instid1(VALU_DEP_1)
	v_mul_f64 v[218:219], v[216:217], v[214:215]
	v_fma_f64 v[210:211], -v[210:211], v[218:219], v[216:217]
	s_delay_alu instid0(VALU_DEP_1) | instskip(NEXT) | instid1(VALU_DEP_1)
	v_div_fmas_f64 v[210:211], v[210:211], v[214:215], v[218:219]
	v_div_fixup_f64 v[216:217], v[210:211], v[208:209], 1.0
	s_delay_alu instid0(VALU_DEP_1)
	v_mul_f64 v[214:215], v[212:213], -v[216:217]
.LBB103_304:
	s_or_b32 exec_lo, exec_lo, s3
	ds_store_2addr_b64 v227, v[216:217], v[214:215] offset1:1
.LBB103_305:
	s_or_b32 exec_lo, exec_lo, s4
	s_waitcnt lgkmcnt(0)
	s_barrier
	buffer_gl0_inv
	ds_load_2addr_b64 v[202:205], v227 offset1:1
	s_mov_b32 s3, exec_lo
	s_waitcnt lgkmcnt(0)
	scratch_store_b128 off, v[202:205], off offset:968 ; 16-byte Folded Spill
	v_cmpx_lt_u32_e32 33, v226
	s_cbranch_execz .LBB103_307
; %bb.306:
	scratch_load_b128 v[202:205], off, off offset:968 ; 16-byte Folded Reload
	ds_load_2addr_b64 v[210:213], v228 offset0:68 offset1:69
	s_waitcnt vmcnt(0)
	v_mul_f64 v[208:209], v[204:205], v[74:75]
	v_mul_f64 v[74:75], v[202:203], v[74:75]
	s_delay_alu instid0(VALU_DEP_2) | instskip(NEXT) | instid1(VALU_DEP_2)
	v_fma_f64 v[208:209], v[202:203], v[72:73], -v[208:209]
	v_fma_f64 v[74:75], v[204:205], v[72:73], v[74:75]
	s_waitcnt lgkmcnt(0)
	s_delay_alu instid0(VALU_DEP_1) | instskip(NEXT) | instid1(VALU_DEP_1)
	v_mul_f64 v[72:73], v[212:213], v[74:75]
	v_fma_f64 v[72:73], v[210:211], v[208:209], -v[72:73]
	v_mul_f64 v[210:211], v[210:211], v[74:75]
	s_delay_alu instid0(VALU_DEP_2) | instskip(NEXT) | instid1(VALU_DEP_2)
	v_add_f64 v[68:69], v[68:69], -v[72:73]
	v_fma_f64 v[210:211], v[212:213], v[208:209], v[210:211]
	s_delay_alu instid0(VALU_DEP_1) | instskip(SKIP_3) | instid1(VALU_DEP_1)
	v_add_f64 v[70:71], v[70:71], -v[210:211]
	ds_load_2addr_b64 v[210:213], v228 offset0:70 offset1:71
	s_waitcnt lgkmcnt(0)
	v_mul_f64 v[72:73], v[212:213], v[74:75]
	v_fma_f64 v[72:73], v[210:211], v[208:209], -v[72:73]
	v_mul_f64 v[210:211], v[210:211], v[74:75]
	s_delay_alu instid0(VALU_DEP_2) | instskip(NEXT) | instid1(VALU_DEP_2)
	v_add_f64 v[64:65], v[64:65], -v[72:73]
	v_fma_f64 v[210:211], v[212:213], v[208:209], v[210:211]
	s_delay_alu instid0(VALU_DEP_1) | instskip(SKIP_3) | instid1(VALU_DEP_1)
	v_add_f64 v[66:67], v[66:67], -v[210:211]
	ds_load_2addr_b64 v[210:213], v228 offset0:72 offset1:73
	s_waitcnt lgkmcnt(0)
	;; [unrolled: 10-line block ×17, first 2 shown]
	v_mul_f64 v[72:73], v[212:213], v[74:75]
	v_fma_f64 v[72:73], v[210:211], v[208:209], -v[72:73]
	v_mul_f64 v[210:211], v[210:211], v[74:75]
	s_delay_alu instid0(VALU_DEP_2) | instskip(NEXT) | instid1(VALU_DEP_2)
	v_add_f64 v[0:1], v[0:1], -v[72:73]
	v_fma_f64 v[210:211], v[212:213], v[208:209], v[210:211]
	v_dual_mov_b32 v72, v208 :: v_dual_mov_b32 v73, v209
	s_delay_alu instid0(VALU_DEP_2)
	v_add_f64 v[2:3], v[2:3], -v[210:211]
.LBB103_307:
	s_or_b32 exec_lo, exec_lo, s3
	s_delay_alu instid0(SALU_CYCLE_1)
	s_mov_b32 s4, exec_lo
	s_waitcnt_vscnt null, 0x0
	s_barrier
	buffer_gl0_inv
	v_cmpx_eq_u32_e32 34, v226
	s_cbranch_execz .LBB103_314
; %bb.308:
	ds_store_2addr_b64 v227, v[68:69], v[70:71] offset1:1
	ds_store_2addr_b64 v228, v[64:65], v[66:67] offset0:70 offset1:71
	ds_store_2addr_b64 v228, v[60:61], v[62:63] offset0:72 offset1:73
	;; [unrolled: 1-line block ×17, first 2 shown]
	ds_load_2addr_b64 v[208:211], v227 offset1:1
	s_waitcnt lgkmcnt(0)
	v_cmp_neq_f64_e32 vcc_lo, 0, v[208:209]
	v_cmp_neq_f64_e64 s3, 0, v[210:211]
	s_delay_alu instid0(VALU_DEP_1) | instskip(NEXT) | instid1(SALU_CYCLE_1)
	s_or_b32 s3, vcc_lo, s3
	s_and_b32 exec_lo, exec_lo, s3
	s_cbranch_execz .LBB103_314
; %bb.309:
	v_cmp_gt_f64_e32 vcc_lo, 0, v[208:209]
	v_xor_b32_e32 v204, 0x80000000, v209
	s_mov_b32 s3, exec_lo
                                        ; implicit-def: $vgpr216_vgpr217
	s_delay_alu instid0(VALU_DEP_1) | instskip(SKIP_3) | instid1(VALU_DEP_1)
	v_cndmask_b32_e32 v213, v209, v204, vcc_lo
	v_cndmask_b32_e32 v212, v208, v208, vcc_lo
	v_cmp_gt_f64_e32 vcc_lo, 0, v[210:211]
	v_xor_b32_e32 v204, 0x80000000, v211
	v_dual_cndmask_b32 v214, v210, v210 :: v_dual_cndmask_b32 v215, v211, v204
	s_delay_alu instid0(VALU_DEP_1)
	v_cmpx_ngt_f64_e32 v[212:213], v[214:215]
	s_xor_b32 s3, exec_lo, s3
                                        ; implicit-def: $vgpr212_vgpr213_vgpr214_vgpr215
	s_cbranch_execz .LBB103_311
; %bb.310:
	v_div_scale_f64 v[212:213], null, v[210:211], v[210:211], v[208:209]
	v_div_scale_f64 v[218:219], vcc_lo, v[208:209], v[210:211], v[208:209]
	s_delay_alu instid0(VALU_DEP_2) | instskip(SKIP_2) | instid1(VALU_DEP_1)
	v_rcp_f64_e32 v[214:215], v[212:213]
	s_waitcnt_depctr 0xfff
	v_fma_f64 v[216:217], -v[212:213], v[214:215], 1.0
	v_fma_f64 v[214:215], v[214:215], v[216:217], v[214:215]
	s_delay_alu instid0(VALU_DEP_1) | instskip(NEXT) | instid1(VALU_DEP_1)
	v_fma_f64 v[216:217], -v[212:213], v[214:215], 1.0
	v_fma_f64 v[214:215], v[214:215], v[216:217], v[214:215]
	s_delay_alu instid0(VALU_DEP_1) | instskip(NEXT) | instid1(VALU_DEP_1)
	v_mul_f64 v[216:217], v[218:219], v[214:215]
	v_fma_f64 v[212:213], -v[212:213], v[216:217], v[218:219]
	s_delay_alu instid0(VALU_DEP_1) | instskip(NEXT) | instid1(VALU_DEP_1)
	v_div_fmas_f64 v[212:213], v[212:213], v[214:215], v[216:217]
	v_div_fixup_f64 v[212:213], v[212:213], v[210:211], v[208:209]
	s_delay_alu instid0(VALU_DEP_1) | instskip(NEXT) | instid1(VALU_DEP_1)
	v_fma_f64 v[208:209], v[208:209], v[212:213], v[210:211]
	v_div_scale_f64 v[210:211], null, v[208:209], v[208:209], 1.0
	s_delay_alu instid0(VALU_DEP_1) | instskip(SKIP_2) | instid1(VALU_DEP_1)
	v_rcp_f64_e32 v[214:215], v[210:211]
	s_waitcnt_depctr 0xfff
	v_fma_f64 v[216:217], -v[210:211], v[214:215], 1.0
	v_fma_f64 v[214:215], v[214:215], v[216:217], v[214:215]
	s_delay_alu instid0(VALU_DEP_1) | instskip(NEXT) | instid1(VALU_DEP_1)
	v_fma_f64 v[216:217], -v[210:211], v[214:215], 1.0
	v_fma_f64 v[214:215], v[214:215], v[216:217], v[214:215]
	v_div_scale_f64 v[216:217], vcc_lo, 1.0, v[208:209], 1.0
	s_delay_alu instid0(VALU_DEP_1) | instskip(NEXT) | instid1(VALU_DEP_1)
	v_mul_f64 v[218:219], v[216:217], v[214:215]
	v_fma_f64 v[210:211], -v[210:211], v[218:219], v[216:217]
	s_delay_alu instid0(VALU_DEP_1) | instskip(NEXT) | instid1(VALU_DEP_1)
	v_div_fmas_f64 v[210:211], v[210:211], v[214:215], v[218:219]
	v_div_fixup_f64 v[214:215], v[210:211], v[208:209], 1.0
                                        ; implicit-def: $vgpr208_vgpr209
	s_delay_alu instid0(VALU_DEP_1)
	v_mul_f64 v[216:217], v[212:213], v[214:215]
	v_xor_b32_e32 v215, 0x80000000, v215
.LBB103_311:
	s_and_not1_saveexec_b32 s3, s3
	s_cbranch_execz .LBB103_313
; %bb.312:
	v_div_scale_f64 v[212:213], null, v[208:209], v[208:209], v[210:211]
	v_div_scale_f64 v[218:219], vcc_lo, v[210:211], v[208:209], v[210:211]
	s_delay_alu instid0(VALU_DEP_2) | instskip(SKIP_2) | instid1(VALU_DEP_1)
	v_rcp_f64_e32 v[214:215], v[212:213]
	s_waitcnt_depctr 0xfff
	v_fma_f64 v[216:217], -v[212:213], v[214:215], 1.0
	v_fma_f64 v[214:215], v[214:215], v[216:217], v[214:215]
	s_delay_alu instid0(VALU_DEP_1) | instskip(NEXT) | instid1(VALU_DEP_1)
	v_fma_f64 v[216:217], -v[212:213], v[214:215], 1.0
	v_fma_f64 v[214:215], v[214:215], v[216:217], v[214:215]
	s_delay_alu instid0(VALU_DEP_1) | instskip(NEXT) | instid1(VALU_DEP_1)
	v_mul_f64 v[216:217], v[218:219], v[214:215]
	v_fma_f64 v[212:213], -v[212:213], v[216:217], v[218:219]
	s_delay_alu instid0(VALU_DEP_1) | instskip(NEXT) | instid1(VALU_DEP_1)
	v_div_fmas_f64 v[212:213], v[212:213], v[214:215], v[216:217]
	v_div_fixup_f64 v[212:213], v[212:213], v[208:209], v[210:211]
	s_delay_alu instid0(VALU_DEP_1) | instskip(NEXT) | instid1(VALU_DEP_1)
	v_fma_f64 v[208:209], v[210:211], v[212:213], v[208:209]
	v_div_scale_f64 v[210:211], null, v[208:209], v[208:209], 1.0
	s_delay_alu instid0(VALU_DEP_1) | instskip(SKIP_2) | instid1(VALU_DEP_1)
	v_rcp_f64_e32 v[214:215], v[210:211]
	s_waitcnt_depctr 0xfff
	v_fma_f64 v[216:217], -v[210:211], v[214:215], 1.0
	v_fma_f64 v[214:215], v[214:215], v[216:217], v[214:215]
	s_delay_alu instid0(VALU_DEP_1) | instskip(NEXT) | instid1(VALU_DEP_1)
	v_fma_f64 v[216:217], -v[210:211], v[214:215], 1.0
	v_fma_f64 v[214:215], v[214:215], v[216:217], v[214:215]
	v_div_scale_f64 v[216:217], vcc_lo, 1.0, v[208:209], 1.0
	s_delay_alu instid0(VALU_DEP_1) | instskip(NEXT) | instid1(VALU_DEP_1)
	v_mul_f64 v[218:219], v[216:217], v[214:215]
	v_fma_f64 v[210:211], -v[210:211], v[218:219], v[216:217]
	s_delay_alu instid0(VALU_DEP_1) | instskip(NEXT) | instid1(VALU_DEP_1)
	v_div_fmas_f64 v[210:211], v[210:211], v[214:215], v[218:219]
	v_div_fixup_f64 v[216:217], v[210:211], v[208:209], 1.0
	s_delay_alu instid0(VALU_DEP_1)
	v_mul_f64 v[214:215], v[212:213], -v[216:217]
.LBB103_313:
	s_or_b32 exec_lo, exec_lo, s3
	ds_store_2addr_b64 v227, v[216:217], v[214:215] offset1:1
.LBB103_314:
	s_or_b32 exec_lo, exec_lo, s4
	s_waitcnt lgkmcnt(0)
	s_barrier
	buffer_gl0_inv
	ds_load_2addr_b64 v[202:205], v227 offset1:1
	s_mov_b32 s3, exec_lo
	s_waitcnt lgkmcnt(0)
	scratch_store_b128 off, v[202:205], off offset:984 ; 16-byte Folded Spill
	v_cmpx_lt_u32_e32 34, v226
	s_cbranch_execz .LBB103_316
; %bb.315:
	scratch_load_b128 v[202:205], off, off offset:984 ; 16-byte Folded Reload
	ds_load_2addr_b64 v[210:213], v228 offset0:70 offset1:71
	s_waitcnt vmcnt(0)
	v_mul_f64 v[208:209], v[204:205], v[70:71]
	v_mul_f64 v[70:71], v[202:203], v[70:71]
	s_delay_alu instid0(VALU_DEP_2) | instskip(NEXT) | instid1(VALU_DEP_2)
	v_fma_f64 v[208:209], v[202:203], v[68:69], -v[208:209]
	v_fma_f64 v[70:71], v[204:205], v[68:69], v[70:71]
	s_waitcnt lgkmcnt(0)
	s_delay_alu instid0(VALU_DEP_1) | instskip(NEXT) | instid1(VALU_DEP_1)
	v_mul_f64 v[68:69], v[212:213], v[70:71]
	v_fma_f64 v[68:69], v[210:211], v[208:209], -v[68:69]
	v_mul_f64 v[210:211], v[210:211], v[70:71]
	s_delay_alu instid0(VALU_DEP_2) | instskip(NEXT) | instid1(VALU_DEP_2)
	v_add_f64 v[64:65], v[64:65], -v[68:69]
	v_fma_f64 v[210:211], v[212:213], v[208:209], v[210:211]
	s_delay_alu instid0(VALU_DEP_1) | instskip(SKIP_3) | instid1(VALU_DEP_1)
	v_add_f64 v[66:67], v[66:67], -v[210:211]
	ds_load_2addr_b64 v[210:213], v228 offset0:72 offset1:73
	s_waitcnt lgkmcnt(0)
	v_mul_f64 v[68:69], v[212:213], v[70:71]
	v_fma_f64 v[68:69], v[210:211], v[208:209], -v[68:69]
	v_mul_f64 v[210:211], v[210:211], v[70:71]
	s_delay_alu instid0(VALU_DEP_2) | instskip(NEXT) | instid1(VALU_DEP_2)
	v_add_f64 v[60:61], v[60:61], -v[68:69]
	v_fma_f64 v[210:211], v[212:213], v[208:209], v[210:211]
	s_delay_alu instid0(VALU_DEP_1) | instskip(SKIP_3) | instid1(VALU_DEP_1)
	v_add_f64 v[62:63], v[62:63], -v[210:211]
	ds_load_2addr_b64 v[210:213], v228 offset0:74 offset1:75
	s_waitcnt lgkmcnt(0)
	;; [unrolled: 10-line block ×16, first 2 shown]
	v_mul_f64 v[68:69], v[212:213], v[70:71]
	v_fma_f64 v[68:69], v[210:211], v[208:209], -v[68:69]
	v_mul_f64 v[210:211], v[210:211], v[70:71]
	s_delay_alu instid0(VALU_DEP_2) | instskip(NEXT) | instid1(VALU_DEP_2)
	v_add_f64 v[0:1], v[0:1], -v[68:69]
	v_fma_f64 v[210:211], v[212:213], v[208:209], v[210:211]
	v_dual_mov_b32 v68, v208 :: v_dual_mov_b32 v69, v209
	s_delay_alu instid0(VALU_DEP_2)
	v_add_f64 v[2:3], v[2:3], -v[210:211]
.LBB103_316:
	s_or_b32 exec_lo, exec_lo, s3
	s_delay_alu instid0(SALU_CYCLE_1)
	s_mov_b32 s4, exec_lo
	s_waitcnt_vscnt null, 0x0
	s_barrier
	buffer_gl0_inv
	v_cmpx_eq_u32_e32 35, v226
	s_cbranch_execz .LBB103_323
; %bb.317:
	ds_store_2addr_b64 v227, v[64:65], v[66:67] offset1:1
	ds_store_2addr_b64 v228, v[60:61], v[62:63] offset0:72 offset1:73
	ds_store_2addr_b64 v228, v[56:57], v[58:59] offset0:74 offset1:75
	;; [unrolled: 1-line block ×16, first 2 shown]
	ds_load_2addr_b64 v[208:211], v227 offset1:1
	s_waitcnt lgkmcnt(0)
	v_cmp_neq_f64_e32 vcc_lo, 0, v[208:209]
	v_cmp_neq_f64_e64 s3, 0, v[210:211]
	s_delay_alu instid0(VALU_DEP_1) | instskip(NEXT) | instid1(SALU_CYCLE_1)
	s_or_b32 s3, vcc_lo, s3
	s_and_b32 exec_lo, exec_lo, s3
	s_cbranch_execz .LBB103_323
; %bb.318:
	v_cmp_gt_f64_e32 vcc_lo, 0, v[208:209]
	v_xor_b32_e32 v204, 0x80000000, v209
	s_mov_b32 s3, exec_lo
                                        ; implicit-def: $vgpr216_vgpr217
	s_delay_alu instid0(VALU_DEP_1) | instskip(SKIP_3) | instid1(VALU_DEP_1)
	v_cndmask_b32_e32 v213, v209, v204, vcc_lo
	v_cndmask_b32_e32 v212, v208, v208, vcc_lo
	v_cmp_gt_f64_e32 vcc_lo, 0, v[210:211]
	v_xor_b32_e32 v204, 0x80000000, v211
	v_dual_cndmask_b32 v214, v210, v210 :: v_dual_cndmask_b32 v215, v211, v204
	s_delay_alu instid0(VALU_DEP_1)
	v_cmpx_ngt_f64_e32 v[212:213], v[214:215]
	s_xor_b32 s3, exec_lo, s3
                                        ; implicit-def: $vgpr212_vgpr213_vgpr214_vgpr215
	s_cbranch_execz .LBB103_320
; %bb.319:
	v_div_scale_f64 v[212:213], null, v[210:211], v[210:211], v[208:209]
	v_div_scale_f64 v[218:219], vcc_lo, v[208:209], v[210:211], v[208:209]
	s_delay_alu instid0(VALU_DEP_2) | instskip(SKIP_2) | instid1(VALU_DEP_1)
	v_rcp_f64_e32 v[214:215], v[212:213]
	s_waitcnt_depctr 0xfff
	v_fma_f64 v[216:217], -v[212:213], v[214:215], 1.0
	v_fma_f64 v[214:215], v[214:215], v[216:217], v[214:215]
	s_delay_alu instid0(VALU_DEP_1) | instskip(NEXT) | instid1(VALU_DEP_1)
	v_fma_f64 v[216:217], -v[212:213], v[214:215], 1.0
	v_fma_f64 v[214:215], v[214:215], v[216:217], v[214:215]
	s_delay_alu instid0(VALU_DEP_1) | instskip(NEXT) | instid1(VALU_DEP_1)
	v_mul_f64 v[216:217], v[218:219], v[214:215]
	v_fma_f64 v[212:213], -v[212:213], v[216:217], v[218:219]
	s_delay_alu instid0(VALU_DEP_1) | instskip(NEXT) | instid1(VALU_DEP_1)
	v_div_fmas_f64 v[212:213], v[212:213], v[214:215], v[216:217]
	v_div_fixup_f64 v[212:213], v[212:213], v[210:211], v[208:209]
	s_delay_alu instid0(VALU_DEP_1) | instskip(NEXT) | instid1(VALU_DEP_1)
	v_fma_f64 v[208:209], v[208:209], v[212:213], v[210:211]
	v_div_scale_f64 v[210:211], null, v[208:209], v[208:209], 1.0
	s_delay_alu instid0(VALU_DEP_1) | instskip(SKIP_2) | instid1(VALU_DEP_1)
	v_rcp_f64_e32 v[214:215], v[210:211]
	s_waitcnt_depctr 0xfff
	v_fma_f64 v[216:217], -v[210:211], v[214:215], 1.0
	v_fma_f64 v[214:215], v[214:215], v[216:217], v[214:215]
	s_delay_alu instid0(VALU_DEP_1) | instskip(NEXT) | instid1(VALU_DEP_1)
	v_fma_f64 v[216:217], -v[210:211], v[214:215], 1.0
	v_fma_f64 v[214:215], v[214:215], v[216:217], v[214:215]
	v_div_scale_f64 v[216:217], vcc_lo, 1.0, v[208:209], 1.0
	s_delay_alu instid0(VALU_DEP_1) | instskip(NEXT) | instid1(VALU_DEP_1)
	v_mul_f64 v[218:219], v[216:217], v[214:215]
	v_fma_f64 v[210:211], -v[210:211], v[218:219], v[216:217]
	s_delay_alu instid0(VALU_DEP_1) | instskip(NEXT) | instid1(VALU_DEP_1)
	v_div_fmas_f64 v[210:211], v[210:211], v[214:215], v[218:219]
	v_div_fixup_f64 v[214:215], v[210:211], v[208:209], 1.0
                                        ; implicit-def: $vgpr208_vgpr209
	s_delay_alu instid0(VALU_DEP_1)
	v_mul_f64 v[216:217], v[212:213], v[214:215]
	v_xor_b32_e32 v215, 0x80000000, v215
.LBB103_320:
	s_and_not1_saveexec_b32 s3, s3
	s_cbranch_execz .LBB103_322
; %bb.321:
	v_div_scale_f64 v[212:213], null, v[208:209], v[208:209], v[210:211]
	v_div_scale_f64 v[218:219], vcc_lo, v[210:211], v[208:209], v[210:211]
	s_delay_alu instid0(VALU_DEP_2) | instskip(SKIP_2) | instid1(VALU_DEP_1)
	v_rcp_f64_e32 v[214:215], v[212:213]
	s_waitcnt_depctr 0xfff
	v_fma_f64 v[216:217], -v[212:213], v[214:215], 1.0
	v_fma_f64 v[214:215], v[214:215], v[216:217], v[214:215]
	s_delay_alu instid0(VALU_DEP_1) | instskip(NEXT) | instid1(VALU_DEP_1)
	v_fma_f64 v[216:217], -v[212:213], v[214:215], 1.0
	v_fma_f64 v[214:215], v[214:215], v[216:217], v[214:215]
	s_delay_alu instid0(VALU_DEP_1) | instskip(NEXT) | instid1(VALU_DEP_1)
	v_mul_f64 v[216:217], v[218:219], v[214:215]
	v_fma_f64 v[212:213], -v[212:213], v[216:217], v[218:219]
	s_delay_alu instid0(VALU_DEP_1) | instskip(NEXT) | instid1(VALU_DEP_1)
	v_div_fmas_f64 v[212:213], v[212:213], v[214:215], v[216:217]
	v_div_fixup_f64 v[212:213], v[212:213], v[208:209], v[210:211]
	s_delay_alu instid0(VALU_DEP_1) | instskip(NEXT) | instid1(VALU_DEP_1)
	v_fma_f64 v[208:209], v[210:211], v[212:213], v[208:209]
	v_div_scale_f64 v[210:211], null, v[208:209], v[208:209], 1.0
	s_delay_alu instid0(VALU_DEP_1) | instskip(SKIP_2) | instid1(VALU_DEP_1)
	v_rcp_f64_e32 v[214:215], v[210:211]
	s_waitcnt_depctr 0xfff
	v_fma_f64 v[216:217], -v[210:211], v[214:215], 1.0
	v_fma_f64 v[214:215], v[214:215], v[216:217], v[214:215]
	s_delay_alu instid0(VALU_DEP_1) | instskip(NEXT) | instid1(VALU_DEP_1)
	v_fma_f64 v[216:217], -v[210:211], v[214:215], 1.0
	v_fma_f64 v[214:215], v[214:215], v[216:217], v[214:215]
	v_div_scale_f64 v[216:217], vcc_lo, 1.0, v[208:209], 1.0
	s_delay_alu instid0(VALU_DEP_1) | instskip(NEXT) | instid1(VALU_DEP_1)
	v_mul_f64 v[218:219], v[216:217], v[214:215]
	v_fma_f64 v[210:211], -v[210:211], v[218:219], v[216:217]
	s_delay_alu instid0(VALU_DEP_1) | instskip(NEXT) | instid1(VALU_DEP_1)
	v_div_fmas_f64 v[210:211], v[210:211], v[214:215], v[218:219]
	v_div_fixup_f64 v[216:217], v[210:211], v[208:209], 1.0
	s_delay_alu instid0(VALU_DEP_1)
	v_mul_f64 v[214:215], v[212:213], -v[216:217]
.LBB103_322:
	s_or_b32 exec_lo, exec_lo, s3
	ds_store_2addr_b64 v227, v[216:217], v[214:215] offset1:1
.LBB103_323:
	s_or_b32 exec_lo, exec_lo, s4
	s_waitcnt lgkmcnt(0)
	s_barrier
	buffer_gl0_inv
	ds_load_2addr_b64 v[202:205], v227 offset1:1
	s_mov_b32 s3, exec_lo
	s_waitcnt lgkmcnt(0)
	scratch_store_b128 off, v[202:205], off offset:1000 ; 16-byte Folded Spill
	v_cmpx_lt_u32_e32 35, v226
	s_cbranch_execz .LBB103_325
; %bb.324:
	scratch_load_b128 v[202:205], off, off offset:1000 ; 16-byte Folded Reload
	ds_load_2addr_b64 v[210:213], v228 offset0:72 offset1:73
	s_waitcnt vmcnt(0)
	v_mul_f64 v[208:209], v[202:203], v[66:67]
	v_mul_f64 v[66:67], v[204:205], v[66:67]
	s_delay_alu instid0(VALU_DEP_2) | instskip(NEXT) | instid1(VALU_DEP_2)
	v_fma_f64 v[208:209], v[204:205], v[64:65], v[208:209]
	v_fma_f64 v[64:65], v[202:203], v[64:65], -v[66:67]
	s_waitcnt lgkmcnt(0)
	s_delay_alu instid0(VALU_DEP_2) | instskip(NEXT) | instid1(VALU_DEP_1)
	v_mul_f64 v[66:67], v[212:213], v[208:209]
	v_fma_f64 v[66:67], v[210:211], v[64:65], -v[66:67]
	v_mul_f64 v[210:211], v[210:211], v[208:209]
	s_delay_alu instid0(VALU_DEP_2) | instskip(NEXT) | instid1(VALU_DEP_2)
	v_add_f64 v[60:61], v[60:61], -v[66:67]
	v_fma_f64 v[210:211], v[212:213], v[64:65], v[210:211]
	s_delay_alu instid0(VALU_DEP_1) | instskip(SKIP_3) | instid1(VALU_DEP_1)
	v_add_f64 v[62:63], v[62:63], -v[210:211]
	ds_load_2addr_b64 v[210:213], v228 offset0:74 offset1:75
	s_waitcnt lgkmcnt(0)
	v_mul_f64 v[66:67], v[212:213], v[208:209]
	v_fma_f64 v[66:67], v[210:211], v[64:65], -v[66:67]
	v_mul_f64 v[210:211], v[210:211], v[208:209]
	s_delay_alu instid0(VALU_DEP_2) | instskip(NEXT) | instid1(VALU_DEP_2)
	v_add_f64 v[56:57], v[56:57], -v[66:67]
	v_fma_f64 v[210:211], v[212:213], v[64:65], v[210:211]
	s_delay_alu instid0(VALU_DEP_1) | instskip(SKIP_3) | instid1(VALU_DEP_1)
	v_add_f64 v[58:59], v[58:59], -v[210:211]
	ds_load_2addr_b64 v[210:213], v228 offset0:76 offset1:77
	s_waitcnt lgkmcnt(0)
	;; [unrolled: 10-line block ×15, first 2 shown]
	v_mul_f64 v[66:67], v[212:213], v[208:209]
	v_fma_f64 v[66:67], v[210:211], v[64:65], -v[66:67]
	v_mul_f64 v[210:211], v[210:211], v[208:209]
	s_delay_alu instid0(VALU_DEP_2) | instskip(NEXT) | instid1(VALU_DEP_2)
	v_add_f64 v[0:1], v[0:1], -v[66:67]
	v_fma_f64 v[210:211], v[212:213], v[64:65], v[210:211]
	v_dual_mov_b32 v66, v208 :: v_dual_mov_b32 v67, v209
	s_delay_alu instid0(VALU_DEP_2)
	v_add_f64 v[2:3], v[2:3], -v[210:211]
.LBB103_325:
	s_or_b32 exec_lo, exec_lo, s3
	s_delay_alu instid0(SALU_CYCLE_1)
	s_mov_b32 s4, exec_lo
	s_waitcnt_vscnt null, 0x0
	s_barrier
	buffer_gl0_inv
	v_cmpx_eq_u32_e32 36, v226
	s_cbranch_execz .LBB103_332
; %bb.326:
	ds_store_2addr_b64 v227, v[60:61], v[62:63] offset1:1
	ds_store_2addr_b64 v228, v[56:57], v[58:59] offset0:74 offset1:75
	ds_store_2addr_b64 v228, v[52:53], v[54:55] offset0:76 offset1:77
	;; [unrolled: 1-line block ×15, first 2 shown]
	ds_load_2addr_b64 v[208:211], v227 offset1:1
	s_waitcnt lgkmcnt(0)
	v_cmp_neq_f64_e32 vcc_lo, 0, v[208:209]
	v_cmp_neq_f64_e64 s3, 0, v[210:211]
	s_delay_alu instid0(VALU_DEP_1) | instskip(NEXT) | instid1(SALU_CYCLE_1)
	s_or_b32 s3, vcc_lo, s3
	s_and_b32 exec_lo, exec_lo, s3
	s_cbranch_execz .LBB103_332
; %bb.327:
	v_cmp_gt_f64_e32 vcc_lo, 0, v[208:209]
	v_xor_b32_e32 v204, 0x80000000, v209
	s_mov_b32 s3, exec_lo
                                        ; implicit-def: $vgpr216_vgpr217
	s_delay_alu instid0(VALU_DEP_1) | instskip(SKIP_3) | instid1(VALU_DEP_1)
	v_cndmask_b32_e32 v213, v209, v204, vcc_lo
	v_cndmask_b32_e32 v212, v208, v208, vcc_lo
	v_cmp_gt_f64_e32 vcc_lo, 0, v[210:211]
	v_xor_b32_e32 v204, 0x80000000, v211
	v_dual_cndmask_b32 v214, v210, v210 :: v_dual_cndmask_b32 v215, v211, v204
	s_delay_alu instid0(VALU_DEP_1)
	v_cmpx_ngt_f64_e32 v[212:213], v[214:215]
	s_xor_b32 s3, exec_lo, s3
                                        ; implicit-def: $vgpr212_vgpr213_vgpr214_vgpr215
	s_cbranch_execz .LBB103_329
; %bb.328:
	v_div_scale_f64 v[212:213], null, v[210:211], v[210:211], v[208:209]
	v_div_scale_f64 v[218:219], vcc_lo, v[208:209], v[210:211], v[208:209]
	s_delay_alu instid0(VALU_DEP_2) | instskip(SKIP_2) | instid1(VALU_DEP_1)
	v_rcp_f64_e32 v[214:215], v[212:213]
	s_waitcnt_depctr 0xfff
	v_fma_f64 v[216:217], -v[212:213], v[214:215], 1.0
	v_fma_f64 v[214:215], v[214:215], v[216:217], v[214:215]
	s_delay_alu instid0(VALU_DEP_1) | instskip(NEXT) | instid1(VALU_DEP_1)
	v_fma_f64 v[216:217], -v[212:213], v[214:215], 1.0
	v_fma_f64 v[214:215], v[214:215], v[216:217], v[214:215]
	s_delay_alu instid0(VALU_DEP_1) | instskip(NEXT) | instid1(VALU_DEP_1)
	v_mul_f64 v[216:217], v[218:219], v[214:215]
	v_fma_f64 v[212:213], -v[212:213], v[216:217], v[218:219]
	s_delay_alu instid0(VALU_DEP_1) | instskip(NEXT) | instid1(VALU_DEP_1)
	v_div_fmas_f64 v[212:213], v[212:213], v[214:215], v[216:217]
	v_div_fixup_f64 v[212:213], v[212:213], v[210:211], v[208:209]
	s_delay_alu instid0(VALU_DEP_1) | instskip(NEXT) | instid1(VALU_DEP_1)
	v_fma_f64 v[208:209], v[208:209], v[212:213], v[210:211]
	v_div_scale_f64 v[210:211], null, v[208:209], v[208:209], 1.0
	s_delay_alu instid0(VALU_DEP_1) | instskip(SKIP_2) | instid1(VALU_DEP_1)
	v_rcp_f64_e32 v[214:215], v[210:211]
	s_waitcnt_depctr 0xfff
	v_fma_f64 v[216:217], -v[210:211], v[214:215], 1.0
	v_fma_f64 v[214:215], v[214:215], v[216:217], v[214:215]
	s_delay_alu instid0(VALU_DEP_1) | instskip(NEXT) | instid1(VALU_DEP_1)
	v_fma_f64 v[216:217], -v[210:211], v[214:215], 1.0
	v_fma_f64 v[214:215], v[214:215], v[216:217], v[214:215]
	v_div_scale_f64 v[216:217], vcc_lo, 1.0, v[208:209], 1.0
	s_delay_alu instid0(VALU_DEP_1) | instskip(NEXT) | instid1(VALU_DEP_1)
	v_mul_f64 v[218:219], v[216:217], v[214:215]
	v_fma_f64 v[210:211], -v[210:211], v[218:219], v[216:217]
	s_delay_alu instid0(VALU_DEP_1) | instskip(NEXT) | instid1(VALU_DEP_1)
	v_div_fmas_f64 v[210:211], v[210:211], v[214:215], v[218:219]
	v_div_fixup_f64 v[214:215], v[210:211], v[208:209], 1.0
                                        ; implicit-def: $vgpr208_vgpr209
	s_delay_alu instid0(VALU_DEP_1)
	v_mul_f64 v[216:217], v[212:213], v[214:215]
	v_xor_b32_e32 v215, 0x80000000, v215
.LBB103_329:
	s_and_not1_saveexec_b32 s3, s3
	s_cbranch_execz .LBB103_331
; %bb.330:
	v_div_scale_f64 v[212:213], null, v[208:209], v[208:209], v[210:211]
	v_div_scale_f64 v[218:219], vcc_lo, v[210:211], v[208:209], v[210:211]
	s_delay_alu instid0(VALU_DEP_2) | instskip(SKIP_2) | instid1(VALU_DEP_1)
	v_rcp_f64_e32 v[214:215], v[212:213]
	s_waitcnt_depctr 0xfff
	v_fma_f64 v[216:217], -v[212:213], v[214:215], 1.0
	v_fma_f64 v[214:215], v[214:215], v[216:217], v[214:215]
	s_delay_alu instid0(VALU_DEP_1) | instskip(NEXT) | instid1(VALU_DEP_1)
	v_fma_f64 v[216:217], -v[212:213], v[214:215], 1.0
	v_fma_f64 v[214:215], v[214:215], v[216:217], v[214:215]
	s_delay_alu instid0(VALU_DEP_1) | instskip(NEXT) | instid1(VALU_DEP_1)
	v_mul_f64 v[216:217], v[218:219], v[214:215]
	v_fma_f64 v[212:213], -v[212:213], v[216:217], v[218:219]
	s_delay_alu instid0(VALU_DEP_1) | instskip(NEXT) | instid1(VALU_DEP_1)
	v_div_fmas_f64 v[212:213], v[212:213], v[214:215], v[216:217]
	v_div_fixup_f64 v[212:213], v[212:213], v[208:209], v[210:211]
	s_delay_alu instid0(VALU_DEP_1) | instskip(NEXT) | instid1(VALU_DEP_1)
	v_fma_f64 v[208:209], v[210:211], v[212:213], v[208:209]
	v_div_scale_f64 v[210:211], null, v[208:209], v[208:209], 1.0
	s_delay_alu instid0(VALU_DEP_1) | instskip(SKIP_2) | instid1(VALU_DEP_1)
	v_rcp_f64_e32 v[214:215], v[210:211]
	s_waitcnt_depctr 0xfff
	v_fma_f64 v[216:217], -v[210:211], v[214:215], 1.0
	v_fma_f64 v[214:215], v[214:215], v[216:217], v[214:215]
	s_delay_alu instid0(VALU_DEP_1) | instskip(NEXT) | instid1(VALU_DEP_1)
	v_fma_f64 v[216:217], -v[210:211], v[214:215], 1.0
	v_fma_f64 v[214:215], v[214:215], v[216:217], v[214:215]
	v_div_scale_f64 v[216:217], vcc_lo, 1.0, v[208:209], 1.0
	s_delay_alu instid0(VALU_DEP_1) | instskip(NEXT) | instid1(VALU_DEP_1)
	v_mul_f64 v[218:219], v[216:217], v[214:215]
	v_fma_f64 v[210:211], -v[210:211], v[218:219], v[216:217]
	s_delay_alu instid0(VALU_DEP_1) | instskip(NEXT) | instid1(VALU_DEP_1)
	v_div_fmas_f64 v[210:211], v[210:211], v[214:215], v[218:219]
	v_div_fixup_f64 v[216:217], v[210:211], v[208:209], 1.0
	s_delay_alu instid0(VALU_DEP_1)
	v_mul_f64 v[214:215], v[212:213], -v[216:217]
.LBB103_331:
	s_or_b32 exec_lo, exec_lo, s3
	ds_store_2addr_b64 v227, v[216:217], v[214:215] offset1:1
.LBB103_332:
	s_or_b32 exec_lo, exec_lo, s4
	s_waitcnt lgkmcnt(0)
	s_barrier
	buffer_gl0_inv
	ds_load_2addr_b64 v[202:205], v227 offset1:1
	s_mov_b32 s3, exec_lo
	s_waitcnt lgkmcnt(0)
	scratch_store_b128 off, v[202:205], off offset:1016 ; 16-byte Folded Spill
	v_cmpx_lt_u32_e32 36, v226
	s_cbranch_execz .LBB103_334
; %bb.333:
	scratch_load_b128 v[202:205], off, off offset:1016 ; 16-byte Folded Reload
	ds_load_2addr_b64 v[210:213], v228 offset0:74 offset1:75
	s_waitcnt vmcnt(0)
	v_mul_f64 v[208:209], v[202:203], v[62:63]
	v_mul_f64 v[62:63], v[204:205], v[62:63]
	s_delay_alu instid0(VALU_DEP_2) | instskip(NEXT) | instid1(VALU_DEP_2)
	v_fma_f64 v[208:209], v[204:205], v[60:61], v[208:209]
	v_fma_f64 v[60:61], v[202:203], v[60:61], -v[62:63]
	s_waitcnt lgkmcnt(0)
	s_delay_alu instid0(VALU_DEP_2) | instskip(NEXT) | instid1(VALU_DEP_1)
	v_mul_f64 v[62:63], v[212:213], v[208:209]
	v_fma_f64 v[62:63], v[210:211], v[60:61], -v[62:63]
	v_mul_f64 v[210:211], v[210:211], v[208:209]
	s_delay_alu instid0(VALU_DEP_2) | instskip(NEXT) | instid1(VALU_DEP_2)
	v_add_f64 v[56:57], v[56:57], -v[62:63]
	v_fma_f64 v[210:211], v[212:213], v[60:61], v[210:211]
	s_delay_alu instid0(VALU_DEP_1) | instskip(SKIP_3) | instid1(VALU_DEP_1)
	v_add_f64 v[58:59], v[58:59], -v[210:211]
	ds_load_2addr_b64 v[210:213], v228 offset0:76 offset1:77
	s_waitcnt lgkmcnt(0)
	v_mul_f64 v[62:63], v[212:213], v[208:209]
	v_fma_f64 v[62:63], v[210:211], v[60:61], -v[62:63]
	v_mul_f64 v[210:211], v[210:211], v[208:209]
	s_delay_alu instid0(VALU_DEP_2) | instskip(NEXT) | instid1(VALU_DEP_2)
	v_add_f64 v[52:53], v[52:53], -v[62:63]
	v_fma_f64 v[210:211], v[212:213], v[60:61], v[210:211]
	s_delay_alu instid0(VALU_DEP_1) | instskip(SKIP_3) | instid1(VALU_DEP_1)
	v_add_f64 v[54:55], v[54:55], -v[210:211]
	ds_load_2addr_b64 v[210:213], v228 offset0:78 offset1:79
	s_waitcnt lgkmcnt(0)
	;; [unrolled: 10-line block ×14, first 2 shown]
	v_mul_f64 v[62:63], v[212:213], v[208:209]
	v_fma_f64 v[62:63], v[210:211], v[60:61], -v[62:63]
	v_mul_f64 v[210:211], v[210:211], v[208:209]
	s_delay_alu instid0(VALU_DEP_2) | instskip(NEXT) | instid1(VALU_DEP_2)
	v_add_f64 v[0:1], v[0:1], -v[62:63]
	v_fma_f64 v[210:211], v[212:213], v[60:61], v[210:211]
	v_dual_mov_b32 v62, v208 :: v_dual_mov_b32 v63, v209
	s_delay_alu instid0(VALU_DEP_2)
	v_add_f64 v[2:3], v[2:3], -v[210:211]
.LBB103_334:
	s_or_b32 exec_lo, exec_lo, s3
	s_delay_alu instid0(SALU_CYCLE_1)
	s_mov_b32 s4, exec_lo
	s_waitcnt_vscnt null, 0x0
	s_barrier
	buffer_gl0_inv
	v_cmpx_eq_u32_e32 37, v226
	s_cbranch_execz .LBB103_341
; %bb.335:
	ds_store_2addr_b64 v227, v[56:57], v[58:59] offset1:1
	ds_store_2addr_b64 v228, v[52:53], v[54:55] offset0:76 offset1:77
	ds_store_2addr_b64 v228, v[48:49], v[50:51] offset0:78 offset1:79
	;; [unrolled: 1-line block ×14, first 2 shown]
	ds_load_2addr_b64 v[208:211], v227 offset1:1
	s_waitcnt lgkmcnt(0)
	v_cmp_neq_f64_e32 vcc_lo, 0, v[208:209]
	v_cmp_neq_f64_e64 s3, 0, v[210:211]
	s_delay_alu instid0(VALU_DEP_1) | instskip(NEXT) | instid1(SALU_CYCLE_1)
	s_or_b32 s3, vcc_lo, s3
	s_and_b32 exec_lo, exec_lo, s3
	s_cbranch_execz .LBB103_341
; %bb.336:
	v_cmp_gt_f64_e32 vcc_lo, 0, v[208:209]
	v_xor_b32_e32 v204, 0x80000000, v209
	s_mov_b32 s3, exec_lo
                                        ; implicit-def: $vgpr216_vgpr217
	s_delay_alu instid0(VALU_DEP_1) | instskip(SKIP_3) | instid1(VALU_DEP_1)
	v_cndmask_b32_e32 v213, v209, v204, vcc_lo
	v_cndmask_b32_e32 v212, v208, v208, vcc_lo
	v_cmp_gt_f64_e32 vcc_lo, 0, v[210:211]
	v_xor_b32_e32 v204, 0x80000000, v211
	v_dual_cndmask_b32 v214, v210, v210 :: v_dual_cndmask_b32 v215, v211, v204
	s_delay_alu instid0(VALU_DEP_1)
	v_cmpx_ngt_f64_e32 v[212:213], v[214:215]
	s_xor_b32 s3, exec_lo, s3
                                        ; implicit-def: $vgpr212_vgpr213_vgpr214_vgpr215
	s_cbranch_execz .LBB103_338
; %bb.337:
	v_div_scale_f64 v[212:213], null, v[210:211], v[210:211], v[208:209]
	v_div_scale_f64 v[218:219], vcc_lo, v[208:209], v[210:211], v[208:209]
	s_delay_alu instid0(VALU_DEP_2) | instskip(SKIP_2) | instid1(VALU_DEP_1)
	v_rcp_f64_e32 v[214:215], v[212:213]
	s_waitcnt_depctr 0xfff
	v_fma_f64 v[216:217], -v[212:213], v[214:215], 1.0
	v_fma_f64 v[214:215], v[214:215], v[216:217], v[214:215]
	s_delay_alu instid0(VALU_DEP_1) | instskip(NEXT) | instid1(VALU_DEP_1)
	v_fma_f64 v[216:217], -v[212:213], v[214:215], 1.0
	v_fma_f64 v[214:215], v[214:215], v[216:217], v[214:215]
	s_delay_alu instid0(VALU_DEP_1) | instskip(NEXT) | instid1(VALU_DEP_1)
	v_mul_f64 v[216:217], v[218:219], v[214:215]
	v_fma_f64 v[212:213], -v[212:213], v[216:217], v[218:219]
	s_delay_alu instid0(VALU_DEP_1) | instskip(NEXT) | instid1(VALU_DEP_1)
	v_div_fmas_f64 v[212:213], v[212:213], v[214:215], v[216:217]
	v_div_fixup_f64 v[212:213], v[212:213], v[210:211], v[208:209]
	s_delay_alu instid0(VALU_DEP_1) | instskip(NEXT) | instid1(VALU_DEP_1)
	v_fma_f64 v[208:209], v[208:209], v[212:213], v[210:211]
	v_div_scale_f64 v[210:211], null, v[208:209], v[208:209], 1.0
	s_delay_alu instid0(VALU_DEP_1) | instskip(SKIP_2) | instid1(VALU_DEP_1)
	v_rcp_f64_e32 v[214:215], v[210:211]
	s_waitcnt_depctr 0xfff
	v_fma_f64 v[216:217], -v[210:211], v[214:215], 1.0
	v_fma_f64 v[214:215], v[214:215], v[216:217], v[214:215]
	s_delay_alu instid0(VALU_DEP_1) | instskip(NEXT) | instid1(VALU_DEP_1)
	v_fma_f64 v[216:217], -v[210:211], v[214:215], 1.0
	v_fma_f64 v[214:215], v[214:215], v[216:217], v[214:215]
	v_div_scale_f64 v[216:217], vcc_lo, 1.0, v[208:209], 1.0
	s_delay_alu instid0(VALU_DEP_1) | instskip(NEXT) | instid1(VALU_DEP_1)
	v_mul_f64 v[218:219], v[216:217], v[214:215]
	v_fma_f64 v[210:211], -v[210:211], v[218:219], v[216:217]
	s_delay_alu instid0(VALU_DEP_1) | instskip(NEXT) | instid1(VALU_DEP_1)
	v_div_fmas_f64 v[210:211], v[210:211], v[214:215], v[218:219]
	v_div_fixup_f64 v[214:215], v[210:211], v[208:209], 1.0
                                        ; implicit-def: $vgpr208_vgpr209
	s_delay_alu instid0(VALU_DEP_1)
	v_mul_f64 v[216:217], v[212:213], v[214:215]
	v_xor_b32_e32 v215, 0x80000000, v215
.LBB103_338:
	s_and_not1_saveexec_b32 s3, s3
	s_cbranch_execz .LBB103_340
; %bb.339:
	v_div_scale_f64 v[212:213], null, v[208:209], v[208:209], v[210:211]
	v_div_scale_f64 v[218:219], vcc_lo, v[210:211], v[208:209], v[210:211]
	s_delay_alu instid0(VALU_DEP_2) | instskip(SKIP_2) | instid1(VALU_DEP_1)
	v_rcp_f64_e32 v[214:215], v[212:213]
	s_waitcnt_depctr 0xfff
	v_fma_f64 v[216:217], -v[212:213], v[214:215], 1.0
	v_fma_f64 v[214:215], v[214:215], v[216:217], v[214:215]
	s_delay_alu instid0(VALU_DEP_1) | instskip(NEXT) | instid1(VALU_DEP_1)
	v_fma_f64 v[216:217], -v[212:213], v[214:215], 1.0
	v_fma_f64 v[214:215], v[214:215], v[216:217], v[214:215]
	s_delay_alu instid0(VALU_DEP_1) | instskip(NEXT) | instid1(VALU_DEP_1)
	v_mul_f64 v[216:217], v[218:219], v[214:215]
	v_fma_f64 v[212:213], -v[212:213], v[216:217], v[218:219]
	s_delay_alu instid0(VALU_DEP_1) | instskip(NEXT) | instid1(VALU_DEP_1)
	v_div_fmas_f64 v[212:213], v[212:213], v[214:215], v[216:217]
	v_div_fixup_f64 v[212:213], v[212:213], v[208:209], v[210:211]
	s_delay_alu instid0(VALU_DEP_1) | instskip(NEXT) | instid1(VALU_DEP_1)
	v_fma_f64 v[208:209], v[210:211], v[212:213], v[208:209]
	v_div_scale_f64 v[210:211], null, v[208:209], v[208:209], 1.0
	s_delay_alu instid0(VALU_DEP_1) | instskip(SKIP_2) | instid1(VALU_DEP_1)
	v_rcp_f64_e32 v[214:215], v[210:211]
	s_waitcnt_depctr 0xfff
	v_fma_f64 v[216:217], -v[210:211], v[214:215], 1.0
	v_fma_f64 v[214:215], v[214:215], v[216:217], v[214:215]
	s_delay_alu instid0(VALU_DEP_1) | instskip(NEXT) | instid1(VALU_DEP_1)
	v_fma_f64 v[216:217], -v[210:211], v[214:215], 1.0
	v_fma_f64 v[214:215], v[214:215], v[216:217], v[214:215]
	v_div_scale_f64 v[216:217], vcc_lo, 1.0, v[208:209], 1.0
	s_delay_alu instid0(VALU_DEP_1) | instskip(NEXT) | instid1(VALU_DEP_1)
	v_mul_f64 v[218:219], v[216:217], v[214:215]
	v_fma_f64 v[210:211], -v[210:211], v[218:219], v[216:217]
	s_delay_alu instid0(VALU_DEP_1) | instskip(NEXT) | instid1(VALU_DEP_1)
	v_div_fmas_f64 v[210:211], v[210:211], v[214:215], v[218:219]
	v_div_fixup_f64 v[216:217], v[210:211], v[208:209], 1.0
	s_delay_alu instid0(VALU_DEP_1)
	v_mul_f64 v[214:215], v[212:213], -v[216:217]
.LBB103_340:
	s_or_b32 exec_lo, exec_lo, s3
	ds_store_2addr_b64 v227, v[216:217], v[214:215] offset1:1
.LBB103_341:
	s_or_b32 exec_lo, exec_lo, s4
	s_waitcnt lgkmcnt(0)
	s_barrier
	buffer_gl0_inv
	ds_load_2addr_b64 v[202:205], v227 offset1:1
	s_mov_b32 s3, exec_lo
	s_waitcnt lgkmcnt(0)
	scratch_store_b128 off, v[202:205], off offset:1032 ; 16-byte Folded Spill
	v_cmpx_lt_u32_e32 37, v226
	s_cbranch_execz .LBB103_343
; %bb.342:
	scratch_load_b128 v[202:205], off, off offset:1032 ; 16-byte Folded Reload
	ds_load_2addr_b64 v[210:213], v228 offset0:76 offset1:77
	s_waitcnt vmcnt(0)
	v_mul_f64 v[208:209], v[202:203], v[58:59]
	v_mul_f64 v[58:59], v[204:205], v[58:59]
	s_delay_alu instid0(VALU_DEP_2) | instskip(NEXT) | instid1(VALU_DEP_2)
	v_fma_f64 v[208:209], v[204:205], v[56:57], v[208:209]
	v_fma_f64 v[56:57], v[202:203], v[56:57], -v[58:59]
	s_waitcnt lgkmcnt(0)
	s_delay_alu instid0(VALU_DEP_2) | instskip(NEXT) | instid1(VALU_DEP_1)
	v_mul_f64 v[58:59], v[212:213], v[208:209]
	v_fma_f64 v[58:59], v[210:211], v[56:57], -v[58:59]
	v_mul_f64 v[210:211], v[210:211], v[208:209]
	s_delay_alu instid0(VALU_DEP_2) | instskip(NEXT) | instid1(VALU_DEP_2)
	v_add_f64 v[52:53], v[52:53], -v[58:59]
	v_fma_f64 v[210:211], v[212:213], v[56:57], v[210:211]
	s_delay_alu instid0(VALU_DEP_1) | instskip(SKIP_3) | instid1(VALU_DEP_1)
	v_add_f64 v[54:55], v[54:55], -v[210:211]
	ds_load_2addr_b64 v[210:213], v228 offset0:78 offset1:79
	s_waitcnt lgkmcnt(0)
	v_mul_f64 v[58:59], v[212:213], v[208:209]
	v_fma_f64 v[58:59], v[210:211], v[56:57], -v[58:59]
	v_mul_f64 v[210:211], v[210:211], v[208:209]
	s_delay_alu instid0(VALU_DEP_2) | instskip(NEXT) | instid1(VALU_DEP_2)
	v_add_f64 v[48:49], v[48:49], -v[58:59]
	v_fma_f64 v[210:211], v[212:213], v[56:57], v[210:211]
	s_delay_alu instid0(VALU_DEP_1) | instskip(SKIP_3) | instid1(VALU_DEP_1)
	v_add_f64 v[50:51], v[50:51], -v[210:211]
	ds_load_2addr_b64 v[210:213], v228 offset0:80 offset1:81
	s_waitcnt lgkmcnt(0)
	;; [unrolled: 10-line block ×13, first 2 shown]
	v_mul_f64 v[58:59], v[212:213], v[208:209]
	v_fma_f64 v[58:59], v[210:211], v[56:57], -v[58:59]
	v_mul_f64 v[210:211], v[210:211], v[208:209]
	s_delay_alu instid0(VALU_DEP_2) | instskip(NEXT) | instid1(VALU_DEP_2)
	v_add_f64 v[0:1], v[0:1], -v[58:59]
	v_fma_f64 v[210:211], v[212:213], v[56:57], v[210:211]
	v_dual_mov_b32 v58, v208 :: v_dual_mov_b32 v59, v209
	s_delay_alu instid0(VALU_DEP_2)
	v_add_f64 v[2:3], v[2:3], -v[210:211]
.LBB103_343:
	s_or_b32 exec_lo, exec_lo, s3
	s_delay_alu instid0(SALU_CYCLE_1)
	s_mov_b32 s4, exec_lo
	s_waitcnt_vscnt null, 0x0
	s_barrier
	buffer_gl0_inv
	v_cmpx_eq_u32_e32 38, v226
	s_cbranch_execz .LBB103_350
; %bb.344:
	ds_store_2addr_b64 v227, v[52:53], v[54:55] offset1:1
	ds_store_2addr_b64 v228, v[48:49], v[50:51] offset0:78 offset1:79
	ds_store_2addr_b64 v228, v[44:45], v[46:47] offset0:80 offset1:81
	;; [unrolled: 1-line block ×13, first 2 shown]
	ds_load_2addr_b64 v[208:211], v227 offset1:1
	s_waitcnt lgkmcnt(0)
	v_cmp_neq_f64_e32 vcc_lo, 0, v[208:209]
	v_cmp_neq_f64_e64 s3, 0, v[210:211]
	s_delay_alu instid0(VALU_DEP_1) | instskip(NEXT) | instid1(SALU_CYCLE_1)
	s_or_b32 s3, vcc_lo, s3
	s_and_b32 exec_lo, exec_lo, s3
	s_cbranch_execz .LBB103_350
; %bb.345:
	v_cmp_gt_f64_e32 vcc_lo, 0, v[208:209]
	v_xor_b32_e32 v204, 0x80000000, v209
	s_mov_b32 s3, exec_lo
                                        ; implicit-def: $vgpr216_vgpr217
	s_delay_alu instid0(VALU_DEP_1) | instskip(SKIP_3) | instid1(VALU_DEP_1)
	v_cndmask_b32_e32 v213, v209, v204, vcc_lo
	v_cndmask_b32_e32 v212, v208, v208, vcc_lo
	v_cmp_gt_f64_e32 vcc_lo, 0, v[210:211]
	v_xor_b32_e32 v204, 0x80000000, v211
	v_dual_cndmask_b32 v214, v210, v210 :: v_dual_cndmask_b32 v215, v211, v204
	s_delay_alu instid0(VALU_DEP_1)
	v_cmpx_ngt_f64_e32 v[212:213], v[214:215]
	s_xor_b32 s3, exec_lo, s3
                                        ; implicit-def: $vgpr212_vgpr213_vgpr214_vgpr215
	s_cbranch_execz .LBB103_347
; %bb.346:
	v_div_scale_f64 v[212:213], null, v[210:211], v[210:211], v[208:209]
	v_div_scale_f64 v[218:219], vcc_lo, v[208:209], v[210:211], v[208:209]
	s_delay_alu instid0(VALU_DEP_2) | instskip(SKIP_2) | instid1(VALU_DEP_1)
	v_rcp_f64_e32 v[214:215], v[212:213]
	s_waitcnt_depctr 0xfff
	v_fma_f64 v[216:217], -v[212:213], v[214:215], 1.0
	v_fma_f64 v[214:215], v[214:215], v[216:217], v[214:215]
	s_delay_alu instid0(VALU_DEP_1) | instskip(NEXT) | instid1(VALU_DEP_1)
	v_fma_f64 v[216:217], -v[212:213], v[214:215], 1.0
	v_fma_f64 v[214:215], v[214:215], v[216:217], v[214:215]
	s_delay_alu instid0(VALU_DEP_1) | instskip(NEXT) | instid1(VALU_DEP_1)
	v_mul_f64 v[216:217], v[218:219], v[214:215]
	v_fma_f64 v[212:213], -v[212:213], v[216:217], v[218:219]
	s_delay_alu instid0(VALU_DEP_1) | instskip(NEXT) | instid1(VALU_DEP_1)
	v_div_fmas_f64 v[212:213], v[212:213], v[214:215], v[216:217]
	v_div_fixup_f64 v[212:213], v[212:213], v[210:211], v[208:209]
	s_delay_alu instid0(VALU_DEP_1) | instskip(NEXT) | instid1(VALU_DEP_1)
	v_fma_f64 v[208:209], v[208:209], v[212:213], v[210:211]
	v_div_scale_f64 v[210:211], null, v[208:209], v[208:209], 1.0
	s_delay_alu instid0(VALU_DEP_1) | instskip(SKIP_2) | instid1(VALU_DEP_1)
	v_rcp_f64_e32 v[214:215], v[210:211]
	s_waitcnt_depctr 0xfff
	v_fma_f64 v[216:217], -v[210:211], v[214:215], 1.0
	v_fma_f64 v[214:215], v[214:215], v[216:217], v[214:215]
	s_delay_alu instid0(VALU_DEP_1) | instskip(NEXT) | instid1(VALU_DEP_1)
	v_fma_f64 v[216:217], -v[210:211], v[214:215], 1.0
	v_fma_f64 v[214:215], v[214:215], v[216:217], v[214:215]
	v_div_scale_f64 v[216:217], vcc_lo, 1.0, v[208:209], 1.0
	s_delay_alu instid0(VALU_DEP_1) | instskip(NEXT) | instid1(VALU_DEP_1)
	v_mul_f64 v[218:219], v[216:217], v[214:215]
	v_fma_f64 v[210:211], -v[210:211], v[218:219], v[216:217]
	s_delay_alu instid0(VALU_DEP_1) | instskip(NEXT) | instid1(VALU_DEP_1)
	v_div_fmas_f64 v[210:211], v[210:211], v[214:215], v[218:219]
	v_div_fixup_f64 v[214:215], v[210:211], v[208:209], 1.0
                                        ; implicit-def: $vgpr208_vgpr209
	s_delay_alu instid0(VALU_DEP_1)
	v_mul_f64 v[216:217], v[212:213], v[214:215]
	v_xor_b32_e32 v215, 0x80000000, v215
.LBB103_347:
	s_and_not1_saveexec_b32 s3, s3
	s_cbranch_execz .LBB103_349
; %bb.348:
	v_div_scale_f64 v[212:213], null, v[208:209], v[208:209], v[210:211]
	v_div_scale_f64 v[218:219], vcc_lo, v[210:211], v[208:209], v[210:211]
	s_delay_alu instid0(VALU_DEP_2) | instskip(SKIP_2) | instid1(VALU_DEP_1)
	v_rcp_f64_e32 v[214:215], v[212:213]
	s_waitcnt_depctr 0xfff
	v_fma_f64 v[216:217], -v[212:213], v[214:215], 1.0
	v_fma_f64 v[214:215], v[214:215], v[216:217], v[214:215]
	s_delay_alu instid0(VALU_DEP_1) | instskip(NEXT) | instid1(VALU_DEP_1)
	v_fma_f64 v[216:217], -v[212:213], v[214:215], 1.0
	v_fma_f64 v[214:215], v[214:215], v[216:217], v[214:215]
	s_delay_alu instid0(VALU_DEP_1) | instskip(NEXT) | instid1(VALU_DEP_1)
	v_mul_f64 v[216:217], v[218:219], v[214:215]
	v_fma_f64 v[212:213], -v[212:213], v[216:217], v[218:219]
	s_delay_alu instid0(VALU_DEP_1) | instskip(NEXT) | instid1(VALU_DEP_1)
	v_div_fmas_f64 v[212:213], v[212:213], v[214:215], v[216:217]
	v_div_fixup_f64 v[212:213], v[212:213], v[208:209], v[210:211]
	s_delay_alu instid0(VALU_DEP_1) | instskip(NEXT) | instid1(VALU_DEP_1)
	v_fma_f64 v[208:209], v[210:211], v[212:213], v[208:209]
	v_div_scale_f64 v[210:211], null, v[208:209], v[208:209], 1.0
	s_delay_alu instid0(VALU_DEP_1) | instskip(SKIP_2) | instid1(VALU_DEP_1)
	v_rcp_f64_e32 v[214:215], v[210:211]
	s_waitcnt_depctr 0xfff
	v_fma_f64 v[216:217], -v[210:211], v[214:215], 1.0
	v_fma_f64 v[214:215], v[214:215], v[216:217], v[214:215]
	s_delay_alu instid0(VALU_DEP_1) | instskip(NEXT) | instid1(VALU_DEP_1)
	v_fma_f64 v[216:217], -v[210:211], v[214:215], 1.0
	v_fma_f64 v[214:215], v[214:215], v[216:217], v[214:215]
	v_div_scale_f64 v[216:217], vcc_lo, 1.0, v[208:209], 1.0
	s_delay_alu instid0(VALU_DEP_1) | instskip(NEXT) | instid1(VALU_DEP_1)
	v_mul_f64 v[218:219], v[216:217], v[214:215]
	v_fma_f64 v[210:211], -v[210:211], v[218:219], v[216:217]
	s_delay_alu instid0(VALU_DEP_1) | instskip(NEXT) | instid1(VALU_DEP_1)
	v_div_fmas_f64 v[210:211], v[210:211], v[214:215], v[218:219]
	v_div_fixup_f64 v[216:217], v[210:211], v[208:209], 1.0
	s_delay_alu instid0(VALU_DEP_1)
	v_mul_f64 v[214:215], v[212:213], -v[216:217]
.LBB103_349:
	s_or_b32 exec_lo, exec_lo, s3
	ds_store_2addr_b64 v227, v[216:217], v[214:215] offset1:1
.LBB103_350:
	s_or_b32 exec_lo, exec_lo, s4
	s_waitcnt lgkmcnt(0)
	s_barrier
	buffer_gl0_inv
	ds_load_2addr_b64 v[202:205], v227 offset1:1
	s_mov_b32 s3, exec_lo
	s_waitcnt lgkmcnt(0)
	scratch_store_b128 off, v[202:205], off offset:1048 ; 16-byte Folded Spill
	v_cmpx_lt_u32_e32 38, v226
	s_cbranch_execz .LBB103_352
; %bb.351:
	scratch_load_b128 v[202:205], off, off offset:1048 ; 16-byte Folded Reload
	ds_load_2addr_b64 v[210:213], v228 offset0:78 offset1:79
	s_waitcnt vmcnt(0)
	v_mul_f64 v[208:209], v[202:203], v[54:55]
	v_mul_f64 v[54:55], v[204:205], v[54:55]
	s_delay_alu instid0(VALU_DEP_2) | instskip(NEXT) | instid1(VALU_DEP_2)
	v_fma_f64 v[208:209], v[204:205], v[52:53], v[208:209]
	v_fma_f64 v[52:53], v[202:203], v[52:53], -v[54:55]
	s_waitcnt lgkmcnt(0)
	s_delay_alu instid0(VALU_DEP_2) | instskip(NEXT) | instid1(VALU_DEP_1)
	v_mul_f64 v[54:55], v[212:213], v[208:209]
	v_fma_f64 v[54:55], v[210:211], v[52:53], -v[54:55]
	v_mul_f64 v[210:211], v[210:211], v[208:209]
	s_delay_alu instid0(VALU_DEP_2) | instskip(NEXT) | instid1(VALU_DEP_2)
	v_add_f64 v[48:49], v[48:49], -v[54:55]
	v_fma_f64 v[210:211], v[212:213], v[52:53], v[210:211]
	s_delay_alu instid0(VALU_DEP_1) | instskip(SKIP_3) | instid1(VALU_DEP_1)
	v_add_f64 v[50:51], v[50:51], -v[210:211]
	ds_load_2addr_b64 v[210:213], v228 offset0:80 offset1:81
	s_waitcnt lgkmcnt(0)
	v_mul_f64 v[54:55], v[212:213], v[208:209]
	v_fma_f64 v[54:55], v[210:211], v[52:53], -v[54:55]
	v_mul_f64 v[210:211], v[210:211], v[208:209]
	s_delay_alu instid0(VALU_DEP_2) | instskip(NEXT) | instid1(VALU_DEP_2)
	v_add_f64 v[44:45], v[44:45], -v[54:55]
	v_fma_f64 v[210:211], v[212:213], v[52:53], v[210:211]
	s_delay_alu instid0(VALU_DEP_1) | instskip(SKIP_3) | instid1(VALU_DEP_1)
	v_add_f64 v[46:47], v[46:47], -v[210:211]
	ds_load_2addr_b64 v[210:213], v228 offset0:82 offset1:83
	s_waitcnt lgkmcnt(0)
	;; [unrolled: 10-line block ×12, first 2 shown]
	v_mul_f64 v[54:55], v[212:213], v[208:209]
	v_fma_f64 v[54:55], v[210:211], v[52:53], -v[54:55]
	v_mul_f64 v[210:211], v[210:211], v[208:209]
	s_delay_alu instid0(VALU_DEP_2) | instskip(NEXT) | instid1(VALU_DEP_2)
	v_add_f64 v[0:1], v[0:1], -v[54:55]
	v_fma_f64 v[210:211], v[212:213], v[52:53], v[210:211]
	v_dual_mov_b32 v54, v208 :: v_dual_mov_b32 v55, v209
	s_delay_alu instid0(VALU_DEP_2)
	v_add_f64 v[2:3], v[2:3], -v[210:211]
.LBB103_352:
	s_or_b32 exec_lo, exec_lo, s3
	s_delay_alu instid0(SALU_CYCLE_1)
	s_mov_b32 s4, exec_lo
	s_waitcnt_vscnt null, 0x0
	s_barrier
	buffer_gl0_inv
	v_cmpx_eq_u32_e32 39, v226
	s_cbranch_execz .LBB103_359
; %bb.353:
	ds_store_2addr_b64 v227, v[48:49], v[50:51] offset1:1
	ds_store_2addr_b64 v228, v[44:45], v[46:47] offset0:80 offset1:81
	ds_store_2addr_b64 v228, v[40:41], v[42:43] offset0:82 offset1:83
	;; [unrolled: 1-line block ×12, first 2 shown]
	ds_load_2addr_b64 v[208:211], v227 offset1:1
	s_waitcnt lgkmcnt(0)
	v_cmp_neq_f64_e32 vcc_lo, 0, v[208:209]
	v_cmp_neq_f64_e64 s3, 0, v[210:211]
	s_delay_alu instid0(VALU_DEP_1) | instskip(NEXT) | instid1(SALU_CYCLE_1)
	s_or_b32 s3, vcc_lo, s3
	s_and_b32 exec_lo, exec_lo, s3
	s_cbranch_execz .LBB103_359
; %bb.354:
	v_cmp_gt_f64_e32 vcc_lo, 0, v[208:209]
	v_xor_b32_e32 v204, 0x80000000, v209
	s_mov_b32 s3, exec_lo
                                        ; implicit-def: $vgpr216_vgpr217
	s_delay_alu instid0(VALU_DEP_1) | instskip(SKIP_3) | instid1(VALU_DEP_1)
	v_cndmask_b32_e32 v213, v209, v204, vcc_lo
	v_cndmask_b32_e32 v212, v208, v208, vcc_lo
	v_cmp_gt_f64_e32 vcc_lo, 0, v[210:211]
	v_xor_b32_e32 v204, 0x80000000, v211
	v_dual_cndmask_b32 v214, v210, v210 :: v_dual_cndmask_b32 v215, v211, v204
	s_delay_alu instid0(VALU_DEP_1)
	v_cmpx_ngt_f64_e32 v[212:213], v[214:215]
	s_xor_b32 s3, exec_lo, s3
                                        ; implicit-def: $vgpr212_vgpr213_vgpr214_vgpr215
	s_cbranch_execz .LBB103_356
; %bb.355:
	v_div_scale_f64 v[212:213], null, v[210:211], v[210:211], v[208:209]
	v_div_scale_f64 v[218:219], vcc_lo, v[208:209], v[210:211], v[208:209]
	s_delay_alu instid0(VALU_DEP_2) | instskip(SKIP_2) | instid1(VALU_DEP_1)
	v_rcp_f64_e32 v[214:215], v[212:213]
	s_waitcnt_depctr 0xfff
	v_fma_f64 v[216:217], -v[212:213], v[214:215], 1.0
	v_fma_f64 v[214:215], v[214:215], v[216:217], v[214:215]
	s_delay_alu instid0(VALU_DEP_1) | instskip(NEXT) | instid1(VALU_DEP_1)
	v_fma_f64 v[216:217], -v[212:213], v[214:215], 1.0
	v_fma_f64 v[214:215], v[214:215], v[216:217], v[214:215]
	s_delay_alu instid0(VALU_DEP_1) | instskip(NEXT) | instid1(VALU_DEP_1)
	v_mul_f64 v[216:217], v[218:219], v[214:215]
	v_fma_f64 v[212:213], -v[212:213], v[216:217], v[218:219]
	s_delay_alu instid0(VALU_DEP_1) | instskip(NEXT) | instid1(VALU_DEP_1)
	v_div_fmas_f64 v[212:213], v[212:213], v[214:215], v[216:217]
	v_div_fixup_f64 v[212:213], v[212:213], v[210:211], v[208:209]
	s_delay_alu instid0(VALU_DEP_1) | instskip(NEXT) | instid1(VALU_DEP_1)
	v_fma_f64 v[208:209], v[208:209], v[212:213], v[210:211]
	v_div_scale_f64 v[210:211], null, v[208:209], v[208:209], 1.0
	s_delay_alu instid0(VALU_DEP_1) | instskip(SKIP_2) | instid1(VALU_DEP_1)
	v_rcp_f64_e32 v[214:215], v[210:211]
	s_waitcnt_depctr 0xfff
	v_fma_f64 v[216:217], -v[210:211], v[214:215], 1.0
	v_fma_f64 v[214:215], v[214:215], v[216:217], v[214:215]
	s_delay_alu instid0(VALU_DEP_1) | instskip(NEXT) | instid1(VALU_DEP_1)
	v_fma_f64 v[216:217], -v[210:211], v[214:215], 1.0
	v_fma_f64 v[214:215], v[214:215], v[216:217], v[214:215]
	v_div_scale_f64 v[216:217], vcc_lo, 1.0, v[208:209], 1.0
	s_delay_alu instid0(VALU_DEP_1) | instskip(NEXT) | instid1(VALU_DEP_1)
	v_mul_f64 v[218:219], v[216:217], v[214:215]
	v_fma_f64 v[210:211], -v[210:211], v[218:219], v[216:217]
	s_delay_alu instid0(VALU_DEP_1) | instskip(NEXT) | instid1(VALU_DEP_1)
	v_div_fmas_f64 v[210:211], v[210:211], v[214:215], v[218:219]
	v_div_fixup_f64 v[214:215], v[210:211], v[208:209], 1.0
                                        ; implicit-def: $vgpr208_vgpr209
	s_delay_alu instid0(VALU_DEP_1)
	v_mul_f64 v[216:217], v[212:213], v[214:215]
	v_xor_b32_e32 v215, 0x80000000, v215
.LBB103_356:
	s_and_not1_saveexec_b32 s3, s3
	s_cbranch_execz .LBB103_358
; %bb.357:
	v_div_scale_f64 v[212:213], null, v[208:209], v[208:209], v[210:211]
	v_div_scale_f64 v[218:219], vcc_lo, v[210:211], v[208:209], v[210:211]
	s_delay_alu instid0(VALU_DEP_2) | instskip(SKIP_2) | instid1(VALU_DEP_1)
	v_rcp_f64_e32 v[214:215], v[212:213]
	s_waitcnt_depctr 0xfff
	v_fma_f64 v[216:217], -v[212:213], v[214:215], 1.0
	v_fma_f64 v[214:215], v[214:215], v[216:217], v[214:215]
	s_delay_alu instid0(VALU_DEP_1) | instskip(NEXT) | instid1(VALU_DEP_1)
	v_fma_f64 v[216:217], -v[212:213], v[214:215], 1.0
	v_fma_f64 v[214:215], v[214:215], v[216:217], v[214:215]
	s_delay_alu instid0(VALU_DEP_1) | instskip(NEXT) | instid1(VALU_DEP_1)
	v_mul_f64 v[216:217], v[218:219], v[214:215]
	v_fma_f64 v[212:213], -v[212:213], v[216:217], v[218:219]
	s_delay_alu instid0(VALU_DEP_1) | instskip(NEXT) | instid1(VALU_DEP_1)
	v_div_fmas_f64 v[212:213], v[212:213], v[214:215], v[216:217]
	v_div_fixup_f64 v[212:213], v[212:213], v[208:209], v[210:211]
	s_delay_alu instid0(VALU_DEP_1) | instskip(NEXT) | instid1(VALU_DEP_1)
	v_fma_f64 v[208:209], v[210:211], v[212:213], v[208:209]
	v_div_scale_f64 v[210:211], null, v[208:209], v[208:209], 1.0
	s_delay_alu instid0(VALU_DEP_1) | instskip(SKIP_2) | instid1(VALU_DEP_1)
	v_rcp_f64_e32 v[214:215], v[210:211]
	s_waitcnt_depctr 0xfff
	v_fma_f64 v[216:217], -v[210:211], v[214:215], 1.0
	v_fma_f64 v[214:215], v[214:215], v[216:217], v[214:215]
	s_delay_alu instid0(VALU_DEP_1) | instskip(NEXT) | instid1(VALU_DEP_1)
	v_fma_f64 v[216:217], -v[210:211], v[214:215], 1.0
	v_fma_f64 v[214:215], v[214:215], v[216:217], v[214:215]
	v_div_scale_f64 v[216:217], vcc_lo, 1.0, v[208:209], 1.0
	s_delay_alu instid0(VALU_DEP_1) | instskip(NEXT) | instid1(VALU_DEP_1)
	v_mul_f64 v[218:219], v[216:217], v[214:215]
	v_fma_f64 v[210:211], -v[210:211], v[218:219], v[216:217]
	s_delay_alu instid0(VALU_DEP_1) | instskip(NEXT) | instid1(VALU_DEP_1)
	v_div_fmas_f64 v[210:211], v[210:211], v[214:215], v[218:219]
	v_div_fixup_f64 v[216:217], v[210:211], v[208:209], 1.0
	s_delay_alu instid0(VALU_DEP_1)
	v_mul_f64 v[214:215], v[212:213], -v[216:217]
.LBB103_358:
	s_or_b32 exec_lo, exec_lo, s3
	ds_store_2addr_b64 v227, v[216:217], v[214:215] offset1:1
.LBB103_359:
	s_or_b32 exec_lo, exec_lo, s4
	s_waitcnt lgkmcnt(0)
	s_barrier
	buffer_gl0_inv
	ds_load_2addr_b64 v[202:205], v227 offset1:1
	s_mov_b32 s3, exec_lo
	s_waitcnt lgkmcnt(0)
	scratch_store_b128 off, v[202:205], off offset:1064 ; 16-byte Folded Spill
	v_cmpx_lt_u32_e32 39, v226
	s_cbranch_execz .LBB103_361
; %bb.360:
	scratch_load_b128 v[202:205], off, off offset:1064 ; 16-byte Folded Reload
	ds_load_2addr_b64 v[210:213], v228 offset0:80 offset1:81
	s_waitcnt vmcnt(0)
	v_mul_f64 v[208:209], v[202:203], v[50:51]
	v_mul_f64 v[50:51], v[204:205], v[50:51]
	s_delay_alu instid0(VALU_DEP_2) | instskip(NEXT) | instid1(VALU_DEP_2)
	v_fma_f64 v[208:209], v[204:205], v[48:49], v[208:209]
	v_fma_f64 v[48:49], v[202:203], v[48:49], -v[50:51]
	s_waitcnt lgkmcnt(0)
	s_delay_alu instid0(VALU_DEP_2) | instskip(NEXT) | instid1(VALU_DEP_1)
	v_mul_f64 v[50:51], v[212:213], v[208:209]
	v_fma_f64 v[50:51], v[210:211], v[48:49], -v[50:51]
	v_mul_f64 v[210:211], v[210:211], v[208:209]
	s_delay_alu instid0(VALU_DEP_2) | instskip(NEXT) | instid1(VALU_DEP_2)
	v_add_f64 v[44:45], v[44:45], -v[50:51]
	v_fma_f64 v[210:211], v[212:213], v[48:49], v[210:211]
	s_delay_alu instid0(VALU_DEP_1) | instskip(SKIP_3) | instid1(VALU_DEP_1)
	v_add_f64 v[46:47], v[46:47], -v[210:211]
	ds_load_2addr_b64 v[210:213], v228 offset0:82 offset1:83
	s_waitcnt lgkmcnt(0)
	v_mul_f64 v[50:51], v[212:213], v[208:209]
	v_fma_f64 v[50:51], v[210:211], v[48:49], -v[50:51]
	v_mul_f64 v[210:211], v[210:211], v[208:209]
	s_delay_alu instid0(VALU_DEP_2) | instskip(NEXT) | instid1(VALU_DEP_2)
	v_add_f64 v[40:41], v[40:41], -v[50:51]
	v_fma_f64 v[210:211], v[212:213], v[48:49], v[210:211]
	s_delay_alu instid0(VALU_DEP_1) | instskip(SKIP_3) | instid1(VALU_DEP_1)
	v_add_f64 v[42:43], v[42:43], -v[210:211]
	ds_load_2addr_b64 v[210:213], v228 offset0:84 offset1:85
	s_waitcnt lgkmcnt(0)
	;; [unrolled: 10-line block ×11, first 2 shown]
	v_mul_f64 v[50:51], v[212:213], v[208:209]
	v_fma_f64 v[50:51], v[210:211], v[48:49], -v[50:51]
	v_mul_f64 v[210:211], v[210:211], v[208:209]
	s_delay_alu instid0(VALU_DEP_2) | instskip(NEXT) | instid1(VALU_DEP_2)
	v_add_f64 v[0:1], v[0:1], -v[50:51]
	v_fma_f64 v[210:211], v[212:213], v[48:49], v[210:211]
	v_dual_mov_b32 v50, v208 :: v_dual_mov_b32 v51, v209
	s_delay_alu instid0(VALU_DEP_2)
	v_add_f64 v[2:3], v[2:3], -v[210:211]
.LBB103_361:
	s_or_b32 exec_lo, exec_lo, s3
	s_delay_alu instid0(SALU_CYCLE_1)
	s_mov_b32 s4, exec_lo
	s_waitcnt_vscnt null, 0x0
	s_barrier
	buffer_gl0_inv
	v_cmpx_eq_u32_e32 40, v226
	s_cbranch_execz .LBB103_368
; %bb.362:
	ds_store_2addr_b64 v227, v[44:45], v[46:47] offset1:1
	ds_store_2addr_b64 v228, v[40:41], v[42:43] offset0:82 offset1:83
	ds_store_2addr_b64 v228, v[36:37], v[38:39] offset0:84 offset1:85
	;; [unrolled: 1-line block ×11, first 2 shown]
	ds_load_2addr_b64 v[208:211], v227 offset1:1
	s_waitcnt lgkmcnt(0)
	v_cmp_neq_f64_e32 vcc_lo, 0, v[208:209]
	v_cmp_neq_f64_e64 s3, 0, v[210:211]
	s_delay_alu instid0(VALU_DEP_1) | instskip(NEXT) | instid1(SALU_CYCLE_1)
	s_or_b32 s3, vcc_lo, s3
	s_and_b32 exec_lo, exec_lo, s3
	s_cbranch_execz .LBB103_368
; %bb.363:
	v_cmp_gt_f64_e32 vcc_lo, 0, v[208:209]
	v_xor_b32_e32 v204, 0x80000000, v209
	s_mov_b32 s3, exec_lo
                                        ; implicit-def: $vgpr216_vgpr217
	s_delay_alu instid0(VALU_DEP_1) | instskip(SKIP_3) | instid1(VALU_DEP_1)
	v_cndmask_b32_e32 v213, v209, v204, vcc_lo
	v_cndmask_b32_e32 v212, v208, v208, vcc_lo
	v_cmp_gt_f64_e32 vcc_lo, 0, v[210:211]
	v_xor_b32_e32 v204, 0x80000000, v211
	v_dual_cndmask_b32 v214, v210, v210 :: v_dual_cndmask_b32 v215, v211, v204
	s_delay_alu instid0(VALU_DEP_1)
	v_cmpx_ngt_f64_e32 v[212:213], v[214:215]
	s_xor_b32 s3, exec_lo, s3
                                        ; implicit-def: $vgpr212_vgpr213_vgpr214_vgpr215
	s_cbranch_execz .LBB103_365
; %bb.364:
	v_div_scale_f64 v[212:213], null, v[210:211], v[210:211], v[208:209]
	v_div_scale_f64 v[218:219], vcc_lo, v[208:209], v[210:211], v[208:209]
	s_delay_alu instid0(VALU_DEP_2) | instskip(SKIP_2) | instid1(VALU_DEP_1)
	v_rcp_f64_e32 v[214:215], v[212:213]
	s_waitcnt_depctr 0xfff
	v_fma_f64 v[216:217], -v[212:213], v[214:215], 1.0
	v_fma_f64 v[214:215], v[214:215], v[216:217], v[214:215]
	s_delay_alu instid0(VALU_DEP_1) | instskip(NEXT) | instid1(VALU_DEP_1)
	v_fma_f64 v[216:217], -v[212:213], v[214:215], 1.0
	v_fma_f64 v[214:215], v[214:215], v[216:217], v[214:215]
	s_delay_alu instid0(VALU_DEP_1) | instskip(NEXT) | instid1(VALU_DEP_1)
	v_mul_f64 v[216:217], v[218:219], v[214:215]
	v_fma_f64 v[212:213], -v[212:213], v[216:217], v[218:219]
	s_delay_alu instid0(VALU_DEP_1) | instskip(NEXT) | instid1(VALU_DEP_1)
	v_div_fmas_f64 v[212:213], v[212:213], v[214:215], v[216:217]
	v_div_fixup_f64 v[212:213], v[212:213], v[210:211], v[208:209]
	s_delay_alu instid0(VALU_DEP_1) | instskip(NEXT) | instid1(VALU_DEP_1)
	v_fma_f64 v[208:209], v[208:209], v[212:213], v[210:211]
	v_div_scale_f64 v[210:211], null, v[208:209], v[208:209], 1.0
	s_delay_alu instid0(VALU_DEP_1) | instskip(SKIP_2) | instid1(VALU_DEP_1)
	v_rcp_f64_e32 v[214:215], v[210:211]
	s_waitcnt_depctr 0xfff
	v_fma_f64 v[216:217], -v[210:211], v[214:215], 1.0
	v_fma_f64 v[214:215], v[214:215], v[216:217], v[214:215]
	s_delay_alu instid0(VALU_DEP_1) | instskip(NEXT) | instid1(VALU_DEP_1)
	v_fma_f64 v[216:217], -v[210:211], v[214:215], 1.0
	v_fma_f64 v[214:215], v[214:215], v[216:217], v[214:215]
	v_div_scale_f64 v[216:217], vcc_lo, 1.0, v[208:209], 1.0
	s_delay_alu instid0(VALU_DEP_1) | instskip(NEXT) | instid1(VALU_DEP_1)
	v_mul_f64 v[218:219], v[216:217], v[214:215]
	v_fma_f64 v[210:211], -v[210:211], v[218:219], v[216:217]
	s_delay_alu instid0(VALU_DEP_1) | instskip(NEXT) | instid1(VALU_DEP_1)
	v_div_fmas_f64 v[210:211], v[210:211], v[214:215], v[218:219]
	v_div_fixup_f64 v[214:215], v[210:211], v[208:209], 1.0
                                        ; implicit-def: $vgpr208_vgpr209
	s_delay_alu instid0(VALU_DEP_1)
	v_mul_f64 v[216:217], v[212:213], v[214:215]
	v_xor_b32_e32 v215, 0x80000000, v215
.LBB103_365:
	s_and_not1_saveexec_b32 s3, s3
	s_cbranch_execz .LBB103_367
; %bb.366:
	v_div_scale_f64 v[212:213], null, v[208:209], v[208:209], v[210:211]
	v_div_scale_f64 v[218:219], vcc_lo, v[210:211], v[208:209], v[210:211]
	s_delay_alu instid0(VALU_DEP_2) | instskip(SKIP_2) | instid1(VALU_DEP_1)
	v_rcp_f64_e32 v[214:215], v[212:213]
	s_waitcnt_depctr 0xfff
	v_fma_f64 v[216:217], -v[212:213], v[214:215], 1.0
	v_fma_f64 v[214:215], v[214:215], v[216:217], v[214:215]
	s_delay_alu instid0(VALU_DEP_1) | instskip(NEXT) | instid1(VALU_DEP_1)
	v_fma_f64 v[216:217], -v[212:213], v[214:215], 1.0
	v_fma_f64 v[214:215], v[214:215], v[216:217], v[214:215]
	s_delay_alu instid0(VALU_DEP_1) | instskip(NEXT) | instid1(VALU_DEP_1)
	v_mul_f64 v[216:217], v[218:219], v[214:215]
	v_fma_f64 v[212:213], -v[212:213], v[216:217], v[218:219]
	s_delay_alu instid0(VALU_DEP_1) | instskip(NEXT) | instid1(VALU_DEP_1)
	v_div_fmas_f64 v[212:213], v[212:213], v[214:215], v[216:217]
	v_div_fixup_f64 v[212:213], v[212:213], v[208:209], v[210:211]
	s_delay_alu instid0(VALU_DEP_1) | instskip(NEXT) | instid1(VALU_DEP_1)
	v_fma_f64 v[208:209], v[210:211], v[212:213], v[208:209]
	v_div_scale_f64 v[210:211], null, v[208:209], v[208:209], 1.0
	s_delay_alu instid0(VALU_DEP_1) | instskip(SKIP_2) | instid1(VALU_DEP_1)
	v_rcp_f64_e32 v[214:215], v[210:211]
	s_waitcnt_depctr 0xfff
	v_fma_f64 v[216:217], -v[210:211], v[214:215], 1.0
	v_fma_f64 v[214:215], v[214:215], v[216:217], v[214:215]
	s_delay_alu instid0(VALU_DEP_1) | instskip(NEXT) | instid1(VALU_DEP_1)
	v_fma_f64 v[216:217], -v[210:211], v[214:215], 1.0
	v_fma_f64 v[214:215], v[214:215], v[216:217], v[214:215]
	v_div_scale_f64 v[216:217], vcc_lo, 1.0, v[208:209], 1.0
	s_delay_alu instid0(VALU_DEP_1) | instskip(NEXT) | instid1(VALU_DEP_1)
	v_mul_f64 v[218:219], v[216:217], v[214:215]
	v_fma_f64 v[210:211], -v[210:211], v[218:219], v[216:217]
	s_delay_alu instid0(VALU_DEP_1) | instskip(NEXT) | instid1(VALU_DEP_1)
	v_div_fmas_f64 v[210:211], v[210:211], v[214:215], v[218:219]
	v_div_fixup_f64 v[216:217], v[210:211], v[208:209], 1.0
	s_delay_alu instid0(VALU_DEP_1)
	v_mul_f64 v[214:215], v[212:213], -v[216:217]
.LBB103_367:
	s_or_b32 exec_lo, exec_lo, s3
	ds_store_2addr_b64 v227, v[216:217], v[214:215] offset1:1
.LBB103_368:
	s_or_b32 exec_lo, exec_lo, s4
	s_waitcnt lgkmcnt(0)
	s_barrier
	buffer_gl0_inv
	ds_load_2addr_b64 v[202:205], v227 offset1:1
	s_mov_b32 s3, exec_lo
	s_waitcnt lgkmcnt(0)
	scratch_store_b128 off, v[202:205], off offset:1080 ; 16-byte Folded Spill
	v_cmpx_lt_u32_e32 40, v226
	s_cbranch_execz .LBB103_370
; %bb.369:
	scratch_load_b128 v[202:205], off, off offset:1080 ; 16-byte Folded Reload
	s_waitcnt vmcnt(0)
	v_mul_f64 v[208:209], v[202:203], v[46:47]
	v_mul_f64 v[46:47], v[204:205], v[46:47]
	s_delay_alu instid0(VALU_DEP_2) | instskip(SKIP_4) | instid1(VALU_DEP_1)
	v_fma_f64 v[212:213], v[204:205], v[44:45], v[208:209]
	ds_load_2addr_b64 v[208:211], v228 offset0:82 offset1:83
	v_fma_f64 v[44:45], v[202:203], v[44:45], -v[46:47]
	s_waitcnt lgkmcnt(0)
	v_mul_f64 v[46:47], v[210:211], v[212:213]
	v_fma_f64 v[46:47], v[208:209], v[44:45], -v[46:47]
	v_mul_f64 v[208:209], v[208:209], v[212:213]
	s_delay_alu instid0(VALU_DEP_2) | instskip(NEXT) | instid1(VALU_DEP_2)
	v_add_f64 v[40:41], v[40:41], -v[46:47]
	v_fma_f64 v[208:209], v[210:211], v[44:45], v[208:209]
	s_delay_alu instid0(VALU_DEP_1) | instskip(SKIP_3) | instid1(VALU_DEP_1)
	v_add_f64 v[42:43], v[42:43], -v[208:209]
	ds_load_2addr_b64 v[208:211], v228 offset0:84 offset1:85
	s_waitcnt lgkmcnt(0)
	v_mul_f64 v[46:47], v[210:211], v[212:213]
	v_fma_f64 v[46:47], v[208:209], v[44:45], -v[46:47]
	v_mul_f64 v[208:209], v[208:209], v[212:213]
	s_delay_alu instid0(VALU_DEP_2) | instskip(NEXT) | instid1(VALU_DEP_2)
	v_add_f64 v[36:37], v[36:37], -v[46:47]
	v_fma_f64 v[208:209], v[210:211], v[44:45], v[208:209]
	s_delay_alu instid0(VALU_DEP_1) | instskip(SKIP_3) | instid1(VALU_DEP_1)
	v_add_f64 v[38:39], v[38:39], -v[208:209]
	ds_load_2addr_b64 v[208:211], v228 offset0:86 offset1:87
	;; [unrolled: 10-line block ×10, first 2 shown]
	s_waitcnt lgkmcnt(0)
	v_mul_f64 v[46:47], v[210:211], v[212:213]
	v_fma_f64 v[46:47], v[208:209], v[44:45], -v[46:47]
	v_mul_f64 v[208:209], v[208:209], v[212:213]
	s_delay_alu instid0(VALU_DEP_2) | instskip(NEXT) | instid1(VALU_DEP_2)
	v_add_f64 v[0:1], v[0:1], -v[46:47]
	v_fma_f64 v[208:209], v[210:211], v[44:45], v[208:209]
	v_dual_mov_b32 v46, v212 :: v_dual_mov_b32 v47, v213
	s_delay_alu instid0(VALU_DEP_2)
	v_add_f64 v[2:3], v[2:3], -v[208:209]
.LBB103_370:
	s_or_b32 exec_lo, exec_lo, s3
	s_delay_alu instid0(SALU_CYCLE_1)
	s_mov_b32 s4, exec_lo
	s_waitcnt_vscnt null, 0x0
	s_barrier
	buffer_gl0_inv
	v_cmpx_eq_u32_e32 41, v226
	s_cbranch_execz .LBB103_377
; %bb.371:
	ds_store_2addr_b64 v227, v[40:41], v[42:43] offset1:1
	ds_store_2addr_b64 v228, v[36:37], v[38:39] offset0:84 offset1:85
	ds_store_2addr_b64 v228, v[32:33], v[34:35] offset0:86 offset1:87
	;; [unrolled: 1-line block ×10, first 2 shown]
	ds_load_2addr_b64 v[208:211], v227 offset1:1
	s_waitcnt lgkmcnt(0)
	v_cmp_neq_f64_e32 vcc_lo, 0, v[208:209]
	v_cmp_neq_f64_e64 s3, 0, v[210:211]
	s_delay_alu instid0(VALU_DEP_1) | instskip(NEXT) | instid1(SALU_CYCLE_1)
	s_or_b32 s3, vcc_lo, s3
	s_and_b32 exec_lo, exec_lo, s3
	s_cbranch_execz .LBB103_377
; %bb.372:
	v_cmp_gt_f64_e32 vcc_lo, 0, v[208:209]
	v_xor_b32_e32 v204, 0x80000000, v209
	s_mov_b32 s3, exec_lo
                                        ; implicit-def: $vgpr216_vgpr217
	s_delay_alu instid0(VALU_DEP_1) | instskip(SKIP_3) | instid1(VALU_DEP_1)
	v_cndmask_b32_e32 v213, v209, v204, vcc_lo
	v_cndmask_b32_e32 v212, v208, v208, vcc_lo
	v_cmp_gt_f64_e32 vcc_lo, 0, v[210:211]
	v_xor_b32_e32 v204, 0x80000000, v211
	v_dual_cndmask_b32 v214, v210, v210 :: v_dual_cndmask_b32 v215, v211, v204
	s_delay_alu instid0(VALU_DEP_1)
	v_cmpx_ngt_f64_e32 v[212:213], v[214:215]
	s_xor_b32 s3, exec_lo, s3
                                        ; implicit-def: $vgpr212_vgpr213_vgpr214_vgpr215
	s_cbranch_execz .LBB103_374
; %bb.373:
	v_div_scale_f64 v[212:213], null, v[210:211], v[210:211], v[208:209]
	v_div_scale_f64 v[218:219], vcc_lo, v[208:209], v[210:211], v[208:209]
	s_delay_alu instid0(VALU_DEP_2) | instskip(SKIP_2) | instid1(VALU_DEP_1)
	v_rcp_f64_e32 v[214:215], v[212:213]
	s_waitcnt_depctr 0xfff
	v_fma_f64 v[216:217], -v[212:213], v[214:215], 1.0
	v_fma_f64 v[214:215], v[214:215], v[216:217], v[214:215]
	s_delay_alu instid0(VALU_DEP_1) | instskip(NEXT) | instid1(VALU_DEP_1)
	v_fma_f64 v[216:217], -v[212:213], v[214:215], 1.0
	v_fma_f64 v[214:215], v[214:215], v[216:217], v[214:215]
	s_delay_alu instid0(VALU_DEP_1) | instskip(NEXT) | instid1(VALU_DEP_1)
	v_mul_f64 v[216:217], v[218:219], v[214:215]
	v_fma_f64 v[212:213], -v[212:213], v[216:217], v[218:219]
	s_delay_alu instid0(VALU_DEP_1) | instskip(NEXT) | instid1(VALU_DEP_1)
	v_div_fmas_f64 v[212:213], v[212:213], v[214:215], v[216:217]
	v_div_fixup_f64 v[212:213], v[212:213], v[210:211], v[208:209]
	s_delay_alu instid0(VALU_DEP_1) | instskip(NEXT) | instid1(VALU_DEP_1)
	v_fma_f64 v[208:209], v[208:209], v[212:213], v[210:211]
	v_div_scale_f64 v[210:211], null, v[208:209], v[208:209], 1.0
	s_delay_alu instid0(VALU_DEP_1) | instskip(SKIP_2) | instid1(VALU_DEP_1)
	v_rcp_f64_e32 v[214:215], v[210:211]
	s_waitcnt_depctr 0xfff
	v_fma_f64 v[216:217], -v[210:211], v[214:215], 1.0
	v_fma_f64 v[214:215], v[214:215], v[216:217], v[214:215]
	s_delay_alu instid0(VALU_DEP_1) | instskip(NEXT) | instid1(VALU_DEP_1)
	v_fma_f64 v[216:217], -v[210:211], v[214:215], 1.0
	v_fma_f64 v[214:215], v[214:215], v[216:217], v[214:215]
	v_div_scale_f64 v[216:217], vcc_lo, 1.0, v[208:209], 1.0
	s_delay_alu instid0(VALU_DEP_1) | instskip(NEXT) | instid1(VALU_DEP_1)
	v_mul_f64 v[218:219], v[216:217], v[214:215]
	v_fma_f64 v[210:211], -v[210:211], v[218:219], v[216:217]
	s_delay_alu instid0(VALU_DEP_1) | instskip(NEXT) | instid1(VALU_DEP_1)
	v_div_fmas_f64 v[210:211], v[210:211], v[214:215], v[218:219]
	v_div_fixup_f64 v[214:215], v[210:211], v[208:209], 1.0
                                        ; implicit-def: $vgpr208_vgpr209
	s_delay_alu instid0(VALU_DEP_1)
	v_mul_f64 v[216:217], v[212:213], v[214:215]
	v_xor_b32_e32 v215, 0x80000000, v215
.LBB103_374:
	s_and_not1_saveexec_b32 s3, s3
	s_cbranch_execz .LBB103_376
; %bb.375:
	v_div_scale_f64 v[212:213], null, v[208:209], v[208:209], v[210:211]
	v_div_scale_f64 v[218:219], vcc_lo, v[210:211], v[208:209], v[210:211]
	s_delay_alu instid0(VALU_DEP_2) | instskip(SKIP_2) | instid1(VALU_DEP_1)
	v_rcp_f64_e32 v[214:215], v[212:213]
	s_waitcnt_depctr 0xfff
	v_fma_f64 v[216:217], -v[212:213], v[214:215], 1.0
	v_fma_f64 v[214:215], v[214:215], v[216:217], v[214:215]
	s_delay_alu instid0(VALU_DEP_1) | instskip(NEXT) | instid1(VALU_DEP_1)
	v_fma_f64 v[216:217], -v[212:213], v[214:215], 1.0
	v_fma_f64 v[214:215], v[214:215], v[216:217], v[214:215]
	s_delay_alu instid0(VALU_DEP_1) | instskip(NEXT) | instid1(VALU_DEP_1)
	v_mul_f64 v[216:217], v[218:219], v[214:215]
	v_fma_f64 v[212:213], -v[212:213], v[216:217], v[218:219]
	s_delay_alu instid0(VALU_DEP_1) | instskip(NEXT) | instid1(VALU_DEP_1)
	v_div_fmas_f64 v[212:213], v[212:213], v[214:215], v[216:217]
	v_div_fixup_f64 v[212:213], v[212:213], v[208:209], v[210:211]
	s_delay_alu instid0(VALU_DEP_1) | instskip(NEXT) | instid1(VALU_DEP_1)
	v_fma_f64 v[208:209], v[210:211], v[212:213], v[208:209]
	v_div_scale_f64 v[210:211], null, v[208:209], v[208:209], 1.0
	s_delay_alu instid0(VALU_DEP_1) | instskip(SKIP_2) | instid1(VALU_DEP_1)
	v_rcp_f64_e32 v[214:215], v[210:211]
	s_waitcnt_depctr 0xfff
	v_fma_f64 v[216:217], -v[210:211], v[214:215], 1.0
	v_fma_f64 v[214:215], v[214:215], v[216:217], v[214:215]
	s_delay_alu instid0(VALU_DEP_1) | instskip(NEXT) | instid1(VALU_DEP_1)
	v_fma_f64 v[216:217], -v[210:211], v[214:215], 1.0
	v_fma_f64 v[214:215], v[214:215], v[216:217], v[214:215]
	v_div_scale_f64 v[216:217], vcc_lo, 1.0, v[208:209], 1.0
	s_delay_alu instid0(VALU_DEP_1) | instskip(NEXT) | instid1(VALU_DEP_1)
	v_mul_f64 v[218:219], v[216:217], v[214:215]
	v_fma_f64 v[210:211], -v[210:211], v[218:219], v[216:217]
	s_delay_alu instid0(VALU_DEP_1) | instskip(NEXT) | instid1(VALU_DEP_1)
	v_div_fmas_f64 v[210:211], v[210:211], v[214:215], v[218:219]
	v_div_fixup_f64 v[216:217], v[210:211], v[208:209], 1.0
	s_delay_alu instid0(VALU_DEP_1)
	v_mul_f64 v[214:215], v[212:213], -v[216:217]
.LBB103_376:
	s_or_b32 exec_lo, exec_lo, s3
	ds_store_2addr_b64 v227, v[216:217], v[214:215] offset1:1
.LBB103_377:
	s_or_b32 exec_lo, exec_lo, s4
	s_waitcnt lgkmcnt(0)
	s_barrier
	buffer_gl0_inv
	ds_load_2addr_b64 v[202:205], v227 offset1:1
	s_mov_b32 s3, exec_lo
	s_waitcnt lgkmcnt(0)
	scratch_store_b128 off, v[202:205], off offset:1096 ; 16-byte Folded Spill
	v_cmpx_lt_u32_e32 41, v226
	s_cbranch_execz .LBB103_379
; %bb.378:
	scratch_load_b128 v[202:205], off, off offset:1096 ; 16-byte Folded Reload
	s_waitcnt vmcnt(0)
	v_mul_f64 v[208:209], v[202:203], v[42:43]
	v_mul_f64 v[42:43], v[204:205], v[42:43]
	s_delay_alu instid0(VALU_DEP_2) | instskip(SKIP_4) | instid1(VALU_DEP_1)
	v_fma_f64 v[212:213], v[204:205], v[40:41], v[208:209]
	ds_load_2addr_b64 v[208:211], v228 offset0:84 offset1:85
	v_fma_f64 v[40:41], v[202:203], v[40:41], -v[42:43]
	s_waitcnt lgkmcnt(0)
	v_mul_f64 v[42:43], v[210:211], v[212:213]
	v_fma_f64 v[42:43], v[208:209], v[40:41], -v[42:43]
	v_mul_f64 v[208:209], v[208:209], v[212:213]
	s_delay_alu instid0(VALU_DEP_2) | instskip(NEXT) | instid1(VALU_DEP_2)
	v_add_f64 v[36:37], v[36:37], -v[42:43]
	v_fma_f64 v[208:209], v[210:211], v[40:41], v[208:209]
	s_delay_alu instid0(VALU_DEP_1) | instskip(SKIP_3) | instid1(VALU_DEP_1)
	v_add_f64 v[38:39], v[38:39], -v[208:209]
	ds_load_2addr_b64 v[208:211], v228 offset0:86 offset1:87
	s_waitcnt lgkmcnt(0)
	v_mul_f64 v[42:43], v[210:211], v[212:213]
	v_fma_f64 v[42:43], v[208:209], v[40:41], -v[42:43]
	v_mul_f64 v[208:209], v[208:209], v[212:213]
	s_delay_alu instid0(VALU_DEP_2) | instskip(NEXT) | instid1(VALU_DEP_2)
	v_add_f64 v[32:33], v[32:33], -v[42:43]
	v_fma_f64 v[208:209], v[210:211], v[40:41], v[208:209]
	s_delay_alu instid0(VALU_DEP_1) | instskip(SKIP_3) | instid1(VALU_DEP_1)
	v_add_f64 v[34:35], v[34:35], -v[208:209]
	ds_load_2addr_b64 v[208:211], v228 offset0:88 offset1:89
	;; [unrolled: 10-line block ×9, first 2 shown]
	s_waitcnt lgkmcnt(0)
	v_mul_f64 v[42:43], v[210:211], v[212:213]
	v_fma_f64 v[42:43], v[208:209], v[40:41], -v[42:43]
	v_mul_f64 v[208:209], v[208:209], v[212:213]
	s_delay_alu instid0(VALU_DEP_2) | instskip(NEXT) | instid1(VALU_DEP_2)
	v_add_f64 v[0:1], v[0:1], -v[42:43]
	v_fma_f64 v[208:209], v[210:211], v[40:41], v[208:209]
	v_dual_mov_b32 v42, v212 :: v_dual_mov_b32 v43, v213
	s_delay_alu instid0(VALU_DEP_2)
	v_add_f64 v[2:3], v[2:3], -v[208:209]
.LBB103_379:
	s_or_b32 exec_lo, exec_lo, s3
	s_delay_alu instid0(SALU_CYCLE_1)
	s_mov_b32 s4, exec_lo
	s_waitcnt_vscnt null, 0x0
	s_barrier
	buffer_gl0_inv
	v_cmpx_eq_u32_e32 42, v226
	s_cbranch_execz .LBB103_386
; %bb.380:
	ds_store_2addr_b64 v227, v[36:37], v[38:39] offset1:1
	ds_store_2addr_b64 v228, v[32:33], v[34:35] offset0:86 offset1:87
	ds_store_2addr_b64 v228, v[28:29], v[30:31] offset0:88 offset1:89
	;; [unrolled: 1-line block ×9, first 2 shown]
	ds_load_2addr_b64 v[208:211], v227 offset1:1
	s_waitcnt lgkmcnt(0)
	v_cmp_neq_f64_e32 vcc_lo, 0, v[208:209]
	v_cmp_neq_f64_e64 s3, 0, v[210:211]
	s_delay_alu instid0(VALU_DEP_1) | instskip(NEXT) | instid1(SALU_CYCLE_1)
	s_or_b32 s3, vcc_lo, s3
	s_and_b32 exec_lo, exec_lo, s3
	s_cbranch_execz .LBB103_386
; %bb.381:
	v_cmp_gt_f64_e32 vcc_lo, 0, v[208:209]
	v_xor_b32_e32 v204, 0x80000000, v209
	s_mov_b32 s3, exec_lo
                                        ; implicit-def: $vgpr216_vgpr217
	s_delay_alu instid0(VALU_DEP_1) | instskip(SKIP_3) | instid1(VALU_DEP_1)
	v_cndmask_b32_e32 v213, v209, v204, vcc_lo
	v_cndmask_b32_e32 v212, v208, v208, vcc_lo
	v_cmp_gt_f64_e32 vcc_lo, 0, v[210:211]
	v_xor_b32_e32 v204, 0x80000000, v211
	v_dual_cndmask_b32 v214, v210, v210 :: v_dual_cndmask_b32 v215, v211, v204
	s_delay_alu instid0(VALU_DEP_1)
	v_cmpx_ngt_f64_e32 v[212:213], v[214:215]
	s_xor_b32 s3, exec_lo, s3
                                        ; implicit-def: $vgpr212_vgpr213_vgpr214_vgpr215
	s_cbranch_execz .LBB103_383
; %bb.382:
	v_div_scale_f64 v[212:213], null, v[210:211], v[210:211], v[208:209]
	v_div_scale_f64 v[218:219], vcc_lo, v[208:209], v[210:211], v[208:209]
	s_delay_alu instid0(VALU_DEP_2) | instskip(SKIP_2) | instid1(VALU_DEP_1)
	v_rcp_f64_e32 v[214:215], v[212:213]
	s_waitcnt_depctr 0xfff
	v_fma_f64 v[216:217], -v[212:213], v[214:215], 1.0
	v_fma_f64 v[214:215], v[214:215], v[216:217], v[214:215]
	s_delay_alu instid0(VALU_DEP_1) | instskip(NEXT) | instid1(VALU_DEP_1)
	v_fma_f64 v[216:217], -v[212:213], v[214:215], 1.0
	v_fma_f64 v[214:215], v[214:215], v[216:217], v[214:215]
	s_delay_alu instid0(VALU_DEP_1) | instskip(NEXT) | instid1(VALU_DEP_1)
	v_mul_f64 v[216:217], v[218:219], v[214:215]
	v_fma_f64 v[212:213], -v[212:213], v[216:217], v[218:219]
	s_delay_alu instid0(VALU_DEP_1) | instskip(NEXT) | instid1(VALU_DEP_1)
	v_div_fmas_f64 v[212:213], v[212:213], v[214:215], v[216:217]
	v_div_fixup_f64 v[212:213], v[212:213], v[210:211], v[208:209]
	s_delay_alu instid0(VALU_DEP_1) | instskip(NEXT) | instid1(VALU_DEP_1)
	v_fma_f64 v[208:209], v[208:209], v[212:213], v[210:211]
	v_div_scale_f64 v[210:211], null, v[208:209], v[208:209], 1.0
	s_delay_alu instid0(VALU_DEP_1) | instskip(SKIP_2) | instid1(VALU_DEP_1)
	v_rcp_f64_e32 v[214:215], v[210:211]
	s_waitcnt_depctr 0xfff
	v_fma_f64 v[216:217], -v[210:211], v[214:215], 1.0
	v_fma_f64 v[214:215], v[214:215], v[216:217], v[214:215]
	s_delay_alu instid0(VALU_DEP_1) | instskip(NEXT) | instid1(VALU_DEP_1)
	v_fma_f64 v[216:217], -v[210:211], v[214:215], 1.0
	v_fma_f64 v[214:215], v[214:215], v[216:217], v[214:215]
	v_div_scale_f64 v[216:217], vcc_lo, 1.0, v[208:209], 1.0
	s_delay_alu instid0(VALU_DEP_1) | instskip(NEXT) | instid1(VALU_DEP_1)
	v_mul_f64 v[218:219], v[216:217], v[214:215]
	v_fma_f64 v[210:211], -v[210:211], v[218:219], v[216:217]
	s_delay_alu instid0(VALU_DEP_1) | instskip(NEXT) | instid1(VALU_DEP_1)
	v_div_fmas_f64 v[210:211], v[210:211], v[214:215], v[218:219]
	v_div_fixup_f64 v[214:215], v[210:211], v[208:209], 1.0
                                        ; implicit-def: $vgpr208_vgpr209
	s_delay_alu instid0(VALU_DEP_1)
	v_mul_f64 v[216:217], v[212:213], v[214:215]
	v_xor_b32_e32 v215, 0x80000000, v215
.LBB103_383:
	s_and_not1_saveexec_b32 s3, s3
	s_cbranch_execz .LBB103_385
; %bb.384:
	v_div_scale_f64 v[212:213], null, v[208:209], v[208:209], v[210:211]
	v_div_scale_f64 v[218:219], vcc_lo, v[210:211], v[208:209], v[210:211]
	s_delay_alu instid0(VALU_DEP_2) | instskip(SKIP_2) | instid1(VALU_DEP_1)
	v_rcp_f64_e32 v[214:215], v[212:213]
	s_waitcnt_depctr 0xfff
	v_fma_f64 v[216:217], -v[212:213], v[214:215], 1.0
	v_fma_f64 v[214:215], v[214:215], v[216:217], v[214:215]
	s_delay_alu instid0(VALU_DEP_1) | instskip(NEXT) | instid1(VALU_DEP_1)
	v_fma_f64 v[216:217], -v[212:213], v[214:215], 1.0
	v_fma_f64 v[214:215], v[214:215], v[216:217], v[214:215]
	s_delay_alu instid0(VALU_DEP_1) | instskip(NEXT) | instid1(VALU_DEP_1)
	v_mul_f64 v[216:217], v[218:219], v[214:215]
	v_fma_f64 v[212:213], -v[212:213], v[216:217], v[218:219]
	s_delay_alu instid0(VALU_DEP_1) | instskip(NEXT) | instid1(VALU_DEP_1)
	v_div_fmas_f64 v[212:213], v[212:213], v[214:215], v[216:217]
	v_div_fixup_f64 v[212:213], v[212:213], v[208:209], v[210:211]
	s_delay_alu instid0(VALU_DEP_1) | instskip(NEXT) | instid1(VALU_DEP_1)
	v_fma_f64 v[208:209], v[210:211], v[212:213], v[208:209]
	v_div_scale_f64 v[210:211], null, v[208:209], v[208:209], 1.0
	s_delay_alu instid0(VALU_DEP_1) | instskip(SKIP_2) | instid1(VALU_DEP_1)
	v_rcp_f64_e32 v[214:215], v[210:211]
	s_waitcnt_depctr 0xfff
	v_fma_f64 v[216:217], -v[210:211], v[214:215], 1.0
	v_fma_f64 v[214:215], v[214:215], v[216:217], v[214:215]
	s_delay_alu instid0(VALU_DEP_1) | instskip(NEXT) | instid1(VALU_DEP_1)
	v_fma_f64 v[216:217], -v[210:211], v[214:215], 1.0
	v_fma_f64 v[214:215], v[214:215], v[216:217], v[214:215]
	v_div_scale_f64 v[216:217], vcc_lo, 1.0, v[208:209], 1.0
	s_delay_alu instid0(VALU_DEP_1) | instskip(NEXT) | instid1(VALU_DEP_1)
	v_mul_f64 v[218:219], v[216:217], v[214:215]
	v_fma_f64 v[210:211], -v[210:211], v[218:219], v[216:217]
	s_delay_alu instid0(VALU_DEP_1) | instskip(NEXT) | instid1(VALU_DEP_1)
	v_div_fmas_f64 v[210:211], v[210:211], v[214:215], v[218:219]
	v_div_fixup_f64 v[216:217], v[210:211], v[208:209], 1.0
	s_delay_alu instid0(VALU_DEP_1)
	v_mul_f64 v[214:215], v[212:213], -v[216:217]
.LBB103_385:
	s_or_b32 exec_lo, exec_lo, s3
	ds_store_2addr_b64 v227, v[216:217], v[214:215] offset1:1
.LBB103_386:
	s_or_b32 exec_lo, exec_lo, s4
	s_waitcnt lgkmcnt(0)
	s_barrier
	buffer_gl0_inv
	ds_load_2addr_b64 v[232:235], v227 offset1:1
	s_mov_b32 s3, exec_lo
	v_cmpx_lt_u32_e32 42, v226
	s_cbranch_execz .LBB103_388
; %bb.387:
	s_waitcnt lgkmcnt(0)
	v_mul_f64 v[208:209], v[232:233], v[38:39]
	v_mul_f64 v[38:39], v[234:235], v[38:39]
	s_delay_alu instid0(VALU_DEP_2) | instskip(SKIP_4) | instid1(VALU_DEP_1)
	v_fma_f64 v[212:213], v[234:235], v[36:37], v[208:209]
	ds_load_2addr_b64 v[208:211], v228 offset0:86 offset1:87
	v_fma_f64 v[36:37], v[232:233], v[36:37], -v[38:39]
	s_waitcnt lgkmcnt(0)
	v_mul_f64 v[38:39], v[210:211], v[212:213]
	v_fma_f64 v[38:39], v[208:209], v[36:37], -v[38:39]
	v_mul_f64 v[208:209], v[208:209], v[212:213]
	s_delay_alu instid0(VALU_DEP_2) | instskip(NEXT) | instid1(VALU_DEP_2)
	v_add_f64 v[32:33], v[32:33], -v[38:39]
	v_fma_f64 v[208:209], v[210:211], v[36:37], v[208:209]
	s_delay_alu instid0(VALU_DEP_1) | instskip(SKIP_3) | instid1(VALU_DEP_1)
	v_add_f64 v[34:35], v[34:35], -v[208:209]
	ds_load_2addr_b64 v[208:211], v228 offset0:88 offset1:89
	s_waitcnt lgkmcnt(0)
	v_mul_f64 v[38:39], v[210:211], v[212:213]
	v_fma_f64 v[38:39], v[208:209], v[36:37], -v[38:39]
	v_mul_f64 v[208:209], v[208:209], v[212:213]
	s_delay_alu instid0(VALU_DEP_2) | instskip(NEXT) | instid1(VALU_DEP_2)
	v_add_f64 v[28:29], v[28:29], -v[38:39]
	v_fma_f64 v[208:209], v[210:211], v[36:37], v[208:209]
	s_delay_alu instid0(VALU_DEP_1) | instskip(SKIP_3) | instid1(VALU_DEP_1)
	v_add_f64 v[30:31], v[30:31], -v[208:209]
	ds_load_2addr_b64 v[208:211], v228 offset0:90 offset1:91
	;; [unrolled: 10-line block ×8, first 2 shown]
	s_waitcnt lgkmcnt(0)
	v_mul_f64 v[38:39], v[210:211], v[212:213]
	v_fma_f64 v[38:39], v[208:209], v[36:37], -v[38:39]
	v_mul_f64 v[208:209], v[208:209], v[212:213]
	s_delay_alu instid0(VALU_DEP_2) | instskip(NEXT) | instid1(VALU_DEP_2)
	v_add_f64 v[0:1], v[0:1], -v[38:39]
	v_fma_f64 v[208:209], v[210:211], v[36:37], v[208:209]
	v_dual_mov_b32 v38, v212 :: v_dual_mov_b32 v39, v213
	s_delay_alu instid0(VALU_DEP_2)
	v_add_f64 v[2:3], v[2:3], -v[208:209]
.LBB103_388:
	s_or_b32 exec_lo, exec_lo, s3
	s_delay_alu instid0(SALU_CYCLE_1)
	s_mov_b32 s4, exec_lo
	s_waitcnt lgkmcnt(0)
	s_barrier
	buffer_gl0_inv
	v_cmpx_eq_u32_e32 43, v226
	s_cbranch_execz .LBB103_395
; %bb.389:
	ds_store_2addr_b64 v227, v[32:33], v[34:35] offset1:1
	ds_store_2addr_b64 v228, v[28:29], v[30:31] offset0:88 offset1:89
	ds_store_2addr_b64 v228, v[24:25], v[26:27] offset0:90 offset1:91
	;; [unrolled: 1-line block ×8, first 2 shown]
	ds_load_2addr_b64 v[208:211], v227 offset1:1
	s_waitcnt lgkmcnt(0)
	v_cmp_neq_f64_e32 vcc_lo, 0, v[208:209]
	v_cmp_neq_f64_e64 s3, 0, v[210:211]
	s_delay_alu instid0(VALU_DEP_1) | instskip(NEXT) | instid1(SALU_CYCLE_1)
	s_or_b32 s3, vcc_lo, s3
	s_and_b32 exec_lo, exec_lo, s3
	s_cbranch_execz .LBB103_395
; %bb.390:
	v_cmp_gt_f64_e32 vcc_lo, 0, v[208:209]
	v_xor_b32_e32 v204, 0x80000000, v209
	s_mov_b32 s3, exec_lo
                                        ; implicit-def: $vgpr216_vgpr217
	s_delay_alu instid0(VALU_DEP_1) | instskip(SKIP_3) | instid1(VALU_DEP_1)
	v_cndmask_b32_e32 v213, v209, v204, vcc_lo
	v_cndmask_b32_e32 v212, v208, v208, vcc_lo
	v_cmp_gt_f64_e32 vcc_lo, 0, v[210:211]
	v_xor_b32_e32 v204, 0x80000000, v211
	v_dual_cndmask_b32 v214, v210, v210 :: v_dual_cndmask_b32 v215, v211, v204
	s_delay_alu instid0(VALU_DEP_1)
	v_cmpx_ngt_f64_e32 v[212:213], v[214:215]
	s_xor_b32 s3, exec_lo, s3
                                        ; implicit-def: $vgpr212_vgpr213_vgpr214_vgpr215
	s_cbranch_execz .LBB103_392
; %bb.391:
	v_div_scale_f64 v[212:213], null, v[210:211], v[210:211], v[208:209]
	v_div_scale_f64 v[218:219], vcc_lo, v[208:209], v[210:211], v[208:209]
	s_delay_alu instid0(VALU_DEP_2) | instskip(SKIP_2) | instid1(VALU_DEP_1)
	v_rcp_f64_e32 v[214:215], v[212:213]
	s_waitcnt_depctr 0xfff
	v_fma_f64 v[216:217], -v[212:213], v[214:215], 1.0
	v_fma_f64 v[214:215], v[214:215], v[216:217], v[214:215]
	s_delay_alu instid0(VALU_DEP_1) | instskip(NEXT) | instid1(VALU_DEP_1)
	v_fma_f64 v[216:217], -v[212:213], v[214:215], 1.0
	v_fma_f64 v[214:215], v[214:215], v[216:217], v[214:215]
	s_delay_alu instid0(VALU_DEP_1) | instskip(NEXT) | instid1(VALU_DEP_1)
	v_mul_f64 v[216:217], v[218:219], v[214:215]
	v_fma_f64 v[212:213], -v[212:213], v[216:217], v[218:219]
	s_delay_alu instid0(VALU_DEP_1) | instskip(NEXT) | instid1(VALU_DEP_1)
	v_div_fmas_f64 v[212:213], v[212:213], v[214:215], v[216:217]
	v_div_fixup_f64 v[212:213], v[212:213], v[210:211], v[208:209]
	s_delay_alu instid0(VALU_DEP_1) | instskip(NEXT) | instid1(VALU_DEP_1)
	v_fma_f64 v[208:209], v[208:209], v[212:213], v[210:211]
	v_div_scale_f64 v[210:211], null, v[208:209], v[208:209], 1.0
	s_delay_alu instid0(VALU_DEP_1) | instskip(SKIP_2) | instid1(VALU_DEP_1)
	v_rcp_f64_e32 v[214:215], v[210:211]
	s_waitcnt_depctr 0xfff
	v_fma_f64 v[216:217], -v[210:211], v[214:215], 1.0
	v_fma_f64 v[214:215], v[214:215], v[216:217], v[214:215]
	s_delay_alu instid0(VALU_DEP_1) | instskip(NEXT) | instid1(VALU_DEP_1)
	v_fma_f64 v[216:217], -v[210:211], v[214:215], 1.0
	v_fma_f64 v[214:215], v[214:215], v[216:217], v[214:215]
	v_div_scale_f64 v[216:217], vcc_lo, 1.0, v[208:209], 1.0
	s_delay_alu instid0(VALU_DEP_1) | instskip(NEXT) | instid1(VALU_DEP_1)
	v_mul_f64 v[218:219], v[216:217], v[214:215]
	v_fma_f64 v[210:211], -v[210:211], v[218:219], v[216:217]
	s_delay_alu instid0(VALU_DEP_1) | instskip(NEXT) | instid1(VALU_DEP_1)
	v_div_fmas_f64 v[210:211], v[210:211], v[214:215], v[218:219]
	v_div_fixup_f64 v[214:215], v[210:211], v[208:209], 1.0
                                        ; implicit-def: $vgpr208_vgpr209
	s_delay_alu instid0(VALU_DEP_1)
	v_mul_f64 v[216:217], v[212:213], v[214:215]
	v_xor_b32_e32 v215, 0x80000000, v215
.LBB103_392:
	s_and_not1_saveexec_b32 s3, s3
	s_cbranch_execz .LBB103_394
; %bb.393:
	v_div_scale_f64 v[212:213], null, v[208:209], v[208:209], v[210:211]
	v_div_scale_f64 v[218:219], vcc_lo, v[210:211], v[208:209], v[210:211]
	s_delay_alu instid0(VALU_DEP_2) | instskip(SKIP_2) | instid1(VALU_DEP_1)
	v_rcp_f64_e32 v[214:215], v[212:213]
	s_waitcnt_depctr 0xfff
	v_fma_f64 v[216:217], -v[212:213], v[214:215], 1.0
	v_fma_f64 v[214:215], v[214:215], v[216:217], v[214:215]
	s_delay_alu instid0(VALU_DEP_1) | instskip(NEXT) | instid1(VALU_DEP_1)
	v_fma_f64 v[216:217], -v[212:213], v[214:215], 1.0
	v_fma_f64 v[214:215], v[214:215], v[216:217], v[214:215]
	s_delay_alu instid0(VALU_DEP_1) | instskip(NEXT) | instid1(VALU_DEP_1)
	v_mul_f64 v[216:217], v[218:219], v[214:215]
	v_fma_f64 v[212:213], -v[212:213], v[216:217], v[218:219]
	s_delay_alu instid0(VALU_DEP_1) | instskip(NEXT) | instid1(VALU_DEP_1)
	v_div_fmas_f64 v[212:213], v[212:213], v[214:215], v[216:217]
	v_div_fixup_f64 v[212:213], v[212:213], v[208:209], v[210:211]
	s_delay_alu instid0(VALU_DEP_1) | instskip(NEXT) | instid1(VALU_DEP_1)
	v_fma_f64 v[208:209], v[210:211], v[212:213], v[208:209]
	v_div_scale_f64 v[210:211], null, v[208:209], v[208:209], 1.0
	s_delay_alu instid0(VALU_DEP_1) | instskip(SKIP_2) | instid1(VALU_DEP_1)
	v_rcp_f64_e32 v[214:215], v[210:211]
	s_waitcnt_depctr 0xfff
	v_fma_f64 v[216:217], -v[210:211], v[214:215], 1.0
	v_fma_f64 v[214:215], v[214:215], v[216:217], v[214:215]
	s_delay_alu instid0(VALU_DEP_1) | instskip(NEXT) | instid1(VALU_DEP_1)
	v_fma_f64 v[216:217], -v[210:211], v[214:215], 1.0
	v_fma_f64 v[214:215], v[214:215], v[216:217], v[214:215]
	v_div_scale_f64 v[216:217], vcc_lo, 1.0, v[208:209], 1.0
	s_delay_alu instid0(VALU_DEP_1) | instskip(NEXT) | instid1(VALU_DEP_1)
	v_mul_f64 v[218:219], v[216:217], v[214:215]
	v_fma_f64 v[210:211], -v[210:211], v[218:219], v[216:217]
	s_delay_alu instid0(VALU_DEP_1) | instskip(NEXT) | instid1(VALU_DEP_1)
	v_div_fmas_f64 v[210:211], v[210:211], v[214:215], v[218:219]
	v_div_fixup_f64 v[216:217], v[210:211], v[208:209], 1.0
	s_delay_alu instid0(VALU_DEP_1)
	v_mul_f64 v[214:215], v[212:213], -v[216:217]
.LBB103_394:
	s_or_b32 exec_lo, exec_lo, s3
	ds_store_2addr_b64 v227, v[216:217], v[214:215] offset1:1
.LBB103_395:
	s_or_b32 exec_lo, exec_lo, s4
	s_waitcnt lgkmcnt(0)
	s_barrier
	buffer_gl0_inv
	ds_load_2addr_b64 v[236:239], v227 offset1:1
	s_mov_b32 s3, exec_lo
	v_cmpx_lt_u32_e32 43, v226
	s_cbranch_execz .LBB103_397
; %bb.396:
	s_waitcnt lgkmcnt(0)
	v_mul_f64 v[208:209], v[236:237], v[34:35]
	v_mul_f64 v[34:35], v[238:239], v[34:35]
	s_delay_alu instid0(VALU_DEP_2) | instskip(SKIP_4) | instid1(VALU_DEP_1)
	v_fma_f64 v[212:213], v[238:239], v[32:33], v[208:209]
	ds_load_2addr_b64 v[208:211], v228 offset0:88 offset1:89
	v_fma_f64 v[32:33], v[236:237], v[32:33], -v[34:35]
	s_waitcnt lgkmcnt(0)
	v_mul_f64 v[34:35], v[210:211], v[212:213]
	v_fma_f64 v[34:35], v[208:209], v[32:33], -v[34:35]
	v_mul_f64 v[208:209], v[208:209], v[212:213]
	s_delay_alu instid0(VALU_DEP_2) | instskip(NEXT) | instid1(VALU_DEP_2)
	v_add_f64 v[28:29], v[28:29], -v[34:35]
	v_fma_f64 v[208:209], v[210:211], v[32:33], v[208:209]
	s_delay_alu instid0(VALU_DEP_1) | instskip(SKIP_3) | instid1(VALU_DEP_1)
	v_add_f64 v[30:31], v[30:31], -v[208:209]
	ds_load_2addr_b64 v[208:211], v228 offset0:90 offset1:91
	s_waitcnt lgkmcnt(0)
	v_mul_f64 v[34:35], v[210:211], v[212:213]
	v_fma_f64 v[34:35], v[208:209], v[32:33], -v[34:35]
	v_mul_f64 v[208:209], v[208:209], v[212:213]
	s_delay_alu instid0(VALU_DEP_2) | instskip(NEXT) | instid1(VALU_DEP_2)
	v_add_f64 v[24:25], v[24:25], -v[34:35]
	v_fma_f64 v[208:209], v[210:211], v[32:33], v[208:209]
	s_delay_alu instid0(VALU_DEP_1) | instskip(SKIP_3) | instid1(VALU_DEP_1)
	v_add_f64 v[26:27], v[26:27], -v[208:209]
	ds_load_2addr_b64 v[208:211], v228 offset0:92 offset1:93
	;; [unrolled: 10-line block ×7, first 2 shown]
	s_waitcnt lgkmcnt(0)
	v_mul_f64 v[34:35], v[210:211], v[212:213]
	v_fma_f64 v[34:35], v[208:209], v[32:33], -v[34:35]
	v_mul_f64 v[208:209], v[208:209], v[212:213]
	s_delay_alu instid0(VALU_DEP_2) | instskip(NEXT) | instid1(VALU_DEP_2)
	v_add_f64 v[0:1], v[0:1], -v[34:35]
	v_fma_f64 v[208:209], v[210:211], v[32:33], v[208:209]
	v_dual_mov_b32 v34, v212 :: v_dual_mov_b32 v35, v213
	s_delay_alu instid0(VALU_DEP_2)
	v_add_f64 v[2:3], v[2:3], -v[208:209]
.LBB103_397:
	s_or_b32 exec_lo, exec_lo, s3
	s_delay_alu instid0(SALU_CYCLE_1)
	s_mov_b32 s4, exec_lo
	s_waitcnt lgkmcnt(0)
	s_barrier
	buffer_gl0_inv
	v_cmpx_eq_u32_e32 44, v226
	s_cbranch_execz .LBB103_404
; %bb.398:
	ds_store_2addr_b64 v227, v[28:29], v[30:31] offset1:1
	ds_store_2addr_b64 v228, v[24:25], v[26:27] offset0:90 offset1:91
	ds_store_2addr_b64 v228, v[20:21], v[22:23] offset0:92 offset1:93
	;; [unrolled: 1-line block ×7, first 2 shown]
	ds_load_2addr_b64 v[208:211], v227 offset1:1
	s_waitcnt lgkmcnt(0)
	v_cmp_neq_f64_e32 vcc_lo, 0, v[208:209]
	v_cmp_neq_f64_e64 s3, 0, v[210:211]
	s_delay_alu instid0(VALU_DEP_1) | instskip(NEXT) | instid1(SALU_CYCLE_1)
	s_or_b32 s3, vcc_lo, s3
	s_and_b32 exec_lo, exec_lo, s3
	s_cbranch_execz .LBB103_404
; %bb.399:
	v_cmp_gt_f64_e32 vcc_lo, 0, v[208:209]
	v_xor_b32_e32 v204, 0x80000000, v209
	s_mov_b32 s3, exec_lo
                                        ; implicit-def: $vgpr216_vgpr217
	s_delay_alu instid0(VALU_DEP_1) | instskip(SKIP_3) | instid1(VALU_DEP_1)
	v_cndmask_b32_e32 v213, v209, v204, vcc_lo
	v_cndmask_b32_e32 v212, v208, v208, vcc_lo
	v_cmp_gt_f64_e32 vcc_lo, 0, v[210:211]
	v_xor_b32_e32 v204, 0x80000000, v211
	v_dual_cndmask_b32 v214, v210, v210 :: v_dual_cndmask_b32 v215, v211, v204
	s_delay_alu instid0(VALU_DEP_1)
	v_cmpx_ngt_f64_e32 v[212:213], v[214:215]
	s_xor_b32 s3, exec_lo, s3
                                        ; implicit-def: $vgpr212_vgpr213_vgpr214_vgpr215
	s_cbranch_execz .LBB103_401
; %bb.400:
	v_div_scale_f64 v[212:213], null, v[210:211], v[210:211], v[208:209]
	v_div_scale_f64 v[218:219], vcc_lo, v[208:209], v[210:211], v[208:209]
	s_delay_alu instid0(VALU_DEP_2) | instskip(SKIP_2) | instid1(VALU_DEP_1)
	v_rcp_f64_e32 v[214:215], v[212:213]
	s_waitcnt_depctr 0xfff
	v_fma_f64 v[216:217], -v[212:213], v[214:215], 1.0
	v_fma_f64 v[214:215], v[214:215], v[216:217], v[214:215]
	s_delay_alu instid0(VALU_DEP_1) | instskip(NEXT) | instid1(VALU_DEP_1)
	v_fma_f64 v[216:217], -v[212:213], v[214:215], 1.0
	v_fma_f64 v[214:215], v[214:215], v[216:217], v[214:215]
	s_delay_alu instid0(VALU_DEP_1) | instskip(NEXT) | instid1(VALU_DEP_1)
	v_mul_f64 v[216:217], v[218:219], v[214:215]
	v_fma_f64 v[212:213], -v[212:213], v[216:217], v[218:219]
	s_delay_alu instid0(VALU_DEP_1) | instskip(NEXT) | instid1(VALU_DEP_1)
	v_div_fmas_f64 v[212:213], v[212:213], v[214:215], v[216:217]
	v_div_fixup_f64 v[212:213], v[212:213], v[210:211], v[208:209]
	s_delay_alu instid0(VALU_DEP_1) | instskip(NEXT) | instid1(VALU_DEP_1)
	v_fma_f64 v[208:209], v[208:209], v[212:213], v[210:211]
	v_div_scale_f64 v[210:211], null, v[208:209], v[208:209], 1.0
	s_delay_alu instid0(VALU_DEP_1) | instskip(SKIP_2) | instid1(VALU_DEP_1)
	v_rcp_f64_e32 v[214:215], v[210:211]
	s_waitcnt_depctr 0xfff
	v_fma_f64 v[216:217], -v[210:211], v[214:215], 1.0
	v_fma_f64 v[214:215], v[214:215], v[216:217], v[214:215]
	s_delay_alu instid0(VALU_DEP_1) | instskip(NEXT) | instid1(VALU_DEP_1)
	v_fma_f64 v[216:217], -v[210:211], v[214:215], 1.0
	v_fma_f64 v[214:215], v[214:215], v[216:217], v[214:215]
	v_div_scale_f64 v[216:217], vcc_lo, 1.0, v[208:209], 1.0
	s_delay_alu instid0(VALU_DEP_1) | instskip(NEXT) | instid1(VALU_DEP_1)
	v_mul_f64 v[218:219], v[216:217], v[214:215]
	v_fma_f64 v[210:211], -v[210:211], v[218:219], v[216:217]
	s_delay_alu instid0(VALU_DEP_1) | instskip(NEXT) | instid1(VALU_DEP_1)
	v_div_fmas_f64 v[210:211], v[210:211], v[214:215], v[218:219]
	v_div_fixup_f64 v[214:215], v[210:211], v[208:209], 1.0
                                        ; implicit-def: $vgpr208_vgpr209
	s_delay_alu instid0(VALU_DEP_1)
	v_mul_f64 v[216:217], v[212:213], v[214:215]
	v_xor_b32_e32 v215, 0x80000000, v215
.LBB103_401:
	s_and_not1_saveexec_b32 s3, s3
	s_cbranch_execz .LBB103_403
; %bb.402:
	v_div_scale_f64 v[212:213], null, v[208:209], v[208:209], v[210:211]
	v_div_scale_f64 v[218:219], vcc_lo, v[210:211], v[208:209], v[210:211]
	s_delay_alu instid0(VALU_DEP_2) | instskip(SKIP_2) | instid1(VALU_DEP_1)
	v_rcp_f64_e32 v[214:215], v[212:213]
	s_waitcnt_depctr 0xfff
	v_fma_f64 v[216:217], -v[212:213], v[214:215], 1.0
	v_fma_f64 v[214:215], v[214:215], v[216:217], v[214:215]
	s_delay_alu instid0(VALU_DEP_1) | instskip(NEXT) | instid1(VALU_DEP_1)
	v_fma_f64 v[216:217], -v[212:213], v[214:215], 1.0
	v_fma_f64 v[214:215], v[214:215], v[216:217], v[214:215]
	s_delay_alu instid0(VALU_DEP_1) | instskip(NEXT) | instid1(VALU_DEP_1)
	v_mul_f64 v[216:217], v[218:219], v[214:215]
	v_fma_f64 v[212:213], -v[212:213], v[216:217], v[218:219]
	s_delay_alu instid0(VALU_DEP_1) | instskip(NEXT) | instid1(VALU_DEP_1)
	v_div_fmas_f64 v[212:213], v[212:213], v[214:215], v[216:217]
	v_div_fixup_f64 v[212:213], v[212:213], v[208:209], v[210:211]
	s_delay_alu instid0(VALU_DEP_1) | instskip(NEXT) | instid1(VALU_DEP_1)
	v_fma_f64 v[208:209], v[210:211], v[212:213], v[208:209]
	v_div_scale_f64 v[210:211], null, v[208:209], v[208:209], 1.0
	s_delay_alu instid0(VALU_DEP_1) | instskip(SKIP_2) | instid1(VALU_DEP_1)
	v_rcp_f64_e32 v[214:215], v[210:211]
	s_waitcnt_depctr 0xfff
	v_fma_f64 v[216:217], -v[210:211], v[214:215], 1.0
	v_fma_f64 v[214:215], v[214:215], v[216:217], v[214:215]
	s_delay_alu instid0(VALU_DEP_1) | instskip(NEXT) | instid1(VALU_DEP_1)
	v_fma_f64 v[216:217], -v[210:211], v[214:215], 1.0
	v_fma_f64 v[214:215], v[214:215], v[216:217], v[214:215]
	v_div_scale_f64 v[216:217], vcc_lo, 1.0, v[208:209], 1.0
	s_delay_alu instid0(VALU_DEP_1) | instskip(NEXT) | instid1(VALU_DEP_1)
	v_mul_f64 v[218:219], v[216:217], v[214:215]
	v_fma_f64 v[210:211], -v[210:211], v[218:219], v[216:217]
	s_delay_alu instid0(VALU_DEP_1) | instskip(NEXT) | instid1(VALU_DEP_1)
	v_div_fmas_f64 v[210:211], v[210:211], v[214:215], v[218:219]
	v_div_fixup_f64 v[216:217], v[210:211], v[208:209], 1.0
	s_delay_alu instid0(VALU_DEP_1)
	v_mul_f64 v[214:215], v[212:213], -v[216:217]
.LBB103_403:
	s_or_b32 exec_lo, exec_lo, s3
	ds_store_2addr_b64 v227, v[216:217], v[214:215] offset1:1
.LBB103_404:
	s_or_b32 exec_lo, exec_lo, s4
	s_waitcnt lgkmcnt(0)
	s_barrier
	buffer_gl0_inv
	ds_load_2addr_b64 v[240:243], v227 offset1:1
	s_mov_b32 s3, exec_lo
	v_cmpx_lt_u32_e32 44, v226
	s_cbranch_execz .LBB103_406
; %bb.405:
	s_waitcnt lgkmcnt(0)
	v_mul_f64 v[208:209], v[240:241], v[30:31]
	v_mul_f64 v[30:31], v[242:243], v[30:31]
	s_delay_alu instid0(VALU_DEP_2) | instskip(SKIP_4) | instid1(VALU_DEP_1)
	v_fma_f64 v[212:213], v[242:243], v[28:29], v[208:209]
	ds_load_2addr_b64 v[208:211], v228 offset0:90 offset1:91
	v_fma_f64 v[28:29], v[240:241], v[28:29], -v[30:31]
	s_waitcnt lgkmcnt(0)
	v_mul_f64 v[30:31], v[210:211], v[212:213]
	v_fma_f64 v[30:31], v[208:209], v[28:29], -v[30:31]
	v_mul_f64 v[208:209], v[208:209], v[212:213]
	s_delay_alu instid0(VALU_DEP_2) | instskip(NEXT) | instid1(VALU_DEP_2)
	v_add_f64 v[24:25], v[24:25], -v[30:31]
	v_fma_f64 v[208:209], v[210:211], v[28:29], v[208:209]
	s_delay_alu instid0(VALU_DEP_1) | instskip(SKIP_3) | instid1(VALU_DEP_1)
	v_add_f64 v[26:27], v[26:27], -v[208:209]
	ds_load_2addr_b64 v[208:211], v228 offset0:92 offset1:93
	s_waitcnt lgkmcnt(0)
	v_mul_f64 v[30:31], v[210:211], v[212:213]
	v_fma_f64 v[30:31], v[208:209], v[28:29], -v[30:31]
	v_mul_f64 v[208:209], v[208:209], v[212:213]
	s_delay_alu instid0(VALU_DEP_2) | instskip(NEXT) | instid1(VALU_DEP_2)
	v_add_f64 v[20:21], v[20:21], -v[30:31]
	v_fma_f64 v[208:209], v[210:211], v[28:29], v[208:209]
	s_delay_alu instid0(VALU_DEP_1) | instskip(SKIP_3) | instid1(VALU_DEP_1)
	v_add_f64 v[22:23], v[22:23], -v[208:209]
	ds_load_2addr_b64 v[208:211], v228 offset0:94 offset1:95
	;; [unrolled: 10-line block ×6, first 2 shown]
	s_waitcnt lgkmcnt(0)
	v_mul_f64 v[30:31], v[210:211], v[212:213]
	v_fma_f64 v[30:31], v[208:209], v[28:29], -v[30:31]
	v_mul_f64 v[208:209], v[208:209], v[212:213]
	s_delay_alu instid0(VALU_DEP_2) | instskip(NEXT) | instid1(VALU_DEP_2)
	v_add_f64 v[0:1], v[0:1], -v[30:31]
	v_fma_f64 v[208:209], v[210:211], v[28:29], v[208:209]
	v_dual_mov_b32 v30, v212 :: v_dual_mov_b32 v31, v213
	s_delay_alu instid0(VALU_DEP_2)
	v_add_f64 v[2:3], v[2:3], -v[208:209]
.LBB103_406:
	s_or_b32 exec_lo, exec_lo, s3
	s_delay_alu instid0(SALU_CYCLE_1)
	s_mov_b32 s4, exec_lo
	s_waitcnt lgkmcnt(0)
	s_barrier
	buffer_gl0_inv
	v_cmpx_eq_u32_e32 45, v226
	s_cbranch_execz .LBB103_413
; %bb.407:
	ds_store_2addr_b64 v227, v[24:25], v[26:27] offset1:1
	ds_store_2addr_b64 v228, v[20:21], v[22:23] offset0:92 offset1:93
	ds_store_2addr_b64 v228, v[16:17], v[18:19] offset0:94 offset1:95
	;; [unrolled: 1-line block ×6, first 2 shown]
	ds_load_2addr_b64 v[208:211], v227 offset1:1
	s_waitcnt lgkmcnt(0)
	v_cmp_neq_f64_e32 vcc_lo, 0, v[208:209]
	v_cmp_neq_f64_e64 s3, 0, v[210:211]
	s_delay_alu instid0(VALU_DEP_1) | instskip(NEXT) | instid1(SALU_CYCLE_1)
	s_or_b32 s3, vcc_lo, s3
	s_and_b32 exec_lo, exec_lo, s3
	s_cbranch_execz .LBB103_413
; %bb.408:
	v_cmp_gt_f64_e32 vcc_lo, 0, v[208:209]
	v_xor_b32_e32 v204, 0x80000000, v209
	s_mov_b32 s3, exec_lo
                                        ; implicit-def: $vgpr216_vgpr217
	s_delay_alu instid0(VALU_DEP_1) | instskip(SKIP_3) | instid1(VALU_DEP_1)
	v_cndmask_b32_e32 v213, v209, v204, vcc_lo
	v_cndmask_b32_e32 v212, v208, v208, vcc_lo
	v_cmp_gt_f64_e32 vcc_lo, 0, v[210:211]
	v_xor_b32_e32 v204, 0x80000000, v211
	v_dual_cndmask_b32 v214, v210, v210 :: v_dual_cndmask_b32 v215, v211, v204
	s_delay_alu instid0(VALU_DEP_1)
	v_cmpx_ngt_f64_e32 v[212:213], v[214:215]
	s_xor_b32 s3, exec_lo, s3
                                        ; implicit-def: $vgpr212_vgpr213_vgpr214_vgpr215
	s_cbranch_execz .LBB103_410
; %bb.409:
	v_div_scale_f64 v[212:213], null, v[210:211], v[210:211], v[208:209]
	v_div_scale_f64 v[218:219], vcc_lo, v[208:209], v[210:211], v[208:209]
	s_delay_alu instid0(VALU_DEP_2) | instskip(SKIP_2) | instid1(VALU_DEP_1)
	v_rcp_f64_e32 v[214:215], v[212:213]
	s_waitcnt_depctr 0xfff
	v_fma_f64 v[216:217], -v[212:213], v[214:215], 1.0
	v_fma_f64 v[214:215], v[214:215], v[216:217], v[214:215]
	s_delay_alu instid0(VALU_DEP_1) | instskip(NEXT) | instid1(VALU_DEP_1)
	v_fma_f64 v[216:217], -v[212:213], v[214:215], 1.0
	v_fma_f64 v[214:215], v[214:215], v[216:217], v[214:215]
	s_delay_alu instid0(VALU_DEP_1) | instskip(NEXT) | instid1(VALU_DEP_1)
	v_mul_f64 v[216:217], v[218:219], v[214:215]
	v_fma_f64 v[212:213], -v[212:213], v[216:217], v[218:219]
	s_delay_alu instid0(VALU_DEP_1) | instskip(NEXT) | instid1(VALU_DEP_1)
	v_div_fmas_f64 v[212:213], v[212:213], v[214:215], v[216:217]
	v_div_fixup_f64 v[212:213], v[212:213], v[210:211], v[208:209]
	s_delay_alu instid0(VALU_DEP_1) | instskip(NEXT) | instid1(VALU_DEP_1)
	v_fma_f64 v[208:209], v[208:209], v[212:213], v[210:211]
	v_div_scale_f64 v[210:211], null, v[208:209], v[208:209], 1.0
	s_delay_alu instid0(VALU_DEP_1) | instskip(SKIP_2) | instid1(VALU_DEP_1)
	v_rcp_f64_e32 v[214:215], v[210:211]
	s_waitcnt_depctr 0xfff
	v_fma_f64 v[216:217], -v[210:211], v[214:215], 1.0
	v_fma_f64 v[214:215], v[214:215], v[216:217], v[214:215]
	s_delay_alu instid0(VALU_DEP_1) | instskip(NEXT) | instid1(VALU_DEP_1)
	v_fma_f64 v[216:217], -v[210:211], v[214:215], 1.0
	v_fma_f64 v[214:215], v[214:215], v[216:217], v[214:215]
	v_div_scale_f64 v[216:217], vcc_lo, 1.0, v[208:209], 1.0
	s_delay_alu instid0(VALU_DEP_1) | instskip(NEXT) | instid1(VALU_DEP_1)
	v_mul_f64 v[218:219], v[216:217], v[214:215]
	v_fma_f64 v[210:211], -v[210:211], v[218:219], v[216:217]
	s_delay_alu instid0(VALU_DEP_1) | instskip(NEXT) | instid1(VALU_DEP_1)
	v_div_fmas_f64 v[210:211], v[210:211], v[214:215], v[218:219]
	v_div_fixup_f64 v[214:215], v[210:211], v[208:209], 1.0
                                        ; implicit-def: $vgpr208_vgpr209
	s_delay_alu instid0(VALU_DEP_1)
	v_mul_f64 v[216:217], v[212:213], v[214:215]
	v_xor_b32_e32 v215, 0x80000000, v215
.LBB103_410:
	s_and_not1_saveexec_b32 s3, s3
	s_cbranch_execz .LBB103_412
; %bb.411:
	v_div_scale_f64 v[212:213], null, v[208:209], v[208:209], v[210:211]
	v_div_scale_f64 v[218:219], vcc_lo, v[210:211], v[208:209], v[210:211]
	s_delay_alu instid0(VALU_DEP_2) | instskip(SKIP_2) | instid1(VALU_DEP_1)
	v_rcp_f64_e32 v[214:215], v[212:213]
	s_waitcnt_depctr 0xfff
	v_fma_f64 v[216:217], -v[212:213], v[214:215], 1.0
	v_fma_f64 v[214:215], v[214:215], v[216:217], v[214:215]
	s_delay_alu instid0(VALU_DEP_1) | instskip(NEXT) | instid1(VALU_DEP_1)
	v_fma_f64 v[216:217], -v[212:213], v[214:215], 1.0
	v_fma_f64 v[214:215], v[214:215], v[216:217], v[214:215]
	s_delay_alu instid0(VALU_DEP_1) | instskip(NEXT) | instid1(VALU_DEP_1)
	v_mul_f64 v[216:217], v[218:219], v[214:215]
	v_fma_f64 v[212:213], -v[212:213], v[216:217], v[218:219]
	s_delay_alu instid0(VALU_DEP_1) | instskip(NEXT) | instid1(VALU_DEP_1)
	v_div_fmas_f64 v[212:213], v[212:213], v[214:215], v[216:217]
	v_div_fixup_f64 v[212:213], v[212:213], v[208:209], v[210:211]
	s_delay_alu instid0(VALU_DEP_1) | instskip(NEXT) | instid1(VALU_DEP_1)
	v_fma_f64 v[208:209], v[210:211], v[212:213], v[208:209]
	v_div_scale_f64 v[210:211], null, v[208:209], v[208:209], 1.0
	s_delay_alu instid0(VALU_DEP_1) | instskip(SKIP_2) | instid1(VALU_DEP_1)
	v_rcp_f64_e32 v[214:215], v[210:211]
	s_waitcnt_depctr 0xfff
	v_fma_f64 v[216:217], -v[210:211], v[214:215], 1.0
	v_fma_f64 v[214:215], v[214:215], v[216:217], v[214:215]
	s_delay_alu instid0(VALU_DEP_1) | instskip(NEXT) | instid1(VALU_DEP_1)
	v_fma_f64 v[216:217], -v[210:211], v[214:215], 1.0
	v_fma_f64 v[214:215], v[214:215], v[216:217], v[214:215]
	v_div_scale_f64 v[216:217], vcc_lo, 1.0, v[208:209], 1.0
	s_delay_alu instid0(VALU_DEP_1) | instskip(NEXT) | instid1(VALU_DEP_1)
	v_mul_f64 v[218:219], v[216:217], v[214:215]
	v_fma_f64 v[210:211], -v[210:211], v[218:219], v[216:217]
	s_delay_alu instid0(VALU_DEP_1) | instskip(NEXT) | instid1(VALU_DEP_1)
	v_div_fmas_f64 v[210:211], v[210:211], v[214:215], v[218:219]
	v_div_fixup_f64 v[216:217], v[210:211], v[208:209], 1.0
	s_delay_alu instid0(VALU_DEP_1)
	v_mul_f64 v[214:215], v[212:213], -v[216:217]
.LBB103_412:
	s_or_b32 exec_lo, exec_lo, s3
	ds_store_2addr_b64 v227, v[216:217], v[214:215] offset1:1
.LBB103_413:
	s_or_b32 exec_lo, exec_lo, s4
	s_waitcnt lgkmcnt(0)
	s_barrier
	buffer_gl0_inv
	ds_load_2addr_b64 v[244:247], v227 offset1:1
	s_mov_b32 s3, exec_lo
	v_cmpx_lt_u32_e32 45, v226
	s_cbranch_execz .LBB103_415
; %bb.414:
	s_waitcnt lgkmcnt(0)
	v_mul_f64 v[208:209], v[244:245], v[26:27]
	v_mul_f64 v[26:27], v[246:247], v[26:27]
	s_delay_alu instid0(VALU_DEP_2) | instskip(SKIP_4) | instid1(VALU_DEP_1)
	v_fma_f64 v[212:213], v[246:247], v[24:25], v[208:209]
	ds_load_2addr_b64 v[208:211], v228 offset0:92 offset1:93
	v_fma_f64 v[24:25], v[244:245], v[24:25], -v[26:27]
	s_waitcnt lgkmcnt(0)
	v_mul_f64 v[26:27], v[210:211], v[212:213]
	v_fma_f64 v[26:27], v[208:209], v[24:25], -v[26:27]
	v_mul_f64 v[208:209], v[208:209], v[212:213]
	s_delay_alu instid0(VALU_DEP_2) | instskip(NEXT) | instid1(VALU_DEP_2)
	v_add_f64 v[20:21], v[20:21], -v[26:27]
	v_fma_f64 v[208:209], v[210:211], v[24:25], v[208:209]
	s_delay_alu instid0(VALU_DEP_1) | instskip(SKIP_3) | instid1(VALU_DEP_1)
	v_add_f64 v[22:23], v[22:23], -v[208:209]
	ds_load_2addr_b64 v[208:211], v228 offset0:94 offset1:95
	s_waitcnt lgkmcnt(0)
	v_mul_f64 v[26:27], v[210:211], v[212:213]
	v_fma_f64 v[26:27], v[208:209], v[24:25], -v[26:27]
	v_mul_f64 v[208:209], v[208:209], v[212:213]
	s_delay_alu instid0(VALU_DEP_2) | instskip(NEXT) | instid1(VALU_DEP_2)
	v_add_f64 v[16:17], v[16:17], -v[26:27]
	v_fma_f64 v[208:209], v[210:211], v[24:25], v[208:209]
	s_delay_alu instid0(VALU_DEP_1) | instskip(SKIP_3) | instid1(VALU_DEP_1)
	v_add_f64 v[18:19], v[18:19], -v[208:209]
	ds_load_2addr_b64 v[208:211], v228 offset0:96 offset1:97
	;; [unrolled: 10-line block ×5, first 2 shown]
	s_waitcnt lgkmcnt(0)
	v_mul_f64 v[26:27], v[210:211], v[212:213]
	v_fma_f64 v[26:27], v[208:209], v[24:25], -v[26:27]
	v_mul_f64 v[208:209], v[208:209], v[212:213]
	s_delay_alu instid0(VALU_DEP_2) | instskip(NEXT) | instid1(VALU_DEP_2)
	v_add_f64 v[0:1], v[0:1], -v[26:27]
	v_fma_f64 v[208:209], v[210:211], v[24:25], v[208:209]
	v_dual_mov_b32 v26, v212 :: v_dual_mov_b32 v27, v213
	s_delay_alu instid0(VALU_DEP_2)
	v_add_f64 v[2:3], v[2:3], -v[208:209]
.LBB103_415:
	s_or_b32 exec_lo, exec_lo, s3
	s_delay_alu instid0(SALU_CYCLE_1)
	s_mov_b32 s4, exec_lo
	s_waitcnt lgkmcnt(0)
	s_barrier
	buffer_gl0_inv
	v_cmpx_eq_u32_e32 46, v226
	s_cbranch_execz .LBB103_422
; %bb.416:
	ds_store_2addr_b64 v227, v[20:21], v[22:23] offset1:1
	ds_store_2addr_b64 v228, v[16:17], v[18:19] offset0:94 offset1:95
	ds_store_2addr_b64 v228, v[12:13], v[14:15] offset0:96 offset1:97
	;; [unrolled: 1-line block ×5, first 2 shown]
	ds_load_2addr_b64 v[208:211], v227 offset1:1
	s_waitcnt lgkmcnt(0)
	v_cmp_neq_f64_e32 vcc_lo, 0, v[208:209]
	v_cmp_neq_f64_e64 s3, 0, v[210:211]
	s_delay_alu instid0(VALU_DEP_1) | instskip(NEXT) | instid1(SALU_CYCLE_1)
	s_or_b32 s3, vcc_lo, s3
	s_and_b32 exec_lo, exec_lo, s3
	s_cbranch_execz .LBB103_422
; %bb.417:
	v_cmp_gt_f64_e32 vcc_lo, 0, v[208:209]
	v_xor_b32_e32 v204, 0x80000000, v209
	s_mov_b32 s3, exec_lo
                                        ; implicit-def: $vgpr216_vgpr217
	s_delay_alu instid0(VALU_DEP_1) | instskip(SKIP_3) | instid1(VALU_DEP_1)
	v_cndmask_b32_e32 v213, v209, v204, vcc_lo
	v_cndmask_b32_e32 v212, v208, v208, vcc_lo
	v_cmp_gt_f64_e32 vcc_lo, 0, v[210:211]
	v_xor_b32_e32 v204, 0x80000000, v211
	v_dual_cndmask_b32 v214, v210, v210 :: v_dual_cndmask_b32 v215, v211, v204
	s_delay_alu instid0(VALU_DEP_1)
	v_cmpx_ngt_f64_e32 v[212:213], v[214:215]
	s_xor_b32 s3, exec_lo, s3
                                        ; implicit-def: $vgpr212_vgpr213_vgpr214_vgpr215
	s_cbranch_execz .LBB103_419
; %bb.418:
	v_div_scale_f64 v[212:213], null, v[210:211], v[210:211], v[208:209]
	v_div_scale_f64 v[218:219], vcc_lo, v[208:209], v[210:211], v[208:209]
	s_delay_alu instid0(VALU_DEP_2) | instskip(SKIP_2) | instid1(VALU_DEP_1)
	v_rcp_f64_e32 v[214:215], v[212:213]
	s_waitcnt_depctr 0xfff
	v_fma_f64 v[216:217], -v[212:213], v[214:215], 1.0
	v_fma_f64 v[214:215], v[214:215], v[216:217], v[214:215]
	s_delay_alu instid0(VALU_DEP_1) | instskip(NEXT) | instid1(VALU_DEP_1)
	v_fma_f64 v[216:217], -v[212:213], v[214:215], 1.0
	v_fma_f64 v[214:215], v[214:215], v[216:217], v[214:215]
	s_delay_alu instid0(VALU_DEP_1) | instskip(NEXT) | instid1(VALU_DEP_1)
	v_mul_f64 v[216:217], v[218:219], v[214:215]
	v_fma_f64 v[212:213], -v[212:213], v[216:217], v[218:219]
	s_delay_alu instid0(VALU_DEP_1) | instskip(NEXT) | instid1(VALU_DEP_1)
	v_div_fmas_f64 v[212:213], v[212:213], v[214:215], v[216:217]
	v_div_fixup_f64 v[212:213], v[212:213], v[210:211], v[208:209]
	s_delay_alu instid0(VALU_DEP_1) | instskip(NEXT) | instid1(VALU_DEP_1)
	v_fma_f64 v[208:209], v[208:209], v[212:213], v[210:211]
	v_div_scale_f64 v[210:211], null, v[208:209], v[208:209], 1.0
	s_delay_alu instid0(VALU_DEP_1) | instskip(SKIP_2) | instid1(VALU_DEP_1)
	v_rcp_f64_e32 v[214:215], v[210:211]
	s_waitcnt_depctr 0xfff
	v_fma_f64 v[216:217], -v[210:211], v[214:215], 1.0
	v_fma_f64 v[214:215], v[214:215], v[216:217], v[214:215]
	s_delay_alu instid0(VALU_DEP_1) | instskip(NEXT) | instid1(VALU_DEP_1)
	v_fma_f64 v[216:217], -v[210:211], v[214:215], 1.0
	v_fma_f64 v[214:215], v[214:215], v[216:217], v[214:215]
	v_div_scale_f64 v[216:217], vcc_lo, 1.0, v[208:209], 1.0
	s_delay_alu instid0(VALU_DEP_1) | instskip(NEXT) | instid1(VALU_DEP_1)
	v_mul_f64 v[218:219], v[216:217], v[214:215]
	v_fma_f64 v[210:211], -v[210:211], v[218:219], v[216:217]
	s_delay_alu instid0(VALU_DEP_1) | instskip(NEXT) | instid1(VALU_DEP_1)
	v_div_fmas_f64 v[210:211], v[210:211], v[214:215], v[218:219]
	v_div_fixup_f64 v[214:215], v[210:211], v[208:209], 1.0
                                        ; implicit-def: $vgpr208_vgpr209
	s_delay_alu instid0(VALU_DEP_1)
	v_mul_f64 v[216:217], v[212:213], v[214:215]
	v_xor_b32_e32 v215, 0x80000000, v215
.LBB103_419:
	s_and_not1_saveexec_b32 s3, s3
	s_cbranch_execz .LBB103_421
; %bb.420:
	v_div_scale_f64 v[212:213], null, v[208:209], v[208:209], v[210:211]
	v_div_scale_f64 v[218:219], vcc_lo, v[210:211], v[208:209], v[210:211]
	s_delay_alu instid0(VALU_DEP_2) | instskip(SKIP_2) | instid1(VALU_DEP_1)
	v_rcp_f64_e32 v[214:215], v[212:213]
	s_waitcnt_depctr 0xfff
	v_fma_f64 v[216:217], -v[212:213], v[214:215], 1.0
	v_fma_f64 v[214:215], v[214:215], v[216:217], v[214:215]
	s_delay_alu instid0(VALU_DEP_1) | instskip(NEXT) | instid1(VALU_DEP_1)
	v_fma_f64 v[216:217], -v[212:213], v[214:215], 1.0
	v_fma_f64 v[214:215], v[214:215], v[216:217], v[214:215]
	s_delay_alu instid0(VALU_DEP_1) | instskip(NEXT) | instid1(VALU_DEP_1)
	v_mul_f64 v[216:217], v[218:219], v[214:215]
	v_fma_f64 v[212:213], -v[212:213], v[216:217], v[218:219]
	s_delay_alu instid0(VALU_DEP_1) | instskip(NEXT) | instid1(VALU_DEP_1)
	v_div_fmas_f64 v[212:213], v[212:213], v[214:215], v[216:217]
	v_div_fixup_f64 v[212:213], v[212:213], v[208:209], v[210:211]
	s_delay_alu instid0(VALU_DEP_1) | instskip(NEXT) | instid1(VALU_DEP_1)
	v_fma_f64 v[208:209], v[210:211], v[212:213], v[208:209]
	v_div_scale_f64 v[210:211], null, v[208:209], v[208:209], 1.0
	s_delay_alu instid0(VALU_DEP_1) | instskip(SKIP_2) | instid1(VALU_DEP_1)
	v_rcp_f64_e32 v[214:215], v[210:211]
	s_waitcnt_depctr 0xfff
	v_fma_f64 v[216:217], -v[210:211], v[214:215], 1.0
	v_fma_f64 v[214:215], v[214:215], v[216:217], v[214:215]
	s_delay_alu instid0(VALU_DEP_1) | instskip(NEXT) | instid1(VALU_DEP_1)
	v_fma_f64 v[216:217], -v[210:211], v[214:215], 1.0
	v_fma_f64 v[214:215], v[214:215], v[216:217], v[214:215]
	v_div_scale_f64 v[216:217], vcc_lo, 1.0, v[208:209], 1.0
	s_delay_alu instid0(VALU_DEP_1) | instskip(NEXT) | instid1(VALU_DEP_1)
	v_mul_f64 v[218:219], v[216:217], v[214:215]
	v_fma_f64 v[210:211], -v[210:211], v[218:219], v[216:217]
	s_delay_alu instid0(VALU_DEP_1) | instskip(NEXT) | instid1(VALU_DEP_1)
	v_div_fmas_f64 v[210:211], v[210:211], v[214:215], v[218:219]
	v_div_fixup_f64 v[216:217], v[210:211], v[208:209], 1.0
	s_delay_alu instid0(VALU_DEP_1)
	v_mul_f64 v[214:215], v[212:213], -v[216:217]
.LBB103_421:
	s_or_b32 exec_lo, exec_lo, s3
	ds_store_2addr_b64 v227, v[216:217], v[214:215] offset1:1
.LBB103_422:
	s_or_b32 exec_lo, exec_lo, s4
	s_waitcnt lgkmcnt(0)
	s_barrier
	buffer_gl0_inv
	ds_load_2addr_b64 v[248:251], v227 offset1:1
	s_mov_b32 s3, exec_lo
	v_cmpx_lt_u32_e32 46, v226
	s_cbranch_execz .LBB103_424
; %bb.423:
	s_waitcnt lgkmcnt(0)
	v_mul_f64 v[208:209], v[248:249], v[22:23]
	v_mul_f64 v[22:23], v[250:251], v[22:23]
	s_delay_alu instid0(VALU_DEP_2) | instskip(SKIP_4) | instid1(VALU_DEP_1)
	v_fma_f64 v[212:213], v[250:251], v[20:21], v[208:209]
	ds_load_2addr_b64 v[208:211], v228 offset0:94 offset1:95
	v_fma_f64 v[20:21], v[248:249], v[20:21], -v[22:23]
	s_waitcnt lgkmcnt(0)
	v_mul_f64 v[22:23], v[210:211], v[212:213]
	v_fma_f64 v[22:23], v[208:209], v[20:21], -v[22:23]
	v_mul_f64 v[208:209], v[208:209], v[212:213]
	s_delay_alu instid0(VALU_DEP_2) | instskip(NEXT) | instid1(VALU_DEP_2)
	v_add_f64 v[16:17], v[16:17], -v[22:23]
	v_fma_f64 v[208:209], v[210:211], v[20:21], v[208:209]
	s_delay_alu instid0(VALU_DEP_1) | instskip(SKIP_3) | instid1(VALU_DEP_1)
	v_add_f64 v[18:19], v[18:19], -v[208:209]
	ds_load_2addr_b64 v[208:211], v228 offset0:96 offset1:97
	s_waitcnt lgkmcnt(0)
	v_mul_f64 v[22:23], v[210:211], v[212:213]
	v_fma_f64 v[22:23], v[208:209], v[20:21], -v[22:23]
	v_mul_f64 v[208:209], v[208:209], v[212:213]
	s_delay_alu instid0(VALU_DEP_2) | instskip(NEXT) | instid1(VALU_DEP_2)
	v_add_f64 v[12:13], v[12:13], -v[22:23]
	v_fma_f64 v[208:209], v[210:211], v[20:21], v[208:209]
	s_delay_alu instid0(VALU_DEP_1) | instskip(SKIP_3) | instid1(VALU_DEP_1)
	v_add_f64 v[14:15], v[14:15], -v[208:209]
	ds_load_2addr_b64 v[208:211], v228 offset0:98 offset1:99
	;; [unrolled: 10-line block ×4, first 2 shown]
	s_waitcnt lgkmcnt(0)
	v_mul_f64 v[22:23], v[210:211], v[212:213]
	v_fma_f64 v[22:23], v[208:209], v[20:21], -v[22:23]
	v_mul_f64 v[208:209], v[208:209], v[212:213]
	s_delay_alu instid0(VALU_DEP_2) | instskip(NEXT) | instid1(VALU_DEP_2)
	v_add_f64 v[0:1], v[0:1], -v[22:23]
	v_fma_f64 v[208:209], v[210:211], v[20:21], v[208:209]
	v_dual_mov_b32 v22, v212 :: v_dual_mov_b32 v23, v213
	s_delay_alu instid0(VALU_DEP_2)
	v_add_f64 v[2:3], v[2:3], -v[208:209]
.LBB103_424:
	s_or_b32 exec_lo, exec_lo, s3
	s_delay_alu instid0(SALU_CYCLE_1)
	s_mov_b32 s4, exec_lo
	s_waitcnt lgkmcnt(0)
	s_barrier
	buffer_gl0_inv
	v_cmpx_eq_u32_e32 47, v226
	s_cbranch_execz .LBB103_431
; %bb.425:
	ds_store_2addr_b64 v227, v[16:17], v[18:19] offset1:1
	ds_store_2addr_b64 v228, v[12:13], v[14:15] offset0:96 offset1:97
	ds_store_2addr_b64 v228, v[8:9], v[10:11] offset0:98 offset1:99
	;; [unrolled: 1-line block ×4, first 2 shown]
	ds_load_2addr_b64 v[208:211], v227 offset1:1
	s_waitcnt lgkmcnt(0)
	v_cmp_neq_f64_e32 vcc_lo, 0, v[208:209]
	v_cmp_neq_f64_e64 s3, 0, v[210:211]
	s_delay_alu instid0(VALU_DEP_1) | instskip(NEXT) | instid1(SALU_CYCLE_1)
	s_or_b32 s3, vcc_lo, s3
	s_and_b32 exec_lo, exec_lo, s3
	s_cbranch_execz .LBB103_431
; %bb.426:
	v_cmp_gt_f64_e32 vcc_lo, 0, v[208:209]
	v_xor_b32_e32 v204, 0x80000000, v209
	s_mov_b32 s3, exec_lo
                                        ; implicit-def: $vgpr216_vgpr217
	s_delay_alu instid0(VALU_DEP_1) | instskip(SKIP_3) | instid1(VALU_DEP_1)
	v_cndmask_b32_e32 v213, v209, v204, vcc_lo
	v_cndmask_b32_e32 v212, v208, v208, vcc_lo
	v_cmp_gt_f64_e32 vcc_lo, 0, v[210:211]
	v_xor_b32_e32 v204, 0x80000000, v211
	v_dual_cndmask_b32 v214, v210, v210 :: v_dual_cndmask_b32 v215, v211, v204
	s_delay_alu instid0(VALU_DEP_1)
	v_cmpx_ngt_f64_e32 v[212:213], v[214:215]
	s_xor_b32 s3, exec_lo, s3
                                        ; implicit-def: $vgpr212_vgpr213_vgpr214_vgpr215
	s_cbranch_execz .LBB103_428
; %bb.427:
	v_div_scale_f64 v[212:213], null, v[210:211], v[210:211], v[208:209]
	v_div_scale_f64 v[218:219], vcc_lo, v[208:209], v[210:211], v[208:209]
	s_delay_alu instid0(VALU_DEP_2) | instskip(SKIP_2) | instid1(VALU_DEP_1)
	v_rcp_f64_e32 v[214:215], v[212:213]
	s_waitcnt_depctr 0xfff
	v_fma_f64 v[216:217], -v[212:213], v[214:215], 1.0
	v_fma_f64 v[214:215], v[214:215], v[216:217], v[214:215]
	s_delay_alu instid0(VALU_DEP_1) | instskip(NEXT) | instid1(VALU_DEP_1)
	v_fma_f64 v[216:217], -v[212:213], v[214:215], 1.0
	v_fma_f64 v[214:215], v[214:215], v[216:217], v[214:215]
	s_delay_alu instid0(VALU_DEP_1) | instskip(NEXT) | instid1(VALU_DEP_1)
	v_mul_f64 v[216:217], v[218:219], v[214:215]
	v_fma_f64 v[212:213], -v[212:213], v[216:217], v[218:219]
	s_delay_alu instid0(VALU_DEP_1) | instskip(NEXT) | instid1(VALU_DEP_1)
	v_div_fmas_f64 v[212:213], v[212:213], v[214:215], v[216:217]
	v_div_fixup_f64 v[212:213], v[212:213], v[210:211], v[208:209]
	s_delay_alu instid0(VALU_DEP_1) | instskip(NEXT) | instid1(VALU_DEP_1)
	v_fma_f64 v[208:209], v[208:209], v[212:213], v[210:211]
	v_div_scale_f64 v[210:211], null, v[208:209], v[208:209], 1.0
	s_delay_alu instid0(VALU_DEP_1) | instskip(SKIP_2) | instid1(VALU_DEP_1)
	v_rcp_f64_e32 v[214:215], v[210:211]
	s_waitcnt_depctr 0xfff
	v_fma_f64 v[216:217], -v[210:211], v[214:215], 1.0
	v_fma_f64 v[214:215], v[214:215], v[216:217], v[214:215]
	s_delay_alu instid0(VALU_DEP_1) | instskip(NEXT) | instid1(VALU_DEP_1)
	v_fma_f64 v[216:217], -v[210:211], v[214:215], 1.0
	v_fma_f64 v[214:215], v[214:215], v[216:217], v[214:215]
	v_div_scale_f64 v[216:217], vcc_lo, 1.0, v[208:209], 1.0
	s_delay_alu instid0(VALU_DEP_1) | instskip(NEXT) | instid1(VALU_DEP_1)
	v_mul_f64 v[218:219], v[216:217], v[214:215]
	v_fma_f64 v[210:211], -v[210:211], v[218:219], v[216:217]
	s_delay_alu instid0(VALU_DEP_1) | instskip(NEXT) | instid1(VALU_DEP_1)
	v_div_fmas_f64 v[210:211], v[210:211], v[214:215], v[218:219]
	v_div_fixup_f64 v[214:215], v[210:211], v[208:209], 1.0
                                        ; implicit-def: $vgpr208_vgpr209
	s_delay_alu instid0(VALU_DEP_1)
	v_mul_f64 v[216:217], v[212:213], v[214:215]
	v_xor_b32_e32 v215, 0x80000000, v215
.LBB103_428:
	s_and_not1_saveexec_b32 s3, s3
	s_cbranch_execz .LBB103_430
; %bb.429:
	v_div_scale_f64 v[212:213], null, v[208:209], v[208:209], v[210:211]
	v_div_scale_f64 v[218:219], vcc_lo, v[210:211], v[208:209], v[210:211]
	s_delay_alu instid0(VALU_DEP_2) | instskip(SKIP_2) | instid1(VALU_DEP_1)
	v_rcp_f64_e32 v[214:215], v[212:213]
	s_waitcnt_depctr 0xfff
	v_fma_f64 v[216:217], -v[212:213], v[214:215], 1.0
	v_fma_f64 v[214:215], v[214:215], v[216:217], v[214:215]
	s_delay_alu instid0(VALU_DEP_1) | instskip(NEXT) | instid1(VALU_DEP_1)
	v_fma_f64 v[216:217], -v[212:213], v[214:215], 1.0
	v_fma_f64 v[214:215], v[214:215], v[216:217], v[214:215]
	s_delay_alu instid0(VALU_DEP_1) | instskip(NEXT) | instid1(VALU_DEP_1)
	v_mul_f64 v[216:217], v[218:219], v[214:215]
	v_fma_f64 v[212:213], -v[212:213], v[216:217], v[218:219]
	s_delay_alu instid0(VALU_DEP_1) | instskip(NEXT) | instid1(VALU_DEP_1)
	v_div_fmas_f64 v[212:213], v[212:213], v[214:215], v[216:217]
	v_div_fixup_f64 v[212:213], v[212:213], v[208:209], v[210:211]
	s_delay_alu instid0(VALU_DEP_1) | instskip(NEXT) | instid1(VALU_DEP_1)
	v_fma_f64 v[208:209], v[210:211], v[212:213], v[208:209]
	v_div_scale_f64 v[210:211], null, v[208:209], v[208:209], 1.0
	s_delay_alu instid0(VALU_DEP_1) | instskip(SKIP_2) | instid1(VALU_DEP_1)
	v_rcp_f64_e32 v[214:215], v[210:211]
	s_waitcnt_depctr 0xfff
	v_fma_f64 v[216:217], -v[210:211], v[214:215], 1.0
	v_fma_f64 v[214:215], v[214:215], v[216:217], v[214:215]
	s_delay_alu instid0(VALU_DEP_1) | instskip(NEXT) | instid1(VALU_DEP_1)
	v_fma_f64 v[216:217], -v[210:211], v[214:215], 1.0
	v_fma_f64 v[214:215], v[214:215], v[216:217], v[214:215]
	v_div_scale_f64 v[216:217], vcc_lo, 1.0, v[208:209], 1.0
	s_delay_alu instid0(VALU_DEP_1) | instskip(NEXT) | instid1(VALU_DEP_1)
	v_mul_f64 v[218:219], v[216:217], v[214:215]
	v_fma_f64 v[210:211], -v[210:211], v[218:219], v[216:217]
	s_delay_alu instid0(VALU_DEP_1) | instskip(NEXT) | instid1(VALU_DEP_1)
	v_div_fmas_f64 v[210:211], v[210:211], v[214:215], v[218:219]
	v_div_fixup_f64 v[216:217], v[210:211], v[208:209], 1.0
	s_delay_alu instid0(VALU_DEP_1)
	v_mul_f64 v[214:215], v[212:213], -v[216:217]
.LBB103_430:
	s_or_b32 exec_lo, exec_lo, s3
	ds_store_2addr_b64 v227, v[216:217], v[214:215] offset1:1
.LBB103_431:
	s_or_b32 exec_lo, exec_lo, s4
	s_waitcnt lgkmcnt(0)
	s_barrier
	buffer_gl0_inv
	ds_load_2addr_b64 v[252:255], v227 offset1:1
	s_mov_b32 s3, exec_lo
	v_cmpx_lt_u32_e32 47, v226
	s_cbranch_execz .LBB103_433
; %bb.432:
	s_waitcnt lgkmcnt(0)
	v_mul_f64 v[208:209], v[252:253], v[18:19]
	v_mul_f64 v[18:19], v[254:255], v[18:19]
	s_delay_alu instid0(VALU_DEP_2) | instskip(SKIP_4) | instid1(VALU_DEP_1)
	v_fma_f64 v[212:213], v[254:255], v[16:17], v[208:209]
	ds_load_2addr_b64 v[208:211], v228 offset0:96 offset1:97
	v_fma_f64 v[16:17], v[252:253], v[16:17], -v[18:19]
	s_waitcnt lgkmcnt(0)
	v_mul_f64 v[18:19], v[210:211], v[212:213]
	v_fma_f64 v[18:19], v[208:209], v[16:17], -v[18:19]
	v_mul_f64 v[208:209], v[208:209], v[212:213]
	s_delay_alu instid0(VALU_DEP_2) | instskip(NEXT) | instid1(VALU_DEP_2)
	v_add_f64 v[12:13], v[12:13], -v[18:19]
	v_fma_f64 v[208:209], v[210:211], v[16:17], v[208:209]
	s_delay_alu instid0(VALU_DEP_1) | instskip(SKIP_3) | instid1(VALU_DEP_1)
	v_add_f64 v[14:15], v[14:15], -v[208:209]
	ds_load_2addr_b64 v[208:211], v228 offset0:98 offset1:99
	s_waitcnt lgkmcnt(0)
	v_mul_f64 v[18:19], v[210:211], v[212:213]
	v_fma_f64 v[18:19], v[208:209], v[16:17], -v[18:19]
	v_mul_f64 v[208:209], v[208:209], v[212:213]
	s_delay_alu instid0(VALU_DEP_2) | instskip(NEXT) | instid1(VALU_DEP_2)
	v_add_f64 v[8:9], v[8:9], -v[18:19]
	v_fma_f64 v[208:209], v[210:211], v[16:17], v[208:209]
	s_delay_alu instid0(VALU_DEP_1) | instskip(SKIP_3) | instid1(VALU_DEP_1)
	v_add_f64 v[10:11], v[10:11], -v[208:209]
	ds_load_2addr_b64 v[208:211], v228 offset0:100 offset1:101
	;; [unrolled: 10-line block ×3, first 2 shown]
	s_waitcnt lgkmcnt(0)
	v_mul_f64 v[18:19], v[210:211], v[212:213]
	v_fma_f64 v[18:19], v[208:209], v[16:17], -v[18:19]
	v_mul_f64 v[208:209], v[208:209], v[212:213]
	s_delay_alu instid0(VALU_DEP_2) | instskip(NEXT) | instid1(VALU_DEP_2)
	v_add_f64 v[0:1], v[0:1], -v[18:19]
	v_fma_f64 v[208:209], v[210:211], v[16:17], v[208:209]
	v_dual_mov_b32 v18, v212 :: v_dual_mov_b32 v19, v213
	s_delay_alu instid0(VALU_DEP_2)
	v_add_f64 v[2:3], v[2:3], -v[208:209]
.LBB103_433:
	s_or_b32 exec_lo, exec_lo, s3
	s_delay_alu instid0(SALU_CYCLE_1)
	s_mov_b32 s4, exec_lo
	s_waitcnt lgkmcnt(0)
	s_barrier
	buffer_gl0_inv
	v_cmpx_eq_u32_e32 48, v226
	s_cbranch_execz .LBB103_440
; %bb.434:
	ds_store_2addr_b64 v227, v[12:13], v[14:15] offset1:1
	ds_store_2addr_b64 v228, v[8:9], v[10:11] offset0:98 offset1:99
	ds_store_2addr_b64 v228, v[4:5], v[6:7] offset0:100 offset1:101
	;; [unrolled: 1-line block ×3, first 2 shown]
	ds_load_2addr_b64 v[208:211], v227 offset1:1
	s_waitcnt lgkmcnt(0)
	v_cmp_neq_f64_e32 vcc_lo, 0, v[208:209]
	v_cmp_neq_f64_e64 s3, 0, v[210:211]
	s_delay_alu instid0(VALU_DEP_1) | instskip(NEXT) | instid1(SALU_CYCLE_1)
	s_or_b32 s3, vcc_lo, s3
	s_and_b32 exec_lo, exec_lo, s3
	s_cbranch_execz .LBB103_440
; %bb.435:
	v_cmp_gt_f64_e32 vcc_lo, 0, v[208:209]
	v_xor_b32_e32 v204, 0x80000000, v209
	s_mov_b32 s3, exec_lo
                                        ; implicit-def: $vgpr216_vgpr217
	s_delay_alu instid0(VALU_DEP_1) | instskip(SKIP_3) | instid1(VALU_DEP_1)
	v_cndmask_b32_e32 v213, v209, v204, vcc_lo
	v_cndmask_b32_e32 v212, v208, v208, vcc_lo
	v_cmp_gt_f64_e32 vcc_lo, 0, v[210:211]
	v_xor_b32_e32 v204, 0x80000000, v211
	v_dual_cndmask_b32 v214, v210, v210 :: v_dual_cndmask_b32 v215, v211, v204
	s_delay_alu instid0(VALU_DEP_1)
	v_cmpx_ngt_f64_e32 v[212:213], v[214:215]
	s_xor_b32 s3, exec_lo, s3
                                        ; implicit-def: $vgpr212_vgpr213_vgpr214_vgpr215
	s_cbranch_execz .LBB103_437
; %bb.436:
	v_div_scale_f64 v[212:213], null, v[210:211], v[210:211], v[208:209]
	v_div_scale_f64 v[218:219], vcc_lo, v[208:209], v[210:211], v[208:209]
	s_delay_alu instid0(VALU_DEP_2) | instskip(SKIP_2) | instid1(VALU_DEP_1)
	v_rcp_f64_e32 v[214:215], v[212:213]
	s_waitcnt_depctr 0xfff
	v_fma_f64 v[216:217], -v[212:213], v[214:215], 1.0
	v_fma_f64 v[214:215], v[214:215], v[216:217], v[214:215]
	s_delay_alu instid0(VALU_DEP_1) | instskip(NEXT) | instid1(VALU_DEP_1)
	v_fma_f64 v[216:217], -v[212:213], v[214:215], 1.0
	v_fma_f64 v[214:215], v[214:215], v[216:217], v[214:215]
	s_delay_alu instid0(VALU_DEP_1) | instskip(NEXT) | instid1(VALU_DEP_1)
	v_mul_f64 v[216:217], v[218:219], v[214:215]
	v_fma_f64 v[212:213], -v[212:213], v[216:217], v[218:219]
	s_delay_alu instid0(VALU_DEP_1) | instskip(NEXT) | instid1(VALU_DEP_1)
	v_div_fmas_f64 v[212:213], v[212:213], v[214:215], v[216:217]
	v_div_fixup_f64 v[212:213], v[212:213], v[210:211], v[208:209]
	s_delay_alu instid0(VALU_DEP_1) | instskip(NEXT) | instid1(VALU_DEP_1)
	v_fma_f64 v[208:209], v[208:209], v[212:213], v[210:211]
	v_div_scale_f64 v[210:211], null, v[208:209], v[208:209], 1.0
	s_delay_alu instid0(VALU_DEP_1) | instskip(SKIP_2) | instid1(VALU_DEP_1)
	v_rcp_f64_e32 v[214:215], v[210:211]
	s_waitcnt_depctr 0xfff
	v_fma_f64 v[216:217], -v[210:211], v[214:215], 1.0
	v_fma_f64 v[214:215], v[214:215], v[216:217], v[214:215]
	s_delay_alu instid0(VALU_DEP_1) | instskip(NEXT) | instid1(VALU_DEP_1)
	v_fma_f64 v[216:217], -v[210:211], v[214:215], 1.0
	v_fma_f64 v[214:215], v[214:215], v[216:217], v[214:215]
	v_div_scale_f64 v[216:217], vcc_lo, 1.0, v[208:209], 1.0
	s_delay_alu instid0(VALU_DEP_1) | instskip(NEXT) | instid1(VALU_DEP_1)
	v_mul_f64 v[218:219], v[216:217], v[214:215]
	v_fma_f64 v[210:211], -v[210:211], v[218:219], v[216:217]
	s_delay_alu instid0(VALU_DEP_1) | instskip(NEXT) | instid1(VALU_DEP_1)
	v_div_fmas_f64 v[210:211], v[210:211], v[214:215], v[218:219]
	v_div_fixup_f64 v[214:215], v[210:211], v[208:209], 1.0
                                        ; implicit-def: $vgpr208_vgpr209
	s_delay_alu instid0(VALU_DEP_1)
	v_mul_f64 v[216:217], v[212:213], v[214:215]
	v_xor_b32_e32 v215, 0x80000000, v215
.LBB103_437:
	s_and_not1_saveexec_b32 s3, s3
	s_cbranch_execz .LBB103_439
; %bb.438:
	v_div_scale_f64 v[212:213], null, v[208:209], v[208:209], v[210:211]
	v_div_scale_f64 v[218:219], vcc_lo, v[210:211], v[208:209], v[210:211]
	s_delay_alu instid0(VALU_DEP_2) | instskip(SKIP_2) | instid1(VALU_DEP_1)
	v_rcp_f64_e32 v[214:215], v[212:213]
	s_waitcnt_depctr 0xfff
	v_fma_f64 v[216:217], -v[212:213], v[214:215], 1.0
	v_fma_f64 v[214:215], v[214:215], v[216:217], v[214:215]
	s_delay_alu instid0(VALU_DEP_1) | instskip(NEXT) | instid1(VALU_DEP_1)
	v_fma_f64 v[216:217], -v[212:213], v[214:215], 1.0
	v_fma_f64 v[214:215], v[214:215], v[216:217], v[214:215]
	s_delay_alu instid0(VALU_DEP_1) | instskip(NEXT) | instid1(VALU_DEP_1)
	v_mul_f64 v[216:217], v[218:219], v[214:215]
	v_fma_f64 v[212:213], -v[212:213], v[216:217], v[218:219]
	s_delay_alu instid0(VALU_DEP_1) | instskip(NEXT) | instid1(VALU_DEP_1)
	v_div_fmas_f64 v[212:213], v[212:213], v[214:215], v[216:217]
	v_div_fixup_f64 v[212:213], v[212:213], v[208:209], v[210:211]
	s_delay_alu instid0(VALU_DEP_1) | instskip(NEXT) | instid1(VALU_DEP_1)
	v_fma_f64 v[208:209], v[210:211], v[212:213], v[208:209]
	v_div_scale_f64 v[210:211], null, v[208:209], v[208:209], 1.0
	s_delay_alu instid0(VALU_DEP_1) | instskip(SKIP_2) | instid1(VALU_DEP_1)
	v_rcp_f64_e32 v[214:215], v[210:211]
	s_waitcnt_depctr 0xfff
	v_fma_f64 v[216:217], -v[210:211], v[214:215], 1.0
	v_fma_f64 v[214:215], v[214:215], v[216:217], v[214:215]
	s_delay_alu instid0(VALU_DEP_1) | instskip(NEXT) | instid1(VALU_DEP_1)
	v_fma_f64 v[216:217], -v[210:211], v[214:215], 1.0
	v_fma_f64 v[214:215], v[214:215], v[216:217], v[214:215]
	v_div_scale_f64 v[216:217], vcc_lo, 1.0, v[208:209], 1.0
	s_delay_alu instid0(VALU_DEP_1) | instskip(NEXT) | instid1(VALU_DEP_1)
	v_mul_f64 v[218:219], v[216:217], v[214:215]
	v_fma_f64 v[210:211], -v[210:211], v[218:219], v[216:217]
	s_delay_alu instid0(VALU_DEP_1) | instskip(NEXT) | instid1(VALU_DEP_1)
	v_div_fmas_f64 v[210:211], v[210:211], v[214:215], v[218:219]
	v_div_fixup_f64 v[216:217], v[210:211], v[208:209], 1.0
	s_delay_alu instid0(VALU_DEP_1)
	v_mul_f64 v[214:215], v[212:213], -v[216:217]
.LBB103_439:
	s_or_b32 exec_lo, exec_lo, s3
	ds_store_2addr_b64 v227, v[216:217], v[214:215] offset1:1
.LBB103_440:
	s_or_b32 exec_lo, exec_lo, s4
	s_waitcnt lgkmcnt(0)
	s_barrier
	buffer_gl0_inv
	ds_load_2addr_b64 v[208:211], v227 offset1:1
	s_mov_b32 s3, exec_lo
	v_cmpx_lt_u32_e32 48, v226
	s_cbranch_execz .LBB103_442
; %bb.441:
	s_waitcnt lgkmcnt(0)
	v_mul_f64 v[212:213], v[208:209], v[14:15]
	v_mul_f64 v[14:15], v[210:211], v[14:15]
	s_delay_alu instid0(VALU_DEP_2) | instskip(SKIP_4) | instid1(VALU_DEP_1)
	v_fma_f64 v[216:217], v[210:211], v[12:13], v[212:213]
	ds_load_2addr_b64 v[212:215], v228 offset0:98 offset1:99
	v_fma_f64 v[12:13], v[208:209], v[12:13], -v[14:15]
	s_waitcnt lgkmcnt(0)
	v_mul_f64 v[14:15], v[214:215], v[216:217]
	v_fma_f64 v[14:15], v[212:213], v[12:13], -v[14:15]
	v_mul_f64 v[212:213], v[212:213], v[216:217]
	s_delay_alu instid0(VALU_DEP_2) | instskip(NEXT) | instid1(VALU_DEP_2)
	v_add_f64 v[8:9], v[8:9], -v[14:15]
	v_fma_f64 v[212:213], v[214:215], v[12:13], v[212:213]
	s_delay_alu instid0(VALU_DEP_1) | instskip(SKIP_3) | instid1(VALU_DEP_1)
	v_add_f64 v[10:11], v[10:11], -v[212:213]
	ds_load_2addr_b64 v[212:215], v228 offset0:100 offset1:101
	s_waitcnt lgkmcnt(0)
	v_mul_f64 v[14:15], v[214:215], v[216:217]
	v_fma_f64 v[14:15], v[212:213], v[12:13], -v[14:15]
	v_mul_f64 v[212:213], v[212:213], v[216:217]
	s_delay_alu instid0(VALU_DEP_2) | instskip(NEXT) | instid1(VALU_DEP_2)
	v_add_f64 v[4:5], v[4:5], -v[14:15]
	v_fma_f64 v[212:213], v[214:215], v[12:13], v[212:213]
	s_delay_alu instid0(VALU_DEP_1) | instskip(SKIP_3) | instid1(VALU_DEP_1)
	v_add_f64 v[6:7], v[6:7], -v[212:213]
	ds_load_2addr_b64 v[212:215], v228 offset0:102 offset1:103
	s_waitcnt lgkmcnt(0)
	v_mul_f64 v[14:15], v[214:215], v[216:217]
	v_fma_f64 v[14:15], v[212:213], v[12:13], -v[14:15]
	v_mul_f64 v[212:213], v[212:213], v[216:217]
	s_delay_alu instid0(VALU_DEP_2) | instskip(NEXT) | instid1(VALU_DEP_2)
	v_add_f64 v[0:1], v[0:1], -v[14:15]
	v_fma_f64 v[212:213], v[214:215], v[12:13], v[212:213]
	v_dual_mov_b32 v14, v216 :: v_dual_mov_b32 v15, v217
	s_delay_alu instid0(VALU_DEP_2)
	v_add_f64 v[2:3], v[2:3], -v[212:213]
.LBB103_442:
	s_or_b32 exec_lo, exec_lo, s3
	s_delay_alu instid0(SALU_CYCLE_1)
	s_mov_b32 s4, exec_lo
	s_waitcnt lgkmcnt(0)
	s_barrier
	buffer_gl0_inv
	v_cmpx_eq_u32_e32 49, v226
	s_cbranch_execz .LBB103_449
; %bb.443:
	ds_store_2addr_b64 v227, v[8:9], v[10:11] offset1:1
	ds_store_2addr_b64 v228, v[4:5], v[6:7] offset0:100 offset1:101
	ds_store_2addr_b64 v228, v[0:1], v[2:3] offset0:102 offset1:103
	ds_load_2addr_b64 v[212:215], v227 offset1:1
	s_waitcnt lgkmcnt(0)
	v_cmp_neq_f64_e32 vcc_lo, 0, v[212:213]
	v_cmp_neq_f64_e64 s3, 0, v[214:215]
	s_delay_alu instid0(VALU_DEP_1) | instskip(NEXT) | instid1(SALU_CYCLE_1)
	s_or_b32 s3, vcc_lo, s3
	s_and_b32 exec_lo, exec_lo, s3
	s_cbranch_execz .LBB103_449
; %bb.444:
	v_cmp_gt_f64_e32 vcc_lo, 0, v[212:213]
	v_xor_b32_e32 v204, 0x80000000, v213
	s_mov_b32 s3, exec_lo
                                        ; implicit-def: $vgpr220_vgpr221
	s_delay_alu instid0(VALU_DEP_1) | instskip(SKIP_3) | instid1(VALU_DEP_1)
	v_cndmask_b32_e32 v217, v213, v204, vcc_lo
	v_cndmask_b32_e32 v216, v212, v212, vcc_lo
	v_cmp_gt_f64_e32 vcc_lo, 0, v[214:215]
	v_xor_b32_e32 v204, 0x80000000, v215
	v_dual_cndmask_b32 v218, v214, v214 :: v_dual_cndmask_b32 v219, v215, v204
	s_delay_alu instid0(VALU_DEP_1)
	v_cmpx_ngt_f64_e32 v[216:217], v[218:219]
	s_xor_b32 s3, exec_lo, s3
                                        ; implicit-def: $vgpr216_vgpr217_vgpr218_vgpr219
	s_cbranch_execz .LBB103_446
; %bb.445:
	v_div_scale_f64 v[216:217], null, v[214:215], v[214:215], v[212:213]
	v_div_scale_f64 v[222:223], vcc_lo, v[212:213], v[214:215], v[212:213]
	s_delay_alu instid0(VALU_DEP_2) | instskip(SKIP_2) | instid1(VALU_DEP_1)
	v_rcp_f64_e32 v[218:219], v[216:217]
	s_waitcnt_depctr 0xfff
	v_fma_f64 v[220:221], -v[216:217], v[218:219], 1.0
	v_fma_f64 v[218:219], v[218:219], v[220:221], v[218:219]
	s_delay_alu instid0(VALU_DEP_1) | instskip(NEXT) | instid1(VALU_DEP_1)
	v_fma_f64 v[220:221], -v[216:217], v[218:219], 1.0
	v_fma_f64 v[218:219], v[218:219], v[220:221], v[218:219]
	s_delay_alu instid0(VALU_DEP_1) | instskip(NEXT) | instid1(VALU_DEP_1)
	v_mul_f64 v[220:221], v[222:223], v[218:219]
	v_fma_f64 v[216:217], -v[216:217], v[220:221], v[222:223]
	s_delay_alu instid0(VALU_DEP_1) | instskip(NEXT) | instid1(VALU_DEP_1)
	v_div_fmas_f64 v[216:217], v[216:217], v[218:219], v[220:221]
	v_div_fixup_f64 v[216:217], v[216:217], v[214:215], v[212:213]
	s_delay_alu instid0(VALU_DEP_1) | instskip(NEXT) | instid1(VALU_DEP_1)
	v_fma_f64 v[212:213], v[212:213], v[216:217], v[214:215]
	v_div_scale_f64 v[214:215], null, v[212:213], v[212:213], 1.0
	s_delay_alu instid0(VALU_DEP_1) | instskip(SKIP_2) | instid1(VALU_DEP_1)
	v_rcp_f64_e32 v[218:219], v[214:215]
	s_waitcnt_depctr 0xfff
	v_fma_f64 v[220:221], -v[214:215], v[218:219], 1.0
	v_fma_f64 v[218:219], v[218:219], v[220:221], v[218:219]
	s_delay_alu instid0(VALU_DEP_1) | instskip(NEXT) | instid1(VALU_DEP_1)
	v_fma_f64 v[220:221], -v[214:215], v[218:219], 1.0
	v_fma_f64 v[218:219], v[218:219], v[220:221], v[218:219]
	v_div_scale_f64 v[220:221], vcc_lo, 1.0, v[212:213], 1.0
	s_delay_alu instid0(VALU_DEP_1) | instskip(NEXT) | instid1(VALU_DEP_1)
	v_mul_f64 v[222:223], v[220:221], v[218:219]
	v_fma_f64 v[214:215], -v[214:215], v[222:223], v[220:221]
	s_delay_alu instid0(VALU_DEP_1) | instskip(NEXT) | instid1(VALU_DEP_1)
	v_div_fmas_f64 v[214:215], v[214:215], v[218:219], v[222:223]
	v_div_fixup_f64 v[218:219], v[214:215], v[212:213], 1.0
                                        ; implicit-def: $vgpr212_vgpr213
	s_delay_alu instid0(VALU_DEP_1)
	v_mul_f64 v[220:221], v[216:217], v[218:219]
	v_xor_b32_e32 v219, 0x80000000, v219
.LBB103_446:
	s_and_not1_saveexec_b32 s3, s3
	s_cbranch_execz .LBB103_448
; %bb.447:
	v_div_scale_f64 v[216:217], null, v[212:213], v[212:213], v[214:215]
	v_div_scale_f64 v[222:223], vcc_lo, v[214:215], v[212:213], v[214:215]
	s_delay_alu instid0(VALU_DEP_2) | instskip(SKIP_2) | instid1(VALU_DEP_1)
	v_rcp_f64_e32 v[218:219], v[216:217]
	s_waitcnt_depctr 0xfff
	v_fma_f64 v[220:221], -v[216:217], v[218:219], 1.0
	v_fma_f64 v[218:219], v[218:219], v[220:221], v[218:219]
	s_delay_alu instid0(VALU_DEP_1) | instskip(NEXT) | instid1(VALU_DEP_1)
	v_fma_f64 v[220:221], -v[216:217], v[218:219], 1.0
	v_fma_f64 v[218:219], v[218:219], v[220:221], v[218:219]
	s_delay_alu instid0(VALU_DEP_1) | instskip(NEXT) | instid1(VALU_DEP_1)
	v_mul_f64 v[220:221], v[222:223], v[218:219]
	v_fma_f64 v[216:217], -v[216:217], v[220:221], v[222:223]
	s_delay_alu instid0(VALU_DEP_1) | instskip(NEXT) | instid1(VALU_DEP_1)
	v_div_fmas_f64 v[216:217], v[216:217], v[218:219], v[220:221]
	v_div_fixup_f64 v[216:217], v[216:217], v[212:213], v[214:215]
	s_delay_alu instid0(VALU_DEP_1) | instskip(NEXT) | instid1(VALU_DEP_1)
	v_fma_f64 v[212:213], v[214:215], v[216:217], v[212:213]
	v_div_scale_f64 v[214:215], null, v[212:213], v[212:213], 1.0
	s_delay_alu instid0(VALU_DEP_1) | instskip(SKIP_2) | instid1(VALU_DEP_1)
	v_rcp_f64_e32 v[218:219], v[214:215]
	s_waitcnt_depctr 0xfff
	v_fma_f64 v[220:221], -v[214:215], v[218:219], 1.0
	v_fma_f64 v[218:219], v[218:219], v[220:221], v[218:219]
	s_delay_alu instid0(VALU_DEP_1) | instskip(NEXT) | instid1(VALU_DEP_1)
	v_fma_f64 v[220:221], -v[214:215], v[218:219], 1.0
	v_fma_f64 v[218:219], v[218:219], v[220:221], v[218:219]
	v_div_scale_f64 v[220:221], vcc_lo, 1.0, v[212:213], 1.0
	s_delay_alu instid0(VALU_DEP_1) | instskip(NEXT) | instid1(VALU_DEP_1)
	v_mul_f64 v[222:223], v[220:221], v[218:219]
	v_fma_f64 v[214:215], -v[214:215], v[222:223], v[220:221]
	s_delay_alu instid0(VALU_DEP_1) | instskip(NEXT) | instid1(VALU_DEP_1)
	v_div_fmas_f64 v[214:215], v[214:215], v[218:219], v[222:223]
	v_div_fixup_f64 v[220:221], v[214:215], v[212:213], 1.0
	s_delay_alu instid0(VALU_DEP_1)
	v_mul_f64 v[218:219], v[216:217], -v[220:221]
.LBB103_448:
	s_or_b32 exec_lo, exec_lo, s3
	ds_store_2addr_b64 v227, v[220:221], v[218:219] offset1:1
.LBB103_449:
	s_or_b32 exec_lo, exec_lo, s4
	s_waitcnt lgkmcnt(0)
	s_barrier
	buffer_gl0_inv
	ds_load_2addr_b64 v[212:215], v227 offset1:1
	s_mov_b32 s3, exec_lo
	v_cmpx_lt_u32_e32 49, v226
	s_cbranch_execz .LBB103_451
; %bb.450:
	s_waitcnt lgkmcnt(0)
	v_mul_f64 v[216:217], v[212:213], v[10:11]
	v_mul_f64 v[10:11], v[214:215], v[10:11]
	s_delay_alu instid0(VALU_DEP_2) | instskip(SKIP_4) | instid1(VALU_DEP_1)
	v_fma_f64 v[220:221], v[214:215], v[8:9], v[216:217]
	ds_load_2addr_b64 v[216:219], v228 offset0:100 offset1:101
	v_fma_f64 v[8:9], v[212:213], v[8:9], -v[10:11]
	s_waitcnt lgkmcnt(0)
	v_mul_f64 v[10:11], v[218:219], v[220:221]
	v_fma_f64 v[10:11], v[216:217], v[8:9], -v[10:11]
	v_mul_f64 v[216:217], v[216:217], v[220:221]
	s_delay_alu instid0(VALU_DEP_2) | instskip(NEXT) | instid1(VALU_DEP_2)
	v_add_f64 v[4:5], v[4:5], -v[10:11]
	v_fma_f64 v[216:217], v[218:219], v[8:9], v[216:217]
	s_delay_alu instid0(VALU_DEP_1) | instskip(SKIP_3) | instid1(VALU_DEP_1)
	v_add_f64 v[6:7], v[6:7], -v[216:217]
	ds_load_2addr_b64 v[216:219], v228 offset0:102 offset1:103
	s_waitcnt lgkmcnt(0)
	v_mul_f64 v[10:11], v[218:219], v[220:221]
	v_fma_f64 v[10:11], v[216:217], v[8:9], -v[10:11]
	v_mul_f64 v[216:217], v[216:217], v[220:221]
	s_delay_alu instid0(VALU_DEP_2) | instskip(NEXT) | instid1(VALU_DEP_2)
	v_add_f64 v[0:1], v[0:1], -v[10:11]
	v_fma_f64 v[216:217], v[218:219], v[8:9], v[216:217]
	v_dual_mov_b32 v10, v220 :: v_dual_mov_b32 v11, v221
	s_delay_alu instid0(VALU_DEP_2)
	v_add_f64 v[2:3], v[2:3], -v[216:217]
.LBB103_451:
	s_or_b32 exec_lo, exec_lo, s3
	s_delay_alu instid0(SALU_CYCLE_1)
	s_mov_b32 s4, exec_lo
	s_waitcnt lgkmcnt(0)
	s_barrier
	buffer_gl0_inv
	v_cmpx_eq_u32_e32 50, v226
	s_cbranch_execz .LBB103_458
; %bb.452:
	ds_store_2addr_b64 v227, v[4:5], v[6:7] offset1:1
	ds_store_2addr_b64 v228, v[0:1], v[2:3] offset0:102 offset1:103
	ds_load_2addr_b64 v[216:219], v227 offset1:1
	s_waitcnt lgkmcnt(0)
	v_cmp_neq_f64_e32 vcc_lo, 0, v[216:217]
	v_cmp_neq_f64_e64 s3, 0, v[218:219]
	s_delay_alu instid0(VALU_DEP_1) | instskip(NEXT) | instid1(SALU_CYCLE_1)
	s_or_b32 s3, vcc_lo, s3
	s_and_b32 exec_lo, exec_lo, s3
	s_cbranch_execz .LBB103_458
; %bb.453:
	v_cmp_gt_f64_e32 vcc_lo, 0, v[216:217]
	v_xor_b32_e32 v204, 0x80000000, v217
	s_mov_b32 s3, exec_lo
                                        ; implicit-def: $vgpr224_vgpr225
	s_delay_alu instid0(VALU_DEP_1) | instskip(SKIP_3) | instid1(VALU_DEP_1)
	v_cndmask_b32_e32 v221, v217, v204, vcc_lo
	v_cndmask_b32_e32 v220, v216, v216, vcc_lo
	v_cmp_gt_f64_e32 vcc_lo, 0, v[218:219]
	v_xor_b32_e32 v204, 0x80000000, v219
	v_dual_cndmask_b32 v222, v218, v218 :: v_dual_cndmask_b32 v223, v219, v204
	s_delay_alu instid0(VALU_DEP_1)
	v_cmpx_ngt_f64_e32 v[220:221], v[222:223]
	s_xor_b32 s3, exec_lo, s3
                                        ; implicit-def: $vgpr220_vgpr221_vgpr222_vgpr223
	s_cbranch_execz .LBB103_455
; %bb.454:
	v_div_scale_f64 v[220:221], null, v[218:219], v[218:219], v[216:217]
	v_dual_mov_b32 v204, v230 :: v_dual_mov_b32 v205, v231
	v_div_scale_f64 v[229:230], vcc_lo, v[216:217], v[218:219], v[216:217]
	s_delay_alu instid0(VALU_DEP_3) | instskip(SKIP_2) | instid1(VALU_DEP_1)
	v_rcp_f64_e32 v[222:223], v[220:221]
	s_waitcnt_depctr 0xfff
	v_fma_f64 v[224:225], -v[220:221], v[222:223], 1.0
	v_fma_f64 v[222:223], v[222:223], v[224:225], v[222:223]
	s_delay_alu instid0(VALU_DEP_1) | instskip(NEXT) | instid1(VALU_DEP_1)
	v_fma_f64 v[224:225], -v[220:221], v[222:223], 1.0
	v_fma_f64 v[222:223], v[222:223], v[224:225], v[222:223]
	s_delay_alu instid0(VALU_DEP_1) | instskip(NEXT) | instid1(VALU_DEP_1)
	v_mul_f64 v[224:225], v[229:230], v[222:223]
	v_fma_f64 v[220:221], -v[220:221], v[224:225], v[229:230]
	s_delay_alu instid0(VALU_DEP_1) | instskip(NEXT) | instid1(VALU_DEP_1)
	v_div_fmas_f64 v[220:221], v[220:221], v[222:223], v[224:225]
	v_div_fixup_f64 v[220:221], v[220:221], v[218:219], v[216:217]
	s_delay_alu instid0(VALU_DEP_1) | instskip(NEXT) | instid1(VALU_DEP_1)
	v_fma_f64 v[216:217], v[216:217], v[220:221], v[218:219]
	v_div_scale_f64 v[218:219], null, v[216:217], v[216:217], 1.0
	s_delay_alu instid0(VALU_DEP_1) | instskip(SKIP_2) | instid1(VALU_DEP_1)
	v_rcp_f64_e32 v[222:223], v[218:219]
	s_waitcnt_depctr 0xfff
	v_fma_f64 v[224:225], -v[218:219], v[222:223], 1.0
	v_fma_f64 v[222:223], v[222:223], v[224:225], v[222:223]
	s_delay_alu instid0(VALU_DEP_1) | instskip(NEXT) | instid1(VALU_DEP_1)
	v_fma_f64 v[224:225], -v[218:219], v[222:223], 1.0
	v_fma_f64 v[222:223], v[222:223], v[224:225], v[222:223]
	v_div_scale_f64 v[224:225], vcc_lo, 1.0, v[216:217], 1.0
	s_delay_alu instid0(VALU_DEP_1) | instskip(NEXT) | instid1(VALU_DEP_1)
	v_mul_f64 v[229:230], v[224:225], v[222:223]
	v_fma_f64 v[218:219], -v[218:219], v[229:230], v[224:225]
	s_delay_alu instid0(VALU_DEP_1) | instskip(SKIP_1) | instid1(VALU_DEP_2)
	v_div_fmas_f64 v[218:219], v[218:219], v[222:223], v[229:230]
	v_dual_mov_b32 v231, v205 :: v_dual_mov_b32 v230, v204
	v_div_fixup_f64 v[222:223], v[218:219], v[216:217], 1.0
                                        ; implicit-def: $vgpr216_vgpr217
	s_delay_alu instid0(VALU_DEP_1)
	v_mul_f64 v[224:225], v[220:221], v[222:223]
	v_xor_b32_e32 v223, 0x80000000, v223
.LBB103_455:
	s_and_not1_saveexec_b32 s3, s3
	s_cbranch_execz .LBB103_457
; %bb.456:
	v_div_scale_f64 v[220:221], null, v[216:217], v[216:217], v[218:219]
	v_dual_mov_b32 v204, v230 :: v_dual_mov_b32 v205, v231
	v_div_scale_f64 v[229:230], vcc_lo, v[218:219], v[216:217], v[218:219]
	s_delay_alu instid0(VALU_DEP_3) | instskip(SKIP_2) | instid1(VALU_DEP_1)
	v_rcp_f64_e32 v[222:223], v[220:221]
	s_waitcnt_depctr 0xfff
	v_fma_f64 v[224:225], -v[220:221], v[222:223], 1.0
	v_fma_f64 v[222:223], v[222:223], v[224:225], v[222:223]
	s_delay_alu instid0(VALU_DEP_1) | instskip(NEXT) | instid1(VALU_DEP_1)
	v_fma_f64 v[224:225], -v[220:221], v[222:223], 1.0
	v_fma_f64 v[222:223], v[222:223], v[224:225], v[222:223]
	s_delay_alu instid0(VALU_DEP_1) | instskip(NEXT) | instid1(VALU_DEP_1)
	v_mul_f64 v[224:225], v[229:230], v[222:223]
	v_fma_f64 v[220:221], -v[220:221], v[224:225], v[229:230]
	s_delay_alu instid0(VALU_DEP_1) | instskip(NEXT) | instid1(VALU_DEP_1)
	v_div_fmas_f64 v[220:221], v[220:221], v[222:223], v[224:225]
	v_div_fixup_f64 v[220:221], v[220:221], v[216:217], v[218:219]
	s_delay_alu instid0(VALU_DEP_1) | instskip(NEXT) | instid1(VALU_DEP_1)
	v_fma_f64 v[216:217], v[218:219], v[220:221], v[216:217]
	v_div_scale_f64 v[218:219], null, v[216:217], v[216:217], 1.0
	s_delay_alu instid0(VALU_DEP_1) | instskip(SKIP_2) | instid1(VALU_DEP_1)
	v_rcp_f64_e32 v[222:223], v[218:219]
	s_waitcnt_depctr 0xfff
	v_fma_f64 v[224:225], -v[218:219], v[222:223], 1.0
	v_fma_f64 v[222:223], v[222:223], v[224:225], v[222:223]
	s_delay_alu instid0(VALU_DEP_1) | instskip(NEXT) | instid1(VALU_DEP_1)
	v_fma_f64 v[224:225], -v[218:219], v[222:223], 1.0
	v_fma_f64 v[222:223], v[222:223], v[224:225], v[222:223]
	v_div_scale_f64 v[224:225], vcc_lo, 1.0, v[216:217], 1.0
	s_delay_alu instid0(VALU_DEP_1) | instskip(NEXT) | instid1(VALU_DEP_1)
	v_mul_f64 v[229:230], v[224:225], v[222:223]
	v_fma_f64 v[218:219], -v[218:219], v[229:230], v[224:225]
	s_delay_alu instid0(VALU_DEP_1) | instskip(SKIP_1) | instid1(VALU_DEP_2)
	v_div_fmas_f64 v[218:219], v[218:219], v[222:223], v[229:230]
	v_dual_mov_b32 v231, v205 :: v_dual_mov_b32 v230, v204
	v_div_fixup_f64 v[224:225], v[218:219], v[216:217], 1.0
	s_delay_alu instid0(VALU_DEP_1)
	v_mul_f64 v[222:223], v[220:221], -v[224:225]
.LBB103_457:
	s_or_b32 exec_lo, exec_lo, s3
	ds_store_2addr_b64 v227, v[224:225], v[222:223] offset1:1
.LBB103_458:
	s_or_b32 exec_lo, exec_lo, s4
	s_waitcnt lgkmcnt(0)
	s_barrier
	buffer_gl0_inv
	ds_load_2addr_b64 v[216:219], v227 offset1:1
	s_mov_b32 s3, exec_lo
	v_cmpx_lt_u32_e32 50, v226
	s_cbranch_execz .LBB103_460
; %bb.459:
	s_waitcnt lgkmcnt(0)
	v_mul_f64 v[220:221], v[216:217], v[6:7]
	v_mul_f64 v[6:7], v[218:219], v[6:7]
	s_delay_alu instid0(VALU_DEP_2) | instskip(SKIP_4) | instid1(VALU_DEP_1)
	v_fma_f64 v[224:225], v[218:219], v[4:5], v[220:221]
	ds_load_2addr_b64 v[220:223], v228 offset0:102 offset1:103
	v_fma_f64 v[4:5], v[216:217], v[4:5], -v[6:7]
	s_waitcnt lgkmcnt(0)
	v_mul_f64 v[6:7], v[222:223], v[224:225]
	v_fma_f64 v[6:7], v[220:221], v[4:5], -v[6:7]
	v_mul_f64 v[220:221], v[220:221], v[224:225]
	s_delay_alu instid0(VALU_DEP_2) | instskip(NEXT) | instid1(VALU_DEP_2)
	v_add_f64 v[0:1], v[0:1], -v[6:7]
	v_fma_f64 v[220:221], v[222:223], v[4:5], v[220:221]
	v_dual_mov_b32 v6, v224 :: v_dual_mov_b32 v7, v225
	s_delay_alu instid0(VALU_DEP_2)
	v_add_f64 v[2:3], v[2:3], -v[220:221]
.LBB103_460:
	s_or_b32 exec_lo, exec_lo, s3
	s_delay_alu instid0(SALU_CYCLE_1)
	s_mov_b32 s4, exec_lo
	s_waitcnt lgkmcnt(0)
	s_barrier
	buffer_gl0_inv
	v_cmpx_eq_u32_e32 51, v226
	s_cbranch_execz .LBB103_467
; %bb.461:
	v_cmp_neq_f64_e32 vcc_lo, 0, v[0:1]
	v_cmp_neq_f64_e64 s3, 0, v[2:3]
	ds_store_2addr_b64 v227, v[0:1], v[2:3] offset1:1
	s_or_b32 s3, vcc_lo, s3
	s_delay_alu instid0(SALU_CYCLE_1)
	s_and_b32 exec_lo, exec_lo, s3
	s_cbranch_execz .LBB103_467
; %bb.462:
	v_cmp_gt_f64_e32 vcc_lo, 0, v[0:1]
	v_xor_b32_e32 v204, 0x80000000, v1
	s_mov_b32 s3, exec_lo
                                        ; implicit-def: $vgpr224_vgpr225
	s_delay_alu instid0(VALU_DEP_1) | instskip(SKIP_3) | instid1(VALU_DEP_1)
	v_cndmask_b32_e32 v221, v1, v204, vcc_lo
	v_cndmask_b32_e32 v220, v0, v0, vcc_lo
	v_cmp_gt_f64_e32 vcc_lo, 0, v[2:3]
	v_xor_b32_e32 v204, 0x80000000, v3
	v_dual_cndmask_b32 v222, v2, v2 :: v_dual_cndmask_b32 v223, v3, v204
	s_delay_alu instid0(VALU_DEP_1)
	v_cmpx_ngt_f64_e32 v[220:221], v[222:223]
	s_xor_b32 s3, exec_lo, s3
                                        ; implicit-def: $vgpr220_vgpr221_vgpr222_vgpr223
	s_cbranch_execz .LBB103_464
; %bb.463:
	v_div_scale_f64 v[220:221], null, v[2:3], v[2:3], v[0:1]
	v_div_scale_f64 v[228:229], vcc_lo, v[0:1], v[2:3], v[0:1]
	v_dual_mov_b32 v203, v201 :: v_dual_mov_b32 v202, v200
	v_dual_mov_b32 v200, v230 :: v_dual_mov_b32 v201, v231
	s_delay_alu instid0(VALU_DEP_4) | instskip(SKIP_2) | instid1(VALU_DEP_1)
	v_rcp_f64_e32 v[222:223], v[220:221]
	s_waitcnt_depctr 0xfff
	v_fma_f64 v[224:225], -v[220:221], v[222:223], 1.0
	v_fma_f64 v[222:223], v[222:223], v[224:225], v[222:223]
	s_delay_alu instid0(VALU_DEP_1) | instskip(NEXT) | instid1(VALU_DEP_1)
	v_fma_f64 v[224:225], -v[220:221], v[222:223], 1.0
	v_fma_f64 v[222:223], v[222:223], v[224:225], v[222:223]
	s_delay_alu instid0(VALU_DEP_1) | instskip(NEXT) | instid1(VALU_DEP_1)
	v_mul_f64 v[224:225], v[228:229], v[222:223]
	v_fma_f64 v[220:221], -v[220:221], v[224:225], v[228:229]
	s_delay_alu instid0(VALU_DEP_1) | instskip(NEXT) | instid1(VALU_DEP_1)
	v_div_fmas_f64 v[220:221], v[220:221], v[222:223], v[224:225]
	v_div_fixup_f64 v[220:221], v[220:221], v[2:3], v[0:1]
	s_delay_alu instid0(VALU_DEP_1) | instskip(NEXT) | instid1(VALU_DEP_1)
	v_fma_f64 v[222:223], v[0:1], v[220:221], v[2:3]
	v_div_scale_f64 v[224:225], null, v[222:223], v[222:223], 1.0
	s_delay_alu instid0(VALU_DEP_1) | instskip(SKIP_2) | instid1(VALU_DEP_1)
	v_rcp_f64_e32 v[228:229], v[224:225]
	s_waitcnt_depctr 0xfff
	v_fma_f64 v[230:231], -v[224:225], v[228:229], 1.0
	v_fma_f64 v[228:229], v[228:229], v[230:231], v[228:229]
	s_delay_alu instid0(VALU_DEP_1) | instskip(NEXT) | instid1(VALU_DEP_1)
	v_fma_f64 v[230:231], -v[224:225], v[228:229], 1.0
	v_fma_f64 v[228:229], v[228:229], v[230:231], v[228:229]
	v_div_scale_f64 v[230:231], vcc_lo, 1.0, v[222:223], 1.0
	s_delay_alu instid0(VALU_DEP_1) | instskip(NEXT) | instid1(VALU_DEP_1)
	v_mul_f64 v[204:205], v[230:231], v[228:229]
	v_fma_f64 v[206:207], -v[224:225], v[204:205], v[230:231]
	v_dual_mov_b32 v231, v201 :: v_dual_mov_b32 v230, v200
	v_dual_mov_b32 v200, v202 :: v_dual_mov_b32 v201, v203
	s_delay_alu instid0(VALU_DEP_3) | instskip(NEXT) | instid1(VALU_DEP_1)
	v_div_fmas_f64 v[204:205], v[206:207], v[228:229], v[204:205]
	v_div_fixup_f64 v[222:223], v[204:205], v[222:223], 1.0
	s_delay_alu instid0(VALU_DEP_1)
	v_mul_f64 v[224:225], v[220:221], v[222:223]
	v_xor_b32_e32 v223, 0x80000000, v223
.LBB103_464:
	s_and_not1_saveexec_b32 s3, s3
	s_cbranch_execz .LBB103_466
; %bb.465:
	v_div_scale_f64 v[204:205], null, v[0:1], v[0:1], v[2:3]
	v_div_scale_f64 v[222:223], vcc_lo, v[2:3], v[0:1], v[2:3]
	s_delay_alu instid0(VALU_DEP_2) | instskip(SKIP_2) | instid1(VALU_DEP_1)
	v_rcp_f64_e32 v[206:207], v[204:205]
	s_waitcnt_depctr 0xfff
	v_fma_f64 v[220:221], -v[204:205], v[206:207], 1.0
	v_fma_f64 v[206:207], v[206:207], v[220:221], v[206:207]
	s_delay_alu instid0(VALU_DEP_1) | instskip(NEXT) | instid1(VALU_DEP_1)
	v_fma_f64 v[220:221], -v[204:205], v[206:207], 1.0
	v_fma_f64 v[206:207], v[206:207], v[220:221], v[206:207]
	s_delay_alu instid0(VALU_DEP_1) | instskip(NEXT) | instid1(VALU_DEP_1)
	v_mul_f64 v[220:221], v[222:223], v[206:207]
	v_fma_f64 v[204:205], -v[204:205], v[220:221], v[222:223]
	s_delay_alu instid0(VALU_DEP_1) | instskip(NEXT) | instid1(VALU_DEP_1)
	v_div_fmas_f64 v[204:205], v[204:205], v[206:207], v[220:221]
	v_div_fixup_f64 v[204:205], v[204:205], v[0:1], v[2:3]
	s_delay_alu instid0(VALU_DEP_1) | instskip(NEXT) | instid1(VALU_DEP_1)
	v_fma_f64 v[206:207], v[2:3], v[204:205], v[0:1]
	v_div_scale_f64 v[220:221], null, v[206:207], v[206:207], 1.0
	s_delay_alu instid0(VALU_DEP_1) | instskip(SKIP_2) | instid1(VALU_DEP_1)
	v_rcp_f64_e32 v[222:223], v[220:221]
	s_waitcnt_depctr 0xfff
	v_fma_f64 v[224:225], -v[220:221], v[222:223], 1.0
	v_fma_f64 v[222:223], v[222:223], v[224:225], v[222:223]
	s_delay_alu instid0(VALU_DEP_1) | instskip(NEXT) | instid1(VALU_DEP_1)
	v_fma_f64 v[224:225], -v[220:221], v[222:223], 1.0
	v_fma_f64 v[222:223], v[222:223], v[224:225], v[222:223]
	v_div_scale_f64 v[224:225], vcc_lo, 1.0, v[206:207], 1.0
	s_delay_alu instid0(VALU_DEP_1) | instskip(NEXT) | instid1(VALU_DEP_1)
	v_mul_f64 v[228:229], v[224:225], v[222:223]
	v_fma_f64 v[220:221], -v[220:221], v[228:229], v[224:225]
	s_delay_alu instid0(VALU_DEP_1) | instskip(NEXT) | instid1(VALU_DEP_1)
	v_div_fmas_f64 v[220:221], v[220:221], v[222:223], v[228:229]
	v_div_fixup_f64 v[224:225], v[220:221], v[206:207], 1.0
	s_delay_alu instid0(VALU_DEP_1)
	v_mul_f64 v[222:223], v[204:205], -v[224:225]
.LBB103_466:
	s_or_b32 exec_lo, exec_lo, s3
	ds_store_2addr_b64 v227, v[224:225], v[222:223] offset1:1
.LBB103_467:
	s_or_b32 exec_lo, exec_lo, s4
	s_waitcnt lgkmcnt(0)
	s_barrier
	buffer_gl0_inv
	ds_load_2addr_b64 v[220:223], v227 offset1:1
	s_mov_b32 s3, exec_lo
	v_cmpx_lt_u32_e32 51, v226
	s_cbranch_execz .LBB103_469
; %bb.468:
	s_waitcnt lgkmcnt(0)
	v_mul_f64 v[204:205], v[222:223], v[2:3]
	v_mul_f64 v[2:3], v[220:221], v[2:3]
	s_delay_alu instid0(VALU_DEP_2) | instskip(NEXT) | instid1(VALU_DEP_2)
	v_fma_f64 v[204:205], v[220:221], v[0:1], -v[204:205]
	v_fma_f64 v[2:3], v[222:223], v[0:1], v[2:3]
	s_delay_alu instid0(VALU_DEP_2)
	v_dual_mov_b32 v0, v204 :: v_dual_mov_b32 v1, v205
.LBB103_469:
	s_or_b32 exec_lo, exec_lo, s3
	s_waitcnt lgkmcnt(0)
	s_barrier
	buffer_gl0_inv
	s_and_saveexec_b32 s14, s2
	s_cbranch_execz .LBB103_472
; %bb.470:
	s_clause 0x1
	scratch_load_b128 v[202:205], off, off offset:440
	scratch_load_b128 v[224:227], off, off offset:520
	s_waitcnt vmcnt(1)
	v_cmp_eq_f64_e32 vcc_lo, 0, v[202:203]
	v_cmp_eq_f64_e64 s2, 0, v[204:205]
	scratch_load_b128 v[202:205], off, off offset:456 ; 16-byte Folded Reload
	s_and_b32 s2, vcc_lo, s2
	s_waitcnt vmcnt(0)
	v_cmp_neq_f64_e64 s3, 0, v[202:203]
	v_cmp_neq_f64_e64 s4, 0, v[204:205]
	scratch_load_b128 v[202:205], off, off offset:472 ; 16-byte Folded Reload
	s_or_b32 s3, s3, s4
	s_delay_alu instid0(SALU_CYCLE_1)
	s_or_b32 vcc_lo, s3, s2
	s_waitcnt vmcnt(0)
	v_cmp_eq_f64_e64 s5, 0, v[202:203]
	v_cmp_eq_f64_e64 s6, 0, v[204:205]
	scratch_load_b128 v[202:205], off, off offset:488 ; 16-byte Folded Reload
	s_and_b32 s4, s5, s6
	s_waitcnt vmcnt(0)
	v_cmp_eq_f64_e64 s7, 0, v[202:203]
	v_cmp_eq_f64_e64 s8, 0, v[204:205]
	scratch_load_b128 v[202:205], off, off offset:504 ; 16-byte Folded Reload
	s_and_b32 s6, s7, s8
	s_waitcnt vmcnt(0)
	v_cmp_eq_f64_e64 s10, 0, v[204:205]
	v_cndmask_b32_e64 v204, 0, 1, s2
	v_cmp_eq_f64_e64 s2, 0, v[226:227]
	v_cmp_eq_f64_e64 s9, 0, v[202:203]
	s_delay_alu instid0(VALU_DEP_3) | instskip(SKIP_3) | instid1(VALU_DEP_1)
	v_cndmask_b32_e32 v204, 2, v204, vcc_lo
	v_cmp_eq_f64_e32 vcc_lo, 0, v[224:225]
	scratch_load_b128 v[224:227], off, off offset:536 ; 16-byte Folded Reload
	v_cmp_eq_u32_e64 s3, 0, v204
	s_and_b32 s3, s4, s3
	s_delay_alu instid0(SALU_CYCLE_1) | instskip(NEXT) | instid1(VALU_DEP_1)
	v_cndmask_b32_e64 v204, v204, 3, s3
	v_cmp_eq_u32_e64 s5, 0, v204
	s_delay_alu instid0(VALU_DEP_1) | instskip(NEXT) | instid1(SALU_CYCLE_1)
	s_and_b32 s5, s6, s5
	v_cndmask_b32_e64 v204, v204, 4, s5
	s_delay_alu instid0(VALU_DEP_1)
	v_cmp_eq_u32_e64 s7, 0, v204
	s_and_b32 s8, s9, s10
	s_delay_alu instid0(VALU_DEP_1) | instid1(SALU_CYCLE_1)
	s_and_b32 s7, s8, s7
	s_delay_alu instid0(SALU_CYCLE_1) | instskip(SKIP_1) | instid1(VALU_DEP_1)
	v_cndmask_b32_e64 v204, v204, 5, s7
	s_and_b32 s2, vcc_lo, s2
	v_cmp_eq_u32_e64 s9, 0, v204
	s_delay_alu instid0(VALU_DEP_1) | instskip(NEXT) | instid1(SALU_CYCLE_1)
	s_and_b32 s2, s2, s9
	v_cndmask_b32_e64 v204, v204, 6, s2
	s_delay_alu instid0(VALU_DEP_1)
	v_cmp_eq_u32_e64 s9, 0, v204
	s_waitcnt vmcnt(0)
	v_cmp_eq_f64_e64 s3, 0, v[224:225]
	v_cmp_eq_f64_e64 s4, 0, v[226:227]
	scratch_load_b128 v[224:227], off, off offset:552 ; 16-byte Folded Reload
	s_and_b32 s3, s3, s4
	s_delay_alu instid0(SALU_CYCLE_1) | instskip(NEXT) | instid1(SALU_CYCLE_1)
	s_and_b32 s3, s3, s9
	v_cndmask_b32_e64 v204, v204, 7, s3
	s_delay_alu instid0(VALU_DEP_1)
	v_cmp_eq_u32_e64 s9, 0, v204
	s_waitcnt vmcnt(0)
	v_cmp_eq_f64_e64 s5, 0, v[224:225]
	v_cmp_eq_f64_e64 s6, 0, v[226:227]
	scratch_load_b128 v[224:227], off, off offset:568 ; 16-byte Folded Reload
	s_and_b32 s5, s5, s6
	s_delay_alu instid0(SALU_CYCLE_1) | instskip(NEXT) | instid1(SALU_CYCLE_1)
	s_and_b32 s5, s5, s9
	v_cndmask_b32_e64 v204, v204, 8, s5
	s_delay_alu instid0(VALU_DEP_1)
	v_cmp_eq_u32_e64 s9, 0, v204
	s_waitcnt vmcnt(0)
	v_cmp_eq_f64_e64 s7, 0, v[224:225]
	v_cmp_eq_f64_e64 s8, 0, v[226:227]
	scratch_load_b128 v[224:227], off, off offset:584 ; 16-byte Folded Reload
	s_and_b32 s7, s7, s8
	s_delay_alu instid0(SALU_CYCLE_1) | instskip(NEXT) | instid1(SALU_CYCLE_1)
	s_and_b32 s7, s7, s9
	v_cndmask_b32_e64 v204, v204, 9, s7
	s_delay_alu instid0(VALU_DEP_1)
	v_cmp_eq_u32_e64 s9, 0, v204
	s_waitcnt vmcnt(0)
	v_cmp_eq_f64_e32 vcc_lo, 0, v[224:225]
	v_cmp_eq_f64_e64 s2, 0, v[226:227]
	scratch_load_b128 v[224:227], off, off offset:600 ; 16-byte Folded Reload
	s_and_b32 s2, vcc_lo, s2
	s_delay_alu instid0(SALU_CYCLE_1) | instskip(NEXT) | instid1(SALU_CYCLE_1)
	s_and_b32 s2, s2, s9
	v_cndmask_b32_e64 v204, v204, 10, s2
	s_delay_alu instid0(VALU_DEP_1)
	v_cmp_eq_u32_e64 s9, 0, v204
	s_waitcnt vmcnt(0)
	v_cmp_eq_f64_e64 s3, 0, v[224:225]
	v_cmp_eq_f64_e64 s4, 0, v[226:227]
	scratch_load_b128 v[224:227], off, off offset:616 ; 16-byte Folded Reload
	s_and_b32 s3, s3, s4
	s_delay_alu instid0(SALU_CYCLE_1) | instskip(NEXT) | instid1(SALU_CYCLE_1)
	s_and_b32 s3, s3, s9
	v_cndmask_b32_e64 v204, v204, 11, s3
	s_delay_alu instid0(VALU_DEP_1)
	v_cmp_eq_u32_e64 s9, 0, v204
	s_waitcnt vmcnt(0)
	v_cmp_eq_f64_e64 s5, 0, v[224:225]
	v_cmp_eq_f64_e64 s6, 0, v[226:227]
	scratch_load_b128 v[224:227], off, off offset:632 ; 16-byte Folded Reload
	s_and_b32 s5, s5, s6
	s_delay_alu instid0(SALU_CYCLE_1) | instskip(NEXT) | instid1(SALU_CYCLE_1)
	s_and_b32 s5, s5, s9
	v_cndmask_b32_e64 v204, v204, 12, s5
	s_delay_alu instid0(VALU_DEP_1)
	v_cmp_eq_u32_e64 s9, 0, v204
	s_waitcnt vmcnt(0)
	v_cmp_eq_f64_e64 s7, 0, v[224:225]
	v_cmp_eq_f64_e64 s8, 0, v[226:227]
	scratch_load_b128 v[224:227], off, off offset:648 ; 16-byte Folded Reload
	s_and_b32 s7, s7, s8
	s_delay_alu instid0(SALU_CYCLE_1) | instskip(NEXT) | instid1(SALU_CYCLE_1)
	s_and_b32 s7, s7, s9
	v_cndmask_b32_e64 v204, v204, 13, s7
	s_delay_alu instid0(VALU_DEP_1)
	v_cmp_eq_u32_e64 s9, 0, v204
	s_waitcnt vmcnt(0)
	v_cmp_eq_f64_e32 vcc_lo, 0, v[224:225]
	v_cmp_eq_f64_e64 s2, 0, v[226:227]
	scratch_load_b128 v[224:227], off, off offset:664 ; 16-byte Folded Reload
	s_and_b32 s2, vcc_lo, s2
	s_delay_alu instid0(SALU_CYCLE_1) | instskip(NEXT) | instid1(SALU_CYCLE_1)
	;; [unrolled: 40-line block ×3, first 2 shown]
	s_and_b32 s2, s2, s9
	v_cndmask_b32_e64 v204, v204, 18, s2
	s_delay_alu instid0(VALU_DEP_1)
	v_cmp_eq_u32_e32 vcc_lo, 0, v204
	s_waitcnt vmcnt(0)
	v_cmp_eq_f64_e64 s3, 0, v[224:225]
	v_cmp_eq_f64_e64 s4, 0, v[226:227]
	scratch_load_b128 v[224:227], off, off offset:744 ; 16-byte Folded Reload
	s_and_b32 s2, s3, s4
	s_delay_alu instid0(SALU_CYCLE_1) | instskip(NEXT) | instid1(SALU_CYCLE_1)
	s_and_b32 s2, s2, vcc_lo
	v_cndmask_b32_e64 v204, v204, 19, s2
	s_delay_alu instid0(VALU_DEP_1)
	v_cmp_eq_u32_e32 vcc_lo, 0, v204
	s_waitcnt vmcnt(0)
	v_cmp_eq_f64_e64 s5, 0, v[224:225]
	v_cmp_eq_f64_e64 s6, 0, v[226:227]
	scratch_load_b128 v[224:227], off, off offset:760 ; 16-byte Folded Reload
	s_and_b32 s2, s5, s6
	s_delay_alu instid0(SALU_CYCLE_1) | instskip(NEXT) | instid1(SALU_CYCLE_1)
	s_and_b32 s2, s2, vcc_lo
	v_cndmask_b32_e64 v204, v204, 20, s2
	s_delay_alu instid0(VALU_DEP_1)
	v_cmp_eq_u32_e64 s3, 0, v204
	s_waitcnt vmcnt(0)
	v_cmp_eq_f64_e64 s7, 0, v[224:225]
	v_cmp_eq_f64_e64 s8, 0, v[226:227]
	scratch_load_b128 v[224:227], off, off offset:776 ; 16-byte Folded Reload
	s_and_b32 s4, s7, s8
	s_load_b64 s[6:7], s[0:1], 0x28
	s_and_b32 s0, s4, s3
	s_delay_alu instid0(SALU_CYCLE_1) | instskip(NEXT) | instid1(VALU_DEP_1)
	v_cndmask_b32_e64 v204, v204, 21, s0
	v_cmp_eq_u32_e64 s3, 0, v204
	s_waitcnt vmcnt(0)
	v_cmp_eq_f64_e64 s9, 0, v[224:225]
	v_cmp_eq_f64_e64 s10, 0, v[226:227]
	scratch_load_b128 v[224:227], off, off offset:792 ; 16-byte Folded Reload
	s_and_b32 s4, s9, s10
	s_delay_alu instid0(SALU_CYCLE_1) | instskip(NEXT) | instid1(SALU_CYCLE_1)
	s_and_b32 s3, s4, s3
	v_cndmask_b32_e64 v206, v204, 22, s3
	v_lshlrev_b64 v[204:205], 2, v[230:231]
	s_delay_alu instid0(VALU_DEP_2)
	v_cmp_eq_u32_e64 s5, 0, v206
	s_waitcnt vmcnt(0)
	v_cmp_eq_f64_e64 s11, 0, v[224:225]
	v_cmp_eq_f64_e64 s12, 0, v[226:227]
	scratch_load_b128 v[224:227], off, off offset:808 ; 16-byte Folded Reload
	s_and_b32 s8, s11, s12
	s_delay_alu instid0(SALU_CYCLE_1)
	s_and_b32 s5, s8, s5
	s_waitcnt vmcnt(0)
	v_cmp_eq_f64_e32 vcc_lo, 0, v[224:225]
	v_cmp_eq_f64_e64 s2, 0, v[226:227]
	scratch_load_b128 v[224:227], off, off offset:824 ; 16-byte Folded Reload
	s_and_b32 s2, vcc_lo, s2
	s_waitcnt vmcnt(0)
	v_cmp_eq_f64_e64 s0, 0, v[224:225]
	v_cmp_eq_f64_e64 s1, 0, v[226:227]
	scratch_load_b128 v[224:227], off, off offset:840 ; 16-byte Folded Reload
	s_and_b32 s0, s0, s1
	s_waitcnt vmcnt(0)
	v_cmp_eq_f64_e64 s4, 0, v[226:227]
	scratch_load_b128 v[226:229], off, off offset:856 ; 16-byte Folded Reload
	v_cmp_eq_f64_e64 s3, 0, v[224:225]
	s_waitcnt lgkmcnt(0)
	v_add_co_u32 v224, s6, s6, v204
	s_delay_alu instid0(VALU_DEP_1) | instskip(SKIP_3) | instid1(VALU_DEP_1)
	v_add_co_ci_u32_e64 v225, s6, s7, v205, s6
	v_cndmask_b32_e64 v204, v206, 23, s5
	global_load_b32 v205, v[224:225], off
	v_cmp_eq_u32_e64 s7, 0, v204
	s_and_b32 s2, s2, s7
	s_delay_alu instid0(SALU_CYCLE_1) | instskip(NEXT) | instid1(VALU_DEP_1)
	v_cndmask_b32_e64 v204, v204, 24, s2
	v_cmp_eq_u32_e64 s7, 0, v204
	s_delay_alu instid0(VALU_DEP_1) | instskip(NEXT) | instid1(SALU_CYCLE_1)
	s_and_b32 s0, s0, s7
	v_cndmask_b32_e64 v204, v204, 25, s0
	s_delay_alu instid0(VALU_DEP_1)
	v_cmp_eq_u32_e64 s7, 0, v204
	s_and_b32 s3, s3, s4
	s_delay_alu instid0(VALU_DEP_1) | instid1(SALU_CYCLE_1)
	s_and_b32 s3, s3, s7
	s_delay_alu instid0(SALU_CYCLE_1) | instskip(NEXT) | instid1(VALU_DEP_1)
	v_cndmask_b32_e64 v204, v204, 26, s3
	v_cmp_eq_u32_e64 s7, 0, v204
	s_waitcnt vmcnt(1)
	v_cmp_eq_f64_e64 s5, 0, v[226:227]
	v_cmp_eq_f64_e64 s6, 0, v[228:229]
	scratch_load_b128 v[226:229], off, off offset:872 ; 16-byte Folded Reload
	s_and_b32 s5, s5, s6
	s_delay_alu instid0(SALU_CYCLE_1) | instskip(NEXT) | instid1(SALU_CYCLE_1)
	s_and_b32 s5, s5, s7
	v_cndmask_b32_e64 v204, v204, 27, s5
	s_delay_alu instid0(VALU_DEP_1)
	v_cmp_eq_u32_e64 s7, 0, v204
	s_waitcnt vmcnt(0)
	v_cmp_eq_f64_e32 vcc_lo, 0, v[226:227]
	v_cmp_eq_f64_e64 s2, 0, v[228:229]
	scratch_load_b128 v[226:229], off, off offset:888 ; 16-byte Folded Reload
	s_and_b32 s2, vcc_lo, s2
	s_delay_alu instid0(SALU_CYCLE_1) | instskip(NEXT) | instid1(SALU_CYCLE_1)
	s_and_b32 s2, s2, s7
	v_cndmask_b32_e64 v204, v204, 28, s2
	s_delay_alu instid0(VALU_DEP_1)
	v_cmp_eq_u32_e64 s7, 0, v204
	s_waitcnt vmcnt(0)
	v_cmp_eq_f64_e64 s0, 0, v[226:227]
	v_cmp_eq_f64_e64 s1, 0, v[228:229]
	scratch_load_b128 v[226:229], off, off offset:904 ; 16-byte Folded Reload
	s_and_b32 s0, s0, s1
	s_delay_alu instid0(SALU_CYCLE_1) | instskip(NEXT) | instid1(SALU_CYCLE_1)
	s_and_b32 s0, s0, s7
	v_cndmask_b32_e64 v204, v204, 29, s0
	s_delay_alu instid0(VALU_DEP_1)
	v_cmp_eq_u32_e64 s7, 0, v204
	s_waitcnt vmcnt(0)
	v_cmp_eq_f64_e64 s3, 0, v[226:227]
	v_cmp_eq_f64_e64 s4, 0, v[228:229]
	scratch_load_b128 v[226:229], off, off offset:920 ; 16-byte Folded Reload
	s_and_b32 s3, s3, s4
	s_delay_alu instid0(SALU_CYCLE_1) | instskip(NEXT) | instid1(SALU_CYCLE_1)
	s_and_b32 s3, s3, s7
	v_cndmask_b32_e64 v204, v204, 30, s3
	s_delay_alu instid0(VALU_DEP_1)
	v_cmp_eq_u32_e64 s7, 0, v204
	s_waitcnt vmcnt(0)
	v_cmp_eq_f64_e64 s5, 0, v[226:227]
	v_cmp_eq_f64_e64 s6, 0, v[228:229]
	scratch_load_b128 v[226:229], off, off offset:936 ; 16-byte Folded Reload
	s_and_b32 s5, s5, s6
	s_delay_alu instid0(SALU_CYCLE_1) | instskip(NEXT) | instid1(SALU_CYCLE_1)
	s_and_b32 s5, s5, s7
	v_cndmask_b32_e64 v204, v204, 31, s5
	s_delay_alu instid0(VALU_DEP_1)
	v_cmp_eq_u32_e64 s7, 0, v204
	s_waitcnt vmcnt(0)
	v_cmp_eq_f64_e32 vcc_lo, 0, v[226:227]
	v_cmp_eq_f64_e64 s2, 0, v[228:229]
	scratch_load_b128 v[226:229], off, off offset:952 ; 16-byte Folded Reload
	s_and_b32 s2, vcc_lo, s2
	s_delay_alu instid0(SALU_CYCLE_1) | instskip(NEXT) | instid1(SALU_CYCLE_1)
	s_and_b32 s2, s2, s7
	v_cndmask_b32_e64 v204, v204, 32, s2
	s_delay_alu instid0(VALU_DEP_1)
	v_cmp_eq_u32_e64 s7, 0, v204
	s_waitcnt vmcnt(0)
	v_cmp_eq_f64_e64 s0, 0, v[226:227]
	v_cmp_eq_f64_e64 s1, 0, v[228:229]
	scratch_load_b128 v[226:229], off, off offset:968 ; 16-byte Folded Reload
	s_and_b32 s0, s0, s1
	s_delay_alu instid0(SALU_CYCLE_1) | instskip(NEXT) | instid1(SALU_CYCLE_1)
	s_and_b32 s0, s0, s7
	v_cndmask_b32_e64 v204, v204, 33, s0
	s_delay_alu instid0(VALU_DEP_1)
	v_cmp_eq_u32_e64 s7, 0, v204
	s_waitcnt vmcnt(0)
	v_cmp_eq_f64_e64 s3, 0, v[226:227]
	v_cmp_eq_f64_e64 s4, 0, v[228:229]
	scratch_load_b128 v[226:229], off, off offset:984 ; 16-byte Folded Reload
	s_and_b32 s3, s3, s4
	s_delay_alu instid0(SALU_CYCLE_1) | instskip(NEXT) | instid1(SALU_CYCLE_1)
	s_and_b32 s3, s3, s7
	v_cndmask_b32_e64 v204, v204, 34, s3
	s_delay_alu instid0(VALU_DEP_1)
	;; [unrolled: 40-line block ×3, first 2 shown]
	v_cmp_eq_u32_e64 s7, 0, v204
	s_waitcnt vmcnt(0)
	v_cmp_eq_f64_e64 s5, 0, v[226:227]
	v_cmp_eq_f64_e64 s6, 0, v[228:229]
	scratch_load_b128 v[226:229], off, off offset:1064 ; 16-byte Folded Reload
	s_and_b32 s5, s5, s6
	v_cmp_eq_f64_e64 s6, 0, v[234:235]
	s_and_b32 s5, s5, s7
	s_delay_alu instid0(SALU_CYCLE_1) | instskip(SKIP_1) | instid1(VALU_DEP_2)
	v_cndmask_b32_e64 v204, v204, 39, s5
	v_cmp_eq_f64_e64 s5, 0, v[232:233]
	v_cmp_eq_u32_e64 s7, 0, v204
	s_delay_alu instid0(VALU_DEP_2)
	s_and_b32 s5, s5, s6
	v_cmp_eq_f64_e64 s6, 0, v[250:251]
	s_waitcnt vmcnt(0)
	v_cmp_eq_f64_e32 vcc_lo, 0, v[226:227]
	v_cmp_eq_f64_e64 s2, 0, v[228:229]
	scratch_load_b128 v[226:229], off, off offset:1080 ; 16-byte Folded Reload
	s_and_b32 s2, vcc_lo, s2
	v_cmp_eq_f64_e32 vcc_lo, 0, v[236:237]
	s_and_b32 s2, s2, s7
	s_delay_alu instid0(SALU_CYCLE_1) | instskip(SKIP_1) | instid1(VALU_DEP_2)
	v_cndmask_b32_e64 v204, v204, 40, s2
	v_cmp_eq_f64_e64 s2, 0, v[238:239]
	v_cmp_eq_u32_e64 s7, 0, v204
	s_delay_alu instid0(VALU_DEP_2)
	s_and_b32 s2, vcc_lo, s2
	v_cmp_eq_f64_e32 vcc_lo, 0, v[252:253]
	s_waitcnt vmcnt(0)
	v_cmp_eq_f64_e64 s0, 0, v[226:227]
	v_cmp_eq_f64_e64 s1, 0, v[228:229]
	scratch_load_b128 v[226:229], off, off offset:1096 ; 16-byte Folded Reload
	s_and_b32 s0, s0, s1
	v_cmp_eq_f64_e64 s1, 0, v[242:243]
	s_and_b32 s0, s0, s7
	s_delay_alu instid0(SALU_CYCLE_1) | instskip(SKIP_1) | instid1(VALU_DEP_2)
	v_cndmask_b32_e64 v204, v204, 41, s0
	v_cmp_eq_f64_e64 s0, 0, v[240:241]
	v_cmp_eq_u32_e64 s7, 0, v204
	s_delay_alu instid0(VALU_DEP_2) | instskip(SKIP_4) | instid1(VALU_DEP_1)
	s_and_b32 s0, s0, s1
	v_cmp_eq_f64_e64 s1, 0, v[210:211]
	s_waitcnt vmcnt(0)
	v_cmp_eq_f64_e64 s3, 0, v[226:227]
	v_cmp_eq_f64_e64 s4, 0, v[228:229]
	s_and_b32 s3, s3, s4
	v_cmp_eq_f64_e64 s4, 0, v[246:247]
	s_and_b32 s3, s3, s7
	s_delay_alu instid0(SALU_CYCLE_1) | instskip(SKIP_1) | instid1(VALU_DEP_2)
	v_cndmask_b32_e64 v204, v204, 42, s3
	v_cmp_eq_f64_e64 s3, 0, v[244:245]
	v_cmp_eq_u32_e64 s7, 0, v204
	s_delay_alu instid0(VALU_DEP_1) | instskip(NEXT) | instid1(SALU_CYCLE_1)
	s_and_b32 s5, s5, s7
	v_cndmask_b32_e64 v204, v204, 43, s5
	v_cmp_eq_f64_e64 s5, 0, v[248:249]
	s_delay_alu instid0(VALU_DEP_2) | instskip(NEXT) | instid1(VALU_DEP_1)
	v_cmp_eq_u32_e64 s7, 0, v204
	s_and_b32 s2, s2, s7
	s_delay_alu instid0(SALU_CYCLE_1) | instskip(SKIP_1) | instid1(VALU_DEP_2)
	v_cndmask_b32_e64 v204, v204, 44, s2
	v_cmp_eq_f64_e64 s2, 0, v[254:255]
	v_cmp_eq_u32_e64 s7, 0, v204
	s_delay_alu instid0(VALU_DEP_1) | instskip(NEXT) | instid1(SALU_CYCLE_1)
	s_and_b32 s0, s0, s7
	v_cndmask_b32_e64 v204, v204, 45, s0
	v_cmp_eq_f64_e64 s0, 0, v[208:209]
	s_and_b32 s3, s3, s4
	v_cmp_eq_f64_e64 s4, 0, v[214:215]
	s_delay_alu instid0(VALU_DEP_3) | instskip(NEXT) | instid1(VALU_DEP_1)
	v_cmp_eq_u32_e64 s7, 0, v204
	s_and_b32 s3, s3, s7
	s_delay_alu instid0(SALU_CYCLE_1) | instskip(SKIP_3) | instid1(VALU_DEP_3)
	v_cndmask_b32_e64 v204, v204, 46, s3
	v_cmp_eq_f64_e64 s3, 0, v[212:213]
	s_and_b32 s5, s5, s6
	v_cmp_eq_f64_e64 s6, 0, v[218:219]
	v_cmp_eq_u32_e64 s7, 0, v204
	s_delay_alu instid0(VALU_DEP_1) | instskip(NEXT) | instid1(SALU_CYCLE_1)
	s_and_b32 s5, s5, s7
	v_cndmask_b32_e64 v204, v204, 47, s5
	v_cmp_eq_f64_e64 s5, 0, v[216:217]
	s_and_b32 s2, vcc_lo, s2
	v_cmp_eq_f64_e32 vcc_lo, 0, v[220:221]
	s_delay_alu instid0(VALU_DEP_3) | instskip(NEXT) | instid1(VALU_DEP_1)
	v_cmp_eq_u32_e64 s7, 0, v204
	s_and_b32 s2, s2, s7
	s_delay_alu instid0(SALU_CYCLE_1) | instskip(SKIP_2) | instid1(VALU_DEP_2)
	v_cndmask_b32_e64 v204, v204, 48, s2
	v_cmp_eq_f64_e64 s2, 0, v[222:223]
	s_and_b32 s0, s0, s1
	v_cmp_eq_u32_e64 s7, 0, v204
	s_delay_alu instid0(VALU_DEP_1) | instskip(NEXT) | instid1(SALU_CYCLE_1)
	s_and_b32 s0, s0, s7
	v_cndmask_b32_e64 v204, v204, 49, s0
	s_and_b32 s1, s3, s4
	s_delay_alu instid0(VALU_DEP_1) | instskip(NEXT) | instid1(VALU_DEP_1)
	v_cmp_eq_u32_e64 s0, 0, v204
	s_and_b32 s0, s1, s0
	s_delay_alu instid0(SALU_CYCLE_1) | instskip(SKIP_1) | instid1(VALU_DEP_1)
	v_cndmask_b32_e64 v204, v204, 50, s0
	s_and_b32 s1, s5, s6
	v_cmp_eq_u32_e64 s0, 0, v204
	s_delay_alu instid0(VALU_DEP_1) | instskip(NEXT) | instid1(SALU_CYCLE_1)
	s_and_b32 s0, s1, s0
	v_cndmask_b32_e64 v204, v204, 51, s0
	s_and_b32 s1, vcc_lo, s2
	v_cmp_eq_u32_e32 vcc_lo, 0, v205
	s_delay_alu instid0(VALU_DEP_2) | instskip(NEXT) | instid1(VALU_DEP_1)
	v_cmp_eq_u32_e64 s0, 0, v204
	s_and_b32 s0, s1, s0
	s_delay_alu instid0(SALU_CYCLE_1) | instskip(NEXT) | instid1(VALU_DEP_1)
	v_cndmask_b32_e64 v208, v204, 52, s0
	v_cmp_ne_u32_e64 s0, 0, v208
	s_delay_alu instid0(VALU_DEP_1) | instskip(NEXT) | instid1(SALU_CYCLE_1)
	s_and_b32 s0, vcc_lo, s0
	s_and_b32 exec_lo, exec_lo, s0
	s_cbranch_execz .LBB103_472
; %bb.471:
	v_add_nc_u32_e32 v204, s13, v208
	global_store_b32 v[224:225], v204, off
.LBB103_472:
	s_or_b32 exec_lo, exec_lo, s14
	s_clause 0x1
	scratch_load_b64 v[202:203], off, off offset:424
	scratch_load_b128 v[204:207], off, off offset:16
	s_waitcnt vmcnt(0)
	global_store_b128 v[202:203], v[204:207], off
	s_clause 0x1
	scratch_load_b64 v[202:203], off, off offset:432
	scratch_load_b128 v[204:207], off, off
	s_waitcnt vmcnt(0)
	global_store_b128 v[202:203], v[204:207], off
	scratch_load_b64 v[202:203], off, off offset:416 ; 8-byte Folded Reload
	s_waitcnt vmcnt(0)
	global_store_b128 v[202:203], v[196:199], off
	scratch_load_b64 v[196:197], off, off offset:408 ; 8-byte Folded Reload
	;; [unrolled: 3-line block ×48, first 2 shown]
	s_waitcnt vmcnt(0)
	s_clause 0x1
	global_store_b128 v[12:13], v[8:11], off
	global_store_b128 v[200:201], v[4:7], off
	scratch_load_b64 v[4:5], off, off offset:32 ; 8-byte Folded Reload
	s_waitcnt vmcnt(0)
	global_store_b128 v[4:5], v[0:3], off
.LBB103_473:
	s_nop 0
	s_sendmsg sendmsg(MSG_DEALLOC_VGPRS)
	s_endpgm
	.section	.rodata,"a",@progbits
	.p2align	6, 0x0
	.amdhsa_kernel _ZN9rocsolver6v33100L23getf2_npvt_small_kernelILi52E19rocblas_complex_numIdEiiPKPS3_EEvT1_T3_lS7_lPT2_S7_S7_
		.amdhsa_group_segment_fixed_size 0
		.amdhsa_private_segment_fixed_size 1116
		.amdhsa_kernarg_size 312
		.amdhsa_user_sgpr_count 14
		.amdhsa_user_sgpr_dispatch_ptr 0
		.amdhsa_user_sgpr_queue_ptr 0
		.amdhsa_user_sgpr_kernarg_segment_ptr 1
		.amdhsa_user_sgpr_dispatch_id 0
		.amdhsa_user_sgpr_private_segment_size 0
		.amdhsa_wavefront_size32 1
		.amdhsa_uses_dynamic_stack 0
		.amdhsa_enable_private_segment 1
		.amdhsa_system_sgpr_workgroup_id_x 1
		.amdhsa_system_sgpr_workgroup_id_y 1
		.amdhsa_system_sgpr_workgroup_id_z 0
		.amdhsa_system_sgpr_workgroup_info 0
		.amdhsa_system_vgpr_workitem_id 1
		.amdhsa_next_free_vgpr 256
		.amdhsa_next_free_sgpr 18
		.amdhsa_reserve_vcc 1
		.amdhsa_float_round_mode_32 0
		.amdhsa_float_round_mode_16_64 0
		.amdhsa_float_denorm_mode_32 3
		.amdhsa_float_denorm_mode_16_64 3
		.amdhsa_dx10_clamp 1
		.amdhsa_ieee_mode 1
		.amdhsa_fp16_overflow 0
		.amdhsa_workgroup_processor_mode 1
		.amdhsa_memory_ordered 1
		.amdhsa_forward_progress 0
		.amdhsa_shared_vgpr_count 0
		.amdhsa_exception_fp_ieee_invalid_op 0
		.amdhsa_exception_fp_denorm_src 0
		.amdhsa_exception_fp_ieee_div_zero 0
		.amdhsa_exception_fp_ieee_overflow 0
		.amdhsa_exception_fp_ieee_underflow 0
		.amdhsa_exception_fp_ieee_inexact 0
		.amdhsa_exception_int_div_zero 0
	.end_amdhsa_kernel
	.section	.text._ZN9rocsolver6v33100L23getf2_npvt_small_kernelILi52E19rocblas_complex_numIdEiiPKPS3_EEvT1_T3_lS7_lPT2_S7_S7_,"axG",@progbits,_ZN9rocsolver6v33100L23getf2_npvt_small_kernelILi52E19rocblas_complex_numIdEiiPKPS3_EEvT1_T3_lS7_lPT2_S7_S7_,comdat
.Lfunc_end103:
	.size	_ZN9rocsolver6v33100L23getf2_npvt_small_kernelILi52E19rocblas_complex_numIdEiiPKPS3_EEvT1_T3_lS7_lPT2_S7_S7_, .Lfunc_end103-_ZN9rocsolver6v33100L23getf2_npvt_small_kernelILi52E19rocblas_complex_numIdEiiPKPS3_EEvT1_T3_lS7_lPT2_S7_S7_
                                        ; -- End function
	.section	.AMDGPU.csdata,"",@progbits
; Kernel info:
; codeLenInByte = 146556
; NumSgprs: 20
; NumVgprs: 256
; ScratchSize: 1116
; MemoryBound: 1
; FloatMode: 240
; IeeeMode: 1
; LDSByteSize: 0 bytes/workgroup (compile time only)
; SGPRBlocks: 2
; VGPRBlocks: 31
; NumSGPRsForWavesPerEU: 20
; NumVGPRsForWavesPerEU: 256
; Occupancy: 5
; WaveLimiterHint : 1
; COMPUTE_PGM_RSRC2:SCRATCH_EN: 1
; COMPUTE_PGM_RSRC2:USER_SGPR: 14
; COMPUTE_PGM_RSRC2:TRAP_HANDLER: 0
; COMPUTE_PGM_RSRC2:TGID_X_EN: 1
; COMPUTE_PGM_RSRC2:TGID_Y_EN: 1
; COMPUTE_PGM_RSRC2:TGID_Z_EN: 0
; COMPUTE_PGM_RSRC2:TIDIG_COMP_CNT: 1
	.section	.text._ZN9rocsolver6v33100L18getf2_small_kernelILi53E19rocblas_complex_numIdEiiPKPS3_EEvT1_T3_lS7_lPS7_llPT2_S7_S7_S9_l,"axG",@progbits,_ZN9rocsolver6v33100L18getf2_small_kernelILi53E19rocblas_complex_numIdEiiPKPS3_EEvT1_T3_lS7_lPS7_llPT2_S7_S7_S9_l,comdat
	.globl	_ZN9rocsolver6v33100L18getf2_small_kernelILi53E19rocblas_complex_numIdEiiPKPS3_EEvT1_T3_lS7_lPS7_llPT2_S7_S7_S9_l ; -- Begin function _ZN9rocsolver6v33100L18getf2_small_kernelILi53E19rocblas_complex_numIdEiiPKPS3_EEvT1_T3_lS7_lPS7_llPT2_S7_S7_S9_l
	.p2align	8
	.type	_ZN9rocsolver6v33100L18getf2_small_kernelILi53E19rocblas_complex_numIdEiiPKPS3_EEvT1_T3_lS7_lPS7_llPT2_S7_S7_S9_l,@function
_ZN9rocsolver6v33100L18getf2_small_kernelILi53E19rocblas_complex_numIdEiiPKPS3_EEvT1_T3_lS7_lPS7_llPT2_S7_S7_S9_l: ; @_ZN9rocsolver6v33100L18getf2_small_kernelILi53E19rocblas_complex_numIdEiiPKPS3_EEvT1_T3_lS7_lPS7_llPT2_S7_S7_S9_l
; %bb.0:
	s_clause 0x1
	s_load_b32 s2, s[0:1], 0x6c
	s_load_b64 s[12:13], s[0:1], 0x48
	v_bfe_u32 v212, v0, 10, 10
	s_waitcnt lgkmcnt(0)
	s_lshr_b32 s2, s2, 16
	s_delay_alu instid0(VALU_DEP_1) | instid1(SALU_CYCLE_1)
	v_mad_u64_u32 v[216:217], null, s15, s2, v[212:213]
	s_mov_b32 s2, exec_lo
	s_delay_alu instid0(VALU_DEP_1)
	v_cmpx_gt_i32_e64 s12, v216
	s_cbranch_execnz .LBB104_1
; %bb.1117:
	s_getpc_b64 s[16:17]
.Lpost_getpc12:
	s_add_u32 s16, s16, (.LBB104_1116-.Lpost_getpc12)&4294967295
	s_addc_u32 s17, s17, (.LBB104_1116-.Lpost_getpc12)>>32
	s_setpc_b64 s[16:17]
.LBB104_1:
	s_clause 0x1
	s_load_b128 s[4:7], s[0:1], 0x8
	s_load_b128 s[8:11], s[0:1], 0x50
	v_ashrrev_i32_e32 v217, 31, v216
	v_mov_b32_e32 v218, 0
	v_mov_b32_e32 v219, 0
	s_delay_alu instid0(VALU_DEP_3) | instskip(SKIP_1) | instid1(VALU_DEP_1)
	v_lshlrev_b64 v[1:2], 3, v[216:217]
	s_waitcnt lgkmcnt(0)
	v_add_co_u32 v1, vcc_lo, s4, v1
	s_delay_alu instid0(VALU_DEP_2)
	v_add_co_ci_u32_e32 v2, vcc_lo, s5, v2, vcc_lo
	s_cmp_eq_u64 s[8:9], 0
	s_cselect_b32 s4, -1, 0
	global_load_b64 v[1:2], v[1:2], off
	s_and_b32 vcc_lo, exec_lo, s4
	s_cbranch_vccnz .LBB104_3
; %bb.2:
	v_mul_lo_u32 v5, v217, s10
	v_mul_lo_u32 v6, v216, s11
	v_mad_u64_u32 v[3:4], null, v216, s10, 0
	s_delay_alu instid0(VALU_DEP_1) | instskip(NEXT) | instid1(VALU_DEP_1)
	v_add3_u32 v4, v4, v6, v5
	v_lshlrev_b64 v[3:4], 2, v[3:4]
	s_delay_alu instid0(VALU_DEP_1) | instskip(NEXT) | instid1(VALU_DEP_2)
	v_add_co_u32 v218, vcc_lo, s8, v3
	v_add_co_ci_u32_e32 v219, vcc_lo, s9, v4, vcc_lo
.LBB104_3:
	s_clause 0x1
	s_load_b32 s8, s[0:1], 0x18
	s_load_b32 s5, s[0:1], 0x0
	v_and_b32_e32 v227, 0x3ff, v0
	s_lshl_b64 s[2:3], s[6:7], 4
	s_waitcnt vmcnt(0)
	v_add_co_u32 v223, vcc_lo, v1, s2
	v_add_co_ci_u32_e32 v224, vcc_lo, s3, v2, vcc_lo
	v_lshlrev_b32_e32 v215, 4, v227
	s_waitcnt lgkmcnt(0)
	v_add3_u32 v3, s8, s8, v227
	s_ashr_i32 s9, s8, 31
	s_max_i32 s2, s5, 53
	s_lshl_b64 s[10:11], s[8:9], 4
	s_cmp_lt_i32 s5, 2
	v_add_nc_u32_e32 v5, s8, v3
	v_ashrrev_i32_e32 v4, 31, v3
	s_delay_alu instid0(VALU_DEP_2) | instskip(NEXT) | instid1(VALU_DEP_2)
	v_add_nc_u32_e32 v0, s8, v5
	v_lshlrev_b64 v[3:4], 4, v[3:4]
	v_ashrrev_i32_e32 v6, 31, v5
	s_delay_alu instid0(VALU_DEP_3) | instskip(SKIP_1) | instid1(VALU_DEP_4)
	v_add_nc_u32_e32 v2, s8, v0
	v_ashrrev_i32_e32 v1, 31, v0
	v_add_co_u32 v7, vcc_lo, v223, v3
	v_add_co_ci_u32_e32 v8, vcc_lo, v224, v4, vcc_lo
	s_delay_alu instid0(VALU_DEP_4) | instskip(SKIP_3) | instid1(VALU_DEP_4)
	v_add_nc_u32_e32 v4, s8, v2
	v_lshlrev_b64 v[5:6], 4, v[5:6]
	v_ashrrev_i32_e32 v3, 31, v2
	v_lshlrev_b64 v[0:1], 4, v[0:1]
	v_add_nc_u32_e32 v11, s8, v4
	s_delay_alu instid0(VALU_DEP_4) | instskip(SKIP_1) | instid1(VALU_DEP_3)
	v_add_co_u32 v9, vcc_lo, v223, v5
	v_ashrrev_i32_e32 v5, 31, v4
	v_add_nc_u32_e32 v13, s8, v11
	v_lshlrev_b64 v[2:3], 4, v[2:3]
	v_ashrrev_i32_e32 v12, 31, v11
	v_add_co_ci_u32_e32 v10, vcc_lo, v224, v6, vcc_lo
	s_delay_alu instid0(VALU_DEP_4) | instskip(SKIP_3) | instid1(VALU_DEP_4)
	v_add_nc_u32_e32 v15, s8, v13
	v_add_co_u32 v0, vcc_lo, v223, v0
	v_lshlrev_b64 v[4:5], 4, v[4:5]
	v_ashrrev_i32_e32 v14, 31, v13
	v_add_nc_u32_e32 v17, s8, v15
	v_add_co_ci_u32_e32 v1, vcc_lo, v224, v1, vcc_lo
	v_add_co_u32 v2, vcc_lo, v223, v2
	s_delay_alu instid0(VALU_DEP_3) | instskip(SKIP_3) | instid1(VALU_DEP_4)
	v_add_nc_u32_e32 v19, s8, v17
	v_lshlrev_b64 v[11:12], 4, v[11:12]
	v_ashrrev_i32_e32 v16, 31, v15
	v_add_co_ci_u32_e32 v3, vcc_lo, v224, v3, vcc_lo
	v_add_nc_u32_e32 v21, s8, v19
	v_add_co_u32 v4, vcc_lo, v223, v4
	v_lshlrev_b64 v[13:14], 4, v[13:14]
	v_ashrrev_i32_e32 v18, 31, v17
	s_delay_alu instid0(VALU_DEP_4) | instskip(SKIP_2) | instid1(VALU_DEP_3)
	v_add_nc_u32_e32 v23, s8, v21
	v_add_co_ci_u32_e32 v5, vcc_lo, v224, v5, vcc_lo
	v_add_co_u32 v11, vcc_lo, v223, v11
	v_add_nc_u32_e32 v25, s8, v23
	v_lshlrev_b64 v[15:16], 4, v[15:16]
	v_ashrrev_i32_e32 v20, 31, v19
	v_add_co_ci_u32_e32 v12, vcc_lo, v224, v12, vcc_lo
	s_delay_alu instid0(VALU_DEP_4) | instskip(SKIP_3) | instid1(VALU_DEP_4)
	v_add_nc_u32_e32 v27, s8, v25
	v_add_co_u32 v13, vcc_lo, v223, v13
	v_lshlrev_b64 v[17:18], 4, v[17:18]
	v_ashrrev_i32_e32 v22, 31, v21
	v_add_nc_u32_e32 v29, s8, v27
	v_add_co_ci_u32_e32 v14, vcc_lo, v224, v14, vcc_lo
	v_add_co_u32 v15, vcc_lo, v223, v15
	s_delay_alu instid0(VALU_DEP_3) | instskip(SKIP_3) | instid1(VALU_DEP_4)
	v_add_nc_u32_e32 v31, s8, v29
	v_lshlrev_b64 v[19:20], 4, v[19:20]
	v_ashrrev_i32_e32 v24, 31, v23
	v_add_co_ci_u32_e32 v16, vcc_lo, v224, v16, vcc_lo
	v_add_nc_u32_e32 v33, s8, v31
	v_add_co_u32 v17, vcc_lo, v223, v17
	v_lshlrev_b64 v[21:22], 4, v[21:22]
	v_ashrrev_i32_e32 v26, 31, v25
	s_delay_alu instid0(VALU_DEP_4) | instskip(SKIP_2) | instid1(VALU_DEP_3)
	v_add_nc_u32_e32 v35, s8, v33
	v_add_co_ci_u32_e32 v18, vcc_lo, v224, v18, vcc_lo
	v_add_co_u32 v19, vcc_lo, v223, v19
	;; [unrolled: 25-line block ×3, first 2 shown]
	v_add_nc_u32_e32 v49, s8, v47
	v_lshlrev_b64 v[31:32], 4, v[31:32]
	v_ashrrev_i32_e32 v36, 31, v35
	v_add_co_ci_u32_e32 v28, vcc_lo, v224, v28, vcc_lo
	s_delay_alu instid0(VALU_DEP_4)
	v_add_nc_u32_e32 v51, s8, v49
	v_add_co_u32 v29, vcc_lo, v223, v29
	v_lshlrev_b64 v[33:34], 4, v[33:34]
	v_ashrrev_i32_e32 v38, 31, v37
	v_add_co_ci_u32_e32 v30, vcc_lo, v224, v30, vcc_lo
	v_add_nc_u32_e32 v53, s8, v51
	v_add_co_u32 v31, vcc_lo, v223, v31
	v_lshlrev_b64 v[35:36], 4, v[35:36]
	v_ashrrev_i32_e32 v40, 31, v39
	v_add_co_ci_u32_e32 v32, vcc_lo, v224, v32, vcc_lo
	v_add_co_u32 v33, vcc_lo, v223, v33
	v_lshlrev_b64 v[37:38], 4, v[37:38]
	v_ashrrev_i32_e32 v42, 31, v41
	v_add_nc_u32_e32 v55, s8, v53
	v_add_co_ci_u32_e32 v34, vcc_lo, v224, v34, vcc_lo
	v_add_co_u32 v35, vcc_lo, v223, v35
	v_lshlrev_b64 v[39:40], 4, v[39:40]
	v_ashrrev_i32_e32 v44, 31, v43
	v_add_co_ci_u32_e32 v36, vcc_lo, v224, v36, vcc_lo
	v_add_co_u32 v37, vcc_lo, v223, v37
	v_lshlrev_b64 v[41:42], 4, v[41:42]
	v_add_nc_u32_e32 v57, s8, v55
	v_ashrrev_i32_e32 v46, 31, v45
	v_add_co_ci_u32_e32 v38, vcc_lo, v224, v38, vcc_lo
	v_add_co_u32 v39, vcc_lo, v223, v39
	v_lshlrev_b64 v[43:44], 4, v[43:44]
	v_ashrrev_i32_e32 v48, 31, v47
	v_add_co_ci_u32_e32 v40, vcc_lo, v224, v40, vcc_lo
	v_add_nc_u32_e32 v59, s8, v57
	v_add_co_u32 v41, vcc_lo, v223, v41
	v_lshlrev_b64 v[45:46], 4, v[45:46]
	v_ashrrev_i32_e32 v50, 31, v49
	v_add_co_ci_u32_e32 v42, vcc_lo, v224, v42, vcc_lo
	v_add_co_u32 v43, vcc_lo, v223, v43
	v_lshlrev_b64 v[47:48], 4, v[47:48]
	v_ashrrev_i32_e32 v52, 31, v51
	v_add_nc_u32_e32 v61, s8, v59
	v_add_co_ci_u32_e32 v44, vcc_lo, v224, v44, vcc_lo
	v_add_co_u32 v45, vcc_lo, v223, v45
	v_lshlrev_b64 v[49:50], 4, v[49:50]
	v_ashrrev_i32_e32 v54, 31, v53
	v_add_co_ci_u32_e32 v46, vcc_lo, v224, v46, vcc_lo
	v_add_co_u32 v47, vcc_lo, v223, v47
	v_lshlrev_b64 v[51:52], 4, v[51:52]
	v_add_nc_u32_e32 v63, s8, v61
	v_ashrrev_i32_e32 v56, 31, v55
	v_add_co_ci_u32_e32 v48, vcc_lo, v224, v48, vcc_lo
	;; [unrolled: 23-line block ×3, first 2 shown]
	v_add_co_u32 v59, vcc_lo, v223, v59
	v_lshlrev_b64 v[63:64], 4, v[63:64]
	v_ashrrev_i32_e32 v68, 31, v67
	v_add_co_ci_u32_e32 v60, vcc_lo, v224, v60, vcc_lo
	v_add_nc_u32_e32 v71, s8, v69
	v_add_co_u32 v61, vcc_lo, v223, v61
	v_lshlrev_b64 v[65:66], 4, v[65:66]
	v_ashrrev_i32_e32 v70, 31, v69
	v_add_co_ci_u32_e32 v62, vcc_lo, v224, v62, vcc_lo
	v_add_co_u32 v63, vcc_lo, v223, v63
	v_lshlrev_b64 v[67:68], 4, v[67:68]
	v_add_nc_u32_e32 v73, s8, v71
	v_add_co_ci_u32_e32 v64, vcc_lo, v224, v64, vcc_lo
	v_add_co_u32 v65, vcc_lo, v223, v65
	v_lshlrev_b64 v[69:70], 4, v[69:70]
	v_ashrrev_i32_e32 v72, 31, v71
	v_add_co_ci_u32_e32 v66, vcc_lo, v224, v66, vcc_lo
	v_add_co_u32 v67, vcc_lo, v223, v67
	v_ashrrev_i32_e32 v74, 31, v73
	v_add_nc_u32_e32 v75, s8, v73
	v_add_co_ci_u32_e32 v68, vcc_lo, v224, v68, vcc_lo
	v_lshlrev_b64 v[71:72], 4, v[71:72]
	v_add_co_u32 v213, vcc_lo, v223, v69
	v_add_co_ci_u32_e32 v214, vcc_lo, v224, v70, vcc_lo
	v_lshlrev_b64 v[69:70], 4, v[73:74]
	v_ashrrev_i32_e32 v76, 31, v75
	v_add_nc_u32_e32 v73, s8, v75
	v_add_co_u32 v220, vcc_lo, v223, v71
	v_add_co_ci_u32_e32 v221, vcc_lo, v224, v72, vcc_lo
	s_delay_alu instid0(VALU_DEP_4) | instskip(NEXT) | instid1(VALU_DEP_4)
	v_lshlrev_b64 v[71:72], 4, v[75:76]
	v_ashrrev_i32_e32 v74, 31, v73
	v_add_nc_u32_e32 v75, s8, v73
	v_add_co_u32 v225, vcc_lo, v223, v69
	v_add_co_ci_u32_e32 v226, vcc_lo, v224, v70, vcc_lo
	s_delay_alu instid0(VALU_DEP_4) | instskip(NEXT) | instid1(VALU_DEP_4)
	;; [unrolled: 6-line block ×11, first 2 shown]
	v_lshlrev_b64 v[71:72], 4, v[75:76]
	v_add_nc_u32_e32 v75, s8, v73
	v_ashrrev_i32_e32 v74, 31, v73
	v_add_co_u32 v246, vcc_lo, v223, v69
	v_add_co_ci_u32_e32 v247, vcc_lo, v224, v70, vcc_lo
	s_delay_alu instid0(VALU_DEP_4) | instskip(NEXT) | instid1(VALU_DEP_4)
	v_ashrrev_i32_e32 v76, 31, v75
	v_lshlrev_b64 v[69:70], 4, v[73:74]
	v_add_co_u32 v248, vcc_lo, v223, v71
	v_add_co_ci_u32_e32 v249, vcc_lo, v224, v72, vcc_lo
	s_delay_alu instid0(VALU_DEP_4) | instskip(SKIP_3) | instid1(VALU_DEP_4)
	v_lshlrev_b64 v[71:72], 4, v[75:76]
	v_add_nc_u32_e32 v73, s8, v75
	v_add_co_u32 v250, vcc_lo, v223, v69
	v_add_co_ci_u32_e32 v251, vcc_lo, v224, v70, vcc_lo
	v_add_co_u32 v252, vcc_lo, v223, v71
	s_delay_alu instid0(VALU_DEP_4) | instskip(SKIP_3) | instid1(VALU_DEP_4)
	v_ashrrev_i32_e32 v74, 31, v73
	v_add_co_ci_u32_e32 v253, vcc_lo, v224, v72, vcc_lo
	v_add_co_u32 v71, vcc_lo, v223, v215
	v_add_co_ci_u32_e32 v72, vcc_lo, 0, v224, vcc_lo
	v_lshlrev_b64 v[69:70], 4, v[73:74]
	s_delay_alu instid0(VALU_DEP_3) | instskip(NEXT) | instid1(VALU_DEP_3)
	v_add_co_u32 v73, vcc_lo, v71, s10
	v_add_co_ci_u32_e32 v74, vcc_lo, s11, v72, vcc_lo
	s_delay_alu instid0(VALU_DEP_3) | instskip(NEXT) | instid1(VALU_DEP_4)
	v_add_co_u32 v254, vcc_lo, v223, v69
	v_add_co_ci_u32_e32 v255, vcc_lo, v224, v70, vcc_lo
	s_clause 0x1f
	global_load_b128 v[208:211], v[71:72], off
	global_load_b128 v[200:203], v[73:74], off
	global_load_b128 v[204:207], v[7:8], off
	global_load_b128 v[196:199], v[9:10], off
	global_load_b128 v[192:195], v[0:1], off
	global_load_b128 v[188:191], v[2:3], off
	global_load_b128 v[184:187], v[4:5], off
	global_load_b128 v[180:183], v[11:12], off
	global_load_b128 v[176:179], v[13:14], off
	global_load_b128 v[172:175], v[15:16], off
	global_load_b128 v[168:171], v[17:18], off
	global_load_b128 v[164:167], v[19:20], off
	global_load_b128 v[160:163], v[21:22], off
	global_load_b128 v[156:159], v[23:24], off
	global_load_b128 v[152:155], v[25:26], off
	global_load_b128 v[148:151], v[27:28], off
	global_load_b128 v[144:147], v[29:30], off
	global_load_b128 v[140:143], v[31:32], off
	global_load_b128 v[136:139], v[33:34], off
	global_load_b128 v[132:135], v[35:36], off
	global_load_b128 v[128:131], v[37:38], off
	global_load_b128 v[124:127], v[39:40], off
	global_load_b128 v[120:123], v[41:42], off
	global_load_b128 v[116:119], v[43:44], off
	global_load_b128 v[112:115], v[45:46], off
	global_load_b128 v[108:111], v[47:48], off
	global_load_b128 v[104:107], v[49:50], off
	global_load_b128 v[100:103], v[51:52], off
	global_load_b128 v[96:99], v[53:54], off
	global_load_b128 v[92:95], v[55:56], off
	global_load_b128 v[88:91], v[57:58], off
	global_load_b128 v[84:87], v[59:60], off
	s_clause 0x14
	global_load_b128 v[80:83], v[61:62], off
	global_load_b128 v[76:79], v[63:64], off
	;; [unrolled: 1-line block ×21, first 2 shown]
	v_mul_lo_u32 v220, s2, v212
	s_delay_alu instid0(VALU_DEP_1) | instskip(SKIP_2) | instid1(VALU_DEP_3)
	v_lshl_add_u32 v222, v220, 4, 0
	v_lshlrev_b32_e32 v226, 4, v220
	v_mov_b32_e32 v220, 0
	v_add_nc_u32_e32 v212, v222, v215
	s_waitcnt vmcnt(52)
	ds_store_2addr_b64 v212, v[208:209], v[210:211] offset1:1
	s_waitcnt vmcnt(0) lgkmcnt(0)
	s_barrier
	buffer_gl0_inv
	ds_load_2addr_b64 v[212:215], v222 offset1:1
	s_cbranch_scc1 .LBB104_6
; %bb.4:
	v_add3_u32 v221, v226, 0, 16
	v_mov_b32_e32 v220, 0
	s_mov_b32 s6, 1
	s_set_inst_prefetch_distance 0x1
	.p2align	6
.LBB104_5:                              ; =>This Inner Loop Header: Depth=1
	ds_load_2addr_b64 v[228:231], v221 offset1:1
	s_waitcnt lgkmcnt(1)
	v_cmp_gt_f64_e32 vcc_lo, 0, v[212:213]
	v_xor_b32_e32 v225, 0x80000000, v213
	v_cmp_gt_f64_e64 s2, 0, v[214:215]
	v_xor_b32_e32 v232, 0x80000000, v215
	v_add_nc_u32_e32 v221, 16, v221
	s_waitcnt lgkmcnt(0)
	v_cmp_gt_f64_e64 s3, 0, v[228:229]
	v_mov_b32_e32 v236, v228
	v_dual_mov_b32 v238, v230 :: v_dual_cndmask_b32 v233, v213, v225
	v_xor_b32_e32 v225, 0x80000000, v229
	v_cndmask_b32_e64 v235, v215, v232, s2
	v_xor_b32_e32 v232, 0x80000000, v231
	v_cndmask_b32_e64 v234, v214, v214, s2
	s_delay_alu instid0(VALU_DEP_4) | instskip(SKIP_1) | instid1(VALU_DEP_1)
	v_cndmask_b32_e64 v237, v229, v225, s3
	v_cmp_gt_f64_e64 s3, 0, v[230:231]
	v_cndmask_b32_e64 v239, v231, v232, s3
	v_cndmask_b32_e32 v232, v212, v212, vcc_lo
	s_delay_alu instid0(VALU_DEP_2) | instskip(NEXT) | instid1(VALU_DEP_2)
	v_add_f64 v[236:237], v[236:237], v[238:239]
	v_add_f64 v[232:233], v[232:233], v[234:235]
	s_delay_alu instid0(VALU_DEP_1)
	v_cmp_lt_f64_e32 vcc_lo, v[232:233], v[236:237]
	v_cndmask_b32_e32 v215, v215, v231, vcc_lo
	v_dual_cndmask_b32 v213, v213, v229 :: v_dual_cndmask_b32 v212, v212, v228
	v_cndmask_b32_e32 v214, v214, v230, vcc_lo
	v_cndmask_b32_e64 v220, v220, s6, vcc_lo
	s_add_i32 s6, s6, 1
	s_delay_alu instid0(SALU_CYCLE_1)
	s_cmp_eq_u32 s5, s6
	s_cbranch_scc0 .LBB104_5
.LBB104_6:
	s_set_inst_prefetch_distance 0x2
	s_waitcnt lgkmcnt(0)
	v_cmp_neq_f64_e32 vcc_lo, 0, v[212:213]
	v_cmp_neq_f64_e64 s2, 0, v[214:215]
	v_mov_b32_e32 v225, 1
	v_mov_b32_e32 v229, 1
	s_delay_alu instid0(VALU_DEP_3) | instskip(NEXT) | instid1(SALU_CYCLE_1)
	s_or_b32 s2, vcc_lo, s2
	s_and_saveexec_b32 s3, s2
	s_cbranch_execz .LBB104_12
; %bb.7:
	v_cmp_gt_f64_e32 vcc_lo, 0, v[212:213]
	v_cmp_gt_f64_e64 s2, 0, v[214:215]
	v_xor_b32_e32 v221, 0x80000000, v213
	v_xor_b32_e32 v225, 0x80000000, v215
                                        ; implicit-def: $sgpr6
                                        ; implicit-def: $sgpr7
	s_delay_alu instid0(VALU_DEP_2) | instskip(NEXT) | instid1(VALU_DEP_2)
	v_dual_cndmask_b32 v229, v213, v221 :: v_dual_cndmask_b32 v228, v212, v212
	v_cndmask_b32_e64 v231, v215, v225, s2
	v_cndmask_b32_e64 v230, v214, v214, s2
	s_mov_b32 s2, exec_lo
	s_delay_alu instid0(VALU_DEP_1)
	v_cmpx_ngt_f64_e32 v[228:229], v[230:231]
	s_xor_b32 s2, exec_lo, s2
	s_cbranch_execz .LBB104_9
; %bb.8:
	v_div_scale_f64 v[228:229], null, v[214:215], v[214:215], v[212:213]
	v_div_scale_f64 v[234:235], vcc_lo, v[212:213], v[214:215], v[212:213]
	s_mov_b32 s7, 2
	s_mov_b32 s6, 0
	s_delay_alu instid0(VALU_DEP_2) | instskip(SKIP_2) | instid1(VALU_DEP_1)
	v_rcp_f64_e32 v[230:231], v[228:229]
	s_waitcnt_depctr 0xfff
	v_fma_f64 v[232:233], -v[228:229], v[230:231], 1.0
	v_fma_f64 v[230:231], v[230:231], v[232:233], v[230:231]
	s_delay_alu instid0(VALU_DEP_1) | instskip(NEXT) | instid1(VALU_DEP_1)
	v_fma_f64 v[232:233], -v[228:229], v[230:231], 1.0
	v_fma_f64 v[230:231], v[230:231], v[232:233], v[230:231]
	s_delay_alu instid0(VALU_DEP_1) | instskip(NEXT) | instid1(VALU_DEP_1)
	v_mul_f64 v[232:233], v[234:235], v[230:231]
	v_fma_f64 v[228:229], -v[228:229], v[232:233], v[234:235]
	s_delay_alu instid0(VALU_DEP_1) | instskip(NEXT) | instid1(VALU_DEP_1)
	v_div_fmas_f64 v[228:229], v[228:229], v[230:231], v[232:233]
	v_div_fixup_f64 v[228:229], v[228:229], v[214:215], v[212:213]
	s_delay_alu instid0(VALU_DEP_1) | instskip(NEXT) | instid1(VALU_DEP_1)
	v_fma_f64 v[212:213], v[212:213], v[228:229], v[214:215]
	v_div_scale_f64 v[214:215], null, v[212:213], v[212:213], 1.0
	s_delay_alu instid0(VALU_DEP_1) | instskip(SKIP_2) | instid1(VALU_DEP_1)
	v_rcp_f64_e32 v[230:231], v[214:215]
	s_waitcnt_depctr 0xfff
	v_fma_f64 v[232:233], -v[214:215], v[230:231], 1.0
	v_fma_f64 v[230:231], v[230:231], v[232:233], v[230:231]
	s_delay_alu instid0(VALU_DEP_1) | instskip(NEXT) | instid1(VALU_DEP_1)
	v_fma_f64 v[232:233], -v[214:215], v[230:231], 1.0
	v_fma_f64 v[230:231], v[230:231], v[232:233], v[230:231]
	v_div_scale_f64 v[232:233], vcc_lo, 1.0, v[212:213], 1.0
	s_delay_alu instid0(VALU_DEP_1) | instskip(NEXT) | instid1(VALU_DEP_1)
	v_mul_f64 v[234:235], v[232:233], v[230:231]
	v_fma_f64 v[214:215], -v[214:215], v[234:235], v[232:233]
	s_delay_alu instid0(VALU_DEP_1) | instskip(NEXT) | instid1(VALU_DEP_1)
	v_div_fmas_f64 v[214:215], v[214:215], v[230:231], v[234:235]
	v_div_fixup_f64 v[214:215], v[214:215], v[212:213], 1.0
	s_delay_alu instid0(VALU_DEP_1)
	v_mul_f64 v[212:213], v[228:229], v[214:215]
	v_xor_b32_e32 v215, 0x80000000, v215
.LBB104_9:
	s_or_saveexec_b32 s2, s2
	v_mov_b32_e32 v229, s6
	v_mov_b32_e32 v225, s7
	s_xor_b32 exec_lo, exec_lo, s2
	s_cbranch_execz .LBB104_11
; %bb.10:
	s_delay_alu instid0(VALU_DEP_4) | instskip(SKIP_2) | instid1(VALU_DEP_3)
	v_div_scale_f64 v[228:229], null, v[212:213], v[212:213], v[214:215]
	v_div_scale_f64 v[234:235], vcc_lo, v[214:215], v[212:213], v[214:215]
	v_mov_b32_e32 v225, 2
	v_rcp_f64_e32 v[230:231], v[228:229]
	s_waitcnt_depctr 0xfff
	v_fma_f64 v[232:233], -v[228:229], v[230:231], 1.0
	s_delay_alu instid0(VALU_DEP_1) | instskip(NEXT) | instid1(VALU_DEP_1)
	v_fma_f64 v[230:231], v[230:231], v[232:233], v[230:231]
	v_fma_f64 v[232:233], -v[228:229], v[230:231], 1.0
	s_delay_alu instid0(VALU_DEP_1) | instskip(NEXT) | instid1(VALU_DEP_1)
	v_fma_f64 v[230:231], v[230:231], v[232:233], v[230:231]
	v_mul_f64 v[232:233], v[234:235], v[230:231]
	s_delay_alu instid0(VALU_DEP_1) | instskip(NEXT) | instid1(VALU_DEP_1)
	v_fma_f64 v[228:229], -v[228:229], v[232:233], v[234:235]
	v_div_fmas_f64 v[228:229], v[228:229], v[230:231], v[232:233]
	s_delay_alu instid0(VALU_DEP_1) | instskip(NEXT) | instid1(VALU_DEP_1)
	v_div_fixup_f64 v[228:229], v[228:229], v[212:213], v[214:215]
	v_fma_f64 v[212:213], v[214:215], v[228:229], v[212:213]
	s_delay_alu instid0(VALU_DEP_1) | instskip(NEXT) | instid1(VALU_DEP_1)
	v_div_scale_f64 v[214:215], null, v[212:213], v[212:213], 1.0
	v_rcp_f64_e32 v[230:231], v[214:215]
	s_waitcnt_depctr 0xfff
	v_fma_f64 v[232:233], -v[214:215], v[230:231], 1.0
	s_delay_alu instid0(VALU_DEP_1) | instskip(NEXT) | instid1(VALU_DEP_1)
	v_fma_f64 v[230:231], v[230:231], v[232:233], v[230:231]
	v_fma_f64 v[232:233], -v[214:215], v[230:231], 1.0
	s_delay_alu instid0(VALU_DEP_1) | instskip(SKIP_1) | instid1(VALU_DEP_1)
	v_fma_f64 v[230:231], v[230:231], v[232:233], v[230:231]
	v_div_scale_f64 v[232:233], vcc_lo, 1.0, v[212:213], 1.0
	v_mul_f64 v[234:235], v[232:233], v[230:231]
	s_delay_alu instid0(VALU_DEP_1) | instskip(NEXT) | instid1(VALU_DEP_1)
	v_fma_f64 v[214:215], -v[214:215], v[234:235], v[232:233]
	v_div_fmas_f64 v[214:215], v[214:215], v[230:231], v[234:235]
	s_delay_alu instid0(VALU_DEP_1) | instskip(NEXT) | instid1(VALU_DEP_1)
	v_div_fixup_f64 v[212:213], v[214:215], v[212:213], 1.0
	v_mul_f64 v[214:215], v[228:229], -v[212:213]
	v_mov_b32_e32 v229, 0
.LBB104_11:
	s_or_b32 exec_lo, exec_lo, s2
.LBB104_12:
	s_delay_alu instid0(SALU_CYCLE_1) | instskip(NEXT) | instid1(SALU_CYCLE_1)
	s_or_b32 exec_lo, exec_lo, s3
	s_mov_b32 s2, exec_lo
	v_cmpx_ne_u32_e64 v227, v220
	s_xor_b32 s2, exec_lo, s2
	s_cbranch_execz .LBB104_18
; %bb.13:
	s_mov_b32 s3, exec_lo
	v_cmpx_eq_u32_e32 0, v227
	s_cbranch_execz .LBB104_17
; %bb.14:
	v_cmp_ne_u32_e32 vcc_lo, 0, v220
	s_xor_b32 s6, s4, -1
	s_delay_alu instid0(SALU_CYCLE_1) | instskip(NEXT) | instid1(SALU_CYCLE_1)
	s_and_b32 s7, s6, vcc_lo
	s_and_saveexec_b32 s6, s7
	s_cbranch_execz .LBB104_16
; %bb.15:
	v_ashrrev_i32_e32 v221, 31, v220
	s_delay_alu instid0(VALU_DEP_1) | instskip(NEXT) | instid1(VALU_DEP_1)
	v_lshlrev_b64 v[227:228], 2, v[220:221]
	v_add_co_u32 v227, vcc_lo, v218, v227
	s_delay_alu instid0(VALU_DEP_2)
	v_add_co_ci_u32_e32 v228, vcc_lo, v219, v228, vcc_lo
	s_clause 0x1
	flat_load_b32 v221, v[227:228]
	flat_load_b32 v230, v[218:219]
	s_waitcnt vmcnt(1) lgkmcnt(1)
	flat_store_b32 v[218:219], v221
	s_waitcnt vmcnt(0) lgkmcnt(1)
	flat_store_b32 v[227:228], v230
.LBB104_16:
	s_or_b32 exec_lo, exec_lo, s6
	v_mov_b32_e32 v227, v220
.LBB104_17:
	s_or_b32 exec_lo, exec_lo, s3
.LBB104_18:
	s_or_saveexec_b32 s2, s2
	s_delay_alu instid0(VALU_DEP_1)
	v_mov_b32_e32 v228, v227
	s_xor_b32 exec_lo, exec_lo, s2
	s_cbranch_execz .LBB104_20
; %bb.19:
	v_mov_b32_e32 v228, 0
	ds_store_2addr_b64 v222, v[200:201], v[202:203] offset0:2 offset1:3
	ds_store_2addr_b64 v222, v[204:205], v[206:207] offset0:4 offset1:5
	;; [unrolled: 1-line block ×52, first 2 shown]
.LBB104_20:
	s_or_b32 exec_lo, exec_lo, s2
	s_delay_alu instid0(SALU_CYCLE_1)
	s_mov_b32 s2, exec_lo
	s_waitcnt lgkmcnt(0)
	s_waitcnt_vscnt null, 0x0
	s_barrier
	buffer_gl0_inv
	v_cmpx_lt_i32_e32 0, v228
	s_cbranch_execz .LBB104_22
; %bb.21:
	v_mul_f64 v[220:221], v[214:215], v[210:211]
	v_mul_f64 v[210:211], v[212:213], v[210:211]
	s_delay_alu instid0(VALU_DEP_2) | instskip(NEXT) | instid1(VALU_DEP_2)
	v_fma_f64 v[220:221], v[212:213], v[208:209], -v[220:221]
	v_fma_f64 v[210:211], v[214:215], v[208:209], v[210:211]
	ds_load_2addr_b64 v[212:215], v222 offset0:2 offset1:3
	s_waitcnt lgkmcnt(0)
	v_mul_f64 v[208:209], v[214:215], v[210:211]
	s_delay_alu instid0(VALU_DEP_1) | instskip(SKIP_1) | instid1(VALU_DEP_2)
	v_fma_f64 v[208:209], v[212:213], v[220:221], -v[208:209]
	v_mul_f64 v[212:213], v[212:213], v[210:211]
	v_add_f64 v[200:201], v[200:201], -v[208:209]
	s_delay_alu instid0(VALU_DEP_2) | instskip(NEXT) | instid1(VALU_DEP_1)
	v_fma_f64 v[212:213], v[214:215], v[220:221], v[212:213]
	v_add_f64 v[202:203], v[202:203], -v[212:213]
	ds_load_2addr_b64 v[212:215], v222 offset0:4 offset1:5
	s_waitcnt lgkmcnt(0)
	v_mul_f64 v[208:209], v[214:215], v[210:211]
	s_delay_alu instid0(VALU_DEP_1) | instskip(SKIP_1) | instid1(VALU_DEP_2)
	v_fma_f64 v[208:209], v[212:213], v[220:221], -v[208:209]
	v_mul_f64 v[212:213], v[212:213], v[210:211]
	v_add_f64 v[204:205], v[204:205], -v[208:209]
	s_delay_alu instid0(VALU_DEP_2) | instskip(NEXT) | instid1(VALU_DEP_1)
	v_fma_f64 v[212:213], v[214:215], v[220:221], v[212:213]
	v_add_f64 v[206:207], v[206:207], -v[212:213]
	;; [unrolled: 10-line block ×51, first 2 shown]
	ds_load_2addr_b64 v[212:215], v222 offset0:104 offset1:105
	s_waitcnt lgkmcnt(0)
	v_mul_f64 v[208:209], v[214:215], v[210:211]
	s_delay_alu instid0(VALU_DEP_1) | instskip(SKIP_1) | instid1(VALU_DEP_2)
	v_fma_f64 v[208:209], v[212:213], v[220:221], -v[208:209]
	v_mul_f64 v[212:213], v[212:213], v[210:211]
	v_add_f64 v[0:1], v[0:1], -v[208:209]
	s_delay_alu instid0(VALU_DEP_2) | instskip(SKIP_1) | instid1(VALU_DEP_2)
	v_fma_f64 v[212:213], v[214:215], v[220:221], v[212:213]
	v_dual_mov_b32 v208, v220 :: v_dual_mov_b32 v209, v221
	v_add_f64 v[2:3], v[2:3], -v[212:213]
.LBB104_22:
	s_or_b32 exec_lo, exec_lo, s2
	v_lshl_add_u32 v212, v228, 4, v222
	s_barrier
	buffer_gl0_inv
	v_mov_b32_e32 v220, 1
	ds_store_2addr_b64 v212, v[200:201], v[202:203] offset1:1
	s_waitcnt lgkmcnt(0)
	s_barrier
	buffer_gl0_inv
	ds_load_2addr_b64 v[212:215], v222 offset0:2 offset1:3
	s_cmp_lt_i32 s5, 3
	s_cbranch_scc1 .LBB104_25
; %bb.23:
	v_add3_u32 v221, v226, 0, 32
	v_mov_b32_e32 v220, 1
	s_mov_b32 s6, 2
	s_set_inst_prefetch_distance 0x1
	.p2align	6
.LBB104_24:                             ; =>This Inner Loop Header: Depth=1
	ds_load_2addr_b64 v[230:233], v221 offset1:1
	s_waitcnt lgkmcnt(1)
	v_cmp_gt_f64_e32 vcc_lo, 0, v[212:213]
	v_xor_b32_e32 v234, 0x80000000, v213
	v_cmp_gt_f64_e64 s2, 0, v[214:215]
	v_xor_b32_e32 v236, 0x80000000, v215
	v_add_nc_u32_e32 v221, 16, v221
	s_waitcnt lgkmcnt(0)
	v_cmp_gt_f64_e64 s3, 0, v[230:231]
	v_mov_b32_e32 v238, v230
	v_dual_mov_b32 v240, v232 :: v_dual_cndmask_b32 v235, v213, v234
	v_xor_b32_e32 v234, 0x80000000, v231
	v_cndmask_b32_e64 v237, v215, v236, s2
	v_xor_b32_e32 v236, 0x80000000, v233
	s_delay_alu instid0(VALU_DEP_3) | instskip(SKIP_2) | instid1(VALU_DEP_2)
	v_cndmask_b32_e64 v239, v231, v234, s3
	v_cmp_gt_f64_e64 s3, 0, v[232:233]
	v_cndmask_b32_e32 v234, v212, v212, vcc_lo
	v_cndmask_b32_e64 v241, v233, v236, s3
	v_cndmask_b32_e64 v236, v214, v214, s2
	s_delay_alu instid0(VALU_DEP_2) | instskip(NEXT) | instid1(VALU_DEP_2)
	v_add_f64 v[238:239], v[238:239], v[240:241]
	v_add_f64 v[234:235], v[234:235], v[236:237]
	s_delay_alu instid0(VALU_DEP_1)
	v_cmp_lt_f64_e32 vcc_lo, v[234:235], v[238:239]
	v_cndmask_b32_e32 v215, v215, v233, vcc_lo
	v_dual_cndmask_b32 v213, v213, v231 :: v_dual_cndmask_b32 v212, v212, v230
	v_cndmask_b32_e32 v214, v214, v232, vcc_lo
	v_cndmask_b32_e64 v220, v220, s6, vcc_lo
	s_add_i32 s6, s6, 1
	s_delay_alu instid0(SALU_CYCLE_1)
	s_cmp_lg_u32 s5, s6
	s_cbranch_scc1 .LBB104_24
.LBB104_25:
	s_set_inst_prefetch_distance 0x2
	s_waitcnt lgkmcnt(0)
	v_cmp_neq_f64_e32 vcc_lo, 0, v[212:213]
	v_cmp_neq_f64_e64 s2, 0, v[214:215]
	s_delay_alu instid0(VALU_DEP_1) | instskip(NEXT) | instid1(SALU_CYCLE_1)
	s_or_b32 s2, vcc_lo, s2
	s_and_saveexec_b32 s3, s2
	s_cbranch_execz .LBB104_31
; %bb.26:
	v_cmp_gt_f64_e32 vcc_lo, 0, v[212:213]
	v_cmp_gt_f64_e64 s2, 0, v[214:215]
	v_xor_b32_e32 v221, 0x80000000, v213
	v_xor_b32_e32 v225, 0x80000000, v215
	s_delay_alu instid0(VALU_DEP_2) | instskip(NEXT) | instid1(VALU_DEP_2)
	v_dual_cndmask_b32 v231, v213, v221 :: v_dual_cndmask_b32 v230, v212, v212
	v_cndmask_b32_e64 v233, v215, v225, s2
	v_cndmask_b32_e64 v232, v214, v214, s2
	s_mov_b32 s2, exec_lo
	s_delay_alu instid0(VALU_DEP_1)
	v_cmpx_ngt_f64_e32 v[230:231], v[232:233]
	s_xor_b32 s2, exec_lo, s2
	s_cbranch_execz .LBB104_28
; %bb.27:
	v_div_scale_f64 v[230:231], null, v[214:215], v[214:215], v[212:213]
	v_div_scale_f64 v[236:237], vcc_lo, v[212:213], v[214:215], v[212:213]
	s_delay_alu instid0(VALU_DEP_2) | instskip(SKIP_2) | instid1(VALU_DEP_1)
	v_rcp_f64_e32 v[232:233], v[230:231]
	s_waitcnt_depctr 0xfff
	v_fma_f64 v[234:235], -v[230:231], v[232:233], 1.0
	v_fma_f64 v[232:233], v[232:233], v[234:235], v[232:233]
	s_delay_alu instid0(VALU_DEP_1) | instskip(NEXT) | instid1(VALU_DEP_1)
	v_fma_f64 v[234:235], -v[230:231], v[232:233], 1.0
	v_fma_f64 v[232:233], v[232:233], v[234:235], v[232:233]
	s_delay_alu instid0(VALU_DEP_1) | instskip(NEXT) | instid1(VALU_DEP_1)
	v_mul_f64 v[234:235], v[236:237], v[232:233]
	v_fma_f64 v[230:231], -v[230:231], v[234:235], v[236:237]
	s_delay_alu instid0(VALU_DEP_1) | instskip(NEXT) | instid1(VALU_DEP_1)
	v_div_fmas_f64 v[230:231], v[230:231], v[232:233], v[234:235]
	v_div_fixup_f64 v[230:231], v[230:231], v[214:215], v[212:213]
	s_delay_alu instid0(VALU_DEP_1) | instskip(NEXT) | instid1(VALU_DEP_1)
	v_fma_f64 v[212:213], v[212:213], v[230:231], v[214:215]
	v_div_scale_f64 v[214:215], null, v[212:213], v[212:213], 1.0
	s_delay_alu instid0(VALU_DEP_1) | instskip(SKIP_2) | instid1(VALU_DEP_1)
	v_rcp_f64_e32 v[232:233], v[214:215]
	s_waitcnt_depctr 0xfff
	v_fma_f64 v[234:235], -v[214:215], v[232:233], 1.0
	v_fma_f64 v[232:233], v[232:233], v[234:235], v[232:233]
	s_delay_alu instid0(VALU_DEP_1) | instskip(NEXT) | instid1(VALU_DEP_1)
	v_fma_f64 v[234:235], -v[214:215], v[232:233], 1.0
	v_fma_f64 v[232:233], v[232:233], v[234:235], v[232:233]
	v_div_scale_f64 v[234:235], vcc_lo, 1.0, v[212:213], 1.0
	s_delay_alu instid0(VALU_DEP_1) | instskip(NEXT) | instid1(VALU_DEP_1)
	v_mul_f64 v[236:237], v[234:235], v[232:233]
	v_fma_f64 v[214:215], -v[214:215], v[236:237], v[234:235]
	s_delay_alu instid0(VALU_DEP_1) | instskip(NEXT) | instid1(VALU_DEP_1)
	v_div_fmas_f64 v[214:215], v[214:215], v[232:233], v[236:237]
	v_div_fixup_f64 v[214:215], v[214:215], v[212:213], 1.0
	s_delay_alu instid0(VALU_DEP_1)
	v_mul_f64 v[212:213], v[230:231], v[214:215]
	v_xor_b32_e32 v215, 0x80000000, v215
.LBB104_28:
	s_and_not1_saveexec_b32 s2, s2
	s_cbranch_execz .LBB104_30
; %bb.29:
	s_delay_alu instid0(VALU_DEP_1) | instskip(SKIP_1) | instid1(VALU_DEP_2)
	v_div_scale_f64 v[230:231], null, v[212:213], v[212:213], v[214:215]
	v_div_scale_f64 v[236:237], vcc_lo, v[214:215], v[212:213], v[214:215]
	v_rcp_f64_e32 v[232:233], v[230:231]
	s_waitcnt_depctr 0xfff
	v_fma_f64 v[234:235], -v[230:231], v[232:233], 1.0
	s_delay_alu instid0(VALU_DEP_1) | instskip(NEXT) | instid1(VALU_DEP_1)
	v_fma_f64 v[232:233], v[232:233], v[234:235], v[232:233]
	v_fma_f64 v[234:235], -v[230:231], v[232:233], 1.0
	s_delay_alu instid0(VALU_DEP_1) | instskip(NEXT) | instid1(VALU_DEP_1)
	v_fma_f64 v[232:233], v[232:233], v[234:235], v[232:233]
	v_mul_f64 v[234:235], v[236:237], v[232:233]
	s_delay_alu instid0(VALU_DEP_1) | instskip(NEXT) | instid1(VALU_DEP_1)
	v_fma_f64 v[230:231], -v[230:231], v[234:235], v[236:237]
	v_div_fmas_f64 v[230:231], v[230:231], v[232:233], v[234:235]
	s_delay_alu instid0(VALU_DEP_1) | instskip(NEXT) | instid1(VALU_DEP_1)
	v_div_fixup_f64 v[230:231], v[230:231], v[212:213], v[214:215]
	v_fma_f64 v[212:213], v[214:215], v[230:231], v[212:213]
	s_delay_alu instid0(VALU_DEP_1) | instskip(NEXT) | instid1(VALU_DEP_1)
	v_div_scale_f64 v[214:215], null, v[212:213], v[212:213], 1.0
	v_rcp_f64_e32 v[232:233], v[214:215]
	s_waitcnt_depctr 0xfff
	v_fma_f64 v[234:235], -v[214:215], v[232:233], 1.0
	s_delay_alu instid0(VALU_DEP_1) | instskip(NEXT) | instid1(VALU_DEP_1)
	v_fma_f64 v[232:233], v[232:233], v[234:235], v[232:233]
	v_fma_f64 v[234:235], -v[214:215], v[232:233], 1.0
	s_delay_alu instid0(VALU_DEP_1) | instskip(SKIP_1) | instid1(VALU_DEP_1)
	v_fma_f64 v[232:233], v[232:233], v[234:235], v[232:233]
	v_div_scale_f64 v[234:235], vcc_lo, 1.0, v[212:213], 1.0
	v_mul_f64 v[236:237], v[234:235], v[232:233]
	s_delay_alu instid0(VALU_DEP_1) | instskip(NEXT) | instid1(VALU_DEP_1)
	v_fma_f64 v[214:215], -v[214:215], v[236:237], v[234:235]
	v_div_fmas_f64 v[214:215], v[214:215], v[232:233], v[236:237]
	s_delay_alu instid0(VALU_DEP_1) | instskip(NEXT) | instid1(VALU_DEP_1)
	v_div_fixup_f64 v[212:213], v[214:215], v[212:213], 1.0
	v_mul_f64 v[214:215], v[230:231], -v[212:213]
.LBB104_30:
	s_or_b32 exec_lo, exec_lo, s2
	v_mov_b32_e32 v225, v229
.LBB104_31:
	s_or_b32 exec_lo, exec_lo, s3
	s_delay_alu instid0(SALU_CYCLE_1)
	s_mov_b32 s2, exec_lo
	v_cmpx_ne_u32_e64 v228, v220
	s_xor_b32 s2, exec_lo, s2
	s_cbranch_execz .LBB104_37
; %bb.32:
	s_mov_b32 s3, exec_lo
	v_cmpx_eq_u32_e32 1, v228
	s_cbranch_execz .LBB104_36
; %bb.33:
	v_cmp_ne_u32_e32 vcc_lo, 1, v220
	s_xor_b32 s6, s4, -1
	s_delay_alu instid0(SALU_CYCLE_1) | instskip(NEXT) | instid1(SALU_CYCLE_1)
	s_and_b32 s7, s6, vcc_lo
	s_and_saveexec_b32 s6, s7
	s_cbranch_execz .LBB104_35
; %bb.34:
	v_ashrrev_i32_e32 v221, 31, v220
	s_delay_alu instid0(VALU_DEP_1) | instskip(NEXT) | instid1(VALU_DEP_1)
	v_lshlrev_b64 v[227:228], 2, v[220:221]
	v_add_co_u32 v227, vcc_lo, v218, v227
	s_delay_alu instid0(VALU_DEP_2)
	v_add_co_ci_u32_e32 v228, vcc_lo, v219, v228, vcc_lo
	s_clause 0x1
	flat_load_b32 v221, v[227:228]
	flat_load_b32 v229, v[218:219] offset:4
	s_waitcnt vmcnt(1) lgkmcnt(1)
	flat_store_b32 v[218:219], v221 offset:4
	s_waitcnt vmcnt(0) lgkmcnt(1)
	flat_store_b32 v[227:228], v229
.LBB104_35:
	s_or_b32 exec_lo, exec_lo, s6
	v_mov_b32_e32 v228, v220
	v_mov_b32_e32 v227, v220
.LBB104_36:
	s_or_b32 exec_lo, exec_lo, s3
.LBB104_37:
	s_and_not1_saveexec_b32 s2, s2
	s_cbranch_execz .LBB104_39
; %bb.38:
	v_mov_b32_e32 v228, 1
	ds_store_2addr_b64 v222, v[204:205], v[206:207] offset0:4 offset1:5
	ds_store_2addr_b64 v222, v[196:197], v[198:199] offset0:6 offset1:7
	;; [unrolled: 1-line block ×51, first 2 shown]
.LBB104_39:
	s_or_b32 exec_lo, exec_lo, s2
	s_delay_alu instid0(SALU_CYCLE_1)
	s_mov_b32 s2, exec_lo
	s_waitcnt lgkmcnt(0)
	s_waitcnt_vscnt null, 0x0
	s_barrier
	buffer_gl0_inv
	v_cmpx_lt_i32_e32 1, v228
	s_cbranch_execz .LBB104_41
; %bb.40:
	v_mul_f64 v[220:221], v[214:215], v[202:203]
	v_mul_f64 v[202:203], v[212:213], v[202:203]
	s_delay_alu instid0(VALU_DEP_2) | instskip(NEXT) | instid1(VALU_DEP_2)
	v_fma_f64 v[220:221], v[212:213], v[200:201], -v[220:221]
	v_fma_f64 v[202:203], v[214:215], v[200:201], v[202:203]
	ds_load_2addr_b64 v[212:215], v222 offset0:4 offset1:5
	s_waitcnt lgkmcnt(0)
	v_mul_f64 v[200:201], v[214:215], v[202:203]
	s_delay_alu instid0(VALU_DEP_1) | instskip(SKIP_1) | instid1(VALU_DEP_2)
	v_fma_f64 v[200:201], v[212:213], v[220:221], -v[200:201]
	v_mul_f64 v[212:213], v[212:213], v[202:203]
	v_add_f64 v[204:205], v[204:205], -v[200:201]
	s_delay_alu instid0(VALU_DEP_2) | instskip(NEXT) | instid1(VALU_DEP_1)
	v_fma_f64 v[212:213], v[214:215], v[220:221], v[212:213]
	v_add_f64 v[206:207], v[206:207], -v[212:213]
	ds_load_2addr_b64 v[212:215], v222 offset0:6 offset1:7
	s_waitcnt lgkmcnt(0)
	v_mul_f64 v[200:201], v[214:215], v[202:203]
	s_delay_alu instid0(VALU_DEP_1) | instskip(SKIP_1) | instid1(VALU_DEP_2)
	v_fma_f64 v[200:201], v[212:213], v[220:221], -v[200:201]
	v_mul_f64 v[212:213], v[212:213], v[202:203]
	v_add_f64 v[196:197], v[196:197], -v[200:201]
	s_delay_alu instid0(VALU_DEP_2) | instskip(NEXT) | instid1(VALU_DEP_1)
	v_fma_f64 v[212:213], v[214:215], v[220:221], v[212:213]
	v_add_f64 v[198:199], v[198:199], -v[212:213]
	;; [unrolled: 10-line block ×50, first 2 shown]
	ds_load_2addr_b64 v[212:215], v222 offset0:104 offset1:105
	s_waitcnt lgkmcnt(0)
	v_mul_f64 v[200:201], v[214:215], v[202:203]
	s_delay_alu instid0(VALU_DEP_1) | instskip(SKIP_1) | instid1(VALU_DEP_2)
	v_fma_f64 v[200:201], v[212:213], v[220:221], -v[200:201]
	v_mul_f64 v[212:213], v[212:213], v[202:203]
	v_add_f64 v[0:1], v[0:1], -v[200:201]
	s_delay_alu instid0(VALU_DEP_2) | instskip(SKIP_1) | instid1(VALU_DEP_2)
	v_fma_f64 v[212:213], v[214:215], v[220:221], v[212:213]
	v_dual_mov_b32 v200, v220 :: v_dual_mov_b32 v201, v221
	v_add_f64 v[2:3], v[2:3], -v[212:213]
.LBB104_41:
	s_or_b32 exec_lo, exec_lo, s2
	v_lshl_add_u32 v212, v228, 4, v222
	s_barrier
	buffer_gl0_inv
	v_mov_b32_e32 v220, 2
	ds_store_2addr_b64 v212, v[204:205], v[206:207] offset1:1
	s_waitcnt lgkmcnt(0)
	s_barrier
	buffer_gl0_inv
	ds_load_2addr_b64 v[212:215], v222 offset0:4 offset1:5
	s_cmp_lt_i32 s5, 4
	s_cbranch_scc1 .LBB104_44
; %bb.42:
	v_add3_u32 v221, v226, 0, 48
	v_mov_b32_e32 v220, 2
	s_mov_b32 s6, 3
	s_set_inst_prefetch_distance 0x1
	.p2align	6
.LBB104_43:                             ; =>This Inner Loop Header: Depth=1
	ds_load_2addr_b64 v[229:232], v221 offset1:1
	s_waitcnt lgkmcnt(1)
	v_cmp_gt_f64_e32 vcc_lo, 0, v[212:213]
	v_xor_b32_e32 v233, 0x80000000, v213
	v_cmp_gt_f64_e64 s2, 0, v[214:215]
	v_xor_b32_e32 v235, 0x80000000, v215
	v_add_nc_u32_e32 v221, 16, v221
	s_waitcnt lgkmcnt(0)
	v_cmp_gt_f64_e64 s3, 0, v[229:230]
	v_mov_b32_e32 v237, v229
	v_dual_mov_b32 v239, v231 :: v_dual_cndmask_b32 v234, v213, v233
	v_xor_b32_e32 v233, 0x80000000, v230
	v_cndmask_b32_e64 v236, v215, v235, s2
	v_xor_b32_e32 v235, 0x80000000, v232
	s_delay_alu instid0(VALU_DEP_3) | instskip(SKIP_2) | instid1(VALU_DEP_2)
	v_cndmask_b32_e64 v238, v230, v233, s3
	v_cmp_gt_f64_e64 s3, 0, v[231:232]
	v_cndmask_b32_e32 v233, v212, v212, vcc_lo
	v_cndmask_b32_e64 v240, v232, v235, s3
	v_cndmask_b32_e64 v235, v214, v214, s2
	s_delay_alu instid0(VALU_DEP_2) | instskip(NEXT) | instid1(VALU_DEP_2)
	v_add_f64 v[237:238], v[237:238], v[239:240]
	v_add_f64 v[233:234], v[233:234], v[235:236]
	s_delay_alu instid0(VALU_DEP_1) | instskip(SKIP_4) | instid1(SALU_CYCLE_1)
	v_cmp_lt_f64_e32 vcc_lo, v[233:234], v[237:238]
	v_dual_cndmask_b32 v214, v214, v231 :: v_dual_cndmask_b32 v213, v213, v230
	v_dual_cndmask_b32 v212, v212, v229 :: v_dual_cndmask_b32 v215, v215, v232
	v_cndmask_b32_e64 v220, v220, s6, vcc_lo
	s_add_i32 s6, s6, 1
	s_cmp_lg_u32 s5, s6
	s_cbranch_scc1 .LBB104_43
.LBB104_44:
	s_set_inst_prefetch_distance 0x2
	s_waitcnt lgkmcnt(0)
	v_cmp_eq_f64_e32 vcc_lo, 0, v[212:213]
	v_cmp_eq_f64_e64 s2, 0, v[214:215]
	s_delay_alu instid0(VALU_DEP_1) | instskip(NEXT) | instid1(SALU_CYCLE_1)
	s_and_b32 s2, vcc_lo, s2
	s_and_saveexec_b32 s3, s2
	s_delay_alu instid0(SALU_CYCLE_1)
	s_xor_b32 s2, exec_lo, s3
; %bb.45:
	v_cmp_ne_u32_e32 vcc_lo, 0, v225
	v_cndmask_b32_e32 v225, 3, v225, vcc_lo
; %bb.46:
	s_and_not1_saveexec_b32 s3, s2
	s_cbranch_execz .LBB104_52
; %bb.47:
	v_cmp_gt_f64_e32 vcc_lo, 0, v[212:213]
	v_cmp_gt_f64_e64 s2, 0, v[214:215]
	v_xor_b32_e32 v221, 0x80000000, v213
	v_xor_b32_e32 v229, 0x80000000, v215
	s_delay_alu instid0(VALU_DEP_2) | instskip(NEXT) | instid1(VALU_DEP_2)
	v_cndmask_b32_e32 v230, v213, v221, vcc_lo
	v_cndmask_b32_e64 v232, v215, v229, s2
	v_cndmask_b32_e32 v229, v212, v212, vcc_lo
	v_cndmask_b32_e64 v231, v214, v214, s2
	s_mov_b32 s2, exec_lo
	s_delay_alu instid0(VALU_DEP_1)
	v_cmpx_ngt_f64_e32 v[229:230], v[231:232]
	s_xor_b32 s2, exec_lo, s2
	s_cbranch_execz .LBB104_49
; %bb.48:
	v_div_scale_f64 v[229:230], null, v[214:215], v[214:215], v[212:213]
	v_div_scale_f64 v[235:236], vcc_lo, v[212:213], v[214:215], v[212:213]
	s_delay_alu instid0(VALU_DEP_2) | instskip(SKIP_2) | instid1(VALU_DEP_1)
	v_rcp_f64_e32 v[231:232], v[229:230]
	s_waitcnt_depctr 0xfff
	v_fma_f64 v[233:234], -v[229:230], v[231:232], 1.0
	v_fma_f64 v[231:232], v[231:232], v[233:234], v[231:232]
	s_delay_alu instid0(VALU_DEP_1) | instskip(NEXT) | instid1(VALU_DEP_1)
	v_fma_f64 v[233:234], -v[229:230], v[231:232], 1.0
	v_fma_f64 v[231:232], v[231:232], v[233:234], v[231:232]
	s_delay_alu instid0(VALU_DEP_1) | instskip(NEXT) | instid1(VALU_DEP_1)
	v_mul_f64 v[233:234], v[235:236], v[231:232]
	v_fma_f64 v[229:230], -v[229:230], v[233:234], v[235:236]
	s_delay_alu instid0(VALU_DEP_1) | instskip(NEXT) | instid1(VALU_DEP_1)
	v_div_fmas_f64 v[229:230], v[229:230], v[231:232], v[233:234]
	v_div_fixup_f64 v[229:230], v[229:230], v[214:215], v[212:213]
	s_delay_alu instid0(VALU_DEP_1) | instskip(NEXT) | instid1(VALU_DEP_1)
	v_fma_f64 v[212:213], v[212:213], v[229:230], v[214:215]
	v_div_scale_f64 v[214:215], null, v[212:213], v[212:213], 1.0
	s_delay_alu instid0(VALU_DEP_1) | instskip(SKIP_2) | instid1(VALU_DEP_1)
	v_rcp_f64_e32 v[231:232], v[214:215]
	s_waitcnt_depctr 0xfff
	v_fma_f64 v[233:234], -v[214:215], v[231:232], 1.0
	v_fma_f64 v[231:232], v[231:232], v[233:234], v[231:232]
	s_delay_alu instid0(VALU_DEP_1) | instskip(NEXT) | instid1(VALU_DEP_1)
	v_fma_f64 v[233:234], -v[214:215], v[231:232], 1.0
	v_fma_f64 v[231:232], v[231:232], v[233:234], v[231:232]
	v_div_scale_f64 v[233:234], vcc_lo, 1.0, v[212:213], 1.0
	s_delay_alu instid0(VALU_DEP_1) | instskip(NEXT) | instid1(VALU_DEP_1)
	v_mul_f64 v[235:236], v[233:234], v[231:232]
	v_fma_f64 v[214:215], -v[214:215], v[235:236], v[233:234]
	s_delay_alu instid0(VALU_DEP_1) | instskip(NEXT) | instid1(VALU_DEP_1)
	v_div_fmas_f64 v[214:215], v[214:215], v[231:232], v[235:236]
	v_div_fixup_f64 v[214:215], v[214:215], v[212:213], 1.0
	s_delay_alu instid0(VALU_DEP_1)
	v_mul_f64 v[212:213], v[229:230], v[214:215]
	v_xor_b32_e32 v215, 0x80000000, v215
.LBB104_49:
	s_and_not1_saveexec_b32 s2, s2
	s_cbranch_execz .LBB104_51
; %bb.50:
	s_delay_alu instid0(VALU_DEP_1) | instskip(SKIP_1) | instid1(VALU_DEP_2)
	v_div_scale_f64 v[229:230], null, v[212:213], v[212:213], v[214:215]
	v_div_scale_f64 v[235:236], vcc_lo, v[214:215], v[212:213], v[214:215]
	v_rcp_f64_e32 v[231:232], v[229:230]
	s_waitcnt_depctr 0xfff
	v_fma_f64 v[233:234], -v[229:230], v[231:232], 1.0
	s_delay_alu instid0(VALU_DEP_1) | instskip(NEXT) | instid1(VALU_DEP_1)
	v_fma_f64 v[231:232], v[231:232], v[233:234], v[231:232]
	v_fma_f64 v[233:234], -v[229:230], v[231:232], 1.0
	s_delay_alu instid0(VALU_DEP_1) | instskip(NEXT) | instid1(VALU_DEP_1)
	v_fma_f64 v[231:232], v[231:232], v[233:234], v[231:232]
	v_mul_f64 v[233:234], v[235:236], v[231:232]
	s_delay_alu instid0(VALU_DEP_1) | instskip(NEXT) | instid1(VALU_DEP_1)
	v_fma_f64 v[229:230], -v[229:230], v[233:234], v[235:236]
	v_div_fmas_f64 v[229:230], v[229:230], v[231:232], v[233:234]
	s_delay_alu instid0(VALU_DEP_1) | instskip(NEXT) | instid1(VALU_DEP_1)
	v_div_fixup_f64 v[229:230], v[229:230], v[212:213], v[214:215]
	v_fma_f64 v[212:213], v[214:215], v[229:230], v[212:213]
	s_delay_alu instid0(VALU_DEP_1) | instskip(NEXT) | instid1(VALU_DEP_1)
	v_div_scale_f64 v[214:215], null, v[212:213], v[212:213], 1.0
	v_rcp_f64_e32 v[231:232], v[214:215]
	s_waitcnt_depctr 0xfff
	v_fma_f64 v[233:234], -v[214:215], v[231:232], 1.0
	s_delay_alu instid0(VALU_DEP_1) | instskip(NEXT) | instid1(VALU_DEP_1)
	v_fma_f64 v[231:232], v[231:232], v[233:234], v[231:232]
	v_fma_f64 v[233:234], -v[214:215], v[231:232], 1.0
	s_delay_alu instid0(VALU_DEP_1) | instskip(SKIP_1) | instid1(VALU_DEP_1)
	v_fma_f64 v[231:232], v[231:232], v[233:234], v[231:232]
	v_div_scale_f64 v[233:234], vcc_lo, 1.0, v[212:213], 1.0
	v_mul_f64 v[235:236], v[233:234], v[231:232]
	s_delay_alu instid0(VALU_DEP_1) | instskip(NEXT) | instid1(VALU_DEP_1)
	v_fma_f64 v[214:215], -v[214:215], v[235:236], v[233:234]
	v_div_fmas_f64 v[214:215], v[214:215], v[231:232], v[235:236]
	s_delay_alu instid0(VALU_DEP_1) | instskip(NEXT) | instid1(VALU_DEP_1)
	v_div_fixup_f64 v[212:213], v[214:215], v[212:213], 1.0
	v_mul_f64 v[214:215], v[229:230], -v[212:213]
.LBB104_51:
	s_or_b32 exec_lo, exec_lo, s2
.LBB104_52:
	s_delay_alu instid0(SALU_CYCLE_1) | instskip(NEXT) | instid1(SALU_CYCLE_1)
	s_or_b32 exec_lo, exec_lo, s3
	s_mov_b32 s2, exec_lo
	v_cmpx_ne_u32_e64 v228, v220
	s_xor_b32 s2, exec_lo, s2
	s_cbranch_execz .LBB104_58
; %bb.53:
	s_mov_b32 s3, exec_lo
	v_cmpx_eq_u32_e32 2, v228
	s_cbranch_execz .LBB104_57
; %bb.54:
	v_cmp_ne_u32_e32 vcc_lo, 2, v220
	s_xor_b32 s6, s4, -1
	s_delay_alu instid0(SALU_CYCLE_1) | instskip(NEXT) | instid1(SALU_CYCLE_1)
	s_and_b32 s7, s6, vcc_lo
	s_and_saveexec_b32 s6, s7
	s_cbranch_execz .LBB104_56
; %bb.55:
	v_ashrrev_i32_e32 v221, 31, v220
	s_delay_alu instid0(VALU_DEP_1) | instskip(NEXT) | instid1(VALU_DEP_1)
	v_lshlrev_b64 v[227:228], 2, v[220:221]
	v_add_co_u32 v227, vcc_lo, v218, v227
	s_delay_alu instid0(VALU_DEP_2)
	v_add_co_ci_u32_e32 v228, vcc_lo, v219, v228, vcc_lo
	s_clause 0x1
	flat_load_b32 v221, v[227:228]
	flat_load_b32 v229, v[218:219] offset:8
	s_waitcnt vmcnt(1) lgkmcnt(1)
	flat_store_b32 v[218:219], v221 offset:8
	s_waitcnt vmcnt(0) lgkmcnt(1)
	flat_store_b32 v[227:228], v229
.LBB104_56:
	s_or_b32 exec_lo, exec_lo, s6
	v_mov_b32_e32 v228, v220
	v_mov_b32_e32 v227, v220
.LBB104_57:
	s_or_b32 exec_lo, exec_lo, s3
.LBB104_58:
	s_and_not1_saveexec_b32 s2, s2
	s_cbranch_execz .LBB104_60
; %bb.59:
	v_mov_b32_e32 v228, 2
	ds_store_2addr_b64 v222, v[196:197], v[198:199] offset0:6 offset1:7
	ds_store_2addr_b64 v222, v[192:193], v[194:195] offset0:8 offset1:9
	;; [unrolled: 1-line block ×50, first 2 shown]
.LBB104_60:
	s_or_b32 exec_lo, exec_lo, s2
	s_delay_alu instid0(SALU_CYCLE_1)
	s_mov_b32 s2, exec_lo
	s_waitcnt lgkmcnt(0)
	s_waitcnt_vscnt null, 0x0
	s_barrier
	buffer_gl0_inv
	v_cmpx_lt_i32_e32 2, v228
	s_cbranch_execz .LBB104_62
; %bb.61:
	v_mul_f64 v[220:221], v[214:215], v[206:207]
	v_mul_f64 v[206:207], v[212:213], v[206:207]
	s_delay_alu instid0(VALU_DEP_2) | instskip(NEXT) | instid1(VALU_DEP_2)
	v_fma_f64 v[220:221], v[212:213], v[204:205], -v[220:221]
	v_fma_f64 v[206:207], v[214:215], v[204:205], v[206:207]
	ds_load_2addr_b64 v[212:215], v222 offset0:6 offset1:7
	s_waitcnt lgkmcnt(0)
	v_mul_f64 v[204:205], v[214:215], v[206:207]
	s_delay_alu instid0(VALU_DEP_1) | instskip(SKIP_1) | instid1(VALU_DEP_2)
	v_fma_f64 v[204:205], v[212:213], v[220:221], -v[204:205]
	v_mul_f64 v[212:213], v[212:213], v[206:207]
	v_add_f64 v[196:197], v[196:197], -v[204:205]
	s_delay_alu instid0(VALU_DEP_2) | instskip(NEXT) | instid1(VALU_DEP_1)
	v_fma_f64 v[212:213], v[214:215], v[220:221], v[212:213]
	v_add_f64 v[198:199], v[198:199], -v[212:213]
	ds_load_2addr_b64 v[212:215], v222 offset0:8 offset1:9
	s_waitcnt lgkmcnt(0)
	v_mul_f64 v[204:205], v[214:215], v[206:207]
	s_delay_alu instid0(VALU_DEP_1) | instskip(SKIP_1) | instid1(VALU_DEP_2)
	v_fma_f64 v[204:205], v[212:213], v[220:221], -v[204:205]
	v_mul_f64 v[212:213], v[212:213], v[206:207]
	v_add_f64 v[192:193], v[192:193], -v[204:205]
	s_delay_alu instid0(VALU_DEP_2) | instskip(NEXT) | instid1(VALU_DEP_1)
	v_fma_f64 v[212:213], v[214:215], v[220:221], v[212:213]
	v_add_f64 v[194:195], v[194:195], -v[212:213]
	;; [unrolled: 10-line block ×49, first 2 shown]
	ds_load_2addr_b64 v[212:215], v222 offset0:104 offset1:105
	s_waitcnt lgkmcnt(0)
	v_mul_f64 v[204:205], v[214:215], v[206:207]
	s_delay_alu instid0(VALU_DEP_1) | instskip(SKIP_1) | instid1(VALU_DEP_2)
	v_fma_f64 v[204:205], v[212:213], v[220:221], -v[204:205]
	v_mul_f64 v[212:213], v[212:213], v[206:207]
	v_add_f64 v[0:1], v[0:1], -v[204:205]
	s_delay_alu instid0(VALU_DEP_2) | instskip(SKIP_1) | instid1(VALU_DEP_2)
	v_fma_f64 v[212:213], v[214:215], v[220:221], v[212:213]
	v_dual_mov_b32 v204, v220 :: v_dual_mov_b32 v205, v221
	v_add_f64 v[2:3], v[2:3], -v[212:213]
.LBB104_62:
	s_or_b32 exec_lo, exec_lo, s2
	v_lshl_add_u32 v212, v228, 4, v222
	s_barrier
	buffer_gl0_inv
	v_mov_b32_e32 v220, 3
	ds_store_2addr_b64 v212, v[196:197], v[198:199] offset1:1
	s_waitcnt lgkmcnt(0)
	s_barrier
	buffer_gl0_inv
	ds_load_2addr_b64 v[212:215], v222 offset0:6 offset1:7
	s_cmp_lt_i32 s5, 5
	s_mov_b32 s6, 4
	s_cbranch_scc1 .LBB104_65
; %bb.63:
	v_add3_u32 v221, v226, 0, 64
	v_mov_b32_e32 v220, 3
	s_set_inst_prefetch_distance 0x1
	.p2align	6
.LBB104_64:                             ; =>This Inner Loop Header: Depth=1
	ds_load_2addr_b64 v[229:232], v221 offset1:1
	s_waitcnt lgkmcnt(1)
	v_cmp_gt_f64_e32 vcc_lo, 0, v[212:213]
	v_xor_b32_e32 v233, 0x80000000, v213
	v_cmp_gt_f64_e64 s2, 0, v[214:215]
	v_xor_b32_e32 v235, 0x80000000, v215
	v_add_nc_u32_e32 v221, 16, v221
	s_waitcnt lgkmcnt(0)
	v_cmp_gt_f64_e64 s3, 0, v[229:230]
	v_mov_b32_e32 v237, v229
	v_dual_mov_b32 v239, v231 :: v_dual_cndmask_b32 v234, v213, v233
	v_xor_b32_e32 v233, 0x80000000, v230
	v_cndmask_b32_e64 v236, v215, v235, s2
	v_xor_b32_e32 v235, 0x80000000, v232
	s_delay_alu instid0(VALU_DEP_3) | instskip(SKIP_2) | instid1(VALU_DEP_2)
	v_cndmask_b32_e64 v238, v230, v233, s3
	v_cmp_gt_f64_e64 s3, 0, v[231:232]
	v_cndmask_b32_e32 v233, v212, v212, vcc_lo
	v_cndmask_b32_e64 v240, v232, v235, s3
	v_cndmask_b32_e64 v235, v214, v214, s2
	s_delay_alu instid0(VALU_DEP_2) | instskip(NEXT) | instid1(VALU_DEP_2)
	v_add_f64 v[237:238], v[237:238], v[239:240]
	v_add_f64 v[233:234], v[233:234], v[235:236]
	s_delay_alu instid0(VALU_DEP_1) | instskip(SKIP_4) | instid1(SALU_CYCLE_1)
	v_cmp_lt_f64_e32 vcc_lo, v[233:234], v[237:238]
	v_dual_cndmask_b32 v214, v214, v231 :: v_dual_cndmask_b32 v213, v213, v230
	v_dual_cndmask_b32 v212, v212, v229 :: v_dual_cndmask_b32 v215, v215, v232
	v_cndmask_b32_e64 v220, v220, s6, vcc_lo
	s_add_i32 s6, s6, 1
	s_cmp_lg_u32 s5, s6
	s_cbranch_scc1 .LBB104_64
.LBB104_65:
	s_set_inst_prefetch_distance 0x2
	s_waitcnt lgkmcnt(0)
	v_cmp_eq_f64_e32 vcc_lo, 0, v[212:213]
	v_cmp_eq_f64_e64 s2, 0, v[214:215]
	s_delay_alu instid0(VALU_DEP_1) | instskip(NEXT) | instid1(SALU_CYCLE_1)
	s_and_b32 s2, vcc_lo, s2
	s_and_saveexec_b32 s3, s2
	s_delay_alu instid0(SALU_CYCLE_1)
	s_xor_b32 s2, exec_lo, s3
; %bb.66:
	v_cmp_ne_u32_e32 vcc_lo, 0, v225
	v_cndmask_b32_e32 v225, 4, v225, vcc_lo
; %bb.67:
	s_and_not1_saveexec_b32 s3, s2
	s_cbranch_execz .LBB104_73
; %bb.68:
	v_cmp_gt_f64_e32 vcc_lo, 0, v[212:213]
	v_cmp_gt_f64_e64 s2, 0, v[214:215]
	v_xor_b32_e32 v221, 0x80000000, v213
	v_xor_b32_e32 v229, 0x80000000, v215
	s_delay_alu instid0(VALU_DEP_2) | instskip(NEXT) | instid1(VALU_DEP_2)
	v_cndmask_b32_e32 v230, v213, v221, vcc_lo
	v_cndmask_b32_e64 v232, v215, v229, s2
	v_cndmask_b32_e32 v229, v212, v212, vcc_lo
	v_cndmask_b32_e64 v231, v214, v214, s2
	s_mov_b32 s2, exec_lo
	s_delay_alu instid0(VALU_DEP_1)
	v_cmpx_ngt_f64_e32 v[229:230], v[231:232]
	s_xor_b32 s2, exec_lo, s2
	s_cbranch_execz .LBB104_70
; %bb.69:
	v_div_scale_f64 v[229:230], null, v[214:215], v[214:215], v[212:213]
	v_div_scale_f64 v[235:236], vcc_lo, v[212:213], v[214:215], v[212:213]
	s_delay_alu instid0(VALU_DEP_2) | instskip(SKIP_2) | instid1(VALU_DEP_1)
	v_rcp_f64_e32 v[231:232], v[229:230]
	s_waitcnt_depctr 0xfff
	v_fma_f64 v[233:234], -v[229:230], v[231:232], 1.0
	v_fma_f64 v[231:232], v[231:232], v[233:234], v[231:232]
	s_delay_alu instid0(VALU_DEP_1) | instskip(NEXT) | instid1(VALU_DEP_1)
	v_fma_f64 v[233:234], -v[229:230], v[231:232], 1.0
	v_fma_f64 v[231:232], v[231:232], v[233:234], v[231:232]
	s_delay_alu instid0(VALU_DEP_1) | instskip(NEXT) | instid1(VALU_DEP_1)
	v_mul_f64 v[233:234], v[235:236], v[231:232]
	v_fma_f64 v[229:230], -v[229:230], v[233:234], v[235:236]
	s_delay_alu instid0(VALU_DEP_1) | instskip(NEXT) | instid1(VALU_DEP_1)
	v_div_fmas_f64 v[229:230], v[229:230], v[231:232], v[233:234]
	v_div_fixup_f64 v[229:230], v[229:230], v[214:215], v[212:213]
	s_delay_alu instid0(VALU_DEP_1) | instskip(NEXT) | instid1(VALU_DEP_1)
	v_fma_f64 v[212:213], v[212:213], v[229:230], v[214:215]
	v_div_scale_f64 v[214:215], null, v[212:213], v[212:213], 1.0
	s_delay_alu instid0(VALU_DEP_1) | instskip(SKIP_2) | instid1(VALU_DEP_1)
	v_rcp_f64_e32 v[231:232], v[214:215]
	s_waitcnt_depctr 0xfff
	v_fma_f64 v[233:234], -v[214:215], v[231:232], 1.0
	v_fma_f64 v[231:232], v[231:232], v[233:234], v[231:232]
	s_delay_alu instid0(VALU_DEP_1) | instskip(NEXT) | instid1(VALU_DEP_1)
	v_fma_f64 v[233:234], -v[214:215], v[231:232], 1.0
	v_fma_f64 v[231:232], v[231:232], v[233:234], v[231:232]
	v_div_scale_f64 v[233:234], vcc_lo, 1.0, v[212:213], 1.0
	s_delay_alu instid0(VALU_DEP_1) | instskip(NEXT) | instid1(VALU_DEP_1)
	v_mul_f64 v[235:236], v[233:234], v[231:232]
	v_fma_f64 v[214:215], -v[214:215], v[235:236], v[233:234]
	s_delay_alu instid0(VALU_DEP_1) | instskip(NEXT) | instid1(VALU_DEP_1)
	v_div_fmas_f64 v[214:215], v[214:215], v[231:232], v[235:236]
	v_div_fixup_f64 v[214:215], v[214:215], v[212:213], 1.0
	s_delay_alu instid0(VALU_DEP_1)
	v_mul_f64 v[212:213], v[229:230], v[214:215]
	v_xor_b32_e32 v215, 0x80000000, v215
.LBB104_70:
	s_and_not1_saveexec_b32 s2, s2
	s_cbranch_execz .LBB104_72
; %bb.71:
	s_delay_alu instid0(VALU_DEP_1) | instskip(SKIP_1) | instid1(VALU_DEP_2)
	v_div_scale_f64 v[229:230], null, v[212:213], v[212:213], v[214:215]
	v_div_scale_f64 v[235:236], vcc_lo, v[214:215], v[212:213], v[214:215]
	v_rcp_f64_e32 v[231:232], v[229:230]
	s_waitcnt_depctr 0xfff
	v_fma_f64 v[233:234], -v[229:230], v[231:232], 1.0
	s_delay_alu instid0(VALU_DEP_1) | instskip(NEXT) | instid1(VALU_DEP_1)
	v_fma_f64 v[231:232], v[231:232], v[233:234], v[231:232]
	v_fma_f64 v[233:234], -v[229:230], v[231:232], 1.0
	s_delay_alu instid0(VALU_DEP_1) | instskip(NEXT) | instid1(VALU_DEP_1)
	v_fma_f64 v[231:232], v[231:232], v[233:234], v[231:232]
	v_mul_f64 v[233:234], v[235:236], v[231:232]
	s_delay_alu instid0(VALU_DEP_1) | instskip(NEXT) | instid1(VALU_DEP_1)
	v_fma_f64 v[229:230], -v[229:230], v[233:234], v[235:236]
	v_div_fmas_f64 v[229:230], v[229:230], v[231:232], v[233:234]
	s_delay_alu instid0(VALU_DEP_1) | instskip(NEXT) | instid1(VALU_DEP_1)
	v_div_fixup_f64 v[229:230], v[229:230], v[212:213], v[214:215]
	v_fma_f64 v[212:213], v[214:215], v[229:230], v[212:213]
	s_delay_alu instid0(VALU_DEP_1) | instskip(NEXT) | instid1(VALU_DEP_1)
	v_div_scale_f64 v[214:215], null, v[212:213], v[212:213], 1.0
	v_rcp_f64_e32 v[231:232], v[214:215]
	s_waitcnt_depctr 0xfff
	v_fma_f64 v[233:234], -v[214:215], v[231:232], 1.0
	s_delay_alu instid0(VALU_DEP_1) | instskip(NEXT) | instid1(VALU_DEP_1)
	v_fma_f64 v[231:232], v[231:232], v[233:234], v[231:232]
	v_fma_f64 v[233:234], -v[214:215], v[231:232], 1.0
	s_delay_alu instid0(VALU_DEP_1) | instskip(SKIP_1) | instid1(VALU_DEP_1)
	v_fma_f64 v[231:232], v[231:232], v[233:234], v[231:232]
	v_div_scale_f64 v[233:234], vcc_lo, 1.0, v[212:213], 1.0
	v_mul_f64 v[235:236], v[233:234], v[231:232]
	s_delay_alu instid0(VALU_DEP_1) | instskip(NEXT) | instid1(VALU_DEP_1)
	v_fma_f64 v[214:215], -v[214:215], v[235:236], v[233:234]
	v_div_fmas_f64 v[214:215], v[214:215], v[231:232], v[235:236]
	s_delay_alu instid0(VALU_DEP_1) | instskip(NEXT) | instid1(VALU_DEP_1)
	v_div_fixup_f64 v[212:213], v[214:215], v[212:213], 1.0
	v_mul_f64 v[214:215], v[229:230], -v[212:213]
.LBB104_72:
	s_or_b32 exec_lo, exec_lo, s2
.LBB104_73:
	s_delay_alu instid0(SALU_CYCLE_1) | instskip(NEXT) | instid1(SALU_CYCLE_1)
	s_or_b32 exec_lo, exec_lo, s3
	s_mov_b32 s2, exec_lo
	v_cmpx_ne_u32_e64 v228, v220
	s_xor_b32 s2, exec_lo, s2
	s_cbranch_execz .LBB104_79
; %bb.74:
	s_mov_b32 s3, exec_lo
	v_cmpx_eq_u32_e32 3, v228
	s_cbranch_execz .LBB104_78
; %bb.75:
	v_cmp_ne_u32_e32 vcc_lo, 3, v220
	s_xor_b32 s6, s4, -1
	s_delay_alu instid0(SALU_CYCLE_1) | instskip(NEXT) | instid1(SALU_CYCLE_1)
	s_and_b32 s7, s6, vcc_lo
	s_and_saveexec_b32 s6, s7
	s_cbranch_execz .LBB104_77
; %bb.76:
	v_ashrrev_i32_e32 v221, 31, v220
	s_delay_alu instid0(VALU_DEP_1) | instskip(NEXT) | instid1(VALU_DEP_1)
	v_lshlrev_b64 v[227:228], 2, v[220:221]
	v_add_co_u32 v227, vcc_lo, v218, v227
	s_delay_alu instid0(VALU_DEP_2)
	v_add_co_ci_u32_e32 v228, vcc_lo, v219, v228, vcc_lo
	s_clause 0x1
	flat_load_b32 v221, v[227:228]
	flat_load_b32 v229, v[218:219] offset:12
	s_waitcnt vmcnt(1) lgkmcnt(1)
	flat_store_b32 v[218:219], v221 offset:12
	s_waitcnt vmcnt(0) lgkmcnt(1)
	flat_store_b32 v[227:228], v229
.LBB104_77:
	s_or_b32 exec_lo, exec_lo, s6
	v_mov_b32_e32 v228, v220
	v_mov_b32_e32 v227, v220
.LBB104_78:
	s_or_b32 exec_lo, exec_lo, s3
.LBB104_79:
	s_and_not1_saveexec_b32 s2, s2
	s_cbranch_execz .LBB104_81
; %bb.80:
	v_mov_b32_e32 v228, 3
	ds_store_2addr_b64 v222, v[192:193], v[194:195] offset0:8 offset1:9
	ds_store_2addr_b64 v222, v[188:189], v[190:191] offset0:10 offset1:11
	;; [unrolled: 1-line block ×49, first 2 shown]
.LBB104_81:
	s_or_b32 exec_lo, exec_lo, s2
	s_delay_alu instid0(SALU_CYCLE_1)
	s_mov_b32 s2, exec_lo
	s_waitcnt lgkmcnt(0)
	s_waitcnt_vscnt null, 0x0
	s_barrier
	buffer_gl0_inv
	v_cmpx_lt_i32_e32 3, v228
	s_cbranch_execz .LBB104_83
; %bb.82:
	v_mul_f64 v[220:221], v[214:215], v[198:199]
	v_mul_f64 v[198:199], v[212:213], v[198:199]
	s_delay_alu instid0(VALU_DEP_2) | instskip(NEXT) | instid1(VALU_DEP_2)
	v_fma_f64 v[220:221], v[212:213], v[196:197], -v[220:221]
	v_fma_f64 v[198:199], v[214:215], v[196:197], v[198:199]
	ds_load_2addr_b64 v[212:215], v222 offset0:8 offset1:9
	s_waitcnt lgkmcnt(0)
	v_mul_f64 v[196:197], v[214:215], v[198:199]
	s_delay_alu instid0(VALU_DEP_1) | instskip(SKIP_1) | instid1(VALU_DEP_2)
	v_fma_f64 v[196:197], v[212:213], v[220:221], -v[196:197]
	v_mul_f64 v[212:213], v[212:213], v[198:199]
	v_add_f64 v[192:193], v[192:193], -v[196:197]
	s_delay_alu instid0(VALU_DEP_2) | instskip(NEXT) | instid1(VALU_DEP_1)
	v_fma_f64 v[212:213], v[214:215], v[220:221], v[212:213]
	v_add_f64 v[194:195], v[194:195], -v[212:213]
	ds_load_2addr_b64 v[212:215], v222 offset0:10 offset1:11
	s_waitcnt lgkmcnt(0)
	v_mul_f64 v[196:197], v[214:215], v[198:199]
	s_delay_alu instid0(VALU_DEP_1) | instskip(SKIP_1) | instid1(VALU_DEP_2)
	v_fma_f64 v[196:197], v[212:213], v[220:221], -v[196:197]
	v_mul_f64 v[212:213], v[212:213], v[198:199]
	v_add_f64 v[188:189], v[188:189], -v[196:197]
	s_delay_alu instid0(VALU_DEP_2) | instskip(NEXT) | instid1(VALU_DEP_1)
	v_fma_f64 v[212:213], v[214:215], v[220:221], v[212:213]
	v_add_f64 v[190:191], v[190:191], -v[212:213]
	;; [unrolled: 10-line block ×48, first 2 shown]
	ds_load_2addr_b64 v[212:215], v222 offset0:104 offset1:105
	s_waitcnt lgkmcnt(0)
	v_mul_f64 v[196:197], v[214:215], v[198:199]
	s_delay_alu instid0(VALU_DEP_1) | instskip(SKIP_1) | instid1(VALU_DEP_2)
	v_fma_f64 v[196:197], v[212:213], v[220:221], -v[196:197]
	v_mul_f64 v[212:213], v[212:213], v[198:199]
	v_add_f64 v[0:1], v[0:1], -v[196:197]
	s_delay_alu instid0(VALU_DEP_2) | instskip(SKIP_1) | instid1(VALU_DEP_2)
	v_fma_f64 v[212:213], v[214:215], v[220:221], v[212:213]
	v_dual_mov_b32 v196, v220 :: v_dual_mov_b32 v197, v221
	v_add_f64 v[2:3], v[2:3], -v[212:213]
.LBB104_83:
	s_or_b32 exec_lo, exec_lo, s2
	v_lshl_add_u32 v212, v228, 4, v222
	s_barrier
	buffer_gl0_inv
	v_mov_b32_e32 v220, 4
	ds_store_2addr_b64 v212, v[192:193], v[194:195] offset1:1
	s_waitcnt lgkmcnt(0)
	s_barrier
	buffer_gl0_inv
	ds_load_2addr_b64 v[212:215], v222 offset0:8 offset1:9
	s_cmp_lt_i32 s5, 6
	s_cbranch_scc1 .LBB104_86
; %bb.84:
	v_add3_u32 v221, v226, 0, 0x50
	v_mov_b32_e32 v220, 4
	s_mov_b32 s6, 5
	s_set_inst_prefetch_distance 0x1
	.p2align	6
.LBB104_85:                             ; =>This Inner Loop Header: Depth=1
	ds_load_2addr_b64 v[229:232], v221 offset1:1
	s_waitcnt lgkmcnt(1)
	v_cmp_gt_f64_e32 vcc_lo, 0, v[212:213]
	v_xor_b32_e32 v233, 0x80000000, v213
	v_cmp_gt_f64_e64 s2, 0, v[214:215]
	v_xor_b32_e32 v235, 0x80000000, v215
	v_add_nc_u32_e32 v221, 16, v221
	s_waitcnt lgkmcnt(0)
	v_cmp_gt_f64_e64 s3, 0, v[229:230]
	v_mov_b32_e32 v237, v229
	v_dual_mov_b32 v239, v231 :: v_dual_cndmask_b32 v234, v213, v233
	v_xor_b32_e32 v233, 0x80000000, v230
	v_cndmask_b32_e64 v236, v215, v235, s2
	v_xor_b32_e32 v235, 0x80000000, v232
	s_delay_alu instid0(VALU_DEP_3) | instskip(SKIP_2) | instid1(VALU_DEP_2)
	v_cndmask_b32_e64 v238, v230, v233, s3
	v_cmp_gt_f64_e64 s3, 0, v[231:232]
	v_cndmask_b32_e32 v233, v212, v212, vcc_lo
	v_cndmask_b32_e64 v240, v232, v235, s3
	v_cndmask_b32_e64 v235, v214, v214, s2
	s_delay_alu instid0(VALU_DEP_2) | instskip(NEXT) | instid1(VALU_DEP_2)
	v_add_f64 v[237:238], v[237:238], v[239:240]
	v_add_f64 v[233:234], v[233:234], v[235:236]
	s_delay_alu instid0(VALU_DEP_1) | instskip(SKIP_4) | instid1(SALU_CYCLE_1)
	v_cmp_lt_f64_e32 vcc_lo, v[233:234], v[237:238]
	v_dual_cndmask_b32 v214, v214, v231 :: v_dual_cndmask_b32 v213, v213, v230
	v_dual_cndmask_b32 v212, v212, v229 :: v_dual_cndmask_b32 v215, v215, v232
	v_cndmask_b32_e64 v220, v220, s6, vcc_lo
	s_add_i32 s6, s6, 1
	s_cmp_lg_u32 s5, s6
	s_cbranch_scc1 .LBB104_85
.LBB104_86:
	s_set_inst_prefetch_distance 0x2
	s_waitcnt lgkmcnt(0)
	v_cmp_eq_f64_e32 vcc_lo, 0, v[212:213]
	v_cmp_eq_f64_e64 s2, 0, v[214:215]
	s_delay_alu instid0(VALU_DEP_1) | instskip(NEXT) | instid1(SALU_CYCLE_1)
	s_and_b32 s2, vcc_lo, s2
	s_and_saveexec_b32 s3, s2
	s_delay_alu instid0(SALU_CYCLE_1)
	s_xor_b32 s2, exec_lo, s3
; %bb.87:
	v_cmp_ne_u32_e32 vcc_lo, 0, v225
	v_cndmask_b32_e32 v225, 5, v225, vcc_lo
; %bb.88:
	s_and_not1_saveexec_b32 s3, s2
	s_cbranch_execz .LBB104_94
; %bb.89:
	v_cmp_gt_f64_e32 vcc_lo, 0, v[212:213]
	v_cmp_gt_f64_e64 s2, 0, v[214:215]
	v_xor_b32_e32 v221, 0x80000000, v213
	v_xor_b32_e32 v229, 0x80000000, v215
	s_delay_alu instid0(VALU_DEP_2) | instskip(NEXT) | instid1(VALU_DEP_2)
	v_cndmask_b32_e32 v230, v213, v221, vcc_lo
	v_cndmask_b32_e64 v232, v215, v229, s2
	v_cndmask_b32_e32 v229, v212, v212, vcc_lo
	v_cndmask_b32_e64 v231, v214, v214, s2
	s_mov_b32 s2, exec_lo
	s_delay_alu instid0(VALU_DEP_1)
	v_cmpx_ngt_f64_e32 v[229:230], v[231:232]
	s_xor_b32 s2, exec_lo, s2
	s_cbranch_execz .LBB104_91
; %bb.90:
	v_div_scale_f64 v[229:230], null, v[214:215], v[214:215], v[212:213]
	v_div_scale_f64 v[235:236], vcc_lo, v[212:213], v[214:215], v[212:213]
	s_delay_alu instid0(VALU_DEP_2) | instskip(SKIP_2) | instid1(VALU_DEP_1)
	v_rcp_f64_e32 v[231:232], v[229:230]
	s_waitcnt_depctr 0xfff
	v_fma_f64 v[233:234], -v[229:230], v[231:232], 1.0
	v_fma_f64 v[231:232], v[231:232], v[233:234], v[231:232]
	s_delay_alu instid0(VALU_DEP_1) | instskip(NEXT) | instid1(VALU_DEP_1)
	v_fma_f64 v[233:234], -v[229:230], v[231:232], 1.0
	v_fma_f64 v[231:232], v[231:232], v[233:234], v[231:232]
	s_delay_alu instid0(VALU_DEP_1) | instskip(NEXT) | instid1(VALU_DEP_1)
	v_mul_f64 v[233:234], v[235:236], v[231:232]
	v_fma_f64 v[229:230], -v[229:230], v[233:234], v[235:236]
	s_delay_alu instid0(VALU_DEP_1) | instskip(NEXT) | instid1(VALU_DEP_1)
	v_div_fmas_f64 v[229:230], v[229:230], v[231:232], v[233:234]
	v_div_fixup_f64 v[229:230], v[229:230], v[214:215], v[212:213]
	s_delay_alu instid0(VALU_DEP_1) | instskip(NEXT) | instid1(VALU_DEP_1)
	v_fma_f64 v[212:213], v[212:213], v[229:230], v[214:215]
	v_div_scale_f64 v[214:215], null, v[212:213], v[212:213], 1.0
	s_delay_alu instid0(VALU_DEP_1) | instskip(SKIP_2) | instid1(VALU_DEP_1)
	v_rcp_f64_e32 v[231:232], v[214:215]
	s_waitcnt_depctr 0xfff
	v_fma_f64 v[233:234], -v[214:215], v[231:232], 1.0
	v_fma_f64 v[231:232], v[231:232], v[233:234], v[231:232]
	s_delay_alu instid0(VALU_DEP_1) | instskip(NEXT) | instid1(VALU_DEP_1)
	v_fma_f64 v[233:234], -v[214:215], v[231:232], 1.0
	v_fma_f64 v[231:232], v[231:232], v[233:234], v[231:232]
	v_div_scale_f64 v[233:234], vcc_lo, 1.0, v[212:213], 1.0
	s_delay_alu instid0(VALU_DEP_1) | instskip(NEXT) | instid1(VALU_DEP_1)
	v_mul_f64 v[235:236], v[233:234], v[231:232]
	v_fma_f64 v[214:215], -v[214:215], v[235:236], v[233:234]
	s_delay_alu instid0(VALU_DEP_1) | instskip(NEXT) | instid1(VALU_DEP_1)
	v_div_fmas_f64 v[214:215], v[214:215], v[231:232], v[235:236]
	v_div_fixup_f64 v[214:215], v[214:215], v[212:213], 1.0
	s_delay_alu instid0(VALU_DEP_1)
	v_mul_f64 v[212:213], v[229:230], v[214:215]
	v_xor_b32_e32 v215, 0x80000000, v215
.LBB104_91:
	s_and_not1_saveexec_b32 s2, s2
	s_cbranch_execz .LBB104_93
; %bb.92:
	s_delay_alu instid0(VALU_DEP_1) | instskip(SKIP_1) | instid1(VALU_DEP_2)
	v_div_scale_f64 v[229:230], null, v[212:213], v[212:213], v[214:215]
	v_div_scale_f64 v[235:236], vcc_lo, v[214:215], v[212:213], v[214:215]
	v_rcp_f64_e32 v[231:232], v[229:230]
	s_waitcnt_depctr 0xfff
	v_fma_f64 v[233:234], -v[229:230], v[231:232], 1.0
	s_delay_alu instid0(VALU_DEP_1) | instskip(NEXT) | instid1(VALU_DEP_1)
	v_fma_f64 v[231:232], v[231:232], v[233:234], v[231:232]
	v_fma_f64 v[233:234], -v[229:230], v[231:232], 1.0
	s_delay_alu instid0(VALU_DEP_1) | instskip(NEXT) | instid1(VALU_DEP_1)
	v_fma_f64 v[231:232], v[231:232], v[233:234], v[231:232]
	v_mul_f64 v[233:234], v[235:236], v[231:232]
	s_delay_alu instid0(VALU_DEP_1) | instskip(NEXT) | instid1(VALU_DEP_1)
	v_fma_f64 v[229:230], -v[229:230], v[233:234], v[235:236]
	v_div_fmas_f64 v[229:230], v[229:230], v[231:232], v[233:234]
	s_delay_alu instid0(VALU_DEP_1) | instskip(NEXT) | instid1(VALU_DEP_1)
	v_div_fixup_f64 v[229:230], v[229:230], v[212:213], v[214:215]
	v_fma_f64 v[212:213], v[214:215], v[229:230], v[212:213]
	s_delay_alu instid0(VALU_DEP_1) | instskip(NEXT) | instid1(VALU_DEP_1)
	v_div_scale_f64 v[214:215], null, v[212:213], v[212:213], 1.0
	v_rcp_f64_e32 v[231:232], v[214:215]
	s_waitcnt_depctr 0xfff
	v_fma_f64 v[233:234], -v[214:215], v[231:232], 1.0
	s_delay_alu instid0(VALU_DEP_1) | instskip(NEXT) | instid1(VALU_DEP_1)
	v_fma_f64 v[231:232], v[231:232], v[233:234], v[231:232]
	v_fma_f64 v[233:234], -v[214:215], v[231:232], 1.0
	s_delay_alu instid0(VALU_DEP_1) | instskip(SKIP_1) | instid1(VALU_DEP_1)
	v_fma_f64 v[231:232], v[231:232], v[233:234], v[231:232]
	v_div_scale_f64 v[233:234], vcc_lo, 1.0, v[212:213], 1.0
	v_mul_f64 v[235:236], v[233:234], v[231:232]
	s_delay_alu instid0(VALU_DEP_1) | instskip(NEXT) | instid1(VALU_DEP_1)
	v_fma_f64 v[214:215], -v[214:215], v[235:236], v[233:234]
	v_div_fmas_f64 v[214:215], v[214:215], v[231:232], v[235:236]
	s_delay_alu instid0(VALU_DEP_1) | instskip(NEXT) | instid1(VALU_DEP_1)
	v_div_fixup_f64 v[212:213], v[214:215], v[212:213], 1.0
	v_mul_f64 v[214:215], v[229:230], -v[212:213]
.LBB104_93:
	s_or_b32 exec_lo, exec_lo, s2
.LBB104_94:
	s_delay_alu instid0(SALU_CYCLE_1) | instskip(NEXT) | instid1(SALU_CYCLE_1)
	s_or_b32 exec_lo, exec_lo, s3
	s_mov_b32 s2, exec_lo
	v_cmpx_ne_u32_e64 v228, v220
	s_xor_b32 s2, exec_lo, s2
	s_cbranch_execz .LBB104_100
; %bb.95:
	s_mov_b32 s3, exec_lo
	v_cmpx_eq_u32_e32 4, v228
	s_cbranch_execz .LBB104_99
; %bb.96:
	v_cmp_ne_u32_e32 vcc_lo, 4, v220
	s_xor_b32 s6, s4, -1
	s_delay_alu instid0(SALU_CYCLE_1) | instskip(NEXT) | instid1(SALU_CYCLE_1)
	s_and_b32 s7, s6, vcc_lo
	s_and_saveexec_b32 s6, s7
	s_cbranch_execz .LBB104_98
; %bb.97:
	v_ashrrev_i32_e32 v221, 31, v220
	s_delay_alu instid0(VALU_DEP_1) | instskip(NEXT) | instid1(VALU_DEP_1)
	v_lshlrev_b64 v[227:228], 2, v[220:221]
	v_add_co_u32 v227, vcc_lo, v218, v227
	s_delay_alu instid0(VALU_DEP_2)
	v_add_co_ci_u32_e32 v228, vcc_lo, v219, v228, vcc_lo
	s_clause 0x1
	flat_load_b32 v221, v[227:228]
	flat_load_b32 v229, v[218:219] offset:16
	s_waitcnt vmcnt(1) lgkmcnt(1)
	flat_store_b32 v[218:219], v221 offset:16
	s_waitcnt vmcnt(0) lgkmcnt(1)
	flat_store_b32 v[227:228], v229
.LBB104_98:
	s_or_b32 exec_lo, exec_lo, s6
	v_mov_b32_e32 v228, v220
	v_mov_b32_e32 v227, v220
.LBB104_99:
	s_or_b32 exec_lo, exec_lo, s3
.LBB104_100:
	s_and_not1_saveexec_b32 s2, s2
	s_cbranch_execz .LBB104_102
; %bb.101:
	v_mov_b32_e32 v228, 4
	ds_store_2addr_b64 v222, v[188:189], v[190:191] offset0:10 offset1:11
	ds_store_2addr_b64 v222, v[184:185], v[186:187] offset0:12 offset1:13
	ds_store_2addr_b64 v222, v[180:181], v[182:183] offset0:14 offset1:15
	ds_store_2addr_b64 v222, v[176:177], v[178:179] offset0:16 offset1:17
	ds_store_2addr_b64 v222, v[172:173], v[174:175] offset0:18 offset1:19
	ds_store_2addr_b64 v222, v[168:169], v[170:171] offset0:20 offset1:21
	ds_store_2addr_b64 v222, v[164:165], v[166:167] offset0:22 offset1:23
	ds_store_2addr_b64 v222, v[160:161], v[162:163] offset0:24 offset1:25
	ds_store_2addr_b64 v222, v[156:157], v[158:159] offset0:26 offset1:27
	ds_store_2addr_b64 v222, v[152:153], v[154:155] offset0:28 offset1:29
	ds_store_2addr_b64 v222, v[148:149], v[150:151] offset0:30 offset1:31
	ds_store_2addr_b64 v222, v[144:145], v[146:147] offset0:32 offset1:33
	ds_store_2addr_b64 v222, v[140:141], v[142:143] offset0:34 offset1:35
	ds_store_2addr_b64 v222, v[136:137], v[138:139] offset0:36 offset1:37
	ds_store_2addr_b64 v222, v[132:133], v[134:135] offset0:38 offset1:39
	ds_store_2addr_b64 v222, v[128:129], v[130:131] offset0:40 offset1:41
	ds_store_2addr_b64 v222, v[124:125], v[126:127] offset0:42 offset1:43
	ds_store_2addr_b64 v222, v[120:121], v[122:123] offset0:44 offset1:45
	ds_store_2addr_b64 v222, v[116:117], v[118:119] offset0:46 offset1:47
	ds_store_2addr_b64 v222, v[112:113], v[114:115] offset0:48 offset1:49
	ds_store_2addr_b64 v222, v[108:109], v[110:111] offset0:50 offset1:51
	ds_store_2addr_b64 v222, v[104:105], v[106:107] offset0:52 offset1:53
	ds_store_2addr_b64 v222, v[100:101], v[102:103] offset0:54 offset1:55
	ds_store_2addr_b64 v222, v[96:97], v[98:99] offset0:56 offset1:57
	ds_store_2addr_b64 v222, v[92:93], v[94:95] offset0:58 offset1:59
	ds_store_2addr_b64 v222, v[88:89], v[90:91] offset0:60 offset1:61
	ds_store_2addr_b64 v222, v[84:85], v[86:87] offset0:62 offset1:63
	ds_store_2addr_b64 v222, v[80:81], v[82:83] offset0:64 offset1:65
	ds_store_2addr_b64 v222, v[76:77], v[78:79] offset0:66 offset1:67
	ds_store_2addr_b64 v222, v[72:73], v[74:75] offset0:68 offset1:69
	ds_store_2addr_b64 v222, v[68:69], v[70:71] offset0:70 offset1:71
	ds_store_2addr_b64 v222, v[64:65], v[66:67] offset0:72 offset1:73
	ds_store_2addr_b64 v222, v[60:61], v[62:63] offset0:74 offset1:75
	ds_store_2addr_b64 v222, v[56:57], v[58:59] offset0:76 offset1:77
	ds_store_2addr_b64 v222, v[52:53], v[54:55] offset0:78 offset1:79
	ds_store_2addr_b64 v222, v[48:49], v[50:51] offset0:80 offset1:81
	ds_store_2addr_b64 v222, v[44:45], v[46:47] offset0:82 offset1:83
	ds_store_2addr_b64 v222, v[40:41], v[42:43] offset0:84 offset1:85
	ds_store_2addr_b64 v222, v[36:37], v[38:39] offset0:86 offset1:87
	ds_store_2addr_b64 v222, v[32:33], v[34:35] offset0:88 offset1:89
	ds_store_2addr_b64 v222, v[28:29], v[30:31] offset0:90 offset1:91
	ds_store_2addr_b64 v222, v[24:25], v[26:27] offset0:92 offset1:93
	ds_store_2addr_b64 v222, v[20:21], v[22:23] offset0:94 offset1:95
	ds_store_2addr_b64 v222, v[16:17], v[18:19] offset0:96 offset1:97
	ds_store_2addr_b64 v222, v[12:13], v[14:15] offset0:98 offset1:99
	ds_store_2addr_b64 v222, v[8:9], v[10:11] offset0:100 offset1:101
	ds_store_2addr_b64 v222, v[4:5], v[6:7] offset0:102 offset1:103
	ds_store_2addr_b64 v222, v[0:1], v[2:3] offset0:104 offset1:105
.LBB104_102:
	s_or_b32 exec_lo, exec_lo, s2
	s_delay_alu instid0(SALU_CYCLE_1)
	s_mov_b32 s2, exec_lo
	s_waitcnt lgkmcnt(0)
	s_waitcnt_vscnt null, 0x0
	s_barrier
	buffer_gl0_inv
	v_cmpx_lt_i32_e32 4, v228
	s_cbranch_execz .LBB104_104
; %bb.103:
	v_mul_f64 v[220:221], v[214:215], v[194:195]
	v_mul_f64 v[194:195], v[212:213], v[194:195]
	s_delay_alu instid0(VALU_DEP_2) | instskip(NEXT) | instid1(VALU_DEP_2)
	v_fma_f64 v[220:221], v[212:213], v[192:193], -v[220:221]
	v_fma_f64 v[194:195], v[214:215], v[192:193], v[194:195]
	ds_load_2addr_b64 v[212:215], v222 offset0:10 offset1:11
	s_waitcnt lgkmcnt(0)
	v_mul_f64 v[192:193], v[214:215], v[194:195]
	s_delay_alu instid0(VALU_DEP_1) | instskip(SKIP_1) | instid1(VALU_DEP_2)
	v_fma_f64 v[192:193], v[212:213], v[220:221], -v[192:193]
	v_mul_f64 v[212:213], v[212:213], v[194:195]
	v_add_f64 v[188:189], v[188:189], -v[192:193]
	s_delay_alu instid0(VALU_DEP_2) | instskip(NEXT) | instid1(VALU_DEP_1)
	v_fma_f64 v[212:213], v[214:215], v[220:221], v[212:213]
	v_add_f64 v[190:191], v[190:191], -v[212:213]
	ds_load_2addr_b64 v[212:215], v222 offset0:12 offset1:13
	s_waitcnt lgkmcnt(0)
	v_mul_f64 v[192:193], v[214:215], v[194:195]
	s_delay_alu instid0(VALU_DEP_1) | instskip(SKIP_1) | instid1(VALU_DEP_2)
	v_fma_f64 v[192:193], v[212:213], v[220:221], -v[192:193]
	v_mul_f64 v[212:213], v[212:213], v[194:195]
	v_add_f64 v[184:185], v[184:185], -v[192:193]
	s_delay_alu instid0(VALU_DEP_2) | instskip(NEXT) | instid1(VALU_DEP_1)
	v_fma_f64 v[212:213], v[214:215], v[220:221], v[212:213]
	v_add_f64 v[186:187], v[186:187], -v[212:213]
	;; [unrolled: 10-line block ×47, first 2 shown]
	ds_load_2addr_b64 v[212:215], v222 offset0:104 offset1:105
	s_waitcnt lgkmcnt(0)
	v_mul_f64 v[192:193], v[214:215], v[194:195]
	s_delay_alu instid0(VALU_DEP_1) | instskip(SKIP_1) | instid1(VALU_DEP_2)
	v_fma_f64 v[192:193], v[212:213], v[220:221], -v[192:193]
	v_mul_f64 v[212:213], v[212:213], v[194:195]
	v_add_f64 v[0:1], v[0:1], -v[192:193]
	s_delay_alu instid0(VALU_DEP_2) | instskip(SKIP_1) | instid1(VALU_DEP_2)
	v_fma_f64 v[212:213], v[214:215], v[220:221], v[212:213]
	v_dual_mov_b32 v192, v220 :: v_dual_mov_b32 v193, v221
	v_add_f64 v[2:3], v[2:3], -v[212:213]
.LBB104_104:
	s_or_b32 exec_lo, exec_lo, s2
	v_lshl_add_u32 v212, v228, 4, v222
	s_barrier
	buffer_gl0_inv
	v_mov_b32_e32 v220, 5
	ds_store_2addr_b64 v212, v[188:189], v[190:191] offset1:1
	s_waitcnt lgkmcnt(0)
	s_barrier
	buffer_gl0_inv
	ds_load_2addr_b64 v[212:215], v222 offset0:10 offset1:11
	s_cmp_lt_i32 s5, 7
	s_cbranch_scc1 .LBB104_107
; %bb.105:
	v_add3_u32 v221, v226, 0, 0x60
	v_mov_b32_e32 v220, 5
	s_mov_b32 s6, 6
	s_set_inst_prefetch_distance 0x1
	.p2align	6
.LBB104_106:                            ; =>This Inner Loop Header: Depth=1
	ds_load_2addr_b64 v[229:232], v221 offset1:1
	s_waitcnt lgkmcnt(1)
	v_cmp_gt_f64_e32 vcc_lo, 0, v[212:213]
	v_xor_b32_e32 v233, 0x80000000, v213
	v_cmp_gt_f64_e64 s2, 0, v[214:215]
	v_xor_b32_e32 v235, 0x80000000, v215
	v_add_nc_u32_e32 v221, 16, v221
	s_waitcnt lgkmcnt(0)
	v_cmp_gt_f64_e64 s3, 0, v[229:230]
	v_mov_b32_e32 v237, v229
	v_dual_mov_b32 v239, v231 :: v_dual_cndmask_b32 v234, v213, v233
	v_xor_b32_e32 v233, 0x80000000, v230
	v_cndmask_b32_e64 v236, v215, v235, s2
	v_xor_b32_e32 v235, 0x80000000, v232
	s_delay_alu instid0(VALU_DEP_3) | instskip(SKIP_2) | instid1(VALU_DEP_2)
	v_cndmask_b32_e64 v238, v230, v233, s3
	v_cmp_gt_f64_e64 s3, 0, v[231:232]
	v_cndmask_b32_e32 v233, v212, v212, vcc_lo
	v_cndmask_b32_e64 v240, v232, v235, s3
	v_cndmask_b32_e64 v235, v214, v214, s2
	s_delay_alu instid0(VALU_DEP_2) | instskip(NEXT) | instid1(VALU_DEP_2)
	v_add_f64 v[237:238], v[237:238], v[239:240]
	v_add_f64 v[233:234], v[233:234], v[235:236]
	s_delay_alu instid0(VALU_DEP_1) | instskip(SKIP_4) | instid1(SALU_CYCLE_1)
	v_cmp_lt_f64_e32 vcc_lo, v[233:234], v[237:238]
	v_dual_cndmask_b32 v214, v214, v231 :: v_dual_cndmask_b32 v213, v213, v230
	v_dual_cndmask_b32 v212, v212, v229 :: v_dual_cndmask_b32 v215, v215, v232
	v_cndmask_b32_e64 v220, v220, s6, vcc_lo
	s_add_i32 s6, s6, 1
	s_cmp_lg_u32 s5, s6
	s_cbranch_scc1 .LBB104_106
.LBB104_107:
	s_set_inst_prefetch_distance 0x2
	s_waitcnt lgkmcnt(0)
	v_cmp_eq_f64_e32 vcc_lo, 0, v[212:213]
	v_cmp_eq_f64_e64 s2, 0, v[214:215]
	s_delay_alu instid0(VALU_DEP_1) | instskip(NEXT) | instid1(SALU_CYCLE_1)
	s_and_b32 s2, vcc_lo, s2
	s_and_saveexec_b32 s3, s2
	s_delay_alu instid0(SALU_CYCLE_1)
	s_xor_b32 s2, exec_lo, s3
; %bb.108:
	v_cmp_ne_u32_e32 vcc_lo, 0, v225
	v_cndmask_b32_e32 v225, 6, v225, vcc_lo
; %bb.109:
	s_and_not1_saveexec_b32 s3, s2
	s_cbranch_execz .LBB104_115
; %bb.110:
	v_cmp_gt_f64_e32 vcc_lo, 0, v[212:213]
	v_cmp_gt_f64_e64 s2, 0, v[214:215]
	v_xor_b32_e32 v221, 0x80000000, v213
	v_xor_b32_e32 v229, 0x80000000, v215
	s_delay_alu instid0(VALU_DEP_2) | instskip(NEXT) | instid1(VALU_DEP_2)
	v_cndmask_b32_e32 v230, v213, v221, vcc_lo
	v_cndmask_b32_e64 v232, v215, v229, s2
	v_cndmask_b32_e32 v229, v212, v212, vcc_lo
	v_cndmask_b32_e64 v231, v214, v214, s2
	s_mov_b32 s2, exec_lo
	s_delay_alu instid0(VALU_DEP_1)
	v_cmpx_ngt_f64_e32 v[229:230], v[231:232]
	s_xor_b32 s2, exec_lo, s2
	s_cbranch_execz .LBB104_112
; %bb.111:
	v_div_scale_f64 v[229:230], null, v[214:215], v[214:215], v[212:213]
	v_div_scale_f64 v[235:236], vcc_lo, v[212:213], v[214:215], v[212:213]
	s_delay_alu instid0(VALU_DEP_2) | instskip(SKIP_2) | instid1(VALU_DEP_1)
	v_rcp_f64_e32 v[231:232], v[229:230]
	s_waitcnt_depctr 0xfff
	v_fma_f64 v[233:234], -v[229:230], v[231:232], 1.0
	v_fma_f64 v[231:232], v[231:232], v[233:234], v[231:232]
	s_delay_alu instid0(VALU_DEP_1) | instskip(NEXT) | instid1(VALU_DEP_1)
	v_fma_f64 v[233:234], -v[229:230], v[231:232], 1.0
	v_fma_f64 v[231:232], v[231:232], v[233:234], v[231:232]
	s_delay_alu instid0(VALU_DEP_1) | instskip(NEXT) | instid1(VALU_DEP_1)
	v_mul_f64 v[233:234], v[235:236], v[231:232]
	v_fma_f64 v[229:230], -v[229:230], v[233:234], v[235:236]
	s_delay_alu instid0(VALU_DEP_1) | instskip(NEXT) | instid1(VALU_DEP_1)
	v_div_fmas_f64 v[229:230], v[229:230], v[231:232], v[233:234]
	v_div_fixup_f64 v[229:230], v[229:230], v[214:215], v[212:213]
	s_delay_alu instid0(VALU_DEP_1) | instskip(NEXT) | instid1(VALU_DEP_1)
	v_fma_f64 v[212:213], v[212:213], v[229:230], v[214:215]
	v_div_scale_f64 v[214:215], null, v[212:213], v[212:213], 1.0
	s_delay_alu instid0(VALU_DEP_1) | instskip(SKIP_2) | instid1(VALU_DEP_1)
	v_rcp_f64_e32 v[231:232], v[214:215]
	s_waitcnt_depctr 0xfff
	v_fma_f64 v[233:234], -v[214:215], v[231:232], 1.0
	v_fma_f64 v[231:232], v[231:232], v[233:234], v[231:232]
	s_delay_alu instid0(VALU_DEP_1) | instskip(NEXT) | instid1(VALU_DEP_1)
	v_fma_f64 v[233:234], -v[214:215], v[231:232], 1.0
	v_fma_f64 v[231:232], v[231:232], v[233:234], v[231:232]
	v_div_scale_f64 v[233:234], vcc_lo, 1.0, v[212:213], 1.0
	s_delay_alu instid0(VALU_DEP_1) | instskip(NEXT) | instid1(VALU_DEP_1)
	v_mul_f64 v[235:236], v[233:234], v[231:232]
	v_fma_f64 v[214:215], -v[214:215], v[235:236], v[233:234]
	s_delay_alu instid0(VALU_DEP_1) | instskip(NEXT) | instid1(VALU_DEP_1)
	v_div_fmas_f64 v[214:215], v[214:215], v[231:232], v[235:236]
	v_div_fixup_f64 v[214:215], v[214:215], v[212:213], 1.0
	s_delay_alu instid0(VALU_DEP_1)
	v_mul_f64 v[212:213], v[229:230], v[214:215]
	v_xor_b32_e32 v215, 0x80000000, v215
.LBB104_112:
	s_and_not1_saveexec_b32 s2, s2
	s_cbranch_execz .LBB104_114
; %bb.113:
	s_delay_alu instid0(VALU_DEP_1) | instskip(SKIP_1) | instid1(VALU_DEP_2)
	v_div_scale_f64 v[229:230], null, v[212:213], v[212:213], v[214:215]
	v_div_scale_f64 v[235:236], vcc_lo, v[214:215], v[212:213], v[214:215]
	v_rcp_f64_e32 v[231:232], v[229:230]
	s_waitcnt_depctr 0xfff
	v_fma_f64 v[233:234], -v[229:230], v[231:232], 1.0
	s_delay_alu instid0(VALU_DEP_1) | instskip(NEXT) | instid1(VALU_DEP_1)
	v_fma_f64 v[231:232], v[231:232], v[233:234], v[231:232]
	v_fma_f64 v[233:234], -v[229:230], v[231:232], 1.0
	s_delay_alu instid0(VALU_DEP_1) | instskip(NEXT) | instid1(VALU_DEP_1)
	v_fma_f64 v[231:232], v[231:232], v[233:234], v[231:232]
	v_mul_f64 v[233:234], v[235:236], v[231:232]
	s_delay_alu instid0(VALU_DEP_1) | instskip(NEXT) | instid1(VALU_DEP_1)
	v_fma_f64 v[229:230], -v[229:230], v[233:234], v[235:236]
	v_div_fmas_f64 v[229:230], v[229:230], v[231:232], v[233:234]
	s_delay_alu instid0(VALU_DEP_1) | instskip(NEXT) | instid1(VALU_DEP_1)
	v_div_fixup_f64 v[229:230], v[229:230], v[212:213], v[214:215]
	v_fma_f64 v[212:213], v[214:215], v[229:230], v[212:213]
	s_delay_alu instid0(VALU_DEP_1) | instskip(NEXT) | instid1(VALU_DEP_1)
	v_div_scale_f64 v[214:215], null, v[212:213], v[212:213], 1.0
	v_rcp_f64_e32 v[231:232], v[214:215]
	s_waitcnt_depctr 0xfff
	v_fma_f64 v[233:234], -v[214:215], v[231:232], 1.0
	s_delay_alu instid0(VALU_DEP_1) | instskip(NEXT) | instid1(VALU_DEP_1)
	v_fma_f64 v[231:232], v[231:232], v[233:234], v[231:232]
	v_fma_f64 v[233:234], -v[214:215], v[231:232], 1.0
	s_delay_alu instid0(VALU_DEP_1) | instskip(SKIP_1) | instid1(VALU_DEP_1)
	v_fma_f64 v[231:232], v[231:232], v[233:234], v[231:232]
	v_div_scale_f64 v[233:234], vcc_lo, 1.0, v[212:213], 1.0
	v_mul_f64 v[235:236], v[233:234], v[231:232]
	s_delay_alu instid0(VALU_DEP_1) | instskip(NEXT) | instid1(VALU_DEP_1)
	v_fma_f64 v[214:215], -v[214:215], v[235:236], v[233:234]
	v_div_fmas_f64 v[214:215], v[214:215], v[231:232], v[235:236]
	s_delay_alu instid0(VALU_DEP_1) | instskip(NEXT) | instid1(VALU_DEP_1)
	v_div_fixup_f64 v[212:213], v[214:215], v[212:213], 1.0
	v_mul_f64 v[214:215], v[229:230], -v[212:213]
.LBB104_114:
	s_or_b32 exec_lo, exec_lo, s2
.LBB104_115:
	s_delay_alu instid0(SALU_CYCLE_1) | instskip(NEXT) | instid1(SALU_CYCLE_1)
	s_or_b32 exec_lo, exec_lo, s3
	s_mov_b32 s2, exec_lo
	v_cmpx_ne_u32_e64 v228, v220
	s_xor_b32 s2, exec_lo, s2
	s_cbranch_execz .LBB104_121
; %bb.116:
	s_mov_b32 s3, exec_lo
	v_cmpx_eq_u32_e32 5, v228
	s_cbranch_execz .LBB104_120
; %bb.117:
	v_cmp_ne_u32_e32 vcc_lo, 5, v220
	s_xor_b32 s6, s4, -1
	s_delay_alu instid0(SALU_CYCLE_1) | instskip(NEXT) | instid1(SALU_CYCLE_1)
	s_and_b32 s7, s6, vcc_lo
	s_and_saveexec_b32 s6, s7
	s_cbranch_execz .LBB104_119
; %bb.118:
	v_ashrrev_i32_e32 v221, 31, v220
	s_delay_alu instid0(VALU_DEP_1) | instskip(NEXT) | instid1(VALU_DEP_1)
	v_lshlrev_b64 v[227:228], 2, v[220:221]
	v_add_co_u32 v227, vcc_lo, v218, v227
	s_delay_alu instid0(VALU_DEP_2)
	v_add_co_ci_u32_e32 v228, vcc_lo, v219, v228, vcc_lo
	s_clause 0x1
	flat_load_b32 v221, v[227:228]
	flat_load_b32 v229, v[218:219] offset:20
	s_waitcnt vmcnt(1) lgkmcnt(1)
	flat_store_b32 v[218:219], v221 offset:20
	s_waitcnt vmcnt(0) lgkmcnt(1)
	flat_store_b32 v[227:228], v229
.LBB104_119:
	s_or_b32 exec_lo, exec_lo, s6
	v_mov_b32_e32 v228, v220
	v_mov_b32_e32 v227, v220
.LBB104_120:
	s_or_b32 exec_lo, exec_lo, s3
.LBB104_121:
	s_and_not1_saveexec_b32 s2, s2
	s_cbranch_execz .LBB104_123
; %bb.122:
	v_mov_b32_e32 v228, 5
	ds_store_2addr_b64 v222, v[184:185], v[186:187] offset0:12 offset1:13
	ds_store_2addr_b64 v222, v[180:181], v[182:183] offset0:14 offset1:15
	;; [unrolled: 1-line block ×47, first 2 shown]
.LBB104_123:
	s_or_b32 exec_lo, exec_lo, s2
	s_delay_alu instid0(SALU_CYCLE_1)
	s_mov_b32 s2, exec_lo
	s_waitcnt lgkmcnt(0)
	s_waitcnt_vscnt null, 0x0
	s_barrier
	buffer_gl0_inv
	v_cmpx_lt_i32_e32 5, v228
	s_cbranch_execz .LBB104_125
; %bb.124:
	v_mul_f64 v[220:221], v[214:215], v[190:191]
	v_mul_f64 v[190:191], v[212:213], v[190:191]
	s_delay_alu instid0(VALU_DEP_2) | instskip(NEXT) | instid1(VALU_DEP_2)
	v_fma_f64 v[220:221], v[212:213], v[188:189], -v[220:221]
	v_fma_f64 v[190:191], v[214:215], v[188:189], v[190:191]
	ds_load_2addr_b64 v[212:215], v222 offset0:12 offset1:13
	s_waitcnt lgkmcnt(0)
	v_mul_f64 v[188:189], v[214:215], v[190:191]
	s_delay_alu instid0(VALU_DEP_1) | instskip(SKIP_1) | instid1(VALU_DEP_2)
	v_fma_f64 v[188:189], v[212:213], v[220:221], -v[188:189]
	v_mul_f64 v[212:213], v[212:213], v[190:191]
	v_add_f64 v[184:185], v[184:185], -v[188:189]
	s_delay_alu instid0(VALU_DEP_2) | instskip(NEXT) | instid1(VALU_DEP_1)
	v_fma_f64 v[212:213], v[214:215], v[220:221], v[212:213]
	v_add_f64 v[186:187], v[186:187], -v[212:213]
	ds_load_2addr_b64 v[212:215], v222 offset0:14 offset1:15
	s_waitcnt lgkmcnt(0)
	v_mul_f64 v[188:189], v[214:215], v[190:191]
	s_delay_alu instid0(VALU_DEP_1) | instskip(SKIP_1) | instid1(VALU_DEP_2)
	v_fma_f64 v[188:189], v[212:213], v[220:221], -v[188:189]
	v_mul_f64 v[212:213], v[212:213], v[190:191]
	v_add_f64 v[180:181], v[180:181], -v[188:189]
	s_delay_alu instid0(VALU_DEP_2) | instskip(NEXT) | instid1(VALU_DEP_1)
	v_fma_f64 v[212:213], v[214:215], v[220:221], v[212:213]
	v_add_f64 v[182:183], v[182:183], -v[212:213]
	;; [unrolled: 10-line block ×46, first 2 shown]
	ds_load_2addr_b64 v[212:215], v222 offset0:104 offset1:105
	s_waitcnt lgkmcnt(0)
	v_mul_f64 v[188:189], v[214:215], v[190:191]
	s_delay_alu instid0(VALU_DEP_1) | instskip(SKIP_1) | instid1(VALU_DEP_2)
	v_fma_f64 v[188:189], v[212:213], v[220:221], -v[188:189]
	v_mul_f64 v[212:213], v[212:213], v[190:191]
	v_add_f64 v[0:1], v[0:1], -v[188:189]
	s_delay_alu instid0(VALU_DEP_2) | instskip(SKIP_1) | instid1(VALU_DEP_2)
	v_fma_f64 v[212:213], v[214:215], v[220:221], v[212:213]
	v_dual_mov_b32 v188, v220 :: v_dual_mov_b32 v189, v221
	v_add_f64 v[2:3], v[2:3], -v[212:213]
.LBB104_125:
	s_or_b32 exec_lo, exec_lo, s2
	v_lshl_add_u32 v212, v228, 4, v222
	s_barrier
	buffer_gl0_inv
	v_mov_b32_e32 v220, 6
	ds_store_2addr_b64 v212, v[184:185], v[186:187] offset1:1
	s_waitcnt lgkmcnt(0)
	s_barrier
	buffer_gl0_inv
	ds_load_2addr_b64 v[212:215], v222 offset0:12 offset1:13
	s_cmp_lt_i32 s5, 8
	s_cbranch_scc1 .LBB104_128
; %bb.126:
	v_add3_u32 v221, v226, 0, 0x70
	v_mov_b32_e32 v220, 6
	s_mov_b32 s6, 7
	s_set_inst_prefetch_distance 0x1
	.p2align	6
.LBB104_127:                            ; =>This Inner Loop Header: Depth=1
	ds_load_2addr_b64 v[229:232], v221 offset1:1
	s_waitcnt lgkmcnt(1)
	v_cmp_gt_f64_e32 vcc_lo, 0, v[212:213]
	v_xor_b32_e32 v233, 0x80000000, v213
	v_cmp_gt_f64_e64 s2, 0, v[214:215]
	v_xor_b32_e32 v235, 0x80000000, v215
	v_add_nc_u32_e32 v221, 16, v221
	s_waitcnt lgkmcnt(0)
	v_cmp_gt_f64_e64 s3, 0, v[229:230]
	v_mov_b32_e32 v237, v229
	v_dual_mov_b32 v239, v231 :: v_dual_cndmask_b32 v234, v213, v233
	v_xor_b32_e32 v233, 0x80000000, v230
	v_cndmask_b32_e64 v236, v215, v235, s2
	v_xor_b32_e32 v235, 0x80000000, v232
	s_delay_alu instid0(VALU_DEP_3) | instskip(SKIP_2) | instid1(VALU_DEP_2)
	v_cndmask_b32_e64 v238, v230, v233, s3
	v_cmp_gt_f64_e64 s3, 0, v[231:232]
	v_cndmask_b32_e32 v233, v212, v212, vcc_lo
	v_cndmask_b32_e64 v240, v232, v235, s3
	v_cndmask_b32_e64 v235, v214, v214, s2
	s_delay_alu instid0(VALU_DEP_2) | instskip(NEXT) | instid1(VALU_DEP_2)
	v_add_f64 v[237:238], v[237:238], v[239:240]
	v_add_f64 v[233:234], v[233:234], v[235:236]
	s_delay_alu instid0(VALU_DEP_1) | instskip(SKIP_4) | instid1(SALU_CYCLE_1)
	v_cmp_lt_f64_e32 vcc_lo, v[233:234], v[237:238]
	v_dual_cndmask_b32 v214, v214, v231 :: v_dual_cndmask_b32 v213, v213, v230
	v_dual_cndmask_b32 v212, v212, v229 :: v_dual_cndmask_b32 v215, v215, v232
	v_cndmask_b32_e64 v220, v220, s6, vcc_lo
	s_add_i32 s6, s6, 1
	s_cmp_lg_u32 s5, s6
	s_cbranch_scc1 .LBB104_127
.LBB104_128:
	s_set_inst_prefetch_distance 0x2
	s_waitcnt lgkmcnt(0)
	v_cmp_eq_f64_e32 vcc_lo, 0, v[212:213]
	v_cmp_eq_f64_e64 s2, 0, v[214:215]
	s_delay_alu instid0(VALU_DEP_1) | instskip(NEXT) | instid1(SALU_CYCLE_1)
	s_and_b32 s2, vcc_lo, s2
	s_and_saveexec_b32 s3, s2
	s_delay_alu instid0(SALU_CYCLE_1)
	s_xor_b32 s2, exec_lo, s3
; %bb.129:
	v_cmp_ne_u32_e32 vcc_lo, 0, v225
	v_cndmask_b32_e32 v225, 7, v225, vcc_lo
; %bb.130:
	s_and_not1_saveexec_b32 s3, s2
	s_cbranch_execz .LBB104_136
; %bb.131:
	v_cmp_gt_f64_e32 vcc_lo, 0, v[212:213]
	v_cmp_gt_f64_e64 s2, 0, v[214:215]
	v_xor_b32_e32 v221, 0x80000000, v213
	v_xor_b32_e32 v229, 0x80000000, v215
	s_delay_alu instid0(VALU_DEP_2) | instskip(NEXT) | instid1(VALU_DEP_2)
	v_cndmask_b32_e32 v230, v213, v221, vcc_lo
	v_cndmask_b32_e64 v232, v215, v229, s2
	v_cndmask_b32_e32 v229, v212, v212, vcc_lo
	v_cndmask_b32_e64 v231, v214, v214, s2
	s_mov_b32 s2, exec_lo
	s_delay_alu instid0(VALU_DEP_1)
	v_cmpx_ngt_f64_e32 v[229:230], v[231:232]
	s_xor_b32 s2, exec_lo, s2
	s_cbranch_execz .LBB104_133
; %bb.132:
	v_div_scale_f64 v[229:230], null, v[214:215], v[214:215], v[212:213]
	v_div_scale_f64 v[235:236], vcc_lo, v[212:213], v[214:215], v[212:213]
	s_delay_alu instid0(VALU_DEP_2) | instskip(SKIP_2) | instid1(VALU_DEP_1)
	v_rcp_f64_e32 v[231:232], v[229:230]
	s_waitcnt_depctr 0xfff
	v_fma_f64 v[233:234], -v[229:230], v[231:232], 1.0
	v_fma_f64 v[231:232], v[231:232], v[233:234], v[231:232]
	s_delay_alu instid0(VALU_DEP_1) | instskip(NEXT) | instid1(VALU_DEP_1)
	v_fma_f64 v[233:234], -v[229:230], v[231:232], 1.0
	v_fma_f64 v[231:232], v[231:232], v[233:234], v[231:232]
	s_delay_alu instid0(VALU_DEP_1) | instskip(NEXT) | instid1(VALU_DEP_1)
	v_mul_f64 v[233:234], v[235:236], v[231:232]
	v_fma_f64 v[229:230], -v[229:230], v[233:234], v[235:236]
	s_delay_alu instid0(VALU_DEP_1) | instskip(NEXT) | instid1(VALU_DEP_1)
	v_div_fmas_f64 v[229:230], v[229:230], v[231:232], v[233:234]
	v_div_fixup_f64 v[229:230], v[229:230], v[214:215], v[212:213]
	s_delay_alu instid0(VALU_DEP_1) | instskip(NEXT) | instid1(VALU_DEP_1)
	v_fma_f64 v[212:213], v[212:213], v[229:230], v[214:215]
	v_div_scale_f64 v[214:215], null, v[212:213], v[212:213], 1.0
	s_delay_alu instid0(VALU_DEP_1) | instskip(SKIP_2) | instid1(VALU_DEP_1)
	v_rcp_f64_e32 v[231:232], v[214:215]
	s_waitcnt_depctr 0xfff
	v_fma_f64 v[233:234], -v[214:215], v[231:232], 1.0
	v_fma_f64 v[231:232], v[231:232], v[233:234], v[231:232]
	s_delay_alu instid0(VALU_DEP_1) | instskip(NEXT) | instid1(VALU_DEP_1)
	v_fma_f64 v[233:234], -v[214:215], v[231:232], 1.0
	v_fma_f64 v[231:232], v[231:232], v[233:234], v[231:232]
	v_div_scale_f64 v[233:234], vcc_lo, 1.0, v[212:213], 1.0
	s_delay_alu instid0(VALU_DEP_1) | instskip(NEXT) | instid1(VALU_DEP_1)
	v_mul_f64 v[235:236], v[233:234], v[231:232]
	v_fma_f64 v[214:215], -v[214:215], v[235:236], v[233:234]
	s_delay_alu instid0(VALU_DEP_1) | instskip(NEXT) | instid1(VALU_DEP_1)
	v_div_fmas_f64 v[214:215], v[214:215], v[231:232], v[235:236]
	v_div_fixup_f64 v[214:215], v[214:215], v[212:213], 1.0
	s_delay_alu instid0(VALU_DEP_1)
	v_mul_f64 v[212:213], v[229:230], v[214:215]
	v_xor_b32_e32 v215, 0x80000000, v215
.LBB104_133:
	s_and_not1_saveexec_b32 s2, s2
	s_cbranch_execz .LBB104_135
; %bb.134:
	s_delay_alu instid0(VALU_DEP_1) | instskip(SKIP_1) | instid1(VALU_DEP_2)
	v_div_scale_f64 v[229:230], null, v[212:213], v[212:213], v[214:215]
	v_div_scale_f64 v[235:236], vcc_lo, v[214:215], v[212:213], v[214:215]
	v_rcp_f64_e32 v[231:232], v[229:230]
	s_waitcnt_depctr 0xfff
	v_fma_f64 v[233:234], -v[229:230], v[231:232], 1.0
	s_delay_alu instid0(VALU_DEP_1) | instskip(NEXT) | instid1(VALU_DEP_1)
	v_fma_f64 v[231:232], v[231:232], v[233:234], v[231:232]
	v_fma_f64 v[233:234], -v[229:230], v[231:232], 1.0
	s_delay_alu instid0(VALU_DEP_1) | instskip(NEXT) | instid1(VALU_DEP_1)
	v_fma_f64 v[231:232], v[231:232], v[233:234], v[231:232]
	v_mul_f64 v[233:234], v[235:236], v[231:232]
	s_delay_alu instid0(VALU_DEP_1) | instskip(NEXT) | instid1(VALU_DEP_1)
	v_fma_f64 v[229:230], -v[229:230], v[233:234], v[235:236]
	v_div_fmas_f64 v[229:230], v[229:230], v[231:232], v[233:234]
	s_delay_alu instid0(VALU_DEP_1) | instskip(NEXT) | instid1(VALU_DEP_1)
	v_div_fixup_f64 v[229:230], v[229:230], v[212:213], v[214:215]
	v_fma_f64 v[212:213], v[214:215], v[229:230], v[212:213]
	s_delay_alu instid0(VALU_DEP_1) | instskip(NEXT) | instid1(VALU_DEP_1)
	v_div_scale_f64 v[214:215], null, v[212:213], v[212:213], 1.0
	v_rcp_f64_e32 v[231:232], v[214:215]
	s_waitcnt_depctr 0xfff
	v_fma_f64 v[233:234], -v[214:215], v[231:232], 1.0
	s_delay_alu instid0(VALU_DEP_1) | instskip(NEXT) | instid1(VALU_DEP_1)
	v_fma_f64 v[231:232], v[231:232], v[233:234], v[231:232]
	v_fma_f64 v[233:234], -v[214:215], v[231:232], 1.0
	s_delay_alu instid0(VALU_DEP_1) | instskip(SKIP_1) | instid1(VALU_DEP_1)
	v_fma_f64 v[231:232], v[231:232], v[233:234], v[231:232]
	v_div_scale_f64 v[233:234], vcc_lo, 1.0, v[212:213], 1.0
	v_mul_f64 v[235:236], v[233:234], v[231:232]
	s_delay_alu instid0(VALU_DEP_1) | instskip(NEXT) | instid1(VALU_DEP_1)
	v_fma_f64 v[214:215], -v[214:215], v[235:236], v[233:234]
	v_div_fmas_f64 v[214:215], v[214:215], v[231:232], v[235:236]
	s_delay_alu instid0(VALU_DEP_1) | instskip(NEXT) | instid1(VALU_DEP_1)
	v_div_fixup_f64 v[212:213], v[214:215], v[212:213], 1.0
	v_mul_f64 v[214:215], v[229:230], -v[212:213]
.LBB104_135:
	s_or_b32 exec_lo, exec_lo, s2
.LBB104_136:
	s_delay_alu instid0(SALU_CYCLE_1) | instskip(NEXT) | instid1(SALU_CYCLE_1)
	s_or_b32 exec_lo, exec_lo, s3
	s_mov_b32 s2, exec_lo
	v_cmpx_ne_u32_e64 v228, v220
	s_xor_b32 s2, exec_lo, s2
	s_cbranch_execz .LBB104_142
; %bb.137:
	s_mov_b32 s3, exec_lo
	v_cmpx_eq_u32_e32 6, v228
	s_cbranch_execz .LBB104_141
; %bb.138:
	v_cmp_ne_u32_e32 vcc_lo, 6, v220
	s_xor_b32 s6, s4, -1
	s_delay_alu instid0(SALU_CYCLE_1) | instskip(NEXT) | instid1(SALU_CYCLE_1)
	s_and_b32 s7, s6, vcc_lo
	s_and_saveexec_b32 s6, s7
	s_cbranch_execz .LBB104_140
; %bb.139:
	v_ashrrev_i32_e32 v221, 31, v220
	s_delay_alu instid0(VALU_DEP_1) | instskip(NEXT) | instid1(VALU_DEP_1)
	v_lshlrev_b64 v[227:228], 2, v[220:221]
	v_add_co_u32 v227, vcc_lo, v218, v227
	s_delay_alu instid0(VALU_DEP_2)
	v_add_co_ci_u32_e32 v228, vcc_lo, v219, v228, vcc_lo
	s_clause 0x1
	flat_load_b32 v221, v[227:228]
	flat_load_b32 v229, v[218:219] offset:24
	s_waitcnt vmcnt(1) lgkmcnt(1)
	flat_store_b32 v[218:219], v221 offset:24
	s_waitcnt vmcnt(0) lgkmcnt(1)
	flat_store_b32 v[227:228], v229
.LBB104_140:
	s_or_b32 exec_lo, exec_lo, s6
	v_mov_b32_e32 v228, v220
	v_mov_b32_e32 v227, v220
.LBB104_141:
	s_or_b32 exec_lo, exec_lo, s3
.LBB104_142:
	s_and_not1_saveexec_b32 s2, s2
	s_cbranch_execz .LBB104_144
; %bb.143:
	v_mov_b32_e32 v228, 6
	ds_store_2addr_b64 v222, v[180:181], v[182:183] offset0:14 offset1:15
	ds_store_2addr_b64 v222, v[176:177], v[178:179] offset0:16 offset1:17
	;; [unrolled: 1-line block ×46, first 2 shown]
.LBB104_144:
	s_or_b32 exec_lo, exec_lo, s2
	s_delay_alu instid0(SALU_CYCLE_1)
	s_mov_b32 s2, exec_lo
	s_waitcnt lgkmcnt(0)
	s_waitcnt_vscnt null, 0x0
	s_barrier
	buffer_gl0_inv
	v_cmpx_lt_i32_e32 6, v228
	s_cbranch_execz .LBB104_146
; %bb.145:
	v_mul_f64 v[220:221], v[214:215], v[186:187]
	v_mul_f64 v[186:187], v[212:213], v[186:187]
	s_delay_alu instid0(VALU_DEP_2) | instskip(NEXT) | instid1(VALU_DEP_2)
	v_fma_f64 v[220:221], v[212:213], v[184:185], -v[220:221]
	v_fma_f64 v[186:187], v[214:215], v[184:185], v[186:187]
	ds_load_2addr_b64 v[212:215], v222 offset0:14 offset1:15
	s_waitcnt lgkmcnt(0)
	v_mul_f64 v[184:185], v[214:215], v[186:187]
	s_delay_alu instid0(VALU_DEP_1) | instskip(SKIP_1) | instid1(VALU_DEP_2)
	v_fma_f64 v[184:185], v[212:213], v[220:221], -v[184:185]
	v_mul_f64 v[212:213], v[212:213], v[186:187]
	v_add_f64 v[180:181], v[180:181], -v[184:185]
	s_delay_alu instid0(VALU_DEP_2) | instskip(NEXT) | instid1(VALU_DEP_1)
	v_fma_f64 v[212:213], v[214:215], v[220:221], v[212:213]
	v_add_f64 v[182:183], v[182:183], -v[212:213]
	ds_load_2addr_b64 v[212:215], v222 offset0:16 offset1:17
	s_waitcnt lgkmcnt(0)
	v_mul_f64 v[184:185], v[214:215], v[186:187]
	s_delay_alu instid0(VALU_DEP_1) | instskip(SKIP_1) | instid1(VALU_DEP_2)
	v_fma_f64 v[184:185], v[212:213], v[220:221], -v[184:185]
	v_mul_f64 v[212:213], v[212:213], v[186:187]
	v_add_f64 v[176:177], v[176:177], -v[184:185]
	s_delay_alu instid0(VALU_DEP_2) | instskip(NEXT) | instid1(VALU_DEP_1)
	v_fma_f64 v[212:213], v[214:215], v[220:221], v[212:213]
	v_add_f64 v[178:179], v[178:179], -v[212:213]
	;; [unrolled: 10-line block ×45, first 2 shown]
	ds_load_2addr_b64 v[212:215], v222 offset0:104 offset1:105
	s_waitcnt lgkmcnt(0)
	v_mul_f64 v[184:185], v[214:215], v[186:187]
	s_delay_alu instid0(VALU_DEP_1) | instskip(SKIP_1) | instid1(VALU_DEP_2)
	v_fma_f64 v[184:185], v[212:213], v[220:221], -v[184:185]
	v_mul_f64 v[212:213], v[212:213], v[186:187]
	v_add_f64 v[0:1], v[0:1], -v[184:185]
	s_delay_alu instid0(VALU_DEP_2) | instskip(SKIP_1) | instid1(VALU_DEP_2)
	v_fma_f64 v[212:213], v[214:215], v[220:221], v[212:213]
	v_dual_mov_b32 v184, v220 :: v_dual_mov_b32 v185, v221
	v_add_f64 v[2:3], v[2:3], -v[212:213]
.LBB104_146:
	s_or_b32 exec_lo, exec_lo, s2
	v_lshl_add_u32 v212, v228, 4, v222
	s_barrier
	buffer_gl0_inv
	v_mov_b32_e32 v220, 7
	ds_store_2addr_b64 v212, v[180:181], v[182:183] offset1:1
	s_waitcnt lgkmcnt(0)
	s_barrier
	buffer_gl0_inv
	ds_load_2addr_b64 v[212:215], v222 offset0:14 offset1:15
	s_cmp_lt_i32 s5, 9
	s_cbranch_scc1 .LBB104_149
; %bb.147:
	v_add3_u32 v221, v226, 0, 0x80
	v_mov_b32_e32 v220, 7
	s_mov_b32 s6, 8
	s_set_inst_prefetch_distance 0x1
	.p2align	6
.LBB104_148:                            ; =>This Inner Loop Header: Depth=1
	ds_load_2addr_b64 v[229:232], v221 offset1:1
	s_waitcnt lgkmcnt(1)
	v_cmp_gt_f64_e32 vcc_lo, 0, v[212:213]
	v_xor_b32_e32 v233, 0x80000000, v213
	v_cmp_gt_f64_e64 s2, 0, v[214:215]
	v_xor_b32_e32 v235, 0x80000000, v215
	v_add_nc_u32_e32 v221, 16, v221
	s_waitcnt lgkmcnt(0)
	v_cmp_gt_f64_e64 s3, 0, v[229:230]
	v_mov_b32_e32 v237, v229
	v_dual_mov_b32 v239, v231 :: v_dual_cndmask_b32 v234, v213, v233
	v_xor_b32_e32 v233, 0x80000000, v230
	v_cndmask_b32_e64 v236, v215, v235, s2
	v_xor_b32_e32 v235, 0x80000000, v232
	s_delay_alu instid0(VALU_DEP_3) | instskip(SKIP_2) | instid1(VALU_DEP_2)
	v_cndmask_b32_e64 v238, v230, v233, s3
	v_cmp_gt_f64_e64 s3, 0, v[231:232]
	v_cndmask_b32_e32 v233, v212, v212, vcc_lo
	v_cndmask_b32_e64 v240, v232, v235, s3
	v_cndmask_b32_e64 v235, v214, v214, s2
	s_delay_alu instid0(VALU_DEP_2) | instskip(NEXT) | instid1(VALU_DEP_2)
	v_add_f64 v[237:238], v[237:238], v[239:240]
	v_add_f64 v[233:234], v[233:234], v[235:236]
	s_delay_alu instid0(VALU_DEP_1) | instskip(SKIP_4) | instid1(SALU_CYCLE_1)
	v_cmp_lt_f64_e32 vcc_lo, v[233:234], v[237:238]
	v_dual_cndmask_b32 v214, v214, v231 :: v_dual_cndmask_b32 v213, v213, v230
	v_dual_cndmask_b32 v212, v212, v229 :: v_dual_cndmask_b32 v215, v215, v232
	v_cndmask_b32_e64 v220, v220, s6, vcc_lo
	s_add_i32 s6, s6, 1
	s_cmp_lg_u32 s5, s6
	s_cbranch_scc1 .LBB104_148
.LBB104_149:
	s_set_inst_prefetch_distance 0x2
	s_waitcnt lgkmcnt(0)
	v_cmp_eq_f64_e32 vcc_lo, 0, v[212:213]
	v_cmp_eq_f64_e64 s2, 0, v[214:215]
	s_delay_alu instid0(VALU_DEP_1) | instskip(NEXT) | instid1(SALU_CYCLE_1)
	s_and_b32 s2, vcc_lo, s2
	s_and_saveexec_b32 s3, s2
	s_delay_alu instid0(SALU_CYCLE_1)
	s_xor_b32 s2, exec_lo, s3
; %bb.150:
	v_cmp_ne_u32_e32 vcc_lo, 0, v225
	v_cndmask_b32_e32 v225, 8, v225, vcc_lo
; %bb.151:
	s_and_not1_saveexec_b32 s3, s2
	s_cbranch_execz .LBB104_157
; %bb.152:
	v_cmp_gt_f64_e32 vcc_lo, 0, v[212:213]
	v_cmp_gt_f64_e64 s2, 0, v[214:215]
	v_xor_b32_e32 v221, 0x80000000, v213
	v_xor_b32_e32 v229, 0x80000000, v215
	s_delay_alu instid0(VALU_DEP_2) | instskip(NEXT) | instid1(VALU_DEP_2)
	v_cndmask_b32_e32 v230, v213, v221, vcc_lo
	v_cndmask_b32_e64 v232, v215, v229, s2
	v_cndmask_b32_e32 v229, v212, v212, vcc_lo
	v_cndmask_b32_e64 v231, v214, v214, s2
	s_mov_b32 s2, exec_lo
	s_delay_alu instid0(VALU_DEP_1)
	v_cmpx_ngt_f64_e32 v[229:230], v[231:232]
	s_xor_b32 s2, exec_lo, s2
	s_cbranch_execz .LBB104_154
; %bb.153:
	v_div_scale_f64 v[229:230], null, v[214:215], v[214:215], v[212:213]
	v_div_scale_f64 v[235:236], vcc_lo, v[212:213], v[214:215], v[212:213]
	s_delay_alu instid0(VALU_DEP_2) | instskip(SKIP_2) | instid1(VALU_DEP_1)
	v_rcp_f64_e32 v[231:232], v[229:230]
	s_waitcnt_depctr 0xfff
	v_fma_f64 v[233:234], -v[229:230], v[231:232], 1.0
	v_fma_f64 v[231:232], v[231:232], v[233:234], v[231:232]
	s_delay_alu instid0(VALU_DEP_1) | instskip(NEXT) | instid1(VALU_DEP_1)
	v_fma_f64 v[233:234], -v[229:230], v[231:232], 1.0
	v_fma_f64 v[231:232], v[231:232], v[233:234], v[231:232]
	s_delay_alu instid0(VALU_DEP_1) | instskip(NEXT) | instid1(VALU_DEP_1)
	v_mul_f64 v[233:234], v[235:236], v[231:232]
	v_fma_f64 v[229:230], -v[229:230], v[233:234], v[235:236]
	s_delay_alu instid0(VALU_DEP_1) | instskip(NEXT) | instid1(VALU_DEP_1)
	v_div_fmas_f64 v[229:230], v[229:230], v[231:232], v[233:234]
	v_div_fixup_f64 v[229:230], v[229:230], v[214:215], v[212:213]
	s_delay_alu instid0(VALU_DEP_1) | instskip(NEXT) | instid1(VALU_DEP_1)
	v_fma_f64 v[212:213], v[212:213], v[229:230], v[214:215]
	v_div_scale_f64 v[214:215], null, v[212:213], v[212:213], 1.0
	s_delay_alu instid0(VALU_DEP_1) | instskip(SKIP_2) | instid1(VALU_DEP_1)
	v_rcp_f64_e32 v[231:232], v[214:215]
	s_waitcnt_depctr 0xfff
	v_fma_f64 v[233:234], -v[214:215], v[231:232], 1.0
	v_fma_f64 v[231:232], v[231:232], v[233:234], v[231:232]
	s_delay_alu instid0(VALU_DEP_1) | instskip(NEXT) | instid1(VALU_DEP_1)
	v_fma_f64 v[233:234], -v[214:215], v[231:232], 1.0
	v_fma_f64 v[231:232], v[231:232], v[233:234], v[231:232]
	v_div_scale_f64 v[233:234], vcc_lo, 1.0, v[212:213], 1.0
	s_delay_alu instid0(VALU_DEP_1) | instskip(NEXT) | instid1(VALU_DEP_1)
	v_mul_f64 v[235:236], v[233:234], v[231:232]
	v_fma_f64 v[214:215], -v[214:215], v[235:236], v[233:234]
	s_delay_alu instid0(VALU_DEP_1) | instskip(NEXT) | instid1(VALU_DEP_1)
	v_div_fmas_f64 v[214:215], v[214:215], v[231:232], v[235:236]
	v_div_fixup_f64 v[214:215], v[214:215], v[212:213], 1.0
	s_delay_alu instid0(VALU_DEP_1)
	v_mul_f64 v[212:213], v[229:230], v[214:215]
	v_xor_b32_e32 v215, 0x80000000, v215
.LBB104_154:
	s_and_not1_saveexec_b32 s2, s2
	s_cbranch_execz .LBB104_156
; %bb.155:
	s_delay_alu instid0(VALU_DEP_1) | instskip(SKIP_1) | instid1(VALU_DEP_2)
	v_div_scale_f64 v[229:230], null, v[212:213], v[212:213], v[214:215]
	v_div_scale_f64 v[235:236], vcc_lo, v[214:215], v[212:213], v[214:215]
	v_rcp_f64_e32 v[231:232], v[229:230]
	s_waitcnt_depctr 0xfff
	v_fma_f64 v[233:234], -v[229:230], v[231:232], 1.0
	s_delay_alu instid0(VALU_DEP_1) | instskip(NEXT) | instid1(VALU_DEP_1)
	v_fma_f64 v[231:232], v[231:232], v[233:234], v[231:232]
	v_fma_f64 v[233:234], -v[229:230], v[231:232], 1.0
	s_delay_alu instid0(VALU_DEP_1) | instskip(NEXT) | instid1(VALU_DEP_1)
	v_fma_f64 v[231:232], v[231:232], v[233:234], v[231:232]
	v_mul_f64 v[233:234], v[235:236], v[231:232]
	s_delay_alu instid0(VALU_DEP_1) | instskip(NEXT) | instid1(VALU_DEP_1)
	v_fma_f64 v[229:230], -v[229:230], v[233:234], v[235:236]
	v_div_fmas_f64 v[229:230], v[229:230], v[231:232], v[233:234]
	s_delay_alu instid0(VALU_DEP_1) | instskip(NEXT) | instid1(VALU_DEP_1)
	v_div_fixup_f64 v[229:230], v[229:230], v[212:213], v[214:215]
	v_fma_f64 v[212:213], v[214:215], v[229:230], v[212:213]
	s_delay_alu instid0(VALU_DEP_1) | instskip(NEXT) | instid1(VALU_DEP_1)
	v_div_scale_f64 v[214:215], null, v[212:213], v[212:213], 1.0
	v_rcp_f64_e32 v[231:232], v[214:215]
	s_waitcnt_depctr 0xfff
	v_fma_f64 v[233:234], -v[214:215], v[231:232], 1.0
	s_delay_alu instid0(VALU_DEP_1) | instskip(NEXT) | instid1(VALU_DEP_1)
	v_fma_f64 v[231:232], v[231:232], v[233:234], v[231:232]
	v_fma_f64 v[233:234], -v[214:215], v[231:232], 1.0
	s_delay_alu instid0(VALU_DEP_1) | instskip(SKIP_1) | instid1(VALU_DEP_1)
	v_fma_f64 v[231:232], v[231:232], v[233:234], v[231:232]
	v_div_scale_f64 v[233:234], vcc_lo, 1.0, v[212:213], 1.0
	v_mul_f64 v[235:236], v[233:234], v[231:232]
	s_delay_alu instid0(VALU_DEP_1) | instskip(NEXT) | instid1(VALU_DEP_1)
	v_fma_f64 v[214:215], -v[214:215], v[235:236], v[233:234]
	v_div_fmas_f64 v[214:215], v[214:215], v[231:232], v[235:236]
	s_delay_alu instid0(VALU_DEP_1) | instskip(NEXT) | instid1(VALU_DEP_1)
	v_div_fixup_f64 v[212:213], v[214:215], v[212:213], 1.0
	v_mul_f64 v[214:215], v[229:230], -v[212:213]
.LBB104_156:
	s_or_b32 exec_lo, exec_lo, s2
.LBB104_157:
	s_delay_alu instid0(SALU_CYCLE_1) | instskip(NEXT) | instid1(SALU_CYCLE_1)
	s_or_b32 exec_lo, exec_lo, s3
	s_mov_b32 s2, exec_lo
	v_cmpx_ne_u32_e64 v228, v220
	s_xor_b32 s2, exec_lo, s2
	s_cbranch_execz .LBB104_163
; %bb.158:
	s_mov_b32 s3, exec_lo
	v_cmpx_eq_u32_e32 7, v228
	s_cbranch_execz .LBB104_162
; %bb.159:
	v_cmp_ne_u32_e32 vcc_lo, 7, v220
	s_xor_b32 s6, s4, -1
	s_delay_alu instid0(SALU_CYCLE_1) | instskip(NEXT) | instid1(SALU_CYCLE_1)
	s_and_b32 s7, s6, vcc_lo
	s_and_saveexec_b32 s6, s7
	s_cbranch_execz .LBB104_161
; %bb.160:
	v_ashrrev_i32_e32 v221, 31, v220
	s_delay_alu instid0(VALU_DEP_1) | instskip(NEXT) | instid1(VALU_DEP_1)
	v_lshlrev_b64 v[227:228], 2, v[220:221]
	v_add_co_u32 v227, vcc_lo, v218, v227
	s_delay_alu instid0(VALU_DEP_2)
	v_add_co_ci_u32_e32 v228, vcc_lo, v219, v228, vcc_lo
	s_clause 0x1
	flat_load_b32 v221, v[227:228]
	flat_load_b32 v229, v[218:219] offset:28
	s_waitcnt vmcnt(1) lgkmcnt(1)
	flat_store_b32 v[218:219], v221 offset:28
	s_waitcnt vmcnt(0) lgkmcnt(1)
	flat_store_b32 v[227:228], v229
.LBB104_161:
	s_or_b32 exec_lo, exec_lo, s6
	v_mov_b32_e32 v228, v220
	v_mov_b32_e32 v227, v220
.LBB104_162:
	s_or_b32 exec_lo, exec_lo, s3
.LBB104_163:
	s_and_not1_saveexec_b32 s2, s2
	s_cbranch_execz .LBB104_165
; %bb.164:
	v_mov_b32_e32 v228, 7
	ds_store_2addr_b64 v222, v[176:177], v[178:179] offset0:16 offset1:17
	ds_store_2addr_b64 v222, v[172:173], v[174:175] offset0:18 offset1:19
	;; [unrolled: 1-line block ×45, first 2 shown]
.LBB104_165:
	s_or_b32 exec_lo, exec_lo, s2
	s_delay_alu instid0(SALU_CYCLE_1)
	s_mov_b32 s2, exec_lo
	s_waitcnt lgkmcnt(0)
	s_waitcnt_vscnt null, 0x0
	s_barrier
	buffer_gl0_inv
	v_cmpx_lt_i32_e32 7, v228
	s_cbranch_execz .LBB104_167
; %bb.166:
	v_mul_f64 v[220:221], v[214:215], v[182:183]
	v_mul_f64 v[182:183], v[212:213], v[182:183]
	s_delay_alu instid0(VALU_DEP_2) | instskip(NEXT) | instid1(VALU_DEP_2)
	v_fma_f64 v[220:221], v[212:213], v[180:181], -v[220:221]
	v_fma_f64 v[182:183], v[214:215], v[180:181], v[182:183]
	ds_load_2addr_b64 v[212:215], v222 offset0:16 offset1:17
	s_waitcnt lgkmcnt(0)
	v_mul_f64 v[180:181], v[214:215], v[182:183]
	s_delay_alu instid0(VALU_DEP_1) | instskip(SKIP_1) | instid1(VALU_DEP_2)
	v_fma_f64 v[180:181], v[212:213], v[220:221], -v[180:181]
	v_mul_f64 v[212:213], v[212:213], v[182:183]
	v_add_f64 v[176:177], v[176:177], -v[180:181]
	s_delay_alu instid0(VALU_DEP_2) | instskip(NEXT) | instid1(VALU_DEP_1)
	v_fma_f64 v[212:213], v[214:215], v[220:221], v[212:213]
	v_add_f64 v[178:179], v[178:179], -v[212:213]
	ds_load_2addr_b64 v[212:215], v222 offset0:18 offset1:19
	s_waitcnt lgkmcnt(0)
	v_mul_f64 v[180:181], v[214:215], v[182:183]
	s_delay_alu instid0(VALU_DEP_1) | instskip(SKIP_1) | instid1(VALU_DEP_2)
	v_fma_f64 v[180:181], v[212:213], v[220:221], -v[180:181]
	v_mul_f64 v[212:213], v[212:213], v[182:183]
	v_add_f64 v[172:173], v[172:173], -v[180:181]
	s_delay_alu instid0(VALU_DEP_2) | instskip(NEXT) | instid1(VALU_DEP_1)
	v_fma_f64 v[212:213], v[214:215], v[220:221], v[212:213]
	v_add_f64 v[174:175], v[174:175], -v[212:213]
	;; [unrolled: 10-line block ×44, first 2 shown]
	ds_load_2addr_b64 v[212:215], v222 offset0:104 offset1:105
	s_waitcnt lgkmcnt(0)
	v_mul_f64 v[180:181], v[214:215], v[182:183]
	s_delay_alu instid0(VALU_DEP_1) | instskip(SKIP_1) | instid1(VALU_DEP_2)
	v_fma_f64 v[180:181], v[212:213], v[220:221], -v[180:181]
	v_mul_f64 v[212:213], v[212:213], v[182:183]
	v_add_f64 v[0:1], v[0:1], -v[180:181]
	s_delay_alu instid0(VALU_DEP_2) | instskip(SKIP_1) | instid1(VALU_DEP_2)
	v_fma_f64 v[212:213], v[214:215], v[220:221], v[212:213]
	v_dual_mov_b32 v180, v220 :: v_dual_mov_b32 v181, v221
	v_add_f64 v[2:3], v[2:3], -v[212:213]
.LBB104_167:
	s_or_b32 exec_lo, exec_lo, s2
	v_lshl_add_u32 v212, v228, 4, v222
	s_barrier
	buffer_gl0_inv
	v_mov_b32_e32 v220, 8
	ds_store_2addr_b64 v212, v[176:177], v[178:179] offset1:1
	s_waitcnt lgkmcnt(0)
	s_barrier
	buffer_gl0_inv
	ds_load_2addr_b64 v[212:215], v222 offset0:16 offset1:17
	s_cmp_lt_i32 s5, 10
	s_cbranch_scc1 .LBB104_170
; %bb.168:
	v_add3_u32 v221, v226, 0, 0x90
	v_mov_b32_e32 v220, 8
	s_mov_b32 s6, 9
	s_set_inst_prefetch_distance 0x1
	.p2align	6
.LBB104_169:                            ; =>This Inner Loop Header: Depth=1
	ds_load_2addr_b64 v[229:232], v221 offset1:1
	s_waitcnt lgkmcnt(1)
	v_cmp_gt_f64_e32 vcc_lo, 0, v[212:213]
	v_xor_b32_e32 v233, 0x80000000, v213
	v_cmp_gt_f64_e64 s2, 0, v[214:215]
	v_xor_b32_e32 v235, 0x80000000, v215
	v_add_nc_u32_e32 v221, 16, v221
	s_waitcnt lgkmcnt(0)
	v_cmp_gt_f64_e64 s3, 0, v[229:230]
	v_mov_b32_e32 v237, v229
	v_dual_mov_b32 v239, v231 :: v_dual_cndmask_b32 v234, v213, v233
	v_xor_b32_e32 v233, 0x80000000, v230
	v_cndmask_b32_e64 v236, v215, v235, s2
	v_xor_b32_e32 v235, 0x80000000, v232
	s_delay_alu instid0(VALU_DEP_3) | instskip(SKIP_2) | instid1(VALU_DEP_2)
	v_cndmask_b32_e64 v238, v230, v233, s3
	v_cmp_gt_f64_e64 s3, 0, v[231:232]
	v_cndmask_b32_e32 v233, v212, v212, vcc_lo
	v_cndmask_b32_e64 v240, v232, v235, s3
	v_cndmask_b32_e64 v235, v214, v214, s2
	s_delay_alu instid0(VALU_DEP_2) | instskip(NEXT) | instid1(VALU_DEP_2)
	v_add_f64 v[237:238], v[237:238], v[239:240]
	v_add_f64 v[233:234], v[233:234], v[235:236]
	s_delay_alu instid0(VALU_DEP_1) | instskip(SKIP_4) | instid1(SALU_CYCLE_1)
	v_cmp_lt_f64_e32 vcc_lo, v[233:234], v[237:238]
	v_dual_cndmask_b32 v214, v214, v231 :: v_dual_cndmask_b32 v213, v213, v230
	v_dual_cndmask_b32 v212, v212, v229 :: v_dual_cndmask_b32 v215, v215, v232
	v_cndmask_b32_e64 v220, v220, s6, vcc_lo
	s_add_i32 s6, s6, 1
	s_cmp_lg_u32 s5, s6
	s_cbranch_scc1 .LBB104_169
.LBB104_170:
	s_set_inst_prefetch_distance 0x2
	s_waitcnt lgkmcnt(0)
	v_cmp_eq_f64_e32 vcc_lo, 0, v[212:213]
	v_cmp_eq_f64_e64 s2, 0, v[214:215]
	s_delay_alu instid0(VALU_DEP_1) | instskip(NEXT) | instid1(SALU_CYCLE_1)
	s_and_b32 s2, vcc_lo, s2
	s_and_saveexec_b32 s3, s2
	s_delay_alu instid0(SALU_CYCLE_1)
	s_xor_b32 s2, exec_lo, s3
; %bb.171:
	v_cmp_ne_u32_e32 vcc_lo, 0, v225
	v_cndmask_b32_e32 v225, 9, v225, vcc_lo
; %bb.172:
	s_and_not1_saveexec_b32 s3, s2
	s_cbranch_execz .LBB104_178
; %bb.173:
	v_cmp_gt_f64_e32 vcc_lo, 0, v[212:213]
	v_cmp_gt_f64_e64 s2, 0, v[214:215]
	v_xor_b32_e32 v221, 0x80000000, v213
	v_xor_b32_e32 v229, 0x80000000, v215
	s_delay_alu instid0(VALU_DEP_2) | instskip(NEXT) | instid1(VALU_DEP_2)
	v_cndmask_b32_e32 v230, v213, v221, vcc_lo
	v_cndmask_b32_e64 v232, v215, v229, s2
	v_cndmask_b32_e32 v229, v212, v212, vcc_lo
	v_cndmask_b32_e64 v231, v214, v214, s2
	s_mov_b32 s2, exec_lo
	s_delay_alu instid0(VALU_DEP_1)
	v_cmpx_ngt_f64_e32 v[229:230], v[231:232]
	s_xor_b32 s2, exec_lo, s2
	s_cbranch_execz .LBB104_175
; %bb.174:
	v_div_scale_f64 v[229:230], null, v[214:215], v[214:215], v[212:213]
	v_div_scale_f64 v[235:236], vcc_lo, v[212:213], v[214:215], v[212:213]
	s_delay_alu instid0(VALU_DEP_2) | instskip(SKIP_2) | instid1(VALU_DEP_1)
	v_rcp_f64_e32 v[231:232], v[229:230]
	s_waitcnt_depctr 0xfff
	v_fma_f64 v[233:234], -v[229:230], v[231:232], 1.0
	v_fma_f64 v[231:232], v[231:232], v[233:234], v[231:232]
	s_delay_alu instid0(VALU_DEP_1) | instskip(NEXT) | instid1(VALU_DEP_1)
	v_fma_f64 v[233:234], -v[229:230], v[231:232], 1.0
	v_fma_f64 v[231:232], v[231:232], v[233:234], v[231:232]
	s_delay_alu instid0(VALU_DEP_1) | instskip(NEXT) | instid1(VALU_DEP_1)
	v_mul_f64 v[233:234], v[235:236], v[231:232]
	v_fma_f64 v[229:230], -v[229:230], v[233:234], v[235:236]
	s_delay_alu instid0(VALU_DEP_1) | instskip(NEXT) | instid1(VALU_DEP_1)
	v_div_fmas_f64 v[229:230], v[229:230], v[231:232], v[233:234]
	v_div_fixup_f64 v[229:230], v[229:230], v[214:215], v[212:213]
	s_delay_alu instid0(VALU_DEP_1) | instskip(NEXT) | instid1(VALU_DEP_1)
	v_fma_f64 v[212:213], v[212:213], v[229:230], v[214:215]
	v_div_scale_f64 v[214:215], null, v[212:213], v[212:213], 1.0
	s_delay_alu instid0(VALU_DEP_1) | instskip(SKIP_2) | instid1(VALU_DEP_1)
	v_rcp_f64_e32 v[231:232], v[214:215]
	s_waitcnt_depctr 0xfff
	v_fma_f64 v[233:234], -v[214:215], v[231:232], 1.0
	v_fma_f64 v[231:232], v[231:232], v[233:234], v[231:232]
	s_delay_alu instid0(VALU_DEP_1) | instskip(NEXT) | instid1(VALU_DEP_1)
	v_fma_f64 v[233:234], -v[214:215], v[231:232], 1.0
	v_fma_f64 v[231:232], v[231:232], v[233:234], v[231:232]
	v_div_scale_f64 v[233:234], vcc_lo, 1.0, v[212:213], 1.0
	s_delay_alu instid0(VALU_DEP_1) | instskip(NEXT) | instid1(VALU_DEP_1)
	v_mul_f64 v[235:236], v[233:234], v[231:232]
	v_fma_f64 v[214:215], -v[214:215], v[235:236], v[233:234]
	s_delay_alu instid0(VALU_DEP_1) | instskip(NEXT) | instid1(VALU_DEP_1)
	v_div_fmas_f64 v[214:215], v[214:215], v[231:232], v[235:236]
	v_div_fixup_f64 v[214:215], v[214:215], v[212:213], 1.0
	s_delay_alu instid0(VALU_DEP_1)
	v_mul_f64 v[212:213], v[229:230], v[214:215]
	v_xor_b32_e32 v215, 0x80000000, v215
.LBB104_175:
	s_and_not1_saveexec_b32 s2, s2
	s_cbranch_execz .LBB104_177
; %bb.176:
	s_delay_alu instid0(VALU_DEP_1) | instskip(SKIP_1) | instid1(VALU_DEP_2)
	v_div_scale_f64 v[229:230], null, v[212:213], v[212:213], v[214:215]
	v_div_scale_f64 v[235:236], vcc_lo, v[214:215], v[212:213], v[214:215]
	v_rcp_f64_e32 v[231:232], v[229:230]
	s_waitcnt_depctr 0xfff
	v_fma_f64 v[233:234], -v[229:230], v[231:232], 1.0
	s_delay_alu instid0(VALU_DEP_1) | instskip(NEXT) | instid1(VALU_DEP_1)
	v_fma_f64 v[231:232], v[231:232], v[233:234], v[231:232]
	v_fma_f64 v[233:234], -v[229:230], v[231:232], 1.0
	s_delay_alu instid0(VALU_DEP_1) | instskip(NEXT) | instid1(VALU_DEP_1)
	v_fma_f64 v[231:232], v[231:232], v[233:234], v[231:232]
	v_mul_f64 v[233:234], v[235:236], v[231:232]
	s_delay_alu instid0(VALU_DEP_1) | instskip(NEXT) | instid1(VALU_DEP_1)
	v_fma_f64 v[229:230], -v[229:230], v[233:234], v[235:236]
	v_div_fmas_f64 v[229:230], v[229:230], v[231:232], v[233:234]
	s_delay_alu instid0(VALU_DEP_1) | instskip(NEXT) | instid1(VALU_DEP_1)
	v_div_fixup_f64 v[229:230], v[229:230], v[212:213], v[214:215]
	v_fma_f64 v[212:213], v[214:215], v[229:230], v[212:213]
	s_delay_alu instid0(VALU_DEP_1) | instskip(NEXT) | instid1(VALU_DEP_1)
	v_div_scale_f64 v[214:215], null, v[212:213], v[212:213], 1.0
	v_rcp_f64_e32 v[231:232], v[214:215]
	s_waitcnt_depctr 0xfff
	v_fma_f64 v[233:234], -v[214:215], v[231:232], 1.0
	s_delay_alu instid0(VALU_DEP_1) | instskip(NEXT) | instid1(VALU_DEP_1)
	v_fma_f64 v[231:232], v[231:232], v[233:234], v[231:232]
	v_fma_f64 v[233:234], -v[214:215], v[231:232], 1.0
	s_delay_alu instid0(VALU_DEP_1) | instskip(SKIP_1) | instid1(VALU_DEP_1)
	v_fma_f64 v[231:232], v[231:232], v[233:234], v[231:232]
	v_div_scale_f64 v[233:234], vcc_lo, 1.0, v[212:213], 1.0
	v_mul_f64 v[235:236], v[233:234], v[231:232]
	s_delay_alu instid0(VALU_DEP_1) | instskip(NEXT) | instid1(VALU_DEP_1)
	v_fma_f64 v[214:215], -v[214:215], v[235:236], v[233:234]
	v_div_fmas_f64 v[214:215], v[214:215], v[231:232], v[235:236]
	s_delay_alu instid0(VALU_DEP_1) | instskip(NEXT) | instid1(VALU_DEP_1)
	v_div_fixup_f64 v[212:213], v[214:215], v[212:213], 1.0
	v_mul_f64 v[214:215], v[229:230], -v[212:213]
.LBB104_177:
	s_or_b32 exec_lo, exec_lo, s2
.LBB104_178:
	s_delay_alu instid0(SALU_CYCLE_1) | instskip(NEXT) | instid1(SALU_CYCLE_1)
	s_or_b32 exec_lo, exec_lo, s3
	s_mov_b32 s2, exec_lo
	v_cmpx_ne_u32_e64 v228, v220
	s_xor_b32 s2, exec_lo, s2
	s_cbranch_execz .LBB104_184
; %bb.179:
	s_mov_b32 s3, exec_lo
	v_cmpx_eq_u32_e32 8, v228
	s_cbranch_execz .LBB104_183
; %bb.180:
	v_cmp_ne_u32_e32 vcc_lo, 8, v220
	s_xor_b32 s6, s4, -1
	s_delay_alu instid0(SALU_CYCLE_1) | instskip(NEXT) | instid1(SALU_CYCLE_1)
	s_and_b32 s7, s6, vcc_lo
	s_and_saveexec_b32 s6, s7
	s_cbranch_execz .LBB104_182
; %bb.181:
	v_ashrrev_i32_e32 v221, 31, v220
	s_delay_alu instid0(VALU_DEP_1) | instskip(NEXT) | instid1(VALU_DEP_1)
	v_lshlrev_b64 v[227:228], 2, v[220:221]
	v_add_co_u32 v227, vcc_lo, v218, v227
	s_delay_alu instid0(VALU_DEP_2)
	v_add_co_ci_u32_e32 v228, vcc_lo, v219, v228, vcc_lo
	s_clause 0x1
	flat_load_b32 v221, v[227:228]
	flat_load_b32 v229, v[218:219] offset:32
	s_waitcnt vmcnt(1) lgkmcnt(1)
	flat_store_b32 v[218:219], v221 offset:32
	s_waitcnt vmcnt(0) lgkmcnt(1)
	flat_store_b32 v[227:228], v229
.LBB104_182:
	s_or_b32 exec_lo, exec_lo, s6
	v_mov_b32_e32 v228, v220
	v_mov_b32_e32 v227, v220
.LBB104_183:
	s_or_b32 exec_lo, exec_lo, s3
.LBB104_184:
	s_and_not1_saveexec_b32 s2, s2
	s_cbranch_execz .LBB104_186
; %bb.185:
	v_mov_b32_e32 v228, 8
	ds_store_2addr_b64 v222, v[172:173], v[174:175] offset0:18 offset1:19
	ds_store_2addr_b64 v222, v[168:169], v[170:171] offset0:20 offset1:21
	;; [unrolled: 1-line block ×44, first 2 shown]
.LBB104_186:
	s_or_b32 exec_lo, exec_lo, s2
	s_delay_alu instid0(SALU_CYCLE_1)
	s_mov_b32 s2, exec_lo
	s_waitcnt lgkmcnt(0)
	s_waitcnt_vscnt null, 0x0
	s_barrier
	buffer_gl0_inv
	v_cmpx_lt_i32_e32 8, v228
	s_cbranch_execz .LBB104_188
; %bb.187:
	v_mul_f64 v[220:221], v[214:215], v[178:179]
	v_mul_f64 v[178:179], v[212:213], v[178:179]
	s_delay_alu instid0(VALU_DEP_2) | instskip(NEXT) | instid1(VALU_DEP_2)
	v_fma_f64 v[220:221], v[212:213], v[176:177], -v[220:221]
	v_fma_f64 v[178:179], v[214:215], v[176:177], v[178:179]
	ds_load_2addr_b64 v[212:215], v222 offset0:18 offset1:19
	s_waitcnt lgkmcnt(0)
	v_mul_f64 v[176:177], v[214:215], v[178:179]
	s_delay_alu instid0(VALU_DEP_1) | instskip(SKIP_1) | instid1(VALU_DEP_2)
	v_fma_f64 v[176:177], v[212:213], v[220:221], -v[176:177]
	v_mul_f64 v[212:213], v[212:213], v[178:179]
	v_add_f64 v[172:173], v[172:173], -v[176:177]
	s_delay_alu instid0(VALU_DEP_2) | instskip(NEXT) | instid1(VALU_DEP_1)
	v_fma_f64 v[212:213], v[214:215], v[220:221], v[212:213]
	v_add_f64 v[174:175], v[174:175], -v[212:213]
	ds_load_2addr_b64 v[212:215], v222 offset0:20 offset1:21
	s_waitcnt lgkmcnt(0)
	v_mul_f64 v[176:177], v[214:215], v[178:179]
	s_delay_alu instid0(VALU_DEP_1) | instskip(SKIP_1) | instid1(VALU_DEP_2)
	v_fma_f64 v[176:177], v[212:213], v[220:221], -v[176:177]
	v_mul_f64 v[212:213], v[212:213], v[178:179]
	v_add_f64 v[168:169], v[168:169], -v[176:177]
	s_delay_alu instid0(VALU_DEP_2) | instskip(NEXT) | instid1(VALU_DEP_1)
	v_fma_f64 v[212:213], v[214:215], v[220:221], v[212:213]
	v_add_f64 v[170:171], v[170:171], -v[212:213]
	ds_load_2addr_b64 v[212:215], v222 offset0:22 offset1:23
	s_waitcnt lgkmcnt(0)
	v_mul_f64 v[176:177], v[214:215], v[178:179]
	s_delay_alu instid0(VALU_DEP_1) | instskip(SKIP_1) | instid1(VALU_DEP_2)
	v_fma_f64 v[176:177], v[212:213], v[220:221], -v[176:177]
	v_mul_f64 v[212:213], v[212:213], v[178:179]
	v_add_f64 v[164:165], v[164:165], -v[176:177]
	s_delay_alu instid0(VALU_DEP_2) | instskip(NEXT) | instid1(VALU_DEP_1)
	v_fma_f64 v[212:213], v[214:215], v[220:221], v[212:213]
	v_add_f64 v[166:167], v[166:167], -v[212:213]
	ds_load_2addr_b64 v[212:215], v222 offset0:24 offset1:25
	s_waitcnt lgkmcnt(0)
	v_mul_f64 v[176:177], v[214:215], v[178:179]
	s_delay_alu instid0(VALU_DEP_1) | instskip(SKIP_1) | instid1(VALU_DEP_2)
	v_fma_f64 v[176:177], v[212:213], v[220:221], -v[176:177]
	v_mul_f64 v[212:213], v[212:213], v[178:179]
	v_add_f64 v[160:161], v[160:161], -v[176:177]
	s_delay_alu instid0(VALU_DEP_2) | instskip(NEXT) | instid1(VALU_DEP_1)
	v_fma_f64 v[212:213], v[214:215], v[220:221], v[212:213]
	v_add_f64 v[162:163], v[162:163], -v[212:213]
	ds_load_2addr_b64 v[212:215], v222 offset0:26 offset1:27
	s_waitcnt lgkmcnt(0)
	v_mul_f64 v[176:177], v[214:215], v[178:179]
	s_delay_alu instid0(VALU_DEP_1) | instskip(SKIP_1) | instid1(VALU_DEP_2)
	v_fma_f64 v[176:177], v[212:213], v[220:221], -v[176:177]
	v_mul_f64 v[212:213], v[212:213], v[178:179]
	v_add_f64 v[156:157], v[156:157], -v[176:177]
	s_delay_alu instid0(VALU_DEP_2) | instskip(NEXT) | instid1(VALU_DEP_1)
	v_fma_f64 v[212:213], v[214:215], v[220:221], v[212:213]
	v_add_f64 v[158:159], v[158:159], -v[212:213]
	ds_load_2addr_b64 v[212:215], v222 offset0:28 offset1:29
	s_waitcnt lgkmcnt(0)
	v_mul_f64 v[176:177], v[214:215], v[178:179]
	s_delay_alu instid0(VALU_DEP_1) | instskip(SKIP_1) | instid1(VALU_DEP_2)
	v_fma_f64 v[176:177], v[212:213], v[220:221], -v[176:177]
	v_mul_f64 v[212:213], v[212:213], v[178:179]
	v_add_f64 v[152:153], v[152:153], -v[176:177]
	s_delay_alu instid0(VALU_DEP_2) | instskip(NEXT) | instid1(VALU_DEP_1)
	v_fma_f64 v[212:213], v[214:215], v[220:221], v[212:213]
	v_add_f64 v[154:155], v[154:155], -v[212:213]
	ds_load_2addr_b64 v[212:215], v222 offset0:30 offset1:31
	s_waitcnt lgkmcnt(0)
	v_mul_f64 v[176:177], v[214:215], v[178:179]
	s_delay_alu instid0(VALU_DEP_1) | instskip(SKIP_1) | instid1(VALU_DEP_2)
	v_fma_f64 v[176:177], v[212:213], v[220:221], -v[176:177]
	v_mul_f64 v[212:213], v[212:213], v[178:179]
	v_add_f64 v[148:149], v[148:149], -v[176:177]
	s_delay_alu instid0(VALU_DEP_2) | instskip(NEXT) | instid1(VALU_DEP_1)
	v_fma_f64 v[212:213], v[214:215], v[220:221], v[212:213]
	v_add_f64 v[150:151], v[150:151], -v[212:213]
	ds_load_2addr_b64 v[212:215], v222 offset0:32 offset1:33
	s_waitcnt lgkmcnt(0)
	v_mul_f64 v[176:177], v[214:215], v[178:179]
	s_delay_alu instid0(VALU_DEP_1) | instskip(SKIP_1) | instid1(VALU_DEP_2)
	v_fma_f64 v[176:177], v[212:213], v[220:221], -v[176:177]
	v_mul_f64 v[212:213], v[212:213], v[178:179]
	v_add_f64 v[144:145], v[144:145], -v[176:177]
	s_delay_alu instid0(VALU_DEP_2) | instskip(NEXT) | instid1(VALU_DEP_1)
	v_fma_f64 v[212:213], v[214:215], v[220:221], v[212:213]
	v_add_f64 v[146:147], v[146:147], -v[212:213]
	ds_load_2addr_b64 v[212:215], v222 offset0:34 offset1:35
	s_waitcnt lgkmcnt(0)
	v_mul_f64 v[176:177], v[214:215], v[178:179]
	s_delay_alu instid0(VALU_DEP_1) | instskip(SKIP_1) | instid1(VALU_DEP_2)
	v_fma_f64 v[176:177], v[212:213], v[220:221], -v[176:177]
	v_mul_f64 v[212:213], v[212:213], v[178:179]
	v_add_f64 v[140:141], v[140:141], -v[176:177]
	s_delay_alu instid0(VALU_DEP_2) | instskip(NEXT) | instid1(VALU_DEP_1)
	v_fma_f64 v[212:213], v[214:215], v[220:221], v[212:213]
	v_add_f64 v[142:143], v[142:143], -v[212:213]
	ds_load_2addr_b64 v[212:215], v222 offset0:36 offset1:37
	s_waitcnt lgkmcnt(0)
	v_mul_f64 v[176:177], v[214:215], v[178:179]
	s_delay_alu instid0(VALU_DEP_1) | instskip(SKIP_1) | instid1(VALU_DEP_2)
	v_fma_f64 v[176:177], v[212:213], v[220:221], -v[176:177]
	v_mul_f64 v[212:213], v[212:213], v[178:179]
	v_add_f64 v[136:137], v[136:137], -v[176:177]
	s_delay_alu instid0(VALU_DEP_2) | instskip(NEXT) | instid1(VALU_DEP_1)
	v_fma_f64 v[212:213], v[214:215], v[220:221], v[212:213]
	v_add_f64 v[138:139], v[138:139], -v[212:213]
	ds_load_2addr_b64 v[212:215], v222 offset0:38 offset1:39
	s_waitcnt lgkmcnt(0)
	v_mul_f64 v[176:177], v[214:215], v[178:179]
	s_delay_alu instid0(VALU_DEP_1) | instskip(SKIP_1) | instid1(VALU_DEP_2)
	v_fma_f64 v[176:177], v[212:213], v[220:221], -v[176:177]
	v_mul_f64 v[212:213], v[212:213], v[178:179]
	v_add_f64 v[132:133], v[132:133], -v[176:177]
	s_delay_alu instid0(VALU_DEP_2) | instskip(NEXT) | instid1(VALU_DEP_1)
	v_fma_f64 v[212:213], v[214:215], v[220:221], v[212:213]
	v_add_f64 v[134:135], v[134:135], -v[212:213]
	ds_load_2addr_b64 v[212:215], v222 offset0:40 offset1:41
	s_waitcnt lgkmcnt(0)
	v_mul_f64 v[176:177], v[214:215], v[178:179]
	s_delay_alu instid0(VALU_DEP_1) | instskip(SKIP_1) | instid1(VALU_DEP_2)
	v_fma_f64 v[176:177], v[212:213], v[220:221], -v[176:177]
	v_mul_f64 v[212:213], v[212:213], v[178:179]
	v_add_f64 v[128:129], v[128:129], -v[176:177]
	s_delay_alu instid0(VALU_DEP_2) | instskip(NEXT) | instid1(VALU_DEP_1)
	v_fma_f64 v[212:213], v[214:215], v[220:221], v[212:213]
	v_add_f64 v[130:131], v[130:131], -v[212:213]
	ds_load_2addr_b64 v[212:215], v222 offset0:42 offset1:43
	s_waitcnt lgkmcnt(0)
	v_mul_f64 v[176:177], v[214:215], v[178:179]
	s_delay_alu instid0(VALU_DEP_1) | instskip(SKIP_1) | instid1(VALU_DEP_2)
	v_fma_f64 v[176:177], v[212:213], v[220:221], -v[176:177]
	v_mul_f64 v[212:213], v[212:213], v[178:179]
	v_add_f64 v[124:125], v[124:125], -v[176:177]
	s_delay_alu instid0(VALU_DEP_2) | instskip(NEXT) | instid1(VALU_DEP_1)
	v_fma_f64 v[212:213], v[214:215], v[220:221], v[212:213]
	v_add_f64 v[126:127], v[126:127], -v[212:213]
	ds_load_2addr_b64 v[212:215], v222 offset0:44 offset1:45
	s_waitcnt lgkmcnt(0)
	v_mul_f64 v[176:177], v[214:215], v[178:179]
	s_delay_alu instid0(VALU_DEP_1) | instskip(SKIP_1) | instid1(VALU_DEP_2)
	v_fma_f64 v[176:177], v[212:213], v[220:221], -v[176:177]
	v_mul_f64 v[212:213], v[212:213], v[178:179]
	v_add_f64 v[120:121], v[120:121], -v[176:177]
	s_delay_alu instid0(VALU_DEP_2) | instskip(NEXT) | instid1(VALU_DEP_1)
	v_fma_f64 v[212:213], v[214:215], v[220:221], v[212:213]
	v_add_f64 v[122:123], v[122:123], -v[212:213]
	ds_load_2addr_b64 v[212:215], v222 offset0:46 offset1:47
	s_waitcnt lgkmcnt(0)
	v_mul_f64 v[176:177], v[214:215], v[178:179]
	s_delay_alu instid0(VALU_DEP_1) | instskip(SKIP_1) | instid1(VALU_DEP_2)
	v_fma_f64 v[176:177], v[212:213], v[220:221], -v[176:177]
	v_mul_f64 v[212:213], v[212:213], v[178:179]
	v_add_f64 v[116:117], v[116:117], -v[176:177]
	s_delay_alu instid0(VALU_DEP_2) | instskip(NEXT) | instid1(VALU_DEP_1)
	v_fma_f64 v[212:213], v[214:215], v[220:221], v[212:213]
	v_add_f64 v[118:119], v[118:119], -v[212:213]
	ds_load_2addr_b64 v[212:215], v222 offset0:48 offset1:49
	s_waitcnt lgkmcnt(0)
	v_mul_f64 v[176:177], v[214:215], v[178:179]
	s_delay_alu instid0(VALU_DEP_1) | instskip(SKIP_1) | instid1(VALU_DEP_2)
	v_fma_f64 v[176:177], v[212:213], v[220:221], -v[176:177]
	v_mul_f64 v[212:213], v[212:213], v[178:179]
	v_add_f64 v[112:113], v[112:113], -v[176:177]
	s_delay_alu instid0(VALU_DEP_2) | instskip(NEXT) | instid1(VALU_DEP_1)
	v_fma_f64 v[212:213], v[214:215], v[220:221], v[212:213]
	v_add_f64 v[114:115], v[114:115], -v[212:213]
	ds_load_2addr_b64 v[212:215], v222 offset0:50 offset1:51
	s_waitcnt lgkmcnt(0)
	v_mul_f64 v[176:177], v[214:215], v[178:179]
	s_delay_alu instid0(VALU_DEP_1) | instskip(SKIP_1) | instid1(VALU_DEP_2)
	v_fma_f64 v[176:177], v[212:213], v[220:221], -v[176:177]
	v_mul_f64 v[212:213], v[212:213], v[178:179]
	v_add_f64 v[108:109], v[108:109], -v[176:177]
	s_delay_alu instid0(VALU_DEP_2) | instskip(NEXT) | instid1(VALU_DEP_1)
	v_fma_f64 v[212:213], v[214:215], v[220:221], v[212:213]
	v_add_f64 v[110:111], v[110:111], -v[212:213]
	ds_load_2addr_b64 v[212:215], v222 offset0:52 offset1:53
	s_waitcnt lgkmcnt(0)
	v_mul_f64 v[176:177], v[214:215], v[178:179]
	s_delay_alu instid0(VALU_DEP_1) | instskip(SKIP_1) | instid1(VALU_DEP_2)
	v_fma_f64 v[176:177], v[212:213], v[220:221], -v[176:177]
	v_mul_f64 v[212:213], v[212:213], v[178:179]
	v_add_f64 v[104:105], v[104:105], -v[176:177]
	s_delay_alu instid0(VALU_DEP_2) | instskip(NEXT) | instid1(VALU_DEP_1)
	v_fma_f64 v[212:213], v[214:215], v[220:221], v[212:213]
	v_add_f64 v[106:107], v[106:107], -v[212:213]
	ds_load_2addr_b64 v[212:215], v222 offset0:54 offset1:55
	s_waitcnt lgkmcnt(0)
	v_mul_f64 v[176:177], v[214:215], v[178:179]
	s_delay_alu instid0(VALU_DEP_1) | instskip(SKIP_1) | instid1(VALU_DEP_2)
	v_fma_f64 v[176:177], v[212:213], v[220:221], -v[176:177]
	v_mul_f64 v[212:213], v[212:213], v[178:179]
	v_add_f64 v[100:101], v[100:101], -v[176:177]
	s_delay_alu instid0(VALU_DEP_2) | instskip(NEXT) | instid1(VALU_DEP_1)
	v_fma_f64 v[212:213], v[214:215], v[220:221], v[212:213]
	v_add_f64 v[102:103], v[102:103], -v[212:213]
	ds_load_2addr_b64 v[212:215], v222 offset0:56 offset1:57
	s_waitcnt lgkmcnt(0)
	v_mul_f64 v[176:177], v[214:215], v[178:179]
	s_delay_alu instid0(VALU_DEP_1) | instskip(SKIP_1) | instid1(VALU_DEP_2)
	v_fma_f64 v[176:177], v[212:213], v[220:221], -v[176:177]
	v_mul_f64 v[212:213], v[212:213], v[178:179]
	v_add_f64 v[96:97], v[96:97], -v[176:177]
	s_delay_alu instid0(VALU_DEP_2) | instskip(NEXT) | instid1(VALU_DEP_1)
	v_fma_f64 v[212:213], v[214:215], v[220:221], v[212:213]
	v_add_f64 v[98:99], v[98:99], -v[212:213]
	ds_load_2addr_b64 v[212:215], v222 offset0:58 offset1:59
	s_waitcnt lgkmcnt(0)
	v_mul_f64 v[176:177], v[214:215], v[178:179]
	s_delay_alu instid0(VALU_DEP_1) | instskip(SKIP_1) | instid1(VALU_DEP_2)
	v_fma_f64 v[176:177], v[212:213], v[220:221], -v[176:177]
	v_mul_f64 v[212:213], v[212:213], v[178:179]
	v_add_f64 v[92:93], v[92:93], -v[176:177]
	s_delay_alu instid0(VALU_DEP_2) | instskip(NEXT) | instid1(VALU_DEP_1)
	v_fma_f64 v[212:213], v[214:215], v[220:221], v[212:213]
	v_add_f64 v[94:95], v[94:95], -v[212:213]
	ds_load_2addr_b64 v[212:215], v222 offset0:60 offset1:61
	s_waitcnt lgkmcnt(0)
	v_mul_f64 v[176:177], v[214:215], v[178:179]
	s_delay_alu instid0(VALU_DEP_1) | instskip(SKIP_1) | instid1(VALU_DEP_2)
	v_fma_f64 v[176:177], v[212:213], v[220:221], -v[176:177]
	v_mul_f64 v[212:213], v[212:213], v[178:179]
	v_add_f64 v[88:89], v[88:89], -v[176:177]
	s_delay_alu instid0(VALU_DEP_2) | instskip(NEXT) | instid1(VALU_DEP_1)
	v_fma_f64 v[212:213], v[214:215], v[220:221], v[212:213]
	v_add_f64 v[90:91], v[90:91], -v[212:213]
	ds_load_2addr_b64 v[212:215], v222 offset0:62 offset1:63
	s_waitcnt lgkmcnt(0)
	v_mul_f64 v[176:177], v[214:215], v[178:179]
	s_delay_alu instid0(VALU_DEP_1) | instskip(SKIP_1) | instid1(VALU_DEP_2)
	v_fma_f64 v[176:177], v[212:213], v[220:221], -v[176:177]
	v_mul_f64 v[212:213], v[212:213], v[178:179]
	v_add_f64 v[84:85], v[84:85], -v[176:177]
	s_delay_alu instid0(VALU_DEP_2) | instskip(NEXT) | instid1(VALU_DEP_1)
	v_fma_f64 v[212:213], v[214:215], v[220:221], v[212:213]
	v_add_f64 v[86:87], v[86:87], -v[212:213]
	ds_load_2addr_b64 v[212:215], v222 offset0:64 offset1:65
	s_waitcnt lgkmcnt(0)
	v_mul_f64 v[176:177], v[214:215], v[178:179]
	s_delay_alu instid0(VALU_DEP_1) | instskip(SKIP_1) | instid1(VALU_DEP_2)
	v_fma_f64 v[176:177], v[212:213], v[220:221], -v[176:177]
	v_mul_f64 v[212:213], v[212:213], v[178:179]
	v_add_f64 v[80:81], v[80:81], -v[176:177]
	s_delay_alu instid0(VALU_DEP_2) | instskip(NEXT) | instid1(VALU_DEP_1)
	v_fma_f64 v[212:213], v[214:215], v[220:221], v[212:213]
	v_add_f64 v[82:83], v[82:83], -v[212:213]
	ds_load_2addr_b64 v[212:215], v222 offset0:66 offset1:67
	s_waitcnt lgkmcnt(0)
	v_mul_f64 v[176:177], v[214:215], v[178:179]
	s_delay_alu instid0(VALU_DEP_1) | instskip(SKIP_1) | instid1(VALU_DEP_2)
	v_fma_f64 v[176:177], v[212:213], v[220:221], -v[176:177]
	v_mul_f64 v[212:213], v[212:213], v[178:179]
	v_add_f64 v[76:77], v[76:77], -v[176:177]
	s_delay_alu instid0(VALU_DEP_2) | instskip(NEXT) | instid1(VALU_DEP_1)
	v_fma_f64 v[212:213], v[214:215], v[220:221], v[212:213]
	v_add_f64 v[78:79], v[78:79], -v[212:213]
	ds_load_2addr_b64 v[212:215], v222 offset0:68 offset1:69
	s_waitcnt lgkmcnt(0)
	v_mul_f64 v[176:177], v[214:215], v[178:179]
	s_delay_alu instid0(VALU_DEP_1) | instskip(SKIP_1) | instid1(VALU_DEP_2)
	v_fma_f64 v[176:177], v[212:213], v[220:221], -v[176:177]
	v_mul_f64 v[212:213], v[212:213], v[178:179]
	v_add_f64 v[72:73], v[72:73], -v[176:177]
	s_delay_alu instid0(VALU_DEP_2) | instskip(NEXT) | instid1(VALU_DEP_1)
	v_fma_f64 v[212:213], v[214:215], v[220:221], v[212:213]
	v_add_f64 v[74:75], v[74:75], -v[212:213]
	ds_load_2addr_b64 v[212:215], v222 offset0:70 offset1:71
	s_waitcnt lgkmcnt(0)
	v_mul_f64 v[176:177], v[214:215], v[178:179]
	s_delay_alu instid0(VALU_DEP_1) | instskip(SKIP_1) | instid1(VALU_DEP_2)
	v_fma_f64 v[176:177], v[212:213], v[220:221], -v[176:177]
	v_mul_f64 v[212:213], v[212:213], v[178:179]
	v_add_f64 v[68:69], v[68:69], -v[176:177]
	s_delay_alu instid0(VALU_DEP_2) | instskip(NEXT) | instid1(VALU_DEP_1)
	v_fma_f64 v[212:213], v[214:215], v[220:221], v[212:213]
	v_add_f64 v[70:71], v[70:71], -v[212:213]
	ds_load_2addr_b64 v[212:215], v222 offset0:72 offset1:73
	s_waitcnt lgkmcnt(0)
	v_mul_f64 v[176:177], v[214:215], v[178:179]
	s_delay_alu instid0(VALU_DEP_1) | instskip(SKIP_1) | instid1(VALU_DEP_2)
	v_fma_f64 v[176:177], v[212:213], v[220:221], -v[176:177]
	v_mul_f64 v[212:213], v[212:213], v[178:179]
	v_add_f64 v[64:65], v[64:65], -v[176:177]
	s_delay_alu instid0(VALU_DEP_2) | instskip(NEXT) | instid1(VALU_DEP_1)
	v_fma_f64 v[212:213], v[214:215], v[220:221], v[212:213]
	v_add_f64 v[66:67], v[66:67], -v[212:213]
	ds_load_2addr_b64 v[212:215], v222 offset0:74 offset1:75
	s_waitcnt lgkmcnt(0)
	v_mul_f64 v[176:177], v[214:215], v[178:179]
	s_delay_alu instid0(VALU_DEP_1) | instskip(SKIP_1) | instid1(VALU_DEP_2)
	v_fma_f64 v[176:177], v[212:213], v[220:221], -v[176:177]
	v_mul_f64 v[212:213], v[212:213], v[178:179]
	v_add_f64 v[60:61], v[60:61], -v[176:177]
	s_delay_alu instid0(VALU_DEP_2) | instskip(NEXT) | instid1(VALU_DEP_1)
	v_fma_f64 v[212:213], v[214:215], v[220:221], v[212:213]
	v_add_f64 v[62:63], v[62:63], -v[212:213]
	ds_load_2addr_b64 v[212:215], v222 offset0:76 offset1:77
	s_waitcnt lgkmcnt(0)
	v_mul_f64 v[176:177], v[214:215], v[178:179]
	s_delay_alu instid0(VALU_DEP_1) | instskip(SKIP_1) | instid1(VALU_DEP_2)
	v_fma_f64 v[176:177], v[212:213], v[220:221], -v[176:177]
	v_mul_f64 v[212:213], v[212:213], v[178:179]
	v_add_f64 v[56:57], v[56:57], -v[176:177]
	s_delay_alu instid0(VALU_DEP_2) | instskip(NEXT) | instid1(VALU_DEP_1)
	v_fma_f64 v[212:213], v[214:215], v[220:221], v[212:213]
	v_add_f64 v[58:59], v[58:59], -v[212:213]
	ds_load_2addr_b64 v[212:215], v222 offset0:78 offset1:79
	s_waitcnt lgkmcnt(0)
	v_mul_f64 v[176:177], v[214:215], v[178:179]
	s_delay_alu instid0(VALU_DEP_1) | instskip(SKIP_1) | instid1(VALU_DEP_2)
	v_fma_f64 v[176:177], v[212:213], v[220:221], -v[176:177]
	v_mul_f64 v[212:213], v[212:213], v[178:179]
	v_add_f64 v[52:53], v[52:53], -v[176:177]
	s_delay_alu instid0(VALU_DEP_2) | instskip(NEXT) | instid1(VALU_DEP_1)
	v_fma_f64 v[212:213], v[214:215], v[220:221], v[212:213]
	v_add_f64 v[54:55], v[54:55], -v[212:213]
	ds_load_2addr_b64 v[212:215], v222 offset0:80 offset1:81
	s_waitcnt lgkmcnt(0)
	v_mul_f64 v[176:177], v[214:215], v[178:179]
	s_delay_alu instid0(VALU_DEP_1) | instskip(SKIP_1) | instid1(VALU_DEP_2)
	v_fma_f64 v[176:177], v[212:213], v[220:221], -v[176:177]
	v_mul_f64 v[212:213], v[212:213], v[178:179]
	v_add_f64 v[48:49], v[48:49], -v[176:177]
	s_delay_alu instid0(VALU_DEP_2) | instskip(NEXT) | instid1(VALU_DEP_1)
	v_fma_f64 v[212:213], v[214:215], v[220:221], v[212:213]
	v_add_f64 v[50:51], v[50:51], -v[212:213]
	ds_load_2addr_b64 v[212:215], v222 offset0:82 offset1:83
	s_waitcnt lgkmcnt(0)
	v_mul_f64 v[176:177], v[214:215], v[178:179]
	s_delay_alu instid0(VALU_DEP_1) | instskip(SKIP_1) | instid1(VALU_DEP_2)
	v_fma_f64 v[176:177], v[212:213], v[220:221], -v[176:177]
	v_mul_f64 v[212:213], v[212:213], v[178:179]
	v_add_f64 v[44:45], v[44:45], -v[176:177]
	s_delay_alu instid0(VALU_DEP_2) | instskip(NEXT) | instid1(VALU_DEP_1)
	v_fma_f64 v[212:213], v[214:215], v[220:221], v[212:213]
	v_add_f64 v[46:47], v[46:47], -v[212:213]
	ds_load_2addr_b64 v[212:215], v222 offset0:84 offset1:85
	s_waitcnt lgkmcnt(0)
	v_mul_f64 v[176:177], v[214:215], v[178:179]
	s_delay_alu instid0(VALU_DEP_1) | instskip(SKIP_1) | instid1(VALU_DEP_2)
	v_fma_f64 v[176:177], v[212:213], v[220:221], -v[176:177]
	v_mul_f64 v[212:213], v[212:213], v[178:179]
	v_add_f64 v[40:41], v[40:41], -v[176:177]
	s_delay_alu instid0(VALU_DEP_2) | instskip(NEXT) | instid1(VALU_DEP_1)
	v_fma_f64 v[212:213], v[214:215], v[220:221], v[212:213]
	v_add_f64 v[42:43], v[42:43], -v[212:213]
	ds_load_2addr_b64 v[212:215], v222 offset0:86 offset1:87
	s_waitcnt lgkmcnt(0)
	v_mul_f64 v[176:177], v[214:215], v[178:179]
	s_delay_alu instid0(VALU_DEP_1) | instskip(SKIP_1) | instid1(VALU_DEP_2)
	v_fma_f64 v[176:177], v[212:213], v[220:221], -v[176:177]
	v_mul_f64 v[212:213], v[212:213], v[178:179]
	v_add_f64 v[36:37], v[36:37], -v[176:177]
	s_delay_alu instid0(VALU_DEP_2) | instskip(NEXT) | instid1(VALU_DEP_1)
	v_fma_f64 v[212:213], v[214:215], v[220:221], v[212:213]
	v_add_f64 v[38:39], v[38:39], -v[212:213]
	ds_load_2addr_b64 v[212:215], v222 offset0:88 offset1:89
	s_waitcnt lgkmcnt(0)
	v_mul_f64 v[176:177], v[214:215], v[178:179]
	s_delay_alu instid0(VALU_DEP_1) | instskip(SKIP_1) | instid1(VALU_DEP_2)
	v_fma_f64 v[176:177], v[212:213], v[220:221], -v[176:177]
	v_mul_f64 v[212:213], v[212:213], v[178:179]
	v_add_f64 v[32:33], v[32:33], -v[176:177]
	s_delay_alu instid0(VALU_DEP_2) | instskip(NEXT) | instid1(VALU_DEP_1)
	v_fma_f64 v[212:213], v[214:215], v[220:221], v[212:213]
	v_add_f64 v[34:35], v[34:35], -v[212:213]
	ds_load_2addr_b64 v[212:215], v222 offset0:90 offset1:91
	s_waitcnt lgkmcnt(0)
	v_mul_f64 v[176:177], v[214:215], v[178:179]
	s_delay_alu instid0(VALU_DEP_1) | instskip(SKIP_1) | instid1(VALU_DEP_2)
	v_fma_f64 v[176:177], v[212:213], v[220:221], -v[176:177]
	v_mul_f64 v[212:213], v[212:213], v[178:179]
	v_add_f64 v[28:29], v[28:29], -v[176:177]
	s_delay_alu instid0(VALU_DEP_2) | instskip(NEXT) | instid1(VALU_DEP_1)
	v_fma_f64 v[212:213], v[214:215], v[220:221], v[212:213]
	v_add_f64 v[30:31], v[30:31], -v[212:213]
	ds_load_2addr_b64 v[212:215], v222 offset0:92 offset1:93
	s_waitcnt lgkmcnt(0)
	v_mul_f64 v[176:177], v[214:215], v[178:179]
	s_delay_alu instid0(VALU_DEP_1) | instskip(SKIP_1) | instid1(VALU_DEP_2)
	v_fma_f64 v[176:177], v[212:213], v[220:221], -v[176:177]
	v_mul_f64 v[212:213], v[212:213], v[178:179]
	v_add_f64 v[24:25], v[24:25], -v[176:177]
	s_delay_alu instid0(VALU_DEP_2) | instskip(NEXT) | instid1(VALU_DEP_1)
	v_fma_f64 v[212:213], v[214:215], v[220:221], v[212:213]
	v_add_f64 v[26:27], v[26:27], -v[212:213]
	ds_load_2addr_b64 v[212:215], v222 offset0:94 offset1:95
	s_waitcnt lgkmcnt(0)
	v_mul_f64 v[176:177], v[214:215], v[178:179]
	s_delay_alu instid0(VALU_DEP_1) | instskip(SKIP_1) | instid1(VALU_DEP_2)
	v_fma_f64 v[176:177], v[212:213], v[220:221], -v[176:177]
	v_mul_f64 v[212:213], v[212:213], v[178:179]
	v_add_f64 v[20:21], v[20:21], -v[176:177]
	s_delay_alu instid0(VALU_DEP_2) | instskip(NEXT) | instid1(VALU_DEP_1)
	v_fma_f64 v[212:213], v[214:215], v[220:221], v[212:213]
	v_add_f64 v[22:23], v[22:23], -v[212:213]
	ds_load_2addr_b64 v[212:215], v222 offset0:96 offset1:97
	s_waitcnt lgkmcnt(0)
	v_mul_f64 v[176:177], v[214:215], v[178:179]
	s_delay_alu instid0(VALU_DEP_1) | instskip(SKIP_1) | instid1(VALU_DEP_2)
	v_fma_f64 v[176:177], v[212:213], v[220:221], -v[176:177]
	v_mul_f64 v[212:213], v[212:213], v[178:179]
	v_add_f64 v[16:17], v[16:17], -v[176:177]
	s_delay_alu instid0(VALU_DEP_2) | instskip(NEXT) | instid1(VALU_DEP_1)
	v_fma_f64 v[212:213], v[214:215], v[220:221], v[212:213]
	v_add_f64 v[18:19], v[18:19], -v[212:213]
	ds_load_2addr_b64 v[212:215], v222 offset0:98 offset1:99
	s_waitcnt lgkmcnt(0)
	v_mul_f64 v[176:177], v[214:215], v[178:179]
	s_delay_alu instid0(VALU_DEP_1) | instskip(SKIP_1) | instid1(VALU_DEP_2)
	v_fma_f64 v[176:177], v[212:213], v[220:221], -v[176:177]
	v_mul_f64 v[212:213], v[212:213], v[178:179]
	v_add_f64 v[12:13], v[12:13], -v[176:177]
	s_delay_alu instid0(VALU_DEP_2) | instskip(NEXT) | instid1(VALU_DEP_1)
	v_fma_f64 v[212:213], v[214:215], v[220:221], v[212:213]
	v_add_f64 v[14:15], v[14:15], -v[212:213]
	ds_load_2addr_b64 v[212:215], v222 offset0:100 offset1:101
	s_waitcnt lgkmcnt(0)
	v_mul_f64 v[176:177], v[214:215], v[178:179]
	s_delay_alu instid0(VALU_DEP_1) | instskip(SKIP_1) | instid1(VALU_DEP_2)
	v_fma_f64 v[176:177], v[212:213], v[220:221], -v[176:177]
	v_mul_f64 v[212:213], v[212:213], v[178:179]
	v_add_f64 v[8:9], v[8:9], -v[176:177]
	s_delay_alu instid0(VALU_DEP_2) | instskip(NEXT) | instid1(VALU_DEP_1)
	v_fma_f64 v[212:213], v[214:215], v[220:221], v[212:213]
	v_add_f64 v[10:11], v[10:11], -v[212:213]
	ds_load_2addr_b64 v[212:215], v222 offset0:102 offset1:103
	s_waitcnt lgkmcnt(0)
	v_mul_f64 v[176:177], v[214:215], v[178:179]
	s_delay_alu instid0(VALU_DEP_1) | instskip(SKIP_1) | instid1(VALU_DEP_2)
	v_fma_f64 v[176:177], v[212:213], v[220:221], -v[176:177]
	v_mul_f64 v[212:213], v[212:213], v[178:179]
	v_add_f64 v[4:5], v[4:5], -v[176:177]
	s_delay_alu instid0(VALU_DEP_2) | instskip(NEXT) | instid1(VALU_DEP_1)
	v_fma_f64 v[212:213], v[214:215], v[220:221], v[212:213]
	v_add_f64 v[6:7], v[6:7], -v[212:213]
	ds_load_2addr_b64 v[212:215], v222 offset0:104 offset1:105
	s_waitcnt lgkmcnt(0)
	v_mul_f64 v[176:177], v[214:215], v[178:179]
	s_delay_alu instid0(VALU_DEP_1) | instskip(SKIP_1) | instid1(VALU_DEP_2)
	v_fma_f64 v[176:177], v[212:213], v[220:221], -v[176:177]
	v_mul_f64 v[212:213], v[212:213], v[178:179]
	v_add_f64 v[0:1], v[0:1], -v[176:177]
	s_delay_alu instid0(VALU_DEP_2) | instskip(SKIP_1) | instid1(VALU_DEP_2)
	v_fma_f64 v[212:213], v[214:215], v[220:221], v[212:213]
	v_dual_mov_b32 v176, v220 :: v_dual_mov_b32 v177, v221
	v_add_f64 v[2:3], v[2:3], -v[212:213]
.LBB104_188:
	s_or_b32 exec_lo, exec_lo, s2
	v_lshl_add_u32 v212, v228, 4, v222
	s_barrier
	buffer_gl0_inv
	v_mov_b32_e32 v220, 9
	ds_store_2addr_b64 v212, v[172:173], v[174:175] offset1:1
	s_waitcnt lgkmcnt(0)
	s_barrier
	buffer_gl0_inv
	ds_load_2addr_b64 v[212:215], v222 offset0:18 offset1:19
	s_cmp_lt_i32 s5, 11
	s_cbranch_scc1 .LBB104_191
; %bb.189:
	v_add3_u32 v221, v226, 0, 0xa0
	v_mov_b32_e32 v220, 9
	s_mov_b32 s6, 10
	s_set_inst_prefetch_distance 0x1
	.p2align	6
.LBB104_190:                            ; =>This Inner Loop Header: Depth=1
	ds_load_2addr_b64 v[229:232], v221 offset1:1
	s_waitcnt lgkmcnt(1)
	v_cmp_gt_f64_e32 vcc_lo, 0, v[212:213]
	v_xor_b32_e32 v233, 0x80000000, v213
	v_cmp_gt_f64_e64 s2, 0, v[214:215]
	v_xor_b32_e32 v235, 0x80000000, v215
	v_add_nc_u32_e32 v221, 16, v221
	s_waitcnt lgkmcnt(0)
	v_cmp_gt_f64_e64 s3, 0, v[229:230]
	v_mov_b32_e32 v237, v229
	v_dual_mov_b32 v239, v231 :: v_dual_cndmask_b32 v234, v213, v233
	v_xor_b32_e32 v233, 0x80000000, v230
	v_cndmask_b32_e64 v236, v215, v235, s2
	v_xor_b32_e32 v235, 0x80000000, v232
	s_delay_alu instid0(VALU_DEP_3) | instskip(SKIP_2) | instid1(VALU_DEP_2)
	v_cndmask_b32_e64 v238, v230, v233, s3
	v_cmp_gt_f64_e64 s3, 0, v[231:232]
	v_cndmask_b32_e32 v233, v212, v212, vcc_lo
	v_cndmask_b32_e64 v240, v232, v235, s3
	v_cndmask_b32_e64 v235, v214, v214, s2
	s_delay_alu instid0(VALU_DEP_2) | instskip(NEXT) | instid1(VALU_DEP_2)
	v_add_f64 v[237:238], v[237:238], v[239:240]
	v_add_f64 v[233:234], v[233:234], v[235:236]
	s_delay_alu instid0(VALU_DEP_1) | instskip(SKIP_4) | instid1(SALU_CYCLE_1)
	v_cmp_lt_f64_e32 vcc_lo, v[233:234], v[237:238]
	v_dual_cndmask_b32 v214, v214, v231 :: v_dual_cndmask_b32 v213, v213, v230
	v_dual_cndmask_b32 v212, v212, v229 :: v_dual_cndmask_b32 v215, v215, v232
	v_cndmask_b32_e64 v220, v220, s6, vcc_lo
	s_add_i32 s6, s6, 1
	s_cmp_lg_u32 s5, s6
	s_cbranch_scc1 .LBB104_190
.LBB104_191:
	s_set_inst_prefetch_distance 0x2
	s_waitcnt lgkmcnt(0)
	v_cmp_eq_f64_e32 vcc_lo, 0, v[212:213]
	v_cmp_eq_f64_e64 s2, 0, v[214:215]
	s_delay_alu instid0(VALU_DEP_1) | instskip(NEXT) | instid1(SALU_CYCLE_1)
	s_and_b32 s2, vcc_lo, s2
	s_and_saveexec_b32 s3, s2
	s_delay_alu instid0(SALU_CYCLE_1)
	s_xor_b32 s2, exec_lo, s3
; %bb.192:
	v_cmp_ne_u32_e32 vcc_lo, 0, v225
	v_cndmask_b32_e32 v225, 10, v225, vcc_lo
; %bb.193:
	s_and_not1_saveexec_b32 s3, s2
	s_cbranch_execz .LBB104_199
; %bb.194:
	v_cmp_gt_f64_e32 vcc_lo, 0, v[212:213]
	v_cmp_gt_f64_e64 s2, 0, v[214:215]
	v_xor_b32_e32 v221, 0x80000000, v213
	v_xor_b32_e32 v229, 0x80000000, v215
	s_delay_alu instid0(VALU_DEP_2) | instskip(NEXT) | instid1(VALU_DEP_2)
	v_cndmask_b32_e32 v230, v213, v221, vcc_lo
	v_cndmask_b32_e64 v232, v215, v229, s2
	v_cndmask_b32_e32 v229, v212, v212, vcc_lo
	v_cndmask_b32_e64 v231, v214, v214, s2
	s_mov_b32 s2, exec_lo
	s_delay_alu instid0(VALU_DEP_1)
	v_cmpx_ngt_f64_e32 v[229:230], v[231:232]
	s_xor_b32 s2, exec_lo, s2
	s_cbranch_execz .LBB104_196
; %bb.195:
	v_div_scale_f64 v[229:230], null, v[214:215], v[214:215], v[212:213]
	v_div_scale_f64 v[235:236], vcc_lo, v[212:213], v[214:215], v[212:213]
	s_delay_alu instid0(VALU_DEP_2) | instskip(SKIP_2) | instid1(VALU_DEP_1)
	v_rcp_f64_e32 v[231:232], v[229:230]
	s_waitcnt_depctr 0xfff
	v_fma_f64 v[233:234], -v[229:230], v[231:232], 1.0
	v_fma_f64 v[231:232], v[231:232], v[233:234], v[231:232]
	s_delay_alu instid0(VALU_DEP_1) | instskip(NEXT) | instid1(VALU_DEP_1)
	v_fma_f64 v[233:234], -v[229:230], v[231:232], 1.0
	v_fma_f64 v[231:232], v[231:232], v[233:234], v[231:232]
	s_delay_alu instid0(VALU_DEP_1) | instskip(NEXT) | instid1(VALU_DEP_1)
	v_mul_f64 v[233:234], v[235:236], v[231:232]
	v_fma_f64 v[229:230], -v[229:230], v[233:234], v[235:236]
	s_delay_alu instid0(VALU_DEP_1) | instskip(NEXT) | instid1(VALU_DEP_1)
	v_div_fmas_f64 v[229:230], v[229:230], v[231:232], v[233:234]
	v_div_fixup_f64 v[229:230], v[229:230], v[214:215], v[212:213]
	s_delay_alu instid0(VALU_DEP_1) | instskip(NEXT) | instid1(VALU_DEP_1)
	v_fma_f64 v[212:213], v[212:213], v[229:230], v[214:215]
	v_div_scale_f64 v[214:215], null, v[212:213], v[212:213], 1.0
	s_delay_alu instid0(VALU_DEP_1) | instskip(SKIP_2) | instid1(VALU_DEP_1)
	v_rcp_f64_e32 v[231:232], v[214:215]
	s_waitcnt_depctr 0xfff
	v_fma_f64 v[233:234], -v[214:215], v[231:232], 1.0
	v_fma_f64 v[231:232], v[231:232], v[233:234], v[231:232]
	s_delay_alu instid0(VALU_DEP_1) | instskip(NEXT) | instid1(VALU_DEP_1)
	v_fma_f64 v[233:234], -v[214:215], v[231:232], 1.0
	v_fma_f64 v[231:232], v[231:232], v[233:234], v[231:232]
	v_div_scale_f64 v[233:234], vcc_lo, 1.0, v[212:213], 1.0
	s_delay_alu instid0(VALU_DEP_1) | instskip(NEXT) | instid1(VALU_DEP_1)
	v_mul_f64 v[235:236], v[233:234], v[231:232]
	v_fma_f64 v[214:215], -v[214:215], v[235:236], v[233:234]
	s_delay_alu instid0(VALU_DEP_1) | instskip(NEXT) | instid1(VALU_DEP_1)
	v_div_fmas_f64 v[214:215], v[214:215], v[231:232], v[235:236]
	v_div_fixup_f64 v[214:215], v[214:215], v[212:213], 1.0
	s_delay_alu instid0(VALU_DEP_1)
	v_mul_f64 v[212:213], v[229:230], v[214:215]
	v_xor_b32_e32 v215, 0x80000000, v215
.LBB104_196:
	s_and_not1_saveexec_b32 s2, s2
	s_cbranch_execz .LBB104_198
; %bb.197:
	s_delay_alu instid0(VALU_DEP_1) | instskip(SKIP_1) | instid1(VALU_DEP_2)
	v_div_scale_f64 v[229:230], null, v[212:213], v[212:213], v[214:215]
	v_div_scale_f64 v[235:236], vcc_lo, v[214:215], v[212:213], v[214:215]
	v_rcp_f64_e32 v[231:232], v[229:230]
	s_waitcnt_depctr 0xfff
	v_fma_f64 v[233:234], -v[229:230], v[231:232], 1.0
	s_delay_alu instid0(VALU_DEP_1) | instskip(NEXT) | instid1(VALU_DEP_1)
	v_fma_f64 v[231:232], v[231:232], v[233:234], v[231:232]
	v_fma_f64 v[233:234], -v[229:230], v[231:232], 1.0
	s_delay_alu instid0(VALU_DEP_1) | instskip(NEXT) | instid1(VALU_DEP_1)
	v_fma_f64 v[231:232], v[231:232], v[233:234], v[231:232]
	v_mul_f64 v[233:234], v[235:236], v[231:232]
	s_delay_alu instid0(VALU_DEP_1) | instskip(NEXT) | instid1(VALU_DEP_1)
	v_fma_f64 v[229:230], -v[229:230], v[233:234], v[235:236]
	v_div_fmas_f64 v[229:230], v[229:230], v[231:232], v[233:234]
	s_delay_alu instid0(VALU_DEP_1) | instskip(NEXT) | instid1(VALU_DEP_1)
	v_div_fixup_f64 v[229:230], v[229:230], v[212:213], v[214:215]
	v_fma_f64 v[212:213], v[214:215], v[229:230], v[212:213]
	s_delay_alu instid0(VALU_DEP_1) | instskip(NEXT) | instid1(VALU_DEP_1)
	v_div_scale_f64 v[214:215], null, v[212:213], v[212:213], 1.0
	v_rcp_f64_e32 v[231:232], v[214:215]
	s_waitcnt_depctr 0xfff
	v_fma_f64 v[233:234], -v[214:215], v[231:232], 1.0
	s_delay_alu instid0(VALU_DEP_1) | instskip(NEXT) | instid1(VALU_DEP_1)
	v_fma_f64 v[231:232], v[231:232], v[233:234], v[231:232]
	v_fma_f64 v[233:234], -v[214:215], v[231:232], 1.0
	s_delay_alu instid0(VALU_DEP_1) | instskip(SKIP_1) | instid1(VALU_DEP_1)
	v_fma_f64 v[231:232], v[231:232], v[233:234], v[231:232]
	v_div_scale_f64 v[233:234], vcc_lo, 1.0, v[212:213], 1.0
	v_mul_f64 v[235:236], v[233:234], v[231:232]
	s_delay_alu instid0(VALU_DEP_1) | instskip(NEXT) | instid1(VALU_DEP_1)
	v_fma_f64 v[214:215], -v[214:215], v[235:236], v[233:234]
	v_div_fmas_f64 v[214:215], v[214:215], v[231:232], v[235:236]
	s_delay_alu instid0(VALU_DEP_1) | instskip(NEXT) | instid1(VALU_DEP_1)
	v_div_fixup_f64 v[212:213], v[214:215], v[212:213], 1.0
	v_mul_f64 v[214:215], v[229:230], -v[212:213]
.LBB104_198:
	s_or_b32 exec_lo, exec_lo, s2
.LBB104_199:
	s_delay_alu instid0(SALU_CYCLE_1) | instskip(NEXT) | instid1(SALU_CYCLE_1)
	s_or_b32 exec_lo, exec_lo, s3
	s_mov_b32 s2, exec_lo
	v_cmpx_ne_u32_e64 v228, v220
	s_xor_b32 s2, exec_lo, s2
	s_cbranch_execz .LBB104_205
; %bb.200:
	s_mov_b32 s3, exec_lo
	v_cmpx_eq_u32_e32 9, v228
	s_cbranch_execz .LBB104_204
; %bb.201:
	v_cmp_ne_u32_e32 vcc_lo, 9, v220
	s_xor_b32 s6, s4, -1
	s_delay_alu instid0(SALU_CYCLE_1) | instskip(NEXT) | instid1(SALU_CYCLE_1)
	s_and_b32 s7, s6, vcc_lo
	s_and_saveexec_b32 s6, s7
	s_cbranch_execz .LBB104_203
; %bb.202:
	v_ashrrev_i32_e32 v221, 31, v220
	s_delay_alu instid0(VALU_DEP_1) | instskip(NEXT) | instid1(VALU_DEP_1)
	v_lshlrev_b64 v[227:228], 2, v[220:221]
	v_add_co_u32 v227, vcc_lo, v218, v227
	s_delay_alu instid0(VALU_DEP_2)
	v_add_co_ci_u32_e32 v228, vcc_lo, v219, v228, vcc_lo
	s_clause 0x1
	flat_load_b32 v221, v[227:228]
	flat_load_b32 v229, v[218:219] offset:36
	s_waitcnt vmcnt(1) lgkmcnt(1)
	flat_store_b32 v[218:219], v221 offset:36
	s_waitcnt vmcnt(0) lgkmcnt(1)
	flat_store_b32 v[227:228], v229
.LBB104_203:
	s_or_b32 exec_lo, exec_lo, s6
	v_mov_b32_e32 v228, v220
	v_mov_b32_e32 v227, v220
.LBB104_204:
	s_or_b32 exec_lo, exec_lo, s3
.LBB104_205:
	s_and_not1_saveexec_b32 s2, s2
	s_cbranch_execz .LBB104_207
; %bb.206:
	v_mov_b32_e32 v228, 9
	ds_store_2addr_b64 v222, v[168:169], v[170:171] offset0:20 offset1:21
	ds_store_2addr_b64 v222, v[164:165], v[166:167] offset0:22 offset1:23
	;; [unrolled: 1-line block ×43, first 2 shown]
.LBB104_207:
	s_or_b32 exec_lo, exec_lo, s2
	s_delay_alu instid0(SALU_CYCLE_1)
	s_mov_b32 s2, exec_lo
	s_waitcnt lgkmcnt(0)
	s_waitcnt_vscnt null, 0x0
	s_barrier
	buffer_gl0_inv
	v_cmpx_lt_i32_e32 9, v228
	s_cbranch_execz .LBB104_209
; %bb.208:
	v_mul_f64 v[220:221], v[214:215], v[174:175]
	v_mul_f64 v[174:175], v[212:213], v[174:175]
	s_delay_alu instid0(VALU_DEP_2) | instskip(NEXT) | instid1(VALU_DEP_2)
	v_fma_f64 v[220:221], v[212:213], v[172:173], -v[220:221]
	v_fma_f64 v[174:175], v[214:215], v[172:173], v[174:175]
	ds_load_2addr_b64 v[212:215], v222 offset0:20 offset1:21
	s_waitcnt lgkmcnt(0)
	v_mul_f64 v[172:173], v[214:215], v[174:175]
	s_delay_alu instid0(VALU_DEP_1) | instskip(SKIP_1) | instid1(VALU_DEP_2)
	v_fma_f64 v[172:173], v[212:213], v[220:221], -v[172:173]
	v_mul_f64 v[212:213], v[212:213], v[174:175]
	v_add_f64 v[168:169], v[168:169], -v[172:173]
	s_delay_alu instid0(VALU_DEP_2) | instskip(NEXT) | instid1(VALU_DEP_1)
	v_fma_f64 v[212:213], v[214:215], v[220:221], v[212:213]
	v_add_f64 v[170:171], v[170:171], -v[212:213]
	ds_load_2addr_b64 v[212:215], v222 offset0:22 offset1:23
	s_waitcnt lgkmcnt(0)
	v_mul_f64 v[172:173], v[214:215], v[174:175]
	s_delay_alu instid0(VALU_DEP_1) | instskip(SKIP_1) | instid1(VALU_DEP_2)
	v_fma_f64 v[172:173], v[212:213], v[220:221], -v[172:173]
	v_mul_f64 v[212:213], v[212:213], v[174:175]
	v_add_f64 v[164:165], v[164:165], -v[172:173]
	s_delay_alu instid0(VALU_DEP_2) | instskip(NEXT) | instid1(VALU_DEP_1)
	v_fma_f64 v[212:213], v[214:215], v[220:221], v[212:213]
	v_add_f64 v[166:167], v[166:167], -v[212:213]
	;; [unrolled: 10-line block ×42, first 2 shown]
	ds_load_2addr_b64 v[212:215], v222 offset0:104 offset1:105
	s_waitcnt lgkmcnt(0)
	v_mul_f64 v[172:173], v[214:215], v[174:175]
	s_delay_alu instid0(VALU_DEP_1) | instskip(SKIP_1) | instid1(VALU_DEP_2)
	v_fma_f64 v[172:173], v[212:213], v[220:221], -v[172:173]
	v_mul_f64 v[212:213], v[212:213], v[174:175]
	v_add_f64 v[0:1], v[0:1], -v[172:173]
	s_delay_alu instid0(VALU_DEP_2) | instskip(SKIP_1) | instid1(VALU_DEP_2)
	v_fma_f64 v[212:213], v[214:215], v[220:221], v[212:213]
	v_dual_mov_b32 v172, v220 :: v_dual_mov_b32 v173, v221
	v_add_f64 v[2:3], v[2:3], -v[212:213]
.LBB104_209:
	s_or_b32 exec_lo, exec_lo, s2
	v_lshl_add_u32 v212, v228, 4, v222
	s_barrier
	buffer_gl0_inv
	v_mov_b32_e32 v220, 10
	ds_store_2addr_b64 v212, v[168:169], v[170:171] offset1:1
	s_waitcnt lgkmcnt(0)
	s_barrier
	buffer_gl0_inv
	ds_load_2addr_b64 v[212:215], v222 offset0:20 offset1:21
	s_cmp_lt_i32 s5, 12
	s_cbranch_scc1 .LBB104_212
; %bb.210:
	v_add3_u32 v221, v226, 0, 0xb0
	v_mov_b32_e32 v220, 10
	s_mov_b32 s6, 11
	s_set_inst_prefetch_distance 0x1
	.p2align	6
.LBB104_211:                            ; =>This Inner Loop Header: Depth=1
	ds_load_2addr_b64 v[229:232], v221 offset1:1
	s_waitcnt lgkmcnt(1)
	v_cmp_gt_f64_e32 vcc_lo, 0, v[212:213]
	v_xor_b32_e32 v233, 0x80000000, v213
	v_cmp_gt_f64_e64 s2, 0, v[214:215]
	v_xor_b32_e32 v235, 0x80000000, v215
	v_add_nc_u32_e32 v221, 16, v221
	s_waitcnt lgkmcnt(0)
	v_cmp_gt_f64_e64 s3, 0, v[229:230]
	v_mov_b32_e32 v237, v229
	v_dual_mov_b32 v239, v231 :: v_dual_cndmask_b32 v234, v213, v233
	v_xor_b32_e32 v233, 0x80000000, v230
	v_cndmask_b32_e64 v236, v215, v235, s2
	v_xor_b32_e32 v235, 0x80000000, v232
	s_delay_alu instid0(VALU_DEP_3) | instskip(SKIP_2) | instid1(VALU_DEP_2)
	v_cndmask_b32_e64 v238, v230, v233, s3
	v_cmp_gt_f64_e64 s3, 0, v[231:232]
	v_cndmask_b32_e32 v233, v212, v212, vcc_lo
	v_cndmask_b32_e64 v240, v232, v235, s3
	v_cndmask_b32_e64 v235, v214, v214, s2
	s_delay_alu instid0(VALU_DEP_2) | instskip(NEXT) | instid1(VALU_DEP_2)
	v_add_f64 v[237:238], v[237:238], v[239:240]
	v_add_f64 v[233:234], v[233:234], v[235:236]
	s_delay_alu instid0(VALU_DEP_1) | instskip(SKIP_4) | instid1(SALU_CYCLE_1)
	v_cmp_lt_f64_e32 vcc_lo, v[233:234], v[237:238]
	v_dual_cndmask_b32 v214, v214, v231 :: v_dual_cndmask_b32 v213, v213, v230
	v_dual_cndmask_b32 v212, v212, v229 :: v_dual_cndmask_b32 v215, v215, v232
	v_cndmask_b32_e64 v220, v220, s6, vcc_lo
	s_add_i32 s6, s6, 1
	s_cmp_lg_u32 s5, s6
	s_cbranch_scc1 .LBB104_211
.LBB104_212:
	s_set_inst_prefetch_distance 0x2
	s_waitcnt lgkmcnt(0)
	v_cmp_eq_f64_e32 vcc_lo, 0, v[212:213]
	v_cmp_eq_f64_e64 s2, 0, v[214:215]
	s_delay_alu instid0(VALU_DEP_1) | instskip(NEXT) | instid1(SALU_CYCLE_1)
	s_and_b32 s2, vcc_lo, s2
	s_and_saveexec_b32 s3, s2
	s_delay_alu instid0(SALU_CYCLE_1)
	s_xor_b32 s2, exec_lo, s3
; %bb.213:
	v_cmp_ne_u32_e32 vcc_lo, 0, v225
	v_cndmask_b32_e32 v225, 11, v225, vcc_lo
; %bb.214:
	s_and_not1_saveexec_b32 s3, s2
	s_cbranch_execz .LBB104_220
; %bb.215:
	v_cmp_gt_f64_e32 vcc_lo, 0, v[212:213]
	v_cmp_gt_f64_e64 s2, 0, v[214:215]
	v_xor_b32_e32 v221, 0x80000000, v213
	v_xor_b32_e32 v229, 0x80000000, v215
	s_delay_alu instid0(VALU_DEP_2) | instskip(NEXT) | instid1(VALU_DEP_2)
	v_cndmask_b32_e32 v230, v213, v221, vcc_lo
	v_cndmask_b32_e64 v232, v215, v229, s2
	v_cndmask_b32_e32 v229, v212, v212, vcc_lo
	v_cndmask_b32_e64 v231, v214, v214, s2
	s_mov_b32 s2, exec_lo
	s_delay_alu instid0(VALU_DEP_1)
	v_cmpx_ngt_f64_e32 v[229:230], v[231:232]
	s_xor_b32 s2, exec_lo, s2
	s_cbranch_execz .LBB104_217
; %bb.216:
	v_div_scale_f64 v[229:230], null, v[214:215], v[214:215], v[212:213]
	v_div_scale_f64 v[235:236], vcc_lo, v[212:213], v[214:215], v[212:213]
	s_delay_alu instid0(VALU_DEP_2) | instskip(SKIP_2) | instid1(VALU_DEP_1)
	v_rcp_f64_e32 v[231:232], v[229:230]
	s_waitcnt_depctr 0xfff
	v_fma_f64 v[233:234], -v[229:230], v[231:232], 1.0
	v_fma_f64 v[231:232], v[231:232], v[233:234], v[231:232]
	s_delay_alu instid0(VALU_DEP_1) | instskip(NEXT) | instid1(VALU_DEP_1)
	v_fma_f64 v[233:234], -v[229:230], v[231:232], 1.0
	v_fma_f64 v[231:232], v[231:232], v[233:234], v[231:232]
	s_delay_alu instid0(VALU_DEP_1) | instskip(NEXT) | instid1(VALU_DEP_1)
	v_mul_f64 v[233:234], v[235:236], v[231:232]
	v_fma_f64 v[229:230], -v[229:230], v[233:234], v[235:236]
	s_delay_alu instid0(VALU_DEP_1) | instskip(NEXT) | instid1(VALU_DEP_1)
	v_div_fmas_f64 v[229:230], v[229:230], v[231:232], v[233:234]
	v_div_fixup_f64 v[229:230], v[229:230], v[214:215], v[212:213]
	s_delay_alu instid0(VALU_DEP_1) | instskip(NEXT) | instid1(VALU_DEP_1)
	v_fma_f64 v[212:213], v[212:213], v[229:230], v[214:215]
	v_div_scale_f64 v[214:215], null, v[212:213], v[212:213], 1.0
	s_delay_alu instid0(VALU_DEP_1) | instskip(SKIP_2) | instid1(VALU_DEP_1)
	v_rcp_f64_e32 v[231:232], v[214:215]
	s_waitcnt_depctr 0xfff
	v_fma_f64 v[233:234], -v[214:215], v[231:232], 1.0
	v_fma_f64 v[231:232], v[231:232], v[233:234], v[231:232]
	s_delay_alu instid0(VALU_DEP_1) | instskip(NEXT) | instid1(VALU_DEP_1)
	v_fma_f64 v[233:234], -v[214:215], v[231:232], 1.0
	v_fma_f64 v[231:232], v[231:232], v[233:234], v[231:232]
	v_div_scale_f64 v[233:234], vcc_lo, 1.0, v[212:213], 1.0
	s_delay_alu instid0(VALU_DEP_1) | instskip(NEXT) | instid1(VALU_DEP_1)
	v_mul_f64 v[235:236], v[233:234], v[231:232]
	v_fma_f64 v[214:215], -v[214:215], v[235:236], v[233:234]
	s_delay_alu instid0(VALU_DEP_1) | instskip(NEXT) | instid1(VALU_DEP_1)
	v_div_fmas_f64 v[214:215], v[214:215], v[231:232], v[235:236]
	v_div_fixup_f64 v[214:215], v[214:215], v[212:213], 1.0
	s_delay_alu instid0(VALU_DEP_1)
	v_mul_f64 v[212:213], v[229:230], v[214:215]
	v_xor_b32_e32 v215, 0x80000000, v215
.LBB104_217:
	s_and_not1_saveexec_b32 s2, s2
	s_cbranch_execz .LBB104_219
; %bb.218:
	s_delay_alu instid0(VALU_DEP_1) | instskip(SKIP_1) | instid1(VALU_DEP_2)
	v_div_scale_f64 v[229:230], null, v[212:213], v[212:213], v[214:215]
	v_div_scale_f64 v[235:236], vcc_lo, v[214:215], v[212:213], v[214:215]
	v_rcp_f64_e32 v[231:232], v[229:230]
	s_waitcnt_depctr 0xfff
	v_fma_f64 v[233:234], -v[229:230], v[231:232], 1.0
	s_delay_alu instid0(VALU_DEP_1) | instskip(NEXT) | instid1(VALU_DEP_1)
	v_fma_f64 v[231:232], v[231:232], v[233:234], v[231:232]
	v_fma_f64 v[233:234], -v[229:230], v[231:232], 1.0
	s_delay_alu instid0(VALU_DEP_1) | instskip(NEXT) | instid1(VALU_DEP_1)
	v_fma_f64 v[231:232], v[231:232], v[233:234], v[231:232]
	v_mul_f64 v[233:234], v[235:236], v[231:232]
	s_delay_alu instid0(VALU_DEP_1) | instskip(NEXT) | instid1(VALU_DEP_1)
	v_fma_f64 v[229:230], -v[229:230], v[233:234], v[235:236]
	v_div_fmas_f64 v[229:230], v[229:230], v[231:232], v[233:234]
	s_delay_alu instid0(VALU_DEP_1) | instskip(NEXT) | instid1(VALU_DEP_1)
	v_div_fixup_f64 v[229:230], v[229:230], v[212:213], v[214:215]
	v_fma_f64 v[212:213], v[214:215], v[229:230], v[212:213]
	s_delay_alu instid0(VALU_DEP_1) | instskip(NEXT) | instid1(VALU_DEP_1)
	v_div_scale_f64 v[214:215], null, v[212:213], v[212:213], 1.0
	v_rcp_f64_e32 v[231:232], v[214:215]
	s_waitcnt_depctr 0xfff
	v_fma_f64 v[233:234], -v[214:215], v[231:232], 1.0
	s_delay_alu instid0(VALU_DEP_1) | instskip(NEXT) | instid1(VALU_DEP_1)
	v_fma_f64 v[231:232], v[231:232], v[233:234], v[231:232]
	v_fma_f64 v[233:234], -v[214:215], v[231:232], 1.0
	s_delay_alu instid0(VALU_DEP_1) | instskip(SKIP_1) | instid1(VALU_DEP_1)
	v_fma_f64 v[231:232], v[231:232], v[233:234], v[231:232]
	v_div_scale_f64 v[233:234], vcc_lo, 1.0, v[212:213], 1.0
	v_mul_f64 v[235:236], v[233:234], v[231:232]
	s_delay_alu instid0(VALU_DEP_1) | instskip(NEXT) | instid1(VALU_DEP_1)
	v_fma_f64 v[214:215], -v[214:215], v[235:236], v[233:234]
	v_div_fmas_f64 v[214:215], v[214:215], v[231:232], v[235:236]
	s_delay_alu instid0(VALU_DEP_1) | instskip(NEXT) | instid1(VALU_DEP_1)
	v_div_fixup_f64 v[212:213], v[214:215], v[212:213], 1.0
	v_mul_f64 v[214:215], v[229:230], -v[212:213]
.LBB104_219:
	s_or_b32 exec_lo, exec_lo, s2
.LBB104_220:
	s_delay_alu instid0(SALU_CYCLE_1) | instskip(NEXT) | instid1(SALU_CYCLE_1)
	s_or_b32 exec_lo, exec_lo, s3
	s_mov_b32 s2, exec_lo
	v_cmpx_ne_u32_e64 v228, v220
	s_xor_b32 s2, exec_lo, s2
	s_cbranch_execz .LBB104_226
; %bb.221:
	s_mov_b32 s3, exec_lo
	v_cmpx_eq_u32_e32 10, v228
	s_cbranch_execz .LBB104_225
; %bb.222:
	v_cmp_ne_u32_e32 vcc_lo, 10, v220
	s_xor_b32 s6, s4, -1
	s_delay_alu instid0(SALU_CYCLE_1) | instskip(NEXT) | instid1(SALU_CYCLE_1)
	s_and_b32 s7, s6, vcc_lo
	s_and_saveexec_b32 s6, s7
	s_cbranch_execz .LBB104_224
; %bb.223:
	v_ashrrev_i32_e32 v221, 31, v220
	s_delay_alu instid0(VALU_DEP_1) | instskip(NEXT) | instid1(VALU_DEP_1)
	v_lshlrev_b64 v[227:228], 2, v[220:221]
	v_add_co_u32 v227, vcc_lo, v218, v227
	s_delay_alu instid0(VALU_DEP_2)
	v_add_co_ci_u32_e32 v228, vcc_lo, v219, v228, vcc_lo
	s_clause 0x1
	flat_load_b32 v221, v[227:228]
	flat_load_b32 v229, v[218:219] offset:40
	s_waitcnt vmcnt(1) lgkmcnt(1)
	flat_store_b32 v[218:219], v221 offset:40
	s_waitcnt vmcnt(0) lgkmcnt(1)
	flat_store_b32 v[227:228], v229
.LBB104_224:
	s_or_b32 exec_lo, exec_lo, s6
	v_mov_b32_e32 v228, v220
	v_mov_b32_e32 v227, v220
.LBB104_225:
	s_or_b32 exec_lo, exec_lo, s3
.LBB104_226:
	s_and_not1_saveexec_b32 s2, s2
	s_cbranch_execz .LBB104_228
; %bb.227:
	v_mov_b32_e32 v228, 10
	ds_store_2addr_b64 v222, v[164:165], v[166:167] offset0:22 offset1:23
	ds_store_2addr_b64 v222, v[160:161], v[162:163] offset0:24 offset1:25
	;; [unrolled: 1-line block ×42, first 2 shown]
.LBB104_228:
	s_or_b32 exec_lo, exec_lo, s2
	s_delay_alu instid0(SALU_CYCLE_1)
	s_mov_b32 s2, exec_lo
	s_waitcnt lgkmcnt(0)
	s_waitcnt_vscnt null, 0x0
	s_barrier
	buffer_gl0_inv
	v_cmpx_lt_i32_e32 10, v228
	s_cbranch_execz .LBB104_230
; %bb.229:
	v_mul_f64 v[220:221], v[214:215], v[170:171]
	v_mul_f64 v[170:171], v[212:213], v[170:171]
	s_delay_alu instid0(VALU_DEP_2) | instskip(NEXT) | instid1(VALU_DEP_2)
	v_fma_f64 v[220:221], v[212:213], v[168:169], -v[220:221]
	v_fma_f64 v[170:171], v[214:215], v[168:169], v[170:171]
	ds_load_2addr_b64 v[212:215], v222 offset0:22 offset1:23
	s_waitcnt lgkmcnt(0)
	v_mul_f64 v[168:169], v[214:215], v[170:171]
	s_delay_alu instid0(VALU_DEP_1) | instskip(SKIP_1) | instid1(VALU_DEP_2)
	v_fma_f64 v[168:169], v[212:213], v[220:221], -v[168:169]
	v_mul_f64 v[212:213], v[212:213], v[170:171]
	v_add_f64 v[164:165], v[164:165], -v[168:169]
	s_delay_alu instid0(VALU_DEP_2) | instskip(NEXT) | instid1(VALU_DEP_1)
	v_fma_f64 v[212:213], v[214:215], v[220:221], v[212:213]
	v_add_f64 v[166:167], v[166:167], -v[212:213]
	ds_load_2addr_b64 v[212:215], v222 offset0:24 offset1:25
	s_waitcnt lgkmcnt(0)
	v_mul_f64 v[168:169], v[214:215], v[170:171]
	s_delay_alu instid0(VALU_DEP_1) | instskip(SKIP_1) | instid1(VALU_DEP_2)
	v_fma_f64 v[168:169], v[212:213], v[220:221], -v[168:169]
	v_mul_f64 v[212:213], v[212:213], v[170:171]
	v_add_f64 v[160:161], v[160:161], -v[168:169]
	s_delay_alu instid0(VALU_DEP_2) | instskip(NEXT) | instid1(VALU_DEP_1)
	v_fma_f64 v[212:213], v[214:215], v[220:221], v[212:213]
	v_add_f64 v[162:163], v[162:163], -v[212:213]
	;; [unrolled: 10-line block ×41, first 2 shown]
	ds_load_2addr_b64 v[212:215], v222 offset0:104 offset1:105
	s_waitcnt lgkmcnt(0)
	v_mul_f64 v[168:169], v[214:215], v[170:171]
	s_delay_alu instid0(VALU_DEP_1) | instskip(SKIP_1) | instid1(VALU_DEP_2)
	v_fma_f64 v[168:169], v[212:213], v[220:221], -v[168:169]
	v_mul_f64 v[212:213], v[212:213], v[170:171]
	v_add_f64 v[0:1], v[0:1], -v[168:169]
	s_delay_alu instid0(VALU_DEP_2) | instskip(SKIP_1) | instid1(VALU_DEP_2)
	v_fma_f64 v[212:213], v[214:215], v[220:221], v[212:213]
	v_dual_mov_b32 v168, v220 :: v_dual_mov_b32 v169, v221
	v_add_f64 v[2:3], v[2:3], -v[212:213]
.LBB104_230:
	s_or_b32 exec_lo, exec_lo, s2
	v_lshl_add_u32 v212, v228, 4, v222
	s_barrier
	buffer_gl0_inv
	v_mov_b32_e32 v220, 11
	ds_store_2addr_b64 v212, v[164:165], v[166:167] offset1:1
	s_waitcnt lgkmcnt(0)
	s_barrier
	buffer_gl0_inv
	ds_load_2addr_b64 v[212:215], v222 offset0:22 offset1:23
	s_cmp_lt_i32 s5, 13
	s_cbranch_scc1 .LBB104_233
; %bb.231:
	v_add3_u32 v221, v226, 0, 0xc0
	v_mov_b32_e32 v220, 11
	s_mov_b32 s6, 12
	s_set_inst_prefetch_distance 0x1
	.p2align	6
.LBB104_232:                            ; =>This Inner Loop Header: Depth=1
	ds_load_2addr_b64 v[229:232], v221 offset1:1
	s_waitcnt lgkmcnt(1)
	v_cmp_gt_f64_e32 vcc_lo, 0, v[212:213]
	v_xor_b32_e32 v233, 0x80000000, v213
	v_cmp_gt_f64_e64 s2, 0, v[214:215]
	v_xor_b32_e32 v235, 0x80000000, v215
	v_add_nc_u32_e32 v221, 16, v221
	s_waitcnt lgkmcnt(0)
	v_cmp_gt_f64_e64 s3, 0, v[229:230]
	v_mov_b32_e32 v237, v229
	v_dual_mov_b32 v239, v231 :: v_dual_cndmask_b32 v234, v213, v233
	v_xor_b32_e32 v233, 0x80000000, v230
	v_cndmask_b32_e64 v236, v215, v235, s2
	v_xor_b32_e32 v235, 0x80000000, v232
	s_delay_alu instid0(VALU_DEP_3) | instskip(SKIP_2) | instid1(VALU_DEP_2)
	v_cndmask_b32_e64 v238, v230, v233, s3
	v_cmp_gt_f64_e64 s3, 0, v[231:232]
	v_cndmask_b32_e32 v233, v212, v212, vcc_lo
	v_cndmask_b32_e64 v240, v232, v235, s3
	v_cndmask_b32_e64 v235, v214, v214, s2
	s_delay_alu instid0(VALU_DEP_2) | instskip(NEXT) | instid1(VALU_DEP_2)
	v_add_f64 v[237:238], v[237:238], v[239:240]
	v_add_f64 v[233:234], v[233:234], v[235:236]
	s_delay_alu instid0(VALU_DEP_1) | instskip(SKIP_4) | instid1(SALU_CYCLE_1)
	v_cmp_lt_f64_e32 vcc_lo, v[233:234], v[237:238]
	v_dual_cndmask_b32 v214, v214, v231 :: v_dual_cndmask_b32 v213, v213, v230
	v_dual_cndmask_b32 v212, v212, v229 :: v_dual_cndmask_b32 v215, v215, v232
	v_cndmask_b32_e64 v220, v220, s6, vcc_lo
	s_add_i32 s6, s6, 1
	s_cmp_lg_u32 s5, s6
	s_cbranch_scc1 .LBB104_232
.LBB104_233:
	s_set_inst_prefetch_distance 0x2
	s_waitcnt lgkmcnt(0)
	v_cmp_eq_f64_e32 vcc_lo, 0, v[212:213]
	v_cmp_eq_f64_e64 s2, 0, v[214:215]
	s_delay_alu instid0(VALU_DEP_1) | instskip(NEXT) | instid1(SALU_CYCLE_1)
	s_and_b32 s2, vcc_lo, s2
	s_and_saveexec_b32 s3, s2
	s_delay_alu instid0(SALU_CYCLE_1)
	s_xor_b32 s2, exec_lo, s3
; %bb.234:
	v_cmp_ne_u32_e32 vcc_lo, 0, v225
	v_cndmask_b32_e32 v225, 12, v225, vcc_lo
; %bb.235:
	s_and_not1_saveexec_b32 s3, s2
	s_cbranch_execz .LBB104_241
; %bb.236:
	v_cmp_gt_f64_e32 vcc_lo, 0, v[212:213]
	v_cmp_gt_f64_e64 s2, 0, v[214:215]
	v_xor_b32_e32 v221, 0x80000000, v213
	v_xor_b32_e32 v229, 0x80000000, v215
	s_delay_alu instid0(VALU_DEP_2) | instskip(NEXT) | instid1(VALU_DEP_2)
	v_cndmask_b32_e32 v230, v213, v221, vcc_lo
	v_cndmask_b32_e64 v232, v215, v229, s2
	v_cndmask_b32_e32 v229, v212, v212, vcc_lo
	v_cndmask_b32_e64 v231, v214, v214, s2
	s_mov_b32 s2, exec_lo
	s_delay_alu instid0(VALU_DEP_1)
	v_cmpx_ngt_f64_e32 v[229:230], v[231:232]
	s_xor_b32 s2, exec_lo, s2
	s_cbranch_execz .LBB104_238
; %bb.237:
	v_div_scale_f64 v[229:230], null, v[214:215], v[214:215], v[212:213]
	v_div_scale_f64 v[235:236], vcc_lo, v[212:213], v[214:215], v[212:213]
	s_delay_alu instid0(VALU_DEP_2) | instskip(SKIP_2) | instid1(VALU_DEP_1)
	v_rcp_f64_e32 v[231:232], v[229:230]
	s_waitcnt_depctr 0xfff
	v_fma_f64 v[233:234], -v[229:230], v[231:232], 1.0
	v_fma_f64 v[231:232], v[231:232], v[233:234], v[231:232]
	s_delay_alu instid0(VALU_DEP_1) | instskip(NEXT) | instid1(VALU_DEP_1)
	v_fma_f64 v[233:234], -v[229:230], v[231:232], 1.0
	v_fma_f64 v[231:232], v[231:232], v[233:234], v[231:232]
	s_delay_alu instid0(VALU_DEP_1) | instskip(NEXT) | instid1(VALU_DEP_1)
	v_mul_f64 v[233:234], v[235:236], v[231:232]
	v_fma_f64 v[229:230], -v[229:230], v[233:234], v[235:236]
	s_delay_alu instid0(VALU_DEP_1) | instskip(NEXT) | instid1(VALU_DEP_1)
	v_div_fmas_f64 v[229:230], v[229:230], v[231:232], v[233:234]
	v_div_fixup_f64 v[229:230], v[229:230], v[214:215], v[212:213]
	s_delay_alu instid0(VALU_DEP_1) | instskip(NEXT) | instid1(VALU_DEP_1)
	v_fma_f64 v[212:213], v[212:213], v[229:230], v[214:215]
	v_div_scale_f64 v[214:215], null, v[212:213], v[212:213], 1.0
	s_delay_alu instid0(VALU_DEP_1) | instskip(SKIP_2) | instid1(VALU_DEP_1)
	v_rcp_f64_e32 v[231:232], v[214:215]
	s_waitcnt_depctr 0xfff
	v_fma_f64 v[233:234], -v[214:215], v[231:232], 1.0
	v_fma_f64 v[231:232], v[231:232], v[233:234], v[231:232]
	s_delay_alu instid0(VALU_DEP_1) | instskip(NEXT) | instid1(VALU_DEP_1)
	v_fma_f64 v[233:234], -v[214:215], v[231:232], 1.0
	v_fma_f64 v[231:232], v[231:232], v[233:234], v[231:232]
	v_div_scale_f64 v[233:234], vcc_lo, 1.0, v[212:213], 1.0
	s_delay_alu instid0(VALU_DEP_1) | instskip(NEXT) | instid1(VALU_DEP_1)
	v_mul_f64 v[235:236], v[233:234], v[231:232]
	v_fma_f64 v[214:215], -v[214:215], v[235:236], v[233:234]
	s_delay_alu instid0(VALU_DEP_1) | instskip(NEXT) | instid1(VALU_DEP_1)
	v_div_fmas_f64 v[214:215], v[214:215], v[231:232], v[235:236]
	v_div_fixup_f64 v[214:215], v[214:215], v[212:213], 1.0
	s_delay_alu instid0(VALU_DEP_1)
	v_mul_f64 v[212:213], v[229:230], v[214:215]
	v_xor_b32_e32 v215, 0x80000000, v215
.LBB104_238:
	s_and_not1_saveexec_b32 s2, s2
	s_cbranch_execz .LBB104_240
; %bb.239:
	s_delay_alu instid0(VALU_DEP_1) | instskip(SKIP_1) | instid1(VALU_DEP_2)
	v_div_scale_f64 v[229:230], null, v[212:213], v[212:213], v[214:215]
	v_div_scale_f64 v[235:236], vcc_lo, v[214:215], v[212:213], v[214:215]
	v_rcp_f64_e32 v[231:232], v[229:230]
	s_waitcnt_depctr 0xfff
	v_fma_f64 v[233:234], -v[229:230], v[231:232], 1.0
	s_delay_alu instid0(VALU_DEP_1) | instskip(NEXT) | instid1(VALU_DEP_1)
	v_fma_f64 v[231:232], v[231:232], v[233:234], v[231:232]
	v_fma_f64 v[233:234], -v[229:230], v[231:232], 1.0
	s_delay_alu instid0(VALU_DEP_1) | instskip(NEXT) | instid1(VALU_DEP_1)
	v_fma_f64 v[231:232], v[231:232], v[233:234], v[231:232]
	v_mul_f64 v[233:234], v[235:236], v[231:232]
	s_delay_alu instid0(VALU_DEP_1) | instskip(NEXT) | instid1(VALU_DEP_1)
	v_fma_f64 v[229:230], -v[229:230], v[233:234], v[235:236]
	v_div_fmas_f64 v[229:230], v[229:230], v[231:232], v[233:234]
	s_delay_alu instid0(VALU_DEP_1) | instskip(NEXT) | instid1(VALU_DEP_1)
	v_div_fixup_f64 v[229:230], v[229:230], v[212:213], v[214:215]
	v_fma_f64 v[212:213], v[214:215], v[229:230], v[212:213]
	s_delay_alu instid0(VALU_DEP_1) | instskip(NEXT) | instid1(VALU_DEP_1)
	v_div_scale_f64 v[214:215], null, v[212:213], v[212:213], 1.0
	v_rcp_f64_e32 v[231:232], v[214:215]
	s_waitcnt_depctr 0xfff
	v_fma_f64 v[233:234], -v[214:215], v[231:232], 1.0
	s_delay_alu instid0(VALU_DEP_1) | instskip(NEXT) | instid1(VALU_DEP_1)
	v_fma_f64 v[231:232], v[231:232], v[233:234], v[231:232]
	v_fma_f64 v[233:234], -v[214:215], v[231:232], 1.0
	s_delay_alu instid0(VALU_DEP_1) | instskip(SKIP_1) | instid1(VALU_DEP_1)
	v_fma_f64 v[231:232], v[231:232], v[233:234], v[231:232]
	v_div_scale_f64 v[233:234], vcc_lo, 1.0, v[212:213], 1.0
	v_mul_f64 v[235:236], v[233:234], v[231:232]
	s_delay_alu instid0(VALU_DEP_1) | instskip(NEXT) | instid1(VALU_DEP_1)
	v_fma_f64 v[214:215], -v[214:215], v[235:236], v[233:234]
	v_div_fmas_f64 v[214:215], v[214:215], v[231:232], v[235:236]
	s_delay_alu instid0(VALU_DEP_1) | instskip(NEXT) | instid1(VALU_DEP_1)
	v_div_fixup_f64 v[212:213], v[214:215], v[212:213], 1.0
	v_mul_f64 v[214:215], v[229:230], -v[212:213]
.LBB104_240:
	s_or_b32 exec_lo, exec_lo, s2
.LBB104_241:
	s_delay_alu instid0(SALU_CYCLE_1) | instskip(NEXT) | instid1(SALU_CYCLE_1)
	s_or_b32 exec_lo, exec_lo, s3
	s_mov_b32 s2, exec_lo
	v_cmpx_ne_u32_e64 v228, v220
	s_xor_b32 s2, exec_lo, s2
	s_cbranch_execz .LBB104_247
; %bb.242:
	s_mov_b32 s3, exec_lo
	v_cmpx_eq_u32_e32 11, v228
	s_cbranch_execz .LBB104_246
; %bb.243:
	v_cmp_ne_u32_e32 vcc_lo, 11, v220
	s_xor_b32 s6, s4, -1
	s_delay_alu instid0(SALU_CYCLE_1) | instskip(NEXT) | instid1(SALU_CYCLE_1)
	s_and_b32 s7, s6, vcc_lo
	s_and_saveexec_b32 s6, s7
	s_cbranch_execz .LBB104_245
; %bb.244:
	v_ashrrev_i32_e32 v221, 31, v220
	s_delay_alu instid0(VALU_DEP_1) | instskip(NEXT) | instid1(VALU_DEP_1)
	v_lshlrev_b64 v[227:228], 2, v[220:221]
	v_add_co_u32 v227, vcc_lo, v218, v227
	s_delay_alu instid0(VALU_DEP_2)
	v_add_co_ci_u32_e32 v228, vcc_lo, v219, v228, vcc_lo
	s_clause 0x1
	flat_load_b32 v221, v[227:228]
	flat_load_b32 v229, v[218:219] offset:44
	s_waitcnt vmcnt(1) lgkmcnt(1)
	flat_store_b32 v[218:219], v221 offset:44
	s_waitcnt vmcnt(0) lgkmcnt(1)
	flat_store_b32 v[227:228], v229
.LBB104_245:
	s_or_b32 exec_lo, exec_lo, s6
	v_mov_b32_e32 v228, v220
	v_mov_b32_e32 v227, v220
.LBB104_246:
	s_or_b32 exec_lo, exec_lo, s3
.LBB104_247:
	s_and_not1_saveexec_b32 s2, s2
	s_cbranch_execz .LBB104_249
; %bb.248:
	v_mov_b32_e32 v228, 11
	ds_store_2addr_b64 v222, v[160:161], v[162:163] offset0:24 offset1:25
	ds_store_2addr_b64 v222, v[156:157], v[158:159] offset0:26 offset1:27
	;; [unrolled: 1-line block ×41, first 2 shown]
.LBB104_249:
	s_or_b32 exec_lo, exec_lo, s2
	s_delay_alu instid0(SALU_CYCLE_1)
	s_mov_b32 s2, exec_lo
	s_waitcnt lgkmcnt(0)
	s_waitcnt_vscnt null, 0x0
	s_barrier
	buffer_gl0_inv
	v_cmpx_lt_i32_e32 11, v228
	s_cbranch_execz .LBB104_251
; %bb.250:
	v_mul_f64 v[220:221], v[214:215], v[166:167]
	v_mul_f64 v[166:167], v[212:213], v[166:167]
	s_delay_alu instid0(VALU_DEP_2) | instskip(NEXT) | instid1(VALU_DEP_2)
	v_fma_f64 v[220:221], v[212:213], v[164:165], -v[220:221]
	v_fma_f64 v[166:167], v[214:215], v[164:165], v[166:167]
	ds_load_2addr_b64 v[212:215], v222 offset0:24 offset1:25
	s_waitcnt lgkmcnt(0)
	v_mul_f64 v[164:165], v[214:215], v[166:167]
	s_delay_alu instid0(VALU_DEP_1) | instskip(SKIP_1) | instid1(VALU_DEP_2)
	v_fma_f64 v[164:165], v[212:213], v[220:221], -v[164:165]
	v_mul_f64 v[212:213], v[212:213], v[166:167]
	v_add_f64 v[160:161], v[160:161], -v[164:165]
	s_delay_alu instid0(VALU_DEP_2) | instskip(NEXT) | instid1(VALU_DEP_1)
	v_fma_f64 v[212:213], v[214:215], v[220:221], v[212:213]
	v_add_f64 v[162:163], v[162:163], -v[212:213]
	ds_load_2addr_b64 v[212:215], v222 offset0:26 offset1:27
	s_waitcnt lgkmcnt(0)
	v_mul_f64 v[164:165], v[214:215], v[166:167]
	s_delay_alu instid0(VALU_DEP_1) | instskip(SKIP_1) | instid1(VALU_DEP_2)
	v_fma_f64 v[164:165], v[212:213], v[220:221], -v[164:165]
	v_mul_f64 v[212:213], v[212:213], v[166:167]
	v_add_f64 v[156:157], v[156:157], -v[164:165]
	s_delay_alu instid0(VALU_DEP_2) | instskip(NEXT) | instid1(VALU_DEP_1)
	v_fma_f64 v[212:213], v[214:215], v[220:221], v[212:213]
	v_add_f64 v[158:159], v[158:159], -v[212:213]
	ds_load_2addr_b64 v[212:215], v222 offset0:28 offset1:29
	s_waitcnt lgkmcnt(0)
	v_mul_f64 v[164:165], v[214:215], v[166:167]
	s_delay_alu instid0(VALU_DEP_1) | instskip(SKIP_1) | instid1(VALU_DEP_2)
	v_fma_f64 v[164:165], v[212:213], v[220:221], -v[164:165]
	v_mul_f64 v[212:213], v[212:213], v[166:167]
	v_add_f64 v[152:153], v[152:153], -v[164:165]
	s_delay_alu instid0(VALU_DEP_2) | instskip(NEXT) | instid1(VALU_DEP_1)
	v_fma_f64 v[212:213], v[214:215], v[220:221], v[212:213]
	v_add_f64 v[154:155], v[154:155], -v[212:213]
	ds_load_2addr_b64 v[212:215], v222 offset0:30 offset1:31
	s_waitcnt lgkmcnt(0)
	v_mul_f64 v[164:165], v[214:215], v[166:167]
	s_delay_alu instid0(VALU_DEP_1) | instskip(SKIP_1) | instid1(VALU_DEP_2)
	v_fma_f64 v[164:165], v[212:213], v[220:221], -v[164:165]
	v_mul_f64 v[212:213], v[212:213], v[166:167]
	v_add_f64 v[148:149], v[148:149], -v[164:165]
	s_delay_alu instid0(VALU_DEP_2) | instskip(NEXT) | instid1(VALU_DEP_1)
	v_fma_f64 v[212:213], v[214:215], v[220:221], v[212:213]
	v_add_f64 v[150:151], v[150:151], -v[212:213]
	ds_load_2addr_b64 v[212:215], v222 offset0:32 offset1:33
	s_waitcnt lgkmcnt(0)
	v_mul_f64 v[164:165], v[214:215], v[166:167]
	s_delay_alu instid0(VALU_DEP_1) | instskip(SKIP_1) | instid1(VALU_DEP_2)
	v_fma_f64 v[164:165], v[212:213], v[220:221], -v[164:165]
	v_mul_f64 v[212:213], v[212:213], v[166:167]
	v_add_f64 v[144:145], v[144:145], -v[164:165]
	s_delay_alu instid0(VALU_DEP_2) | instskip(NEXT) | instid1(VALU_DEP_1)
	v_fma_f64 v[212:213], v[214:215], v[220:221], v[212:213]
	v_add_f64 v[146:147], v[146:147], -v[212:213]
	ds_load_2addr_b64 v[212:215], v222 offset0:34 offset1:35
	s_waitcnt lgkmcnt(0)
	v_mul_f64 v[164:165], v[214:215], v[166:167]
	s_delay_alu instid0(VALU_DEP_1) | instskip(SKIP_1) | instid1(VALU_DEP_2)
	v_fma_f64 v[164:165], v[212:213], v[220:221], -v[164:165]
	v_mul_f64 v[212:213], v[212:213], v[166:167]
	v_add_f64 v[140:141], v[140:141], -v[164:165]
	s_delay_alu instid0(VALU_DEP_2) | instskip(NEXT) | instid1(VALU_DEP_1)
	v_fma_f64 v[212:213], v[214:215], v[220:221], v[212:213]
	v_add_f64 v[142:143], v[142:143], -v[212:213]
	ds_load_2addr_b64 v[212:215], v222 offset0:36 offset1:37
	s_waitcnt lgkmcnt(0)
	v_mul_f64 v[164:165], v[214:215], v[166:167]
	s_delay_alu instid0(VALU_DEP_1) | instskip(SKIP_1) | instid1(VALU_DEP_2)
	v_fma_f64 v[164:165], v[212:213], v[220:221], -v[164:165]
	v_mul_f64 v[212:213], v[212:213], v[166:167]
	v_add_f64 v[136:137], v[136:137], -v[164:165]
	s_delay_alu instid0(VALU_DEP_2) | instskip(NEXT) | instid1(VALU_DEP_1)
	v_fma_f64 v[212:213], v[214:215], v[220:221], v[212:213]
	v_add_f64 v[138:139], v[138:139], -v[212:213]
	ds_load_2addr_b64 v[212:215], v222 offset0:38 offset1:39
	s_waitcnt lgkmcnt(0)
	v_mul_f64 v[164:165], v[214:215], v[166:167]
	s_delay_alu instid0(VALU_DEP_1) | instskip(SKIP_1) | instid1(VALU_DEP_2)
	v_fma_f64 v[164:165], v[212:213], v[220:221], -v[164:165]
	v_mul_f64 v[212:213], v[212:213], v[166:167]
	v_add_f64 v[132:133], v[132:133], -v[164:165]
	s_delay_alu instid0(VALU_DEP_2) | instskip(NEXT) | instid1(VALU_DEP_1)
	v_fma_f64 v[212:213], v[214:215], v[220:221], v[212:213]
	v_add_f64 v[134:135], v[134:135], -v[212:213]
	ds_load_2addr_b64 v[212:215], v222 offset0:40 offset1:41
	s_waitcnt lgkmcnt(0)
	v_mul_f64 v[164:165], v[214:215], v[166:167]
	s_delay_alu instid0(VALU_DEP_1) | instskip(SKIP_1) | instid1(VALU_DEP_2)
	v_fma_f64 v[164:165], v[212:213], v[220:221], -v[164:165]
	v_mul_f64 v[212:213], v[212:213], v[166:167]
	v_add_f64 v[128:129], v[128:129], -v[164:165]
	s_delay_alu instid0(VALU_DEP_2) | instskip(NEXT) | instid1(VALU_DEP_1)
	v_fma_f64 v[212:213], v[214:215], v[220:221], v[212:213]
	v_add_f64 v[130:131], v[130:131], -v[212:213]
	ds_load_2addr_b64 v[212:215], v222 offset0:42 offset1:43
	s_waitcnt lgkmcnt(0)
	v_mul_f64 v[164:165], v[214:215], v[166:167]
	s_delay_alu instid0(VALU_DEP_1) | instskip(SKIP_1) | instid1(VALU_DEP_2)
	v_fma_f64 v[164:165], v[212:213], v[220:221], -v[164:165]
	v_mul_f64 v[212:213], v[212:213], v[166:167]
	v_add_f64 v[124:125], v[124:125], -v[164:165]
	s_delay_alu instid0(VALU_DEP_2) | instskip(NEXT) | instid1(VALU_DEP_1)
	v_fma_f64 v[212:213], v[214:215], v[220:221], v[212:213]
	v_add_f64 v[126:127], v[126:127], -v[212:213]
	ds_load_2addr_b64 v[212:215], v222 offset0:44 offset1:45
	s_waitcnt lgkmcnt(0)
	v_mul_f64 v[164:165], v[214:215], v[166:167]
	s_delay_alu instid0(VALU_DEP_1) | instskip(SKIP_1) | instid1(VALU_DEP_2)
	v_fma_f64 v[164:165], v[212:213], v[220:221], -v[164:165]
	v_mul_f64 v[212:213], v[212:213], v[166:167]
	v_add_f64 v[120:121], v[120:121], -v[164:165]
	s_delay_alu instid0(VALU_DEP_2) | instskip(NEXT) | instid1(VALU_DEP_1)
	v_fma_f64 v[212:213], v[214:215], v[220:221], v[212:213]
	v_add_f64 v[122:123], v[122:123], -v[212:213]
	ds_load_2addr_b64 v[212:215], v222 offset0:46 offset1:47
	s_waitcnt lgkmcnt(0)
	v_mul_f64 v[164:165], v[214:215], v[166:167]
	s_delay_alu instid0(VALU_DEP_1) | instskip(SKIP_1) | instid1(VALU_DEP_2)
	v_fma_f64 v[164:165], v[212:213], v[220:221], -v[164:165]
	v_mul_f64 v[212:213], v[212:213], v[166:167]
	v_add_f64 v[116:117], v[116:117], -v[164:165]
	s_delay_alu instid0(VALU_DEP_2) | instskip(NEXT) | instid1(VALU_DEP_1)
	v_fma_f64 v[212:213], v[214:215], v[220:221], v[212:213]
	v_add_f64 v[118:119], v[118:119], -v[212:213]
	ds_load_2addr_b64 v[212:215], v222 offset0:48 offset1:49
	s_waitcnt lgkmcnt(0)
	v_mul_f64 v[164:165], v[214:215], v[166:167]
	s_delay_alu instid0(VALU_DEP_1) | instskip(SKIP_1) | instid1(VALU_DEP_2)
	v_fma_f64 v[164:165], v[212:213], v[220:221], -v[164:165]
	v_mul_f64 v[212:213], v[212:213], v[166:167]
	v_add_f64 v[112:113], v[112:113], -v[164:165]
	s_delay_alu instid0(VALU_DEP_2) | instskip(NEXT) | instid1(VALU_DEP_1)
	v_fma_f64 v[212:213], v[214:215], v[220:221], v[212:213]
	v_add_f64 v[114:115], v[114:115], -v[212:213]
	ds_load_2addr_b64 v[212:215], v222 offset0:50 offset1:51
	s_waitcnt lgkmcnt(0)
	v_mul_f64 v[164:165], v[214:215], v[166:167]
	s_delay_alu instid0(VALU_DEP_1) | instskip(SKIP_1) | instid1(VALU_DEP_2)
	v_fma_f64 v[164:165], v[212:213], v[220:221], -v[164:165]
	v_mul_f64 v[212:213], v[212:213], v[166:167]
	v_add_f64 v[108:109], v[108:109], -v[164:165]
	s_delay_alu instid0(VALU_DEP_2) | instskip(NEXT) | instid1(VALU_DEP_1)
	v_fma_f64 v[212:213], v[214:215], v[220:221], v[212:213]
	v_add_f64 v[110:111], v[110:111], -v[212:213]
	ds_load_2addr_b64 v[212:215], v222 offset0:52 offset1:53
	s_waitcnt lgkmcnt(0)
	v_mul_f64 v[164:165], v[214:215], v[166:167]
	s_delay_alu instid0(VALU_DEP_1) | instskip(SKIP_1) | instid1(VALU_DEP_2)
	v_fma_f64 v[164:165], v[212:213], v[220:221], -v[164:165]
	v_mul_f64 v[212:213], v[212:213], v[166:167]
	v_add_f64 v[104:105], v[104:105], -v[164:165]
	s_delay_alu instid0(VALU_DEP_2) | instskip(NEXT) | instid1(VALU_DEP_1)
	v_fma_f64 v[212:213], v[214:215], v[220:221], v[212:213]
	v_add_f64 v[106:107], v[106:107], -v[212:213]
	ds_load_2addr_b64 v[212:215], v222 offset0:54 offset1:55
	s_waitcnt lgkmcnt(0)
	v_mul_f64 v[164:165], v[214:215], v[166:167]
	s_delay_alu instid0(VALU_DEP_1) | instskip(SKIP_1) | instid1(VALU_DEP_2)
	v_fma_f64 v[164:165], v[212:213], v[220:221], -v[164:165]
	v_mul_f64 v[212:213], v[212:213], v[166:167]
	v_add_f64 v[100:101], v[100:101], -v[164:165]
	s_delay_alu instid0(VALU_DEP_2) | instskip(NEXT) | instid1(VALU_DEP_1)
	v_fma_f64 v[212:213], v[214:215], v[220:221], v[212:213]
	v_add_f64 v[102:103], v[102:103], -v[212:213]
	ds_load_2addr_b64 v[212:215], v222 offset0:56 offset1:57
	s_waitcnt lgkmcnt(0)
	v_mul_f64 v[164:165], v[214:215], v[166:167]
	s_delay_alu instid0(VALU_DEP_1) | instskip(SKIP_1) | instid1(VALU_DEP_2)
	v_fma_f64 v[164:165], v[212:213], v[220:221], -v[164:165]
	v_mul_f64 v[212:213], v[212:213], v[166:167]
	v_add_f64 v[96:97], v[96:97], -v[164:165]
	s_delay_alu instid0(VALU_DEP_2) | instskip(NEXT) | instid1(VALU_DEP_1)
	v_fma_f64 v[212:213], v[214:215], v[220:221], v[212:213]
	v_add_f64 v[98:99], v[98:99], -v[212:213]
	ds_load_2addr_b64 v[212:215], v222 offset0:58 offset1:59
	s_waitcnt lgkmcnt(0)
	v_mul_f64 v[164:165], v[214:215], v[166:167]
	s_delay_alu instid0(VALU_DEP_1) | instskip(SKIP_1) | instid1(VALU_DEP_2)
	v_fma_f64 v[164:165], v[212:213], v[220:221], -v[164:165]
	v_mul_f64 v[212:213], v[212:213], v[166:167]
	v_add_f64 v[92:93], v[92:93], -v[164:165]
	s_delay_alu instid0(VALU_DEP_2) | instskip(NEXT) | instid1(VALU_DEP_1)
	v_fma_f64 v[212:213], v[214:215], v[220:221], v[212:213]
	v_add_f64 v[94:95], v[94:95], -v[212:213]
	ds_load_2addr_b64 v[212:215], v222 offset0:60 offset1:61
	s_waitcnt lgkmcnt(0)
	v_mul_f64 v[164:165], v[214:215], v[166:167]
	s_delay_alu instid0(VALU_DEP_1) | instskip(SKIP_1) | instid1(VALU_DEP_2)
	v_fma_f64 v[164:165], v[212:213], v[220:221], -v[164:165]
	v_mul_f64 v[212:213], v[212:213], v[166:167]
	v_add_f64 v[88:89], v[88:89], -v[164:165]
	s_delay_alu instid0(VALU_DEP_2) | instskip(NEXT) | instid1(VALU_DEP_1)
	v_fma_f64 v[212:213], v[214:215], v[220:221], v[212:213]
	v_add_f64 v[90:91], v[90:91], -v[212:213]
	ds_load_2addr_b64 v[212:215], v222 offset0:62 offset1:63
	s_waitcnt lgkmcnt(0)
	v_mul_f64 v[164:165], v[214:215], v[166:167]
	s_delay_alu instid0(VALU_DEP_1) | instskip(SKIP_1) | instid1(VALU_DEP_2)
	v_fma_f64 v[164:165], v[212:213], v[220:221], -v[164:165]
	v_mul_f64 v[212:213], v[212:213], v[166:167]
	v_add_f64 v[84:85], v[84:85], -v[164:165]
	s_delay_alu instid0(VALU_DEP_2) | instskip(NEXT) | instid1(VALU_DEP_1)
	v_fma_f64 v[212:213], v[214:215], v[220:221], v[212:213]
	v_add_f64 v[86:87], v[86:87], -v[212:213]
	ds_load_2addr_b64 v[212:215], v222 offset0:64 offset1:65
	s_waitcnt lgkmcnt(0)
	v_mul_f64 v[164:165], v[214:215], v[166:167]
	s_delay_alu instid0(VALU_DEP_1) | instskip(SKIP_1) | instid1(VALU_DEP_2)
	v_fma_f64 v[164:165], v[212:213], v[220:221], -v[164:165]
	v_mul_f64 v[212:213], v[212:213], v[166:167]
	v_add_f64 v[80:81], v[80:81], -v[164:165]
	s_delay_alu instid0(VALU_DEP_2) | instskip(NEXT) | instid1(VALU_DEP_1)
	v_fma_f64 v[212:213], v[214:215], v[220:221], v[212:213]
	v_add_f64 v[82:83], v[82:83], -v[212:213]
	ds_load_2addr_b64 v[212:215], v222 offset0:66 offset1:67
	s_waitcnt lgkmcnt(0)
	v_mul_f64 v[164:165], v[214:215], v[166:167]
	s_delay_alu instid0(VALU_DEP_1) | instskip(SKIP_1) | instid1(VALU_DEP_2)
	v_fma_f64 v[164:165], v[212:213], v[220:221], -v[164:165]
	v_mul_f64 v[212:213], v[212:213], v[166:167]
	v_add_f64 v[76:77], v[76:77], -v[164:165]
	s_delay_alu instid0(VALU_DEP_2) | instskip(NEXT) | instid1(VALU_DEP_1)
	v_fma_f64 v[212:213], v[214:215], v[220:221], v[212:213]
	v_add_f64 v[78:79], v[78:79], -v[212:213]
	ds_load_2addr_b64 v[212:215], v222 offset0:68 offset1:69
	s_waitcnt lgkmcnt(0)
	v_mul_f64 v[164:165], v[214:215], v[166:167]
	s_delay_alu instid0(VALU_DEP_1) | instskip(SKIP_1) | instid1(VALU_DEP_2)
	v_fma_f64 v[164:165], v[212:213], v[220:221], -v[164:165]
	v_mul_f64 v[212:213], v[212:213], v[166:167]
	v_add_f64 v[72:73], v[72:73], -v[164:165]
	s_delay_alu instid0(VALU_DEP_2) | instskip(NEXT) | instid1(VALU_DEP_1)
	v_fma_f64 v[212:213], v[214:215], v[220:221], v[212:213]
	v_add_f64 v[74:75], v[74:75], -v[212:213]
	ds_load_2addr_b64 v[212:215], v222 offset0:70 offset1:71
	s_waitcnt lgkmcnt(0)
	v_mul_f64 v[164:165], v[214:215], v[166:167]
	s_delay_alu instid0(VALU_DEP_1) | instskip(SKIP_1) | instid1(VALU_DEP_2)
	v_fma_f64 v[164:165], v[212:213], v[220:221], -v[164:165]
	v_mul_f64 v[212:213], v[212:213], v[166:167]
	v_add_f64 v[68:69], v[68:69], -v[164:165]
	s_delay_alu instid0(VALU_DEP_2) | instskip(NEXT) | instid1(VALU_DEP_1)
	v_fma_f64 v[212:213], v[214:215], v[220:221], v[212:213]
	v_add_f64 v[70:71], v[70:71], -v[212:213]
	ds_load_2addr_b64 v[212:215], v222 offset0:72 offset1:73
	s_waitcnt lgkmcnt(0)
	v_mul_f64 v[164:165], v[214:215], v[166:167]
	s_delay_alu instid0(VALU_DEP_1) | instskip(SKIP_1) | instid1(VALU_DEP_2)
	v_fma_f64 v[164:165], v[212:213], v[220:221], -v[164:165]
	v_mul_f64 v[212:213], v[212:213], v[166:167]
	v_add_f64 v[64:65], v[64:65], -v[164:165]
	s_delay_alu instid0(VALU_DEP_2) | instskip(NEXT) | instid1(VALU_DEP_1)
	v_fma_f64 v[212:213], v[214:215], v[220:221], v[212:213]
	v_add_f64 v[66:67], v[66:67], -v[212:213]
	ds_load_2addr_b64 v[212:215], v222 offset0:74 offset1:75
	s_waitcnt lgkmcnt(0)
	v_mul_f64 v[164:165], v[214:215], v[166:167]
	s_delay_alu instid0(VALU_DEP_1) | instskip(SKIP_1) | instid1(VALU_DEP_2)
	v_fma_f64 v[164:165], v[212:213], v[220:221], -v[164:165]
	v_mul_f64 v[212:213], v[212:213], v[166:167]
	v_add_f64 v[60:61], v[60:61], -v[164:165]
	s_delay_alu instid0(VALU_DEP_2) | instskip(NEXT) | instid1(VALU_DEP_1)
	v_fma_f64 v[212:213], v[214:215], v[220:221], v[212:213]
	v_add_f64 v[62:63], v[62:63], -v[212:213]
	ds_load_2addr_b64 v[212:215], v222 offset0:76 offset1:77
	s_waitcnt lgkmcnt(0)
	v_mul_f64 v[164:165], v[214:215], v[166:167]
	s_delay_alu instid0(VALU_DEP_1) | instskip(SKIP_1) | instid1(VALU_DEP_2)
	v_fma_f64 v[164:165], v[212:213], v[220:221], -v[164:165]
	v_mul_f64 v[212:213], v[212:213], v[166:167]
	v_add_f64 v[56:57], v[56:57], -v[164:165]
	s_delay_alu instid0(VALU_DEP_2) | instskip(NEXT) | instid1(VALU_DEP_1)
	v_fma_f64 v[212:213], v[214:215], v[220:221], v[212:213]
	v_add_f64 v[58:59], v[58:59], -v[212:213]
	ds_load_2addr_b64 v[212:215], v222 offset0:78 offset1:79
	s_waitcnt lgkmcnt(0)
	v_mul_f64 v[164:165], v[214:215], v[166:167]
	s_delay_alu instid0(VALU_DEP_1) | instskip(SKIP_1) | instid1(VALU_DEP_2)
	v_fma_f64 v[164:165], v[212:213], v[220:221], -v[164:165]
	v_mul_f64 v[212:213], v[212:213], v[166:167]
	v_add_f64 v[52:53], v[52:53], -v[164:165]
	s_delay_alu instid0(VALU_DEP_2) | instskip(NEXT) | instid1(VALU_DEP_1)
	v_fma_f64 v[212:213], v[214:215], v[220:221], v[212:213]
	v_add_f64 v[54:55], v[54:55], -v[212:213]
	ds_load_2addr_b64 v[212:215], v222 offset0:80 offset1:81
	s_waitcnt lgkmcnt(0)
	v_mul_f64 v[164:165], v[214:215], v[166:167]
	s_delay_alu instid0(VALU_DEP_1) | instskip(SKIP_1) | instid1(VALU_DEP_2)
	v_fma_f64 v[164:165], v[212:213], v[220:221], -v[164:165]
	v_mul_f64 v[212:213], v[212:213], v[166:167]
	v_add_f64 v[48:49], v[48:49], -v[164:165]
	s_delay_alu instid0(VALU_DEP_2) | instskip(NEXT) | instid1(VALU_DEP_1)
	v_fma_f64 v[212:213], v[214:215], v[220:221], v[212:213]
	v_add_f64 v[50:51], v[50:51], -v[212:213]
	ds_load_2addr_b64 v[212:215], v222 offset0:82 offset1:83
	s_waitcnt lgkmcnt(0)
	v_mul_f64 v[164:165], v[214:215], v[166:167]
	s_delay_alu instid0(VALU_DEP_1) | instskip(SKIP_1) | instid1(VALU_DEP_2)
	v_fma_f64 v[164:165], v[212:213], v[220:221], -v[164:165]
	v_mul_f64 v[212:213], v[212:213], v[166:167]
	v_add_f64 v[44:45], v[44:45], -v[164:165]
	s_delay_alu instid0(VALU_DEP_2) | instskip(NEXT) | instid1(VALU_DEP_1)
	v_fma_f64 v[212:213], v[214:215], v[220:221], v[212:213]
	v_add_f64 v[46:47], v[46:47], -v[212:213]
	ds_load_2addr_b64 v[212:215], v222 offset0:84 offset1:85
	s_waitcnt lgkmcnt(0)
	v_mul_f64 v[164:165], v[214:215], v[166:167]
	s_delay_alu instid0(VALU_DEP_1) | instskip(SKIP_1) | instid1(VALU_DEP_2)
	v_fma_f64 v[164:165], v[212:213], v[220:221], -v[164:165]
	v_mul_f64 v[212:213], v[212:213], v[166:167]
	v_add_f64 v[40:41], v[40:41], -v[164:165]
	s_delay_alu instid0(VALU_DEP_2) | instskip(NEXT) | instid1(VALU_DEP_1)
	v_fma_f64 v[212:213], v[214:215], v[220:221], v[212:213]
	v_add_f64 v[42:43], v[42:43], -v[212:213]
	ds_load_2addr_b64 v[212:215], v222 offset0:86 offset1:87
	s_waitcnt lgkmcnt(0)
	v_mul_f64 v[164:165], v[214:215], v[166:167]
	s_delay_alu instid0(VALU_DEP_1) | instskip(SKIP_1) | instid1(VALU_DEP_2)
	v_fma_f64 v[164:165], v[212:213], v[220:221], -v[164:165]
	v_mul_f64 v[212:213], v[212:213], v[166:167]
	v_add_f64 v[36:37], v[36:37], -v[164:165]
	s_delay_alu instid0(VALU_DEP_2) | instskip(NEXT) | instid1(VALU_DEP_1)
	v_fma_f64 v[212:213], v[214:215], v[220:221], v[212:213]
	v_add_f64 v[38:39], v[38:39], -v[212:213]
	ds_load_2addr_b64 v[212:215], v222 offset0:88 offset1:89
	s_waitcnt lgkmcnt(0)
	v_mul_f64 v[164:165], v[214:215], v[166:167]
	s_delay_alu instid0(VALU_DEP_1) | instskip(SKIP_1) | instid1(VALU_DEP_2)
	v_fma_f64 v[164:165], v[212:213], v[220:221], -v[164:165]
	v_mul_f64 v[212:213], v[212:213], v[166:167]
	v_add_f64 v[32:33], v[32:33], -v[164:165]
	s_delay_alu instid0(VALU_DEP_2) | instskip(NEXT) | instid1(VALU_DEP_1)
	v_fma_f64 v[212:213], v[214:215], v[220:221], v[212:213]
	v_add_f64 v[34:35], v[34:35], -v[212:213]
	ds_load_2addr_b64 v[212:215], v222 offset0:90 offset1:91
	s_waitcnt lgkmcnt(0)
	v_mul_f64 v[164:165], v[214:215], v[166:167]
	s_delay_alu instid0(VALU_DEP_1) | instskip(SKIP_1) | instid1(VALU_DEP_2)
	v_fma_f64 v[164:165], v[212:213], v[220:221], -v[164:165]
	v_mul_f64 v[212:213], v[212:213], v[166:167]
	v_add_f64 v[28:29], v[28:29], -v[164:165]
	s_delay_alu instid0(VALU_DEP_2) | instskip(NEXT) | instid1(VALU_DEP_1)
	v_fma_f64 v[212:213], v[214:215], v[220:221], v[212:213]
	v_add_f64 v[30:31], v[30:31], -v[212:213]
	ds_load_2addr_b64 v[212:215], v222 offset0:92 offset1:93
	s_waitcnt lgkmcnt(0)
	v_mul_f64 v[164:165], v[214:215], v[166:167]
	s_delay_alu instid0(VALU_DEP_1) | instskip(SKIP_1) | instid1(VALU_DEP_2)
	v_fma_f64 v[164:165], v[212:213], v[220:221], -v[164:165]
	v_mul_f64 v[212:213], v[212:213], v[166:167]
	v_add_f64 v[24:25], v[24:25], -v[164:165]
	s_delay_alu instid0(VALU_DEP_2) | instskip(NEXT) | instid1(VALU_DEP_1)
	v_fma_f64 v[212:213], v[214:215], v[220:221], v[212:213]
	v_add_f64 v[26:27], v[26:27], -v[212:213]
	ds_load_2addr_b64 v[212:215], v222 offset0:94 offset1:95
	s_waitcnt lgkmcnt(0)
	v_mul_f64 v[164:165], v[214:215], v[166:167]
	s_delay_alu instid0(VALU_DEP_1) | instskip(SKIP_1) | instid1(VALU_DEP_2)
	v_fma_f64 v[164:165], v[212:213], v[220:221], -v[164:165]
	v_mul_f64 v[212:213], v[212:213], v[166:167]
	v_add_f64 v[20:21], v[20:21], -v[164:165]
	s_delay_alu instid0(VALU_DEP_2) | instskip(NEXT) | instid1(VALU_DEP_1)
	v_fma_f64 v[212:213], v[214:215], v[220:221], v[212:213]
	v_add_f64 v[22:23], v[22:23], -v[212:213]
	ds_load_2addr_b64 v[212:215], v222 offset0:96 offset1:97
	s_waitcnt lgkmcnt(0)
	v_mul_f64 v[164:165], v[214:215], v[166:167]
	s_delay_alu instid0(VALU_DEP_1) | instskip(SKIP_1) | instid1(VALU_DEP_2)
	v_fma_f64 v[164:165], v[212:213], v[220:221], -v[164:165]
	v_mul_f64 v[212:213], v[212:213], v[166:167]
	v_add_f64 v[16:17], v[16:17], -v[164:165]
	s_delay_alu instid0(VALU_DEP_2) | instskip(NEXT) | instid1(VALU_DEP_1)
	v_fma_f64 v[212:213], v[214:215], v[220:221], v[212:213]
	v_add_f64 v[18:19], v[18:19], -v[212:213]
	ds_load_2addr_b64 v[212:215], v222 offset0:98 offset1:99
	s_waitcnt lgkmcnt(0)
	v_mul_f64 v[164:165], v[214:215], v[166:167]
	s_delay_alu instid0(VALU_DEP_1) | instskip(SKIP_1) | instid1(VALU_DEP_2)
	v_fma_f64 v[164:165], v[212:213], v[220:221], -v[164:165]
	v_mul_f64 v[212:213], v[212:213], v[166:167]
	v_add_f64 v[12:13], v[12:13], -v[164:165]
	s_delay_alu instid0(VALU_DEP_2) | instskip(NEXT) | instid1(VALU_DEP_1)
	v_fma_f64 v[212:213], v[214:215], v[220:221], v[212:213]
	v_add_f64 v[14:15], v[14:15], -v[212:213]
	ds_load_2addr_b64 v[212:215], v222 offset0:100 offset1:101
	s_waitcnt lgkmcnt(0)
	v_mul_f64 v[164:165], v[214:215], v[166:167]
	s_delay_alu instid0(VALU_DEP_1) | instskip(SKIP_1) | instid1(VALU_DEP_2)
	v_fma_f64 v[164:165], v[212:213], v[220:221], -v[164:165]
	v_mul_f64 v[212:213], v[212:213], v[166:167]
	v_add_f64 v[8:9], v[8:9], -v[164:165]
	s_delay_alu instid0(VALU_DEP_2) | instskip(NEXT) | instid1(VALU_DEP_1)
	v_fma_f64 v[212:213], v[214:215], v[220:221], v[212:213]
	v_add_f64 v[10:11], v[10:11], -v[212:213]
	ds_load_2addr_b64 v[212:215], v222 offset0:102 offset1:103
	s_waitcnt lgkmcnt(0)
	v_mul_f64 v[164:165], v[214:215], v[166:167]
	s_delay_alu instid0(VALU_DEP_1) | instskip(SKIP_1) | instid1(VALU_DEP_2)
	v_fma_f64 v[164:165], v[212:213], v[220:221], -v[164:165]
	v_mul_f64 v[212:213], v[212:213], v[166:167]
	v_add_f64 v[4:5], v[4:5], -v[164:165]
	s_delay_alu instid0(VALU_DEP_2) | instskip(NEXT) | instid1(VALU_DEP_1)
	v_fma_f64 v[212:213], v[214:215], v[220:221], v[212:213]
	v_add_f64 v[6:7], v[6:7], -v[212:213]
	ds_load_2addr_b64 v[212:215], v222 offset0:104 offset1:105
	s_waitcnt lgkmcnt(0)
	v_mul_f64 v[164:165], v[214:215], v[166:167]
	s_delay_alu instid0(VALU_DEP_1) | instskip(SKIP_1) | instid1(VALU_DEP_2)
	v_fma_f64 v[164:165], v[212:213], v[220:221], -v[164:165]
	v_mul_f64 v[212:213], v[212:213], v[166:167]
	v_add_f64 v[0:1], v[0:1], -v[164:165]
	s_delay_alu instid0(VALU_DEP_2) | instskip(SKIP_1) | instid1(VALU_DEP_2)
	v_fma_f64 v[212:213], v[214:215], v[220:221], v[212:213]
	v_dual_mov_b32 v164, v220 :: v_dual_mov_b32 v165, v221
	v_add_f64 v[2:3], v[2:3], -v[212:213]
.LBB104_251:
	s_or_b32 exec_lo, exec_lo, s2
	v_lshl_add_u32 v212, v228, 4, v222
	s_barrier
	buffer_gl0_inv
	v_mov_b32_e32 v220, 12
	ds_store_2addr_b64 v212, v[160:161], v[162:163] offset1:1
	s_waitcnt lgkmcnt(0)
	s_barrier
	buffer_gl0_inv
	ds_load_2addr_b64 v[212:215], v222 offset0:24 offset1:25
	s_cmp_lt_i32 s5, 14
	s_cbranch_scc1 .LBB104_254
; %bb.252:
	v_add3_u32 v221, v226, 0, 0xd0
	v_mov_b32_e32 v220, 12
	s_mov_b32 s6, 13
	s_set_inst_prefetch_distance 0x1
	.p2align	6
.LBB104_253:                            ; =>This Inner Loop Header: Depth=1
	ds_load_2addr_b64 v[229:232], v221 offset1:1
	s_waitcnt lgkmcnt(1)
	v_cmp_gt_f64_e32 vcc_lo, 0, v[212:213]
	v_xor_b32_e32 v233, 0x80000000, v213
	v_cmp_gt_f64_e64 s2, 0, v[214:215]
	v_xor_b32_e32 v235, 0x80000000, v215
	v_add_nc_u32_e32 v221, 16, v221
	s_waitcnt lgkmcnt(0)
	v_cmp_gt_f64_e64 s3, 0, v[229:230]
	v_mov_b32_e32 v237, v229
	v_dual_mov_b32 v239, v231 :: v_dual_cndmask_b32 v234, v213, v233
	v_xor_b32_e32 v233, 0x80000000, v230
	v_cndmask_b32_e64 v236, v215, v235, s2
	v_xor_b32_e32 v235, 0x80000000, v232
	s_delay_alu instid0(VALU_DEP_3) | instskip(SKIP_2) | instid1(VALU_DEP_2)
	v_cndmask_b32_e64 v238, v230, v233, s3
	v_cmp_gt_f64_e64 s3, 0, v[231:232]
	v_cndmask_b32_e32 v233, v212, v212, vcc_lo
	v_cndmask_b32_e64 v240, v232, v235, s3
	v_cndmask_b32_e64 v235, v214, v214, s2
	s_delay_alu instid0(VALU_DEP_2) | instskip(NEXT) | instid1(VALU_DEP_2)
	v_add_f64 v[237:238], v[237:238], v[239:240]
	v_add_f64 v[233:234], v[233:234], v[235:236]
	s_delay_alu instid0(VALU_DEP_1) | instskip(SKIP_4) | instid1(SALU_CYCLE_1)
	v_cmp_lt_f64_e32 vcc_lo, v[233:234], v[237:238]
	v_dual_cndmask_b32 v214, v214, v231 :: v_dual_cndmask_b32 v213, v213, v230
	v_dual_cndmask_b32 v212, v212, v229 :: v_dual_cndmask_b32 v215, v215, v232
	v_cndmask_b32_e64 v220, v220, s6, vcc_lo
	s_add_i32 s6, s6, 1
	s_cmp_lg_u32 s5, s6
	s_cbranch_scc1 .LBB104_253
.LBB104_254:
	s_set_inst_prefetch_distance 0x2
	s_waitcnt lgkmcnt(0)
	v_cmp_eq_f64_e32 vcc_lo, 0, v[212:213]
	v_cmp_eq_f64_e64 s2, 0, v[214:215]
	s_delay_alu instid0(VALU_DEP_1) | instskip(NEXT) | instid1(SALU_CYCLE_1)
	s_and_b32 s2, vcc_lo, s2
	s_and_saveexec_b32 s3, s2
	s_delay_alu instid0(SALU_CYCLE_1)
	s_xor_b32 s2, exec_lo, s3
; %bb.255:
	v_cmp_ne_u32_e32 vcc_lo, 0, v225
	v_cndmask_b32_e32 v225, 13, v225, vcc_lo
; %bb.256:
	s_and_not1_saveexec_b32 s3, s2
	s_cbranch_execz .LBB104_262
; %bb.257:
	v_cmp_gt_f64_e32 vcc_lo, 0, v[212:213]
	v_cmp_gt_f64_e64 s2, 0, v[214:215]
	v_xor_b32_e32 v221, 0x80000000, v213
	v_xor_b32_e32 v229, 0x80000000, v215
	s_delay_alu instid0(VALU_DEP_2) | instskip(NEXT) | instid1(VALU_DEP_2)
	v_cndmask_b32_e32 v230, v213, v221, vcc_lo
	v_cndmask_b32_e64 v232, v215, v229, s2
	v_cndmask_b32_e32 v229, v212, v212, vcc_lo
	v_cndmask_b32_e64 v231, v214, v214, s2
	s_mov_b32 s2, exec_lo
	s_delay_alu instid0(VALU_DEP_1)
	v_cmpx_ngt_f64_e32 v[229:230], v[231:232]
	s_xor_b32 s2, exec_lo, s2
	s_cbranch_execz .LBB104_259
; %bb.258:
	v_div_scale_f64 v[229:230], null, v[214:215], v[214:215], v[212:213]
	v_div_scale_f64 v[235:236], vcc_lo, v[212:213], v[214:215], v[212:213]
	s_delay_alu instid0(VALU_DEP_2) | instskip(SKIP_2) | instid1(VALU_DEP_1)
	v_rcp_f64_e32 v[231:232], v[229:230]
	s_waitcnt_depctr 0xfff
	v_fma_f64 v[233:234], -v[229:230], v[231:232], 1.0
	v_fma_f64 v[231:232], v[231:232], v[233:234], v[231:232]
	s_delay_alu instid0(VALU_DEP_1) | instskip(NEXT) | instid1(VALU_DEP_1)
	v_fma_f64 v[233:234], -v[229:230], v[231:232], 1.0
	v_fma_f64 v[231:232], v[231:232], v[233:234], v[231:232]
	s_delay_alu instid0(VALU_DEP_1) | instskip(NEXT) | instid1(VALU_DEP_1)
	v_mul_f64 v[233:234], v[235:236], v[231:232]
	v_fma_f64 v[229:230], -v[229:230], v[233:234], v[235:236]
	s_delay_alu instid0(VALU_DEP_1) | instskip(NEXT) | instid1(VALU_DEP_1)
	v_div_fmas_f64 v[229:230], v[229:230], v[231:232], v[233:234]
	v_div_fixup_f64 v[229:230], v[229:230], v[214:215], v[212:213]
	s_delay_alu instid0(VALU_DEP_1) | instskip(NEXT) | instid1(VALU_DEP_1)
	v_fma_f64 v[212:213], v[212:213], v[229:230], v[214:215]
	v_div_scale_f64 v[214:215], null, v[212:213], v[212:213], 1.0
	s_delay_alu instid0(VALU_DEP_1) | instskip(SKIP_2) | instid1(VALU_DEP_1)
	v_rcp_f64_e32 v[231:232], v[214:215]
	s_waitcnt_depctr 0xfff
	v_fma_f64 v[233:234], -v[214:215], v[231:232], 1.0
	v_fma_f64 v[231:232], v[231:232], v[233:234], v[231:232]
	s_delay_alu instid0(VALU_DEP_1) | instskip(NEXT) | instid1(VALU_DEP_1)
	v_fma_f64 v[233:234], -v[214:215], v[231:232], 1.0
	v_fma_f64 v[231:232], v[231:232], v[233:234], v[231:232]
	v_div_scale_f64 v[233:234], vcc_lo, 1.0, v[212:213], 1.0
	s_delay_alu instid0(VALU_DEP_1) | instskip(NEXT) | instid1(VALU_DEP_1)
	v_mul_f64 v[235:236], v[233:234], v[231:232]
	v_fma_f64 v[214:215], -v[214:215], v[235:236], v[233:234]
	s_delay_alu instid0(VALU_DEP_1) | instskip(NEXT) | instid1(VALU_DEP_1)
	v_div_fmas_f64 v[214:215], v[214:215], v[231:232], v[235:236]
	v_div_fixup_f64 v[214:215], v[214:215], v[212:213], 1.0
	s_delay_alu instid0(VALU_DEP_1)
	v_mul_f64 v[212:213], v[229:230], v[214:215]
	v_xor_b32_e32 v215, 0x80000000, v215
.LBB104_259:
	s_and_not1_saveexec_b32 s2, s2
	s_cbranch_execz .LBB104_261
; %bb.260:
	s_delay_alu instid0(VALU_DEP_1) | instskip(SKIP_1) | instid1(VALU_DEP_2)
	v_div_scale_f64 v[229:230], null, v[212:213], v[212:213], v[214:215]
	v_div_scale_f64 v[235:236], vcc_lo, v[214:215], v[212:213], v[214:215]
	v_rcp_f64_e32 v[231:232], v[229:230]
	s_waitcnt_depctr 0xfff
	v_fma_f64 v[233:234], -v[229:230], v[231:232], 1.0
	s_delay_alu instid0(VALU_DEP_1) | instskip(NEXT) | instid1(VALU_DEP_1)
	v_fma_f64 v[231:232], v[231:232], v[233:234], v[231:232]
	v_fma_f64 v[233:234], -v[229:230], v[231:232], 1.0
	s_delay_alu instid0(VALU_DEP_1) | instskip(NEXT) | instid1(VALU_DEP_1)
	v_fma_f64 v[231:232], v[231:232], v[233:234], v[231:232]
	v_mul_f64 v[233:234], v[235:236], v[231:232]
	s_delay_alu instid0(VALU_DEP_1) | instskip(NEXT) | instid1(VALU_DEP_1)
	v_fma_f64 v[229:230], -v[229:230], v[233:234], v[235:236]
	v_div_fmas_f64 v[229:230], v[229:230], v[231:232], v[233:234]
	s_delay_alu instid0(VALU_DEP_1) | instskip(NEXT) | instid1(VALU_DEP_1)
	v_div_fixup_f64 v[229:230], v[229:230], v[212:213], v[214:215]
	v_fma_f64 v[212:213], v[214:215], v[229:230], v[212:213]
	s_delay_alu instid0(VALU_DEP_1) | instskip(NEXT) | instid1(VALU_DEP_1)
	v_div_scale_f64 v[214:215], null, v[212:213], v[212:213], 1.0
	v_rcp_f64_e32 v[231:232], v[214:215]
	s_waitcnt_depctr 0xfff
	v_fma_f64 v[233:234], -v[214:215], v[231:232], 1.0
	s_delay_alu instid0(VALU_DEP_1) | instskip(NEXT) | instid1(VALU_DEP_1)
	v_fma_f64 v[231:232], v[231:232], v[233:234], v[231:232]
	v_fma_f64 v[233:234], -v[214:215], v[231:232], 1.0
	s_delay_alu instid0(VALU_DEP_1) | instskip(SKIP_1) | instid1(VALU_DEP_1)
	v_fma_f64 v[231:232], v[231:232], v[233:234], v[231:232]
	v_div_scale_f64 v[233:234], vcc_lo, 1.0, v[212:213], 1.0
	v_mul_f64 v[235:236], v[233:234], v[231:232]
	s_delay_alu instid0(VALU_DEP_1) | instskip(NEXT) | instid1(VALU_DEP_1)
	v_fma_f64 v[214:215], -v[214:215], v[235:236], v[233:234]
	v_div_fmas_f64 v[214:215], v[214:215], v[231:232], v[235:236]
	s_delay_alu instid0(VALU_DEP_1) | instskip(NEXT) | instid1(VALU_DEP_1)
	v_div_fixup_f64 v[212:213], v[214:215], v[212:213], 1.0
	v_mul_f64 v[214:215], v[229:230], -v[212:213]
.LBB104_261:
	s_or_b32 exec_lo, exec_lo, s2
.LBB104_262:
	s_delay_alu instid0(SALU_CYCLE_1) | instskip(NEXT) | instid1(SALU_CYCLE_1)
	s_or_b32 exec_lo, exec_lo, s3
	s_mov_b32 s2, exec_lo
	v_cmpx_ne_u32_e64 v228, v220
	s_xor_b32 s2, exec_lo, s2
	s_cbranch_execz .LBB104_268
; %bb.263:
	s_mov_b32 s3, exec_lo
	v_cmpx_eq_u32_e32 12, v228
	s_cbranch_execz .LBB104_267
; %bb.264:
	v_cmp_ne_u32_e32 vcc_lo, 12, v220
	s_xor_b32 s6, s4, -1
	s_delay_alu instid0(SALU_CYCLE_1) | instskip(NEXT) | instid1(SALU_CYCLE_1)
	s_and_b32 s7, s6, vcc_lo
	s_and_saveexec_b32 s6, s7
	s_cbranch_execz .LBB104_266
; %bb.265:
	v_ashrrev_i32_e32 v221, 31, v220
	s_delay_alu instid0(VALU_DEP_1) | instskip(NEXT) | instid1(VALU_DEP_1)
	v_lshlrev_b64 v[227:228], 2, v[220:221]
	v_add_co_u32 v227, vcc_lo, v218, v227
	s_delay_alu instid0(VALU_DEP_2)
	v_add_co_ci_u32_e32 v228, vcc_lo, v219, v228, vcc_lo
	s_clause 0x1
	flat_load_b32 v221, v[227:228]
	flat_load_b32 v229, v[218:219] offset:48
	s_waitcnt vmcnt(1) lgkmcnt(1)
	flat_store_b32 v[218:219], v221 offset:48
	s_waitcnt vmcnt(0) lgkmcnt(1)
	flat_store_b32 v[227:228], v229
.LBB104_266:
	s_or_b32 exec_lo, exec_lo, s6
	v_mov_b32_e32 v228, v220
	v_mov_b32_e32 v227, v220
.LBB104_267:
	s_or_b32 exec_lo, exec_lo, s3
.LBB104_268:
	s_and_not1_saveexec_b32 s2, s2
	s_cbranch_execz .LBB104_270
; %bb.269:
	v_mov_b32_e32 v228, 12
	ds_store_2addr_b64 v222, v[156:157], v[158:159] offset0:26 offset1:27
	ds_store_2addr_b64 v222, v[152:153], v[154:155] offset0:28 offset1:29
	;; [unrolled: 1-line block ×40, first 2 shown]
.LBB104_270:
	s_or_b32 exec_lo, exec_lo, s2
	s_delay_alu instid0(SALU_CYCLE_1)
	s_mov_b32 s2, exec_lo
	s_waitcnt lgkmcnt(0)
	s_waitcnt_vscnt null, 0x0
	s_barrier
	buffer_gl0_inv
	v_cmpx_lt_i32_e32 12, v228
	s_cbranch_execz .LBB104_272
; %bb.271:
	v_mul_f64 v[220:221], v[214:215], v[162:163]
	v_mul_f64 v[162:163], v[212:213], v[162:163]
	s_delay_alu instid0(VALU_DEP_2) | instskip(NEXT) | instid1(VALU_DEP_2)
	v_fma_f64 v[220:221], v[212:213], v[160:161], -v[220:221]
	v_fma_f64 v[162:163], v[214:215], v[160:161], v[162:163]
	ds_load_2addr_b64 v[212:215], v222 offset0:26 offset1:27
	s_waitcnt lgkmcnt(0)
	v_mul_f64 v[160:161], v[214:215], v[162:163]
	s_delay_alu instid0(VALU_DEP_1) | instskip(SKIP_1) | instid1(VALU_DEP_2)
	v_fma_f64 v[160:161], v[212:213], v[220:221], -v[160:161]
	v_mul_f64 v[212:213], v[212:213], v[162:163]
	v_add_f64 v[156:157], v[156:157], -v[160:161]
	s_delay_alu instid0(VALU_DEP_2) | instskip(NEXT) | instid1(VALU_DEP_1)
	v_fma_f64 v[212:213], v[214:215], v[220:221], v[212:213]
	v_add_f64 v[158:159], v[158:159], -v[212:213]
	ds_load_2addr_b64 v[212:215], v222 offset0:28 offset1:29
	s_waitcnt lgkmcnt(0)
	v_mul_f64 v[160:161], v[214:215], v[162:163]
	s_delay_alu instid0(VALU_DEP_1) | instskip(SKIP_1) | instid1(VALU_DEP_2)
	v_fma_f64 v[160:161], v[212:213], v[220:221], -v[160:161]
	v_mul_f64 v[212:213], v[212:213], v[162:163]
	v_add_f64 v[152:153], v[152:153], -v[160:161]
	s_delay_alu instid0(VALU_DEP_2) | instskip(NEXT) | instid1(VALU_DEP_1)
	v_fma_f64 v[212:213], v[214:215], v[220:221], v[212:213]
	v_add_f64 v[154:155], v[154:155], -v[212:213]
	;; [unrolled: 10-line block ×39, first 2 shown]
	ds_load_2addr_b64 v[212:215], v222 offset0:104 offset1:105
	s_waitcnt lgkmcnt(0)
	v_mul_f64 v[160:161], v[214:215], v[162:163]
	s_delay_alu instid0(VALU_DEP_1) | instskip(SKIP_1) | instid1(VALU_DEP_2)
	v_fma_f64 v[160:161], v[212:213], v[220:221], -v[160:161]
	v_mul_f64 v[212:213], v[212:213], v[162:163]
	v_add_f64 v[0:1], v[0:1], -v[160:161]
	s_delay_alu instid0(VALU_DEP_2) | instskip(SKIP_1) | instid1(VALU_DEP_2)
	v_fma_f64 v[212:213], v[214:215], v[220:221], v[212:213]
	v_dual_mov_b32 v160, v220 :: v_dual_mov_b32 v161, v221
	v_add_f64 v[2:3], v[2:3], -v[212:213]
.LBB104_272:
	s_or_b32 exec_lo, exec_lo, s2
	v_lshl_add_u32 v212, v228, 4, v222
	s_barrier
	buffer_gl0_inv
	v_mov_b32_e32 v220, 13
	ds_store_2addr_b64 v212, v[156:157], v[158:159] offset1:1
	s_waitcnt lgkmcnt(0)
	s_barrier
	buffer_gl0_inv
	ds_load_2addr_b64 v[212:215], v222 offset0:26 offset1:27
	s_cmp_lt_i32 s5, 15
	s_cbranch_scc1 .LBB104_275
; %bb.273:
	v_add3_u32 v221, v226, 0, 0xe0
	v_mov_b32_e32 v220, 13
	s_mov_b32 s6, 14
	s_set_inst_prefetch_distance 0x1
	.p2align	6
.LBB104_274:                            ; =>This Inner Loop Header: Depth=1
	ds_load_2addr_b64 v[229:232], v221 offset1:1
	s_waitcnt lgkmcnt(1)
	v_cmp_gt_f64_e32 vcc_lo, 0, v[212:213]
	v_xor_b32_e32 v233, 0x80000000, v213
	v_cmp_gt_f64_e64 s2, 0, v[214:215]
	v_xor_b32_e32 v235, 0x80000000, v215
	v_add_nc_u32_e32 v221, 16, v221
	s_waitcnt lgkmcnt(0)
	v_cmp_gt_f64_e64 s3, 0, v[229:230]
	v_mov_b32_e32 v237, v229
	v_dual_mov_b32 v239, v231 :: v_dual_cndmask_b32 v234, v213, v233
	v_xor_b32_e32 v233, 0x80000000, v230
	v_cndmask_b32_e64 v236, v215, v235, s2
	v_xor_b32_e32 v235, 0x80000000, v232
	s_delay_alu instid0(VALU_DEP_3) | instskip(SKIP_2) | instid1(VALU_DEP_2)
	v_cndmask_b32_e64 v238, v230, v233, s3
	v_cmp_gt_f64_e64 s3, 0, v[231:232]
	v_cndmask_b32_e32 v233, v212, v212, vcc_lo
	v_cndmask_b32_e64 v240, v232, v235, s3
	v_cndmask_b32_e64 v235, v214, v214, s2
	s_delay_alu instid0(VALU_DEP_2) | instskip(NEXT) | instid1(VALU_DEP_2)
	v_add_f64 v[237:238], v[237:238], v[239:240]
	v_add_f64 v[233:234], v[233:234], v[235:236]
	s_delay_alu instid0(VALU_DEP_1) | instskip(SKIP_4) | instid1(SALU_CYCLE_1)
	v_cmp_lt_f64_e32 vcc_lo, v[233:234], v[237:238]
	v_dual_cndmask_b32 v214, v214, v231 :: v_dual_cndmask_b32 v213, v213, v230
	v_dual_cndmask_b32 v212, v212, v229 :: v_dual_cndmask_b32 v215, v215, v232
	v_cndmask_b32_e64 v220, v220, s6, vcc_lo
	s_add_i32 s6, s6, 1
	s_cmp_lg_u32 s5, s6
	s_cbranch_scc1 .LBB104_274
.LBB104_275:
	s_set_inst_prefetch_distance 0x2
	s_waitcnt lgkmcnt(0)
	v_cmp_eq_f64_e32 vcc_lo, 0, v[212:213]
	v_cmp_eq_f64_e64 s2, 0, v[214:215]
	s_delay_alu instid0(VALU_DEP_1) | instskip(NEXT) | instid1(SALU_CYCLE_1)
	s_and_b32 s2, vcc_lo, s2
	s_and_saveexec_b32 s3, s2
	s_delay_alu instid0(SALU_CYCLE_1)
	s_xor_b32 s2, exec_lo, s3
; %bb.276:
	v_cmp_ne_u32_e32 vcc_lo, 0, v225
	v_cndmask_b32_e32 v225, 14, v225, vcc_lo
; %bb.277:
	s_and_not1_saveexec_b32 s3, s2
	s_cbranch_execz .LBB104_283
; %bb.278:
	v_cmp_gt_f64_e32 vcc_lo, 0, v[212:213]
	v_cmp_gt_f64_e64 s2, 0, v[214:215]
	v_xor_b32_e32 v221, 0x80000000, v213
	v_xor_b32_e32 v229, 0x80000000, v215
	s_delay_alu instid0(VALU_DEP_2) | instskip(NEXT) | instid1(VALU_DEP_2)
	v_cndmask_b32_e32 v230, v213, v221, vcc_lo
	v_cndmask_b32_e64 v232, v215, v229, s2
	v_cndmask_b32_e32 v229, v212, v212, vcc_lo
	v_cndmask_b32_e64 v231, v214, v214, s2
	s_mov_b32 s2, exec_lo
	s_delay_alu instid0(VALU_DEP_1)
	v_cmpx_ngt_f64_e32 v[229:230], v[231:232]
	s_xor_b32 s2, exec_lo, s2
	s_cbranch_execz .LBB104_280
; %bb.279:
	v_div_scale_f64 v[229:230], null, v[214:215], v[214:215], v[212:213]
	v_div_scale_f64 v[235:236], vcc_lo, v[212:213], v[214:215], v[212:213]
	s_delay_alu instid0(VALU_DEP_2) | instskip(SKIP_2) | instid1(VALU_DEP_1)
	v_rcp_f64_e32 v[231:232], v[229:230]
	s_waitcnt_depctr 0xfff
	v_fma_f64 v[233:234], -v[229:230], v[231:232], 1.0
	v_fma_f64 v[231:232], v[231:232], v[233:234], v[231:232]
	s_delay_alu instid0(VALU_DEP_1) | instskip(NEXT) | instid1(VALU_DEP_1)
	v_fma_f64 v[233:234], -v[229:230], v[231:232], 1.0
	v_fma_f64 v[231:232], v[231:232], v[233:234], v[231:232]
	s_delay_alu instid0(VALU_DEP_1) | instskip(NEXT) | instid1(VALU_DEP_1)
	v_mul_f64 v[233:234], v[235:236], v[231:232]
	v_fma_f64 v[229:230], -v[229:230], v[233:234], v[235:236]
	s_delay_alu instid0(VALU_DEP_1) | instskip(NEXT) | instid1(VALU_DEP_1)
	v_div_fmas_f64 v[229:230], v[229:230], v[231:232], v[233:234]
	v_div_fixup_f64 v[229:230], v[229:230], v[214:215], v[212:213]
	s_delay_alu instid0(VALU_DEP_1) | instskip(NEXT) | instid1(VALU_DEP_1)
	v_fma_f64 v[212:213], v[212:213], v[229:230], v[214:215]
	v_div_scale_f64 v[214:215], null, v[212:213], v[212:213], 1.0
	s_delay_alu instid0(VALU_DEP_1) | instskip(SKIP_2) | instid1(VALU_DEP_1)
	v_rcp_f64_e32 v[231:232], v[214:215]
	s_waitcnt_depctr 0xfff
	v_fma_f64 v[233:234], -v[214:215], v[231:232], 1.0
	v_fma_f64 v[231:232], v[231:232], v[233:234], v[231:232]
	s_delay_alu instid0(VALU_DEP_1) | instskip(NEXT) | instid1(VALU_DEP_1)
	v_fma_f64 v[233:234], -v[214:215], v[231:232], 1.0
	v_fma_f64 v[231:232], v[231:232], v[233:234], v[231:232]
	v_div_scale_f64 v[233:234], vcc_lo, 1.0, v[212:213], 1.0
	s_delay_alu instid0(VALU_DEP_1) | instskip(NEXT) | instid1(VALU_DEP_1)
	v_mul_f64 v[235:236], v[233:234], v[231:232]
	v_fma_f64 v[214:215], -v[214:215], v[235:236], v[233:234]
	s_delay_alu instid0(VALU_DEP_1) | instskip(NEXT) | instid1(VALU_DEP_1)
	v_div_fmas_f64 v[214:215], v[214:215], v[231:232], v[235:236]
	v_div_fixup_f64 v[214:215], v[214:215], v[212:213], 1.0
	s_delay_alu instid0(VALU_DEP_1)
	v_mul_f64 v[212:213], v[229:230], v[214:215]
	v_xor_b32_e32 v215, 0x80000000, v215
.LBB104_280:
	s_and_not1_saveexec_b32 s2, s2
	s_cbranch_execz .LBB104_282
; %bb.281:
	s_delay_alu instid0(VALU_DEP_1) | instskip(SKIP_1) | instid1(VALU_DEP_2)
	v_div_scale_f64 v[229:230], null, v[212:213], v[212:213], v[214:215]
	v_div_scale_f64 v[235:236], vcc_lo, v[214:215], v[212:213], v[214:215]
	v_rcp_f64_e32 v[231:232], v[229:230]
	s_waitcnt_depctr 0xfff
	v_fma_f64 v[233:234], -v[229:230], v[231:232], 1.0
	s_delay_alu instid0(VALU_DEP_1) | instskip(NEXT) | instid1(VALU_DEP_1)
	v_fma_f64 v[231:232], v[231:232], v[233:234], v[231:232]
	v_fma_f64 v[233:234], -v[229:230], v[231:232], 1.0
	s_delay_alu instid0(VALU_DEP_1) | instskip(NEXT) | instid1(VALU_DEP_1)
	v_fma_f64 v[231:232], v[231:232], v[233:234], v[231:232]
	v_mul_f64 v[233:234], v[235:236], v[231:232]
	s_delay_alu instid0(VALU_DEP_1) | instskip(NEXT) | instid1(VALU_DEP_1)
	v_fma_f64 v[229:230], -v[229:230], v[233:234], v[235:236]
	v_div_fmas_f64 v[229:230], v[229:230], v[231:232], v[233:234]
	s_delay_alu instid0(VALU_DEP_1) | instskip(NEXT) | instid1(VALU_DEP_1)
	v_div_fixup_f64 v[229:230], v[229:230], v[212:213], v[214:215]
	v_fma_f64 v[212:213], v[214:215], v[229:230], v[212:213]
	s_delay_alu instid0(VALU_DEP_1) | instskip(NEXT) | instid1(VALU_DEP_1)
	v_div_scale_f64 v[214:215], null, v[212:213], v[212:213], 1.0
	v_rcp_f64_e32 v[231:232], v[214:215]
	s_waitcnt_depctr 0xfff
	v_fma_f64 v[233:234], -v[214:215], v[231:232], 1.0
	s_delay_alu instid0(VALU_DEP_1) | instskip(NEXT) | instid1(VALU_DEP_1)
	v_fma_f64 v[231:232], v[231:232], v[233:234], v[231:232]
	v_fma_f64 v[233:234], -v[214:215], v[231:232], 1.0
	s_delay_alu instid0(VALU_DEP_1) | instskip(SKIP_1) | instid1(VALU_DEP_1)
	v_fma_f64 v[231:232], v[231:232], v[233:234], v[231:232]
	v_div_scale_f64 v[233:234], vcc_lo, 1.0, v[212:213], 1.0
	v_mul_f64 v[235:236], v[233:234], v[231:232]
	s_delay_alu instid0(VALU_DEP_1) | instskip(NEXT) | instid1(VALU_DEP_1)
	v_fma_f64 v[214:215], -v[214:215], v[235:236], v[233:234]
	v_div_fmas_f64 v[214:215], v[214:215], v[231:232], v[235:236]
	s_delay_alu instid0(VALU_DEP_1) | instskip(NEXT) | instid1(VALU_DEP_1)
	v_div_fixup_f64 v[212:213], v[214:215], v[212:213], 1.0
	v_mul_f64 v[214:215], v[229:230], -v[212:213]
.LBB104_282:
	s_or_b32 exec_lo, exec_lo, s2
.LBB104_283:
	s_delay_alu instid0(SALU_CYCLE_1) | instskip(NEXT) | instid1(SALU_CYCLE_1)
	s_or_b32 exec_lo, exec_lo, s3
	s_mov_b32 s2, exec_lo
	v_cmpx_ne_u32_e64 v228, v220
	s_xor_b32 s2, exec_lo, s2
	s_cbranch_execz .LBB104_289
; %bb.284:
	s_mov_b32 s3, exec_lo
	v_cmpx_eq_u32_e32 13, v228
	s_cbranch_execz .LBB104_288
; %bb.285:
	v_cmp_ne_u32_e32 vcc_lo, 13, v220
	s_xor_b32 s6, s4, -1
	s_delay_alu instid0(SALU_CYCLE_1) | instskip(NEXT) | instid1(SALU_CYCLE_1)
	s_and_b32 s7, s6, vcc_lo
	s_and_saveexec_b32 s6, s7
	s_cbranch_execz .LBB104_287
; %bb.286:
	v_ashrrev_i32_e32 v221, 31, v220
	s_delay_alu instid0(VALU_DEP_1) | instskip(NEXT) | instid1(VALU_DEP_1)
	v_lshlrev_b64 v[227:228], 2, v[220:221]
	v_add_co_u32 v227, vcc_lo, v218, v227
	s_delay_alu instid0(VALU_DEP_2)
	v_add_co_ci_u32_e32 v228, vcc_lo, v219, v228, vcc_lo
	s_clause 0x1
	flat_load_b32 v221, v[227:228]
	flat_load_b32 v229, v[218:219] offset:52
	s_waitcnt vmcnt(1) lgkmcnt(1)
	flat_store_b32 v[218:219], v221 offset:52
	s_waitcnt vmcnt(0) lgkmcnt(1)
	flat_store_b32 v[227:228], v229
.LBB104_287:
	s_or_b32 exec_lo, exec_lo, s6
	v_mov_b32_e32 v228, v220
	v_mov_b32_e32 v227, v220
.LBB104_288:
	s_or_b32 exec_lo, exec_lo, s3
.LBB104_289:
	s_and_not1_saveexec_b32 s2, s2
	s_cbranch_execz .LBB104_291
; %bb.290:
	v_mov_b32_e32 v228, 13
	ds_store_2addr_b64 v222, v[152:153], v[154:155] offset0:28 offset1:29
	ds_store_2addr_b64 v222, v[148:149], v[150:151] offset0:30 offset1:31
	;; [unrolled: 1-line block ×39, first 2 shown]
.LBB104_291:
	s_or_b32 exec_lo, exec_lo, s2
	s_delay_alu instid0(SALU_CYCLE_1)
	s_mov_b32 s2, exec_lo
	s_waitcnt lgkmcnt(0)
	s_waitcnt_vscnt null, 0x0
	s_barrier
	buffer_gl0_inv
	v_cmpx_lt_i32_e32 13, v228
	s_cbranch_execz .LBB104_293
; %bb.292:
	v_mul_f64 v[220:221], v[214:215], v[158:159]
	v_mul_f64 v[158:159], v[212:213], v[158:159]
	s_delay_alu instid0(VALU_DEP_2) | instskip(NEXT) | instid1(VALU_DEP_2)
	v_fma_f64 v[220:221], v[212:213], v[156:157], -v[220:221]
	v_fma_f64 v[158:159], v[214:215], v[156:157], v[158:159]
	ds_load_2addr_b64 v[212:215], v222 offset0:28 offset1:29
	s_waitcnt lgkmcnt(0)
	v_mul_f64 v[156:157], v[214:215], v[158:159]
	s_delay_alu instid0(VALU_DEP_1) | instskip(SKIP_1) | instid1(VALU_DEP_2)
	v_fma_f64 v[156:157], v[212:213], v[220:221], -v[156:157]
	v_mul_f64 v[212:213], v[212:213], v[158:159]
	v_add_f64 v[152:153], v[152:153], -v[156:157]
	s_delay_alu instid0(VALU_DEP_2) | instskip(NEXT) | instid1(VALU_DEP_1)
	v_fma_f64 v[212:213], v[214:215], v[220:221], v[212:213]
	v_add_f64 v[154:155], v[154:155], -v[212:213]
	ds_load_2addr_b64 v[212:215], v222 offset0:30 offset1:31
	s_waitcnt lgkmcnt(0)
	v_mul_f64 v[156:157], v[214:215], v[158:159]
	s_delay_alu instid0(VALU_DEP_1) | instskip(SKIP_1) | instid1(VALU_DEP_2)
	v_fma_f64 v[156:157], v[212:213], v[220:221], -v[156:157]
	v_mul_f64 v[212:213], v[212:213], v[158:159]
	v_add_f64 v[148:149], v[148:149], -v[156:157]
	s_delay_alu instid0(VALU_DEP_2) | instskip(NEXT) | instid1(VALU_DEP_1)
	v_fma_f64 v[212:213], v[214:215], v[220:221], v[212:213]
	v_add_f64 v[150:151], v[150:151], -v[212:213]
	;; [unrolled: 10-line block ×38, first 2 shown]
	ds_load_2addr_b64 v[212:215], v222 offset0:104 offset1:105
	s_waitcnt lgkmcnt(0)
	v_mul_f64 v[156:157], v[214:215], v[158:159]
	s_delay_alu instid0(VALU_DEP_1) | instskip(SKIP_1) | instid1(VALU_DEP_2)
	v_fma_f64 v[156:157], v[212:213], v[220:221], -v[156:157]
	v_mul_f64 v[212:213], v[212:213], v[158:159]
	v_add_f64 v[0:1], v[0:1], -v[156:157]
	s_delay_alu instid0(VALU_DEP_2) | instskip(SKIP_1) | instid1(VALU_DEP_2)
	v_fma_f64 v[212:213], v[214:215], v[220:221], v[212:213]
	v_dual_mov_b32 v156, v220 :: v_dual_mov_b32 v157, v221
	v_add_f64 v[2:3], v[2:3], -v[212:213]
.LBB104_293:
	s_or_b32 exec_lo, exec_lo, s2
	v_lshl_add_u32 v212, v228, 4, v222
	s_barrier
	buffer_gl0_inv
	v_mov_b32_e32 v220, 14
	ds_store_2addr_b64 v212, v[152:153], v[154:155] offset1:1
	s_waitcnt lgkmcnt(0)
	s_barrier
	buffer_gl0_inv
	ds_load_2addr_b64 v[212:215], v222 offset0:28 offset1:29
	s_cmp_lt_i32 s5, 16
	s_cbranch_scc1 .LBB104_296
; %bb.294:
	v_add3_u32 v221, v226, 0, 0xf0
	v_mov_b32_e32 v220, 14
	s_mov_b32 s6, 15
	s_set_inst_prefetch_distance 0x1
	.p2align	6
.LBB104_295:                            ; =>This Inner Loop Header: Depth=1
	ds_load_2addr_b64 v[229:232], v221 offset1:1
	s_waitcnt lgkmcnt(1)
	v_cmp_gt_f64_e32 vcc_lo, 0, v[212:213]
	v_xor_b32_e32 v233, 0x80000000, v213
	v_cmp_gt_f64_e64 s2, 0, v[214:215]
	v_xor_b32_e32 v235, 0x80000000, v215
	v_add_nc_u32_e32 v221, 16, v221
	s_waitcnt lgkmcnt(0)
	v_cmp_gt_f64_e64 s3, 0, v[229:230]
	v_mov_b32_e32 v237, v229
	v_dual_mov_b32 v239, v231 :: v_dual_cndmask_b32 v234, v213, v233
	v_xor_b32_e32 v233, 0x80000000, v230
	v_cndmask_b32_e64 v236, v215, v235, s2
	v_xor_b32_e32 v235, 0x80000000, v232
	s_delay_alu instid0(VALU_DEP_3) | instskip(SKIP_2) | instid1(VALU_DEP_2)
	v_cndmask_b32_e64 v238, v230, v233, s3
	v_cmp_gt_f64_e64 s3, 0, v[231:232]
	v_cndmask_b32_e32 v233, v212, v212, vcc_lo
	v_cndmask_b32_e64 v240, v232, v235, s3
	v_cndmask_b32_e64 v235, v214, v214, s2
	s_delay_alu instid0(VALU_DEP_2) | instskip(NEXT) | instid1(VALU_DEP_2)
	v_add_f64 v[237:238], v[237:238], v[239:240]
	v_add_f64 v[233:234], v[233:234], v[235:236]
	s_delay_alu instid0(VALU_DEP_1) | instskip(SKIP_4) | instid1(SALU_CYCLE_1)
	v_cmp_lt_f64_e32 vcc_lo, v[233:234], v[237:238]
	v_dual_cndmask_b32 v214, v214, v231 :: v_dual_cndmask_b32 v213, v213, v230
	v_dual_cndmask_b32 v212, v212, v229 :: v_dual_cndmask_b32 v215, v215, v232
	v_cndmask_b32_e64 v220, v220, s6, vcc_lo
	s_add_i32 s6, s6, 1
	s_cmp_lg_u32 s5, s6
	s_cbranch_scc1 .LBB104_295
.LBB104_296:
	s_set_inst_prefetch_distance 0x2
	s_waitcnt lgkmcnt(0)
	v_cmp_eq_f64_e32 vcc_lo, 0, v[212:213]
	v_cmp_eq_f64_e64 s2, 0, v[214:215]
	s_delay_alu instid0(VALU_DEP_1) | instskip(NEXT) | instid1(SALU_CYCLE_1)
	s_and_b32 s2, vcc_lo, s2
	s_and_saveexec_b32 s3, s2
	s_delay_alu instid0(SALU_CYCLE_1)
	s_xor_b32 s2, exec_lo, s3
; %bb.297:
	v_cmp_ne_u32_e32 vcc_lo, 0, v225
	v_cndmask_b32_e32 v225, 15, v225, vcc_lo
; %bb.298:
	s_and_not1_saveexec_b32 s3, s2
	s_cbranch_execz .LBB104_304
; %bb.299:
	v_cmp_gt_f64_e32 vcc_lo, 0, v[212:213]
	v_cmp_gt_f64_e64 s2, 0, v[214:215]
	v_xor_b32_e32 v221, 0x80000000, v213
	v_xor_b32_e32 v229, 0x80000000, v215
	s_delay_alu instid0(VALU_DEP_2) | instskip(NEXT) | instid1(VALU_DEP_2)
	v_cndmask_b32_e32 v230, v213, v221, vcc_lo
	v_cndmask_b32_e64 v232, v215, v229, s2
	v_cndmask_b32_e32 v229, v212, v212, vcc_lo
	v_cndmask_b32_e64 v231, v214, v214, s2
	s_mov_b32 s2, exec_lo
	s_delay_alu instid0(VALU_DEP_1)
	v_cmpx_ngt_f64_e32 v[229:230], v[231:232]
	s_xor_b32 s2, exec_lo, s2
	s_cbranch_execz .LBB104_301
; %bb.300:
	v_div_scale_f64 v[229:230], null, v[214:215], v[214:215], v[212:213]
	v_div_scale_f64 v[235:236], vcc_lo, v[212:213], v[214:215], v[212:213]
	s_delay_alu instid0(VALU_DEP_2) | instskip(SKIP_2) | instid1(VALU_DEP_1)
	v_rcp_f64_e32 v[231:232], v[229:230]
	s_waitcnt_depctr 0xfff
	v_fma_f64 v[233:234], -v[229:230], v[231:232], 1.0
	v_fma_f64 v[231:232], v[231:232], v[233:234], v[231:232]
	s_delay_alu instid0(VALU_DEP_1) | instskip(NEXT) | instid1(VALU_DEP_1)
	v_fma_f64 v[233:234], -v[229:230], v[231:232], 1.0
	v_fma_f64 v[231:232], v[231:232], v[233:234], v[231:232]
	s_delay_alu instid0(VALU_DEP_1) | instskip(NEXT) | instid1(VALU_DEP_1)
	v_mul_f64 v[233:234], v[235:236], v[231:232]
	v_fma_f64 v[229:230], -v[229:230], v[233:234], v[235:236]
	s_delay_alu instid0(VALU_DEP_1) | instskip(NEXT) | instid1(VALU_DEP_1)
	v_div_fmas_f64 v[229:230], v[229:230], v[231:232], v[233:234]
	v_div_fixup_f64 v[229:230], v[229:230], v[214:215], v[212:213]
	s_delay_alu instid0(VALU_DEP_1) | instskip(NEXT) | instid1(VALU_DEP_1)
	v_fma_f64 v[212:213], v[212:213], v[229:230], v[214:215]
	v_div_scale_f64 v[214:215], null, v[212:213], v[212:213], 1.0
	s_delay_alu instid0(VALU_DEP_1) | instskip(SKIP_2) | instid1(VALU_DEP_1)
	v_rcp_f64_e32 v[231:232], v[214:215]
	s_waitcnt_depctr 0xfff
	v_fma_f64 v[233:234], -v[214:215], v[231:232], 1.0
	v_fma_f64 v[231:232], v[231:232], v[233:234], v[231:232]
	s_delay_alu instid0(VALU_DEP_1) | instskip(NEXT) | instid1(VALU_DEP_1)
	v_fma_f64 v[233:234], -v[214:215], v[231:232], 1.0
	v_fma_f64 v[231:232], v[231:232], v[233:234], v[231:232]
	v_div_scale_f64 v[233:234], vcc_lo, 1.0, v[212:213], 1.0
	s_delay_alu instid0(VALU_DEP_1) | instskip(NEXT) | instid1(VALU_DEP_1)
	v_mul_f64 v[235:236], v[233:234], v[231:232]
	v_fma_f64 v[214:215], -v[214:215], v[235:236], v[233:234]
	s_delay_alu instid0(VALU_DEP_1) | instskip(NEXT) | instid1(VALU_DEP_1)
	v_div_fmas_f64 v[214:215], v[214:215], v[231:232], v[235:236]
	v_div_fixup_f64 v[214:215], v[214:215], v[212:213], 1.0
	s_delay_alu instid0(VALU_DEP_1)
	v_mul_f64 v[212:213], v[229:230], v[214:215]
	v_xor_b32_e32 v215, 0x80000000, v215
.LBB104_301:
	s_and_not1_saveexec_b32 s2, s2
	s_cbranch_execz .LBB104_303
; %bb.302:
	s_delay_alu instid0(VALU_DEP_1) | instskip(SKIP_1) | instid1(VALU_DEP_2)
	v_div_scale_f64 v[229:230], null, v[212:213], v[212:213], v[214:215]
	v_div_scale_f64 v[235:236], vcc_lo, v[214:215], v[212:213], v[214:215]
	v_rcp_f64_e32 v[231:232], v[229:230]
	s_waitcnt_depctr 0xfff
	v_fma_f64 v[233:234], -v[229:230], v[231:232], 1.0
	s_delay_alu instid0(VALU_DEP_1) | instskip(NEXT) | instid1(VALU_DEP_1)
	v_fma_f64 v[231:232], v[231:232], v[233:234], v[231:232]
	v_fma_f64 v[233:234], -v[229:230], v[231:232], 1.0
	s_delay_alu instid0(VALU_DEP_1) | instskip(NEXT) | instid1(VALU_DEP_1)
	v_fma_f64 v[231:232], v[231:232], v[233:234], v[231:232]
	v_mul_f64 v[233:234], v[235:236], v[231:232]
	s_delay_alu instid0(VALU_DEP_1) | instskip(NEXT) | instid1(VALU_DEP_1)
	v_fma_f64 v[229:230], -v[229:230], v[233:234], v[235:236]
	v_div_fmas_f64 v[229:230], v[229:230], v[231:232], v[233:234]
	s_delay_alu instid0(VALU_DEP_1) | instskip(NEXT) | instid1(VALU_DEP_1)
	v_div_fixup_f64 v[229:230], v[229:230], v[212:213], v[214:215]
	v_fma_f64 v[212:213], v[214:215], v[229:230], v[212:213]
	s_delay_alu instid0(VALU_DEP_1) | instskip(NEXT) | instid1(VALU_DEP_1)
	v_div_scale_f64 v[214:215], null, v[212:213], v[212:213], 1.0
	v_rcp_f64_e32 v[231:232], v[214:215]
	s_waitcnt_depctr 0xfff
	v_fma_f64 v[233:234], -v[214:215], v[231:232], 1.0
	s_delay_alu instid0(VALU_DEP_1) | instskip(NEXT) | instid1(VALU_DEP_1)
	v_fma_f64 v[231:232], v[231:232], v[233:234], v[231:232]
	v_fma_f64 v[233:234], -v[214:215], v[231:232], 1.0
	s_delay_alu instid0(VALU_DEP_1) | instskip(SKIP_1) | instid1(VALU_DEP_1)
	v_fma_f64 v[231:232], v[231:232], v[233:234], v[231:232]
	v_div_scale_f64 v[233:234], vcc_lo, 1.0, v[212:213], 1.0
	v_mul_f64 v[235:236], v[233:234], v[231:232]
	s_delay_alu instid0(VALU_DEP_1) | instskip(NEXT) | instid1(VALU_DEP_1)
	v_fma_f64 v[214:215], -v[214:215], v[235:236], v[233:234]
	v_div_fmas_f64 v[214:215], v[214:215], v[231:232], v[235:236]
	s_delay_alu instid0(VALU_DEP_1) | instskip(NEXT) | instid1(VALU_DEP_1)
	v_div_fixup_f64 v[212:213], v[214:215], v[212:213], 1.0
	v_mul_f64 v[214:215], v[229:230], -v[212:213]
.LBB104_303:
	s_or_b32 exec_lo, exec_lo, s2
.LBB104_304:
	s_delay_alu instid0(SALU_CYCLE_1) | instskip(NEXT) | instid1(SALU_CYCLE_1)
	s_or_b32 exec_lo, exec_lo, s3
	s_mov_b32 s2, exec_lo
	v_cmpx_ne_u32_e64 v228, v220
	s_xor_b32 s2, exec_lo, s2
	s_cbranch_execz .LBB104_310
; %bb.305:
	s_mov_b32 s3, exec_lo
	v_cmpx_eq_u32_e32 14, v228
	s_cbranch_execz .LBB104_309
; %bb.306:
	v_cmp_ne_u32_e32 vcc_lo, 14, v220
	s_xor_b32 s6, s4, -1
	s_delay_alu instid0(SALU_CYCLE_1) | instskip(NEXT) | instid1(SALU_CYCLE_1)
	s_and_b32 s7, s6, vcc_lo
	s_and_saveexec_b32 s6, s7
	s_cbranch_execz .LBB104_308
; %bb.307:
	v_ashrrev_i32_e32 v221, 31, v220
	s_delay_alu instid0(VALU_DEP_1) | instskip(NEXT) | instid1(VALU_DEP_1)
	v_lshlrev_b64 v[227:228], 2, v[220:221]
	v_add_co_u32 v227, vcc_lo, v218, v227
	s_delay_alu instid0(VALU_DEP_2)
	v_add_co_ci_u32_e32 v228, vcc_lo, v219, v228, vcc_lo
	s_clause 0x1
	flat_load_b32 v221, v[227:228]
	flat_load_b32 v229, v[218:219] offset:56
	s_waitcnt vmcnt(1) lgkmcnt(1)
	flat_store_b32 v[218:219], v221 offset:56
	s_waitcnt vmcnt(0) lgkmcnt(1)
	flat_store_b32 v[227:228], v229
.LBB104_308:
	s_or_b32 exec_lo, exec_lo, s6
	v_mov_b32_e32 v228, v220
	v_mov_b32_e32 v227, v220
.LBB104_309:
	s_or_b32 exec_lo, exec_lo, s3
.LBB104_310:
	s_and_not1_saveexec_b32 s2, s2
	s_cbranch_execz .LBB104_312
; %bb.311:
	v_mov_b32_e32 v228, 14
	ds_store_2addr_b64 v222, v[148:149], v[150:151] offset0:30 offset1:31
	ds_store_2addr_b64 v222, v[144:145], v[146:147] offset0:32 offset1:33
	ds_store_2addr_b64 v222, v[140:141], v[142:143] offset0:34 offset1:35
	ds_store_2addr_b64 v222, v[136:137], v[138:139] offset0:36 offset1:37
	ds_store_2addr_b64 v222, v[132:133], v[134:135] offset0:38 offset1:39
	ds_store_2addr_b64 v222, v[128:129], v[130:131] offset0:40 offset1:41
	ds_store_2addr_b64 v222, v[124:125], v[126:127] offset0:42 offset1:43
	ds_store_2addr_b64 v222, v[120:121], v[122:123] offset0:44 offset1:45
	ds_store_2addr_b64 v222, v[116:117], v[118:119] offset0:46 offset1:47
	ds_store_2addr_b64 v222, v[112:113], v[114:115] offset0:48 offset1:49
	ds_store_2addr_b64 v222, v[108:109], v[110:111] offset0:50 offset1:51
	ds_store_2addr_b64 v222, v[104:105], v[106:107] offset0:52 offset1:53
	ds_store_2addr_b64 v222, v[100:101], v[102:103] offset0:54 offset1:55
	ds_store_2addr_b64 v222, v[96:97], v[98:99] offset0:56 offset1:57
	ds_store_2addr_b64 v222, v[92:93], v[94:95] offset0:58 offset1:59
	ds_store_2addr_b64 v222, v[88:89], v[90:91] offset0:60 offset1:61
	ds_store_2addr_b64 v222, v[84:85], v[86:87] offset0:62 offset1:63
	ds_store_2addr_b64 v222, v[80:81], v[82:83] offset0:64 offset1:65
	ds_store_2addr_b64 v222, v[76:77], v[78:79] offset0:66 offset1:67
	ds_store_2addr_b64 v222, v[72:73], v[74:75] offset0:68 offset1:69
	ds_store_2addr_b64 v222, v[68:69], v[70:71] offset0:70 offset1:71
	ds_store_2addr_b64 v222, v[64:65], v[66:67] offset0:72 offset1:73
	ds_store_2addr_b64 v222, v[60:61], v[62:63] offset0:74 offset1:75
	ds_store_2addr_b64 v222, v[56:57], v[58:59] offset0:76 offset1:77
	ds_store_2addr_b64 v222, v[52:53], v[54:55] offset0:78 offset1:79
	ds_store_2addr_b64 v222, v[48:49], v[50:51] offset0:80 offset1:81
	ds_store_2addr_b64 v222, v[44:45], v[46:47] offset0:82 offset1:83
	ds_store_2addr_b64 v222, v[40:41], v[42:43] offset0:84 offset1:85
	ds_store_2addr_b64 v222, v[36:37], v[38:39] offset0:86 offset1:87
	ds_store_2addr_b64 v222, v[32:33], v[34:35] offset0:88 offset1:89
	ds_store_2addr_b64 v222, v[28:29], v[30:31] offset0:90 offset1:91
	ds_store_2addr_b64 v222, v[24:25], v[26:27] offset0:92 offset1:93
	ds_store_2addr_b64 v222, v[20:21], v[22:23] offset0:94 offset1:95
	ds_store_2addr_b64 v222, v[16:17], v[18:19] offset0:96 offset1:97
	ds_store_2addr_b64 v222, v[12:13], v[14:15] offset0:98 offset1:99
	ds_store_2addr_b64 v222, v[8:9], v[10:11] offset0:100 offset1:101
	ds_store_2addr_b64 v222, v[4:5], v[6:7] offset0:102 offset1:103
	ds_store_2addr_b64 v222, v[0:1], v[2:3] offset0:104 offset1:105
.LBB104_312:
	s_or_b32 exec_lo, exec_lo, s2
	s_delay_alu instid0(SALU_CYCLE_1)
	s_mov_b32 s2, exec_lo
	s_waitcnt lgkmcnt(0)
	s_waitcnt_vscnt null, 0x0
	s_barrier
	buffer_gl0_inv
	v_cmpx_lt_i32_e32 14, v228
	s_cbranch_execz .LBB104_314
; %bb.313:
	v_mul_f64 v[220:221], v[214:215], v[154:155]
	v_mul_f64 v[154:155], v[212:213], v[154:155]
	s_delay_alu instid0(VALU_DEP_2) | instskip(NEXT) | instid1(VALU_DEP_2)
	v_fma_f64 v[220:221], v[212:213], v[152:153], -v[220:221]
	v_fma_f64 v[154:155], v[214:215], v[152:153], v[154:155]
	ds_load_2addr_b64 v[212:215], v222 offset0:30 offset1:31
	s_waitcnt lgkmcnt(0)
	v_mul_f64 v[152:153], v[214:215], v[154:155]
	s_delay_alu instid0(VALU_DEP_1) | instskip(SKIP_1) | instid1(VALU_DEP_2)
	v_fma_f64 v[152:153], v[212:213], v[220:221], -v[152:153]
	v_mul_f64 v[212:213], v[212:213], v[154:155]
	v_add_f64 v[148:149], v[148:149], -v[152:153]
	s_delay_alu instid0(VALU_DEP_2) | instskip(NEXT) | instid1(VALU_DEP_1)
	v_fma_f64 v[212:213], v[214:215], v[220:221], v[212:213]
	v_add_f64 v[150:151], v[150:151], -v[212:213]
	ds_load_2addr_b64 v[212:215], v222 offset0:32 offset1:33
	s_waitcnt lgkmcnt(0)
	v_mul_f64 v[152:153], v[214:215], v[154:155]
	s_delay_alu instid0(VALU_DEP_1) | instskip(SKIP_1) | instid1(VALU_DEP_2)
	v_fma_f64 v[152:153], v[212:213], v[220:221], -v[152:153]
	v_mul_f64 v[212:213], v[212:213], v[154:155]
	v_add_f64 v[144:145], v[144:145], -v[152:153]
	s_delay_alu instid0(VALU_DEP_2) | instskip(NEXT) | instid1(VALU_DEP_1)
	v_fma_f64 v[212:213], v[214:215], v[220:221], v[212:213]
	v_add_f64 v[146:147], v[146:147], -v[212:213]
	;; [unrolled: 10-line block ×37, first 2 shown]
	ds_load_2addr_b64 v[212:215], v222 offset0:104 offset1:105
	s_waitcnt lgkmcnt(0)
	v_mul_f64 v[152:153], v[214:215], v[154:155]
	s_delay_alu instid0(VALU_DEP_1) | instskip(SKIP_1) | instid1(VALU_DEP_2)
	v_fma_f64 v[152:153], v[212:213], v[220:221], -v[152:153]
	v_mul_f64 v[212:213], v[212:213], v[154:155]
	v_add_f64 v[0:1], v[0:1], -v[152:153]
	s_delay_alu instid0(VALU_DEP_2) | instskip(SKIP_1) | instid1(VALU_DEP_2)
	v_fma_f64 v[212:213], v[214:215], v[220:221], v[212:213]
	v_dual_mov_b32 v152, v220 :: v_dual_mov_b32 v153, v221
	v_add_f64 v[2:3], v[2:3], -v[212:213]
.LBB104_314:
	s_or_b32 exec_lo, exec_lo, s2
	v_lshl_add_u32 v212, v228, 4, v222
	s_barrier
	buffer_gl0_inv
	v_mov_b32_e32 v220, 15
	ds_store_2addr_b64 v212, v[148:149], v[150:151] offset1:1
	s_waitcnt lgkmcnt(0)
	s_barrier
	buffer_gl0_inv
	ds_load_2addr_b64 v[212:215], v222 offset0:30 offset1:31
	s_cmp_lt_i32 s5, 17
	s_cbranch_scc1 .LBB104_317
; %bb.315:
	v_add3_u32 v221, v226, 0, 0x100
	v_mov_b32_e32 v220, 15
	s_mov_b32 s6, 16
	s_set_inst_prefetch_distance 0x1
	.p2align	6
.LBB104_316:                            ; =>This Inner Loop Header: Depth=1
	ds_load_2addr_b64 v[229:232], v221 offset1:1
	s_waitcnt lgkmcnt(1)
	v_cmp_gt_f64_e32 vcc_lo, 0, v[212:213]
	v_xor_b32_e32 v233, 0x80000000, v213
	v_cmp_gt_f64_e64 s2, 0, v[214:215]
	v_xor_b32_e32 v235, 0x80000000, v215
	v_add_nc_u32_e32 v221, 16, v221
	s_waitcnt lgkmcnt(0)
	v_cmp_gt_f64_e64 s3, 0, v[229:230]
	v_mov_b32_e32 v237, v229
	v_dual_mov_b32 v239, v231 :: v_dual_cndmask_b32 v234, v213, v233
	v_xor_b32_e32 v233, 0x80000000, v230
	v_cndmask_b32_e64 v236, v215, v235, s2
	v_xor_b32_e32 v235, 0x80000000, v232
	s_delay_alu instid0(VALU_DEP_3) | instskip(SKIP_2) | instid1(VALU_DEP_2)
	v_cndmask_b32_e64 v238, v230, v233, s3
	v_cmp_gt_f64_e64 s3, 0, v[231:232]
	v_cndmask_b32_e32 v233, v212, v212, vcc_lo
	v_cndmask_b32_e64 v240, v232, v235, s3
	v_cndmask_b32_e64 v235, v214, v214, s2
	s_delay_alu instid0(VALU_DEP_2) | instskip(NEXT) | instid1(VALU_DEP_2)
	v_add_f64 v[237:238], v[237:238], v[239:240]
	v_add_f64 v[233:234], v[233:234], v[235:236]
	s_delay_alu instid0(VALU_DEP_1) | instskip(SKIP_4) | instid1(SALU_CYCLE_1)
	v_cmp_lt_f64_e32 vcc_lo, v[233:234], v[237:238]
	v_dual_cndmask_b32 v214, v214, v231 :: v_dual_cndmask_b32 v213, v213, v230
	v_dual_cndmask_b32 v212, v212, v229 :: v_dual_cndmask_b32 v215, v215, v232
	v_cndmask_b32_e64 v220, v220, s6, vcc_lo
	s_add_i32 s6, s6, 1
	s_cmp_lg_u32 s5, s6
	s_cbranch_scc1 .LBB104_316
.LBB104_317:
	s_set_inst_prefetch_distance 0x2
	s_waitcnt lgkmcnt(0)
	v_cmp_eq_f64_e32 vcc_lo, 0, v[212:213]
	v_cmp_eq_f64_e64 s2, 0, v[214:215]
	s_delay_alu instid0(VALU_DEP_1) | instskip(NEXT) | instid1(SALU_CYCLE_1)
	s_and_b32 s2, vcc_lo, s2
	s_and_saveexec_b32 s3, s2
	s_delay_alu instid0(SALU_CYCLE_1)
	s_xor_b32 s2, exec_lo, s3
; %bb.318:
	v_cmp_ne_u32_e32 vcc_lo, 0, v225
	v_cndmask_b32_e32 v225, 16, v225, vcc_lo
; %bb.319:
	s_and_not1_saveexec_b32 s3, s2
	s_cbranch_execz .LBB104_325
; %bb.320:
	v_cmp_gt_f64_e32 vcc_lo, 0, v[212:213]
	v_cmp_gt_f64_e64 s2, 0, v[214:215]
	v_xor_b32_e32 v221, 0x80000000, v213
	v_xor_b32_e32 v229, 0x80000000, v215
	s_delay_alu instid0(VALU_DEP_2) | instskip(NEXT) | instid1(VALU_DEP_2)
	v_cndmask_b32_e32 v230, v213, v221, vcc_lo
	v_cndmask_b32_e64 v232, v215, v229, s2
	v_cndmask_b32_e32 v229, v212, v212, vcc_lo
	v_cndmask_b32_e64 v231, v214, v214, s2
	s_mov_b32 s2, exec_lo
	s_delay_alu instid0(VALU_DEP_1)
	v_cmpx_ngt_f64_e32 v[229:230], v[231:232]
	s_xor_b32 s2, exec_lo, s2
	s_cbranch_execz .LBB104_322
; %bb.321:
	v_div_scale_f64 v[229:230], null, v[214:215], v[214:215], v[212:213]
	v_div_scale_f64 v[235:236], vcc_lo, v[212:213], v[214:215], v[212:213]
	s_delay_alu instid0(VALU_DEP_2) | instskip(SKIP_2) | instid1(VALU_DEP_1)
	v_rcp_f64_e32 v[231:232], v[229:230]
	s_waitcnt_depctr 0xfff
	v_fma_f64 v[233:234], -v[229:230], v[231:232], 1.0
	v_fma_f64 v[231:232], v[231:232], v[233:234], v[231:232]
	s_delay_alu instid0(VALU_DEP_1) | instskip(NEXT) | instid1(VALU_DEP_1)
	v_fma_f64 v[233:234], -v[229:230], v[231:232], 1.0
	v_fma_f64 v[231:232], v[231:232], v[233:234], v[231:232]
	s_delay_alu instid0(VALU_DEP_1) | instskip(NEXT) | instid1(VALU_DEP_1)
	v_mul_f64 v[233:234], v[235:236], v[231:232]
	v_fma_f64 v[229:230], -v[229:230], v[233:234], v[235:236]
	s_delay_alu instid0(VALU_DEP_1) | instskip(NEXT) | instid1(VALU_DEP_1)
	v_div_fmas_f64 v[229:230], v[229:230], v[231:232], v[233:234]
	v_div_fixup_f64 v[229:230], v[229:230], v[214:215], v[212:213]
	s_delay_alu instid0(VALU_DEP_1) | instskip(NEXT) | instid1(VALU_DEP_1)
	v_fma_f64 v[212:213], v[212:213], v[229:230], v[214:215]
	v_div_scale_f64 v[214:215], null, v[212:213], v[212:213], 1.0
	s_delay_alu instid0(VALU_DEP_1) | instskip(SKIP_2) | instid1(VALU_DEP_1)
	v_rcp_f64_e32 v[231:232], v[214:215]
	s_waitcnt_depctr 0xfff
	v_fma_f64 v[233:234], -v[214:215], v[231:232], 1.0
	v_fma_f64 v[231:232], v[231:232], v[233:234], v[231:232]
	s_delay_alu instid0(VALU_DEP_1) | instskip(NEXT) | instid1(VALU_DEP_1)
	v_fma_f64 v[233:234], -v[214:215], v[231:232], 1.0
	v_fma_f64 v[231:232], v[231:232], v[233:234], v[231:232]
	v_div_scale_f64 v[233:234], vcc_lo, 1.0, v[212:213], 1.0
	s_delay_alu instid0(VALU_DEP_1) | instskip(NEXT) | instid1(VALU_DEP_1)
	v_mul_f64 v[235:236], v[233:234], v[231:232]
	v_fma_f64 v[214:215], -v[214:215], v[235:236], v[233:234]
	s_delay_alu instid0(VALU_DEP_1) | instskip(NEXT) | instid1(VALU_DEP_1)
	v_div_fmas_f64 v[214:215], v[214:215], v[231:232], v[235:236]
	v_div_fixup_f64 v[214:215], v[214:215], v[212:213], 1.0
	s_delay_alu instid0(VALU_DEP_1)
	v_mul_f64 v[212:213], v[229:230], v[214:215]
	v_xor_b32_e32 v215, 0x80000000, v215
.LBB104_322:
	s_and_not1_saveexec_b32 s2, s2
	s_cbranch_execz .LBB104_324
; %bb.323:
	s_delay_alu instid0(VALU_DEP_1) | instskip(SKIP_1) | instid1(VALU_DEP_2)
	v_div_scale_f64 v[229:230], null, v[212:213], v[212:213], v[214:215]
	v_div_scale_f64 v[235:236], vcc_lo, v[214:215], v[212:213], v[214:215]
	v_rcp_f64_e32 v[231:232], v[229:230]
	s_waitcnt_depctr 0xfff
	v_fma_f64 v[233:234], -v[229:230], v[231:232], 1.0
	s_delay_alu instid0(VALU_DEP_1) | instskip(NEXT) | instid1(VALU_DEP_1)
	v_fma_f64 v[231:232], v[231:232], v[233:234], v[231:232]
	v_fma_f64 v[233:234], -v[229:230], v[231:232], 1.0
	s_delay_alu instid0(VALU_DEP_1) | instskip(NEXT) | instid1(VALU_DEP_1)
	v_fma_f64 v[231:232], v[231:232], v[233:234], v[231:232]
	v_mul_f64 v[233:234], v[235:236], v[231:232]
	s_delay_alu instid0(VALU_DEP_1) | instskip(NEXT) | instid1(VALU_DEP_1)
	v_fma_f64 v[229:230], -v[229:230], v[233:234], v[235:236]
	v_div_fmas_f64 v[229:230], v[229:230], v[231:232], v[233:234]
	s_delay_alu instid0(VALU_DEP_1) | instskip(NEXT) | instid1(VALU_DEP_1)
	v_div_fixup_f64 v[229:230], v[229:230], v[212:213], v[214:215]
	v_fma_f64 v[212:213], v[214:215], v[229:230], v[212:213]
	s_delay_alu instid0(VALU_DEP_1) | instskip(NEXT) | instid1(VALU_DEP_1)
	v_div_scale_f64 v[214:215], null, v[212:213], v[212:213], 1.0
	v_rcp_f64_e32 v[231:232], v[214:215]
	s_waitcnt_depctr 0xfff
	v_fma_f64 v[233:234], -v[214:215], v[231:232], 1.0
	s_delay_alu instid0(VALU_DEP_1) | instskip(NEXT) | instid1(VALU_DEP_1)
	v_fma_f64 v[231:232], v[231:232], v[233:234], v[231:232]
	v_fma_f64 v[233:234], -v[214:215], v[231:232], 1.0
	s_delay_alu instid0(VALU_DEP_1) | instskip(SKIP_1) | instid1(VALU_DEP_1)
	v_fma_f64 v[231:232], v[231:232], v[233:234], v[231:232]
	v_div_scale_f64 v[233:234], vcc_lo, 1.0, v[212:213], 1.0
	v_mul_f64 v[235:236], v[233:234], v[231:232]
	s_delay_alu instid0(VALU_DEP_1) | instskip(NEXT) | instid1(VALU_DEP_1)
	v_fma_f64 v[214:215], -v[214:215], v[235:236], v[233:234]
	v_div_fmas_f64 v[214:215], v[214:215], v[231:232], v[235:236]
	s_delay_alu instid0(VALU_DEP_1) | instskip(NEXT) | instid1(VALU_DEP_1)
	v_div_fixup_f64 v[212:213], v[214:215], v[212:213], 1.0
	v_mul_f64 v[214:215], v[229:230], -v[212:213]
.LBB104_324:
	s_or_b32 exec_lo, exec_lo, s2
.LBB104_325:
	s_delay_alu instid0(SALU_CYCLE_1) | instskip(NEXT) | instid1(SALU_CYCLE_1)
	s_or_b32 exec_lo, exec_lo, s3
	s_mov_b32 s2, exec_lo
	v_cmpx_ne_u32_e64 v228, v220
	s_xor_b32 s2, exec_lo, s2
	s_cbranch_execz .LBB104_331
; %bb.326:
	s_mov_b32 s3, exec_lo
	v_cmpx_eq_u32_e32 15, v228
	s_cbranch_execz .LBB104_330
; %bb.327:
	v_cmp_ne_u32_e32 vcc_lo, 15, v220
	s_xor_b32 s6, s4, -1
	s_delay_alu instid0(SALU_CYCLE_1) | instskip(NEXT) | instid1(SALU_CYCLE_1)
	s_and_b32 s7, s6, vcc_lo
	s_and_saveexec_b32 s6, s7
	s_cbranch_execz .LBB104_329
; %bb.328:
	v_ashrrev_i32_e32 v221, 31, v220
	s_delay_alu instid0(VALU_DEP_1) | instskip(NEXT) | instid1(VALU_DEP_1)
	v_lshlrev_b64 v[227:228], 2, v[220:221]
	v_add_co_u32 v227, vcc_lo, v218, v227
	s_delay_alu instid0(VALU_DEP_2)
	v_add_co_ci_u32_e32 v228, vcc_lo, v219, v228, vcc_lo
	s_clause 0x1
	flat_load_b32 v221, v[227:228]
	flat_load_b32 v229, v[218:219] offset:60
	s_waitcnt vmcnt(1) lgkmcnt(1)
	flat_store_b32 v[218:219], v221 offset:60
	s_waitcnt vmcnt(0) lgkmcnt(1)
	flat_store_b32 v[227:228], v229
.LBB104_329:
	s_or_b32 exec_lo, exec_lo, s6
	v_mov_b32_e32 v228, v220
	v_mov_b32_e32 v227, v220
.LBB104_330:
	s_or_b32 exec_lo, exec_lo, s3
.LBB104_331:
	s_and_not1_saveexec_b32 s2, s2
	s_cbranch_execz .LBB104_333
; %bb.332:
	v_mov_b32_e32 v228, 15
	ds_store_2addr_b64 v222, v[144:145], v[146:147] offset0:32 offset1:33
	ds_store_2addr_b64 v222, v[140:141], v[142:143] offset0:34 offset1:35
	;; [unrolled: 1-line block ×37, first 2 shown]
.LBB104_333:
	s_or_b32 exec_lo, exec_lo, s2
	s_delay_alu instid0(SALU_CYCLE_1)
	s_mov_b32 s2, exec_lo
	s_waitcnt lgkmcnt(0)
	s_waitcnt_vscnt null, 0x0
	s_barrier
	buffer_gl0_inv
	v_cmpx_lt_i32_e32 15, v228
	s_cbranch_execz .LBB104_335
; %bb.334:
	v_mul_f64 v[220:221], v[214:215], v[150:151]
	v_mul_f64 v[150:151], v[212:213], v[150:151]
	s_delay_alu instid0(VALU_DEP_2) | instskip(NEXT) | instid1(VALU_DEP_2)
	v_fma_f64 v[220:221], v[212:213], v[148:149], -v[220:221]
	v_fma_f64 v[150:151], v[214:215], v[148:149], v[150:151]
	ds_load_2addr_b64 v[212:215], v222 offset0:32 offset1:33
	s_waitcnt lgkmcnt(0)
	v_mul_f64 v[148:149], v[214:215], v[150:151]
	s_delay_alu instid0(VALU_DEP_1) | instskip(SKIP_1) | instid1(VALU_DEP_2)
	v_fma_f64 v[148:149], v[212:213], v[220:221], -v[148:149]
	v_mul_f64 v[212:213], v[212:213], v[150:151]
	v_add_f64 v[144:145], v[144:145], -v[148:149]
	s_delay_alu instid0(VALU_DEP_2) | instskip(NEXT) | instid1(VALU_DEP_1)
	v_fma_f64 v[212:213], v[214:215], v[220:221], v[212:213]
	v_add_f64 v[146:147], v[146:147], -v[212:213]
	ds_load_2addr_b64 v[212:215], v222 offset0:34 offset1:35
	s_waitcnt lgkmcnt(0)
	v_mul_f64 v[148:149], v[214:215], v[150:151]
	s_delay_alu instid0(VALU_DEP_1) | instskip(SKIP_1) | instid1(VALU_DEP_2)
	v_fma_f64 v[148:149], v[212:213], v[220:221], -v[148:149]
	v_mul_f64 v[212:213], v[212:213], v[150:151]
	v_add_f64 v[140:141], v[140:141], -v[148:149]
	s_delay_alu instid0(VALU_DEP_2) | instskip(NEXT) | instid1(VALU_DEP_1)
	v_fma_f64 v[212:213], v[214:215], v[220:221], v[212:213]
	v_add_f64 v[142:143], v[142:143], -v[212:213]
	;; [unrolled: 10-line block ×36, first 2 shown]
	ds_load_2addr_b64 v[212:215], v222 offset0:104 offset1:105
	s_waitcnt lgkmcnt(0)
	v_mul_f64 v[148:149], v[214:215], v[150:151]
	s_delay_alu instid0(VALU_DEP_1) | instskip(SKIP_1) | instid1(VALU_DEP_2)
	v_fma_f64 v[148:149], v[212:213], v[220:221], -v[148:149]
	v_mul_f64 v[212:213], v[212:213], v[150:151]
	v_add_f64 v[0:1], v[0:1], -v[148:149]
	s_delay_alu instid0(VALU_DEP_2) | instskip(SKIP_1) | instid1(VALU_DEP_2)
	v_fma_f64 v[212:213], v[214:215], v[220:221], v[212:213]
	v_dual_mov_b32 v148, v220 :: v_dual_mov_b32 v149, v221
	v_add_f64 v[2:3], v[2:3], -v[212:213]
.LBB104_335:
	s_or_b32 exec_lo, exec_lo, s2
	v_lshl_add_u32 v212, v228, 4, v222
	s_barrier
	buffer_gl0_inv
	v_mov_b32_e32 v220, 16
	ds_store_2addr_b64 v212, v[144:145], v[146:147] offset1:1
	s_waitcnt lgkmcnt(0)
	s_barrier
	buffer_gl0_inv
	ds_load_2addr_b64 v[212:215], v222 offset0:32 offset1:33
	s_cmp_lt_i32 s5, 18
	s_cbranch_scc1 .LBB104_338
; %bb.336:
	v_add3_u32 v221, v226, 0, 0x110
	v_mov_b32_e32 v220, 16
	s_mov_b32 s6, 17
	s_set_inst_prefetch_distance 0x1
	.p2align	6
.LBB104_337:                            ; =>This Inner Loop Header: Depth=1
	ds_load_2addr_b64 v[229:232], v221 offset1:1
	s_waitcnt lgkmcnt(1)
	v_cmp_gt_f64_e32 vcc_lo, 0, v[212:213]
	v_xor_b32_e32 v233, 0x80000000, v213
	v_cmp_gt_f64_e64 s2, 0, v[214:215]
	v_xor_b32_e32 v235, 0x80000000, v215
	v_add_nc_u32_e32 v221, 16, v221
	s_waitcnt lgkmcnt(0)
	v_cmp_gt_f64_e64 s3, 0, v[229:230]
	v_mov_b32_e32 v237, v229
	v_dual_mov_b32 v239, v231 :: v_dual_cndmask_b32 v234, v213, v233
	v_xor_b32_e32 v233, 0x80000000, v230
	v_cndmask_b32_e64 v236, v215, v235, s2
	v_xor_b32_e32 v235, 0x80000000, v232
	s_delay_alu instid0(VALU_DEP_3) | instskip(SKIP_2) | instid1(VALU_DEP_2)
	v_cndmask_b32_e64 v238, v230, v233, s3
	v_cmp_gt_f64_e64 s3, 0, v[231:232]
	v_cndmask_b32_e32 v233, v212, v212, vcc_lo
	v_cndmask_b32_e64 v240, v232, v235, s3
	v_cndmask_b32_e64 v235, v214, v214, s2
	s_delay_alu instid0(VALU_DEP_2) | instskip(NEXT) | instid1(VALU_DEP_2)
	v_add_f64 v[237:238], v[237:238], v[239:240]
	v_add_f64 v[233:234], v[233:234], v[235:236]
	s_delay_alu instid0(VALU_DEP_1) | instskip(SKIP_4) | instid1(SALU_CYCLE_1)
	v_cmp_lt_f64_e32 vcc_lo, v[233:234], v[237:238]
	v_dual_cndmask_b32 v214, v214, v231 :: v_dual_cndmask_b32 v213, v213, v230
	v_dual_cndmask_b32 v212, v212, v229 :: v_dual_cndmask_b32 v215, v215, v232
	v_cndmask_b32_e64 v220, v220, s6, vcc_lo
	s_add_i32 s6, s6, 1
	s_cmp_lg_u32 s5, s6
	s_cbranch_scc1 .LBB104_337
.LBB104_338:
	s_set_inst_prefetch_distance 0x2
	s_waitcnt lgkmcnt(0)
	v_cmp_eq_f64_e32 vcc_lo, 0, v[212:213]
	v_cmp_eq_f64_e64 s2, 0, v[214:215]
	s_delay_alu instid0(VALU_DEP_1) | instskip(NEXT) | instid1(SALU_CYCLE_1)
	s_and_b32 s2, vcc_lo, s2
	s_and_saveexec_b32 s3, s2
	s_delay_alu instid0(SALU_CYCLE_1)
	s_xor_b32 s2, exec_lo, s3
; %bb.339:
	v_cmp_ne_u32_e32 vcc_lo, 0, v225
	v_cndmask_b32_e32 v225, 17, v225, vcc_lo
; %bb.340:
	s_and_not1_saveexec_b32 s3, s2
	s_cbranch_execz .LBB104_346
; %bb.341:
	v_cmp_gt_f64_e32 vcc_lo, 0, v[212:213]
	v_cmp_gt_f64_e64 s2, 0, v[214:215]
	v_xor_b32_e32 v221, 0x80000000, v213
	v_xor_b32_e32 v229, 0x80000000, v215
	s_delay_alu instid0(VALU_DEP_2) | instskip(NEXT) | instid1(VALU_DEP_2)
	v_cndmask_b32_e32 v230, v213, v221, vcc_lo
	v_cndmask_b32_e64 v232, v215, v229, s2
	v_cndmask_b32_e32 v229, v212, v212, vcc_lo
	v_cndmask_b32_e64 v231, v214, v214, s2
	s_mov_b32 s2, exec_lo
	s_delay_alu instid0(VALU_DEP_1)
	v_cmpx_ngt_f64_e32 v[229:230], v[231:232]
	s_xor_b32 s2, exec_lo, s2
	s_cbranch_execz .LBB104_343
; %bb.342:
	v_div_scale_f64 v[229:230], null, v[214:215], v[214:215], v[212:213]
	v_div_scale_f64 v[235:236], vcc_lo, v[212:213], v[214:215], v[212:213]
	s_delay_alu instid0(VALU_DEP_2) | instskip(SKIP_2) | instid1(VALU_DEP_1)
	v_rcp_f64_e32 v[231:232], v[229:230]
	s_waitcnt_depctr 0xfff
	v_fma_f64 v[233:234], -v[229:230], v[231:232], 1.0
	v_fma_f64 v[231:232], v[231:232], v[233:234], v[231:232]
	s_delay_alu instid0(VALU_DEP_1) | instskip(NEXT) | instid1(VALU_DEP_1)
	v_fma_f64 v[233:234], -v[229:230], v[231:232], 1.0
	v_fma_f64 v[231:232], v[231:232], v[233:234], v[231:232]
	s_delay_alu instid0(VALU_DEP_1) | instskip(NEXT) | instid1(VALU_DEP_1)
	v_mul_f64 v[233:234], v[235:236], v[231:232]
	v_fma_f64 v[229:230], -v[229:230], v[233:234], v[235:236]
	s_delay_alu instid0(VALU_DEP_1) | instskip(NEXT) | instid1(VALU_DEP_1)
	v_div_fmas_f64 v[229:230], v[229:230], v[231:232], v[233:234]
	v_div_fixup_f64 v[229:230], v[229:230], v[214:215], v[212:213]
	s_delay_alu instid0(VALU_DEP_1) | instskip(NEXT) | instid1(VALU_DEP_1)
	v_fma_f64 v[212:213], v[212:213], v[229:230], v[214:215]
	v_div_scale_f64 v[214:215], null, v[212:213], v[212:213], 1.0
	s_delay_alu instid0(VALU_DEP_1) | instskip(SKIP_2) | instid1(VALU_DEP_1)
	v_rcp_f64_e32 v[231:232], v[214:215]
	s_waitcnt_depctr 0xfff
	v_fma_f64 v[233:234], -v[214:215], v[231:232], 1.0
	v_fma_f64 v[231:232], v[231:232], v[233:234], v[231:232]
	s_delay_alu instid0(VALU_DEP_1) | instskip(NEXT) | instid1(VALU_DEP_1)
	v_fma_f64 v[233:234], -v[214:215], v[231:232], 1.0
	v_fma_f64 v[231:232], v[231:232], v[233:234], v[231:232]
	v_div_scale_f64 v[233:234], vcc_lo, 1.0, v[212:213], 1.0
	s_delay_alu instid0(VALU_DEP_1) | instskip(NEXT) | instid1(VALU_DEP_1)
	v_mul_f64 v[235:236], v[233:234], v[231:232]
	v_fma_f64 v[214:215], -v[214:215], v[235:236], v[233:234]
	s_delay_alu instid0(VALU_DEP_1) | instskip(NEXT) | instid1(VALU_DEP_1)
	v_div_fmas_f64 v[214:215], v[214:215], v[231:232], v[235:236]
	v_div_fixup_f64 v[214:215], v[214:215], v[212:213], 1.0
	s_delay_alu instid0(VALU_DEP_1)
	v_mul_f64 v[212:213], v[229:230], v[214:215]
	v_xor_b32_e32 v215, 0x80000000, v215
.LBB104_343:
	s_and_not1_saveexec_b32 s2, s2
	s_cbranch_execz .LBB104_345
; %bb.344:
	s_delay_alu instid0(VALU_DEP_1) | instskip(SKIP_1) | instid1(VALU_DEP_2)
	v_div_scale_f64 v[229:230], null, v[212:213], v[212:213], v[214:215]
	v_div_scale_f64 v[235:236], vcc_lo, v[214:215], v[212:213], v[214:215]
	v_rcp_f64_e32 v[231:232], v[229:230]
	s_waitcnt_depctr 0xfff
	v_fma_f64 v[233:234], -v[229:230], v[231:232], 1.0
	s_delay_alu instid0(VALU_DEP_1) | instskip(NEXT) | instid1(VALU_DEP_1)
	v_fma_f64 v[231:232], v[231:232], v[233:234], v[231:232]
	v_fma_f64 v[233:234], -v[229:230], v[231:232], 1.0
	s_delay_alu instid0(VALU_DEP_1) | instskip(NEXT) | instid1(VALU_DEP_1)
	v_fma_f64 v[231:232], v[231:232], v[233:234], v[231:232]
	v_mul_f64 v[233:234], v[235:236], v[231:232]
	s_delay_alu instid0(VALU_DEP_1) | instskip(NEXT) | instid1(VALU_DEP_1)
	v_fma_f64 v[229:230], -v[229:230], v[233:234], v[235:236]
	v_div_fmas_f64 v[229:230], v[229:230], v[231:232], v[233:234]
	s_delay_alu instid0(VALU_DEP_1) | instskip(NEXT) | instid1(VALU_DEP_1)
	v_div_fixup_f64 v[229:230], v[229:230], v[212:213], v[214:215]
	v_fma_f64 v[212:213], v[214:215], v[229:230], v[212:213]
	s_delay_alu instid0(VALU_DEP_1) | instskip(NEXT) | instid1(VALU_DEP_1)
	v_div_scale_f64 v[214:215], null, v[212:213], v[212:213], 1.0
	v_rcp_f64_e32 v[231:232], v[214:215]
	s_waitcnt_depctr 0xfff
	v_fma_f64 v[233:234], -v[214:215], v[231:232], 1.0
	s_delay_alu instid0(VALU_DEP_1) | instskip(NEXT) | instid1(VALU_DEP_1)
	v_fma_f64 v[231:232], v[231:232], v[233:234], v[231:232]
	v_fma_f64 v[233:234], -v[214:215], v[231:232], 1.0
	s_delay_alu instid0(VALU_DEP_1) | instskip(SKIP_1) | instid1(VALU_DEP_1)
	v_fma_f64 v[231:232], v[231:232], v[233:234], v[231:232]
	v_div_scale_f64 v[233:234], vcc_lo, 1.0, v[212:213], 1.0
	v_mul_f64 v[235:236], v[233:234], v[231:232]
	s_delay_alu instid0(VALU_DEP_1) | instskip(NEXT) | instid1(VALU_DEP_1)
	v_fma_f64 v[214:215], -v[214:215], v[235:236], v[233:234]
	v_div_fmas_f64 v[214:215], v[214:215], v[231:232], v[235:236]
	s_delay_alu instid0(VALU_DEP_1) | instskip(NEXT) | instid1(VALU_DEP_1)
	v_div_fixup_f64 v[212:213], v[214:215], v[212:213], 1.0
	v_mul_f64 v[214:215], v[229:230], -v[212:213]
.LBB104_345:
	s_or_b32 exec_lo, exec_lo, s2
.LBB104_346:
	s_delay_alu instid0(SALU_CYCLE_1) | instskip(NEXT) | instid1(SALU_CYCLE_1)
	s_or_b32 exec_lo, exec_lo, s3
	s_mov_b32 s2, exec_lo
	v_cmpx_ne_u32_e64 v228, v220
	s_xor_b32 s2, exec_lo, s2
	s_cbranch_execz .LBB104_352
; %bb.347:
	s_mov_b32 s3, exec_lo
	v_cmpx_eq_u32_e32 16, v228
	s_cbranch_execz .LBB104_351
; %bb.348:
	v_cmp_ne_u32_e32 vcc_lo, 16, v220
	s_xor_b32 s6, s4, -1
	s_delay_alu instid0(SALU_CYCLE_1) | instskip(NEXT) | instid1(SALU_CYCLE_1)
	s_and_b32 s7, s6, vcc_lo
	s_and_saveexec_b32 s6, s7
	s_cbranch_execz .LBB104_350
; %bb.349:
	v_ashrrev_i32_e32 v221, 31, v220
	s_delay_alu instid0(VALU_DEP_1) | instskip(NEXT) | instid1(VALU_DEP_1)
	v_lshlrev_b64 v[227:228], 2, v[220:221]
	v_add_co_u32 v227, vcc_lo, v218, v227
	s_delay_alu instid0(VALU_DEP_2)
	v_add_co_ci_u32_e32 v228, vcc_lo, v219, v228, vcc_lo
	s_clause 0x1
	flat_load_b32 v221, v[227:228]
	flat_load_b32 v229, v[218:219] offset:64
	s_waitcnt vmcnt(1) lgkmcnt(1)
	flat_store_b32 v[218:219], v221 offset:64
	s_waitcnt vmcnt(0) lgkmcnt(1)
	flat_store_b32 v[227:228], v229
.LBB104_350:
	s_or_b32 exec_lo, exec_lo, s6
	v_mov_b32_e32 v228, v220
	v_mov_b32_e32 v227, v220
.LBB104_351:
	s_or_b32 exec_lo, exec_lo, s3
.LBB104_352:
	s_and_not1_saveexec_b32 s2, s2
	s_cbranch_execz .LBB104_354
; %bb.353:
	v_mov_b32_e32 v228, 16
	ds_store_2addr_b64 v222, v[140:141], v[142:143] offset0:34 offset1:35
	ds_store_2addr_b64 v222, v[136:137], v[138:139] offset0:36 offset1:37
	ds_store_2addr_b64 v222, v[132:133], v[134:135] offset0:38 offset1:39
	ds_store_2addr_b64 v222, v[128:129], v[130:131] offset0:40 offset1:41
	ds_store_2addr_b64 v222, v[124:125], v[126:127] offset0:42 offset1:43
	ds_store_2addr_b64 v222, v[120:121], v[122:123] offset0:44 offset1:45
	ds_store_2addr_b64 v222, v[116:117], v[118:119] offset0:46 offset1:47
	ds_store_2addr_b64 v222, v[112:113], v[114:115] offset0:48 offset1:49
	ds_store_2addr_b64 v222, v[108:109], v[110:111] offset0:50 offset1:51
	ds_store_2addr_b64 v222, v[104:105], v[106:107] offset0:52 offset1:53
	ds_store_2addr_b64 v222, v[100:101], v[102:103] offset0:54 offset1:55
	ds_store_2addr_b64 v222, v[96:97], v[98:99] offset0:56 offset1:57
	ds_store_2addr_b64 v222, v[92:93], v[94:95] offset0:58 offset1:59
	ds_store_2addr_b64 v222, v[88:89], v[90:91] offset0:60 offset1:61
	ds_store_2addr_b64 v222, v[84:85], v[86:87] offset0:62 offset1:63
	ds_store_2addr_b64 v222, v[80:81], v[82:83] offset0:64 offset1:65
	ds_store_2addr_b64 v222, v[76:77], v[78:79] offset0:66 offset1:67
	ds_store_2addr_b64 v222, v[72:73], v[74:75] offset0:68 offset1:69
	ds_store_2addr_b64 v222, v[68:69], v[70:71] offset0:70 offset1:71
	ds_store_2addr_b64 v222, v[64:65], v[66:67] offset0:72 offset1:73
	ds_store_2addr_b64 v222, v[60:61], v[62:63] offset0:74 offset1:75
	ds_store_2addr_b64 v222, v[56:57], v[58:59] offset0:76 offset1:77
	ds_store_2addr_b64 v222, v[52:53], v[54:55] offset0:78 offset1:79
	ds_store_2addr_b64 v222, v[48:49], v[50:51] offset0:80 offset1:81
	ds_store_2addr_b64 v222, v[44:45], v[46:47] offset0:82 offset1:83
	ds_store_2addr_b64 v222, v[40:41], v[42:43] offset0:84 offset1:85
	ds_store_2addr_b64 v222, v[36:37], v[38:39] offset0:86 offset1:87
	ds_store_2addr_b64 v222, v[32:33], v[34:35] offset0:88 offset1:89
	ds_store_2addr_b64 v222, v[28:29], v[30:31] offset0:90 offset1:91
	ds_store_2addr_b64 v222, v[24:25], v[26:27] offset0:92 offset1:93
	ds_store_2addr_b64 v222, v[20:21], v[22:23] offset0:94 offset1:95
	ds_store_2addr_b64 v222, v[16:17], v[18:19] offset0:96 offset1:97
	ds_store_2addr_b64 v222, v[12:13], v[14:15] offset0:98 offset1:99
	ds_store_2addr_b64 v222, v[8:9], v[10:11] offset0:100 offset1:101
	ds_store_2addr_b64 v222, v[4:5], v[6:7] offset0:102 offset1:103
	ds_store_2addr_b64 v222, v[0:1], v[2:3] offset0:104 offset1:105
.LBB104_354:
	s_or_b32 exec_lo, exec_lo, s2
	s_delay_alu instid0(SALU_CYCLE_1)
	s_mov_b32 s2, exec_lo
	s_waitcnt lgkmcnt(0)
	s_waitcnt_vscnt null, 0x0
	s_barrier
	buffer_gl0_inv
	v_cmpx_lt_i32_e32 16, v228
	s_cbranch_execz .LBB104_356
; %bb.355:
	v_mul_f64 v[220:221], v[214:215], v[146:147]
	v_mul_f64 v[146:147], v[212:213], v[146:147]
	s_delay_alu instid0(VALU_DEP_2) | instskip(NEXT) | instid1(VALU_DEP_2)
	v_fma_f64 v[220:221], v[212:213], v[144:145], -v[220:221]
	v_fma_f64 v[146:147], v[214:215], v[144:145], v[146:147]
	ds_load_2addr_b64 v[212:215], v222 offset0:34 offset1:35
	s_waitcnt lgkmcnt(0)
	v_mul_f64 v[144:145], v[214:215], v[146:147]
	s_delay_alu instid0(VALU_DEP_1) | instskip(SKIP_1) | instid1(VALU_DEP_2)
	v_fma_f64 v[144:145], v[212:213], v[220:221], -v[144:145]
	v_mul_f64 v[212:213], v[212:213], v[146:147]
	v_add_f64 v[140:141], v[140:141], -v[144:145]
	s_delay_alu instid0(VALU_DEP_2) | instskip(NEXT) | instid1(VALU_DEP_1)
	v_fma_f64 v[212:213], v[214:215], v[220:221], v[212:213]
	v_add_f64 v[142:143], v[142:143], -v[212:213]
	ds_load_2addr_b64 v[212:215], v222 offset0:36 offset1:37
	s_waitcnt lgkmcnt(0)
	v_mul_f64 v[144:145], v[214:215], v[146:147]
	s_delay_alu instid0(VALU_DEP_1) | instskip(SKIP_1) | instid1(VALU_DEP_2)
	v_fma_f64 v[144:145], v[212:213], v[220:221], -v[144:145]
	v_mul_f64 v[212:213], v[212:213], v[146:147]
	v_add_f64 v[136:137], v[136:137], -v[144:145]
	s_delay_alu instid0(VALU_DEP_2) | instskip(NEXT) | instid1(VALU_DEP_1)
	v_fma_f64 v[212:213], v[214:215], v[220:221], v[212:213]
	v_add_f64 v[138:139], v[138:139], -v[212:213]
	;; [unrolled: 10-line block ×35, first 2 shown]
	ds_load_2addr_b64 v[212:215], v222 offset0:104 offset1:105
	s_waitcnt lgkmcnt(0)
	v_mul_f64 v[144:145], v[214:215], v[146:147]
	s_delay_alu instid0(VALU_DEP_1) | instskip(SKIP_1) | instid1(VALU_DEP_2)
	v_fma_f64 v[144:145], v[212:213], v[220:221], -v[144:145]
	v_mul_f64 v[212:213], v[212:213], v[146:147]
	v_add_f64 v[0:1], v[0:1], -v[144:145]
	s_delay_alu instid0(VALU_DEP_2) | instskip(SKIP_1) | instid1(VALU_DEP_2)
	v_fma_f64 v[212:213], v[214:215], v[220:221], v[212:213]
	v_dual_mov_b32 v144, v220 :: v_dual_mov_b32 v145, v221
	v_add_f64 v[2:3], v[2:3], -v[212:213]
.LBB104_356:
	s_or_b32 exec_lo, exec_lo, s2
	v_lshl_add_u32 v212, v228, 4, v222
	s_barrier
	buffer_gl0_inv
	v_mov_b32_e32 v220, 17
	ds_store_2addr_b64 v212, v[140:141], v[142:143] offset1:1
	s_waitcnt lgkmcnt(0)
	s_barrier
	buffer_gl0_inv
	ds_load_2addr_b64 v[212:215], v222 offset0:34 offset1:35
	s_cmp_lt_i32 s5, 19
	s_cbranch_scc1 .LBB104_359
; %bb.357:
	v_add3_u32 v221, v226, 0, 0x120
	v_mov_b32_e32 v220, 17
	s_mov_b32 s6, 18
	s_set_inst_prefetch_distance 0x1
	.p2align	6
.LBB104_358:                            ; =>This Inner Loop Header: Depth=1
	ds_load_2addr_b64 v[229:232], v221 offset1:1
	s_waitcnt lgkmcnt(1)
	v_cmp_gt_f64_e32 vcc_lo, 0, v[212:213]
	v_xor_b32_e32 v233, 0x80000000, v213
	v_cmp_gt_f64_e64 s2, 0, v[214:215]
	v_xor_b32_e32 v235, 0x80000000, v215
	v_add_nc_u32_e32 v221, 16, v221
	s_waitcnt lgkmcnt(0)
	v_cmp_gt_f64_e64 s3, 0, v[229:230]
	v_mov_b32_e32 v237, v229
	v_dual_mov_b32 v239, v231 :: v_dual_cndmask_b32 v234, v213, v233
	v_xor_b32_e32 v233, 0x80000000, v230
	v_cndmask_b32_e64 v236, v215, v235, s2
	v_xor_b32_e32 v235, 0x80000000, v232
	s_delay_alu instid0(VALU_DEP_3) | instskip(SKIP_2) | instid1(VALU_DEP_2)
	v_cndmask_b32_e64 v238, v230, v233, s3
	v_cmp_gt_f64_e64 s3, 0, v[231:232]
	v_cndmask_b32_e32 v233, v212, v212, vcc_lo
	v_cndmask_b32_e64 v240, v232, v235, s3
	v_cndmask_b32_e64 v235, v214, v214, s2
	s_delay_alu instid0(VALU_DEP_2) | instskip(NEXT) | instid1(VALU_DEP_2)
	v_add_f64 v[237:238], v[237:238], v[239:240]
	v_add_f64 v[233:234], v[233:234], v[235:236]
	s_delay_alu instid0(VALU_DEP_1) | instskip(SKIP_4) | instid1(SALU_CYCLE_1)
	v_cmp_lt_f64_e32 vcc_lo, v[233:234], v[237:238]
	v_dual_cndmask_b32 v214, v214, v231 :: v_dual_cndmask_b32 v213, v213, v230
	v_dual_cndmask_b32 v212, v212, v229 :: v_dual_cndmask_b32 v215, v215, v232
	v_cndmask_b32_e64 v220, v220, s6, vcc_lo
	s_add_i32 s6, s6, 1
	s_cmp_lg_u32 s5, s6
	s_cbranch_scc1 .LBB104_358
.LBB104_359:
	s_set_inst_prefetch_distance 0x2
	s_waitcnt lgkmcnt(0)
	v_cmp_eq_f64_e32 vcc_lo, 0, v[212:213]
	v_cmp_eq_f64_e64 s2, 0, v[214:215]
	s_delay_alu instid0(VALU_DEP_1) | instskip(NEXT) | instid1(SALU_CYCLE_1)
	s_and_b32 s2, vcc_lo, s2
	s_and_saveexec_b32 s3, s2
	s_delay_alu instid0(SALU_CYCLE_1)
	s_xor_b32 s2, exec_lo, s3
; %bb.360:
	v_cmp_ne_u32_e32 vcc_lo, 0, v225
	v_cndmask_b32_e32 v225, 18, v225, vcc_lo
; %bb.361:
	s_and_not1_saveexec_b32 s3, s2
	s_cbranch_execz .LBB104_367
; %bb.362:
	v_cmp_gt_f64_e32 vcc_lo, 0, v[212:213]
	v_cmp_gt_f64_e64 s2, 0, v[214:215]
	v_xor_b32_e32 v221, 0x80000000, v213
	v_xor_b32_e32 v229, 0x80000000, v215
	s_delay_alu instid0(VALU_DEP_2) | instskip(NEXT) | instid1(VALU_DEP_2)
	v_cndmask_b32_e32 v230, v213, v221, vcc_lo
	v_cndmask_b32_e64 v232, v215, v229, s2
	v_cndmask_b32_e32 v229, v212, v212, vcc_lo
	v_cndmask_b32_e64 v231, v214, v214, s2
	s_mov_b32 s2, exec_lo
	s_delay_alu instid0(VALU_DEP_1)
	v_cmpx_ngt_f64_e32 v[229:230], v[231:232]
	s_xor_b32 s2, exec_lo, s2
	s_cbranch_execz .LBB104_364
; %bb.363:
	v_div_scale_f64 v[229:230], null, v[214:215], v[214:215], v[212:213]
	v_div_scale_f64 v[235:236], vcc_lo, v[212:213], v[214:215], v[212:213]
	s_delay_alu instid0(VALU_DEP_2) | instskip(SKIP_2) | instid1(VALU_DEP_1)
	v_rcp_f64_e32 v[231:232], v[229:230]
	s_waitcnt_depctr 0xfff
	v_fma_f64 v[233:234], -v[229:230], v[231:232], 1.0
	v_fma_f64 v[231:232], v[231:232], v[233:234], v[231:232]
	s_delay_alu instid0(VALU_DEP_1) | instskip(NEXT) | instid1(VALU_DEP_1)
	v_fma_f64 v[233:234], -v[229:230], v[231:232], 1.0
	v_fma_f64 v[231:232], v[231:232], v[233:234], v[231:232]
	s_delay_alu instid0(VALU_DEP_1) | instskip(NEXT) | instid1(VALU_DEP_1)
	v_mul_f64 v[233:234], v[235:236], v[231:232]
	v_fma_f64 v[229:230], -v[229:230], v[233:234], v[235:236]
	s_delay_alu instid0(VALU_DEP_1) | instskip(NEXT) | instid1(VALU_DEP_1)
	v_div_fmas_f64 v[229:230], v[229:230], v[231:232], v[233:234]
	v_div_fixup_f64 v[229:230], v[229:230], v[214:215], v[212:213]
	s_delay_alu instid0(VALU_DEP_1) | instskip(NEXT) | instid1(VALU_DEP_1)
	v_fma_f64 v[212:213], v[212:213], v[229:230], v[214:215]
	v_div_scale_f64 v[214:215], null, v[212:213], v[212:213], 1.0
	s_delay_alu instid0(VALU_DEP_1) | instskip(SKIP_2) | instid1(VALU_DEP_1)
	v_rcp_f64_e32 v[231:232], v[214:215]
	s_waitcnt_depctr 0xfff
	v_fma_f64 v[233:234], -v[214:215], v[231:232], 1.0
	v_fma_f64 v[231:232], v[231:232], v[233:234], v[231:232]
	s_delay_alu instid0(VALU_DEP_1) | instskip(NEXT) | instid1(VALU_DEP_1)
	v_fma_f64 v[233:234], -v[214:215], v[231:232], 1.0
	v_fma_f64 v[231:232], v[231:232], v[233:234], v[231:232]
	v_div_scale_f64 v[233:234], vcc_lo, 1.0, v[212:213], 1.0
	s_delay_alu instid0(VALU_DEP_1) | instskip(NEXT) | instid1(VALU_DEP_1)
	v_mul_f64 v[235:236], v[233:234], v[231:232]
	v_fma_f64 v[214:215], -v[214:215], v[235:236], v[233:234]
	s_delay_alu instid0(VALU_DEP_1) | instskip(NEXT) | instid1(VALU_DEP_1)
	v_div_fmas_f64 v[214:215], v[214:215], v[231:232], v[235:236]
	v_div_fixup_f64 v[214:215], v[214:215], v[212:213], 1.0
	s_delay_alu instid0(VALU_DEP_1)
	v_mul_f64 v[212:213], v[229:230], v[214:215]
	v_xor_b32_e32 v215, 0x80000000, v215
.LBB104_364:
	s_and_not1_saveexec_b32 s2, s2
	s_cbranch_execz .LBB104_366
; %bb.365:
	s_delay_alu instid0(VALU_DEP_1) | instskip(SKIP_1) | instid1(VALU_DEP_2)
	v_div_scale_f64 v[229:230], null, v[212:213], v[212:213], v[214:215]
	v_div_scale_f64 v[235:236], vcc_lo, v[214:215], v[212:213], v[214:215]
	v_rcp_f64_e32 v[231:232], v[229:230]
	s_waitcnt_depctr 0xfff
	v_fma_f64 v[233:234], -v[229:230], v[231:232], 1.0
	s_delay_alu instid0(VALU_DEP_1) | instskip(NEXT) | instid1(VALU_DEP_1)
	v_fma_f64 v[231:232], v[231:232], v[233:234], v[231:232]
	v_fma_f64 v[233:234], -v[229:230], v[231:232], 1.0
	s_delay_alu instid0(VALU_DEP_1) | instskip(NEXT) | instid1(VALU_DEP_1)
	v_fma_f64 v[231:232], v[231:232], v[233:234], v[231:232]
	v_mul_f64 v[233:234], v[235:236], v[231:232]
	s_delay_alu instid0(VALU_DEP_1) | instskip(NEXT) | instid1(VALU_DEP_1)
	v_fma_f64 v[229:230], -v[229:230], v[233:234], v[235:236]
	v_div_fmas_f64 v[229:230], v[229:230], v[231:232], v[233:234]
	s_delay_alu instid0(VALU_DEP_1) | instskip(NEXT) | instid1(VALU_DEP_1)
	v_div_fixup_f64 v[229:230], v[229:230], v[212:213], v[214:215]
	v_fma_f64 v[212:213], v[214:215], v[229:230], v[212:213]
	s_delay_alu instid0(VALU_DEP_1) | instskip(NEXT) | instid1(VALU_DEP_1)
	v_div_scale_f64 v[214:215], null, v[212:213], v[212:213], 1.0
	v_rcp_f64_e32 v[231:232], v[214:215]
	s_waitcnt_depctr 0xfff
	v_fma_f64 v[233:234], -v[214:215], v[231:232], 1.0
	s_delay_alu instid0(VALU_DEP_1) | instskip(NEXT) | instid1(VALU_DEP_1)
	v_fma_f64 v[231:232], v[231:232], v[233:234], v[231:232]
	v_fma_f64 v[233:234], -v[214:215], v[231:232], 1.0
	s_delay_alu instid0(VALU_DEP_1) | instskip(SKIP_1) | instid1(VALU_DEP_1)
	v_fma_f64 v[231:232], v[231:232], v[233:234], v[231:232]
	v_div_scale_f64 v[233:234], vcc_lo, 1.0, v[212:213], 1.0
	v_mul_f64 v[235:236], v[233:234], v[231:232]
	s_delay_alu instid0(VALU_DEP_1) | instskip(NEXT) | instid1(VALU_DEP_1)
	v_fma_f64 v[214:215], -v[214:215], v[235:236], v[233:234]
	v_div_fmas_f64 v[214:215], v[214:215], v[231:232], v[235:236]
	s_delay_alu instid0(VALU_DEP_1) | instskip(NEXT) | instid1(VALU_DEP_1)
	v_div_fixup_f64 v[212:213], v[214:215], v[212:213], 1.0
	v_mul_f64 v[214:215], v[229:230], -v[212:213]
.LBB104_366:
	s_or_b32 exec_lo, exec_lo, s2
.LBB104_367:
	s_delay_alu instid0(SALU_CYCLE_1) | instskip(NEXT) | instid1(SALU_CYCLE_1)
	s_or_b32 exec_lo, exec_lo, s3
	s_mov_b32 s2, exec_lo
	v_cmpx_ne_u32_e64 v228, v220
	s_xor_b32 s2, exec_lo, s2
	s_cbranch_execz .LBB104_373
; %bb.368:
	s_mov_b32 s3, exec_lo
	v_cmpx_eq_u32_e32 17, v228
	s_cbranch_execz .LBB104_372
; %bb.369:
	v_cmp_ne_u32_e32 vcc_lo, 17, v220
	s_xor_b32 s6, s4, -1
	s_delay_alu instid0(SALU_CYCLE_1) | instskip(NEXT) | instid1(SALU_CYCLE_1)
	s_and_b32 s7, s6, vcc_lo
	s_and_saveexec_b32 s6, s7
	s_cbranch_execz .LBB104_371
; %bb.370:
	v_ashrrev_i32_e32 v221, 31, v220
	s_delay_alu instid0(VALU_DEP_1) | instskip(NEXT) | instid1(VALU_DEP_1)
	v_lshlrev_b64 v[227:228], 2, v[220:221]
	v_add_co_u32 v227, vcc_lo, v218, v227
	s_delay_alu instid0(VALU_DEP_2)
	v_add_co_ci_u32_e32 v228, vcc_lo, v219, v228, vcc_lo
	s_clause 0x1
	flat_load_b32 v221, v[227:228]
	flat_load_b32 v229, v[218:219] offset:68
	s_waitcnt vmcnt(1) lgkmcnt(1)
	flat_store_b32 v[218:219], v221 offset:68
	s_waitcnt vmcnt(0) lgkmcnt(1)
	flat_store_b32 v[227:228], v229
.LBB104_371:
	s_or_b32 exec_lo, exec_lo, s6
	v_mov_b32_e32 v228, v220
	v_mov_b32_e32 v227, v220
.LBB104_372:
	s_or_b32 exec_lo, exec_lo, s3
.LBB104_373:
	s_and_not1_saveexec_b32 s2, s2
	s_cbranch_execz .LBB104_375
; %bb.374:
	v_mov_b32_e32 v228, 17
	ds_store_2addr_b64 v222, v[136:137], v[138:139] offset0:36 offset1:37
	ds_store_2addr_b64 v222, v[132:133], v[134:135] offset0:38 offset1:39
	ds_store_2addr_b64 v222, v[128:129], v[130:131] offset0:40 offset1:41
	ds_store_2addr_b64 v222, v[124:125], v[126:127] offset0:42 offset1:43
	ds_store_2addr_b64 v222, v[120:121], v[122:123] offset0:44 offset1:45
	ds_store_2addr_b64 v222, v[116:117], v[118:119] offset0:46 offset1:47
	ds_store_2addr_b64 v222, v[112:113], v[114:115] offset0:48 offset1:49
	ds_store_2addr_b64 v222, v[108:109], v[110:111] offset0:50 offset1:51
	ds_store_2addr_b64 v222, v[104:105], v[106:107] offset0:52 offset1:53
	ds_store_2addr_b64 v222, v[100:101], v[102:103] offset0:54 offset1:55
	ds_store_2addr_b64 v222, v[96:97], v[98:99] offset0:56 offset1:57
	ds_store_2addr_b64 v222, v[92:93], v[94:95] offset0:58 offset1:59
	ds_store_2addr_b64 v222, v[88:89], v[90:91] offset0:60 offset1:61
	ds_store_2addr_b64 v222, v[84:85], v[86:87] offset0:62 offset1:63
	ds_store_2addr_b64 v222, v[80:81], v[82:83] offset0:64 offset1:65
	ds_store_2addr_b64 v222, v[76:77], v[78:79] offset0:66 offset1:67
	ds_store_2addr_b64 v222, v[72:73], v[74:75] offset0:68 offset1:69
	ds_store_2addr_b64 v222, v[68:69], v[70:71] offset0:70 offset1:71
	ds_store_2addr_b64 v222, v[64:65], v[66:67] offset0:72 offset1:73
	ds_store_2addr_b64 v222, v[60:61], v[62:63] offset0:74 offset1:75
	ds_store_2addr_b64 v222, v[56:57], v[58:59] offset0:76 offset1:77
	ds_store_2addr_b64 v222, v[52:53], v[54:55] offset0:78 offset1:79
	ds_store_2addr_b64 v222, v[48:49], v[50:51] offset0:80 offset1:81
	ds_store_2addr_b64 v222, v[44:45], v[46:47] offset0:82 offset1:83
	ds_store_2addr_b64 v222, v[40:41], v[42:43] offset0:84 offset1:85
	ds_store_2addr_b64 v222, v[36:37], v[38:39] offset0:86 offset1:87
	ds_store_2addr_b64 v222, v[32:33], v[34:35] offset0:88 offset1:89
	ds_store_2addr_b64 v222, v[28:29], v[30:31] offset0:90 offset1:91
	ds_store_2addr_b64 v222, v[24:25], v[26:27] offset0:92 offset1:93
	ds_store_2addr_b64 v222, v[20:21], v[22:23] offset0:94 offset1:95
	ds_store_2addr_b64 v222, v[16:17], v[18:19] offset0:96 offset1:97
	ds_store_2addr_b64 v222, v[12:13], v[14:15] offset0:98 offset1:99
	ds_store_2addr_b64 v222, v[8:9], v[10:11] offset0:100 offset1:101
	ds_store_2addr_b64 v222, v[4:5], v[6:7] offset0:102 offset1:103
	ds_store_2addr_b64 v222, v[0:1], v[2:3] offset0:104 offset1:105
.LBB104_375:
	s_or_b32 exec_lo, exec_lo, s2
	s_delay_alu instid0(SALU_CYCLE_1)
	s_mov_b32 s2, exec_lo
	s_waitcnt lgkmcnt(0)
	s_waitcnt_vscnt null, 0x0
	s_barrier
	buffer_gl0_inv
	v_cmpx_lt_i32_e32 17, v228
	s_cbranch_execz .LBB104_377
; %bb.376:
	v_mul_f64 v[220:221], v[214:215], v[142:143]
	v_mul_f64 v[142:143], v[212:213], v[142:143]
	s_delay_alu instid0(VALU_DEP_2) | instskip(NEXT) | instid1(VALU_DEP_2)
	v_fma_f64 v[220:221], v[212:213], v[140:141], -v[220:221]
	v_fma_f64 v[142:143], v[214:215], v[140:141], v[142:143]
	ds_load_2addr_b64 v[212:215], v222 offset0:36 offset1:37
	s_waitcnt lgkmcnt(0)
	v_mul_f64 v[140:141], v[214:215], v[142:143]
	s_delay_alu instid0(VALU_DEP_1) | instskip(SKIP_1) | instid1(VALU_DEP_2)
	v_fma_f64 v[140:141], v[212:213], v[220:221], -v[140:141]
	v_mul_f64 v[212:213], v[212:213], v[142:143]
	v_add_f64 v[136:137], v[136:137], -v[140:141]
	s_delay_alu instid0(VALU_DEP_2) | instskip(NEXT) | instid1(VALU_DEP_1)
	v_fma_f64 v[212:213], v[214:215], v[220:221], v[212:213]
	v_add_f64 v[138:139], v[138:139], -v[212:213]
	ds_load_2addr_b64 v[212:215], v222 offset0:38 offset1:39
	s_waitcnt lgkmcnt(0)
	v_mul_f64 v[140:141], v[214:215], v[142:143]
	s_delay_alu instid0(VALU_DEP_1) | instskip(SKIP_1) | instid1(VALU_DEP_2)
	v_fma_f64 v[140:141], v[212:213], v[220:221], -v[140:141]
	v_mul_f64 v[212:213], v[212:213], v[142:143]
	v_add_f64 v[132:133], v[132:133], -v[140:141]
	s_delay_alu instid0(VALU_DEP_2) | instskip(NEXT) | instid1(VALU_DEP_1)
	v_fma_f64 v[212:213], v[214:215], v[220:221], v[212:213]
	v_add_f64 v[134:135], v[134:135], -v[212:213]
	;; [unrolled: 10-line block ×34, first 2 shown]
	ds_load_2addr_b64 v[212:215], v222 offset0:104 offset1:105
	s_waitcnt lgkmcnt(0)
	v_mul_f64 v[140:141], v[214:215], v[142:143]
	s_delay_alu instid0(VALU_DEP_1) | instskip(SKIP_1) | instid1(VALU_DEP_2)
	v_fma_f64 v[140:141], v[212:213], v[220:221], -v[140:141]
	v_mul_f64 v[212:213], v[212:213], v[142:143]
	v_add_f64 v[0:1], v[0:1], -v[140:141]
	s_delay_alu instid0(VALU_DEP_2) | instskip(SKIP_1) | instid1(VALU_DEP_2)
	v_fma_f64 v[212:213], v[214:215], v[220:221], v[212:213]
	v_dual_mov_b32 v140, v220 :: v_dual_mov_b32 v141, v221
	v_add_f64 v[2:3], v[2:3], -v[212:213]
.LBB104_377:
	s_or_b32 exec_lo, exec_lo, s2
	v_lshl_add_u32 v212, v228, 4, v222
	s_barrier
	buffer_gl0_inv
	v_mov_b32_e32 v220, 18
	ds_store_2addr_b64 v212, v[136:137], v[138:139] offset1:1
	s_waitcnt lgkmcnt(0)
	s_barrier
	buffer_gl0_inv
	ds_load_2addr_b64 v[212:215], v222 offset0:36 offset1:37
	s_cmp_lt_i32 s5, 20
	s_cbranch_scc1 .LBB104_380
; %bb.378:
	v_add3_u32 v221, v226, 0, 0x130
	v_mov_b32_e32 v220, 18
	s_mov_b32 s6, 19
	s_set_inst_prefetch_distance 0x1
	.p2align	6
.LBB104_379:                            ; =>This Inner Loop Header: Depth=1
	ds_load_2addr_b64 v[229:232], v221 offset1:1
	s_waitcnt lgkmcnt(1)
	v_cmp_gt_f64_e32 vcc_lo, 0, v[212:213]
	v_xor_b32_e32 v233, 0x80000000, v213
	v_cmp_gt_f64_e64 s2, 0, v[214:215]
	v_xor_b32_e32 v235, 0x80000000, v215
	v_add_nc_u32_e32 v221, 16, v221
	s_waitcnt lgkmcnt(0)
	v_cmp_gt_f64_e64 s3, 0, v[229:230]
	v_mov_b32_e32 v237, v229
	v_dual_mov_b32 v239, v231 :: v_dual_cndmask_b32 v234, v213, v233
	v_xor_b32_e32 v233, 0x80000000, v230
	v_cndmask_b32_e64 v236, v215, v235, s2
	v_xor_b32_e32 v235, 0x80000000, v232
	s_delay_alu instid0(VALU_DEP_3) | instskip(SKIP_2) | instid1(VALU_DEP_2)
	v_cndmask_b32_e64 v238, v230, v233, s3
	v_cmp_gt_f64_e64 s3, 0, v[231:232]
	v_cndmask_b32_e32 v233, v212, v212, vcc_lo
	v_cndmask_b32_e64 v240, v232, v235, s3
	v_cndmask_b32_e64 v235, v214, v214, s2
	s_delay_alu instid0(VALU_DEP_2) | instskip(NEXT) | instid1(VALU_DEP_2)
	v_add_f64 v[237:238], v[237:238], v[239:240]
	v_add_f64 v[233:234], v[233:234], v[235:236]
	s_delay_alu instid0(VALU_DEP_1) | instskip(SKIP_4) | instid1(SALU_CYCLE_1)
	v_cmp_lt_f64_e32 vcc_lo, v[233:234], v[237:238]
	v_dual_cndmask_b32 v214, v214, v231 :: v_dual_cndmask_b32 v213, v213, v230
	v_dual_cndmask_b32 v212, v212, v229 :: v_dual_cndmask_b32 v215, v215, v232
	v_cndmask_b32_e64 v220, v220, s6, vcc_lo
	s_add_i32 s6, s6, 1
	s_cmp_lg_u32 s5, s6
	s_cbranch_scc1 .LBB104_379
.LBB104_380:
	s_set_inst_prefetch_distance 0x2
	s_waitcnt lgkmcnt(0)
	v_cmp_eq_f64_e32 vcc_lo, 0, v[212:213]
	v_cmp_eq_f64_e64 s2, 0, v[214:215]
	s_delay_alu instid0(VALU_DEP_1) | instskip(NEXT) | instid1(SALU_CYCLE_1)
	s_and_b32 s2, vcc_lo, s2
	s_and_saveexec_b32 s3, s2
	s_delay_alu instid0(SALU_CYCLE_1)
	s_xor_b32 s2, exec_lo, s3
; %bb.381:
	v_cmp_ne_u32_e32 vcc_lo, 0, v225
	v_cndmask_b32_e32 v225, 19, v225, vcc_lo
; %bb.382:
	s_and_not1_saveexec_b32 s3, s2
	s_cbranch_execz .LBB104_388
; %bb.383:
	v_cmp_gt_f64_e32 vcc_lo, 0, v[212:213]
	v_cmp_gt_f64_e64 s2, 0, v[214:215]
	v_xor_b32_e32 v221, 0x80000000, v213
	v_xor_b32_e32 v229, 0x80000000, v215
	s_delay_alu instid0(VALU_DEP_2) | instskip(NEXT) | instid1(VALU_DEP_2)
	v_cndmask_b32_e32 v230, v213, v221, vcc_lo
	v_cndmask_b32_e64 v232, v215, v229, s2
	v_cndmask_b32_e32 v229, v212, v212, vcc_lo
	v_cndmask_b32_e64 v231, v214, v214, s2
	s_mov_b32 s2, exec_lo
	s_delay_alu instid0(VALU_DEP_1)
	v_cmpx_ngt_f64_e32 v[229:230], v[231:232]
	s_xor_b32 s2, exec_lo, s2
	s_cbranch_execz .LBB104_385
; %bb.384:
	v_div_scale_f64 v[229:230], null, v[214:215], v[214:215], v[212:213]
	v_div_scale_f64 v[235:236], vcc_lo, v[212:213], v[214:215], v[212:213]
	s_delay_alu instid0(VALU_DEP_2) | instskip(SKIP_2) | instid1(VALU_DEP_1)
	v_rcp_f64_e32 v[231:232], v[229:230]
	s_waitcnt_depctr 0xfff
	v_fma_f64 v[233:234], -v[229:230], v[231:232], 1.0
	v_fma_f64 v[231:232], v[231:232], v[233:234], v[231:232]
	s_delay_alu instid0(VALU_DEP_1) | instskip(NEXT) | instid1(VALU_DEP_1)
	v_fma_f64 v[233:234], -v[229:230], v[231:232], 1.0
	v_fma_f64 v[231:232], v[231:232], v[233:234], v[231:232]
	s_delay_alu instid0(VALU_DEP_1) | instskip(NEXT) | instid1(VALU_DEP_1)
	v_mul_f64 v[233:234], v[235:236], v[231:232]
	v_fma_f64 v[229:230], -v[229:230], v[233:234], v[235:236]
	s_delay_alu instid0(VALU_DEP_1) | instskip(NEXT) | instid1(VALU_DEP_1)
	v_div_fmas_f64 v[229:230], v[229:230], v[231:232], v[233:234]
	v_div_fixup_f64 v[229:230], v[229:230], v[214:215], v[212:213]
	s_delay_alu instid0(VALU_DEP_1) | instskip(NEXT) | instid1(VALU_DEP_1)
	v_fma_f64 v[212:213], v[212:213], v[229:230], v[214:215]
	v_div_scale_f64 v[214:215], null, v[212:213], v[212:213], 1.0
	s_delay_alu instid0(VALU_DEP_1) | instskip(SKIP_2) | instid1(VALU_DEP_1)
	v_rcp_f64_e32 v[231:232], v[214:215]
	s_waitcnt_depctr 0xfff
	v_fma_f64 v[233:234], -v[214:215], v[231:232], 1.0
	v_fma_f64 v[231:232], v[231:232], v[233:234], v[231:232]
	s_delay_alu instid0(VALU_DEP_1) | instskip(NEXT) | instid1(VALU_DEP_1)
	v_fma_f64 v[233:234], -v[214:215], v[231:232], 1.0
	v_fma_f64 v[231:232], v[231:232], v[233:234], v[231:232]
	v_div_scale_f64 v[233:234], vcc_lo, 1.0, v[212:213], 1.0
	s_delay_alu instid0(VALU_DEP_1) | instskip(NEXT) | instid1(VALU_DEP_1)
	v_mul_f64 v[235:236], v[233:234], v[231:232]
	v_fma_f64 v[214:215], -v[214:215], v[235:236], v[233:234]
	s_delay_alu instid0(VALU_DEP_1) | instskip(NEXT) | instid1(VALU_DEP_1)
	v_div_fmas_f64 v[214:215], v[214:215], v[231:232], v[235:236]
	v_div_fixup_f64 v[214:215], v[214:215], v[212:213], 1.0
	s_delay_alu instid0(VALU_DEP_1)
	v_mul_f64 v[212:213], v[229:230], v[214:215]
	v_xor_b32_e32 v215, 0x80000000, v215
.LBB104_385:
	s_and_not1_saveexec_b32 s2, s2
	s_cbranch_execz .LBB104_387
; %bb.386:
	s_delay_alu instid0(VALU_DEP_1) | instskip(SKIP_1) | instid1(VALU_DEP_2)
	v_div_scale_f64 v[229:230], null, v[212:213], v[212:213], v[214:215]
	v_div_scale_f64 v[235:236], vcc_lo, v[214:215], v[212:213], v[214:215]
	v_rcp_f64_e32 v[231:232], v[229:230]
	s_waitcnt_depctr 0xfff
	v_fma_f64 v[233:234], -v[229:230], v[231:232], 1.0
	s_delay_alu instid0(VALU_DEP_1) | instskip(NEXT) | instid1(VALU_DEP_1)
	v_fma_f64 v[231:232], v[231:232], v[233:234], v[231:232]
	v_fma_f64 v[233:234], -v[229:230], v[231:232], 1.0
	s_delay_alu instid0(VALU_DEP_1) | instskip(NEXT) | instid1(VALU_DEP_1)
	v_fma_f64 v[231:232], v[231:232], v[233:234], v[231:232]
	v_mul_f64 v[233:234], v[235:236], v[231:232]
	s_delay_alu instid0(VALU_DEP_1) | instskip(NEXT) | instid1(VALU_DEP_1)
	v_fma_f64 v[229:230], -v[229:230], v[233:234], v[235:236]
	v_div_fmas_f64 v[229:230], v[229:230], v[231:232], v[233:234]
	s_delay_alu instid0(VALU_DEP_1) | instskip(NEXT) | instid1(VALU_DEP_1)
	v_div_fixup_f64 v[229:230], v[229:230], v[212:213], v[214:215]
	v_fma_f64 v[212:213], v[214:215], v[229:230], v[212:213]
	s_delay_alu instid0(VALU_DEP_1) | instskip(NEXT) | instid1(VALU_DEP_1)
	v_div_scale_f64 v[214:215], null, v[212:213], v[212:213], 1.0
	v_rcp_f64_e32 v[231:232], v[214:215]
	s_waitcnt_depctr 0xfff
	v_fma_f64 v[233:234], -v[214:215], v[231:232], 1.0
	s_delay_alu instid0(VALU_DEP_1) | instskip(NEXT) | instid1(VALU_DEP_1)
	v_fma_f64 v[231:232], v[231:232], v[233:234], v[231:232]
	v_fma_f64 v[233:234], -v[214:215], v[231:232], 1.0
	s_delay_alu instid0(VALU_DEP_1) | instskip(SKIP_1) | instid1(VALU_DEP_1)
	v_fma_f64 v[231:232], v[231:232], v[233:234], v[231:232]
	v_div_scale_f64 v[233:234], vcc_lo, 1.0, v[212:213], 1.0
	v_mul_f64 v[235:236], v[233:234], v[231:232]
	s_delay_alu instid0(VALU_DEP_1) | instskip(NEXT) | instid1(VALU_DEP_1)
	v_fma_f64 v[214:215], -v[214:215], v[235:236], v[233:234]
	v_div_fmas_f64 v[214:215], v[214:215], v[231:232], v[235:236]
	s_delay_alu instid0(VALU_DEP_1) | instskip(NEXT) | instid1(VALU_DEP_1)
	v_div_fixup_f64 v[212:213], v[214:215], v[212:213], 1.0
	v_mul_f64 v[214:215], v[229:230], -v[212:213]
.LBB104_387:
	s_or_b32 exec_lo, exec_lo, s2
.LBB104_388:
	s_delay_alu instid0(SALU_CYCLE_1) | instskip(NEXT) | instid1(SALU_CYCLE_1)
	s_or_b32 exec_lo, exec_lo, s3
	s_mov_b32 s2, exec_lo
	v_cmpx_ne_u32_e64 v228, v220
	s_xor_b32 s2, exec_lo, s2
	s_cbranch_execz .LBB104_394
; %bb.389:
	s_mov_b32 s3, exec_lo
	v_cmpx_eq_u32_e32 18, v228
	s_cbranch_execz .LBB104_393
; %bb.390:
	v_cmp_ne_u32_e32 vcc_lo, 18, v220
	s_xor_b32 s6, s4, -1
	s_delay_alu instid0(SALU_CYCLE_1) | instskip(NEXT) | instid1(SALU_CYCLE_1)
	s_and_b32 s7, s6, vcc_lo
	s_and_saveexec_b32 s6, s7
	s_cbranch_execz .LBB104_392
; %bb.391:
	v_ashrrev_i32_e32 v221, 31, v220
	s_delay_alu instid0(VALU_DEP_1) | instskip(NEXT) | instid1(VALU_DEP_1)
	v_lshlrev_b64 v[227:228], 2, v[220:221]
	v_add_co_u32 v227, vcc_lo, v218, v227
	s_delay_alu instid0(VALU_DEP_2)
	v_add_co_ci_u32_e32 v228, vcc_lo, v219, v228, vcc_lo
	s_clause 0x1
	flat_load_b32 v221, v[227:228]
	flat_load_b32 v229, v[218:219] offset:72
	s_waitcnt vmcnt(1) lgkmcnt(1)
	flat_store_b32 v[218:219], v221 offset:72
	s_waitcnt vmcnt(0) lgkmcnt(1)
	flat_store_b32 v[227:228], v229
.LBB104_392:
	s_or_b32 exec_lo, exec_lo, s6
	v_mov_b32_e32 v228, v220
	v_mov_b32_e32 v227, v220
.LBB104_393:
	s_or_b32 exec_lo, exec_lo, s3
.LBB104_394:
	s_and_not1_saveexec_b32 s2, s2
	s_cbranch_execz .LBB104_396
; %bb.395:
	v_mov_b32_e32 v228, 18
	ds_store_2addr_b64 v222, v[132:133], v[134:135] offset0:38 offset1:39
	ds_store_2addr_b64 v222, v[128:129], v[130:131] offset0:40 offset1:41
	;; [unrolled: 1-line block ×34, first 2 shown]
.LBB104_396:
	s_or_b32 exec_lo, exec_lo, s2
	s_delay_alu instid0(SALU_CYCLE_1)
	s_mov_b32 s2, exec_lo
	s_waitcnt lgkmcnt(0)
	s_waitcnt_vscnt null, 0x0
	s_barrier
	buffer_gl0_inv
	v_cmpx_lt_i32_e32 18, v228
	s_cbranch_execz .LBB104_398
; %bb.397:
	v_mul_f64 v[220:221], v[214:215], v[138:139]
	v_mul_f64 v[138:139], v[212:213], v[138:139]
	s_delay_alu instid0(VALU_DEP_2) | instskip(NEXT) | instid1(VALU_DEP_2)
	v_fma_f64 v[220:221], v[212:213], v[136:137], -v[220:221]
	v_fma_f64 v[138:139], v[214:215], v[136:137], v[138:139]
	ds_load_2addr_b64 v[212:215], v222 offset0:38 offset1:39
	s_waitcnt lgkmcnt(0)
	v_mul_f64 v[136:137], v[214:215], v[138:139]
	s_delay_alu instid0(VALU_DEP_1) | instskip(SKIP_1) | instid1(VALU_DEP_2)
	v_fma_f64 v[136:137], v[212:213], v[220:221], -v[136:137]
	v_mul_f64 v[212:213], v[212:213], v[138:139]
	v_add_f64 v[132:133], v[132:133], -v[136:137]
	s_delay_alu instid0(VALU_DEP_2) | instskip(NEXT) | instid1(VALU_DEP_1)
	v_fma_f64 v[212:213], v[214:215], v[220:221], v[212:213]
	v_add_f64 v[134:135], v[134:135], -v[212:213]
	ds_load_2addr_b64 v[212:215], v222 offset0:40 offset1:41
	s_waitcnt lgkmcnt(0)
	v_mul_f64 v[136:137], v[214:215], v[138:139]
	s_delay_alu instid0(VALU_DEP_1) | instskip(SKIP_1) | instid1(VALU_DEP_2)
	v_fma_f64 v[136:137], v[212:213], v[220:221], -v[136:137]
	v_mul_f64 v[212:213], v[212:213], v[138:139]
	v_add_f64 v[128:129], v[128:129], -v[136:137]
	s_delay_alu instid0(VALU_DEP_2) | instskip(NEXT) | instid1(VALU_DEP_1)
	v_fma_f64 v[212:213], v[214:215], v[220:221], v[212:213]
	v_add_f64 v[130:131], v[130:131], -v[212:213]
	;; [unrolled: 10-line block ×33, first 2 shown]
	ds_load_2addr_b64 v[212:215], v222 offset0:104 offset1:105
	s_waitcnt lgkmcnt(0)
	v_mul_f64 v[136:137], v[214:215], v[138:139]
	s_delay_alu instid0(VALU_DEP_1) | instskip(SKIP_1) | instid1(VALU_DEP_2)
	v_fma_f64 v[136:137], v[212:213], v[220:221], -v[136:137]
	v_mul_f64 v[212:213], v[212:213], v[138:139]
	v_add_f64 v[0:1], v[0:1], -v[136:137]
	s_delay_alu instid0(VALU_DEP_2) | instskip(SKIP_1) | instid1(VALU_DEP_2)
	v_fma_f64 v[212:213], v[214:215], v[220:221], v[212:213]
	v_dual_mov_b32 v136, v220 :: v_dual_mov_b32 v137, v221
	v_add_f64 v[2:3], v[2:3], -v[212:213]
.LBB104_398:
	s_or_b32 exec_lo, exec_lo, s2
	v_lshl_add_u32 v212, v228, 4, v222
	s_barrier
	buffer_gl0_inv
	v_mov_b32_e32 v220, 19
	ds_store_2addr_b64 v212, v[132:133], v[134:135] offset1:1
	s_waitcnt lgkmcnt(0)
	s_barrier
	buffer_gl0_inv
	ds_load_2addr_b64 v[212:215], v222 offset0:38 offset1:39
	s_cmp_lt_i32 s5, 21
	s_cbranch_scc1 .LBB104_401
; %bb.399:
	v_add3_u32 v221, v226, 0, 0x140
	v_mov_b32_e32 v220, 19
	s_mov_b32 s6, 20
	s_set_inst_prefetch_distance 0x1
	.p2align	6
.LBB104_400:                            ; =>This Inner Loop Header: Depth=1
	ds_load_2addr_b64 v[229:232], v221 offset1:1
	s_waitcnt lgkmcnt(1)
	v_cmp_gt_f64_e32 vcc_lo, 0, v[212:213]
	v_xor_b32_e32 v233, 0x80000000, v213
	v_cmp_gt_f64_e64 s2, 0, v[214:215]
	v_xor_b32_e32 v235, 0x80000000, v215
	v_add_nc_u32_e32 v221, 16, v221
	s_waitcnt lgkmcnt(0)
	v_cmp_gt_f64_e64 s3, 0, v[229:230]
	v_mov_b32_e32 v237, v229
	v_dual_mov_b32 v239, v231 :: v_dual_cndmask_b32 v234, v213, v233
	v_xor_b32_e32 v233, 0x80000000, v230
	v_cndmask_b32_e64 v236, v215, v235, s2
	v_xor_b32_e32 v235, 0x80000000, v232
	s_delay_alu instid0(VALU_DEP_3) | instskip(SKIP_2) | instid1(VALU_DEP_2)
	v_cndmask_b32_e64 v238, v230, v233, s3
	v_cmp_gt_f64_e64 s3, 0, v[231:232]
	v_cndmask_b32_e32 v233, v212, v212, vcc_lo
	v_cndmask_b32_e64 v240, v232, v235, s3
	v_cndmask_b32_e64 v235, v214, v214, s2
	s_delay_alu instid0(VALU_DEP_2) | instskip(NEXT) | instid1(VALU_DEP_2)
	v_add_f64 v[237:238], v[237:238], v[239:240]
	v_add_f64 v[233:234], v[233:234], v[235:236]
	s_delay_alu instid0(VALU_DEP_1) | instskip(SKIP_4) | instid1(SALU_CYCLE_1)
	v_cmp_lt_f64_e32 vcc_lo, v[233:234], v[237:238]
	v_dual_cndmask_b32 v214, v214, v231 :: v_dual_cndmask_b32 v213, v213, v230
	v_dual_cndmask_b32 v212, v212, v229 :: v_dual_cndmask_b32 v215, v215, v232
	v_cndmask_b32_e64 v220, v220, s6, vcc_lo
	s_add_i32 s6, s6, 1
	s_cmp_lg_u32 s5, s6
	s_cbranch_scc1 .LBB104_400
.LBB104_401:
	s_set_inst_prefetch_distance 0x2
	s_waitcnt lgkmcnt(0)
	v_cmp_eq_f64_e32 vcc_lo, 0, v[212:213]
	v_cmp_eq_f64_e64 s2, 0, v[214:215]
	s_delay_alu instid0(VALU_DEP_1) | instskip(NEXT) | instid1(SALU_CYCLE_1)
	s_and_b32 s2, vcc_lo, s2
	s_and_saveexec_b32 s3, s2
	s_delay_alu instid0(SALU_CYCLE_1)
	s_xor_b32 s2, exec_lo, s3
; %bb.402:
	v_cmp_ne_u32_e32 vcc_lo, 0, v225
	v_cndmask_b32_e32 v225, 20, v225, vcc_lo
; %bb.403:
	s_and_not1_saveexec_b32 s3, s2
	s_cbranch_execz .LBB104_409
; %bb.404:
	v_cmp_gt_f64_e32 vcc_lo, 0, v[212:213]
	v_cmp_gt_f64_e64 s2, 0, v[214:215]
	v_xor_b32_e32 v221, 0x80000000, v213
	v_xor_b32_e32 v229, 0x80000000, v215
	s_delay_alu instid0(VALU_DEP_2) | instskip(NEXT) | instid1(VALU_DEP_2)
	v_cndmask_b32_e32 v230, v213, v221, vcc_lo
	v_cndmask_b32_e64 v232, v215, v229, s2
	v_cndmask_b32_e32 v229, v212, v212, vcc_lo
	v_cndmask_b32_e64 v231, v214, v214, s2
	s_mov_b32 s2, exec_lo
	s_delay_alu instid0(VALU_DEP_1)
	v_cmpx_ngt_f64_e32 v[229:230], v[231:232]
	s_xor_b32 s2, exec_lo, s2
	s_cbranch_execz .LBB104_406
; %bb.405:
	v_div_scale_f64 v[229:230], null, v[214:215], v[214:215], v[212:213]
	v_div_scale_f64 v[235:236], vcc_lo, v[212:213], v[214:215], v[212:213]
	s_delay_alu instid0(VALU_DEP_2) | instskip(SKIP_2) | instid1(VALU_DEP_1)
	v_rcp_f64_e32 v[231:232], v[229:230]
	s_waitcnt_depctr 0xfff
	v_fma_f64 v[233:234], -v[229:230], v[231:232], 1.0
	v_fma_f64 v[231:232], v[231:232], v[233:234], v[231:232]
	s_delay_alu instid0(VALU_DEP_1) | instskip(NEXT) | instid1(VALU_DEP_1)
	v_fma_f64 v[233:234], -v[229:230], v[231:232], 1.0
	v_fma_f64 v[231:232], v[231:232], v[233:234], v[231:232]
	s_delay_alu instid0(VALU_DEP_1) | instskip(NEXT) | instid1(VALU_DEP_1)
	v_mul_f64 v[233:234], v[235:236], v[231:232]
	v_fma_f64 v[229:230], -v[229:230], v[233:234], v[235:236]
	s_delay_alu instid0(VALU_DEP_1) | instskip(NEXT) | instid1(VALU_DEP_1)
	v_div_fmas_f64 v[229:230], v[229:230], v[231:232], v[233:234]
	v_div_fixup_f64 v[229:230], v[229:230], v[214:215], v[212:213]
	s_delay_alu instid0(VALU_DEP_1) | instskip(NEXT) | instid1(VALU_DEP_1)
	v_fma_f64 v[212:213], v[212:213], v[229:230], v[214:215]
	v_div_scale_f64 v[214:215], null, v[212:213], v[212:213], 1.0
	s_delay_alu instid0(VALU_DEP_1) | instskip(SKIP_2) | instid1(VALU_DEP_1)
	v_rcp_f64_e32 v[231:232], v[214:215]
	s_waitcnt_depctr 0xfff
	v_fma_f64 v[233:234], -v[214:215], v[231:232], 1.0
	v_fma_f64 v[231:232], v[231:232], v[233:234], v[231:232]
	s_delay_alu instid0(VALU_DEP_1) | instskip(NEXT) | instid1(VALU_DEP_1)
	v_fma_f64 v[233:234], -v[214:215], v[231:232], 1.0
	v_fma_f64 v[231:232], v[231:232], v[233:234], v[231:232]
	v_div_scale_f64 v[233:234], vcc_lo, 1.0, v[212:213], 1.0
	s_delay_alu instid0(VALU_DEP_1) | instskip(NEXT) | instid1(VALU_DEP_1)
	v_mul_f64 v[235:236], v[233:234], v[231:232]
	v_fma_f64 v[214:215], -v[214:215], v[235:236], v[233:234]
	s_delay_alu instid0(VALU_DEP_1) | instskip(NEXT) | instid1(VALU_DEP_1)
	v_div_fmas_f64 v[214:215], v[214:215], v[231:232], v[235:236]
	v_div_fixup_f64 v[214:215], v[214:215], v[212:213], 1.0
	s_delay_alu instid0(VALU_DEP_1)
	v_mul_f64 v[212:213], v[229:230], v[214:215]
	v_xor_b32_e32 v215, 0x80000000, v215
.LBB104_406:
	s_and_not1_saveexec_b32 s2, s2
	s_cbranch_execz .LBB104_408
; %bb.407:
	s_delay_alu instid0(VALU_DEP_1) | instskip(SKIP_1) | instid1(VALU_DEP_2)
	v_div_scale_f64 v[229:230], null, v[212:213], v[212:213], v[214:215]
	v_div_scale_f64 v[235:236], vcc_lo, v[214:215], v[212:213], v[214:215]
	v_rcp_f64_e32 v[231:232], v[229:230]
	s_waitcnt_depctr 0xfff
	v_fma_f64 v[233:234], -v[229:230], v[231:232], 1.0
	s_delay_alu instid0(VALU_DEP_1) | instskip(NEXT) | instid1(VALU_DEP_1)
	v_fma_f64 v[231:232], v[231:232], v[233:234], v[231:232]
	v_fma_f64 v[233:234], -v[229:230], v[231:232], 1.0
	s_delay_alu instid0(VALU_DEP_1) | instskip(NEXT) | instid1(VALU_DEP_1)
	v_fma_f64 v[231:232], v[231:232], v[233:234], v[231:232]
	v_mul_f64 v[233:234], v[235:236], v[231:232]
	s_delay_alu instid0(VALU_DEP_1) | instskip(NEXT) | instid1(VALU_DEP_1)
	v_fma_f64 v[229:230], -v[229:230], v[233:234], v[235:236]
	v_div_fmas_f64 v[229:230], v[229:230], v[231:232], v[233:234]
	s_delay_alu instid0(VALU_DEP_1) | instskip(NEXT) | instid1(VALU_DEP_1)
	v_div_fixup_f64 v[229:230], v[229:230], v[212:213], v[214:215]
	v_fma_f64 v[212:213], v[214:215], v[229:230], v[212:213]
	s_delay_alu instid0(VALU_DEP_1) | instskip(NEXT) | instid1(VALU_DEP_1)
	v_div_scale_f64 v[214:215], null, v[212:213], v[212:213], 1.0
	v_rcp_f64_e32 v[231:232], v[214:215]
	s_waitcnt_depctr 0xfff
	v_fma_f64 v[233:234], -v[214:215], v[231:232], 1.0
	s_delay_alu instid0(VALU_DEP_1) | instskip(NEXT) | instid1(VALU_DEP_1)
	v_fma_f64 v[231:232], v[231:232], v[233:234], v[231:232]
	v_fma_f64 v[233:234], -v[214:215], v[231:232], 1.0
	s_delay_alu instid0(VALU_DEP_1) | instskip(SKIP_1) | instid1(VALU_DEP_1)
	v_fma_f64 v[231:232], v[231:232], v[233:234], v[231:232]
	v_div_scale_f64 v[233:234], vcc_lo, 1.0, v[212:213], 1.0
	v_mul_f64 v[235:236], v[233:234], v[231:232]
	s_delay_alu instid0(VALU_DEP_1) | instskip(NEXT) | instid1(VALU_DEP_1)
	v_fma_f64 v[214:215], -v[214:215], v[235:236], v[233:234]
	v_div_fmas_f64 v[214:215], v[214:215], v[231:232], v[235:236]
	s_delay_alu instid0(VALU_DEP_1) | instskip(NEXT) | instid1(VALU_DEP_1)
	v_div_fixup_f64 v[212:213], v[214:215], v[212:213], 1.0
	v_mul_f64 v[214:215], v[229:230], -v[212:213]
.LBB104_408:
	s_or_b32 exec_lo, exec_lo, s2
.LBB104_409:
	s_delay_alu instid0(SALU_CYCLE_1) | instskip(NEXT) | instid1(SALU_CYCLE_1)
	s_or_b32 exec_lo, exec_lo, s3
	s_mov_b32 s2, exec_lo
	v_cmpx_ne_u32_e64 v228, v220
	s_xor_b32 s2, exec_lo, s2
	s_cbranch_execz .LBB104_415
; %bb.410:
	s_mov_b32 s3, exec_lo
	v_cmpx_eq_u32_e32 19, v228
	s_cbranch_execz .LBB104_414
; %bb.411:
	v_cmp_ne_u32_e32 vcc_lo, 19, v220
	s_xor_b32 s6, s4, -1
	s_delay_alu instid0(SALU_CYCLE_1) | instskip(NEXT) | instid1(SALU_CYCLE_1)
	s_and_b32 s7, s6, vcc_lo
	s_and_saveexec_b32 s6, s7
	s_cbranch_execz .LBB104_413
; %bb.412:
	v_ashrrev_i32_e32 v221, 31, v220
	s_delay_alu instid0(VALU_DEP_1) | instskip(NEXT) | instid1(VALU_DEP_1)
	v_lshlrev_b64 v[227:228], 2, v[220:221]
	v_add_co_u32 v227, vcc_lo, v218, v227
	s_delay_alu instid0(VALU_DEP_2)
	v_add_co_ci_u32_e32 v228, vcc_lo, v219, v228, vcc_lo
	s_clause 0x1
	flat_load_b32 v221, v[227:228]
	flat_load_b32 v229, v[218:219] offset:76
	s_waitcnt vmcnt(1) lgkmcnt(1)
	flat_store_b32 v[218:219], v221 offset:76
	s_waitcnt vmcnt(0) lgkmcnt(1)
	flat_store_b32 v[227:228], v229
.LBB104_413:
	s_or_b32 exec_lo, exec_lo, s6
	v_mov_b32_e32 v228, v220
	v_mov_b32_e32 v227, v220
.LBB104_414:
	s_or_b32 exec_lo, exec_lo, s3
.LBB104_415:
	s_and_not1_saveexec_b32 s2, s2
	s_cbranch_execz .LBB104_417
; %bb.416:
	v_mov_b32_e32 v228, 19
	ds_store_2addr_b64 v222, v[128:129], v[130:131] offset0:40 offset1:41
	ds_store_2addr_b64 v222, v[124:125], v[126:127] offset0:42 offset1:43
	;; [unrolled: 1-line block ×33, first 2 shown]
.LBB104_417:
	s_or_b32 exec_lo, exec_lo, s2
	s_delay_alu instid0(SALU_CYCLE_1)
	s_mov_b32 s2, exec_lo
	s_waitcnt lgkmcnt(0)
	s_waitcnt_vscnt null, 0x0
	s_barrier
	buffer_gl0_inv
	v_cmpx_lt_i32_e32 19, v228
	s_cbranch_execz .LBB104_419
; %bb.418:
	v_mul_f64 v[220:221], v[214:215], v[134:135]
	v_mul_f64 v[134:135], v[212:213], v[134:135]
	s_delay_alu instid0(VALU_DEP_2) | instskip(NEXT) | instid1(VALU_DEP_2)
	v_fma_f64 v[220:221], v[212:213], v[132:133], -v[220:221]
	v_fma_f64 v[134:135], v[214:215], v[132:133], v[134:135]
	ds_load_2addr_b64 v[212:215], v222 offset0:40 offset1:41
	s_waitcnt lgkmcnt(0)
	v_mul_f64 v[132:133], v[214:215], v[134:135]
	s_delay_alu instid0(VALU_DEP_1) | instskip(SKIP_1) | instid1(VALU_DEP_2)
	v_fma_f64 v[132:133], v[212:213], v[220:221], -v[132:133]
	v_mul_f64 v[212:213], v[212:213], v[134:135]
	v_add_f64 v[128:129], v[128:129], -v[132:133]
	s_delay_alu instid0(VALU_DEP_2) | instskip(NEXT) | instid1(VALU_DEP_1)
	v_fma_f64 v[212:213], v[214:215], v[220:221], v[212:213]
	v_add_f64 v[130:131], v[130:131], -v[212:213]
	ds_load_2addr_b64 v[212:215], v222 offset0:42 offset1:43
	s_waitcnt lgkmcnt(0)
	v_mul_f64 v[132:133], v[214:215], v[134:135]
	s_delay_alu instid0(VALU_DEP_1) | instskip(SKIP_1) | instid1(VALU_DEP_2)
	v_fma_f64 v[132:133], v[212:213], v[220:221], -v[132:133]
	v_mul_f64 v[212:213], v[212:213], v[134:135]
	v_add_f64 v[124:125], v[124:125], -v[132:133]
	s_delay_alu instid0(VALU_DEP_2) | instskip(NEXT) | instid1(VALU_DEP_1)
	v_fma_f64 v[212:213], v[214:215], v[220:221], v[212:213]
	v_add_f64 v[126:127], v[126:127], -v[212:213]
	;; [unrolled: 10-line block ×32, first 2 shown]
	ds_load_2addr_b64 v[212:215], v222 offset0:104 offset1:105
	s_waitcnt lgkmcnt(0)
	v_mul_f64 v[132:133], v[214:215], v[134:135]
	s_delay_alu instid0(VALU_DEP_1) | instskip(SKIP_1) | instid1(VALU_DEP_2)
	v_fma_f64 v[132:133], v[212:213], v[220:221], -v[132:133]
	v_mul_f64 v[212:213], v[212:213], v[134:135]
	v_add_f64 v[0:1], v[0:1], -v[132:133]
	s_delay_alu instid0(VALU_DEP_2) | instskip(SKIP_1) | instid1(VALU_DEP_2)
	v_fma_f64 v[212:213], v[214:215], v[220:221], v[212:213]
	v_dual_mov_b32 v132, v220 :: v_dual_mov_b32 v133, v221
	v_add_f64 v[2:3], v[2:3], -v[212:213]
.LBB104_419:
	s_or_b32 exec_lo, exec_lo, s2
	v_lshl_add_u32 v212, v228, 4, v222
	s_barrier
	buffer_gl0_inv
	v_mov_b32_e32 v220, 20
	ds_store_2addr_b64 v212, v[128:129], v[130:131] offset1:1
	s_waitcnt lgkmcnt(0)
	s_barrier
	buffer_gl0_inv
	ds_load_2addr_b64 v[212:215], v222 offset0:40 offset1:41
	s_cmp_lt_i32 s5, 22
	s_cbranch_scc1 .LBB104_422
; %bb.420:
	v_add3_u32 v221, v226, 0, 0x150
	v_mov_b32_e32 v220, 20
	s_mov_b32 s6, 21
	s_set_inst_prefetch_distance 0x1
	.p2align	6
.LBB104_421:                            ; =>This Inner Loop Header: Depth=1
	ds_load_2addr_b64 v[229:232], v221 offset1:1
	s_waitcnt lgkmcnt(1)
	v_cmp_gt_f64_e32 vcc_lo, 0, v[212:213]
	v_xor_b32_e32 v233, 0x80000000, v213
	v_cmp_gt_f64_e64 s2, 0, v[214:215]
	v_xor_b32_e32 v235, 0x80000000, v215
	v_add_nc_u32_e32 v221, 16, v221
	s_waitcnt lgkmcnt(0)
	v_cmp_gt_f64_e64 s3, 0, v[229:230]
	v_mov_b32_e32 v237, v229
	v_dual_mov_b32 v239, v231 :: v_dual_cndmask_b32 v234, v213, v233
	v_xor_b32_e32 v233, 0x80000000, v230
	v_cndmask_b32_e64 v236, v215, v235, s2
	v_xor_b32_e32 v235, 0x80000000, v232
	s_delay_alu instid0(VALU_DEP_3) | instskip(SKIP_2) | instid1(VALU_DEP_2)
	v_cndmask_b32_e64 v238, v230, v233, s3
	v_cmp_gt_f64_e64 s3, 0, v[231:232]
	v_cndmask_b32_e32 v233, v212, v212, vcc_lo
	v_cndmask_b32_e64 v240, v232, v235, s3
	v_cndmask_b32_e64 v235, v214, v214, s2
	s_delay_alu instid0(VALU_DEP_2) | instskip(NEXT) | instid1(VALU_DEP_2)
	v_add_f64 v[237:238], v[237:238], v[239:240]
	v_add_f64 v[233:234], v[233:234], v[235:236]
	s_delay_alu instid0(VALU_DEP_1) | instskip(SKIP_4) | instid1(SALU_CYCLE_1)
	v_cmp_lt_f64_e32 vcc_lo, v[233:234], v[237:238]
	v_dual_cndmask_b32 v214, v214, v231 :: v_dual_cndmask_b32 v213, v213, v230
	v_dual_cndmask_b32 v212, v212, v229 :: v_dual_cndmask_b32 v215, v215, v232
	v_cndmask_b32_e64 v220, v220, s6, vcc_lo
	s_add_i32 s6, s6, 1
	s_cmp_lg_u32 s5, s6
	s_cbranch_scc1 .LBB104_421
.LBB104_422:
	s_set_inst_prefetch_distance 0x2
	s_waitcnt lgkmcnt(0)
	v_cmp_eq_f64_e32 vcc_lo, 0, v[212:213]
	v_cmp_eq_f64_e64 s2, 0, v[214:215]
	s_delay_alu instid0(VALU_DEP_1) | instskip(NEXT) | instid1(SALU_CYCLE_1)
	s_and_b32 s2, vcc_lo, s2
	s_and_saveexec_b32 s3, s2
	s_delay_alu instid0(SALU_CYCLE_1)
	s_xor_b32 s2, exec_lo, s3
; %bb.423:
	v_cmp_ne_u32_e32 vcc_lo, 0, v225
	v_cndmask_b32_e32 v225, 21, v225, vcc_lo
; %bb.424:
	s_and_not1_saveexec_b32 s3, s2
	s_cbranch_execz .LBB104_430
; %bb.425:
	v_cmp_gt_f64_e32 vcc_lo, 0, v[212:213]
	v_cmp_gt_f64_e64 s2, 0, v[214:215]
	v_xor_b32_e32 v221, 0x80000000, v213
	v_xor_b32_e32 v229, 0x80000000, v215
	s_delay_alu instid0(VALU_DEP_2) | instskip(NEXT) | instid1(VALU_DEP_2)
	v_cndmask_b32_e32 v230, v213, v221, vcc_lo
	v_cndmask_b32_e64 v232, v215, v229, s2
	v_cndmask_b32_e32 v229, v212, v212, vcc_lo
	v_cndmask_b32_e64 v231, v214, v214, s2
	s_mov_b32 s2, exec_lo
	s_delay_alu instid0(VALU_DEP_1)
	v_cmpx_ngt_f64_e32 v[229:230], v[231:232]
	s_xor_b32 s2, exec_lo, s2
	s_cbranch_execz .LBB104_427
; %bb.426:
	v_div_scale_f64 v[229:230], null, v[214:215], v[214:215], v[212:213]
	v_div_scale_f64 v[235:236], vcc_lo, v[212:213], v[214:215], v[212:213]
	s_delay_alu instid0(VALU_DEP_2) | instskip(SKIP_2) | instid1(VALU_DEP_1)
	v_rcp_f64_e32 v[231:232], v[229:230]
	s_waitcnt_depctr 0xfff
	v_fma_f64 v[233:234], -v[229:230], v[231:232], 1.0
	v_fma_f64 v[231:232], v[231:232], v[233:234], v[231:232]
	s_delay_alu instid0(VALU_DEP_1) | instskip(NEXT) | instid1(VALU_DEP_1)
	v_fma_f64 v[233:234], -v[229:230], v[231:232], 1.0
	v_fma_f64 v[231:232], v[231:232], v[233:234], v[231:232]
	s_delay_alu instid0(VALU_DEP_1) | instskip(NEXT) | instid1(VALU_DEP_1)
	v_mul_f64 v[233:234], v[235:236], v[231:232]
	v_fma_f64 v[229:230], -v[229:230], v[233:234], v[235:236]
	s_delay_alu instid0(VALU_DEP_1) | instskip(NEXT) | instid1(VALU_DEP_1)
	v_div_fmas_f64 v[229:230], v[229:230], v[231:232], v[233:234]
	v_div_fixup_f64 v[229:230], v[229:230], v[214:215], v[212:213]
	s_delay_alu instid0(VALU_DEP_1) | instskip(NEXT) | instid1(VALU_DEP_1)
	v_fma_f64 v[212:213], v[212:213], v[229:230], v[214:215]
	v_div_scale_f64 v[214:215], null, v[212:213], v[212:213], 1.0
	s_delay_alu instid0(VALU_DEP_1) | instskip(SKIP_2) | instid1(VALU_DEP_1)
	v_rcp_f64_e32 v[231:232], v[214:215]
	s_waitcnt_depctr 0xfff
	v_fma_f64 v[233:234], -v[214:215], v[231:232], 1.0
	v_fma_f64 v[231:232], v[231:232], v[233:234], v[231:232]
	s_delay_alu instid0(VALU_DEP_1) | instskip(NEXT) | instid1(VALU_DEP_1)
	v_fma_f64 v[233:234], -v[214:215], v[231:232], 1.0
	v_fma_f64 v[231:232], v[231:232], v[233:234], v[231:232]
	v_div_scale_f64 v[233:234], vcc_lo, 1.0, v[212:213], 1.0
	s_delay_alu instid0(VALU_DEP_1) | instskip(NEXT) | instid1(VALU_DEP_1)
	v_mul_f64 v[235:236], v[233:234], v[231:232]
	v_fma_f64 v[214:215], -v[214:215], v[235:236], v[233:234]
	s_delay_alu instid0(VALU_DEP_1) | instskip(NEXT) | instid1(VALU_DEP_1)
	v_div_fmas_f64 v[214:215], v[214:215], v[231:232], v[235:236]
	v_div_fixup_f64 v[214:215], v[214:215], v[212:213], 1.0
	s_delay_alu instid0(VALU_DEP_1)
	v_mul_f64 v[212:213], v[229:230], v[214:215]
	v_xor_b32_e32 v215, 0x80000000, v215
.LBB104_427:
	s_and_not1_saveexec_b32 s2, s2
	s_cbranch_execz .LBB104_429
; %bb.428:
	s_delay_alu instid0(VALU_DEP_1) | instskip(SKIP_1) | instid1(VALU_DEP_2)
	v_div_scale_f64 v[229:230], null, v[212:213], v[212:213], v[214:215]
	v_div_scale_f64 v[235:236], vcc_lo, v[214:215], v[212:213], v[214:215]
	v_rcp_f64_e32 v[231:232], v[229:230]
	s_waitcnt_depctr 0xfff
	v_fma_f64 v[233:234], -v[229:230], v[231:232], 1.0
	s_delay_alu instid0(VALU_DEP_1) | instskip(NEXT) | instid1(VALU_DEP_1)
	v_fma_f64 v[231:232], v[231:232], v[233:234], v[231:232]
	v_fma_f64 v[233:234], -v[229:230], v[231:232], 1.0
	s_delay_alu instid0(VALU_DEP_1) | instskip(NEXT) | instid1(VALU_DEP_1)
	v_fma_f64 v[231:232], v[231:232], v[233:234], v[231:232]
	v_mul_f64 v[233:234], v[235:236], v[231:232]
	s_delay_alu instid0(VALU_DEP_1) | instskip(NEXT) | instid1(VALU_DEP_1)
	v_fma_f64 v[229:230], -v[229:230], v[233:234], v[235:236]
	v_div_fmas_f64 v[229:230], v[229:230], v[231:232], v[233:234]
	s_delay_alu instid0(VALU_DEP_1) | instskip(NEXT) | instid1(VALU_DEP_1)
	v_div_fixup_f64 v[229:230], v[229:230], v[212:213], v[214:215]
	v_fma_f64 v[212:213], v[214:215], v[229:230], v[212:213]
	s_delay_alu instid0(VALU_DEP_1) | instskip(NEXT) | instid1(VALU_DEP_1)
	v_div_scale_f64 v[214:215], null, v[212:213], v[212:213], 1.0
	v_rcp_f64_e32 v[231:232], v[214:215]
	s_waitcnt_depctr 0xfff
	v_fma_f64 v[233:234], -v[214:215], v[231:232], 1.0
	s_delay_alu instid0(VALU_DEP_1) | instskip(NEXT) | instid1(VALU_DEP_1)
	v_fma_f64 v[231:232], v[231:232], v[233:234], v[231:232]
	v_fma_f64 v[233:234], -v[214:215], v[231:232], 1.0
	s_delay_alu instid0(VALU_DEP_1) | instskip(SKIP_1) | instid1(VALU_DEP_1)
	v_fma_f64 v[231:232], v[231:232], v[233:234], v[231:232]
	v_div_scale_f64 v[233:234], vcc_lo, 1.0, v[212:213], 1.0
	v_mul_f64 v[235:236], v[233:234], v[231:232]
	s_delay_alu instid0(VALU_DEP_1) | instskip(NEXT) | instid1(VALU_DEP_1)
	v_fma_f64 v[214:215], -v[214:215], v[235:236], v[233:234]
	v_div_fmas_f64 v[214:215], v[214:215], v[231:232], v[235:236]
	s_delay_alu instid0(VALU_DEP_1) | instskip(NEXT) | instid1(VALU_DEP_1)
	v_div_fixup_f64 v[212:213], v[214:215], v[212:213], 1.0
	v_mul_f64 v[214:215], v[229:230], -v[212:213]
.LBB104_429:
	s_or_b32 exec_lo, exec_lo, s2
.LBB104_430:
	s_delay_alu instid0(SALU_CYCLE_1) | instskip(NEXT) | instid1(SALU_CYCLE_1)
	s_or_b32 exec_lo, exec_lo, s3
	s_mov_b32 s2, exec_lo
	v_cmpx_ne_u32_e64 v228, v220
	s_xor_b32 s2, exec_lo, s2
	s_cbranch_execz .LBB104_436
; %bb.431:
	s_mov_b32 s3, exec_lo
	v_cmpx_eq_u32_e32 20, v228
	s_cbranch_execz .LBB104_435
; %bb.432:
	v_cmp_ne_u32_e32 vcc_lo, 20, v220
	s_xor_b32 s6, s4, -1
	s_delay_alu instid0(SALU_CYCLE_1) | instskip(NEXT) | instid1(SALU_CYCLE_1)
	s_and_b32 s7, s6, vcc_lo
	s_and_saveexec_b32 s6, s7
	s_cbranch_execz .LBB104_434
; %bb.433:
	v_ashrrev_i32_e32 v221, 31, v220
	s_delay_alu instid0(VALU_DEP_1) | instskip(NEXT) | instid1(VALU_DEP_1)
	v_lshlrev_b64 v[227:228], 2, v[220:221]
	v_add_co_u32 v227, vcc_lo, v218, v227
	s_delay_alu instid0(VALU_DEP_2)
	v_add_co_ci_u32_e32 v228, vcc_lo, v219, v228, vcc_lo
	s_clause 0x1
	flat_load_b32 v221, v[227:228]
	flat_load_b32 v229, v[218:219] offset:80
	s_waitcnt vmcnt(1) lgkmcnt(1)
	flat_store_b32 v[218:219], v221 offset:80
	s_waitcnt vmcnt(0) lgkmcnt(1)
	flat_store_b32 v[227:228], v229
.LBB104_434:
	s_or_b32 exec_lo, exec_lo, s6
	v_mov_b32_e32 v228, v220
	v_mov_b32_e32 v227, v220
.LBB104_435:
	s_or_b32 exec_lo, exec_lo, s3
.LBB104_436:
	s_and_not1_saveexec_b32 s2, s2
	s_cbranch_execz .LBB104_438
; %bb.437:
	v_mov_b32_e32 v228, 20
	ds_store_2addr_b64 v222, v[124:125], v[126:127] offset0:42 offset1:43
	ds_store_2addr_b64 v222, v[120:121], v[122:123] offset0:44 offset1:45
	;; [unrolled: 1-line block ×32, first 2 shown]
.LBB104_438:
	s_or_b32 exec_lo, exec_lo, s2
	s_delay_alu instid0(SALU_CYCLE_1)
	s_mov_b32 s2, exec_lo
	s_waitcnt lgkmcnt(0)
	s_waitcnt_vscnt null, 0x0
	s_barrier
	buffer_gl0_inv
	v_cmpx_lt_i32_e32 20, v228
	s_cbranch_execz .LBB104_440
; %bb.439:
	v_mul_f64 v[220:221], v[214:215], v[130:131]
	v_mul_f64 v[130:131], v[212:213], v[130:131]
	s_delay_alu instid0(VALU_DEP_2) | instskip(NEXT) | instid1(VALU_DEP_2)
	v_fma_f64 v[220:221], v[212:213], v[128:129], -v[220:221]
	v_fma_f64 v[130:131], v[214:215], v[128:129], v[130:131]
	ds_load_2addr_b64 v[212:215], v222 offset0:42 offset1:43
	s_waitcnt lgkmcnt(0)
	v_mul_f64 v[128:129], v[214:215], v[130:131]
	s_delay_alu instid0(VALU_DEP_1) | instskip(SKIP_1) | instid1(VALU_DEP_2)
	v_fma_f64 v[128:129], v[212:213], v[220:221], -v[128:129]
	v_mul_f64 v[212:213], v[212:213], v[130:131]
	v_add_f64 v[124:125], v[124:125], -v[128:129]
	s_delay_alu instid0(VALU_DEP_2) | instskip(NEXT) | instid1(VALU_DEP_1)
	v_fma_f64 v[212:213], v[214:215], v[220:221], v[212:213]
	v_add_f64 v[126:127], v[126:127], -v[212:213]
	ds_load_2addr_b64 v[212:215], v222 offset0:44 offset1:45
	s_waitcnt lgkmcnt(0)
	v_mul_f64 v[128:129], v[214:215], v[130:131]
	s_delay_alu instid0(VALU_DEP_1) | instskip(SKIP_1) | instid1(VALU_DEP_2)
	v_fma_f64 v[128:129], v[212:213], v[220:221], -v[128:129]
	v_mul_f64 v[212:213], v[212:213], v[130:131]
	v_add_f64 v[120:121], v[120:121], -v[128:129]
	s_delay_alu instid0(VALU_DEP_2) | instskip(NEXT) | instid1(VALU_DEP_1)
	v_fma_f64 v[212:213], v[214:215], v[220:221], v[212:213]
	v_add_f64 v[122:123], v[122:123], -v[212:213]
	;; [unrolled: 10-line block ×31, first 2 shown]
	ds_load_2addr_b64 v[212:215], v222 offset0:104 offset1:105
	s_waitcnt lgkmcnt(0)
	v_mul_f64 v[128:129], v[214:215], v[130:131]
	s_delay_alu instid0(VALU_DEP_1) | instskip(SKIP_1) | instid1(VALU_DEP_2)
	v_fma_f64 v[128:129], v[212:213], v[220:221], -v[128:129]
	v_mul_f64 v[212:213], v[212:213], v[130:131]
	v_add_f64 v[0:1], v[0:1], -v[128:129]
	s_delay_alu instid0(VALU_DEP_2) | instskip(SKIP_1) | instid1(VALU_DEP_2)
	v_fma_f64 v[212:213], v[214:215], v[220:221], v[212:213]
	v_dual_mov_b32 v128, v220 :: v_dual_mov_b32 v129, v221
	v_add_f64 v[2:3], v[2:3], -v[212:213]
.LBB104_440:
	s_or_b32 exec_lo, exec_lo, s2
	v_lshl_add_u32 v212, v228, 4, v222
	s_barrier
	buffer_gl0_inv
	v_mov_b32_e32 v220, 21
	ds_store_2addr_b64 v212, v[124:125], v[126:127] offset1:1
	s_waitcnt lgkmcnt(0)
	s_barrier
	buffer_gl0_inv
	ds_load_2addr_b64 v[212:215], v222 offset0:42 offset1:43
	s_cmp_lt_i32 s5, 23
	s_cbranch_scc1 .LBB104_443
; %bb.441:
	v_add3_u32 v221, v226, 0, 0x160
	v_mov_b32_e32 v220, 21
	s_mov_b32 s6, 22
	s_set_inst_prefetch_distance 0x1
	.p2align	6
.LBB104_442:                            ; =>This Inner Loop Header: Depth=1
	ds_load_2addr_b64 v[229:232], v221 offset1:1
	s_waitcnt lgkmcnt(1)
	v_cmp_gt_f64_e32 vcc_lo, 0, v[212:213]
	v_xor_b32_e32 v233, 0x80000000, v213
	v_cmp_gt_f64_e64 s2, 0, v[214:215]
	v_xor_b32_e32 v235, 0x80000000, v215
	v_add_nc_u32_e32 v221, 16, v221
	s_waitcnt lgkmcnt(0)
	v_cmp_gt_f64_e64 s3, 0, v[229:230]
	v_mov_b32_e32 v237, v229
	v_dual_mov_b32 v239, v231 :: v_dual_cndmask_b32 v234, v213, v233
	v_xor_b32_e32 v233, 0x80000000, v230
	v_cndmask_b32_e64 v236, v215, v235, s2
	v_xor_b32_e32 v235, 0x80000000, v232
	s_delay_alu instid0(VALU_DEP_3) | instskip(SKIP_2) | instid1(VALU_DEP_2)
	v_cndmask_b32_e64 v238, v230, v233, s3
	v_cmp_gt_f64_e64 s3, 0, v[231:232]
	v_cndmask_b32_e32 v233, v212, v212, vcc_lo
	v_cndmask_b32_e64 v240, v232, v235, s3
	v_cndmask_b32_e64 v235, v214, v214, s2
	s_delay_alu instid0(VALU_DEP_2) | instskip(NEXT) | instid1(VALU_DEP_2)
	v_add_f64 v[237:238], v[237:238], v[239:240]
	v_add_f64 v[233:234], v[233:234], v[235:236]
	s_delay_alu instid0(VALU_DEP_1) | instskip(SKIP_4) | instid1(SALU_CYCLE_1)
	v_cmp_lt_f64_e32 vcc_lo, v[233:234], v[237:238]
	v_dual_cndmask_b32 v214, v214, v231 :: v_dual_cndmask_b32 v213, v213, v230
	v_dual_cndmask_b32 v212, v212, v229 :: v_dual_cndmask_b32 v215, v215, v232
	v_cndmask_b32_e64 v220, v220, s6, vcc_lo
	s_add_i32 s6, s6, 1
	s_cmp_lg_u32 s5, s6
	s_cbranch_scc1 .LBB104_442
.LBB104_443:
	s_set_inst_prefetch_distance 0x2
	s_waitcnt lgkmcnt(0)
	v_cmp_eq_f64_e32 vcc_lo, 0, v[212:213]
	v_cmp_eq_f64_e64 s2, 0, v[214:215]
	s_delay_alu instid0(VALU_DEP_1) | instskip(NEXT) | instid1(SALU_CYCLE_1)
	s_and_b32 s2, vcc_lo, s2
	s_and_saveexec_b32 s3, s2
	s_delay_alu instid0(SALU_CYCLE_1)
	s_xor_b32 s2, exec_lo, s3
; %bb.444:
	v_cmp_ne_u32_e32 vcc_lo, 0, v225
	v_cndmask_b32_e32 v225, 22, v225, vcc_lo
; %bb.445:
	s_and_not1_saveexec_b32 s3, s2
	s_cbranch_execz .LBB104_451
; %bb.446:
	v_cmp_gt_f64_e32 vcc_lo, 0, v[212:213]
	v_cmp_gt_f64_e64 s2, 0, v[214:215]
	v_xor_b32_e32 v221, 0x80000000, v213
	v_xor_b32_e32 v229, 0x80000000, v215
	s_delay_alu instid0(VALU_DEP_2) | instskip(NEXT) | instid1(VALU_DEP_2)
	v_cndmask_b32_e32 v230, v213, v221, vcc_lo
	v_cndmask_b32_e64 v232, v215, v229, s2
	v_cndmask_b32_e32 v229, v212, v212, vcc_lo
	v_cndmask_b32_e64 v231, v214, v214, s2
	s_mov_b32 s2, exec_lo
	s_delay_alu instid0(VALU_DEP_1)
	v_cmpx_ngt_f64_e32 v[229:230], v[231:232]
	s_xor_b32 s2, exec_lo, s2
	s_cbranch_execz .LBB104_448
; %bb.447:
	v_div_scale_f64 v[229:230], null, v[214:215], v[214:215], v[212:213]
	v_div_scale_f64 v[235:236], vcc_lo, v[212:213], v[214:215], v[212:213]
	s_delay_alu instid0(VALU_DEP_2) | instskip(SKIP_2) | instid1(VALU_DEP_1)
	v_rcp_f64_e32 v[231:232], v[229:230]
	s_waitcnt_depctr 0xfff
	v_fma_f64 v[233:234], -v[229:230], v[231:232], 1.0
	v_fma_f64 v[231:232], v[231:232], v[233:234], v[231:232]
	s_delay_alu instid0(VALU_DEP_1) | instskip(NEXT) | instid1(VALU_DEP_1)
	v_fma_f64 v[233:234], -v[229:230], v[231:232], 1.0
	v_fma_f64 v[231:232], v[231:232], v[233:234], v[231:232]
	s_delay_alu instid0(VALU_DEP_1) | instskip(NEXT) | instid1(VALU_DEP_1)
	v_mul_f64 v[233:234], v[235:236], v[231:232]
	v_fma_f64 v[229:230], -v[229:230], v[233:234], v[235:236]
	s_delay_alu instid0(VALU_DEP_1) | instskip(NEXT) | instid1(VALU_DEP_1)
	v_div_fmas_f64 v[229:230], v[229:230], v[231:232], v[233:234]
	v_div_fixup_f64 v[229:230], v[229:230], v[214:215], v[212:213]
	s_delay_alu instid0(VALU_DEP_1) | instskip(NEXT) | instid1(VALU_DEP_1)
	v_fma_f64 v[212:213], v[212:213], v[229:230], v[214:215]
	v_div_scale_f64 v[214:215], null, v[212:213], v[212:213], 1.0
	s_delay_alu instid0(VALU_DEP_1) | instskip(SKIP_2) | instid1(VALU_DEP_1)
	v_rcp_f64_e32 v[231:232], v[214:215]
	s_waitcnt_depctr 0xfff
	v_fma_f64 v[233:234], -v[214:215], v[231:232], 1.0
	v_fma_f64 v[231:232], v[231:232], v[233:234], v[231:232]
	s_delay_alu instid0(VALU_DEP_1) | instskip(NEXT) | instid1(VALU_DEP_1)
	v_fma_f64 v[233:234], -v[214:215], v[231:232], 1.0
	v_fma_f64 v[231:232], v[231:232], v[233:234], v[231:232]
	v_div_scale_f64 v[233:234], vcc_lo, 1.0, v[212:213], 1.0
	s_delay_alu instid0(VALU_DEP_1) | instskip(NEXT) | instid1(VALU_DEP_1)
	v_mul_f64 v[235:236], v[233:234], v[231:232]
	v_fma_f64 v[214:215], -v[214:215], v[235:236], v[233:234]
	s_delay_alu instid0(VALU_DEP_1) | instskip(NEXT) | instid1(VALU_DEP_1)
	v_div_fmas_f64 v[214:215], v[214:215], v[231:232], v[235:236]
	v_div_fixup_f64 v[214:215], v[214:215], v[212:213], 1.0
	s_delay_alu instid0(VALU_DEP_1)
	v_mul_f64 v[212:213], v[229:230], v[214:215]
	v_xor_b32_e32 v215, 0x80000000, v215
.LBB104_448:
	s_and_not1_saveexec_b32 s2, s2
	s_cbranch_execz .LBB104_450
; %bb.449:
	s_delay_alu instid0(VALU_DEP_1) | instskip(SKIP_1) | instid1(VALU_DEP_2)
	v_div_scale_f64 v[229:230], null, v[212:213], v[212:213], v[214:215]
	v_div_scale_f64 v[235:236], vcc_lo, v[214:215], v[212:213], v[214:215]
	v_rcp_f64_e32 v[231:232], v[229:230]
	s_waitcnt_depctr 0xfff
	v_fma_f64 v[233:234], -v[229:230], v[231:232], 1.0
	s_delay_alu instid0(VALU_DEP_1) | instskip(NEXT) | instid1(VALU_DEP_1)
	v_fma_f64 v[231:232], v[231:232], v[233:234], v[231:232]
	v_fma_f64 v[233:234], -v[229:230], v[231:232], 1.0
	s_delay_alu instid0(VALU_DEP_1) | instskip(NEXT) | instid1(VALU_DEP_1)
	v_fma_f64 v[231:232], v[231:232], v[233:234], v[231:232]
	v_mul_f64 v[233:234], v[235:236], v[231:232]
	s_delay_alu instid0(VALU_DEP_1) | instskip(NEXT) | instid1(VALU_DEP_1)
	v_fma_f64 v[229:230], -v[229:230], v[233:234], v[235:236]
	v_div_fmas_f64 v[229:230], v[229:230], v[231:232], v[233:234]
	s_delay_alu instid0(VALU_DEP_1) | instskip(NEXT) | instid1(VALU_DEP_1)
	v_div_fixup_f64 v[229:230], v[229:230], v[212:213], v[214:215]
	v_fma_f64 v[212:213], v[214:215], v[229:230], v[212:213]
	s_delay_alu instid0(VALU_DEP_1) | instskip(NEXT) | instid1(VALU_DEP_1)
	v_div_scale_f64 v[214:215], null, v[212:213], v[212:213], 1.0
	v_rcp_f64_e32 v[231:232], v[214:215]
	s_waitcnt_depctr 0xfff
	v_fma_f64 v[233:234], -v[214:215], v[231:232], 1.0
	s_delay_alu instid0(VALU_DEP_1) | instskip(NEXT) | instid1(VALU_DEP_1)
	v_fma_f64 v[231:232], v[231:232], v[233:234], v[231:232]
	v_fma_f64 v[233:234], -v[214:215], v[231:232], 1.0
	s_delay_alu instid0(VALU_DEP_1) | instskip(SKIP_1) | instid1(VALU_DEP_1)
	v_fma_f64 v[231:232], v[231:232], v[233:234], v[231:232]
	v_div_scale_f64 v[233:234], vcc_lo, 1.0, v[212:213], 1.0
	v_mul_f64 v[235:236], v[233:234], v[231:232]
	s_delay_alu instid0(VALU_DEP_1) | instskip(NEXT) | instid1(VALU_DEP_1)
	v_fma_f64 v[214:215], -v[214:215], v[235:236], v[233:234]
	v_div_fmas_f64 v[214:215], v[214:215], v[231:232], v[235:236]
	s_delay_alu instid0(VALU_DEP_1) | instskip(NEXT) | instid1(VALU_DEP_1)
	v_div_fixup_f64 v[212:213], v[214:215], v[212:213], 1.0
	v_mul_f64 v[214:215], v[229:230], -v[212:213]
.LBB104_450:
	s_or_b32 exec_lo, exec_lo, s2
.LBB104_451:
	s_delay_alu instid0(SALU_CYCLE_1) | instskip(NEXT) | instid1(SALU_CYCLE_1)
	s_or_b32 exec_lo, exec_lo, s3
	s_mov_b32 s2, exec_lo
	v_cmpx_ne_u32_e64 v228, v220
	s_xor_b32 s2, exec_lo, s2
	s_cbranch_execz .LBB104_457
; %bb.452:
	s_mov_b32 s3, exec_lo
	v_cmpx_eq_u32_e32 21, v228
	s_cbranch_execz .LBB104_456
; %bb.453:
	v_cmp_ne_u32_e32 vcc_lo, 21, v220
	s_xor_b32 s6, s4, -1
	s_delay_alu instid0(SALU_CYCLE_1) | instskip(NEXT) | instid1(SALU_CYCLE_1)
	s_and_b32 s7, s6, vcc_lo
	s_and_saveexec_b32 s6, s7
	s_cbranch_execz .LBB104_455
; %bb.454:
	v_ashrrev_i32_e32 v221, 31, v220
	s_delay_alu instid0(VALU_DEP_1) | instskip(NEXT) | instid1(VALU_DEP_1)
	v_lshlrev_b64 v[227:228], 2, v[220:221]
	v_add_co_u32 v227, vcc_lo, v218, v227
	s_delay_alu instid0(VALU_DEP_2)
	v_add_co_ci_u32_e32 v228, vcc_lo, v219, v228, vcc_lo
	s_clause 0x1
	flat_load_b32 v221, v[227:228]
	flat_load_b32 v229, v[218:219] offset:84
	s_waitcnt vmcnt(1) lgkmcnt(1)
	flat_store_b32 v[218:219], v221 offset:84
	s_waitcnt vmcnt(0) lgkmcnt(1)
	flat_store_b32 v[227:228], v229
.LBB104_455:
	s_or_b32 exec_lo, exec_lo, s6
	v_mov_b32_e32 v228, v220
	v_mov_b32_e32 v227, v220
.LBB104_456:
	s_or_b32 exec_lo, exec_lo, s3
.LBB104_457:
	s_and_not1_saveexec_b32 s2, s2
	s_cbranch_execz .LBB104_459
; %bb.458:
	v_mov_b32_e32 v228, 21
	ds_store_2addr_b64 v222, v[120:121], v[122:123] offset0:44 offset1:45
	ds_store_2addr_b64 v222, v[116:117], v[118:119] offset0:46 offset1:47
	;; [unrolled: 1-line block ×31, first 2 shown]
.LBB104_459:
	s_or_b32 exec_lo, exec_lo, s2
	s_delay_alu instid0(SALU_CYCLE_1)
	s_mov_b32 s2, exec_lo
	s_waitcnt lgkmcnt(0)
	s_waitcnt_vscnt null, 0x0
	s_barrier
	buffer_gl0_inv
	v_cmpx_lt_i32_e32 21, v228
	s_cbranch_execz .LBB104_461
; %bb.460:
	v_mul_f64 v[220:221], v[214:215], v[126:127]
	v_mul_f64 v[126:127], v[212:213], v[126:127]
	s_delay_alu instid0(VALU_DEP_2) | instskip(NEXT) | instid1(VALU_DEP_2)
	v_fma_f64 v[220:221], v[212:213], v[124:125], -v[220:221]
	v_fma_f64 v[126:127], v[214:215], v[124:125], v[126:127]
	ds_load_2addr_b64 v[212:215], v222 offset0:44 offset1:45
	s_waitcnt lgkmcnt(0)
	v_mul_f64 v[124:125], v[214:215], v[126:127]
	s_delay_alu instid0(VALU_DEP_1) | instskip(SKIP_1) | instid1(VALU_DEP_2)
	v_fma_f64 v[124:125], v[212:213], v[220:221], -v[124:125]
	v_mul_f64 v[212:213], v[212:213], v[126:127]
	v_add_f64 v[120:121], v[120:121], -v[124:125]
	s_delay_alu instid0(VALU_DEP_2) | instskip(NEXT) | instid1(VALU_DEP_1)
	v_fma_f64 v[212:213], v[214:215], v[220:221], v[212:213]
	v_add_f64 v[122:123], v[122:123], -v[212:213]
	ds_load_2addr_b64 v[212:215], v222 offset0:46 offset1:47
	s_waitcnt lgkmcnt(0)
	v_mul_f64 v[124:125], v[214:215], v[126:127]
	s_delay_alu instid0(VALU_DEP_1) | instskip(SKIP_1) | instid1(VALU_DEP_2)
	v_fma_f64 v[124:125], v[212:213], v[220:221], -v[124:125]
	v_mul_f64 v[212:213], v[212:213], v[126:127]
	v_add_f64 v[116:117], v[116:117], -v[124:125]
	s_delay_alu instid0(VALU_DEP_2) | instskip(NEXT) | instid1(VALU_DEP_1)
	v_fma_f64 v[212:213], v[214:215], v[220:221], v[212:213]
	v_add_f64 v[118:119], v[118:119], -v[212:213]
	;; [unrolled: 10-line block ×30, first 2 shown]
	ds_load_2addr_b64 v[212:215], v222 offset0:104 offset1:105
	s_waitcnt lgkmcnt(0)
	v_mul_f64 v[124:125], v[214:215], v[126:127]
	s_delay_alu instid0(VALU_DEP_1) | instskip(SKIP_1) | instid1(VALU_DEP_2)
	v_fma_f64 v[124:125], v[212:213], v[220:221], -v[124:125]
	v_mul_f64 v[212:213], v[212:213], v[126:127]
	v_add_f64 v[0:1], v[0:1], -v[124:125]
	s_delay_alu instid0(VALU_DEP_2) | instskip(SKIP_1) | instid1(VALU_DEP_2)
	v_fma_f64 v[212:213], v[214:215], v[220:221], v[212:213]
	v_dual_mov_b32 v124, v220 :: v_dual_mov_b32 v125, v221
	v_add_f64 v[2:3], v[2:3], -v[212:213]
.LBB104_461:
	s_or_b32 exec_lo, exec_lo, s2
	v_lshl_add_u32 v212, v228, 4, v222
	s_barrier
	buffer_gl0_inv
	v_mov_b32_e32 v220, 22
	ds_store_2addr_b64 v212, v[120:121], v[122:123] offset1:1
	s_waitcnt lgkmcnt(0)
	s_barrier
	buffer_gl0_inv
	ds_load_2addr_b64 v[212:215], v222 offset0:44 offset1:45
	s_cmp_lt_i32 s5, 24
	s_cbranch_scc1 .LBB104_464
; %bb.462:
	v_add3_u32 v221, v226, 0, 0x170
	v_mov_b32_e32 v220, 22
	s_mov_b32 s6, 23
	s_set_inst_prefetch_distance 0x1
	.p2align	6
.LBB104_463:                            ; =>This Inner Loop Header: Depth=1
	ds_load_2addr_b64 v[229:232], v221 offset1:1
	s_waitcnt lgkmcnt(1)
	v_cmp_gt_f64_e32 vcc_lo, 0, v[212:213]
	v_xor_b32_e32 v233, 0x80000000, v213
	v_cmp_gt_f64_e64 s2, 0, v[214:215]
	v_xor_b32_e32 v235, 0x80000000, v215
	v_add_nc_u32_e32 v221, 16, v221
	s_waitcnt lgkmcnt(0)
	v_cmp_gt_f64_e64 s3, 0, v[229:230]
	v_mov_b32_e32 v237, v229
	v_dual_mov_b32 v239, v231 :: v_dual_cndmask_b32 v234, v213, v233
	v_xor_b32_e32 v233, 0x80000000, v230
	v_cndmask_b32_e64 v236, v215, v235, s2
	v_xor_b32_e32 v235, 0x80000000, v232
	s_delay_alu instid0(VALU_DEP_3) | instskip(SKIP_2) | instid1(VALU_DEP_2)
	v_cndmask_b32_e64 v238, v230, v233, s3
	v_cmp_gt_f64_e64 s3, 0, v[231:232]
	v_cndmask_b32_e32 v233, v212, v212, vcc_lo
	v_cndmask_b32_e64 v240, v232, v235, s3
	v_cndmask_b32_e64 v235, v214, v214, s2
	s_delay_alu instid0(VALU_DEP_2) | instskip(NEXT) | instid1(VALU_DEP_2)
	v_add_f64 v[237:238], v[237:238], v[239:240]
	v_add_f64 v[233:234], v[233:234], v[235:236]
	s_delay_alu instid0(VALU_DEP_1) | instskip(SKIP_4) | instid1(SALU_CYCLE_1)
	v_cmp_lt_f64_e32 vcc_lo, v[233:234], v[237:238]
	v_dual_cndmask_b32 v214, v214, v231 :: v_dual_cndmask_b32 v213, v213, v230
	v_dual_cndmask_b32 v212, v212, v229 :: v_dual_cndmask_b32 v215, v215, v232
	v_cndmask_b32_e64 v220, v220, s6, vcc_lo
	s_add_i32 s6, s6, 1
	s_cmp_lg_u32 s5, s6
	s_cbranch_scc1 .LBB104_463
.LBB104_464:
	s_set_inst_prefetch_distance 0x2
	s_waitcnt lgkmcnt(0)
	v_cmp_eq_f64_e32 vcc_lo, 0, v[212:213]
	v_cmp_eq_f64_e64 s2, 0, v[214:215]
	s_delay_alu instid0(VALU_DEP_1) | instskip(NEXT) | instid1(SALU_CYCLE_1)
	s_and_b32 s2, vcc_lo, s2
	s_and_saveexec_b32 s3, s2
	s_delay_alu instid0(SALU_CYCLE_1)
	s_xor_b32 s2, exec_lo, s3
; %bb.465:
	v_cmp_ne_u32_e32 vcc_lo, 0, v225
	v_cndmask_b32_e32 v225, 23, v225, vcc_lo
; %bb.466:
	s_and_not1_saveexec_b32 s3, s2
	s_cbranch_execz .LBB104_472
; %bb.467:
	v_cmp_gt_f64_e32 vcc_lo, 0, v[212:213]
	v_cmp_gt_f64_e64 s2, 0, v[214:215]
	v_xor_b32_e32 v221, 0x80000000, v213
	v_xor_b32_e32 v229, 0x80000000, v215
	s_delay_alu instid0(VALU_DEP_2) | instskip(NEXT) | instid1(VALU_DEP_2)
	v_cndmask_b32_e32 v230, v213, v221, vcc_lo
	v_cndmask_b32_e64 v232, v215, v229, s2
	v_cndmask_b32_e32 v229, v212, v212, vcc_lo
	v_cndmask_b32_e64 v231, v214, v214, s2
	s_mov_b32 s2, exec_lo
	s_delay_alu instid0(VALU_DEP_1)
	v_cmpx_ngt_f64_e32 v[229:230], v[231:232]
	s_xor_b32 s2, exec_lo, s2
	s_cbranch_execz .LBB104_469
; %bb.468:
	v_div_scale_f64 v[229:230], null, v[214:215], v[214:215], v[212:213]
	v_div_scale_f64 v[235:236], vcc_lo, v[212:213], v[214:215], v[212:213]
	s_delay_alu instid0(VALU_DEP_2) | instskip(SKIP_2) | instid1(VALU_DEP_1)
	v_rcp_f64_e32 v[231:232], v[229:230]
	s_waitcnt_depctr 0xfff
	v_fma_f64 v[233:234], -v[229:230], v[231:232], 1.0
	v_fma_f64 v[231:232], v[231:232], v[233:234], v[231:232]
	s_delay_alu instid0(VALU_DEP_1) | instskip(NEXT) | instid1(VALU_DEP_1)
	v_fma_f64 v[233:234], -v[229:230], v[231:232], 1.0
	v_fma_f64 v[231:232], v[231:232], v[233:234], v[231:232]
	s_delay_alu instid0(VALU_DEP_1) | instskip(NEXT) | instid1(VALU_DEP_1)
	v_mul_f64 v[233:234], v[235:236], v[231:232]
	v_fma_f64 v[229:230], -v[229:230], v[233:234], v[235:236]
	s_delay_alu instid0(VALU_DEP_1) | instskip(NEXT) | instid1(VALU_DEP_1)
	v_div_fmas_f64 v[229:230], v[229:230], v[231:232], v[233:234]
	v_div_fixup_f64 v[229:230], v[229:230], v[214:215], v[212:213]
	s_delay_alu instid0(VALU_DEP_1) | instskip(NEXT) | instid1(VALU_DEP_1)
	v_fma_f64 v[212:213], v[212:213], v[229:230], v[214:215]
	v_div_scale_f64 v[214:215], null, v[212:213], v[212:213], 1.0
	s_delay_alu instid0(VALU_DEP_1) | instskip(SKIP_2) | instid1(VALU_DEP_1)
	v_rcp_f64_e32 v[231:232], v[214:215]
	s_waitcnt_depctr 0xfff
	v_fma_f64 v[233:234], -v[214:215], v[231:232], 1.0
	v_fma_f64 v[231:232], v[231:232], v[233:234], v[231:232]
	s_delay_alu instid0(VALU_DEP_1) | instskip(NEXT) | instid1(VALU_DEP_1)
	v_fma_f64 v[233:234], -v[214:215], v[231:232], 1.0
	v_fma_f64 v[231:232], v[231:232], v[233:234], v[231:232]
	v_div_scale_f64 v[233:234], vcc_lo, 1.0, v[212:213], 1.0
	s_delay_alu instid0(VALU_DEP_1) | instskip(NEXT) | instid1(VALU_DEP_1)
	v_mul_f64 v[235:236], v[233:234], v[231:232]
	v_fma_f64 v[214:215], -v[214:215], v[235:236], v[233:234]
	s_delay_alu instid0(VALU_DEP_1) | instskip(NEXT) | instid1(VALU_DEP_1)
	v_div_fmas_f64 v[214:215], v[214:215], v[231:232], v[235:236]
	v_div_fixup_f64 v[214:215], v[214:215], v[212:213], 1.0
	s_delay_alu instid0(VALU_DEP_1)
	v_mul_f64 v[212:213], v[229:230], v[214:215]
	v_xor_b32_e32 v215, 0x80000000, v215
.LBB104_469:
	s_and_not1_saveexec_b32 s2, s2
	s_cbranch_execz .LBB104_471
; %bb.470:
	s_delay_alu instid0(VALU_DEP_1) | instskip(SKIP_1) | instid1(VALU_DEP_2)
	v_div_scale_f64 v[229:230], null, v[212:213], v[212:213], v[214:215]
	v_div_scale_f64 v[235:236], vcc_lo, v[214:215], v[212:213], v[214:215]
	v_rcp_f64_e32 v[231:232], v[229:230]
	s_waitcnt_depctr 0xfff
	v_fma_f64 v[233:234], -v[229:230], v[231:232], 1.0
	s_delay_alu instid0(VALU_DEP_1) | instskip(NEXT) | instid1(VALU_DEP_1)
	v_fma_f64 v[231:232], v[231:232], v[233:234], v[231:232]
	v_fma_f64 v[233:234], -v[229:230], v[231:232], 1.0
	s_delay_alu instid0(VALU_DEP_1) | instskip(NEXT) | instid1(VALU_DEP_1)
	v_fma_f64 v[231:232], v[231:232], v[233:234], v[231:232]
	v_mul_f64 v[233:234], v[235:236], v[231:232]
	s_delay_alu instid0(VALU_DEP_1) | instskip(NEXT) | instid1(VALU_DEP_1)
	v_fma_f64 v[229:230], -v[229:230], v[233:234], v[235:236]
	v_div_fmas_f64 v[229:230], v[229:230], v[231:232], v[233:234]
	s_delay_alu instid0(VALU_DEP_1) | instskip(NEXT) | instid1(VALU_DEP_1)
	v_div_fixup_f64 v[229:230], v[229:230], v[212:213], v[214:215]
	v_fma_f64 v[212:213], v[214:215], v[229:230], v[212:213]
	s_delay_alu instid0(VALU_DEP_1) | instskip(NEXT) | instid1(VALU_DEP_1)
	v_div_scale_f64 v[214:215], null, v[212:213], v[212:213], 1.0
	v_rcp_f64_e32 v[231:232], v[214:215]
	s_waitcnt_depctr 0xfff
	v_fma_f64 v[233:234], -v[214:215], v[231:232], 1.0
	s_delay_alu instid0(VALU_DEP_1) | instskip(NEXT) | instid1(VALU_DEP_1)
	v_fma_f64 v[231:232], v[231:232], v[233:234], v[231:232]
	v_fma_f64 v[233:234], -v[214:215], v[231:232], 1.0
	s_delay_alu instid0(VALU_DEP_1) | instskip(SKIP_1) | instid1(VALU_DEP_1)
	v_fma_f64 v[231:232], v[231:232], v[233:234], v[231:232]
	v_div_scale_f64 v[233:234], vcc_lo, 1.0, v[212:213], 1.0
	v_mul_f64 v[235:236], v[233:234], v[231:232]
	s_delay_alu instid0(VALU_DEP_1) | instskip(NEXT) | instid1(VALU_DEP_1)
	v_fma_f64 v[214:215], -v[214:215], v[235:236], v[233:234]
	v_div_fmas_f64 v[214:215], v[214:215], v[231:232], v[235:236]
	s_delay_alu instid0(VALU_DEP_1) | instskip(NEXT) | instid1(VALU_DEP_1)
	v_div_fixup_f64 v[212:213], v[214:215], v[212:213], 1.0
	v_mul_f64 v[214:215], v[229:230], -v[212:213]
.LBB104_471:
	s_or_b32 exec_lo, exec_lo, s2
.LBB104_472:
	s_delay_alu instid0(SALU_CYCLE_1) | instskip(NEXT) | instid1(SALU_CYCLE_1)
	s_or_b32 exec_lo, exec_lo, s3
	s_mov_b32 s2, exec_lo
	v_cmpx_ne_u32_e64 v228, v220
	s_xor_b32 s2, exec_lo, s2
	s_cbranch_execz .LBB104_478
; %bb.473:
	s_mov_b32 s3, exec_lo
	v_cmpx_eq_u32_e32 22, v228
	s_cbranch_execz .LBB104_477
; %bb.474:
	v_cmp_ne_u32_e32 vcc_lo, 22, v220
	s_xor_b32 s6, s4, -1
	s_delay_alu instid0(SALU_CYCLE_1) | instskip(NEXT) | instid1(SALU_CYCLE_1)
	s_and_b32 s7, s6, vcc_lo
	s_and_saveexec_b32 s6, s7
	s_cbranch_execz .LBB104_476
; %bb.475:
	v_ashrrev_i32_e32 v221, 31, v220
	s_delay_alu instid0(VALU_DEP_1) | instskip(NEXT) | instid1(VALU_DEP_1)
	v_lshlrev_b64 v[227:228], 2, v[220:221]
	v_add_co_u32 v227, vcc_lo, v218, v227
	s_delay_alu instid0(VALU_DEP_2)
	v_add_co_ci_u32_e32 v228, vcc_lo, v219, v228, vcc_lo
	s_clause 0x1
	flat_load_b32 v221, v[227:228]
	flat_load_b32 v229, v[218:219] offset:88
	s_waitcnt vmcnt(1) lgkmcnt(1)
	flat_store_b32 v[218:219], v221 offset:88
	s_waitcnt vmcnt(0) lgkmcnt(1)
	flat_store_b32 v[227:228], v229
.LBB104_476:
	s_or_b32 exec_lo, exec_lo, s6
	v_mov_b32_e32 v228, v220
	v_mov_b32_e32 v227, v220
.LBB104_477:
	s_or_b32 exec_lo, exec_lo, s3
.LBB104_478:
	s_and_not1_saveexec_b32 s2, s2
	s_cbranch_execz .LBB104_480
; %bb.479:
	v_mov_b32_e32 v228, 22
	ds_store_2addr_b64 v222, v[116:117], v[118:119] offset0:46 offset1:47
	ds_store_2addr_b64 v222, v[112:113], v[114:115] offset0:48 offset1:49
	;; [unrolled: 1-line block ×30, first 2 shown]
.LBB104_480:
	s_or_b32 exec_lo, exec_lo, s2
	s_delay_alu instid0(SALU_CYCLE_1)
	s_mov_b32 s2, exec_lo
	s_waitcnt lgkmcnt(0)
	s_waitcnt_vscnt null, 0x0
	s_barrier
	buffer_gl0_inv
	v_cmpx_lt_i32_e32 22, v228
	s_cbranch_execz .LBB104_482
; %bb.481:
	v_mul_f64 v[220:221], v[214:215], v[122:123]
	v_mul_f64 v[122:123], v[212:213], v[122:123]
	s_delay_alu instid0(VALU_DEP_2) | instskip(NEXT) | instid1(VALU_DEP_2)
	v_fma_f64 v[220:221], v[212:213], v[120:121], -v[220:221]
	v_fma_f64 v[122:123], v[214:215], v[120:121], v[122:123]
	ds_load_2addr_b64 v[212:215], v222 offset0:46 offset1:47
	s_waitcnt lgkmcnt(0)
	v_mul_f64 v[120:121], v[214:215], v[122:123]
	s_delay_alu instid0(VALU_DEP_1) | instskip(SKIP_1) | instid1(VALU_DEP_2)
	v_fma_f64 v[120:121], v[212:213], v[220:221], -v[120:121]
	v_mul_f64 v[212:213], v[212:213], v[122:123]
	v_add_f64 v[116:117], v[116:117], -v[120:121]
	s_delay_alu instid0(VALU_DEP_2) | instskip(NEXT) | instid1(VALU_DEP_1)
	v_fma_f64 v[212:213], v[214:215], v[220:221], v[212:213]
	v_add_f64 v[118:119], v[118:119], -v[212:213]
	ds_load_2addr_b64 v[212:215], v222 offset0:48 offset1:49
	s_waitcnt lgkmcnt(0)
	v_mul_f64 v[120:121], v[214:215], v[122:123]
	s_delay_alu instid0(VALU_DEP_1) | instskip(SKIP_1) | instid1(VALU_DEP_2)
	v_fma_f64 v[120:121], v[212:213], v[220:221], -v[120:121]
	v_mul_f64 v[212:213], v[212:213], v[122:123]
	v_add_f64 v[112:113], v[112:113], -v[120:121]
	s_delay_alu instid0(VALU_DEP_2) | instskip(NEXT) | instid1(VALU_DEP_1)
	v_fma_f64 v[212:213], v[214:215], v[220:221], v[212:213]
	v_add_f64 v[114:115], v[114:115], -v[212:213]
	;; [unrolled: 10-line block ×29, first 2 shown]
	ds_load_2addr_b64 v[212:215], v222 offset0:104 offset1:105
	s_waitcnt lgkmcnt(0)
	v_mul_f64 v[120:121], v[214:215], v[122:123]
	s_delay_alu instid0(VALU_DEP_1) | instskip(SKIP_1) | instid1(VALU_DEP_2)
	v_fma_f64 v[120:121], v[212:213], v[220:221], -v[120:121]
	v_mul_f64 v[212:213], v[212:213], v[122:123]
	v_add_f64 v[0:1], v[0:1], -v[120:121]
	s_delay_alu instid0(VALU_DEP_2) | instskip(SKIP_1) | instid1(VALU_DEP_2)
	v_fma_f64 v[212:213], v[214:215], v[220:221], v[212:213]
	v_dual_mov_b32 v120, v220 :: v_dual_mov_b32 v121, v221
	v_add_f64 v[2:3], v[2:3], -v[212:213]
.LBB104_482:
	s_or_b32 exec_lo, exec_lo, s2
	v_lshl_add_u32 v212, v228, 4, v222
	s_barrier
	buffer_gl0_inv
	v_mov_b32_e32 v220, 23
	ds_store_2addr_b64 v212, v[116:117], v[118:119] offset1:1
	s_waitcnt lgkmcnt(0)
	s_barrier
	buffer_gl0_inv
	ds_load_2addr_b64 v[212:215], v222 offset0:46 offset1:47
	s_cmp_lt_i32 s5, 25
	s_cbranch_scc1 .LBB104_485
; %bb.483:
	v_add3_u32 v221, v226, 0, 0x180
	v_mov_b32_e32 v220, 23
	s_mov_b32 s6, 24
	s_set_inst_prefetch_distance 0x1
	.p2align	6
.LBB104_484:                            ; =>This Inner Loop Header: Depth=1
	ds_load_2addr_b64 v[229:232], v221 offset1:1
	s_waitcnt lgkmcnt(1)
	v_cmp_gt_f64_e32 vcc_lo, 0, v[212:213]
	v_xor_b32_e32 v233, 0x80000000, v213
	v_cmp_gt_f64_e64 s2, 0, v[214:215]
	v_xor_b32_e32 v235, 0x80000000, v215
	v_add_nc_u32_e32 v221, 16, v221
	s_waitcnt lgkmcnt(0)
	v_cmp_gt_f64_e64 s3, 0, v[229:230]
	v_mov_b32_e32 v237, v229
	v_dual_mov_b32 v239, v231 :: v_dual_cndmask_b32 v234, v213, v233
	v_xor_b32_e32 v233, 0x80000000, v230
	v_cndmask_b32_e64 v236, v215, v235, s2
	v_xor_b32_e32 v235, 0x80000000, v232
	s_delay_alu instid0(VALU_DEP_3) | instskip(SKIP_2) | instid1(VALU_DEP_2)
	v_cndmask_b32_e64 v238, v230, v233, s3
	v_cmp_gt_f64_e64 s3, 0, v[231:232]
	v_cndmask_b32_e32 v233, v212, v212, vcc_lo
	v_cndmask_b32_e64 v240, v232, v235, s3
	v_cndmask_b32_e64 v235, v214, v214, s2
	s_delay_alu instid0(VALU_DEP_2) | instskip(NEXT) | instid1(VALU_DEP_2)
	v_add_f64 v[237:238], v[237:238], v[239:240]
	v_add_f64 v[233:234], v[233:234], v[235:236]
	s_delay_alu instid0(VALU_DEP_1) | instskip(SKIP_4) | instid1(SALU_CYCLE_1)
	v_cmp_lt_f64_e32 vcc_lo, v[233:234], v[237:238]
	v_dual_cndmask_b32 v214, v214, v231 :: v_dual_cndmask_b32 v213, v213, v230
	v_dual_cndmask_b32 v212, v212, v229 :: v_dual_cndmask_b32 v215, v215, v232
	v_cndmask_b32_e64 v220, v220, s6, vcc_lo
	s_add_i32 s6, s6, 1
	s_cmp_lg_u32 s5, s6
	s_cbranch_scc1 .LBB104_484
.LBB104_485:
	s_set_inst_prefetch_distance 0x2
	s_waitcnt lgkmcnt(0)
	v_cmp_eq_f64_e32 vcc_lo, 0, v[212:213]
	v_cmp_eq_f64_e64 s2, 0, v[214:215]
	s_delay_alu instid0(VALU_DEP_1) | instskip(NEXT) | instid1(SALU_CYCLE_1)
	s_and_b32 s2, vcc_lo, s2
	s_and_saveexec_b32 s3, s2
	s_delay_alu instid0(SALU_CYCLE_1)
	s_xor_b32 s2, exec_lo, s3
; %bb.486:
	v_cmp_ne_u32_e32 vcc_lo, 0, v225
	v_cndmask_b32_e32 v225, 24, v225, vcc_lo
; %bb.487:
	s_and_not1_saveexec_b32 s3, s2
	s_cbranch_execz .LBB104_493
; %bb.488:
	v_cmp_gt_f64_e32 vcc_lo, 0, v[212:213]
	v_cmp_gt_f64_e64 s2, 0, v[214:215]
	v_xor_b32_e32 v221, 0x80000000, v213
	v_xor_b32_e32 v229, 0x80000000, v215
	s_delay_alu instid0(VALU_DEP_2) | instskip(NEXT) | instid1(VALU_DEP_2)
	v_cndmask_b32_e32 v230, v213, v221, vcc_lo
	v_cndmask_b32_e64 v232, v215, v229, s2
	v_cndmask_b32_e32 v229, v212, v212, vcc_lo
	v_cndmask_b32_e64 v231, v214, v214, s2
	s_mov_b32 s2, exec_lo
	s_delay_alu instid0(VALU_DEP_1)
	v_cmpx_ngt_f64_e32 v[229:230], v[231:232]
	s_xor_b32 s2, exec_lo, s2
	s_cbranch_execz .LBB104_490
; %bb.489:
	v_div_scale_f64 v[229:230], null, v[214:215], v[214:215], v[212:213]
	v_div_scale_f64 v[235:236], vcc_lo, v[212:213], v[214:215], v[212:213]
	s_delay_alu instid0(VALU_DEP_2) | instskip(SKIP_2) | instid1(VALU_DEP_1)
	v_rcp_f64_e32 v[231:232], v[229:230]
	s_waitcnt_depctr 0xfff
	v_fma_f64 v[233:234], -v[229:230], v[231:232], 1.0
	v_fma_f64 v[231:232], v[231:232], v[233:234], v[231:232]
	s_delay_alu instid0(VALU_DEP_1) | instskip(NEXT) | instid1(VALU_DEP_1)
	v_fma_f64 v[233:234], -v[229:230], v[231:232], 1.0
	v_fma_f64 v[231:232], v[231:232], v[233:234], v[231:232]
	s_delay_alu instid0(VALU_DEP_1) | instskip(NEXT) | instid1(VALU_DEP_1)
	v_mul_f64 v[233:234], v[235:236], v[231:232]
	v_fma_f64 v[229:230], -v[229:230], v[233:234], v[235:236]
	s_delay_alu instid0(VALU_DEP_1) | instskip(NEXT) | instid1(VALU_DEP_1)
	v_div_fmas_f64 v[229:230], v[229:230], v[231:232], v[233:234]
	v_div_fixup_f64 v[229:230], v[229:230], v[214:215], v[212:213]
	s_delay_alu instid0(VALU_DEP_1) | instskip(NEXT) | instid1(VALU_DEP_1)
	v_fma_f64 v[212:213], v[212:213], v[229:230], v[214:215]
	v_div_scale_f64 v[214:215], null, v[212:213], v[212:213], 1.0
	s_delay_alu instid0(VALU_DEP_1) | instskip(SKIP_2) | instid1(VALU_DEP_1)
	v_rcp_f64_e32 v[231:232], v[214:215]
	s_waitcnt_depctr 0xfff
	v_fma_f64 v[233:234], -v[214:215], v[231:232], 1.0
	v_fma_f64 v[231:232], v[231:232], v[233:234], v[231:232]
	s_delay_alu instid0(VALU_DEP_1) | instskip(NEXT) | instid1(VALU_DEP_1)
	v_fma_f64 v[233:234], -v[214:215], v[231:232], 1.0
	v_fma_f64 v[231:232], v[231:232], v[233:234], v[231:232]
	v_div_scale_f64 v[233:234], vcc_lo, 1.0, v[212:213], 1.0
	s_delay_alu instid0(VALU_DEP_1) | instskip(NEXT) | instid1(VALU_DEP_1)
	v_mul_f64 v[235:236], v[233:234], v[231:232]
	v_fma_f64 v[214:215], -v[214:215], v[235:236], v[233:234]
	s_delay_alu instid0(VALU_DEP_1) | instskip(NEXT) | instid1(VALU_DEP_1)
	v_div_fmas_f64 v[214:215], v[214:215], v[231:232], v[235:236]
	v_div_fixup_f64 v[214:215], v[214:215], v[212:213], 1.0
	s_delay_alu instid0(VALU_DEP_1)
	v_mul_f64 v[212:213], v[229:230], v[214:215]
	v_xor_b32_e32 v215, 0x80000000, v215
.LBB104_490:
	s_and_not1_saveexec_b32 s2, s2
	s_cbranch_execz .LBB104_492
; %bb.491:
	s_delay_alu instid0(VALU_DEP_1) | instskip(SKIP_1) | instid1(VALU_DEP_2)
	v_div_scale_f64 v[229:230], null, v[212:213], v[212:213], v[214:215]
	v_div_scale_f64 v[235:236], vcc_lo, v[214:215], v[212:213], v[214:215]
	v_rcp_f64_e32 v[231:232], v[229:230]
	s_waitcnt_depctr 0xfff
	v_fma_f64 v[233:234], -v[229:230], v[231:232], 1.0
	s_delay_alu instid0(VALU_DEP_1) | instskip(NEXT) | instid1(VALU_DEP_1)
	v_fma_f64 v[231:232], v[231:232], v[233:234], v[231:232]
	v_fma_f64 v[233:234], -v[229:230], v[231:232], 1.0
	s_delay_alu instid0(VALU_DEP_1) | instskip(NEXT) | instid1(VALU_DEP_1)
	v_fma_f64 v[231:232], v[231:232], v[233:234], v[231:232]
	v_mul_f64 v[233:234], v[235:236], v[231:232]
	s_delay_alu instid0(VALU_DEP_1) | instskip(NEXT) | instid1(VALU_DEP_1)
	v_fma_f64 v[229:230], -v[229:230], v[233:234], v[235:236]
	v_div_fmas_f64 v[229:230], v[229:230], v[231:232], v[233:234]
	s_delay_alu instid0(VALU_DEP_1) | instskip(NEXT) | instid1(VALU_DEP_1)
	v_div_fixup_f64 v[229:230], v[229:230], v[212:213], v[214:215]
	v_fma_f64 v[212:213], v[214:215], v[229:230], v[212:213]
	s_delay_alu instid0(VALU_DEP_1) | instskip(NEXT) | instid1(VALU_DEP_1)
	v_div_scale_f64 v[214:215], null, v[212:213], v[212:213], 1.0
	v_rcp_f64_e32 v[231:232], v[214:215]
	s_waitcnt_depctr 0xfff
	v_fma_f64 v[233:234], -v[214:215], v[231:232], 1.0
	s_delay_alu instid0(VALU_DEP_1) | instskip(NEXT) | instid1(VALU_DEP_1)
	v_fma_f64 v[231:232], v[231:232], v[233:234], v[231:232]
	v_fma_f64 v[233:234], -v[214:215], v[231:232], 1.0
	s_delay_alu instid0(VALU_DEP_1) | instskip(SKIP_1) | instid1(VALU_DEP_1)
	v_fma_f64 v[231:232], v[231:232], v[233:234], v[231:232]
	v_div_scale_f64 v[233:234], vcc_lo, 1.0, v[212:213], 1.0
	v_mul_f64 v[235:236], v[233:234], v[231:232]
	s_delay_alu instid0(VALU_DEP_1) | instskip(NEXT) | instid1(VALU_DEP_1)
	v_fma_f64 v[214:215], -v[214:215], v[235:236], v[233:234]
	v_div_fmas_f64 v[214:215], v[214:215], v[231:232], v[235:236]
	s_delay_alu instid0(VALU_DEP_1) | instskip(NEXT) | instid1(VALU_DEP_1)
	v_div_fixup_f64 v[212:213], v[214:215], v[212:213], 1.0
	v_mul_f64 v[214:215], v[229:230], -v[212:213]
.LBB104_492:
	s_or_b32 exec_lo, exec_lo, s2
.LBB104_493:
	s_delay_alu instid0(SALU_CYCLE_1) | instskip(NEXT) | instid1(SALU_CYCLE_1)
	s_or_b32 exec_lo, exec_lo, s3
	s_mov_b32 s2, exec_lo
	v_cmpx_ne_u32_e64 v228, v220
	s_xor_b32 s2, exec_lo, s2
	s_cbranch_execz .LBB104_499
; %bb.494:
	s_mov_b32 s3, exec_lo
	v_cmpx_eq_u32_e32 23, v228
	s_cbranch_execz .LBB104_498
; %bb.495:
	v_cmp_ne_u32_e32 vcc_lo, 23, v220
	s_xor_b32 s6, s4, -1
	s_delay_alu instid0(SALU_CYCLE_1) | instskip(NEXT) | instid1(SALU_CYCLE_1)
	s_and_b32 s7, s6, vcc_lo
	s_and_saveexec_b32 s6, s7
	s_cbranch_execz .LBB104_497
; %bb.496:
	v_ashrrev_i32_e32 v221, 31, v220
	s_delay_alu instid0(VALU_DEP_1) | instskip(NEXT) | instid1(VALU_DEP_1)
	v_lshlrev_b64 v[227:228], 2, v[220:221]
	v_add_co_u32 v227, vcc_lo, v218, v227
	s_delay_alu instid0(VALU_DEP_2)
	v_add_co_ci_u32_e32 v228, vcc_lo, v219, v228, vcc_lo
	s_clause 0x1
	flat_load_b32 v221, v[227:228]
	flat_load_b32 v229, v[218:219] offset:92
	s_waitcnt vmcnt(1) lgkmcnt(1)
	flat_store_b32 v[218:219], v221 offset:92
	s_waitcnt vmcnt(0) lgkmcnt(1)
	flat_store_b32 v[227:228], v229
.LBB104_497:
	s_or_b32 exec_lo, exec_lo, s6
	v_mov_b32_e32 v228, v220
	v_mov_b32_e32 v227, v220
.LBB104_498:
	s_or_b32 exec_lo, exec_lo, s3
.LBB104_499:
	s_and_not1_saveexec_b32 s2, s2
	s_cbranch_execz .LBB104_501
; %bb.500:
	v_mov_b32_e32 v228, 23
	ds_store_2addr_b64 v222, v[112:113], v[114:115] offset0:48 offset1:49
	ds_store_2addr_b64 v222, v[108:109], v[110:111] offset0:50 offset1:51
	;; [unrolled: 1-line block ×29, first 2 shown]
.LBB104_501:
	s_or_b32 exec_lo, exec_lo, s2
	s_delay_alu instid0(SALU_CYCLE_1)
	s_mov_b32 s2, exec_lo
	s_waitcnt lgkmcnt(0)
	s_waitcnt_vscnt null, 0x0
	s_barrier
	buffer_gl0_inv
	v_cmpx_lt_i32_e32 23, v228
	s_cbranch_execz .LBB104_503
; %bb.502:
	v_mul_f64 v[220:221], v[214:215], v[118:119]
	v_mul_f64 v[118:119], v[212:213], v[118:119]
	s_delay_alu instid0(VALU_DEP_2) | instskip(NEXT) | instid1(VALU_DEP_2)
	v_fma_f64 v[220:221], v[212:213], v[116:117], -v[220:221]
	v_fma_f64 v[118:119], v[214:215], v[116:117], v[118:119]
	ds_load_2addr_b64 v[212:215], v222 offset0:48 offset1:49
	s_waitcnt lgkmcnt(0)
	v_mul_f64 v[116:117], v[214:215], v[118:119]
	s_delay_alu instid0(VALU_DEP_1) | instskip(SKIP_1) | instid1(VALU_DEP_2)
	v_fma_f64 v[116:117], v[212:213], v[220:221], -v[116:117]
	v_mul_f64 v[212:213], v[212:213], v[118:119]
	v_add_f64 v[112:113], v[112:113], -v[116:117]
	s_delay_alu instid0(VALU_DEP_2) | instskip(NEXT) | instid1(VALU_DEP_1)
	v_fma_f64 v[212:213], v[214:215], v[220:221], v[212:213]
	v_add_f64 v[114:115], v[114:115], -v[212:213]
	ds_load_2addr_b64 v[212:215], v222 offset0:50 offset1:51
	s_waitcnt lgkmcnt(0)
	v_mul_f64 v[116:117], v[214:215], v[118:119]
	s_delay_alu instid0(VALU_DEP_1) | instskip(SKIP_1) | instid1(VALU_DEP_2)
	v_fma_f64 v[116:117], v[212:213], v[220:221], -v[116:117]
	v_mul_f64 v[212:213], v[212:213], v[118:119]
	v_add_f64 v[108:109], v[108:109], -v[116:117]
	s_delay_alu instid0(VALU_DEP_2) | instskip(NEXT) | instid1(VALU_DEP_1)
	v_fma_f64 v[212:213], v[214:215], v[220:221], v[212:213]
	v_add_f64 v[110:111], v[110:111], -v[212:213]
	;; [unrolled: 10-line block ×28, first 2 shown]
	ds_load_2addr_b64 v[212:215], v222 offset0:104 offset1:105
	s_waitcnt lgkmcnt(0)
	v_mul_f64 v[116:117], v[214:215], v[118:119]
	s_delay_alu instid0(VALU_DEP_1) | instskip(SKIP_1) | instid1(VALU_DEP_2)
	v_fma_f64 v[116:117], v[212:213], v[220:221], -v[116:117]
	v_mul_f64 v[212:213], v[212:213], v[118:119]
	v_add_f64 v[0:1], v[0:1], -v[116:117]
	s_delay_alu instid0(VALU_DEP_2) | instskip(SKIP_1) | instid1(VALU_DEP_2)
	v_fma_f64 v[212:213], v[214:215], v[220:221], v[212:213]
	v_dual_mov_b32 v116, v220 :: v_dual_mov_b32 v117, v221
	v_add_f64 v[2:3], v[2:3], -v[212:213]
.LBB104_503:
	s_or_b32 exec_lo, exec_lo, s2
	v_lshl_add_u32 v212, v228, 4, v222
	s_barrier
	buffer_gl0_inv
	v_mov_b32_e32 v220, 24
	ds_store_2addr_b64 v212, v[112:113], v[114:115] offset1:1
	s_waitcnt lgkmcnt(0)
	s_barrier
	buffer_gl0_inv
	ds_load_2addr_b64 v[212:215], v222 offset0:48 offset1:49
	s_cmp_lt_i32 s5, 26
	s_cbranch_scc1 .LBB104_506
; %bb.504:
	v_add3_u32 v221, v226, 0, 0x190
	v_mov_b32_e32 v220, 24
	s_mov_b32 s6, 25
	s_set_inst_prefetch_distance 0x1
	.p2align	6
.LBB104_505:                            ; =>This Inner Loop Header: Depth=1
	ds_load_2addr_b64 v[229:232], v221 offset1:1
	s_waitcnt lgkmcnt(1)
	v_cmp_gt_f64_e32 vcc_lo, 0, v[212:213]
	v_xor_b32_e32 v233, 0x80000000, v213
	v_cmp_gt_f64_e64 s2, 0, v[214:215]
	v_xor_b32_e32 v235, 0x80000000, v215
	v_add_nc_u32_e32 v221, 16, v221
	s_waitcnt lgkmcnt(0)
	v_cmp_gt_f64_e64 s3, 0, v[229:230]
	v_mov_b32_e32 v237, v229
	v_dual_mov_b32 v239, v231 :: v_dual_cndmask_b32 v234, v213, v233
	v_xor_b32_e32 v233, 0x80000000, v230
	v_cndmask_b32_e64 v236, v215, v235, s2
	v_xor_b32_e32 v235, 0x80000000, v232
	s_delay_alu instid0(VALU_DEP_3) | instskip(SKIP_2) | instid1(VALU_DEP_2)
	v_cndmask_b32_e64 v238, v230, v233, s3
	v_cmp_gt_f64_e64 s3, 0, v[231:232]
	v_cndmask_b32_e32 v233, v212, v212, vcc_lo
	v_cndmask_b32_e64 v240, v232, v235, s3
	v_cndmask_b32_e64 v235, v214, v214, s2
	s_delay_alu instid0(VALU_DEP_2) | instskip(NEXT) | instid1(VALU_DEP_2)
	v_add_f64 v[237:238], v[237:238], v[239:240]
	v_add_f64 v[233:234], v[233:234], v[235:236]
	s_delay_alu instid0(VALU_DEP_1) | instskip(SKIP_4) | instid1(SALU_CYCLE_1)
	v_cmp_lt_f64_e32 vcc_lo, v[233:234], v[237:238]
	v_dual_cndmask_b32 v214, v214, v231 :: v_dual_cndmask_b32 v213, v213, v230
	v_dual_cndmask_b32 v212, v212, v229 :: v_dual_cndmask_b32 v215, v215, v232
	v_cndmask_b32_e64 v220, v220, s6, vcc_lo
	s_add_i32 s6, s6, 1
	s_cmp_lg_u32 s5, s6
	s_cbranch_scc1 .LBB104_505
.LBB104_506:
	s_set_inst_prefetch_distance 0x2
	s_waitcnt lgkmcnt(0)
	v_cmp_eq_f64_e32 vcc_lo, 0, v[212:213]
	v_cmp_eq_f64_e64 s2, 0, v[214:215]
	s_delay_alu instid0(VALU_DEP_1) | instskip(NEXT) | instid1(SALU_CYCLE_1)
	s_and_b32 s2, vcc_lo, s2
	s_and_saveexec_b32 s3, s2
	s_delay_alu instid0(SALU_CYCLE_1)
	s_xor_b32 s2, exec_lo, s3
; %bb.507:
	v_cmp_ne_u32_e32 vcc_lo, 0, v225
	v_cndmask_b32_e32 v225, 25, v225, vcc_lo
; %bb.508:
	s_and_not1_saveexec_b32 s3, s2
	s_cbranch_execz .LBB104_514
; %bb.509:
	v_cmp_gt_f64_e32 vcc_lo, 0, v[212:213]
	v_cmp_gt_f64_e64 s2, 0, v[214:215]
	v_xor_b32_e32 v221, 0x80000000, v213
	v_xor_b32_e32 v229, 0x80000000, v215
	s_delay_alu instid0(VALU_DEP_2) | instskip(NEXT) | instid1(VALU_DEP_2)
	v_cndmask_b32_e32 v230, v213, v221, vcc_lo
	v_cndmask_b32_e64 v232, v215, v229, s2
	v_cndmask_b32_e32 v229, v212, v212, vcc_lo
	v_cndmask_b32_e64 v231, v214, v214, s2
	s_mov_b32 s2, exec_lo
	s_delay_alu instid0(VALU_DEP_1)
	v_cmpx_ngt_f64_e32 v[229:230], v[231:232]
	s_xor_b32 s2, exec_lo, s2
	s_cbranch_execz .LBB104_511
; %bb.510:
	v_div_scale_f64 v[229:230], null, v[214:215], v[214:215], v[212:213]
	v_div_scale_f64 v[235:236], vcc_lo, v[212:213], v[214:215], v[212:213]
	s_delay_alu instid0(VALU_DEP_2) | instskip(SKIP_2) | instid1(VALU_DEP_1)
	v_rcp_f64_e32 v[231:232], v[229:230]
	s_waitcnt_depctr 0xfff
	v_fma_f64 v[233:234], -v[229:230], v[231:232], 1.0
	v_fma_f64 v[231:232], v[231:232], v[233:234], v[231:232]
	s_delay_alu instid0(VALU_DEP_1) | instskip(NEXT) | instid1(VALU_DEP_1)
	v_fma_f64 v[233:234], -v[229:230], v[231:232], 1.0
	v_fma_f64 v[231:232], v[231:232], v[233:234], v[231:232]
	s_delay_alu instid0(VALU_DEP_1) | instskip(NEXT) | instid1(VALU_DEP_1)
	v_mul_f64 v[233:234], v[235:236], v[231:232]
	v_fma_f64 v[229:230], -v[229:230], v[233:234], v[235:236]
	s_delay_alu instid0(VALU_DEP_1) | instskip(NEXT) | instid1(VALU_DEP_1)
	v_div_fmas_f64 v[229:230], v[229:230], v[231:232], v[233:234]
	v_div_fixup_f64 v[229:230], v[229:230], v[214:215], v[212:213]
	s_delay_alu instid0(VALU_DEP_1) | instskip(NEXT) | instid1(VALU_DEP_1)
	v_fma_f64 v[212:213], v[212:213], v[229:230], v[214:215]
	v_div_scale_f64 v[214:215], null, v[212:213], v[212:213], 1.0
	s_delay_alu instid0(VALU_DEP_1) | instskip(SKIP_2) | instid1(VALU_DEP_1)
	v_rcp_f64_e32 v[231:232], v[214:215]
	s_waitcnt_depctr 0xfff
	v_fma_f64 v[233:234], -v[214:215], v[231:232], 1.0
	v_fma_f64 v[231:232], v[231:232], v[233:234], v[231:232]
	s_delay_alu instid0(VALU_DEP_1) | instskip(NEXT) | instid1(VALU_DEP_1)
	v_fma_f64 v[233:234], -v[214:215], v[231:232], 1.0
	v_fma_f64 v[231:232], v[231:232], v[233:234], v[231:232]
	v_div_scale_f64 v[233:234], vcc_lo, 1.0, v[212:213], 1.0
	s_delay_alu instid0(VALU_DEP_1) | instskip(NEXT) | instid1(VALU_DEP_1)
	v_mul_f64 v[235:236], v[233:234], v[231:232]
	v_fma_f64 v[214:215], -v[214:215], v[235:236], v[233:234]
	s_delay_alu instid0(VALU_DEP_1) | instskip(NEXT) | instid1(VALU_DEP_1)
	v_div_fmas_f64 v[214:215], v[214:215], v[231:232], v[235:236]
	v_div_fixup_f64 v[214:215], v[214:215], v[212:213], 1.0
	s_delay_alu instid0(VALU_DEP_1)
	v_mul_f64 v[212:213], v[229:230], v[214:215]
	v_xor_b32_e32 v215, 0x80000000, v215
.LBB104_511:
	s_and_not1_saveexec_b32 s2, s2
	s_cbranch_execz .LBB104_513
; %bb.512:
	s_delay_alu instid0(VALU_DEP_1) | instskip(SKIP_1) | instid1(VALU_DEP_2)
	v_div_scale_f64 v[229:230], null, v[212:213], v[212:213], v[214:215]
	v_div_scale_f64 v[235:236], vcc_lo, v[214:215], v[212:213], v[214:215]
	v_rcp_f64_e32 v[231:232], v[229:230]
	s_waitcnt_depctr 0xfff
	v_fma_f64 v[233:234], -v[229:230], v[231:232], 1.0
	s_delay_alu instid0(VALU_DEP_1) | instskip(NEXT) | instid1(VALU_DEP_1)
	v_fma_f64 v[231:232], v[231:232], v[233:234], v[231:232]
	v_fma_f64 v[233:234], -v[229:230], v[231:232], 1.0
	s_delay_alu instid0(VALU_DEP_1) | instskip(NEXT) | instid1(VALU_DEP_1)
	v_fma_f64 v[231:232], v[231:232], v[233:234], v[231:232]
	v_mul_f64 v[233:234], v[235:236], v[231:232]
	s_delay_alu instid0(VALU_DEP_1) | instskip(NEXT) | instid1(VALU_DEP_1)
	v_fma_f64 v[229:230], -v[229:230], v[233:234], v[235:236]
	v_div_fmas_f64 v[229:230], v[229:230], v[231:232], v[233:234]
	s_delay_alu instid0(VALU_DEP_1) | instskip(NEXT) | instid1(VALU_DEP_1)
	v_div_fixup_f64 v[229:230], v[229:230], v[212:213], v[214:215]
	v_fma_f64 v[212:213], v[214:215], v[229:230], v[212:213]
	s_delay_alu instid0(VALU_DEP_1) | instskip(NEXT) | instid1(VALU_DEP_1)
	v_div_scale_f64 v[214:215], null, v[212:213], v[212:213], 1.0
	v_rcp_f64_e32 v[231:232], v[214:215]
	s_waitcnt_depctr 0xfff
	v_fma_f64 v[233:234], -v[214:215], v[231:232], 1.0
	s_delay_alu instid0(VALU_DEP_1) | instskip(NEXT) | instid1(VALU_DEP_1)
	v_fma_f64 v[231:232], v[231:232], v[233:234], v[231:232]
	v_fma_f64 v[233:234], -v[214:215], v[231:232], 1.0
	s_delay_alu instid0(VALU_DEP_1) | instskip(SKIP_1) | instid1(VALU_DEP_1)
	v_fma_f64 v[231:232], v[231:232], v[233:234], v[231:232]
	v_div_scale_f64 v[233:234], vcc_lo, 1.0, v[212:213], 1.0
	v_mul_f64 v[235:236], v[233:234], v[231:232]
	s_delay_alu instid0(VALU_DEP_1) | instskip(NEXT) | instid1(VALU_DEP_1)
	v_fma_f64 v[214:215], -v[214:215], v[235:236], v[233:234]
	v_div_fmas_f64 v[214:215], v[214:215], v[231:232], v[235:236]
	s_delay_alu instid0(VALU_DEP_1) | instskip(NEXT) | instid1(VALU_DEP_1)
	v_div_fixup_f64 v[212:213], v[214:215], v[212:213], 1.0
	v_mul_f64 v[214:215], v[229:230], -v[212:213]
.LBB104_513:
	s_or_b32 exec_lo, exec_lo, s2
.LBB104_514:
	s_delay_alu instid0(SALU_CYCLE_1) | instskip(NEXT) | instid1(SALU_CYCLE_1)
	s_or_b32 exec_lo, exec_lo, s3
	s_mov_b32 s2, exec_lo
	v_cmpx_ne_u32_e64 v228, v220
	s_xor_b32 s2, exec_lo, s2
	s_cbranch_execz .LBB104_520
; %bb.515:
	s_mov_b32 s3, exec_lo
	v_cmpx_eq_u32_e32 24, v228
	s_cbranch_execz .LBB104_519
; %bb.516:
	v_cmp_ne_u32_e32 vcc_lo, 24, v220
	s_xor_b32 s6, s4, -1
	s_delay_alu instid0(SALU_CYCLE_1) | instskip(NEXT) | instid1(SALU_CYCLE_1)
	s_and_b32 s7, s6, vcc_lo
	s_and_saveexec_b32 s6, s7
	s_cbranch_execz .LBB104_518
; %bb.517:
	v_ashrrev_i32_e32 v221, 31, v220
	s_delay_alu instid0(VALU_DEP_1) | instskip(NEXT) | instid1(VALU_DEP_1)
	v_lshlrev_b64 v[227:228], 2, v[220:221]
	v_add_co_u32 v227, vcc_lo, v218, v227
	s_delay_alu instid0(VALU_DEP_2)
	v_add_co_ci_u32_e32 v228, vcc_lo, v219, v228, vcc_lo
	s_clause 0x1
	flat_load_b32 v221, v[227:228]
	flat_load_b32 v229, v[218:219] offset:96
	s_waitcnt vmcnt(1) lgkmcnt(1)
	flat_store_b32 v[218:219], v221 offset:96
	s_waitcnt vmcnt(0) lgkmcnt(1)
	flat_store_b32 v[227:228], v229
.LBB104_518:
	s_or_b32 exec_lo, exec_lo, s6
	v_mov_b32_e32 v228, v220
	v_mov_b32_e32 v227, v220
.LBB104_519:
	s_or_b32 exec_lo, exec_lo, s3
.LBB104_520:
	s_and_not1_saveexec_b32 s2, s2
	s_cbranch_execz .LBB104_522
; %bb.521:
	v_mov_b32_e32 v228, 24
	ds_store_2addr_b64 v222, v[108:109], v[110:111] offset0:50 offset1:51
	ds_store_2addr_b64 v222, v[104:105], v[106:107] offset0:52 offset1:53
	;; [unrolled: 1-line block ×28, first 2 shown]
.LBB104_522:
	s_or_b32 exec_lo, exec_lo, s2
	s_delay_alu instid0(SALU_CYCLE_1)
	s_mov_b32 s2, exec_lo
	s_waitcnt lgkmcnt(0)
	s_waitcnt_vscnt null, 0x0
	s_barrier
	buffer_gl0_inv
	v_cmpx_lt_i32_e32 24, v228
	s_cbranch_execz .LBB104_524
; %bb.523:
	v_mul_f64 v[220:221], v[214:215], v[114:115]
	v_mul_f64 v[114:115], v[212:213], v[114:115]
	s_delay_alu instid0(VALU_DEP_2) | instskip(NEXT) | instid1(VALU_DEP_2)
	v_fma_f64 v[220:221], v[212:213], v[112:113], -v[220:221]
	v_fma_f64 v[114:115], v[214:215], v[112:113], v[114:115]
	ds_load_2addr_b64 v[212:215], v222 offset0:50 offset1:51
	s_waitcnt lgkmcnt(0)
	v_mul_f64 v[112:113], v[214:215], v[114:115]
	s_delay_alu instid0(VALU_DEP_1) | instskip(SKIP_1) | instid1(VALU_DEP_2)
	v_fma_f64 v[112:113], v[212:213], v[220:221], -v[112:113]
	v_mul_f64 v[212:213], v[212:213], v[114:115]
	v_add_f64 v[108:109], v[108:109], -v[112:113]
	s_delay_alu instid0(VALU_DEP_2) | instskip(NEXT) | instid1(VALU_DEP_1)
	v_fma_f64 v[212:213], v[214:215], v[220:221], v[212:213]
	v_add_f64 v[110:111], v[110:111], -v[212:213]
	ds_load_2addr_b64 v[212:215], v222 offset0:52 offset1:53
	s_waitcnt lgkmcnt(0)
	v_mul_f64 v[112:113], v[214:215], v[114:115]
	s_delay_alu instid0(VALU_DEP_1) | instskip(SKIP_1) | instid1(VALU_DEP_2)
	v_fma_f64 v[112:113], v[212:213], v[220:221], -v[112:113]
	v_mul_f64 v[212:213], v[212:213], v[114:115]
	v_add_f64 v[104:105], v[104:105], -v[112:113]
	s_delay_alu instid0(VALU_DEP_2) | instskip(NEXT) | instid1(VALU_DEP_1)
	v_fma_f64 v[212:213], v[214:215], v[220:221], v[212:213]
	v_add_f64 v[106:107], v[106:107], -v[212:213]
	;; [unrolled: 10-line block ×27, first 2 shown]
	ds_load_2addr_b64 v[212:215], v222 offset0:104 offset1:105
	s_waitcnt lgkmcnt(0)
	v_mul_f64 v[112:113], v[214:215], v[114:115]
	s_delay_alu instid0(VALU_DEP_1) | instskip(SKIP_1) | instid1(VALU_DEP_2)
	v_fma_f64 v[112:113], v[212:213], v[220:221], -v[112:113]
	v_mul_f64 v[212:213], v[212:213], v[114:115]
	v_add_f64 v[0:1], v[0:1], -v[112:113]
	s_delay_alu instid0(VALU_DEP_2) | instskip(SKIP_1) | instid1(VALU_DEP_2)
	v_fma_f64 v[212:213], v[214:215], v[220:221], v[212:213]
	v_dual_mov_b32 v112, v220 :: v_dual_mov_b32 v113, v221
	v_add_f64 v[2:3], v[2:3], -v[212:213]
.LBB104_524:
	s_or_b32 exec_lo, exec_lo, s2
	v_lshl_add_u32 v212, v228, 4, v222
	s_barrier
	buffer_gl0_inv
	v_mov_b32_e32 v220, 25
	ds_store_2addr_b64 v212, v[108:109], v[110:111] offset1:1
	s_waitcnt lgkmcnt(0)
	s_barrier
	buffer_gl0_inv
	ds_load_2addr_b64 v[212:215], v222 offset0:50 offset1:51
	s_cmp_lt_i32 s5, 27
	s_cbranch_scc1 .LBB104_527
; %bb.525:
	v_add3_u32 v221, v226, 0, 0x1a0
	v_mov_b32_e32 v220, 25
	s_mov_b32 s6, 26
	s_set_inst_prefetch_distance 0x1
	.p2align	6
.LBB104_526:                            ; =>This Inner Loop Header: Depth=1
	ds_load_2addr_b64 v[229:232], v221 offset1:1
	s_waitcnt lgkmcnt(1)
	v_cmp_gt_f64_e32 vcc_lo, 0, v[212:213]
	v_xor_b32_e32 v233, 0x80000000, v213
	v_cmp_gt_f64_e64 s2, 0, v[214:215]
	v_xor_b32_e32 v235, 0x80000000, v215
	v_add_nc_u32_e32 v221, 16, v221
	s_waitcnt lgkmcnt(0)
	v_cmp_gt_f64_e64 s3, 0, v[229:230]
	v_mov_b32_e32 v237, v229
	v_dual_mov_b32 v239, v231 :: v_dual_cndmask_b32 v234, v213, v233
	v_xor_b32_e32 v233, 0x80000000, v230
	v_cndmask_b32_e64 v236, v215, v235, s2
	v_xor_b32_e32 v235, 0x80000000, v232
	s_delay_alu instid0(VALU_DEP_3) | instskip(SKIP_2) | instid1(VALU_DEP_2)
	v_cndmask_b32_e64 v238, v230, v233, s3
	v_cmp_gt_f64_e64 s3, 0, v[231:232]
	v_cndmask_b32_e32 v233, v212, v212, vcc_lo
	v_cndmask_b32_e64 v240, v232, v235, s3
	v_cndmask_b32_e64 v235, v214, v214, s2
	s_delay_alu instid0(VALU_DEP_2) | instskip(NEXT) | instid1(VALU_DEP_2)
	v_add_f64 v[237:238], v[237:238], v[239:240]
	v_add_f64 v[233:234], v[233:234], v[235:236]
	s_delay_alu instid0(VALU_DEP_1) | instskip(SKIP_4) | instid1(SALU_CYCLE_1)
	v_cmp_lt_f64_e32 vcc_lo, v[233:234], v[237:238]
	v_dual_cndmask_b32 v214, v214, v231 :: v_dual_cndmask_b32 v213, v213, v230
	v_dual_cndmask_b32 v212, v212, v229 :: v_dual_cndmask_b32 v215, v215, v232
	v_cndmask_b32_e64 v220, v220, s6, vcc_lo
	s_add_i32 s6, s6, 1
	s_cmp_lg_u32 s5, s6
	s_cbranch_scc1 .LBB104_526
.LBB104_527:
	s_set_inst_prefetch_distance 0x2
	s_waitcnt lgkmcnt(0)
	v_cmp_eq_f64_e32 vcc_lo, 0, v[212:213]
	v_cmp_eq_f64_e64 s2, 0, v[214:215]
	s_delay_alu instid0(VALU_DEP_1) | instskip(NEXT) | instid1(SALU_CYCLE_1)
	s_and_b32 s2, vcc_lo, s2
	s_and_saveexec_b32 s3, s2
	s_delay_alu instid0(SALU_CYCLE_1)
	s_xor_b32 s2, exec_lo, s3
; %bb.528:
	v_cmp_ne_u32_e32 vcc_lo, 0, v225
	v_cndmask_b32_e32 v225, 26, v225, vcc_lo
; %bb.529:
	s_and_not1_saveexec_b32 s3, s2
	s_cbranch_execz .LBB104_535
; %bb.530:
	v_cmp_gt_f64_e32 vcc_lo, 0, v[212:213]
	v_cmp_gt_f64_e64 s2, 0, v[214:215]
	v_xor_b32_e32 v221, 0x80000000, v213
	v_xor_b32_e32 v229, 0x80000000, v215
	s_delay_alu instid0(VALU_DEP_2) | instskip(NEXT) | instid1(VALU_DEP_2)
	v_cndmask_b32_e32 v230, v213, v221, vcc_lo
	v_cndmask_b32_e64 v232, v215, v229, s2
	v_cndmask_b32_e32 v229, v212, v212, vcc_lo
	v_cndmask_b32_e64 v231, v214, v214, s2
	s_mov_b32 s2, exec_lo
	s_delay_alu instid0(VALU_DEP_1)
	v_cmpx_ngt_f64_e32 v[229:230], v[231:232]
	s_xor_b32 s2, exec_lo, s2
	s_cbranch_execz .LBB104_532
; %bb.531:
	v_div_scale_f64 v[229:230], null, v[214:215], v[214:215], v[212:213]
	v_div_scale_f64 v[235:236], vcc_lo, v[212:213], v[214:215], v[212:213]
	s_delay_alu instid0(VALU_DEP_2) | instskip(SKIP_2) | instid1(VALU_DEP_1)
	v_rcp_f64_e32 v[231:232], v[229:230]
	s_waitcnt_depctr 0xfff
	v_fma_f64 v[233:234], -v[229:230], v[231:232], 1.0
	v_fma_f64 v[231:232], v[231:232], v[233:234], v[231:232]
	s_delay_alu instid0(VALU_DEP_1) | instskip(NEXT) | instid1(VALU_DEP_1)
	v_fma_f64 v[233:234], -v[229:230], v[231:232], 1.0
	v_fma_f64 v[231:232], v[231:232], v[233:234], v[231:232]
	s_delay_alu instid0(VALU_DEP_1) | instskip(NEXT) | instid1(VALU_DEP_1)
	v_mul_f64 v[233:234], v[235:236], v[231:232]
	v_fma_f64 v[229:230], -v[229:230], v[233:234], v[235:236]
	s_delay_alu instid0(VALU_DEP_1) | instskip(NEXT) | instid1(VALU_DEP_1)
	v_div_fmas_f64 v[229:230], v[229:230], v[231:232], v[233:234]
	v_div_fixup_f64 v[229:230], v[229:230], v[214:215], v[212:213]
	s_delay_alu instid0(VALU_DEP_1) | instskip(NEXT) | instid1(VALU_DEP_1)
	v_fma_f64 v[212:213], v[212:213], v[229:230], v[214:215]
	v_div_scale_f64 v[214:215], null, v[212:213], v[212:213], 1.0
	s_delay_alu instid0(VALU_DEP_1) | instskip(SKIP_2) | instid1(VALU_DEP_1)
	v_rcp_f64_e32 v[231:232], v[214:215]
	s_waitcnt_depctr 0xfff
	v_fma_f64 v[233:234], -v[214:215], v[231:232], 1.0
	v_fma_f64 v[231:232], v[231:232], v[233:234], v[231:232]
	s_delay_alu instid0(VALU_DEP_1) | instskip(NEXT) | instid1(VALU_DEP_1)
	v_fma_f64 v[233:234], -v[214:215], v[231:232], 1.0
	v_fma_f64 v[231:232], v[231:232], v[233:234], v[231:232]
	v_div_scale_f64 v[233:234], vcc_lo, 1.0, v[212:213], 1.0
	s_delay_alu instid0(VALU_DEP_1) | instskip(NEXT) | instid1(VALU_DEP_1)
	v_mul_f64 v[235:236], v[233:234], v[231:232]
	v_fma_f64 v[214:215], -v[214:215], v[235:236], v[233:234]
	s_delay_alu instid0(VALU_DEP_1) | instskip(NEXT) | instid1(VALU_DEP_1)
	v_div_fmas_f64 v[214:215], v[214:215], v[231:232], v[235:236]
	v_div_fixup_f64 v[214:215], v[214:215], v[212:213], 1.0
	s_delay_alu instid0(VALU_DEP_1)
	v_mul_f64 v[212:213], v[229:230], v[214:215]
	v_xor_b32_e32 v215, 0x80000000, v215
.LBB104_532:
	s_and_not1_saveexec_b32 s2, s2
	s_cbranch_execz .LBB104_534
; %bb.533:
	s_delay_alu instid0(VALU_DEP_1) | instskip(SKIP_1) | instid1(VALU_DEP_2)
	v_div_scale_f64 v[229:230], null, v[212:213], v[212:213], v[214:215]
	v_div_scale_f64 v[235:236], vcc_lo, v[214:215], v[212:213], v[214:215]
	v_rcp_f64_e32 v[231:232], v[229:230]
	s_waitcnt_depctr 0xfff
	v_fma_f64 v[233:234], -v[229:230], v[231:232], 1.0
	s_delay_alu instid0(VALU_DEP_1) | instskip(NEXT) | instid1(VALU_DEP_1)
	v_fma_f64 v[231:232], v[231:232], v[233:234], v[231:232]
	v_fma_f64 v[233:234], -v[229:230], v[231:232], 1.0
	s_delay_alu instid0(VALU_DEP_1) | instskip(NEXT) | instid1(VALU_DEP_1)
	v_fma_f64 v[231:232], v[231:232], v[233:234], v[231:232]
	v_mul_f64 v[233:234], v[235:236], v[231:232]
	s_delay_alu instid0(VALU_DEP_1) | instskip(NEXT) | instid1(VALU_DEP_1)
	v_fma_f64 v[229:230], -v[229:230], v[233:234], v[235:236]
	v_div_fmas_f64 v[229:230], v[229:230], v[231:232], v[233:234]
	s_delay_alu instid0(VALU_DEP_1) | instskip(NEXT) | instid1(VALU_DEP_1)
	v_div_fixup_f64 v[229:230], v[229:230], v[212:213], v[214:215]
	v_fma_f64 v[212:213], v[214:215], v[229:230], v[212:213]
	s_delay_alu instid0(VALU_DEP_1) | instskip(NEXT) | instid1(VALU_DEP_1)
	v_div_scale_f64 v[214:215], null, v[212:213], v[212:213], 1.0
	v_rcp_f64_e32 v[231:232], v[214:215]
	s_waitcnt_depctr 0xfff
	v_fma_f64 v[233:234], -v[214:215], v[231:232], 1.0
	s_delay_alu instid0(VALU_DEP_1) | instskip(NEXT) | instid1(VALU_DEP_1)
	v_fma_f64 v[231:232], v[231:232], v[233:234], v[231:232]
	v_fma_f64 v[233:234], -v[214:215], v[231:232], 1.0
	s_delay_alu instid0(VALU_DEP_1) | instskip(SKIP_1) | instid1(VALU_DEP_1)
	v_fma_f64 v[231:232], v[231:232], v[233:234], v[231:232]
	v_div_scale_f64 v[233:234], vcc_lo, 1.0, v[212:213], 1.0
	v_mul_f64 v[235:236], v[233:234], v[231:232]
	s_delay_alu instid0(VALU_DEP_1) | instskip(NEXT) | instid1(VALU_DEP_1)
	v_fma_f64 v[214:215], -v[214:215], v[235:236], v[233:234]
	v_div_fmas_f64 v[214:215], v[214:215], v[231:232], v[235:236]
	s_delay_alu instid0(VALU_DEP_1) | instskip(NEXT) | instid1(VALU_DEP_1)
	v_div_fixup_f64 v[212:213], v[214:215], v[212:213], 1.0
	v_mul_f64 v[214:215], v[229:230], -v[212:213]
.LBB104_534:
	s_or_b32 exec_lo, exec_lo, s2
.LBB104_535:
	s_delay_alu instid0(SALU_CYCLE_1) | instskip(NEXT) | instid1(SALU_CYCLE_1)
	s_or_b32 exec_lo, exec_lo, s3
	s_mov_b32 s2, exec_lo
	v_cmpx_ne_u32_e64 v228, v220
	s_xor_b32 s2, exec_lo, s2
	s_cbranch_execz .LBB104_541
; %bb.536:
	s_mov_b32 s3, exec_lo
	v_cmpx_eq_u32_e32 25, v228
	s_cbranch_execz .LBB104_540
; %bb.537:
	v_cmp_ne_u32_e32 vcc_lo, 25, v220
	s_xor_b32 s6, s4, -1
	s_delay_alu instid0(SALU_CYCLE_1) | instskip(NEXT) | instid1(SALU_CYCLE_1)
	s_and_b32 s7, s6, vcc_lo
	s_and_saveexec_b32 s6, s7
	s_cbranch_execz .LBB104_539
; %bb.538:
	v_ashrrev_i32_e32 v221, 31, v220
	s_delay_alu instid0(VALU_DEP_1) | instskip(NEXT) | instid1(VALU_DEP_1)
	v_lshlrev_b64 v[227:228], 2, v[220:221]
	v_add_co_u32 v227, vcc_lo, v218, v227
	s_delay_alu instid0(VALU_DEP_2)
	v_add_co_ci_u32_e32 v228, vcc_lo, v219, v228, vcc_lo
	s_clause 0x1
	flat_load_b32 v221, v[227:228]
	flat_load_b32 v229, v[218:219] offset:100
	s_waitcnt vmcnt(1) lgkmcnt(1)
	flat_store_b32 v[218:219], v221 offset:100
	s_waitcnt vmcnt(0) lgkmcnt(1)
	flat_store_b32 v[227:228], v229
.LBB104_539:
	s_or_b32 exec_lo, exec_lo, s6
	v_mov_b32_e32 v228, v220
	v_mov_b32_e32 v227, v220
.LBB104_540:
	s_or_b32 exec_lo, exec_lo, s3
.LBB104_541:
	s_and_not1_saveexec_b32 s2, s2
	s_cbranch_execz .LBB104_543
; %bb.542:
	v_mov_b32_e32 v228, 25
	ds_store_2addr_b64 v222, v[104:105], v[106:107] offset0:52 offset1:53
	ds_store_2addr_b64 v222, v[100:101], v[102:103] offset0:54 offset1:55
	;; [unrolled: 1-line block ×27, first 2 shown]
.LBB104_543:
	s_or_b32 exec_lo, exec_lo, s2
	s_delay_alu instid0(SALU_CYCLE_1)
	s_mov_b32 s2, exec_lo
	s_waitcnt lgkmcnt(0)
	s_waitcnt_vscnt null, 0x0
	s_barrier
	buffer_gl0_inv
	v_cmpx_lt_i32_e32 25, v228
	s_cbranch_execz .LBB104_545
; %bb.544:
	v_mul_f64 v[220:221], v[214:215], v[110:111]
	v_mul_f64 v[110:111], v[212:213], v[110:111]
	s_delay_alu instid0(VALU_DEP_2) | instskip(NEXT) | instid1(VALU_DEP_2)
	v_fma_f64 v[220:221], v[212:213], v[108:109], -v[220:221]
	v_fma_f64 v[110:111], v[214:215], v[108:109], v[110:111]
	ds_load_2addr_b64 v[212:215], v222 offset0:52 offset1:53
	s_waitcnt lgkmcnt(0)
	v_mul_f64 v[108:109], v[214:215], v[110:111]
	s_delay_alu instid0(VALU_DEP_1) | instskip(SKIP_1) | instid1(VALU_DEP_2)
	v_fma_f64 v[108:109], v[212:213], v[220:221], -v[108:109]
	v_mul_f64 v[212:213], v[212:213], v[110:111]
	v_add_f64 v[104:105], v[104:105], -v[108:109]
	s_delay_alu instid0(VALU_DEP_2) | instskip(NEXT) | instid1(VALU_DEP_1)
	v_fma_f64 v[212:213], v[214:215], v[220:221], v[212:213]
	v_add_f64 v[106:107], v[106:107], -v[212:213]
	ds_load_2addr_b64 v[212:215], v222 offset0:54 offset1:55
	s_waitcnt lgkmcnt(0)
	v_mul_f64 v[108:109], v[214:215], v[110:111]
	s_delay_alu instid0(VALU_DEP_1) | instskip(SKIP_1) | instid1(VALU_DEP_2)
	v_fma_f64 v[108:109], v[212:213], v[220:221], -v[108:109]
	v_mul_f64 v[212:213], v[212:213], v[110:111]
	v_add_f64 v[100:101], v[100:101], -v[108:109]
	s_delay_alu instid0(VALU_DEP_2) | instskip(NEXT) | instid1(VALU_DEP_1)
	v_fma_f64 v[212:213], v[214:215], v[220:221], v[212:213]
	v_add_f64 v[102:103], v[102:103], -v[212:213]
	;; [unrolled: 10-line block ×26, first 2 shown]
	ds_load_2addr_b64 v[212:215], v222 offset0:104 offset1:105
	s_waitcnt lgkmcnt(0)
	v_mul_f64 v[108:109], v[214:215], v[110:111]
	s_delay_alu instid0(VALU_DEP_1) | instskip(SKIP_1) | instid1(VALU_DEP_2)
	v_fma_f64 v[108:109], v[212:213], v[220:221], -v[108:109]
	v_mul_f64 v[212:213], v[212:213], v[110:111]
	v_add_f64 v[0:1], v[0:1], -v[108:109]
	s_delay_alu instid0(VALU_DEP_2) | instskip(SKIP_1) | instid1(VALU_DEP_2)
	v_fma_f64 v[212:213], v[214:215], v[220:221], v[212:213]
	v_dual_mov_b32 v108, v220 :: v_dual_mov_b32 v109, v221
	v_add_f64 v[2:3], v[2:3], -v[212:213]
.LBB104_545:
	s_or_b32 exec_lo, exec_lo, s2
	v_lshl_add_u32 v212, v228, 4, v222
	s_barrier
	buffer_gl0_inv
	v_mov_b32_e32 v220, 26
	ds_store_2addr_b64 v212, v[104:105], v[106:107] offset1:1
	s_waitcnt lgkmcnt(0)
	s_barrier
	buffer_gl0_inv
	ds_load_2addr_b64 v[212:215], v222 offset0:52 offset1:53
	s_cmp_lt_i32 s5, 28
	s_cbranch_scc1 .LBB104_548
; %bb.546:
	v_add3_u32 v221, v226, 0, 0x1b0
	v_mov_b32_e32 v220, 26
	s_mov_b32 s6, 27
	s_set_inst_prefetch_distance 0x1
	.p2align	6
.LBB104_547:                            ; =>This Inner Loop Header: Depth=1
	ds_load_2addr_b64 v[229:232], v221 offset1:1
	s_waitcnt lgkmcnt(1)
	v_cmp_gt_f64_e32 vcc_lo, 0, v[212:213]
	v_xor_b32_e32 v233, 0x80000000, v213
	v_cmp_gt_f64_e64 s2, 0, v[214:215]
	v_xor_b32_e32 v235, 0x80000000, v215
	v_add_nc_u32_e32 v221, 16, v221
	s_waitcnt lgkmcnt(0)
	v_cmp_gt_f64_e64 s3, 0, v[229:230]
	v_mov_b32_e32 v237, v229
	v_dual_mov_b32 v239, v231 :: v_dual_cndmask_b32 v234, v213, v233
	v_xor_b32_e32 v233, 0x80000000, v230
	v_cndmask_b32_e64 v236, v215, v235, s2
	v_xor_b32_e32 v235, 0x80000000, v232
	s_delay_alu instid0(VALU_DEP_3) | instskip(SKIP_2) | instid1(VALU_DEP_2)
	v_cndmask_b32_e64 v238, v230, v233, s3
	v_cmp_gt_f64_e64 s3, 0, v[231:232]
	v_cndmask_b32_e32 v233, v212, v212, vcc_lo
	v_cndmask_b32_e64 v240, v232, v235, s3
	v_cndmask_b32_e64 v235, v214, v214, s2
	s_delay_alu instid0(VALU_DEP_2) | instskip(NEXT) | instid1(VALU_DEP_2)
	v_add_f64 v[237:238], v[237:238], v[239:240]
	v_add_f64 v[233:234], v[233:234], v[235:236]
	s_delay_alu instid0(VALU_DEP_1) | instskip(SKIP_4) | instid1(SALU_CYCLE_1)
	v_cmp_lt_f64_e32 vcc_lo, v[233:234], v[237:238]
	v_dual_cndmask_b32 v214, v214, v231 :: v_dual_cndmask_b32 v213, v213, v230
	v_dual_cndmask_b32 v212, v212, v229 :: v_dual_cndmask_b32 v215, v215, v232
	v_cndmask_b32_e64 v220, v220, s6, vcc_lo
	s_add_i32 s6, s6, 1
	s_cmp_lg_u32 s5, s6
	s_cbranch_scc1 .LBB104_547
.LBB104_548:
	s_set_inst_prefetch_distance 0x2
	s_waitcnt lgkmcnt(0)
	v_cmp_eq_f64_e32 vcc_lo, 0, v[212:213]
	v_cmp_eq_f64_e64 s2, 0, v[214:215]
	s_delay_alu instid0(VALU_DEP_1) | instskip(NEXT) | instid1(SALU_CYCLE_1)
	s_and_b32 s2, vcc_lo, s2
	s_and_saveexec_b32 s3, s2
	s_delay_alu instid0(SALU_CYCLE_1)
	s_xor_b32 s2, exec_lo, s3
; %bb.549:
	v_cmp_ne_u32_e32 vcc_lo, 0, v225
	v_cndmask_b32_e32 v225, 27, v225, vcc_lo
; %bb.550:
	s_and_not1_saveexec_b32 s3, s2
	s_cbranch_execz .LBB104_556
; %bb.551:
	v_cmp_gt_f64_e32 vcc_lo, 0, v[212:213]
	v_cmp_gt_f64_e64 s2, 0, v[214:215]
	v_xor_b32_e32 v221, 0x80000000, v213
	v_xor_b32_e32 v229, 0x80000000, v215
	s_delay_alu instid0(VALU_DEP_2) | instskip(NEXT) | instid1(VALU_DEP_2)
	v_cndmask_b32_e32 v230, v213, v221, vcc_lo
	v_cndmask_b32_e64 v232, v215, v229, s2
	v_cndmask_b32_e32 v229, v212, v212, vcc_lo
	v_cndmask_b32_e64 v231, v214, v214, s2
	s_mov_b32 s2, exec_lo
	s_delay_alu instid0(VALU_DEP_1)
	v_cmpx_ngt_f64_e32 v[229:230], v[231:232]
	s_xor_b32 s2, exec_lo, s2
	s_cbranch_execz .LBB104_553
; %bb.552:
	v_div_scale_f64 v[229:230], null, v[214:215], v[214:215], v[212:213]
	v_div_scale_f64 v[235:236], vcc_lo, v[212:213], v[214:215], v[212:213]
	s_delay_alu instid0(VALU_DEP_2) | instskip(SKIP_2) | instid1(VALU_DEP_1)
	v_rcp_f64_e32 v[231:232], v[229:230]
	s_waitcnt_depctr 0xfff
	v_fma_f64 v[233:234], -v[229:230], v[231:232], 1.0
	v_fma_f64 v[231:232], v[231:232], v[233:234], v[231:232]
	s_delay_alu instid0(VALU_DEP_1) | instskip(NEXT) | instid1(VALU_DEP_1)
	v_fma_f64 v[233:234], -v[229:230], v[231:232], 1.0
	v_fma_f64 v[231:232], v[231:232], v[233:234], v[231:232]
	s_delay_alu instid0(VALU_DEP_1) | instskip(NEXT) | instid1(VALU_DEP_1)
	v_mul_f64 v[233:234], v[235:236], v[231:232]
	v_fma_f64 v[229:230], -v[229:230], v[233:234], v[235:236]
	s_delay_alu instid0(VALU_DEP_1) | instskip(NEXT) | instid1(VALU_DEP_1)
	v_div_fmas_f64 v[229:230], v[229:230], v[231:232], v[233:234]
	v_div_fixup_f64 v[229:230], v[229:230], v[214:215], v[212:213]
	s_delay_alu instid0(VALU_DEP_1) | instskip(NEXT) | instid1(VALU_DEP_1)
	v_fma_f64 v[212:213], v[212:213], v[229:230], v[214:215]
	v_div_scale_f64 v[214:215], null, v[212:213], v[212:213], 1.0
	s_delay_alu instid0(VALU_DEP_1) | instskip(SKIP_2) | instid1(VALU_DEP_1)
	v_rcp_f64_e32 v[231:232], v[214:215]
	s_waitcnt_depctr 0xfff
	v_fma_f64 v[233:234], -v[214:215], v[231:232], 1.0
	v_fma_f64 v[231:232], v[231:232], v[233:234], v[231:232]
	s_delay_alu instid0(VALU_DEP_1) | instskip(NEXT) | instid1(VALU_DEP_1)
	v_fma_f64 v[233:234], -v[214:215], v[231:232], 1.0
	v_fma_f64 v[231:232], v[231:232], v[233:234], v[231:232]
	v_div_scale_f64 v[233:234], vcc_lo, 1.0, v[212:213], 1.0
	s_delay_alu instid0(VALU_DEP_1) | instskip(NEXT) | instid1(VALU_DEP_1)
	v_mul_f64 v[235:236], v[233:234], v[231:232]
	v_fma_f64 v[214:215], -v[214:215], v[235:236], v[233:234]
	s_delay_alu instid0(VALU_DEP_1) | instskip(NEXT) | instid1(VALU_DEP_1)
	v_div_fmas_f64 v[214:215], v[214:215], v[231:232], v[235:236]
	v_div_fixup_f64 v[214:215], v[214:215], v[212:213], 1.0
	s_delay_alu instid0(VALU_DEP_1)
	v_mul_f64 v[212:213], v[229:230], v[214:215]
	v_xor_b32_e32 v215, 0x80000000, v215
.LBB104_553:
	s_and_not1_saveexec_b32 s2, s2
	s_cbranch_execz .LBB104_555
; %bb.554:
	s_delay_alu instid0(VALU_DEP_1) | instskip(SKIP_1) | instid1(VALU_DEP_2)
	v_div_scale_f64 v[229:230], null, v[212:213], v[212:213], v[214:215]
	v_div_scale_f64 v[235:236], vcc_lo, v[214:215], v[212:213], v[214:215]
	v_rcp_f64_e32 v[231:232], v[229:230]
	s_waitcnt_depctr 0xfff
	v_fma_f64 v[233:234], -v[229:230], v[231:232], 1.0
	s_delay_alu instid0(VALU_DEP_1) | instskip(NEXT) | instid1(VALU_DEP_1)
	v_fma_f64 v[231:232], v[231:232], v[233:234], v[231:232]
	v_fma_f64 v[233:234], -v[229:230], v[231:232], 1.0
	s_delay_alu instid0(VALU_DEP_1) | instskip(NEXT) | instid1(VALU_DEP_1)
	v_fma_f64 v[231:232], v[231:232], v[233:234], v[231:232]
	v_mul_f64 v[233:234], v[235:236], v[231:232]
	s_delay_alu instid0(VALU_DEP_1) | instskip(NEXT) | instid1(VALU_DEP_1)
	v_fma_f64 v[229:230], -v[229:230], v[233:234], v[235:236]
	v_div_fmas_f64 v[229:230], v[229:230], v[231:232], v[233:234]
	s_delay_alu instid0(VALU_DEP_1) | instskip(NEXT) | instid1(VALU_DEP_1)
	v_div_fixup_f64 v[229:230], v[229:230], v[212:213], v[214:215]
	v_fma_f64 v[212:213], v[214:215], v[229:230], v[212:213]
	s_delay_alu instid0(VALU_DEP_1) | instskip(NEXT) | instid1(VALU_DEP_1)
	v_div_scale_f64 v[214:215], null, v[212:213], v[212:213], 1.0
	v_rcp_f64_e32 v[231:232], v[214:215]
	s_waitcnt_depctr 0xfff
	v_fma_f64 v[233:234], -v[214:215], v[231:232], 1.0
	s_delay_alu instid0(VALU_DEP_1) | instskip(NEXT) | instid1(VALU_DEP_1)
	v_fma_f64 v[231:232], v[231:232], v[233:234], v[231:232]
	v_fma_f64 v[233:234], -v[214:215], v[231:232], 1.0
	s_delay_alu instid0(VALU_DEP_1) | instskip(SKIP_1) | instid1(VALU_DEP_1)
	v_fma_f64 v[231:232], v[231:232], v[233:234], v[231:232]
	v_div_scale_f64 v[233:234], vcc_lo, 1.0, v[212:213], 1.0
	v_mul_f64 v[235:236], v[233:234], v[231:232]
	s_delay_alu instid0(VALU_DEP_1) | instskip(NEXT) | instid1(VALU_DEP_1)
	v_fma_f64 v[214:215], -v[214:215], v[235:236], v[233:234]
	v_div_fmas_f64 v[214:215], v[214:215], v[231:232], v[235:236]
	s_delay_alu instid0(VALU_DEP_1) | instskip(NEXT) | instid1(VALU_DEP_1)
	v_div_fixup_f64 v[212:213], v[214:215], v[212:213], 1.0
	v_mul_f64 v[214:215], v[229:230], -v[212:213]
.LBB104_555:
	s_or_b32 exec_lo, exec_lo, s2
.LBB104_556:
	s_delay_alu instid0(SALU_CYCLE_1) | instskip(NEXT) | instid1(SALU_CYCLE_1)
	s_or_b32 exec_lo, exec_lo, s3
	s_mov_b32 s2, exec_lo
	v_cmpx_ne_u32_e64 v228, v220
	s_xor_b32 s2, exec_lo, s2
	s_cbranch_execz .LBB104_562
; %bb.557:
	s_mov_b32 s3, exec_lo
	v_cmpx_eq_u32_e32 26, v228
	s_cbranch_execz .LBB104_561
; %bb.558:
	v_cmp_ne_u32_e32 vcc_lo, 26, v220
	s_xor_b32 s6, s4, -1
	s_delay_alu instid0(SALU_CYCLE_1) | instskip(NEXT) | instid1(SALU_CYCLE_1)
	s_and_b32 s7, s6, vcc_lo
	s_and_saveexec_b32 s6, s7
	s_cbranch_execz .LBB104_560
; %bb.559:
	v_ashrrev_i32_e32 v221, 31, v220
	s_delay_alu instid0(VALU_DEP_1) | instskip(NEXT) | instid1(VALU_DEP_1)
	v_lshlrev_b64 v[227:228], 2, v[220:221]
	v_add_co_u32 v227, vcc_lo, v218, v227
	s_delay_alu instid0(VALU_DEP_2)
	v_add_co_ci_u32_e32 v228, vcc_lo, v219, v228, vcc_lo
	s_clause 0x1
	flat_load_b32 v221, v[227:228]
	flat_load_b32 v229, v[218:219] offset:104
	s_waitcnt vmcnt(1) lgkmcnt(1)
	flat_store_b32 v[218:219], v221 offset:104
	s_waitcnt vmcnt(0) lgkmcnt(1)
	flat_store_b32 v[227:228], v229
.LBB104_560:
	s_or_b32 exec_lo, exec_lo, s6
	v_mov_b32_e32 v228, v220
	v_mov_b32_e32 v227, v220
.LBB104_561:
	s_or_b32 exec_lo, exec_lo, s3
.LBB104_562:
	s_and_not1_saveexec_b32 s2, s2
	s_cbranch_execz .LBB104_564
; %bb.563:
	v_mov_b32_e32 v228, 26
	ds_store_2addr_b64 v222, v[100:101], v[102:103] offset0:54 offset1:55
	ds_store_2addr_b64 v222, v[96:97], v[98:99] offset0:56 offset1:57
	;; [unrolled: 1-line block ×26, first 2 shown]
.LBB104_564:
	s_or_b32 exec_lo, exec_lo, s2
	s_delay_alu instid0(SALU_CYCLE_1)
	s_mov_b32 s2, exec_lo
	s_waitcnt lgkmcnt(0)
	s_waitcnt_vscnt null, 0x0
	s_barrier
	buffer_gl0_inv
	v_cmpx_lt_i32_e32 26, v228
	s_cbranch_execz .LBB104_566
; %bb.565:
	v_mul_f64 v[220:221], v[214:215], v[106:107]
	v_mul_f64 v[106:107], v[212:213], v[106:107]
	s_delay_alu instid0(VALU_DEP_2) | instskip(NEXT) | instid1(VALU_DEP_2)
	v_fma_f64 v[220:221], v[212:213], v[104:105], -v[220:221]
	v_fma_f64 v[106:107], v[214:215], v[104:105], v[106:107]
	ds_load_2addr_b64 v[212:215], v222 offset0:54 offset1:55
	s_waitcnt lgkmcnt(0)
	v_mul_f64 v[104:105], v[214:215], v[106:107]
	s_delay_alu instid0(VALU_DEP_1) | instskip(SKIP_1) | instid1(VALU_DEP_2)
	v_fma_f64 v[104:105], v[212:213], v[220:221], -v[104:105]
	v_mul_f64 v[212:213], v[212:213], v[106:107]
	v_add_f64 v[100:101], v[100:101], -v[104:105]
	s_delay_alu instid0(VALU_DEP_2) | instskip(NEXT) | instid1(VALU_DEP_1)
	v_fma_f64 v[212:213], v[214:215], v[220:221], v[212:213]
	v_add_f64 v[102:103], v[102:103], -v[212:213]
	ds_load_2addr_b64 v[212:215], v222 offset0:56 offset1:57
	s_waitcnt lgkmcnt(0)
	v_mul_f64 v[104:105], v[214:215], v[106:107]
	s_delay_alu instid0(VALU_DEP_1) | instskip(SKIP_1) | instid1(VALU_DEP_2)
	v_fma_f64 v[104:105], v[212:213], v[220:221], -v[104:105]
	v_mul_f64 v[212:213], v[212:213], v[106:107]
	v_add_f64 v[96:97], v[96:97], -v[104:105]
	s_delay_alu instid0(VALU_DEP_2) | instskip(NEXT) | instid1(VALU_DEP_1)
	v_fma_f64 v[212:213], v[214:215], v[220:221], v[212:213]
	v_add_f64 v[98:99], v[98:99], -v[212:213]
	;; [unrolled: 10-line block ×25, first 2 shown]
	ds_load_2addr_b64 v[212:215], v222 offset0:104 offset1:105
	s_waitcnt lgkmcnt(0)
	v_mul_f64 v[104:105], v[214:215], v[106:107]
	s_delay_alu instid0(VALU_DEP_1) | instskip(SKIP_1) | instid1(VALU_DEP_2)
	v_fma_f64 v[104:105], v[212:213], v[220:221], -v[104:105]
	v_mul_f64 v[212:213], v[212:213], v[106:107]
	v_add_f64 v[0:1], v[0:1], -v[104:105]
	s_delay_alu instid0(VALU_DEP_2) | instskip(SKIP_1) | instid1(VALU_DEP_2)
	v_fma_f64 v[212:213], v[214:215], v[220:221], v[212:213]
	v_dual_mov_b32 v104, v220 :: v_dual_mov_b32 v105, v221
	v_add_f64 v[2:3], v[2:3], -v[212:213]
.LBB104_566:
	s_or_b32 exec_lo, exec_lo, s2
	v_lshl_add_u32 v212, v228, 4, v222
	s_barrier
	buffer_gl0_inv
	v_mov_b32_e32 v220, 27
	ds_store_2addr_b64 v212, v[100:101], v[102:103] offset1:1
	s_waitcnt lgkmcnt(0)
	s_barrier
	buffer_gl0_inv
	ds_load_2addr_b64 v[212:215], v222 offset0:54 offset1:55
	s_cmp_lt_i32 s5, 29
	s_cbranch_scc1 .LBB104_569
; %bb.567:
	v_add3_u32 v221, v226, 0, 0x1c0
	v_mov_b32_e32 v220, 27
	s_mov_b32 s6, 28
	s_set_inst_prefetch_distance 0x1
	.p2align	6
.LBB104_568:                            ; =>This Inner Loop Header: Depth=1
	ds_load_2addr_b64 v[229:232], v221 offset1:1
	s_waitcnt lgkmcnt(1)
	v_cmp_gt_f64_e32 vcc_lo, 0, v[212:213]
	v_xor_b32_e32 v233, 0x80000000, v213
	v_cmp_gt_f64_e64 s2, 0, v[214:215]
	v_xor_b32_e32 v235, 0x80000000, v215
	v_add_nc_u32_e32 v221, 16, v221
	s_waitcnt lgkmcnt(0)
	v_cmp_gt_f64_e64 s3, 0, v[229:230]
	v_mov_b32_e32 v237, v229
	v_dual_mov_b32 v239, v231 :: v_dual_cndmask_b32 v234, v213, v233
	v_xor_b32_e32 v233, 0x80000000, v230
	v_cndmask_b32_e64 v236, v215, v235, s2
	v_xor_b32_e32 v235, 0x80000000, v232
	s_delay_alu instid0(VALU_DEP_3) | instskip(SKIP_2) | instid1(VALU_DEP_2)
	v_cndmask_b32_e64 v238, v230, v233, s3
	v_cmp_gt_f64_e64 s3, 0, v[231:232]
	v_cndmask_b32_e32 v233, v212, v212, vcc_lo
	v_cndmask_b32_e64 v240, v232, v235, s3
	v_cndmask_b32_e64 v235, v214, v214, s2
	s_delay_alu instid0(VALU_DEP_2) | instskip(NEXT) | instid1(VALU_DEP_2)
	v_add_f64 v[237:238], v[237:238], v[239:240]
	v_add_f64 v[233:234], v[233:234], v[235:236]
	s_delay_alu instid0(VALU_DEP_1) | instskip(SKIP_4) | instid1(SALU_CYCLE_1)
	v_cmp_lt_f64_e32 vcc_lo, v[233:234], v[237:238]
	v_dual_cndmask_b32 v214, v214, v231 :: v_dual_cndmask_b32 v213, v213, v230
	v_dual_cndmask_b32 v212, v212, v229 :: v_dual_cndmask_b32 v215, v215, v232
	v_cndmask_b32_e64 v220, v220, s6, vcc_lo
	s_add_i32 s6, s6, 1
	s_cmp_lg_u32 s5, s6
	s_cbranch_scc1 .LBB104_568
.LBB104_569:
	s_set_inst_prefetch_distance 0x2
	s_waitcnt lgkmcnt(0)
	v_cmp_eq_f64_e32 vcc_lo, 0, v[212:213]
	v_cmp_eq_f64_e64 s2, 0, v[214:215]
	s_delay_alu instid0(VALU_DEP_1) | instskip(NEXT) | instid1(SALU_CYCLE_1)
	s_and_b32 s2, vcc_lo, s2
	s_and_saveexec_b32 s3, s2
	s_delay_alu instid0(SALU_CYCLE_1)
	s_xor_b32 s2, exec_lo, s3
; %bb.570:
	v_cmp_ne_u32_e32 vcc_lo, 0, v225
	v_cndmask_b32_e32 v225, 28, v225, vcc_lo
; %bb.571:
	s_and_not1_saveexec_b32 s3, s2
	s_cbranch_execz .LBB104_577
; %bb.572:
	v_cmp_gt_f64_e32 vcc_lo, 0, v[212:213]
	v_cmp_gt_f64_e64 s2, 0, v[214:215]
	v_xor_b32_e32 v221, 0x80000000, v213
	v_xor_b32_e32 v229, 0x80000000, v215
	s_delay_alu instid0(VALU_DEP_2) | instskip(NEXT) | instid1(VALU_DEP_2)
	v_cndmask_b32_e32 v230, v213, v221, vcc_lo
	v_cndmask_b32_e64 v232, v215, v229, s2
	v_cndmask_b32_e32 v229, v212, v212, vcc_lo
	v_cndmask_b32_e64 v231, v214, v214, s2
	s_mov_b32 s2, exec_lo
	s_delay_alu instid0(VALU_DEP_1)
	v_cmpx_ngt_f64_e32 v[229:230], v[231:232]
	s_xor_b32 s2, exec_lo, s2
	s_cbranch_execz .LBB104_574
; %bb.573:
	v_div_scale_f64 v[229:230], null, v[214:215], v[214:215], v[212:213]
	v_div_scale_f64 v[235:236], vcc_lo, v[212:213], v[214:215], v[212:213]
	s_delay_alu instid0(VALU_DEP_2) | instskip(SKIP_2) | instid1(VALU_DEP_1)
	v_rcp_f64_e32 v[231:232], v[229:230]
	s_waitcnt_depctr 0xfff
	v_fma_f64 v[233:234], -v[229:230], v[231:232], 1.0
	v_fma_f64 v[231:232], v[231:232], v[233:234], v[231:232]
	s_delay_alu instid0(VALU_DEP_1) | instskip(NEXT) | instid1(VALU_DEP_1)
	v_fma_f64 v[233:234], -v[229:230], v[231:232], 1.0
	v_fma_f64 v[231:232], v[231:232], v[233:234], v[231:232]
	s_delay_alu instid0(VALU_DEP_1) | instskip(NEXT) | instid1(VALU_DEP_1)
	v_mul_f64 v[233:234], v[235:236], v[231:232]
	v_fma_f64 v[229:230], -v[229:230], v[233:234], v[235:236]
	s_delay_alu instid0(VALU_DEP_1) | instskip(NEXT) | instid1(VALU_DEP_1)
	v_div_fmas_f64 v[229:230], v[229:230], v[231:232], v[233:234]
	v_div_fixup_f64 v[229:230], v[229:230], v[214:215], v[212:213]
	s_delay_alu instid0(VALU_DEP_1) | instskip(NEXT) | instid1(VALU_DEP_1)
	v_fma_f64 v[212:213], v[212:213], v[229:230], v[214:215]
	v_div_scale_f64 v[214:215], null, v[212:213], v[212:213], 1.0
	s_delay_alu instid0(VALU_DEP_1) | instskip(SKIP_2) | instid1(VALU_DEP_1)
	v_rcp_f64_e32 v[231:232], v[214:215]
	s_waitcnt_depctr 0xfff
	v_fma_f64 v[233:234], -v[214:215], v[231:232], 1.0
	v_fma_f64 v[231:232], v[231:232], v[233:234], v[231:232]
	s_delay_alu instid0(VALU_DEP_1) | instskip(NEXT) | instid1(VALU_DEP_1)
	v_fma_f64 v[233:234], -v[214:215], v[231:232], 1.0
	v_fma_f64 v[231:232], v[231:232], v[233:234], v[231:232]
	v_div_scale_f64 v[233:234], vcc_lo, 1.0, v[212:213], 1.0
	s_delay_alu instid0(VALU_DEP_1) | instskip(NEXT) | instid1(VALU_DEP_1)
	v_mul_f64 v[235:236], v[233:234], v[231:232]
	v_fma_f64 v[214:215], -v[214:215], v[235:236], v[233:234]
	s_delay_alu instid0(VALU_DEP_1) | instskip(NEXT) | instid1(VALU_DEP_1)
	v_div_fmas_f64 v[214:215], v[214:215], v[231:232], v[235:236]
	v_div_fixup_f64 v[214:215], v[214:215], v[212:213], 1.0
	s_delay_alu instid0(VALU_DEP_1)
	v_mul_f64 v[212:213], v[229:230], v[214:215]
	v_xor_b32_e32 v215, 0x80000000, v215
.LBB104_574:
	s_and_not1_saveexec_b32 s2, s2
	s_cbranch_execz .LBB104_576
; %bb.575:
	s_delay_alu instid0(VALU_DEP_1) | instskip(SKIP_1) | instid1(VALU_DEP_2)
	v_div_scale_f64 v[229:230], null, v[212:213], v[212:213], v[214:215]
	v_div_scale_f64 v[235:236], vcc_lo, v[214:215], v[212:213], v[214:215]
	v_rcp_f64_e32 v[231:232], v[229:230]
	s_waitcnt_depctr 0xfff
	v_fma_f64 v[233:234], -v[229:230], v[231:232], 1.0
	s_delay_alu instid0(VALU_DEP_1) | instskip(NEXT) | instid1(VALU_DEP_1)
	v_fma_f64 v[231:232], v[231:232], v[233:234], v[231:232]
	v_fma_f64 v[233:234], -v[229:230], v[231:232], 1.0
	s_delay_alu instid0(VALU_DEP_1) | instskip(NEXT) | instid1(VALU_DEP_1)
	v_fma_f64 v[231:232], v[231:232], v[233:234], v[231:232]
	v_mul_f64 v[233:234], v[235:236], v[231:232]
	s_delay_alu instid0(VALU_DEP_1) | instskip(NEXT) | instid1(VALU_DEP_1)
	v_fma_f64 v[229:230], -v[229:230], v[233:234], v[235:236]
	v_div_fmas_f64 v[229:230], v[229:230], v[231:232], v[233:234]
	s_delay_alu instid0(VALU_DEP_1) | instskip(NEXT) | instid1(VALU_DEP_1)
	v_div_fixup_f64 v[229:230], v[229:230], v[212:213], v[214:215]
	v_fma_f64 v[212:213], v[214:215], v[229:230], v[212:213]
	s_delay_alu instid0(VALU_DEP_1) | instskip(NEXT) | instid1(VALU_DEP_1)
	v_div_scale_f64 v[214:215], null, v[212:213], v[212:213], 1.0
	v_rcp_f64_e32 v[231:232], v[214:215]
	s_waitcnt_depctr 0xfff
	v_fma_f64 v[233:234], -v[214:215], v[231:232], 1.0
	s_delay_alu instid0(VALU_DEP_1) | instskip(NEXT) | instid1(VALU_DEP_1)
	v_fma_f64 v[231:232], v[231:232], v[233:234], v[231:232]
	v_fma_f64 v[233:234], -v[214:215], v[231:232], 1.0
	s_delay_alu instid0(VALU_DEP_1) | instskip(SKIP_1) | instid1(VALU_DEP_1)
	v_fma_f64 v[231:232], v[231:232], v[233:234], v[231:232]
	v_div_scale_f64 v[233:234], vcc_lo, 1.0, v[212:213], 1.0
	v_mul_f64 v[235:236], v[233:234], v[231:232]
	s_delay_alu instid0(VALU_DEP_1) | instskip(NEXT) | instid1(VALU_DEP_1)
	v_fma_f64 v[214:215], -v[214:215], v[235:236], v[233:234]
	v_div_fmas_f64 v[214:215], v[214:215], v[231:232], v[235:236]
	s_delay_alu instid0(VALU_DEP_1) | instskip(NEXT) | instid1(VALU_DEP_1)
	v_div_fixup_f64 v[212:213], v[214:215], v[212:213], 1.0
	v_mul_f64 v[214:215], v[229:230], -v[212:213]
.LBB104_576:
	s_or_b32 exec_lo, exec_lo, s2
.LBB104_577:
	s_delay_alu instid0(SALU_CYCLE_1) | instskip(NEXT) | instid1(SALU_CYCLE_1)
	s_or_b32 exec_lo, exec_lo, s3
	s_mov_b32 s2, exec_lo
	v_cmpx_ne_u32_e64 v228, v220
	s_xor_b32 s2, exec_lo, s2
	s_cbranch_execz .LBB104_583
; %bb.578:
	s_mov_b32 s3, exec_lo
	v_cmpx_eq_u32_e32 27, v228
	s_cbranch_execz .LBB104_582
; %bb.579:
	v_cmp_ne_u32_e32 vcc_lo, 27, v220
	s_xor_b32 s6, s4, -1
	s_delay_alu instid0(SALU_CYCLE_1) | instskip(NEXT) | instid1(SALU_CYCLE_1)
	s_and_b32 s7, s6, vcc_lo
	s_and_saveexec_b32 s6, s7
	s_cbranch_execz .LBB104_581
; %bb.580:
	v_ashrrev_i32_e32 v221, 31, v220
	s_delay_alu instid0(VALU_DEP_1) | instskip(NEXT) | instid1(VALU_DEP_1)
	v_lshlrev_b64 v[227:228], 2, v[220:221]
	v_add_co_u32 v227, vcc_lo, v218, v227
	s_delay_alu instid0(VALU_DEP_2)
	v_add_co_ci_u32_e32 v228, vcc_lo, v219, v228, vcc_lo
	s_clause 0x1
	flat_load_b32 v221, v[227:228]
	flat_load_b32 v229, v[218:219] offset:108
	s_waitcnt vmcnt(1) lgkmcnt(1)
	flat_store_b32 v[218:219], v221 offset:108
	s_waitcnt vmcnt(0) lgkmcnt(1)
	flat_store_b32 v[227:228], v229
.LBB104_581:
	s_or_b32 exec_lo, exec_lo, s6
	v_mov_b32_e32 v228, v220
	v_mov_b32_e32 v227, v220
.LBB104_582:
	s_or_b32 exec_lo, exec_lo, s3
.LBB104_583:
	s_and_not1_saveexec_b32 s2, s2
	s_cbranch_execz .LBB104_585
; %bb.584:
	v_mov_b32_e32 v228, 27
	ds_store_2addr_b64 v222, v[96:97], v[98:99] offset0:56 offset1:57
	ds_store_2addr_b64 v222, v[92:93], v[94:95] offset0:58 offset1:59
	;; [unrolled: 1-line block ×25, first 2 shown]
.LBB104_585:
	s_or_b32 exec_lo, exec_lo, s2
	s_delay_alu instid0(SALU_CYCLE_1)
	s_mov_b32 s2, exec_lo
	s_waitcnt lgkmcnt(0)
	s_waitcnt_vscnt null, 0x0
	s_barrier
	buffer_gl0_inv
	v_cmpx_lt_i32_e32 27, v228
	s_cbranch_execz .LBB104_587
; %bb.586:
	v_mul_f64 v[220:221], v[214:215], v[102:103]
	v_mul_f64 v[102:103], v[212:213], v[102:103]
	s_delay_alu instid0(VALU_DEP_2) | instskip(NEXT) | instid1(VALU_DEP_2)
	v_fma_f64 v[220:221], v[212:213], v[100:101], -v[220:221]
	v_fma_f64 v[102:103], v[214:215], v[100:101], v[102:103]
	ds_load_2addr_b64 v[212:215], v222 offset0:56 offset1:57
	s_waitcnt lgkmcnt(0)
	v_mul_f64 v[100:101], v[214:215], v[102:103]
	s_delay_alu instid0(VALU_DEP_1) | instskip(SKIP_1) | instid1(VALU_DEP_2)
	v_fma_f64 v[100:101], v[212:213], v[220:221], -v[100:101]
	v_mul_f64 v[212:213], v[212:213], v[102:103]
	v_add_f64 v[96:97], v[96:97], -v[100:101]
	s_delay_alu instid0(VALU_DEP_2) | instskip(NEXT) | instid1(VALU_DEP_1)
	v_fma_f64 v[212:213], v[214:215], v[220:221], v[212:213]
	v_add_f64 v[98:99], v[98:99], -v[212:213]
	ds_load_2addr_b64 v[212:215], v222 offset0:58 offset1:59
	s_waitcnt lgkmcnt(0)
	v_mul_f64 v[100:101], v[214:215], v[102:103]
	s_delay_alu instid0(VALU_DEP_1) | instskip(SKIP_1) | instid1(VALU_DEP_2)
	v_fma_f64 v[100:101], v[212:213], v[220:221], -v[100:101]
	v_mul_f64 v[212:213], v[212:213], v[102:103]
	v_add_f64 v[92:93], v[92:93], -v[100:101]
	s_delay_alu instid0(VALU_DEP_2) | instskip(NEXT) | instid1(VALU_DEP_1)
	v_fma_f64 v[212:213], v[214:215], v[220:221], v[212:213]
	v_add_f64 v[94:95], v[94:95], -v[212:213]
	;; [unrolled: 10-line block ×24, first 2 shown]
	ds_load_2addr_b64 v[212:215], v222 offset0:104 offset1:105
	s_waitcnt lgkmcnt(0)
	v_mul_f64 v[100:101], v[214:215], v[102:103]
	s_delay_alu instid0(VALU_DEP_1) | instskip(SKIP_1) | instid1(VALU_DEP_2)
	v_fma_f64 v[100:101], v[212:213], v[220:221], -v[100:101]
	v_mul_f64 v[212:213], v[212:213], v[102:103]
	v_add_f64 v[0:1], v[0:1], -v[100:101]
	s_delay_alu instid0(VALU_DEP_2) | instskip(SKIP_1) | instid1(VALU_DEP_2)
	v_fma_f64 v[212:213], v[214:215], v[220:221], v[212:213]
	v_dual_mov_b32 v100, v220 :: v_dual_mov_b32 v101, v221
	v_add_f64 v[2:3], v[2:3], -v[212:213]
.LBB104_587:
	s_or_b32 exec_lo, exec_lo, s2
	v_lshl_add_u32 v212, v228, 4, v222
	s_barrier
	buffer_gl0_inv
	v_mov_b32_e32 v220, 28
	ds_store_2addr_b64 v212, v[96:97], v[98:99] offset1:1
	s_waitcnt lgkmcnt(0)
	s_barrier
	buffer_gl0_inv
	ds_load_2addr_b64 v[212:215], v222 offset0:56 offset1:57
	s_cmp_lt_i32 s5, 30
	s_cbranch_scc1 .LBB104_590
; %bb.588:
	v_add3_u32 v221, v226, 0, 0x1d0
	v_mov_b32_e32 v220, 28
	s_mov_b32 s6, 29
	s_set_inst_prefetch_distance 0x1
	.p2align	6
.LBB104_589:                            ; =>This Inner Loop Header: Depth=1
	ds_load_2addr_b64 v[229:232], v221 offset1:1
	s_waitcnt lgkmcnt(1)
	v_cmp_gt_f64_e32 vcc_lo, 0, v[212:213]
	v_xor_b32_e32 v233, 0x80000000, v213
	v_cmp_gt_f64_e64 s2, 0, v[214:215]
	v_xor_b32_e32 v235, 0x80000000, v215
	v_add_nc_u32_e32 v221, 16, v221
	s_waitcnt lgkmcnt(0)
	v_cmp_gt_f64_e64 s3, 0, v[229:230]
	v_mov_b32_e32 v237, v229
	v_dual_mov_b32 v239, v231 :: v_dual_cndmask_b32 v234, v213, v233
	v_xor_b32_e32 v233, 0x80000000, v230
	v_cndmask_b32_e64 v236, v215, v235, s2
	v_xor_b32_e32 v235, 0x80000000, v232
	s_delay_alu instid0(VALU_DEP_3) | instskip(SKIP_2) | instid1(VALU_DEP_2)
	v_cndmask_b32_e64 v238, v230, v233, s3
	v_cmp_gt_f64_e64 s3, 0, v[231:232]
	v_cndmask_b32_e32 v233, v212, v212, vcc_lo
	v_cndmask_b32_e64 v240, v232, v235, s3
	v_cndmask_b32_e64 v235, v214, v214, s2
	s_delay_alu instid0(VALU_DEP_2) | instskip(NEXT) | instid1(VALU_DEP_2)
	v_add_f64 v[237:238], v[237:238], v[239:240]
	v_add_f64 v[233:234], v[233:234], v[235:236]
	s_delay_alu instid0(VALU_DEP_1) | instskip(SKIP_4) | instid1(SALU_CYCLE_1)
	v_cmp_lt_f64_e32 vcc_lo, v[233:234], v[237:238]
	v_dual_cndmask_b32 v214, v214, v231 :: v_dual_cndmask_b32 v213, v213, v230
	v_dual_cndmask_b32 v212, v212, v229 :: v_dual_cndmask_b32 v215, v215, v232
	v_cndmask_b32_e64 v220, v220, s6, vcc_lo
	s_add_i32 s6, s6, 1
	s_cmp_lg_u32 s5, s6
	s_cbranch_scc1 .LBB104_589
.LBB104_590:
	s_set_inst_prefetch_distance 0x2
	s_waitcnt lgkmcnt(0)
	v_cmp_eq_f64_e32 vcc_lo, 0, v[212:213]
	v_cmp_eq_f64_e64 s2, 0, v[214:215]
	s_delay_alu instid0(VALU_DEP_1) | instskip(NEXT) | instid1(SALU_CYCLE_1)
	s_and_b32 s2, vcc_lo, s2
	s_and_saveexec_b32 s3, s2
	s_delay_alu instid0(SALU_CYCLE_1)
	s_xor_b32 s2, exec_lo, s3
; %bb.591:
	v_cmp_ne_u32_e32 vcc_lo, 0, v225
	v_cndmask_b32_e32 v225, 29, v225, vcc_lo
; %bb.592:
	s_and_not1_saveexec_b32 s3, s2
	s_cbranch_execz .LBB104_598
; %bb.593:
	v_cmp_gt_f64_e32 vcc_lo, 0, v[212:213]
	v_cmp_gt_f64_e64 s2, 0, v[214:215]
	v_xor_b32_e32 v221, 0x80000000, v213
	v_xor_b32_e32 v229, 0x80000000, v215
	s_delay_alu instid0(VALU_DEP_2) | instskip(NEXT) | instid1(VALU_DEP_2)
	v_cndmask_b32_e32 v230, v213, v221, vcc_lo
	v_cndmask_b32_e64 v232, v215, v229, s2
	v_cndmask_b32_e32 v229, v212, v212, vcc_lo
	v_cndmask_b32_e64 v231, v214, v214, s2
	s_mov_b32 s2, exec_lo
	s_delay_alu instid0(VALU_DEP_1)
	v_cmpx_ngt_f64_e32 v[229:230], v[231:232]
	s_xor_b32 s2, exec_lo, s2
	s_cbranch_execz .LBB104_595
; %bb.594:
	v_div_scale_f64 v[229:230], null, v[214:215], v[214:215], v[212:213]
	v_div_scale_f64 v[235:236], vcc_lo, v[212:213], v[214:215], v[212:213]
	s_delay_alu instid0(VALU_DEP_2) | instskip(SKIP_2) | instid1(VALU_DEP_1)
	v_rcp_f64_e32 v[231:232], v[229:230]
	s_waitcnt_depctr 0xfff
	v_fma_f64 v[233:234], -v[229:230], v[231:232], 1.0
	v_fma_f64 v[231:232], v[231:232], v[233:234], v[231:232]
	s_delay_alu instid0(VALU_DEP_1) | instskip(NEXT) | instid1(VALU_DEP_1)
	v_fma_f64 v[233:234], -v[229:230], v[231:232], 1.0
	v_fma_f64 v[231:232], v[231:232], v[233:234], v[231:232]
	s_delay_alu instid0(VALU_DEP_1) | instskip(NEXT) | instid1(VALU_DEP_1)
	v_mul_f64 v[233:234], v[235:236], v[231:232]
	v_fma_f64 v[229:230], -v[229:230], v[233:234], v[235:236]
	s_delay_alu instid0(VALU_DEP_1) | instskip(NEXT) | instid1(VALU_DEP_1)
	v_div_fmas_f64 v[229:230], v[229:230], v[231:232], v[233:234]
	v_div_fixup_f64 v[229:230], v[229:230], v[214:215], v[212:213]
	s_delay_alu instid0(VALU_DEP_1) | instskip(NEXT) | instid1(VALU_DEP_1)
	v_fma_f64 v[212:213], v[212:213], v[229:230], v[214:215]
	v_div_scale_f64 v[214:215], null, v[212:213], v[212:213], 1.0
	s_delay_alu instid0(VALU_DEP_1) | instskip(SKIP_2) | instid1(VALU_DEP_1)
	v_rcp_f64_e32 v[231:232], v[214:215]
	s_waitcnt_depctr 0xfff
	v_fma_f64 v[233:234], -v[214:215], v[231:232], 1.0
	v_fma_f64 v[231:232], v[231:232], v[233:234], v[231:232]
	s_delay_alu instid0(VALU_DEP_1) | instskip(NEXT) | instid1(VALU_DEP_1)
	v_fma_f64 v[233:234], -v[214:215], v[231:232], 1.0
	v_fma_f64 v[231:232], v[231:232], v[233:234], v[231:232]
	v_div_scale_f64 v[233:234], vcc_lo, 1.0, v[212:213], 1.0
	s_delay_alu instid0(VALU_DEP_1) | instskip(NEXT) | instid1(VALU_DEP_1)
	v_mul_f64 v[235:236], v[233:234], v[231:232]
	v_fma_f64 v[214:215], -v[214:215], v[235:236], v[233:234]
	s_delay_alu instid0(VALU_DEP_1) | instskip(NEXT) | instid1(VALU_DEP_1)
	v_div_fmas_f64 v[214:215], v[214:215], v[231:232], v[235:236]
	v_div_fixup_f64 v[214:215], v[214:215], v[212:213], 1.0
	s_delay_alu instid0(VALU_DEP_1)
	v_mul_f64 v[212:213], v[229:230], v[214:215]
	v_xor_b32_e32 v215, 0x80000000, v215
.LBB104_595:
	s_and_not1_saveexec_b32 s2, s2
	s_cbranch_execz .LBB104_597
; %bb.596:
	s_delay_alu instid0(VALU_DEP_1) | instskip(SKIP_1) | instid1(VALU_DEP_2)
	v_div_scale_f64 v[229:230], null, v[212:213], v[212:213], v[214:215]
	v_div_scale_f64 v[235:236], vcc_lo, v[214:215], v[212:213], v[214:215]
	v_rcp_f64_e32 v[231:232], v[229:230]
	s_waitcnt_depctr 0xfff
	v_fma_f64 v[233:234], -v[229:230], v[231:232], 1.0
	s_delay_alu instid0(VALU_DEP_1) | instskip(NEXT) | instid1(VALU_DEP_1)
	v_fma_f64 v[231:232], v[231:232], v[233:234], v[231:232]
	v_fma_f64 v[233:234], -v[229:230], v[231:232], 1.0
	s_delay_alu instid0(VALU_DEP_1) | instskip(NEXT) | instid1(VALU_DEP_1)
	v_fma_f64 v[231:232], v[231:232], v[233:234], v[231:232]
	v_mul_f64 v[233:234], v[235:236], v[231:232]
	s_delay_alu instid0(VALU_DEP_1) | instskip(NEXT) | instid1(VALU_DEP_1)
	v_fma_f64 v[229:230], -v[229:230], v[233:234], v[235:236]
	v_div_fmas_f64 v[229:230], v[229:230], v[231:232], v[233:234]
	s_delay_alu instid0(VALU_DEP_1) | instskip(NEXT) | instid1(VALU_DEP_1)
	v_div_fixup_f64 v[229:230], v[229:230], v[212:213], v[214:215]
	v_fma_f64 v[212:213], v[214:215], v[229:230], v[212:213]
	s_delay_alu instid0(VALU_DEP_1) | instskip(NEXT) | instid1(VALU_DEP_1)
	v_div_scale_f64 v[214:215], null, v[212:213], v[212:213], 1.0
	v_rcp_f64_e32 v[231:232], v[214:215]
	s_waitcnt_depctr 0xfff
	v_fma_f64 v[233:234], -v[214:215], v[231:232], 1.0
	s_delay_alu instid0(VALU_DEP_1) | instskip(NEXT) | instid1(VALU_DEP_1)
	v_fma_f64 v[231:232], v[231:232], v[233:234], v[231:232]
	v_fma_f64 v[233:234], -v[214:215], v[231:232], 1.0
	s_delay_alu instid0(VALU_DEP_1) | instskip(SKIP_1) | instid1(VALU_DEP_1)
	v_fma_f64 v[231:232], v[231:232], v[233:234], v[231:232]
	v_div_scale_f64 v[233:234], vcc_lo, 1.0, v[212:213], 1.0
	v_mul_f64 v[235:236], v[233:234], v[231:232]
	s_delay_alu instid0(VALU_DEP_1) | instskip(NEXT) | instid1(VALU_DEP_1)
	v_fma_f64 v[214:215], -v[214:215], v[235:236], v[233:234]
	v_div_fmas_f64 v[214:215], v[214:215], v[231:232], v[235:236]
	s_delay_alu instid0(VALU_DEP_1) | instskip(NEXT) | instid1(VALU_DEP_1)
	v_div_fixup_f64 v[212:213], v[214:215], v[212:213], 1.0
	v_mul_f64 v[214:215], v[229:230], -v[212:213]
.LBB104_597:
	s_or_b32 exec_lo, exec_lo, s2
.LBB104_598:
	s_delay_alu instid0(SALU_CYCLE_1) | instskip(NEXT) | instid1(SALU_CYCLE_1)
	s_or_b32 exec_lo, exec_lo, s3
	s_mov_b32 s2, exec_lo
	v_cmpx_ne_u32_e64 v228, v220
	s_xor_b32 s2, exec_lo, s2
	s_cbranch_execz .LBB104_604
; %bb.599:
	s_mov_b32 s3, exec_lo
	v_cmpx_eq_u32_e32 28, v228
	s_cbranch_execz .LBB104_603
; %bb.600:
	v_cmp_ne_u32_e32 vcc_lo, 28, v220
	s_xor_b32 s6, s4, -1
	s_delay_alu instid0(SALU_CYCLE_1) | instskip(NEXT) | instid1(SALU_CYCLE_1)
	s_and_b32 s7, s6, vcc_lo
	s_and_saveexec_b32 s6, s7
	s_cbranch_execz .LBB104_602
; %bb.601:
	v_ashrrev_i32_e32 v221, 31, v220
	s_delay_alu instid0(VALU_DEP_1) | instskip(NEXT) | instid1(VALU_DEP_1)
	v_lshlrev_b64 v[227:228], 2, v[220:221]
	v_add_co_u32 v227, vcc_lo, v218, v227
	s_delay_alu instid0(VALU_DEP_2)
	v_add_co_ci_u32_e32 v228, vcc_lo, v219, v228, vcc_lo
	s_clause 0x1
	flat_load_b32 v221, v[227:228]
	flat_load_b32 v229, v[218:219] offset:112
	s_waitcnt vmcnt(1) lgkmcnt(1)
	flat_store_b32 v[218:219], v221 offset:112
	s_waitcnt vmcnt(0) lgkmcnt(1)
	flat_store_b32 v[227:228], v229
.LBB104_602:
	s_or_b32 exec_lo, exec_lo, s6
	v_mov_b32_e32 v228, v220
	v_mov_b32_e32 v227, v220
.LBB104_603:
	s_or_b32 exec_lo, exec_lo, s3
.LBB104_604:
	s_and_not1_saveexec_b32 s2, s2
	s_cbranch_execz .LBB104_606
; %bb.605:
	v_mov_b32_e32 v228, 28
	ds_store_2addr_b64 v222, v[92:93], v[94:95] offset0:58 offset1:59
	ds_store_2addr_b64 v222, v[88:89], v[90:91] offset0:60 offset1:61
	;; [unrolled: 1-line block ×24, first 2 shown]
.LBB104_606:
	s_or_b32 exec_lo, exec_lo, s2
	s_delay_alu instid0(SALU_CYCLE_1)
	s_mov_b32 s2, exec_lo
	s_waitcnt lgkmcnt(0)
	s_waitcnt_vscnt null, 0x0
	s_barrier
	buffer_gl0_inv
	v_cmpx_lt_i32_e32 28, v228
	s_cbranch_execz .LBB104_608
; %bb.607:
	v_mul_f64 v[220:221], v[214:215], v[98:99]
	v_mul_f64 v[98:99], v[212:213], v[98:99]
	s_delay_alu instid0(VALU_DEP_2) | instskip(NEXT) | instid1(VALU_DEP_2)
	v_fma_f64 v[220:221], v[212:213], v[96:97], -v[220:221]
	v_fma_f64 v[98:99], v[214:215], v[96:97], v[98:99]
	ds_load_2addr_b64 v[212:215], v222 offset0:58 offset1:59
	s_waitcnt lgkmcnt(0)
	v_mul_f64 v[96:97], v[214:215], v[98:99]
	s_delay_alu instid0(VALU_DEP_1) | instskip(SKIP_1) | instid1(VALU_DEP_2)
	v_fma_f64 v[96:97], v[212:213], v[220:221], -v[96:97]
	v_mul_f64 v[212:213], v[212:213], v[98:99]
	v_add_f64 v[92:93], v[92:93], -v[96:97]
	s_delay_alu instid0(VALU_DEP_2) | instskip(NEXT) | instid1(VALU_DEP_1)
	v_fma_f64 v[212:213], v[214:215], v[220:221], v[212:213]
	v_add_f64 v[94:95], v[94:95], -v[212:213]
	ds_load_2addr_b64 v[212:215], v222 offset0:60 offset1:61
	s_waitcnt lgkmcnt(0)
	v_mul_f64 v[96:97], v[214:215], v[98:99]
	s_delay_alu instid0(VALU_DEP_1) | instskip(SKIP_1) | instid1(VALU_DEP_2)
	v_fma_f64 v[96:97], v[212:213], v[220:221], -v[96:97]
	v_mul_f64 v[212:213], v[212:213], v[98:99]
	v_add_f64 v[88:89], v[88:89], -v[96:97]
	s_delay_alu instid0(VALU_DEP_2) | instskip(NEXT) | instid1(VALU_DEP_1)
	v_fma_f64 v[212:213], v[214:215], v[220:221], v[212:213]
	v_add_f64 v[90:91], v[90:91], -v[212:213]
	;; [unrolled: 10-line block ×23, first 2 shown]
	ds_load_2addr_b64 v[212:215], v222 offset0:104 offset1:105
	s_waitcnt lgkmcnt(0)
	v_mul_f64 v[96:97], v[214:215], v[98:99]
	s_delay_alu instid0(VALU_DEP_1) | instskip(SKIP_1) | instid1(VALU_DEP_2)
	v_fma_f64 v[96:97], v[212:213], v[220:221], -v[96:97]
	v_mul_f64 v[212:213], v[212:213], v[98:99]
	v_add_f64 v[0:1], v[0:1], -v[96:97]
	s_delay_alu instid0(VALU_DEP_2) | instskip(SKIP_1) | instid1(VALU_DEP_2)
	v_fma_f64 v[212:213], v[214:215], v[220:221], v[212:213]
	v_dual_mov_b32 v96, v220 :: v_dual_mov_b32 v97, v221
	v_add_f64 v[2:3], v[2:3], -v[212:213]
.LBB104_608:
	s_or_b32 exec_lo, exec_lo, s2
	v_lshl_add_u32 v212, v228, 4, v222
	s_barrier
	buffer_gl0_inv
	v_mov_b32_e32 v220, 29
	ds_store_2addr_b64 v212, v[92:93], v[94:95] offset1:1
	s_waitcnt lgkmcnt(0)
	s_barrier
	buffer_gl0_inv
	ds_load_2addr_b64 v[212:215], v222 offset0:58 offset1:59
	s_cmp_lt_i32 s5, 31
	s_cbranch_scc1 .LBB104_611
; %bb.609:
	v_add3_u32 v221, v226, 0, 0x1e0
	v_mov_b32_e32 v220, 29
	s_mov_b32 s6, 30
	s_set_inst_prefetch_distance 0x1
	.p2align	6
.LBB104_610:                            ; =>This Inner Loop Header: Depth=1
	ds_load_2addr_b64 v[229:232], v221 offset1:1
	s_waitcnt lgkmcnt(1)
	v_cmp_gt_f64_e32 vcc_lo, 0, v[212:213]
	v_xor_b32_e32 v233, 0x80000000, v213
	v_cmp_gt_f64_e64 s2, 0, v[214:215]
	v_xor_b32_e32 v235, 0x80000000, v215
	v_add_nc_u32_e32 v221, 16, v221
	s_waitcnt lgkmcnt(0)
	v_cmp_gt_f64_e64 s3, 0, v[229:230]
	v_mov_b32_e32 v237, v229
	v_dual_mov_b32 v239, v231 :: v_dual_cndmask_b32 v234, v213, v233
	v_xor_b32_e32 v233, 0x80000000, v230
	v_cndmask_b32_e64 v236, v215, v235, s2
	v_xor_b32_e32 v235, 0x80000000, v232
	s_delay_alu instid0(VALU_DEP_3) | instskip(SKIP_2) | instid1(VALU_DEP_2)
	v_cndmask_b32_e64 v238, v230, v233, s3
	v_cmp_gt_f64_e64 s3, 0, v[231:232]
	v_cndmask_b32_e32 v233, v212, v212, vcc_lo
	v_cndmask_b32_e64 v240, v232, v235, s3
	v_cndmask_b32_e64 v235, v214, v214, s2
	s_delay_alu instid0(VALU_DEP_2) | instskip(NEXT) | instid1(VALU_DEP_2)
	v_add_f64 v[237:238], v[237:238], v[239:240]
	v_add_f64 v[233:234], v[233:234], v[235:236]
	s_delay_alu instid0(VALU_DEP_1) | instskip(SKIP_4) | instid1(SALU_CYCLE_1)
	v_cmp_lt_f64_e32 vcc_lo, v[233:234], v[237:238]
	v_dual_cndmask_b32 v214, v214, v231 :: v_dual_cndmask_b32 v213, v213, v230
	v_dual_cndmask_b32 v212, v212, v229 :: v_dual_cndmask_b32 v215, v215, v232
	v_cndmask_b32_e64 v220, v220, s6, vcc_lo
	s_add_i32 s6, s6, 1
	s_cmp_lg_u32 s5, s6
	s_cbranch_scc1 .LBB104_610
.LBB104_611:
	s_set_inst_prefetch_distance 0x2
	s_waitcnt lgkmcnt(0)
	v_cmp_eq_f64_e32 vcc_lo, 0, v[212:213]
	v_cmp_eq_f64_e64 s2, 0, v[214:215]
	s_delay_alu instid0(VALU_DEP_1) | instskip(NEXT) | instid1(SALU_CYCLE_1)
	s_and_b32 s2, vcc_lo, s2
	s_and_saveexec_b32 s3, s2
	s_delay_alu instid0(SALU_CYCLE_1)
	s_xor_b32 s2, exec_lo, s3
; %bb.612:
	v_cmp_ne_u32_e32 vcc_lo, 0, v225
	v_cndmask_b32_e32 v225, 30, v225, vcc_lo
; %bb.613:
	s_and_not1_saveexec_b32 s3, s2
	s_cbranch_execz .LBB104_619
; %bb.614:
	v_cmp_gt_f64_e32 vcc_lo, 0, v[212:213]
	v_cmp_gt_f64_e64 s2, 0, v[214:215]
	v_xor_b32_e32 v221, 0x80000000, v213
	v_xor_b32_e32 v229, 0x80000000, v215
	s_delay_alu instid0(VALU_DEP_2) | instskip(NEXT) | instid1(VALU_DEP_2)
	v_cndmask_b32_e32 v230, v213, v221, vcc_lo
	v_cndmask_b32_e64 v232, v215, v229, s2
	v_cndmask_b32_e32 v229, v212, v212, vcc_lo
	v_cndmask_b32_e64 v231, v214, v214, s2
	s_mov_b32 s2, exec_lo
	s_delay_alu instid0(VALU_DEP_1)
	v_cmpx_ngt_f64_e32 v[229:230], v[231:232]
	s_xor_b32 s2, exec_lo, s2
	s_cbranch_execz .LBB104_616
; %bb.615:
	v_div_scale_f64 v[229:230], null, v[214:215], v[214:215], v[212:213]
	v_div_scale_f64 v[235:236], vcc_lo, v[212:213], v[214:215], v[212:213]
	s_delay_alu instid0(VALU_DEP_2) | instskip(SKIP_2) | instid1(VALU_DEP_1)
	v_rcp_f64_e32 v[231:232], v[229:230]
	s_waitcnt_depctr 0xfff
	v_fma_f64 v[233:234], -v[229:230], v[231:232], 1.0
	v_fma_f64 v[231:232], v[231:232], v[233:234], v[231:232]
	s_delay_alu instid0(VALU_DEP_1) | instskip(NEXT) | instid1(VALU_DEP_1)
	v_fma_f64 v[233:234], -v[229:230], v[231:232], 1.0
	v_fma_f64 v[231:232], v[231:232], v[233:234], v[231:232]
	s_delay_alu instid0(VALU_DEP_1) | instskip(NEXT) | instid1(VALU_DEP_1)
	v_mul_f64 v[233:234], v[235:236], v[231:232]
	v_fma_f64 v[229:230], -v[229:230], v[233:234], v[235:236]
	s_delay_alu instid0(VALU_DEP_1) | instskip(NEXT) | instid1(VALU_DEP_1)
	v_div_fmas_f64 v[229:230], v[229:230], v[231:232], v[233:234]
	v_div_fixup_f64 v[229:230], v[229:230], v[214:215], v[212:213]
	s_delay_alu instid0(VALU_DEP_1) | instskip(NEXT) | instid1(VALU_DEP_1)
	v_fma_f64 v[212:213], v[212:213], v[229:230], v[214:215]
	v_div_scale_f64 v[214:215], null, v[212:213], v[212:213], 1.0
	s_delay_alu instid0(VALU_DEP_1) | instskip(SKIP_2) | instid1(VALU_DEP_1)
	v_rcp_f64_e32 v[231:232], v[214:215]
	s_waitcnt_depctr 0xfff
	v_fma_f64 v[233:234], -v[214:215], v[231:232], 1.0
	v_fma_f64 v[231:232], v[231:232], v[233:234], v[231:232]
	s_delay_alu instid0(VALU_DEP_1) | instskip(NEXT) | instid1(VALU_DEP_1)
	v_fma_f64 v[233:234], -v[214:215], v[231:232], 1.0
	v_fma_f64 v[231:232], v[231:232], v[233:234], v[231:232]
	v_div_scale_f64 v[233:234], vcc_lo, 1.0, v[212:213], 1.0
	s_delay_alu instid0(VALU_DEP_1) | instskip(NEXT) | instid1(VALU_DEP_1)
	v_mul_f64 v[235:236], v[233:234], v[231:232]
	v_fma_f64 v[214:215], -v[214:215], v[235:236], v[233:234]
	s_delay_alu instid0(VALU_DEP_1) | instskip(NEXT) | instid1(VALU_DEP_1)
	v_div_fmas_f64 v[214:215], v[214:215], v[231:232], v[235:236]
	v_div_fixup_f64 v[214:215], v[214:215], v[212:213], 1.0
	s_delay_alu instid0(VALU_DEP_1)
	v_mul_f64 v[212:213], v[229:230], v[214:215]
	v_xor_b32_e32 v215, 0x80000000, v215
.LBB104_616:
	s_and_not1_saveexec_b32 s2, s2
	s_cbranch_execz .LBB104_618
; %bb.617:
	s_delay_alu instid0(VALU_DEP_1) | instskip(SKIP_1) | instid1(VALU_DEP_2)
	v_div_scale_f64 v[229:230], null, v[212:213], v[212:213], v[214:215]
	v_div_scale_f64 v[235:236], vcc_lo, v[214:215], v[212:213], v[214:215]
	v_rcp_f64_e32 v[231:232], v[229:230]
	s_waitcnt_depctr 0xfff
	v_fma_f64 v[233:234], -v[229:230], v[231:232], 1.0
	s_delay_alu instid0(VALU_DEP_1) | instskip(NEXT) | instid1(VALU_DEP_1)
	v_fma_f64 v[231:232], v[231:232], v[233:234], v[231:232]
	v_fma_f64 v[233:234], -v[229:230], v[231:232], 1.0
	s_delay_alu instid0(VALU_DEP_1) | instskip(NEXT) | instid1(VALU_DEP_1)
	v_fma_f64 v[231:232], v[231:232], v[233:234], v[231:232]
	v_mul_f64 v[233:234], v[235:236], v[231:232]
	s_delay_alu instid0(VALU_DEP_1) | instskip(NEXT) | instid1(VALU_DEP_1)
	v_fma_f64 v[229:230], -v[229:230], v[233:234], v[235:236]
	v_div_fmas_f64 v[229:230], v[229:230], v[231:232], v[233:234]
	s_delay_alu instid0(VALU_DEP_1) | instskip(NEXT) | instid1(VALU_DEP_1)
	v_div_fixup_f64 v[229:230], v[229:230], v[212:213], v[214:215]
	v_fma_f64 v[212:213], v[214:215], v[229:230], v[212:213]
	s_delay_alu instid0(VALU_DEP_1) | instskip(NEXT) | instid1(VALU_DEP_1)
	v_div_scale_f64 v[214:215], null, v[212:213], v[212:213], 1.0
	v_rcp_f64_e32 v[231:232], v[214:215]
	s_waitcnt_depctr 0xfff
	v_fma_f64 v[233:234], -v[214:215], v[231:232], 1.0
	s_delay_alu instid0(VALU_DEP_1) | instskip(NEXT) | instid1(VALU_DEP_1)
	v_fma_f64 v[231:232], v[231:232], v[233:234], v[231:232]
	v_fma_f64 v[233:234], -v[214:215], v[231:232], 1.0
	s_delay_alu instid0(VALU_DEP_1) | instskip(SKIP_1) | instid1(VALU_DEP_1)
	v_fma_f64 v[231:232], v[231:232], v[233:234], v[231:232]
	v_div_scale_f64 v[233:234], vcc_lo, 1.0, v[212:213], 1.0
	v_mul_f64 v[235:236], v[233:234], v[231:232]
	s_delay_alu instid0(VALU_DEP_1) | instskip(NEXT) | instid1(VALU_DEP_1)
	v_fma_f64 v[214:215], -v[214:215], v[235:236], v[233:234]
	v_div_fmas_f64 v[214:215], v[214:215], v[231:232], v[235:236]
	s_delay_alu instid0(VALU_DEP_1) | instskip(NEXT) | instid1(VALU_DEP_1)
	v_div_fixup_f64 v[212:213], v[214:215], v[212:213], 1.0
	v_mul_f64 v[214:215], v[229:230], -v[212:213]
.LBB104_618:
	s_or_b32 exec_lo, exec_lo, s2
.LBB104_619:
	s_delay_alu instid0(SALU_CYCLE_1) | instskip(NEXT) | instid1(SALU_CYCLE_1)
	s_or_b32 exec_lo, exec_lo, s3
	s_mov_b32 s2, exec_lo
	v_cmpx_ne_u32_e64 v228, v220
	s_xor_b32 s2, exec_lo, s2
	s_cbranch_execz .LBB104_625
; %bb.620:
	s_mov_b32 s3, exec_lo
	v_cmpx_eq_u32_e32 29, v228
	s_cbranch_execz .LBB104_624
; %bb.621:
	v_cmp_ne_u32_e32 vcc_lo, 29, v220
	s_xor_b32 s6, s4, -1
	s_delay_alu instid0(SALU_CYCLE_1) | instskip(NEXT) | instid1(SALU_CYCLE_1)
	s_and_b32 s7, s6, vcc_lo
	s_and_saveexec_b32 s6, s7
	s_cbranch_execz .LBB104_623
; %bb.622:
	v_ashrrev_i32_e32 v221, 31, v220
	s_delay_alu instid0(VALU_DEP_1) | instskip(NEXT) | instid1(VALU_DEP_1)
	v_lshlrev_b64 v[227:228], 2, v[220:221]
	v_add_co_u32 v227, vcc_lo, v218, v227
	s_delay_alu instid0(VALU_DEP_2)
	v_add_co_ci_u32_e32 v228, vcc_lo, v219, v228, vcc_lo
	s_clause 0x1
	flat_load_b32 v221, v[227:228]
	flat_load_b32 v229, v[218:219] offset:116
	s_waitcnt vmcnt(1) lgkmcnt(1)
	flat_store_b32 v[218:219], v221 offset:116
	s_waitcnt vmcnt(0) lgkmcnt(1)
	flat_store_b32 v[227:228], v229
.LBB104_623:
	s_or_b32 exec_lo, exec_lo, s6
	v_mov_b32_e32 v228, v220
	v_mov_b32_e32 v227, v220
.LBB104_624:
	s_or_b32 exec_lo, exec_lo, s3
.LBB104_625:
	s_and_not1_saveexec_b32 s2, s2
	s_cbranch_execz .LBB104_627
; %bb.626:
	v_mov_b32_e32 v228, 29
	ds_store_2addr_b64 v222, v[88:89], v[90:91] offset0:60 offset1:61
	ds_store_2addr_b64 v222, v[84:85], v[86:87] offset0:62 offset1:63
	;; [unrolled: 1-line block ×23, first 2 shown]
.LBB104_627:
	s_or_b32 exec_lo, exec_lo, s2
	s_delay_alu instid0(SALU_CYCLE_1)
	s_mov_b32 s2, exec_lo
	s_waitcnt lgkmcnt(0)
	s_waitcnt_vscnt null, 0x0
	s_barrier
	buffer_gl0_inv
	v_cmpx_lt_i32_e32 29, v228
	s_cbranch_execz .LBB104_629
; %bb.628:
	v_mul_f64 v[220:221], v[214:215], v[94:95]
	v_mul_f64 v[94:95], v[212:213], v[94:95]
	s_delay_alu instid0(VALU_DEP_2) | instskip(NEXT) | instid1(VALU_DEP_2)
	v_fma_f64 v[220:221], v[212:213], v[92:93], -v[220:221]
	v_fma_f64 v[94:95], v[214:215], v[92:93], v[94:95]
	ds_load_2addr_b64 v[212:215], v222 offset0:60 offset1:61
	s_waitcnt lgkmcnt(0)
	v_mul_f64 v[92:93], v[214:215], v[94:95]
	s_delay_alu instid0(VALU_DEP_1) | instskip(SKIP_1) | instid1(VALU_DEP_2)
	v_fma_f64 v[92:93], v[212:213], v[220:221], -v[92:93]
	v_mul_f64 v[212:213], v[212:213], v[94:95]
	v_add_f64 v[88:89], v[88:89], -v[92:93]
	s_delay_alu instid0(VALU_DEP_2) | instskip(NEXT) | instid1(VALU_DEP_1)
	v_fma_f64 v[212:213], v[214:215], v[220:221], v[212:213]
	v_add_f64 v[90:91], v[90:91], -v[212:213]
	ds_load_2addr_b64 v[212:215], v222 offset0:62 offset1:63
	s_waitcnt lgkmcnt(0)
	v_mul_f64 v[92:93], v[214:215], v[94:95]
	s_delay_alu instid0(VALU_DEP_1) | instskip(SKIP_1) | instid1(VALU_DEP_2)
	v_fma_f64 v[92:93], v[212:213], v[220:221], -v[92:93]
	v_mul_f64 v[212:213], v[212:213], v[94:95]
	v_add_f64 v[84:85], v[84:85], -v[92:93]
	s_delay_alu instid0(VALU_DEP_2) | instskip(NEXT) | instid1(VALU_DEP_1)
	v_fma_f64 v[212:213], v[214:215], v[220:221], v[212:213]
	v_add_f64 v[86:87], v[86:87], -v[212:213]
	ds_load_2addr_b64 v[212:215], v222 offset0:64 offset1:65
	s_waitcnt lgkmcnt(0)
	v_mul_f64 v[92:93], v[214:215], v[94:95]
	s_delay_alu instid0(VALU_DEP_1) | instskip(SKIP_1) | instid1(VALU_DEP_2)
	v_fma_f64 v[92:93], v[212:213], v[220:221], -v[92:93]
	v_mul_f64 v[212:213], v[212:213], v[94:95]
	v_add_f64 v[80:81], v[80:81], -v[92:93]
	s_delay_alu instid0(VALU_DEP_2) | instskip(NEXT) | instid1(VALU_DEP_1)
	v_fma_f64 v[212:213], v[214:215], v[220:221], v[212:213]
	v_add_f64 v[82:83], v[82:83], -v[212:213]
	ds_load_2addr_b64 v[212:215], v222 offset0:66 offset1:67
	s_waitcnt lgkmcnt(0)
	v_mul_f64 v[92:93], v[214:215], v[94:95]
	s_delay_alu instid0(VALU_DEP_1) | instskip(SKIP_1) | instid1(VALU_DEP_2)
	v_fma_f64 v[92:93], v[212:213], v[220:221], -v[92:93]
	v_mul_f64 v[212:213], v[212:213], v[94:95]
	v_add_f64 v[76:77], v[76:77], -v[92:93]
	s_delay_alu instid0(VALU_DEP_2) | instskip(NEXT) | instid1(VALU_DEP_1)
	v_fma_f64 v[212:213], v[214:215], v[220:221], v[212:213]
	v_add_f64 v[78:79], v[78:79], -v[212:213]
	ds_load_2addr_b64 v[212:215], v222 offset0:68 offset1:69
	s_waitcnt lgkmcnt(0)
	v_mul_f64 v[92:93], v[214:215], v[94:95]
	s_delay_alu instid0(VALU_DEP_1) | instskip(SKIP_1) | instid1(VALU_DEP_2)
	v_fma_f64 v[92:93], v[212:213], v[220:221], -v[92:93]
	v_mul_f64 v[212:213], v[212:213], v[94:95]
	v_add_f64 v[72:73], v[72:73], -v[92:93]
	s_delay_alu instid0(VALU_DEP_2) | instskip(NEXT) | instid1(VALU_DEP_1)
	v_fma_f64 v[212:213], v[214:215], v[220:221], v[212:213]
	v_add_f64 v[74:75], v[74:75], -v[212:213]
	ds_load_2addr_b64 v[212:215], v222 offset0:70 offset1:71
	s_waitcnt lgkmcnt(0)
	v_mul_f64 v[92:93], v[214:215], v[94:95]
	s_delay_alu instid0(VALU_DEP_1) | instskip(SKIP_1) | instid1(VALU_DEP_2)
	v_fma_f64 v[92:93], v[212:213], v[220:221], -v[92:93]
	v_mul_f64 v[212:213], v[212:213], v[94:95]
	v_add_f64 v[68:69], v[68:69], -v[92:93]
	s_delay_alu instid0(VALU_DEP_2) | instskip(NEXT) | instid1(VALU_DEP_1)
	v_fma_f64 v[212:213], v[214:215], v[220:221], v[212:213]
	v_add_f64 v[70:71], v[70:71], -v[212:213]
	ds_load_2addr_b64 v[212:215], v222 offset0:72 offset1:73
	s_waitcnt lgkmcnt(0)
	v_mul_f64 v[92:93], v[214:215], v[94:95]
	s_delay_alu instid0(VALU_DEP_1) | instskip(SKIP_1) | instid1(VALU_DEP_2)
	v_fma_f64 v[92:93], v[212:213], v[220:221], -v[92:93]
	v_mul_f64 v[212:213], v[212:213], v[94:95]
	v_add_f64 v[64:65], v[64:65], -v[92:93]
	s_delay_alu instid0(VALU_DEP_2) | instskip(NEXT) | instid1(VALU_DEP_1)
	v_fma_f64 v[212:213], v[214:215], v[220:221], v[212:213]
	v_add_f64 v[66:67], v[66:67], -v[212:213]
	ds_load_2addr_b64 v[212:215], v222 offset0:74 offset1:75
	s_waitcnt lgkmcnt(0)
	v_mul_f64 v[92:93], v[214:215], v[94:95]
	s_delay_alu instid0(VALU_DEP_1) | instskip(SKIP_1) | instid1(VALU_DEP_2)
	v_fma_f64 v[92:93], v[212:213], v[220:221], -v[92:93]
	v_mul_f64 v[212:213], v[212:213], v[94:95]
	v_add_f64 v[60:61], v[60:61], -v[92:93]
	s_delay_alu instid0(VALU_DEP_2) | instskip(NEXT) | instid1(VALU_DEP_1)
	v_fma_f64 v[212:213], v[214:215], v[220:221], v[212:213]
	v_add_f64 v[62:63], v[62:63], -v[212:213]
	ds_load_2addr_b64 v[212:215], v222 offset0:76 offset1:77
	s_waitcnt lgkmcnt(0)
	v_mul_f64 v[92:93], v[214:215], v[94:95]
	s_delay_alu instid0(VALU_DEP_1) | instskip(SKIP_1) | instid1(VALU_DEP_2)
	v_fma_f64 v[92:93], v[212:213], v[220:221], -v[92:93]
	v_mul_f64 v[212:213], v[212:213], v[94:95]
	v_add_f64 v[56:57], v[56:57], -v[92:93]
	s_delay_alu instid0(VALU_DEP_2) | instskip(NEXT) | instid1(VALU_DEP_1)
	v_fma_f64 v[212:213], v[214:215], v[220:221], v[212:213]
	v_add_f64 v[58:59], v[58:59], -v[212:213]
	ds_load_2addr_b64 v[212:215], v222 offset0:78 offset1:79
	s_waitcnt lgkmcnt(0)
	v_mul_f64 v[92:93], v[214:215], v[94:95]
	s_delay_alu instid0(VALU_DEP_1) | instskip(SKIP_1) | instid1(VALU_DEP_2)
	v_fma_f64 v[92:93], v[212:213], v[220:221], -v[92:93]
	v_mul_f64 v[212:213], v[212:213], v[94:95]
	v_add_f64 v[52:53], v[52:53], -v[92:93]
	s_delay_alu instid0(VALU_DEP_2) | instskip(NEXT) | instid1(VALU_DEP_1)
	v_fma_f64 v[212:213], v[214:215], v[220:221], v[212:213]
	v_add_f64 v[54:55], v[54:55], -v[212:213]
	ds_load_2addr_b64 v[212:215], v222 offset0:80 offset1:81
	s_waitcnt lgkmcnt(0)
	v_mul_f64 v[92:93], v[214:215], v[94:95]
	s_delay_alu instid0(VALU_DEP_1) | instskip(SKIP_1) | instid1(VALU_DEP_2)
	v_fma_f64 v[92:93], v[212:213], v[220:221], -v[92:93]
	v_mul_f64 v[212:213], v[212:213], v[94:95]
	v_add_f64 v[48:49], v[48:49], -v[92:93]
	s_delay_alu instid0(VALU_DEP_2) | instskip(NEXT) | instid1(VALU_DEP_1)
	v_fma_f64 v[212:213], v[214:215], v[220:221], v[212:213]
	v_add_f64 v[50:51], v[50:51], -v[212:213]
	ds_load_2addr_b64 v[212:215], v222 offset0:82 offset1:83
	s_waitcnt lgkmcnt(0)
	v_mul_f64 v[92:93], v[214:215], v[94:95]
	s_delay_alu instid0(VALU_DEP_1) | instskip(SKIP_1) | instid1(VALU_DEP_2)
	v_fma_f64 v[92:93], v[212:213], v[220:221], -v[92:93]
	v_mul_f64 v[212:213], v[212:213], v[94:95]
	v_add_f64 v[44:45], v[44:45], -v[92:93]
	s_delay_alu instid0(VALU_DEP_2) | instskip(NEXT) | instid1(VALU_DEP_1)
	v_fma_f64 v[212:213], v[214:215], v[220:221], v[212:213]
	v_add_f64 v[46:47], v[46:47], -v[212:213]
	ds_load_2addr_b64 v[212:215], v222 offset0:84 offset1:85
	s_waitcnt lgkmcnt(0)
	v_mul_f64 v[92:93], v[214:215], v[94:95]
	s_delay_alu instid0(VALU_DEP_1) | instskip(SKIP_1) | instid1(VALU_DEP_2)
	v_fma_f64 v[92:93], v[212:213], v[220:221], -v[92:93]
	v_mul_f64 v[212:213], v[212:213], v[94:95]
	v_add_f64 v[40:41], v[40:41], -v[92:93]
	s_delay_alu instid0(VALU_DEP_2) | instskip(NEXT) | instid1(VALU_DEP_1)
	v_fma_f64 v[212:213], v[214:215], v[220:221], v[212:213]
	v_add_f64 v[42:43], v[42:43], -v[212:213]
	ds_load_2addr_b64 v[212:215], v222 offset0:86 offset1:87
	s_waitcnt lgkmcnt(0)
	v_mul_f64 v[92:93], v[214:215], v[94:95]
	s_delay_alu instid0(VALU_DEP_1) | instskip(SKIP_1) | instid1(VALU_DEP_2)
	v_fma_f64 v[92:93], v[212:213], v[220:221], -v[92:93]
	v_mul_f64 v[212:213], v[212:213], v[94:95]
	v_add_f64 v[36:37], v[36:37], -v[92:93]
	s_delay_alu instid0(VALU_DEP_2) | instskip(NEXT) | instid1(VALU_DEP_1)
	v_fma_f64 v[212:213], v[214:215], v[220:221], v[212:213]
	v_add_f64 v[38:39], v[38:39], -v[212:213]
	ds_load_2addr_b64 v[212:215], v222 offset0:88 offset1:89
	s_waitcnt lgkmcnt(0)
	v_mul_f64 v[92:93], v[214:215], v[94:95]
	s_delay_alu instid0(VALU_DEP_1) | instskip(SKIP_1) | instid1(VALU_DEP_2)
	v_fma_f64 v[92:93], v[212:213], v[220:221], -v[92:93]
	v_mul_f64 v[212:213], v[212:213], v[94:95]
	v_add_f64 v[32:33], v[32:33], -v[92:93]
	s_delay_alu instid0(VALU_DEP_2) | instskip(NEXT) | instid1(VALU_DEP_1)
	v_fma_f64 v[212:213], v[214:215], v[220:221], v[212:213]
	v_add_f64 v[34:35], v[34:35], -v[212:213]
	ds_load_2addr_b64 v[212:215], v222 offset0:90 offset1:91
	s_waitcnt lgkmcnt(0)
	v_mul_f64 v[92:93], v[214:215], v[94:95]
	s_delay_alu instid0(VALU_DEP_1) | instskip(SKIP_1) | instid1(VALU_DEP_2)
	v_fma_f64 v[92:93], v[212:213], v[220:221], -v[92:93]
	v_mul_f64 v[212:213], v[212:213], v[94:95]
	v_add_f64 v[28:29], v[28:29], -v[92:93]
	s_delay_alu instid0(VALU_DEP_2) | instskip(NEXT) | instid1(VALU_DEP_1)
	v_fma_f64 v[212:213], v[214:215], v[220:221], v[212:213]
	v_add_f64 v[30:31], v[30:31], -v[212:213]
	ds_load_2addr_b64 v[212:215], v222 offset0:92 offset1:93
	s_waitcnt lgkmcnt(0)
	v_mul_f64 v[92:93], v[214:215], v[94:95]
	s_delay_alu instid0(VALU_DEP_1) | instskip(SKIP_1) | instid1(VALU_DEP_2)
	v_fma_f64 v[92:93], v[212:213], v[220:221], -v[92:93]
	v_mul_f64 v[212:213], v[212:213], v[94:95]
	v_add_f64 v[24:25], v[24:25], -v[92:93]
	s_delay_alu instid0(VALU_DEP_2) | instskip(NEXT) | instid1(VALU_DEP_1)
	v_fma_f64 v[212:213], v[214:215], v[220:221], v[212:213]
	v_add_f64 v[26:27], v[26:27], -v[212:213]
	ds_load_2addr_b64 v[212:215], v222 offset0:94 offset1:95
	s_waitcnt lgkmcnt(0)
	v_mul_f64 v[92:93], v[214:215], v[94:95]
	s_delay_alu instid0(VALU_DEP_1) | instskip(SKIP_1) | instid1(VALU_DEP_2)
	v_fma_f64 v[92:93], v[212:213], v[220:221], -v[92:93]
	v_mul_f64 v[212:213], v[212:213], v[94:95]
	v_add_f64 v[20:21], v[20:21], -v[92:93]
	s_delay_alu instid0(VALU_DEP_2) | instskip(NEXT) | instid1(VALU_DEP_1)
	v_fma_f64 v[212:213], v[214:215], v[220:221], v[212:213]
	v_add_f64 v[22:23], v[22:23], -v[212:213]
	ds_load_2addr_b64 v[212:215], v222 offset0:96 offset1:97
	s_waitcnt lgkmcnt(0)
	v_mul_f64 v[92:93], v[214:215], v[94:95]
	s_delay_alu instid0(VALU_DEP_1) | instskip(SKIP_1) | instid1(VALU_DEP_2)
	v_fma_f64 v[92:93], v[212:213], v[220:221], -v[92:93]
	v_mul_f64 v[212:213], v[212:213], v[94:95]
	v_add_f64 v[16:17], v[16:17], -v[92:93]
	s_delay_alu instid0(VALU_DEP_2) | instskip(NEXT) | instid1(VALU_DEP_1)
	v_fma_f64 v[212:213], v[214:215], v[220:221], v[212:213]
	v_add_f64 v[18:19], v[18:19], -v[212:213]
	ds_load_2addr_b64 v[212:215], v222 offset0:98 offset1:99
	s_waitcnt lgkmcnt(0)
	v_mul_f64 v[92:93], v[214:215], v[94:95]
	s_delay_alu instid0(VALU_DEP_1) | instskip(SKIP_1) | instid1(VALU_DEP_2)
	v_fma_f64 v[92:93], v[212:213], v[220:221], -v[92:93]
	v_mul_f64 v[212:213], v[212:213], v[94:95]
	v_add_f64 v[12:13], v[12:13], -v[92:93]
	s_delay_alu instid0(VALU_DEP_2) | instskip(NEXT) | instid1(VALU_DEP_1)
	v_fma_f64 v[212:213], v[214:215], v[220:221], v[212:213]
	v_add_f64 v[14:15], v[14:15], -v[212:213]
	ds_load_2addr_b64 v[212:215], v222 offset0:100 offset1:101
	s_waitcnt lgkmcnt(0)
	v_mul_f64 v[92:93], v[214:215], v[94:95]
	s_delay_alu instid0(VALU_DEP_1) | instskip(SKIP_1) | instid1(VALU_DEP_2)
	v_fma_f64 v[92:93], v[212:213], v[220:221], -v[92:93]
	v_mul_f64 v[212:213], v[212:213], v[94:95]
	v_add_f64 v[8:9], v[8:9], -v[92:93]
	s_delay_alu instid0(VALU_DEP_2) | instskip(NEXT) | instid1(VALU_DEP_1)
	v_fma_f64 v[212:213], v[214:215], v[220:221], v[212:213]
	v_add_f64 v[10:11], v[10:11], -v[212:213]
	ds_load_2addr_b64 v[212:215], v222 offset0:102 offset1:103
	s_waitcnt lgkmcnt(0)
	v_mul_f64 v[92:93], v[214:215], v[94:95]
	s_delay_alu instid0(VALU_DEP_1) | instskip(SKIP_1) | instid1(VALU_DEP_2)
	v_fma_f64 v[92:93], v[212:213], v[220:221], -v[92:93]
	v_mul_f64 v[212:213], v[212:213], v[94:95]
	v_add_f64 v[4:5], v[4:5], -v[92:93]
	s_delay_alu instid0(VALU_DEP_2) | instskip(NEXT) | instid1(VALU_DEP_1)
	v_fma_f64 v[212:213], v[214:215], v[220:221], v[212:213]
	v_add_f64 v[6:7], v[6:7], -v[212:213]
	ds_load_2addr_b64 v[212:215], v222 offset0:104 offset1:105
	s_waitcnt lgkmcnt(0)
	v_mul_f64 v[92:93], v[214:215], v[94:95]
	s_delay_alu instid0(VALU_DEP_1) | instskip(SKIP_1) | instid1(VALU_DEP_2)
	v_fma_f64 v[92:93], v[212:213], v[220:221], -v[92:93]
	v_mul_f64 v[212:213], v[212:213], v[94:95]
	v_add_f64 v[0:1], v[0:1], -v[92:93]
	s_delay_alu instid0(VALU_DEP_2) | instskip(SKIP_1) | instid1(VALU_DEP_2)
	v_fma_f64 v[212:213], v[214:215], v[220:221], v[212:213]
	v_dual_mov_b32 v92, v220 :: v_dual_mov_b32 v93, v221
	v_add_f64 v[2:3], v[2:3], -v[212:213]
.LBB104_629:
	s_or_b32 exec_lo, exec_lo, s2
	v_lshl_add_u32 v212, v228, 4, v222
	s_barrier
	buffer_gl0_inv
	v_mov_b32_e32 v220, 30
	ds_store_2addr_b64 v212, v[88:89], v[90:91] offset1:1
	s_waitcnt lgkmcnt(0)
	s_barrier
	buffer_gl0_inv
	ds_load_2addr_b64 v[212:215], v222 offset0:60 offset1:61
	s_cmp_lt_i32 s5, 32
	s_cbranch_scc1 .LBB104_632
; %bb.630:
	v_add3_u32 v221, v226, 0, 0x1f0
	v_mov_b32_e32 v220, 30
	s_mov_b32 s6, 31
	s_set_inst_prefetch_distance 0x1
	.p2align	6
.LBB104_631:                            ; =>This Inner Loop Header: Depth=1
	ds_load_2addr_b64 v[229:232], v221 offset1:1
	s_waitcnt lgkmcnt(1)
	v_cmp_gt_f64_e32 vcc_lo, 0, v[212:213]
	v_xor_b32_e32 v233, 0x80000000, v213
	v_cmp_gt_f64_e64 s2, 0, v[214:215]
	v_xor_b32_e32 v235, 0x80000000, v215
	v_add_nc_u32_e32 v221, 16, v221
	s_waitcnt lgkmcnt(0)
	v_cmp_gt_f64_e64 s3, 0, v[229:230]
	v_mov_b32_e32 v237, v229
	v_dual_mov_b32 v239, v231 :: v_dual_cndmask_b32 v234, v213, v233
	v_xor_b32_e32 v233, 0x80000000, v230
	v_cndmask_b32_e64 v236, v215, v235, s2
	v_xor_b32_e32 v235, 0x80000000, v232
	s_delay_alu instid0(VALU_DEP_3) | instskip(SKIP_2) | instid1(VALU_DEP_2)
	v_cndmask_b32_e64 v238, v230, v233, s3
	v_cmp_gt_f64_e64 s3, 0, v[231:232]
	v_cndmask_b32_e32 v233, v212, v212, vcc_lo
	v_cndmask_b32_e64 v240, v232, v235, s3
	v_cndmask_b32_e64 v235, v214, v214, s2
	s_delay_alu instid0(VALU_DEP_2) | instskip(NEXT) | instid1(VALU_DEP_2)
	v_add_f64 v[237:238], v[237:238], v[239:240]
	v_add_f64 v[233:234], v[233:234], v[235:236]
	s_delay_alu instid0(VALU_DEP_1) | instskip(SKIP_4) | instid1(SALU_CYCLE_1)
	v_cmp_lt_f64_e32 vcc_lo, v[233:234], v[237:238]
	v_dual_cndmask_b32 v214, v214, v231 :: v_dual_cndmask_b32 v213, v213, v230
	v_dual_cndmask_b32 v212, v212, v229 :: v_dual_cndmask_b32 v215, v215, v232
	v_cndmask_b32_e64 v220, v220, s6, vcc_lo
	s_add_i32 s6, s6, 1
	s_cmp_lg_u32 s5, s6
	s_cbranch_scc1 .LBB104_631
.LBB104_632:
	s_set_inst_prefetch_distance 0x2
	s_waitcnt lgkmcnt(0)
	v_cmp_eq_f64_e32 vcc_lo, 0, v[212:213]
	v_cmp_eq_f64_e64 s2, 0, v[214:215]
	s_delay_alu instid0(VALU_DEP_1) | instskip(NEXT) | instid1(SALU_CYCLE_1)
	s_and_b32 s2, vcc_lo, s2
	s_and_saveexec_b32 s3, s2
	s_delay_alu instid0(SALU_CYCLE_1)
	s_xor_b32 s2, exec_lo, s3
; %bb.633:
	v_cmp_ne_u32_e32 vcc_lo, 0, v225
	v_cndmask_b32_e32 v225, 31, v225, vcc_lo
; %bb.634:
	s_and_not1_saveexec_b32 s3, s2
	s_cbranch_execz .LBB104_640
; %bb.635:
	v_cmp_gt_f64_e32 vcc_lo, 0, v[212:213]
	v_cmp_gt_f64_e64 s2, 0, v[214:215]
	v_xor_b32_e32 v221, 0x80000000, v213
	v_xor_b32_e32 v229, 0x80000000, v215
	s_delay_alu instid0(VALU_DEP_2) | instskip(NEXT) | instid1(VALU_DEP_2)
	v_cndmask_b32_e32 v230, v213, v221, vcc_lo
	v_cndmask_b32_e64 v232, v215, v229, s2
	v_cndmask_b32_e32 v229, v212, v212, vcc_lo
	v_cndmask_b32_e64 v231, v214, v214, s2
	s_mov_b32 s2, exec_lo
	s_delay_alu instid0(VALU_DEP_1)
	v_cmpx_ngt_f64_e32 v[229:230], v[231:232]
	s_xor_b32 s2, exec_lo, s2
	s_cbranch_execz .LBB104_637
; %bb.636:
	v_div_scale_f64 v[229:230], null, v[214:215], v[214:215], v[212:213]
	v_div_scale_f64 v[235:236], vcc_lo, v[212:213], v[214:215], v[212:213]
	s_delay_alu instid0(VALU_DEP_2) | instskip(SKIP_2) | instid1(VALU_DEP_1)
	v_rcp_f64_e32 v[231:232], v[229:230]
	s_waitcnt_depctr 0xfff
	v_fma_f64 v[233:234], -v[229:230], v[231:232], 1.0
	v_fma_f64 v[231:232], v[231:232], v[233:234], v[231:232]
	s_delay_alu instid0(VALU_DEP_1) | instskip(NEXT) | instid1(VALU_DEP_1)
	v_fma_f64 v[233:234], -v[229:230], v[231:232], 1.0
	v_fma_f64 v[231:232], v[231:232], v[233:234], v[231:232]
	s_delay_alu instid0(VALU_DEP_1) | instskip(NEXT) | instid1(VALU_DEP_1)
	v_mul_f64 v[233:234], v[235:236], v[231:232]
	v_fma_f64 v[229:230], -v[229:230], v[233:234], v[235:236]
	s_delay_alu instid0(VALU_DEP_1) | instskip(NEXT) | instid1(VALU_DEP_1)
	v_div_fmas_f64 v[229:230], v[229:230], v[231:232], v[233:234]
	v_div_fixup_f64 v[229:230], v[229:230], v[214:215], v[212:213]
	s_delay_alu instid0(VALU_DEP_1) | instskip(NEXT) | instid1(VALU_DEP_1)
	v_fma_f64 v[212:213], v[212:213], v[229:230], v[214:215]
	v_div_scale_f64 v[214:215], null, v[212:213], v[212:213], 1.0
	s_delay_alu instid0(VALU_DEP_1) | instskip(SKIP_2) | instid1(VALU_DEP_1)
	v_rcp_f64_e32 v[231:232], v[214:215]
	s_waitcnt_depctr 0xfff
	v_fma_f64 v[233:234], -v[214:215], v[231:232], 1.0
	v_fma_f64 v[231:232], v[231:232], v[233:234], v[231:232]
	s_delay_alu instid0(VALU_DEP_1) | instskip(NEXT) | instid1(VALU_DEP_1)
	v_fma_f64 v[233:234], -v[214:215], v[231:232], 1.0
	v_fma_f64 v[231:232], v[231:232], v[233:234], v[231:232]
	v_div_scale_f64 v[233:234], vcc_lo, 1.0, v[212:213], 1.0
	s_delay_alu instid0(VALU_DEP_1) | instskip(NEXT) | instid1(VALU_DEP_1)
	v_mul_f64 v[235:236], v[233:234], v[231:232]
	v_fma_f64 v[214:215], -v[214:215], v[235:236], v[233:234]
	s_delay_alu instid0(VALU_DEP_1) | instskip(NEXT) | instid1(VALU_DEP_1)
	v_div_fmas_f64 v[214:215], v[214:215], v[231:232], v[235:236]
	v_div_fixup_f64 v[214:215], v[214:215], v[212:213], 1.0
	s_delay_alu instid0(VALU_DEP_1)
	v_mul_f64 v[212:213], v[229:230], v[214:215]
	v_xor_b32_e32 v215, 0x80000000, v215
.LBB104_637:
	s_and_not1_saveexec_b32 s2, s2
	s_cbranch_execz .LBB104_639
; %bb.638:
	s_delay_alu instid0(VALU_DEP_1) | instskip(SKIP_1) | instid1(VALU_DEP_2)
	v_div_scale_f64 v[229:230], null, v[212:213], v[212:213], v[214:215]
	v_div_scale_f64 v[235:236], vcc_lo, v[214:215], v[212:213], v[214:215]
	v_rcp_f64_e32 v[231:232], v[229:230]
	s_waitcnt_depctr 0xfff
	v_fma_f64 v[233:234], -v[229:230], v[231:232], 1.0
	s_delay_alu instid0(VALU_DEP_1) | instskip(NEXT) | instid1(VALU_DEP_1)
	v_fma_f64 v[231:232], v[231:232], v[233:234], v[231:232]
	v_fma_f64 v[233:234], -v[229:230], v[231:232], 1.0
	s_delay_alu instid0(VALU_DEP_1) | instskip(NEXT) | instid1(VALU_DEP_1)
	v_fma_f64 v[231:232], v[231:232], v[233:234], v[231:232]
	v_mul_f64 v[233:234], v[235:236], v[231:232]
	s_delay_alu instid0(VALU_DEP_1) | instskip(NEXT) | instid1(VALU_DEP_1)
	v_fma_f64 v[229:230], -v[229:230], v[233:234], v[235:236]
	v_div_fmas_f64 v[229:230], v[229:230], v[231:232], v[233:234]
	s_delay_alu instid0(VALU_DEP_1) | instskip(NEXT) | instid1(VALU_DEP_1)
	v_div_fixup_f64 v[229:230], v[229:230], v[212:213], v[214:215]
	v_fma_f64 v[212:213], v[214:215], v[229:230], v[212:213]
	s_delay_alu instid0(VALU_DEP_1) | instskip(NEXT) | instid1(VALU_DEP_1)
	v_div_scale_f64 v[214:215], null, v[212:213], v[212:213], 1.0
	v_rcp_f64_e32 v[231:232], v[214:215]
	s_waitcnt_depctr 0xfff
	v_fma_f64 v[233:234], -v[214:215], v[231:232], 1.0
	s_delay_alu instid0(VALU_DEP_1) | instskip(NEXT) | instid1(VALU_DEP_1)
	v_fma_f64 v[231:232], v[231:232], v[233:234], v[231:232]
	v_fma_f64 v[233:234], -v[214:215], v[231:232], 1.0
	s_delay_alu instid0(VALU_DEP_1) | instskip(SKIP_1) | instid1(VALU_DEP_1)
	v_fma_f64 v[231:232], v[231:232], v[233:234], v[231:232]
	v_div_scale_f64 v[233:234], vcc_lo, 1.0, v[212:213], 1.0
	v_mul_f64 v[235:236], v[233:234], v[231:232]
	s_delay_alu instid0(VALU_DEP_1) | instskip(NEXT) | instid1(VALU_DEP_1)
	v_fma_f64 v[214:215], -v[214:215], v[235:236], v[233:234]
	v_div_fmas_f64 v[214:215], v[214:215], v[231:232], v[235:236]
	s_delay_alu instid0(VALU_DEP_1) | instskip(NEXT) | instid1(VALU_DEP_1)
	v_div_fixup_f64 v[212:213], v[214:215], v[212:213], 1.0
	v_mul_f64 v[214:215], v[229:230], -v[212:213]
.LBB104_639:
	s_or_b32 exec_lo, exec_lo, s2
.LBB104_640:
	s_delay_alu instid0(SALU_CYCLE_1) | instskip(NEXT) | instid1(SALU_CYCLE_1)
	s_or_b32 exec_lo, exec_lo, s3
	s_mov_b32 s2, exec_lo
	v_cmpx_ne_u32_e64 v228, v220
	s_xor_b32 s2, exec_lo, s2
	s_cbranch_execz .LBB104_646
; %bb.641:
	s_mov_b32 s3, exec_lo
	v_cmpx_eq_u32_e32 30, v228
	s_cbranch_execz .LBB104_645
; %bb.642:
	v_cmp_ne_u32_e32 vcc_lo, 30, v220
	s_xor_b32 s6, s4, -1
	s_delay_alu instid0(SALU_CYCLE_1) | instskip(NEXT) | instid1(SALU_CYCLE_1)
	s_and_b32 s7, s6, vcc_lo
	s_and_saveexec_b32 s6, s7
	s_cbranch_execz .LBB104_644
; %bb.643:
	v_ashrrev_i32_e32 v221, 31, v220
	s_delay_alu instid0(VALU_DEP_1) | instskip(NEXT) | instid1(VALU_DEP_1)
	v_lshlrev_b64 v[227:228], 2, v[220:221]
	v_add_co_u32 v227, vcc_lo, v218, v227
	s_delay_alu instid0(VALU_DEP_2)
	v_add_co_ci_u32_e32 v228, vcc_lo, v219, v228, vcc_lo
	s_clause 0x1
	flat_load_b32 v221, v[227:228]
	flat_load_b32 v229, v[218:219] offset:120
	s_waitcnt vmcnt(1) lgkmcnt(1)
	flat_store_b32 v[218:219], v221 offset:120
	s_waitcnt vmcnt(0) lgkmcnt(1)
	flat_store_b32 v[227:228], v229
.LBB104_644:
	s_or_b32 exec_lo, exec_lo, s6
	v_mov_b32_e32 v228, v220
	v_mov_b32_e32 v227, v220
.LBB104_645:
	s_or_b32 exec_lo, exec_lo, s3
.LBB104_646:
	s_and_not1_saveexec_b32 s2, s2
	s_cbranch_execz .LBB104_648
; %bb.647:
	v_mov_b32_e32 v228, 30
	ds_store_2addr_b64 v222, v[84:85], v[86:87] offset0:62 offset1:63
	ds_store_2addr_b64 v222, v[80:81], v[82:83] offset0:64 offset1:65
	;; [unrolled: 1-line block ×22, first 2 shown]
.LBB104_648:
	s_or_b32 exec_lo, exec_lo, s2
	s_delay_alu instid0(SALU_CYCLE_1)
	s_mov_b32 s2, exec_lo
	s_waitcnt lgkmcnt(0)
	s_waitcnt_vscnt null, 0x0
	s_barrier
	buffer_gl0_inv
	v_cmpx_lt_i32_e32 30, v228
	s_cbranch_execz .LBB104_650
; %bb.649:
	v_mul_f64 v[220:221], v[214:215], v[90:91]
	v_mul_f64 v[90:91], v[212:213], v[90:91]
	s_delay_alu instid0(VALU_DEP_2) | instskip(NEXT) | instid1(VALU_DEP_2)
	v_fma_f64 v[220:221], v[212:213], v[88:89], -v[220:221]
	v_fma_f64 v[90:91], v[214:215], v[88:89], v[90:91]
	ds_load_2addr_b64 v[212:215], v222 offset0:62 offset1:63
	s_waitcnt lgkmcnt(0)
	v_mul_f64 v[88:89], v[214:215], v[90:91]
	s_delay_alu instid0(VALU_DEP_1) | instskip(SKIP_1) | instid1(VALU_DEP_2)
	v_fma_f64 v[88:89], v[212:213], v[220:221], -v[88:89]
	v_mul_f64 v[212:213], v[212:213], v[90:91]
	v_add_f64 v[84:85], v[84:85], -v[88:89]
	s_delay_alu instid0(VALU_DEP_2) | instskip(NEXT) | instid1(VALU_DEP_1)
	v_fma_f64 v[212:213], v[214:215], v[220:221], v[212:213]
	v_add_f64 v[86:87], v[86:87], -v[212:213]
	ds_load_2addr_b64 v[212:215], v222 offset0:64 offset1:65
	s_waitcnt lgkmcnt(0)
	v_mul_f64 v[88:89], v[214:215], v[90:91]
	s_delay_alu instid0(VALU_DEP_1) | instskip(SKIP_1) | instid1(VALU_DEP_2)
	v_fma_f64 v[88:89], v[212:213], v[220:221], -v[88:89]
	v_mul_f64 v[212:213], v[212:213], v[90:91]
	v_add_f64 v[80:81], v[80:81], -v[88:89]
	s_delay_alu instid0(VALU_DEP_2) | instskip(NEXT) | instid1(VALU_DEP_1)
	v_fma_f64 v[212:213], v[214:215], v[220:221], v[212:213]
	v_add_f64 v[82:83], v[82:83], -v[212:213]
	;; [unrolled: 10-line block ×21, first 2 shown]
	ds_load_2addr_b64 v[212:215], v222 offset0:104 offset1:105
	s_waitcnt lgkmcnt(0)
	v_mul_f64 v[88:89], v[214:215], v[90:91]
	s_delay_alu instid0(VALU_DEP_1) | instskip(SKIP_1) | instid1(VALU_DEP_2)
	v_fma_f64 v[88:89], v[212:213], v[220:221], -v[88:89]
	v_mul_f64 v[212:213], v[212:213], v[90:91]
	v_add_f64 v[0:1], v[0:1], -v[88:89]
	s_delay_alu instid0(VALU_DEP_2) | instskip(SKIP_1) | instid1(VALU_DEP_2)
	v_fma_f64 v[212:213], v[214:215], v[220:221], v[212:213]
	v_dual_mov_b32 v88, v220 :: v_dual_mov_b32 v89, v221
	v_add_f64 v[2:3], v[2:3], -v[212:213]
.LBB104_650:
	s_or_b32 exec_lo, exec_lo, s2
	v_lshl_add_u32 v212, v228, 4, v222
	s_barrier
	buffer_gl0_inv
	v_mov_b32_e32 v220, 31
	ds_store_2addr_b64 v212, v[84:85], v[86:87] offset1:1
	s_waitcnt lgkmcnt(0)
	s_barrier
	buffer_gl0_inv
	ds_load_2addr_b64 v[212:215], v222 offset0:62 offset1:63
	s_cmp_lt_i32 s5, 33
	s_cbranch_scc1 .LBB104_653
; %bb.651:
	v_add3_u32 v221, v226, 0, 0x200
	v_mov_b32_e32 v220, 31
	s_mov_b32 s6, 32
	s_set_inst_prefetch_distance 0x1
	.p2align	6
.LBB104_652:                            ; =>This Inner Loop Header: Depth=1
	ds_load_2addr_b64 v[229:232], v221 offset1:1
	s_waitcnt lgkmcnt(1)
	v_cmp_gt_f64_e32 vcc_lo, 0, v[212:213]
	v_xor_b32_e32 v233, 0x80000000, v213
	v_cmp_gt_f64_e64 s2, 0, v[214:215]
	v_xor_b32_e32 v235, 0x80000000, v215
	v_add_nc_u32_e32 v221, 16, v221
	s_waitcnt lgkmcnt(0)
	v_cmp_gt_f64_e64 s3, 0, v[229:230]
	v_mov_b32_e32 v237, v229
	v_dual_mov_b32 v239, v231 :: v_dual_cndmask_b32 v234, v213, v233
	v_xor_b32_e32 v233, 0x80000000, v230
	v_cndmask_b32_e64 v236, v215, v235, s2
	v_xor_b32_e32 v235, 0x80000000, v232
	s_delay_alu instid0(VALU_DEP_3) | instskip(SKIP_2) | instid1(VALU_DEP_2)
	v_cndmask_b32_e64 v238, v230, v233, s3
	v_cmp_gt_f64_e64 s3, 0, v[231:232]
	v_cndmask_b32_e32 v233, v212, v212, vcc_lo
	v_cndmask_b32_e64 v240, v232, v235, s3
	v_cndmask_b32_e64 v235, v214, v214, s2
	s_delay_alu instid0(VALU_DEP_2) | instskip(NEXT) | instid1(VALU_DEP_2)
	v_add_f64 v[237:238], v[237:238], v[239:240]
	v_add_f64 v[233:234], v[233:234], v[235:236]
	s_delay_alu instid0(VALU_DEP_1) | instskip(SKIP_4) | instid1(SALU_CYCLE_1)
	v_cmp_lt_f64_e32 vcc_lo, v[233:234], v[237:238]
	v_dual_cndmask_b32 v214, v214, v231 :: v_dual_cndmask_b32 v213, v213, v230
	v_dual_cndmask_b32 v212, v212, v229 :: v_dual_cndmask_b32 v215, v215, v232
	v_cndmask_b32_e64 v220, v220, s6, vcc_lo
	s_add_i32 s6, s6, 1
	s_cmp_lg_u32 s5, s6
	s_cbranch_scc1 .LBB104_652
.LBB104_653:
	s_set_inst_prefetch_distance 0x2
	s_waitcnt lgkmcnt(0)
	v_cmp_eq_f64_e32 vcc_lo, 0, v[212:213]
	v_cmp_eq_f64_e64 s2, 0, v[214:215]
	s_delay_alu instid0(VALU_DEP_1) | instskip(NEXT) | instid1(SALU_CYCLE_1)
	s_and_b32 s2, vcc_lo, s2
	s_and_saveexec_b32 s3, s2
	s_delay_alu instid0(SALU_CYCLE_1)
	s_xor_b32 s2, exec_lo, s3
; %bb.654:
	v_cmp_ne_u32_e32 vcc_lo, 0, v225
	v_cndmask_b32_e32 v225, 32, v225, vcc_lo
; %bb.655:
	s_and_not1_saveexec_b32 s3, s2
	s_cbranch_execz .LBB104_661
; %bb.656:
	v_cmp_gt_f64_e32 vcc_lo, 0, v[212:213]
	v_cmp_gt_f64_e64 s2, 0, v[214:215]
	v_xor_b32_e32 v221, 0x80000000, v213
	v_xor_b32_e32 v229, 0x80000000, v215
	s_delay_alu instid0(VALU_DEP_2) | instskip(NEXT) | instid1(VALU_DEP_2)
	v_cndmask_b32_e32 v230, v213, v221, vcc_lo
	v_cndmask_b32_e64 v232, v215, v229, s2
	v_cndmask_b32_e32 v229, v212, v212, vcc_lo
	v_cndmask_b32_e64 v231, v214, v214, s2
	s_mov_b32 s2, exec_lo
	s_delay_alu instid0(VALU_DEP_1)
	v_cmpx_ngt_f64_e32 v[229:230], v[231:232]
	s_xor_b32 s2, exec_lo, s2
	s_cbranch_execz .LBB104_658
; %bb.657:
	v_div_scale_f64 v[229:230], null, v[214:215], v[214:215], v[212:213]
	v_div_scale_f64 v[235:236], vcc_lo, v[212:213], v[214:215], v[212:213]
	s_delay_alu instid0(VALU_DEP_2) | instskip(SKIP_2) | instid1(VALU_DEP_1)
	v_rcp_f64_e32 v[231:232], v[229:230]
	s_waitcnt_depctr 0xfff
	v_fma_f64 v[233:234], -v[229:230], v[231:232], 1.0
	v_fma_f64 v[231:232], v[231:232], v[233:234], v[231:232]
	s_delay_alu instid0(VALU_DEP_1) | instskip(NEXT) | instid1(VALU_DEP_1)
	v_fma_f64 v[233:234], -v[229:230], v[231:232], 1.0
	v_fma_f64 v[231:232], v[231:232], v[233:234], v[231:232]
	s_delay_alu instid0(VALU_DEP_1) | instskip(NEXT) | instid1(VALU_DEP_1)
	v_mul_f64 v[233:234], v[235:236], v[231:232]
	v_fma_f64 v[229:230], -v[229:230], v[233:234], v[235:236]
	s_delay_alu instid0(VALU_DEP_1) | instskip(NEXT) | instid1(VALU_DEP_1)
	v_div_fmas_f64 v[229:230], v[229:230], v[231:232], v[233:234]
	v_div_fixup_f64 v[229:230], v[229:230], v[214:215], v[212:213]
	s_delay_alu instid0(VALU_DEP_1) | instskip(NEXT) | instid1(VALU_DEP_1)
	v_fma_f64 v[212:213], v[212:213], v[229:230], v[214:215]
	v_div_scale_f64 v[214:215], null, v[212:213], v[212:213], 1.0
	s_delay_alu instid0(VALU_DEP_1) | instskip(SKIP_2) | instid1(VALU_DEP_1)
	v_rcp_f64_e32 v[231:232], v[214:215]
	s_waitcnt_depctr 0xfff
	v_fma_f64 v[233:234], -v[214:215], v[231:232], 1.0
	v_fma_f64 v[231:232], v[231:232], v[233:234], v[231:232]
	s_delay_alu instid0(VALU_DEP_1) | instskip(NEXT) | instid1(VALU_DEP_1)
	v_fma_f64 v[233:234], -v[214:215], v[231:232], 1.0
	v_fma_f64 v[231:232], v[231:232], v[233:234], v[231:232]
	v_div_scale_f64 v[233:234], vcc_lo, 1.0, v[212:213], 1.0
	s_delay_alu instid0(VALU_DEP_1) | instskip(NEXT) | instid1(VALU_DEP_1)
	v_mul_f64 v[235:236], v[233:234], v[231:232]
	v_fma_f64 v[214:215], -v[214:215], v[235:236], v[233:234]
	s_delay_alu instid0(VALU_DEP_1) | instskip(NEXT) | instid1(VALU_DEP_1)
	v_div_fmas_f64 v[214:215], v[214:215], v[231:232], v[235:236]
	v_div_fixup_f64 v[214:215], v[214:215], v[212:213], 1.0
	s_delay_alu instid0(VALU_DEP_1)
	v_mul_f64 v[212:213], v[229:230], v[214:215]
	v_xor_b32_e32 v215, 0x80000000, v215
.LBB104_658:
	s_and_not1_saveexec_b32 s2, s2
	s_cbranch_execz .LBB104_660
; %bb.659:
	s_delay_alu instid0(VALU_DEP_1) | instskip(SKIP_1) | instid1(VALU_DEP_2)
	v_div_scale_f64 v[229:230], null, v[212:213], v[212:213], v[214:215]
	v_div_scale_f64 v[235:236], vcc_lo, v[214:215], v[212:213], v[214:215]
	v_rcp_f64_e32 v[231:232], v[229:230]
	s_waitcnt_depctr 0xfff
	v_fma_f64 v[233:234], -v[229:230], v[231:232], 1.0
	s_delay_alu instid0(VALU_DEP_1) | instskip(NEXT) | instid1(VALU_DEP_1)
	v_fma_f64 v[231:232], v[231:232], v[233:234], v[231:232]
	v_fma_f64 v[233:234], -v[229:230], v[231:232], 1.0
	s_delay_alu instid0(VALU_DEP_1) | instskip(NEXT) | instid1(VALU_DEP_1)
	v_fma_f64 v[231:232], v[231:232], v[233:234], v[231:232]
	v_mul_f64 v[233:234], v[235:236], v[231:232]
	s_delay_alu instid0(VALU_DEP_1) | instskip(NEXT) | instid1(VALU_DEP_1)
	v_fma_f64 v[229:230], -v[229:230], v[233:234], v[235:236]
	v_div_fmas_f64 v[229:230], v[229:230], v[231:232], v[233:234]
	s_delay_alu instid0(VALU_DEP_1) | instskip(NEXT) | instid1(VALU_DEP_1)
	v_div_fixup_f64 v[229:230], v[229:230], v[212:213], v[214:215]
	v_fma_f64 v[212:213], v[214:215], v[229:230], v[212:213]
	s_delay_alu instid0(VALU_DEP_1) | instskip(NEXT) | instid1(VALU_DEP_1)
	v_div_scale_f64 v[214:215], null, v[212:213], v[212:213], 1.0
	v_rcp_f64_e32 v[231:232], v[214:215]
	s_waitcnt_depctr 0xfff
	v_fma_f64 v[233:234], -v[214:215], v[231:232], 1.0
	s_delay_alu instid0(VALU_DEP_1) | instskip(NEXT) | instid1(VALU_DEP_1)
	v_fma_f64 v[231:232], v[231:232], v[233:234], v[231:232]
	v_fma_f64 v[233:234], -v[214:215], v[231:232], 1.0
	s_delay_alu instid0(VALU_DEP_1) | instskip(SKIP_1) | instid1(VALU_DEP_1)
	v_fma_f64 v[231:232], v[231:232], v[233:234], v[231:232]
	v_div_scale_f64 v[233:234], vcc_lo, 1.0, v[212:213], 1.0
	v_mul_f64 v[235:236], v[233:234], v[231:232]
	s_delay_alu instid0(VALU_DEP_1) | instskip(NEXT) | instid1(VALU_DEP_1)
	v_fma_f64 v[214:215], -v[214:215], v[235:236], v[233:234]
	v_div_fmas_f64 v[214:215], v[214:215], v[231:232], v[235:236]
	s_delay_alu instid0(VALU_DEP_1) | instskip(NEXT) | instid1(VALU_DEP_1)
	v_div_fixup_f64 v[212:213], v[214:215], v[212:213], 1.0
	v_mul_f64 v[214:215], v[229:230], -v[212:213]
.LBB104_660:
	s_or_b32 exec_lo, exec_lo, s2
.LBB104_661:
	s_delay_alu instid0(SALU_CYCLE_1) | instskip(NEXT) | instid1(SALU_CYCLE_1)
	s_or_b32 exec_lo, exec_lo, s3
	s_mov_b32 s2, exec_lo
	v_cmpx_ne_u32_e64 v228, v220
	s_xor_b32 s2, exec_lo, s2
	s_cbranch_execz .LBB104_667
; %bb.662:
	s_mov_b32 s3, exec_lo
	v_cmpx_eq_u32_e32 31, v228
	s_cbranch_execz .LBB104_666
; %bb.663:
	v_cmp_ne_u32_e32 vcc_lo, 31, v220
	s_xor_b32 s6, s4, -1
	s_delay_alu instid0(SALU_CYCLE_1) | instskip(NEXT) | instid1(SALU_CYCLE_1)
	s_and_b32 s7, s6, vcc_lo
	s_and_saveexec_b32 s6, s7
	s_cbranch_execz .LBB104_665
; %bb.664:
	v_ashrrev_i32_e32 v221, 31, v220
	s_delay_alu instid0(VALU_DEP_1) | instskip(NEXT) | instid1(VALU_DEP_1)
	v_lshlrev_b64 v[227:228], 2, v[220:221]
	v_add_co_u32 v227, vcc_lo, v218, v227
	s_delay_alu instid0(VALU_DEP_2)
	v_add_co_ci_u32_e32 v228, vcc_lo, v219, v228, vcc_lo
	s_clause 0x1
	flat_load_b32 v221, v[227:228]
	flat_load_b32 v229, v[218:219] offset:124
	s_waitcnt vmcnt(1) lgkmcnt(1)
	flat_store_b32 v[218:219], v221 offset:124
	s_waitcnt vmcnt(0) lgkmcnt(1)
	flat_store_b32 v[227:228], v229
.LBB104_665:
	s_or_b32 exec_lo, exec_lo, s6
	v_mov_b32_e32 v228, v220
	v_mov_b32_e32 v227, v220
.LBB104_666:
	s_or_b32 exec_lo, exec_lo, s3
.LBB104_667:
	s_and_not1_saveexec_b32 s2, s2
	s_cbranch_execz .LBB104_669
; %bb.668:
	v_mov_b32_e32 v228, 31
	ds_store_2addr_b64 v222, v[80:81], v[82:83] offset0:64 offset1:65
	ds_store_2addr_b64 v222, v[76:77], v[78:79] offset0:66 offset1:67
	;; [unrolled: 1-line block ×21, first 2 shown]
.LBB104_669:
	s_or_b32 exec_lo, exec_lo, s2
	s_delay_alu instid0(SALU_CYCLE_1)
	s_mov_b32 s2, exec_lo
	s_waitcnt lgkmcnt(0)
	s_waitcnt_vscnt null, 0x0
	s_barrier
	buffer_gl0_inv
	v_cmpx_lt_i32_e32 31, v228
	s_cbranch_execz .LBB104_671
; %bb.670:
	v_mul_f64 v[220:221], v[214:215], v[86:87]
	v_mul_f64 v[86:87], v[212:213], v[86:87]
	s_delay_alu instid0(VALU_DEP_2) | instskip(NEXT) | instid1(VALU_DEP_2)
	v_fma_f64 v[220:221], v[212:213], v[84:85], -v[220:221]
	v_fma_f64 v[86:87], v[214:215], v[84:85], v[86:87]
	ds_load_2addr_b64 v[212:215], v222 offset0:64 offset1:65
	s_waitcnt lgkmcnt(0)
	v_mul_f64 v[84:85], v[214:215], v[86:87]
	s_delay_alu instid0(VALU_DEP_1) | instskip(SKIP_1) | instid1(VALU_DEP_2)
	v_fma_f64 v[84:85], v[212:213], v[220:221], -v[84:85]
	v_mul_f64 v[212:213], v[212:213], v[86:87]
	v_add_f64 v[80:81], v[80:81], -v[84:85]
	s_delay_alu instid0(VALU_DEP_2) | instskip(NEXT) | instid1(VALU_DEP_1)
	v_fma_f64 v[212:213], v[214:215], v[220:221], v[212:213]
	v_add_f64 v[82:83], v[82:83], -v[212:213]
	ds_load_2addr_b64 v[212:215], v222 offset0:66 offset1:67
	s_waitcnt lgkmcnt(0)
	v_mul_f64 v[84:85], v[214:215], v[86:87]
	s_delay_alu instid0(VALU_DEP_1) | instskip(SKIP_1) | instid1(VALU_DEP_2)
	v_fma_f64 v[84:85], v[212:213], v[220:221], -v[84:85]
	v_mul_f64 v[212:213], v[212:213], v[86:87]
	v_add_f64 v[76:77], v[76:77], -v[84:85]
	s_delay_alu instid0(VALU_DEP_2) | instskip(NEXT) | instid1(VALU_DEP_1)
	v_fma_f64 v[212:213], v[214:215], v[220:221], v[212:213]
	v_add_f64 v[78:79], v[78:79], -v[212:213]
	;; [unrolled: 10-line block ×20, first 2 shown]
	ds_load_2addr_b64 v[212:215], v222 offset0:104 offset1:105
	s_waitcnt lgkmcnt(0)
	v_mul_f64 v[84:85], v[214:215], v[86:87]
	s_delay_alu instid0(VALU_DEP_1) | instskip(SKIP_1) | instid1(VALU_DEP_2)
	v_fma_f64 v[84:85], v[212:213], v[220:221], -v[84:85]
	v_mul_f64 v[212:213], v[212:213], v[86:87]
	v_add_f64 v[0:1], v[0:1], -v[84:85]
	s_delay_alu instid0(VALU_DEP_2) | instskip(SKIP_1) | instid1(VALU_DEP_2)
	v_fma_f64 v[212:213], v[214:215], v[220:221], v[212:213]
	v_dual_mov_b32 v84, v220 :: v_dual_mov_b32 v85, v221
	v_add_f64 v[2:3], v[2:3], -v[212:213]
.LBB104_671:
	s_or_b32 exec_lo, exec_lo, s2
	v_lshl_add_u32 v212, v228, 4, v222
	s_barrier
	buffer_gl0_inv
	v_mov_b32_e32 v220, 32
	ds_store_2addr_b64 v212, v[80:81], v[82:83] offset1:1
	s_waitcnt lgkmcnt(0)
	s_barrier
	buffer_gl0_inv
	ds_load_2addr_b64 v[212:215], v222 offset0:64 offset1:65
	s_cmp_lt_i32 s5, 34
	s_cbranch_scc1 .LBB104_674
; %bb.672:
	v_add3_u32 v221, v226, 0, 0x210
	v_mov_b32_e32 v220, 32
	s_mov_b32 s6, 33
	s_set_inst_prefetch_distance 0x1
	.p2align	6
.LBB104_673:                            ; =>This Inner Loop Header: Depth=1
	ds_load_2addr_b64 v[229:232], v221 offset1:1
	s_waitcnt lgkmcnt(1)
	v_cmp_gt_f64_e32 vcc_lo, 0, v[212:213]
	v_xor_b32_e32 v233, 0x80000000, v213
	v_cmp_gt_f64_e64 s2, 0, v[214:215]
	v_xor_b32_e32 v235, 0x80000000, v215
	v_add_nc_u32_e32 v221, 16, v221
	s_waitcnt lgkmcnt(0)
	v_cmp_gt_f64_e64 s3, 0, v[229:230]
	v_mov_b32_e32 v237, v229
	v_dual_mov_b32 v239, v231 :: v_dual_cndmask_b32 v234, v213, v233
	v_xor_b32_e32 v233, 0x80000000, v230
	v_cndmask_b32_e64 v236, v215, v235, s2
	v_xor_b32_e32 v235, 0x80000000, v232
	s_delay_alu instid0(VALU_DEP_3) | instskip(SKIP_2) | instid1(VALU_DEP_2)
	v_cndmask_b32_e64 v238, v230, v233, s3
	v_cmp_gt_f64_e64 s3, 0, v[231:232]
	v_cndmask_b32_e32 v233, v212, v212, vcc_lo
	v_cndmask_b32_e64 v240, v232, v235, s3
	v_cndmask_b32_e64 v235, v214, v214, s2
	s_delay_alu instid0(VALU_DEP_2) | instskip(NEXT) | instid1(VALU_DEP_2)
	v_add_f64 v[237:238], v[237:238], v[239:240]
	v_add_f64 v[233:234], v[233:234], v[235:236]
	s_delay_alu instid0(VALU_DEP_1) | instskip(SKIP_4) | instid1(SALU_CYCLE_1)
	v_cmp_lt_f64_e32 vcc_lo, v[233:234], v[237:238]
	v_dual_cndmask_b32 v214, v214, v231 :: v_dual_cndmask_b32 v213, v213, v230
	v_dual_cndmask_b32 v212, v212, v229 :: v_dual_cndmask_b32 v215, v215, v232
	v_cndmask_b32_e64 v220, v220, s6, vcc_lo
	s_add_i32 s6, s6, 1
	s_cmp_lg_u32 s5, s6
	s_cbranch_scc1 .LBB104_673
.LBB104_674:
	s_set_inst_prefetch_distance 0x2
	s_waitcnt lgkmcnt(0)
	v_cmp_eq_f64_e32 vcc_lo, 0, v[212:213]
	v_cmp_eq_f64_e64 s2, 0, v[214:215]
	s_delay_alu instid0(VALU_DEP_1) | instskip(NEXT) | instid1(SALU_CYCLE_1)
	s_and_b32 s2, vcc_lo, s2
	s_and_saveexec_b32 s3, s2
	s_delay_alu instid0(SALU_CYCLE_1)
	s_xor_b32 s2, exec_lo, s3
; %bb.675:
	v_cmp_ne_u32_e32 vcc_lo, 0, v225
	v_cndmask_b32_e32 v225, 33, v225, vcc_lo
; %bb.676:
	s_and_not1_saveexec_b32 s3, s2
	s_cbranch_execz .LBB104_682
; %bb.677:
	v_cmp_gt_f64_e32 vcc_lo, 0, v[212:213]
	v_cmp_gt_f64_e64 s2, 0, v[214:215]
	v_xor_b32_e32 v221, 0x80000000, v213
	v_xor_b32_e32 v229, 0x80000000, v215
	s_delay_alu instid0(VALU_DEP_2) | instskip(NEXT) | instid1(VALU_DEP_2)
	v_cndmask_b32_e32 v230, v213, v221, vcc_lo
	v_cndmask_b32_e64 v232, v215, v229, s2
	v_cndmask_b32_e32 v229, v212, v212, vcc_lo
	v_cndmask_b32_e64 v231, v214, v214, s2
	s_mov_b32 s2, exec_lo
	s_delay_alu instid0(VALU_DEP_1)
	v_cmpx_ngt_f64_e32 v[229:230], v[231:232]
	s_xor_b32 s2, exec_lo, s2
	s_cbranch_execz .LBB104_679
; %bb.678:
	v_div_scale_f64 v[229:230], null, v[214:215], v[214:215], v[212:213]
	v_div_scale_f64 v[235:236], vcc_lo, v[212:213], v[214:215], v[212:213]
	s_delay_alu instid0(VALU_DEP_2) | instskip(SKIP_2) | instid1(VALU_DEP_1)
	v_rcp_f64_e32 v[231:232], v[229:230]
	s_waitcnt_depctr 0xfff
	v_fma_f64 v[233:234], -v[229:230], v[231:232], 1.0
	v_fma_f64 v[231:232], v[231:232], v[233:234], v[231:232]
	s_delay_alu instid0(VALU_DEP_1) | instskip(NEXT) | instid1(VALU_DEP_1)
	v_fma_f64 v[233:234], -v[229:230], v[231:232], 1.0
	v_fma_f64 v[231:232], v[231:232], v[233:234], v[231:232]
	s_delay_alu instid0(VALU_DEP_1) | instskip(NEXT) | instid1(VALU_DEP_1)
	v_mul_f64 v[233:234], v[235:236], v[231:232]
	v_fma_f64 v[229:230], -v[229:230], v[233:234], v[235:236]
	s_delay_alu instid0(VALU_DEP_1) | instskip(NEXT) | instid1(VALU_DEP_1)
	v_div_fmas_f64 v[229:230], v[229:230], v[231:232], v[233:234]
	v_div_fixup_f64 v[229:230], v[229:230], v[214:215], v[212:213]
	s_delay_alu instid0(VALU_DEP_1) | instskip(NEXT) | instid1(VALU_DEP_1)
	v_fma_f64 v[212:213], v[212:213], v[229:230], v[214:215]
	v_div_scale_f64 v[214:215], null, v[212:213], v[212:213], 1.0
	s_delay_alu instid0(VALU_DEP_1) | instskip(SKIP_2) | instid1(VALU_DEP_1)
	v_rcp_f64_e32 v[231:232], v[214:215]
	s_waitcnt_depctr 0xfff
	v_fma_f64 v[233:234], -v[214:215], v[231:232], 1.0
	v_fma_f64 v[231:232], v[231:232], v[233:234], v[231:232]
	s_delay_alu instid0(VALU_DEP_1) | instskip(NEXT) | instid1(VALU_DEP_1)
	v_fma_f64 v[233:234], -v[214:215], v[231:232], 1.0
	v_fma_f64 v[231:232], v[231:232], v[233:234], v[231:232]
	v_div_scale_f64 v[233:234], vcc_lo, 1.0, v[212:213], 1.0
	s_delay_alu instid0(VALU_DEP_1) | instskip(NEXT) | instid1(VALU_DEP_1)
	v_mul_f64 v[235:236], v[233:234], v[231:232]
	v_fma_f64 v[214:215], -v[214:215], v[235:236], v[233:234]
	s_delay_alu instid0(VALU_DEP_1) | instskip(NEXT) | instid1(VALU_DEP_1)
	v_div_fmas_f64 v[214:215], v[214:215], v[231:232], v[235:236]
	v_div_fixup_f64 v[214:215], v[214:215], v[212:213], 1.0
	s_delay_alu instid0(VALU_DEP_1)
	v_mul_f64 v[212:213], v[229:230], v[214:215]
	v_xor_b32_e32 v215, 0x80000000, v215
.LBB104_679:
	s_and_not1_saveexec_b32 s2, s2
	s_cbranch_execz .LBB104_681
; %bb.680:
	s_delay_alu instid0(VALU_DEP_1) | instskip(SKIP_1) | instid1(VALU_DEP_2)
	v_div_scale_f64 v[229:230], null, v[212:213], v[212:213], v[214:215]
	v_div_scale_f64 v[235:236], vcc_lo, v[214:215], v[212:213], v[214:215]
	v_rcp_f64_e32 v[231:232], v[229:230]
	s_waitcnt_depctr 0xfff
	v_fma_f64 v[233:234], -v[229:230], v[231:232], 1.0
	s_delay_alu instid0(VALU_DEP_1) | instskip(NEXT) | instid1(VALU_DEP_1)
	v_fma_f64 v[231:232], v[231:232], v[233:234], v[231:232]
	v_fma_f64 v[233:234], -v[229:230], v[231:232], 1.0
	s_delay_alu instid0(VALU_DEP_1) | instskip(NEXT) | instid1(VALU_DEP_1)
	v_fma_f64 v[231:232], v[231:232], v[233:234], v[231:232]
	v_mul_f64 v[233:234], v[235:236], v[231:232]
	s_delay_alu instid0(VALU_DEP_1) | instskip(NEXT) | instid1(VALU_DEP_1)
	v_fma_f64 v[229:230], -v[229:230], v[233:234], v[235:236]
	v_div_fmas_f64 v[229:230], v[229:230], v[231:232], v[233:234]
	s_delay_alu instid0(VALU_DEP_1) | instskip(NEXT) | instid1(VALU_DEP_1)
	v_div_fixup_f64 v[229:230], v[229:230], v[212:213], v[214:215]
	v_fma_f64 v[212:213], v[214:215], v[229:230], v[212:213]
	s_delay_alu instid0(VALU_DEP_1) | instskip(NEXT) | instid1(VALU_DEP_1)
	v_div_scale_f64 v[214:215], null, v[212:213], v[212:213], 1.0
	v_rcp_f64_e32 v[231:232], v[214:215]
	s_waitcnt_depctr 0xfff
	v_fma_f64 v[233:234], -v[214:215], v[231:232], 1.0
	s_delay_alu instid0(VALU_DEP_1) | instskip(NEXT) | instid1(VALU_DEP_1)
	v_fma_f64 v[231:232], v[231:232], v[233:234], v[231:232]
	v_fma_f64 v[233:234], -v[214:215], v[231:232], 1.0
	s_delay_alu instid0(VALU_DEP_1) | instskip(SKIP_1) | instid1(VALU_DEP_1)
	v_fma_f64 v[231:232], v[231:232], v[233:234], v[231:232]
	v_div_scale_f64 v[233:234], vcc_lo, 1.0, v[212:213], 1.0
	v_mul_f64 v[235:236], v[233:234], v[231:232]
	s_delay_alu instid0(VALU_DEP_1) | instskip(NEXT) | instid1(VALU_DEP_1)
	v_fma_f64 v[214:215], -v[214:215], v[235:236], v[233:234]
	v_div_fmas_f64 v[214:215], v[214:215], v[231:232], v[235:236]
	s_delay_alu instid0(VALU_DEP_1) | instskip(NEXT) | instid1(VALU_DEP_1)
	v_div_fixup_f64 v[212:213], v[214:215], v[212:213], 1.0
	v_mul_f64 v[214:215], v[229:230], -v[212:213]
.LBB104_681:
	s_or_b32 exec_lo, exec_lo, s2
.LBB104_682:
	s_delay_alu instid0(SALU_CYCLE_1) | instskip(NEXT) | instid1(SALU_CYCLE_1)
	s_or_b32 exec_lo, exec_lo, s3
	s_mov_b32 s2, exec_lo
	v_cmpx_ne_u32_e64 v228, v220
	s_xor_b32 s2, exec_lo, s2
	s_cbranch_execz .LBB104_688
; %bb.683:
	s_mov_b32 s3, exec_lo
	v_cmpx_eq_u32_e32 32, v228
	s_cbranch_execz .LBB104_687
; %bb.684:
	v_cmp_ne_u32_e32 vcc_lo, 32, v220
	s_xor_b32 s6, s4, -1
	s_delay_alu instid0(SALU_CYCLE_1) | instskip(NEXT) | instid1(SALU_CYCLE_1)
	s_and_b32 s7, s6, vcc_lo
	s_and_saveexec_b32 s6, s7
	s_cbranch_execz .LBB104_686
; %bb.685:
	v_ashrrev_i32_e32 v221, 31, v220
	s_delay_alu instid0(VALU_DEP_1) | instskip(NEXT) | instid1(VALU_DEP_1)
	v_lshlrev_b64 v[227:228], 2, v[220:221]
	v_add_co_u32 v227, vcc_lo, v218, v227
	s_delay_alu instid0(VALU_DEP_2)
	v_add_co_ci_u32_e32 v228, vcc_lo, v219, v228, vcc_lo
	s_clause 0x1
	flat_load_b32 v221, v[227:228]
	flat_load_b32 v229, v[218:219] offset:128
	s_waitcnt vmcnt(1) lgkmcnt(1)
	flat_store_b32 v[218:219], v221 offset:128
	s_waitcnt vmcnt(0) lgkmcnt(1)
	flat_store_b32 v[227:228], v229
.LBB104_686:
	s_or_b32 exec_lo, exec_lo, s6
	v_mov_b32_e32 v228, v220
	v_mov_b32_e32 v227, v220
.LBB104_687:
	s_or_b32 exec_lo, exec_lo, s3
.LBB104_688:
	s_and_not1_saveexec_b32 s2, s2
	s_cbranch_execz .LBB104_690
; %bb.689:
	v_mov_b32_e32 v228, 32
	ds_store_2addr_b64 v222, v[76:77], v[78:79] offset0:66 offset1:67
	ds_store_2addr_b64 v222, v[72:73], v[74:75] offset0:68 offset1:69
	;; [unrolled: 1-line block ×20, first 2 shown]
.LBB104_690:
	s_or_b32 exec_lo, exec_lo, s2
	s_delay_alu instid0(SALU_CYCLE_1)
	s_mov_b32 s2, exec_lo
	s_waitcnt lgkmcnt(0)
	s_waitcnt_vscnt null, 0x0
	s_barrier
	buffer_gl0_inv
	v_cmpx_lt_i32_e32 32, v228
	s_cbranch_execz .LBB104_692
; %bb.691:
	v_mul_f64 v[220:221], v[214:215], v[82:83]
	v_mul_f64 v[82:83], v[212:213], v[82:83]
	s_delay_alu instid0(VALU_DEP_2) | instskip(NEXT) | instid1(VALU_DEP_2)
	v_fma_f64 v[220:221], v[212:213], v[80:81], -v[220:221]
	v_fma_f64 v[82:83], v[214:215], v[80:81], v[82:83]
	ds_load_2addr_b64 v[212:215], v222 offset0:66 offset1:67
	s_waitcnt lgkmcnt(0)
	v_mul_f64 v[80:81], v[214:215], v[82:83]
	s_delay_alu instid0(VALU_DEP_1) | instskip(SKIP_1) | instid1(VALU_DEP_2)
	v_fma_f64 v[80:81], v[212:213], v[220:221], -v[80:81]
	v_mul_f64 v[212:213], v[212:213], v[82:83]
	v_add_f64 v[76:77], v[76:77], -v[80:81]
	s_delay_alu instid0(VALU_DEP_2) | instskip(NEXT) | instid1(VALU_DEP_1)
	v_fma_f64 v[212:213], v[214:215], v[220:221], v[212:213]
	v_add_f64 v[78:79], v[78:79], -v[212:213]
	ds_load_2addr_b64 v[212:215], v222 offset0:68 offset1:69
	s_waitcnt lgkmcnt(0)
	v_mul_f64 v[80:81], v[214:215], v[82:83]
	s_delay_alu instid0(VALU_DEP_1) | instskip(SKIP_1) | instid1(VALU_DEP_2)
	v_fma_f64 v[80:81], v[212:213], v[220:221], -v[80:81]
	v_mul_f64 v[212:213], v[212:213], v[82:83]
	v_add_f64 v[72:73], v[72:73], -v[80:81]
	s_delay_alu instid0(VALU_DEP_2) | instskip(NEXT) | instid1(VALU_DEP_1)
	v_fma_f64 v[212:213], v[214:215], v[220:221], v[212:213]
	v_add_f64 v[74:75], v[74:75], -v[212:213]
	ds_load_2addr_b64 v[212:215], v222 offset0:70 offset1:71
	s_waitcnt lgkmcnt(0)
	v_mul_f64 v[80:81], v[214:215], v[82:83]
	s_delay_alu instid0(VALU_DEP_1) | instskip(SKIP_1) | instid1(VALU_DEP_2)
	v_fma_f64 v[80:81], v[212:213], v[220:221], -v[80:81]
	v_mul_f64 v[212:213], v[212:213], v[82:83]
	v_add_f64 v[68:69], v[68:69], -v[80:81]
	s_delay_alu instid0(VALU_DEP_2) | instskip(NEXT) | instid1(VALU_DEP_1)
	v_fma_f64 v[212:213], v[214:215], v[220:221], v[212:213]
	v_add_f64 v[70:71], v[70:71], -v[212:213]
	ds_load_2addr_b64 v[212:215], v222 offset0:72 offset1:73
	s_waitcnt lgkmcnt(0)
	v_mul_f64 v[80:81], v[214:215], v[82:83]
	s_delay_alu instid0(VALU_DEP_1) | instskip(SKIP_1) | instid1(VALU_DEP_2)
	v_fma_f64 v[80:81], v[212:213], v[220:221], -v[80:81]
	v_mul_f64 v[212:213], v[212:213], v[82:83]
	v_add_f64 v[64:65], v[64:65], -v[80:81]
	s_delay_alu instid0(VALU_DEP_2) | instskip(NEXT) | instid1(VALU_DEP_1)
	v_fma_f64 v[212:213], v[214:215], v[220:221], v[212:213]
	v_add_f64 v[66:67], v[66:67], -v[212:213]
	ds_load_2addr_b64 v[212:215], v222 offset0:74 offset1:75
	s_waitcnt lgkmcnt(0)
	v_mul_f64 v[80:81], v[214:215], v[82:83]
	s_delay_alu instid0(VALU_DEP_1) | instskip(SKIP_1) | instid1(VALU_DEP_2)
	v_fma_f64 v[80:81], v[212:213], v[220:221], -v[80:81]
	v_mul_f64 v[212:213], v[212:213], v[82:83]
	v_add_f64 v[60:61], v[60:61], -v[80:81]
	s_delay_alu instid0(VALU_DEP_2) | instskip(NEXT) | instid1(VALU_DEP_1)
	v_fma_f64 v[212:213], v[214:215], v[220:221], v[212:213]
	v_add_f64 v[62:63], v[62:63], -v[212:213]
	ds_load_2addr_b64 v[212:215], v222 offset0:76 offset1:77
	s_waitcnt lgkmcnt(0)
	v_mul_f64 v[80:81], v[214:215], v[82:83]
	s_delay_alu instid0(VALU_DEP_1) | instskip(SKIP_1) | instid1(VALU_DEP_2)
	v_fma_f64 v[80:81], v[212:213], v[220:221], -v[80:81]
	v_mul_f64 v[212:213], v[212:213], v[82:83]
	v_add_f64 v[56:57], v[56:57], -v[80:81]
	s_delay_alu instid0(VALU_DEP_2) | instskip(NEXT) | instid1(VALU_DEP_1)
	v_fma_f64 v[212:213], v[214:215], v[220:221], v[212:213]
	v_add_f64 v[58:59], v[58:59], -v[212:213]
	ds_load_2addr_b64 v[212:215], v222 offset0:78 offset1:79
	s_waitcnt lgkmcnt(0)
	v_mul_f64 v[80:81], v[214:215], v[82:83]
	s_delay_alu instid0(VALU_DEP_1) | instskip(SKIP_1) | instid1(VALU_DEP_2)
	v_fma_f64 v[80:81], v[212:213], v[220:221], -v[80:81]
	v_mul_f64 v[212:213], v[212:213], v[82:83]
	v_add_f64 v[52:53], v[52:53], -v[80:81]
	s_delay_alu instid0(VALU_DEP_2) | instskip(NEXT) | instid1(VALU_DEP_1)
	v_fma_f64 v[212:213], v[214:215], v[220:221], v[212:213]
	v_add_f64 v[54:55], v[54:55], -v[212:213]
	ds_load_2addr_b64 v[212:215], v222 offset0:80 offset1:81
	s_waitcnt lgkmcnt(0)
	v_mul_f64 v[80:81], v[214:215], v[82:83]
	s_delay_alu instid0(VALU_DEP_1) | instskip(SKIP_1) | instid1(VALU_DEP_2)
	v_fma_f64 v[80:81], v[212:213], v[220:221], -v[80:81]
	v_mul_f64 v[212:213], v[212:213], v[82:83]
	v_add_f64 v[48:49], v[48:49], -v[80:81]
	s_delay_alu instid0(VALU_DEP_2) | instskip(NEXT) | instid1(VALU_DEP_1)
	v_fma_f64 v[212:213], v[214:215], v[220:221], v[212:213]
	v_add_f64 v[50:51], v[50:51], -v[212:213]
	ds_load_2addr_b64 v[212:215], v222 offset0:82 offset1:83
	s_waitcnt lgkmcnt(0)
	v_mul_f64 v[80:81], v[214:215], v[82:83]
	s_delay_alu instid0(VALU_DEP_1) | instskip(SKIP_1) | instid1(VALU_DEP_2)
	v_fma_f64 v[80:81], v[212:213], v[220:221], -v[80:81]
	v_mul_f64 v[212:213], v[212:213], v[82:83]
	v_add_f64 v[44:45], v[44:45], -v[80:81]
	s_delay_alu instid0(VALU_DEP_2) | instskip(NEXT) | instid1(VALU_DEP_1)
	v_fma_f64 v[212:213], v[214:215], v[220:221], v[212:213]
	v_add_f64 v[46:47], v[46:47], -v[212:213]
	ds_load_2addr_b64 v[212:215], v222 offset0:84 offset1:85
	s_waitcnt lgkmcnt(0)
	v_mul_f64 v[80:81], v[214:215], v[82:83]
	s_delay_alu instid0(VALU_DEP_1) | instskip(SKIP_1) | instid1(VALU_DEP_2)
	v_fma_f64 v[80:81], v[212:213], v[220:221], -v[80:81]
	v_mul_f64 v[212:213], v[212:213], v[82:83]
	v_add_f64 v[40:41], v[40:41], -v[80:81]
	s_delay_alu instid0(VALU_DEP_2) | instskip(NEXT) | instid1(VALU_DEP_1)
	v_fma_f64 v[212:213], v[214:215], v[220:221], v[212:213]
	v_add_f64 v[42:43], v[42:43], -v[212:213]
	ds_load_2addr_b64 v[212:215], v222 offset0:86 offset1:87
	s_waitcnt lgkmcnt(0)
	v_mul_f64 v[80:81], v[214:215], v[82:83]
	s_delay_alu instid0(VALU_DEP_1) | instskip(SKIP_1) | instid1(VALU_DEP_2)
	v_fma_f64 v[80:81], v[212:213], v[220:221], -v[80:81]
	v_mul_f64 v[212:213], v[212:213], v[82:83]
	v_add_f64 v[36:37], v[36:37], -v[80:81]
	s_delay_alu instid0(VALU_DEP_2) | instskip(NEXT) | instid1(VALU_DEP_1)
	v_fma_f64 v[212:213], v[214:215], v[220:221], v[212:213]
	v_add_f64 v[38:39], v[38:39], -v[212:213]
	ds_load_2addr_b64 v[212:215], v222 offset0:88 offset1:89
	s_waitcnt lgkmcnt(0)
	v_mul_f64 v[80:81], v[214:215], v[82:83]
	s_delay_alu instid0(VALU_DEP_1) | instskip(SKIP_1) | instid1(VALU_DEP_2)
	v_fma_f64 v[80:81], v[212:213], v[220:221], -v[80:81]
	v_mul_f64 v[212:213], v[212:213], v[82:83]
	v_add_f64 v[32:33], v[32:33], -v[80:81]
	s_delay_alu instid0(VALU_DEP_2) | instskip(NEXT) | instid1(VALU_DEP_1)
	v_fma_f64 v[212:213], v[214:215], v[220:221], v[212:213]
	v_add_f64 v[34:35], v[34:35], -v[212:213]
	ds_load_2addr_b64 v[212:215], v222 offset0:90 offset1:91
	s_waitcnt lgkmcnt(0)
	v_mul_f64 v[80:81], v[214:215], v[82:83]
	s_delay_alu instid0(VALU_DEP_1) | instskip(SKIP_1) | instid1(VALU_DEP_2)
	v_fma_f64 v[80:81], v[212:213], v[220:221], -v[80:81]
	v_mul_f64 v[212:213], v[212:213], v[82:83]
	v_add_f64 v[28:29], v[28:29], -v[80:81]
	s_delay_alu instid0(VALU_DEP_2) | instskip(NEXT) | instid1(VALU_DEP_1)
	v_fma_f64 v[212:213], v[214:215], v[220:221], v[212:213]
	v_add_f64 v[30:31], v[30:31], -v[212:213]
	ds_load_2addr_b64 v[212:215], v222 offset0:92 offset1:93
	s_waitcnt lgkmcnt(0)
	v_mul_f64 v[80:81], v[214:215], v[82:83]
	s_delay_alu instid0(VALU_DEP_1) | instskip(SKIP_1) | instid1(VALU_DEP_2)
	v_fma_f64 v[80:81], v[212:213], v[220:221], -v[80:81]
	v_mul_f64 v[212:213], v[212:213], v[82:83]
	v_add_f64 v[24:25], v[24:25], -v[80:81]
	s_delay_alu instid0(VALU_DEP_2) | instskip(NEXT) | instid1(VALU_DEP_1)
	v_fma_f64 v[212:213], v[214:215], v[220:221], v[212:213]
	v_add_f64 v[26:27], v[26:27], -v[212:213]
	ds_load_2addr_b64 v[212:215], v222 offset0:94 offset1:95
	s_waitcnt lgkmcnt(0)
	v_mul_f64 v[80:81], v[214:215], v[82:83]
	s_delay_alu instid0(VALU_DEP_1) | instskip(SKIP_1) | instid1(VALU_DEP_2)
	v_fma_f64 v[80:81], v[212:213], v[220:221], -v[80:81]
	v_mul_f64 v[212:213], v[212:213], v[82:83]
	v_add_f64 v[20:21], v[20:21], -v[80:81]
	s_delay_alu instid0(VALU_DEP_2) | instskip(NEXT) | instid1(VALU_DEP_1)
	v_fma_f64 v[212:213], v[214:215], v[220:221], v[212:213]
	v_add_f64 v[22:23], v[22:23], -v[212:213]
	ds_load_2addr_b64 v[212:215], v222 offset0:96 offset1:97
	s_waitcnt lgkmcnt(0)
	v_mul_f64 v[80:81], v[214:215], v[82:83]
	s_delay_alu instid0(VALU_DEP_1) | instskip(SKIP_1) | instid1(VALU_DEP_2)
	v_fma_f64 v[80:81], v[212:213], v[220:221], -v[80:81]
	v_mul_f64 v[212:213], v[212:213], v[82:83]
	v_add_f64 v[16:17], v[16:17], -v[80:81]
	s_delay_alu instid0(VALU_DEP_2) | instskip(NEXT) | instid1(VALU_DEP_1)
	v_fma_f64 v[212:213], v[214:215], v[220:221], v[212:213]
	v_add_f64 v[18:19], v[18:19], -v[212:213]
	ds_load_2addr_b64 v[212:215], v222 offset0:98 offset1:99
	s_waitcnt lgkmcnt(0)
	v_mul_f64 v[80:81], v[214:215], v[82:83]
	s_delay_alu instid0(VALU_DEP_1) | instskip(SKIP_1) | instid1(VALU_DEP_2)
	v_fma_f64 v[80:81], v[212:213], v[220:221], -v[80:81]
	v_mul_f64 v[212:213], v[212:213], v[82:83]
	v_add_f64 v[12:13], v[12:13], -v[80:81]
	s_delay_alu instid0(VALU_DEP_2) | instskip(NEXT) | instid1(VALU_DEP_1)
	v_fma_f64 v[212:213], v[214:215], v[220:221], v[212:213]
	v_add_f64 v[14:15], v[14:15], -v[212:213]
	ds_load_2addr_b64 v[212:215], v222 offset0:100 offset1:101
	s_waitcnt lgkmcnt(0)
	v_mul_f64 v[80:81], v[214:215], v[82:83]
	s_delay_alu instid0(VALU_DEP_1) | instskip(SKIP_1) | instid1(VALU_DEP_2)
	v_fma_f64 v[80:81], v[212:213], v[220:221], -v[80:81]
	v_mul_f64 v[212:213], v[212:213], v[82:83]
	v_add_f64 v[8:9], v[8:9], -v[80:81]
	s_delay_alu instid0(VALU_DEP_2) | instskip(NEXT) | instid1(VALU_DEP_1)
	v_fma_f64 v[212:213], v[214:215], v[220:221], v[212:213]
	v_add_f64 v[10:11], v[10:11], -v[212:213]
	ds_load_2addr_b64 v[212:215], v222 offset0:102 offset1:103
	s_waitcnt lgkmcnt(0)
	v_mul_f64 v[80:81], v[214:215], v[82:83]
	s_delay_alu instid0(VALU_DEP_1) | instskip(SKIP_1) | instid1(VALU_DEP_2)
	v_fma_f64 v[80:81], v[212:213], v[220:221], -v[80:81]
	v_mul_f64 v[212:213], v[212:213], v[82:83]
	v_add_f64 v[4:5], v[4:5], -v[80:81]
	s_delay_alu instid0(VALU_DEP_2) | instskip(NEXT) | instid1(VALU_DEP_1)
	v_fma_f64 v[212:213], v[214:215], v[220:221], v[212:213]
	v_add_f64 v[6:7], v[6:7], -v[212:213]
	ds_load_2addr_b64 v[212:215], v222 offset0:104 offset1:105
	s_waitcnt lgkmcnt(0)
	v_mul_f64 v[80:81], v[214:215], v[82:83]
	s_delay_alu instid0(VALU_DEP_1) | instskip(SKIP_1) | instid1(VALU_DEP_2)
	v_fma_f64 v[80:81], v[212:213], v[220:221], -v[80:81]
	v_mul_f64 v[212:213], v[212:213], v[82:83]
	v_add_f64 v[0:1], v[0:1], -v[80:81]
	s_delay_alu instid0(VALU_DEP_2) | instskip(SKIP_1) | instid1(VALU_DEP_2)
	v_fma_f64 v[212:213], v[214:215], v[220:221], v[212:213]
	v_dual_mov_b32 v80, v220 :: v_dual_mov_b32 v81, v221
	v_add_f64 v[2:3], v[2:3], -v[212:213]
.LBB104_692:
	s_or_b32 exec_lo, exec_lo, s2
	v_lshl_add_u32 v212, v228, 4, v222
	s_barrier
	buffer_gl0_inv
	v_mov_b32_e32 v220, 33
	ds_store_2addr_b64 v212, v[76:77], v[78:79] offset1:1
	s_waitcnt lgkmcnt(0)
	s_barrier
	buffer_gl0_inv
	ds_load_2addr_b64 v[212:215], v222 offset0:66 offset1:67
	s_cmp_lt_i32 s5, 35
	s_cbranch_scc1 .LBB104_695
; %bb.693:
	v_add3_u32 v221, v226, 0, 0x220
	v_mov_b32_e32 v220, 33
	s_mov_b32 s6, 34
	s_set_inst_prefetch_distance 0x1
	.p2align	6
.LBB104_694:                            ; =>This Inner Loop Header: Depth=1
	ds_load_2addr_b64 v[229:232], v221 offset1:1
	s_waitcnt lgkmcnt(1)
	v_cmp_gt_f64_e32 vcc_lo, 0, v[212:213]
	v_xor_b32_e32 v233, 0x80000000, v213
	v_cmp_gt_f64_e64 s2, 0, v[214:215]
	v_xor_b32_e32 v235, 0x80000000, v215
	v_add_nc_u32_e32 v221, 16, v221
	s_waitcnt lgkmcnt(0)
	v_cmp_gt_f64_e64 s3, 0, v[229:230]
	v_mov_b32_e32 v237, v229
	v_dual_mov_b32 v239, v231 :: v_dual_cndmask_b32 v234, v213, v233
	v_xor_b32_e32 v233, 0x80000000, v230
	v_cndmask_b32_e64 v236, v215, v235, s2
	v_xor_b32_e32 v235, 0x80000000, v232
	s_delay_alu instid0(VALU_DEP_3) | instskip(SKIP_2) | instid1(VALU_DEP_2)
	v_cndmask_b32_e64 v238, v230, v233, s3
	v_cmp_gt_f64_e64 s3, 0, v[231:232]
	v_cndmask_b32_e32 v233, v212, v212, vcc_lo
	v_cndmask_b32_e64 v240, v232, v235, s3
	v_cndmask_b32_e64 v235, v214, v214, s2
	s_delay_alu instid0(VALU_DEP_2) | instskip(NEXT) | instid1(VALU_DEP_2)
	v_add_f64 v[237:238], v[237:238], v[239:240]
	v_add_f64 v[233:234], v[233:234], v[235:236]
	s_delay_alu instid0(VALU_DEP_1) | instskip(SKIP_4) | instid1(SALU_CYCLE_1)
	v_cmp_lt_f64_e32 vcc_lo, v[233:234], v[237:238]
	v_dual_cndmask_b32 v214, v214, v231 :: v_dual_cndmask_b32 v213, v213, v230
	v_dual_cndmask_b32 v212, v212, v229 :: v_dual_cndmask_b32 v215, v215, v232
	v_cndmask_b32_e64 v220, v220, s6, vcc_lo
	s_add_i32 s6, s6, 1
	s_cmp_lg_u32 s5, s6
	s_cbranch_scc1 .LBB104_694
.LBB104_695:
	s_set_inst_prefetch_distance 0x2
	s_waitcnt lgkmcnt(0)
	v_cmp_eq_f64_e32 vcc_lo, 0, v[212:213]
	v_cmp_eq_f64_e64 s2, 0, v[214:215]
	s_delay_alu instid0(VALU_DEP_1) | instskip(NEXT) | instid1(SALU_CYCLE_1)
	s_and_b32 s2, vcc_lo, s2
	s_and_saveexec_b32 s3, s2
	s_delay_alu instid0(SALU_CYCLE_1)
	s_xor_b32 s2, exec_lo, s3
; %bb.696:
	v_cmp_ne_u32_e32 vcc_lo, 0, v225
	v_cndmask_b32_e32 v225, 34, v225, vcc_lo
; %bb.697:
	s_and_not1_saveexec_b32 s3, s2
	s_cbranch_execz .LBB104_703
; %bb.698:
	v_cmp_gt_f64_e32 vcc_lo, 0, v[212:213]
	v_cmp_gt_f64_e64 s2, 0, v[214:215]
	v_xor_b32_e32 v221, 0x80000000, v213
	v_xor_b32_e32 v229, 0x80000000, v215
	s_delay_alu instid0(VALU_DEP_2) | instskip(NEXT) | instid1(VALU_DEP_2)
	v_cndmask_b32_e32 v230, v213, v221, vcc_lo
	v_cndmask_b32_e64 v232, v215, v229, s2
	v_cndmask_b32_e32 v229, v212, v212, vcc_lo
	v_cndmask_b32_e64 v231, v214, v214, s2
	s_mov_b32 s2, exec_lo
	s_delay_alu instid0(VALU_DEP_1)
	v_cmpx_ngt_f64_e32 v[229:230], v[231:232]
	s_xor_b32 s2, exec_lo, s2
	s_cbranch_execz .LBB104_700
; %bb.699:
	v_div_scale_f64 v[229:230], null, v[214:215], v[214:215], v[212:213]
	v_div_scale_f64 v[235:236], vcc_lo, v[212:213], v[214:215], v[212:213]
	s_delay_alu instid0(VALU_DEP_2) | instskip(SKIP_2) | instid1(VALU_DEP_1)
	v_rcp_f64_e32 v[231:232], v[229:230]
	s_waitcnt_depctr 0xfff
	v_fma_f64 v[233:234], -v[229:230], v[231:232], 1.0
	v_fma_f64 v[231:232], v[231:232], v[233:234], v[231:232]
	s_delay_alu instid0(VALU_DEP_1) | instskip(NEXT) | instid1(VALU_DEP_1)
	v_fma_f64 v[233:234], -v[229:230], v[231:232], 1.0
	v_fma_f64 v[231:232], v[231:232], v[233:234], v[231:232]
	s_delay_alu instid0(VALU_DEP_1) | instskip(NEXT) | instid1(VALU_DEP_1)
	v_mul_f64 v[233:234], v[235:236], v[231:232]
	v_fma_f64 v[229:230], -v[229:230], v[233:234], v[235:236]
	s_delay_alu instid0(VALU_DEP_1) | instskip(NEXT) | instid1(VALU_DEP_1)
	v_div_fmas_f64 v[229:230], v[229:230], v[231:232], v[233:234]
	v_div_fixup_f64 v[229:230], v[229:230], v[214:215], v[212:213]
	s_delay_alu instid0(VALU_DEP_1) | instskip(NEXT) | instid1(VALU_DEP_1)
	v_fma_f64 v[212:213], v[212:213], v[229:230], v[214:215]
	v_div_scale_f64 v[214:215], null, v[212:213], v[212:213], 1.0
	s_delay_alu instid0(VALU_DEP_1) | instskip(SKIP_2) | instid1(VALU_DEP_1)
	v_rcp_f64_e32 v[231:232], v[214:215]
	s_waitcnt_depctr 0xfff
	v_fma_f64 v[233:234], -v[214:215], v[231:232], 1.0
	v_fma_f64 v[231:232], v[231:232], v[233:234], v[231:232]
	s_delay_alu instid0(VALU_DEP_1) | instskip(NEXT) | instid1(VALU_DEP_1)
	v_fma_f64 v[233:234], -v[214:215], v[231:232], 1.0
	v_fma_f64 v[231:232], v[231:232], v[233:234], v[231:232]
	v_div_scale_f64 v[233:234], vcc_lo, 1.0, v[212:213], 1.0
	s_delay_alu instid0(VALU_DEP_1) | instskip(NEXT) | instid1(VALU_DEP_1)
	v_mul_f64 v[235:236], v[233:234], v[231:232]
	v_fma_f64 v[214:215], -v[214:215], v[235:236], v[233:234]
	s_delay_alu instid0(VALU_DEP_1) | instskip(NEXT) | instid1(VALU_DEP_1)
	v_div_fmas_f64 v[214:215], v[214:215], v[231:232], v[235:236]
	v_div_fixup_f64 v[214:215], v[214:215], v[212:213], 1.0
	s_delay_alu instid0(VALU_DEP_1)
	v_mul_f64 v[212:213], v[229:230], v[214:215]
	v_xor_b32_e32 v215, 0x80000000, v215
.LBB104_700:
	s_and_not1_saveexec_b32 s2, s2
	s_cbranch_execz .LBB104_702
; %bb.701:
	s_delay_alu instid0(VALU_DEP_1) | instskip(SKIP_1) | instid1(VALU_DEP_2)
	v_div_scale_f64 v[229:230], null, v[212:213], v[212:213], v[214:215]
	v_div_scale_f64 v[235:236], vcc_lo, v[214:215], v[212:213], v[214:215]
	v_rcp_f64_e32 v[231:232], v[229:230]
	s_waitcnt_depctr 0xfff
	v_fma_f64 v[233:234], -v[229:230], v[231:232], 1.0
	s_delay_alu instid0(VALU_DEP_1) | instskip(NEXT) | instid1(VALU_DEP_1)
	v_fma_f64 v[231:232], v[231:232], v[233:234], v[231:232]
	v_fma_f64 v[233:234], -v[229:230], v[231:232], 1.0
	s_delay_alu instid0(VALU_DEP_1) | instskip(NEXT) | instid1(VALU_DEP_1)
	v_fma_f64 v[231:232], v[231:232], v[233:234], v[231:232]
	v_mul_f64 v[233:234], v[235:236], v[231:232]
	s_delay_alu instid0(VALU_DEP_1) | instskip(NEXT) | instid1(VALU_DEP_1)
	v_fma_f64 v[229:230], -v[229:230], v[233:234], v[235:236]
	v_div_fmas_f64 v[229:230], v[229:230], v[231:232], v[233:234]
	s_delay_alu instid0(VALU_DEP_1) | instskip(NEXT) | instid1(VALU_DEP_1)
	v_div_fixup_f64 v[229:230], v[229:230], v[212:213], v[214:215]
	v_fma_f64 v[212:213], v[214:215], v[229:230], v[212:213]
	s_delay_alu instid0(VALU_DEP_1) | instskip(NEXT) | instid1(VALU_DEP_1)
	v_div_scale_f64 v[214:215], null, v[212:213], v[212:213], 1.0
	v_rcp_f64_e32 v[231:232], v[214:215]
	s_waitcnt_depctr 0xfff
	v_fma_f64 v[233:234], -v[214:215], v[231:232], 1.0
	s_delay_alu instid0(VALU_DEP_1) | instskip(NEXT) | instid1(VALU_DEP_1)
	v_fma_f64 v[231:232], v[231:232], v[233:234], v[231:232]
	v_fma_f64 v[233:234], -v[214:215], v[231:232], 1.0
	s_delay_alu instid0(VALU_DEP_1) | instskip(SKIP_1) | instid1(VALU_DEP_1)
	v_fma_f64 v[231:232], v[231:232], v[233:234], v[231:232]
	v_div_scale_f64 v[233:234], vcc_lo, 1.0, v[212:213], 1.0
	v_mul_f64 v[235:236], v[233:234], v[231:232]
	s_delay_alu instid0(VALU_DEP_1) | instskip(NEXT) | instid1(VALU_DEP_1)
	v_fma_f64 v[214:215], -v[214:215], v[235:236], v[233:234]
	v_div_fmas_f64 v[214:215], v[214:215], v[231:232], v[235:236]
	s_delay_alu instid0(VALU_DEP_1) | instskip(NEXT) | instid1(VALU_DEP_1)
	v_div_fixup_f64 v[212:213], v[214:215], v[212:213], 1.0
	v_mul_f64 v[214:215], v[229:230], -v[212:213]
.LBB104_702:
	s_or_b32 exec_lo, exec_lo, s2
.LBB104_703:
	s_delay_alu instid0(SALU_CYCLE_1) | instskip(NEXT) | instid1(SALU_CYCLE_1)
	s_or_b32 exec_lo, exec_lo, s3
	s_mov_b32 s2, exec_lo
	v_cmpx_ne_u32_e64 v228, v220
	s_xor_b32 s2, exec_lo, s2
	s_cbranch_execz .LBB104_709
; %bb.704:
	s_mov_b32 s3, exec_lo
	v_cmpx_eq_u32_e32 33, v228
	s_cbranch_execz .LBB104_708
; %bb.705:
	v_cmp_ne_u32_e32 vcc_lo, 33, v220
	s_xor_b32 s6, s4, -1
	s_delay_alu instid0(SALU_CYCLE_1) | instskip(NEXT) | instid1(SALU_CYCLE_1)
	s_and_b32 s7, s6, vcc_lo
	s_and_saveexec_b32 s6, s7
	s_cbranch_execz .LBB104_707
; %bb.706:
	v_ashrrev_i32_e32 v221, 31, v220
	s_delay_alu instid0(VALU_DEP_1) | instskip(NEXT) | instid1(VALU_DEP_1)
	v_lshlrev_b64 v[227:228], 2, v[220:221]
	v_add_co_u32 v227, vcc_lo, v218, v227
	s_delay_alu instid0(VALU_DEP_2)
	v_add_co_ci_u32_e32 v228, vcc_lo, v219, v228, vcc_lo
	s_clause 0x1
	flat_load_b32 v221, v[227:228]
	flat_load_b32 v229, v[218:219] offset:132
	s_waitcnt vmcnt(1) lgkmcnt(1)
	flat_store_b32 v[218:219], v221 offset:132
	s_waitcnt vmcnt(0) lgkmcnt(1)
	flat_store_b32 v[227:228], v229
.LBB104_707:
	s_or_b32 exec_lo, exec_lo, s6
	v_mov_b32_e32 v228, v220
	v_mov_b32_e32 v227, v220
.LBB104_708:
	s_or_b32 exec_lo, exec_lo, s3
.LBB104_709:
	s_and_not1_saveexec_b32 s2, s2
	s_cbranch_execz .LBB104_711
; %bb.710:
	v_mov_b32_e32 v228, 33
	ds_store_2addr_b64 v222, v[72:73], v[74:75] offset0:68 offset1:69
	ds_store_2addr_b64 v222, v[68:69], v[70:71] offset0:70 offset1:71
	;; [unrolled: 1-line block ×19, first 2 shown]
.LBB104_711:
	s_or_b32 exec_lo, exec_lo, s2
	s_delay_alu instid0(SALU_CYCLE_1)
	s_mov_b32 s2, exec_lo
	s_waitcnt lgkmcnt(0)
	s_waitcnt_vscnt null, 0x0
	s_barrier
	buffer_gl0_inv
	v_cmpx_lt_i32_e32 33, v228
	s_cbranch_execz .LBB104_713
; %bb.712:
	v_mul_f64 v[220:221], v[214:215], v[78:79]
	v_mul_f64 v[78:79], v[212:213], v[78:79]
	s_delay_alu instid0(VALU_DEP_2) | instskip(NEXT) | instid1(VALU_DEP_2)
	v_fma_f64 v[220:221], v[212:213], v[76:77], -v[220:221]
	v_fma_f64 v[78:79], v[214:215], v[76:77], v[78:79]
	ds_load_2addr_b64 v[212:215], v222 offset0:68 offset1:69
	s_waitcnt lgkmcnt(0)
	v_mul_f64 v[76:77], v[214:215], v[78:79]
	s_delay_alu instid0(VALU_DEP_1) | instskip(SKIP_1) | instid1(VALU_DEP_2)
	v_fma_f64 v[76:77], v[212:213], v[220:221], -v[76:77]
	v_mul_f64 v[212:213], v[212:213], v[78:79]
	v_add_f64 v[72:73], v[72:73], -v[76:77]
	s_delay_alu instid0(VALU_DEP_2) | instskip(NEXT) | instid1(VALU_DEP_1)
	v_fma_f64 v[212:213], v[214:215], v[220:221], v[212:213]
	v_add_f64 v[74:75], v[74:75], -v[212:213]
	ds_load_2addr_b64 v[212:215], v222 offset0:70 offset1:71
	s_waitcnt lgkmcnt(0)
	v_mul_f64 v[76:77], v[214:215], v[78:79]
	s_delay_alu instid0(VALU_DEP_1) | instskip(SKIP_1) | instid1(VALU_DEP_2)
	v_fma_f64 v[76:77], v[212:213], v[220:221], -v[76:77]
	v_mul_f64 v[212:213], v[212:213], v[78:79]
	v_add_f64 v[68:69], v[68:69], -v[76:77]
	s_delay_alu instid0(VALU_DEP_2) | instskip(NEXT) | instid1(VALU_DEP_1)
	v_fma_f64 v[212:213], v[214:215], v[220:221], v[212:213]
	v_add_f64 v[70:71], v[70:71], -v[212:213]
	;; [unrolled: 10-line block ×18, first 2 shown]
	ds_load_2addr_b64 v[212:215], v222 offset0:104 offset1:105
	s_waitcnt lgkmcnt(0)
	v_mul_f64 v[76:77], v[214:215], v[78:79]
	s_delay_alu instid0(VALU_DEP_1) | instskip(SKIP_1) | instid1(VALU_DEP_2)
	v_fma_f64 v[76:77], v[212:213], v[220:221], -v[76:77]
	v_mul_f64 v[212:213], v[212:213], v[78:79]
	v_add_f64 v[0:1], v[0:1], -v[76:77]
	s_delay_alu instid0(VALU_DEP_2) | instskip(SKIP_1) | instid1(VALU_DEP_2)
	v_fma_f64 v[212:213], v[214:215], v[220:221], v[212:213]
	v_dual_mov_b32 v76, v220 :: v_dual_mov_b32 v77, v221
	v_add_f64 v[2:3], v[2:3], -v[212:213]
.LBB104_713:
	s_or_b32 exec_lo, exec_lo, s2
	v_lshl_add_u32 v212, v228, 4, v222
	s_barrier
	buffer_gl0_inv
	v_mov_b32_e32 v220, 34
	ds_store_2addr_b64 v212, v[72:73], v[74:75] offset1:1
	s_waitcnt lgkmcnt(0)
	s_barrier
	buffer_gl0_inv
	ds_load_2addr_b64 v[212:215], v222 offset0:68 offset1:69
	s_cmp_lt_i32 s5, 36
	s_cbranch_scc1 .LBB104_716
; %bb.714:
	v_add3_u32 v221, v226, 0, 0x230
	v_mov_b32_e32 v220, 34
	s_mov_b32 s6, 35
	s_set_inst_prefetch_distance 0x1
	.p2align	6
.LBB104_715:                            ; =>This Inner Loop Header: Depth=1
	ds_load_2addr_b64 v[229:232], v221 offset1:1
	s_waitcnt lgkmcnt(1)
	v_cmp_gt_f64_e32 vcc_lo, 0, v[212:213]
	v_xor_b32_e32 v233, 0x80000000, v213
	v_cmp_gt_f64_e64 s2, 0, v[214:215]
	v_xor_b32_e32 v235, 0x80000000, v215
	v_add_nc_u32_e32 v221, 16, v221
	s_waitcnt lgkmcnt(0)
	v_cmp_gt_f64_e64 s3, 0, v[229:230]
	v_mov_b32_e32 v237, v229
	v_dual_mov_b32 v239, v231 :: v_dual_cndmask_b32 v234, v213, v233
	v_xor_b32_e32 v233, 0x80000000, v230
	v_cndmask_b32_e64 v236, v215, v235, s2
	v_xor_b32_e32 v235, 0x80000000, v232
	s_delay_alu instid0(VALU_DEP_3) | instskip(SKIP_2) | instid1(VALU_DEP_2)
	v_cndmask_b32_e64 v238, v230, v233, s3
	v_cmp_gt_f64_e64 s3, 0, v[231:232]
	v_cndmask_b32_e32 v233, v212, v212, vcc_lo
	v_cndmask_b32_e64 v240, v232, v235, s3
	v_cndmask_b32_e64 v235, v214, v214, s2
	s_delay_alu instid0(VALU_DEP_2) | instskip(NEXT) | instid1(VALU_DEP_2)
	v_add_f64 v[237:238], v[237:238], v[239:240]
	v_add_f64 v[233:234], v[233:234], v[235:236]
	s_delay_alu instid0(VALU_DEP_1) | instskip(SKIP_4) | instid1(SALU_CYCLE_1)
	v_cmp_lt_f64_e32 vcc_lo, v[233:234], v[237:238]
	v_dual_cndmask_b32 v214, v214, v231 :: v_dual_cndmask_b32 v213, v213, v230
	v_dual_cndmask_b32 v212, v212, v229 :: v_dual_cndmask_b32 v215, v215, v232
	v_cndmask_b32_e64 v220, v220, s6, vcc_lo
	s_add_i32 s6, s6, 1
	s_cmp_lg_u32 s5, s6
	s_cbranch_scc1 .LBB104_715
.LBB104_716:
	s_set_inst_prefetch_distance 0x2
	s_waitcnt lgkmcnt(0)
	v_cmp_eq_f64_e32 vcc_lo, 0, v[212:213]
	v_cmp_eq_f64_e64 s2, 0, v[214:215]
	s_delay_alu instid0(VALU_DEP_1) | instskip(NEXT) | instid1(SALU_CYCLE_1)
	s_and_b32 s2, vcc_lo, s2
	s_and_saveexec_b32 s3, s2
	s_delay_alu instid0(SALU_CYCLE_1)
	s_xor_b32 s2, exec_lo, s3
; %bb.717:
	v_cmp_ne_u32_e32 vcc_lo, 0, v225
	v_cndmask_b32_e32 v225, 35, v225, vcc_lo
; %bb.718:
	s_and_not1_saveexec_b32 s3, s2
	s_cbranch_execz .LBB104_724
; %bb.719:
	v_cmp_gt_f64_e32 vcc_lo, 0, v[212:213]
	v_cmp_gt_f64_e64 s2, 0, v[214:215]
	v_xor_b32_e32 v221, 0x80000000, v213
	v_xor_b32_e32 v229, 0x80000000, v215
	s_delay_alu instid0(VALU_DEP_2) | instskip(NEXT) | instid1(VALU_DEP_2)
	v_cndmask_b32_e32 v230, v213, v221, vcc_lo
	v_cndmask_b32_e64 v232, v215, v229, s2
	v_cndmask_b32_e32 v229, v212, v212, vcc_lo
	v_cndmask_b32_e64 v231, v214, v214, s2
	s_mov_b32 s2, exec_lo
	s_delay_alu instid0(VALU_DEP_1)
	v_cmpx_ngt_f64_e32 v[229:230], v[231:232]
	s_xor_b32 s2, exec_lo, s2
	s_cbranch_execz .LBB104_721
; %bb.720:
	v_div_scale_f64 v[229:230], null, v[214:215], v[214:215], v[212:213]
	v_div_scale_f64 v[235:236], vcc_lo, v[212:213], v[214:215], v[212:213]
	s_delay_alu instid0(VALU_DEP_2) | instskip(SKIP_2) | instid1(VALU_DEP_1)
	v_rcp_f64_e32 v[231:232], v[229:230]
	s_waitcnt_depctr 0xfff
	v_fma_f64 v[233:234], -v[229:230], v[231:232], 1.0
	v_fma_f64 v[231:232], v[231:232], v[233:234], v[231:232]
	s_delay_alu instid0(VALU_DEP_1) | instskip(NEXT) | instid1(VALU_DEP_1)
	v_fma_f64 v[233:234], -v[229:230], v[231:232], 1.0
	v_fma_f64 v[231:232], v[231:232], v[233:234], v[231:232]
	s_delay_alu instid0(VALU_DEP_1) | instskip(NEXT) | instid1(VALU_DEP_1)
	v_mul_f64 v[233:234], v[235:236], v[231:232]
	v_fma_f64 v[229:230], -v[229:230], v[233:234], v[235:236]
	s_delay_alu instid0(VALU_DEP_1) | instskip(NEXT) | instid1(VALU_DEP_1)
	v_div_fmas_f64 v[229:230], v[229:230], v[231:232], v[233:234]
	v_div_fixup_f64 v[229:230], v[229:230], v[214:215], v[212:213]
	s_delay_alu instid0(VALU_DEP_1) | instskip(NEXT) | instid1(VALU_DEP_1)
	v_fma_f64 v[212:213], v[212:213], v[229:230], v[214:215]
	v_div_scale_f64 v[214:215], null, v[212:213], v[212:213], 1.0
	s_delay_alu instid0(VALU_DEP_1) | instskip(SKIP_2) | instid1(VALU_DEP_1)
	v_rcp_f64_e32 v[231:232], v[214:215]
	s_waitcnt_depctr 0xfff
	v_fma_f64 v[233:234], -v[214:215], v[231:232], 1.0
	v_fma_f64 v[231:232], v[231:232], v[233:234], v[231:232]
	s_delay_alu instid0(VALU_DEP_1) | instskip(NEXT) | instid1(VALU_DEP_1)
	v_fma_f64 v[233:234], -v[214:215], v[231:232], 1.0
	v_fma_f64 v[231:232], v[231:232], v[233:234], v[231:232]
	v_div_scale_f64 v[233:234], vcc_lo, 1.0, v[212:213], 1.0
	s_delay_alu instid0(VALU_DEP_1) | instskip(NEXT) | instid1(VALU_DEP_1)
	v_mul_f64 v[235:236], v[233:234], v[231:232]
	v_fma_f64 v[214:215], -v[214:215], v[235:236], v[233:234]
	s_delay_alu instid0(VALU_DEP_1) | instskip(NEXT) | instid1(VALU_DEP_1)
	v_div_fmas_f64 v[214:215], v[214:215], v[231:232], v[235:236]
	v_div_fixup_f64 v[214:215], v[214:215], v[212:213], 1.0
	s_delay_alu instid0(VALU_DEP_1)
	v_mul_f64 v[212:213], v[229:230], v[214:215]
	v_xor_b32_e32 v215, 0x80000000, v215
.LBB104_721:
	s_and_not1_saveexec_b32 s2, s2
	s_cbranch_execz .LBB104_723
; %bb.722:
	s_delay_alu instid0(VALU_DEP_1) | instskip(SKIP_1) | instid1(VALU_DEP_2)
	v_div_scale_f64 v[229:230], null, v[212:213], v[212:213], v[214:215]
	v_div_scale_f64 v[235:236], vcc_lo, v[214:215], v[212:213], v[214:215]
	v_rcp_f64_e32 v[231:232], v[229:230]
	s_waitcnt_depctr 0xfff
	v_fma_f64 v[233:234], -v[229:230], v[231:232], 1.0
	s_delay_alu instid0(VALU_DEP_1) | instskip(NEXT) | instid1(VALU_DEP_1)
	v_fma_f64 v[231:232], v[231:232], v[233:234], v[231:232]
	v_fma_f64 v[233:234], -v[229:230], v[231:232], 1.0
	s_delay_alu instid0(VALU_DEP_1) | instskip(NEXT) | instid1(VALU_DEP_1)
	v_fma_f64 v[231:232], v[231:232], v[233:234], v[231:232]
	v_mul_f64 v[233:234], v[235:236], v[231:232]
	s_delay_alu instid0(VALU_DEP_1) | instskip(NEXT) | instid1(VALU_DEP_1)
	v_fma_f64 v[229:230], -v[229:230], v[233:234], v[235:236]
	v_div_fmas_f64 v[229:230], v[229:230], v[231:232], v[233:234]
	s_delay_alu instid0(VALU_DEP_1) | instskip(NEXT) | instid1(VALU_DEP_1)
	v_div_fixup_f64 v[229:230], v[229:230], v[212:213], v[214:215]
	v_fma_f64 v[212:213], v[214:215], v[229:230], v[212:213]
	s_delay_alu instid0(VALU_DEP_1) | instskip(NEXT) | instid1(VALU_DEP_1)
	v_div_scale_f64 v[214:215], null, v[212:213], v[212:213], 1.0
	v_rcp_f64_e32 v[231:232], v[214:215]
	s_waitcnt_depctr 0xfff
	v_fma_f64 v[233:234], -v[214:215], v[231:232], 1.0
	s_delay_alu instid0(VALU_DEP_1) | instskip(NEXT) | instid1(VALU_DEP_1)
	v_fma_f64 v[231:232], v[231:232], v[233:234], v[231:232]
	v_fma_f64 v[233:234], -v[214:215], v[231:232], 1.0
	s_delay_alu instid0(VALU_DEP_1) | instskip(SKIP_1) | instid1(VALU_DEP_1)
	v_fma_f64 v[231:232], v[231:232], v[233:234], v[231:232]
	v_div_scale_f64 v[233:234], vcc_lo, 1.0, v[212:213], 1.0
	v_mul_f64 v[235:236], v[233:234], v[231:232]
	s_delay_alu instid0(VALU_DEP_1) | instskip(NEXT) | instid1(VALU_DEP_1)
	v_fma_f64 v[214:215], -v[214:215], v[235:236], v[233:234]
	v_div_fmas_f64 v[214:215], v[214:215], v[231:232], v[235:236]
	s_delay_alu instid0(VALU_DEP_1) | instskip(NEXT) | instid1(VALU_DEP_1)
	v_div_fixup_f64 v[212:213], v[214:215], v[212:213], 1.0
	v_mul_f64 v[214:215], v[229:230], -v[212:213]
.LBB104_723:
	s_or_b32 exec_lo, exec_lo, s2
.LBB104_724:
	s_delay_alu instid0(SALU_CYCLE_1) | instskip(NEXT) | instid1(SALU_CYCLE_1)
	s_or_b32 exec_lo, exec_lo, s3
	s_mov_b32 s2, exec_lo
	v_cmpx_ne_u32_e64 v228, v220
	s_xor_b32 s2, exec_lo, s2
	s_cbranch_execz .LBB104_730
; %bb.725:
	s_mov_b32 s3, exec_lo
	v_cmpx_eq_u32_e32 34, v228
	s_cbranch_execz .LBB104_729
; %bb.726:
	v_cmp_ne_u32_e32 vcc_lo, 34, v220
	s_xor_b32 s6, s4, -1
	s_delay_alu instid0(SALU_CYCLE_1) | instskip(NEXT) | instid1(SALU_CYCLE_1)
	s_and_b32 s7, s6, vcc_lo
	s_and_saveexec_b32 s6, s7
	s_cbranch_execz .LBB104_728
; %bb.727:
	v_ashrrev_i32_e32 v221, 31, v220
	s_delay_alu instid0(VALU_DEP_1) | instskip(NEXT) | instid1(VALU_DEP_1)
	v_lshlrev_b64 v[227:228], 2, v[220:221]
	v_add_co_u32 v227, vcc_lo, v218, v227
	s_delay_alu instid0(VALU_DEP_2)
	v_add_co_ci_u32_e32 v228, vcc_lo, v219, v228, vcc_lo
	s_clause 0x1
	flat_load_b32 v221, v[227:228]
	flat_load_b32 v229, v[218:219] offset:136
	s_waitcnt vmcnt(1) lgkmcnt(1)
	flat_store_b32 v[218:219], v221 offset:136
	s_waitcnt vmcnt(0) lgkmcnt(1)
	flat_store_b32 v[227:228], v229
.LBB104_728:
	s_or_b32 exec_lo, exec_lo, s6
	v_mov_b32_e32 v228, v220
	v_mov_b32_e32 v227, v220
.LBB104_729:
	s_or_b32 exec_lo, exec_lo, s3
.LBB104_730:
	s_and_not1_saveexec_b32 s2, s2
	s_cbranch_execz .LBB104_732
; %bb.731:
	v_mov_b32_e32 v228, 34
	ds_store_2addr_b64 v222, v[68:69], v[70:71] offset0:70 offset1:71
	ds_store_2addr_b64 v222, v[64:65], v[66:67] offset0:72 offset1:73
	;; [unrolled: 1-line block ×18, first 2 shown]
.LBB104_732:
	s_or_b32 exec_lo, exec_lo, s2
	s_delay_alu instid0(SALU_CYCLE_1)
	s_mov_b32 s2, exec_lo
	s_waitcnt lgkmcnt(0)
	s_waitcnt_vscnt null, 0x0
	s_barrier
	buffer_gl0_inv
	v_cmpx_lt_i32_e32 34, v228
	s_cbranch_execz .LBB104_734
; %bb.733:
	v_mul_f64 v[220:221], v[214:215], v[74:75]
	v_mul_f64 v[74:75], v[212:213], v[74:75]
	s_delay_alu instid0(VALU_DEP_2) | instskip(NEXT) | instid1(VALU_DEP_2)
	v_fma_f64 v[220:221], v[212:213], v[72:73], -v[220:221]
	v_fma_f64 v[74:75], v[214:215], v[72:73], v[74:75]
	ds_load_2addr_b64 v[212:215], v222 offset0:70 offset1:71
	s_waitcnt lgkmcnt(0)
	v_mul_f64 v[72:73], v[214:215], v[74:75]
	s_delay_alu instid0(VALU_DEP_1) | instskip(SKIP_1) | instid1(VALU_DEP_2)
	v_fma_f64 v[72:73], v[212:213], v[220:221], -v[72:73]
	v_mul_f64 v[212:213], v[212:213], v[74:75]
	v_add_f64 v[68:69], v[68:69], -v[72:73]
	s_delay_alu instid0(VALU_DEP_2) | instskip(NEXT) | instid1(VALU_DEP_1)
	v_fma_f64 v[212:213], v[214:215], v[220:221], v[212:213]
	v_add_f64 v[70:71], v[70:71], -v[212:213]
	ds_load_2addr_b64 v[212:215], v222 offset0:72 offset1:73
	s_waitcnt lgkmcnt(0)
	v_mul_f64 v[72:73], v[214:215], v[74:75]
	s_delay_alu instid0(VALU_DEP_1) | instskip(SKIP_1) | instid1(VALU_DEP_2)
	v_fma_f64 v[72:73], v[212:213], v[220:221], -v[72:73]
	v_mul_f64 v[212:213], v[212:213], v[74:75]
	v_add_f64 v[64:65], v[64:65], -v[72:73]
	s_delay_alu instid0(VALU_DEP_2) | instskip(NEXT) | instid1(VALU_DEP_1)
	v_fma_f64 v[212:213], v[214:215], v[220:221], v[212:213]
	v_add_f64 v[66:67], v[66:67], -v[212:213]
	;; [unrolled: 10-line block ×17, first 2 shown]
	ds_load_2addr_b64 v[212:215], v222 offset0:104 offset1:105
	s_waitcnt lgkmcnt(0)
	v_mul_f64 v[72:73], v[214:215], v[74:75]
	s_delay_alu instid0(VALU_DEP_1) | instskip(SKIP_1) | instid1(VALU_DEP_2)
	v_fma_f64 v[72:73], v[212:213], v[220:221], -v[72:73]
	v_mul_f64 v[212:213], v[212:213], v[74:75]
	v_add_f64 v[0:1], v[0:1], -v[72:73]
	s_delay_alu instid0(VALU_DEP_2) | instskip(SKIP_1) | instid1(VALU_DEP_2)
	v_fma_f64 v[212:213], v[214:215], v[220:221], v[212:213]
	v_dual_mov_b32 v72, v220 :: v_dual_mov_b32 v73, v221
	v_add_f64 v[2:3], v[2:3], -v[212:213]
.LBB104_734:
	s_or_b32 exec_lo, exec_lo, s2
	v_lshl_add_u32 v212, v228, 4, v222
	s_barrier
	buffer_gl0_inv
	v_mov_b32_e32 v220, 35
	ds_store_2addr_b64 v212, v[68:69], v[70:71] offset1:1
	s_waitcnt lgkmcnt(0)
	s_barrier
	buffer_gl0_inv
	ds_load_2addr_b64 v[212:215], v222 offset0:70 offset1:71
	s_cmp_lt_i32 s5, 37
	s_cbranch_scc1 .LBB104_737
; %bb.735:
	v_add3_u32 v221, v226, 0, 0x240
	v_mov_b32_e32 v220, 35
	s_mov_b32 s6, 36
	s_set_inst_prefetch_distance 0x1
	.p2align	6
.LBB104_736:                            ; =>This Inner Loop Header: Depth=1
	ds_load_2addr_b64 v[229:232], v221 offset1:1
	s_waitcnt lgkmcnt(1)
	v_cmp_gt_f64_e32 vcc_lo, 0, v[212:213]
	v_xor_b32_e32 v233, 0x80000000, v213
	v_cmp_gt_f64_e64 s2, 0, v[214:215]
	v_xor_b32_e32 v235, 0x80000000, v215
	v_add_nc_u32_e32 v221, 16, v221
	s_waitcnt lgkmcnt(0)
	v_cmp_gt_f64_e64 s3, 0, v[229:230]
	v_mov_b32_e32 v237, v229
	v_dual_mov_b32 v239, v231 :: v_dual_cndmask_b32 v234, v213, v233
	v_xor_b32_e32 v233, 0x80000000, v230
	v_cndmask_b32_e64 v236, v215, v235, s2
	v_xor_b32_e32 v235, 0x80000000, v232
	s_delay_alu instid0(VALU_DEP_3) | instskip(SKIP_2) | instid1(VALU_DEP_2)
	v_cndmask_b32_e64 v238, v230, v233, s3
	v_cmp_gt_f64_e64 s3, 0, v[231:232]
	v_cndmask_b32_e32 v233, v212, v212, vcc_lo
	v_cndmask_b32_e64 v240, v232, v235, s3
	v_cndmask_b32_e64 v235, v214, v214, s2
	s_delay_alu instid0(VALU_DEP_2) | instskip(NEXT) | instid1(VALU_DEP_2)
	v_add_f64 v[237:238], v[237:238], v[239:240]
	v_add_f64 v[233:234], v[233:234], v[235:236]
	s_delay_alu instid0(VALU_DEP_1) | instskip(SKIP_4) | instid1(SALU_CYCLE_1)
	v_cmp_lt_f64_e32 vcc_lo, v[233:234], v[237:238]
	v_dual_cndmask_b32 v214, v214, v231 :: v_dual_cndmask_b32 v213, v213, v230
	v_dual_cndmask_b32 v212, v212, v229 :: v_dual_cndmask_b32 v215, v215, v232
	v_cndmask_b32_e64 v220, v220, s6, vcc_lo
	s_add_i32 s6, s6, 1
	s_cmp_lg_u32 s5, s6
	s_cbranch_scc1 .LBB104_736
.LBB104_737:
	s_set_inst_prefetch_distance 0x2
	s_waitcnt lgkmcnt(0)
	v_cmp_eq_f64_e32 vcc_lo, 0, v[212:213]
	v_cmp_eq_f64_e64 s2, 0, v[214:215]
	s_delay_alu instid0(VALU_DEP_1) | instskip(NEXT) | instid1(SALU_CYCLE_1)
	s_and_b32 s2, vcc_lo, s2
	s_and_saveexec_b32 s3, s2
	s_delay_alu instid0(SALU_CYCLE_1)
	s_xor_b32 s2, exec_lo, s3
; %bb.738:
	v_cmp_ne_u32_e32 vcc_lo, 0, v225
	v_cndmask_b32_e32 v225, 36, v225, vcc_lo
; %bb.739:
	s_and_not1_saveexec_b32 s3, s2
	s_cbranch_execz .LBB104_745
; %bb.740:
	v_cmp_gt_f64_e32 vcc_lo, 0, v[212:213]
	v_cmp_gt_f64_e64 s2, 0, v[214:215]
	v_xor_b32_e32 v221, 0x80000000, v213
	v_xor_b32_e32 v229, 0x80000000, v215
	s_delay_alu instid0(VALU_DEP_2) | instskip(NEXT) | instid1(VALU_DEP_2)
	v_cndmask_b32_e32 v230, v213, v221, vcc_lo
	v_cndmask_b32_e64 v232, v215, v229, s2
	v_cndmask_b32_e32 v229, v212, v212, vcc_lo
	v_cndmask_b32_e64 v231, v214, v214, s2
	s_mov_b32 s2, exec_lo
	s_delay_alu instid0(VALU_DEP_1)
	v_cmpx_ngt_f64_e32 v[229:230], v[231:232]
	s_xor_b32 s2, exec_lo, s2
	s_cbranch_execz .LBB104_742
; %bb.741:
	v_div_scale_f64 v[229:230], null, v[214:215], v[214:215], v[212:213]
	v_div_scale_f64 v[235:236], vcc_lo, v[212:213], v[214:215], v[212:213]
	s_delay_alu instid0(VALU_DEP_2) | instskip(SKIP_2) | instid1(VALU_DEP_1)
	v_rcp_f64_e32 v[231:232], v[229:230]
	s_waitcnt_depctr 0xfff
	v_fma_f64 v[233:234], -v[229:230], v[231:232], 1.0
	v_fma_f64 v[231:232], v[231:232], v[233:234], v[231:232]
	s_delay_alu instid0(VALU_DEP_1) | instskip(NEXT) | instid1(VALU_DEP_1)
	v_fma_f64 v[233:234], -v[229:230], v[231:232], 1.0
	v_fma_f64 v[231:232], v[231:232], v[233:234], v[231:232]
	s_delay_alu instid0(VALU_DEP_1) | instskip(NEXT) | instid1(VALU_DEP_1)
	v_mul_f64 v[233:234], v[235:236], v[231:232]
	v_fma_f64 v[229:230], -v[229:230], v[233:234], v[235:236]
	s_delay_alu instid0(VALU_DEP_1) | instskip(NEXT) | instid1(VALU_DEP_1)
	v_div_fmas_f64 v[229:230], v[229:230], v[231:232], v[233:234]
	v_div_fixup_f64 v[229:230], v[229:230], v[214:215], v[212:213]
	s_delay_alu instid0(VALU_DEP_1) | instskip(NEXT) | instid1(VALU_DEP_1)
	v_fma_f64 v[212:213], v[212:213], v[229:230], v[214:215]
	v_div_scale_f64 v[214:215], null, v[212:213], v[212:213], 1.0
	s_delay_alu instid0(VALU_DEP_1) | instskip(SKIP_2) | instid1(VALU_DEP_1)
	v_rcp_f64_e32 v[231:232], v[214:215]
	s_waitcnt_depctr 0xfff
	v_fma_f64 v[233:234], -v[214:215], v[231:232], 1.0
	v_fma_f64 v[231:232], v[231:232], v[233:234], v[231:232]
	s_delay_alu instid0(VALU_DEP_1) | instskip(NEXT) | instid1(VALU_DEP_1)
	v_fma_f64 v[233:234], -v[214:215], v[231:232], 1.0
	v_fma_f64 v[231:232], v[231:232], v[233:234], v[231:232]
	v_div_scale_f64 v[233:234], vcc_lo, 1.0, v[212:213], 1.0
	s_delay_alu instid0(VALU_DEP_1) | instskip(NEXT) | instid1(VALU_DEP_1)
	v_mul_f64 v[235:236], v[233:234], v[231:232]
	v_fma_f64 v[214:215], -v[214:215], v[235:236], v[233:234]
	s_delay_alu instid0(VALU_DEP_1) | instskip(NEXT) | instid1(VALU_DEP_1)
	v_div_fmas_f64 v[214:215], v[214:215], v[231:232], v[235:236]
	v_div_fixup_f64 v[214:215], v[214:215], v[212:213], 1.0
	s_delay_alu instid0(VALU_DEP_1)
	v_mul_f64 v[212:213], v[229:230], v[214:215]
	v_xor_b32_e32 v215, 0x80000000, v215
.LBB104_742:
	s_and_not1_saveexec_b32 s2, s2
	s_cbranch_execz .LBB104_744
; %bb.743:
	s_delay_alu instid0(VALU_DEP_1) | instskip(SKIP_1) | instid1(VALU_DEP_2)
	v_div_scale_f64 v[229:230], null, v[212:213], v[212:213], v[214:215]
	v_div_scale_f64 v[235:236], vcc_lo, v[214:215], v[212:213], v[214:215]
	v_rcp_f64_e32 v[231:232], v[229:230]
	s_waitcnt_depctr 0xfff
	v_fma_f64 v[233:234], -v[229:230], v[231:232], 1.0
	s_delay_alu instid0(VALU_DEP_1) | instskip(NEXT) | instid1(VALU_DEP_1)
	v_fma_f64 v[231:232], v[231:232], v[233:234], v[231:232]
	v_fma_f64 v[233:234], -v[229:230], v[231:232], 1.0
	s_delay_alu instid0(VALU_DEP_1) | instskip(NEXT) | instid1(VALU_DEP_1)
	v_fma_f64 v[231:232], v[231:232], v[233:234], v[231:232]
	v_mul_f64 v[233:234], v[235:236], v[231:232]
	s_delay_alu instid0(VALU_DEP_1) | instskip(NEXT) | instid1(VALU_DEP_1)
	v_fma_f64 v[229:230], -v[229:230], v[233:234], v[235:236]
	v_div_fmas_f64 v[229:230], v[229:230], v[231:232], v[233:234]
	s_delay_alu instid0(VALU_DEP_1) | instskip(NEXT) | instid1(VALU_DEP_1)
	v_div_fixup_f64 v[229:230], v[229:230], v[212:213], v[214:215]
	v_fma_f64 v[212:213], v[214:215], v[229:230], v[212:213]
	s_delay_alu instid0(VALU_DEP_1) | instskip(NEXT) | instid1(VALU_DEP_1)
	v_div_scale_f64 v[214:215], null, v[212:213], v[212:213], 1.0
	v_rcp_f64_e32 v[231:232], v[214:215]
	s_waitcnt_depctr 0xfff
	v_fma_f64 v[233:234], -v[214:215], v[231:232], 1.0
	s_delay_alu instid0(VALU_DEP_1) | instskip(NEXT) | instid1(VALU_DEP_1)
	v_fma_f64 v[231:232], v[231:232], v[233:234], v[231:232]
	v_fma_f64 v[233:234], -v[214:215], v[231:232], 1.0
	s_delay_alu instid0(VALU_DEP_1) | instskip(SKIP_1) | instid1(VALU_DEP_1)
	v_fma_f64 v[231:232], v[231:232], v[233:234], v[231:232]
	v_div_scale_f64 v[233:234], vcc_lo, 1.0, v[212:213], 1.0
	v_mul_f64 v[235:236], v[233:234], v[231:232]
	s_delay_alu instid0(VALU_DEP_1) | instskip(NEXT) | instid1(VALU_DEP_1)
	v_fma_f64 v[214:215], -v[214:215], v[235:236], v[233:234]
	v_div_fmas_f64 v[214:215], v[214:215], v[231:232], v[235:236]
	s_delay_alu instid0(VALU_DEP_1) | instskip(NEXT) | instid1(VALU_DEP_1)
	v_div_fixup_f64 v[212:213], v[214:215], v[212:213], 1.0
	v_mul_f64 v[214:215], v[229:230], -v[212:213]
.LBB104_744:
	s_or_b32 exec_lo, exec_lo, s2
.LBB104_745:
	s_delay_alu instid0(SALU_CYCLE_1) | instskip(NEXT) | instid1(SALU_CYCLE_1)
	s_or_b32 exec_lo, exec_lo, s3
	s_mov_b32 s2, exec_lo
	v_cmpx_ne_u32_e64 v228, v220
	s_xor_b32 s2, exec_lo, s2
	s_cbranch_execz .LBB104_751
; %bb.746:
	s_mov_b32 s3, exec_lo
	v_cmpx_eq_u32_e32 35, v228
	s_cbranch_execz .LBB104_750
; %bb.747:
	v_cmp_ne_u32_e32 vcc_lo, 35, v220
	s_xor_b32 s6, s4, -1
	s_delay_alu instid0(SALU_CYCLE_1) | instskip(NEXT) | instid1(SALU_CYCLE_1)
	s_and_b32 s7, s6, vcc_lo
	s_and_saveexec_b32 s6, s7
	s_cbranch_execz .LBB104_749
; %bb.748:
	v_ashrrev_i32_e32 v221, 31, v220
	s_delay_alu instid0(VALU_DEP_1) | instskip(NEXT) | instid1(VALU_DEP_1)
	v_lshlrev_b64 v[227:228], 2, v[220:221]
	v_add_co_u32 v227, vcc_lo, v218, v227
	s_delay_alu instid0(VALU_DEP_2)
	v_add_co_ci_u32_e32 v228, vcc_lo, v219, v228, vcc_lo
	s_clause 0x1
	flat_load_b32 v221, v[227:228]
	flat_load_b32 v229, v[218:219] offset:140
	s_waitcnt vmcnt(1) lgkmcnt(1)
	flat_store_b32 v[218:219], v221 offset:140
	s_waitcnt vmcnt(0) lgkmcnt(1)
	flat_store_b32 v[227:228], v229
.LBB104_749:
	s_or_b32 exec_lo, exec_lo, s6
	v_mov_b32_e32 v228, v220
	v_mov_b32_e32 v227, v220
.LBB104_750:
	s_or_b32 exec_lo, exec_lo, s3
.LBB104_751:
	s_and_not1_saveexec_b32 s2, s2
	s_cbranch_execz .LBB104_753
; %bb.752:
	v_mov_b32_e32 v228, 35
	ds_store_2addr_b64 v222, v[64:65], v[66:67] offset0:72 offset1:73
	ds_store_2addr_b64 v222, v[60:61], v[62:63] offset0:74 offset1:75
	;; [unrolled: 1-line block ×17, first 2 shown]
.LBB104_753:
	s_or_b32 exec_lo, exec_lo, s2
	s_delay_alu instid0(SALU_CYCLE_1)
	s_mov_b32 s2, exec_lo
	s_waitcnt lgkmcnt(0)
	s_waitcnt_vscnt null, 0x0
	s_barrier
	buffer_gl0_inv
	v_cmpx_lt_i32_e32 35, v228
	s_cbranch_execz .LBB104_755
; %bb.754:
	v_mul_f64 v[220:221], v[214:215], v[70:71]
	v_mul_f64 v[70:71], v[212:213], v[70:71]
	s_delay_alu instid0(VALU_DEP_2) | instskip(NEXT) | instid1(VALU_DEP_2)
	v_fma_f64 v[220:221], v[212:213], v[68:69], -v[220:221]
	v_fma_f64 v[70:71], v[214:215], v[68:69], v[70:71]
	ds_load_2addr_b64 v[212:215], v222 offset0:72 offset1:73
	s_waitcnt lgkmcnt(0)
	v_mul_f64 v[68:69], v[214:215], v[70:71]
	s_delay_alu instid0(VALU_DEP_1) | instskip(SKIP_1) | instid1(VALU_DEP_2)
	v_fma_f64 v[68:69], v[212:213], v[220:221], -v[68:69]
	v_mul_f64 v[212:213], v[212:213], v[70:71]
	v_add_f64 v[64:65], v[64:65], -v[68:69]
	s_delay_alu instid0(VALU_DEP_2) | instskip(NEXT) | instid1(VALU_DEP_1)
	v_fma_f64 v[212:213], v[214:215], v[220:221], v[212:213]
	v_add_f64 v[66:67], v[66:67], -v[212:213]
	ds_load_2addr_b64 v[212:215], v222 offset0:74 offset1:75
	s_waitcnt lgkmcnt(0)
	v_mul_f64 v[68:69], v[214:215], v[70:71]
	s_delay_alu instid0(VALU_DEP_1) | instskip(SKIP_1) | instid1(VALU_DEP_2)
	v_fma_f64 v[68:69], v[212:213], v[220:221], -v[68:69]
	v_mul_f64 v[212:213], v[212:213], v[70:71]
	v_add_f64 v[60:61], v[60:61], -v[68:69]
	s_delay_alu instid0(VALU_DEP_2) | instskip(NEXT) | instid1(VALU_DEP_1)
	v_fma_f64 v[212:213], v[214:215], v[220:221], v[212:213]
	v_add_f64 v[62:63], v[62:63], -v[212:213]
	;; [unrolled: 10-line block ×16, first 2 shown]
	ds_load_2addr_b64 v[212:215], v222 offset0:104 offset1:105
	s_waitcnt lgkmcnt(0)
	v_mul_f64 v[68:69], v[214:215], v[70:71]
	s_delay_alu instid0(VALU_DEP_1) | instskip(SKIP_1) | instid1(VALU_DEP_2)
	v_fma_f64 v[68:69], v[212:213], v[220:221], -v[68:69]
	v_mul_f64 v[212:213], v[212:213], v[70:71]
	v_add_f64 v[0:1], v[0:1], -v[68:69]
	s_delay_alu instid0(VALU_DEP_2) | instskip(SKIP_1) | instid1(VALU_DEP_2)
	v_fma_f64 v[212:213], v[214:215], v[220:221], v[212:213]
	v_dual_mov_b32 v68, v220 :: v_dual_mov_b32 v69, v221
	v_add_f64 v[2:3], v[2:3], -v[212:213]
.LBB104_755:
	s_or_b32 exec_lo, exec_lo, s2
	v_lshl_add_u32 v212, v228, 4, v222
	s_barrier
	buffer_gl0_inv
	v_mov_b32_e32 v220, 36
	ds_store_2addr_b64 v212, v[64:65], v[66:67] offset1:1
	s_waitcnt lgkmcnt(0)
	s_barrier
	buffer_gl0_inv
	ds_load_2addr_b64 v[212:215], v222 offset0:72 offset1:73
	s_cmp_lt_i32 s5, 38
	s_cbranch_scc1 .LBB104_758
; %bb.756:
	v_add3_u32 v221, v226, 0, 0x250
	v_mov_b32_e32 v220, 36
	s_mov_b32 s6, 37
	s_set_inst_prefetch_distance 0x1
	.p2align	6
.LBB104_757:                            ; =>This Inner Loop Header: Depth=1
	ds_load_2addr_b64 v[229:232], v221 offset1:1
	s_waitcnt lgkmcnt(1)
	v_cmp_gt_f64_e32 vcc_lo, 0, v[212:213]
	v_xor_b32_e32 v233, 0x80000000, v213
	v_cmp_gt_f64_e64 s2, 0, v[214:215]
	v_xor_b32_e32 v235, 0x80000000, v215
	v_add_nc_u32_e32 v221, 16, v221
	s_waitcnt lgkmcnt(0)
	v_cmp_gt_f64_e64 s3, 0, v[229:230]
	v_mov_b32_e32 v237, v229
	v_dual_mov_b32 v239, v231 :: v_dual_cndmask_b32 v234, v213, v233
	v_xor_b32_e32 v233, 0x80000000, v230
	v_cndmask_b32_e64 v236, v215, v235, s2
	v_xor_b32_e32 v235, 0x80000000, v232
	s_delay_alu instid0(VALU_DEP_3) | instskip(SKIP_2) | instid1(VALU_DEP_2)
	v_cndmask_b32_e64 v238, v230, v233, s3
	v_cmp_gt_f64_e64 s3, 0, v[231:232]
	v_cndmask_b32_e32 v233, v212, v212, vcc_lo
	v_cndmask_b32_e64 v240, v232, v235, s3
	v_cndmask_b32_e64 v235, v214, v214, s2
	s_delay_alu instid0(VALU_DEP_2) | instskip(NEXT) | instid1(VALU_DEP_2)
	v_add_f64 v[237:238], v[237:238], v[239:240]
	v_add_f64 v[233:234], v[233:234], v[235:236]
	s_delay_alu instid0(VALU_DEP_1) | instskip(SKIP_4) | instid1(SALU_CYCLE_1)
	v_cmp_lt_f64_e32 vcc_lo, v[233:234], v[237:238]
	v_dual_cndmask_b32 v214, v214, v231 :: v_dual_cndmask_b32 v213, v213, v230
	v_dual_cndmask_b32 v212, v212, v229 :: v_dual_cndmask_b32 v215, v215, v232
	v_cndmask_b32_e64 v220, v220, s6, vcc_lo
	s_add_i32 s6, s6, 1
	s_cmp_lg_u32 s5, s6
	s_cbranch_scc1 .LBB104_757
.LBB104_758:
	s_set_inst_prefetch_distance 0x2
	s_waitcnt lgkmcnt(0)
	v_cmp_eq_f64_e32 vcc_lo, 0, v[212:213]
	v_cmp_eq_f64_e64 s2, 0, v[214:215]
	s_delay_alu instid0(VALU_DEP_1) | instskip(NEXT) | instid1(SALU_CYCLE_1)
	s_and_b32 s2, vcc_lo, s2
	s_and_saveexec_b32 s3, s2
	s_delay_alu instid0(SALU_CYCLE_1)
	s_xor_b32 s2, exec_lo, s3
; %bb.759:
	v_cmp_ne_u32_e32 vcc_lo, 0, v225
	v_cndmask_b32_e32 v225, 37, v225, vcc_lo
; %bb.760:
	s_and_not1_saveexec_b32 s3, s2
	s_cbranch_execz .LBB104_766
; %bb.761:
	v_cmp_gt_f64_e32 vcc_lo, 0, v[212:213]
	v_cmp_gt_f64_e64 s2, 0, v[214:215]
	v_xor_b32_e32 v221, 0x80000000, v213
	v_xor_b32_e32 v229, 0x80000000, v215
	s_delay_alu instid0(VALU_DEP_2) | instskip(NEXT) | instid1(VALU_DEP_2)
	v_cndmask_b32_e32 v230, v213, v221, vcc_lo
	v_cndmask_b32_e64 v232, v215, v229, s2
	v_cndmask_b32_e32 v229, v212, v212, vcc_lo
	v_cndmask_b32_e64 v231, v214, v214, s2
	s_mov_b32 s2, exec_lo
	s_delay_alu instid0(VALU_DEP_1)
	v_cmpx_ngt_f64_e32 v[229:230], v[231:232]
	s_xor_b32 s2, exec_lo, s2
	s_cbranch_execz .LBB104_763
; %bb.762:
	v_div_scale_f64 v[229:230], null, v[214:215], v[214:215], v[212:213]
	v_div_scale_f64 v[235:236], vcc_lo, v[212:213], v[214:215], v[212:213]
	s_delay_alu instid0(VALU_DEP_2) | instskip(SKIP_2) | instid1(VALU_DEP_1)
	v_rcp_f64_e32 v[231:232], v[229:230]
	s_waitcnt_depctr 0xfff
	v_fma_f64 v[233:234], -v[229:230], v[231:232], 1.0
	v_fma_f64 v[231:232], v[231:232], v[233:234], v[231:232]
	s_delay_alu instid0(VALU_DEP_1) | instskip(NEXT) | instid1(VALU_DEP_1)
	v_fma_f64 v[233:234], -v[229:230], v[231:232], 1.0
	v_fma_f64 v[231:232], v[231:232], v[233:234], v[231:232]
	s_delay_alu instid0(VALU_DEP_1) | instskip(NEXT) | instid1(VALU_DEP_1)
	v_mul_f64 v[233:234], v[235:236], v[231:232]
	v_fma_f64 v[229:230], -v[229:230], v[233:234], v[235:236]
	s_delay_alu instid0(VALU_DEP_1) | instskip(NEXT) | instid1(VALU_DEP_1)
	v_div_fmas_f64 v[229:230], v[229:230], v[231:232], v[233:234]
	v_div_fixup_f64 v[229:230], v[229:230], v[214:215], v[212:213]
	s_delay_alu instid0(VALU_DEP_1) | instskip(NEXT) | instid1(VALU_DEP_1)
	v_fma_f64 v[212:213], v[212:213], v[229:230], v[214:215]
	v_div_scale_f64 v[214:215], null, v[212:213], v[212:213], 1.0
	s_delay_alu instid0(VALU_DEP_1) | instskip(SKIP_2) | instid1(VALU_DEP_1)
	v_rcp_f64_e32 v[231:232], v[214:215]
	s_waitcnt_depctr 0xfff
	v_fma_f64 v[233:234], -v[214:215], v[231:232], 1.0
	v_fma_f64 v[231:232], v[231:232], v[233:234], v[231:232]
	s_delay_alu instid0(VALU_DEP_1) | instskip(NEXT) | instid1(VALU_DEP_1)
	v_fma_f64 v[233:234], -v[214:215], v[231:232], 1.0
	v_fma_f64 v[231:232], v[231:232], v[233:234], v[231:232]
	v_div_scale_f64 v[233:234], vcc_lo, 1.0, v[212:213], 1.0
	s_delay_alu instid0(VALU_DEP_1) | instskip(NEXT) | instid1(VALU_DEP_1)
	v_mul_f64 v[235:236], v[233:234], v[231:232]
	v_fma_f64 v[214:215], -v[214:215], v[235:236], v[233:234]
	s_delay_alu instid0(VALU_DEP_1) | instskip(NEXT) | instid1(VALU_DEP_1)
	v_div_fmas_f64 v[214:215], v[214:215], v[231:232], v[235:236]
	v_div_fixup_f64 v[214:215], v[214:215], v[212:213], 1.0
	s_delay_alu instid0(VALU_DEP_1)
	v_mul_f64 v[212:213], v[229:230], v[214:215]
	v_xor_b32_e32 v215, 0x80000000, v215
.LBB104_763:
	s_and_not1_saveexec_b32 s2, s2
	s_cbranch_execz .LBB104_765
; %bb.764:
	s_delay_alu instid0(VALU_DEP_1) | instskip(SKIP_1) | instid1(VALU_DEP_2)
	v_div_scale_f64 v[229:230], null, v[212:213], v[212:213], v[214:215]
	v_div_scale_f64 v[235:236], vcc_lo, v[214:215], v[212:213], v[214:215]
	v_rcp_f64_e32 v[231:232], v[229:230]
	s_waitcnt_depctr 0xfff
	v_fma_f64 v[233:234], -v[229:230], v[231:232], 1.0
	s_delay_alu instid0(VALU_DEP_1) | instskip(NEXT) | instid1(VALU_DEP_1)
	v_fma_f64 v[231:232], v[231:232], v[233:234], v[231:232]
	v_fma_f64 v[233:234], -v[229:230], v[231:232], 1.0
	s_delay_alu instid0(VALU_DEP_1) | instskip(NEXT) | instid1(VALU_DEP_1)
	v_fma_f64 v[231:232], v[231:232], v[233:234], v[231:232]
	v_mul_f64 v[233:234], v[235:236], v[231:232]
	s_delay_alu instid0(VALU_DEP_1) | instskip(NEXT) | instid1(VALU_DEP_1)
	v_fma_f64 v[229:230], -v[229:230], v[233:234], v[235:236]
	v_div_fmas_f64 v[229:230], v[229:230], v[231:232], v[233:234]
	s_delay_alu instid0(VALU_DEP_1) | instskip(NEXT) | instid1(VALU_DEP_1)
	v_div_fixup_f64 v[229:230], v[229:230], v[212:213], v[214:215]
	v_fma_f64 v[212:213], v[214:215], v[229:230], v[212:213]
	s_delay_alu instid0(VALU_DEP_1) | instskip(NEXT) | instid1(VALU_DEP_1)
	v_div_scale_f64 v[214:215], null, v[212:213], v[212:213], 1.0
	v_rcp_f64_e32 v[231:232], v[214:215]
	s_waitcnt_depctr 0xfff
	v_fma_f64 v[233:234], -v[214:215], v[231:232], 1.0
	s_delay_alu instid0(VALU_DEP_1) | instskip(NEXT) | instid1(VALU_DEP_1)
	v_fma_f64 v[231:232], v[231:232], v[233:234], v[231:232]
	v_fma_f64 v[233:234], -v[214:215], v[231:232], 1.0
	s_delay_alu instid0(VALU_DEP_1) | instskip(SKIP_1) | instid1(VALU_DEP_1)
	v_fma_f64 v[231:232], v[231:232], v[233:234], v[231:232]
	v_div_scale_f64 v[233:234], vcc_lo, 1.0, v[212:213], 1.0
	v_mul_f64 v[235:236], v[233:234], v[231:232]
	s_delay_alu instid0(VALU_DEP_1) | instskip(NEXT) | instid1(VALU_DEP_1)
	v_fma_f64 v[214:215], -v[214:215], v[235:236], v[233:234]
	v_div_fmas_f64 v[214:215], v[214:215], v[231:232], v[235:236]
	s_delay_alu instid0(VALU_DEP_1) | instskip(NEXT) | instid1(VALU_DEP_1)
	v_div_fixup_f64 v[212:213], v[214:215], v[212:213], 1.0
	v_mul_f64 v[214:215], v[229:230], -v[212:213]
.LBB104_765:
	s_or_b32 exec_lo, exec_lo, s2
.LBB104_766:
	s_delay_alu instid0(SALU_CYCLE_1) | instskip(NEXT) | instid1(SALU_CYCLE_1)
	s_or_b32 exec_lo, exec_lo, s3
	s_mov_b32 s2, exec_lo
	v_cmpx_ne_u32_e64 v228, v220
	s_xor_b32 s2, exec_lo, s2
	s_cbranch_execz .LBB104_772
; %bb.767:
	s_mov_b32 s3, exec_lo
	v_cmpx_eq_u32_e32 36, v228
	s_cbranch_execz .LBB104_771
; %bb.768:
	v_cmp_ne_u32_e32 vcc_lo, 36, v220
	s_xor_b32 s6, s4, -1
	s_delay_alu instid0(SALU_CYCLE_1) | instskip(NEXT) | instid1(SALU_CYCLE_1)
	s_and_b32 s7, s6, vcc_lo
	s_and_saveexec_b32 s6, s7
	s_cbranch_execz .LBB104_770
; %bb.769:
	v_ashrrev_i32_e32 v221, 31, v220
	s_delay_alu instid0(VALU_DEP_1) | instskip(NEXT) | instid1(VALU_DEP_1)
	v_lshlrev_b64 v[227:228], 2, v[220:221]
	v_add_co_u32 v227, vcc_lo, v218, v227
	s_delay_alu instid0(VALU_DEP_2)
	v_add_co_ci_u32_e32 v228, vcc_lo, v219, v228, vcc_lo
	s_clause 0x1
	flat_load_b32 v221, v[227:228]
	flat_load_b32 v229, v[218:219] offset:144
	s_waitcnt vmcnt(1) lgkmcnt(1)
	flat_store_b32 v[218:219], v221 offset:144
	s_waitcnt vmcnt(0) lgkmcnt(1)
	flat_store_b32 v[227:228], v229
.LBB104_770:
	s_or_b32 exec_lo, exec_lo, s6
	v_mov_b32_e32 v228, v220
	v_mov_b32_e32 v227, v220
.LBB104_771:
	s_or_b32 exec_lo, exec_lo, s3
.LBB104_772:
	s_and_not1_saveexec_b32 s2, s2
	s_cbranch_execz .LBB104_774
; %bb.773:
	v_mov_b32_e32 v228, 36
	ds_store_2addr_b64 v222, v[60:61], v[62:63] offset0:74 offset1:75
	ds_store_2addr_b64 v222, v[56:57], v[58:59] offset0:76 offset1:77
	;; [unrolled: 1-line block ×16, first 2 shown]
.LBB104_774:
	s_or_b32 exec_lo, exec_lo, s2
	s_delay_alu instid0(SALU_CYCLE_1)
	s_mov_b32 s2, exec_lo
	s_waitcnt lgkmcnt(0)
	s_waitcnt_vscnt null, 0x0
	s_barrier
	buffer_gl0_inv
	v_cmpx_lt_i32_e32 36, v228
	s_cbranch_execz .LBB104_776
; %bb.775:
	v_mul_f64 v[220:221], v[212:213], v[66:67]
	v_mul_f64 v[66:67], v[214:215], v[66:67]
	s_delay_alu instid0(VALU_DEP_2) | instskip(NEXT) | instid1(VALU_DEP_2)
	v_fma_f64 v[220:221], v[214:215], v[64:65], v[220:221]
	v_fma_f64 v[64:65], v[212:213], v[64:65], -v[66:67]
	ds_load_2addr_b64 v[212:215], v222 offset0:74 offset1:75
	s_waitcnt lgkmcnt(0)
	v_mul_f64 v[66:67], v[214:215], v[220:221]
	s_delay_alu instid0(VALU_DEP_1) | instskip(SKIP_1) | instid1(VALU_DEP_2)
	v_fma_f64 v[66:67], v[212:213], v[64:65], -v[66:67]
	v_mul_f64 v[212:213], v[212:213], v[220:221]
	v_add_f64 v[60:61], v[60:61], -v[66:67]
	s_delay_alu instid0(VALU_DEP_2) | instskip(NEXT) | instid1(VALU_DEP_1)
	v_fma_f64 v[212:213], v[214:215], v[64:65], v[212:213]
	v_add_f64 v[62:63], v[62:63], -v[212:213]
	ds_load_2addr_b64 v[212:215], v222 offset0:76 offset1:77
	s_waitcnt lgkmcnt(0)
	v_mul_f64 v[66:67], v[214:215], v[220:221]
	s_delay_alu instid0(VALU_DEP_1) | instskip(SKIP_1) | instid1(VALU_DEP_2)
	v_fma_f64 v[66:67], v[212:213], v[64:65], -v[66:67]
	v_mul_f64 v[212:213], v[212:213], v[220:221]
	v_add_f64 v[56:57], v[56:57], -v[66:67]
	s_delay_alu instid0(VALU_DEP_2) | instskip(NEXT) | instid1(VALU_DEP_1)
	v_fma_f64 v[212:213], v[214:215], v[64:65], v[212:213]
	v_add_f64 v[58:59], v[58:59], -v[212:213]
	;; [unrolled: 10-line block ×15, first 2 shown]
	ds_load_2addr_b64 v[212:215], v222 offset0:104 offset1:105
	s_waitcnt lgkmcnt(0)
	v_mul_f64 v[66:67], v[214:215], v[220:221]
	s_delay_alu instid0(VALU_DEP_1) | instskip(SKIP_1) | instid1(VALU_DEP_2)
	v_fma_f64 v[66:67], v[212:213], v[64:65], -v[66:67]
	v_mul_f64 v[212:213], v[212:213], v[220:221]
	v_add_f64 v[0:1], v[0:1], -v[66:67]
	s_delay_alu instid0(VALU_DEP_2) | instskip(SKIP_1) | instid1(VALU_DEP_2)
	v_fma_f64 v[212:213], v[214:215], v[64:65], v[212:213]
	v_dual_mov_b32 v66, v220 :: v_dual_mov_b32 v67, v221
	v_add_f64 v[2:3], v[2:3], -v[212:213]
.LBB104_776:
	s_or_b32 exec_lo, exec_lo, s2
	v_lshl_add_u32 v212, v228, 4, v222
	s_barrier
	buffer_gl0_inv
	v_mov_b32_e32 v220, 37
	ds_store_2addr_b64 v212, v[60:61], v[62:63] offset1:1
	s_waitcnt lgkmcnt(0)
	s_barrier
	buffer_gl0_inv
	ds_load_2addr_b64 v[212:215], v222 offset0:74 offset1:75
	s_cmp_lt_i32 s5, 39
	s_cbranch_scc1 .LBB104_779
; %bb.777:
	v_add3_u32 v221, v226, 0, 0x260
	v_mov_b32_e32 v220, 37
	s_mov_b32 s6, 38
	s_set_inst_prefetch_distance 0x1
	.p2align	6
.LBB104_778:                            ; =>This Inner Loop Header: Depth=1
	ds_load_2addr_b64 v[229:232], v221 offset1:1
	s_waitcnt lgkmcnt(1)
	v_cmp_gt_f64_e32 vcc_lo, 0, v[212:213]
	v_xor_b32_e32 v233, 0x80000000, v213
	v_cmp_gt_f64_e64 s2, 0, v[214:215]
	v_xor_b32_e32 v235, 0x80000000, v215
	v_add_nc_u32_e32 v221, 16, v221
	s_waitcnt lgkmcnt(0)
	v_cmp_gt_f64_e64 s3, 0, v[229:230]
	v_mov_b32_e32 v237, v229
	v_dual_mov_b32 v239, v231 :: v_dual_cndmask_b32 v234, v213, v233
	v_xor_b32_e32 v233, 0x80000000, v230
	v_cndmask_b32_e64 v236, v215, v235, s2
	v_xor_b32_e32 v235, 0x80000000, v232
	s_delay_alu instid0(VALU_DEP_3) | instskip(SKIP_2) | instid1(VALU_DEP_2)
	v_cndmask_b32_e64 v238, v230, v233, s3
	v_cmp_gt_f64_e64 s3, 0, v[231:232]
	v_cndmask_b32_e32 v233, v212, v212, vcc_lo
	v_cndmask_b32_e64 v240, v232, v235, s3
	v_cndmask_b32_e64 v235, v214, v214, s2
	s_delay_alu instid0(VALU_DEP_2) | instskip(NEXT) | instid1(VALU_DEP_2)
	v_add_f64 v[237:238], v[237:238], v[239:240]
	v_add_f64 v[233:234], v[233:234], v[235:236]
	s_delay_alu instid0(VALU_DEP_1) | instskip(SKIP_4) | instid1(SALU_CYCLE_1)
	v_cmp_lt_f64_e32 vcc_lo, v[233:234], v[237:238]
	v_dual_cndmask_b32 v214, v214, v231 :: v_dual_cndmask_b32 v213, v213, v230
	v_dual_cndmask_b32 v212, v212, v229 :: v_dual_cndmask_b32 v215, v215, v232
	v_cndmask_b32_e64 v220, v220, s6, vcc_lo
	s_add_i32 s6, s6, 1
	s_cmp_lg_u32 s5, s6
	s_cbranch_scc1 .LBB104_778
.LBB104_779:
	s_set_inst_prefetch_distance 0x2
	s_waitcnt lgkmcnt(0)
	v_cmp_eq_f64_e32 vcc_lo, 0, v[212:213]
	v_cmp_eq_f64_e64 s2, 0, v[214:215]
	s_delay_alu instid0(VALU_DEP_1) | instskip(NEXT) | instid1(SALU_CYCLE_1)
	s_and_b32 s2, vcc_lo, s2
	s_and_saveexec_b32 s3, s2
	s_delay_alu instid0(SALU_CYCLE_1)
	s_xor_b32 s2, exec_lo, s3
; %bb.780:
	v_cmp_ne_u32_e32 vcc_lo, 0, v225
	v_cndmask_b32_e32 v225, 38, v225, vcc_lo
; %bb.781:
	s_and_not1_saveexec_b32 s3, s2
	s_cbranch_execz .LBB104_787
; %bb.782:
	v_cmp_gt_f64_e32 vcc_lo, 0, v[212:213]
	v_cmp_gt_f64_e64 s2, 0, v[214:215]
	v_xor_b32_e32 v221, 0x80000000, v213
	v_xor_b32_e32 v229, 0x80000000, v215
	s_delay_alu instid0(VALU_DEP_2) | instskip(NEXT) | instid1(VALU_DEP_2)
	v_cndmask_b32_e32 v230, v213, v221, vcc_lo
	v_cndmask_b32_e64 v232, v215, v229, s2
	v_cndmask_b32_e32 v229, v212, v212, vcc_lo
	v_cndmask_b32_e64 v231, v214, v214, s2
	s_mov_b32 s2, exec_lo
	s_delay_alu instid0(VALU_DEP_1)
	v_cmpx_ngt_f64_e32 v[229:230], v[231:232]
	s_xor_b32 s2, exec_lo, s2
	s_cbranch_execz .LBB104_784
; %bb.783:
	v_div_scale_f64 v[229:230], null, v[214:215], v[214:215], v[212:213]
	v_div_scale_f64 v[235:236], vcc_lo, v[212:213], v[214:215], v[212:213]
	s_delay_alu instid0(VALU_DEP_2) | instskip(SKIP_2) | instid1(VALU_DEP_1)
	v_rcp_f64_e32 v[231:232], v[229:230]
	s_waitcnt_depctr 0xfff
	v_fma_f64 v[233:234], -v[229:230], v[231:232], 1.0
	v_fma_f64 v[231:232], v[231:232], v[233:234], v[231:232]
	s_delay_alu instid0(VALU_DEP_1) | instskip(NEXT) | instid1(VALU_DEP_1)
	v_fma_f64 v[233:234], -v[229:230], v[231:232], 1.0
	v_fma_f64 v[231:232], v[231:232], v[233:234], v[231:232]
	s_delay_alu instid0(VALU_DEP_1) | instskip(NEXT) | instid1(VALU_DEP_1)
	v_mul_f64 v[233:234], v[235:236], v[231:232]
	v_fma_f64 v[229:230], -v[229:230], v[233:234], v[235:236]
	s_delay_alu instid0(VALU_DEP_1) | instskip(NEXT) | instid1(VALU_DEP_1)
	v_div_fmas_f64 v[229:230], v[229:230], v[231:232], v[233:234]
	v_div_fixup_f64 v[229:230], v[229:230], v[214:215], v[212:213]
	s_delay_alu instid0(VALU_DEP_1) | instskip(NEXT) | instid1(VALU_DEP_1)
	v_fma_f64 v[212:213], v[212:213], v[229:230], v[214:215]
	v_div_scale_f64 v[214:215], null, v[212:213], v[212:213], 1.0
	s_delay_alu instid0(VALU_DEP_1) | instskip(SKIP_2) | instid1(VALU_DEP_1)
	v_rcp_f64_e32 v[231:232], v[214:215]
	s_waitcnt_depctr 0xfff
	v_fma_f64 v[233:234], -v[214:215], v[231:232], 1.0
	v_fma_f64 v[231:232], v[231:232], v[233:234], v[231:232]
	s_delay_alu instid0(VALU_DEP_1) | instskip(NEXT) | instid1(VALU_DEP_1)
	v_fma_f64 v[233:234], -v[214:215], v[231:232], 1.0
	v_fma_f64 v[231:232], v[231:232], v[233:234], v[231:232]
	v_div_scale_f64 v[233:234], vcc_lo, 1.0, v[212:213], 1.0
	s_delay_alu instid0(VALU_DEP_1) | instskip(NEXT) | instid1(VALU_DEP_1)
	v_mul_f64 v[235:236], v[233:234], v[231:232]
	v_fma_f64 v[214:215], -v[214:215], v[235:236], v[233:234]
	s_delay_alu instid0(VALU_DEP_1) | instskip(NEXT) | instid1(VALU_DEP_1)
	v_div_fmas_f64 v[214:215], v[214:215], v[231:232], v[235:236]
	v_div_fixup_f64 v[214:215], v[214:215], v[212:213], 1.0
	s_delay_alu instid0(VALU_DEP_1)
	v_mul_f64 v[212:213], v[229:230], v[214:215]
	v_xor_b32_e32 v215, 0x80000000, v215
.LBB104_784:
	s_and_not1_saveexec_b32 s2, s2
	s_cbranch_execz .LBB104_786
; %bb.785:
	s_delay_alu instid0(VALU_DEP_1) | instskip(SKIP_1) | instid1(VALU_DEP_2)
	v_div_scale_f64 v[229:230], null, v[212:213], v[212:213], v[214:215]
	v_div_scale_f64 v[235:236], vcc_lo, v[214:215], v[212:213], v[214:215]
	v_rcp_f64_e32 v[231:232], v[229:230]
	s_waitcnt_depctr 0xfff
	v_fma_f64 v[233:234], -v[229:230], v[231:232], 1.0
	s_delay_alu instid0(VALU_DEP_1) | instskip(NEXT) | instid1(VALU_DEP_1)
	v_fma_f64 v[231:232], v[231:232], v[233:234], v[231:232]
	v_fma_f64 v[233:234], -v[229:230], v[231:232], 1.0
	s_delay_alu instid0(VALU_DEP_1) | instskip(NEXT) | instid1(VALU_DEP_1)
	v_fma_f64 v[231:232], v[231:232], v[233:234], v[231:232]
	v_mul_f64 v[233:234], v[235:236], v[231:232]
	s_delay_alu instid0(VALU_DEP_1) | instskip(NEXT) | instid1(VALU_DEP_1)
	v_fma_f64 v[229:230], -v[229:230], v[233:234], v[235:236]
	v_div_fmas_f64 v[229:230], v[229:230], v[231:232], v[233:234]
	s_delay_alu instid0(VALU_DEP_1) | instskip(NEXT) | instid1(VALU_DEP_1)
	v_div_fixup_f64 v[229:230], v[229:230], v[212:213], v[214:215]
	v_fma_f64 v[212:213], v[214:215], v[229:230], v[212:213]
	s_delay_alu instid0(VALU_DEP_1) | instskip(NEXT) | instid1(VALU_DEP_1)
	v_div_scale_f64 v[214:215], null, v[212:213], v[212:213], 1.0
	v_rcp_f64_e32 v[231:232], v[214:215]
	s_waitcnt_depctr 0xfff
	v_fma_f64 v[233:234], -v[214:215], v[231:232], 1.0
	s_delay_alu instid0(VALU_DEP_1) | instskip(NEXT) | instid1(VALU_DEP_1)
	v_fma_f64 v[231:232], v[231:232], v[233:234], v[231:232]
	v_fma_f64 v[233:234], -v[214:215], v[231:232], 1.0
	s_delay_alu instid0(VALU_DEP_1) | instskip(SKIP_1) | instid1(VALU_DEP_1)
	v_fma_f64 v[231:232], v[231:232], v[233:234], v[231:232]
	v_div_scale_f64 v[233:234], vcc_lo, 1.0, v[212:213], 1.0
	v_mul_f64 v[235:236], v[233:234], v[231:232]
	s_delay_alu instid0(VALU_DEP_1) | instskip(NEXT) | instid1(VALU_DEP_1)
	v_fma_f64 v[214:215], -v[214:215], v[235:236], v[233:234]
	v_div_fmas_f64 v[214:215], v[214:215], v[231:232], v[235:236]
	s_delay_alu instid0(VALU_DEP_1) | instskip(NEXT) | instid1(VALU_DEP_1)
	v_div_fixup_f64 v[212:213], v[214:215], v[212:213], 1.0
	v_mul_f64 v[214:215], v[229:230], -v[212:213]
.LBB104_786:
	s_or_b32 exec_lo, exec_lo, s2
.LBB104_787:
	s_delay_alu instid0(SALU_CYCLE_1) | instskip(NEXT) | instid1(SALU_CYCLE_1)
	s_or_b32 exec_lo, exec_lo, s3
	s_mov_b32 s2, exec_lo
	v_cmpx_ne_u32_e64 v228, v220
	s_xor_b32 s2, exec_lo, s2
	s_cbranch_execz .LBB104_793
; %bb.788:
	s_mov_b32 s3, exec_lo
	v_cmpx_eq_u32_e32 37, v228
	s_cbranch_execz .LBB104_792
; %bb.789:
	v_cmp_ne_u32_e32 vcc_lo, 37, v220
	s_xor_b32 s6, s4, -1
	s_delay_alu instid0(SALU_CYCLE_1) | instskip(NEXT) | instid1(SALU_CYCLE_1)
	s_and_b32 s7, s6, vcc_lo
	s_and_saveexec_b32 s6, s7
	s_cbranch_execz .LBB104_791
; %bb.790:
	v_ashrrev_i32_e32 v221, 31, v220
	s_delay_alu instid0(VALU_DEP_1) | instskip(NEXT) | instid1(VALU_DEP_1)
	v_lshlrev_b64 v[227:228], 2, v[220:221]
	v_add_co_u32 v227, vcc_lo, v218, v227
	s_delay_alu instid0(VALU_DEP_2)
	v_add_co_ci_u32_e32 v228, vcc_lo, v219, v228, vcc_lo
	s_clause 0x1
	flat_load_b32 v221, v[227:228]
	flat_load_b32 v229, v[218:219] offset:148
	s_waitcnt vmcnt(1) lgkmcnt(1)
	flat_store_b32 v[218:219], v221 offset:148
	s_waitcnt vmcnt(0) lgkmcnt(1)
	flat_store_b32 v[227:228], v229
.LBB104_791:
	s_or_b32 exec_lo, exec_lo, s6
	v_mov_b32_e32 v228, v220
	v_mov_b32_e32 v227, v220
.LBB104_792:
	s_or_b32 exec_lo, exec_lo, s3
.LBB104_793:
	s_and_not1_saveexec_b32 s2, s2
	s_cbranch_execz .LBB104_795
; %bb.794:
	v_mov_b32_e32 v228, 37
	ds_store_2addr_b64 v222, v[56:57], v[58:59] offset0:76 offset1:77
	ds_store_2addr_b64 v222, v[52:53], v[54:55] offset0:78 offset1:79
	;; [unrolled: 1-line block ×15, first 2 shown]
.LBB104_795:
	s_or_b32 exec_lo, exec_lo, s2
	s_delay_alu instid0(SALU_CYCLE_1)
	s_mov_b32 s2, exec_lo
	s_waitcnt lgkmcnt(0)
	s_waitcnt_vscnt null, 0x0
	s_barrier
	buffer_gl0_inv
	v_cmpx_lt_i32_e32 37, v228
	s_cbranch_execz .LBB104_797
; %bb.796:
	v_mul_f64 v[220:221], v[212:213], v[62:63]
	v_mul_f64 v[62:63], v[214:215], v[62:63]
	s_delay_alu instid0(VALU_DEP_2) | instskip(NEXT) | instid1(VALU_DEP_2)
	v_fma_f64 v[220:221], v[214:215], v[60:61], v[220:221]
	v_fma_f64 v[60:61], v[212:213], v[60:61], -v[62:63]
	ds_load_2addr_b64 v[212:215], v222 offset0:76 offset1:77
	s_waitcnt lgkmcnt(0)
	v_mul_f64 v[62:63], v[214:215], v[220:221]
	s_delay_alu instid0(VALU_DEP_1) | instskip(SKIP_1) | instid1(VALU_DEP_2)
	v_fma_f64 v[62:63], v[212:213], v[60:61], -v[62:63]
	v_mul_f64 v[212:213], v[212:213], v[220:221]
	v_add_f64 v[56:57], v[56:57], -v[62:63]
	s_delay_alu instid0(VALU_DEP_2) | instskip(NEXT) | instid1(VALU_DEP_1)
	v_fma_f64 v[212:213], v[214:215], v[60:61], v[212:213]
	v_add_f64 v[58:59], v[58:59], -v[212:213]
	ds_load_2addr_b64 v[212:215], v222 offset0:78 offset1:79
	s_waitcnt lgkmcnt(0)
	v_mul_f64 v[62:63], v[214:215], v[220:221]
	s_delay_alu instid0(VALU_DEP_1) | instskip(SKIP_1) | instid1(VALU_DEP_2)
	v_fma_f64 v[62:63], v[212:213], v[60:61], -v[62:63]
	v_mul_f64 v[212:213], v[212:213], v[220:221]
	v_add_f64 v[52:53], v[52:53], -v[62:63]
	s_delay_alu instid0(VALU_DEP_2) | instskip(NEXT) | instid1(VALU_DEP_1)
	v_fma_f64 v[212:213], v[214:215], v[60:61], v[212:213]
	v_add_f64 v[54:55], v[54:55], -v[212:213]
	;; [unrolled: 10-line block ×14, first 2 shown]
	ds_load_2addr_b64 v[212:215], v222 offset0:104 offset1:105
	s_waitcnt lgkmcnt(0)
	v_mul_f64 v[62:63], v[214:215], v[220:221]
	s_delay_alu instid0(VALU_DEP_1) | instskip(SKIP_1) | instid1(VALU_DEP_2)
	v_fma_f64 v[62:63], v[212:213], v[60:61], -v[62:63]
	v_mul_f64 v[212:213], v[212:213], v[220:221]
	v_add_f64 v[0:1], v[0:1], -v[62:63]
	s_delay_alu instid0(VALU_DEP_2) | instskip(SKIP_1) | instid1(VALU_DEP_2)
	v_fma_f64 v[212:213], v[214:215], v[60:61], v[212:213]
	v_dual_mov_b32 v62, v220 :: v_dual_mov_b32 v63, v221
	v_add_f64 v[2:3], v[2:3], -v[212:213]
.LBB104_797:
	s_or_b32 exec_lo, exec_lo, s2
	v_lshl_add_u32 v212, v228, 4, v222
	s_barrier
	buffer_gl0_inv
	v_mov_b32_e32 v220, 38
	ds_store_2addr_b64 v212, v[56:57], v[58:59] offset1:1
	s_waitcnt lgkmcnt(0)
	s_barrier
	buffer_gl0_inv
	ds_load_2addr_b64 v[212:215], v222 offset0:76 offset1:77
	s_cmp_lt_i32 s5, 40
	s_cbranch_scc1 .LBB104_800
; %bb.798:
	v_add3_u32 v221, v226, 0, 0x270
	v_mov_b32_e32 v220, 38
	s_mov_b32 s6, 39
	s_set_inst_prefetch_distance 0x1
	.p2align	6
.LBB104_799:                            ; =>This Inner Loop Header: Depth=1
	ds_load_2addr_b64 v[229:232], v221 offset1:1
	s_waitcnt lgkmcnt(1)
	v_cmp_gt_f64_e32 vcc_lo, 0, v[212:213]
	v_xor_b32_e32 v233, 0x80000000, v213
	v_cmp_gt_f64_e64 s2, 0, v[214:215]
	v_xor_b32_e32 v235, 0x80000000, v215
	v_add_nc_u32_e32 v221, 16, v221
	s_waitcnt lgkmcnt(0)
	v_cmp_gt_f64_e64 s3, 0, v[229:230]
	v_mov_b32_e32 v237, v229
	v_dual_mov_b32 v239, v231 :: v_dual_cndmask_b32 v234, v213, v233
	v_xor_b32_e32 v233, 0x80000000, v230
	v_cndmask_b32_e64 v236, v215, v235, s2
	v_xor_b32_e32 v235, 0x80000000, v232
	s_delay_alu instid0(VALU_DEP_3) | instskip(SKIP_2) | instid1(VALU_DEP_2)
	v_cndmask_b32_e64 v238, v230, v233, s3
	v_cmp_gt_f64_e64 s3, 0, v[231:232]
	v_cndmask_b32_e32 v233, v212, v212, vcc_lo
	v_cndmask_b32_e64 v240, v232, v235, s3
	v_cndmask_b32_e64 v235, v214, v214, s2
	s_delay_alu instid0(VALU_DEP_2) | instskip(NEXT) | instid1(VALU_DEP_2)
	v_add_f64 v[237:238], v[237:238], v[239:240]
	v_add_f64 v[233:234], v[233:234], v[235:236]
	s_delay_alu instid0(VALU_DEP_1) | instskip(SKIP_4) | instid1(SALU_CYCLE_1)
	v_cmp_lt_f64_e32 vcc_lo, v[233:234], v[237:238]
	v_dual_cndmask_b32 v214, v214, v231 :: v_dual_cndmask_b32 v213, v213, v230
	v_dual_cndmask_b32 v212, v212, v229 :: v_dual_cndmask_b32 v215, v215, v232
	v_cndmask_b32_e64 v220, v220, s6, vcc_lo
	s_add_i32 s6, s6, 1
	s_cmp_lg_u32 s5, s6
	s_cbranch_scc1 .LBB104_799
.LBB104_800:
	s_set_inst_prefetch_distance 0x2
	s_waitcnt lgkmcnt(0)
	v_cmp_eq_f64_e32 vcc_lo, 0, v[212:213]
	v_cmp_eq_f64_e64 s2, 0, v[214:215]
	s_delay_alu instid0(VALU_DEP_1) | instskip(NEXT) | instid1(SALU_CYCLE_1)
	s_and_b32 s2, vcc_lo, s2
	s_and_saveexec_b32 s3, s2
	s_delay_alu instid0(SALU_CYCLE_1)
	s_xor_b32 s2, exec_lo, s3
; %bb.801:
	v_cmp_ne_u32_e32 vcc_lo, 0, v225
	v_cndmask_b32_e32 v225, 39, v225, vcc_lo
; %bb.802:
	s_and_not1_saveexec_b32 s3, s2
	s_cbranch_execz .LBB104_808
; %bb.803:
	v_cmp_gt_f64_e32 vcc_lo, 0, v[212:213]
	v_cmp_gt_f64_e64 s2, 0, v[214:215]
	v_xor_b32_e32 v221, 0x80000000, v213
	v_xor_b32_e32 v229, 0x80000000, v215
	s_delay_alu instid0(VALU_DEP_2) | instskip(NEXT) | instid1(VALU_DEP_2)
	v_cndmask_b32_e32 v230, v213, v221, vcc_lo
	v_cndmask_b32_e64 v232, v215, v229, s2
	v_cndmask_b32_e32 v229, v212, v212, vcc_lo
	v_cndmask_b32_e64 v231, v214, v214, s2
	s_mov_b32 s2, exec_lo
	s_delay_alu instid0(VALU_DEP_1)
	v_cmpx_ngt_f64_e32 v[229:230], v[231:232]
	s_xor_b32 s2, exec_lo, s2
	s_cbranch_execz .LBB104_805
; %bb.804:
	v_div_scale_f64 v[229:230], null, v[214:215], v[214:215], v[212:213]
	v_div_scale_f64 v[235:236], vcc_lo, v[212:213], v[214:215], v[212:213]
	s_delay_alu instid0(VALU_DEP_2) | instskip(SKIP_2) | instid1(VALU_DEP_1)
	v_rcp_f64_e32 v[231:232], v[229:230]
	s_waitcnt_depctr 0xfff
	v_fma_f64 v[233:234], -v[229:230], v[231:232], 1.0
	v_fma_f64 v[231:232], v[231:232], v[233:234], v[231:232]
	s_delay_alu instid0(VALU_DEP_1) | instskip(NEXT) | instid1(VALU_DEP_1)
	v_fma_f64 v[233:234], -v[229:230], v[231:232], 1.0
	v_fma_f64 v[231:232], v[231:232], v[233:234], v[231:232]
	s_delay_alu instid0(VALU_DEP_1) | instskip(NEXT) | instid1(VALU_DEP_1)
	v_mul_f64 v[233:234], v[235:236], v[231:232]
	v_fma_f64 v[229:230], -v[229:230], v[233:234], v[235:236]
	s_delay_alu instid0(VALU_DEP_1) | instskip(NEXT) | instid1(VALU_DEP_1)
	v_div_fmas_f64 v[229:230], v[229:230], v[231:232], v[233:234]
	v_div_fixup_f64 v[229:230], v[229:230], v[214:215], v[212:213]
	s_delay_alu instid0(VALU_DEP_1) | instskip(NEXT) | instid1(VALU_DEP_1)
	v_fma_f64 v[212:213], v[212:213], v[229:230], v[214:215]
	v_div_scale_f64 v[214:215], null, v[212:213], v[212:213], 1.0
	s_delay_alu instid0(VALU_DEP_1) | instskip(SKIP_2) | instid1(VALU_DEP_1)
	v_rcp_f64_e32 v[231:232], v[214:215]
	s_waitcnt_depctr 0xfff
	v_fma_f64 v[233:234], -v[214:215], v[231:232], 1.0
	v_fma_f64 v[231:232], v[231:232], v[233:234], v[231:232]
	s_delay_alu instid0(VALU_DEP_1) | instskip(NEXT) | instid1(VALU_DEP_1)
	v_fma_f64 v[233:234], -v[214:215], v[231:232], 1.0
	v_fma_f64 v[231:232], v[231:232], v[233:234], v[231:232]
	v_div_scale_f64 v[233:234], vcc_lo, 1.0, v[212:213], 1.0
	s_delay_alu instid0(VALU_DEP_1) | instskip(NEXT) | instid1(VALU_DEP_1)
	v_mul_f64 v[235:236], v[233:234], v[231:232]
	v_fma_f64 v[214:215], -v[214:215], v[235:236], v[233:234]
	s_delay_alu instid0(VALU_DEP_1) | instskip(NEXT) | instid1(VALU_DEP_1)
	v_div_fmas_f64 v[214:215], v[214:215], v[231:232], v[235:236]
	v_div_fixup_f64 v[214:215], v[214:215], v[212:213], 1.0
	s_delay_alu instid0(VALU_DEP_1)
	v_mul_f64 v[212:213], v[229:230], v[214:215]
	v_xor_b32_e32 v215, 0x80000000, v215
.LBB104_805:
	s_and_not1_saveexec_b32 s2, s2
	s_cbranch_execz .LBB104_807
; %bb.806:
	s_delay_alu instid0(VALU_DEP_1) | instskip(SKIP_1) | instid1(VALU_DEP_2)
	v_div_scale_f64 v[229:230], null, v[212:213], v[212:213], v[214:215]
	v_div_scale_f64 v[235:236], vcc_lo, v[214:215], v[212:213], v[214:215]
	v_rcp_f64_e32 v[231:232], v[229:230]
	s_waitcnt_depctr 0xfff
	v_fma_f64 v[233:234], -v[229:230], v[231:232], 1.0
	s_delay_alu instid0(VALU_DEP_1) | instskip(NEXT) | instid1(VALU_DEP_1)
	v_fma_f64 v[231:232], v[231:232], v[233:234], v[231:232]
	v_fma_f64 v[233:234], -v[229:230], v[231:232], 1.0
	s_delay_alu instid0(VALU_DEP_1) | instskip(NEXT) | instid1(VALU_DEP_1)
	v_fma_f64 v[231:232], v[231:232], v[233:234], v[231:232]
	v_mul_f64 v[233:234], v[235:236], v[231:232]
	s_delay_alu instid0(VALU_DEP_1) | instskip(NEXT) | instid1(VALU_DEP_1)
	v_fma_f64 v[229:230], -v[229:230], v[233:234], v[235:236]
	v_div_fmas_f64 v[229:230], v[229:230], v[231:232], v[233:234]
	s_delay_alu instid0(VALU_DEP_1) | instskip(NEXT) | instid1(VALU_DEP_1)
	v_div_fixup_f64 v[229:230], v[229:230], v[212:213], v[214:215]
	v_fma_f64 v[212:213], v[214:215], v[229:230], v[212:213]
	s_delay_alu instid0(VALU_DEP_1) | instskip(NEXT) | instid1(VALU_DEP_1)
	v_div_scale_f64 v[214:215], null, v[212:213], v[212:213], 1.0
	v_rcp_f64_e32 v[231:232], v[214:215]
	s_waitcnt_depctr 0xfff
	v_fma_f64 v[233:234], -v[214:215], v[231:232], 1.0
	s_delay_alu instid0(VALU_DEP_1) | instskip(NEXT) | instid1(VALU_DEP_1)
	v_fma_f64 v[231:232], v[231:232], v[233:234], v[231:232]
	v_fma_f64 v[233:234], -v[214:215], v[231:232], 1.0
	s_delay_alu instid0(VALU_DEP_1) | instskip(SKIP_1) | instid1(VALU_DEP_1)
	v_fma_f64 v[231:232], v[231:232], v[233:234], v[231:232]
	v_div_scale_f64 v[233:234], vcc_lo, 1.0, v[212:213], 1.0
	v_mul_f64 v[235:236], v[233:234], v[231:232]
	s_delay_alu instid0(VALU_DEP_1) | instskip(NEXT) | instid1(VALU_DEP_1)
	v_fma_f64 v[214:215], -v[214:215], v[235:236], v[233:234]
	v_div_fmas_f64 v[214:215], v[214:215], v[231:232], v[235:236]
	s_delay_alu instid0(VALU_DEP_1) | instskip(NEXT) | instid1(VALU_DEP_1)
	v_div_fixup_f64 v[212:213], v[214:215], v[212:213], 1.0
	v_mul_f64 v[214:215], v[229:230], -v[212:213]
.LBB104_807:
	s_or_b32 exec_lo, exec_lo, s2
.LBB104_808:
	s_delay_alu instid0(SALU_CYCLE_1) | instskip(NEXT) | instid1(SALU_CYCLE_1)
	s_or_b32 exec_lo, exec_lo, s3
	s_mov_b32 s2, exec_lo
	v_cmpx_ne_u32_e64 v228, v220
	s_xor_b32 s2, exec_lo, s2
	s_cbranch_execz .LBB104_814
; %bb.809:
	s_mov_b32 s3, exec_lo
	v_cmpx_eq_u32_e32 38, v228
	s_cbranch_execz .LBB104_813
; %bb.810:
	v_cmp_ne_u32_e32 vcc_lo, 38, v220
	s_xor_b32 s6, s4, -1
	s_delay_alu instid0(SALU_CYCLE_1) | instskip(NEXT) | instid1(SALU_CYCLE_1)
	s_and_b32 s7, s6, vcc_lo
	s_and_saveexec_b32 s6, s7
	s_cbranch_execz .LBB104_812
; %bb.811:
	v_ashrrev_i32_e32 v221, 31, v220
	s_delay_alu instid0(VALU_DEP_1) | instskip(NEXT) | instid1(VALU_DEP_1)
	v_lshlrev_b64 v[227:228], 2, v[220:221]
	v_add_co_u32 v227, vcc_lo, v218, v227
	s_delay_alu instid0(VALU_DEP_2)
	v_add_co_ci_u32_e32 v228, vcc_lo, v219, v228, vcc_lo
	s_clause 0x1
	flat_load_b32 v221, v[227:228]
	flat_load_b32 v229, v[218:219] offset:152
	s_waitcnt vmcnt(1) lgkmcnt(1)
	flat_store_b32 v[218:219], v221 offset:152
	s_waitcnt vmcnt(0) lgkmcnt(1)
	flat_store_b32 v[227:228], v229
.LBB104_812:
	s_or_b32 exec_lo, exec_lo, s6
	v_mov_b32_e32 v228, v220
	v_mov_b32_e32 v227, v220
.LBB104_813:
	s_or_b32 exec_lo, exec_lo, s3
.LBB104_814:
	s_and_not1_saveexec_b32 s2, s2
	s_cbranch_execz .LBB104_816
; %bb.815:
	v_mov_b32_e32 v228, 38
	ds_store_2addr_b64 v222, v[52:53], v[54:55] offset0:78 offset1:79
	ds_store_2addr_b64 v222, v[48:49], v[50:51] offset0:80 offset1:81
	ds_store_2addr_b64 v222, v[44:45], v[46:47] offset0:82 offset1:83
	ds_store_2addr_b64 v222, v[40:41], v[42:43] offset0:84 offset1:85
	ds_store_2addr_b64 v222, v[36:37], v[38:39] offset0:86 offset1:87
	ds_store_2addr_b64 v222, v[32:33], v[34:35] offset0:88 offset1:89
	ds_store_2addr_b64 v222, v[28:29], v[30:31] offset0:90 offset1:91
	ds_store_2addr_b64 v222, v[24:25], v[26:27] offset0:92 offset1:93
	ds_store_2addr_b64 v222, v[20:21], v[22:23] offset0:94 offset1:95
	ds_store_2addr_b64 v222, v[16:17], v[18:19] offset0:96 offset1:97
	ds_store_2addr_b64 v222, v[12:13], v[14:15] offset0:98 offset1:99
	ds_store_2addr_b64 v222, v[8:9], v[10:11] offset0:100 offset1:101
	ds_store_2addr_b64 v222, v[4:5], v[6:7] offset0:102 offset1:103
	ds_store_2addr_b64 v222, v[0:1], v[2:3] offset0:104 offset1:105
.LBB104_816:
	s_or_b32 exec_lo, exec_lo, s2
	s_delay_alu instid0(SALU_CYCLE_1)
	s_mov_b32 s2, exec_lo
	s_waitcnt lgkmcnt(0)
	s_waitcnt_vscnt null, 0x0
	s_barrier
	buffer_gl0_inv
	v_cmpx_lt_i32_e32 38, v228
	s_cbranch_execz .LBB104_818
; %bb.817:
	v_mul_f64 v[220:221], v[212:213], v[58:59]
	v_mul_f64 v[58:59], v[214:215], v[58:59]
	s_delay_alu instid0(VALU_DEP_2) | instskip(NEXT) | instid1(VALU_DEP_2)
	v_fma_f64 v[220:221], v[214:215], v[56:57], v[220:221]
	v_fma_f64 v[56:57], v[212:213], v[56:57], -v[58:59]
	ds_load_2addr_b64 v[212:215], v222 offset0:78 offset1:79
	s_waitcnt lgkmcnt(0)
	v_mul_f64 v[58:59], v[214:215], v[220:221]
	s_delay_alu instid0(VALU_DEP_1) | instskip(SKIP_1) | instid1(VALU_DEP_2)
	v_fma_f64 v[58:59], v[212:213], v[56:57], -v[58:59]
	v_mul_f64 v[212:213], v[212:213], v[220:221]
	v_add_f64 v[52:53], v[52:53], -v[58:59]
	s_delay_alu instid0(VALU_DEP_2) | instskip(NEXT) | instid1(VALU_DEP_1)
	v_fma_f64 v[212:213], v[214:215], v[56:57], v[212:213]
	v_add_f64 v[54:55], v[54:55], -v[212:213]
	ds_load_2addr_b64 v[212:215], v222 offset0:80 offset1:81
	s_waitcnt lgkmcnt(0)
	v_mul_f64 v[58:59], v[214:215], v[220:221]
	s_delay_alu instid0(VALU_DEP_1) | instskip(SKIP_1) | instid1(VALU_DEP_2)
	v_fma_f64 v[58:59], v[212:213], v[56:57], -v[58:59]
	v_mul_f64 v[212:213], v[212:213], v[220:221]
	v_add_f64 v[48:49], v[48:49], -v[58:59]
	s_delay_alu instid0(VALU_DEP_2) | instskip(NEXT) | instid1(VALU_DEP_1)
	v_fma_f64 v[212:213], v[214:215], v[56:57], v[212:213]
	v_add_f64 v[50:51], v[50:51], -v[212:213]
	ds_load_2addr_b64 v[212:215], v222 offset0:82 offset1:83
	s_waitcnt lgkmcnt(0)
	v_mul_f64 v[58:59], v[214:215], v[220:221]
	s_delay_alu instid0(VALU_DEP_1) | instskip(SKIP_1) | instid1(VALU_DEP_2)
	v_fma_f64 v[58:59], v[212:213], v[56:57], -v[58:59]
	v_mul_f64 v[212:213], v[212:213], v[220:221]
	v_add_f64 v[44:45], v[44:45], -v[58:59]
	s_delay_alu instid0(VALU_DEP_2) | instskip(NEXT) | instid1(VALU_DEP_1)
	v_fma_f64 v[212:213], v[214:215], v[56:57], v[212:213]
	v_add_f64 v[46:47], v[46:47], -v[212:213]
	ds_load_2addr_b64 v[212:215], v222 offset0:84 offset1:85
	s_waitcnt lgkmcnt(0)
	v_mul_f64 v[58:59], v[214:215], v[220:221]
	s_delay_alu instid0(VALU_DEP_1) | instskip(SKIP_1) | instid1(VALU_DEP_2)
	v_fma_f64 v[58:59], v[212:213], v[56:57], -v[58:59]
	v_mul_f64 v[212:213], v[212:213], v[220:221]
	v_add_f64 v[40:41], v[40:41], -v[58:59]
	s_delay_alu instid0(VALU_DEP_2) | instskip(NEXT) | instid1(VALU_DEP_1)
	v_fma_f64 v[212:213], v[214:215], v[56:57], v[212:213]
	v_add_f64 v[42:43], v[42:43], -v[212:213]
	ds_load_2addr_b64 v[212:215], v222 offset0:86 offset1:87
	s_waitcnt lgkmcnt(0)
	v_mul_f64 v[58:59], v[214:215], v[220:221]
	s_delay_alu instid0(VALU_DEP_1) | instskip(SKIP_1) | instid1(VALU_DEP_2)
	v_fma_f64 v[58:59], v[212:213], v[56:57], -v[58:59]
	v_mul_f64 v[212:213], v[212:213], v[220:221]
	v_add_f64 v[36:37], v[36:37], -v[58:59]
	s_delay_alu instid0(VALU_DEP_2) | instskip(NEXT) | instid1(VALU_DEP_1)
	v_fma_f64 v[212:213], v[214:215], v[56:57], v[212:213]
	v_add_f64 v[38:39], v[38:39], -v[212:213]
	ds_load_2addr_b64 v[212:215], v222 offset0:88 offset1:89
	s_waitcnt lgkmcnt(0)
	v_mul_f64 v[58:59], v[214:215], v[220:221]
	s_delay_alu instid0(VALU_DEP_1) | instskip(SKIP_1) | instid1(VALU_DEP_2)
	v_fma_f64 v[58:59], v[212:213], v[56:57], -v[58:59]
	v_mul_f64 v[212:213], v[212:213], v[220:221]
	v_add_f64 v[32:33], v[32:33], -v[58:59]
	s_delay_alu instid0(VALU_DEP_2) | instskip(NEXT) | instid1(VALU_DEP_1)
	v_fma_f64 v[212:213], v[214:215], v[56:57], v[212:213]
	v_add_f64 v[34:35], v[34:35], -v[212:213]
	ds_load_2addr_b64 v[212:215], v222 offset0:90 offset1:91
	s_waitcnt lgkmcnt(0)
	v_mul_f64 v[58:59], v[214:215], v[220:221]
	s_delay_alu instid0(VALU_DEP_1) | instskip(SKIP_1) | instid1(VALU_DEP_2)
	v_fma_f64 v[58:59], v[212:213], v[56:57], -v[58:59]
	v_mul_f64 v[212:213], v[212:213], v[220:221]
	v_add_f64 v[28:29], v[28:29], -v[58:59]
	s_delay_alu instid0(VALU_DEP_2) | instskip(NEXT) | instid1(VALU_DEP_1)
	v_fma_f64 v[212:213], v[214:215], v[56:57], v[212:213]
	v_add_f64 v[30:31], v[30:31], -v[212:213]
	ds_load_2addr_b64 v[212:215], v222 offset0:92 offset1:93
	s_waitcnt lgkmcnt(0)
	v_mul_f64 v[58:59], v[214:215], v[220:221]
	s_delay_alu instid0(VALU_DEP_1) | instskip(SKIP_1) | instid1(VALU_DEP_2)
	v_fma_f64 v[58:59], v[212:213], v[56:57], -v[58:59]
	v_mul_f64 v[212:213], v[212:213], v[220:221]
	v_add_f64 v[24:25], v[24:25], -v[58:59]
	s_delay_alu instid0(VALU_DEP_2) | instskip(NEXT) | instid1(VALU_DEP_1)
	v_fma_f64 v[212:213], v[214:215], v[56:57], v[212:213]
	v_add_f64 v[26:27], v[26:27], -v[212:213]
	ds_load_2addr_b64 v[212:215], v222 offset0:94 offset1:95
	s_waitcnt lgkmcnt(0)
	v_mul_f64 v[58:59], v[214:215], v[220:221]
	s_delay_alu instid0(VALU_DEP_1) | instskip(SKIP_1) | instid1(VALU_DEP_2)
	v_fma_f64 v[58:59], v[212:213], v[56:57], -v[58:59]
	v_mul_f64 v[212:213], v[212:213], v[220:221]
	v_add_f64 v[20:21], v[20:21], -v[58:59]
	s_delay_alu instid0(VALU_DEP_2) | instskip(NEXT) | instid1(VALU_DEP_1)
	v_fma_f64 v[212:213], v[214:215], v[56:57], v[212:213]
	v_add_f64 v[22:23], v[22:23], -v[212:213]
	ds_load_2addr_b64 v[212:215], v222 offset0:96 offset1:97
	s_waitcnt lgkmcnt(0)
	v_mul_f64 v[58:59], v[214:215], v[220:221]
	s_delay_alu instid0(VALU_DEP_1) | instskip(SKIP_1) | instid1(VALU_DEP_2)
	v_fma_f64 v[58:59], v[212:213], v[56:57], -v[58:59]
	v_mul_f64 v[212:213], v[212:213], v[220:221]
	v_add_f64 v[16:17], v[16:17], -v[58:59]
	s_delay_alu instid0(VALU_DEP_2) | instskip(NEXT) | instid1(VALU_DEP_1)
	v_fma_f64 v[212:213], v[214:215], v[56:57], v[212:213]
	v_add_f64 v[18:19], v[18:19], -v[212:213]
	ds_load_2addr_b64 v[212:215], v222 offset0:98 offset1:99
	s_waitcnt lgkmcnt(0)
	v_mul_f64 v[58:59], v[214:215], v[220:221]
	s_delay_alu instid0(VALU_DEP_1) | instskip(SKIP_1) | instid1(VALU_DEP_2)
	v_fma_f64 v[58:59], v[212:213], v[56:57], -v[58:59]
	v_mul_f64 v[212:213], v[212:213], v[220:221]
	v_add_f64 v[12:13], v[12:13], -v[58:59]
	s_delay_alu instid0(VALU_DEP_2) | instskip(NEXT) | instid1(VALU_DEP_1)
	v_fma_f64 v[212:213], v[214:215], v[56:57], v[212:213]
	v_add_f64 v[14:15], v[14:15], -v[212:213]
	ds_load_2addr_b64 v[212:215], v222 offset0:100 offset1:101
	s_waitcnt lgkmcnt(0)
	v_mul_f64 v[58:59], v[214:215], v[220:221]
	s_delay_alu instid0(VALU_DEP_1) | instskip(SKIP_1) | instid1(VALU_DEP_2)
	v_fma_f64 v[58:59], v[212:213], v[56:57], -v[58:59]
	v_mul_f64 v[212:213], v[212:213], v[220:221]
	v_add_f64 v[8:9], v[8:9], -v[58:59]
	s_delay_alu instid0(VALU_DEP_2) | instskip(NEXT) | instid1(VALU_DEP_1)
	v_fma_f64 v[212:213], v[214:215], v[56:57], v[212:213]
	v_add_f64 v[10:11], v[10:11], -v[212:213]
	ds_load_2addr_b64 v[212:215], v222 offset0:102 offset1:103
	s_waitcnt lgkmcnt(0)
	v_mul_f64 v[58:59], v[214:215], v[220:221]
	s_delay_alu instid0(VALU_DEP_1) | instskip(SKIP_1) | instid1(VALU_DEP_2)
	v_fma_f64 v[58:59], v[212:213], v[56:57], -v[58:59]
	v_mul_f64 v[212:213], v[212:213], v[220:221]
	v_add_f64 v[4:5], v[4:5], -v[58:59]
	s_delay_alu instid0(VALU_DEP_2) | instskip(NEXT) | instid1(VALU_DEP_1)
	v_fma_f64 v[212:213], v[214:215], v[56:57], v[212:213]
	v_add_f64 v[6:7], v[6:7], -v[212:213]
	ds_load_2addr_b64 v[212:215], v222 offset0:104 offset1:105
	s_waitcnt lgkmcnt(0)
	v_mul_f64 v[58:59], v[214:215], v[220:221]
	s_delay_alu instid0(VALU_DEP_1) | instskip(SKIP_1) | instid1(VALU_DEP_2)
	v_fma_f64 v[58:59], v[212:213], v[56:57], -v[58:59]
	v_mul_f64 v[212:213], v[212:213], v[220:221]
	v_add_f64 v[0:1], v[0:1], -v[58:59]
	s_delay_alu instid0(VALU_DEP_2) | instskip(SKIP_1) | instid1(VALU_DEP_2)
	v_fma_f64 v[212:213], v[214:215], v[56:57], v[212:213]
	v_dual_mov_b32 v58, v220 :: v_dual_mov_b32 v59, v221
	v_add_f64 v[2:3], v[2:3], -v[212:213]
.LBB104_818:
	s_or_b32 exec_lo, exec_lo, s2
	v_lshl_add_u32 v212, v228, 4, v222
	s_barrier
	buffer_gl0_inv
	v_mov_b32_e32 v220, 39
	ds_store_2addr_b64 v212, v[52:53], v[54:55] offset1:1
	s_waitcnt lgkmcnt(0)
	s_barrier
	buffer_gl0_inv
	ds_load_2addr_b64 v[212:215], v222 offset0:78 offset1:79
	s_cmp_lt_i32 s5, 41
	s_cbranch_scc1 .LBB104_821
; %bb.819:
	v_add3_u32 v221, v226, 0, 0x280
	v_mov_b32_e32 v220, 39
	s_mov_b32 s6, 40
	s_set_inst_prefetch_distance 0x1
	.p2align	6
.LBB104_820:                            ; =>This Inner Loop Header: Depth=1
	ds_load_2addr_b64 v[229:232], v221 offset1:1
	s_waitcnt lgkmcnt(1)
	v_cmp_gt_f64_e32 vcc_lo, 0, v[212:213]
	v_xor_b32_e32 v233, 0x80000000, v213
	v_cmp_gt_f64_e64 s2, 0, v[214:215]
	v_xor_b32_e32 v235, 0x80000000, v215
	v_add_nc_u32_e32 v221, 16, v221
	s_waitcnt lgkmcnt(0)
	v_cmp_gt_f64_e64 s3, 0, v[229:230]
	v_mov_b32_e32 v237, v229
	v_dual_mov_b32 v239, v231 :: v_dual_cndmask_b32 v234, v213, v233
	v_xor_b32_e32 v233, 0x80000000, v230
	v_cndmask_b32_e64 v236, v215, v235, s2
	v_xor_b32_e32 v235, 0x80000000, v232
	s_delay_alu instid0(VALU_DEP_3) | instskip(SKIP_2) | instid1(VALU_DEP_2)
	v_cndmask_b32_e64 v238, v230, v233, s3
	v_cmp_gt_f64_e64 s3, 0, v[231:232]
	v_cndmask_b32_e32 v233, v212, v212, vcc_lo
	v_cndmask_b32_e64 v240, v232, v235, s3
	v_cndmask_b32_e64 v235, v214, v214, s2
	s_delay_alu instid0(VALU_DEP_2) | instskip(NEXT) | instid1(VALU_DEP_2)
	v_add_f64 v[237:238], v[237:238], v[239:240]
	v_add_f64 v[233:234], v[233:234], v[235:236]
	s_delay_alu instid0(VALU_DEP_1) | instskip(SKIP_4) | instid1(SALU_CYCLE_1)
	v_cmp_lt_f64_e32 vcc_lo, v[233:234], v[237:238]
	v_dual_cndmask_b32 v214, v214, v231 :: v_dual_cndmask_b32 v213, v213, v230
	v_dual_cndmask_b32 v212, v212, v229 :: v_dual_cndmask_b32 v215, v215, v232
	v_cndmask_b32_e64 v220, v220, s6, vcc_lo
	s_add_i32 s6, s6, 1
	s_cmp_lg_u32 s5, s6
	s_cbranch_scc1 .LBB104_820
.LBB104_821:
	s_set_inst_prefetch_distance 0x2
	s_waitcnt lgkmcnt(0)
	v_cmp_eq_f64_e32 vcc_lo, 0, v[212:213]
	v_cmp_eq_f64_e64 s2, 0, v[214:215]
	s_delay_alu instid0(VALU_DEP_1) | instskip(NEXT) | instid1(SALU_CYCLE_1)
	s_and_b32 s2, vcc_lo, s2
	s_and_saveexec_b32 s3, s2
	s_delay_alu instid0(SALU_CYCLE_1)
	s_xor_b32 s2, exec_lo, s3
; %bb.822:
	v_cmp_ne_u32_e32 vcc_lo, 0, v225
	v_cndmask_b32_e32 v225, 40, v225, vcc_lo
; %bb.823:
	s_and_not1_saveexec_b32 s3, s2
	s_cbranch_execz .LBB104_829
; %bb.824:
	v_cmp_gt_f64_e32 vcc_lo, 0, v[212:213]
	v_cmp_gt_f64_e64 s2, 0, v[214:215]
	v_xor_b32_e32 v221, 0x80000000, v213
	v_xor_b32_e32 v229, 0x80000000, v215
	s_delay_alu instid0(VALU_DEP_2) | instskip(NEXT) | instid1(VALU_DEP_2)
	v_cndmask_b32_e32 v230, v213, v221, vcc_lo
	v_cndmask_b32_e64 v232, v215, v229, s2
	v_cndmask_b32_e32 v229, v212, v212, vcc_lo
	v_cndmask_b32_e64 v231, v214, v214, s2
	s_mov_b32 s2, exec_lo
	s_delay_alu instid0(VALU_DEP_1)
	v_cmpx_ngt_f64_e32 v[229:230], v[231:232]
	s_xor_b32 s2, exec_lo, s2
	s_cbranch_execz .LBB104_826
; %bb.825:
	v_div_scale_f64 v[229:230], null, v[214:215], v[214:215], v[212:213]
	v_div_scale_f64 v[235:236], vcc_lo, v[212:213], v[214:215], v[212:213]
	s_delay_alu instid0(VALU_DEP_2) | instskip(SKIP_2) | instid1(VALU_DEP_1)
	v_rcp_f64_e32 v[231:232], v[229:230]
	s_waitcnt_depctr 0xfff
	v_fma_f64 v[233:234], -v[229:230], v[231:232], 1.0
	v_fma_f64 v[231:232], v[231:232], v[233:234], v[231:232]
	s_delay_alu instid0(VALU_DEP_1) | instskip(NEXT) | instid1(VALU_DEP_1)
	v_fma_f64 v[233:234], -v[229:230], v[231:232], 1.0
	v_fma_f64 v[231:232], v[231:232], v[233:234], v[231:232]
	s_delay_alu instid0(VALU_DEP_1) | instskip(NEXT) | instid1(VALU_DEP_1)
	v_mul_f64 v[233:234], v[235:236], v[231:232]
	v_fma_f64 v[229:230], -v[229:230], v[233:234], v[235:236]
	s_delay_alu instid0(VALU_DEP_1) | instskip(NEXT) | instid1(VALU_DEP_1)
	v_div_fmas_f64 v[229:230], v[229:230], v[231:232], v[233:234]
	v_div_fixup_f64 v[229:230], v[229:230], v[214:215], v[212:213]
	s_delay_alu instid0(VALU_DEP_1) | instskip(NEXT) | instid1(VALU_DEP_1)
	v_fma_f64 v[212:213], v[212:213], v[229:230], v[214:215]
	v_div_scale_f64 v[214:215], null, v[212:213], v[212:213], 1.0
	s_delay_alu instid0(VALU_DEP_1) | instskip(SKIP_2) | instid1(VALU_DEP_1)
	v_rcp_f64_e32 v[231:232], v[214:215]
	s_waitcnt_depctr 0xfff
	v_fma_f64 v[233:234], -v[214:215], v[231:232], 1.0
	v_fma_f64 v[231:232], v[231:232], v[233:234], v[231:232]
	s_delay_alu instid0(VALU_DEP_1) | instskip(NEXT) | instid1(VALU_DEP_1)
	v_fma_f64 v[233:234], -v[214:215], v[231:232], 1.0
	v_fma_f64 v[231:232], v[231:232], v[233:234], v[231:232]
	v_div_scale_f64 v[233:234], vcc_lo, 1.0, v[212:213], 1.0
	s_delay_alu instid0(VALU_DEP_1) | instskip(NEXT) | instid1(VALU_DEP_1)
	v_mul_f64 v[235:236], v[233:234], v[231:232]
	v_fma_f64 v[214:215], -v[214:215], v[235:236], v[233:234]
	s_delay_alu instid0(VALU_DEP_1) | instskip(NEXT) | instid1(VALU_DEP_1)
	v_div_fmas_f64 v[214:215], v[214:215], v[231:232], v[235:236]
	v_div_fixup_f64 v[214:215], v[214:215], v[212:213], 1.0
	s_delay_alu instid0(VALU_DEP_1)
	v_mul_f64 v[212:213], v[229:230], v[214:215]
	v_xor_b32_e32 v215, 0x80000000, v215
.LBB104_826:
	s_and_not1_saveexec_b32 s2, s2
	s_cbranch_execz .LBB104_828
; %bb.827:
	s_delay_alu instid0(VALU_DEP_1) | instskip(SKIP_1) | instid1(VALU_DEP_2)
	v_div_scale_f64 v[229:230], null, v[212:213], v[212:213], v[214:215]
	v_div_scale_f64 v[235:236], vcc_lo, v[214:215], v[212:213], v[214:215]
	v_rcp_f64_e32 v[231:232], v[229:230]
	s_waitcnt_depctr 0xfff
	v_fma_f64 v[233:234], -v[229:230], v[231:232], 1.0
	s_delay_alu instid0(VALU_DEP_1) | instskip(NEXT) | instid1(VALU_DEP_1)
	v_fma_f64 v[231:232], v[231:232], v[233:234], v[231:232]
	v_fma_f64 v[233:234], -v[229:230], v[231:232], 1.0
	s_delay_alu instid0(VALU_DEP_1) | instskip(NEXT) | instid1(VALU_DEP_1)
	v_fma_f64 v[231:232], v[231:232], v[233:234], v[231:232]
	v_mul_f64 v[233:234], v[235:236], v[231:232]
	s_delay_alu instid0(VALU_DEP_1) | instskip(NEXT) | instid1(VALU_DEP_1)
	v_fma_f64 v[229:230], -v[229:230], v[233:234], v[235:236]
	v_div_fmas_f64 v[229:230], v[229:230], v[231:232], v[233:234]
	s_delay_alu instid0(VALU_DEP_1) | instskip(NEXT) | instid1(VALU_DEP_1)
	v_div_fixup_f64 v[229:230], v[229:230], v[212:213], v[214:215]
	v_fma_f64 v[212:213], v[214:215], v[229:230], v[212:213]
	s_delay_alu instid0(VALU_DEP_1) | instskip(NEXT) | instid1(VALU_DEP_1)
	v_div_scale_f64 v[214:215], null, v[212:213], v[212:213], 1.0
	v_rcp_f64_e32 v[231:232], v[214:215]
	s_waitcnt_depctr 0xfff
	v_fma_f64 v[233:234], -v[214:215], v[231:232], 1.0
	s_delay_alu instid0(VALU_DEP_1) | instskip(NEXT) | instid1(VALU_DEP_1)
	v_fma_f64 v[231:232], v[231:232], v[233:234], v[231:232]
	v_fma_f64 v[233:234], -v[214:215], v[231:232], 1.0
	s_delay_alu instid0(VALU_DEP_1) | instskip(SKIP_1) | instid1(VALU_DEP_1)
	v_fma_f64 v[231:232], v[231:232], v[233:234], v[231:232]
	v_div_scale_f64 v[233:234], vcc_lo, 1.0, v[212:213], 1.0
	v_mul_f64 v[235:236], v[233:234], v[231:232]
	s_delay_alu instid0(VALU_DEP_1) | instskip(NEXT) | instid1(VALU_DEP_1)
	v_fma_f64 v[214:215], -v[214:215], v[235:236], v[233:234]
	v_div_fmas_f64 v[214:215], v[214:215], v[231:232], v[235:236]
	s_delay_alu instid0(VALU_DEP_1) | instskip(NEXT) | instid1(VALU_DEP_1)
	v_div_fixup_f64 v[212:213], v[214:215], v[212:213], 1.0
	v_mul_f64 v[214:215], v[229:230], -v[212:213]
.LBB104_828:
	s_or_b32 exec_lo, exec_lo, s2
.LBB104_829:
	s_delay_alu instid0(SALU_CYCLE_1) | instskip(NEXT) | instid1(SALU_CYCLE_1)
	s_or_b32 exec_lo, exec_lo, s3
	s_mov_b32 s2, exec_lo
	v_cmpx_ne_u32_e64 v228, v220
	s_xor_b32 s2, exec_lo, s2
	s_cbranch_execz .LBB104_835
; %bb.830:
	s_mov_b32 s3, exec_lo
	v_cmpx_eq_u32_e32 39, v228
	s_cbranch_execz .LBB104_834
; %bb.831:
	v_cmp_ne_u32_e32 vcc_lo, 39, v220
	s_xor_b32 s6, s4, -1
	s_delay_alu instid0(SALU_CYCLE_1) | instskip(NEXT) | instid1(SALU_CYCLE_1)
	s_and_b32 s7, s6, vcc_lo
	s_and_saveexec_b32 s6, s7
	s_cbranch_execz .LBB104_833
; %bb.832:
	v_ashrrev_i32_e32 v221, 31, v220
	s_delay_alu instid0(VALU_DEP_1) | instskip(NEXT) | instid1(VALU_DEP_1)
	v_lshlrev_b64 v[227:228], 2, v[220:221]
	v_add_co_u32 v227, vcc_lo, v218, v227
	s_delay_alu instid0(VALU_DEP_2)
	v_add_co_ci_u32_e32 v228, vcc_lo, v219, v228, vcc_lo
	s_clause 0x1
	flat_load_b32 v221, v[227:228]
	flat_load_b32 v229, v[218:219] offset:156
	s_waitcnt vmcnt(1) lgkmcnt(1)
	flat_store_b32 v[218:219], v221 offset:156
	s_waitcnt vmcnt(0) lgkmcnt(1)
	flat_store_b32 v[227:228], v229
.LBB104_833:
	s_or_b32 exec_lo, exec_lo, s6
	v_mov_b32_e32 v228, v220
	v_mov_b32_e32 v227, v220
.LBB104_834:
	s_or_b32 exec_lo, exec_lo, s3
.LBB104_835:
	s_and_not1_saveexec_b32 s2, s2
	s_cbranch_execz .LBB104_837
; %bb.836:
	v_mov_b32_e32 v228, 39
	ds_store_2addr_b64 v222, v[48:49], v[50:51] offset0:80 offset1:81
	ds_store_2addr_b64 v222, v[44:45], v[46:47] offset0:82 offset1:83
	ds_store_2addr_b64 v222, v[40:41], v[42:43] offset0:84 offset1:85
	ds_store_2addr_b64 v222, v[36:37], v[38:39] offset0:86 offset1:87
	ds_store_2addr_b64 v222, v[32:33], v[34:35] offset0:88 offset1:89
	ds_store_2addr_b64 v222, v[28:29], v[30:31] offset0:90 offset1:91
	ds_store_2addr_b64 v222, v[24:25], v[26:27] offset0:92 offset1:93
	ds_store_2addr_b64 v222, v[20:21], v[22:23] offset0:94 offset1:95
	ds_store_2addr_b64 v222, v[16:17], v[18:19] offset0:96 offset1:97
	ds_store_2addr_b64 v222, v[12:13], v[14:15] offset0:98 offset1:99
	ds_store_2addr_b64 v222, v[8:9], v[10:11] offset0:100 offset1:101
	ds_store_2addr_b64 v222, v[4:5], v[6:7] offset0:102 offset1:103
	ds_store_2addr_b64 v222, v[0:1], v[2:3] offset0:104 offset1:105
.LBB104_837:
	s_or_b32 exec_lo, exec_lo, s2
	s_delay_alu instid0(SALU_CYCLE_1)
	s_mov_b32 s2, exec_lo
	s_waitcnt lgkmcnt(0)
	s_waitcnt_vscnt null, 0x0
	s_barrier
	buffer_gl0_inv
	v_cmpx_lt_i32_e32 39, v228
	s_cbranch_execz .LBB104_839
; %bb.838:
	v_mul_f64 v[220:221], v[212:213], v[54:55]
	v_mul_f64 v[54:55], v[214:215], v[54:55]
	s_delay_alu instid0(VALU_DEP_2) | instskip(NEXT) | instid1(VALU_DEP_2)
	v_fma_f64 v[220:221], v[214:215], v[52:53], v[220:221]
	v_fma_f64 v[52:53], v[212:213], v[52:53], -v[54:55]
	ds_load_2addr_b64 v[212:215], v222 offset0:80 offset1:81
	s_waitcnt lgkmcnt(0)
	v_mul_f64 v[54:55], v[214:215], v[220:221]
	s_delay_alu instid0(VALU_DEP_1) | instskip(SKIP_1) | instid1(VALU_DEP_2)
	v_fma_f64 v[54:55], v[212:213], v[52:53], -v[54:55]
	v_mul_f64 v[212:213], v[212:213], v[220:221]
	v_add_f64 v[48:49], v[48:49], -v[54:55]
	s_delay_alu instid0(VALU_DEP_2) | instskip(NEXT) | instid1(VALU_DEP_1)
	v_fma_f64 v[212:213], v[214:215], v[52:53], v[212:213]
	v_add_f64 v[50:51], v[50:51], -v[212:213]
	ds_load_2addr_b64 v[212:215], v222 offset0:82 offset1:83
	s_waitcnt lgkmcnt(0)
	v_mul_f64 v[54:55], v[214:215], v[220:221]
	s_delay_alu instid0(VALU_DEP_1) | instskip(SKIP_1) | instid1(VALU_DEP_2)
	v_fma_f64 v[54:55], v[212:213], v[52:53], -v[54:55]
	v_mul_f64 v[212:213], v[212:213], v[220:221]
	v_add_f64 v[44:45], v[44:45], -v[54:55]
	s_delay_alu instid0(VALU_DEP_2) | instskip(NEXT) | instid1(VALU_DEP_1)
	v_fma_f64 v[212:213], v[214:215], v[52:53], v[212:213]
	v_add_f64 v[46:47], v[46:47], -v[212:213]
	ds_load_2addr_b64 v[212:215], v222 offset0:84 offset1:85
	s_waitcnt lgkmcnt(0)
	v_mul_f64 v[54:55], v[214:215], v[220:221]
	s_delay_alu instid0(VALU_DEP_1) | instskip(SKIP_1) | instid1(VALU_DEP_2)
	v_fma_f64 v[54:55], v[212:213], v[52:53], -v[54:55]
	v_mul_f64 v[212:213], v[212:213], v[220:221]
	v_add_f64 v[40:41], v[40:41], -v[54:55]
	s_delay_alu instid0(VALU_DEP_2) | instskip(NEXT) | instid1(VALU_DEP_1)
	v_fma_f64 v[212:213], v[214:215], v[52:53], v[212:213]
	v_add_f64 v[42:43], v[42:43], -v[212:213]
	ds_load_2addr_b64 v[212:215], v222 offset0:86 offset1:87
	s_waitcnt lgkmcnt(0)
	v_mul_f64 v[54:55], v[214:215], v[220:221]
	s_delay_alu instid0(VALU_DEP_1) | instskip(SKIP_1) | instid1(VALU_DEP_2)
	v_fma_f64 v[54:55], v[212:213], v[52:53], -v[54:55]
	v_mul_f64 v[212:213], v[212:213], v[220:221]
	v_add_f64 v[36:37], v[36:37], -v[54:55]
	s_delay_alu instid0(VALU_DEP_2) | instskip(NEXT) | instid1(VALU_DEP_1)
	v_fma_f64 v[212:213], v[214:215], v[52:53], v[212:213]
	v_add_f64 v[38:39], v[38:39], -v[212:213]
	ds_load_2addr_b64 v[212:215], v222 offset0:88 offset1:89
	s_waitcnt lgkmcnt(0)
	v_mul_f64 v[54:55], v[214:215], v[220:221]
	s_delay_alu instid0(VALU_DEP_1) | instskip(SKIP_1) | instid1(VALU_DEP_2)
	v_fma_f64 v[54:55], v[212:213], v[52:53], -v[54:55]
	v_mul_f64 v[212:213], v[212:213], v[220:221]
	v_add_f64 v[32:33], v[32:33], -v[54:55]
	s_delay_alu instid0(VALU_DEP_2) | instskip(NEXT) | instid1(VALU_DEP_1)
	v_fma_f64 v[212:213], v[214:215], v[52:53], v[212:213]
	v_add_f64 v[34:35], v[34:35], -v[212:213]
	ds_load_2addr_b64 v[212:215], v222 offset0:90 offset1:91
	s_waitcnt lgkmcnt(0)
	v_mul_f64 v[54:55], v[214:215], v[220:221]
	s_delay_alu instid0(VALU_DEP_1) | instskip(SKIP_1) | instid1(VALU_DEP_2)
	v_fma_f64 v[54:55], v[212:213], v[52:53], -v[54:55]
	v_mul_f64 v[212:213], v[212:213], v[220:221]
	v_add_f64 v[28:29], v[28:29], -v[54:55]
	s_delay_alu instid0(VALU_DEP_2) | instskip(NEXT) | instid1(VALU_DEP_1)
	v_fma_f64 v[212:213], v[214:215], v[52:53], v[212:213]
	v_add_f64 v[30:31], v[30:31], -v[212:213]
	ds_load_2addr_b64 v[212:215], v222 offset0:92 offset1:93
	s_waitcnt lgkmcnt(0)
	v_mul_f64 v[54:55], v[214:215], v[220:221]
	s_delay_alu instid0(VALU_DEP_1) | instskip(SKIP_1) | instid1(VALU_DEP_2)
	v_fma_f64 v[54:55], v[212:213], v[52:53], -v[54:55]
	v_mul_f64 v[212:213], v[212:213], v[220:221]
	v_add_f64 v[24:25], v[24:25], -v[54:55]
	s_delay_alu instid0(VALU_DEP_2) | instskip(NEXT) | instid1(VALU_DEP_1)
	v_fma_f64 v[212:213], v[214:215], v[52:53], v[212:213]
	v_add_f64 v[26:27], v[26:27], -v[212:213]
	ds_load_2addr_b64 v[212:215], v222 offset0:94 offset1:95
	s_waitcnt lgkmcnt(0)
	v_mul_f64 v[54:55], v[214:215], v[220:221]
	s_delay_alu instid0(VALU_DEP_1) | instskip(SKIP_1) | instid1(VALU_DEP_2)
	v_fma_f64 v[54:55], v[212:213], v[52:53], -v[54:55]
	v_mul_f64 v[212:213], v[212:213], v[220:221]
	v_add_f64 v[20:21], v[20:21], -v[54:55]
	s_delay_alu instid0(VALU_DEP_2) | instskip(NEXT) | instid1(VALU_DEP_1)
	v_fma_f64 v[212:213], v[214:215], v[52:53], v[212:213]
	v_add_f64 v[22:23], v[22:23], -v[212:213]
	ds_load_2addr_b64 v[212:215], v222 offset0:96 offset1:97
	s_waitcnt lgkmcnt(0)
	v_mul_f64 v[54:55], v[214:215], v[220:221]
	s_delay_alu instid0(VALU_DEP_1) | instskip(SKIP_1) | instid1(VALU_DEP_2)
	v_fma_f64 v[54:55], v[212:213], v[52:53], -v[54:55]
	v_mul_f64 v[212:213], v[212:213], v[220:221]
	v_add_f64 v[16:17], v[16:17], -v[54:55]
	s_delay_alu instid0(VALU_DEP_2) | instskip(NEXT) | instid1(VALU_DEP_1)
	v_fma_f64 v[212:213], v[214:215], v[52:53], v[212:213]
	v_add_f64 v[18:19], v[18:19], -v[212:213]
	ds_load_2addr_b64 v[212:215], v222 offset0:98 offset1:99
	s_waitcnt lgkmcnt(0)
	v_mul_f64 v[54:55], v[214:215], v[220:221]
	s_delay_alu instid0(VALU_DEP_1) | instskip(SKIP_1) | instid1(VALU_DEP_2)
	v_fma_f64 v[54:55], v[212:213], v[52:53], -v[54:55]
	v_mul_f64 v[212:213], v[212:213], v[220:221]
	v_add_f64 v[12:13], v[12:13], -v[54:55]
	s_delay_alu instid0(VALU_DEP_2) | instskip(NEXT) | instid1(VALU_DEP_1)
	v_fma_f64 v[212:213], v[214:215], v[52:53], v[212:213]
	v_add_f64 v[14:15], v[14:15], -v[212:213]
	ds_load_2addr_b64 v[212:215], v222 offset0:100 offset1:101
	s_waitcnt lgkmcnt(0)
	v_mul_f64 v[54:55], v[214:215], v[220:221]
	s_delay_alu instid0(VALU_DEP_1) | instskip(SKIP_1) | instid1(VALU_DEP_2)
	v_fma_f64 v[54:55], v[212:213], v[52:53], -v[54:55]
	v_mul_f64 v[212:213], v[212:213], v[220:221]
	v_add_f64 v[8:9], v[8:9], -v[54:55]
	s_delay_alu instid0(VALU_DEP_2) | instskip(NEXT) | instid1(VALU_DEP_1)
	v_fma_f64 v[212:213], v[214:215], v[52:53], v[212:213]
	v_add_f64 v[10:11], v[10:11], -v[212:213]
	ds_load_2addr_b64 v[212:215], v222 offset0:102 offset1:103
	s_waitcnt lgkmcnt(0)
	v_mul_f64 v[54:55], v[214:215], v[220:221]
	s_delay_alu instid0(VALU_DEP_1) | instskip(SKIP_1) | instid1(VALU_DEP_2)
	v_fma_f64 v[54:55], v[212:213], v[52:53], -v[54:55]
	v_mul_f64 v[212:213], v[212:213], v[220:221]
	v_add_f64 v[4:5], v[4:5], -v[54:55]
	s_delay_alu instid0(VALU_DEP_2) | instskip(NEXT) | instid1(VALU_DEP_1)
	v_fma_f64 v[212:213], v[214:215], v[52:53], v[212:213]
	v_add_f64 v[6:7], v[6:7], -v[212:213]
	ds_load_2addr_b64 v[212:215], v222 offset0:104 offset1:105
	s_waitcnt lgkmcnt(0)
	v_mul_f64 v[54:55], v[214:215], v[220:221]
	s_delay_alu instid0(VALU_DEP_1) | instskip(SKIP_1) | instid1(VALU_DEP_2)
	v_fma_f64 v[54:55], v[212:213], v[52:53], -v[54:55]
	v_mul_f64 v[212:213], v[212:213], v[220:221]
	v_add_f64 v[0:1], v[0:1], -v[54:55]
	s_delay_alu instid0(VALU_DEP_2) | instskip(SKIP_1) | instid1(VALU_DEP_2)
	v_fma_f64 v[212:213], v[214:215], v[52:53], v[212:213]
	v_dual_mov_b32 v54, v220 :: v_dual_mov_b32 v55, v221
	v_add_f64 v[2:3], v[2:3], -v[212:213]
.LBB104_839:
	s_or_b32 exec_lo, exec_lo, s2
	v_lshl_add_u32 v212, v228, 4, v222
	s_barrier
	buffer_gl0_inv
	v_mov_b32_e32 v220, 40
	ds_store_2addr_b64 v212, v[48:49], v[50:51] offset1:1
	s_waitcnt lgkmcnt(0)
	s_barrier
	buffer_gl0_inv
	ds_load_2addr_b64 v[212:215], v222 offset0:80 offset1:81
	s_cmp_lt_i32 s5, 42
	s_cbranch_scc1 .LBB104_842
; %bb.840:
	v_add3_u32 v221, v226, 0, 0x290
	v_mov_b32_e32 v220, 40
	s_mov_b32 s6, 41
	s_set_inst_prefetch_distance 0x1
	.p2align	6
.LBB104_841:                            ; =>This Inner Loop Header: Depth=1
	ds_load_2addr_b64 v[229:232], v221 offset1:1
	s_waitcnt lgkmcnt(1)
	v_cmp_gt_f64_e32 vcc_lo, 0, v[212:213]
	v_xor_b32_e32 v233, 0x80000000, v213
	v_cmp_gt_f64_e64 s2, 0, v[214:215]
	v_xor_b32_e32 v235, 0x80000000, v215
	v_add_nc_u32_e32 v221, 16, v221
	s_waitcnt lgkmcnt(0)
	v_cmp_gt_f64_e64 s3, 0, v[229:230]
	v_mov_b32_e32 v237, v229
	v_dual_mov_b32 v239, v231 :: v_dual_cndmask_b32 v234, v213, v233
	v_xor_b32_e32 v233, 0x80000000, v230
	v_cndmask_b32_e64 v236, v215, v235, s2
	v_xor_b32_e32 v235, 0x80000000, v232
	s_delay_alu instid0(VALU_DEP_3) | instskip(SKIP_2) | instid1(VALU_DEP_2)
	v_cndmask_b32_e64 v238, v230, v233, s3
	v_cmp_gt_f64_e64 s3, 0, v[231:232]
	v_cndmask_b32_e32 v233, v212, v212, vcc_lo
	v_cndmask_b32_e64 v240, v232, v235, s3
	v_cndmask_b32_e64 v235, v214, v214, s2
	s_delay_alu instid0(VALU_DEP_2) | instskip(NEXT) | instid1(VALU_DEP_2)
	v_add_f64 v[237:238], v[237:238], v[239:240]
	v_add_f64 v[233:234], v[233:234], v[235:236]
	s_delay_alu instid0(VALU_DEP_1) | instskip(SKIP_4) | instid1(SALU_CYCLE_1)
	v_cmp_lt_f64_e32 vcc_lo, v[233:234], v[237:238]
	v_dual_cndmask_b32 v214, v214, v231 :: v_dual_cndmask_b32 v213, v213, v230
	v_dual_cndmask_b32 v212, v212, v229 :: v_dual_cndmask_b32 v215, v215, v232
	v_cndmask_b32_e64 v220, v220, s6, vcc_lo
	s_add_i32 s6, s6, 1
	s_cmp_lg_u32 s5, s6
	s_cbranch_scc1 .LBB104_841
.LBB104_842:
	s_set_inst_prefetch_distance 0x2
	s_waitcnt lgkmcnt(0)
	v_cmp_eq_f64_e32 vcc_lo, 0, v[212:213]
	v_cmp_eq_f64_e64 s2, 0, v[214:215]
	s_delay_alu instid0(VALU_DEP_1) | instskip(NEXT) | instid1(SALU_CYCLE_1)
	s_and_b32 s2, vcc_lo, s2
	s_and_saveexec_b32 s3, s2
	s_delay_alu instid0(SALU_CYCLE_1)
	s_xor_b32 s2, exec_lo, s3
; %bb.843:
	v_cmp_ne_u32_e32 vcc_lo, 0, v225
	v_cndmask_b32_e32 v225, 41, v225, vcc_lo
; %bb.844:
	s_and_not1_saveexec_b32 s3, s2
	s_cbranch_execz .LBB104_850
; %bb.845:
	v_cmp_gt_f64_e32 vcc_lo, 0, v[212:213]
	v_cmp_gt_f64_e64 s2, 0, v[214:215]
	v_xor_b32_e32 v221, 0x80000000, v213
	v_xor_b32_e32 v229, 0x80000000, v215
	s_delay_alu instid0(VALU_DEP_2) | instskip(NEXT) | instid1(VALU_DEP_2)
	v_cndmask_b32_e32 v230, v213, v221, vcc_lo
	v_cndmask_b32_e64 v232, v215, v229, s2
	v_cndmask_b32_e32 v229, v212, v212, vcc_lo
	v_cndmask_b32_e64 v231, v214, v214, s2
	s_mov_b32 s2, exec_lo
	s_delay_alu instid0(VALU_DEP_1)
	v_cmpx_ngt_f64_e32 v[229:230], v[231:232]
	s_xor_b32 s2, exec_lo, s2
	s_cbranch_execz .LBB104_847
; %bb.846:
	v_div_scale_f64 v[229:230], null, v[214:215], v[214:215], v[212:213]
	v_div_scale_f64 v[235:236], vcc_lo, v[212:213], v[214:215], v[212:213]
	s_delay_alu instid0(VALU_DEP_2) | instskip(SKIP_2) | instid1(VALU_DEP_1)
	v_rcp_f64_e32 v[231:232], v[229:230]
	s_waitcnt_depctr 0xfff
	v_fma_f64 v[233:234], -v[229:230], v[231:232], 1.0
	v_fma_f64 v[231:232], v[231:232], v[233:234], v[231:232]
	s_delay_alu instid0(VALU_DEP_1) | instskip(NEXT) | instid1(VALU_DEP_1)
	v_fma_f64 v[233:234], -v[229:230], v[231:232], 1.0
	v_fma_f64 v[231:232], v[231:232], v[233:234], v[231:232]
	s_delay_alu instid0(VALU_DEP_1) | instskip(NEXT) | instid1(VALU_DEP_1)
	v_mul_f64 v[233:234], v[235:236], v[231:232]
	v_fma_f64 v[229:230], -v[229:230], v[233:234], v[235:236]
	s_delay_alu instid0(VALU_DEP_1) | instskip(NEXT) | instid1(VALU_DEP_1)
	v_div_fmas_f64 v[229:230], v[229:230], v[231:232], v[233:234]
	v_div_fixup_f64 v[229:230], v[229:230], v[214:215], v[212:213]
	s_delay_alu instid0(VALU_DEP_1) | instskip(NEXT) | instid1(VALU_DEP_1)
	v_fma_f64 v[212:213], v[212:213], v[229:230], v[214:215]
	v_div_scale_f64 v[214:215], null, v[212:213], v[212:213], 1.0
	s_delay_alu instid0(VALU_DEP_1) | instskip(SKIP_2) | instid1(VALU_DEP_1)
	v_rcp_f64_e32 v[231:232], v[214:215]
	s_waitcnt_depctr 0xfff
	v_fma_f64 v[233:234], -v[214:215], v[231:232], 1.0
	v_fma_f64 v[231:232], v[231:232], v[233:234], v[231:232]
	s_delay_alu instid0(VALU_DEP_1) | instskip(NEXT) | instid1(VALU_DEP_1)
	v_fma_f64 v[233:234], -v[214:215], v[231:232], 1.0
	v_fma_f64 v[231:232], v[231:232], v[233:234], v[231:232]
	v_div_scale_f64 v[233:234], vcc_lo, 1.0, v[212:213], 1.0
	s_delay_alu instid0(VALU_DEP_1) | instskip(NEXT) | instid1(VALU_DEP_1)
	v_mul_f64 v[235:236], v[233:234], v[231:232]
	v_fma_f64 v[214:215], -v[214:215], v[235:236], v[233:234]
	s_delay_alu instid0(VALU_DEP_1) | instskip(NEXT) | instid1(VALU_DEP_1)
	v_div_fmas_f64 v[214:215], v[214:215], v[231:232], v[235:236]
	v_div_fixup_f64 v[214:215], v[214:215], v[212:213], 1.0
	s_delay_alu instid0(VALU_DEP_1)
	v_mul_f64 v[212:213], v[229:230], v[214:215]
	v_xor_b32_e32 v215, 0x80000000, v215
.LBB104_847:
	s_and_not1_saveexec_b32 s2, s2
	s_cbranch_execz .LBB104_849
; %bb.848:
	s_delay_alu instid0(VALU_DEP_1) | instskip(SKIP_1) | instid1(VALU_DEP_2)
	v_div_scale_f64 v[229:230], null, v[212:213], v[212:213], v[214:215]
	v_div_scale_f64 v[235:236], vcc_lo, v[214:215], v[212:213], v[214:215]
	v_rcp_f64_e32 v[231:232], v[229:230]
	s_waitcnt_depctr 0xfff
	v_fma_f64 v[233:234], -v[229:230], v[231:232], 1.0
	s_delay_alu instid0(VALU_DEP_1) | instskip(NEXT) | instid1(VALU_DEP_1)
	v_fma_f64 v[231:232], v[231:232], v[233:234], v[231:232]
	v_fma_f64 v[233:234], -v[229:230], v[231:232], 1.0
	s_delay_alu instid0(VALU_DEP_1) | instskip(NEXT) | instid1(VALU_DEP_1)
	v_fma_f64 v[231:232], v[231:232], v[233:234], v[231:232]
	v_mul_f64 v[233:234], v[235:236], v[231:232]
	s_delay_alu instid0(VALU_DEP_1) | instskip(NEXT) | instid1(VALU_DEP_1)
	v_fma_f64 v[229:230], -v[229:230], v[233:234], v[235:236]
	v_div_fmas_f64 v[229:230], v[229:230], v[231:232], v[233:234]
	s_delay_alu instid0(VALU_DEP_1) | instskip(NEXT) | instid1(VALU_DEP_1)
	v_div_fixup_f64 v[229:230], v[229:230], v[212:213], v[214:215]
	v_fma_f64 v[212:213], v[214:215], v[229:230], v[212:213]
	s_delay_alu instid0(VALU_DEP_1) | instskip(NEXT) | instid1(VALU_DEP_1)
	v_div_scale_f64 v[214:215], null, v[212:213], v[212:213], 1.0
	v_rcp_f64_e32 v[231:232], v[214:215]
	s_waitcnt_depctr 0xfff
	v_fma_f64 v[233:234], -v[214:215], v[231:232], 1.0
	s_delay_alu instid0(VALU_DEP_1) | instskip(NEXT) | instid1(VALU_DEP_1)
	v_fma_f64 v[231:232], v[231:232], v[233:234], v[231:232]
	v_fma_f64 v[233:234], -v[214:215], v[231:232], 1.0
	s_delay_alu instid0(VALU_DEP_1) | instskip(SKIP_1) | instid1(VALU_DEP_1)
	v_fma_f64 v[231:232], v[231:232], v[233:234], v[231:232]
	v_div_scale_f64 v[233:234], vcc_lo, 1.0, v[212:213], 1.0
	v_mul_f64 v[235:236], v[233:234], v[231:232]
	s_delay_alu instid0(VALU_DEP_1) | instskip(NEXT) | instid1(VALU_DEP_1)
	v_fma_f64 v[214:215], -v[214:215], v[235:236], v[233:234]
	v_div_fmas_f64 v[214:215], v[214:215], v[231:232], v[235:236]
	s_delay_alu instid0(VALU_DEP_1) | instskip(NEXT) | instid1(VALU_DEP_1)
	v_div_fixup_f64 v[212:213], v[214:215], v[212:213], 1.0
	v_mul_f64 v[214:215], v[229:230], -v[212:213]
.LBB104_849:
	s_or_b32 exec_lo, exec_lo, s2
.LBB104_850:
	s_delay_alu instid0(SALU_CYCLE_1) | instskip(NEXT) | instid1(SALU_CYCLE_1)
	s_or_b32 exec_lo, exec_lo, s3
	s_mov_b32 s2, exec_lo
	v_cmpx_ne_u32_e64 v228, v220
	s_xor_b32 s2, exec_lo, s2
	s_cbranch_execz .LBB104_856
; %bb.851:
	s_mov_b32 s3, exec_lo
	v_cmpx_eq_u32_e32 40, v228
	s_cbranch_execz .LBB104_855
; %bb.852:
	v_cmp_ne_u32_e32 vcc_lo, 40, v220
	s_xor_b32 s6, s4, -1
	s_delay_alu instid0(SALU_CYCLE_1) | instskip(NEXT) | instid1(SALU_CYCLE_1)
	s_and_b32 s7, s6, vcc_lo
	s_and_saveexec_b32 s6, s7
	s_cbranch_execz .LBB104_854
; %bb.853:
	v_ashrrev_i32_e32 v221, 31, v220
	s_delay_alu instid0(VALU_DEP_1) | instskip(NEXT) | instid1(VALU_DEP_1)
	v_lshlrev_b64 v[227:228], 2, v[220:221]
	v_add_co_u32 v227, vcc_lo, v218, v227
	s_delay_alu instid0(VALU_DEP_2)
	v_add_co_ci_u32_e32 v228, vcc_lo, v219, v228, vcc_lo
	s_clause 0x1
	flat_load_b32 v221, v[227:228]
	flat_load_b32 v229, v[218:219] offset:160
	s_waitcnt vmcnt(1) lgkmcnt(1)
	flat_store_b32 v[218:219], v221 offset:160
	s_waitcnt vmcnt(0) lgkmcnt(1)
	flat_store_b32 v[227:228], v229
.LBB104_854:
	s_or_b32 exec_lo, exec_lo, s6
	v_mov_b32_e32 v228, v220
	v_mov_b32_e32 v227, v220
.LBB104_855:
	s_or_b32 exec_lo, exec_lo, s3
.LBB104_856:
	s_and_not1_saveexec_b32 s2, s2
	s_cbranch_execz .LBB104_858
; %bb.857:
	v_mov_b32_e32 v228, 40
	ds_store_2addr_b64 v222, v[44:45], v[46:47] offset0:82 offset1:83
	ds_store_2addr_b64 v222, v[40:41], v[42:43] offset0:84 offset1:85
	;; [unrolled: 1-line block ×12, first 2 shown]
.LBB104_858:
	s_or_b32 exec_lo, exec_lo, s2
	s_delay_alu instid0(SALU_CYCLE_1)
	s_mov_b32 s2, exec_lo
	s_waitcnt lgkmcnt(0)
	s_waitcnt_vscnt null, 0x0
	s_barrier
	buffer_gl0_inv
	v_cmpx_lt_i32_e32 40, v228
	s_cbranch_execz .LBB104_860
; %bb.859:
	v_mul_f64 v[220:221], v[212:213], v[50:51]
	v_mul_f64 v[50:51], v[214:215], v[50:51]
	s_delay_alu instid0(VALU_DEP_2) | instskip(NEXT) | instid1(VALU_DEP_2)
	v_fma_f64 v[220:221], v[214:215], v[48:49], v[220:221]
	v_fma_f64 v[48:49], v[212:213], v[48:49], -v[50:51]
	ds_load_2addr_b64 v[212:215], v222 offset0:82 offset1:83
	s_waitcnt lgkmcnt(0)
	v_mul_f64 v[50:51], v[214:215], v[220:221]
	s_delay_alu instid0(VALU_DEP_1) | instskip(SKIP_1) | instid1(VALU_DEP_2)
	v_fma_f64 v[50:51], v[212:213], v[48:49], -v[50:51]
	v_mul_f64 v[212:213], v[212:213], v[220:221]
	v_add_f64 v[44:45], v[44:45], -v[50:51]
	s_delay_alu instid0(VALU_DEP_2) | instskip(NEXT) | instid1(VALU_DEP_1)
	v_fma_f64 v[212:213], v[214:215], v[48:49], v[212:213]
	v_add_f64 v[46:47], v[46:47], -v[212:213]
	ds_load_2addr_b64 v[212:215], v222 offset0:84 offset1:85
	s_waitcnt lgkmcnt(0)
	v_mul_f64 v[50:51], v[214:215], v[220:221]
	s_delay_alu instid0(VALU_DEP_1) | instskip(SKIP_1) | instid1(VALU_DEP_2)
	v_fma_f64 v[50:51], v[212:213], v[48:49], -v[50:51]
	v_mul_f64 v[212:213], v[212:213], v[220:221]
	v_add_f64 v[40:41], v[40:41], -v[50:51]
	s_delay_alu instid0(VALU_DEP_2) | instskip(NEXT) | instid1(VALU_DEP_1)
	v_fma_f64 v[212:213], v[214:215], v[48:49], v[212:213]
	v_add_f64 v[42:43], v[42:43], -v[212:213]
	ds_load_2addr_b64 v[212:215], v222 offset0:86 offset1:87
	s_waitcnt lgkmcnt(0)
	v_mul_f64 v[50:51], v[214:215], v[220:221]
	s_delay_alu instid0(VALU_DEP_1) | instskip(SKIP_1) | instid1(VALU_DEP_2)
	v_fma_f64 v[50:51], v[212:213], v[48:49], -v[50:51]
	v_mul_f64 v[212:213], v[212:213], v[220:221]
	v_add_f64 v[36:37], v[36:37], -v[50:51]
	s_delay_alu instid0(VALU_DEP_2) | instskip(NEXT) | instid1(VALU_DEP_1)
	v_fma_f64 v[212:213], v[214:215], v[48:49], v[212:213]
	v_add_f64 v[38:39], v[38:39], -v[212:213]
	ds_load_2addr_b64 v[212:215], v222 offset0:88 offset1:89
	s_waitcnt lgkmcnt(0)
	v_mul_f64 v[50:51], v[214:215], v[220:221]
	s_delay_alu instid0(VALU_DEP_1) | instskip(SKIP_1) | instid1(VALU_DEP_2)
	v_fma_f64 v[50:51], v[212:213], v[48:49], -v[50:51]
	v_mul_f64 v[212:213], v[212:213], v[220:221]
	v_add_f64 v[32:33], v[32:33], -v[50:51]
	s_delay_alu instid0(VALU_DEP_2) | instskip(NEXT) | instid1(VALU_DEP_1)
	v_fma_f64 v[212:213], v[214:215], v[48:49], v[212:213]
	v_add_f64 v[34:35], v[34:35], -v[212:213]
	ds_load_2addr_b64 v[212:215], v222 offset0:90 offset1:91
	s_waitcnt lgkmcnt(0)
	v_mul_f64 v[50:51], v[214:215], v[220:221]
	s_delay_alu instid0(VALU_DEP_1) | instskip(SKIP_1) | instid1(VALU_DEP_2)
	v_fma_f64 v[50:51], v[212:213], v[48:49], -v[50:51]
	v_mul_f64 v[212:213], v[212:213], v[220:221]
	v_add_f64 v[28:29], v[28:29], -v[50:51]
	s_delay_alu instid0(VALU_DEP_2) | instskip(NEXT) | instid1(VALU_DEP_1)
	v_fma_f64 v[212:213], v[214:215], v[48:49], v[212:213]
	v_add_f64 v[30:31], v[30:31], -v[212:213]
	ds_load_2addr_b64 v[212:215], v222 offset0:92 offset1:93
	s_waitcnt lgkmcnt(0)
	v_mul_f64 v[50:51], v[214:215], v[220:221]
	s_delay_alu instid0(VALU_DEP_1) | instskip(SKIP_1) | instid1(VALU_DEP_2)
	v_fma_f64 v[50:51], v[212:213], v[48:49], -v[50:51]
	v_mul_f64 v[212:213], v[212:213], v[220:221]
	v_add_f64 v[24:25], v[24:25], -v[50:51]
	s_delay_alu instid0(VALU_DEP_2) | instskip(NEXT) | instid1(VALU_DEP_1)
	v_fma_f64 v[212:213], v[214:215], v[48:49], v[212:213]
	v_add_f64 v[26:27], v[26:27], -v[212:213]
	ds_load_2addr_b64 v[212:215], v222 offset0:94 offset1:95
	s_waitcnt lgkmcnt(0)
	v_mul_f64 v[50:51], v[214:215], v[220:221]
	s_delay_alu instid0(VALU_DEP_1) | instskip(SKIP_1) | instid1(VALU_DEP_2)
	v_fma_f64 v[50:51], v[212:213], v[48:49], -v[50:51]
	v_mul_f64 v[212:213], v[212:213], v[220:221]
	v_add_f64 v[20:21], v[20:21], -v[50:51]
	s_delay_alu instid0(VALU_DEP_2) | instskip(NEXT) | instid1(VALU_DEP_1)
	v_fma_f64 v[212:213], v[214:215], v[48:49], v[212:213]
	v_add_f64 v[22:23], v[22:23], -v[212:213]
	ds_load_2addr_b64 v[212:215], v222 offset0:96 offset1:97
	s_waitcnt lgkmcnt(0)
	v_mul_f64 v[50:51], v[214:215], v[220:221]
	s_delay_alu instid0(VALU_DEP_1) | instskip(SKIP_1) | instid1(VALU_DEP_2)
	v_fma_f64 v[50:51], v[212:213], v[48:49], -v[50:51]
	v_mul_f64 v[212:213], v[212:213], v[220:221]
	v_add_f64 v[16:17], v[16:17], -v[50:51]
	s_delay_alu instid0(VALU_DEP_2) | instskip(NEXT) | instid1(VALU_DEP_1)
	v_fma_f64 v[212:213], v[214:215], v[48:49], v[212:213]
	v_add_f64 v[18:19], v[18:19], -v[212:213]
	ds_load_2addr_b64 v[212:215], v222 offset0:98 offset1:99
	s_waitcnt lgkmcnt(0)
	v_mul_f64 v[50:51], v[214:215], v[220:221]
	s_delay_alu instid0(VALU_DEP_1) | instskip(SKIP_1) | instid1(VALU_DEP_2)
	v_fma_f64 v[50:51], v[212:213], v[48:49], -v[50:51]
	v_mul_f64 v[212:213], v[212:213], v[220:221]
	v_add_f64 v[12:13], v[12:13], -v[50:51]
	s_delay_alu instid0(VALU_DEP_2) | instskip(NEXT) | instid1(VALU_DEP_1)
	v_fma_f64 v[212:213], v[214:215], v[48:49], v[212:213]
	v_add_f64 v[14:15], v[14:15], -v[212:213]
	ds_load_2addr_b64 v[212:215], v222 offset0:100 offset1:101
	s_waitcnt lgkmcnt(0)
	v_mul_f64 v[50:51], v[214:215], v[220:221]
	s_delay_alu instid0(VALU_DEP_1) | instskip(SKIP_1) | instid1(VALU_DEP_2)
	v_fma_f64 v[50:51], v[212:213], v[48:49], -v[50:51]
	v_mul_f64 v[212:213], v[212:213], v[220:221]
	v_add_f64 v[8:9], v[8:9], -v[50:51]
	s_delay_alu instid0(VALU_DEP_2) | instskip(NEXT) | instid1(VALU_DEP_1)
	v_fma_f64 v[212:213], v[214:215], v[48:49], v[212:213]
	v_add_f64 v[10:11], v[10:11], -v[212:213]
	ds_load_2addr_b64 v[212:215], v222 offset0:102 offset1:103
	s_waitcnt lgkmcnt(0)
	v_mul_f64 v[50:51], v[214:215], v[220:221]
	s_delay_alu instid0(VALU_DEP_1) | instskip(SKIP_1) | instid1(VALU_DEP_2)
	v_fma_f64 v[50:51], v[212:213], v[48:49], -v[50:51]
	v_mul_f64 v[212:213], v[212:213], v[220:221]
	v_add_f64 v[4:5], v[4:5], -v[50:51]
	s_delay_alu instid0(VALU_DEP_2) | instskip(NEXT) | instid1(VALU_DEP_1)
	v_fma_f64 v[212:213], v[214:215], v[48:49], v[212:213]
	v_add_f64 v[6:7], v[6:7], -v[212:213]
	ds_load_2addr_b64 v[212:215], v222 offset0:104 offset1:105
	s_waitcnt lgkmcnt(0)
	v_mul_f64 v[50:51], v[214:215], v[220:221]
	s_delay_alu instid0(VALU_DEP_1) | instskip(SKIP_1) | instid1(VALU_DEP_2)
	v_fma_f64 v[50:51], v[212:213], v[48:49], -v[50:51]
	v_mul_f64 v[212:213], v[212:213], v[220:221]
	v_add_f64 v[0:1], v[0:1], -v[50:51]
	s_delay_alu instid0(VALU_DEP_2) | instskip(SKIP_1) | instid1(VALU_DEP_2)
	v_fma_f64 v[212:213], v[214:215], v[48:49], v[212:213]
	v_dual_mov_b32 v50, v220 :: v_dual_mov_b32 v51, v221
	v_add_f64 v[2:3], v[2:3], -v[212:213]
.LBB104_860:
	s_or_b32 exec_lo, exec_lo, s2
	v_lshl_add_u32 v212, v228, 4, v222
	s_barrier
	buffer_gl0_inv
	v_mov_b32_e32 v220, 41
	ds_store_2addr_b64 v212, v[44:45], v[46:47] offset1:1
	s_waitcnt lgkmcnt(0)
	s_barrier
	buffer_gl0_inv
	ds_load_2addr_b64 v[212:215], v222 offset0:82 offset1:83
	s_cmp_lt_i32 s5, 43
	s_cbranch_scc1 .LBB104_863
; %bb.861:
	v_add3_u32 v221, v226, 0, 0x2a0
	v_mov_b32_e32 v220, 41
	s_mov_b32 s6, 42
	s_set_inst_prefetch_distance 0x1
	.p2align	6
.LBB104_862:                            ; =>This Inner Loop Header: Depth=1
	ds_load_2addr_b64 v[229:232], v221 offset1:1
	s_waitcnt lgkmcnt(1)
	v_cmp_gt_f64_e32 vcc_lo, 0, v[212:213]
	v_xor_b32_e32 v233, 0x80000000, v213
	v_cmp_gt_f64_e64 s2, 0, v[214:215]
	v_xor_b32_e32 v235, 0x80000000, v215
	v_add_nc_u32_e32 v221, 16, v221
	s_waitcnt lgkmcnt(0)
	v_cmp_gt_f64_e64 s3, 0, v[229:230]
	v_mov_b32_e32 v237, v229
	v_dual_mov_b32 v239, v231 :: v_dual_cndmask_b32 v234, v213, v233
	v_xor_b32_e32 v233, 0x80000000, v230
	v_cndmask_b32_e64 v236, v215, v235, s2
	v_xor_b32_e32 v235, 0x80000000, v232
	s_delay_alu instid0(VALU_DEP_3) | instskip(SKIP_2) | instid1(VALU_DEP_2)
	v_cndmask_b32_e64 v238, v230, v233, s3
	v_cmp_gt_f64_e64 s3, 0, v[231:232]
	v_cndmask_b32_e32 v233, v212, v212, vcc_lo
	v_cndmask_b32_e64 v240, v232, v235, s3
	v_cndmask_b32_e64 v235, v214, v214, s2
	s_delay_alu instid0(VALU_DEP_2) | instskip(NEXT) | instid1(VALU_DEP_2)
	v_add_f64 v[237:238], v[237:238], v[239:240]
	v_add_f64 v[233:234], v[233:234], v[235:236]
	s_delay_alu instid0(VALU_DEP_1) | instskip(SKIP_4) | instid1(SALU_CYCLE_1)
	v_cmp_lt_f64_e32 vcc_lo, v[233:234], v[237:238]
	v_dual_cndmask_b32 v214, v214, v231 :: v_dual_cndmask_b32 v213, v213, v230
	v_dual_cndmask_b32 v212, v212, v229 :: v_dual_cndmask_b32 v215, v215, v232
	v_cndmask_b32_e64 v220, v220, s6, vcc_lo
	s_add_i32 s6, s6, 1
	s_cmp_lg_u32 s5, s6
	s_cbranch_scc1 .LBB104_862
.LBB104_863:
	s_set_inst_prefetch_distance 0x2
	s_waitcnt lgkmcnt(0)
	v_cmp_eq_f64_e32 vcc_lo, 0, v[212:213]
	v_cmp_eq_f64_e64 s2, 0, v[214:215]
	s_delay_alu instid0(VALU_DEP_1) | instskip(NEXT) | instid1(SALU_CYCLE_1)
	s_and_b32 s2, vcc_lo, s2
	s_and_saveexec_b32 s3, s2
	s_delay_alu instid0(SALU_CYCLE_1)
	s_xor_b32 s2, exec_lo, s3
; %bb.864:
	v_cmp_ne_u32_e32 vcc_lo, 0, v225
	v_cndmask_b32_e32 v225, 42, v225, vcc_lo
; %bb.865:
	s_and_not1_saveexec_b32 s3, s2
	s_cbranch_execz .LBB104_871
; %bb.866:
	v_cmp_gt_f64_e32 vcc_lo, 0, v[212:213]
	v_cmp_gt_f64_e64 s2, 0, v[214:215]
	v_xor_b32_e32 v221, 0x80000000, v213
	v_xor_b32_e32 v229, 0x80000000, v215
	s_delay_alu instid0(VALU_DEP_2) | instskip(NEXT) | instid1(VALU_DEP_2)
	v_cndmask_b32_e32 v230, v213, v221, vcc_lo
	v_cndmask_b32_e64 v232, v215, v229, s2
	v_cndmask_b32_e32 v229, v212, v212, vcc_lo
	v_cndmask_b32_e64 v231, v214, v214, s2
	s_mov_b32 s2, exec_lo
	s_delay_alu instid0(VALU_DEP_1)
	v_cmpx_ngt_f64_e32 v[229:230], v[231:232]
	s_xor_b32 s2, exec_lo, s2
	s_cbranch_execz .LBB104_868
; %bb.867:
	v_div_scale_f64 v[229:230], null, v[214:215], v[214:215], v[212:213]
	v_div_scale_f64 v[235:236], vcc_lo, v[212:213], v[214:215], v[212:213]
	s_delay_alu instid0(VALU_DEP_2) | instskip(SKIP_2) | instid1(VALU_DEP_1)
	v_rcp_f64_e32 v[231:232], v[229:230]
	s_waitcnt_depctr 0xfff
	v_fma_f64 v[233:234], -v[229:230], v[231:232], 1.0
	v_fma_f64 v[231:232], v[231:232], v[233:234], v[231:232]
	s_delay_alu instid0(VALU_DEP_1) | instskip(NEXT) | instid1(VALU_DEP_1)
	v_fma_f64 v[233:234], -v[229:230], v[231:232], 1.0
	v_fma_f64 v[231:232], v[231:232], v[233:234], v[231:232]
	s_delay_alu instid0(VALU_DEP_1) | instskip(NEXT) | instid1(VALU_DEP_1)
	v_mul_f64 v[233:234], v[235:236], v[231:232]
	v_fma_f64 v[229:230], -v[229:230], v[233:234], v[235:236]
	s_delay_alu instid0(VALU_DEP_1) | instskip(NEXT) | instid1(VALU_DEP_1)
	v_div_fmas_f64 v[229:230], v[229:230], v[231:232], v[233:234]
	v_div_fixup_f64 v[229:230], v[229:230], v[214:215], v[212:213]
	s_delay_alu instid0(VALU_DEP_1) | instskip(NEXT) | instid1(VALU_DEP_1)
	v_fma_f64 v[212:213], v[212:213], v[229:230], v[214:215]
	v_div_scale_f64 v[214:215], null, v[212:213], v[212:213], 1.0
	s_delay_alu instid0(VALU_DEP_1) | instskip(SKIP_2) | instid1(VALU_DEP_1)
	v_rcp_f64_e32 v[231:232], v[214:215]
	s_waitcnt_depctr 0xfff
	v_fma_f64 v[233:234], -v[214:215], v[231:232], 1.0
	v_fma_f64 v[231:232], v[231:232], v[233:234], v[231:232]
	s_delay_alu instid0(VALU_DEP_1) | instskip(NEXT) | instid1(VALU_DEP_1)
	v_fma_f64 v[233:234], -v[214:215], v[231:232], 1.0
	v_fma_f64 v[231:232], v[231:232], v[233:234], v[231:232]
	v_div_scale_f64 v[233:234], vcc_lo, 1.0, v[212:213], 1.0
	s_delay_alu instid0(VALU_DEP_1) | instskip(NEXT) | instid1(VALU_DEP_1)
	v_mul_f64 v[235:236], v[233:234], v[231:232]
	v_fma_f64 v[214:215], -v[214:215], v[235:236], v[233:234]
	s_delay_alu instid0(VALU_DEP_1) | instskip(NEXT) | instid1(VALU_DEP_1)
	v_div_fmas_f64 v[214:215], v[214:215], v[231:232], v[235:236]
	v_div_fixup_f64 v[214:215], v[214:215], v[212:213], 1.0
	s_delay_alu instid0(VALU_DEP_1)
	v_mul_f64 v[212:213], v[229:230], v[214:215]
	v_xor_b32_e32 v215, 0x80000000, v215
.LBB104_868:
	s_and_not1_saveexec_b32 s2, s2
	s_cbranch_execz .LBB104_870
; %bb.869:
	s_delay_alu instid0(VALU_DEP_1) | instskip(SKIP_1) | instid1(VALU_DEP_2)
	v_div_scale_f64 v[229:230], null, v[212:213], v[212:213], v[214:215]
	v_div_scale_f64 v[235:236], vcc_lo, v[214:215], v[212:213], v[214:215]
	v_rcp_f64_e32 v[231:232], v[229:230]
	s_waitcnt_depctr 0xfff
	v_fma_f64 v[233:234], -v[229:230], v[231:232], 1.0
	s_delay_alu instid0(VALU_DEP_1) | instskip(NEXT) | instid1(VALU_DEP_1)
	v_fma_f64 v[231:232], v[231:232], v[233:234], v[231:232]
	v_fma_f64 v[233:234], -v[229:230], v[231:232], 1.0
	s_delay_alu instid0(VALU_DEP_1) | instskip(NEXT) | instid1(VALU_DEP_1)
	v_fma_f64 v[231:232], v[231:232], v[233:234], v[231:232]
	v_mul_f64 v[233:234], v[235:236], v[231:232]
	s_delay_alu instid0(VALU_DEP_1) | instskip(NEXT) | instid1(VALU_DEP_1)
	v_fma_f64 v[229:230], -v[229:230], v[233:234], v[235:236]
	v_div_fmas_f64 v[229:230], v[229:230], v[231:232], v[233:234]
	s_delay_alu instid0(VALU_DEP_1) | instskip(NEXT) | instid1(VALU_DEP_1)
	v_div_fixup_f64 v[229:230], v[229:230], v[212:213], v[214:215]
	v_fma_f64 v[212:213], v[214:215], v[229:230], v[212:213]
	s_delay_alu instid0(VALU_DEP_1) | instskip(NEXT) | instid1(VALU_DEP_1)
	v_div_scale_f64 v[214:215], null, v[212:213], v[212:213], 1.0
	v_rcp_f64_e32 v[231:232], v[214:215]
	s_waitcnt_depctr 0xfff
	v_fma_f64 v[233:234], -v[214:215], v[231:232], 1.0
	s_delay_alu instid0(VALU_DEP_1) | instskip(NEXT) | instid1(VALU_DEP_1)
	v_fma_f64 v[231:232], v[231:232], v[233:234], v[231:232]
	v_fma_f64 v[233:234], -v[214:215], v[231:232], 1.0
	s_delay_alu instid0(VALU_DEP_1) | instskip(SKIP_1) | instid1(VALU_DEP_1)
	v_fma_f64 v[231:232], v[231:232], v[233:234], v[231:232]
	v_div_scale_f64 v[233:234], vcc_lo, 1.0, v[212:213], 1.0
	v_mul_f64 v[235:236], v[233:234], v[231:232]
	s_delay_alu instid0(VALU_DEP_1) | instskip(NEXT) | instid1(VALU_DEP_1)
	v_fma_f64 v[214:215], -v[214:215], v[235:236], v[233:234]
	v_div_fmas_f64 v[214:215], v[214:215], v[231:232], v[235:236]
	s_delay_alu instid0(VALU_DEP_1) | instskip(NEXT) | instid1(VALU_DEP_1)
	v_div_fixup_f64 v[212:213], v[214:215], v[212:213], 1.0
	v_mul_f64 v[214:215], v[229:230], -v[212:213]
.LBB104_870:
	s_or_b32 exec_lo, exec_lo, s2
.LBB104_871:
	s_delay_alu instid0(SALU_CYCLE_1) | instskip(NEXT) | instid1(SALU_CYCLE_1)
	s_or_b32 exec_lo, exec_lo, s3
	s_mov_b32 s2, exec_lo
	v_cmpx_ne_u32_e64 v228, v220
	s_xor_b32 s2, exec_lo, s2
	s_cbranch_execz .LBB104_877
; %bb.872:
	s_mov_b32 s3, exec_lo
	v_cmpx_eq_u32_e32 41, v228
	s_cbranch_execz .LBB104_876
; %bb.873:
	v_cmp_ne_u32_e32 vcc_lo, 41, v220
	s_xor_b32 s6, s4, -1
	s_delay_alu instid0(SALU_CYCLE_1) | instskip(NEXT) | instid1(SALU_CYCLE_1)
	s_and_b32 s7, s6, vcc_lo
	s_and_saveexec_b32 s6, s7
	s_cbranch_execz .LBB104_875
; %bb.874:
	v_ashrrev_i32_e32 v221, 31, v220
	s_delay_alu instid0(VALU_DEP_1) | instskip(NEXT) | instid1(VALU_DEP_1)
	v_lshlrev_b64 v[227:228], 2, v[220:221]
	v_add_co_u32 v227, vcc_lo, v218, v227
	s_delay_alu instid0(VALU_DEP_2)
	v_add_co_ci_u32_e32 v228, vcc_lo, v219, v228, vcc_lo
	s_clause 0x1
	flat_load_b32 v221, v[227:228]
	flat_load_b32 v229, v[218:219] offset:164
	s_waitcnt vmcnt(1) lgkmcnt(1)
	flat_store_b32 v[218:219], v221 offset:164
	s_waitcnt vmcnt(0) lgkmcnt(1)
	flat_store_b32 v[227:228], v229
.LBB104_875:
	s_or_b32 exec_lo, exec_lo, s6
	v_mov_b32_e32 v228, v220
	v_mov_b32_e32 v227, v220
.LBB104_876:
	s_or_b32 exec_lo, exec_lo, s3
.LBB104_877:
	s_and_not1_saveexec_b32 s2, s2
	s_cbranch_execz .LBB104_879
; %bb.878:
	v_mov_b32_e32 v228, 41
	ds_store_2addr_b64 v222, v[40:41], v[42:43] offset0:84 offset1:85
	ds_store_2addr_b64 v222, v[36:37], v[38:39] offset0:86 offset1:87
	;; [unrolled: 1-line block ×11, first 2 shown]
.LBB104_879:
	s_or_b32 exec_lo, exec_lo, s2
	s_delay_alu instid0(SALU_CYCLE_1)
	s_mov_b32 s2, exec_lo
	s_waitcnt lgkmcnt(0)
	s_waitcnt_vscnt null, 0x0
	s_barrier
	buffer_gl0_inv
	v_cmpx_lt_i32_e32 41, v228
	s_cbranch_execz .LBB104_881
; %bb.880:
	v_mul_f64 v[220:221], v[212:213], v[46:47]
	v_mul_f64 v[46:47], v[214:215], v[46:47]
	s_delay_alu instid0(VALU_DEP_2) | instskip(NEXT) | instid1(VALU_DEP_2)
	v_fma_f64 v[220:221], v[214:215], v[44:45], v[220:221]
	v_fma_f64 v[44:45], v[212:213], v[44:45], -v[46:47]
	ds_load_2addr_b64 v[212:215], v222 offset0:84 offset1:85
	s_waitcnt lgkmcnt(0)
	v_mul_f64 v[46:47], v[214:215], v[220:221]
	s_delay_alu instid0(VALU_DEP_1) | instskip(SKIP_1) | instid1(VALU_DEP_2)
	v_fma_f64 v[46:47], v[212:213], v[44:45], -v[46:47]
	v_mul_f64 v[212:213], v[212:213], v[220:221]
	v_add_f64 v[40:41], v[40:41], -v[46:47]
	s_delay_alu instid0(VALU_DEP_2) | instskip(NEXT) | instid1(VALU_DEP_1)
	v_fma_f64 v[212:213], v[214:215], v[44:45], v[212:213]
	v_add_f64 v[42:43], v[42:43], -v[212:213]
	ds_load_2addr_b64 v[212:215], v222 offset0:86 offset1:87
	s_waitcnt lgkmcnt(0)
	v_mul_f64 v[46:47], v[214:215], v[220:221]
	s_delay_alu instid0(VALU_DEP_1) | instskip(SKIP_1) | instid1(VALU_DEP_2)
	v_fma_f64 v[46:47], v[212:213], v[44:45], -v[46:47]
	v_mul_f64 v[212:213], v[212:213], v[220:221]
	v_add_f64 v[36:37], v[36:37], -v[46:47]
	s_delay_alu instid0(VALU_DEP_2) | instskip(NEXT) | instid1(VALU_DEP_1)
	v_fma_f64 v[212:213], v[214:215], v[44:45], v[212:213]
	v_add_f64 v[38:39], v[38:39], -v[212:213]
	;; [unrolled: 10-line block ×10, first 2 shown]
	ds_load_2addr_b64 v[212:215], v222 offset0:104 offset1:105
	s_waitcnt lgkmcnt(0)
	v_mul_f64 v[46:47], v[214:215], v[220:221]
	s_delay_alu instid0(VALU_DEP_1) | instskip(SKIP_1) | instid1(VALU_DEP_2)
	v_fma_f64 v[46:47], v[212:213], v[44:45], -v[46:47]
	v_mul_f64 v[212:213], v[212:213], v[220:221]
	v_add_f64 v[0:1], v[0:1], -v[46:47]
	s_delay_alu instid0(VALU_DEP_2) | instskip(SKIP_1) | instid1(VALU_DEP_2)
	v_fma_f64 v[212:213], v[214:215], v[44:45], v[212:213]
	v_dual_mov_b32 v46, v220 :: v_dual_mov_b32 v47, v221
	v_add_f64 v[2:3], v[2:3], -v[212:213]
.LBB104_881:
	s_or_b32 exec_lo, exec_lo, s2
	v_lshl_add_u32 v212, v228, 4, v222
	s_barrier
	buffer_gl0_inv
	v_mov_b32_e32 v220, 42
	ds_store_2addr_b64 v212, v[40:41], v[42:43] offset1:1
	s_waitcnt lgkmcnt(0)
	s_barrier
	buffer_gl0_inv
	ds_load_2addr_b64 v[212:215], v222 offset0:84 offset1:85
	s_cmp_lt_i32 s5, 44
	s_cbranch_scc1 .LBB104_884
; %bb.882:
	v_add3_u32 v221, v226, 0, 0x2b0
	v_mov_b32_e32 v220, 42
	s_mov_b32 s6, 43
	s_set_inst_prefetch_distance 0x1
	.p2align	6
.LBB104_883:                            ; =>This Inner Loop Header: Depth=1
	ds_load_2addr_b64 v[229:232], v221 offset1:1
	s_waitcnt lgkmcnt(1)
	v_cmp_gt_f64_e32 vcc_lo, 0, v[212:213]
	v_xor_b32_e32 v233, 0x80000000, v213
	v_cmp_gt_f64_e64 s2, 0, v[214:215]
	v_xor_b32_e32 v235, 0x80000000, v215
	v_add_nc_u32_e32 v221, 16, v221
	s_waitcnt lgkmcnt(0)
	v_cmp_gt_f64_e64 s3, 0, v[229:230]
	v_mov_b32_e32 v237, v229
	v_dual_mov_b32 v239, v231 :: v_dual_cndmask_b32 v234, v213, v233
	v_xor_b32_e32 v233, 0x80000000, v230
	v_cndmask_b32_e64 v236, v215, v235, s2
	v_xor_b32_e32 v235, 0x80000000, v232
	s_delay_alu instid0(VALU_DEP_3) | instskip(SKIP_2) | instid1(VALU_DEP_2)
	v_cndmask_b32_e64 v238, v230, v233, s3
	v_cmp_gt_f64_e64 s3, 0, v[231:232]
	v_cndmask_b32_e32 v233, v212, v212, vcc_lo
	v_cndmask_b32_e64 v240, v232, v235, s3
	v_cndmask_b32_e64 v235, v214, v214, s2
	s_delay_alu instid0(VALU_DEP_2) | instskip(NEXT) | instid1(VALU_DEP_2)
	v_add_f64 v[237:238], v[237:238], v[239:240]
	v_add_f64 v[233:234], v[233:234], v[235:236]
	s_delay_alu instid0(VALU_DEP_1) | instskip(SKIP_4) | instid1(SALU_CYCLE_1)
	v_cmp_lt_f64_e32 vcc_lo, v[233:234], v[237:238]
	v_dual_cndmask_b32 v214, v214, v231 :: v_dual_cndmask_b32 v213, v213, v230
	v_dual_cndmask_b32 v212, v212, v229 :: v_dual_cndmask_b32 v215, v215, v232
	v_cndmask_b32_e64 v220, v220, s6, vcc_lo
	s_add_i32 s6, s6, 1
	s_cmp_lg_u32 s5, s6
	s_cbranch_scc1 .LBB104_883
.LBB104_884:
	s_set_inst_prefetch_distance 0x2
	s_waitcnt lgkmcnt(0)
	v_cmp_eq_f64_e32 vcc_lo, 0, v[212:213]
	v_cmp_eq_f64_e64 s2, 0, v[214:215]
	s_delay_alu instid0(VALU_DEP_1) | instskip(NEXT) | instid1(SALU_CYCLE_1)
	s_and_b32 s2, vcc_lo, s2
	s_and_saveexec_b32 s3, s2
	s_delay_alu instid0(SALU_CYCLE_1)
	s_xor_b32 s2, exec_lo, s3
; %bb.885:
	v_cmp_ne_u32_e32 vcc_lo, 0, v225
	v_cndmask_b32_e32 v225, 43, v225, vcc_lo
; %bb.886:
	s_and_not1_saveexec_b32 s3, s2
	s_cbranch_execz .LBB104_892
; %bb.887:
	v_cmp_gt_f64_e32 vcc_lo, 0, v[212:213]
	v_cmp_gt_f64_e64 s2, 0, v[214:215]
	v_xor_b32_e32 v221, 0x80000000, v213
	v_xor_b32_e32 v229, 0x80000000, v215
	s_delay_alu instid0(VALU_DEP_2) | instskip(NEXT) | instid1(VALU_DEP_2)
	v_cndmask_b32_e32 v230, v213, v221, vcc_lo
	v_cndmask_b32_e64 v232, v215, v229, s2
	v_cndmask_b32_e32 v229, v212, v212, vcc_lo
	v_cndmask_b32_e64 v231, v214, v214, s2
	s_mov_b32 s2, exec_lo
	s_delay_alu instid0(VALU_DEP_1)
	v_cmpx_ngt_f64_e32 v[229:230], v[231:232]
	s_xor_b32 s2, exec_lo, s2
	s_cbranch_execz .LBB104_889
; %bb.888:
	v_div_scale_f64 v[229:230], null, v[214:215], v[214:215], v[212:213]
	v_div_scale_f64 v[235:236], vcc_lo, v[212:213], v[214:215], v[212:213]
	s_delay_alu instid0(VALU_DEP_2) | instskip(SKIP_2) | instid1(VALU_DEP_1)
	v_rcp_f64_e32 v[231:232], v[229:230]
	s_waitcnt_depctr 0xfff
	v_fma_f64 v[233:234], -v[229:230], v[231:232], 1.0
	v_fma_f64 v[231:232], v[231:232], v[233:234], v[231:232]
	s_delay_alu instid0(VALU_DEP_1) | instskip(NEXT) | instid1(VALU_DEP_1)
	v_fma_f64 v[233:234], -v[229:230], v[231:232], 1.0
	v_fma_f64 v[231:232], v[231:232], v[233:234], v[231:232]
	s_delay_alu instid0(VALU_DEP_1) | instskip(NEXT) | instid1(VALU_DEP_1)
	v_mul_f64 v[233:234], v[235:236], v[231:232]
	v_fma_f64 v[229:230], -v[229:230], v[233:234], v[235:236]
	s_delay_alu instid0(VALU_DEP_1) | instskip(NEXT) | instid1(VALU_DEP_1)
	v_div_fmas_f64 v[229:230], v[229:230], v[231:232], v[233:234]
	v_div_fixup_f64 v[229:230], v[229:230], v[214:215], v[212:213]
	s_delay_alu instid0(VALU_DEP_1) | instskip(NEXT) | instid1(VALU_DEP_1)
	v_fma_f64 v[212:213], v[212:213], v[229:230], v[214:215]
	v_div_scale_f64 v[214:215], null, v[212:213], v[212:213], 1.0
	s_delay_alu instid0(VALU_DEP_1) | instskip(SKIP_2) | instid1(VALU_DEP_1)
	v_rcp_f64_e32 v[231:232], v[214:215]
	s_waitcnt_depctr 0xfff
	v_fma_f64 v[233:234], -v[214:215], v[231:232], 1.0
	v_fma_f64 v[231:232], v[231:232], v[233:234], v[231:232]
	s_delay_alu instid0(VALU_DEP_1) | instskip(NEXT) | instid1(VALU_DEP_1)
	v_fma_f64 v[233:234], -v[214:215], v[231:232], 1.0
	v_fma_f64 v[231:232], v[231:232], v[233:234], v[231:232]
	v_div_scale_f64 v[233:234], vcc_lo, 1.0, v[212:213], 1.0
	s_delay_alu instid0(VALU_DEP_1) | instskip(NEXT) | instid1(VALU_DEP_1)
	v_mul_f64 v[235:236], v[233:234], v[231:232]
	v_fma_f64 v[214:215], -v[214:215], v[235:236], v[233:234]
	s_delay_alu instid0(VALU_DEP_1) | instskip(NEXT) | instid1(VALU_DEP_1)
	v_div_fmas_f64 v[214:215], v[214:215], v[231:232], v[235:236]
	v_div_fixup_f64 v[214:215], v[214:215], v[212:213], 1.0
	s_delay_alu instid0(VALU_DEP_1)
	v_mul_f64 v[212:213], v[229:230], v[214:215]
	v_xor_b32_e32 v215, 0x80000000, v215
.LBB104_889:
	s_and_not1_saveexec_b32 s2, s2
	s_cbranch_execz .LBB104_891
; %bb.890:
	s_delay_alu instid0(VALU_DEP_1) | instskip(SKIP_1) | instid1(VALU_DEP_2)
	v_div_scale_f64 v[229:230], null, v[212:213], v[212:213], v[214:215]
	v_div_scale_f64 v[235:236], vcc_lo, v[214:215], v[212:213], v[214:215]
	v_rcp_f64_e32 v[231:232], v[229:230]
	s_waitcnt_depctr 0xfff
	v_fma_f64 v[233:234], -v[229:230], v[231:232], 1.0
	s_delay_alu instid0(VALU_DEP_1) | instskip(NEXT) | instid1(VALU_DEP_1)
	v_fma_f64 v[231:232], v[231:232], v[233:234], v[231:232]
	v_fma_f64 v[233:234], -v[229:230], v[231:232], 1.0
	s_delay_alu instid0(VALU_DEP_1) | instskip(NEXT) | instid1(VALU_DEP_1)
	v_fma_f64 v[231:232], v[231:232], v[233:234], v[231:232]
	v_mul_f64 v[233:234], v[235:236], v[231:232]
	s_delay_alu instid0(VALU_DEP_1) | instskip(NEXT) | instid1(VALU_DEP_1)
	v_fma_f64 v[229:230], -v[229:230], v[233:234], v[235:236]
	v_div_fmas_f64 v[229:230], v[229:230], v[231:232], v[233:234]
	s_delay_alu instid0(VALU_DEP_1) | instskip(NEXT) | instid1(VALU_DEP_1)
	v_div_fixup_f64 v[229:230], v[229:230], v[212:213], v[214:215]
	v_fma_f64 v[212:213], v[214:215], v[229:230], v[212:213]
	s_delay_alu instid0(VALU_DEP_1) | instskip(NEXT) | instid1(VALU_DEP_1)
	v_div_scale_f64 v[214:215], null, v[212:213], v[212:213], 1.0
	v_rcp_f64_e32 v[231:232], v[214:215]
	s_waitcnt_depctr 0xfff
	v_fma_f64 v[233:234], -v[214:215], v[231:232], 1.0
	s_delay_alu instid0(VALU_DEP_1) | instskip(NEXT) | instid1(VALU_DEP_1)
	v_fma_f64 v[231:232], v[231:232], v[233:234], v[231:232]
	v_fma_f64 v[233:234], -v[214:215], v[231:232], 1.0
	s_delay_alu instid0(VALU_DEP_1) | instskip(SKIP_1) | instid1(VALU_DEP_1)
	v_fma_f64 v[231:232], v[231:232], v[233:234], v[231:232]
	v_div_scale_f64 v[233:234], vcc_lo, 1.0, v[212:213], 1.0
	v_mul_f64 v[235:236], v[233:234], v[231:232]
	s_delay_alu instid0(VALU_DEP_1) | instskip(NEXT) | instid1(VALU_DEP_1)
	v_fma_f64 v[214:215], -v[214:215], v[235:236], v[233:234]
	v_div_fmas_f64 v[214:215], v[214:215], v[231:232], v[235:236]
	s_delay_alu instid0(VALU_DEP_1) | instskip(NEXT) | instid1(VALU_DEP_1)
	v_div_fixup_f64 v[212:213], v[214:215], v[212:213], 1.0
	v_mul_f64 v[214:215], v[229:230], -v[212:213]
.LBB104_891:
	s_or_b32 exec_lo, exec_lo, s2
.LBB104_892:
	s_delay_alu instid0(SALU_CYCLE_1) | instskip(NEXT) | instid1(SALU_CYCLE_1)
	s_or_b32 exec_lo, exec_lo, s3
	s_mov_b32 s2, exec_lo
	v_cmpx_ne_u32_e64 v228, v220
	s_xor_b32 s2, exec_lo, s2
	s_cbranch_execz .LBB104_898
; %bb.893:
	s_mov_b32 s3, exec_lo
	v_cmpx_eq_u32_e32 42, v228
	s_cbranch_execz .LBB104_897
; %bb.894:
	v_cmp_ne_u32_e32 vcc_lo, 42, v220
	s_xor_b32 s6, s4, -1
	s_delay_alu instid0(SALU_CYCLE_1) | instskip(NEXT) | instid1(SALU_CYCLE_1)
	s_and_b32 s7, s6, vcc_lo
	s_and_saveexec_b32 s6, s7
	s_cbranch_execz .LBB104_896
; %bb.895:
	v_ashrrev_i32_e32 v221, 31, v220
	s_delay_alu instid0(VALU_DEP_1) | instskip(NEXT) | instid1(VALU_DEP_1)
	v_lshlrev_b64 v[227:228], 2, v[220:221]
	v_add_co_u32 v227, vcc_lo, v218, v227
	s_delay_alu instid0(VALU_DEP_2)
	v_add_co_ci_u32_e32 v228, vcc_lo, v219, v228, vcc_lo
	s_clause 0x1
	flat_load_b32 v221, v[227:228]
	flat_load_b32 v229, v[218:219] offset:168
	s_waitcnt vmcnt(1) lgkmcnt(1)
	flat_store_b32 v[218:219], v221 offset:168
	s_waitcnt vmcnt(0) lgkmcnt(1)
	flat_store_b32 v[227:228], v229
.LBB104_896:
	s_or_b32 exec_lo, exec_lo, s6
	v_mov_b32_e32 v228, v220
	v_mov_b32_e32 v227, v220
.LBB104_897:
	s_or_b32 exec_lo, exec_lo, s3
.LBB104_898:
	s_and_not1_saveexec_b32 s2, s2
	s_cbranch_execz .LBB104_900
; %bb.899:
	v_mov_b32_e32 v228, 42
	ds_store_2addr_b64 v222, v[36:37], v[38:39] offset0:86 offset1:87
	ds_store_2addr_b64 v222, v[32:33], v[34:35] offset0:88 offset1:89
	;; [unrolled: 1-line block ×10, first 2 shown]
.LBB104_900:
	s_or_b32 exec_lo, exec_lo, s2
	s_delay_alu instid0(SALU_CYCLE_1)
	s_mov_b32 s2, exec_lo
	s_waitcnt lgkmcnt(0)
	s_waitcnt_vscnt null, 0x0
	s_barrier
	buffer_gl0_inv
	v_cmpx_lt_i32_e32 42, v228
	s_cbranch_execz .LBB104_902
; %bb.901:
	v_mul_f64 v[220:221], v[212:213], v[42:43]
	v_mul_f64 v[42:43], v[214:215], v[42:43]
	s_delay_alu instid0(VALU_DEP_2) | instskip(NEXT) | instid1(VALU_DEP_2)
	v_fma_f64 v[220:221], v[214:215], v[40:41], v[220:221]
	v_fma_f64 v[40:41], v[212:213], v[40:41], -v[42:43]
	ds_load_2addr_b64 v[212:215], v222 offset0:86 offset1:87
	s_waitcnt lgkmcnt(0)
	v_mul_f64 v[42:43], v[214:215], v[220:221]
	s_delay_alu instid0(VALU_DEP_1) | instskip(SKIP_1) | instid1(VALU_DEP_2)
	v_fma_f64 v[42:43], v[212:213], v[40:41], -v[42:43]
	v_mul_f64 v[212:213], v[212:213], v[220:221]
	v_add_f64 v[36:37], v[36:37], -v[42:43]
	s_delay_alu instid0(VALU_DEP_2) | instskip(NEXT) | instid1(VALU_DEP_1)
	v_fma_f64 v[212:213], v[214:215], v[40:41], v[212:213]
	v_add_f64 v[38:39], v[38:39], -v[212:213]
	ds_load_2addr_b64 v[212:215], v222 offset0:88 offset1:89
	s_waitcnt lgkmcnt(0)
	v_mul_f64 v[42:43], v[214:215], v[220:221]
	s_delay_alu instid0(VALU_DEP_1) | instskip(SKIP_1) | instid1(VALU_DEP_2)
	v_fma_f64 v[42:43], v[212:213], v[40:41], -v[42:43]
	v_mul_f64 v[212:213], v[212:213], v[220:221]
	v_add_f64 v[32:33], v[32:33], -v[42:43]
	s_delay_alu instid0(VALU_DEP_2) | instskip(NEXT) | instid1(VALU_DEP_1)
	v_fma_f64 v[212:213], v[214:215], v[40:41], v[212:213]
	v_add_f64 v[34:35], v[34:35], -v[212:213]
	;; [unrolled: 10-line block ×9, first 2 shown]
	ds_load_2addr_b64 v[212:215], v222 offset0:104 offset1:105
	s_waitcnt lgkmcnt(0)
	v_mul_f64 v[42:43], v[214:215], v[220:221]
	s_delay_alu instid0(VALU_DEP_1) | instskip(SKIP_1) | instid1(VALU_DEP_2)
	v_fma_f64 v[42:43], v[212:213], v[40:41], -v[42:43]
	v_mul_f64 v[212:213], v[212:213], v[220:221]
	v_add_f64 v[0:1], v[0:1], -v[42:43]
	s_delay_alu instid0(VALU_DEP_2) | instskip(SKIP_1) | instid1(VALU_DEP_2)
	v_fma_f64 v[212:213], v[214:215], v[40:41], v[212:213]
	v_dual_mov_b32 v42, v220 :: v_dual_mov_b32 v43, v221
	v_add_f64 v[2:3], v[2:3], -v[212:213]
.LBB104_902:
	s_or_b32 exec_lo, exec_lo, s2
	v_lshl_add_u32 v212, v228, 4, v222
	s_barrier
	buffer_gl0_inv
	v_mov_b32_e32 v220, 43
	ds_store_2addr_b64 v212, v[36:37], v[38:39] offset1:1
	s_waitcnt lgkmcnt(0)
	s_barrier
	buffer_gl0_inv
	ds_load_2addr_b64 v[212:215], v222 offset0:86 offset1:87
	s_cmp_lt_i32 s5, 45
	s_cbranch_scc1 .LBB104_905
; %bb.903:
	v_add3_u32 v221, v226, 0, 0x2c0
	v_mov_b32_e32 v220, 43
	s_mov_b32 s6, 44
	s_set_inst_prefetch_distance 0x1
	.p2align	6
.LBB104_904:                            ; =>This Inner Loop Header: Depth=1
	ds_load_2addr_b64 v[229:232], v221 offset1:1
	s_waitcnt lgkmcnt(1)
	v_cmp_gt_f64_e32 vcc_lo, 0, v[212:213]
	v_xor_b32_e32 v233, 0x80000000, v213
	v_cmp_gt_f64_e64 s2, 0, v[214:215]
	v_xor_b32_e32 v235, 0x80000000, v215
	v_add_nc_u32_e32 v221, 16, v221
	s_waitcnt lgkmcnt(0)
	v_cmp_gt_f64_e64 s3, 0, v[229:230]
	v_mov_b32_e32 v237, v229
	v_dual_mov_b32 v239, v231 :: v_dual_cndmask_b32 v234, v213, v233
	v_xor_b32_e32 v233, 0x80000000, v230
	v_cndmask_b32_e64 v236, v215, v235, s2
	v_xor_b32_e32 v235, 0x80000000, v232
	s_delay_alu instid0(VALU_DEP_3) | instskip(SKIP_2) | instid1(VALU_DEP_2)
	v_cndmask_b32_e64 v238, v230, v233, s3
	v_cmp_gt_f64_e64 s3, 0, v[231:232]
	v_cndmask_b32_e32 v233, v212, v212, vcc_lo
	v_cndmask_b32_e64 v240, v232, v235, s3
	v_cndmask_b32_e64 v235, v214, v214, s2
	s_delay_alu instid0(VALU_DEP_2) | instskip(NEXT) | instid1(VALU_DEP_2)
	v_add_f64 v[237:238], v[237:238], v[239:240]
	v_add_f64 v[233:234], v[233:234], v[235:236]
	s_delay_alu instid0(VALU_DEP_1) | instskip(SKIP_4) | instid1(SALU_CYCLE_1)
	v_cmp_lt_f64_e32 vcc_lo, v[233:234], v[237:238]
	v_dual_cndmask_b32 v214, v214, v231 :: v_dual_cndmask_b32 v213, v213, v230
	v_dual_cndmask_b32 v212, v212, v229 :: v_dual_cndmask_b32 v215, v215, v232
	v_cndmask_b32_e64 v220, v220, s6, vcc_lo
	s_add_i32 s6, s6, 1
	s_cmp_lg_u32 s5, s6
	s_cbranch_scc1 .LBB104_904
.LBB104_905:
	s_set_inst_prefetch_distance 0x2
	s_waitcnt lgkmcnt(0)
	v_cmp_eq_f64_e32 vcc_lo, 0, v[212:213]
	v_cmp_eq_f64_e64 s2, 0, v[214:215]
	s_delay_alu instid0(VALU_DEP_1) | instskip(NEXT) | instid1(SALU_CYCLE_1)
	s_and_b32 s2, vcc_lo, s2
	s_and_saveexec_b32 s3, s2
	s_delay_alu instid0(SALU_CYCLE_1)
	s_xor_b32 s2, exec_lo, s3
; %bb.906:
	v_cmp_ne_u32_e32 vcc_lo, 0, v225
	v_cndmask_b32_e32 v225, 44, v225, vcc_lo
; %bb.907:
	s_and_not1_saveexec_b32 s3, s2
	s_cbranch_execz .LBB104_913
; %bb.908:
	v_cmp_gt_f64_e32 vcc_lo, 0, v[212:213]
	v_cmp_gt_f64_e64 s2, 0, v[214:215]
	v_xor_b32_e32 v221, 0x80000000, v213
	v_xor_b32_e32 v229, 0x80000000, v215
	s_delay_alu instid0(VALU_DEP_2) | instskip(NEXT) | instid1(VALU_DEP_2)
	v_cndmask_b32_e32 v230, v213, v221, vcc_lo
	v_cndmask_b32_e64 v232, v215, v229, s2
	v_cndmask_b32_e32 v229, v212, v212, vcc_lo
	v_cndmask_b32_e64 v231, v214, v214, s2
	s_mov_b32 s2, exec_lo
	s_delay_alu instid0(VALU_DEP_1)
	v_cmpx_ngt_f64_e32 v[229:230], v[231:232]
	s_xor_b32 s2, exec_lo, s2
	s_cbranch_execz .LBB104_910
; %bb.909:
	v_div_scale_f64 v[229:230], null, v[214:215], v[214:215], v[212:213]
	v_div_scale_f64 v[235:236], vcc_lo, v[212:213], v[214:215], v[212:213]
	s_delay_alu instid0(VALU_DEP_2) | instskip(SKIP_2) | instid1(VALU_DEP_1)
	v_rcp_f64_e32 v[231:232], v[229:230]
	s_waitcnt_depctr 0xfff
	v_fma_f64 v[233:234], -v[229:230], v[231:232], 1.0
	v_fma_f64 v[231:232], v[231:232], v[233:234], v[231:232]
	s_delay_alu instid0(VALU_DEP_1) | instskip(NEXT) | instid1(VALU_DEP_1)
	v_fma_f64 v[233:234], -v[229:230], v[231:232], 1.0
	v_fma_f64 v[231:232], v[231:232], v[233:234], v[231:232]
	s_delay_alu instid0(VALU_DEP_1) | instskip(NEXT) | instid1(VALU_DEP_1)
	v_mul_f64 v[233:234], v[235:236], v[231:232]
	v_fma_f64 v[229:230], -v[229:230], v[233:234], v[235:236]
	s_delay_alu instid0(VALU_DEP_1) | instskip(NEXT) | instid1(VALU_DEP_1)
	v_div_fmas_f64 v[229:230], v[229:230], v[231:232], v[233:234]
	v_div_fixup_f64 v[229:230], v[229:230], v[214:215], v[212:213]
	s_delay_alu instid0(VALU_DEP_1) | instskip(NEXT) | instid1(VALU_DEP_1)
	v_fma_f64 v[212:213], v[212:213], v[229:230], v[214:215]
	v_div_scale_f64 v[214:215], null, v[212:213], v[212:213], 1.0
	s_delay_alu instid0(VALU_DEP_1) | instskip(SKIP_2) | instid1(VALU_DEP_1)
	v_rcp_f64_e32 v[231:232], v[214:215]
	s_waitcnt_depctr 0xfff
	v_fma_f64 v[233:234], -v[214:215], v[231:232], 1.0
	v_fma_f64 v[231:232], v[231:232], v[233:234], v[231:232]
	s_delay_alu instid0(VALU_DEP_1) | instskip(NEXT) | instid1(VALU_DEP_1)
	v_fma_f64 v[233:234], -v[214:215], v[231:232], 1.0
	v_fma_f64 v[231:232], v[231:232], v[233:234], v[231:232]
	v_div_scale_f64 v[233:234], vcc_lo, 1.0, v[212:213], 1.0
	s_delay_alu instid0(VALU_DEP_1) | instskip(NEXT) | instid1(VALU_DEP_1)
	v_mul_f64 v[235:236], v[233:234], v[231:232]
	v_fma_f64 v[214:215], -v[214:215], v[235:236], v[233:234]
	s_delay_alu instid0(VALU_DEP_1) | instskip(NEXT) | instid1(VALU_DEP_1)
	v_div_fmas_f64 v[214:215], v[214:215], v[231:232], v[235:236]
	v_div_fixup_f64 v[214:215], v[214:215], v[212:213], 1.0
	s_delay_alu instid0(VALU_DEP_1)
	v_mul_f64 v[212:213], v[229:230], v[214:215]
	v_xor_b32_e32 v215, 0x80000000, v215
.LBB104_910:
	s_and_not1_saveexec_b32 s2, s2
	s_cbranch_execz .LBB104_912
; %bb.911:
	s_delay_alu instid0(VALU_DEP_1) | instskip(SKIP_1) | instid1(VALU_DEP_2)
	v_div_scale_f64 v[229:230], null, v[212:213], v[212:213], v[214:215]
	v_div_scale_f64 v[235:236], vcc_lo, v[214:215], v[212:213], v[214:215]
	v_rcp_f64_e32 v[231:232], v[229:230]
	s_waitcnt_depctr 0xfff
	v_fma_f64 v[233:234], -v[229:230], v[231:232], 1.0
	s_delay_alu instid0(VALU_DEP_1) | instskip(NEXT) | instid1(VALU_DEP_1)
	v_fma_f64 v[231:232], v[231:232], v[233:234], v[231:232]
	v_fma_f64 v[233:234], -v[229:230], v[231:232], 1.0
	s_delay_alu instid0(VALU_DEP_1) | instskip(NEXT) | instid1(VALU_DEP_1)
	v_fma_f64 v[231:232], v[231:232], v[233:234], v[231:232]
	v_mul_f64 v[233:234], v[235:236], v[231:232]
	s_delay_alu instid0(VALU_DEP_1) | instskip(NEXT) | instid1(VALU_DEP_1)
	v_fma_f64 v[229:230], -v[229:230], v[233:234], v[235:236]
	v_div_fmas_f64 v[229:230], v[229:230], v[231:232], v[233:234]
	s_delay_alu instid0(VALU_DEP_1) | instskip(NEXT) | instid1(VALU_DEP_1)
	v_div_fixup_f64 v[229:230], v[229:230], v[212:213], v[214:215]
	v_fma_f64 v[212:213], v[214:215], v[229:230], v[212:213]
	s_delay_alu instid0(VALU_DEP_1) | instskip(NEXT) | instid1(VALU_DEP_1)
	v_div_scale_f64 v[214:215], null, v[212:213], v[212:213], 1.0
	v_rcp_f64_e32 v[231:232], v[214:215]
	s_waitcnt_depctr 0xfff
	v_fma_f64 v[233:234], -v[214:215], v[231:232], 1.0
	s_delay_alu instid0(VALU_DEP_1) | instskip(NEXT) | instid1(VALU_DEP_1)
	v_fma_f64 v[231:232], v[231:232], v[233:234], v[231:232]
	v_fma_f64 v[233:234], -v[214:215], v[231:232], 1.0
	s_delay_alu instid0(VALU_DEP_1) | instskip(SKIP_1) | instid1(VALU_DEP_1)
	v_fma_f64 v[231:232], v[231:232], v[233:234], v[231:232]
	v_div_scale_f64 v[233:234], vcc_lo, 1.0, v[212:213], 1.0
	v_mul_f64 v[235:236], v[233:234], v[231:232]
	s_delay_alu instid0(VALU_DEP_1) | instskip(NEXT) | instid1(VALU_DEP_1)
	v_fma_f64 v[214:215], -v[214:215], v[235:236], v[233:234]
	v_div_fmas_f64 v[214:215], v[214:215], v[231:232], v[235:236]
	s_delay_alu instid0(VALU_DEP_1) | instskip(NEXT) | instid1(VALU_DEP_1)
	v_div_fixup_f64 v[212:213], v[214:215], v[212:213], 1.0
	v_mul_f64 v[214:215], v[229:230], -v[212:213]
.LBB104_912:
	s_or_b32 exec_lo, exec_lo, s2
.LBB104_913:
	s_delay_alu instid0(SALU_CYCLE_1) | instskip(NEXT) | instid1(SALU_CYCLE_1)
	s_or_b32 exec_lo, exec_lo, s3
	s_mov_b32 s2, exec_lo
	v_cmpx_ne_u32_e64 v228, v220
	s_xor_b32 s2, exec_lo, s2
	s_cbranch_execz .LBB104_919
; %bb.914:
	s_mov_b32 s3, exec_lo
	v_cmpx_eq_u32_e32 43, v228
	s_cbranch_execz .LBB104_918
; %bb.915:
	v_cmp_ne_u32_e32 vcc_lo, 43, v220
	s_xor_b32 s6, s4, -1
	s_delay_alu instid0(SALU_CYCLE_1) | instskip(NEXT) | instid1(SALU_CYCLE_1)
	s_and_b32 s7, s6, vcc_lo
	s_and_saveexec_b32 s6, s7
	s_cbranch_execz .LBB104_917
; %bb.916:
	v_ashrrev_i32_e32 v221, 31, v220
	s_delay_alu instid0(VALU_DEP_1) | instskip(NEXT) | instid1(VALU_DEP_1)
	v_lshlrev_b64 v[227:228], 2, v[220:221]
	v_add_co_u32 v227, vcc_lo, v218, v227
	s_delay_alu instid0(VALU_DEP_2)
	v_add_co_ci_u32_e32 v228, vcc_lo, v219, v228, vcc_lo
	s_clause 0x1
	flat_load_b32 v221, v[227:228]
	flat_load_b32 v229, v[218:219] offset:172
	s_waitcnt vmcnt(1) lgkmcnt(1)
	flat_store_b32 v[218:219], v221 offset:172
	s_waitcnt vmcnt(0) lgkmcnt(1)
	flat_store_b32 v[227:228], v229
.LBB104_917:
	s_or_b32 exec_lo, exec_lo, s6
	v_mov_b32_e32 v228, v220
	v_mov_b32_e32 v227, v220
.LBB104_918:
	s_or_b32 exec_lo, exec_lo, s3
.LBB104_919:
	s_and_not1_saveexec_b32 s2, s2
	s_cbranch_execz .LBB104_921
; %bb.920:
	v_mov_b32_e32 v228, 43
	ds_store_2addr_b64 v222, v[32:33], v[34:35] offset0:88 offset1:89
	ds_store_2addr_b64 v222, v[28:29], v[30:31] offset0:90 offset1:91
	;; [unrolled: 1-line block ×9, first 2 shown]
.LBB104_921:
	s_or_b32 exec_lo, exec_lo, s2
	s_delay_alu instid0(SALU_CYCLE_1)
	s_mov_b32 s2, exec_lo
	s_waitcnt lgkmcnt(0)
	s_waitcnt_vscnt null, 0x0
	s_barrier
	buffer_gl0_inv
	v_cmpx_lt_i32_e32 43, v228
	s_cbranch_execz .LBB104_923
; %bb.922:
	v_mul_f64 v[220:221], v[212:213], v[38:39]
	v_mul_f64 v[38:39], v[214:215], v[38:39]
	s_delay_alu instid0(VALU_DEP_2) | instskip(NEXT) | instid1(VALU_DEP_2)
	v_fma_f64 v[220:221], v[214:215], v[36:37], v[220:221]
	v_fma_f64 v[36:37], v[212:213], v[36:37], -v[38:39]
	ds_load_2addr_b64 v[212:215], v222 offset0:88 offset1:89
	s_waitcnt lgkmcnt(0)
	v_mul_f64 v[38:39], v[214:215], v[220:221]
	s_delay_alu instid0(VALU_DEP_1) | instskip(SKIP_1) | instid1(VALU_DEP_2)
	v_fma_f64 v[38:39], v[212:213], v[36:37], -v[38:39]
	v_mul_f64 v[212:213], v[212:213], v[220:221]
	v_add_f64 v[32:33], v[32:33], -v[38:39]
	s_delay_alu instid0(VALU_DEP_2) | instskip(NEXT) | instid1(VALU_DEP_1)
	v_fma_f64 v[212:213], v[214:215], v[36:37], v[212:213]
	v_add_f64 v[34:35], v[34:35], -v[212:213]
	ds_load_2addr_b64 v[212:215], v222 offset0:90 offset1:91
	s_waitcnt lgkmcnt(0)
	v_mul_f64 v[38:39], v[214:215], v[220:221]
	s_delay_alu instid0(VALU_DEP_1) | instskip(SKIP_1) | instid1(VALU_DEP_2)
	v_fma_f64 v[38:39], v[212:213], v[36:37], -v[38:39]
	v_mul_f64 v[212:213], v[212:213], v[220:221]
	v_add_f64 v[28:29], v[28:29], -v[38:39]
	s_delay_alu instid0(VALU_DEP_2) | instskip(NEXT) | instid1(VALU_DEP_1)
	v_fma_f64 v[212:213], v[214:215], v[36:37], v[212:213]
	v_add_f64 v[30:31], v[30:31], -v[212:213]
	;; [unrolled: 10-line block ×8, first 2 shown]
	ds_load_2addr_b64 v[212:215], v222 offset0:104 offset1:105
	s_waitcnt lgkmcnt(0)
	v_mul_f64 v[38:39], v[214:215], v[220:221]
	s_delay_alu instid0(VALU_DEP_1) | instskip(SKIP_1) | instid1(VALU_DEP_2)
	v_fma_f64 v[38:39], v[212:213], v[36:37], -v[38:39]
	v_mul_f64 v[212:213], v[212:213], v[220:221]
	v_add_f64 v[0:1], v[0:1], -v[38:39]
	s_delay_alu instid0(VALU_DEP_2) | instskip(SKIP_1) | instid1(VALU_DEP_2)
	v_fma_f64 v[212:213], v[214:215], v[36:37], v[212:213]
	v_dual_mov_b32 v38, v220 :: v_dual_mov_b32 v39, v221
	v_add_f64 v[2:3], v[2:3], -v[212:213]
.LBB104_923:
	s_or_b32 exec_lo, exec_lo, s2
	v_lshl_add_u32 v212, v228, 4, v222
	s_barrier
	buffer_gl0_inv
	v_mov_b32_e32 v220, 44
	ds_store_2addr_b64 v212, v[32:33], v[34:35] offset1:1
	s_waitcnt lgkmcnt(0)
	s_barrier
	buffer_gl0_inv
	ds_load_2addr_b64 v[212:215], v222 offset0:88 offset1:89
	s_cmp_lt_i32 s5, 46
	s_cbranch_scc1 .LBB104_926
; %bb.924:
	v_add3_u32 v221, v226, 0, 0x2d0
	v_mov_b32_e32 v220, 44
	s_mov_b32 s6, 45
	s_set_inst_prefetch_distance 0x1
	.p2align	6
.LBB104_925:                            ; =>This Inner Loop Header: Depth=1
	ds_load_2addr_b64 v[229:232], v221 offset1:1
	s_waitcnt lgkmcnt(1)
	v_cmp_gt_f64_e32 vcc_lo, 0, v[212:213]
	v_xor_b32_e32 v233, 0x80000000, v213
	v_cmp_gt_f64_e64 s2, 0, v[214:215]
	v_xor_b32_e32 v235, 0x80000000, v215
	v_add_nc_u32_e32 v221, 16, v221
	s_waitcnt lgkmcnt(0)
	v_cmp_gt_f64_e64 s3, 0, v[229:230]
	v_mov_b32_e32 v237, v229
	v_dual_mov_b32 v239, v231 :: v_dual_cndmask_b32 v234, v213, v233
	v_xor_b32_e32 v233, 0x80000000, v230
	v_cndmask_b32_e64 v236, v215, v235, s2
	v_xor_b32_e32 v235, 0x80000000, v232
	s_delay_alu instid0(VALU_DEP_3) | instskip(SKIP_2) | instid1(VALU_DEP_2)
	v_cndmask_b32_e64 v238, v230, v233, s3
	v_cmp_gt_f64_e64 s3, 0, v[231:232]
	v_cndmask_b32_e32 v233, v212, v212, vcc_lo
	v_cndmask_b32_e64 v240, v232, v235, s3
	v_cndmask_b32_e64 v235, v214, v214, s2
	s_delay_alu instid0(VALU_DEP_2) | instskip(NEXT) | instid1(VALU_DEP_2)
	v_add_f64 v[237:238], v[237:238], v[239:240]
	v_add_f64 v[233:234], v[233:234], v[235:236]
	s_delay_alu instid0(VALU_DEP_1) | instskip(SKIP_4) | instid1(SALU_CYCLE_1)
	v_cmp_lt_f64_e32 vcc_lo, v[233:234], v[237:238]
	v_dual_cndmask_b32 v214, v214, v231 :: v_dual_cndmask_b32 v213, v213, v230
	v_dual_cndmask_b32 v212, v212, v229 :: v_dual_cndmask_b32 v215, v215, v232
	v_cndmask_b32_e64 v220, v220, s6, vcc_lo
	s_add_i32 s6, s6, 1
	s_cmp_lg_u32 s5, s6
	s_cbranch_scc1 .LBB104_925
.LBB104_926:
	s_set_inst_prefetch_distance 0x2
	s_waitcnt lgkmcnt(0)
	v_cmp_eq_f64_e32 vcc_lo, 0, v[212:213]
	v_cmp_eq_f64_e64 s2, 0, v[214:215]
	s_delay_alu instid0(VALU_DEP_1) | instskip(NEXT) | instid1(SALU_CYCLE_1)
	s_and_b32 s2, vcc_lo, s2
	s_and_saveexec_b32 s3, s2
	s_delay_alu instid0(SALU_CYCLE_1)
	s_xor_b32 s2, exec_lo, s3
; %bb.927:
	v_cmp_ne_u32_e32 vcc_lo, 0, v225
	v_cndmask_b32_e32 v225, 45, v225, vcc_lo
; %bb.928:
	s_and_not1_saveexec_b32 s3, s2
	s_cbranch_execz .LBB104_934
; %bb.929:
	v_cmp_gt_f64_e32 vcc_lo, 0, v[212:213]
	v_cmp_gt_f64_e64 s2, 0, v[214:215]
	v_xor_b32_e32 v221, 0x80000000, v213
	v_xor_b32_e32 v229, 0x80000000, v215
	s_delay_alu instid0(VALU_DEP_2) | instskip(NEXT) | instid1(VALU_DEP_2)
	v_cndmask_b32_e32 v230, v213, v221, vcc_lo
	v_cndmask_b32_e64 v232, v215, v229, s2
	v_cndmask_b32_e32 v229, v212, v212, vcc_lo
	v_cndmask_b32_e64 v231, v214, v214, s2
	s_mov_b32 s2, exec_lo
	s_delay_alu instid0(VALU_DEP_1)
	v_cmpx_ngt_f64_e32 v[229:230], v[231:232]
	s_xor_b32 s2, exec_lo, s2
	s_cbranch_execz .LBB104_931
; %bb.930:
	v_div_scale_f64 v[229:230], null, v[214:215], v[214:215], v[212:213]
	v_div_scale_f64 v[235:236], vcc_lo, v[212:213], v[214:215], v[212:213]
	s_delay_alu instid0(VALU_DEP_2) | instskip(SKIP_2) | instid1(VALU_DEP_1)
	v_rcp_f64_e32 v[231:232], v[229:230]
	s_waitcnt_depctr 0xfff
	v_fma_f64 v[233:234], -v[229:230], v[231:232], 1.0
	v_fma_f64 v[231:232], v[231:232], v[233:234], v[231:232]
	s_delay_alu instid0(VALU_DEP_1) | instskip(NEXT) | instid1(VALU_DEP_1)
	v_fma_f64 v[233:234], -v[229:230], v[231:232], 1.0
	v_fma_f64 v[231:232], v[231:232], v[233:234], v[231:232]
	s_delay_alu instid0(VALU_DEP_1) | instskip(NEXT) | instid1(VALU_DEP_1)
	v_mul_f64 v[233:234], v[235:236], v[231:232]
	v_fma_f64 v[229:230], -v[229:230], v[233:234], v[235:236]
	s_delay_alu instid0(VALU_DEP_1) | instskip(NEXT) | instid1(VALU_DEP_1)
	v_div_fmas_f64 v[229:230], v[229:230], v[231:232], v[233:234]
	v_div_fixup_f64 v[229:230], v[229:230], v[214:215], v[212:213]
	s_delay_alu instid0(VALU_DEP_1) | instskip(NEXT) | instid1(VALU_DEP_1)
	v_fma_f64 v[212:213], v[212:213], v[229:230], v[214:215]
	v_div_scale_f64 v[214:215], null, v[212:213], v[212:213], 1.0
	s_delay_alu instid0(VALU_DEP_1) | instskip(SKIP_2) | instid1(VALU_DEP_1)
	v_rcp_f64_e32 v[231:232], v[214:215]
	s_waitcnt_depctr 0xfff
	v_fma_f64 v[233:234], -v[214:215], v[231:232], 1.0
	v_fma_f64 v[231:232], v[231:232], v[233:234], v[231:232]
	s_delay_alu instid0(VALU_DEP_1) | instskip(NEXT) | instid1(VALU_DEP_1)
	v_fma_f64 v[233:234], -v[214:215], v[231:232], 1.0
	v_fma_f64 v[231:232], v[231:232], v[233:234], v[231:232]
	v_div_scale_f64 v[233:234], vcc_lo, 1.0, v[212:213], 1.0
	s_delay_alu instid0(VALU_DEP_1) | instskip(NEXT) | instid1(VALU_DEP_1)
	v_mul_f64 v[235:236], v[233:234], v[231:232]
	v_fma_f64 v[214:215], -v[214:215], v[235:236], v[233:234]
	s_delay_alu instid0(VALU_DEP_1) | instskip(NEXT) | instid1(VALU_DEP_1)
	v_div_fmas_f64 v[214:215], v[214:215], v[231:232], v[235:236]
	v_div_fixup_f64 v[214:215], v[214:215], v[212:213], 1.0
	s_delay_alu instid0(VALU_DEP_1)
	v_mul_f64 v[212:213], v[229:230], v[214:215]
	v_xor_b32_e32 v215, 0x80000000, v215
.LBB104_931:
	s_and_not1_saveexec_b32 s2, s2
	s_cbranch_execz .LBB104_933
; %bb.932:
	s_delay_alu instid0(VALU_DEP_1) | instskip(SKIP_1) | instid1(VALU_DEP_2)
	v_div_scale_f64 v[229:230], null, v[212:213], v[212:213], v[214:215]
	v_div_scale_f64 v[235:236], vcc_lo, v[214:215], v[212:213], v[214:215]
	v_rcp_f64_e32 v[231:232], v[229:230]
	s_waitcnt_depctr 0xfff
	v_fma_f64 v[233:234], -v[229:230], v[231:232], 1.0
	s_delay_alu instid0(VALU_DEP_1) | instskip(NEXT) | instid1(VALU_DEP_1)
	v_fma_f64 v[231:232], v[231:232], v[233:234], v[231:232]
	v_fma_f64 v[233:234], -v[229:230], v[231:232], 1.0
	s_delay_alu instid0(VALU_DEP_1) | instskip(NEXT) | instid1(VALU_DEP_1)
	v_fma_f64 v[231:232], v[231:232], v[233:234], v[231:232]
	v_mul_f64 v[233:234], v[235:236], v[231:232]
	s_delay_alu instid0(VALU_DEP_1) | instskip(NEXT) | instid1(VALU_DEP_1)
	v_fma_f64 v[229:230], -v[229:230], v[233:234], v[235:236]
	v_div_fmas_f64 v[229:230], v[229:230], v[231:232], v[233:234]
	s_delay_alu instid0(VALU_DEP_1) | instskip(NEXT) | instid1(VALU_DEP_1)
	v_div_fixup_f64 v[229:230], v[229:230], v[212:213], v[214:215]
	v_fma_f64 v[212:213], v[214:215], v[229:230], v[212:213]
	s_delay_alu instid0(VALU_DEP_1) | instskip(NEXT) | instid1(VALU_DEP_1)
	v_div_scale_f64 v[214:215], null, v[212:213], v[212:213], 1.0
	v_rcp_f64_e32 v[231:232], v[214:215]
	s_waitcnt_depctr 0xfff
	v_fma_f64 v[233:234], -v[214:215], v[231:232], 1.0
	s_delay_alu instid0(VALU_DEP_1) | instskip(NEXT) | instid1(VALU_DEP_1)
	v_fma_f64 v[231:232], v[231:232], v[233:234], v[231:232]
	v_fma_f64 v[233:234], -v[214:215], v[231:232], 1.0
	s_delay_alu instid0(VALU_DEP_1) | instskip(SKIP_1) | instid1(VALU_DEP_1)
	v_fma_f64 v[231:232], v[231:232], v[233:234], v[231:232]
	v_div_scale_f64 v[233:234], vcc_lo, 1.0, v[212:213], 1.0
	v_mul_f64 v[235:236], v[233:234], v[231:232]
	s_delay_alu instid0(VALU_DEP_1) | instskip(NEXT) | instid1(VALU_DEP_1)
	v_fma_f64 v[214:215], -v[214:215], v[235:236], v[233:234]
	v_div_fmas_f64 v[214:215], v[214:215], v[231:232], v[235:236]
	s_delay_alu instid0(VALU_DEP_1) | instskip(NEXT) | instid1(VALU_DEP_1)
	v_div_fixup_f64 v[212:213], v[214:215], v[212:213], 1.0
	v_mul_f64 v[214:215], v[229:230], -v[212:213]
.LBB104_933:
	s_or_b32 exec_lo, exec_lo, s2
.LBB104_934:
	s_delay_alu instid0(SALU_CYCLE_1) | instskip(NEXT) | instid1(SALU_CYCLE_1)
	s_or_b32 exec_lo, exec_lo, s3
	s_mov_b32 s2, exec_lo
	v_cmpx_ne_u32_e64 v228, v220
	s_xor_b32 s2, exec_lo, s2
	s_cbranch_execz .LBB104_940
; %bb.935:
	s_mov_b32 s3, exec_lo
	v_cmpx_eq_u32_e32 44, v228
	s_cbranch_execz .LBB104_939
; %bb.936:
	v_cmp_ne_u32_e32 vcc_lo, 44, v220
	s_xor_b32 s6, s4, -1
	s_delay_alu instid0(SALU_CYCLE_1) | instskip(NEXT) | instid1(SALU_CYCLE_1)
	s_and_b32 s7, s6, vcc_lo
	s_and_saveexec_b32 s6, s7
	s_cbranch_execz .LBB104_938
; %bb.937:
	v_ashrrev_i32_e32 v221, 31, v220
	s_delay_alu instid0(VALU_DEP_1) | instskip(NEXT) | instid1(VALU_DEP_1)
	v_lshlrev_b64 v[227:228], 2, v[220:221]
	v_add_co_u32 v227, vcc_lo, v218, v227
	s_delay_alu instid0(VALU_DEP_2)
	v_add_co_ci_u32_e32 v228, vcc_lo, v219, v228, vcc_lo
	s_clause 0x1
	flat_load_b32 v221, v[227:228]
	flat_load_b32 v229, v[218:219] offset:176
	s_waitcnt vmcnt(1) lgkmcnt(1)
	flat_store_b32 v[218:219], v221 offset:176
	s_waitcnt vmcnt(0) lgkmcnt(1)
	flat_store_b32 v[227:228], v229
.LBB104_938:
	s_or_b32 exec_lo, exec_lo, s6
	v_mov_b32_e32 v228, v220
	v_mov_b32_e32 v227, v220
.LBB104_939:
	s_or_b32 exec_lo, exec_lo, s3
.LBB104_940:
	s_and_not1_saveexec_b32 s2, s2
	s_cbranch_execz .LBB104_942
; %bb.941:
	v_mov_b32_e32 v228, 44
	ds_store_2addr_b64 v222, v[28:29], v[30:31] offset0:90 offset1:91
	ds_store_2addr_b64 v222, v[24:25], v[26:27] offset0:92 offset1:93
	;; [unrolled: 1-line block ×8, first 2 shown]
.LBB104_942:
	s_or_b32 exec_lo, exec_lo, s2
	s_delay_alu instid0(SALU_CYCLE_1)
	s_mov_b32 s2, exec_lo
	s_waitcnt lgkmcnt(0)
	s_waitcnt_vscnt null, 0x0
	s_barrier
	buffer_gl0_inv
	v_cmpx_lt_i32_e32 44, v228
	s_cbranch_execz .LBB104_944
; %bb.943:
	v_mul_f64 v[220:221], v[212:213], v[34:35]
	v_mul_f64 v[34:35], v[214:215], v[34:35]
	s_delay_alu instid0(VALU_DEP_2) | instskip(NEXT) | instid1(VALU_DEP_2)
	v_fma_f64 v[220:221], v[214:215], v[32:33], v[220:221]
	v_fma_f64 v[32:33], v[212:213], v[32:33], -v[34:35]
	ds_load_2addr_b64 v[212:215], v222 offset0:90 offset1:91
	s_waitcnt lgkmcnt(0)
	v_mul_f64 v[34:35], v[214:215], v[220:221]
	s_delay_alu instid0(VALU_DEP_1) | instskip(SKIP_1) | instid1(VALU_DEP_2)
	v_fma_f64 v[34:35], v[212:213], v[32:33], -v[34:35]
	v_mul_f64 v[212:213], v[212:213], v[220:221]
	v_add_f64 v[28:29], v[28:29], -v[34:35]
	s_delay_alu instid0(VALU_DEP_2) | instskip(NEXT) | instid1(VALU_DEP_1)
	v_fma_f64 v[212:213], v[214:215], v[32:33], v[212:213]
	v_add_f64 v[30:31], v[30:31], -v[212:213]
	ds_load_2addr_b64 v[212:215], v222 offset0:92 offset1:93
	s_waitcnt lgkmcnt(0)
	v_mul_f64 v[34:35], v[214:215], v[220:221]
	s_delay_alu instid0(VALU_DEP_1) | instskip(SKIP_1) | instid1(VALU_DEP_2)
	v_fma_f64 v[34:35], v[212:213], v[32:33], -v[34:35]
	v_mul_f64 v[212:213], v[212:213], v[220:221]
	v_add_f64 v[24:25], v[24:25], -v[34:35]
	s_delay_alu instid0(VALU_DEP_2) | instskip(NEXT) | instid1(VALU_DEP_1)
	v_fma_f64 v[212:213], v[214:215], v[32:33], v[212:213]
	v_add_f64 v[26:27], v[26:27], -v[212:213]
	;; [unrolled: 10-line block ×7, first 2 shown]
	ds_load_2addr_b64 v[212:215], v222 offset0:104 offset1:105
	s_waitcnt lgkmcnt(0)
	v_mul_f64 v[34:35], v[214:215], v[220:221]
	s_delay_alu instid0(VALU_DEP_1) | instskip(SKIP_1) | instid1(VALU_DEP_2)
	v_fma_f64 v[34:35], v[212:213], v[32:33], -v[34:35]
	v_mul_f64 v[212:213], v[212:213], v[220:221]
	v_add_f64 v[0:1], v[0:1], -v[34:35]
	s_delay_alu instid0(VALU_DEP_2) | instskip(SKIP_1) | instid1(VALU_DEP_2)
	v_fma_f64 v[212:213], v[214:215], v[32:33], v[212:213]
	v_dual_mov_b32 v34, v220 :: v_dual_mov_b32 v35, v221
	v_add_f64 v[2:3], v[2:3], -v[212:213]
.LBB104_944:
	s_or_b32 exec_lo, exec_lo, s2
	v_lshl_add_u32 v212, v228, 4, v222
	s_barrier
	buffer_gl0_inv
	v_mov_b32_e32 v220, 45
	ds_store_2addr_b64 v212, v[28:29], v[30:31] offset1:1
	s_waitcnt lgkmcnt(0)
	s_barrier
	buffer_gl0_inv
	ds_load_2addr_b64 v[212:215], v222 offset0:90 offset1:91
	s_cmp_lt_i32 s5, 47
	s_cbranch_scc1 .LBB104_947
; %bb.945:
	v_add3_u32 v221, v226, 0, 0x2e0
	v_mov_b32_e32 v220, 45
	s_mov_b32 s6, 46
	s_set_inst_prefetch_distance 0x1
	.p2align	6
.LBB104_946:                            ; =>This Inner Loop Header: Depth=1
	ds_load_2addr_b64 v[229:232], v221 offset1:1
	s_waitcnt lgkmcnt(1)
	v_cmp_gt_f64_e32 vcc_lo, 0, v[212:213]
	v_xor_b32_e32 v233, 0x80000000, v213
	v_cmp_gt_f64_e64 s2, 0, v[214:215]
	v_xor_b32_e32 v235, 0x80000000, v215
	v_add_nc_u32_e32 v221, 16, v221
	s_waitcnt lgkmcnt(0)
	v_cmp_gt_f64_e64 s3, 0, v[229:230]
	v_mov_b32_e32 v237, v229
	v_dual_mov_b32 v239, v231 :: v_dual_cndmask_b32 v234, v213, v233
	v_xor_b32_e32 v233, 0x80000000, v230
	v_cndmask_b32_e64 v236, v215, v235, s2
	v_xor_b32_e32 v235, 0x80000000, v232
	s_delay_alu instid0(VALU_DEP_3) | instskip(SKIP_2) | instid1(VALU_DEP_2)
	v_cndmask_b32_e64 v238, v230, v233, s3
	v_cmp_gt_f64_e64 s3, 0, v[231:232]
	v_cndmask_b32_e32 v233, v212, v212, vcc_lo
	v_cndmask_b32_e64 v240, v232, v235, s3
	v_cndmask_b32_e64 v235, v214, v214, s2
	s_delay_alu instid0(VALU_DEP_2) | instskip(NEXT) | instid1(VALU_DEP_2)
	v_add_f64 v[237:238], v[237:238], v[239:240]
	v_add_f64 v[233:234], v[233:234], v[235:236]
	s_delay_alu instid0(VALU_DEP_1) | instskip(SKIP_4) | instid1(SALU_CYCLE_1)
	v_cmp_lt_f64_e32 vcc_lo, v[233:234], v[237:238]
	v_dual_cndmask_b32 v214, v214, v231 :: v_dual_cndmask_b32 v213, v213, v230
	v_dual_cndmask_b32 v212, v212, v229 :: v_dual_cndmask_b32 v215, v215, v232
	v_cndmask_b32_e64 v220, v220, s6, vcc_lo
	s_add_i32 s6, s6, 1
	s_cmp_lg_u32 s5, s6
	s_cbranch_scc1 .LBB104_946
.LBB104_947:
	s_set_inst_prefetch_distance 0x2
	s_waitcnt lgkmcnt(0)
	v_cmp_eq_f64_e32 vcc_lo, 0, v[212:213]
	v_cmp_eq_f64_e64 s2, 0, v[214:215]
	s_delay_alu instid0(VALU_DEP_1) | instskip(NEXT) | instid1(SALU_CYCLE_1)
	s_and_b32 s2, vcc_lo, s2
	s_and_saveexec_b32 s3, s2
	s_delay_alu instid0(SALU_CYCLE_1)
	s_xor_b32 s2, exec_lo, s3
; %bb.948:
	v_cmp_ne_u32_e32 vcc_lo, 0, v225
	v_cndmask_b32_e32 v225, 46, v225, vcc_lo
; %bb.949:
	s_and_not1_saveexec_b32 s3, s2
	s_cbranch_execz .LBB104_955
; %bb.950:
	v_cmp_gt_f64_e32 vcc_lo, 0, v[212:213]
	v_cmp_gt_f64_e64 s2, 0, v[214:215]
	v_xor_b32_e32 v221, 0x80000000, v213
	v_xor_b32_e32 v229, 0x80000000, v215
	s_delay_alu instid0(VALU_DEP_2) | instskip(NEXT) | instid1(VALU_DEP_2)
	v_cndmask_b32_e32 v230, v213, v221, vcc_lo
	v_cndmask_b32_e64 v232, v215, v229, s2
	v_cndmask_b32_e32 v229, v212, v212, vcc_lo
	v_cndmask_b32_e64 v231, v214, v214, s2
	s_mov_b32 s2, exec_lo
	s_delay_alu instid0(VALU_DEP_1)
	v_cmpx_ngt_f64_e32 v[229:230], v[231:232]
	s_xor_b32 s2, exec_lo, s2
	s_cbranch_execz .LBB104_952
; %bb.951:
	v_div_scale_f64 v[229:230], null, v[214:215], v[214:215], v[212:213]
	v_div_scale_f64 v[235:236], vcc_lo, v[212:213], v[214:215], v[212:213]
	s_delay_alu instid0(VALU_DEP_2) | instskip(SKIP_2) | instid1(VALU_DEP_1)
	v_rcp_f64_e32 v[231:232], v[229:230]
	s_waitcnt_depctr 0xfff
	v_fma_f64 v[233:234], -v[229:230], v[231:232], 1.0
	v_fma_f64 v[231:232], v[231:232], v[233:234], v[231:232]
	s_delay_alu instid0(VALU_DEP_1) | instskip(NEXT) | instid1(VALU_DEP_1)
	v_fma_f64 v[233:234], -v[229:230], v[231:232], 1.0
	v_fma_f64 v[231:232], v[231:232], v[233:234], v[231:232]
	s_delay_alu instid0(VALU_DEP_1) | instskip(NEXT) | instid1(VALU_DEP_1)
	v_mul_f64 v[233:234], v[235:236], v[231:232]
	v_fma_f64 v[229:230], -v[229:230], v[233:234], v[235:236]
	s_delay_alu instid0(VALU_DEP_1) | instskip(NEXT) | instid1(VALU_DEP_1)
	v_div_fmas_f64 v[229:230], v[229:230], v[231:232], v[233:234]
	v_div_fixup_f64 v[229:230], v[229:230], v[214:215], v[212:213]
	s_delay_alu instid0(VALU_DEP_1) | instskip(NEXT) | instid1(VALU_DEP_1)
	v_fma_f64 v[212:213], v[212:213], v[229:230], v[214:215]
	v_div_scale_f64 v[214:215], null, v[212:213], v[212:213], 1.0
	s_delay_alu instid0(VALU_DEP_1) | instskip(SKIP_2) | instid1(VALU_DEP_1)
	v_rcp_f64_e32 v[231:232], v[214:215]
	s_waitcnt_depctr 0xfff
	v_fma_f64 v[233:234], -v[214:215], v[231:232], 1.0
	v_fma_f64 v[231:232], v[231:232], v[233:234], v[231:232]
	s_delay_alu instid0(VALU_DEP_1) | instskip(NEXT) | instid1(VALU_DEP_1)
	v_fma_f64 v[233:234], -v[214:215], v[231:232], 1.0
	v_fma_f64 v[231:232], v[231:232], v[233:234], v[231:232]
	v_div_scale_f64 v[233:234], vcc_lo, 1.0, v[212:213], 1.0
	s_delay_alu instid0(VALU_DEP_1) | instskip(NEXT) | instid1(VALU_DEP_1)
	v_mul_f64 v[235:236], v[233:234], v[231:232]
	v_fma_f64 v[214:215], -v[214:215], v[235:236], v[233:234]
	s_delay_alu instid0(VALU_DEP_1) | instskip(NEXT) | instid1(VALU_DEP_1)
	v_div_fmas_f64 v[214:215], v[214:215], v[231:232], v[235:236]
	v_div_fixup_f64 v[214:215], v[214:215], v[212:213], 1.0
	s_delay_alu instid0(VALU_DEP_1)
	v_mul_f64 v[212:213], v[229:230], v[214:215]
	v_xor_b32_e32 v215, 0x80000000, v215
.LBB104_952:
	s_and_not1_saveexec_b32 s2, s2
	s_cbranch_execz .LBB104_954
; %bb.953:
	s_delay_alu instid0(VALU_DEP_1) | instskip(SKIP_1) | instid1(VALU_DEP_2)
	v_div_scale_f64 v[229:230], null, v[212:213], v[212:213], v[214:215]
	v_div_scale_f64 v[235:236], vcc_lo, v[214:215], v[212:213], v[214:215]
	v_rcp_f64_e32 v[231:232], v[229:230]
	s_waitcnt_depctr 0xfff
	v_fma_f64 v[233:234], -v[229:230], v[231:232], 1.0
	s_delay_alu instid0(VALU_DEP_1) | instskip(NEXT) | instid1(VALU_DEP_1)
	v_fma_f64 v[231:232], v[231:232], v[233:234], v[231:232]
	v_fma_f64 v[233:234], -v[229:230], v[231:232], 1.0
	s_delay_alu instid0(VALU_DEP_1) | instskip(NEXT) | instid1(VALU_DEP_1)
	v_fma_f64 v[231:232], v[231:232], v[233:234], v[231:232]
	v_mul_f64 v[233:234], v[235:236], v[231:232]
	s_delay_alu instid0(VALU_DEP_1) | instskip(NEXT) | instid1(VALU_DEP_1)
	v_fma_f64 v[229:230], -v[229:230], v[233:234], v[235:236]
	v_div_fmas_f64 v[229:230], v[229:230], v[231:232], v[233:234]
	s_delay_alu instid0(VALU_DEP_1) | instskip(NEXT) | instid1(VALU_DEP_1)
	v_div_fixup_f64 v[229:230], v[229:230], v[212:213], v[214:215]
	v_fma_f64 v[212:213], v[214:215], v[229:230], v[212:213]
	s_delay_alu instid0(VALU_DEP_1) | instskip(NEXT) | instid1(VALU_DEP_1)
	v_div_scale_f64 v[214:215], null, v[212:213], v[212:213], 1.0
	v_rcp_f64_e32 v[231:232], v[214:215]
	s_waitcnt_depctr 0xfff
	v_fma_f64 v[233:234], -v[214:215], v[231:232], 1.0
	s_delay_alu instid0(VALU_DEP_1) | instskip(NEXT) | instid1(VALU_DEP_1)
	v_fma_f64 v[231:232], v[231:232], v[233:234], v[231:232]
	v_fma_f64 v[233:234], -v[214:215], v[231:232], 1.0
	s_delay_alu instid0(VALU_DEP_1) | instskip(SKIP_1) | instid1(VALU_DEP_1)
	v_fma_f64 v[231:232], v[231:232], v[233:234], v[231:232]
	v_div_scale_f64 v[233:234], vcc_lo, 1.0, v[212:213], 1.0
	v_mul_f64 v[235:236], v[233:234], v[231:232]
	s_delay_alu instid0(VALU_DEP_1) | instskip(NEXT) | instid1(VALU_DEP_1)
	v_fma_f64 v[214:215], -v[214:215], v[235:236], v[233:234]
	v_div_fmas_f64 v[214:215], v[214:215], v[231:232], v[235:236]
	s_delay_alu instid0(VALU_DEP_1) | instskip(NEXT) | instid1(VALU_DEP_1)
	v_div_fixup_f64 v[212:213], v[214:215], v[212:213], 1.0
	v_mul_f64 v[214:215], v[229:230], -v[212:213]
.LBB104_954:
	s_or_b32 exec_lo, exec_lo, s2
.LBB104_955:
	s_delay_alu instid0(SALU_CYCLE_1) | instskip(NEXT) | instid1(SALU_CYCLE_1)
	s_or_b32 exec_lo, exec_lo, s3
	s_mov_b32 s2, exec_lo
	v_cmpx_ne_u32_e64 v228, v220
	s_xor_b32 s2, exec_lo, s2
	s_cbranch_execz .LBB104_961
; %bb.956:
	s_mov_b32 s3, exec_lo
	v_cmpx_eq_u32_e32 45, v228
	s_cbranch_execz .LBB104_960
; %bb.957:
	v_cmp_ne_u32_e32 vcc_lo, 45, v220
	s_xor_b32 s6, s4, -1
	s_delay_alu instid0(SALU_CYCLE_1) | instskip(NEXT) | instid1(SALU_CYCLE_1)
	s_and_b32 s7, s6, vcc_lo
	s_and_saveexec_b32 s6, s7
	s_cbranch_execz .LBB104_959
; %bb.958:
	v_ashrrev_i32_e32 v221, 31, v220
	s_delay_alu instid0(VALU_DEP_1) | instskip(NEXT) | instid1(VALU_DEP_1)
	v_lshlrev_b64 v[227:228], 2, v[220:221]
	v_add_co_u32 v227, vcc_lo, v218, v227
	s_delay_alu instid0(VALU_DEP_2)
	v_add_co_ci_u32_e32 v228, vcc_lo, v219, v228, vcc_lo
	s_clause 0x1
	flat_load_b32 v221, v[227:228]
	flat_load_b32 v229, v[218:219] offset:180
	s_waitcnt vmcnt(1) lgkmcnt(1)
	flat_store_b32 v[218:219], v221 offset:180
	s_waitcnt vmcnt(0) lgkmcnt(1)
	flat_store_b32 v[227:228], v229
.LBB104_959:
	s_or_b32 exec_lo, exec_lo, s6
	v_mov_b32_e32 v228, v220
	v_mov_b32_e32 v227, v220
.LBB104_960:
	s_or_b32 exec_lo, exec_lo, s3
.LBB104_961:
	s_and_not1_saveexec_b32 s2, s2
	s_cbranch_execz .LBB104_963
; %bb.962:
	v_mov_b32_e32 v228, 45
	ds_store_2addr_b64 v222, v[24:25], v[26:27] offset0:92 offset1:93
	ds_store_2addr_b64 v222, v[20:21], v[22:23] offset0:94 offset1:95
	;; [unrolled: 1-line block ×7, first 2 shown]
.LBB104_963:
	s_or_b32 exec_lo, exec_lo, s2
	s_delay_alu instid0(SALU_CYCLE_1)
	s_mov_b32 s2, exec_lo
	s_waitcnt lgkmcnt(0)
	s_waitcnt_vscnt null, 0x0
	s_barrier
	buffer_gl0_inv
	v_cmpx_lt_i32_e32 45, v228
	s_cbranch_execz .LBB104_965
; %bb.964:
	v_mul_f64 v[220:221], v[212:213], v[30:31]
	v_mul_f64 v[30:31], v[214:215], v[30:31]
	s_delay_alu instid0(VALU_DEP_2) | instskip(NEXT) | instid1(VALU_DEP_2)
	v_fma_f64 v[220:221], v[214:215], v[28:29], v[220:221]
	v_fma_f64 v[28:29], v[212:213], v[28:29], -v[30:31]
	ds_load_2addr_b64 v[212:215], v222 offset0:92 offset1:93
	s_waitcnt lgkmcnt(0)
	v_mul_f64 v[30:31], v[214:215], v[220:221]
	s_delay_alu instid0(VALU_DEP_1) | instskip(SKIP_1) | instid1(VALU_DEP_2)
	v_fma_f64 v[30:31], v[212:213], v[28:29], -v[30:31]
	v_mul_f64 v[212:213], v[212:213], v[220:221]
	v_add_f64 v[24:25], v[24:25], -v[30:31]
	s_delay_alu instid0(VALU_DEP_2) | instskip(NEXT) | instid1(VALU_DEP_1)
	v_fma_f64 v[212:213], v[214:215], v[28:29], v[212:213]
	v_add_f64 v[26:27], v[26:27], -v[212:213]
	ds_load_2addr_b64 v[212:215], v222 offset0:94 offset1:95
	s_waitcnt lgkmcnt(0)
	v_mul_f64 v[30:31], v[214:215], v[220:221]
	s_delay_alu instid0(VALU_DEP_1) | instskip(SKIP_1) | instid1(VALU_DEP_2)
	v_fma_f64 v[30:31], v[212:213], v[28:29], -v[30:31]
	v_mul_f64 v[212:213], v[212:213], v[220:221]
	v_add_f64 v[20:21], v[20:21], -v[30:31]
	s_delay_alu instid0(VALU_DEP_2) | instskip(NEXT) | instid1(VALU_DEP_1)
	v_fma_f64 v[212:213], v[214:215], v[28:29], v[212:213]
	v_add_f64 v[22:23], v[22:23], -v[212:213]
	;; [unrolled: 10-line block ×6, first 2 shown]
	ds_load_2addr_b64 v[212:215], v222 offset0:104 offset1:105
	s_waitcnt lgkmcnt(0)
	v_mul_f64 v[30:31], v[214:215], v[220:221]
	s_delay_alu instid0(VALU_DEP_1) | instskip(SKIP_1) | instid1(VALU_DEP_2)
	v_fma_f64 v[30:31], v[212:213], v[28:29], -v[30:31]
	v_mul_f64 v[212:213], v[212:213], v[220:221]
	v_add_f64 v[0:1], v[0:1], -v[30:31]
	s_delay_alu instid0(VALU_DEP_2) | instskip(SKIP_1) | instid1(VALU_DEP_2)
	v_fma_f64 v[212:213], v[214:215], v[28:29], v[212:213]
	v_dual_mov_b32 v30, v220 :: v_dual_mov_b32 v31, v221
	v_add_f64 v[2:3], v[2:3], -v[212:213]
.LBB104_965:
	s_or_b32 exec_lo, exec_lo, s2
	v_lshl_add_u32 v212, v228, 4, v222
	s_barrier
	buffer_gl0_inv
	v_mov_b32_e32 v220, 46
	ds_store_2addr_b64 v212, v[24:25], v[26:27] offset1:1
	s_waitcnt lgkmcnt(0)
	s_barrier
	buffer_gl0_inv
	ds_load_2addr_b64 v[212:215], v222 offset0:92 offset1:93
	s_cmp_lt_i32 s5, 48
	s_cbranch_scc1 .LBB104_968
; %bb.966:
	v_add3_u32 v221, v226, 0, 0x2f0
	v_mov_b32_e32 v220, 46
	s_mov_b32 s6, 47
	s_set_inst_prefetch_distance 0x1
	.p2align	6
.LBB104_967:                            ; =>This Inner Loop Header: Depth=1
	ds_load_2addr_b64 v[229:232], v221 offset1:1
	s_waitcnt lgkmcnt(1)
	v_cmp_gt_f64_e32 vcc_lo, 0, v[212:213]
	v_xor_b32_e32 v233, 0x80000000, v213
	v_cmp_gt_f64_e64 s2, 0, v[214:215]
	v_xor_b32_e32 v235, 0x80000000, v215
	v_add_nc_u32_e32 v221, 16, v221
	s_waitcnt lgkmcnt(0)
	v_cmp_gt_f64_e64 s3, 0, v[229:230]
	v_mov_b32_e32 v237, v229
	v_dual_mov_b32 v239, v231 :: v_dual_cndmask_b32 v234, v213, v233
	v_xor_b32_e32 v233, 0x80000000, v230
	v_cndmask_b32_e64 v236, v215, v235, s2
	v_xor_b32_e32 v235, 0x80000000, v232
	s_delay_alu instid0(VALU_DEP_3) | instskip(SKIP_2) | instid1(VALU_DEP_2)
	v_cndmask_b32_e64 v238, v230, v233, s3
	v_cmp_gt_f64_e64 s3, 0, v[231:232]
	v_cndmask_b32_e32 v233, v212, v212, vcc_lo
	v_cndmask_b32_e64 v240, v232, v235, s3
	v_cndmask_b32_e64 v235, v214, v214, s2
	s_delay_alu instid0(VALU_DEP_2) | instskip(NEXT) | instid1(VALU_DEP_2)
	v_add_f64 v[237:238], v[237:238], v[239:240]
	v_add_f64 v[233:234], v[233:234], v[235:236]
	s_delay_alu instid0(VALU_DEP_1) | instskip(SKIP_4) | instid1(SALU_CYCLE_1)
	v_cmp_lt_f64_e32 vcc_lo, v[233:234], v[237:238]
	v_dual_cndmask_b32 v214, v214, v231 :: v_dual_cndmask_b32 v213, v213, v230
	v_dual_cndmask_b32 v212, v212, v229 :: v_dual_cndmask_b32 v215, v215, v232
	v_cndmask_b32_e64 v220, v220, s6, vcc_lo
	s_add_i32 s6, s6, 1
	s_cmp_lg_u32 s5, s6
	s_cbranch_scc1 .LBB104_967
.LBB104_968:
	s_set_inst_prefetch_distance 0x2
	s_waitcnt lgkmcnt(0)
	v_cmp_eq_f64_e32 vcc_lo, 0, v[212:213]
	v_cmp_eq_f64_e64 s2, 0, v[214:215]
	s_delay_alu instid0(VALU_DEP_1) | instskip(NEXT) | instid1(SALU_CYCLE_1)
	s_and_b32 s2, vcc_lo, s2
	s_and_saveexec_b32 s3, s2
	s_delay_alu instid0(SALU_CYCLE_1)
	s_xor_b32 s2, exec_lo, s3
; %bb.969:
	v_cmp_ne_u32_e32 vcc_lo, 0, v225
	v_cndmask_b32_e32 v225, 47, v225, vcc_lo
; %bb.970:
	s_and_not1_saveexec_b32 s3, s2
	s_cbranch_execz .LBB104_976
; %bb.971:
	v_cmp_gt_f64_e32 vcc_lo, 0, v[212:213]
	v_cmp_gt_f64_e64 s2, 0, v[214:215]
	v_xor_b32_e32 v221, 0x80000000, v213
	v_xor_b32_e32 v229, 0x80000000, v215
	s_delay_alu instid0(VALU_DEP_2) | instskip(NEXT) | instid1(VALU_DEP_2)
	v_cndmask_b32_e32 v230, v213, v221, vcc_lo
	v_cndmask_b32_e64 v232, v215, v229, s2
	v_cndmask_b32_e32 v229, v212, v212, vcc_lo
	v_cndmask_b32_e64 v231, v214, v214, s2
	s_mov_b32 s2, exec_lo
	s_delay_alu instid0(VALU_DEP_1)
	v_cmpx_ngt_f64_e32 v[229:230], v[231:232]
	s_xor_b32 s2, exec_lo, s2
	s_cbranch_execz .LBB104_973
; %bb.972:
	v_div_scale_f64 v[229:230], null, v[214:215], v[214:215], v[212:213]
	v_div_scale_f64 v[235:236], vcc_lo, v[212:213], v[214:215], v[212:213]
	s_delay_alu instid0(VALU_DEP_2) | instskip(SKIP_2) | instid1(VALU_DEP_1)
	v_rcp_f64_e32 v[231:232], v[229:230]
	s_waitcnt_depctr 0xfff
	v_fma_f64 v[233:234], -v[229:230], v[231:232], 1.0
	v_fma_f64 v[231:232], v[231:232], v[233:234], v[231:232]
	s_delay_alu instid0(VALU_DEP_1) | instskip(NEXT) | instid1(VALU_DEP_1)
	v_fma_f64 v[233:234], -v[229:230], v[231:232], 1.0
	v_fma_f64 v[231:232], v[231:232], v[233:234], v[231:232]
	s_delay_alu instid0(VALU_DEP_1) | instskip(NEXT) | instid1(VALU_DEP_1)
	v_mul_f64 v[233:234], v[235:236], v[231:232]
	v_fma_f64 v[229:230], -v[229:230], v[233:234], v[235:236]
	s_delay_alu instid0(VALU_DEP_1) | instskip(NEXT) | instid1(VALU_DEP_1)
	v_div_fmas_f64 v[229:230], v[229:230], v[231:232], v[233:234]
	v_div_fixup_f64 v[229:230], v[229:230], v[214:215], v[212:213]
	s_delay_alu instid0(VALU_DEP_1) | instskip(NEXT) | instid1(VALU_DEP_1)
	v_fma_f64 v[212:213], v[212:213], v[229:230], v[214:215]
	v_div_scale_f64 v[214:215], null, v[212:213], v[212:213], 1.0
	s_delay_alu instid0(VALU_DEP_1) | instskip(SKIP_2) | instid1(VALU_DEP_1)
	v_rcp_f64_e32 v[231:232], v[214:215]
	s_waitcnt_depctr 0xfff
	v_fma_f64 v[233:234], -v[214:215], v[231:232], 1.0
	v_fma_f64 v[231:232], v[231:232], v[233:234], v[231:232]
	s_delay_alu instid0(VALU_DEP_1) | instskip(NEXT) | instid1(VALU_DEP_1)
	v_fma_f64 v[233:234], -v[214:215], v[231:232], 1.0
	v_fma_f64 v[231:232], v[231:232], v[233:234], v[231:232]
	v_div_scale_f64 v[233:234], vcc_lo, 1.0, v[212:213], 1.0
	s_delay_alu instid0(VALU_DEP_1) | instskip(NEXT) | instid1(VALU_DEP_1)
	v_mul_f64 v[235:236], v[233:234], v[231:232]
	v_fma_f64 v[214:215], -v[214:215], v[235:236], v[233:234]
	s_delay_alu instid0(VALU_DEP_1) | instskip(NEXT) | instid1(VALU_DEP_1)
	v_div_fmas_f64 v[214:215], v[214:215], v[231:232], v[235:236]
	v_div_fixup_f64 v[214:215], v[214:215], v[212:213], 1.0
	s_delay_alu instid0(VALU_DEP_1)
	v_mul_f64 v[212:213], v[229:230], v[214:215]
	v_xor_b32_e32 v215, 0x80000000, v215
.LBB104_973:
	s_and_not1_saveexec_b32 s2, s2
	s_cbranch_execz .LBB104_975
; %bb.974:
	s_delay_alu instid0(VALU_DEP_1) | instskip(SKIP_1) | instid1(VALU_DEP_2)
	v_div_scale_f64 v[229:230], null, v[212:213], v[212:213], v[214:215]
	v_div_scale_f64 v[235:236], vcc_lo, v[214:215], v[212:213], v[214:215]
	v_rcp_f64_e32 v[231:232], v[229:230]
	s_waitcnt_depctr 0xfff
	v_fma_f64 v[233:234], -v[229:230], v[231:232], 1.0
	s_delay_alu instid0(VALU_DEP_1) | instskip(NEXT) | instid1(VALU_DEP_1)
	v_fma_f64 v[231:232], v[231:232], v[233:234], v[231:232]
	v_fma_f64 v[233:234], -v[229:230], v[231:232], 1.0
	s_delay_alu instid0(VALU_DEP_1) | instskip(NEXT) | instid1(VALU_DEP_1)
	v_fma_f64 v[231:232], v[231:232], v[233:234], v[231:232]
	v_mul_f64 v[233:234], v[235:236], v[231:232]
	s_delay_alu instid0(VALU_DEP_1) | instskip(NEXT) | instid1(VALU_DEP_1)
	v_fma_f64 v[229:230], -v[229:230], v[233:234], v[235:236]
	v_div_fmas_f64 v[229:230], v[229:230], v[231:232], v[233:234]
	s_delay_alu instid0(VALU_DEP_1) | instskip(NEXT) | instid1(VALU_DEP_1)
	v_div_fixup_f64 v[229:230], v[229:230], v[212:213], v[214:215]
	v_fma_f64 v[212:213], v[214:215], v[229:230], v[212:213]
	s_delay_alu instid0(VALU_DEP_1) | instskip(NEXT) | instid1(VALU_DEP_1)
	v_div_scale_f64 v[214:215], null, v[212:213], v[212:213], 1.0
	v_rcp_f64_e32 v[231:232], v[214:215]
	s_waitcnt_depctr 0xfff
	v_fma_f64 v[233:234], -v[214:215], v[231:232], 1.0
	s_delay_alu instid0(VALU_DEP_1) | instskip(NEXT) | instid1(VALU_DEP_1)
	v_fma_f64 v[231:232], v[231:232], v[233:234], v[231:232]
	v_fma_f64 v[233:234], -v[214:215], v[231:232], 1.0
	s_delay_alu instid0(VALU_DEP_1) | instskip(SKIP_1) | instid1(VALU_DEP_1)
	v_fma_f64 v[231:232], v[231:232], v[233:234], v[231:232]
	v_div_scale_f64 v[233:234], vcc_lo, 1.0, v[212:213], 1.0
	v_mul_f64 v[235:236], v[233:234], v[231:232]
	s_delay_alu instid0(VALU_DEP_1) | instskip(NEXT) | instid1(VALU_DEP_1)
	v_fma_f64 v[214:215], -v[214:215], v[235:236], v[233:234]
	v_div_fmas_f64 v[214:215], v[214:215], v[231:232], v[235:236]
	s_delay_alu instid0(VALU_DEP_1) | instskip(NEXT) | instid1(VALU_DEP_1)
	v_div_fixup_f64 v[212:213], v[214:215], v[212:213], 1.0
	v_mul_f64 v[214:215], v[229:230], -v[212:213]
.LBB104_975:
	s_or_b32 exec_lo, exec_lo, s2
.LBB104_976:
	s_delay_alu instid0(SALU_CYCLE_1) | instskip(NEXT) | instid1(SALU_CYCLE_1)
	s_or_b32 exec_lo, exec_lo, s3
	s_mov_b32 s2, exec_lo
	v_cmpx_ne_u32_e64 v228, v220
	s_xor_b32 s2, exec_lo, s2
	s_cbranch_execz .LBB104_982
; %bb.977:
	s_mov_b32 s3, exec_lo
	v_cmpx_eq_u32_e32 46, v228
	s_cbranch_execz .LBB104_981
; %bb.978:
	v_cmp_ne_u32_e32 vcc_lo, 46, v220
	s_xor_b32 s6, s4, -1
	s_delay_alu instid0(SALU_CYCLE_1) | instskip(NEXT) | instid1(SALU_CYCLE_1)
	s_and_b32 s7, s6, vcc_lo
	s_and_saveexec_b32 s6, s7
	s_cbranch_execz .LBB104_980
; %bb.979:
	v_ashrrev_i32_e32 v221, 31, v220
	s_delay_alu instid0(VALU_DEP_1) | instskip(NEXT) | instid1(VALU_DEP_1)
	v_lshlrev_b64 v[227:228], 2, v[220:221]
	v_add_co_u32 v227, vcc_lo, v218, v227
	s_delay_alu instid0(VALU_DEP_2)
	v_add_co_ci_u32_e32 v228, vcc_lo, v219, v228, vcc_lo
	s_clause 0x1
	flat_load_b32 v221, v[227:228]
	flat_load_b32 v229, v[218:219] offset:184
	s_waitcnt vmcnt(1) lgkmcnt(1)
	flat_store_b32 v[218:219], v221 offset:184
	s_waitcnt vmcnt(0) lgkmcnt(1)
	flat_store_b32 v[227:228], v229
.LBB104_980:
	s_or_b32 exec_lo, exec_lo, s6
	v_mov_b32_e32 v228, v220
	v_mov_b32_e32 v227, v220
.LBB104_981:
	s_or_b32 exec_lo, exec_lo, s3
.LBB104_982:
	s_and_not1_saveexec_b32 s2, s2
	s_cbranch_execz .LBB104_984
; %bb.983:
	v_mov_b32_e32 v228, 46
	ds_store_2addr_b64 v222, v[20:21], v[22:23] offset0:94 offset1:95
	ds_store_2addr_b64 v222, v[16:17], v[18:19] offset0:96 offset1:97
	;; [unrolled: 1-line block ×6, first 2 shown]
.LBB104_984:
	s_or_b32 exec_lo, exec_lo, s2
	s_delay_alu instid0(SALU_CYCLE_1)
	s_mov_b32 s2, exec_lo
	s_waitcnt lgkmcnt(0)
	s_waitcnt_vscnt null, 0x0
	s_barrier
	buffer_gl0_inv
	v_cmpx_lt_i32_e32 46, v228
	s_cbranch_execz .LBB104_986
; %bb.985:
	v_mul_f64 v[220:221], v[212:213], v[26:27]
	v_mul_f64 v[26:27], v[214:215], v[26:27]
	s_delay_alu instid0(VALU_DEP_2) | instskip(NEXT) | instid1(VALU_DEP_2)
	v_fma_f64 v[220:221], v[214:215], v[24:25], v[220:221]
	v_fma_f64 v[24:25], v[212:213], v[24:25], -v[26:27]
	ds_load_2addr_b64 v[212:215], v222 offset0:94 offset1:95
	s_waitcnt lgkmcnt(0)
	v_mul_f64 v[26:27], v[214:215], v[220:221]
	s_delay_alu instid0(VALU_DEP_1) | instskip(SKIP_1) | instid1(VALU_DEP_2)
	v_fma_f64 v[26:27], v[212:213], v[24:25], -v[26:27]
	v_mul_f64 v[212:213], v[212:213], v[220:221]
	v_add_f64 v[20:21], v[20:21], -v[26:27]
	s_delay_alu instid0(VALU_DEP_2) | instskip(NEXT) | instid1(VALU_DEP_1)
	v_fma_f64 v[212:213], v[214:215], v[24:25], v[212:213]
	v_add_f64 v[22:23], v[22:23], -v[212:213]
	ds_load_2addr_b64 v[212:215], v222 offset0:96 offset1:97
	s_waitcnt lgkmcnt(0)
	v_mul_f64 v[26:27], v[214:215], v[220:221]
	s_delay_alu instid0(VALU_DEP_1) | instskip(SKIP_1) | instid1(VALU_DEP_2)
	v_fma_f64 v[26:27], v[212:213], v[24:25], -v[26:27]
	v_mul_f64 v[212:213], v[212:213], v[220:221]
	v_add_f64 v[16:17], v[16:17], -v[26:27]
	s_delay_alu instid0(VALU_DEP_2) | instskip(NEXT) | instid1(VALU_DEP_1)
	v_fma_f64 v[212:213], v[214:215], v[24:25], v[212:213]
	v_add_f64 v[18:19], v[18:19], -v[212:213]
	;; [unrolled: 10-line block ×5, first 2 shown]
	ds_load_2addr_b64 v[212:215], v222 offset0:104 offset1:105
	s_waitcnt lgkmcnt(0)
	v_mul_f64 v[26:27], v[214:215], v[220:221]
	s_delay_alu instid0(VALU_DEP_1) | instskip(SKIP_1) | instid1(VALU_DEP_2)
	v_fma_f64 v[26:27], v[212:213], v[24:25], -v[26:27]
	v_mul_f64 v[212:213], v[212:213], v[220:221]
	v_add_f64 v[0:1], v[0:1], -v[26:27]
	s_delay_alu instid0(VALU_DEP_2) | instskip(SKIP_1) | instid1(VALU_DEP_2)
	v_fma_f64 v[212:213], v[214:215], v[24:25], v[212:213]
	v_dual_mov_b32 v26, v220 :: v_dual_mov_b32 v27, v221
	v_add_f64 v[2:3], v[2:3], -v[212:213]
.LBB104_986:
	s_or_b32 exec_lo, exec_lo, s2
	v_lshl_add_u32 v212, v228, 4, v222
	s_barrier
	buffer_gl0_inv
	v_mov_b32_e32 v220, 47
	ds_store_2addr_b64 v212, v[20:21], v[22:23] offset1:1
	s_waitcnt lgkmcnt(0)
	s_barrier
	buffer_gl0_inv
	ds_load_2addr_b64 v[212:215], v222 offset0:94 offset1:95
	s_cmp_lt_i32 s5, 49
	s_cbranch_scc1 .LBB104_989
; %bb.987:
	v_add3_u32 v221, v226, 0, 0x300
	v_mov_b32_e32 v220, 47
	s_mov_b32 s6, 48
	s_set_inst_prefetch_distance 0x1
	.p2align	6
.LBB104_988:                            ; =>This Inner Loop Header: Depth=1
	ds_load_2addr_b64 v[229:232], v221 offset1:1
	s_waitcnt lgkmcnt(1)
	v_cmp_gt_f64_e32 vcc_lo, 0, v[212:213]
	v_xor_b32_e32 v233, 0x80000000, v213
	v_cmp_gt_f64_e64 s2, 0, v[214:215]
	v_xor_b32_e32 v235, 0x80000000, v215
	v_add_nc_u32_e32 v221, 16, v221
	s_waitcnt lgkmcnt(0)
	v_cmp_gt_f64_e64 s3, 0, v[229:230]
	v_mov_b32_e32 v237, v229
	v_dual_mov_b32 v239, v231 :: v_dual_cndmask_b32 v234, v213, v233
	v_xor_b32_e32 v233, 0x80000000, v230
	v_cndmask_b32_e64 v236, v215, v235, s2
	v_xor_b32_e32 v235, 0x80000000, v232
	s_delay_alu instid0(VALU_DEP_3) | instskip(SKIP_2) | instid1(VALU_DEP_2)
	v_cndmask_b32_e64 v238, v230, v233, s3
	v_cmp_gt_f64_e64 s3, 0, v[231:232]
	v_cndmask_b32_e32 v233, v212, v212, vcc_lo
	v_cndmask_b32_e64 v240, v232, v235, s3
	v_cndmask_b32_e64 v235, v214, v214, s2
	s_delay_alu instid0(VALU_DEP_2) | instskip(NEXT) | instid1(VALU_DEP_2)
	v_add_f64 v[237:238], v[237:238], v[239:240]
	v_add_f64 v[233:234], v[233:234], v[235:236]
	s_delay_alu instid0(VALU_DEP_1) | instskip(SKIP_4) | instid1(SALU_CYCLE_1)
	v_cmp_lt_f64_e32 vcc_lo, v[233:234], v[237:238]
	v_dual_cndmask_b32 v214, v214, v231 :: v_dual_cndmask_b32 v213, v213, v230
	v_dual_cndmask_b32 v212, v212, v229 :: v_dual_cndmask_b32 v215, v215, v232
	v_cndmask_b32_e64 v220, v220, s6, vcc_lo
	s_add_i32 s6, s6, 1
	s_cmp_lg_u32 s5, s6
	s_cbranch_scc1 .LBB104_988
.LBB104_989:
	s_set_inst_prefetch_distance 0x2
	s_waitcnt lgkmcnt(0)
	v_cmp_eq_f64_e32 vcc_lo, 0, v[212:213]
	v_cmp_eq_f64_e64 s2, 0, v[214:215]
	s_delay_alu instid0(VALU_DEP_1) | instskip(NEXT) | instid1(SALU_CYCLE_1)
	s_and_b32 s2, vcc_lo, s2
	s_and_saveexec_b32 s3, s2
	s_delay_alu instid0(SALU_CYCLE_1)
	s_xor_b32 s2, exec_lo, s3
; %bb.990:
	v_cmp_ne_u32_e32 vcc_lo, 0, v225
	v_cndmask_b32_e32 v225, 48, v225, vcc_lo
; %bb.991:
	s_and_not1_saveexec_b32 s3, s2
	s_cbranch_execz .LBB104_997
; %bb.992:
	v_cmp_gt_f64_e32 vcc_lo, 0, v[212:213]
	v_cmp_gt_f64_e64 s2, 0, v[214:215]
	v_xor_b32_e32 v221, 0x80000000, v213
	v_xor_b32_e32 v229, 0x80000000, v215
	s_delay_alu instid0(VALU_DEP_2) | instskip(NEXT) | instid1(VALU_DEP_2)
	v_cndmask_b32_e32 v230, v213, v221, vcc_lo
	v_cndmask_b32_e64 v232, v215, v229, s2
	v_cndmask_b32_e32 v229, v212, v212, vcc_lo
	v_cndmask_b32_e64 v231, v214, v214, s2
	s_mov_b32 s2, exec_lo
	s_delay_alu instid0(VALU_DEP_1)
	v_cmpx_ngt_f64_e32 v[229:230], v[231:232]
	s_xor_b32 s2, exec_lo, s2
	s_cbranch_execz .LBB104_994
; %bb.993:
	v_div_scale_f64 v[229:230], null, v[214:215], v[214:215], v[212:213]
	v_div_scale_f64 v[235:236], vcc_lo, v[212:213], v[214:215], v[212:213]
	s_delay_alu instid0(VALU_DEP_2) | instskip(SKIP_2) | instid1(VALU_DEP_1)
	v_rcp_f64_e32 v[231:232], v[229:230]
	s_waitcnt_depctr 0xfff
	v_fma_f64 v[233:234], -v[229:230], v[231:232], 1.0
	v_fma_f64 v[231:232], v[231:232], v[233:234], v[231:232]
	s_delay_alu instid0(VALU_DEP_1) | instskip(NEXT) | instid1(VALU_DEP_1)
	v_fma_f64 v[233:234], -v[229:230], v[231:232], 1.0
	v_fma_f64 v[231:232], v[231:232], v[233:234], v[231:232]
	s_delay_alu instid0(VALU_DEP_1) | instskip(NEXT) | instid1(VALU_DEP_1)
	v_mul_f64 v[233:234], v[235:236], v[231:232]
	v_fma_f64 v[229:230], -v[229:230], v[233:234], v[235:236]
	s_delay_alu instid0(VALU_DEP_1) | instskip(NEXT) | instid1(VALU_DEP_1)
	v_div_fmas_f64 v[229:230], v[229:230], v[231:232], v[233:234]
	v_div_fixup_f64 v[229:230], v[229:230], v[214:215], v[212:213]
	s_delay_alu instid0(VALU_DEP_1) | instskip(NEXT) | instid1(VALU_DEP_1)
	v_fma_f64 v[212:213], v[212:213], v[229:230], v[214:215]
	v_div_scale_f64 v[214:215], null, v[212:213], v[212:213], 1.0
	s_delay_alu instid0(VALU_DEP_1) | instskip(SKIP_2) | instid1(VALU_DEP_1)
	v_rcp_f64_e32 v[231:232], v[214:215]
	s_waitcnt_depctr 0xfff
	v_fma_f64 v[233:234], -v[214:215], v[231:232], 1.0
	v_fma_f64 v[231:232], v[231:232], v[233:234], v[231:232]
	s_delay_alu instid0(VALU_DEP_1) | instskip(NEXT) | instid1(VALU_DEP_1)
	v_fma_f64 v[233:234], -v[214:215], v[231:232], 1.0
	v_fma_f64 v[231:232], v[231:232], v[233:234], v[231:232]
	v_div_scale_f64 v[233:234], vcc_lo, 1.0, v[212:213], 1.0
	s_delay_alu instid0(VALU_DEP_1) | instskip(NEXT) | instid1(VALU_DEP_1)
	v_mul_f64 v[235:236], v[233:234], v[231:232]
	v_fma_f64 v[214:215], -v[214:215], v[235:236], v[233:234]
	s_delay_alu instid0(VALU_DEP_1) | instskip(NEXT) | instid1(VALU_DEP_1)
	v_div_fmas_f64 v[214:215], v[214:215], v[231:232], v[235:236]
	v_div_fixup_f64 v[214:215], v[214:215], v[212:213], 1.0
	s_delay_alu instid0(VALU_DEP_1)
	v_mul_f64 v[212:213], v[229:230], v[214:215]
	v_xor_b32_e32 v215, 0x80000000, v215
.LBB104_994:
	s_and_not1_saveexec_b32 s2, s2
	s_cbranch_execz .LBB104_996
; %bb.995:
	s_delay_alu instid0(VALU_DEP_1) | instskip(SKIP_1) | instid1(VALU_DEP_2)
	v_div_scale_f64 v[229:230], null, v[212:213], v[212:213], v[214:215]
	v_div_scale_f64 v[235:236], vcc_lo, v[214:215], v[212:213], v[214:215]
	v_rcp_f64_e32 v[231:232], v[229:230]
	s_waitcnt_depctr 0xfff
	v_fma_f64 v[233:234], -v[229:230], v[231:232], 1.0
	s_delay_alu instid0(VALU_DEP_1) | instskip(NEXT) | instid1(VALU_DEP_1)
	v_fma_f64 v[231:232], v[231:232], v[233:234], v[231:232]
	v_fma_f64 v[233:234], -v[229:230], v[231:232], 1.0
	s_delay_alu instid0(VALU_DEP_1) | instskip(NEXT) | instid1(VALU_DEP_1)
	v_fma_f64 v[231:232], v[231:232], v[233:234], v[231:232]
	v_mul_f64 v[233:234], v[235:236], v[231:232]
	s_delay_alu instid0(VALU_DEP_1) | instskip(NEXT) | instid1(VALU_DEP_1)
	v_fma_f64 v[229:230], -v[229:230], v[233:234], v[235:236]
	v_div_fmas_f64 v[229:230], v[229:230], v[231:232], v[233:234]
	s_delay_alu instid0(VALU_DEP_1) | instskip(NEXT) | instid1(VALU_DEP_1)
	v_div_fixup_f64 v[229:230], v[229:230], v[212:213], v[214:215]
	v_fma_f64 v[212:213], v[214:215], v[229:230], v[212:213]
	s_delay_alu instid0(VALU_DEP_1) | instskip(NEXT) | instid1(VALU_DEP_1)
	v_div_scale_f64 v[214:215], null, v[212:213], v[212:213], 1.0
	v_rcp_f64_e32 v[231:232], v[214:215]
	s_waitcnt_depctr 0xfff
	v_fma_f64 v[233:234], -v[214:215], v[231:232], 1.0
	s_delay_alu instid0(VALU_DEP_1) | instskip(NEXT) | instid1(VALU_DEP_1)
	v_fma_f64 v[231:232], v[231:232], v[233:234], v[231:232]
	v_fma_f64 v[233:234], -v[214:215], v[231:232], 1.0
	s_delay_alu instid0(VALU_DEP_1) | instskip(SKIP_1) | instid1(VALU_DEP_1)
	v_fma_f64 v[231:232], v[231:232], v[233:234], v[231:232]
	v_div_scale_f64 v[233:234], vcc_lo, 1.0, v[212:213], 1.0
	v_mul_f64 v[235:236], v[233:234], v[231:232]
	s_delay_alu instid0(VALU_DEP_1) | instskip(NEXT) | instid1(VALU_DEP_1)
	v_fma_f64 v[214:215], -v[214:215], v[235:236], v[233:234]
	v_div_fmas_f64 v[214:215], v[214:215], v[231:232], v[235:236]
	s_delay_alu instid0(VALU_DEP_1) | instskip(NEXT) | instid1(VALU_DEP_1)
	v_div_fixup_f64 v[212:213], v[214:215], v[212:213], 1.0
	v_mul_f64 v[214:215], v[229:230], -v[212:213]
.LBB104_996:
	s_or_b32 exec_lo, exec_lo, s2
.LBB104_997:
	s_delay_alu instid0(SALU_CYCLE_1) | instskip(NEXT) | instid1(SALU_CYCLE_1)
	s_or_b32 exec_lo, exec_lo, s3
	s_mov_b32 s2, exec_lo
	v_cmpx_ne_u32_e64 v228, v220
	s_xor_b32 s2, exec_lo, s2
	s_cbranch_execz .LBB104_1003
; %bb.998:
	s_mov_b32 s3, exec_lo
	v_cmpx_eq_u32_e32 47, v228
	s_cbranch_execz .LBB104_1002
; %bb.999:
	v_cmp_ne_u32_e32 vcc_lo, 47, v220
	s_xor_b32 s6, s4, -1
	s_delay_alu instid0(SALU_CYCLE_1) | instskip(NEXT) | instid1(SALU_CYCLE_1)
	s_and_b32 s7, s6, vcc_lo
	s_and_saveexec_b32 s6, s7
	s_cbranch_execz .LBB104_1001
; %bb.1000:
	v_ashrrev_i32_e32 v221, 31, v220
	s_delay_alu instid0(VALU_DEP_1) | instskip(NEXT) | instid1(VALU_DEP_1)
	v_lshlrev_b64 v[227:228], 2, v[220:221]
	v_add_co_u32 v227, vcc_lo, v218, v227
	s_delay_alu instid0(VALU_DEP_2)
	v_add_co_ci_u32_e32 v228, vcc_lo, v219, v228, vcc_lo
	s_clause 0x1
	flat_load_b32 v221, v[227:228]
	flat_load_b32 v229, v[218:219] offset:188
	s_waitcnt vmcnt(1) lgkmcnt(1)
	flat_store_b32 v[218:219], v221 offset:188
	s_waitcnt vmcnt(0) lgkmcnt(1)
	flat_store_b32 v[227:228], v229
.LBB104_1001:
	s_or_b32 exec_lo, exec_lo, s6
	v_mov_b32_e32 v228, v220
	v_mov_b32_e32 v227, v220
.LBB104_1002:
	s_or_b32 exec_lo, exec_lo, s3
.LBB104_1003:
	s_and_not1_saveexec_b32 s2, s2
	s_cbranch_execz .LBB104_1005
; %bb.1004:
	v_mov_b32_e32 v228, 47
	ds_store_2addr_b64 v222, v[16:17], v[18:19] offset0:96 offset1:97
	ds_store_2addr_b64 v222, v[12:13], v[14:15] offset0:98 offset1:99
	;; [unrolled: 1-line block ×5, first 2 shown]
.LBB104_1005:
	s_or_b32 exec_lo, exec_lo, s2
	s_delay_alu instid0(SALU_CYCLE_1)
	s_mov_b32 s2, exec_lo
	s_waitcnt lgkmcnt(0)
	s_waitcnt_vscnt null, 0x0
	s_barrier
	buffer_gl0_inv
	v_cmpx_lt_i32_e32 47, v228
	s_cbranch_execz .LBB104_1007
; %bb.1006:
	v_mul_f64 v[220:221], v[212:213], v[22:23]
	v_mul_f64 v[22:23], v[214:215], v[22:23]
	s_delay_alu instid0(VALU_DEP_2) | instskip(NEXT) | instid1(VALU_DEP_2)
	v_fma_f64 v[220:221], v[214:215], v[20:21], v[220:221]
	v_fma_f64 v[20:21], v[212:213], v[20:21], -v[22:23]
	ds_load_2addr_b64 v[212:215], v222 offset0:96 offset1:97
	s_waitcnt lgkmcnt(0)
	v_mul_f64 v[22:23], v[214:215], v[220:221]
	s_delay_alu instid0(VALU_DEP_1) | instskip(SKIP_1) | instid1(VALU_DEP_2)
	v_fma_f64 v[22:23], v[212:213], v[20:21], -v[22:23]
	v_mul_f64 v[212:213], v[212:213], v[220:221]
	v_add_f64 v[16:17], v[16:17], -v[22:23]
	s_delay_alu instid0(VALU_DEP_2) | instskip(NEXT) | instid1(VALU_DEP_1)
	v_fma_f64 v[212:213], v[214:215], v[20:21], v[212:213]
	v_add_f64 v[18:19], v[18:19], -v[212:213]
	ds_load_2addr_b64 v[212:215], v222 offset0:98 offset1:99
	s_waitcnt lgkmcnt(0)
	v_mul_f64 v[22:23], v[214:215], v[220:221]
	s_delay_alu instid0(VALU_DEP_1) | instskip(SKIP_1) | instid1(VALU_DEP_2)
	v_fma_f64 v[22:23], v[212:213], v[20:21], -v[22:23]
	v_mul_f64 v[212:213], v[212:213], v[220:221]
	v_add_f64 v[12:13], v[12:13], -v[22:23]
	s_delay_alu instid0(VALU_DEP_2) | instskip(NEXT) | instid1(VALU_DEP_1)
	v_fma_f64 v[212:213], v[214:215], v[20:21], v[212:213]
	v_add_f64 v[14:15], v[14:15], -v[212:213]
	;; [unrolled: 10-line block ×4, first 2 shown]
	ds_load_2addr_b64 v[212:215], v222 offset0:104 offset1:105
	s_waitcnt lgkmcnt(0)
	v_mul_f64 v[22:23], v[214:215], v[220:221]
	s_delay_alu instid0(VALU_DEP_1) | instskip(SKIP_1) | instid1(VALU_DEP_2)
	v_fma_f64 v[22:23], v[212:213], v[20:21], -v[22:23]
	v_mul_f64 v[212:213], v[212:213], v[220:221]
	v_add_f64 v[0:1], v[0:1], -v[22:23]
	s_delay_alu instid0(VALU_DEP_2) | instskip(SKIP_1) | instid1(VALU_DEP_2)
	v_fma_f64 v[212:213], v[214:215], v[20:21], v[212:213]
	v_dual_mov_b32 v22, v220 :: v_dual_mov_b32 v23, v221
	v_add_f64 v[2:3], v[2:3], -v[212:213]
.LBB104_1007:
	s_or_b32 exec_lo, exec_lo, s2
	v_lshl_add_u32 v212, v228, 4, v222
	s_barrier
	buffer_gl0_inv
	v_mov_b32_e32 v220, 48
	ds_store_2addr_b64 v212, v[16:17], v[18:19] offset1:1
	s_waitcnt lgkmcnt(0)
	s_barrier
	buffer_gl0_inv
	ds_load_2addr_b64 v[212:215], v222 offset0:96 offset1:97
	s_cmp_lt_i32 s5, 50
	s_cbranch_scc1 .LBB104_1010
; %bb.1008:
	v_add3_u32 v221, v226, 0, 0x310
	v_mov_b32_e32 v220, 48
	s_mov_b32 s6, 49
	s_set_inst_prefetch_distance 0x1
	.p2align	6
.LBB104_1009:                           ; =>This Inner Loop Header: Depth=1
	ds_load_2addr_b64 v[229:232], v221 offset1:1
	s_waitcnt lgkmcnt(1)
	v_cmp_gt_f64_e32 vcc_lo, 0, v[212:213]
	v_xor_b32_e32 v233, 0x80000000, v213
	v_cmp_gt_f64_e64 s2, 0, v[214:215]
	v_xor_b32_e32 v235, 0x80000000, v215
	v_add_nc_u32_e32 v221, 16, v221
	s_waitcnt lgkmcnt(0)
	v_cmp_gt_f64_e64 s3, 0, v[229:230]
	v_mov_b32_e32 v237, v229
	v_dual_mov_b32 v239, v231 :: v_dual_cndmask_b32 v234, v213, v233
	v_xor_b32_e32 v233, 0x80000000, v230
	v_cndmask_b32_e64 v236, v215, v235, s2
	v_xor_b32_e32 v235, 0x80000000, v232
	s_delay_alu instid0(VALU_DEP_3) | instskip(SKIP_2) | instid1(VALU_DEP_2)
	v_cndmask_b32_e64 v238, v230, v233, s3
	v_cmp_gt_f64_e64 s3, 0, v[231:232]
	v_cndmask_b32_e32 v233, v212, v212, vcc_lo
	v_cndmask_b32_e64 v240, v232, v235, s3
	v_cndmask_b32_e64 v235, v214, v214, s2
	s_delay_alu instid0(VALU_DEP_2) | instskip(NEXT) | instid1(VALU_DEP_2)
	v_add_f64 v[237:238], v[237:238], v[239:240]
	v_add_f64 v[233:234], v[233:234], v[235:236]
	s_delay_alu instid0(VALU_DEP_1) | instskip(SKIP_4) | instid1(SALU_CYCLE_1)
	v_cmp_lt_f64_e32 vcc_lo, v[233:234], v[237:238]
	v_dual_cndmask_b32 v214, v214, v231 :: v_dual_cndmask_b32 v213, v213, v230
	v_dual_cndmask_b32 v212, v212, v229 :: v_dual_cndmask_b32 v215, v215, v232
	v_cndmask_b32_e64 v220, v220, s6, vcc_lo
	s_add_i32 s6, s6, 1
	s_cmp_lg_u32 s5, s6
	s_cbranch_scc1 .LBB104_1009
.LBB104_1010:
	s_set_inst_prefetch_distance 0x2
	s_waitcnt lgkmcnt(0)
	v_cmp_eq_f64_e32 vcc_lo, 0, v[212:213]
	v_cmp_eq_f64_e64 s2, 0, v[214:215]
	s_delay_alu instid0(VALU_DEP_1) | instskip(NEXT) | instid1(SALU_CYCLE_1)
	s_and_b32 s2, vcc_lo, s2
	s_and_saveexec_b32 s3, s2
	s_delay_alu instid0(SALU_CYCLE_1)
	s_xor_b32 s2, exec_lo, s3
; %bb.1011:
	v_cmp_ne_u32_e32 vcc_lo, 0, v225
	v_cndmask_b32_e32 v225, 49, v225, vcc_lo
; %bb.1012:
	s_and_not1_saveexec_b32 s3, s2
	s_cbranch_execz .LBB104_1018
; %bb.1013:
	v_cmp_gt_f64_e32 vcc_lo, 0, v[212:213]
	v_cmp_gt_f64_e64 s2, 0, v[214:215]
	v_xor_b32_e32 v221, 0x80000000, v213
	v_xor_b32_e32 v229, 0x80000000, v215
	s_delay_alu instid0(VALU_DEP_2) | instskip(NEXT) | instid1(VALU_DEP_2)
	v_cndmask_b32_e32 v230, v213, v221, vcc_lo
	v_cndmask_b32_e64 v232, v215, v229, s2
	v_cndmask_b32_e32 v229, v212, v212, vcc_lo
	v_cndmask_b32_e64 v231, v214, v214, s2
	s_mov_b32 s2, exec_lo
	s_delay_alu instid0(VALU_DEP_1)
	v_cmpx_ngt_f64_e32 v[229:230], v[231:232]
	s_xor_b32 s2, exec_lo, s2
	s_cbranch_execz .LBB104_1015
; %bb.1014:
	v_div_scale_f64 v[229:230], null, v[214:215], v[214:215], v[212:213]
	v_div_scale_f64 v[235:236], vcc_lo, v[212:213], v[214:215], v[212:213]
	s_delay_alu instid0(VALU_DEP_2) | instskip(SKIP_2) | instid1(VALU_DEP_1)
	v_rcp_f64_e32 v[231:232], v[229:230]
	s_waitcnt_depctr 0xfff
	v_fma_f64 v[233:234], -v[229:230], v[231:232], 1.0
	v_fma_f64 v[231:232], v[231:232], v[233:234], v[231:232]
	s_delay_alu instid0(VALU_DEP_1) | instskip(NEXT) | instid1(VALU_DEP_1)
	v_fma_f64 v[233:234], -v[229:230], v[231:232], 1.0
	v_fma_f64 v[231:232], v[231:232], v[233:234], v[231:232]
	s_delay_alu instid0(VALU_DEP_1) | instskip(NEXT) | instid1(VALU_DEP_1)
	v_mul_f64 v[233:234], v[235:236], v[231:232]
	v_fma_f64 v[229:230], -v[229:230], v[233:234], v[235:236]
	s_delay_alu instid0(VALU_DEP_1) | instskip(NEXT) | instid1(VALU_DEP_1)
	v_div_fmas_f64 v[229:230], v[229:230], v[231:232], v[233:234]
	v_div_fixup_f64 v[229:230], v[229:230], v[214:215], v[212:213]
	s_delay_alu instid0(VALU_DEP_1) | instskip(NEXT) | instid1(VALU_DEP_1)
	v_fma_f64 v[212:213], v[212:213], v[229:230], v[214:215]
	v_div_scale_f64 v[214:215], null, v[212:213], v[212:213], 1.0
	s_delay_alu instid0(VALU_DEP_1) | instskip(SKIP_2) | instid1(VALU_DEP_1)
	v_rcp_f64_e32 v[231:232], v[214:215]
	s_waitcnt_depctr 0xfff
	v_fma_f64 v[233:234], -v[214:215], v[231:232], 1.0
	v_fma_f64 v[231:232], v[231:232], v[233:234], v[231:232]
	s_delay_alu instid0(VALU_DEP_1) | instskip(NEXT) | instid1(VALU_DEP_1)
	v_fma_f64 v[233:234], -v[214:215], v[231:232], 1.0
	v_fma_f64 v[231:232], v[231:232], v[233:234], v[231:232]
	v_div_scale_f64 v[233:234], vcc_lo, 1.0, v[212:213], 1.0
	s_delay_alu instid0(VALU_DEP_1) | instskip(NEXT) | instid1(VALU_DEP_1)
	v_mul_f64 v[235:236], v[233:234], v[231:232]
	v_fma_f64 v[214:215], -v[214:215], v[235:236], v[233:234]
	s_delay_alu instid0(VALU_DEP_1) | instskip(NEXT) | instid1(VALU_DEP_1)
	v_div_fmas_f64 v[214:215], v[214:215], v[231:232], v[235:236]
	v_div_fixup_f64 v[214:215], v[214:215], v[212:213], 1.0
	s_delay_alu instid0(VALU_DEP_1)
	v_mul_f64 v[212:213], v[229:230], v[214:215]
	v_xor_b32_e32 v215, 0x80000000, v215
.LBB104_1015:
	s_and_not1_saveexec_b32 s2, s2
	s_cbranch_execz .LBB104_1017
; %bb.1016:
	s_delay_alu instid0(VALU_DEP_1) | instskip(SKIP_1) | instid1(VALU_DEP_2)
	v_div_scale_f64 v[229:230], null, v[212:213], v[212:213], v[214:215]
	v_div_scale_f64 v[235:236], vcc_lo, v[214:215], v[212:213], v[214:215]
	v_rcp_f64_e32 v[231:232], v[229:230]
	s_waitcnt_depctr 0xfff
	v_fma_f64 v[233:234], -v[229:230], v[231:232], 1.0
	s_delay_alu instid0(VALU_DEP_1) | instskip(NEXT) | instid1(VALU_DEP_1)
	v_fma_f64 v[231:232], v[231:232], v[233:234], v[231:232]
	v_fma_f64 v[233:234], -v[229:230], v[231:232], 1.0
	s_delay_alu instid0(VALU_DEP_1) | instskip(NEXT) | instid1(VALU_DEP_1)
	v_fma_f64 v[231:232], v[231:232], v[233:234], v[231:232]
	v_mul_f64 v[233:234], v[235:236], v[231:232]
	s_delay_alu instid0(VALU_DEP_1) | instskip(NEXT) | instid1(VALU_DEP_1)
	v_fma_f64 v[229:230], -v[229:230], v[233:234], v[235:236]
	v_div_fmas_f64 v[229:230], v[229:230], v[231:232], v[233:234]
	s_delay_alu instid0(VALU_DEP_1) | instskip(NEXT) | instid1(VALU_DEP_1)
	v_div_fixup_f64 v[229:230], v[229:230], v[212:213], v[214:215]
	v_fma_f64 v[212:213], v[214:215], v[229:230], v[212:213]
	s_delay_alu instid0(VALU_DEP_1) | instskip(NEXT) | instid1(VALU_DEP_1)
	v_div_scale_f64 v[214:215], null, v[212:213], v[212:213], 1.0
	v_rcp_f64_e32 v[231:232], v[214:215]
	s_waitcnt_depctr 0xfff
	v_fma_f64 v[233:234], -v[214:215], v[231:232], 1.0
	s_delay_alu instid0(VALU_DEP_1) | instskip(NEXT) | instid1(VALU_DEP_1)
	v_fma_f64 v[231:232], v[231:232], v[233:234], v[231:232]
	v_fma_f64 v[233:234], -v[214:215], v[231:232], 1.0
	s_delay_alu instid0(VALU_DEP_1) | instskip(SKIP_1) | instid1(VALU_DEP_1)
	v_fma_f64 v[231:232], v[231:232], v[233:234], v[231:232]
	v_div_scale_f64 v[233:234], vcc_lo, 1.0, v[212:213], 1.0
	v_mul_f64 v[235:236], v[233:234], v[231:232]
	s_delay_alu instid0(VALU_DEP_1) | instskip(NEXT) | instid1(VALU_DEP_1)
	v_fma_f64 v[214:215], -v[214:215], v[235:236], v[233:234]
	v_div_fmas_f64 v[214:215], v[214:215], v[231:232], v[235:236]
	s_delay_alu instid0(VALU_DEP_1) | instskip(NEXT) | instid1(VALU_DEP_1)
	v_div_fixup_f64 v[212:213], v[214:215], v[212:213], 1.0
	v_mul_f64 v[214:215], v[229:230], -v[212:213]
.LBB104_1017:
	s_or_b32 exec_lo, exec_lo, s2
.LBB104_1018:
	s_delay_alu instid0(SALU_CYCLE_1) | instskip(NEXT) | instid1(SALU_CYCLE_1)
	s_or_b32 exec_lo, exec_lo, s3
	s_mov_b32 s2, exec_lo
	v_cmpx_ne_u32_e64 v228, v220
	s_xor_b32 s2, exec_lo, s2
	s_cbranch_execz .LBB104_1024
; %bb.1019:
	s_mov_b32 s3, exec_lo
	v_cmpx_eq_u32_e32 48, v228
	s_cbranch_execz .LBB104_1023
; %bb.1020:
	v_cmp_ne_u32_e32 vcc_lo, 48, v220
	s_xor_b32 s6, s4, -1
	s_delay_alu instid0(SALU_CYCLE_1) | instskip(NEXT) | instid1(SALU_CYCLE_1)
	s_and_b32 s7, s6, vcc_lo
	s_and_saveexec_b32 s6, s7
	s_cbranch_execz .LBB104_1022
; %bb.1021:
	v_ashrrev_i32_e32 v221, 31, v220
	s_delay_alu instid0(VALU_DEP_1) | instskip(NEXT) | instid1(VALU_DEP_1)
	v_lshlrev_b64 v[227:228], 2, v[220:221]
	v_add_co_u32 v227, vcc_lo, v218, v227
	s_delay_alu instid0(VALU_DEP_2)
	v_add_co_ci_u32_e32 v228, vcc_lo, v219, v228, vcc_lo
	s_clause 0x1
	flat_load_b32 v221, v[227:228]
	flat_load_b32 v229, v[218:219] offset:192
	s_waitcnt vmcnt(1) lgkmcnt(1)
	flat_store_b32 v[218:219], v221 offset:192
	s_waitcnt vmcnt(0) lgkmcnt(1)
	flat_store_b32 v[227:228], v229
.LBB104_1022:
	s_or_b32 exec_lo, exec_lo, s6
	v_mov_b32_e32 v228, v220
	v_mov_b32_e32 v227, v220
.LBB104_1023:
	s_or_b32 exec_lo, exec_lo, s3
.LBB104_1024:
	s_and_not1_saveexec_b32 s2, s2
	s_cbranch_execz .LBB104_1026
; %bb.1025:
	v_mov_b32_e32 v228, 48
	ds_store_2addr_b64 v222, v[12:13], v[14:15] offset0:98 offset1:99
	ds_store_2addr_b64 v222, v[8:9], v[10:11] offset0:100 offset1:101
	;; [unrolled: 1-line block ×4, first 2 shown]
.LBB104_1026:
	s_or_b32 exec_lo, exec_lo, s2
	s_delay_alu instid0(SALU_CYCLE_1)
	s_mov_b32 s2, exec_lo
	s_waitcnt lgkmcnt(0)
	s_waitcnt_vscnt null, 0x0
	s_barrier
	buffer_gl0_inv
	v_cmpx_lt_i32_e32 48, v228
	s_cbranch_execz .LBB104_1028
; %bb.1027:
	v_mul_f64 v[220:221], v[212:213], v[18:19]
	v_mul_f64 v[18:19], v[214:215], v[18:19]
	s_delay_alu instid0(VALU_DEP_2) | instskip(NEXT) | instid1(VALU_DEP_2)
	v_fma_f64 v[220:221], v[214:215], v[16:17], v[220:221]
	v_fma_f64 v[16:17], v[212:213], v[16:17], -v[18:19]
	ds_load_2addr_b64 v[212:215], v222 offset0:98 offset1:99
	s_waitcnt lgkmcnt(0)
	v_mul_f64 v[18:19], v[214:215], v[220:221]
	s_delay_alu instid0(VALU_DEP_1) | instskip(SKIP_1) | instid1(VALU_DEP_2)
	v_fma_f64 v[18:19], v[212:213], v[16:17], -v[18:19]
	v_mul_f64 v[212:213], v[212:213], v[220:221]
	v_add_f64 v[12:13], v[12:13], -v[18:19]
	s_delay_alu instid0(VALU_DEP_2) | instskip(NEXT) | instid1(VALU_DEP_1)
	v_fma_f64 v[212:213], v[214:215], v[16:17], v[212:213]
	v_add_f64 v[14:15], v[14:15], -v[212:213]
	ds_load_2addr_b64 v[212:215], v222 offset0:100 offset1:101
	s_waitcnt lgkmcnt(0)
	v_mul_f64 v[18:19], v[214:215], v[220:221]
	s_delay_alu instid0(VALU_DEP_1) | instskip(SKIP_1) | instid1(VALU_DEP_2)
	v_fma_f64 v[18:19], v[212:213], v[16:17], -v[18:19]
	v_mul_f64 v[212:213], v[212:213], v[220:221]
	v_add_f64 v[8:9], v[8:9], -v[18:19]
	s_delay_alu instid0(VALU_DEP_2) | instskip(NEXT) | instid1(VALU_DEP_1)
	v_fma_f64 v[212:213], v[214:215], v[16:17], v[212:213]
	v_add_f64 v[10:11], v[10:11], -v[212:213]
	;; [unrolled: 10-line block ×3, first 2 shown]
	ds_load_2addr_b64 v[212:215], v222 offset0:104 offset1:105
	s_waitcnt lgkmcnt(0)
	v_mul_f64 v[18:19], v[214:215], v[220:221]
	s_delay_alu instid0(VALU_DEP_1) | instskip(SKIP_1) | instid1(VALU_DEP_2)
	v_fma_f64 v[18:19], v[212:213], v[16:17], -v[18:19]
	v_mul_f64 v[212:213], v[212:213], v[220:221]
	v_add_f64 v[0:1], v[0:1], -v[18:19]
	s_delay_alu instid0(VALU_DEP_2) | instskip(SKIP_1) | instid1(VALU_DEP_2)
	v_fma_f64 v[212:213], v[214:215], v[16:17], v[212:213]
	v_dual_mov_b32 v18, v220 :: v_dual_mov_b32 v19, v221
	v_add_f64 v[2:3], v[2:3], -v[212:213]
.LBB104_1028:
	s_or_b32 exec_lo, exec_lo, s2
	v_lshl_add_u32 v212, v228, 4, v222
	s_barrier
	buffer_gl0_inv
	v_mov_b32_e32 v220, 49
	ds_store_2addr_b64 v212, v[12:13], v[14:15] offset1:1
	s_waitcnt lgkmcnt(0)
	s_barrier
	buffer_gl0_inv
	ds_load_2addr_b64 v[212:215], v222 offset0:98 offset1:99
	s_cmp_lt_i32 s5, 51
	s_cbranch_scc1 .LBB104_1031
; %bb.1029:
	v_add3_u32 v221, v226, 0, 0x320
	v_mov_b32_e32 v220, 49
	s_mov_b32 s6, 50
	s_set_inst_prefetch_distance 0x1
	.p2align	6
.LBB104_1030:                           ; =>This Inner Loop Header: Depth=1
	ds_load_2addr_b64 v[229:232], v221 offset1:1
	s_waitcnt lgkmcnt(1)
	v_cmp_gt_f64_e32 vcc_lo, 0, v[212:213]
	v_xor_b32_e32 v233, 0x80000000, v213
	v_cmp_gt_f64_e64 s2, 0, v[214:215]
	v_xor_b32_e32 v235, 0x80000000, v215
	v_add_nc_u32_e32 v221, 16, v221
	s_waitcnt lgkmcnt(0)
	v_cmp_gt_f64_e64 s3, 0, v[229:230]
	v_mov_b32_e32 v237, v229
	v_dual_mov_b32 v239, v231 :: v_dual_cndmask_b32 v234, v213, v233
	v_xor_b32_e32 v233, 0x80000000, v230
	v_cndmask_b32_e64 v236, v215, v235, s2
	v_xor_b32_e32 v235, 0x80000000, v232
	s_delay_alu instid0(VALU_DEP_3) | instskip(SKIP_2) | instid1(VALU_DEP_2)
	v_cndmask_b32_e64 v238, v230, v233, s3
	v_cmp_gt_f64_e64 s3, 0, v[231:232]
	v_cndmask_b32_e32 v233, v212, v212, vcc_lo
	v_cndmask_b32_e64 v240, v232, v235, s3
	v_cndmask_b32_e64 v235, v214, v214, s2
	s_delay_alu instid0(VALU_DEP_2) | instskip(NEXT) | instid1(VALU_DEP_2)
	v_add_f64 v[237:238], v[237:238], v[239:240]
	v_add_f64 v[233:234], v[233:234], v[235:236]
	s_delay_alu instid0(VALU_DEP_1) | instskip(SKIP_4) | instid1(SALU_CYCLE_1)
	v_cmp_lt_f64_e32 vcc_lo, v[233:234], v[237:238]
	v_dual_cndmask_b32 v214, v214, v231 :: v_dual_cndmask_b32 v213, v213, v230
	v_dual_cndmask_b32 v212, v212, v229 :: v_dual_cndmask_b32 v215, v215, v232
	v_cndmask_b32_e64 v220, v220, s6, vcc_lo
	s_add_i32 s6, s6, 1
	s_cmp_lg_u32 s5, s6
	s_cbranch_scc1 .LBB104_1030
.LBB104_1031:
	s_set_inst_prefetch_distance 0x2
	s_waitcnt lgkmcnt(0)
	v_cmp_eq_f64_e32 vcc_lo, 0, v[212:213]
	v_cmp_eq_f64_e64 s2, 0, v[214:215]
	s_delay_alu instid0(VALU_DEP_1) | instskip(NEXT) | instid1(SALU_CYCLE_1)
	s_and_b32 s2, vcc_lo, s2
	s_and_saveexec_b32 s3, s2
	s_delay_alu instid0(SALU_CYCLE_1)
	s_xor_b32 s2, exec_lo, s3
; %bb.1032:
	v_cmp_ne_u32_e32 vcc_lo, 0, v225
	v_cndmask_b32_e32 v225, 50, v225, vcc_lo
; %bb.1033:
	s_and_not1_saveexec_b32 s3, s2
	s_cbranch_execz .LBB104_1039
; %bb.1034:
	v_cmp_gt_f64_e32 vcc_lo, 0, v[212:213]
	v_cmp_gt_f64_e64 s2, 0, v[214:215]
	v_xor_b32_e32 v221, 0x80000000, v213
	v_xor_b32_e32 v229, 0x80000000, v215
	s_delay_alu instid0(VALU_DEP_2) | instskip(NEXT) | instid1(VALU_DEP_2)
	v_cndmask_b32_e32 v230, v213, v221, vcc_lo
	v_cndmask_b32_e64 v232, v215, v229, s2
	v_cndmask_b32_e32 v229, v212, v212, vcc_lo
	v_cndmask_b32_e64 v231, v214, v214, s2
	s_mov_b32 s2, exec_lo
	s_delay_alu instid0(VALU_DEP_1)
	v_cmpx_ngt_f64_e32 v[229:230], v[231:232]
	s_xor_b32 s2, exec_lo, s2
	s_cbranch_execz .LBB104_1036
; %bb.1035:
	v_div_scale_f64 v[229:230], null, v[214:215], v[214:215], v[212:213]
	v_div_scale_f64 v[235:236], vcc_lo, v[212:213], v[214:215], v[212:213]
	s_delay_alu instid0(VALU_DEP_2) | instskip(SKIP_2) | instid1(VALU_DEP_1)
	v_rcp_f64_e32 v[231:232], v[229:230]
	s_waitcnt_depctr 0xfff
	v_fma_f64 v[233:234], -v[229:230], v[231:232], 1.0
	v_fma_f64 v[231:232], v[231:232], v[233:234], v[231:232]
	s_delay_alu instid0(VALU_DEP_1) | instskip(NEXT) | instid1(VALU_DEP_1)
	v_fma_f64 v[233:234], -v[229:230], v[231:232], 1.0
	v_fma_f64 v[231:232], v[231:232], v[233:234], v[231:232]
	s_delay_alu instid0(VALU_DEP_1) | instskip(NEXT) | instid1(VALU_DEP_1)
	v_mul_f64 v[233:234], v[235:236], v[231:232]
	v_fma_f64 v[229:230], -v[229:230], v[233:234], v[235:236]
	s_delay_alu instid0(VALU_DEP_1) | instskip(NEXT) | instid1(VALU_DEP_1)
	v_div_fmas_f64 v[229:230], v[229:230], v[231:232], v[233:234]
	v_div_fixup_f64 v[229:230], v[229:230], v[214:215], v[212:213]
	s_delay_alu instid0(VALU_DEP_1) | instskip(NEXT) | instid1(VALU_DEP_1)
	v_fma_f64 v[212:213], v[212:213], v[229:230], v[214:215]
	v_div_scale_f64 v[214:215], null, v[212:213], v[212:213], 1.0
	s_delay_alu instid0(VALU_DEP_1) | instskip(SKIP_2) | instid1(VALU_DEP_1)
	v_rcp_f64_e32 v[231:232], v[214:215]
	s_waitcnt_depctr 0xfff
	v_fma_f64 v[233:234], -v[214:215], v[231:232], 1.0
	v_fma_f64 v[231:232], v[231:232], v[233:234], v[231:232]
	s_delay_alu instid0(VALU_DEP_1) | instskip(NEXT) | instid1(VALU_DEP_1)
	v_fma_f64 v[233:234], -v[214:215], v[231:232], 1.0
	v_fma_f64 v[231:232], v[231:232], v[233:234], v[231:232]
	v_div_scale_f64 v[233:234], vcc_lo, 1.0, v[212:213], 1.0
	s_delay_alu instid0(VALU_DEP_1) | instskip(NEXT) | instid1(VALU_DEP_1)
	v_mul_f64 v[235:236], v[233:234], v[231:232]
	v_fma_f64 v[214:215], -v[214:215], v[235:236], v[233:234]
	s_delay_alu instid0(VALU_DEP_1) | instskip(NEXT) | instid1(VALU_DEP_1)
	v_div_fmas_f64 v[214:215], v[214:215], v[231:232], v[235:236]
	v_div_fixup_f64 v[214:215], v[214:215], v[212:213], 1.0
	s_delay_alu instid0(VALU_DEP_1)
	v_mul_f64 v[212:213], v[229:230], v[214:215]
	v_xor_b32_e32 v215, 0x80000000, v215
.LBB104_1036:
	s_and_not1_saveexec_b32 s2, s2
	s_cbranch_execz .LBB104_1038
; %bb.1037:
	s_delay_alu instid0(VALU_DEP_1) | instskip(SKIP_1) | instid1(VALU_DEP_2)
	v_div_scale_f64 v[229:230], null, v[212:213], v[212:213], v[214:215]
	v_div_scale_f64 v[235:236], vcc_lo, v[214:215], v[212:213], v[214:215]
	v_rcp_f64_e32 v[231:232], v[229:230]
	s_waitcnt_depctr 0xfff
	v_fma_f64 v[233:234], -v[229:230], v[231:232], 1.0
	s_delay_alu instid0(VALU_DEP_1) | instskip(NEXT) | instid1(VALU_DEP_1)
	v_fma_f64 v[231:232], v[231:232], v[233:234], v[231:232]
	v_fma_f64 v[233:234], -v[229:230], v[231:232], 1.0
	s_delay_alu instid0(VALU_DEP_1) | instskip(NEXT) | instid1(VALU_DEP_1)
	v_fma_f64 v[231:232], v[231:232], v[233:234], v[231:232]
	v_mul_f64 v[233:234], v[235:236], v[231:232]
	s_delay_alu instid0(VALU_DEP_1) | instskip(NEXT) | instid1(VALU_DEP_1)
	v_fma_f64 v[229:230], -v[229:230], v[233:234], v[235:236]
	v_div_fmas_f64 v[229:230], v[229:230], v[231:232], v[233:234]
	s_delay_alu instid0(VALU_DEP_1) | instskip(NEXT) | instid1(VALU_DEP_1)
	v_div_fixup_f64 v[229:230], v[229:230], v[212:213], v[214:215]
	v_fma_f64 v[212:213], v[214:215], v[229:230], v[212:213]
	s_delay_alu instid0(VALU_DEP_1) | instskip(NEXT) | instid1(VALU_DEP_1)
	v_div_scale_f64 v[214:215], null, v[212:213], v[212:213], 1.0
	v_rcp_f64_e32 v[231:232], v[214:215]
	s_waitcnt_depctr 0xfff
	v_fma_f64 v[233:234], -v[214:215], v[231:232], 1.0
	s_delay_alu instid0(VALU_DEP_1) | instskip(NEXT) | instid1(VALU_DEP_1)
	v_fma_f64 v[231:232], v[231:232], v[233:234], v[231:232]
	v_fma_f64 v[233:234], -v[214:215], v[231:232], 1.0
	s_delay_alu instid0(VALU_DEP_1) | instskip(SKIP_1) | instid1(VALU_DEP_1)
	v_fma_f64 v[231:232], v[231:232], v[233:234], v[231:232]
	v_div_scale_f64 v[233:234], vcc_lo, 1.0, v[212:213], 1.0
	v_mul_f64 v[235:236], v[233:234], v[231:232]
	s_delay_alu instid0(VALU_DEP_1) | instskip(NEXT) | instid1(VALU_DEP_1)
	v_fma_f64 v[214:215], -v[214:215], v[235:236], v[233:234]
	v_div_fmas_f64 v[214:215], v[214:215], v[231:232], v[235:236]
	s_delay_alu instid0(VALU_DEP_1) | instskip(NEXT) | instid1(VALU_DEP_1)
	v_div_fixup_f64 v[212:213], v[214:215], v[212:213], 1.0
	v_mul_f64 v[214:215], v[229:230], -v[212:213]
.LBB104_1038:
	s_or_b32 exec_lo, exec_lo, s2
.LBB104_1039:
	s_delay_alu instid0(SALU_CYCLE_1) | instskip(NEXT) | instid1(SALU_CYCLE_1)
	s_or_b32 exec_lo, exec_lo, s3
	s_mov_b32 s2, exec_lo
	v_cmpx_ne_u32_e64 v228, v220
	s_xor_b32 s2, exec_lo, s2
	s_cbranch_execz .LBB104_1045
; %bb.1040:
	s_mov_b32 s3, exec_lo
	v_cmpx_eq_u32_e32 49, v228
	s_cbranch_execz .LBB104_1044
; %bb.1041:
	v_cmp_ne_u32_e32 vcc_lo, 49, v220
	s_xor_b32 s6, s4, -1
	s_delay_alu instid0(SALU_CYCLE_1) | instskip(NEXT) | instid1(SALU_CYCLE_1)
	s_and_b32 s7, s6, vcc_lo
	s_and_saveexec_b32 s6, s7
	s_cbranch_execz .LBB104_1043
; %bb.1042:
	v_ashrrev_i32_e32 v221, 31, v220
	s_delay_alu instid0(VALU_DEP_1) | instskip(NEXT) | instid1(VALU_DEP_1)
	v_lshlrev_b64 v[227:228], 2, v[220:221]
	v_add_co_u32 v227, vcc_lo, v218, v227
	s_delay_alu instid0(VALU_DEP_2)
	v_add_co_ci_u32_e32 v228, vcc_lo, v219, v228, vcc_lo
	s_clause 0x1
	flat_load_b32 v221, v[227:228]
	flat_load_b32 v229, v[218:219] offset:196
	s_waitcnt vmcnt(1) lgkmcnt(1)
	flat_store_b32 v[218:219], v221 offset:196
	s_waitcnt vmcnt(0) lgkmcnt(1)
	flat_store_b32 v[227:228], v229
.LBB104_1043:
	s_or_b32 exec_lo, exec_lo, s6
	v_mov_b32_e32 v228, v220
	v_mov_b32_e32 v227, v220
.LBB104_1044:
	s_or_b32 exec_lo, exec_lo, s3
.LBB104_1045:
	s_and_not1_saveexec_b32 s2, s2
	s_cbranch_execz .LBB104_1047
; %bb.1046:
	v_mov_b32_e32 v228, 49
	ds_store_2addr_b64 v222, v[8:9], v[10:11] offset0:100 offset1:101
	ds_store_2addr_b64 v222, v[4:5], v[6:7] offset0:102 offset1:103
	;; [unrolled: 1-line block ×3, first 2 shown]
.LBB104_1047:
	s_or_b32 exec_lo, exec_lo, s2
	s_delay_alu instid0(SALU_CYCLE_1)
	s_mov_b32 s2, exec_lo
	s_waitcnt lgkmcnt(0)
	s_waitcnt_vscnt null, 0x0
	s_barrier
	buffer_gl0_inv
	v_cmpx_lt_i32_e32 49, v228
	s_cbranch_execz .LBB104_1049
; %bb.1048:
	v_mul_f64 v[220:221], v[212:213], v[14:15]
	v_mul_f64 v[14:15], v[214:215], v[14:15]
	ds_load_2addr_b64 v[229:232], v222 offset0:100 offset1:101
	ds_load_2addr_b64 v[233:236], v222 offset0:102 offset1:103
	ds_load_2addr_b64 v[237:240], v222 offset0:104 offset1:105
	v_fma_f64 v[214:215], v[214:215], v[12:13], v[220:221]
	v_fma_f64 v[12:13], v[212:213], v[12:13], -v[14:15]
	s_waitcnt lgkmcnt(2)
	s_delay_alu instid0(VALU_DEP_2)
	v_mul_f64 v[14:15], v[231:232], v[214:215]
	v_mul_f64 v[212:213], v[229:230], v[214:215]
	s_waitcnt lgkmcnt(1)
	v_mul_f64 v[220:221], v[235:236], v[214:215]
	v_mul_f64 v[241:242], v[233:234], v[214:215]
	s_waitcnt lgkmcnt(0)
	v_mul_f64 v[243:244], v[239:240], v[214:215]
	v_mul_f64 v[245:246], v[237:238], v[214:215]
	v_fma_f64 v[14:15], v[229:230], v[12:13], -v[14:15]
	v_fma_f64 v[212:213], v[231:232], v[12:13], v[212:213]
	v_fma_f64 v[220:221], v[233:234], v[12:13], -v[220:221]
	v_fma_f64 v[229:230], v[235:236], v[12:13], v[241:242]
	;; [unrolled: 2-line block ×3, first 2 shown]
	v_add_f64 v[8:9], v[8:9], -v[14:15]
	v_add_f64 v[10:11], v[10:11], -v[212:213]
	;; [unrolled: 1-line block ×6, first 2 shown]
	v_dual_mov_b32 v14, v214 :: v_dual_mov_b32 v15, v215
.LBB104_1049:
	s_or_b32 exec_lo, exec_lo, s2
	v_lshl_add_u32 v212, v228, 4, v222
	s_barrier
	buffer_gl0_inv
	v_mov_b32_e32 v220, 50
	ds_store_2addr_b64 v212, v[8:9], v[10:11] offset1:1
	s_waitcnt lgkmcnt(0)
	s_barrier
	buffer_gl0_inv
	ds_load_2addr_b64 v[212:215], v222 offset0:100 offset1:101
	s_cmp_lt_i32 s5, 52
	s_cbranch_scc1 .LBB104_1052
; %bb.1050:
	v_add3_u32 v221, v226, 0, 0x330
	v_mov_b32_e32 v220, 50
	s_mov_b32 s6, 51
	s_set_inst_prefetch_distance 0x1
	.p2align	6
.LBB104_1051:                           ; =>This Inner Loop Header: Depth=1
	ds_load_2addr_b64 v[229:232], v221 offset1:1
	s_waitcnt lgkmcnt(1)
	v_cmp_gt_f64_e32 vcc_lo, 0, v[212:213]
	v_xor_b32_e32 v233, 0x80000000, v213
	v_cmp_gt_f64_e64 s2, 0, v[214:215]
	v_xor_b32_e32 v235, 0x80000000, v215
	v_add_nc_u32_e32 v221, 16, v221
	s_waitcnt lgkmcnt(0)
	v_cmp_gt_f64_e64 s3, 0, v[229:230]
	v_mov_b32_e32 v237, v229
	v_dual_mov_b32 v239, v231 :: v_dual_cndmask_b32 v234, v213, v233
	v_xor_b32_e32 v233, 0x80000000, v230
	v_cndmask_b32_e64 v236, v215, v235, s2
	v_xor_b32_e32 v235, 0x80000000, v232
	s_delay_alu instid0(VALU_DEP_3) | instskip(SKIP_2) | instid1(VALU_DEP_2)
	v_cndmask_b32_e64 v238, v230, v233, s3
	v_cmp_gt_f64_e64 s3, 0, v[231:232]
	v_cndmask_b32_e32 v233, v212, v212, vcc_lo
	v_cndmask_b32_e64 v240, v232, v235, s3
	v_cndmask_b32_e64 v235, v214, v214, s2
	s_delay_alu instid0(VALU_DEP_2) | instskip(NEXT) | instid1(VALU_DEP_2)
	v_add_f64 v[237:238], v[237:238], v[239:240]
	v_add_f64 v[233:234], v[233:234], v[235:236]
	s_delay_alu instid0(VALU_DEP_1) | instskip(SKIP_4) | instid1(SALU_CYCLE_1)
	v_cmp_lt_f64_e32 vcc_lo, v[233:234], v[237:238]
	v_dual_cndmask_b32 v214, v214, v231 :: v_dual_cndmask_b32 v213, v213, v230
	v_dual_cndmask_b32 v212, v212, v229 :: v_dual_cndmask_b32 v215, v215, v232
	v_cndmask_b32_e64 v220, v220, s6, vcc_lo
	s_add_i32 s6, s6, 1
	s_cmp_lg_u32 s5, s6
	s_cbranch_scc1 .LBB104_1051
.LBB104_1052:
	s_set_inst_prefetch_distance 0x2
	s_waitcnt lgkmcnt(0)
	v_cmp_eq_f64_e32 vcc_lo, 0, v[212:213]
	v_cmp_eq_f64_e64 s2, 0, v[214:215]
	s_delay_alu instid0(VALU_DEP_1) | instskip(NEXT) | instid1(SALU_CYCLE_1)
	s_and_b32 s2, vcc_lo, s2
	s_and_saveexec_b32 s3, s2
	s_delay_alu instid0(SALU_CYCLE_1)
	s_xor_b32 s2, exec_lo, s3
; %bb.1053:
	v_cmp_ne_u32_e32 vcc_lo, 0, v225
	v_cndmask_b32_e32 v225, 51, v225, vcc_lo
; %bb.1054:
	s_and_not1_saveexec_b32 s3, s2
	s_cbranch_execz .LBB104_1060
; %bb.1055:
	v_cmp_gt_f64_e32 vcc_lo, 0, v[212:213]
	v_cmp_gt_f64_e64 s2, 0, v[214:215]
	v_xor_b32_e32 v221, 0x80000000, v213
	v_xor_b32_e32 v229, 0x80000000, v215
	s_delay_alu instid0(VALU_DEP_2) | instskip(NEXT) | instid1(VALU_DEP_2)
	v_cndmask_b32_e32 v230, v213, v221, vcc_lo
	v_cndmask_b32_e64 v232, v215, v229, s2
	v_cndmask_b32_e32 v229, v212, v212, vcc_lo
	v_cndmask_b32_e64 v231, v214, v214, s2
	s_mov_b32 s2, exec_lo
	s_delay_alu instid0(VALU_DEP_1)
	v_cmpx_ngt_f64_e32 v[229:230], v[231:232]
	s_xor_b32 s2, exec_lo, s2
	s_cbranch_execz .LBB104_1057
; %bb.1056:
	v_div_scale_f64 v[229:230], null, v[214:215], v[214:215], v[212:213]
	v_div_scale_f64 v[235:236], vcc_lo, v[212:213], v[214:215], v[212:213]
	s_delay_alu instid0(VALU_DEP_2) | instskip(SKIP_2) | instid1(VALU_DEP_1)
	v_rcp_f64_e32 v[231:232], v[229:230]
	s_waitcnt_depctr 0xfff
	v_fma_f64 v[233:234], -v[229:230], v[231:232], 1.0
	v_fma_f64 v[231:232], v[231:232], v[233:234], v[231:232]
	s_delay_alu instid0(VALU_DEP_1) | instskip(NEXT) | instid1(VALU_DEP_1)
	v_fma_f64 v[233:234], -v[229:230], v[231:232], 1.0
	v_fma_f64 v[231:232], v[231:232], v[233:234], v[231:232]
	s_delay_alu instid0(VALU_DEP_1) | instskip(NEXT) | instid1(VALU_DEP_1)
	v_mul_f64 v[233:234], v[235:236], v[231:232]
	v_fma_f64 v[229:230], -v[229:230], v[233:234], v[235:236]
	s_delay_alu instid0(VALU_DEP_1) | instskip(NEXT) | instid1(VALU_DEP_1)
	v_div_fmas_f64 v[229:230], v[229:230], v[231:232], v[233:234]
	v_div_fixup_f64 v[229:230], v[229:230], v[214:215], v[212:213]
	s_delay_alu instid0(VALU_DEP_1) | instskip(NEXT) | instid1(VALU_DEP_1)
	v_fma_f64 v[212:213], v[212:213], v[229:230], v[214:215]
	v_div_scale_f64 v[214:215], null, v[212:213], v[212:213], 1.0
	s_delay_alu instid0(VALU_DEP_1) | instskip(SKIP_2) | instid1(VALU_DEP_1)
	v_rcp_f64_e32 v[231:232], v[214:215]
	s_waitcnt_depctr 0xfff
	v_fma_f64 v[233:234], -v[214:215], v[231:232], 1.0
	v_fma_f64 v[231:232], v[231:232], v[233:234], v[231:232]
	s_delay_alu instid0(VALU_DEP_1) | instskip(NEXT) | instid1(VALU_DEP_1)
	v_fma_f64 v[233:234], -v[214:215], v[231:232], 1.0
	v_fma_f64 v[231:232], v[231:232], v[233:234], v[231:232]
	v_div_scale_f64 v[233:234], vcc_lo, 1.0, v[212:213], 1.0
	s_delay_alu instid0(VALU_DEP_1) | instskip(NEXT) | instid1(VALU_DEP_1)
	v_mul_f64 v[235:236], v[233:234], v[231:232]
	v_fma_f64 v[214:215], -v[214:215], v[235:236], v[233:234]
	s_delay_alu instid0(VALU_DEP_1) | instskip(NEXT) | instid1(VALU_DEP_1)
	v_div_fmas_f64 v[214:215], v[214:215], v[231:232], v[235:236]
	v_div_fixup_f64 v[214:215], v[214:215], v[212:213], 1.0
	s_delay_alu instid0(VALU_DEP_1)
	v_mul_f64 v[212:213], v[229:230], v[214:215]
	v_xor_b32_e32 v215, 0x80000000, v215
.LBB104_1057:
	s_and_not1_saveexec_b32 s2, s2
	s_cbranch_execz .LBB104_1059
; %bb.1058:
	s_delay_alu instid0(VALU_DEP_1) | instskip(SKIP_1) | instid1(VALU_DEP_2)
	v_div_scale_f64 v[229:230], null, v[212:213], v[212:213], v[214:215]
	v_div_scale_f64 v[235:236], vcc_lo, v[214:215], v[212:213], v[214:215]
	v_rcp_f64_e32 v[231:232], v[229:230]
	s_waitcnt_depctr 0xfff
	v_fma_f64 v[233:234], -v[229:230], v[231:232], 1.0
	s_delay_alu instid0(VALU_DEP_1) | instskip(NEXT) | instid1(VALU_DEP_1)
	v_fma_f64 v[231:232], v[231:232], v[233:234], v[231:232]
	v_fma_f64 v[233:234], -v[229:230], v[231:232], 1.0
	s_delay_alu instid0(VALU_DEP_1) | instskip(NEXT) | instid1(VALU_DEP_1)
	v_fma_f64 v[231:232], v[231:232], v[233:234], v[231:232]
	v_mul_f64 v[233:234], v[235:236], v[231:232]
	s_delay_alu instid0(VALU_DEP_1) | instskip(NEXT) | instid1(VALU_DEP_1)
	v_fma_f64 v[229:230], -v[229:230], v[233:234], v[235:236]
	v_div_fmas_f64 v[229:230], v[229:230], v[231:232], v[233:234]
	s_delay_alu instid0(VALU_DEP_1) | instskip(NEXT) | instid1(VALU_DEP_1)
	v_div_fixup_f64 v[229:230], v[229:230], v[212:213], v[214:215]
	v_fma_f64 v[212:213], v[214:215], v[229:230], v[212:213]
	s_delay_alu instid0(VALU_DEP_1) | instskip(NEXT) | instid1(VALU_DEP_1)
	v_div_scale_f64 v[214:215], null, v[212:213], v[212:213], 1.0
	v_rcp_f64_e32 v[231:232], v[214:215]
	s_waitcnt_depctr 0xfff
	v_fma_f64 v[233:234], -v[214:215], v[231:232], 1.0
	s_delay_alu instid0(VALU_DEP_1) | instskip(NEXT) | instid1(VALU_DEP_1)
	v_fma_f64 v[231:232], v[231:232], v[233:234], v[231:232]
	v_fma_f64 v[233:234], -v[214:215], v[231:232], 1.0
	s_delay_alu instid0(VALU_DEP_1) | instskip(SKIP_1) | instid1(VALU_DEP_1)
	v_fma_f64 v[231:232], v[231:232], v[233:234], v[231:232]
	v_div_scale_f64 v[233:234], vcc_lo, 1.0, v[212:213], 1.0
	v_mul_f64 v[235:236], v[233:234], v[231:232]
	s_delay_alu instid0(VALU_DEP_1) | instskip(NEXT) | instid1(VALU_DEP_1)
	v_fma_f64 v[214:215], -v[214:215], v[235:236], v[233:234]
	v_div_fmas_f64 v[214:215], v[214:215], v[231:232], v[235:236]
	s_delay_alu instid0(VALU_DEP_1) | instskip(NEXT) | instid1(VALU_DEP_1)
	v_div_fixup_f64 v[212:213], v[214:215], v[212:213], 1.0
	v_mul_f64 v[214:215], v[229:230], -v[212:213]
.LBB104_1059:
	s_or_b32 exec_lo, exec_lo, s2
.LBB104_1060:
	s_delay_alu instid0(SALU_CYCLE_1) | instskip(NEXT) | instid1(SALU_CYCLE_1)
	s_or_b32 exec_lo, exec_lo, s3
	s_mov_b32 s2, exec_lo
	v_cmpx_ne_u32_e64 v228, v220
	s_xor_b32 s2, exec_lo, s2
	s_cbranch_execz .LBB104_1066
; %bb.1061:
	s_mov_b32 s3, exec_lo
	v_cmpx_eq_u32_e32 50, v228
	s_cbranch_execz .LBB104_1065
; %bb.1062:
	v_cmp_ne_u32_e32 vcc_lo, 50, v220
	s_xor_b32 s6, s4, -1
	s_delay_alu instid0(SALU_CYCLE_1) | instskip(NEXT) | instid1(SALU_CYCLE_1)
	s_and_b32 s7, s6, vcc_lo
	s_and_saveexec_b32 s6, s7
	s_cbranch_execz .LBB104_1064
; %bb.1063:
	v_ashrrev_i32_e32 v221, 31, v220
	s_delay_alu instid0(VALU_DEP_1) | instskip(NEXT) | instid1(VALU_DEP_1)
	v_lshlrev_b64 v[227:228], 2, v[220:221]
	v_add_co_u32 v227, vcc_lo, v218, v227
	s_delay_alu instid0(VALU_DEP_2)
	v_add_co_ci_u32_e32 v228, vcc_lo, v219, v228, vcc_lo
	s_clause 0x1
	flat_load_b32 v221, v[227:228]
	flat_load_b32 v229, v[218:219] offset:200
	s_waitcnt vmcnt(1) lgkmcnt(1)
	flat_store_b32 v[218:219], v221 offset:200
	s_waitcnt vmcnt(0) lgkmcnt(1)
	flat_store_b32 v[227:228], v229
.LBB104_1064:
	s_or_b32 exec_lo, exec_lo, s6
	v_mov_b32_e32 v228, v220
	v_mov_b32_e32 v227, v220
.LBB104_1065:
	s_or_b32 exec_lo, exec_lo, s3
.LBB104_1066:
	s_and_not1_saveexec_b32 s2, s2
	s_cbranch_execz .LBB104_1068
; %bb.1067:
	v_mov_b32_e32 v228, 50
	ds_store_2addr_b64 v222, v[4:5], v[6:7] offset0:102 offset1:103
	ds_store_2addr_b64 v222, v[0:1], v[2:3] offset0:104 offset1:105
.LBB104_1068:
	s_or_b32 exec_lo, exec_lo, s2
	s_delay_alu instid0(SALU_CYCLE_1)
	s_mov_b32 s2, exec_lo
	s_waitcnt lgkmcnt(0)
	s_waitcnt_vscnt null, 0x0
	s_barrier
	buffer_gl0_inv
	v_cmpx_lt_i32_e32 50, v228
	s_cbranch_execz .LBB104_1070
; %bb.1069:
	v_mul_f64 v[220:221], v[212:213], v[10:11]
	v_mul_f64 v[10:11], v[214:215], v[10:11]
	ds_load_2addr_b64 v[229:232], v222 offset0:102 offset1:103
	ds_load_2addr_b64 v[233:236], v222 offset0:104 offset1:105
	v_fma_f64 v[214:215], v[214:215], v[8:9], v[220:221]
	v_fma_f64 v[8:9], v[212:213], v[8:9], -v[10:11]
	s_waitcnt lgkmcnt(1)
	s_delay_alu instid0(VALU_DEP_2) | instskip(SKIP_4) | instid1(VALU_DEP_4)
	v_mul_f64 v[10:11], v[231:232], v[214:215]
	v_mul_f64 v[212:213], v[229:230], v[214:215]
	s_waitcnt lgkmcnt(0)
	v_mul_f64 v[220:221], v[235:236], v[214:215]
	v_mul_f64 v[237:238], v[233:234], v[214:215]
	v_fma_f64 v[10:11], v[229:230], v[8:9], -v[10:11]
	s_delay_alu instid0(VALU_DEP_4) | instskip(NEXT) | instid1(VALU_DEP_4)
	v_fma_f64 v[212:213], v[231:232], v[8:9], v[212:213]
	v_fma_f64 v[220:221], v[233:234], v[8:9], -v[220:221]
	s_delay_alu instid0(VALU_DEP_4) | instskip(NEXT) | instid1(VALU_DEP_4)
	v_fma_f64 v[229:230], v[235:236], v[8:9], v[237:238]
	v_add_f64 v[4:5], v[4:5], -v[10:11]
	s_delay_alu instid0(VALU_DEP_4) | instskip(NEXT) | instid1(VALU_DEP_4)
	v_add_f64 v[6:7], v[6:7], -v[212:213]
	v_add_f64 v[0:1], v[0:1], -v[220:221]
	s_delay_alu instid0(VALU_DEP_4)
	v_add_f64 v[2:3], v[2:3], -v[229:230]
	v_dual_mov_b32 v10, v214 :: v_dual_mov_b32 v11, v215
.LBB104_1070:
	s_or_b32 exec_lo, exec_lo, s2
	v_lshl_add_u32 v212, v228, 4, v222
	s_barrier
	buffer_gl0_inv
	v_mov_b32_e32 v220, 51
	ds_store_2addr_b64 v212, v[4:5], v[6:7] offset1:1
	s_waitcnt lgkmcnt(0)
	s_barrier
	buffer_gl0_inv
	ds_load_2addr_b64 v[212:215], v222 offset0:102 offset1:103
	s_cmp_lt_i32 s5, 53
	s_cbranch_scc1 .LBB104_1073
; %bb.1071:
	v_add3_u32 v221, v226, 0, 0x340
	v_mov_b32_e32 v220, 51
	s_mov_b32 s6, 52
	s_set_inst_prefetch_distance 0x1
	.p2align	6
.LBB104_1072:                           ; =>This Inner Loop Header: Depth=1
	ds_load_2addr_b64 v[229:232], v221 offset1:1
	s_waitcnt lgkmcnt(1)
	v_cmp_gt_f64_e32 vcc_lo, 0, v[212:213]
	v_xor_b32_e32 v233, 0x80000000, v213
	v_cmp_gt_f64_e64 s2, 0, v[214:215]
	v_xor_b32_e32 v235, 0x80000000, v215
	v_add_nc_u32_e32 v221, 16, v221
	s_waitcnt lgkmcnt(0)
	v_cmp_gt_f64_e64 s3, 0, v[229:230]
	v_mov_b32_e32 v237, v229
	v_dual_mov_b32 v239, v231 :: v_dual_cndmask_b32 v234, v213, v233
	v_xor_b32_e32 v233, 0x80000000, v230
	v_cndmask_b32_e64 v236, v215, v235, s2
	v_xor_b32_e32 v235, 0x80000000, v232
	s_delay_alu instid0(VALU_DEP_3) | instskip(SKIP_2) | instid1(VALU_DEP_2)
	v_cndmask_b32_e64 v238, v230, v233, s3
	v_cmp_gt_f64_e64 s3, 0, v[231:232]
	v_cndmask_b32_e32 v233, v212, v212, vcc_lo
	v_cndmask_b32_e64 v240, v232, v235, s3
	v_cndmask_b32_e64 v235, v214, v214, s2
	s_delay_alu instid0(VALU_DEP_2) | instskip(NEXT) | instid1(VALU_DEP_2)
	v_add_f64 v[237:238], v[237:238], v[239:240]
	v_add_f64 v[233:234], v[233:234], v[235:236]
	s_delay_alu instid0(VALU_DEP_1) | instskip(SKIP_4) | instid1(SALU_CYCLE_1)
	v_cmp_lt_f64_e32 vcc_lo, v[233:234], v[237:238]
	v_dual_cndmask_b32 v214, v214, v231 :: v_dual_cndmask_b32 v213, v213, v230
	v_dual_cndmask_b32 v212, v212, v229 :: v_dual_cndmask_b32 v215, v215, v232
	v_cndmask_b32_e64 v220, v220, s6, vcc_lo
	s_add_i32 s6, s6, 1
	s_cmp_lg_u32 s5, s6
	s_cbranch_scc1 .LBB104_1072
.LBB104_1073:
	s_set_inst_prefetch_distance 0x2
	s_waitcnt lgkmcnt(0)
	v_cmp_eq_f64_e32 vcc_lo, 0, v[212:213]
	v_cmp_eq_f64_e64 s2, 0, v[214:215]
	s_delay_alu instid0(VALU_DEP_1) | instskip(NEXT) | instid1(SALU_CYCLE_1)
	s_and_b32 s2, vcc_lo, s2
	s_and_saveexec_b32 s3, s2
	s_delay_alu instid0(SALU_CYCLE_1)
	s_xor_b32 s2, exec_lo, s3
; %bb.1074:
	v_cmp_ne_u32_e32 vcc_lo, 0, v225
	v_cndmask_b32_e32 v225, 52, v225, vcc_lo
; %bb.1075:
	s_and_not1_saveexec_b32 s3, s2
	s_cbranch_execz .LBB104_1081
; %bb.1076:
	v_cmp_gt_f64_e32 vcc_lo, 0, v[212:213]
	v_cmp_gt_f64_e64 s2, 0, v[214:215]
	v_xor_b32_e32 v221, 0x80000000, v213
	v_xor_b32_e32 v229, 0x80000000, v215
	s_delay_alu instid0(VALU_DEP_2) | instskip(NEXT) | instid1(VALU_DEP_2)
	v_cndmask_b32_e32 v230, v213, v221, vcc_lo
	v_cndmask_b32_e64 v232, v215, v229, s2
	v_cndmask_b32_e32 v229, v212, v212, vcc_lo
	v_cndmask_b32_e64 v231, v214, v214, s2
	s_mov_b32 s2, exec_lo
	s_delay_alu instid0(VALU_DEP_1)
	v_cmpx_ngt_f64_e32 v[229:230], v[231:232]
	s_xor_b32 s2, exec_lo, s2
	s_cbranch_execz .LBB104_1078
; %bb.1077:
	v_div_scale_f64 v[229:230], null, v[214:215], v[214:215], v[212:213]
	v_div_scale_f64 v[235:236], vcc_lo, v[212:213], v[214:215], v[212:213]
	s_delay_alu instid0(VALU_DEP_2) | instskip(SKIP_2) | instid1(VALU_DEP_1)
	v_rcp_f64_e32 v[231:232], v[229:230]
	s_waitcnt_depctr 0xfff
	v_fma_f64 v[233:234], -v[229:230], v[231:232], 1.0
	v_fma_f64 v[231:232], v[231:232], v[233:234], v[231:232]
	s_delay_alu instid0(VALU_DEP_1) | instskip(NEXT) | instid1(VALU_DEP_1)
	v_fma_f64 v[233:234], -v[229:230], v[231:232], 1.0
	v_fma_f64 v[231:232], v[231:232], v[233:234], v[231:232]
	s_delay_alu instid0(VALU_DEP_1) | instskip(NEXT) | instid1(VALU_DEP_1)
	v_mul_f64 v[233:234], v[235:236], v[231:232]
	v_fma_f64 v[229:230], -v[229:230], v[233:234], v[235:236]
	s_delay_alu instid0(VALU_DEP_1) | instskip(NEXT) | instid1(VALU_DEP_1)
	v_div_fmas_f64 v[229:230], v[229:230], v[231:232], v[233:234]
	v_div_fixup_f64 v[229:230], v[229:230], v[214:215], v[212:213]
	s_delay_alu instid0(VALU_DEP_1) | instskip(NEXT) | instid1(VALU_DEP_1)
	v_fma_f64 v[212:213], v[212:213], v[229:230], v[214:215]
	v_div_scale_f64 v[214:215], null, v[212:213], v[212:213], 1.0
	s_delay_alu instid0(VALU_DEP_1) | instskip(SKIP_2) | instid1(VALU_DEP_1)
	v_rcp_f64_e32 v[231:232], v[214:215]
	s_waitcnt_depctr 0xfff
	v_fma_f64 v[233:234], -v[214:215], v[231:232], 1.0
	v_fma_f64 v[231:232], v[231:232], v[233:234], v[231:232]
	s_delay_alu instid0(VALU_DEP_1) | instskip(NEXT) | instid1(VALU_DEP_1)
	v_fma_f64 v[233:234], -v[214:215], v[231:232], 1.0
	v_fma_f64 v[231:232], v[231:232], v[233:234], v[231:232]
	v_div_scale_f64 v[233:234], vcc_lo, 1.0, v[212:213], 1.0
	s_delay_alu instid0(VALU_DEP_1) | instskip(NEXT) | instid1(VALU_DEP_1)
	v_mul_f64 v[235:236], v[233:234], v[231:232]
	v_fma_f64 v[214:215], -v[214:215], v[235:236], v[233:234]
	s_delay_alu instid0(VALU_DEP_1) | instskip(NEXT) | instid1(VALU_DEP_1)
	v_div_fmas_f64 v[214:215], v[214:215], v[231:232], v[235:236]
	v_div_fixup_f64 v[214:215], v[214:215], v[212:213], 1.0
	s_delay_alu instid0(VALU_DEP_1)
	v_mul_f64 v[212:213], v[229:230], v[214:215]
	v_xor_b32_e32 v215, 0x80000000, v215
.LBB104_1078:
	s_and_not1_saveexec_b32 s2, s2
	s_cbranch_execz .LBB104_1080
; %bb.1079:
	s_delay_alu instid0(VALU_DEP_1) | instskip(SKIP_1) | instid1(VALU_DEP_2)
	v_div_scale_f64 v[229:230], null, v[212:213], v[212:213], v[214:215]
	v_div_scale_f64 v[235:236], vcc_lo, v[214:215], v[212:213], v[214:215]
	v_rcp_f64_e32 v[231:232], v[229:230]
	s_waitcnt_depctr 0xfff
	v_fma_f64 v[233:234], -v[229:230], v[231:232], 1.0
	s_delay_alu instid0(VALU_DEP_1) | instskip(NEXT) | instid1(VALU_DEP_1)
	v_fma_f64 v[231:232], v[231:232], v[233:234], v[231:232]
	v_fma_f64 v[233:234], -v[229:230], v[231:232], 1.0
	s_delay_alu instid0(VALU_DEP_1) | instskip(NEXT) | instid1(VALU_DEP_1)
	v_fma_f64 v[231:232], v[231:232], v[233:234], v[231:232]
	v_mul_f64 v[233:234], v[235:236], v[231:232]
	s_delay_alu instid0(VALU_DEP_1) | instskip(NEXT) | instid1(VALU_DEP_1)
	v_fma_f64 v[229:230], -v[229:230], v[233:234], v[235:236]
	v_div_fmas_f64 v[229:230], v[229:230], v[231:232], v[233:234]
	s_delay_alu instid0(VALU_DEP_1) | instskip(NEXT) | instid1(VALU_DEP_1)
	v_div_fixup_f64 v[229:230], v[229:230], v[212:213], v[214:215]
	v_fma_f64 v[212:213], v[214:215], v[229:230], v[212:213]
	s_delay_alu instid0(VALU_DEP_1) | instskip(NEXT) | instid1(VALU_DEP_1)
	v_div_scale_f64 v[214:215], null, v[212:213], v[212:213], 1.0
	v_rcp_f64_e32 v[231:232], v[214:215]
	s_waitcnt_depctr 0xfff
	v_fma_f64 v[233:234], -v[214:215], v[231:232], 1.0
	s_delay_alu instid0(VALU_DEP_1) | instskip(NEXT) | instid1(VALU_DEP_1)
	v_fma_f64 v[231:232], v[231:232], v[233:234], v[231:232]
	v_fma_f64 v[233:234], -v[214:215], v[231:232], 1.0
	s_delay_alu instid0(VALU_DEP_1) | instskip(SKIP_1) | instid1(VALU_DEP_1)
	v_fma_f64 v[231:232], v[231:232], v[233:234], v[231:232]
	v_div_scale_f64 v[233:234], vcc_lo, 1.0, v[212:213], 1.0
	v_mul_f64 v[235:236], v[233:234], v[231:232]
	s_delay_alu instid0(VALU_DEP_1) | instskip(NEXT) | instid1(VALU_DEP_1)
	v_fma_f64 v[214:215], -v[214:215], v[235:236], v[233:234]
	v_div_fmas_f64 v[214:215], v[214:215], v[231:232], v[235:236]
	s_delay_alu instid0(VALU_DEP_1) | instskip(NEXT) | instid1(VALU_DEP_1)
	v_div_fixup_f64 v[212:213], v[214:215], v[212:213], 1.0
	v_mul_f64 v[214:215], v[229:230], -v[212:213]
.LBB104_1080:
	s_or_b32 exec_lo, exec_lo, s2
.LBB104_1081:
	s_delay_alu instid0(SALU_CYCLE_1) | instskip(NEXT) | instid1(SALU_CYCLE_1)
	s_or_b32 exec_lo, exec_lo, s3
	s_mov_b32 s2, exec_lo
	v_cmpx_ne_u32_e64 v228, v220
	s_xor_b32 s2, exec_lo, s2
	s_cbranch_execz .LBB104_1087
; %bb.1082:
	s_mov_b32 s3, exec_lo
	v_cmpx_eq_u32_e32 51, v228
	s_cbranch_execz .LBB104_1086
; %bb.1083:
	v_cmp_ne_u32_e32 vcc_lo, 51, v220
	s_xor_b32 s6, s4, -1
	s_delay_alu instid0(SALU_CYCLE_1) | instskip(NEXT) | instid1(SALU_CYCLE_1)
	s_and_b32 s7, s6, vcc_lo
	s_and_saveexec_b32 s6, s7
	s_cbranch_execz .LBB104_1085
; %bb.1084:
	v_ashrrev_i32_e32 v221, 31, v220
	s_delay_alu instid0(VALU_DEP_1) | instskip(NEXT) | instid1(VALU_DEP_1)
	v_lshlrev_b64 v[227:228], 2, v[220:221]
	v_add_co_u32 v227, vcc_lo, v218, v227
	s_delay_alu instid0(VALU_DEP_2)
	v_add_co_ci_u32_e32 v228, vcc_lo, v219, v228, vcc_lo
	s_clause 0x1
	flat_load_b32 v221, v[227:228]
	flat_load_b32 v229, v[218:219] offset:204
	s_waitcnt vmcnt(1) lgkmcnt(1)
	flat_store_b32 v[218:219], v221 offset:204
	s_waitcnt vmcnt(0) lgkmcnt(1)
	flat_store_b32 v[227:228], v229
.LBB104_1085:
	s_or_b32 exec_lo, exec_lo, s6
	v_mov_b32_e32 v228, v220
	v_mov_b32_e32 v227, v220
.LBB104_1086:
	s_or_b32 exec_lo, exec_lo, s3
.LBB104_1087:
	s_and_not1_saveexec_b32 s2, s2
	s_cbranch_execz .LBB104_1089
; %bb.1088:
	v_mov_b32_e32 v228, 51
	ds_store_2addr_b64 v222, v[0:1], v[2:3] offset0:104 offset1:105
.LBB104_1089:
	s_or_b32 exec_lo, exec_lo, s2
	s_delay_alu instid0(SALU_CYCLE_1)
	s_mov_b32 s2, exec_lo
	s_waitcnt lgkmcnt(0)
	s_waitcnt_vscnt null, 0x0
	s_barrier
	buffer_gl0_inv
	v_cmpx_lt_i32_e32 51, v228
	s_cbranch_execz .LBB104_1091
; %bb.1090:
	v_mul_f64 v[220:221], v[212:213], v[6:7]
	v_mul_f64 v[6:7], v[214:215], v[6:7]
	ds_load_2addr_b64 v[229:232], v222 offset0:104 offset1:105
	v_fma_f64 v[214:215], v[214:215], v[4:5], v[220:221]
	v_fma_f64 v[4:5], v[212:213], v[4:5], -v[6:7]
	s_waitcnt lgkmcnt(0)
	s_delay_alu instid0(VALU_DEP_2) | instskip(SKIP_1) | instid1(VALU_DEP_2)
	v_mul_f64 v[6:7], v[231:232], v[214:215]
	v_mul_f64 v[212:213], v[229:230], v[214:215]
	v_fma_f64 v[6:7], v[229:230], v[4:5], -v[6:7]
	s_delay_alu instid0(VALU_DEP_2) | instskip(NEXT) | instid1(VALU_DEP_2)
	v_fma_f64 v[212:213], v[231:232], v[4:5], v[212:213]
	v_add_f64 v[0:1], v[0:1], -v[6:7]
	s_delay_alu instid0(VALU_DEP_2)
	v_add_f64 v[2:3], v[2:3], -v[212:213]
	v_dual_mov_b32 v6, v214 :: v_dual_mov_b32 v7, v215
.LBB104_1091:
	s_or_b32 exec_lo, exec_lo, s2
	v_lshl_add_u32 v212, v228, 4, v222
	s_barrier
	buffer_gl0_inv
	v_mov_b32_e32 v220, 52
	ds_store_2addr_b64 v212, v[0:1], v[2:3] offset1:1
	s_waitcnt lgkmcnt(0)
	s_barrier
	buffer_gl0_inv
	ds_load_2addr_b64 v[212:215], v222 offset0:104 offset1:105
	s_cmp_lt_i32 s5, 54
	s_cbranch_scc1 .LBB104_1094
; %bb.1092:
	v_add3_u32 v221, v226, 0, 0x350
	v_mov_b32_e32 v220, 52
	s_mov_b32 s6, 53
	s_set_inst_prefetch_distance 0x1
	.p2align	6
.LBB104_1093:                           ; =>This Inner Loop Header: Depth=1
	ds_load_2addr_b64 v[229:232], v221 offset1:1
	s_waitcnt lgkmcnt(1)
	v_cmp_gt_f64_e32 vcc_lo, 0, v[212:213]
	v_xor_b32_e32 v222, 0x80000000, v213
	v_cmp_gt_f64_e64 s2, 0, v[214:215]
	v_xor_b32_e32 v226, 0x80000000, v215
	v_add_nc_u32_e32 v221, 16, v221
	s_waitcnt lgkmcnt(0)
	v_cmp_gt_f64_e64 s3, 0, v[229:230]
	v_mov_b32_e32 v237, v229
	v_dual_mov_b32 v239, v231 :: v_dual_cndmask_b32 v234, v213, v222
	v_xor_b32_e32 v222, 0x80000000, v230
	v_cndmask_b32_e64 v236, v215, v226, s2
	v_xor_b32_e32 v226, 0x80000000, v232
	v_cndmask_b32_e32 v233, v212, v212, vcc_lo
	v_cndmask_b32_e64 v235, v214, v214, s2
	s_delay_alu instid0(VALU_DEP_1) | instskip(SKIP_2) | instid1(VALU_DEP_1)
	v_add_f64 v[233:234], v[233:234], v[235:236]
	v_cndmask_b32_e64 v238, v230, v222, s3
	v_cmp_gt_f64_e64 s3, 0, v[231:232]
	v_cndmask_b32_e64 v240, v232, v226, s3
	s_delay_alu instid0(VALU_DEP_1) | instskip(NEXT) | instid1(VALU_DEP_1)
	v_add_f64 v[237:238], v[237:238], v[239:240]
	v_cmp_lt_f64_e32 vcc_lo, v[233:234], v[237:238]
	v_dual_cndmask_b32 v214, v214, v231 :: v_dual_cndmask_b32 v213, v213, v230
	v_dual_cndmask_b32 v212, v212, v229 :: v_dual_cndmask_b32 v215, v215, v232
	v_cndmask_b32_e64 v220, v220, s6, vcc_lo
	s_add_i32 s6, s6, 1
	s_delay_alu instid0(SALU_CYCLE_1)
	s_cmp_lg_u32 s5, s6
	s_cbranch_scc1 .LBB104_1093
.LBB104_1094:
	s_set_inst_prefetch_distance 0x2
	s_waitcnt lgkmcnt(0)
	v_cmp_eq_f64_e32 vcc_lo, 0, v[212:213]
	v_cmp_eq_f64_e64 s2, 0, v[214:215]
	s_delay_alu instid0(VALU_DEP_1) | instskip(NEXT) | instid1(SALU_CYCLE_1)
	s_and_b32 s2, vcc_lo, s2
	s_and_saveexec_b32 s3, s2
	s_delay_alu instid0(SALU_CYCLE_1)
	s_xor_b32 s2, exec_lo, s3
; %bb.1095:
	v_cmp_ne_u32_e32 vcc_lo, 0, v225
	v_cndmask_b32_e32 v225, 53, v225, vcc_lo
; %bb.1096:
	s_and_not1_saveexec_b32 s3, s2
	s_cbranch_execz .LBB104_1102
; %bb.1097:
	v_cmp_gt_f64_e32 vcc_lo, 0, v[212:213]
	v_cmp_gt_f64_e64 s2, 0, v[214:215]
	v_xor_b32_e32 v221, 0x80000000, v213
	v_xor_b32_e32 v226, 0x80000000, v215
	s_delay_alu instid0(VALU_DEP_2) | instskip(NEXT) | instid1(VALU_DEP_2)
	v_dual_cndmask_b32 v222, v213, v221 :: v_dual_cndmask_b32 v221, v212, v212
	v_cndmask_b32_e64 v230, v215, v226, s2
	v_cndmask_b32_e64 v229, v214, v214, s2
	s_mov_b32 s2, exec_lo
	s_delay_alu instid0(VALU_DEP_1)
	v_cmpx_ngt_f64_e32 v[221:222], v[229:230]
	s_xor_b32 s2, exec_lo, s2
	s_cbranch_execz .LBB104_1099
; %bb.1098:
	v_div_scale_f64 v[221:222], null, v[214:215], v[214:215], v[212:213]
	v_div_scale_f64 v[233:234], vcc_lo, v[212:213], v[214:215], v[212:213]
	s_delay_alu instid0(VALU_DEP_2) | instskip(SKIP_2) | instid1(VALU_DEP_1)
	v_rcp_f64_e32 v[229:230], v[221:222]
	s_waitcnt_depctr 0xfff
	v_fma_f64 v[231:232], -v[221:222], v[229:230], 1.0
	v_fma_f64 v[229:230], v[229:230], v[231:232], v[229:230]
	s_delay_alu instid0(VALU_DEP_1) | instskip(NEXT) | instid1(VALU_DEP_1)
	v_fma_f64 v[231:232], -v[221:222], v[229:230], 1.0
	v_fma_f64 v[229:230], v[229:230], v[231:232], v[229:230]
	s_delay_alu instid0(VALU_DEP_1) | instskip(NEXT) | instid1(VALU_DEP_1)
	v_mul_f64 v[231:232], v[233:234], v[229:230]
	v_fma_f64 v[221:222], -v[221:222], v[231:232], v[233:234]
	s_delay_alu instid0(VALU_DEP_1) | instskip(NEXT) | instid1(VALU_DEP_1)
	v_div_fmas_f64 v[221:222], v[221:222], v[229:230], v[231:232]
	v_div_fixup_f64 v[221:222], v[221:222], v[214:215], v[212:213]
	s_delay_alu instid0(VALU_DEP_1) | instskip(NEXT) | instid1(VALU_DEP_1)
	v_fma_f64 v[212:213], v[212:213], v[221:222], v[214:215]
	v_div_scale_f64 v[214:215], null, v[212:213], v[212:213], 1.0
	s_delay_alu instid0(VALU_DEP_1) | instskip(SKIP_2) | instid1(VALU_DEP_1)
	v_rcp_f64_e32 v[229:230], v[214:215]
	s_waitcnt_depctr 0xfff
	v_fma_f64 v[231:232], -v[214:215], v[229:230], 1.0
	v_fma_f64 v[229:230], v[229:230], v[231:232], v[229:230]
	s_delay_alu instid0(VALU_DEP_1) | instskip(NEXT) | instid1(VALU_DEP_1)
	v_fma_f64 v[231:232], -v[214:215], v[229:230], 1.0
	v_fma_f64 v[229:230], v[229:230], v[231:232], v[229:230]
	v_div_scale_f64 v[231:232], vcc_lo, 1.0, v[212:213], 1.0
	s_delay_alu instid0(VALU_DEP_1) | instskip(NEXT) | instid1(VALU_DEP_1)
	v_mul_f64 v[233:234], v[231:232], v[229:230]
	v_fma_f64 v[214:215], -v[214:215], v[233:234], v[231:232]
	s_delay_alu instid0(VALU_DEP_1) | instskip(NEXT) | instid1(VALU_DEP_1)
	v_div_fmas_f64 v[214:215], v[214:215], v[229:230], v[233:234]
	v_div_fixup_f64 v[214:215], v[214:215], v[212:213], 1.0
	s_delay_alu instid0(VALU_DEP_1)
	v_mul_f64 v[212:213], v[221:222], v[214:215]
	v_xor_b32_e32 v215, 0x80000000, v215
.LBB104_1099:
	s_and_not1_saveexec_b32 s2, s2
	s_cbranch_execz .LBB104_1101
; %bb.1100:
	s_delay_alu instid0(VALU_DEP_1) | instskip(SKIP_1) | instid1(VALU_DEP_2)
	v_div_scale_f64 v[221:222], null, v[212:213], v[212:213], v[214:215]
	v_div_scale_f64 v[233:234], vcc_lo, v[214:215], v[212:213], v[214:215]
	v_rcp_f64_e32 v[229:230], v[221:222]
	s_waitcnt_depctr 0xfff
	v_fma_f64 v[231:232], -v[221:222], v[229:230], 1.0
	s_delay_alu instid0(VALU_DEP_1) | instskip(NEXT) | instid1(VALU_DEP_1)
	v_fma_f64 v[229:230], v[229:230], v[231:232], v[229:230]
	v_fma_f64 v[231:232], -v[221:222], v[229:230], 1.0
	s_delay_alu instid0(VALU_DEP_1) | instskip(NEXT) | instid1(VALU_DEP_1)
	v_fma_f64 v[229:230], v[229:230], v[231:232], v[229:230]
	v_mul_f64 v[231:232], v[233:234], v[229:230]
	s_delay_alu instid0(VALU_DEP_1) | instskip(NEXT) | instid1(VALU_DEP_1)
	v_fma_f64 v[221:222], -v[221:222], v[231:232], v[233:234]
	v_div_fmas_f64 v[221:222], v[221:222], v[229:230], v[231:232]
	s_delay_alu instid0(VALU_DEP_1) | instskip(NEXT) | instid1(VALU_DEP_1)
	v_div_fixup_f64 v[221:222], v[221:222], v[212:213], v[214:215]
	v_fma_f64 v[212:213], v[214:215], v[221:222], v[212:213]
	s_delay_alu instid0(VALU_DEP_1) | instskip(NEXT) | instid1(VALU_DEP_1)
	v_div_scale_f64 v[214:215], null, v[212:213], v[212:213], 1.0
	v_rcp_f64_e32 v[229:230], v[214:215]
	s_waitcnt_depctr 0xfff
	v_fma_f64 v[231:232], -v[214:215], v[229:230], 1.0
	s_delay_alu instid0(VALU_DEP_1) | instskip(NEXT) | instid1(VALU_DEP_1)
	v_fma_f64 v[229:230], v[229:230], v[231:232], v[229:230]
	v_fma_f64 v[231:232], -v[214:215], v[229:230], 1.0
	s_delay_alu instid0(VALU_DEP_1) | instskip(SKIP_1) | instid1(VALU_DEP_1)
	v_fma_f64 v[229:230], v[229:230], v[231:232], v[229:230]
	v_div_scale_f64 v[231:232], vcc_lo, 1.0, v[212:213], 1.0
	v_mul_f64 v[233:234], v[231:232], v[229:230]
	s_delay_alu instid0(VALU_DEP_1) | instskip(NEXT) | instid1(VALU_DEP_1)
	v_fma_f64 v[214:215], -v[214:215], v[233:234], v[231:232]
	v_div_fmas_f64 v[214:215], v[214:215], v[229:230], v[233:234]
	s_delay_alu instid0(VALU_DEP_1) | instskip(NEXT) | instid1(VALU_DEP_1)
	v_div_fixup_f64 v[212:213], v[214:215], v[212:213], 1.0
	v_mul_f64 v[214:215], v[221:222], -v[212:213]
.LBB104_1101:
	s_or_b32 exec_lo, exec_lo, s2
.LBB104_1102:
	s_delay_alu instid0(SALU_CYCLE_1)
	s_or_b32 exec_lo, exec_lo, s3
	v_mov_b32_e32 v221, 52
	s_mov_b32 s2, exec_lo
	v_cmpx_ne_u32_e64 v228, v220
	s_cbranch_execz .LBB104_1108
; %bb.1103:
	s_mov_b32 s3, exec_lo
	v_cmpx_eq_u32_e32 52, v228
	s_cbranch_execz .LBB104_1107
; %bb.1104:
	v_cmp_ne_u32_e32 vcc_lo, 52, v220
	s_xor_b32 s4, s4, -1
	s_delay_alu instid0(SALU_CYCLE_1) | instskip(NEXT) | instid1(SALU_CYCLE_1)
	s_and_b32 s5, s4, vcc_lo
	s_and_saveexec_b32 s4, s5
	s_cbranch_execz .LBB104_1106
; %bb.1105:
	v_ashrrev_i32_e32 v221, 31, v220
	s_delay_alu instid0(VALU_DEP_1) | instskip(NEXT) | instid1(VALU_DEP_1)
	v_lshlrev_b64 v[221:222], 2, v[220:221]
	v_add_co_u32 v221, vcc_lo, v218, v221
	s_delay_alu instid0(VALU_DEP_2)
	v_add_co_ci_u32_e32 v222, vcc_lo, v219, v222, vcc_lo
	s_clause 0x1
	flat_load_b32 v226, v[221:222]
	flat_load_b32 v227, v[218:219] offset:208
	s_waitcnt vmcnt(1) lgkmcnt(1)
	flat_store_b32 v[218:219], v226 offset:208
	s_waitcnt vmcnt(0) lgkmcnt(1)
	flat_store_b32 v[221:222], v227
.LBB104_1106:
	s_or_b32 exec_lo, exec_lo, s4
	v_mov_b32_e32 v228, v220
	v_mov_b32_e32 v227, v220
.LBB104_1107:
	s_or_b32 exec_lo, exec_lo, s3
	s_delay_alu instid0(VALU_DEP_2)
	v_mov_b32_e32 v221, v228
.LBB104_1108:
	s_or_b32 exec_lo, exec_lo, s2
	s_delay_alu instid0(SALU_CYCLE_1)
	s_mov_b32 s2, exec_lo
	s_waitcnt lgkmcnt(0)
	s_waitcnt_vscnt null, 0x0
	s_barrier
	buffer_gl0_inv
	v_cmpx_lt_i32_e32 52, v221
; %bb.1109:
	v_mul_f64 v[218:219], v[214:215], v[2:3]
	v_mul_f64 v[2:3], v[212:213], v[2:3]
	s_delay_alu instid0(VALU_DEP_2) | instskip(NEXT) | instid1(VALU_DEP_2)
	v_fma_f64 v[212:213], v[212:213], v[0:1], -v[218:219]
	v_fma_f64 v[2:3], v[214:215], v[0:1], v[2:3]
	s_delay_alu instid0(VALU_DEP_2)
	v_dual_mov_b32 v0, v212 :: v_dual_mov_b32 v1, v213
; %bb.1110:
	s_or_b32 exec_lo, exec_lo, s2
	s_load_b256 s[0:7], s[0:1], 0x28
	v_ashrrev_i32_e32 v222, 31, v221
	s_mov_b32 s9, exec_lo
	s_waitcnt lgkmcnt(0)
	s_barrier
	buffer_gl0_inv
	v_cmpx_gt_i32_e32 53, v221
	s_cbranch_execz .LBB104_1112
; %bb.1111:
	v_mul_lo_u32 v214, v217, s4
	v_mul_lo_u32 v215, v216, s5
	v_mad_u64_u32 v[212:213], null, v216, s4, 0
	s_lshl_b64 s[2:3], s[2:3], 2
	s_delay_alu instid0(SALU_CYCLE_1) | instskip(SKIP_1) | instid1(VALU_DEP_1)
	s_add_u32 s0, s2, s0
	s_addc_u32 s1, s3, s1
	v_add3_u32 v213, v213, v215, v214
	v_lshlrev_b64 v[214:215], 2, v[221:222]
	s_delay_alu instid0(VALU_DEP_2) | instskip(NEXT) | instid1(VALU_DEP_1)
	v_lshlrev_b64 v[212:213], 2, v[212:213]
	v_add_co_u32 v212, vcc_lo, s0, v212
	s_delay_alu instid0(VALU_DEP_2) | instskip(NEXT) | instid1(VALU_DEP_2)
	v_add_co_ci_u32_e32 v213, vcc_lo, s1, v213, vcc_lo
	v_add_co_u32 v212, vcc_lo, v212, v214
	s_delay_alu instid0(VALU_DEP_2)
	v_add_co_ci_u32_e32 v213, vcc_lo, v213, v215, vcc_lo
	v_add3_u32 v214, v227, s13, 1
	global_store_b32 v[212:213], v214, off
.LBB104_1112:
	s_or_b32 exec_lo, exec_lo, s9
	s_delay_alu instid0(SALU_CYCLE_1)
	s_mov_b32 s1, exec_lo
	v_cmpx_eq_u32_e32 0, v221
	s_cbranch_execz .LBB104_1115
; %bb.1113:
	v_lshlrev_b64 v[212:213], 2, v[216:217]
	v_cmp_lt_i32_e64 s0, 0, v225
	s_delay_alu instid0(VALU_DEP_2) | instskip(NEXT) | instid1(VALU_DEP_3)
	v_add_co_u32 v212, vcc_lo, s6, v212
	v_add_co_ci_u32_e32 v213, vcc_lo, s7, v213, vcc_lo
	global_load_b32 v214, v[212:213], off
	s_waitcnt vmcnt(0)
	v_cmp_eq_u32_e32 vcc_lo, 0, v214
	s_and_b32 s0, vcc_lo, s0
	s_delay_alu instid0(SALU_CYCLE_1)
	s_and_b32 exec_lo, exec_lo, s0
	s_cbranch_execz .LBB104_1115
; %bb.1114:
	v_add_nc_u32_e32 v214, s13, v225
	global_store_b32 v[212:213], v214, off
.LBB104_1115:
	s_or_b32 exec_lo, exec_lo, s1
	v_lshlrev_b64 v[214:215], 4, v[221:222]
	v_add3_u32 v212, s8, s8, v221
	s_delay_alu instid0(VALU_DEP_1) | instskip(NEXT) | instid1(VALU_DEP_3)
	v_ashrrev_i32_e32 v213, 31, v212
	v_add_co_u32 v214, vcc_lo, v223, v214
	s_delay_alu instid0(VALU_DEP_4) | instskip(SKIP_1) | instid1(VALU_DEP_4)
	v_add_co_ci_u32_e32 v215, vcc_lo, v224, v215, vcc_lo
	v_add_nc_u32_e32 v216, s8, v212
	v_lshlrev_b64 v[212:213], 4, v[212:213]
	global_store_b128 v[214:215], v[208:211], off
	v_add_co_u32 v208, vcc_lo, v214, s10
	v_add_nc_u32_e32 v210, s8, v216
	v_ashrrev_i32_e32 v217, 31, v216
	v_add_co_ci_u32_e32 v209, vcc_lo, s11, v215, vcc_lo
	v_add_co_u32 v212, vcc_lo, v223, v212
	s_delay_alu instid0(VALU_DEP_4) | instskip(SKIP_3) | instid1(VALU_DEP_4)
	v_add_nc_u32_e32 v214, s8, v210
	v_ashrrev_i32_e32 v211, 31, v210
	v_add_co_ci_u32_e32 v213, vcc_lo, v224, v213, vcc_lo
	v_lshlrev_b64 v[216:217], 4, v[216:217]
	v_ashrrev_i32_e32 v215, 31, v214
	s_clause 0x1
	global_store_b128 v[208:209], v[200:203], off
	global_store_b128 v[212:213], v[204:207], off
	v_lshlrev_b64 v[200:201], 4, v[210:211]
	v_add_nc_u32_e32 v206, s8, v214
	v_add_co_u32 v202, vcc_lo, v223, v216
	v_lshlrev_b64 v[204:205], 4, v[214:215]
	v_add_co_ci_u32_e32 v203, vcc_lo, v224, v217, vcc_lo
	v_add_co_u32 v200, vcc_lo, v223, v200
	v_add_co_ci_u32_e32 v201, vcc_lo, v224, v201, vcc_lo
	s_delay_alu instid0(VALU_DEP_4)
	v_add_co_u32 v204, vcc_lo, v223, v204
	v_add_nc_u32_e32 v208, s8, v206
	v_add_co_ci_u32_e32 v205, vcc_lo, v224, v205, vcc_lo
	v_ashrrev_i32_e32 v207, 31, v206
	global_store_b128 v[202:203], v[196:199], off
	v_ashrrev_i32_e32 v209, 31, v208
	s_clause 0x1
	global_store_b128 v[200:201], v[192:195], off
	global_store_b128 v[204:205], v[188:191], off
	v_add_nc_u32_e32 v190, s8, v208
	v_lshlrev_b64 v[196:197], 4, v[206:207]
	v_lshlrev_b64 v[188:189], 4, v[208:209]
	s_delay_alu instid0(VALU_DEP_3) | instskip(SKIP_1) | instid1(VALU_DEP_4)
	v_add_nc_u32_e32 v194, s8, v190
	v_ashrrev_i32_e32 v191, 31, v190
	v_add_co_u32 v192, vcc_lo, v223, v196
	v_add_co_ci_u32_e32 v193, vcc_lo, v224, v197, vcc_lo
	s_delay_alu instid0(VALU_DEP_4)
	v_add_nc_u32_e32 v196, s8, v194
	v_add_co_u32 v188, vcc_lo, v223, v188
	v_ashrrev_i32_e32 v195, 31, v194
	v_add_co_ci_u32_e32 v189, vcc_lo, v224, v189, vcc_lo
	v_lshlrev_b64 v[190:191], 4, v[190:191]
	v_ashrrev_i32_e32 v197, 31, v196
	s_clause 0x1
	global_store_b128 v[192:193], v[184:187], off
	global_store_b128 v[188:189], v[180:183], off
	v_lshlrev_b64 v[180:181], 4, v[194:195]
	v_add_nc_u32_e32 v186, s8, v196
	v_add_co_u32 v182, vcc_lo, v223, v190
	v_lshlrev_b64 v[184:185], 4, v[196:197]
	v_add_co_ci_u32_e32 v183, vcc_lo, v224, v191, vcc_lo
	v_add_co_u32 v180, vcc_lo, v223, v180
	v_add_co_ci_u32_e32 v181, vcc_lo, v224, v181, vcc_lo
	s_delay_alu instid0(VALU_DEP_4)
	v_add_co_u32 v184, vcc_lo, v223, v184
	v_add_nc_u32_e32 v188, s8, v186
	v_add_co_ci_u32_e32 v185, vcc_lo, v224, v185, vcc_lo
	v_ashrrev_i32_e32 v187, 31, v186
	global_store_b128 v[182:183], v[176:179], off
	v_ashrrev_i32_e32 v189, 31, v188
	s_clause 0x1
	global_store_b128 v[180:181], v[172:175], off
	global_store_b128 v[184:185], v[168:171], off
	v_add_nc_u32_e32 v170, s8, v188
	v_lshlrev_b64 v[176:177], 4, v[186:187]
	v_lshlrev_b64 v[168:169], 4, v[188:189]
	s_delay_alu instid0(VALU_DEP_3) | instskip(SKIP_1) | instid1(VALU_DEP_4)
	v_add_nc_u32_e32 v174, s8, v170
	v_ashrrev_i32_e32 v171, 31, v170
	v_add_co_u32 v172, vcc_lo, v223, v176
	v_add_co_ci_u32_e32 v173, vcc_lo, v224, v177, vcc_lo
	s_delay_alu instid0(VALU_DEP_4)
	v_add_nc_u32_e32 v176, s8, v174
	v_add_co_u32 v168, vcc_lo, v223, v168
	v_ashrrev_i32_e32 v175, 31, v174
	v_add_co_ci_u32_e32 v169, vcc_lo, v224, v169, vcc_lo
	v_lshlrev_b64 v[170:171], 4, v[170:171]
	v_ashrrev_i32_e32 v177, 31, v176
	s_clause 0x1
	global_store_b128 v[172:173], v[164:167], off
	global_store_b128 v[168:169], v[160:163], off
	v_lshlrev_b64 v[160:161], 4, v[174:175]
	v_add_nc_u32_e32 v166, s8, v176
	v_add_co_u32 v162, vcc_lo, v223, v170
	v_lshlrev_b64 v[164:165], 4, v[176:177]
	v_add_co_ci_u32_e32 v163, vcc_lo, v224, v171, vcc_lo
	v_add_co_u32 v160, vcc_lo, v223, v160
	v_add_co_ci_u32_e32 v161, vcc_lo, v224, v161, vcc_lo
	s_delay_alu instid0(VALU_DEP_4)
	v_add_co_u32 v164, vcc_lo, v223, v164
	v_add_nc_u32_e32 v168, s8, v166
	v_add_co_ci_u32_e32 v165, vcc_lo, v224, v165, vcc_lo
	v_ashrrev_i32_e32 v167, 31, v166
	global_store_b128 v[162:163], v[156:159], off
	v_ashrrev_i32_e32 v169, 31, v168
	s_clause 0x1
	global_store_b128 v[160:161], v[152:155], off
	global_store_b128 v[164:165], v[148:151], off
	v_add_nc_u32_e32 v150, s8, v168
	v_lshlrev_b64 v[156:157], 4, v[166:167]
	v_lshlrev_b64 v[148:149], 4, v[168:169]
	s_delay_alu instid0(VALU_DEP_3) | instskip(SKIP_1) | instid1(VALU_DEP_4)
	v_add_nc_u32_e32 v154, s8, v150
	v_ashrrev_i32_e32 v151, 31, v150
	v_add_co_u32 v152, vcc_lo, v223, v156
	v_add_co_ci_u32_e32 v153, vcc_lo, v224, v157, vcc_lo
	s_delay_alu instid0(VALU_DEP_4)
	v_add_nc_u32_e32 v156, s8, v154
	v_add_co_u32 v148, vcc_lo, v223, v148
	v_ashrrev_i32_e32 v155, 31, v154
	v_add_co_ci_u32_e32 v149, vcc_lo, v224, v149, vcc_lo
	v_lshlrev_b64 v[150:151], 4, v[150:151]
	v_ashrrev_i32_e32 v157, 31, v156
	s_clause 0x1
	global_store_b128 v[152:153], v[144:147], off
	global_store_b128 v[148:149], v[140:143], off
	v_lshlrev_b64 v[140:141], 4, v[154:155]
	v_add_nc_u32_e32 v146, s8, v156
	v_add_co_u32 v142, vcc_lo, v223, v150
	v_lshlrev_b64 v[144:145], 4, v[156:157]
	v_add_co_ci_u32_e32 v143, vcc_lo, v224, v151, vcc_lo
	v_add_co_u32 v140, vcc_lo, v223, v140
	v_add_co_ci_u32_e32 v141, vcc_lo, v224, v141, vcc_lo
	s_delay_alu instid0(VALU_DEP_4)
	v_add_co_u32 v144, vcc_lo, v223, v144
	v_add_nc_u32_e32 v148, s8, v146
	v_add_co_ci_u32_e32 v145, vcc_lo, v224, v145, vcc_lo
	v_ashrrev_i32_e32 v147, 31, v146
	global_store_b128 v[142:143], v[136:139], off
	v_ashrrev_i32_e32 v149, 31, v148
	s_clause 0x1
	global_store_b128 v[140:141], v[132:135], off
	global_store_b128 v[144:145], v[128:131], off
	v_add_nc_u32_e32 v130, s8, v148
	v_lshlrev_b64 v[136:137], 4, v[146:147]
	v_lshlrev_b64 v[128:129], 4, v[148:149]
	s_delay_alu instid0(VALU_DEP_3) | instskip(SKIP_1) | instid1(VALU_DEP_4)
	v_add_nc_u32_e32 v134, s8, v130
	v_ashrrev_i32_e32 v131, 31, v130
	v_add_co_u32 v132, vcc_lo, v223, v136
	v_add_co_ci_u32_e32 v133, vcc_lo, v224, v137, vcc_lo
	s_delay_alu instid0(VALU_DEP_4)
	v_add_nc_u32_e32 v136, s8, v134
	v_add_co_u32 v128, vcc_lo, v223, v128
	v_ashrrev_i32_e32 v135, 31, v134
	v_add_co_ci_u32_e32 v129, vcc_lo, v224, v129, vcc_lo
	v_lshlrev_b64 v[130:131], 4, v[130:131]
	v_ashrrev_i32_e32 v137, 31, v136
	s_clause 0x1
	global_store_b128 v[132:133], v[124:127], off
	global_store_b128 v[128:129], v[120:123], off
	v_lshlrev_b64 v[120:121], 4, v[134:135]
	v_add_nc_u32_e32 v126, s8, v136
	v_add_co_u32 v122, vcc_lo, v223, v130
	v_lshlrev_b64 v[124:125], 4, v[136:137]
	v_add_co_ci_u32_e32 v123, vcc_lo, v224, v131, vcc_lo
	v_add_co_u32 v120, vcc_lo, v223, v120
	v_add_co_ci_u32_e32 v121, vcc_lo, v224, v121, vcc_lo
	s_delay_alu instid0(VALU_DEP_4)
	v_add_co_u32 v124, vcc_lo, v223, v124
	v_add_nc_u32_e32 v128, s8, v126
	v_add_co_ci_u32_e32 v125, vcc_lo, v224, v125, vcc_lo
	v_ashrrev_i32_e32 v127, 31, v126
	global_store_b128 v[122:123], v[116:119], off
	v_ashrrev_i32_e32 v129, 31, v128
	s_clause 0x1
	global_store_b128 v[120:121], v[112:115], off
	global_store_b128 v[124:125], v[108:111], off
	v_add_nc_u32_e32 v110, s8, v128
	v_lshlrev_b64 v[116:117], 4, v[126:127]
	v_lshlrev_b64 v[108:109], 4, v[128:129]
	s_delay_alu instid0(VALU_DEP_3) | instskip(SKIP_1) | instid1(VALU_DEP_4)
	v_add_nc_u32_e32 v114, s8, v110
	v_ashrrev_i32_e32 v111, 31, v110
	v_add_co_u32 v112, vcc_lo, v223, v116
	v_add_co_ci_u32_e32 v113, vcc_lo, v224, v117, vcc_lo
	s_delay_alu instid0(VALU_DEP_4)
	v_add_nc_u32_e32 v116, s8, v114
	v_add_co_u32 v108, vcc_lo, v223, v108
	v_ashrrev_i32_e32 v115, 31, v114
	v_add_co_ci_u32_e32 v109, vcc_lo, v224, v109, vcc_lo
	v_lshlrev_b64 v[110:111], 4, v[110:111]
	v_ashrrev_i32_e32 v117, 31, v116
	s_clause 0x1
	global_store_b128 v[112:113], v[104:107], off
	global_store_b128 v[108:109], v[100:103], off
	v_lshlrev_b64 v[100:101], 4, v[114:115]
	v_add_nc_u32_e32 v106, s8, v116
	v_add_co_u32 v102, vcc_lo, v223, v110
	v_lshlrev_b64 v[104:105], 4, v[116:117]
	v_add_co_ci_u32_e32 v103, vcc_lo, v224, v111, vcc_lo
	v_add_co_u32 v100, vcc_lo, v223, v100
	v_add_co_ci_u32_e32 v101, vcc_lo, v224, v101, vcc_lo
	s_delay_alu instid0(VALU_DEP_4)
	v_add_co_u32 v104, vcc_lo, v223, v104
	v_add_nc_u32_e32 v108, s8, v106
	v_add_co_ci_u32_e32 v105, vcc_lo, v224, v105, vcc_lo
	v_ashrrev_i32_e32 v107, 31, v106
	global_store_b128 v[102:103], v[96:99], off
	v_ashrrev_i32_e32 v109, 31, v108
	s_clause 0x1
	global_store_b128 v[100:101], v[92:95], off
	global_store_b128 v[104:105], v[88:91], off
	v_add_nc_u32_e32 v90, s8, v108
	v_lshlrev_b64 v[96:97], 4, v[106:107]
	v_lshlrev_b64 v[88:89], 4, v[108:109]
	s_delay_alu instid0(VALU_DEP_3) | instskip(SKIP_1) | instid1(VALU_DEP_4)
	v_add_nc_u32_e32 v94, s8, v90
	v_ashrrev_i32_e32 v91, 31, v90
	v_add_co_u32 v92, vcc_lo, v223, v96
	v_add_co_ci_u32_e32 v93, vcc_lo, v224, v97, vcc_lo
	s_delay_alu instid0(VALU_DEP_4)
	v_add_nc_u32_e32 v96, s8, v94
	v_add_co_u32 v88, vcc_lo, v223, v88
	v_ashrrev_i32_e32 v95, 31, v94
	v_add_co_ci_u32_e32 v89, vcc_lo, v224, v89, vcc_lo
	v_lshlrev_b64 v[90:91], 4, v[90:91]
	v_ashrrev_i32_e32 v97, 31, v96
	s_clause 0x1
	global_store_b128 v[92:93], v[84:87], off
	global_store_b128 v[88:89], v[80:83], off
	v_lshlrev_b64 v[80:81], 4, v[94:95]
	v_add_nc_u32_e32 v86, s8, v96
	v_add_co_u32 v82, vcc_lo, v223, v90
	v_lshlrev_b64 v[84:85], 4, v[96:97]
	v_add_co_ci_u32_e32 v83, vcc_lo, v224, v91, vcc_lo
	v_add_co_u32 v80, vcc_lo, v223, v80
	v_add_co_ci_u32_e32 v81, vcc_lo, v224, v81, vcc_lo
	s_delay_alu instid0(VALU_DEP_4)
	v_add_co_u32 v84, vcc_lo, v223, v84
	v_add_nc_u32_e32 v88, s8, v86
	v_add_co_ci_u32_e32 v85, vcc_lo, v224, v85, vcc_lo
	v_ashrrev_i32_e32 v87, 31, v86
	global_store_b128 v[82:83], v[76:79], off
	v_ashrrev_i32_e32 v89, 31, v88
	s_clause 0x1
	global_store_b128 v[80:81], v[72:75], off
	global_store_b128 v[84:85], v[68:71], off
	v_add_nc_u32_e32 v70, s8, v88
	v_lshlrev_b64 v[76:77], 4, v[86:87]
	v_lshlrev_b64 v[68:69], 4, v[88:89]
	s_delay_alu instid0(VALU_DEP_3) | instskip(SKIP_1) | instid1(VALU_DEP_4)
	v_add_nc_u32_e32 v74, s8, v70
	v_ashrrev_i32_e32 v71, 31, v70
	v_add_co_u32 v72, vcc_lo, v223, v76
	v_add_co_ci_u32_e32 v73, vcc_lo, v224, v77, vcc_lo
	s_delay_alu instid0(VALU_DEP_4)
	v_add_nc_u32_e32 v76, s8, v74
	v_add_co_u32 v68, vcc_lo, v223, v68
	v_ashrrev_i32_e32 v75, 31, v74
	v_add_co_ci_u32_e32 v69, vcc_lo, v224, v69, vcc_lo
	v_lshlrev_b64 v[70:71], 4, v[70:71]
	v_ashrrev_i32_e32 v77, 31, v76
	s_clause 0x1
	global_store_b128 v[72:73], v[64:67], off
	global_store_b128 v[68:69], v[60:63], off
	v_lshlrev_b64 v[60:61], 4, v[74:75]
	v_add_nc_u32_e32 v66, s8, v76
	v_add_co_u32 v62, vcc_lo, v223, v70
	v_lshlrev_b64 v[64:65], 4, v[76:77]
	v_add_co_ci_u32_e32 v63, vcc_lo, v224, v71, vcc_lo
	v_add_co_u32 v60, vcc_lo, v223, v60
	v_add_co_ci_u32_e32 v61, vcc_lo, v224, v61, vcc_lo
	s_delay_alu instid0(VALU_DEP_4)
	v_add_co_u32 v64, vcc_lo, v223, v64
	v_add_nc_u32_e32 v68, s8, v66
	v_add_co_ci_u32_e32 v65, vcc_lo, v224, v65, vcc_lo
	v_ashrrev_i32_e32 v67, 31, v66
	global_store_b128 v[62:63], v[56:59], off
	v_ashrrev_i32_e32 v69, 31, v68
	s_clause 0x1
	global_store_b128 v[60:61], v[52:55], off
	global_store_b128 v[64:65], v[48:51], off
	v_add_nc_u32_e32 v50, s8, v68
	v_lshlrev_b64 v[56:57], 4, v[66:67]
	v_lshlrev_b64 v[48:49], 4, v[68:69]
	s_delay_alu instid0(VALU_DEP_3) | instskip(SKIP_1) | instid1(VALU_DEP_4)
	v_add_nc_u32_e32 v54, s8, v50
	v_ashrrev_i32_e32 v51, 31, v50
	v_add_co_u32 v52, vcc_lo, v223, v56
	v_add_co_ci_u32_e32 v53, vcc_lo, v224, v57, vcc_lo
	s_delay_alu instid0(VALU_DEP_4)
	v_add_nc_u32_e32 v56, s8, v54
	v_add_co_u32 v48, vcc_lo, v223, v48
	v_ashrrev_i32_e32 v55, 31, v54
	v_add_co_ci_u32_e32 v49, vcc_lo, v224, v49, vcc_lo
	v_lshlrev_b64 v[50:51], 4, v[50:51]
	v_ashrrev_i32_e32 v57, 31, v56
	s_clause 0x1
	global_store_b128 v[52:53], v[44:47], off
	global_store_b128 v[48:49], v[40:43], off
	v_lshlrev_b64 v[40:41], 4, v[54:55]
	v_add_nc_u32_e32 v46, s8, v56
	v_add_co_u32 v42, vcc_lo, v223, v50
	v_lshlrev_b64 v[44:45], 4, v[56:57]
	v_add_co_ci_u32_e32 v43, vcc_lo, v224, v51, vcc_lo
	v_add_co_u32 v40, vcc_lo, v223, v40
	v_add_nc_u32_e32 v48, s8, v46
	v_add_co_ci_u32_e32 v41, vcc_lo, v224, v41, vcc_lo
	v_ashrrev_i32_e32 v47, 31, v46
	v_add_co_u32 v44, vcc_lo, v223, v44
	v_add_co_ci_u32_e32 v45, vcc_lo, v224, v45, vcc_lo
	v_ashrrev_i32_e32 v49, 31, v48
	global_store_b128 v[42:43], v[36:39], off
	v_lshlrev_b64 v[36:37], 4, v[46:47]
	s_clause 0x1
	global_store_b128 v[40:41], v[32:35], off
	global_store_b128 v[44:45], v[28:31], off
	v_add_nc_u32_e32 v30, s8, v48
	v_lshlrev_b64 v[28:29], 4, v[48:49]
	v_add_co_u32 v32, vcc_lo, v223, v36
	s_delay_alu instid0(VALU_DEP_3) | instskip(SKIP_1) | instid1(VALU_DEP_4)
	v_add_nc_u32_e32 v34, s8, v30
	v_add_co_ci_u32_e32 v33, vcc_lo, v224, v37, vcc_lo
	v_add_co_u32 v28, vcc_lo, v223, v28
	v_add_co_ci_u32_e32 v29, vcc_lo, v224, v29, vcc_lo
	s_delay_alu instid0(VALU_DEP_4)
	v_add_nc_u32_e32 v36, s8, v34
	v_ashrrev_i32_e32 v31, 31, v30
	s_clause 0x1
	global_store_b128 v[32:33], v[24:27], off
	global_store_b128 v[28:29], v[20:23], off
	v_ashrrev_i32_e32 v35, 31, v34
	v_add_nc_u32_e32 v22, s8, v36
	v_lshlrev_b64 v[24:25], 4, v[30:31]
	v_ashrrev_i32_e32 v37, 31, v36
	s_delay_alu instid0(VALU_DEP_4) | instskip(NEXT) | instid1(VALU_DEP_4)
	v_lshlrev_b64 v[20:21], 4, v[34:35]
	v_add_nc_u32_e32 v28, s8, v22
	v_ashrrev_i32_e32 v23, 31, v22
	v_add_co_u32 v24, vcc_lo, v223, v24
	v_lshlrev_b64 v[26:27], 4, v[36:37]
	s_delay_alu instid0(VALU_DEP_4)
	v_ashrrev_i32_e32 v29, 31, v28
	v_add_co_ci_u32_e32 v25, vcc_lo, v224, v25, vcc_lo
	v_add_co_u32 v20, vcc_lo, v223, v20
	v_lshlrev_b64 v[22:23], 4, v[22:23]
	v_add_co_ci_u32_e32 v21, vcc_lo, v224, v21, vcc_lo
	v_add_co_u32 v26, vcc_lo, v223, v26
	v_lshlrev_b64 v[28:29], 4, v[28:29]
	v_add_co_ci_u32_e32 v27, vcc_lo, v224, v27, vcc_lo
	v_add_co_u32 v22, vcc_lo, v223, v22
	v_add_co_ci_u32_e32 v23, vcc_lo, v224, v23, vcc_lo
	s_delay_alu instid0(VALU_DEP_4)
	v_add_co_u32 v28, vcc_lo, v223, v28
	v_add_co_ci_u32_e32 v29, vcc_lo, v224, v29, vcc_lo
	s_clause 0x4
	global_store_b128 v[24:25], v[16:19], off
	global_store_b128 v[20:21], v[12:15], off
	;; [unrolled: 1-line block ×5, first 2 shown]
.LBB104_1116:
	s_nop 0
	s_sendmsg sendmsg(MSG_DEALLOC_VGPRS)
	s_endpgm
	.section	.rodata,"a",@progbits
	.p2align	6, 0x0
	.amdhsa_kernel _ZN9rocsolver6v33100L18getf2_small_kernelILi53E19rocblas_complex_numIdEiiPKPS3_EEvT1_T3_lS7_lPS7_llPT2_S7_S7_S9_l
		.amdhsa_group_segment_fixed_size 0
		.amdhsa_private_segment_fixed_size 0
		.amdhsa_kernarg_size 352
		.amdhsa_user_sgpr_count 14
		.amdhsa_user_sgpr_dispatch_ptr 0
		.amdhsa_user_sgpr_queue_ptr 0
		.amdhsa_user_sgpr_kernarg_segment_ptr 1
		.amdhsa_user_sgpr_dispatch_id 0
		.amdhsa_user_sgpr_private_segment_size 0
		.amdhsa_wavefront_size32 1
		.amdhsa_uses_dynamic_stack 0
		.amdhsa_enable_private_segment 0
		.amdhsa_system_sgpr_workgroup_id_x 1
		.amdhsa_system_sgpr_workgroup_id_y 1
		.amdhsa_system_sgpr_workgroup_id_z 0
		.amdhsa_system_sgpr_workgroup_info 0
		.amdhsa_system_vgpr_workitem_id 1
		.amdhsa_next_free_vgpr 256
		.amdhsa_next_free_sgpr 18
		.amdhsa_reserve_vcc 1
		.amdhsa_float_round_mode_32 0
		.amdhsa_float_round_mode_16_64 0
		.amdhsa_float_denorm_mode_32 3
		.amdhsa_float_denorm_mode_16_64 3
		.amdhsa_dx10_clamp 1
		.amdhsa_ieee_mode 1
		.amdhsa_fp16_overflow 0
		.amdhsa_workgroup_processor_mode 1
		.amdhsa_memory_ordered 1
		.amdhsa_forward_progress 0
		.amdhsa_shared_vgpr_count 0
		.amdhsa_exception_fp_ieee_invalid_op 0
		.amdhsa_exception_fp_denorm_src 0
		.amdhsa_exception_fp_ieee_div_zero 0
		.amdhsa_exception_fp_ieee_overflow 0
		.amdhsa_exception_fp_ieee_underflow 0
		.amdhsa_exception_fp_ieee_inexact 0
		.amdhsa_exception_int_div_zero 0
	.end_amdhsa_kernel
	.section	.text._ZN9rocsolver6v33100L18getf2_small_kernelILi53E19rocblas_complex_numIdEiiPKPS3_EEvT1_T3_lS7_lPS7_llPT2_S7_S7_S9_l,"axG",@progbits,_ZN9rocsolver6v33100L18getf2_small_kernelILi53E19rocblas_complex_numIdEiiPKPS3_EEvT1_T3_lS7_lPS7_llPT2_S7_S7_S9_l,comdat
.Lfunc_end104:
	.size	_ZN9rocsolver6v33100L18getf2_small_kernelILi53E19rocblas_complex_numIdEiiPKPS3_EEvT1_T3_lS7_lPS7_llPT2_S7_S7_S9_l, .Lfunc_end104-_ZN9rocsolver6v33100L18getf2_small_kernelILi53E19rocblas_complex_numIdEiiPKPS3_EEvT1_T3_lS7_lPS7_llPT2_S7_S7_S9_l
                                        ; -- End function
	.section	.AMDGPU.csdata,"",@progbits
; Kernel info:
; codeLenInByte = 170660
; NumSgprs: 20
; NumVgprs: 256
; ScratchSize: 0
; MemoryBound: 0
; FloatMode: 240
; IeeeMode: 1
; LDSByteSize: 0 bytes/workgroup (compile time only)
; SGPRBlocks: 2
; VGPRBlocks: 31
; NumSGPRsForWavesPerEU: 20
; NumVGPRsForWavesPerEU: 256
; Occupancy: 5
; WaveLimiterHint : 1
; COMPUTE_PGM_RSRC2:SCRATCH_EN: 0
; COMPUTE_PGM_RSRC2:USER_SGPR: 14
; COMPUTE_PGM_RSRC2:TRAP_HANDLER: 0
; COMPUTE_PGM_RSRC2:TGID_X_EN: 1
; COMPUTE_PGM_RSRC2:TGID_Y_EN: 1
; COMPUTE_PGM_RSRC2:TGID_Z_EN: 0
; COMPUTE_PGM_RSRC2:TIDIG_COMP_CNT: 1
	.section	.text._ZN9rocsolver6v33100L23getf2_npvt_small_kernelILi53E19rocblas_complex_numIdEiiPKPS3_EEvT1_T3_lS7_lPT2_S7_S7_,"axG",@progbits,_ZN9rocsolver6v33100L23getf2_npvt_small_kernelILi53E19rocblas_complex_numIdEiiPKPS3_EEvT1_T3_lS7_lPT2_S7_S7_,comdat
	.globl	_ZN9rocsolver6v33100L23getf2_npvt_small_kernelILi53E19rocblas_complex_numIdEiiPKPS3_EEvT1_T3_lS7_lPT2_S7_S7_ ; -- Begin function _ZN9rocsolver6v33100L23getf2_npvt_small_kernelILi53E19rocblas_complex_numIdEiiPKPS3_EEvT1_T3_lS7_lPT2_S7_S7_
	.p2align	8
	.type	_ZN9rocsolver6v33100L23getf2_npvt_small_kernelILi53E19rocblas_complex_numIdEiiPKPS3_EEvT1_T3_lS7_lPT2_S7_S7_,@function
_ZN9rocsolver6v33100L23getf2_npvt_small_kernelILi53E19rocblas_complex_numIdEiiPKPS3_EEvT1_T3_lS7_lPT2_S7_S7_: ; @_ZN9rocsolver6v33100L23getf2_npvt_small_kernelILi53E19rocblas_complex_numIdEiiPKPS3_EEvT1_T3_lS7_lPT2_S7_S7_
; %bb.0:
	s_clause 0x1
	s_load_b32 s2, s[0:1], 0x44
	s_load_b64 s[12:13], s[0:1], 0x30
	v_bfe_u32 v1, v0, 10, 10
	s_waitcnt lgkmcnt(0)
	s_lshr_b32 s8, s2, 16
	s_mov_b32 s2, exec_lo
	s_delay_alu instid0(VALU_DEP_1) | instskip(NEXT) | instid1(VALU_DEP_1)
	v_mad_u64_u32 v[2:3], null, s15, s8, v[1:2]
	v_cmpx_gt_i32_e64 s12, v2
	s_cbranch_execnz .LBB105_1
; %bb.483:
	s_getpc_b64 s[16:17]
.Lpost_getpc13:
	s_add_u32 s16, s16, (.LBB105_482-.Lpost_getpc13)&4294967295
	s_addc_u32 s17, s17, (.LBB105_482-.Lpost_getpc13)>>32
	s_setpc_b64 s[16:17]
.LBB105_1:
	s_clause 0x1
	s_load_b128 s[4:7], s[0:1], 0x8
	s_load_b32 s2, s[0:1], 0x18
	v_ashrrev_i32_e32 v3, 31, v2
	v_and_b32_e32 v205, 0x3ff, v0
	s_mulk_i32 s8, 0x350
	v_mad_u32_u24 v250, 0x350, v1, 0
	scratch_store_b64 off, v[2:3], off offset:1144 ; 8-byte Folded Spill
	v_lshlrev_b64 v[2:3], 3, v[2:3]
	s_waitcnt lgkmcnt(0)
	s_delay_alu instid0(VALU_DEP_1) | instskip(NEXT) | instid1(VALU_DEP_2)
	v_add_co_u32 v2, vcc_lo, s4, v2
	v_add_co_ci_u32_e32 v3, vcc_lo, s5, v3, vcc_lo
	v_add3_u32 v4, s2, s2, v205
	s_lshl_b64 s[4:5], s[6:7], 4
	s_ashr_i32 s3, s2, 31
	global_load_b64 v[2:3], v[2:3], off
	v_add_nc_u32_e32 v8, s2, v4
	v_ashrrev_i32_e32 v5, 31, v4
	s_delay_alu instid0(VALU_DEP_2) | instskip(SKIP_1) | instid1(VALU_DEP_3)
	v_add_nc_u32_e32 v13, s2, v8
	v_ashrrev_i32_e32 v9, 31, v8
	v_lshlrev_b64 v[6:7], 4, v[4:5]
	s_delay_alu instid0(VALU_DEP_3) | instskip(SKIP_1) | instid1(VALU_DEP_4)
	v_add_nc_u32_e32 v10, s2, v13
	v_ashrrev_i32_e32 v14, 31, v13
	v_lshlrev_b64 v[8:9], 4, v[8:9]
	s_delay_alu instid0(VALU_DEP_3) | instskip(SKIP_1) | instid1(VALU_DEP_4)
	;; [unrolled: 4-line block ×11, first 2 shown]
	v_add_nc_u32_e32 v32, s2, v28
	v_ashrrev_i32_e32 v29, 31, v28
	v_lshlrev_b64 v[26:27], 4, v[26:27]
	s_delay_alu instid0(VALU_DEP_3) | instskip(NEXT) | instid1(VALU_DEP_3)
	v_add_nc_u32_e32 v39, s2, v32
	v_lshlrev_b64 v[30:31], 4, v[28:29]
	v_ashrrev_i32_e32 v33, 31, v32
	s_delay_alu instid0(VALU_DEP_3) | instskip(SKIP_1) | instid1(VALU_DEP_3)
	v_add_nc_u32_e32 v34, s2, v39
	v_ashrrev_i32_e32 v40, 31, v39
	v_lshlrev_b64 v[32:33], 4, v[32:33]
	s_delay_alu instid0(VALU_DEP_3) | instskip(NEXT) | instid1(VALU_DEP_3)
	v_add_nc_u32_e32 v38, s2, v34
	v_lshlrev_b64 v[28:29], 4, v[39:40]
	v_ashrrev_i32_e32 v35, 31, v34
	s_delay_alu instid0(VALU_DEP_3) | instskip(SKIP_1) | instid1(VALU_DEP_3)
	v_add_nc_u32_e32 v36, s2, v38
	v_ashrrev_i32_e32 v39, 31, v38
	v_lshlrev_b64 v[34:35], 4, v[34:35]
	s_delay_alu instid0(VALU_DEP_3) | instskip(SKIP_1) | instid1(VALU_DEP_4)
	v_add_nc_u32_e32 v47, s2, v36
	v_ashrrev_i32_e32 v37, 31, v36
	v_lshlrev_b64 v[38:39], 4, v[38:39]
	s_delay_alu instid0(VALU_DEP_3) | instskip(SKIP_1) | instid1(VALU_DEP_4)
	v_add_nc_u32_e32 v42, s2, v47
	v_ashrrev_i32_e32 v48, 31, v47
	v_lshlrev_b64 v[40:41], 4, v[36:37]
	s_delay_alu instid0(VALU_DEP_3) | instskip(NEXT) | instid1(VALU_DEP_3)
	v_add_nc_u32_e32 v46, s2, v42
	v_lshlrev_b64 v[36:37], 4, v[47:48]
	v_ashrrev_i32_e32 v43, 31, v42
	s_delay_alu instid0(VALU_DEP_3) | instskip(SKIP_1) | instid1(VALU_DEP_3)
	v_add_nc_u32_e32 v44, s2, v46
	v_ashrrev_i32_e32 v47, 31, v46
	v_lshlrev_b64 v[42:43], 4, v[42:43]
	s_delay_alu instid0(VALU_DEP_3) | instskip(SKIP_1) | instid1(VALU_DEP_4)
	v_add_nc_u32_e32 v50, s2, v44
	v_ashrrev_i32_e32 v45, 31, v44
	v_lshlrev_b64 v[46:47], 4, v[46:47]
	s_delay_alu instid0(VALU_DEP_3) | instskip(SKIP_1) | instid1(VALU_DEP_4)
	;; [unrolled: 4-line block ×3, first 2 shown]
	v_add_nc_u32_e32 v54, s2, v52
	v_ashrrev_i32_e32 v53, 31, v52
	v_lshlrev_b64 v[44:45], 4, v[50:51]
	s_delay_alu instid0(VALU_DEP_3) | instskip(NEXT) | instid1(VALU_DEP_3)
	v_add_nc_u32_e32 v56, s2, v54
	v_lshlrev_b64 v[50:51], 4, v[52:53]
	v_ashrrev_i32_e32 v55, 31, v54
	s_delay_alu instid0(VALU_DEP_3) | instskip(SKIP_1) | instid1(VALU_DEP_3)
	v_add_nc_u32_e32 v58, s2, v56
	v_ashrrev_i32_e32 v57, 31, v56
	v_lshlrev_b64 v[54:55], 4, v[54:55]
	s_delay_alu instid0(VALU_DEP_3) | instskip(SKIP_1) | instid1(VALU_DEP_4)
	v_add_nc_u32_e32 v60, s2, v58
	v_ashrrev_i32_e32 v59, 31, v58
	v_lshlrev_b64 v[56:57], 4, v[56:57]
	s_delay_alu instid0(VALU_DEP_3) | instskip(SKIP_1) | instid1(VALU_DEP_4)
	v_add_nc_u32_e32 v62, s2, v60
	v_ashrrev_i32_e32 v61, 31, v60
	v_lshlrev_b64 v[52:53], 4, v[58:59]
	s_delay_alu instid0(VALU_DEP_3) | instskip(NEXT) | instid1(VALU_DEP_3)
	v_add_nc_u32_e32 v64, s2, v62
	v_lshlrev_b64 v[58:59], 4, v[60:61]
	v_ashrrev_i32_e32 v63, 31, v62
	s_delay_alu instid0(VALU_DEP_3) | instskip(SKIP_1) | instid1(VALU_DEP_3)
	v_add_nc_u32_e32 v66, s2, v64
	v_ashrrev_i32_e32 v65, 31, v64
	v_lshlrev_b64 v[62:63], 4, v[62:63]
	s_delay_alu instid0(VALU_DEP_3) | instskip(SKIP_1) | instid1(VALU_DEP_4)
	v_add_nc_u32_e32 v68, s2, v66
	v_ashrrev_i32_e32 v67, 31, v66
	v_lshlrev_b64 v[64:65], 4, v[64:65]
	s_delay_alu instid0(VALU_DEP_3) | instskip(NEXT) | instid1(VALU_DEP_3)
	v_add_nc_u32_e32 v70, s2, v68
	v_lshlrev_b64 v[60:61], 4, v[66:67]
	v_ashrrev_i32_e32 v69, 31, v68
	s_delay_alu instid0(VALU_DEP_3) | instskip(SKIP_1) | instid1(VALU_DEP_3)
	v_add_nc_u32_e32 v72, s2, v70
	v_ashrrev_i32_e32 v71, 31, v70
	v_lshlrev_b64 v[68:69], 4, v[68:69]
	s_delay_alu instid0(VALU_DEP_3) | instskip(SKIP_1) | instid1(VALU_DEP_4)
	v_add_nc_u32_e32 v74, s2, v72
	v_ashrrev_i32_e32 v73, 31, v72
	v_lshlrev_b64 v[70:71], 4, v[70:71]
	s_delay_alu instid0(VALU_DEP_3) | instskip(SKIP_1) | instid1(VALU_DEP_4)
	;; [unrolled: 4-line block ×16, first 2 shown]
	v_ashrrev_i32_e32 v101, 31, v100
	v_add_nc_u32_e32 v102, s2, v100
	v_lshlrev_b64 v[98:99], 4, v[98:99]
	s_delay_alu instid0(VALU_DEP_2) | instskip(SKIP_4) | instid1(VALU_DEP_3)
	v_ashrrev_i32_e32 v103, 31, v102
	s_waitcnt vmcnt(0)
	v_add_co_u32 v0, vcc_lo, v2, s4
	v_add_co_ci_u32_e32 v104, vcc_lo, s5, v3, vcc_lo
	v_lshlrev_b64 v[2:3], 4, v[100:101]
	v_add_co_u32 v151, vcc_lo, v0, v6
	s_delay_alu instid0(VALU_DEP_3)
	v_add_co_ci_u32_e32 v152, vcc_lo, v104, v7, vcc_lo
	v_add_co_u32 v149, vcc_lo, v0, v8
	v_add_co_ci_u32_e32 v150, vcc_lo, v104, v9, vcc_lo
	v_add_co_u32 v147, vcc_lo, v0, v4
	;; [unrolled: 2-line block ×45, first 2 shown]
	v_add_nc_u32_e32 v4, s2, v102
	v_add_co_ci_u32_e32 v11, vcc_lo, v104, v95, vcc_lo
	v_add_co_u32 v8, vcc_lo, v0, v96
	v_add_co_ci_u32_e32 v9, vcc_lo, v104, v97, vcc_lo
	v_add_co_u32 v12, vcc_lo, v0, v98
	v_ashrrev_i32_e32 v5, 31, v4
	v_add_co_ci_u32_e32 v13, vcc_lo, v104, v99, vcc_lo
	v_lshlrev_b64 v[6:7], 4, v[102:103]
	v_add_co_u32 v206, vcc_lo, v0, v2
	v_add_co_ci_u32_e32 v207, vcc_lo, v104, v3, vcc_lo
	v_lshlrev_b64 v[2:3], 4, v[4:5]
	s_delay_alu instid0(VALU_DEP_4) | instskip(SKIP_2) | instid1(VALU_DEP_4)
	v_add_co_u32 v5, vcc_lo, v0, v6
	v_lshlrev_b32_e32 v4, 4, v205
	v_add_co_ci_u32_e32 v6, vcc_lo, v104, v7, vcc_lo
	v_add_co_u32 v2, vcc_lo, v0, v2
	v_add_co_ci_u32_e32 v3, vcc_lo, v104, v3, vcc_lo
	s_delay_alu instid0(VALU_DEP_4) | instskip(SKIP_3) | instid1(VALU_DEP_3)
	v_add_co_u32 v52, vcc_lo, v0, v4
	v_add_co_ci_u32_e32 v53, vcc_lo, 0, v104, vcc_lo
	s_lshl_b64 s[2:3], s[2:3], 4
	v_lshlrev_b32_e32 v0, 4, v1
	v_add_co_u32 v56, vcc_lo, v52, s2
	global_load_b128 v[58:61], v[52:53], off
	v_add_co_ci_u32_e32 v57, vcc_lo, s3, v53, vcc_lo
	scratch_store_b64 off, v[52:53], off offset:424 ; 8-byte Folded Spill
	v_add3_u32 v255, 0, s8, v0
	v_cmp_ne_u32_e64 s3, 0, v205
	v_cmp_eq_u32_e64 s2, 0, v205
	s_waitcnt vmcnt(0)
	s_clause 0x1
	scratch_store_b128 off, v[58:61], off
	scratch_store_b64 off, v[56:57], off offset:432
	global_load_b128 v[208:211], v[56:57], off
	s_clause 0x2
	scratch_store_b64 off, v[151:152], off offset:416
	scratch_store_b64 off, v[149:150], off offset:408
	;; [unrolled: 1-line block ×3, first 2 shown]
	s_clause 0x2
	global_load_b128 v[200:203], v[151:152], off
	global_load_b128 v[196:199], v[149:150], off
	global_load_b128 v[192:195], v[147:148], off
	s_clause 0x3
	scratch_store_b64 off, v[145:146], off offset:392
	scratch_store_b64 off, v[143:144], off offset:384
	scratch_store_b64 off, v[141:142], off offset:376
	scratch_store_b64 off, v[139:140], off offset:368
	s_clause 0x3
	global_load_b128 v[188:191], v[145:146], off
	global_load_b128 v[184:187], v[143:144], off
	global_load_b128 v[180:183], v[141:142], off
	global_load_b128 v[176:179], v[139:140], off
	s_clause 0x3
	scratch_store_b64 off, v[137:138], off offset:360
	scratch_store_b64 off, v[135:136], off offset:352
	scratch_store_b64 off, v[133:134], off offset:344
	scratch_store_b64 off, v[131:132], off offset:336
	s_clause 0x3
	global_load_b128 v[172:175], v[137:138], off
	;; [unrolled: 10-line block ×6, first 2 shown]
	global_load_b128 v[104:107], v[100:101], off
	global_load_b128 v[100:103], v[54:55], off
	global_load_b128 v[96:99], v[50:51], off
	global_load_b128 v[92:95], v[48:49], off
	s_clause 0x3
	scratch_store_b64 off, v[48:49], off offset:200
	scratch_store_b64 off, v[46:47], off offset:192
	scratch_store_b64 off, v[44:45], off offset:184
	scratch_store_b64 off, v[42:43], off offset:176
	s_clause 0x3
	global_load_b128 v[88:91], v[46:47], off
	global_load_b128 v[84:87], v[44:45], off
	global_load_b128 v[80:83], v[42:43], off
	global_load_b128 v[76:79], v[40:41], off
	s_clause 0x3
	scratch_store_b64 off, v[40:41], off offset:168
	scratch_store_b64 off, v[38:39], off offset:160
	scratch_store_b64 off, v[36:37], off offset:152
	scratch_store_b64 off, v[34:35], off offset:144
	s_clause 0x3
	global_load_b128 v[72:75], v[38:39], off
	global_load_b128 v[68:71], v[36:37], off
	global_load_b128 v[64:67], v[34:35], off
	global_load_b128 v[60:63], v[32:33], off
	s_clause 0x3
	scratch_store_b64 off, v[32:33], off offset:136
	scratch_store_b64 off, v[30:31], off offset:128
	scratch_store_b64 off, v[28:29], off offset:120
	scratch_store_b64 off, v[26:27], off offset:112
	s_clause 0x3
	global_load_b128 v[56:59], v[30:31], off
	global_load_b128 v[52:55], v[28:29], off
	global_load_b128 v[48:51], v[26:27], off
	global_load_b128 v[44:47], v[24:25], off
	s_clause 0x3
	scratch_store_b64 off, v[24:25], off offset:104
	scratch_store_b64 off, v[22:23], off offset:96
	scratch_store_b64 off, v[20:21], off offset:88
	scratch_store_b64 off, v[18:19], off offset:80
	s_clause 0x3
	global_load_b128 v[40:43], v[22:23], off
	global_load_b128 v[36:39], v[20:21], off
	global_load_b128 v[32:35], v[18:19], off
	global_load_b128 v[24:27], v[14:15], off
	s_clause 0x3
	scratch_store_b64 off, v[16:17], off offset:72
	scratch_store_b64 off, v[14:15], off offset:64
	scratch_store_b64 off, v[12:13], off offset:56
	scratch_store_b64 off, v[206:207], off offset:48
	s_clause 0x3
	global_load_b128 v[28:31], v[16:17], off
	global_load_b128 v[12:15], v[12:13], off
	global_load_b128 v[20:23], v[10:11], off
	global_load_b128 v[16:19], v[8:9], off
	s_clause 0x3
	scratch_store_b64 off, v[8:9], off offset:16
	scratch_store_b64 off, v[2:3], off offset:24
	scratch_store_b64 off, v[10:11], off offset:40
	scratch_store_b64 off, v[5:6], off offset:32
	s_clause 0x2
	global_load_b128 v[8:11], v[206:207], off
	global_load_b128 v[4:7], v[5:6], off
	;; [unrolled: 1-line block ×3, first 2 shown]
	s_and_saveexec_b32 s5, s2
	s_cbranch_execz .LBB105_8
; %bb.2:
	scratch_load_b128 v[212:215], off, off  ; 16-byte Folded Reload
	s_waitcnt vmcnt(0)
	ds_store_2addr_b64 v255, v[212:213], v[214:215] offset1:1
	ds_store_2addr_b64 v250, v[208:209], v[210:211] offset0:2 offset1:3
	ds_store_2addr_b64 v250, v[200:201], v[202:203] offset0:4 offset1:5
	;; [unrolled: 1-line block ×52, first 2 shown]
	ds_load_2addr_b64 v[212:215], v255 offset1:1
	s_waitcnt lgkmcnt(0)
	v_cmp_neq_f64_e32 vcc_lo, 0, v[212:213]
	v_cmp_neq_f64_e64 s4, 0, v[214:215]
	s_delay_alu instid0(VALU_DEP_1) | instskip(NEXT) | instid1(SALU_CYCLE_1)
	s_or_b32 s4, vcc_lo, s4
	s_and_b32 exec_lo, exec_lo, s4
	s_cbranch_execz .LBB105_8
; %bb.3:
	v_cmp_gt_f64_e32 vcc_lo, 0, v[212:213]
	v_xor_b32_e32 v204, 0x80000000, v213
	s_mov_b32 s4, exec_lo
                                        ; implicit-def: $vgpr220_vgpr221
	s_delay_alu instid0(VALU_DEP_1) | instskip(SKIP_3) | instid1(VALU_DEP_1)
	v_cndmask_b32_e32 v217, v213, v204, vcc_lo
	v_cndmask_b32_e32 v216, v212, v212, vcc_lo
	v_cmp_gt_f64_e32 vcc_lo, 0, v[214:215]
	v_xor_b32_e32 v204, 0x80000000, v215
	v_dual_cndmask_b32 v218, v214, v214 :: v_dual_cndmask_b32 v219, v215, v204
	s_delay_alu instid0(VALU_DEP_1)
	v_cmpx_ngt_f64_e32 v[216:217], v[218:219]
	s_xor_b32 s4, exec_lo, s4
                                        ; implicit-def: $vgpr216_vgpr217_vgpr218_vgpr219
	s_cbranch_execz .LBB105_5
; %bb.4:
	v_div_scale_f64 v[216:217], null, v[214:215], v[214:215], v[212:213]
	v_div_scale_f64 v[222:223], vcc_lo, v[212:213], v[214:215], v[212:213]
	s_delay_alu instid0(VALU_DEP_2) | instskip(SKIP_2) | instid1(VALU_DEP_1)
	v_rcp_f64_e32 v[218:219], v[216:217]
	s_waitcnt_depctr 0xfff
	v_fma_f64 v[220:221], -v[216:217], v[218:219], 1.0
	v_fma_f64 v[218:219], v[218:219], v[220:221], v[218:219]
	s_delay_alu instid0(VALU_DEP_1) | instskip(NEXT) | instid1(VALU_DEP_1)
	v_fma_f64 v[220:221], -v[216:217], v[218:219], 1.0
	v_fma_f64 v[218:219], v[218:219], v[220:221], v[218:219]
	s_delay_alu instid0(VALU_DEP_1) | instskip(NEXT) | instid1(VALU_DEP_1)
	v_mul_f64 v[220:221], v[222:223], v[218:219]
	v_fma_f64 v[216:217], -v[216:217], v[220:221], v[222:223]
	s_delay_alu instid0(VALU_DEP_1) | instskip(NEXT) | instid1(VALU_DEP_1)
	v_div_fmas_f64 v[216:217], v[216:217], v[218:219], v[220:221]
	v_div_fixup_f64 v[216:217], v[216:217], v[214:215], v[212:213]
	s_delay_alu instid0(VALU_DEP_1) | instskip(NEXT) | instid1(VALU_DEP_1)
	v_fma_f64 v[212:213], v[212:213], v[216:217], v[214:215]
	v_div_scale_f64 v[214:215], null, v[212:213], v[212:213], 1.0
	s_delay_alu instid0(VALU_DEP_1) | instskip(SKIP_2) | instid1(VALU_DEP_1)
	v_rcp_f64_e32 v[218:219], v[214:215]
	s_waitcnt_depctr 0xfff
	v_fma_f64 v[220:221], -v[214:215], v[218:219], 1.0
	v_fma_f64 v[218:219], v[218:219], v[220:221], v[218:219]
	s_delay_alu instid0(VALU_DEP_1) | instskip(NEXT) | instid1(VALU_DEP_1)
	v_fma_f64 v[220:221], -v[214:215], v[218:219], 1.0
	v_fma_f64 v[218:219], v[218:219], v[220:221], v[218:219]
	v_div_scale_f64 v[220:221], vcc_lo, 1.0, v[212:213], 1.0
	s_delay_alu instid0(VALU_DEP_1) | instskip(NEXT) | instid1(VALU_DEP_1)
	v_mul_f64 v[222:223], v[220:221], v[218:219]
	v_fma_f64 v[214:215], -v[214:215], v[222:223], v[220:221]
	s_delay_alu instid0(VALU_DEP_1) | instskip(NEXT) | instid1(VALU_DEP_1)
	v_div_fmas_f64 v[214:215], v[214:215], v[218:219], v[222:223]
	v_div_fixup_f64 v[218:219], v[214:215], v[212:213], 1.0
                                        ; implicit-def: $vgpr212_vgpr213
	s_delay_alu instid0(VALU_DEP_1)
	v_mul_f64 v[220:221], v[216:217], v[218:219]
	v_xor_b32_e32 v219, 0x80000000, v219
.LBB105_5:
	s_and_not1_saveexec_b32 s4, s4
	s_cbranch_execz .LBB105_7
; %bb.6:
	v_div_scale_f64 v[216:217], null, v[212:213], v[212:213], v[214:215]
	v_div_scale_f64 v[222:223], vcc_lo, v[214:215], v[212:213], v[214:215]
	s_delay_alu instid0(VALU_DEP_2) | instskip(SKIP_2) | instid1(VALU_DEP_1)
	v_rcp_f64_e32 v[218:219], v[216:217]
	s_waitcnt_depctr 0xfff
	v_fma_f64 v[220:221], -v[216:217], v[218:219], 1.0
	v_fma_f64 v[218:219], v[218:219], v[220:221], v[218:219]
	s_delay_alu instid0(VALU_DEP_1) | instskip(NEXT) | instid1(VALU_DEP_1)
	v_fma_f64 v[220:221], -v[216:217], v[218:219], 1.0
	v_fma_f64 v[218:219], v[218:219], v[220:221], v[218:219]
	s_delay_alu instid0(VALU_DEP_1) | instskip(NEXT) | instid1(VALU_DEP_1)
	v_mul_f64 v[220:221], v[222:223], v[218:219]
	v_fma_f64 v[216:217], -v[216:217], v[220:221], v[222:223]
	s_delay_alu instid0(VALU_DEP_1) | instskip(NEXT) | instid1(VALU_DEP_1)
	v_div_fmas_f64 v[216:217], v[216:217], v[218:219], v[220:221]
	v_div_fixup_f64 v[216:217], v[216:217], v[212:213], v[214:215]
	s_delay_alu instid0(VALU_DEP_1) | instskip(NEXT) | instid1(VALU_DEP_1)
	v_fma_f64 v[212:213], v[214:215], v[216:217], v[212:213]
	v_div_scale_f64 v[214:215], null, v[212:213], v[212:213], 1.0
	s_delay_alu instid0(VALU_DEP_1) | instskip(SKIP_2) | instid1(VALU_DEP_1)
	v_rcp_f64_e32 v[218:219], v[214:215]
	s_waitcnt_depctr 0xfff
	v_fma_f64 v[220:221], -v[214:215], v[218:219], 1.0
	v_fma_f64 v[218:219], v[218:219], v[220:221], v[218:219]
	s_delay_alu instid0(VALU_DEP_1) | instskip(NEXT) | instid1(VALU_DEP_1)
	v_fma_f64 v[220:221], -v[214:215], v[218:219], 1.0
	v_fma_f64 v[218:219], v[218:219], v[220:221], v[218:219]
	v_div_scale_f64 v[220:221], vcc_lo, 1.0, v[212:213], 1.0
	s_delay_alu instid0(VALU_DEP_1) | instskip(NEXT) | instid1(VALU_DEP_1)
	v_mul_f64 v[222:223], v[220:221], v[218:219]
	v_fma_f64 v[214:215], -v[214:215], v[222:223], v[220:221]
	s_delay_alu instid0(VALU_DEP_1) | instskip(NEXT) | instid1(VALU_DEP_1)
	v_div_fmas_f64 v[214:215], v[214:215], v[218:219], v[222:223]
	v_div_fixup_f64 v[220:221], v[214:215], v[212:213], 1.0
	s_delay_alu instid0(VALU_DEP_1)
	v_mul_f64 v[218:219], v[216:217], -v[220:221]
.LBB105_7:
	s_or_b32 exec_lo, exec_lo, s4
	ds_store_2addr_b64 v255, v[220:221], v[218:219] offset1:1
.LBB105_8:
	s_or_b32 exec_lo, exec_lo, s5
	s_waitcnt vmcnt(0) lgkmcnt(0)
	s_waitcnt_vscnt null, 0x0
	s_barrier
	buffer_gl0_inv
	ds_load_2addr_b64 v[212:215], v255 offset1:1
	s_waitcnt lgkmcnt(0)
	scratch_store_b128 off, v[212:215], off offset:440 ; 16-byte Folded Spill
	s_and_saveexec_b32 s4, s3
	s_cbranch_execz .LBB105_10
; %bb.9:
	s_clause 0x1
	scratch_load_b128 v[222:225], off, off
	scratch_load_b128 v[214:217], off, off offset:440
	v_dual_mov_b32 v221, v211 :: v_dual_mov_b32 v220, v210
	v_dual_mov_b32 v219, v209 :: v_dual_mov_b32 v218, v208
	s_waitcnt vmcnt(0)
	v_mul_f64 v[210:211], v[214:215], v[224:225]
	v_mul_f64 v[212:213], v[216:217], v[224:225]
	s_delay_alu instid0(VALU_DEP_2) | instskip(NEXT) | instid1(VALU_DEP_2)
	v_fma_f64 v[224:225], v[216:217], v[222:223], v[210:211]
	v_fma_f64 v[212:213], v[214:215], v[222:223], -v[212:213]
	ds_load_2addr_b64 v[214:217], v250 offset0:2 offset1:3
	s_waitcnt lgkmcnt(0)
	v_mul_f64 v[208:209], v[216:217], v[224:225]
	v_dual_mov_b32 v223, v213 :: v_dual_mov_b32 v222, v212
	scratch_store_b128 off, v[222:225], off ; 16-byte Folded Spill
	v_fma_f64 v[208:209], v[214:215], v[212:213], -v[208:209]
	v_mul_f64 v[214:215], v[214:215], v[224:225]
	s_delay_alu instid0(VALU_DEP_2) | instskip(NEXT) | instid1(VALU_DEP_2)
	v_add_f64 v[218:219], v[218:219], -v[208:209]
	v_fma_f64 v[214:215], v[216:217], v[212:213], v[214:215]
	s_delay_alu instid0(VALU_DEP_1) | instskip(SKIP_3) | instid1(VALU_DEP_1)
	v_add_f64 v[220:221], v[220:221], -v[214:215]
	ds_load_2addr_b64 v[214:217], v250 offset0:4 offset1:5
	s_waitcnt lgkmcnt(0)
	v_mul_f64 v[208:209], v[216:217], v[224:225]
	v_fma_f64 v[208:209], v[214:215], v[212:213], -v[208:209]
	v_mul_f64 v[214:215], v[214:215], v[224:225]
	s_delay_alu instid0(VALU_DEP_2) | instskip(NEXT) | instid1(VALU_DEP_2)
	v_add_f64 v[200:201], v[200:201], -v[208:209]
	v_fma_f64 v[214:215], v[216:217], v[212:213], v[214:215]
	s_delay_alu instid0(VALU_DEP_1) | instskip(SKIP_3) | instid1(VALU_DEP_1)
	v_add_f64 v[202:203], v[202:203], -v[214:215]
	ds_load_2addr_b64 v[214:217], v250 offset0:6 offset1:7
	s_waitcnt lgkmcnt(0)
	v_mul_f64 v[208:209], v[216:217], v[224:225]
	;; [unrolled: 10-line block ×51, first 2 shown]
	v_fma_f64 v[208:209], v[214:215], v[212:213], -v[208:209]
	v_mul_f64 v[214:215], v[214:215], v[224:225]
	s_delay_alu instid0(VALU_DEP_2) | instskip(NEXT) | instid1(VALU_DEP_2)
	v_add_f64 v[0:1], v[0:1], -v[208:209]
	v_fma_f64 v[214:215], v[216:217], v[212:213], v[214:215]
	v_dual_mov_b32 v208, v218 :: v_dual_mov_b32 v209, v219
	v_dual_mov_b32 v210, v220 :: v_dual_mov_b32 v211, v221
	s_delay_alu instid0(VALU_DEP_3)
	v_add_f64 v[2:3], v[2:3], -v[214:215]
.LBB105_10:
	s_or_b32 exec_lo, exec_lo, s4
	s_delay_alu instid0(SALU_CYCLE_1)
	s_mov_b32 s4, exec_lo
	s_waitcnt_vscnt null, 0x0
	s_barrier
	buffer_gl0_inv
	v_cmpx_eq_u32_e32 1, v205
	s_cbranch_execz .LBB105_17
; %bb.11:
	ds_store_2addr_b64 v255, v[208:209], v[210:211] offset1:1
	ds_store_2addr_b64 v250, v[200:201], v[202:203] offset0:4 offset1:5
	ds_store_2addr_b64 v250, v[196:197], v[198:199] offset0:6 offset1:7
	;; [unrolled: 1-line block ×51, first 2 shown]
	ds_load_2addr_b64 v[212:215], v255 offset1:1
	s_waitcnt lgkmcnt(0)
	v_cmp_neq_f64_e32 vcc_lo, 0, v[212:213]
	v_cmp_neq_f64_e64 s3, 0, v[214:215]
	s_delay_alu instid0(VALU_DEP_1) | instskip(NEXT) | instid1(SALU_CYCLE_1)
	s_or_b32 s3, vcc_lo, s3
	s_and_b32 exec_lo, exec_lo, s3
	s_cbranch_execz .LBB105_17
; %bb.12:
	v_cmp_gt_f64_e32 vcc_lo, 0, v[212:213]
	v_xor_b32_e32 v204, 0x80000000, v213
	s_mov_b32 s3, exec_lo
                                        ; implicit-def: $vgpr220_vgpr221
	s_delay_alu instid0(VALU_DEP_1) | instskip(SKIP_3) | instid1(VALU_DEP_1)
	v_cndmask_b32_e32 v217, v213, v204, vcc_lo
	v_cndmask_b32_e32 v216, v212, v212, vcc_lo
	v_cmp_gt_f64_e32 vcc_lo, 0, v[214:215]
	v_xor_b32_e32 v204, 0x80000000, v215
	v_dual_cndmask_b32 v218, v214, v214 :: v_dual_cndmask_b32 v219, v215, v204
	s_delay_alu instid0(VALU_DEP_1)
	v_cmpx_ngt_f64_e32 v[216:217], v[218:219]
	s_xor_b32 s3, exec_lo, s3
                                        ; implicit-def: $vgpr216_vgpr217_vgpr218_vgpr219
	s_cbranch_execz .LBB105_14
; %bb.13:
	v_div_scale_f64 v[216:217], null, v[214:215], v[214:215], v[212:213]
	v_div_scale_f64 v[222:223], vcc_lo, v[212:213], v[214:215], v[212:213]
	s_delay_alu instid0(VALU_DEP_2) | instskip(SKIP_2) | instid1(VALU_DEP_1)
	v_rcp_f64_e32 v[218:219], v[216:217]
	s_waitcnt_depctr 0xfff
	v_fma_f64 v[220:221], -v[216:217], v[218:219], 1.0
	v_fma_f64 v[218:219], v[218:219], v[220:221], v[218:219]
	s_delay_alu instid0(VALU_DEP_1) | instskip(NEXT) | instid1(VALU_DEP_1)
	v_fma_f64 v[220:221], -v[216:217], v[218:219], 1.0
	v_fma_f64 v[218:219], v[218:219], v[220:221], v[218:219]
	s_delay_alu instid0(VALU_DEP_1) | instskip(NEXT) | instid1(VALU_DEP_1)
	v_mul_f64 v[220:221], v[222:223], v[218:219]
	v_fma_f64 v[216:217], -v[216:217], v[220:221], v[222:223]
	s_delay_alu instid0(VALU_DEP_1) | instskip(NEXT) | instid1(VALU_DEP_1)
	v_div_fmas_f64 v[216:217], v[216:217], v[218:219], v[220:221]
	v_div_fixup_f64 v[216:217], v[216:217], v[214:215], v[212:213]
	s_delay_alu instid0(VALU_DEP_1) | instskip(NEXT) | instid1(VALU_DEP_1)
	v_fma_f64 v[212:213], v[212:213], v[216:217], v[214:215]
	v_div_scale_f64 v[214:215], null, v[212:213], v[212:213], 1.0
	s_delay_alu instid0(VALU_DEP_1) | instskip(SKIP_2) | instid1(VALU_DEP_1)
	v_rcp_f64_e32 v[218:219], v[214:215]
	s_waitcnt_depctr 0xfff
	v_fma_f64 v[220:221], -v[214:215], v[218:219], 1.0
	v_fma_f64 v[218:219], v[218:219], v[220:221], v[218:219]
	s_delay_alu instid0(VALU_DEP_1) | instskip(NEXT) | instid1(VALU_DEP_1)
	v_fma_f64 v[220:221], -v[214:215], v[218:219], 1.0
	v_fma_f64 v[218:219], v[218:219], v[220:221], v[218:219]
	v_div_scale_f64 v[220:221], vcc_lo, 1.0, v[212:213], 1.0
	s_delay_alu instid0(VALU_DEP_1) | instskip(NEXT) | instid1(VALU_DEP_1)
	v_mul_f64 v[222:223], v[220:221], v[218:219]
	v_fma_f64 v[214:215], -v[214:215], v[222:223], v[220:221]
	s_delay_alu instid0(VALU_DEP_1) | instskip(NEXT) | instid1(VALU_DEP_1)
	v_div_fmas_f64 v[214:215], v[214:215], v[218:219], v[222:223]
	v_div_fixup_f64 v[218:219], v[214:215], v[212:213], 1.0
                                        ; implicit-def: $vgpr212_vgpr213
	s_delay_alu instid0(VALU_DEP_1)
	v_mul_f64 v[220:221], v[216:217], v[218:219]
	v_xor_b32_e32 v219, 0x80000000, v219
.LBB105_14:
	s_and_not1_saveexec_b32 s3, s3
	s_cbranch_execz .LBB105_16
; %bb.15:
	v_div_scale_f64 v[216:217], null, v[212:213], v[212:213], v[214:215]
	v_div_scale_f64 v[222:223], vcc_lo, v[214:215], v[212:213], v[214:215]
	s_delay_alu instid0(VALU_DEP_2) | instskip(SKIP_2) | instid1(VALU_DEP_1)
	v_rcp_f64_e32 v[218:219], v[216:217]
	s_waitcnt_depctr 0xfff
	v_fma_f64 v[220:221], -v[216:217], v[218:219], 1.0
	v_fma_f64 v[218:219], v[218:219], v[220:221], v[218:219]
	s_delay_alu instid0(VALU_DEP_1) | instskip(NEXT) | instid1(VALU_DEP_1)
	v_fma_f64 v[220:221], -v[216:217], v[218:219], 1.0
	v_fma_f64 v[218:219], v[218:219], v[220:221], v[218:219]
	s_delay_alu instid0(VALU_DEP_1) | instskip(NEXT) | instid1(VALU_DEP_1)
	v_mul_f64 v[220:221], v[222:223], v[218:219]
	v_fma_f64 v[216:217], -v[216:217], v[220:221], v[222:223]
	s_delay_alu instid0(VALU_DEP_1) | instskip(NEXT) | instid1(VALU_DEP_1)
	v_div_fmas_f64 v[216:217], v[216:217], v[218:219], v[220:221]
	v_div_fixup_f64 v[216:217], v[216:217], v[212:213], v[214:215]
	s_delay_alu instid0(VALU_DEP_1) | instskip(NEXT) | instid1(VALU_DEP_1)
	v_fma_f64 v[212:213], v[214:215], v[216:217], v[212:213]
	v_div_scale_f64 v[214:215], null, v[212:213], v[212:213], 1.0
	s_delay_alu instid0(VALU_DEP_1) | instskip(SKIP_2) | instid1(VALU_DEP_1)
	v_rcp_f64_e32 v[218:219], v[214:215]
	s_waitcnt_depctr 0xfff
	v_fma_f64 v[220:221], -v[214:215], v[218:219], 1.0
	v_fma_f64 v[218:219], v[218:219], v[220:221], v[218:219]
	s_delay_alu instid0(VALU_DEP_1) | instskip(NEXT) | instid1(VALU_DEP_1)
	v_fma_f64 v[220:221], -v[214:215], v[218:219], 1.0
	v_fma_f64 v[218:219], v[218:219], v[220:221], v[218:219]
	v_div_scale_f64 v[220:221], vcc_lo, 1.0, v[212:213], 1.0
	s_delay_alu instid0(VALU_DEP_1) | instskip(NEXT) | instid1(VALU_DEP_1)
	v_mul_f64 v[222:223], v[220:221], v[218:219]
	v_fma_f64 v[214:215], -v[214:215], v[222:223], v[220:221]
	s_delay_alu instid0(VALU_DEP_1) | instskip(NEXT) | instid1(VALU_DEP_1)
	v_div_fmas_f64 v[214:215], v[214:215], v[218:219], v[222:223]
	v_div_fixup_f64 v[220:221], v[214:215], v[212:213], 1.0
	s_delay_alu instid0(VALU_DEP_1)
	v_mul_f64 v[218:219], v[216:217], -v[220:221]
.LBB105_16:
	s_or_b32 exec_lo, exec_lo, s3
	ds_store_2addr_b64 v255, v[220:221], v[218:219] offset1:1
.LBB105_17:
	s_or_b32 exec_lo, exec_lo, s4
	s_waitcnt lgkmcnt(0)
	s_barrier
	buffer_gl0_inv
	ds_load_2addr_b64 v[212:215], v255 offset1:1
	s_mov_b32 s3, exec_lo
	s_waitcnt lgkmcnt(0)
	scratch_store_b128 off, v[212:215], off offset:456 ; 16-byte Folded Spill
	v_cmpx_lt_u32_e32 1, v205
	s_cbranch_execz .LBB105_19
; %bb.18:
	scratch_load_b128 v[214:217], off, off offset:456 ; 16-byte Folded Reload
	s_waitcnt vmcnt(0)
	v_mul_f64 v[206:207], v[214:215], v[210:211]
	v_mul_f64 v[212:213], v[216:217], v[210:211]
	s_delay_alu instid0(VALU_DEP_2) | instskip(NEXT) | instid1(VALU_DEP_2)
	v_fma_f64 v[210:211], v[216:217], v[208:209], v[206:207]
	v_fma_f64 v[212:213], v[214:215], v[208:209], -v[212:213]
	ds_load_2addr_b64 v[214:217], v250 offset0:4 offset1:5
	v_mov_b32_e32 v206, v205
	s_waitcnt lgkmcnt(0)
	v_mul_f64 v[204:205], v[216:217], v[210:211]
	v_dual_mov_b32 v208, v212 :: v_dual_mov_b32 v209, v213
	s_delay_alu instid0(VALU_DEP_2) | instskip(SKIP_1) | instid1(VALU_DEP_2)
	v_fma_f64 v[204:205], v[214:215], v[212:213], -v[204:205]
	v_mul_f64 v[214:215], v[214:215], v[210:211]
	v_add_f64 v[200:201], v[200:201], -v[204:205]
	s_delay_alu instid0(VALU_DEP_2) | instskip(NEXT) | instid1(VALU_DEP_1)
	v_fma_f64 v[214:215], v[216:217], v[212:213], v[214:215]
	v_add_f64 v[202:203], v[202:203], -v[214:215]
	ds_load_2addr_b64 v[214:217], v250 offset0:6 offset1:7
	s_waitcnt lgkmcnt(0)
	v_mul_f64 v[204:205], v[216:217], v[210:211]
	s_delay_alu instid0(VALU_DEP_1) | instskip(SKIP_1) | instid1(VALU_DEP_2)
	v_fma_f64 v[204:205], v[214:215], v[212:213], -v[204:205]
	v_mul_f64 v[214:215], v[214:215], v[210:211]
	v_add_f64 v[196:197], v[196:197], -v[204:205]
	s_delay_alu instid0(VALU_DEP_2) | instskip(NEXT) | instid1(VALU_DEP_1)
	v_fma_f64 v[214:215], v[216:217], v[212:213], v[214:215]
	v_add_f64 v[198:199], v[198:199], -v[214:215]
	ds_load_2addr_b64 v[214:217], v250 offset0:8 offset1:9
	s_waitcnt lgkmcnt(0)
	v_mul_f64 v[204:205], v[216:217], v[210:211]
	s_delay_alu instid0(VALU_DEP_1) | instskip(SKIP_1) | instid1(VALU_DEP_2)
	;; [unrolled: 10-line block ×50, first 2 shown]
	v_fma_f64 v[204:205], v[214:215], v[212:213], -v[204:205]
	v_mul_f64 v[214:215], v[214:215], v[210:211]
	v_add_f64 v[0:1], v[0:1], -v[204:205]
	s_delay_alu instid0(VALU_DEP_2) | instskip(SKIP_1) | instid1(VALU_DEP_2)
	v_fma_f64 v[214:215], v[216:217], v[212:213], v[214:215]
	v_mov_b32_e32 v205, v206
	v_add_f64 v[2:3], v[2:3], -v[214:215]
.LBB105_19:
	s_or_b32 exec_lo, exec_lo, s3
	s_delay_alu instid0(SALU_CYCLE_1)
	s_mov_b32 s4, exec_lo
	s_waitcnt_vscnt null, 0x0
	s_barrier
	buffer_gl0_inv
	v_cmpx_eq_u32_e32 2, v205
	s_cbranch_execz .LBB105_26
; %bb.20:
	ds_store_2addr_b64 v255, v[200:201], v[202:203] offset1:1
	ds_store_2addr_b64 v250, v[196:197], v[198:199] offset0:6 offset1:7
	ds_store_2addr_b64 v250, v[192:193], v[194:195] offset0:8 offset1:9
	;; [unrolled: 1-line block ×50, first 2 shown]
	ds_load_2addr_b64 v[212:215], v255 offset1:1
	s_waitcnt lgkmcnt(0)
	v_cmp_neq_f64_e32 vcc_lo, 0, v[212:213]
	v_cmp_neq_f64_e64 s3, 0, v[214:215]
	s_delay_alu instid0(VALU_DEP_1) | instskip(NEXT) | instid1(SALU_CYCLE_1)
	s_or_b32 s3, vcc_lo, s3
	s_and_b32 exec_lo, exec_lo, s3
	s_cbranch_execz .LBB105_26
; %bb.21:
	v_cmp_gt_f64_e32 vcc_lo, 0, v[212:213]
	v_xor_b32_e32 v204, 0x80000000, v213
	s_mov_b32 s3, exec_lo
                                        ; implicit-def: $vgpr220_vgpr221
	s_delay_alu instid0(VALU_DEP_1) | instskip(SKIP_3) | instid1(VALU_DEP_1)
	v_cndmask_b32_e32 v217, v213, v204, vcc_lo
	v_cndmask_b32_e32 v216, v212, v212, vcc_lo
	v_cmp_gt_f64_e32 vcc_lo, 0, v[214:215]
	v_xor_b32_e32 v204, 0x80000000, v215
	v_dual_cndmask_b32 v218, v214, v214 :: v_dual_cndmask_b32 v219, v215, v204
	s_delay_alu instid0(VALU_DEP_1)
	v_cmpx_ngt_f64_e32 v[216:217], v[218:219]
	s_xor_b32 s3, exec_lo, s3
                                        ; implicit-def: $vgpr216_vgpr217_vgpr218_vgpr219
	s_cbranch_execz .LBB105_23
; %bb.22:
	v_div_scale_f64 v[216:217], null, v[214:215], v[214:215], v[212:213]
	v_div_scale_f64 v[222:223], vcc_lo, v[212:213], v[214:215], v[212:213]
	s_delay_alu instid0(VALU_DEP_2) | instskip(SKIP_2) | instid1(VALU_DEP_1)
	v_rcp_f64_e32 v[218:219], v[216:217]
	s_waitcnt_depctr 0xfff
	v_fma_f64 v[220:221], -v[216:217], v[218:219], 1.0
	v_fma_f64 v[218:219], v[218:219], v[220:221], v[218:219]
	s_delay_alu instid0(VALU_DEP_1) | instskip(NEXT) | instid1(VALU_DEP_1)
	v_fma_f64 v[220:221], -v[216:217], v[218:219], 1.0
	v_fma_f64 v[218:219], v[218:219], v[220:221], v[218:219]
	s_delay_alu instid0(VALU_DEP_1) | instskip(NEXT) | instid1(VALU_DEP_1)
	v_mul_f64 v[220:221], v[222:223], v[218:219]
	v_fma_f64 v[216:217], -v[216:217], v[220:221], v[222:223]
	s_delay_alu instid0(VALU_DEP_1) | instskip(NEXT) | instid1(VALU_DEP_1)
	v_div_fmas_f64 v[216:217], v[216:217], v[218:219], v[220:221]
	v_div_fixup_f64 v[216:217], v[216:217], v[214:215], v[212:213]
	s_delay_alu instid0(VALU_DEP_1) | instskip(NEXT) | instid1(VALU_DEP_1)
	v_fma_f64 v[212:213], v[212:213], v[216:217], v[214:215]
	v_div_scale_f64 v[214:215], null, v[212:213], v[212:213], 1.0
	s_delay_alu instid0(VALU_DEP_1) | instskip(SKIP_2) | instid1(VALU_DEP_1)
	v_rcp_f64_e32 v[218:219], v[214:215]
	s_waitcnt_depctr 0xfff
	v_fma_f64 v[220:221], -v[214:215], v[218:219], 1.0
	v_fma_f64 v[218:219], v[218:219], v[220:221], v[218:219]
	s_delay_alu instid0(VALU_DEP_1) | instskip(NEXT) | instid1(VALU_DEP_1)
	v_fma_f64 v[220:221], -v[214:215], v[218:219], 1.0
	v_fma_f64 v[218:219], v[218:219], v[220:221], v[218:219]
	v_div_scale_f64 v[220:221], vcc_lo, 1.0, v[212:213], 1.0
	s_delay_alu instid0(VALU_DEP_1) | instskip(NEXT) | instid1(VALU_DEP_1)
	v_mul_f64 v[222:223], v[220:221], v[218:219]
	v_fma_f64 v[214:215], -v[214:215], v[222:223], v[220:221]
	s_delay_alu instid0(VALU_DEP_1) | instskip(NEXT) | instid1(VALU_DEP_1)
	v_div_fmas_f64 v[214:215], v[214:215], v[218:219], v[222:223]
	v_div_fixup_f64 v[218:219], v[214:215], v[212:213], 1.0
                                        ; implicit-def: $vgpr212_vgpr213
	s_delay_alu instid0(VALU_DEP_1)
	v_mul_f64 v[220:221], v[216:217], v[218:219]
	v_xor_b32_e32 v219, 0x80000000, v219
.LBB105_23:
	s_and_not1_saveexec_b32 s3, s3
	s_cbranch_execz .LBB105_25
; %bb.24:
	v_div_scale_f64 v[216:217], null, v[212:213], v[212:213], v[214:215]
	v_div_scale_f64 v[222:223], vcc_lo, v[214:215], v[212:213], v[214:215]
	s_delay_alu instid0(VALU_DEP_2) | instskip(SKIP_2) | instid1(VALU_DEP_1)
	v_rcp_f64_e32 v[218:219], v[216:217]
	s_waitcnt_depctr 0xfff
	v_fma_f64 v[220:221], -v[216:217], v[218:219], 1.0
	v_fma_f64 v[218:219], v[218:219], v[220:221], v[218:219]
	s_delay_alu instid0(VALU_DEP_1) | instskip(NEXT) | instid1(VALU_DEP_1)
	v_fma_f64 v[220:221], -v[216:217], v[218:219], 1.0
	v_fma_f64 v[218:219], v[218:219], v[220:221], v[218:219]
	s_delay_alu instid0(VALU_DEP_1) | instskip(NEXT) | instid1(VALU_DEP_1)
	v_mul_f64 v[220:221], v[222:223], v[218:219]
	v_fma_f64 v[216:217], -v[216:217], v[220:221], v[222:223]
	s_delay_alu instid0(VALU_DEP_1) | instskip(NEXT) | instid1(VALU_DEP_1)
	v_div_fmas_f64 v[216:217], v[216:217], v[218:219], v[220:221]
	v_div_fixup_f64 v[216:217], v[216:217], v[212:213], v[214:215]
	s_delay_alu instid0(VALU_DEP_1) | instskip(NEXT) | instid1(VALU_DEP_1)
	v_fma_f64 v[212:213], v[214:215], v[216:217], v[212:213]
	v_div_scale_f64 v[214:215], null, v[212:213], v[212:213], 1.0
	s_delay_alu instid0(VALU_DEP_1) | instskip(SKIP_2) | instid1(VALU_DEP_1)
	v_rcp_f64_e32 v[218:219], v[214:215]
	s_waitcnt_depctr 0xfff
	v_fma_f64 v[220:221], -v[214:215], v[218:219], 1.0
	v_fma_f64 v[218:219], v[218:219], v[220:221], v[218:219]
	s_delay_alu instid0(VALU_DEP_1) | instskip(NEXT) | instid1(VALU_DEP_1)
	v_fma_f64 v[220:221], -v[214:215], v[218:219], 1.0
	v_fma_f64 v[218:219], v[218:219], v[220:221], v[218:219]
	v_div_scale_f64 v[220:221], vcc_lo, 1.0, v[212:213], 1.0
	s_delay_alu instid0(VALU_DEP_1) | instskip(NEXT) | instid1(VALU_DEP_1)
	v_mul_f64 v[222:223], v[220:221], v[218:219]
	v_fma_f64 v[214:215], -v[214:215], v[222:223], v[220:221]
	s_delay_alu instid0(VALU_DEP_1) | instskip(NEXT) | instid1(VALU_DEP_1)
	v_div_fmas_f64 v[214:215], v[214:215], v[218:219], v[222:223]
	v_div_fixup_f64 v[220:221], v[214:215], v[212:213], 1.0
	s_delay_alu instid0(VALU_DEP_1)
	v_mul_f64 v[218:219], v[216:217], -v[220:221]
.LBB105_25:
	s_or_b32 exec_lo, exec_lo, s3
	ds_store_2addr_b64 v255, v[220:221], v[218:219] offset1:1
.LBB105_26:
	s_or_b32 exec_lo, exec_lo, s4
	s_waitcnt lgkmcnt(0)
	s_barrier
	buffer_gl0_inv
	ds_load_2addr_b64 v[212:215], v255 offset1:1
	s_mov_b32 s3, exec_lo
	s_waitcnt lgkmcnt(0)
	scratch_store_b128 off, v[212:215], off offset:472 ; 16-byte Folded Spill
	v_cmpx_lt_u32_e32 2, v205
	s_cbranch_execz .LBB105_28
; %bb.27:
	scratch_load_b128 v[214:217], off, off offset:472 ; 16-byte Folded Reload
	s_waitcnt vmcnt(0)
	v_mul_f64 v[212:213], v[216:217], v[202:203]
	v_mul_f64 v[202:203], v[214:215], v[202:203]
	s_delay_alu instid0(VALU_DEP_2) | instskip(NEXT) | instid1(VALU_DEP_2)
	v_fma_f64 v[212:213], v[214:215], v[200:201], -v[212:213]
	v_fma_f64 v[202:203], v[216:217], v[200:201], v[202:203]
	ds_load_2addr_b64 v[214:217], v250 offset0:6 offset1:7
	s_waitcnt lgkmcnt(0)
	v_mul_f64 v[200:201], v[216:217], v[202:203]
	s_delay_alu instid0(VALU_DEP_1) | instskip(SKIP_1) | instid1(VALU_DEP_2)
	v_fma_f64 v[200:201], v[214:215], v[212:213], -v[200:201]
	v_mul_f64 v[214:215], v[214:215], v[202:203]
	v_add_f64 v[196:197], v[196:197], -v[200:201]
	s_delay_alu instid0(VALU_DEP_2) | instskip(NEXT) | instid1(VALU_DEP_1)
	v_fma_f64 v[214:215], v[216:217], v[212:213], v[214:215]
	v_add_f64 v[198:199], v[198:199], -v[214:215]
	ds_load_2addr_b64 v[214:217], v250 offset0:8 offset1:9
	s_waitcnt lgkmcnt(0)
	v_mul_f64 v[200:201], v[216:217], v[202:203]
	s_delay_alu instid0(VALU_DEP_1) | instskip(SKIP_1) | instid1(VALU_DEP_2)
	v_fma_f64 v[200:201], v[214:215], v[212:213], -v[200:201]
	v_mul_f64 v[214:215], v[214:215], v[202:203]
	v_add_f64 v[192:193], v[192:193], -v[200:201]
	s_delay_alu instid0(VALU_DEP_2) | instskip(NEXT) | instid1(VALU_DEP_1)
	v_fma_f64 v[214:215], v[216:217], v[212:213], v[214:215]
	v_add_f64 v[194:195], v[194:195], -v[214:215]
	ds_load_2addr_b64 v[214:217], v250 offset0:10 offset1:11
	s_waitcnt lgkmcnt(0)
	v_mul_f64 v[200:201], v[216:217], v[202:203]
	s_delay_alu instid0(VALU_DEP_1) | instskip(SKIP_1) | instid1(VALU_DEP_2)
	v_fma_f64 v[200:201], v[214:215], v[212:213], -v[200:201]
	v_mul_f64 v[214:215], v[214:215], v[202:203]
	v_add_f64 v[188:189], v[188:189], -v[200:201]
	s_delay_alu instid0(VALU_DEP_2) | instskip(NEXT) | instid1(VALU_DEP_1)
	v_fma_f64 v[214:215], v[216:217], v[212:213], v[214:215]
	v_add_f64 v[190:191], v[190:191], -v[214:215]
	ds_load_2addr_b64 v[214:217], v250 offset0:12 offset1:13
	s_waitcnt lgkmcnt(0)
	v_mul_f64 v[200:201], v[216:217], v[202:203]
	s_delay_alu instid0(VALU_DEP_1) | instskip(SKIP_1) | instid1(VALU_DEP_2)
	v_fma_f64 v[200:201], v[214:215], v[212:213], -v[200:201]
	v_mul_f64 v[214:215], v[214:215], v[202:203]
	v_add_f64 v[184:185], v[184:185], -v[200:201]
	s_delay_alu instid0(VALU_DEP_2) | instskip(NEXT) | instid1(VALU_DEP_1)
	v_fma_f64 v[214:215], v[216:217], v[212:213], v[214:215]
	v_add_f64 v[186:187], v[186:187], -v[214:215]
	ds_load_2addr_b64 v[214:217], v250 offset0:14 offset1:15
	s_waitcnt lgkmcnt(0)
	v_mul_f64 v[200:201], v[216:217], v[202:203]
	s_delay_alu instid0(VALU_DEP_1) | instskip(SKIP_1) | instid1(VALU_DEP_2)
	v_fma_f64 v[200:201], v[214:215], v[212:213], -v[200:201]
	v_mul_f64 v[214:215], v[214:215], v[202:203]
	v_add_f64 v[180:181], v[180:181], -v[200:201]
	s_delay_alu instid0(VALU_DEP_2) | instskip(NEXT) | instid1(VALU_DEP_1)
	v_fma_f64 v[214:215], v[216:217], v[212:213], v[214:215]
	v_add_f64 v[182:183], v[182:183], -v[214:215]
	ds_load_2addr_b64 v[214:217], v250 offset0:16 offset1:17
	s_waitcnt lgkmcnt(0)
	v_mul_f64 v[200:201], v[216:217], v[202:203]
	s_delay_alu instid0(VALU_DEP_1) | instskip(SKIP_1) | instid1(VALU_DEP_2)
	v_fma_f64 v[200:201], v[214:215], v[212:213], -v[200:201]
	v_mul_f64 v[214:215], v[214:215], v[202:203]
	v_add_f64 v[176:177], v[176:177], -v[200:201]
	s_delay_alu instid0(VALU_DEP_2) | instskip(NEXT) | instid1(VALU_DEP_1)
	v_fma_f64 v[214:215], v[216:217], v[212:213], v[214:215]
	v_add_f64 v[178:179], v[178:179], -v[214:215]
	ds_load_2addr_b64 v[214:217], v250 offset0:18 offset1:19
	s_waitcnt lgkmcnt(0)
	v_mul_f64 v[200:201], v[216:217], v[202:203]
	s_delay_alu instid0(VALU_DEP_1) | instskip(SKIP_1) | instid1(VALU_DEP_2)
	v_fma_f64 v[200:201], v[214:215], v[212:213], -v[200:201]
	v_mul_f64 v[214:215], v[214:215], v[202:203]
	v_add_f64 v[172:173], v[172:173], -v[200:201]
	s_delay_alu instid0(VALU_DEP_2) | instskip(NEXT) | instid1(VALU_DEP_1)
	v_fma_f64 v[214:215], v[216:217], v[212:213], v[214:215]
	v_add_f64 v[174:175], v[174:175], -v[214:215]
	ds_load_2addr_b64 v[214:217], v250 offset0:20 offset1:21
	s_waitcnt lgkmcnt(0)
	v_mul_f64 v[200:201], v[216:217], v[202:203]
	s_delay_alu instid0(VALU_DEP_1) | instskip(SKIP_1) | instid1(VALU_DEP_2)
	v_fma_f64 v[200:201], v[214:215], v[212:213], -v[200:201]
	v_mul_f64 v[214:215], v[214:215], v[202:203]
	v_add_f64 v[168:169], v[168:169], -v[200:201]
	s_delay_alu instid0(VALU_DEP_2) | instskip(NEXT) | instid1(VALU_DEP_1)
	v_fma_f64 v[214:215], v[216:217], v[212:213], v[214:215]
	v_add_f64 v[170:171], v[170:171], -v[214:215]
	ds_load_2addr_b64 v[214:217], v250 offset0:22 offset1:23
	s_waitcnt lgkmcnt(0)
	v_mul_f64 v[200:201], v[216:217], v[202:203]
	s_delay_alu instid0(VALU_DEP_1) | instskip(SKIP_1) | instid1(VALU_DEP_2)
	v_fma_f64 v[200:201], v[214:215], v[212:213], -v[200:201]
	v_mul_f64 v[214:215], v[214:215], v[202:203]
	v_add_f64 v[164:165], v[164:165], -v[200:201]
	s_delay_alu instid0(VALU_DEP_2) | instskip(NEXT) | instid1(VALU_DEP_1)
	v_fma_f64 v[214:215], v[216:217], v[212:213], v[214:215]
	v_add_f64 v[166:167], v[166:167], -v[214:215]
	ds_load_2addr_b64 v[214:217], v250 offset0:24 offset1:25
	s_waitcnt lgkmcnt(0)
	v_mul_f64 v[200:201], v[216:217], v[202:203]
	s_delay_alu instid0(VALU_DEP_1) | instskip(SKIP_1) | instid1(VALU_DEP_2)
	v_fma_f64 v[200:201], v[214:215], v[212:213], -v[200:201]
	v_mul_f64 v[214:215], v[214:215], v[202:203]
	v_add_f64 v[160:161], v[160:161], -v[200:201]
	s_delay_alu instid0(VALU_DEP_2) | instskip(NEXT) | instid1(VALU_DEP_1)
	v_fma_f64 v[214:215], v[216:217], v[212:213], v[214:215]
	v_add_f64 v[162:163], v[162:163], -v[214:215]
	ds_load_2addr_b64 v[214:217], v250 offset0:26 offset1:27
	s_waitcnt lgkmcnt(0)
	v_mul_f64 v[200:201], v[216:217], v[202:203]
	s_delay_alu instid0(VALU_DEP_1) | instskip(SKIP_1) | instid1(VALU_DEP_2)
	v_fma_f64 v[200:201], v[214:215], v[212:213], -v[200:201]
	v_mul_f64 v[214:215], v[214:215], v[202:203]
	v_add_f64 v[156:157], v[156:157], -v[200:201]
	s_delay_alu instid0(VALU_DEP_2) | instskip(NEXT) | instid1(VALU_DEP_1)
	v_fma_f64 v[214:215], v[216:217], v[212:213], v[214:215]
	v_add_f64 v[158:159], v[158:159], -v[214:215]
	ds_load_2addr_b64 v[214:217], v250 offset0:28 offset1:29
	s_waitcnt lgkmcnt(0)
	v_mul_f64 v[200:201], v[216:217], v[202:203]
	s_delay_alu instid0(VALU_DEP_1) | instskip(SKIP_1) | instid1(VALU_DEP_2)
	v_fma_f64 v[200:201], v[214:215], v[212:213], -v[200:201]
	v_mul_f64 v[214:215], v[214:215], v[202:203]
	v_add_f64 v[152:153], v[152:153], -v[200:201]
	s_delay_alu instid0(VALU_DEP_2) | instskip(NEXT) | instid1(VALU_DEP_1)
	v_fma_f64 v[214:215], v[216:217], v[212:213], v[214:215]
	v_add_f64 v[154:155], v[154:155], -v[214:215]
	ds_load_2addr_b64 v[214:217], v250 offset0:30 offset1:31
	s_waitcnt lgkmcnt(0)
	v_mul_f64 v[200:201], v[216:217], v[202:203]
	s_delay_alu instid0(VALU_DEP_1) | instskip(SKIP_1) | instid1(VALU_DEP_2)
	v_fma_f64 v[200:201], v[214:215], v[212:213], -v[200:201]
	v_mul_f64 v[214:215], v[214:215], v[202:203]
	v_add_f64 v[148:149], v[148:149], -v[200:201]
	s_delay_alu instid0(VALU_DEP_2) | instskip(NEXT) | instid1(VALU_DEP_1)
	v_fma_f64 v[214:215], v[216:217], v[212:213], v[214:215]
	v_add_f64 v[150:151], v[150:151], -v[214:215]
	ds_load_2addr_b64 v[214:217], v250 offset0:32 offset1:33
	s_waitcnt lgkmcnt(0)
	v_mul_f64 v[200:201], v[216:217], v[202:203]
	s_delay_alu instid0(VALU_DEP_1) | instskip(SKIP_1) | instid1(VALU_DEP_2)
	v_fma_f64 v[200:201], v[214:215], v[212:213], -v[200:201]
	v_mul_f64 v[214:215], v[214:215], v[202:203]
	v_add_f64 v[144:145], v[144:145], -v[200:201]
	s_delay_alu instid0(VALU_DEP_2) | instskip(NEXT) | instid1(VALU_DEP_1)
	v_fma_f64 v[214:215], v[216:217], v[212:213], v[214:215]
	v_add_f64 v[146:147], v[146:147], -v[214:215]
	ds_load_2addr_b64 v[214:217], v250 offset0:34 offset1:35
	s_waitcnt lgkmcnt(0)
	v_mul_f64 v[200:201], v[216:217], v[202:203]
	s_delay_alu instid0(VALU_DEP_1) | instskip(SKIP_1) | instid1(VALU_DEP_2)
	v_fma_f64 v[200:201], v[214:215], v[212:213], -v[200:201]
	v_mul_f64 v[214:215], v[214:215], v[202:203]
	v_add_f64 v[140:141], v[140:141], -v[200:201]
	s_delay_alu instid0(VALU_DEP_2) | instskip(NEXT) | instid1(VALU_DEP_1)
	v_fma_f64 v[214:215], v[216:217], v[212:213], v[214:215]
	v_add_f64 v[142:143], v[142:143], -v[214:215]
	ds_load_2addr_b64 v[214:217], v250 offset0:36 offset1:37
	s_waitcnt lgkmcnt(0)
	v_mul_f64 v[200:201], v[216:217], v[202:203]
	s_delay_alu instid0(VALU_DEP_1) | instskip(SKIP_1) | instid1(VALU_DEP_2)
	v_fma_f64 v[200:201], v[214:215], v[212:213], -v[200:201]
	v_mul_f64 v[214:215], v[214:215], v[202:203]
	v_add_f64 v[136:137], v[136:137], -v[200:201]
	s_delay_alu instid0(VALU_DEP_2) | instskip(NEXT) | instid1(VALU_DEP_1)
	v_fma_f64 v[214:215], v[216:217], v[212:213], v[214:215]
	v_add_f64 v[138:139], v[138:139], -v[214:215]
	ds_load_2addr_b64 v[214:217], v250 offset0:38 offset1:39
	s_waitcnt lgkmcnt(0)
	v_mul_f64 v[200:201], v[216:217], v[202:203]
	s_delay_alu instid0(VALU_DEP_1) | instskip(SKIP_1) | instid1(VALU_DEP_2)
	v_fma_f64 v[200:201], v[214:215], v[212:213], -v[200:201]
	v_mul_f64 v[214:215], v[214:215], v[202:203]
	v_add_f64 v[132:133], v[132:133], -v[200:201]
	s_delay_alu instid0(VALU_DEP_2) | instskip(NEXT) | instid1(VALU_DEP_1)
	v_fma_f64 v[214:215], v[216:217], v[212:213], v[214:215]
	v_add_f64 v[134:135], v[134:135], -v[214:215]
	ds_load_2addr_b64 v[214:217], v250 offset0:40 offset1:41
	s_waitcnt lgkmcnt(0)
	v_mul_f64 v[200:201], v[216:217], v[202:203]
	s_delay_alu instid0(VALU_DEP_1) | instskip(SKIP_1) | instid1(VALU_DEP_2)
	v_fma_f64 v[200:201], v[214:215], v[212:213], -v[200:201]
	v_mul_f64 v[214:215], v[214:215], v[202:203]
	v_add_f64 v[128:129], v[128:129], -v[200:201]
	s_delay_alu instid0(VALU_DEP_2) | instskip(NEXT) | instid1(VALU_DEP_1)
	v_fma_f64 v[214:215], v[216:217], v[212:213], v[214:215]
	v_add_f64 v[130:131], v[130:131], -v[214:215]
	ds_load_2addr_b64 v[214:217], v250 offset0:42 offset1:43
	s_waitcnt lgkmcnt(0)
	v_mul_f64 v[200:201], v[216:217], v[202:203]
	s_delay_alu instid0(VALU_DEP_1) | instskip(SKIP_1) | instid1(VALU_DEP_2)
	v_fma_f64 v[200:201], v[214:215], v[212:213], -v[200:201]
	v_mul_f64 v[214:215], v[214:215], v[202:203]
	v_add_f64 v[124:125], v[124:125], -v[200:201]
	s_delay_alu instid0(VALU_DEP_2) | instskip(NEXT) | instid1(VALU_DEP_1)
	v_fma_f64 v[214:215], v[216:217], v[212:213], v[214:215]
	v_add_f64 v[126:127], v[126:127], -v[214:215]
	ds_load_2addr_b64 v[214:217], v250 offset0:44 offset1:45
	s_waitcnt lgkmcnt(0)
	v_mul_f64 v[200:201], v[216:217], v[202:203]
	s_delay_alu instid0(VALU_DEP_1) | instskip(SKIP_1) | instid1(VALU_DEP_2)
	v_fma_f64 v[200:201], v[214:215], v[212:213], -v[200:201]
	v_mul_f64 v[214:215], v[214:215], v[202:203]
	v_add_f64 v[120:121], v[120:121], -v[200:201]
	s_delay_alu instid0(VALU_DEP_2) | instskip(NEXT) | instid1(VALU_DEP_1)
	v_fma_f64 v[214:215], v[216:217], v[212:213], v[214:215]
	v_add_f64 v[122:123], v[122:123], -v[214:215]
	ds_load_2addr_b64 v[214:217], v250 offset0:46 offset1:47
	s_waitcnt lgkmcnt(0)
	v_mul_f64 v[200:201], v[216:217], v[202:203]
	s_delay_alu instid0(VALU_DEP_1) | instskip(SKIP_1) | instid1(VALU_DEP_2)
	v_fma_f64 v[200:201], v[214:215], v[212:213], -v[200:201]
	v_mul_f64 v[214:215], v[214:215], v[202:203]
	v_add_f64 v[116:117], v[116:117], -v[200:201]
	s_delay_alu instid0(VALU_DEP_2) | instskip(NEXT) | instid1(VALU_DEP_1)
	v_fma_f64 v[214:215], v[216:217], v[212:213], v[214:215]
	v_add_f64 v[118:119], v[118:119], -v[214:215]
	ds_load_2addr_b64 v[214:217], v250 offset0:48 offset1:49
	s_waitcnt lgkmcnt(0)
	v_mul_f64 v[200:201], v[216:217], v[202:203]
	s_delay_alu instid0(VALU_DEP_1) | instskip(SKIP_1) | instid1(VALU_DEP_2)
	v_fma_f64 v[200:201], v[214:215], v[212:213], -v[200:201]
	v_mul_f64 v[214:215], v[214:215], v[202:203]
	v_add_f64 v[112:113], v[112:113], -v[200:201]
	s_delay_alu instid0(VALU_DEP_2) | instskip(NEXT) | instid1(VALU_DEP_1)
	v_fma_f64 v[214:215], v[216:217], v[212:213], v[214:215]
	v_add_f64 v[114:115], v[114:115], -v[214:215]
	ds_load_2addr_b64 v[214:217], v250 offset0:50 offset1:51
	s_waitcnt lgkmcnt(0)
	v_mul_f64 v[200:201], v[216:217], v[202:203]
	s_delay_alu instid0(VALU_DEP_1) | instskip(SKIP_1) | instid1(VALU_DEP_2)
	v_fma_f64 v[200:201], v[214:215], v[212:213], -v[200:201]
	v_mul_f64 v[214:215], v[214:215], v[202:203]
	v_add_f64 v[108:109], v[108:109], -v[200:201]
	s_delay_alu instid0(VALU_DEP_2) | instskip(NEXT) | instid1(VALU_DEP_1)
	v_fma_f64 v[214:215], v[216:217], v[212:213], v[214:215]
	v_add_f64 v[110:111], v[110:111], -v[214:215]
	ds_load_2addr_b64 v[214:217], v250 offset0:52 offset1:53
	s_waitcnt lgkmcnt(0)
	v_mul_f64 v[200:201], v[216:217], v[202:203]
	s_delay_alu instid0(VALU_DEP_1) | instskip(SKIP_1) | instid1(VALU_DEP_2)
	v_fma_f64 v[200:201], v[214:215], v[212:213], -v[200:201]
	v_mul_f64 v[214:215], v[214:215], v[202:203]
	v_add_f64 v[104:105], v[104:105], -v[200:201]
	s_delay_alu instid0(VALU_DEP_2) | instskip(NEXT) | instid1(VALU_DEP_1)
	v_fma_f64 v[214:215], v[216:217], v[212:213], v[214:215]
	v_add_f64 v[106:107], v[106:107], -v[214:215]
	ds_load_2addr_b64 v[214:217], v250 offset0:54 offset1:55
	s_waitcnt lgkmcnt(0)
	v_mul_f64 v[200:201], v[216:217], v[202:203]
	s_delay_alu instid0(VALU_DEP_1) | instskip(SKIP_1) | instid1(VALU_DEP_2)
	v_fma_f64 v[200:201], v[214:215], v[212:213], -v[200:201]
	v_mul_f64 v[214:215], v[214:215], v[202:203]
	v_add_f64 v[100:101], v[100:101], -v[200:201]
	s_delay_alu instid0(VALU_DEP_2) | instskip(NEXT) | instid1(VALU_DEP_1)
	v_fma_f64 v[214:215], v[216:217], v[212:213], v[214:215]
	v_add_f64 v[102:103], v[102:103], -v[214:215]
	ds_load_2addr_b64 v[214:217], v250 offset0:56 offset1:57
	s_waitcnt lgkmcnt(0)
	v_mul_f64 v[200:201], v[216:217], v[202:203]
	s_delay_alu instid0(VALU_DEP_1) | instskip(SKIP_1) | instid1(VALU_DEP_2)
	v_fma_f64 v[200:201], v[214:215], v[212:213], -v[200:201]
	v_mul_f64 v[214:215], v[214:215], v[202:203]
	v_add_f64 v[96:97], v[96:97], -v[200:201]
	s_delay_alu instid0(VALU_DEP_2) | instskip(NEXT) | instid1(VALU_DEP_1)
	v_fma_f64 v[214:215], v[216:217], v[212:213], v[214:215]
	v_add_f64 v[98:99], v[98:99], -v[214:215]
	ds_load_2addr_b64 v[214:217], v250 offset0:58 offset1:59
	s_waitcnt lgkmcnt(0)
	v_mul_f64 v[200:201], v[216:217], v[202:203]
	s_delay_alu instid0(VALU_DEP_1) | instskip(SKIP_1) | instid1(VALU_DEP_2)
	v_fma_f64 v[200:201], v[214:215], v[212:213], -v[200:201]
	v_mul_f64 v[214:215], v[214:215], v[202:203]
	v_add_f64 v[92:93], v[92:93], -v[200:201]
	s_delay_alu instid0(VALU_DEP_2) | instskip(NEXT) | instid1(VALU_DEP_1)
	v_fma_f64 v[214:215], v[216:217], v[212:213], v[214:215]
	v_add_f64 v[94:95], v[94:95], -v[214:215]
	ds_load_2addr_b64 v[214:217], v250 offset0:60 offset1:61
	s_waitcnt lgkmcnt(0)
	v_mul_f64 v[200:201], v[216:217], v[202:203]
	s_delay_alu instid0(VALU_DEP_1) | instskip(SKIP_1) | instid1(VALU_DEP_2)
	v_fma_f64 v[200:201], v[214:215], v[212:213], -v[200:201]
	v_mul_f64 v[214:215], v[214:215], v[202:203]
	v_add_f64 v[88:89], v[88:89], -v[200:201]
	s_delay_alu instid0(VALU_DEP_2) | instskip(NEXT) | instid1(VALU_DEP_1)
	v_fma_f64 v[214:215], v[216:217], v[212:213], v[214:215]
	v_add_f64 v[90:91], v[90:91], -v[214:215]
	ds_load_2addr_b64 v[214:217], v250 offset0:62 offset1:63
	s_waitcnt lgkmcnt(0)
	v_mul_f64 v[200:201], v[216:217], v[202:203]
	s_delay_alu instid0(VALU_DEP_1) | instskip(SKIP_1) | instid1(VALU_DEP_2)
	v_fma_f64 v[200:201], v[214:215], v[212:213], -v[200:201]
	v_mul_f64 v[214:215], v[214:215], v[202:203]
	v_add_f64 v[84:85], v[84:85], -v[200:201]
	s_delay_alu instid0(VALU_DEP_2) | instskip(NEXT) | instid1(VALU_DEP_1)
	v_fma_f64 v[214:215], v[216:217], v[212:213], v[214:215]
	v_add_f64 v[86:87], v[86:87], -v[214:215]
	ds_load_2addr_b64 v[214:217], v250 offset0:64 offset1:65
	s_waitcnt lgkmcnt(0)
	v_mul_f64 v[200:201], v[216:217], v[202:203]
	s_delay_alu instid0(VALU_DEP_1) | instskip(SKIP_1) | instid1(VALU_DEP_2)
	v_fma_f64 v[200:201], v[214:215], v[212:213], -v[200:201]
	v_mul_f64 v[214:215], v[214:215], v[202:203]
	v_add_f64 v[80:81], v[80:81], -v[200:201]
	s_delay_alu instid0(VALU_DEP_2) | instskip(NEXT) | instid1(VALU_DEP_1)
	v_fma_f64 v[214:215], v[216:217], v[212:213], v[214:215]
	v_add_f64 v[82:83], v[82:83], -v[214:215]
	ds_load_2addr_b64 v[214:217], v250 offset0:66 offset1:67
	s_waitcnt lgkmcnt(0)
	v_mul_f64 v[200:201], v[216:217], v[202:203]
	s_delay_alu instid0(VALU_DEP_1) | instskip(SKIP_1) | instid1(VALU_DEP_2)
	v_fma_f64 v[200:201], v[214:215], v[212:213], -v[200:201]
	v_mul_f64 v[214:215], v[214:215], v[202:203]
	v_add_f64 v[76:77], v[76:77], -v[200:201]
	s_delay_alu instid0(VALU_DEP_2) | instskip(NEXT) | instid1(VALU_DEP_1)
	v_fma_f64 v[214:215], v[216:217], v[212:213], v[214:215]
	v_add_f64 v[78:79], v[78:79], -v[214:215]
	ds_load_2addr_b64 v[214:217], v250 offset0:68 offset1:69
	s_waitcnt lgkmcnt(0)
	v_mul_f64 v[200:201], v[216:217], v[202:203]
	s_delay_alu instid0(VALU_DEP_1) | instskip(SKIP_1) | instid1(VALU_DEP_2)
	v_fma_f64 v[200:201], v[214:215], v[212:213], -v[200:201]
	v_mul_f64 v[214:215], v[214:215], v[202:203]
	v_add_f64 v[72:73], v[72:73], -v[200:201]
	s_delay_alu instid0(VALU_DEP_2) | instskip(NEXT) | instid1(VALU_DEP_1)
	v_fma_f64 v[214:215], v[216:217], v[212:213], v[214:215]
	v_add_f64 v[74:75], v[74:75], -v[214:215]
	ds_load_2addr_b64 v[214:217], v250 offset0:70 offset1:71
	s_waitcnt lgkmcnt(0)
	v_mul_f64 v[200:201], v[216:217], v[202:203]
	s_delay_alu instid0(VALU_DEP_1) | instskip(SKIP_1) | instid1(VALU_DEP_2)
	v_fma_f64 v[200:201], v[214:215], v[212:213], -v[200:201]
	v_mul_f64 v[214:215], v[214:215], v[202:203]
	v_add_f64 v[68:69], v[68:69], -v[200:201]
	s_delay_alu instid0(VALU_DEP_2) | instskip(NEXT) | instid1(VALU_DEP_1)
	v_fma_f64 v[214:215], v[216:217], v[212:213], v[214:215]
	v_add_f64 v[70:71], v[70:71], -v[214:215]
	ds_load_2addr_b64 v[214:217], v250 offset0:72 offset1:73
	s_waitcnt lgkmcnt(0)
	v_mul_f64 v[200:201], v[216:217], v[202:203]
	s_delay_alu instid0(VALU_DEP_1) | instskip(SKIP_1) | instid1(VALU_DEP_2)
	v_fma_f64 v[200:201], v[214:215], v[212:213], -v[200:201]
	v_mul_f64 v[214:215], v[214:215], v[202:203]
	v_add_f64 v[64:65], v[64:65], -v[200:201]
	s_delay_alu instid0(VALU_DEP_2) | instskip(NEXT) | instid1(VALU_DEP_1)
	v_fma_f64 v[214:215], v[216:217], v[212:213], v[214:215]
	v_add_f64 v[66:67], v[66:67], -v[214:215]
	ds_load_2addr_b64 v[214:217], v250 offset0:74 offset1:75
	s_waitcnt lgkmcnt(0)
	v_mul_f64 v[200:201], v[216:217], v[202:203]
	s_delay_alu instid0(VALU_DEP_1) | instskip(SKIP_1) | instid1(VALU_DEP_2)
	v_fma_f64 v[200:201], v[214:215], v[212:213], -v[200:201]
	v_mul_f64 v[214:215], v[214:215], v[202:203]
	v_add_f64 v[60:61], v[60:61], -v[200:201]
	s_delay_alu instid0(VALU_DEP_2) | instskip(NEXT) | instid1(VALU_DEP_1)
	v_fma_f64 v[214:215], v[216:217], v[212:213], v[214:215]
	v_add_f64 v[62:63], v[62:63], -v[214:215]
	ds_load_2addr_b64 v[214:217], v250 offset0:76 offset1:77
	s_waitcnt lgkmcnt(0)
	v_mul_f64 v[200:201], v[216:217], v[202:203]
	s_delay_alu instid0(VALU_DEP_1) | instskip(SKIP_1) | instid1(VALU_DEP_2)
	v_fma_f64 v[200:201], v[214:215], v[212:213], -v[200:201]
	v_mul_f64 v[214:215], v[214:215], v[202:203]
	v_add_f64 v[56:57], v[56:57], -v[200:201]
	s_delay_alu instid0(VALU_DEP_2) | instskip(NEXT) | instid1(VALU_DEP_1)
	v_fma_f64 v[214:215], v[216:217], v[212:213], v[214:215]
	v_add_f64 v[58:59], v[58:59], -v[214:215]
	ds_load_2addr_b64 v[214:217], v250 offset0:78 offset1:79
	s_waitcnt lgkmcnt(0)
	v_mul_f64 v[200:201], v[216:217], v[202:203]
	s_delay_alu instid0(VALU_DEP_1) | instskip(SKIP_1) | instid1(VALU_DEP_2)
	v_fma_f64 v[200:201], v[214:215], v[212:213], -v[200:201]
	v_mul_f64 v[214:215], v[214:215], v[202:203]
	v_add_f64 v[52:53], v[52:53], -v[200:201]
	s_delay_alu instid0(VALU_DEP_2) | instskip(NEXT) | instid1(VALU_DEP_1)
	v_fma_f64 v[214:215], v[216:217], v[212:213], v[214:215]
	v_add_f64 v[54:55], v[54:55], -v[214:215]
	ds_load_2addr_b64 v[214:217], v250 offset0:80 offset1:81
	s_waitcnt lgkmcnt(0)
	v_mul_f64 v[200:201], v[216:217], v[202:203]
	s_delay_alu instid0(VALU_DEP_1) | instskip(SKIP_1) | instid1(VALU_DEP_2)
	v_fma_f64 v[200:201], v[214:215], v[212:213], -v[200:201]
	v_mul_f64 v[214:215], v[214:215], v[202:203]
	v_add_f64 v[48:49], v[48:49], -v[200:201]
	s_delay_alu instid0(VALU_DEP_2) | instskip(NEXT) | instid1(VALU_DEP_1)
	v_fma_f64 v[214:215], v[216:217], v[212:213], v[214:215]
	v_add_f64 v[50:51], v[50:51], -v[214:215]
	ds_load_2addr_b64 v[214:217], v250 offset0:82 offset1:83
	s_waitcnt lgkmcnt(0)
	v_mul_f64 v[200:201], v[216:217], v[202:203]
	s_delay_alu instid0(VALU_DEP_1) | instskip(SKIP_1) | instid1(VALU_DEP_2)
	v_fma_f64 v[200:201], v[214:215], v[212:213], -v[200:201]
	v_mul_f64 v[214:215], v[214:215], v[202:203]
	v_add_f64 v[44:45], v[44:45], -v[200:201]
	s_delay_alu instid0(VALU_DEP_2) | instskip(NEXT) | instid1(VALU_DEP_1)
	v_fma_f64 v[214:215], v[216:217], v[212:213], v[214:215]
	v_add_f64 v[46:47], v[46:47], -v[214:215]
	ds_load_2addr_b64 v[214:217], v250 offset0:84 offset1:85
	s_waitcnt lgkmcnt(0)
	v_mul_f64 v[200:201], v[216:217], v[202:203]
	s_delay_alu instid0(VALU_DEP_1) | instskip(SKIP_1) | instid1(VALU_DEP_2)
	v_fma_f64 v[200:201], v[214:215], v[212:213], -v[200:201]
	v_mul_f64 v[214:215], v[214:215], v[202:203]
	v_add_f64 v[40:41], v[40:41], -v[200:201]
	s_delay_alu instid0(VALU_DEP_2) | instskip(NEXT) | instid1(VALU_DEP_1)
	v_fma_f64 v[214:215], v[216:217], v[212:213], v[214:215]
	v_add_f64 v[42:43], v[42:43], -v[214:215]
	ds_load_2addr_b64 v[214:217], v250 offset0:86 offset1:87
	s_waitcnt lgkmcnt(0)
	v_mul_f64 v[200:201], v[216:217], v[202:203]
	s_delay_alu instid0(VALU_DEP_1) | instskip(SKIP_1) | instid1(VALU_DEP_2)
	v_fma_f64 v[200:201], v[214:215], v[212:213], -v[200:201]
	v_mul_f64 v[214:215], v[214:215], v[202:203]
	v_add_f64 v[36:37], v[36:37], -v[200:201]
	s_delay_alu instid0(VALU_DEP_2) | instskip(NEXT) | instid1(VALU_DEP_1)
	v_fma_f64 v[214:215], v[216:217], v[212:213], v[214:215]
	v_add_f64 v[38:39], v[38:39], -v[214:215]
	ds_load_2addr_b64 v[214:217], v250 offset0:88 offset1:89
	s_waitcnt lgkmcnt(0)
	v_mul_f64 v[200:201], v[216:217], v[202:203]
	s_delay_alu instid0(VALU_DEP_1) | instskip(SKIP_1) | instid1(VALU_DEP_2)
	v_fma_f64 v[200:201], v[214:215], v[212:213], -v[200:201]
	v_mul_f64 v[214:215], v[214:215], v[202:203]
	v_add_f64 v[32:33], v[32:33], -v[200:201]
	s_delay_alu instid0(VALU_DEP_2) | instskip(NEXT) | instid1(VALU_DEP_1)
	v_fma_f64 v[214:215], v[216:217], v[212:213], v[214:215]
	v_add_f64 v[34:35], v[34:35], -v[214:215]
	ds_load_2addr_b64 v[214:217], v250 offset0:90 offset1:91
	s_waitcnt lgkmcnt(0)
	v_mul_f64 v[200:201], v[216:217], v[202:203]
	s_delay_alu instid0(VALU_DEP_1) | instskip(SKIP_1) | instid1(VALU_DEP_2)
	v_fma_f64 v[200:201], v[214:215], v[212:213], -v[200:201]
	v_mul_f64 v[214:215], v[214:215], v[202:203]
	v_add_f64 v[28:29], v[28:29], -v[200:201]
	s_delay_alu instid0(VALU_DEP_2) | instskip(NEXT) | instid1(VALU_DEP_1)
	v_fma_f64 v[214:215], v[216:217], v[212:213], v[214:215]
	v_add_f64 v[30:31], v[30:31], -v[214:215]
	ds_load_2addr_b64 v[214:217], v250 offset0:92 offset1:93
	s_waitcnt lgkmcnt(0)
	v_mul_f64 v[200:201], v[216:217], v[202:203]
	s_delay_alu instid0(VALU_DEP_1) | instskip(SKIP_1) | instid1(VALU_DEP_2)
	v_fma_f64 v[200:201], v[214:215], v[212:213], -v[200:201]
	v_mul_f64 v[214:215], v[214:215], v[202:203]
	v_add_f64 v[24:25], v[24:25], -v[200:201]
	s_delay_alu instid0(VALU_DEP_2) | instskip(NEXT) | instid1(VALU_DEP_1)
	v_fma_f64 v[214:215], v[216:217], v[212:213], v[214:215]
	v_add_f64 v[26:27], v[26:27], -v[214:215]
	ds_load_2addr_b64 v[214:217], v250 offset0:94 offset1:95
	s_waitcnt lgkmcnt(0)
	v_mul_f64 v[200:201], v[216:217], v[202:203]
	s_delay_alu instid0(VALU_DEP_1) | instskip(SKIP_1) | instid1(VALU_DEP_2)
	v_fma_f64 v[200:201], v[214:215], v[212:213], -v[200:201]
	v_mul_f64 v[214:215], v[214:215], v[202:203]
	v_add_f64 v[20:21], v[20:21], -v[200:201]
	s_delay_alu instid0(VALU_DEP_2) | instskip(NEXT) | instid1(VALU_DEP_1)
	v_fma_f64 v[214:215], v[216:217], v[212:213], v[214:215]
	v_add_f64 v[22:23], v[22:23], -v[214:215]
	ds_load_2addr_b64 v[214:217], v250 offset0:96 offset1:97
	s_waitcnt lgkmcnt(0)
	v_mul_f64 v[200:201], v[216:217], v[202:203]
	s_delay_alu instid0(VALU_DEP_1) | instskip(SKIP_1) | instid1(VALU_DEP_2)
	v_fma_f64 v[200:201], v[214:215], v[212:213], -v[200:201]
	v_mul_f64 v[214:215], v[214:215], v[202:203]
	v_add_f64 v[16:17], v[16:17], -v[200:201]
	s_delay_alu instid0(VALU_DEP_2) | instskip(NEXT) | instid1(VALU_DEP_1)
	v_fma_f64 v[214:215], v[216:217], v[212:213], v[214:215]
	v_add_f64 v[18:19], v[18:19], -v[214:215]
	ds_load_2addr_b64 v[214:217], v250 offset0:98 offset1:99
	s_waitcnt lgkmcnt(0)
	v_mul_f64 v[200:201], v[216:217], v[202:203]
	s_delay_alu instid0(VALU_DEP_1) | instskip(SKIP_1) | instid1(VALU_DEP_2)
	v_fma_f64 v[200:201], v[214:215], v[212:213], -v[200:201]
	v_mul_f64 v[214:215], v[214:215], v[202:203]
	v_add_f64 v[12:13], v[12:13], -v[200:201]
	s_delay_alu instid0(VALU_DEP_2) | instskip(NEXT) | instid1(VALU_DEP_1)
	v_fma_f64 v[214:215], v[216:217], v[212:213], v[214:215]
	v_add_f64 v[14:15], v[14:15], -v[214:215]
	ds_load_2addr_b64 v[214:217], v250 offset0:100 offset1:101
	s_waitcnt lgkmcnt(0)
	v_mul_f64 v[200:201], v[216:217], v[202:203]
	s_delay_alu instid0(VALU_DEP_1) | instskip(SKIP_1) | instid1(VALU_DEP_2)
	v_fma_f64 v[200:201], v[214:215], v[212:213], -v[200:201]
	v_mul_f64 v[214:215], v[214:215], v[202:203]
	v_add_f64 v[8:9], v[8:9], -v[200:201]
	s_delay_alu instid0(VALU_DEP_2) | instskip(NEXT) | instid1(VALU_DEP_1)
	v_fma_f64 v[214:215], v[216:217], v[212:213], v[214:215]
	v_add_f64 v[10:11], v[10:11], -v[214:215]
	ds_load_2addr_b64 v[214:217], v250 offset0:102 offset1:103
	s_waitcnt lgkmcnt(0)
	v_mul_f64 v[200:201], v[216:217], v[202:203]
	s_delay_alu instid0(VALU_DEP_1) | instskip(SKIP_1) | instid1(VALU_DEP_2)
	v_fma_f64 v[200:201], v[214:215], v[212:213], -v[200:201]
	v_mul_f64 v[214:215], v[214:215], v[202:203]
	v_add_f64 v[4:5], v[4:5], -v[200:201]
	s_delay_alu instid0(VALU_DEP_2) | instskip(NEXT) | instid1(VALU_DEP_1)
	v_fma_f64 v[214:215], v[216:217], v[212:213], v[214:215]
	v_add_f64 v[6:7], v[6:7], -v[214:215]
	ds_load_2addr_b64 v[214:217], v250 offset0:104 offset1:105
	s_waitcnt lgkmcnt(0)
	v_mul_f64 v[200:201], v[216:217], v[202:203]
	s_delay_alu instid0(VALU_DEP_1) | instskip(SKIP_1) | instid1(VALU_DEP_2)
	v_fma_f64 v[200:201], v[214:215], v[212:213], -v[200:201]
	v_mul_f64 v[214:215], v[214:215], v[202:203]
	v_add_f64 v[0:1], v[0:1], -v[200:201]
	s_delay_alu instid0(VALU_DEP_2) | instskip(SKIP_1) | instid1(VALU_DEP_2)
	v_fma_f64 v[214:215], v[216:217], v[212:213], v[214:215]
	v_dual_mov_b32 v200, v212 :: v_dual_mov_b32 v201, v213
	v_add_f64 v[2:3], v[2:3], -v[214:215]
.LBB105_28:
	s_or_b32 exec_lo, exec_lo, s3
	s_delay_alu instid0(SALU_CYCLE_1)
	s_mov_b32 s4, exec_lo
	s_waitcnt_vscnt null, 0x0
	s_barrier
	buffer_gl0_inv
	v_cmpx_eq_u32_e32 3, v205
	s_cbranch_execz .LBB105_35
; %bb.29:
	ds_store_2addr_b64 v255, v[196:197], v[198:199] offset1:1
	ds_store_2addr_b64 v250, v[192:193], v[194:195] offset0:8 offset1:9
	ds_store_2addr_b64 v250, v[188:189], v[190:191] offset0:10 offset1:11
	;; [unrolled: 1-line block ×49, first 2 shown]
	ds_load_2addr_b64 v[212:215], v255 offset1:1
	s_waitcnt lgkmcnt(0)
	v_cmp_neq_f64_e32 vcc_lo, 0, v[212:213]
	v_cmp_neq_f64_e64 s3, 0, v[214:215]
	s_delay_alu instid0(VALU_DEP_1) | instskip(NEXT) | instid1(SALU_CYCLE_1)
	s_or_b32 s3, vcc_lo, s3
	s_and_b32 exec_lo, exec_lo, s3
	s_cbranch_execz .LBB105_35
; %bb.30:
	v_cmp_gt_f64_e32 vcc_lo, 0, v[212:213]
	v_xor_b32_e32 v204, 0x80000000, v213
	s_mov_b32 s3, exec_lo
                                        ; implicit-def: $vgpr220_vgpr221
	s_delay_alu instid0(VALU_DEP_1) | instskip(SKIP_3) | instid1(VALU_DEP_1)
	v_cndmask_b32_e32 v217, v213, v204, vcc_lo
	v_cndmask_b32_e32 v216, v212, v212, vcc_lo
	v_cmp_gt_f64_e32 vcc_lo, 0, v[214:215]
	v_xor_b32_e32 v204, 0x80000000, v215
	v_dual_cndmask_b32 v218, v214, v214 :: v_dual_cndmask_b32 v219, v215, v204
	s_delay_alu instid0(VALU_DEP_1)
	v_cmpx_ngt_f64_e32 v[216:217], v[218:219]
	s_xor_b32 s3, exec_lo, s3
                                        ; implicit-def: $vgpr216_vgpr217_vgpr218_vgpr219
	s_cbranch_execz .LBB105_32
; %bb.31:
	v_div_scale_f64 v[216:217], null, v[214:215], v[214:215], v[212:213]
	v_div_scale_f64 v[222:223], vcc_lo, v[212:213], v[214:215], v[212:213]
	s_delay_alu instid0(VALU_DEP_2) | instskip(SKIP_2) | instid1(VALU_DEP_1)
	v_rcp_f64_e32 v[218:219], v[216:217]
	s_waitcnt_depctr 0xfff
	v_fma_f64 v[220:221], -v[216:217], v[218:219], 1.0
	v_fma_f64 v[218:219], v[218:219], v[220:221], v[218:219]
	s_delay_alu instid0(VALU_DEP_1) | instskip(NEXT) | instid1(VALU_DEP_1)
	v_fma_f64 v[220:221], -v[216:217], v[218:219], 1.0
	v_fma_f64 v[218:219], v[218:219], v[220:221], v[218:219]
	s_delay_alu instid0(VALU_DEP_1) | instskip(NEXT) | instid1(VALU_DEP_1)
	v_mul_f64 v[220:221], v[222:223], v[218:219]
	v_fma_f64 v[216:217], -v[216:217], v[220:221], v[222:223]
	s_delay_alu instid0(VALU_DEP_1) | instskip(NEXT) | instid1(VALU_DEP_1)
	v_div_fmas_f64 v[216:217], v[216:217], v[218:219], v[220:221]
	v_div_fixup_f64 v[216:217], v[216:217], v[214:215], v[212:213]
	s_delay_alu instid0(VALU_DEP_1) | instskip(NEXT) | instid1(VALU_DEP_1)
	v_fma_f64 v[212:213], v[212:213], v[216:217], v[214:215]
	v_div_scale_f64 v[214:215], null, v[212:213], v[212:213], 1.0
	s_delay_alu instid0(VALU_DEP_1) | instskip(SKIP_2) | instid1(VALU_DEP_1)
	v_rcp_f64_e32 v[218:219], v[214:215]
	s_waitcnt_depctr 0xfff
	v_fma_f64 v[220:221], -v[214:215], v[218:219], 1.0
	v_fma_f64 v[218:219], v[218:219], v[220:221], v[218:219]
	s_delay_alu instid0(VALU_DEP_1) | instskip(NEXT) | instid1(VALU_DEP_1)
	v_fma_f64 v[220:221], -v[214:215], v[218:219], 1.0
	v_fma_f64 v[218:219], v[218:219], v[220:221], v[218:219]
	v_div_scale_f64 v[220:221], vcc_lo, 1.0, v[212:213], 1.0
	s_delay_alu instid0(VALU_DEP_1) | instskip(NEXT) | instid1(VALU_DEP_1)
	v_mul_f64 v[222:223], v[220:221], v[218:219]
	v_fma_f64 v[214:215], -v[214:215], v[222:223], v[220:221]
	s_delay_alu instid0(VALU_DEP_1) | instskip(NEXT) | instid1(VALU_DEP_1)
	v_div_fmas_f64 v[214:215], v[214:215], v[218:219], v[222:223]
	v_div_fixup_f64 v[218:219], v[214:215], v[212:213], 1.0
                                        ; implicit-def: $vgpr212_vgpr213
	s_delay_alu instid0(VALU_DEP_1)
	v_mul_f64 v[220:221], v[216:217], v[218:219]
	v_xor_b32_e32 v219, 0x80000000, v219
.LBB105_32:
	s_and_not1_saveexec_b32 s3, s3
	s_cbranch_execz .LBB105_34
; %bb.33:
	v_div_scale_f64 v[216:217], null, v[212:213], v[212:213], v[214:215]
	v_div_scale_f64 v[222:223], vcc_lo, v[214:215], v[212:213], v[214:215]
	s_delay_alu instid0(VALU_DEP_2) | instskip(SKIP_2) | instid1(VALU_DEP_1)
	v_rcp_f64_e32 v[218:219], v[216:217]
	s_waitcnt_depctr 0xfff
	v_fma_f64 v[220:221], -v[216:217], v[218:219], 1.0
	v_fma_f64 v[218:219], v[218:219], v[220:221], v[218:219]
	s_delay_alu instid0(VALU_DEP_1) | instskip(NEXT) | instid1(VALU_DEP_1)
	v_fma_f64 v[220:221], -v[216:217], v[218:219], 1.0
	v_fma_f64 v[218:219], v[218:219], v[220:221], v[218:219]
	s_delay_alu instid0(VALU_DEP_1) | instskip(NEXT) | instid1(VALU_DEP_1)
	v_mul_f64 v[220:221], v[222:223], v[218:219]
	v_fma_f64 v[216:217], -v[216:217], v[220:221], v[222:223]
	s_delay_alu instid0(VALU_DEP_1) | instskip(NEXT) | instid1(VALU_DEP_1)
	v_div_fmas_f64 v[216:217], v[216:217], v[218:219], v[220:221]
	v_div_fixup_f64 v[216:217], v[216:217], v[212:213], v[214:215]
	s_delay_alu instid0(VALU_DEP_1) | instskip(NEXT) | instid1(VALU_DEP_1)
	v_fma_f64 v[212:213], v[214:215], v[216:217], v[212:213]
	v_div_scale_f64 v[214:215], null, v[212:213], v[212:213], 1.0
	s_delay_alu instid0(VALU_DEP_1) | instskip(SKIP_2) | instid1(VALU_DEP_1)
	v_rcp_f64_e32 v[218:219], v[214:215]
	s_waitcnt_depctr 0xfff
	v_fma_f64 v[220:221], -v[214:215], v[218:219], 1.0
	v_fma_f64 v[218:219], v[218:219], v[220:221], v[218:219]
	s_delay_alu instid0(VALU_DEP_1) | instskip(NEXT) | instid1(VALU_DEP_1)
	v_fma_f64 v[220:221], -v[214:215], v[218:219], 1.0
	v_fma_f64 v[218:219], v[218:219], v[220:221], v[218:219]
	v_div_scale_f64 v[220:221], vcc_lo, 1.0, v[212:213], 1.0
	s_delay_alu instid0(VALU_DEP_1) | instskip(NEXT) | instid1(VALU_DEP_1)
	v_mul_f64 v[222:223], v[220:221], v[218:219]
	v_fma_f64 v[214:215], -v[214:215], v[222:223], v[220:221]
	s_delay_alu instid0(VALU_DEP_1) | instskip(NEXT) | instid1(VALU_DEP_1)
	v_div_fmas_f64 v[214:215], v[214:215], v[218:219], v[222:223]
	v_div_fixup_f64 v[220:221], v[214:215], v[212:213], 1.0
	s_delay_alu instid0(VALU_DEP_1)
	v_mul_f64 v[218:219], v[216:217], -v[220:221]
.LBB105_34:
	s_or_b32 exec_lo, exec_lo, s3
	ds_store_2addr_b64 v255, v[220:221], v[218:219] offset1:1
.LBB105_35:
	s_or_b32 exec_lo, exec_lo, s4
	s_waitcnt lgkmcnt(0)
	s_barrier
	buffer_gl0_inv
	ds_load_2addr_b64 v[212:215], v255 offset1:1
	s_mov_b32 s3, exec_lo
	s_waitcnt lgkmcnt(0)
	scratch_store_b128 off, v[212:215], off offset:488 ; 16-byte Folded Spill
	v_cmpx_lt_u32_e32 3, v205
	s_cbranch_execz .LBB105_37
; %bb.36:
	scratch_load_b128 v[214:217], off, off offset:488 ; 16-byte Folded Reload
	s_waitcnt vmcnt(0)
	v_mul_f64 v[212:213], v[216:217], v[198:199]
	v_mul_f64 v[198:199], v[214:215], v[198:199]
	s_delay_alu instid0(VALU_DEP_2) | instskip(NEXT) | instid1(VALU_DEP_2)
	v_fma_f64 v[212:213], v[214:215], v[196:197], -v[212:213]
	v_fma_f64 v[198:199], v[216:217], v[196:197], v[198:199]
	ds_load_2addr_b64 v[214:217], v250 offset0:8 offset1:9
	s_waitcnt lgkmcnt(0)
	v_mul_f64 v[196:197], v[216:217], v[198:199]
	s_delay_alu instid0(VALU_DEP_1) | instskip(SKIP_1) | instid1(VALU_DEP_2)
	v_fma_f64 v[196:197], v[214:215], v[212:213], -v[196:197]
	v_mul_f64 v[214:215], v[214:215], v[198:199]
	v_add_f64 v[192:193], v[192:193], -v[196:197]
	s_delay_alu instid0(VALU_DEP_2) | instskip(NEXT) | instid1(VALU_DEP_1)
	v_fma_f64 v[214:215], v[216:217], v[212:213], v[214:215]
	v_add_f64 v[194:195], v[194:195], -v[214:215]
	ds_load_2addr_b64 v[214:217], v250 offset0:10 offset1:11
	s_waitcnt lgkmcnt(0)
	v_mul_f64 v[196:197], v[216:217], v[198:199]
	s_delay_alu instid0(VALU_DEP_1) | instskip(SKIP_1) | instid1(VALU_DEP_2)
	v_fma_f64 v[196:197], v[214:215], v[212:213], -v[196:197]
	v_mul_f64 v[214:215], v[214:215], v[198:199]
	v_add_f64 v[188:189], v[188:189], -v[196:197]
	s_delay_alu instid0(VALU_DEP_2) | instskip(NEXT) | instid1(VALU_DEP_1)
	v_fma_f64 v[214:215], v[216:217], v[212:213], v[214:215]
	v_add_f64 v[190:191], v[190:191], -v[214:215]
	;; [unrolled: 10-line block ×48, first 2 shown]
	ds_load_2addr_b64 v[214:217], v250 offset0:104 offset1:105
	s_waitcnt lgkmcnt(0)
	v_mul_f64 v[196:197], v[216:217], v[198:199]
	s_delay_alu instid0(VALU_DEP_1) | instskip(SKIP_1) | instid1(VALU_DEP_2)
	v_fma_f64 v[196:197], v[214:215], v[212:213], -v[196:197]
	v_mul_f64 v[214:215], v[214:215], v[198:199]
	v_add_f64 v[0:1], v[0:1], -v[196:197]
	s_delay_alu instid0(VALU_DEP_2) | instskip(SKIP_1) | instid1(VALU_DEP_2)
	v_fma_f64 v[214:215], v[216:217], v[212:213], v[214:215]
	v_dual_mov_b32 v196, v212 :: v_dual_mov_b32 v197, v213
	v_add_f64 v[2:3], v[2:3], -v[214:215]
.LBB105_37:
	s_or_b32 exec_lo, exec_lo, s3
	s_delay_alu instid0(SALU_CYCLE_1)
	s_mov_b32 s4, exec_lo
	s_waitcnt_vscnt null, 0x0
	s_barrier
	buffer_gl0_inv
	v_cmpx_eq_u32_e32 4, v205
	s_cbranch_execz .LBB105_44
; %bb.38:
	ds_store_2addr_b64 v255, v[192:193], v[194:195] offset1:1
	ds_store_2addr_b64 v250, v[188:189], v[190:191] offset0:10 offset1:11
	ds_store_2addr_b64 v250, v[184:185], v[186:187] offset0:12 offset1:13
	;; [unrolled: 1-line block ×48, first 2 shown]
	ds_load_2addr_b64 v[212:215], v255 offset1:1
	s_waitcnt lgkmcnt(0)
	v_cmp_neq_f64_e32 vcc_lo, 0, v[212:213]
	v_cmp_neq_f64_e64 s3, 0, v[214:215]
	s_delay_alu instid0(VALU_DEP_1) | instskip(NEXT) | instid1(SALU_CYCLE_1)
	s_or_b32 s3, vcc_lo, s3
	s_and_b32 exec_lo, exec_lo, s3
	s_cbranch_execz .LBB105_44
; %bb.39:
	v_cmp_gt_f64_e32 vcc_lo, 0, v[212:213]
	v_xor_b32_e32 v204, 0x80000000, v213
	s_mov_b32 s3, exec_lo
                                        ; implicit-def: $vgpr220_vgpr221
	s_delay_alu instid0(VALU_DEP_1) | instskip(SKIP_3) | instid1(VALU_DEP_1)
	v_cndmask_b32_e32 v217, v213, v204, vcc_lo
	v_cndmask_b32_e32 v216, v212, v212, vcc_lo
	v_cmp_gt_f64_e32 vcc_lo, 0, v[214:215]
	v_xor_b32_e32 v204, 0x80000000, v215
	v_dual_cndmask_b32 v218, v214, v214 :: v_dual_cndmask_b32 v219, v215, v204
	s_delay_alu instid0(VALU_DEP_1)
	v_cmpx_ngt_f64_e32 v[216:217], v[218:219]
	s_xor_b32 s3, exec_lo, s3
                                        ; implicit-def: $vgpr216_vgpr217_vgpr218_vgpr219
	s_cbranch_execz .LBB105_41
; %bb.40:
	v_div_scale_f64 v[216:217], null, v[214:215], v[214:215], v[212:213]
	v_div_scale_f64 v[222:223], vcc_lo, v[212:213], v[214:215], v[212:213]
	s_delay_alu instid0(VALU_DEP_2) | instskip(SKIP_2) | instid1(VALU_DEP_1)
	v_rcp_f64_e32 v[218:219], v[216:217]
	s_waitcnt_depctr 0xfff
	v_fma_f64 v[220:221], -v[216:217], v[218:219], 1.0
	v_fma_f64 v[218:219], v[218:219], v[220:221], v[218:219]
	s_delay_alu instid0(VALU_DEP_1) | instskip(NEXT) | instid1(VALU_DEP_1)
	v_fma_f64 v[220:221], -v[216:217], v[218:219], 1.0
	v_fma_f64 v[218:219], v[218:219], v[220:221], v[218:219]
	s_delay_alu instid0(VALU_DEP_1) | instskip(NEXT) | instid1(VALU_DEP_1)
	v_mul_f64 v[220:221], v[222:223], v[218:219]
	v_fma_f64 v[216:217], -v[216:217], v[220:221], v[222:223]
	s_delay_alu instid0(VALU_DEP_1) | instskip(NEXT) | instid1(VALU_DEP_1)
	v_div_fmas_f64 v[216:217], v[216:217], v[218:219], v[220:221]
	v_div_fixup_f64 v[216:217], v[216:217], v[214:215], v[212:213]
	s_delay_alu instid0(VALU_DEP_1) | instskip(NEXT) | instid1(VALU_DEP_1)
	v_fma_f64 v[212:213], v[212:213], v[216:217], v[214:215]
	v_div_scale_f64 v[214:215], null, v[212:213], v[212:213], 1.0
	s_delay_alu instid0(VALU_DEP_1) | instskip(SKIP_2) | instid1(VALU_DEP_1)
	v_rcp_f64_e32 v[218:219], v[214:215]
	s_waitcnt_depctr 0xfff
	v_fma_f64 v[220:221], -v[214:215], v[218:219], 1.0
	v_fma_f64 v[218:219], v[218:219], v[220:221], v[218:219]
	s_delay_alu instid0(VALU_DEP_1) | instskip(NEXT) | instid1(VALU_DEP_1)
	v_fma_f64 v[220:221], -v[214:215], v[218:219], 1.0
	v_fma_f64 v[218:219], v[218:219], v[220:221], v[218:219]
	v_div_scale_f64 v[220:221], vcc_lo, 1.0, v[212:213], 1.0
	s_delay_alu instid0(VALU_DEP_1) | instskip(NEXT) | instid1(VALU_DEP_1)
	v_mul_f64 v[222:223], v[220:221], v[218:219]
	v_fma_f64 v[214:215], -v[214:215], v[222:223], v[220:221]
	s_delay_alu instid0(VALU_DEP_1) | instskip(NEXT) | instid1(VALU_DEP_1)
	v_div_fmas_f64 v[214:215], v[214:215], v[218:219], v[222:223]
	v_div_fixup_f64 v[218:219], v[214:215], v[212:213], 1.0
                                        ; implicit-def: $vgpr212_vgpr213
	s_delay_alu instid0(VALU_DEP_1)
	v_mul_f64 v[220:221], v[216:217], v[218:219]
	v_xor_b32_e32 v219, 0x80000000, v219
.LBB105_41:
	s_and_not1_saveexec_b32 s3, s3
	s_cbranch_execz .LBB105_43
; %bb.42:
	v_div_scale_f64 v[216:217], null, v[212:213], v[212:213], v[214:215]
	v_div_scale_f64 v[222:223], vcc_lo, v[214:215], v[212:213], v[214:215]
	s_delay_alu instid0(VALU_DEP_2) | instskip(SKIP_2) | instid1(VALU_DEP_1)
	v_rcp_f64_e32 v[218:219], v[216:217]
	s_waitcnt_depctr 0xfff
	v_fma_f64 v[220:221], -v[216:217], v[218:219], 1.0
	v_fma_f64 v[218:219], v[218:219], v[220:221], v[218:219]
	s_delay_alu instid0(VALU_DEP_1) | instskip(NEXT) | instid1(VALU_DEP_1)
	v_fma_f64 v[220:221], -v[216:217], v[218:219], 1.0
	v_fma_f64 v[218:219], v[218:219], v[220:221], v[218:219]
	s_delay_alu instid0(VALU_DEP_1) | instskip(NEXT) | instid1(VALU_DEP_1)
	v_mul_f64 v[220:221], v[222:223], v[218:219]
	v_fma_f64 v[216:217], -v[216:217], v[220:221], v[222:223]
	s_delay_alu instid0(VALU_DEP_1) | instskip(NEXT) | instid1(VALU_DEP_1)
	v_div_fmas_f64 v[216:217], v[216:217], v[218:219], v[220:221]
	v_div_fixup_f64 v[216:217], v[216:217], v[212:213], v[214:215]
	s_delay_alu instid0(VALU_DEP_1) | instskip(NEXT) | instid1(VALU_DEP_1)
	v_fma_f64 v[212:213], v[214:215], v[216:217], v[212:213]
	v_div_scale_f64 v[214:215], null, v[212:213], v[212:213], 1.0
	s_delay_alu instid0(VALU_DEP_1) | instskip(SKIP_2) | instid1(VALU_DEP_1)
	v_rcp_f64_e32 v[218:219], v[214:215]
	s_waitcnt_depctr 0xfff
	v_fma_f64 v[220:221], -v[214:215], v[218:219], 1.0
	v_fma_f64 v[218:219], v[218:219], v[220:221], v[218:219]
	s_delay_alu instid0(VALU_DEP_1) | instskip(NEXT) | instid1(VALU_DEP_1)
	v_fma_f64 v[220:221], -v[214:215], v[218:219], 1.0
	v_fma_f64 v[218:219], v[218:219], v[220:221], v[218:219]
	v_div_scale_f64 v[220:221], vcc_lo, 1.0, v[212:213], 1.0
	s_delay_alu instid0(VALU_DEP_1) | instskip(NEXT) | instid1(VALU_DEP_1)
	v_mul_f64 v[222:223], v[220:221], v[218:219]
	v_fma_f64 v[214:215], -v[214:215], v[222:223], v[220:221]
	s_delay_alu instid0(VALU_DEP_1) | instskip(NEXT) | instid1(VALU_DEP_1)
	v_div_fmas_f64 v[214:215], v[214:215], v[218:219], v[222:223]
	v_div_fixup_f64 v[220:221], v[214:215], v[212:213], 1.0
	s_delay_alu instid0(VALU_DEP_1)
	v_mul_f64 v[218:219], v[216:217], -v[220:221]
.LBB105_43:
	s_or_b32 exec_lo, exec_lo, s3
	ds_store_2addr_b64 v255, v[220:221], v[218:219] offset1:1
.LBB105_44:
	s_or_b32 exec_lo, exec_lo, s4
	s_waitcnt lgkmcnt(0)
	s_barrier
	buffer_gl0_inv
	ds_load_2addr_b64 v[212:215], v255 offset1:1
	s_mov_b32 s3, exec_lo
	s_waitcnt lgkmcnt(0)
	scratch_store_b128 off, v[212:215], off offset:504 ; 16-byte Folded Spill
	v_cmpx_lt_u32_e32 4, v205
	s_cbranch_execz .LBB105_46
; %bb.45:
	scratch_load_b128 v[214:217], off, off offset:504 ; 16-byte Folded Reload
	s_waitcnt vmcnt(0)
	v_mul_f64 v[212:213], v[216:217], v[194:195]
	v_mul_f64 v[194:195], v[214:215], v[194:195]
	s_delay_alu instid0(VALU_DEP_2) | instskip(NEXT) | instid1(VALU_DEP_2)
	v_fma_f64 v[212:213], v[214:215], v[192:193], -v[212:213]
	v_fma_f64 v[194:195], v[216:217], v[192:193], v[194:195]
	ds_load_2addr_b64 v[214:217], v250 offset0:10 offset1:11
	s_waitcnt lgkmcnt(0)
	v_mul_f64 v[192:193], v[216:217], v[194:195]
	s_delay_alu instid0(VALU_DEP_1) | instskip(SKIP_1) | instid1(VALU_DEP_2)
	v_fma_f64 v[192:193], v[214:215], v[212:213], -v[192:193]
	v_mul_f64 v[214:215], v[214:215], v[194:195]
	v_add_f64 v[188:189], v[188:189], -v[192:193]
	s_delay_alu instid0(VALU_DEP_2) | instskip(NEXT) | instid1(VALU_DEP_1)
	v_fma_f64 v[214:215], v[216:217], v[212:213], v[214:215]
	v_add_f64 v[190:191], v[190:191], -v[214:215]
	ds_load_2addr_b64 v[214:217], v250 offset0:12 offset1:13
	s_waitcnt lgkmcnt(0)
	v_mul_f64 v[192:193], v[216:217], v[194:195]
	s_delay_alu instid0(VALU_DEP_1) | instskip(SKIP_1) | instid1(VALU_DEP_2)
	v_fma_f64 v[192:193], v[214:215], v[212:213], -v[192:193]
	v_mul_f64 v[214:215], v[214:215], v[194:195]
	v_add_f64 v[184:185], v[184:185], -v[192:193]
	s_delay_alu instid0(VALU_DEP_2) | instskip(NEXT) | instid1(VALU_DEP_1)
	v_fma_f64 v[214:215], v[216:217], v[212:213], v[214:215]
	v_add_f64 v[186:187], v[186:187], -v[214:215]
	;; [unrolled: 10-line block ×47, first 2 shown]
	ds_load_2addr_b64 v[214:217], v250 offset0:104 offset1:105
	s_waitcnt lgkmcnt(0)
	v_mul_f64 v[192:193], v[216:217], v[194:195]
	s_delay_alu instid0(VALU_DEP_1) | instskip(SKIP_1) | instid1(VALU_DEP_2)
	v_fma_f64 v[192:193], v[214:215], v[212:213], -v[192:193]
	v_mul_f64 v[214:215], v[214:215], v[194:195]
	v_add_f64 v[0:1], v[0:1], -v[192:193]
	s_delay_alu instid0(VALU_DEP_2) | instskip(SKIP_1) | instid1(VALU_DEP_2)
	v_fma_f64 v[214:215], v[216:217], v[212:213], v[214:215]
	v_dual_mov_b32 v192, v212 :: v_dual_mov_b32 v193, v213
	v_add_f64 v[2:3], v[2:3], -v[214:215]
.LBB105_46:
	s_or_b32 exec_lo, exec_lo, s3
	s_delay_alu instid0(SALU_CYCLE_1)
	s_mov_b32 s4, exec_lo
	s_waitcnt_vscnt null, 0x0
	s_barrier
	buffer_gl0_inv
	v_cmpx_eq_u32_e32 5, v205
	s_cbranch_execz .LBB105_53
; %bb.47:
	ds_store_2addr_b64 v255, v[188:189], v[190:191] offset1:1
	ds_store_2addr_b64 v250, v[184:185], v[186:187] offset0:12 offset1:13
	ds_store_2addr_b64 v250, v[180:181], v[182:183] offset0:14 offset1:15
	;; [unrolled: 1-line block ×47, first 2 shown]
	ds_load_2addr_b64 v[212:215], v255 offset1:1
	s_waitcnt lgkmcnt(0)
	v_cmp_neq_f64_e32 vcc_lo, 0, v[212:213]
	v_cmp_neq_f64_e64 s3, 0, v[214:215]
	s_delay_alu instid0(VALU_DEP_1) | instskip(NEXT) | instid1(SALU_CYCLE_1)
	s_or_b32 s3, vcc_lo, s3
	s_and_b32 exec_lo, exec_lo, s3
	s_cbranch_execz .LBB105_53
; %bb.48:
	v_cmp_gt_f64_e32 vcc_lo, 0, v[212:213]
	v_xor_b32_e32 v204, 0x80000000, v213
	s_mov_b32 s3, exec_lo
                                        ; implicit-def: $vgpr220_vgpr221
	s_delay_alu instid0(VALU_DEP_1) | instskip(SKIP_3) | instid1(VALU_DEP_1)
	v_cndmask_b32_e32 v217, v213, v204, vcc_lo
	v_cndmask_b32_e32 v216, v212, v212, vcc_lo
	v_cmp_gt_f64_e32 vcc_lo, 0, v[214:215]
	v_xor_b32_e32 v204, 0x80000000, v215
	v_dual_cndmask_b32 v218, v214, v214 :: v_dual_cndmask_b32 v219, v215, v204
	s_delay_alu instid0(VALU_DEP_1)
	v_cmpx_ngt_f64_e32 v[216:217], v[218:219]
	s_xor_b32 s3, exec_lo, s3
                                        ; implicit-def: $vgpr216_vgpr217_vgpr218_vgpr219
	s_cbranch_execz .LBB105_50
; %bb.49:
	v_div_scale_f64 v[216:217], null, v[214:215], v[214:215], v[212:213]
	v_div_scale_f64 v[222:223], vcc_lo, v[212:213], v[214:215], v[212:213]
	s_delay_alu instid0(VALU_DEP_2) | instskip(SKIP_2) | instid1(VALU_DEP_1)
	v_rcp_f64_e32 v[218:219], v[216:217]
	s_waitcnt_depctr 0xfff
	v_fma_f64 v[220:221], -v[216:217], v[218:219], 1.0
	v_fma_f64 v[218:219], v[218:219], v[220:221], v[218:219]
	s_delay_alu instid0(VALU_DEP_1) | instskip(NEXT) | instid1(VALU_DEP_1)
	v_fma_f64 v[220:221], -v[216:217], v[218:219], 1.0
	v_fma_f64 v[218:219], v[218:219], v[220:221], v[218:219]
	s_delay_alu instid0(VALU_DEP_1) | instskip(NEXT) | instid1(VALU_DEP_1)
	v_mul_f64 v[220:221], v[222:223], v[218:219]
	v_fma_f64 v[216:217], -v[216:217], v[220:221], v[222:223]
	s_delay_alu instid0(VALU_DEP_1) | instskip(NEXT) | instid1(VALU_DEP_1)
	v_div_fmas_f64 v[216:217], v[216:217], v[218:219], v[220:221]
	v_div_fixup_f64 v[216:217], v[216:217], v[214:215], v[212:213]
	s_delay_alu instid0(VALU_DEP_1) | instskip(NEXT) | instid1(VALU_DEP_1)
	v_fma_f64 v[212:213], v[212:213], v[216:217], v[214:215]
	v_div_scale_f64 v[214:215], null, v[212:213], v[212:213], 1.0
	s_delay_alu instid0(VALU_DEP_1) | instskip(SKIP_2) | instid1(VALU_DEP_1)
	v_rcp_f64_e32 v[218:219], v[214:215]
	s_waitcnt_depctr 0xfff
	v_fma_f64 v[220:221], -v[214:215], v[218:219], 1.0
	v_fma_f64 v[218:219], v[218:219], v[220:221], v[218:219]
	s_delay_alu instid0(VALU_DEP_1) | instskip(NEXT) | instid1(VALU_DEP_1)
	v_fma_f64 v[220:221], -v[214:215], v[218:219], 1.0
	v_fma_f64 v[218:219], v[218:219], v[220:221], v[218:219]
	v_div_scale_f64 v[220:221], vcc_lo, 1.0, v[212:213], 1.0
	s_delay_alu instid0(VALU_DEP_1) | instskip(NEXT) | instid1(VALU_DEP_1)
	v_mul_f64 v[222:223], v[220:221], v[218:219]
	v_fma_f64 v[214:215], -v[214:215], v[222:223], v[220:221]
	s_delay_alu instid0(VALU_DEP_1) | instskip(NEXT) | instid1(VALU_DEP_1)
	v_div_fmas_f64 v[214:215], v[214:215], v[218:219], v[222:223]
	v_div_fixup_f64 v[218:219], v[214:215], v[212:213], 1.0
                                        ; implicit-def: $vgpr212_vgpr213
	s_delay_alu instid0(VALU_DEP_1)
	v_mul_f64 v[220:221], v[216:217], v[218:219]
	v_xor_b32_e32 v219, 0x80000000, v219
.LBB105_50:
	s_and_not1_saveexec_b32 s3, s3
	s_cbranch_execz .LBB105_52
; %bb.51:
	v_div_scale_f64 v[216:217], null, v[212:213], v[212:213], v[214:215]
	v_div_scale_f64 v[222:223], vcc_lo, v[214:215], v[212:213], v[214:215]
	s_delay_alu instid0(VALU_DEP_2) | instskip(SKIP_2) | instid1(VALU_DEP_1)
	v_rcp_f64_e32 v[218:219], v[216:217]
	s_waitcnt_depctr 0xfff
	v_fma_f64 v[220:221], -v[216:217], v[218:219], 1.0
	v_fma_f64 v[218:219], v[218:219], v[220:221], v[218:219]
	s_delay_alu instid0(VALU_DEP_1) | instskip(NEXT) | instid1(VALU_DEP_1)
	v_fma_f64 v[220:221], -v[216:217], v[218:219], 1.0
	v_fma_f64 v[218:219], v[218:219], v[220:221], v[218:219]
	s_delay_alu instid0(VALU_DEP_1) | instskip(NEXT) | instid1(VALU_DEP_1)
	v_mul_f64 v[220:221], v[222:223], v[218:219]
	v_fma_f64 v[216:217], -v[216:217], v[220:221], v[222:223]
	s_delay_alu instid0(VALU_DEP_1) | instskip(NEXT) | instid1(VALU_DEP_1)
	v_div_fmas_f64 v[216:217], v[216:217], v[218:219], v[220:221]
	v_div_fixup_f64 v[216:217], v[216:217], v[212:213], v[214:215]
	s_delay_alu instid0(VALU_DEP_1) | instskip(NEXT) | instid1(VALU_DEP_1)
	v_fma_f64 v[212:213], v[214:215], v[216:217], v[212:213]
	v_div_scale_f64 v[214:215], null, v[212:213], v[212:213], 1.0
	s_delay_alu instid0(VALU_DEP_1) | instskip(SKIP_2) | instid1(VALU_DEP_1)
	v_rcp_f64_e32 v[218:219], v[214:215]
	s_waitcnt_depctr 0xfff
	v_fma_f64 v[220:221], -v[214:215], v[218:219], 1.0
	v_fma_f64 v[218:219], v[218:219], v[220:221], v[218:219]
	s_delay_alu instid0(VALU_DEP_1) | instskip(NEXT) | instid1(VALU_DEP_1)
	v_fma_f64 v[220:221], -v[214:215], v[218:219], 1.0
	v_fma_f64 v[218:219], v[218:219], v[220:221], v[218:219]
	v_div_scale_f64 v[220:221], vcc_lo, 1.0, v[212:213], 1.0
	s_delay_alu instid0(VALU_DEP_1) | instskip(NEXT) | instid1(VALU_DEP_1)
	v_mul_f64 v[222:223], v[220:221], v[218:219]
	v_fma_f64 v[214:215], -v[214:215], v[222:223], v[220:221]
	s_delay_alu instid0(VALU_DEP_1) | instskip(NEXT) | instid1(VALU_DEP_1)
	v_div_fmas_f64 v[214:215], v[214:215], v[218:219], v[222:223]
	v_div_fixup_f64 v[220:221], v[214:215], v[212:213], 1.0
	s_delay_alu instid0(VALU_DEP_1)
	v_mul_f64 v[218:219], v[216:217], -v[220:221]
.LBB105_52:
	s_or_b32 exec_lo, exec_lo, s3
	ds_store_2addr_b64 v255, v[220:221], v[218:219] offset1:1
.LBB105_53:
	s_or_b32 exec_lo, exec_lo, s4
	s_waitcnt lgkmcnt(0)
	s_barrier
	buffer_gl0_inv
	ds_load_2addr_b64 v[212:215], v255 offset1:1
	s_mov_b32 s3, exec_lo
	s_waitcnt lgkmcnt(0)
	scratch_store_b128 off, v[212:215], off offset:520 ; 16-byte Folded Spill
	v_cmpx_lt_u32_e32 5, v205
	s_cbranch_execz .LBB105_55
; %bb.54:
	scratch_load_b128 v[214:217], off, off offset:520 ; 16-byte Folded Reload
	s_waitcnt vmcnt(0)
	v_mul_f64 v[212:213], v[216:217], v[190:191]
	v_mul_f64 v[190:191], v[214:215], v[190:191]
	s_delay_alu instid0(VALU_DEP_2) | instskip(NEXT) | instid1(VALU_DEP_2)
	v_fma_f64 v[212:213], v[214:215], v[188:189], -v[212:213]
	v_fma_f64 v[190:191], v[216:217], v[188:189], v[190:191]
	ds_load_2addr_b64 v[214:217], v250 offset0:12 offset1:13
	s_waitcnt lgkmcnt(0)
	v_mul_f64 v[188:189], v[216:217], v[190:191]
	s_delay_alu instid0(VALU_DEP_1) | instskip(SKIP_1) | instid1(VALU_DEP_2)
	v_fma_f64 v[188:189], v[214:215], v[212:213], -v[188:189]
	v_mul_f64 v[214:215], v[214:215], v[190:191]
	v_add_f64 v[184:185], v[184:185], -v[188:189]
	s_delay_alu instid0(VALU_DEP_2) | instskip(NEXT) | instid1(VALU_DEP_1)
	v_fma_f64 v[214:215], v[216:217], v[212:213], v[214:215]
	v_add_f64 v[186:187], v[186:187], -v[214:215]
	ds_load_2addr_b64 v[214:217], v250 offset0:14 offset1:15
	s_waitcnt lgkmcnt(0)
	v_mul_f64 v[188:189], v[216:217], v[190:191]
	s_delay_alu instid0(VALU_DEP_1) | instskip(SKIP_1) | instid1(VALU_DEP_2)
	v_fma_f64 v[188:189], v[214:215], v[212:213], -v[188:189]
	v_mul_f64 v[214:215], v[214:215], v[190:191]
	v_add_f64 v[180:181], v[180:181], -v[188:189]
	s_delay_alu instid0(VALU_DEP_2) | instskip(NEXT) | instid1(VALU_DEP_1)
	v_fma_f64 v[214:215], v[216:217], v[212:213], v[214:215]
	v_add_f64 v[182:183], v[182:183], -v[214:215]
	;; [unrolled: 10-line block ×46, first 2 shown]
	ds_load_2addr_b64 v[214:217], v250 offset0:104 offset1:105
	s_waitcnt lgkmcnt(0)
	v_mul_f64 v[188:189], v[216:217], v[190:191]
	s_delay_alu instid0(VALU_DEP_1) | instskip(SKIP_1) | instid1(VALU_DEP_2)
	v_fma_f64 v[188:189], v[214:215], v[212:213], -v[188:189]
	v_mul_f64 v[214:215], v[214:215], v[190:191]
	v_add_f64 v[0:1], v[0:1], -v[188:189]
	s_delay_alu instid0(VALU_DEP_2) | instskip(SKIP_1) | instid1(VALU_DEP_2)
	v_fma_f64 v[214:215], v[216:217], v[212:213], v[214:215]
	v_dual_mov_b32 v188, v212 :: v_dual_mov_b32 v189, v213
	v_add_f64 v[2:3], v[2:3], -v[214:215]
.LBB105_55:
	s_or_b32 exec_lo, exec_lo, s3
	s_delay_alu instid0(SALU_CYCLE_1)
	s_mov_b32 s4, exec_lo
	s_waitcnt_vscnt null, 0x0
	s_barrier
	buffer_gl0_inv
	v_cmpx_eq_u32_e32 6, v205
	s_cbranch_execz .LBB105_62
; %bb.56:
	ds_store_2addr_b64 v255, v[184:185], v[186:187] offset1:1
	ds_store_2addr_b64 v250, v[180:181], v[182:183] offset0:14 offset1:15
	ds_store_2addr_b64 v250, v[176:177], v[178:179] offset0:16 offset1:17
	;; [unrolled: 1-line block ×46, first 2 shown]
	ds_load_2addr_b64 v[212:215], v255 offset1:1
	s_waitcnt lgkmcnt(0)
	v_cmp_neq_f64_e32 vcc_lo, 0, v[212:213]
	v_cmp_neq_f64_e64 s3, 0, v[214:215]
	s_delay_alu instid0(VALU_DEP_1) | instskip(NEXT) | instid1(SALU_CYCLE_1)
	s_or_b32 s3, vcc_lo, s3
	s_and_b32 exec_lo, exec_lo, s3
	s_cbranch_execz .LBB105_62
; %bb.57:
	v_cmp_gt_f64_e32 vcc_lo, 0, v[212:213]
	v_xor_b32_e32 v204, 0x80000000, v213
	s_mov_b32 s3, exec_lo
                                        ; implicit-def: $vgpr220_vgpr221
	s_delay_alu instid0(VALU_DEP_1) | instskip(SKIP_3) | instid1(VALU_DEP_1)
	v_cndmask_b32_e32 v217, v213, v204, vcc_lo
	v_cndmask_b32_e32 v216, v212, v212, vcc_lo
	v_cmp_gt_f64_e32 vcc_lo, 0, v[214:215]
	v_xor_b32_e32 v204, 0x80000000, v215
	v_dual_cndmask_b32 v218, v214, v214 :: v_dual_cndmask_b32 v219, v215, v204
	s_delay_alu instid0(VALU_DEP_1)
	v_cmpx_ngt_f64_e32 v[216:217], v[218:219]
	s_xor_b32 s3, exec_lo, s3
                                        ; implicit-def: $vgpr216_vgpr217_vgpr218_vgpr219
	s_cbranch_execz .LBB105_59
; %bb.58:
	v_div_scale_f64 v[216:217], null, v[214:215], v[214:215], v[212:213]
	v_div_scale_f64 v[222:223], vcc_lo, v[212:213], v[214:215], v[212:213]
	s_delay_alu instid0(VALU_DEP_2) | instskip(SKIP_2) | instid1(VALU_DEP_1)
	v_rcp_f64_e32 v[218:219], v[216:217]
	s_waitcnt_depctr 0xfff
	v_fma_f64 v[220:221], -v[216:217], v[218:219], 1.0
	v_fma_f64 v[218:219], v[218:219], v[220:221], v[218:219]
	s_delay_alu instid0(VALU_DEP_1) | instskip(NEXT) | instid1(VALU_DEP_1)
	v_fma_f64 v[220:221], -v[216:217], v[218:219], 1.0
	v_fma_f64 v[218:219], v[218:219], v[220:221], v[218:219]
	s_delay_alu instid0(VALU_DEP_1) | instskip(NEXT) | instid1(VALU_DEP_1)
	v_mul_f64 v[220:221], v[222:223], v[218:219]
	v_fma_f64 v[216:217], -v[216:217], v[220:221], v[222:223]
	s_delay_alu instid0(VALU_DEP_1) | instskip(NEXT) | instid1(VALU_DEP_1)
	v_div_fmas_f64 v[216:217], v[216:217], v[218:219], v[220:221]
	v_div_fixup_f64 v[216:217], v[216:217], v[214:215], v[212:213]
	s_delay_alu instid0(VALU_DEP_1) | instskip(NEXT) | instid1(VALU_DEP_1)
	v_fma_f64 v[212:213], v[212:213], v[216:217], v[214:215]
	v_div_scale_f64 v[214:215], null, v[212:213], v[212:213], 1.0
	s_delay_alu instid0(VALU_DEP_1) | instskip(SKIP_2) | instid1(VALU_DEP_1)
	v_rcp_f64_e32 v[218:219], v[214:215]
	s_waitcnt_depctr 0xfff
	v_fma_f64 v[220:221], -v[214:215], v[218:219], 1.0
	v_fma_f64 v[218:219], v[218:219], v[220:221], v[218:219]
	s_delay_alu instid0(VALU_DEP_1) | instskip(NEXT) | instid1(VALU_DEP_1)
	v_fma_f64 v[220:221], -v[214:215], v[218:219], 1.0
	v_fma_f64 v[218:219], v[218:219], v[220:221], v[218:219]
	v_div_scale_f64 v[220:221], vcc_lo, 1.0, v[212:213], 1.0
	s_delay_alu instid0(VALU_DEP_1) | instskip(NEXT) | instid1(VALU_DEP_1)
	v_mul_f64 v[222:223], v[220:221], v[218:219]
	v_fma_f64 v[214:215], -v[214:215], v[222:223], v[220:221]
	s_delay_alu instid0(VALU_DEP_1) | instskip(NEXT) | instid1(VALU_DEP_1)
	v_div_fmas_f64 v[214:215], v[214:215], v[218:219], v[222:223]
	v_div_fixup_f64 v[218:219], v[214:215], v[212:213], 1.0
                                        ; implicit-def: $vgpr212_vgpr213
	s_delay_alu instid0(VALU_DEP_1)
	v_mul_f64 v[220:221], v[216:217], v[218:219]
	v_xor_b32_e32 v219, 0x80000000, v219
.LBB105_59:
	s_and_not1_saveexec_b32 s3, s3
	s_cbranch_execz .LBB105_61
; %bb.60:
	v_div_scale_f64 v[216:217], null, v[212:213], v[212:213], v[214:215]
	v_div_scale_f64 v[222:223], vcc_lo, v[214:215], v[212:213], v[214:215]
	s_delay_alu instid0(VALU_DEP_2) | instskip(SKIP_2) | instid1(VALU_DEP_1)
	v_rcp_f64_e32 v[218:219], v[216:217]
	s_waitcnt_depctr 0xfff
	v_fma_f64 v[220:221], -v[216:217], v[218:219], 1.0
	v_fma_f64 v[218:219], v[218:219], v[220:221], v[218:219]
	s_delay_alu instid0(VALU_DEP_1) | instskip(NEXT) | instid1(VALU_DEP_1)
	v_fma_f64 v[220:221], -v[216:217], v[218:219], 1.0
	v_fma_f64 v[218:219], v[218:219], v[220:221], v[218:219]
	s_delay_alu instid0(VALU_DEP_1) | instskip(NEXT) | instid1(VALU_DEP_1)
	v_mul_f64 v[220:221], v[222:223], v[218:219]
	v_fma_f64 v[216:217], -v[216:217], v[220:221], v[222:223]
	s_delay_alu instid0(VALU_DEP_1) | instskip(NEXT) | instid1(VALU_DEP_1)
	v_div_fmas_f64 v[216:217], v[216:217], v[218:219], v[220:221]
	v_div_fixup_f64 v[216:217], v[216:217], v[212:213], v[214:215]
	s_delay_alu instid0(VALU_DEP_1) | instskip(NEXT) | instid1(VALU_DEP_1)
	v_fma_f64 v[212:213], v[214:215], v[216:217], v[212:213]
	v_div_scale_f64 v[214:215], null, v[212:213], v[212:213], 1.0
	s_delay_alu instid0(VALU_DEP_1) | instskip(SKIP_2) | instid1(VALU_DEP_1)
	v_rcp_f64_e32 v[218:219], v[214:215]
	s_waitcnt_depctr 0xfff
	v_fma_f64 v[220:221], -v[214:215], v[218:219], 1.0
	v_fma_f64 v[218:219], v[218:219], v[220:221], v[218:219]
	s_delay_alu instid0(VALU_DEP_1) | instskip(NEXT) | instid1(VALU_DEP_1)
	v_fma_f64 v[220:221], -v[214:215], v[218:219], 1.0
	v_fma_f64 v[218:219], v[218:219], v[220:221], v[218:219]
	v_div_scale_f64 v[220:221], vcc_lo, 1.0, v[212:213], 1.0
	s_delay_alu instid0(VALU_DEP_1) | instskip(NEXT) | instid1(VALU_DEP_1)
	v_mul_f64 v[222:223], v[220:221], v[218:219]
	v_fma_f64 v[214:215], -v[214:215], v[222:223], v[220:221]
	s_delay_alu instid0(VALU_DEP_1) | instskip(NEXT) | instid1(VALU_DEP_1)
	v_div_fmas_f64 v[214:215], v[214:215], v[218:219], v[222:223]
	v_div_fixup_f64 v[220:221], v[214:215], v[212:213], 1.0
	s_delay_alu instid0(VALU_DEP_1)
	v_mul_f64 v[218:219], v[216:217], -v[220:221]
.LBB105_61:
	s_or_b32 exec_lo, exec_lo, s3
	ds_store_2addr_b64 v255, v[220:221], v[218:219] offset1:1
.LBB105_62:
	s_or_b32 exec_lo, exec_lo, s4
	s_waitcnt lgkmcnt(0)
	s_barrier
	buffer_gl0_inv
	ds_load_2addr_b64 v[212:215], v255 offset1:1
	s_mov_b32 s3, exec_lo
	s_waitcnt lgkmcnt(0)
	scratch_store_b128 off, v[212:215], off offset:536 ; 16-byte Folded Spill
	v_cmpx_lt_u32_e32 6, v205
	s_cbranch_execz .LBB105_64
; %bb.63:
	scratch_load_b128 v[214:217], off, off offset:536 ; 16-byte Folded Reload
	s_waitcnt vmcnt(0)
	v_mul_f64 v[212:213], v[216:217], v[186:187]
	v_mul_f64 v[186:187], v[214:215], v[186:187]
	s_delay_alu instid0(VALU_DEP_2) | instskip(NEXT) | instid1(VALU_DEP_2)
	v_fma_f64 v[212:213], v[214:215], v[184:185], -v[212:213]
	v_fma_f64 v[186:187], v[216:217], v[184:185], v[186:187]
	ds_load_2addr_b64 v[214:217], v250 offset0:14 offset1:15
	s_waitcnt lgkmcnt(0)
	v_mul_f64 v[184:185], v[216:217], v[186:187]
	s_delay_alu instid0(VALU_DEP_1) | instskip(SKIP_1) | instid1(VALU_DEP_2)
	v_fma_f64 v[184:185], v[214:215], v[212:213], -v[184:185]
	v_mul_f64 v[214:215], v[214:215], v[186:187]
	v_add_f64 v[180:181], v[180:181], -v[184:185]
	s_delay_alu instid0(VALU_DEP_2) | instskip(NEXT) | instid1(VALU_DEP_1)
	v_fma_f64 v[214:215], v[216:217], v[212:213], v[214:215]
	v_add_f64 v[182:183], v[182:183], -v[214:215]
	ds_load_2addr_b64 v[214:217], v250 offset0:16 offset1:17
	s_waitcnt lgkmcnt(0)
	v_mul_f64 v[184:185], v[216:217], v[186:187]
	s_delay_alu instid0(VALU_DEP_1) | instskip(SKIP_1) | instid1(VALU_DEP_2)
	v_fma_f64 v[184:185], v[214:215], v[212:213], -v[184:185]
	v_mul_f64 v[214:215], v[214:215], v[186:187]
	v_add_f64 v[176:177], v[176:177], -v[184:185]
	s_delay_alu instid0(VALU_DEP_2) | instskip(NEXT) | instid1(VALU_DEP_1)
	v_fma_f64 v[214:215], v[216:217], v[212:213], v[214:215]
	v_add_f64 v[178:179], v[178:179], -v[214:215]
	;; [unrolled: 10-line block ×45, first 2 shown]
	ds_load_2addr_b64 v[214:217], v250 offset0:104 offset1:105
	s_waitcnt lgkmcnt(0)
	v_mul_f64 v[184:185], v[216:217], v[186:187]
	s_delay_alu instid0(VALU_DEP_1) | instskip(SKIP_1) | instid1(VALU_DEP_2)
	v_fma_f64 v[184:185], v[214:215], v[212:213], -v[184:185]
	v_mul_f64 v[214:215], v[214:215], v[186:187]
	v_add_f64 v[0:1], v[0:1], -v[184:185]
	s_delay_alu instid0(VALU_DEP_2) | instskip(SKIP_1) | instid1(VALU_DEP_2)
	v_fma_f64 v[214:215], v[216:217], v[212:213], v[214:215]
	v_dual_mov_b32 v184, v212 :: v_dual_mov_b32 v185, v213
	v_add_f64 v[2:3], v[2:3], -v[214:215]
.LBB105_64:
	s_or_b32 exec_lo, exec_lo, s3
	s_delay_alu instid0(SALU_CYCLE_1)
	s_mov_b32 s4, exec_lo
	s_waitcnt_vscnt null, 0x0
	s_barrier
	buffer_gl0_inv
	v_cmpx_eq_u32_e32 7, v205
	s_cbranch_execz .LBB105_71
; %bb.65:
	ds_store_2addr_b64 v255, v[180:181], v[182:183] offset1:1
	ds_store_2addr_b64 v250, v[176:177], v[178:179] offset0:16 offset1:17
	ds_store_2addr_b64 v250, v[172:173], v[174:175] offset0:18 offset1:19
	;; [unrolled: 1-line block ×45, first 2 shown]
	ds_load_2addr_b64 v[212:215], v255 offset1:1
	s_waitcnt lgkmcnt(0)
	v_cmp_neq_f64_e32 vcc_lo, 0, v[212:213]
	v_cmp_neq_f64_e64 s3, 0, v[214:215]
	s_delay_alu instid0(VALU_DEP_1) | instskip(NEXT) | instid1(SALU_CYCLE_1)
	s_or_b32 s3, vcc_lo, s3
	s_and_b32 exec_lo, exec_lo, s3
	s_cbranch_execz .LBB105_71
; %bb.66:
	v_cmp_gt_f64_e32 vcc_lo, 0, v[212:213]
	v_xor_b32_e32 v204, 0x80000000, v213
	s_mov_b32 s3, exec_lo
                                        ; implicit-def: $vgpr220_vgpr221
	s_delay_alu instid0(VALU_DEP_1) | instskip(SKIP_3) | instid1(VALU_DEP_1)
	v_cndmask_b32_e32 v217, v213, v204, vcc_lo
	v_cndmask_b32_e32 v216, v212, v212, vcc_lo
	v_cmp_gt_f64_e32 vcc_lo, 0, v[214:215]
	v_xor_b32_e32 v204, 0x80000000, v215
	v_dual_cndmask_b32 v218, v214, v214 :: v_dual_cndmask_b32 v219, v215, v204
	s_delay_alu instid0(VALU_DEP_1)
	v_cmpx_ngt_f64_e32 v[216:217], v[218:219]
	s_xor_b32 s3, exec_lo, s3
                                        ; implicit-def: $vgpr216_vgpr217_vgpr218_vgpr219
	s_cbranch_execz .LBB105_68
; %bb.67:
	v_div_scale_f64 v[216:217], null, v[214:215], v[214:215], v[212:213]
	v_div_scale_f64 v[222:223], vcc_lo, v[212:213], v[214:215], v[212:213]
	s_delay_alu instid0(VALU_DEP_2) | instskip(SKIP_2) | instid1(VALU_DEP_1)
	v_rcp_f64_e32 v[218:219], v[216:217]
	s_waitcnt_depctr 0xfff
	v_fma_f64 v[220:221], -v[216:217], v[218:219], 1.0
	v_fma_f64 v[218:219], v[218:219], v[220:221], v[218:219]
	s_delay_alu instid0(VALU_DEP_1) | instskip(NEXT) | instid1(VALU_DEP_1)
	v_fma_f64 v[220:221], -v[216:217], v[218:219], 1.0
	v_fma_f64 v[218:219], v[218:219], v[220:221], v[218:219]
	s_delay_alu instid0(VALU_DEP_1) | instskip(NEXT) | instid1(VALU_DEP_1)
	v_mul_f64 v[220:221], v[222:223], v[218:219]
	v_fma_f64 v[216:217], -v[216:217], v[220:221], v[222:223]
	s_delay_alu instid0(VALU_DEP_1) | instskip(NEXT) | instid1(VALU_DEP_1)
	v_div_fmas_f64 v[216:217], v[216:217], v[218:219], v[220:221]
	v_div_fixup_f64 v[216:217], v[216:217], v[214:215], v[212:213]
	s_delay_alu instid0(VALU_DEP_1) | instskip(NEXT) | instid1(VALU_DEP_1)
	v_fma_f64 v[212:213], v[212:213], v[216:217], v[214:215]
	v_div_scale_f64 v[214:215], null, v[212:213], v[212:213], 1.0
	s_delay_alu instid0(VALU_DEP_1) | instskip(SKIP_2) | instid1(VALU_DEP_1)
	v_rcp_f64_e32 v[218:219], v[214:215]
	s_waitcnt_depctr 0xfff
	v_fma_f64 v[220:221], -v[214:215], v[218:219], 1.0
	v_fma_f64 v[218:219], v[218:219], v[220:221], v[218:219]
	s_delay_alu instid0(VALU_DEP_1) | instskip(NEXT) | instid1(VALU_DEP_1)
	v_fma_f64 v[220:221], -v[214:215], v[218:219], 1.0
	v_fma_f64 v[218:219], v[218:219], v[220:221], v[218:219]
	v_div_scale_f64 v[220:221], vcc_lo, 1.0, v[212:213], 1.0
	s_delay_alu instid0(VALU_DEP_1) | instskip(NEXT) | instid1(VALU_DEP_1)
	v_mul_f64 v[222:223], v[220:221], v[218:219]
	v_fma_f64 v[214:215], -v[214:215], v[222:223], v[220:221]
	s_delay_alu instid0(VALU_DEP_1) | instskip(NEXT) | instid1(VALU_DEP_1)
	v_div_fmas_f64 v[214:215], v[214:215], v[218:219], v[222:223]
	v_div_fixup_f64 v[218:219], v[214:215], v[212:213], 1.0
                                        ; implicit-def: $vgpr212_vgpr213
	s_delay_alu instid0(VALU_DEP_1)
	v_mul_f64 v[220:221], v[216:217], v[218:219]
	v_xor_b32_e32 v219, 0x80000000, v219
.LBB105_68:
	s_and_not1_saveexec_b32 s3, s3
	s_cbranch_execz .LBB105_70
; %bb.69:
	v_div_scale_f64 v[216:217], null, v[212:213], v[212:213], v[214:215]
	v_div_scale_f64 v[222:223], vcc_lo, v[214:215], v[212:213], v[214:215]
	s_delay_alu instid0(VALU_DEP_2) | instskip(SKIP_2) | instid1(VALU_DEP_1)
	v_rcp_f64_e32 v[218:219], v[216:217]
	s_waitcnt_depctr 0xfff
	v_fma_f64 v[220:221], -v[216:217], v[218:219], 1.0
	v_fma_f64 v[218:219], v[218:219], v[220:221], v[218:219]
	s_delay_alu instid0(VALU_DEP_1) | instskip(NEXT) | instid1(VALU_DEP_1)
	v_fma_f64 v[220:221], -v[216:217], v[218:219], 1.0
	v_fma_f64 v[218:219], v[218:219], v[220:221], v[218:219]
	s_delay_alu instid0(VALU_DEP_1) | instskip(NEXT) | instid1(VALU_DEP_1)
	v_mul_f64 v[220:221], v[222:223], v[218:219]
	v_fma_f64 v[216:217], -v[216:217], v[220:221], v[222:223]
	s_delay_alu instid0(VALU_DEP_1) | instskip(NEXT) | instid1(VALU_DEP_1)
	v_div_fmas_f64 v[216:217], v[216:217], v[218:219], v[220:221]
	v_div_fixup_f64 v[216:217], v[216:217], v[212:213], v[214:215]
	s_delay_alu instid0(VALU_DEP_1) | instskip(NEXT) | instid1(VALU_DEP_1)
	v_fma_f64 v[212:213], v[214:215], v[216:217], v[212:213]
	v_div_scale_f64 v[214:215], null, v[212:213], v[212:213], 1.0
	s_delay_alu instid0(VALU_DEP_1) | instskip(SKIP_2) | instid1(VALU_DEP_1)
	v_rcp_f64_e32 v[218:219], v[214:215]
	s_waitcnt_depctr 0xfff
	v_fma_f64 v[220:221], -v[214:215], v[218:219], 1.0
	v_fma_f64 v[218:219], v[218:219], v[220:221], v[218:219]
	s_delay_alu instid0(VALU_DEP_1) | instskip(NEXT) | instid1(VALU_DEP_1)
	v_fma_f64 v[220:221], -v[214:215], v[218:219], 1.0
	v_fma_f64 v[218:219], v[218:219], v[220:221], v[218:219]
	v_div_scale_f64 v[220:221], vcc_lo, 1.0, v[212:213], 1.0
	s_delay_alu instid0(VALU_DEP_1) | instskip(NEXT) | instid1(VALU_DEP_1)
	v_mul_f64 v[222:223], v[220:221], v[218:219]
	v_fma_f64 v[214:215], -v[214:215], v[222:223], v[220:221]
	s_delay_alu instid0(VALU_DEP_1) | instskip(NEXT) | instid1(VALU_DEP_1)
	v_div_fmas_f64 v[214:215], v[214:215], v[218:219], v[222:223]
	v_div_fixup_f64 v[220:221], v[214:215], v[212:213], 1.0
	s_delay_alu instid0(VALU_DEP_1)
	v_mul_f64 v[218:219], v[216:217], -v[220:221]
.LBB105_70:
	s_or_b32 exec_lo, exec_lo, s3
	ds_store_2addr_b64 v255, v[220:221], v[218:219] offset1:1
.LBB105_71:
	s_or_b32 exec_lo, exec_lo, s4
	s_waitcnt lgkmcnt(0)
	s_barrier
	buffer_gl0_inv
	ds_load_2addr_b64 v[212:215], v255 offset1:1
	s_mov_b32 s3, exec_lo
	s_waitcnt lgkmcnt(0)
	scratch_store_b128 off, v[212:215], off offset:552 ; 16-byte Folded Spill
	v_cmpx_lt_u32_e32 7, v205
	s_cbranch_execz .LBB105_73
; %bb.72:
	scratch_load_b128 v[214:217], off, off offset:552 ; 16-byte Folded Reload
	s_waitcnt vmcnt(0)
	v_mul_f64 v[212:213], v[216:217], v[182:183]
	v_mul_f64 v[182:183], v[214:215], v[182:183]
	s_delay_alu instid0(VALU_DEP_2) | instskip(NEXT) | instid1(VALU_DEP_2)
	v_fma_f64 v[212:213], v[214:215], v[180:181], -v[212:213]
	v_fma_f64 v[182:183], v[216:217], v[180:181], v[182:183]
	ds_load_2addr_b64 v[214:217], v250 offset0:16 offset1:17
	s_waitcnt lgkmcnt(0)
	v_mul_f64 v[180:181], v[216:217], v[182:183]
	s_delay_alu instid0(VALU_DEP_1) | instskip(SKIP_1) | instid1(VALU_DEP_2)
	v_fma_f64 v[180:181], v[214:215], v[212:213], -v[180:181]
	v_mul_f64 v[214:215], v[214:215], v[182:183]
	v_add_f64 v[176:177], v[176:177], -v[180:181]
	s_delay_alu instid0(VALU_DEP_2) | instskip(NEXT) | instid1(VALU_DEP_1)
	v_fma_f64 v[214:215], v[216:217], v[212:213], v[214:215]
	v_add_f64 v[178:179], v[178:179], -v[214:215]
	ds_load_2addr_b64 v[214:217], v250 offset0:18 offset1:19
	s_waitcnt lgkmcnt(0)
	v_mul_f64 v[180:181], v[216:217], v[182:183]
	s_delay_alu instid0(VALU_DEP_1) | instskip(SKIP_1) | instid1(VALU_DEP_2)
	v_fma_f64 v[180:181], v[214:215], v[212:213], -v[180:181]
	v_mul_f64 v[214:215], v[214:215], v[182:183]
	v_add_f64 v[172:173], v[172:173], -v[180:181]
	s_delay_alu instid0(VALU_DEP_2) | instskip(NEXT) | instid1(VALU_DEP_1)
	v_fma_f64 v[214:215], v[216:217], v[212:213], v[214:215]
	v_add_f64 v[174:175], v[174:175], -v[214:215]
	;; [unrolled: 10-line block ×44, first 2 shown]
	ds_load_2addr_b64 v[214:217], v250 offset0:104 offset1:105
	s_waitcnt lgkmcnt(0)
	v_mul_f64 v[180:181], v[216:217], v[182:183]
	s_delay_alu instid0(VALU_DEP_1) | instskip(SKIP_1) | instid1(VALU_DEP_2)
	v_fma_f64 v[180:181], v[214:215], v[212:213], -v[180:181]
	v_mul_f64 v[214:215], v[214:215], v[182:183]
	v_add_f64 v[0:1], v[0:1], -v[180:181]
	s_delay_alu instid0(VALU_DEP_2) | instskip(SKIP_1) | instid1(VALU_DEP_2)
	v_fma_f64 v[214:215], v[216:217], v[212:213], v[214:215]
	v_dual_mov_b32 v180, v212 :: v_dual_mov_b32 v181, v213
	v_add_f64 v[2:3], v[2:3], -v[214:215]
.LBB105_73:
	s_or_b32 exec_lo, exec_lo, s3
	s_delay_alu instid0(SALU_CYCLE_1)
	s_mov_b32 s4, exec_lo
	s_waitcnt_vscnt null, 0x0
	s_barrier
	buffer_gl0_inv
	v_cmpx_eq_u32_e32 8, v205
	s_cbranch_execz .LBB105_80
; %bb.74:
	ds_store_2addr_b64 v255, v[176:177], v[178:179] offset1:1
	ds_store_2addr_b64 v250, v[172:173], v[174:175] offset0:18 offset1:19
	ds_store_2addr_b64 v250, v[168:169], v[170:171] offset0:20 offset1:21
	ds_store_2addr_b64 v250, v[164:165], v[166:167] offset0:22 offset1:23
	ds_store_2addr_b64 v250, v[160:161], v[162:163] offset0:24 offset1:25
	ds_store_2addr_b64 v250, v[156:157], v[158:159] offset0:26 offset1:27
	ds_store_2addr_b64 v250, v[152:153], v[154:155] offset0:28 offset1:29
	ds_store_2addr_b64 v250, v[148:149], v[150:151] offset0:30 offset1:31
	ds_store_2addr_b64 v250, v[144:145], v[146:147] offset0:32 offset1:33
	ds_store_2addr_b64 v250, v[140:141], v[142:143] offset0:34 offset1:35
	ds_store_2addr_b64 v250, v[136:137], v[138:139] offset0:36 offset1:37
	ds_store_2addr_b64 v250, v[132:133], v[134:135] offset0:38 offset1:39
	ds_store_2addr_b64 v250, v[128:129], v[130:131] offset0:40 offset1:41
	ds_store_2addr_b64 v250, v[124:125], v[126:127] offset0:42 offset1:43
	ds_store_2addr_b64 v250, v[120:121], v[122:123] offset0:44 offset1:45
	ds_store_2addr_b64 v250, v[116:117], v[118:119] offset0:46 offset1:47
	ds_store_2addr_b64 v250, v[112:113], v[114:115] offset0:48 offset1:49
	ds_store_2addr_b64 v250, v[108:109], v[110:111] offset0:50 offset1:51
	ds_store_2addr_b64 v250, v[104:105], v[106:107] offset0:52 offset1:53
	ds_store_2addr_b64 v250, v[100:101], v[102:103] offset0:54 offset1:55
	ds_store_2addr_b64 v250, v[96:97], v[98:99] offset0:56 offset1:57
	ds_store_2addr_b64 v250, v[92:93], v[94:95] offset0:58 offset1:59
	ds_store_2addr_b64 v250, v[88:89], v[90:91] offset0:60 offset1:61
	ds_store_2addr_b64 v250, v[84:85], v[86:87] offset0:62 offset1:63
	ds_store_2addr_b64 v250, v[80:81], v[82:83] offset0:64 offset1:65
	ds_store_2addr_b64 v250, v[76:77], v[78:79] offset0:66 offset1:67
	ds_store_2addr_b64 v250, v[72:73], v[74:75] offset0:68 offset1:69
	ds_store_2addr_b64 v250, v[68:69], v[70:71] offset0:70 offset1:71
	ds_store_2addr_b64 v250, v[64:65], v[66:67] offset0:72 offset1:73
	ds_store_2addr_b64 v250, v[60:61], v[62:63] offset0:74 offset1:75
	ds_store_2addr_b64 v250, v[56:57], v[58:59] offset0:76 offset1:77
	ds_store_2addr_b64 v250, v[52:53], v[54:55] offset0:78 offset1:79
	ds_store_2addr_b64 v250, v[48:49], v[50:51] offset0:80 offset1:81
	ds_store_2addr_b64 v250, v[44:45], v[46:47] offset0:82 offset1:83
	ds_store_2addr_b64 v250, v[40:41], v[42:43] offset0:84 offset1:85
	ds_store_2addr_b64 v250, v[36:37], v[38:39] offset0:86 offset1:87
	ds_store_2addr_b64 v250, v[32:33], v[34:35] offset0:88 offset1:89
	ds_store_2addr_b64 v250, v[28:29], v[30:31] offset0:90 offset1:91
	ds_store_2addr_b64 v250, v[24:25], v[26:27] offset0:92 offset1:93
	ds_store_2addr_b64 v250, v[20:21], v[22:23] offset0:94 offset1:95
	ds_store_2addr_b64 v250, v[16:17], v[18:19] offset0:96 offset1:97
	ds_store_2addr_b64 v250, v[12:13], v[14:15] offset0:98 offset1:99
	ds_store_2addr_b64 v250, v[8:9], v[10:11] offset0:100 offset1:101
	ds_store_2addr_b64 v250, v[4:5], v[6:7] offset0:102 offset1:103
	ds_store_2addr_b64 v250, v[0:1], v[2:3] offset0:104 offset1:105
	ds_load_2addr_b64 v[212:215], v255 offset1:1
	s_waitcnt lgkmcnt(0)
	v_cmp_neq_f64_e32 vcc_lo, 0, v[212:213]
	v_cmp_neq_f64_e64 s3, 0, v[214:215]
	s_delay_alu instid0(VALU_DEP_1) | instskip(NEXT) | instid1(SALU_CYCLE_1)
	s_or_b32 s3, vcc_lo, s3
	s_and_b32 exec_lo, exec_lo, s3
	s_cbranch_execz .LBB105_80
; %bb.75:
	v_cmp_gt_f64_e32 vcc_lo, 0, v[212:213]
	v_xor_b32_e32 v204, 0x80000000, v213
	s_mov_b32 s3, exec_lo
                                        ; implicit-def: $vgpr220_vgpr221
	s_delay_alu instid0(VALU_DEP_1) | instskip(SKIP_3) | instid1(VALU_DEP_1)
	v_cndmask_b32_e32 v217, v213, v204, vcc_lo
	v_cndmask_b32_e32 v216, v212, v212, vcc_lo
	v_cmp_gt_f64_e32 vcc_lo, 0, v[214:215]
	v_xor_b32_e32 v204, 0x80000000, v215
	v_dual_cndmask_b32 v218, v214, v214 :: v_dual_cndmask_b32 v219, v215, v204
	s_delay_alu instid0(VALU_DEP_1)
	v_cmpx_ngt_f64_e32 v[216:217], v[218:219]
	s_xor_b32 s3, exec_lo, s3
                                        ; implicit-def: $vgpr216_vgpr217_vgpr218_vgpr219
	s_cbranch_execz .LBB105_77
; %bb.76:
	v_div_scale_f64 v[216:217], null, v[214:215], v[214:215], v[212:213]
	v_div_scale_f64 v[222:223], vcc_lo, v[212:213], v[214:215], v[212:213]
	s_delay_alu instid0(VALU_DEP_2) | instskip(SKIP_2) | instid1(VALU_DEP_1)
	v_rcp_f64_e32 v[218:219], v[216:217]
	s_waitcnt_depctr 0xfff
	v_fma_f64 v[220:221], -v[216:217], v[218:219], 1.0
	v_fma_f64 v[218:219], v[218:219], v[220:221], v[218:219]
	s_delay_alu instid0(VALU_DEP_1) | instskip(NEXT) | instid1(VALU_DEP_1)
	v_fma_f64 v[220:221], -v[216:217], v[218:219], 1.0
	v_fma_f64 v[218:219], v[218:219], v[220:221], v[218:219]
	s_delay_alu instid0(VALU_DEP_1) | instskip(NEXT) | instid1(VALU_DEP_1)
	v_mul_f64 v[220:221], v[222:223], v[218:219]
	v_fma_f64 v[216:217], -v[216:217], v[220:221], v[222:223]
	s_delay_alu instid0(VALU_DEP_1) | instskip(NEXT) | instid1(VALU_DEP_1)
	v_div_fmas_f64 v[216:217], v[216:217], v[218:219], v[220:221]
	v_div_fixup_f64 v[216:217], v[216:217], v[214:215], v[212:213]
	s_delay_alu instid0(VALU_DEP_1) | instskip(NEXT) | instid1(VALU_DEP_1)
	v_fma_f64 v[212:213], v[212:213], v[216:217], v[214:215]
	v_div_scale_f64 v[214:215], null, v[212:213], v[212:213], 1.0
	s_delay_alu instid0(VALU_DEP_1) | instskip(SKIP_2) | instid1(VALU_DEP_1)
	v_rcp_f64_e32 v[218:219], v[214:215]
	s_waitcnt_depctr 0xfff
	v_fma_f64 v[220:221], -v[214:215], v[218:219], 1.0
	v_fma_f64 v[218:219], v[218:219], v[220:221], v[218:219]
	s_delay_alu instid0(VALU_DEP_1) | instskip(NEXT) | instid1(VALU_DEP_1)
	v_fma_f64 v[220:221], -v[214:215], v[218:219], 1.0
	v_fma_f64 v[218:219], v[218:219], v[220:221], v[218:219]
	v_div_scale_f64 v[220:221], vcc_lo, 1.0, v[212:213], 1.0
	s_delay_alu instid0(VALU_DEP_1) | instskip(NEXT) | instid1(VALU_DEP_1)
	v_mul_f64 v[222:223], v[220:221], v[218:219]
	v_fma_f64 v[214:215], -v[214:215], v[222:223], v[220:221]
	s_delay_alu instid0(VALU_DEP_1) | instskip(NEXT) | instid1(VALU_DEP_1)
	v_div_fmas_f64 v[214:215], v[214:215], v[218:219], v[222:223]
	v_div_fixup_f64 v[218:219], v[214:215], v[212:213], 1.0
                                        ; implicit-def: $vgpr212_vgpr213
	s_delay_alu instid0(VALU_DEP_1)
	v_mul_f64 v[220:221], v[216:217], v[218:219]
	v_xor_b32_e32 v219, 0x80000000, v219
.LBB105_77:
	s_and_not1_saveexec_b32 s3, s3
	s_cbranch_execz .LBB105_79
; %bb.78:
	v_div_scale_f64 v[216:217], null, v[212:213], v[212:213], v[214:215]
	v_div_scale_f64 v[222:223], vcc_lo, v[214:215], v[212:213], v[214:215]
	s_delay_alu instid0(VALU_DEP_2) | instskip(SKIP_2) | instid1(VALU_DEP_1)
	v_rcp_f64_e32 v[218:219], v[216:217]
	s_waitcnt_depctr 0xfff
	v_fma_f64 v[220:221], -v[216:217], v[218:219], 1.0
	v_fma_f64 v[218:219], v[218:219], v[220:221], v[218:219]
	s_delay_alu instid0(VALU_DEP_1) | instskip(NEXT) | instid1(VALU_DEP_1)
	v_fma_f64 v[220:221], -v[216:217], v[218:219], 1.0
	v_fma_f64 v[218:219], v[218:219], v[220:221], v[218:219]
	s_delay_alu instid0(VALU_DEP_1) | instskip(NEXT) | instid1(VALU_DEP_1)
	v_mul_f64 v[220:221], v[222:223], v[218:219]
	v_fma_f64 v[216:217], -v[216:217], v[220:221], v[222:223]
	s_delay_alu instid0(VALU_DEP_1) | instskip(NEXT) | instid1(VALU_DEP_1)
	v_div_fmas_f64 v[216:217], v[216:217], v[218:219], v[220:221]
	v_div_fixup_f64 v[216:217], v[216:217], v[212:213], v[214:215]
	s_delay_alu instid0(VALU_DEP_1) | instskip(NEXT) | instid1(VALU_DEP_1)
	v_fma_f64 v[212:213], v[214:215], v[216:217], v[212:213]
	v_div_scale_f64 v[214:215], null, v[212:213], v[212:213], 1.0
	s_delay_alu instid0(VALU_DEP_1) | instskip(SKIP_2) | instid1(VALU_DEP_1)
	v_rcp_f64_e32 v[218:219], v[214:215]
	s_waitcnt_depctr 0xfff
	v_fma_f64 v[220:221], -v[214:215], v[218:219], 1.0
	v_fma_f64 v[218:219], v[218:219], v[220:221], v[218:219]
	s_delay_alu instid0(VALU_DEP_1) | instskip(NEXT) | instid1(VALU_DEP_1)
	v_fma_f64 v[220:221], -v[214:215], v[218:219], 1.0
	v_fma_f64 v[218:219], v[218:219], v[220:221], v[218:219]
	v_div_scale_f64 v[220:221], vcc_lo, 1.0, v[212:213], 1.0
	s_delay_alu instid0(VALU_DEP_1) | instskip(NEXT) | instid1(VALU_DEP_1)
	v_mul_f64 v[222:223], v[220:221], v[218:219]
	v_fma_f64 v[214:215], -v[214:215], v[222:223], v[220:221]
	s_delay_alu instid0(VALU_DEP_1) | instskip(NEXT) | instid1(VALU_DEP_1)
	v_div_fmas_f64 v[214:215], v[214:215], v[218:219], v[222:223]
	v_div_fixup_f64 v[220:221], v[214:215], v[212:213], 1.0
	s_delay_alu instid0(VALU_DEP_1)
	v_mul_f64 v[218:219], v[216:217], -v[220:221]
.LBB105_79:
	s_or_b32 exec_lo, exec_lo, s3
	ds_store_2addr_b64 v255, v[220:221], v[218:219] offset1:1
.LBB105_80:
	s_or_b32 exec_lo, exec_lo, s4
	s_waitcnt lgkmcnt(0)
	s_barrier
	buffer_gl0_inv
	ds_load_2addr_b64 v[212:215], v255 offset1:1
	s_mov_b32 s3, exec_lo
	s_waitcnt lgkmcnt(0)
	scratch_store_b128 off, v[212:215], off offset:568 ; 16-byte Folded Spill
	v_cmpx_lt_u32_e32 8, v205
	s_cbranch_execz .LBB105_82
; %bb.81:
	scratch_load_b128 v[214:217], off, off offset:568 ; 16-byte Folded Reload
	s_waitcnt vmcnt(0)
	v_mul_f64 v[212:213], v[216:217], v[178:179]
	v_mul_f64 v[178:179], v[214:215], v[178:179]
	s_delay_alu instid0(VALU_DEP_2) | instskip(NEXT) | instid1(VALU_DEP_2)
	v_fma_f64 v[212:213], v[214:215], v[176:177], -v[212:213]
	v_fma_f64 v[178:179], v[216:217], v[176:177], v[178:179]
	ds_load_2addr_b64 v[214:217], v250 offset0:18 offset1:19
	s_waitcnt lgkmcnt(0)
	v_mul_f64 v[176:177], v[216:217], v[178:179]
	s_delay_alu instid0(VALU_DEP_1) | instskip(SKIP_1) | instid1(VALU_DEP_2)
	v_fma_f64 v[176:177], v[214:215], v[212:213], -v[176:177]
	v_mul_f64 v[214:215], v[214:215], v[178:179]
	v_add_f64 v[172:173], v[172:173], -v[176:177]
	s_delay_alu instid0(VALU_DEP_2) | instskip(NEXT) | instid1(VALU_DEP_1)
	v_fma_f64 v[214:215], v[216:217], v[212:213], v[214:215]
	v_add_f64 v[174:175], v[174:175], -v[214:215]
	ds_load_2addr_b64 v[214:217], v250 offset0:20 offset1:21
	s_waitcnt lgkmcnt(0)
	v_mul_f64 v[176:177], v[216:217], v[178:179]
	s_delay_alu instid0(VALU_DEP_1) | instskip(SKIP_1) | instid1(VALU_DEP_2)
	v_fma_f64 v[176:177], v[214:215], v[212:213], -v[176:177]
	v_mul_f64 v[214:215], v[214:215], v[178:179]
	v_add_f64 v[168:169], v[168:169], -v[176:177]
	s_delay_alu instid0(VALU_DEP_2) | instskip(NEXT) | instid1(VALU_DEP_1)
	v_fma_f64 v[214:215], v[216:217], v[212:213], v[214:215]
	v_add_f64 v[170:171], v[170:171], -v[214:215]
	;; [unrolled: 10-line block ×43, first 2 shown]
	ds_load_2addr_b64 v[214:217], v250 offset0:104 offset1:105
	s_waitcnt lgkmcnt(0)
	v_mul_f64 v[176:177], v[216:217], v[178:179]
	s_delay_alu instid0(VALU_DEP_1) | instskip(SKIP_1) | instid1(VALU_DEP_2)
	v_fma_f64 v[176:177], v[214:215], v[212:213], -v[176:177]
	v_mul_f64 v[214:215], v[214:215], v[178:179]
	v_add_f64 v[0:1], v[0:1], -v[176:177]
	s_delay_alu instid0(VALU_DEP_2) | instskip(SKIP_1) | instid1(VALU_DEP_2)
	v_fma_f64 v[214:215], v[216:217], v[212:213], v[214:215]
	v_dual_mov_b32 v176, v212 :: v_dual_mov_b32 v177, v213
	v_add_f64 v[2:3], v[2:3], -v[214:215]
.LBB105_82:
	s_or_b32 exec_lo, exec_lo, s3
	s_delay_alu instid0(SALU_CYCLE_1)
	s_mov_b32 s4, exec_lo
	s_waitcnt_vscnt null, 0x0
	s_barrier
	buffer_gl0_inv
	v_cmpx_eq_u32_e32 9, v205
	s_cbranch_execz .LBB105_89
; %bb.83:
	ds_store_2addr_b64 v255, v[172:173], v[174:175] offset1:1
	ds_store_2addr_b64 v250, v[168:169], v[170:171] offset0:20 offset1:21
	ds_store_2addr_b64 v250, v[164:165], v[166:167] offset0:22 offset1:23
	;; [unrolled: 1-line block ×43, first 2 shown]
	ds_load_2addr_b64 v[212:215], v255 offset1:1
	s_waitcnt lgkmcnt(0)
	v_cmp_neq_f64_e32 vcc_lo, 0, v[212:213]
	v_cmp_neq_f64_e64 s3, 0, v[214:215]
	s_delay_alu instid0(VALU_DEP_1) | instskip(NEXT) | instid1(SALU_CYCLE_1)
	s_or_b32 s3, vcc_lo, s3
	s_and_b32 exec_lo, exec_lo, s3
	s_cbranch_execz .LBB105_89
; %bb.84:
	v_cmp_gt_f64_e32 vcc_lo, 0, v[212:213]
	v_xor_b32_e32 v204, 0x80000000, v213
	s_mov_b32 s3, exec_lo
                                        ; implicit-def: $vgpr220_vgpr221
	s_delay_alu instid0(VALU_DEP_1) | instskip(SKIP_3) | instid1(VALU_DEP_1)
	v_cndmask_b32_e32 v217, v213, v204, vcc_lo
	v_cndmask_b32_e32 v216, v212, v212, vcc_lo
	v_cmp_gt_f64_e32 vcc_lo, 0, v[214:215]
	v_xor_b32_e32 v204, 0x80000000, v215
	v_dual_cndmask_b32 v218, v214, v214 :: v_dual_cndmask_b32 v219, v215, v204
	s_delay_alu instid0(VALU_DEP_1)
	v_cmpx_ngt_f64_e32 v[216:217], v[218:219]
	s_xor_b32 s3, exec_lo, s3
                                        ; implicit-def: $vgpr216_vgpr217_vgpr218_vgpr219
	s_cbranch_execz .LBB105_86
; %bb.85:
	v_div_scale_f64 v[216:217], null, v[214:215], v[214:215], v[212:213]
	v_div_scale_f64 v[222:223], vcc_lo, v[212:213], v[214:215], v[212:213]
	s_delay_alu instid0(VALU_DEP_2) | instskip(SKIP_2) | instid1(VALU_DEP_1)
	v_rcp_f64_e32 v[218:219], v[216:217]
	s_waitcnt_depctr 0xfff
	v_fma_f64 v[220:221], -v[216:217], v[218:219], 1.0
	v_fma_f64 v[218:219], v[218:219], v[220:221], v[218:219]
	s_delay_alu instid0(VALU_DEP_1) | instskip(NEXT) | instid1(VALU_DEP_1)
	v_fma_f64 v[220:221], -v[216:217], v[218:219], 1.0
	v_fma_f64 v[218:219], v[218:219], v[220:221], v[218:219]
	s_delay_alu instid0(VALU_DEP_1) | instskip(NEXT) | instid1(VALU_DEP_1)
	v_mul_f64 v[220:221], v[222:223], v[218:219]
	v_fma_f64 v[216:217], -v[216:217], v[220:221], v[222:223]
	s_delay_alu instid0(VALU_DEP_1) | instskip(NEXT) | instid1(VALU_DEP_1)
	v_div_fmas_f64 v[216:217], v[216:217], v[218:219], v[220:221]
	v_div_fixup_f64 v[216:217], v[216:217], v[214:215], v[212:213]
	s_delay_alu instid0(VALU_DEP_1) | instskip(NEXT) | instid1(VALU_DEP_1)
	v_fma_f64 v[212:213], v[212:213], v[216:217], v[214:215]
	v_div_scale_f64 v[214:215], null, v[212:213], v[212:213], 1.0
	s_delay_alu instid0(VALU_DEP_1) | instskip(SKIP_2) | instid1(VALU_DEP_1)
	v_rcp_f64_e32 v[218:219], v[214:215]
	s_waitcnt_depctr 0xfff
	v_fma_f64 v[220:221], -v[214:215], v[218:219], 1.0
	v_fma_f64 v[218:219], v[218:219], v[220:221], v[218:219]
	s_delay_alu instid0(VALU_DEP_1) | instskip(NEXT) | instid1(VALU_DEP_1)
	v_fma_f64 v[220:221], -v[214:215], v[218:219], 1.0
	v_fma_f64 v[218:219], v[218:219], v[220:221], v[218:219]
	v_div_scale_f64 v[220:221], vcc_lo, 1.0, v[212:213], 1.0
	s_delay_alu instid0(VALU_DEP_1) | instskip(NEXT) | instid1(VALU_DEP_1)
	v_mul_f64 v[222:223], v[220:221], v[218:219]
	v_fma_f64 v[214:215], -v[214:215], v[222:223], v[220:221]
	s_delay_alu instid0(VALU_DEP_1) | instskip(NEXT) | instid1(VALU_DEP_1)
	v_div_fmas_f64 v[214:215], v[214:215], v[218:219], v[222:223]
	v_div_fixup_f64 v[218:219], v[214:215], v[212:213], 1.0
                                        ; implicit-def: $vgpr212_vgpr213
	s_delay_alu instid0(VALU_DEP_1)
	v_mul_f64 v[220:221], v[216:217], v[218:219]
	v_xor_b32_e32 v219, 0x80000000, v219
.LBB105_86:
	s_and_not1_saveexec_b32 s3, s3
	s_cbranch_execz .LBB105_88
; %bb.87:
	v_div_scale_f64 v[216:217], null, v[212:213], v[212:213], v[214:215]
	v_div_scale_f64 v[222:223], vcc_lo, v[214:215], v[212:213], v[214:215]
	s_delay_alu instid0(VALU_DEP_2) | instskip(SKIP_2) | instid1(VALU_DEP_1)
	v_rcp_f64_e32 v[218:219], v[216:217]
	s_waitcnt_depctr 0xfff
	v_fma_f64 v[220:221], -v[216:217], v[218:219], 1.0
	v_fma_f64 v[218:219], v[218:219], v[220:221], v[218:219]
	s_delay_alu instid0(VALU_DEP_1) | instskip(NEXT) | instid1(VALU_DEP_1)
	v_fma_f64 v[220:221], -v[216:217], v[218:219], 1.0
	v_fma_f64 v[218:219], v[218:219], v[220:221], v[218:219]
	s_delay_alu instid0(VALU_DEP_1) | instskip(NEXT) | instid1(VALU_DEP_1)
	v_mul_f64 v[220:221], v[222:223], v[218:219]
	v_fma_f64 v[216:217], -v[216:217], v[220:221], v[222:223]
	s_delay_alu instid0(VALU_DEP_1) | instskip(NEXT) | instid1(VALU_DEP_1)
	v_div_fmas_f64 v[216:217], v[216:217], v[218:219], v[220:221]
	v_div_fixup_f64 v[216:217], v[216:217], v[212:213], v[214:215]
	s_delay_alu instid0(VALU_DEP_1) | instskip(NEXT) | instid1(VALU_DEP_1)
	v_fma_f64 v[212:213], v[214:215], v[216:217], v[212:213]
	v_div_scale_f64 v[214:215], null, v[212:213], v[212:213], 1.0
	s_delay_alu instid0(VALU_DEP_1) | instskip(SKIP_2) | instid1(VALU_DEP_1)
	v_rcp_f64_e32 v[218:219], v[214:215]
	s_waitcnt_depctr 0xfff
	v_fma_f64 v[220:221], -v[214:215], v[218:219], 1.0
	v_fma_f64 v[218:219], v[218:219], v[220:221], v[218:219]
	s_delay_alu instid0(VALU_DEP_1) | instskip(NEXT) | instid1(VALU_DEP_1)
	v_fma_f64 v[220:221], -v[214:215], v[218:219], 1.0
	v_fma_f64 v[218:219], v[218:219], v[220:221], v[218:219]
	v_div_scale_f64 v[220:221], vcc_lo, 1.0, v[212:213], 1.0
	s_delay_alu instid0(VALU_DEP_1) | instskip(NEXT) | instid1(VALU_DEP_1)
	v_mul_f64 v[222:223], v[220:221], v[218:219]
	v_fma_f64 v[214:215], -v[214:215], v[222:223], v[220:221]
	s_delay_alu instid0(VALU_DEP_1) | instskip(NEXT) | instid1(VALU_DEP_1)
	v_div_fmas_f64 v[214:215], v[214:215], v[218:219], v[222:223]
	v_div_fixup_f64 v[220:221], v[214:215], v[212:213], 1.0
	s_delay_alu instid0(VALU_DEP_1)
	v_mul_f64 v[218:219], v[216:217], -v[220:221]
.LBB105_88:
	s_or_b32 exec_lo, exec_lo, s3
	ds_store_2addr_b64 v255, v[220:221], v[218:219] offset1:1
.LBB105_89:
	s_or_b32 exec_lo, exec_lo, s4
	s_waitcnt lgkmcnt(0)
	s_barrier
	buffer_gl0_inv
	ds_load_2addr_b64 v[212:215], v255 offset1:1
	s_mov_b32 s3, exec_lo
	s_waitcnt lgkmcnt(0)
	scratch_store_b128 off, v[212:215], off offset:584 ; 16-byte Folded Spill
	v_cmpx_lt_u32_e32 9, v205
	s_cbranch_execz .LBB105_91
; %bb.90:
	scratch_load_b128 v[214:217], off, off offset:584 ; 16-byte Folded Reload
	s_waitcnt vmcnt(0)
	v_mul_f64 v[212:213], v[216:217], v[174:175]
	v_mul_f64 v[174:175], v[214:215], v[174:175]
	s_delay_alu instid0(VALU_DEP_2) | instskip(NEXT) | instid1(VALU_DEP_2)
	v_fma_f64 v[212:213], v[214:215], v[172:173], -v[212:213]
	v_fma_f64 v[174:175], v[216:217], v[172:173], v[174:175]
	ds_load_2addr_b64 v[214:217], v250 offset0:20 offset1:21
	s_waitcnt lgkmcnt(0)
	v_mul_f64 v[172:173], v[216:217], v[174:175]
	s_delay_alu instid0(VALU_DEP_1) | instskip(SKIP_1) | instid1(VALU_DEP_2)
	v_fma_f64 v[172:173], v[214:215], v[212:213], -v[172:173]
	v_mul_f64 v[214:215], v[214:215], v[174:175]
	v_add_f64 v[168:169], v[168:169], -v[172:173]
	s_delay_alu instid0(VALU_DEP_2) | instskip(NEXT) | instid1(VALU_DEP_1)
	v_fma_f64 v[214:215], v[216:217], v[212:213], v[214:215]
	v_add_f64 v[170:171], v[170:171], -v[214:215]
	ds_load_2addr_b64 v[214:217], v250 offset0:22 offset1:23
	s_waitcnt lgkmcnt(0)
	v_mul_f64 v[172:173], v[216:217], v[174:175]
	s_delay_alu instid0(VALU_DEP_1) | instskip(SKIP_1) | instid1(VALU_DEP_2)
	v_fma_f64 v[172:173], v[214:215], v[212:213], -v[172:173]
	v_mul_f64 v[214:215], v[214:215], v[174:175]
	v_add_f64 v[164:165], v[164:165], -v[172:173]
	s_delay_alu instid0(VALU_DEP_2) | instskip(NEXT) | instid1(VALU_DEP_1)
	v_fma_f64 v[214:215], v[216:217], v[212:213], v[214:215]
	v_add_f64 v[166:167], v[166:167], -v[214:215]
	;; [unrolled: 10-line block ×42, first 2 shown]
	ds_load_2addr_b64 v[214:217], v250 offset0:104 offset1:105
	s_waitcnt lgkmcnt(0)
	v_mul_f64 v[172:173], v[216:217], v[174:175]
	s_delay_alu instid0(VALU_DEP_1) | instskip(SKIP_1) | instid1(VALU_DEP_2)
	v_fma_f64 v[172:173], v[214:215], v[212:213], -v[172:173]
	v_mul_f64 v[214:215], v[214:215], v[174:175]
	v_add_f64 v[0:1], v[0:1], -v[172:173]
	s_delay_alu instid0(VALU_DEP_2) | instskip(SKIP_1) | instid1(VALU_DEP_2)
	v_fma_f64 v[214:215], v[216:217], v[212:213], v[214:215]
	v_dual_mov_b32 v172, v212 :: v_dual_mov_b32 v173, v213
	v_add_f64 v[2:3], v[2:3], -v[214:215]
.LBB105_91:
	s_or_b32 exec_lo, exec_lo, s3
	s_delay_alu instid0(SALU_CYCLE_1)
	s_mov_b32 s4, exec_lo
	s_waitcnt_vscnt null, 0x0
	s_barrier
	buffer_gl0_inv
	v_cmpx_eq_u32_e32 10, v205
	s_cbranch_execz .LBB105_98
; %bb.92:
	ds_store_2addr_b64 v255, v[168:169], v[170:171] offset1:1
	ds_store_2addr_b64 v250, v[164:165], v[166:167] offset0:22 offset1:23
	ds_store_2addr_b64 v250, v[160:161], v[162:163] offset0:24 offset1:25
	;; [unrolled: 1-line block ×42, first 2 shown]
	ds_load_2addr_b64 v[212:215], v255 offset1:1
	s_waitcnt lgkmcnt(0)
	v_cmp_neq_f64_e32 vcc_lo, 0, v[212:213]
	v_cmp_neq_f64_e64 s3, 0, v[214:215]
	s_delay_alu instid0(VALU_DEP_1) | instskip(NEXT) | instid1(SALU_CYCLE_1)
	s_or_b32 s3, vcc_lo, s3
	s_and_b32 exec_lo, exec_lo, s3
	s_cbranch_execz .LBB105_98
; %bb.93:
	v_cmp_gt_f64_e32 vcc_lo, 0, v[212:213]
	v_xor_b32_e32 v204, 0x80000000, v213
	s_mov_b32 s3, exec_lo
                                        ; implicit-def: $vgpr220_vgpr221
	s_delay_alu instid0(VALU_DEP_1) | instskip(SKIP_3) | instid1(VALU_DEP_1)
	v_cndmask_b32_e32 v217, v213, v204, vcc_lo
	v_cndmask_b32_e32 v216, v212, v212, vcc_lo
	v_cmp_gt_f64_e32 vcc_lo, 0, v[214:215]
	v_xor_b32_e32 v204, 0x80000000, v215
	v_dual_cndmask_b32 v218, v214, v214 :: v_dual_cndmask_b32 v219, v215, v204
	s_delay_alu instid0(VALU_DEP_1)
	v_cmpx_ngt_f64_e32 v[216:217], v[218:219]
	s_xor_b32 s3, exec_lo, s3
                                        ; implicit-def: $vgpr216_vgpr217_vgpr218_vgpr219
	s_cbranch_execz .LBB105_95
; %bb.94:
	v_div_scale_f64 v[216:217], null, v[214:215], v[214:215], v[212:213]
	v_div_scale_f64 v[222:223], vcc_lo, v[212:213], v[214:215], v[212:213]
	s_delay_alu instid0(VALU_DEP_2) | instskip(SKIP_2) | instid1(VALU_DEP_1)
	v_rcp_f64_e32 v[218:219], v[216:217]
	s_waitcnt_depctr 0xfff
	v_fma_f64 v[220:221], -v[216:217], v[218:219], 1.0
	v_fma_f64 v[218:219], v[218:219], v[220:221], v[218:219]
	s_delay_alu instid0(VALU_DEP_1) | instskip(NEXT) | instid1(VALU_DEP_1)
	v_fma_f64 v[220:221], -v[216:217], v[218:219], 1.0
	v_fma_f64 v[218:219], v[218:219], v[220:221], v[218:219]
	s_delay_alu instid0(VALU_DEP_1) | instskip(NEXT) | instid1(VALU_DEP_1)
	v_mul_f64 v[220:221], v[222:223], v[218:219]
	v_fma_f64 v[216:217], -v[216:217], v[220:221], v[222:223]
	s_delay_alu instid0(VALU_DEP_1) | instskip(NEXT) | instid1(VALU_DEP_1)
	v_div_fmas_f64 v[216:217], v[216:217], v[218:219], v[220:221]
	v_div_fixup_f64 v[216:217], v[216:217], v[214:215], v[212:213]
	s_delay_alu instid0(VALU_DEP_1) | instskip(NEXT) | instid1(VALU_DEP_1)
	v_fma_f64 v[212:213], v[212:213], v[216:217], v[214:215]
	v_div_scale_f64 v[214:215], null, v[212:213], v[212:213], 1.0
	s_delay_alu instid0(VALU_DEP_1) | instskip(SKIP_2) | instid1(VALU_DEP_1)
	v_rcp_f64_e32 v[218:219], v[214:215]
	s_waitcnt_depctr 0xfff
	v_fma_f64 v[220:221], -v[214:215], v[218:219], 1.0
	v_fma_f64 v[218:219], v[218:219], v[220:221], v[218:219]
	s_delay_alu instid0(VALU_DEP_1) | instskip(NEXT) | instid1(VALU_DEP_1)
	v_fma_f64 v[220:221], -v[214:215], v[218:219], 1.0
	v_fma_f64 v[218:219], v[218:219], v[220:221], v[218:219]
	v_div_scale_f64 v[220:221], vcc_lo, 1.0, v[212:213], 1.0
	s_delay_alu instid0(VALU_DEP_1) | instskip(NEXT) | instid1(VALU_DEP_1)
	v_mul_f64 v[222:223], v[220:221], v[218:219]
	v_fma_f64 v[214:215], -v[214:215], v[222:223], v[220:221]
	s_delay_alu instid0(VALU_DEP_1) | instskip(NEXT) | instid1(VALU_DEP_1)
	v_div_fmas_f64 v[214:215], v[214:215], v[218:219], v[222:223]
	v_div_fixup_f64 v[218:219], v[214:215], v[212:213], 1.0
                                        ; implicit-def: $vgpr212_vgpr213
	s_delay_alu instid0(VALU_DEP_1)
	v_mul_f64 v[220:221], v[216:217], v[218:219]
	v_xor_b32_e32 v219, 0x80000000, v219
.LBB105_95:
	s_and_not1_saveexec_b32 s3, s3
	s_cbranch_execz .LBB105_97
; %bb.96:
	v_div_scale_f64 v[216:217], null, v[212:213], v[212:213], v[214:215]
	v_div_scale_f64 v[222:223], vcc_lo, v[214:215], v[212:213], v[214:215]
	s_delay_alu instid0(VALU_DEP_2) | instskip(SKIP_2) | instid1(VALU_DEP_1)
	v_rcp_f64_e32 v[218:219], v[216:217]
	s_waitcnt_depctr 0xfff
	v_fma_f64 v[220:221], -v[216:217], v[218:219], 1.0
	v_fma_f64 v[218:219], v[218:219], v[220:221], v[218:219]
	s_delay_alu instid0(VALU_DEP_1) | instskip(NEXT) | instid1(VALU_DEP_1)
	v_fma_f64 v[220:221], -v[216:217], v[218:219], 1.0
	v_fma_f64 v[218:219], v[218:219], v[220:221], v[218:219]
	s_delay_alu instid0(VALU_DEP_1) | instskip(NEXT) | instid1(VALU_DEP_1)
	v_mul_f64 v[220:221], v[222:223], v[218:219]
	v_fma_f64 v[216:217], -v[216:217], v[220:221], v[222:223]
	s_delay_alu instid0(VALU_DEP_1) | instskip(NEXT) | instid1(VALU_DEP_1)
	v_div_fmas_f64 v[216:217], v[216:217], v[218:219], v[220:221]
	v_div_fixup_f64 v[216:217], v[216:217], v[212:213], v[214:215]
	s_delay_alu instid0(VALU_DEP_1) | instskip(NEXT) | instid1(VALU_DEP_1)
	v_fma_f64 v[212:213], v[214:215], v[216:217], v[212:213]
	v_div_scale_f64 v[214:215], null, v[212:213], v[212:213], 1.0
	s_delay_alu instid0(VALU_DEP_1) | instskip(SKIP_2) | instid1(VALU_DEP_1)
	v_rcp_f64_e32 v[218:219], v[214:215]
	s_waitcnt_depctr 0xfff
	v_fma_f64 v[220:221], -v[214:215], v[218:219], 1.0
	v_fma_f64 v[218:219], v[218:219], v[220:221], v[218:219]
	s_delay_alu instid0(VALU_DEP_1) | instskip(NEXT) | instid1(VALU_DEP_1)
	v_fma_f64 v[220:221], -v[214:215], v[218:219], 1.0
	v_fma_f64 v[218:219], v[218:219], v[220:221], v[218:219]
	v_div_scale_f64 v[220:221], vcc_lo, 1.0, v[212:213], 1.0
	s_delay_alu instid0(VALU_DEP_1) | instskip(NEXT) | instid1(VALU_DEP_1)
	v_mul_f64 v[222:223], v[220:221], v[218:219]
	v_fma_f64 v[214:215], -v[214:215], v[222:223], v[220:221]
	s_delay_alu instid0(VALU_DEP_1) | instskip(NEXT) | instid1(VALU_DEP_1)
	v_div_fmas_f64 v[214:215], v[214:215], v[218:219], v[222:223]
	v_div_fixup_f64 v[220:221], v[214:215], v[212:213], 1.0
	s_delay_alu instid0(VALU_DEP_1)
	v_mul_f64 v[218:219], v[216:217], -v[220:221]
.LBB105_97:
	s_or_b32 exec_lo, exec_lo, s3
	ds_store_2addr_b64 v255, v[220:221], v[218:219] offset1:1
.LBB105_98:
	s_or_b32 exec_lo, exec_lo, s4
	s_waitcnt lgkmcnt(0)
	s_barrier
	buffer_gl0_inv
	ds_load_2addr_b64 v[212:215], v255 offset1:1
	s_mov_b32 s3, exec_lo
	s_waitcnt lgkmcnt(0)
	scratch_store_b128 off, v[212:215], off offset:600 ; 16-byte Folded Spill
	v_cmpx_lt_u32_e32 10, v205
	s_cbranch_execz .LBB105_100
; %bb.99:
	scratch_load_b128 v[214:217], off, off offset:600 ; 16-byte Folded Reload
	s_waitcnt vmcnt(0)
	v_mul_f64 v[212:213], v[216:217], v[170:171]
	v_mul_f64 v[170:171], v[214:215], v[170:171]
	s_delay_alu instid0(VALU_DEP_2) | instskip(NEXT) | instid1(VALU_DEP_2)
	v_fma_f64 v[212:213], v[214:215], v[168:169], -v[212:213]
	v_fma_f64 v[170:171], v[216:217], v[168:169], v[170:171]
	ds_load_2addr_b64 v[214:217], v250 offset0:22 offset1:23
	s_waitcnt lgkmcnt(0)
	v_mul_f64 v[168:169], v[216:217], v[170:171]
	s_delay_alu instid0(VALU_DEP_1) | instskip(SKIP_1) | instid1(VALU_DEP_2)
	v_fma_f64 v[168:169], v[214:215], v[212:213], -v[168:169]
	v_mul_f64 v[214:215], v[214:215], v[170:171]
	v_add_f64 v[164:165], v[164:165], -v[168:169]
	s_delay_alu instid0(VALU_DEP_2) | instskip(NEXT) | instid1(VALU_DEP_1)
	v_fma_f64 v[214:215], v[216:217], v[212:213], v[214:215]
	v_add_f64 v[166:167], v[166:167], -v[214:215]
	ds_load_2addr_b64 v[214:217], v250 offset0:24 offset1:25
	s_waitcnt lgkmcnt(0)
	v_mul_f64 v[168:169], v[216:217], v[170:171]
	s_delay_alu instid0(VALU_DEP_1) | instskip(SKIP_1) | instid1(VALU_DEP_2)
	v_fma_f64 v[168:169], v[214:215], v[212:213], -v[168:169]
	v_mul_f64 v[214:215], v[214:215], v[170:171]
	v_add_f64 v[160:161], v[160:161], -v[168:169]
	s_delay_alu instid0(VALU_DEP_2) | instskip(NEXT) | instid1(VALU_DEP_1)
	v_fma_f64 v[214:215], v[216:217], v[212:213], v[214:215]
	v_add_f64 v[162:163], v[162:163], -v[214:215]
	;; [unrolled: 10-line block ×41, first 2 shown]
	ds_load_2addr_b64 v[214:217], v250 offset0:104 offset1:105
	s_waitcnt lgkmcnt(0)
	v_mul_f64 v[168:169], v[216:217], v[170:171]
	s_delay_alu instid0(VALU_DEP_1) | instskip(SKIP_1) | instid1(VALU_DEP_2)
	v_fma_f64 v[168:169], v[214:215], v[212:213], -v[168:169]
	v_mul_f64 v[214:215], v[214:215], v[170:171]
	v_add_f64 v[0:1], v[0:1], -v[168:169]
	s_delay_alu instid0(VALU_DEP_2) | instskip(SKIP_1) | instid1(VALU_DEP_2)
	v_fma_f64 v[214:215], v[216:217], v[212:213], v[214:215]
	v_dual_mov_b32 v168, v212 :: v_dual_mov_b32 v169, v213
	v_add_f64 v[2:3], v[2:3], -v[214:215]
.LBB105_100:
	s_or_b32 exec_lo, exec_lo, s3
	s_delay_alu instid0(SALU_CYCLE_1)
	s_mov_b32 s4, exec_lo
	s_waitcnt_vscnt null, 0x0
	s_barrier
	buffer_gl0_inv
	v_cmpx_eq_u32_e32 11, v205
	s_cbranch_execz .LBB105_107
; %bb.101:
	ds_store_2addr_b64 v255, v[164:165], v[166:167] offset1:1
	ds_store_2addr_b64 v250, v[160:161], v[162:163] offset0:24 offset1:25
	ds_store_2addr_b64 v250, v[156:157], v[158:159] offset0:26 offset1:27
	;; [unrolled: 1-line block ×41, first 2 shown]
	ds_load_2addr_b64 v[212:215], v255 offset1:1
	s_waitcnt lgkmcnt(0)
	v_cmp_neq_f64_e32 vcc_lo, 0, v[212:213]
	v_cmp_neq_f64_e64 s3, 0, v[214:215]
	s_delay_alu instid0(VALU_DEP_1) | instskip(NEXT) | instid1(SALU_CYCLE_1)
	s_or_b32 s3, vcc_lo, s3
	s_and_b32 exec_lo, exec_lo, s3
	s_cbranch_execz .LBB105_107
; %bb.102:
	v_cmp_gt_f64_e32 vcc_lo, 0, v[212:213]
	v_xor_b32_e32 v204, 0x80000000, v213
	s_mov_b32 s3, exec_lo
                                        ; implicit-def: $vgpr220_vgpr221
	s_delay_alu instid0(VALU_DEP_1) | instskip(SKIP_3) | instid1(VALU_DEP_1)
	v_cndmask_b32_e32 v217, v213, v204, vcc_lo
	v_cndmask_b32_e32 v216, v212, v212, vcc_lo
	v_cmp_gt_f64_e32 vcc_lo, 0, v[214:215]
	v_xor_b32_e32 v204, 0x80000000, v215
	v_dual_cndmask_b32 v218, v214, v214 :: v_dual_cndmask_b32 v219, v215, v204
	s_delay_alu instid0(VALU_DEP_1)
	v_cmpx_ngt_f64_e32 v[216:217], v[218:219]
	s_xor_b32 s3, exec_lo, s3
                                        ; implicit-def: $vgpr216_vgpr217_vgpr218_vgpr219
	s_cbranch_execz .LBB105_104
; %bb.103:
	v_div_scale_f64 v[216:217], null, v[214:215], v[214:215], v[212:213]
	v_div_scale_f64 v[222:223], vcc_lo, v[212:213], v[214:215], v[212:213]
	s_delay_alu instid0(VALU_DEP_2) | instskip(SKIP_2) | instid1(VALU_DEP_1)
	v_rcp_f64_e32 v[218:219], v[216:217]
	s_waitcnt_depctr 0xfff
	v_fma_f64 v[220:221], -v[216:217], v[218:219], 1.0
	v_fma_f64 v[218:219], v[218:219], v[220:221], v[218:219]
	s_delay_alu instid0(VALU_DEP_1) | instskip(NEXT) | instid1(VALU_DEP_1)
	v_fma_f64 v[220:221], -v[216:217], v[218:219], 1.0
	v_fma_f64 v[218:219], v[218:219], v[220:221], v[218:219]
	s_delay_alu instid0(VALU_DEP_1) | instskip(NEXT) | instid1(VALU_DEP_1)
	v_mul_f64 v[220:221], v[222:223], v[218:219]
	v_fma_f64 v[216:217], -v[216:217], v[220:221], v[222:223]
	s_delay_alu instid0(VALU_DEP_1) | instskip(NEXT) | instid1(VALU_DEP_1)
	v_div_fmas_f64 v[216:217], v[216:217], v[218:219], v[220:221]
	v_div_fixup_f64 v[216:217], v[216:217], v[214:215], v[212:213]
	s_delay_alu instid0(VALU_DEP_1) | instskip(NEXT) | instid1(VALU_DEP_1)
	v_fma_f64 v[212:213], v[212:213], v[216:217], v[214:215]
	v_div_scale_f64 v[214:215], null, v[212:213], v[212:213], 1.0
	s_delay_alu instid0(VALU_DEP_1) | instskip(SKIP_2) | instid1(VALU_DEP_1)
	v_rcp_f64_e32 v[218:219], v[214:215]
	s_waitcnt_depctr 0xfff
	v_fma_f64 v[220:221], -v[214:215], v[218:219], 1.0
	v_fma_f64 v[218:219], v[218:219], v[220:221], v[218:219]
	s_delay_alu instid0(VALU_DEP_1) | instskip(NEXT) | instid1(VALU_DEP_1)
	v_fma_f64 v[220:221], -v[214:215], v[218:219], 1.0
	v_fma_f64 v[218:219], v[218:219], v[220:221], v[218:219]
	v_div_scale_f64 v[220:221], vcc_lo, 1.0, v[212:213], 1.0
	s_delay_alu instid0(VALU_DEP_1) | instskip(NEXT) | instid1(VALU_DEP_1)
	v_mul_f64 v[222:223], v[220:221], v[218:219]
	v_fma_f64 v[214:215], -v[214:215], v[222:223], v[220:221]
	s_delay_alu instid0(VALU_DEP_1) | instskip(NEXT) | instid1(VALU_DEP_1)
	v_div_fmas_f64 v[214:215], v[214:215], v[218:219], v[222:223]
	v_div_fixup_f64 v[218:219], v[214:215], v[212:213], 1.0
                                        ; implicit-def: $vgpr212_vgpr213
	s_delay_alu instid0(VALU_DEP_1)
	v_mul_f64 v[220:221], v[216:217], v[218:219]
	v_xor_b32_e32 v219, 0x80000000, v219
.LBB105_104:
	s_and_not1_saveexec_b32 s3, s3
	s_cbranch_execz .LBB105_106
; %bb.105:
	v_div_scale_f64 v[216:217], null, v[212:213], v[212:213], v[214:215]
	v_div_scale_f64 v[222:223], vcc_lo, v[214:215], v[212:213], v[214:215]
	s_delay_alu instid0(VALU_DEP_2) | instskip(SKIP_2) | instid1(VALU_DEP_1)
	v_rcp_f64_e32 v[218:219], v[216:217]
	s_waitcnt_depctr 0xfff
	v_fma_f64 v[220:221], -v[216:217], v[218:219], 1.0
	v_fma_f64 v[218:219], v[218:219], v[220:221], v[218:219]
	s_delay_alu instid0(VALU_DEP_1) | instskip(NEXT) | instid1(VALU_DEP_1)
	v_fma_f64 v[220:221], -v[216:217], v[218:219], 1.0
	v_fma_f64 v[218:219], v[218:219], v[220:221], v[218:219]
	s_delay_alu instid0(VALU_DEP_1) | instskip(NEXT) | instid1(VALU_DEP_1)
	v_mul_f64 v[220:221], v[222:223], v[218:219]
	v_fma_f64 v[216:217], -v[216:217], v[220:221], v[222:223]
	s_delay_alu instid0(VALU_DEP_1) | instskip(NEXT) | instid1(VALU_DEP_1)
	v_div_fmas_f64 v[216:217], v[216:217], v[218:219], v[220:221]
	v_div_fixup_f64 v[216:217], v[216:217], v[212:213], v[214:215]
	s_delay_alu instid0(VALU_DEP_1) | instskip(NEXT) | instid1(VALU_DEP_1)
	v_fma_f64 v[212:213], v[214:215], v[216:217], v[212:213]
	v_div_scale_f64 v[214:215], null, v[212:213], v[212:213], 1.0
	s_delay_alu instid0(VALU_DEP_1) | instskip(SKIP_2) | instid1(VALU_DEP_1)
	v_rcp_f64_e32 v[218:219], v[214:215]
	s_waitcnt_depctr 0xfff
	v_fma_f64 v[220:221], -v[214:215], v[218:219], 1.0
	v_fma_f64 v[218:219], v[218:219], v[220:221], v[218:219]
	s_delay_alu instid0(VALU_DEP_1) | instskip(NEXT) | instid1(VALU_DEP_1)
	v_fma_f64 v[220:221], -v[214:215], v[218:219], 1.0
	v_fma_f64 v[218:219], v[218:219], v[220:221], v[218:219]
	v_div_scale_f64 v[220:221], vcc_lo, 1.0, v[212:213], 1.0
	s_delay_alu instid0(VALU_DEP_1) | instskip(NEXT) | instid1(VALU_DEP_1)
	v_mul_f64 v[222:223], v[220:221], v[218:219]
	v_fma_f64 v[214:215], -v[214:215], v[222:223], v[220:221]
	s_delay_alu instid0(VALU_DEP_1) | instskip(NEXT) | instid1(VALU_DEP_1)
	v_div_fmas_f64 v[214:215], v[214:215], v[218:219], v[222:223]
	v_div_fixup_f64 v[220:221], v[214:215], v[212:213], 1.0
	s_delay_alu instid0(VALU_DEP_1)
	v_mul_f64 v[218:219], v[216:217], -v[220:221]
.LBB105_106:
	s_or_b32 exec_lo, exec_lo, s3
	ds_store_2addr_b64 v255, v[220:221], v[218:219] offset1:1
.LBB105_107:
	s_or_b32 exec_lo, exec_lo, s4
	s_waitcnt lgkmcnt(0)
	s_barrier
	buffer_gl0_inv
	ds_load_2addr_b64 v[212:215], v255 offset1:1
	s_mov_b32 s3, exec_lo
	s_waitcnt lgkmcnt(0)
	scratch_store_b128 off, v[212:215], off offset:616 ; 16-byte Folded Spill
	v_cmpx_lt_u32_e32 11, v205
	s_cbranch_execz .LBB105_109
; %bb.108:
	scratch_load_b128 v[214:217], off, off offset:616 ; 16-byte Folded Reload
	s_waitcnt vmcnt(0)
	v_mul_f64 v[212:213], v[216:217], v[166:167]
	v_mul_f64 v[166:167], v[214:215], v[166:167]
	s_delay_alu instid0(VALU_DEP_2) | instskip(NEXT) | instid1(VALU_DEP_2)
	v_fma_f64 v[212:213], v[214:215], v[164:165], -v[212:213]
	v_fma_f64 v[166:167], v[216:217], v[164:165], v[166:167]
	ds_load_2addr_b64 v[214:217], v250 offset0:24 offset1:25
	s_waitcnt lgkmcnt(0)
	v_mul_f64 v[164:165], v[216:217], v[166:167]
	s_delay_alu instid0(VALU_DEP_1) | instskip(SKIP_1) | instid1(VALU_DEP_2)
	v_fma_f64 v[164:165], v[214:215], v[212:213], -v[164:165]
	v_mul_f64 v[214:215], v[214:215], v[166:167]
	v_add_f64 v[160:161], v[160:161], -v[164:165]
	s_delay_alu instid0(VALU_DEP_2) | instskip(NEXT) | instid1(VALU_DEP_1)
	v_fma_f64 v[214:215], v[216:217], v[212:213], v[214:215]
	v_add_f64 v[162:163], v[162:163], -v[214:215]
	ds_load_2addr_b64 v[214:217], v250 offset0:26 offset1:27
	s_waitcnt lgkmcnt(0)
	v_mul_f64 v[164:165], v[216:217], v[166:167]
	s_delay_alu instid0(VALU_DEP_1) | instskip(SKIP_1) | instid1(VALU_DEP_2)
	v_fma_f64 v[164:165], v[214:215], v[212:213], -v[164:165]
	v_mul_f64 v[214:215], v[214:215], v[166:167]
	v_add_f64 v[156:157], v[156:157], -v[164:165]
	s_delay_alu instid0(VALU_DEP_2) | instskip(NEXT) | instid1(VALU_DEP_1)
	v_fma_f64 v[214:215], v[216:217], v[212:213], v[214:215]
	v_add_f64 v[158:159], v[158:159], -v[214:215]
	;; [unrolled: 10-line block ×40, first 2 shown]
	ds_load_2addr_b64 v[214:217], v250 offset0:104 offset1:105
	s_waitcnt lgkmcnt(0)
	v_mul_f64 v[164:165], v[216:217], v[166:167]
	s_delay_alu instid0(VALU_DEP_1) | instskip(SKIP_1) | instid1(VALU_DEP_2)
	v_fma_f64 v[164:165], v[214:215], v[212:213], -v[164:165]
	v_mul_f64 v[214:215], v[214:215], v[166:167]
	v_add_f64 v[0:1], v[0:1], -v[164:165]
	s_delay_alu instid0(VALU_DEP_2) | instskip(SKIP_1) | instid1(VALU_DEP_2)
	v_fma_f64 v[214:215], v[216:217], v[212:213], v[214:215]
	v_dual_mov_b32 v164, v212 :: v_dual_mov_b32 v165, v213
	v_add_f64 v[2:3], v[2:3], -v[214:215]
.LBB105_109:
	s_or_b32 exec_lo, exec_lo, s3
	s_delay_alu instid0(SALU_CYCLE_1)
	s_mov_b32 s4, exec_lo
	s_waitcnt_vscnt null, 0x0
	s_barrier
	buffer_gl0_inv
	v_cmpx_eq_u32_e32 12, v205
	s_cbranch_execz .LBB105_116
; %bb.110:
	ds_store_2addr_b64 v255, v[160:161], v[162:163] offset1:1
	ds_store_2addr_b64 v250, v[156:157], v[158:159] offset0:26 offset1:27
	ds_store_2addr_b64 v250, v[152:153], v[154:155] offset0:28 offset1:29
	;; [unrolled: 1-line block ×40, first 2 shown]
	ds_load_2addr_b64 v[212:215], v255 offset1:1
	s_waitcnt lgkmcnt(0)
	v_cmp_neq_f64_e32 vcc_lo, 0, v[212:213]
	v_cmp_neq_f64_e64 s3, 0, v[214:215]
	s_delay_alu instid0(VALU_DEP_1) | instskip(NEXT) | instid1(SALU_CYCLE_1)
	s_or_b32 s3, vcc_lo, s3
	s_and_b32 exec_lo, exec_lo, s3
	s_cbranch_execz .LBB105_116
; %bb.111:
	v_cmp_gt_f64_e32 vcc_lo, 0, v[212:213]
	v_xor_b32_e32 v204, 0x80000000, v213
	s_mov_b32 s3, exec_lo
                                        ; implicit-def: $vgpr220_vgpr221
	s_delay_alu instid0(VALU_DEP_1) | instskip(SKIP_3) | instid1(VALU_DEP_1)
	v_cndmask_b32_e32 v217, v213, v204, vcc_lo
	v_cndmask_b32_e32 v216, v212, v212, vcc_lo
	v_cmp_gt_f64_e32 vcc_lo, 0, v[214:215]
	v_xor_b32_e32 v204, 0x80000000, v215
	v_dual_cndmask_b32 v218, v214, v214 :: v_dual_cndmask_b32 v219, v215, v204
	s_delay_alu instid0(VALU_DEP_1)
	v_cmpx_ngt_f64_e32 v[216:217], v[218:219]
	s_xor_b32 s3, exec_lo, s3
                                        ; implicit-def: $vgpr216_vgpr217_vgpr218_vgpr219
	s_cbranch_execz .LBB105_113
; %bb.112:
	v_div_scale_f64 v[216:217], null, v[214:215], v[214:215], v[212:213]
	v_div_scale_f64 v[222:223], vcc_lo, v[212:213], v[214:215], v[212:213]
	s_delay_alu instid0(VALU_DEP_2) | instskip(SKIP_2) | instid1(VALU_DEP_1)
	v_rcp_f64_e32 v[218:219], v[216:217]
	s_waitcnt_depctr 0xfff
	v_fma_f64 v[220:221], -v[216:217], v[218:219], 1.0
	v_fma_f64 v[218:219], v[218:219], v[220:221], v[218:219]
	s_delay_alu instid0(VALU_DEP_1) | instskip(NEXT) | instid1(VALU_DEP_1)
	v_fma_f64 v[220:221], -v[216:217], v[218:219], 1.0
	v_fma_f64 v[218:219], v[218:219], v[220:221], v[218:219]
	s_delay_alu instid0(VALU_DEP_1) | instskip(NEXT) | instid1(VALU_DEP_1)
	v_mul_f64 v[220:221], v[222:223], v[218:219]
	v_fma_f64 v[216:217], -v[216:217], v[220:221], v[222:223]
	s_delay_alu instid0(VALU_DEP_1) | instskip(NEXT) | instid1(VALU_DEP_1)
	v_div_fmas_f64 v[216:217], v[216:217], v[218:219], v[220:221]
	v_div_fixup_f64 v[216:217], v[216:217], v[214:215], v[212:213]
	s_delay_alu instid0(VALU_DEP_1) | instskip(NEXT) | instid1(VALU_DEP_1)
	v_fma_f64 v[212:213], v[212:213], v[216:217], v[214:215]
	v_div_scale_f64 v[214:215], null, v[212:213], v[212:213], 1.0
	s_delay_alu instid0(VALU_DEP_1) | instskip(SKIP_2) | instid1(VALU_DEP_1)
	v_rcp_f64_e32 v[218:219], v[214:215]
	s_waitcnt_depctr 0xfff
	v_fma_f64 v[220:221], -v[214:215], v[218:219], 1.0
	v_fma_f64 v[218:219], v[218:219], v[220:221], v[218:219]
	s_delay_alu instid0(VALU_DEP_1) | instskip(NEXT) | instid1(VALU_DEP_1)
	v_fma_f64 v[220:221], -v[214:215], v[218:219], 1.0
	v_fma_f64 v[218:219], v[218:219], v[220:221], v[218:219]
	v_div_scale_f64 v[220:221], vcc_lo, 1.0, v[212:213], 1.0
	s_delay_alu instid0(VALU_DEP_1) | instskip(NEXT) | instid1(VALU_DEP_1)
	v_mul_f64 v[222:223], v[220:221], v[218:219]
	v_fma_f64 v[214:215], -v[214:215], v[222:223], v[220:221]
	s_delay_alu instid0(VALU_DEP_1) | instskip(NEXT) | instid1(VALU_DEP_1)
	v_div_fmas_f64 v[214:215], v[214:215], v[218:219], v[222:223]
	v_div_fixup_f64 v[218:219], v[214:215], v[212:213], 1.0
                                        ; implicit-def: $vgpr212_vgpr213
	s_delay_alu instid0(VALU_DEP_1)
	v_mul_f64 v[220:221], v[216:217], v[218:219]
	v_xor_b32_e32 v219, 0x80000000, v219
.LBB105_113:
	s_and_not1_saveexec_b32 s3, s3
	s_cbranch_execz .LBB105_115
; %bb.114:
	v_div_scale_f64 v[216:217], null, v[212:213], v[212:213], v[214:215]
	v_div_scale_f64 v[222:223], vcc_lo, v[214:215], v[212:213], v[214:215]
	s_delay_alu instid0(VALU_DEP_2) | instskip(SKIP_2) | instid1(VALU_DEP_1)
	v_rcp_f64_e32 v[218:219], v[216:217]
	s_waitcnt_depctr 0xfff
	v_fma_f64 v[220:221], -v[216:217], v[218:219], 1.0
	v_fma_f64 v[218:219], v[218:219], v[220:221], v[218:219]
	s_delay_alu instid0(VALU_DEP_1) | instskip(NEXT) | instid1(VALU_DEP_1)
	v_fma_f64 v[220:221], -v[216:217], v[218:219], 1.0
	v_fma_f64 v[218:219], v[218:219], v[220:221], v[218:219]
	s_delay_alu instid0(VALU_DEP_1) | instskip(NEXT) | instid1(VALU_DEP_1)
	v_mul_f64 v[220:221], v[222:223], v[218:219]
	v_fma_f64 v[216:217], -v[216:217], v[220:221], v[222:223]
	s_delay_alu instid0(VALU_DEP_1) | instskip(NEXT) | instid1(VALU_DEP_1)
	v_div_fmas_f64 v[216:217], v[216:217], v[218:219], v[220:221]
	v_div_fixup_f64 v[216:217], v[216:217], v[212:213], v[214:215]
	s_delay_alu instid0(VALU_DEP_1) | instskip(NEXT) | instid1(VALU_DEP_1)
	v_fma_f64 v[212:213], v[214:215], v[216:217], v[212:213]
	v_div_scale_f64 v[214:215], null, v[212:213], v[212:213], 1.0
	s_delay_alu instid0(VALU_DEP_1) | instskip(SKIP_2) | instid1(VALU_DEP_1)
	v_rcp_f64_e32 v[218:219], v[214:215]
	s_waitcnt_depctr 0xfff
	v_fma_f64 v[220:221], -v[214:215], v[218:219], 1.0
	v_fma_f64 v[218:219], v[218:219], v[220:221], v[218:219]
	s_delay_alu instid0(VALU_DEP_1) | instskip(NEXT) | instid1(VALU_DEP_1)
	v_fma_f64 v[220:221], -v[214:215], v[218:219], 1.0
	v_fma_f64 v[218:219], v[218:219], v[220:221], v[218:219]
	v_div_scale_f64 v[220:221], vcc_lo, 1.0, v[212:213], 1.0
	s_delay_alu instid0(VALU_DEP_1) | instskip(NEXT) | instid1(VALU_DEP_1)
	v_mul_f64 v[222:223], v[220:221], v[218:219]
	v_fma_f64 v[214:215], -v[214:215], v[222:223], v[220:221]
	s_delay_alu instid0(VALU_DEP_1) | instskip(NEXT) | instid1(VALU_DEP_1)
	v_div_fmas_f64 v[214:215], v[214:215], v[218:219], v[222:223]
	v_div_fixup_f64 v[220:221], v[214:215], v[212:213], 1.0
	s_delay_alu instid0(VALU_DEP_1)
	v_mul_f64 v[218:219], v[216:217], -v[220:221]
.LBB105_115:
	s_or_b32 exec_lo, exec_lo, s3
	ds_store_2addr_b64 v255, v[220:221], v[218:219] offset1:1
.LBB105_116:
	s_or_b32 exec_lo, exec_lo, s4
	s_waitcnt lgkmcnt(0)
	s_barrier
	buffer_gl0_inv
	ds_load_2addr_b64 v[212:215], v255 offset1:1
	s_mov_b32 s3, exec_lo
	s_waitcnt lgkmcnt(0)
	scratch_store_b128 off, v[212:215], off offset:632 ; 16-byte Folded Spill
	v_cmpx_lt_u32_e32 12, v205
	s_cbranch_execz .LBB105_118
; %bb.117:
	scratch_load_b128 v[214:217], off, off offset:632 ; 16-byte Folded Reload
	s_waitcnt vmcnt(0)
	v_mul_f64 v[212:213], v[216:217], v[162:163]
	v_mul_f64 v[162:163], v[214:215], v[162:163]
	s_delay_alu instid0(VALU_DEP_2) | instskip(NEXT) | instid1(VALU_DEP_2)
	v_fma_f64 v[212:213], v[214:215], v[160:161], -v[212:213]
	v_fma_f64 v[162:163], v[216:217], v[160:161], v[162:163]
	ds_load_2addr_b64 v[214:217], v250 offset0:26 offset1:27
	s_waitcnt lgkmcnt(0)
	v_mul_f64 v[160:161], v[216:217], v[162:163]
	s_delay_alu instid0(VALU_DEP_1) | instskip(SKIP_1) | instid1(VALU_DEP_2)
	v_fma_f64 v[160:161], v[214:215], v[212:213], -v[160:161]
	v_mul_f64 v[214:215], v[214:215], v[162:163]
	v_add_f64 v[156:157], v[156:157], -v[160:161]
	s_delay_alu instid0(VALU_DEP_2) | instskip(NEXT) | instid1(VALU_DEP_1)
	v_fma_f64 v[214:215], v[216:217], v[212:213], v[214:215]
	v_add_f64 v[158:159], v[158:159], -v[214:215]
	ds_load_2addr_b64 v[214:217], v250 offset0:28 offset1:29
	s_waitcnt lgkmcnt(0)
	v_mul_f64 v[160:161], v[216:217], v[162:163]
	s_delay_alu instid0(VALU_DEP_1) | instskip(SKIP_1) | instid1(VALU_DEP_2)
	v_fma_f64 v[160:161], v[214:215], v[212:213], -v[160:161]
	v_mul_f64 v[214:215], v[214:215], v[162:163]
	v_add_f64 v[152:153], v[152:153], -v[160:161]
	s_delay_alu instid0(VALU_DEP_2) | instskip(NEXT) | instid1(VALU_DEP_1)
	v_fma_f64 v[214:215], v[216:217], v[212:213], v[214:215]
	v_add_f64 v[154:155], v[154:155], -v[214:215]
	;; [unrolled: 10-line block ×39, first 2 shown]
	ds_load_2addr_b64 v[214:217], v250 offset0:104 offset1:105
	s_waitcnt lgkmcnt(0)
	v_mul_f64 v[160:161], v[216:217], v[162:163]
	s_delay_alu instid0(VALU_DEP_1) | instskip(SKIP_1) | instid1(VALU_DEP_2)
	v_fma_f64 v[160:161], v[214:215], v[212:213], -v[160:161]
	v_mul_f64 v[214:215], v[214:215], v[162:163]
	v_add_f64 v[0:1], v[0:1], -v[160:161]
	s_delay_alu instid0(VALU_DEP_2) | instskip(SKIP_1) | instid1(VALU_DEP_2)
	v_fma_f64 v[214:215], v[216:217], v[212:213], v[214:215]
	v_dual_mov_b32 v160, v212 :: v_dual_mov_b32 v161, v213
	v_add_f64 v[2:3], v[2:3], -v[214:215]
.LBB105_118:
	s_or_b32 exec_lo, exec_lo, s3
	s_delay_alu instid0(SALU_CYCLE_1)
	s_mov_b32 s4, exec_lo
	s_waitcnt_vscnt null, 0x0
	s_barrier
	buffer_gl0_inv
	v_cmpx_eq_u32_e32 13, v205
	s_cbranch_execz .LBB105_125
; %bb.119:
	ds_store_2addr_b64 v255, v[156:157], v[158:159] offset1:1
	ds_store_2addr_b64 v250, v[152:153], v[154:155] offset0:28 offset1:29
	ds_store_2addr_b64 v250, v[148:149], v[150:151] offset0:30 offset1:31
	;; [unrolled: 1-line block ×39, first 2 shown]
	ds_load_2addr_b64 v[212:215], v255 offset1:1
	s_waitcnt lgkmcnt(0)
	v_cmp_neq_f64_e32 vcc_lo, 0, v[212:213]
	v_cmp_neq_f64_e64 s3, 0, v[214:215]
	s_delay_alu instid0(VALU_DEP_1) | instskip(NEXT) | instid1(SALU_CYCLE_1)
	s_or_b32 s3, vcc_lo, s3
	s_and_b32 exec_lo, exec_lo, s3
	s_cbranch_execz .LBB105_125
; %bb.120:
	v_cmp_gt_f64_e32 vcc_lo, 0, v[212:213]
	v_xor_b32_e32 v204, 0x80000000, v213
	s_mov_b32 s3, exec_lo
                                        ; implicit-def: $vgpr220_vgpr221
	s_delay_alu instid0(VALU_DEP_1) | instskip(SKIP_3) | instid1(VALU_DEP_1)
	v_cndmask_b32_e32 v217, v213, v204, vcc_lo
	v_cndmask_b32_e32 v216, v212, v212, vcc_lo
	v_cmp_gt_f64_e32 vcc_lo, 0, v[214:215]
	v_xor_b32_e32 v204, 0x80000000, v215
	v_dual_cndmask_b32 v218, v214, v214 :: v_dual_cndmask_b32 v219, v215, v204
	s_delay_alu instid0(VALU_DEP_1)
	v_cmpx_ngt_f64_e32 v[216:217], v[218:219]
	s_xor_b32 s3, exec_lo, s3
                                        ; implicit-def: $vgpr216_vgpr217_vgpr218_vgpr219
	s_cbranch_execz .LBB105_122
; %bb.121:
	v_div_scale_f64 v[216:217], null, v[214:215], v[214:215], v[212:213]
	v_div_scale_f64 v[222:223], vcc_lo, v[212:213], v[214:215], v[212:213]
	s_delay_alu instid0(VALU_DEP_2) | instskip(SKIP_2) | instid1(VALU_DEP_1)
	v_rcp_f64_e32 v[218:219], v[216:217]
	s_waitcnt_depctr 0xfff
	v_fma_f64 v[220:221], -v[216:217], v[218:219], 1.0
	v_fma_f64 v[218:219], v[218:219], v[220:221], v[218:219]
	s_delay_alu instid0(VALU_DEP_1) | instskip(NEXT) | instid1(VALU_DEP_1)
	v_fma_f64 v[220:221], -v[216:217], v[218:219], 1.0
	v_fma_f64 v[218:219], v[218:219], v[220:221], v[218:219]
	s_delay_alu instid0(VALU_DEP_1) | instskip(NEXT) | instid1(VALU_DEP_1)
	v_mul_f64 v[220:221], v[222:223], v[218:219]
	v_fma_f64 v[216:217], -v[216:217], v[220:221], v[222:223]
	s_delay_alu instid0(VALU_DEP_1) | instskip(NEXT) | instid1(VALU_DEP_1)
	v_div_fmas_f64 v[216:217], v[216:217], v[218:219], v[220:221]
	v_div_fixup_f64 v[216:217], v[216:217], v[214:215], v[212:213]
	s_delay_alu instid0(VALU_DEP_1) | instskip(NEXT) | instid1(VALU_DEP_1)
	v_fma_f64 v[212:213], v[212:213], v[216:217], v[214:215]
	v_div_scale_f64 v[214:215], null, v[212:213], v[212:213], 1.0
	s_delay_alu instid0(VALU_DEP_1) | instskip(SKIP_2) | instid1(VALU_DEP_1)
	v_rcp_f64_e32 v[218:219], v[214:215]
	s_waitcnt_depctr 0xfff
	v_fma_f64 v[220:221], -v[214:215], v[218:219], 1.0
	v_fma_f64 v[218:219], v[218:219], v[220:221], v[218:219]
	s_delay_alu instid0(VALU_DEP_1) | instskip(NEXT) | instid1(VALU_DEP_1)
	v_fma_f64 v[220:221], -v[214:215], v[218:219], 1.0
	v_fma_f64 v[218:219], v[218:219], v[220:221], v[218:219]
	v_div_scale_f64 v[220:221], vcc_lo, 1.0, v[212:213], 1.0
	s_delay_alu instid0(VALU_DEP_1) | instskip(NEXT) | instid1(VALU_DEP_1)
	v_mul_f64 v[222:223], v[220:221], v[218:219]
	v_fma_f64 v[214:215], -v[214:215], v[222:223], v[220:221]
	s_delay_alu instid0(VALU_DEP_1) | instskip(NEXT) | instid1(VALU_DEP_1)
	v_div_fmas_f64 v[214:215], v[214:215], v[218:219], v[222:223]
	v_div_fixup_f64 v[218:219], v[214:215], v[212:213], 1.0
                                        ; implicit-def: $vgpr212_vgpr213
	s_delay_alu instid0(VALU_DEP_1)
	v_mul_f64 v[220:221], v[216:217], v[218:219]
	v_xor_b32_e32 v219, 0x80000000, v219
.LBB105_122:
	s_and_not1_saveexec_b32 s3, s3
	s_cbranch_execz .LBB105_124
; %bb.123:
	v_div_scale_f64 v[216:217], null, v[212:213], v[212:213], v[214:215]
	v_div_scale_f64 v[222:223], vcc_lo, v[214:215], v[212:213], v[214:215]
	s_delay_alu instid0(VALU_DEP_2) | instskip(SKIP_2) | instid1(VALU_DEP_1)
	v_rcp_f64_e32 v[218:219], v[216:217]
	s_waitcnt_depctr 0xfff
	v_fma_f64 v[220:221], -v[216:217], v[218:219], 1.0
	v_fma_f64 v[218:219], v[218:219], v[220:221], v[218:219]
	s_delay_alu instid0(VALU_DEP_1) | instskip(NEXT) | instid1(VALU_DEP_1)
	v_fma_f64 v[220:221], -v[216:217], v[218:219], 1.0
	v_fma_f64 v[218:219], v[218:219], v[220:221], v[218:219]
	s_delay_alu instid0(VALU_DEP_1) | instskip(NEXT) | instid1(VALU_DEP_1)
	v_mul_f64 v[220:221], v[222:223], v[218:219]
	v_fma_f64 v[216:217], -v[216:217], v[220:221], v[222:223]
	s_delay_alu instid0(VALU_DEP_1) | instskip(NEXT) | instid1(VALU_DEP_1)
	v_div_fmas_f64 v[216:217], v[216:217], v[218:219], v[220:221]
	v_div_fixup_f64 v[216:217], v[216:217], v[212:213], v[214:215]
	s_delay_alu instid0(VALU_DEP_1) | instskip(NEXT) | instid1(VALU_DEP_1)
	v_fma_f64 v[212:213], v[214:215], v[216:217], v[212:213]
	v_div_scale_f64 v[214:215], null, v[212:213], v[212:213], 1.0
	s_delay_alu instid0(VALU_DEP_1) | instskip(SKIP_2) | instid1(VALU_DEP_1)
	v_rcp_f64_e32 v[218:219], v[214:215]
	s_waitcnt_depctr 0xfff
	v_fma_f64 v[220:221], -v[214:215], v[218:219], 1.0
	v_fma_f64 v[218:219], v[218:219], v[220:221], v[218:219]
	s_delay_alu instid0(VALU_DEP_1) | instskip(NEXT) | instid1(VALU_DEP_1)
	v_fma_f64 v[220:221], -v[214:215], v[218:219], 1.0
	v_fma_f64 v[218:219], v[218:219], v[220:221], v[218:219]
	v_div_scale_f64 v[220:221], vcc_lo, 1.0, v[212:213], 1.0
	s_delay_alu instid0(VALU_DEP_1) | instskip(NEXT) | instid1(VALU_DEP_1)
	v_mul_f64 v[222:223], v[220:221], v[218:219]
	v_fma_f64 v[214:215], -v[214:215], v[222:223], v[220:221]
	s_delay_alu instid0(VALU_DEP_1) | instskip(NEXT) | instid1(VALU_DEP_1)
	v_div_fmas_f64 v[214:215], v[214:215], v[218:219], v[222:223]
	v_div_fixup_f64 v[220:221], v[214:215], v[212:213], 1.0
	s_delay_alu instid0(VALU_DEP_1)
	v_mul_f64 v[218:219], v[216:217], -v[220:221]
.LBB105_124:
	s_or_b32 exec_lo, exec_lo, s3
	ds_store_2addr_b64 v255, v[220:221], v[218:219] offset1:1
.LBB105_125:
	s_or_b32 exec_lo, exec_lo, s4
	s_waitcnt lgkmcnt(0)
	s_barrier
	buffer_gl0_inv
	ds_load_2addr_b64 v[212:215], v255 offset1:1
	s_mov_b32 s3, exec_lo
	s_waitcnt lgkmcnt(0)
	scratch_store_b128 off, v[212:215], off offset:648 ; 16-byte Folded Spill
	v_cmpx_lt_u32_e32 13, v205
	s_cbranch_execz .LBB105_127
; %bb.126:
	scratch_load_b128 v[214:217], off, off offset:648 ; 16-byte Folded Reload
	s_waitcnt vmcnt(0)
	v_mul_f64 v[212:213], v[216:217], v[158:159]
	v_mul_f64 v[158:159], v[214:215], v[158:159]
	s_delay_alu instid0(VALU_DEP_2) | instskip(NEXT) | instid1(VALU_DEP_2)
	v_fma_f64 v[212:213], v[214:215], v[156:157], -v[212:213]
	v_fma_f64 v[158:159], v[216:217], v[156:157], v[158:159]
	ds_load_2addr_b64 v[214:217], v250 offset0:28 offset1:29
	s_waitcnt lgkmcnt(0)
	v_mul_f64 v[156:157], v[216:217], v[158:159]
	s_delay_alu instid0(VALU_DEP_1) | instskip(SKIP_1) | instid1(VALU_DEP_2)
	v_fma_f64 v[156:157], v[214:215], v[212:213], -v[156:157]
	v_mul_f64 v[214:215], v[214:215], v[158:159]
	v_add_f64 v[152:153], v[152:153], -v[156:157]
	s_delay_alu instid0(VALU_DEP_2) | instskip(NEXT) | instid1(VALU_DEP_1)
	v_fma_f64 v[214:215], v[216:217], v[212:213], v[214:215]
	v_add_f64 v[154:155], v[154:155], -v[214:215]
	ds_load_2addr_b64 v[214:217], v250 offset0:30 offset1:31
	s_waitcnt lgkmcnt(0)
	v_mul_f64 v[156:157], v[216:217], v[158:159]
	s_delay_alu instid0(VALU_DEP_1) | instskip(SKIP_1) | instid1(VALU_DEP_2)
	v_fma_f64 v[156:157], v[214:215], v[212:213], -v[156:157]
	v_mul_f64 v[214:215], v[214:215], v[158:159]
	v_add_f64 v[148:149], v[148:149], -v[156:157]
	s_delay_alu instid0(VALU_DEP_2) | instskip(NEXT) | instid1(VALU_DEP_1)
	v_fma_f64 v[214:215], v[216:217], v[212:213], v[214:215]
	v_add_f64 v[150:151], v[150:151], -v[214:215]
	;; [unrolled: 10-line block ×38, first 2 shown]
	ds_load_2addr_b64 v[214:217], v250 offset0:104 offset1:105
	s_waitcnt lgkmcnt(0)
	v_mul_f64 v[156:157], v[216:217], v[158:159]
	s_delay_alu instid0(VALU_DEP_1) | instskip(SKIP_1) | instid1(VALU_DEP_2)
	v_fma_f64 v[156:157], v[214:215], v[212:213], -v[156:157]
	v_mul_f64 v[214:215], v[214:215], v[158:159]
	v_add_f64 v[0:1], v[0:1], -v[156:157]
	s_delay_alu instid0(VALU_DEP_2) | instskip(SKIP_1) | instid1(VALU_DEP_2)
	v_fma_f64 v[214:215], v[216:217], v[212:213], v[214:215]
	v_dual_mov_b32 v156, v212 :: v_dual_mov_b32 v157, v213
	v_add_f64 v[2:3], v[2:3], -v[214:215]
.LBB105_127:
	s_or_b32 exec_lo, exec_lo, s3
	s_delay_alu instid0(SALU_CYCLE_1)
	s_mov_b32 s4, exec_lo
	s_waitcnt_vscnt null, 0x0
	s_barrier
	buffer_gl0_inv
	v_cmpx_eq_u32_e32 14, v205
	s_cbranch_execz .LBB105_134
; %bb.128:
	ds_store_2addr_b64 v255, v[152:153], v[154:155] offset1:1
	ds_store_2addr_b64 v250, v[148:149], v[150:151] offset0:30 offset1:31
	ds_store_2addr_b64 v250, v[144:145], v[146:147] offset0:32 offset1:33
	;; [unrolled: 1-line block ×38, first 2 shown]
	ds_load_2addr_b64 v[212:215], v255 offset1:1
	s_waitcnt lgkmcnt(0)
	v_cmp_neq_f64_e32 vcc_lo, 0, v[212:213]
	v_cmp_neq_f64_e64 s3, 0, v[214:215]
	s_delay_alu instid0(VALU_DEP_1) | instskip(NEXT) | instid1(SALU_CYCLE_1)
	s_or_b32 s3, vcc_lo, s3
	s_and_b32 exec_lo, exec_lo, s3
	s_cbranch_execz .LBB105_134
; %bb.129:
	v_cmp_gt_f64_e32 vcc_lo, 0, v[212:213]
	v_xor_b32_e32 v204, 0x80000000, v213
	s_mov_b32 s3, exec_lo
                                        ; implicit-def: $vgpr220_vgpr221
	s_delay_alu instid0(VALU_DEP_1) | instskip(SKIP_3) | instid1(VALU_DEP_1)
	v_cndmask_b32_e32 v217, v213, v204, vcc_lo
	v_cndmask_b32_e32 v216, v212, v212, vcc_lo
	v_cmp_gt_f64_e32 vcc_lo, 0, v[214:215]
	v_xor_b32_e32 v204, 0x80000000, v215
	v_dual_cndmask_b32 v218, v214, v214 :: v_dual_cndmask_b32 v219, v215, v204
	s_delay_alu instid0(VALU_DEP_1)
	v_cmpx_ngt_f64_e32 v[216:217], v[218:219]
	s_xor_b32 s3, exec_lo, s3
                                        ; implicit-def: $vgpr216_vgpr217_vgpr218_vgpr219
	s_cbranch_execz .LBB105_131
; %bb.130:
	v_div_scale_f64 v[216:217], null, v[214:215], v[214:215], v[212:213]
	v_div_scale_f64 v[222:223], vcc_lo, v[212:213], v[214:215], v[212:213]
	s_delay_alu instid0(VALU_DEP_2) | instskip(SKIP_2) | instid1(VALU_DEP_1)
	v_rcp_f64_e32 v[218:219], v[216:217]
	s_waitcnt_depctr 0xfff
	v_fma_f64 v[220:221], -v[216:217], v[218:219], 1.0
	v_fma_f64 v[218:219], v[218:219], v[220:221], v[218:219]
	s_delay_alu instid0(VALU_DEP_1) | instskip(NEXT) | instid1(VALU_DEP_1)
	v_fma_f64 v[220:221], -v[216:217], v[218:219], 1.0
	v_fma_f64 v[218:219], v[218:219], v[220:221], v[218:219]
	s_delay_alu instid0(VALU_DEP_1) | instskip(NEXT) | instid1(VALU_DEP_1)
	v_mul_f64 v[220:221], v[222:223], v[218:219]
	v_fma_f64 v[216:217], -v[216:217], v[220:221], v[222:223]
	s_delay_alu instid0(VALU_DEP_1) | instskip(NEXT) | instid1(VALU_DEP_1)
	v_div_fmas_f64 v[216:217], v[216:217], v[218:219], v[220:221]
	v_div_fixup_f64 v[216:217], v[216:217], v[214:215], v[212:213]
	s_delay_alu instid0(VALU_DEP_1) | instskip(NEXT) | instid1(VALU_DEP_1)
	v_fma_f64 v[212:213], v[212:213], v[216:217], v[214:215]
	v_div_scale_f64 v[214:215], null, v[212:213], v[212:213], 1.0
	s_delay_alu instid0(VALU_DEP_1) | instskip(SKIP_2) | instid1(VALU_DEP_1)
	v_rcp_f64_e32 v[218:219], v[214:215]
	s_waitcnt_depctr 0xfff
	v_fma_f64 v[220:221], -v[214:215], v[218:219], 1.0
	v_fma_f64 v[218:219], v[218:219], v[220:221], v[218:219]
	s_delay_alu instid0(VALU_DEP_1) | instskip(NEXT) | instid1(VALU_DEP_1)
	v_fma_f64 v[220:221], -v[214:215], v[218:219], 1.0
	v_fma_f64 v[218:219], v[218:219], v[220:221], v[218:219]
	v_div_scale_f64 v[220:221], vcc_lo, 1.0, v[212:213], 1.0
	s_delay_alu instid0(VALU_DEP_1) | instskip(NEXT) | instid1(VALU_DEP_1)
	v_mul_f64 v[222:223], v[220:221], v[218:219]
	v_fma_f64 v[214:215], -v[214:215], v[222:223], v[220:221]
	s_delay_alu instid0(VALU_DEP_1) | instskip(NEXT) | instid1(VALU_DEP_1)
	v_div_fmas_f64 v[214:215], v[214:215], v[218:219], v[222:223]
	v_div_fixup_f64 v[218:219], v[214:215], v[212:213], 1.0
                                        ; implicit-def: $vgpr212_vgpr213
	s_delay_alu instid0(VALU_DEP_1)
	v_mul_f64 v[220:221], v[216:217], v[218:219]
	v_xor_b32_e32 v219, 0x80000000, v219
.LBB105_131:
	s_and_not1_saveexec_b32 s3, s3
	s_cbranch_execz .LBB105_133
; %bb.132:
	v_div_scale_f64 v[216:217], null, v[212:213], v[212:213], v[214:215]
	v_div_scale_f64 v[222:223], vcc_lo, v[214:215], v[212:213], v[214:215]
	s_delay_alu instid0(VALU_DEP_2) | instskip(SKIP_2) | instid1(VALU_DEP_1)
	v_rcp_f64_e32 v[218:219], v[216:217]
	s_waitcnt_depctr 0xfff
	v_fma_f64 v[220:221], -v[216:217], v[218:219], 1.0
	v_fma_f64 v[218:219], v[218:219], v[220:221], v[218:219]
	s_delay_alu instid0(VALU_DEP_1) | instskip(NEXT) | instid1(VALU_DEP_1)
	v_fma_f64 v[220:221], -v[216:217], v[218:219], 1.0
	v_fma_f64 v[218:219], v[218:219], v[220:221], v[218:219]
	s_delay_alu instid0(VALU_DEP_1) | instskip(NEXT) | instid1(VALU_DEP_1)
	v_mul_f64 v[220:221], v[222:223], v[218:219]
	v_fma_f64 v[216:217], -v[216:217], v[220:221], v[222:223]
	s_delay_alu instid0(VALU_DEP_1) | instskip(NEXT) | instid1(VALU_DEP_1)
	v_div_fmas_f64 v[216:217], v[216:217], v[218:219], v[220:221]
	v_div_fixup_f64 v[216:217], v[216:217], v[212:213], v[214:215]
	s_delay_alu instid0(VALU_DEP_1) | instskip(NEXT) | instid1(VALU_DEP_1)
	v_fma_f64 v[212:213], v[214:215], v[216:217], v[212:213]
	v_div_scale_f64 v[214:215], null, v[212:213], v[212:213], 1.0
	s_delay_alu instid0(VALU_DEP_1) | instskip(SKIP_2) | instid1(VALU_DEP_1)
	v_rcp_f64_e32 v[218:219], v[214:215]
	s_waitcnt_depctr 0xfff
	v_fma_f64 v[220:221], -v[214:215], v[218:219], 1.0
	v_fma_f64 v[218:219], v[218:219], v[220:221], v[218:219]
	s_delay_alu instid0(VALU_DEP_1) | instskip(NEXT) | instid1(VALU_DEP_1)
	v_fma_f64 v[220:221], -v[214:215], v[218:219], 1.0
	v_fma_f64 v[218:219], v[218:219], v[220:221], v[218:219]
	v_div_scale_f64 v[220:221], vcc_lo, 1.0, v[212:213], 1.0
	s_delay_alu instid0(VALU_DEP_1) | instskip(NEXT) | instid1(VALU_DEP_1)
	v_mul_f64 v[222:223], v[220:221], v[218:219]
	v_fma_f64 v[214:215], -v[214:215], v[222:223], v[220:221]
	s_delay_alu instid0(VALU_DEP_1) | instskip(NEXT) | instid1(VALU_DEP_1)
	v_div_fmas_f64 v[214:215], v[214:215], v[218:219], v[222:223]
	v_div_fixup_f64 v[220:221], v[214:215], v[212:213], 1.0
	s_delay_alu instid0(VALU_DEP_1)
	v_mul_f64 v[218:219], v[216:217], -v[220:221]
.LBB105_133:
	s_or_b32 exec_lo, exec_lo, s3
	ds_store_2addr_b64 v255, v[220:221], v[218:219] offset1:1
.LBB105_134:
	s_or_b32 exec_lo, exec_lo, s4
	s_waitcnt lgkmcnt(0)
	s_barrier
	buffer_gl0_inv
	ds_load_2addr_b64 v[212:215], v255 offset1:1
	s_mov_b32 s3, exec_lo
	s_waitcnt lgkmcnt(0)
	scratch_store_b128 off, v[212:215], off offset:664 ; 16-byte Folded Spill
	v_cmpx_lt_u32_e32 14, v205
	s_cbranch_execz .LBB105_136
; %bb.135:
	scratch_load_b128 v[214:217], off, off offset:664 ; 16-byte Folded Reload
	s_waitcnt vmcnt(0)
	v_mul_f64 v[212:213], v[216:217], v[154:155]
	v_mul_f64 v[154:155], v[214:215], v[154:155]
	s_delay_alu instid0(VALU_DEP_2) | instskip(NEXT) | instid1(VALU_DEP_2)
	v_fma_f64 v[212:213], v[214:215], v[152:153], -v[212:213]
	v_fma_f64 v[154:155], v[216:217], v[152:153], v[154:155]
	ds_load_2addr_b64 v[214:217], v250 offset0:30 offset1:31
	s_waitcnt lgkmcnt(0)
	v_mul_f64 v[152:153], v[216:217], v[154:155]
	s_delay_alu instid0(VALU_DEP_1) | instskip(SKIP_1) | instid1(VALU_DEP_2)
	v_fma_f64 v[152:153], v[214:215], v[212:213], -v[152:153]
	v_mul_f64 v[214:215], v[214:215], v[154:155]
	v_add_f64 v[148:149], v[148:149], -v[152:153]
	s_delay_alu instid0(VALU_DEP_2) | instskip(NEXT) | instid1(VALU_DEP_1)
	v_fma_f64 v[214:215], v[216:217], v[212:213], v[214:215]
	v_add_f64 v[150:151], v[150:151], -v[214:215]
	ds_load_2addr_b64 v[214:217], v250 offset0:32 offset1:33
	s_waitcnt lgkmcnt(0)
	v_mul_f64 v[152:153], v[216:217], v[154:155]
	s_delay_alu instid0(VALU_DEP_1) | instskip(SKIP_1) | instid1(VALU_DEP_2)
	v_fma_f64 v[152:153], v[214:215], v[212:213], -v[152:153]
	v_mul_f64 v[214:215], v[214:215], v[154:155]
	v_add_f64 v[144:145], v[144:145], -v[152:153]
	s_delay_alu instid0(VALU_DEP_2) | instskip(NEXT) | instid1(VALU_DEP_1)
	v_fma_f64 v[214:215], v[216:217], v[212:213], v[214:215]
	v_add_f64 v[146:147], v[146:147], -v[214:215]
	;; [unrolled: 10-line block ×37, first 2 shown]
	ds_load_2addr_b64 v[214:217], v250 offset0:104 offset1:105
	s_waitcnt lgkmcnt(0)
	v_mul_f64 v[152:153], v[216:217], v[154:155]
	s_delay_alu instid0(VALU_DEP_1) | instskip(SKIP_1) | instid1(VALU_DEP_2)
	v_fma_f64 v[152:153], v[214:215], v[212:213], -v[152:153]
	v_mul_f64 v[214:215], v[214:215], v[154:155]
	v_add_f64 v[0:1], v[0:1], -v[152:153]
	s_delay_alu instid0(VALU_DEP_2) | instskip(SKIP_1) | instid1(VALU_DEP_2)
	v_fma_f64 v[214:215], v[216:217], v[212:213], v[214:215]
	v_dual_mov_b32 v152, v212 :: v_dual_mov_b32 v153, v213
	v_add_f64 v[2:3], v[2:3], -v[214:215]
.LBB105_136:
	s_or_b32 exec_lo, exec_lo, s3
	s_delay_alu instid0(SALU_CYCLE_1)
	s_mov_b32 s4, exec_lo
	s_waitcnt_vscnt null, 0x0
	s_barrier
	buffer_gl0_inv
	v_cmpx_eq_u32_e32 15, v205
	s_cbranch_execz .LBB105_143
; %bb.137:
	ds_store_2addr_b64 v255, v[148:149], v[150:151] offset1:1
	ds_store_2addr_b64 v250, v[144:145], v[146:147] offset0:32 offset1:33
	ds_store_2addr_b64 v250, v[140:141], v[142:143] offset0:34 offset1:35
	;; [unrolled: 1-line block ×37, first 2 shown]
	ds_load_2addr_b64 v[212:215], v255 offset1:1
	s_waitcnt lgkmcnt(0)
	v_cmp_neq_f64_e32 vcc_lo, 0, v[212:213]
	v_cmp_neq_f64_e64 s3, 0, v[214:215]
	s_delay_alu instid0(VALU_DEP_1) | instskip(NEXT) | instid1(SALU_CYCLE_1)
	s_or_b32 s3, vcc_lo, s3
	s_and_b32 exec_lo, exec_lo, s3
	s_cbranch_execz .LBB105_143
; %bb.138:
	v_cmp_gt_f64_e32 vcc_lo, 0, v[212:213]
	v_xor_b32_e32 v204, 0x80000000, v213
	s_mov_b32 s3, exec_lo
                                        ; implicit-def: $vgpr220_vgpr221
	s_delay_alu instid0(VALU_DEP_1) | instskip(SKIP_3) | instid1(VALU_DEP_1)
	v_cndmask_b32_e32 v217, v213, v204, vcc_lo
	v_cndmask_b32_e32 v216, v212, v212, vcc_lo
	v_cmp_gt_f64_e32 vcc_lo, 0, v[214:215]
	v_xor_b32_e32 v204, 0x80000000, v215
	v_dual_cndmask_b32 v218, v214, v214 :: v_dual_cndmask_b32 v219, v215, v204
	s_delay_alu instid0(VALU_DEP_1)
	v_cmpx_ngt_f64_e32 v[216:217], v[218:219]
	s_xor_b32 s3, exec_lo, s3
                                        ; implicit-def: $vgpr216_vgpr217_vgpr218_vgpr219
	s_cbranch_execz .LBB105_140
; %bb.139:
	v_div_scale_f64 v[216:217], null, v[214:215], v[214:215], v[212:213]
	v_div_scale_f64 v[222:223], vcc_lo, v[212:213], v[214:215], v[212:213]
	s_delay_alu instid0(VALU_DEP_2) | instskip(SKIP_2) | instid1(VALU_DEP_1)
	v_rcp_f64_e32 v[218:219], v[216:217]
	s_waitcnt_depctr 0xfff
	v_fma_f64 v[220:221], -v[216:217], v[218:219], 1.0
	v_fma_f64 v[218:219], v[218:219], v[220:221], v[218:219]
	s_delay_alu instid0(VALU_DEP_1) | instskip(NEXT) | instid1(VALU_DEP_1)
	v_fma_f64 v[220:221], -v[216:217], v[218:219], 1.0
	v_fma_f64 v[218:219], v[218:219], v[220:221], v[218:219]
	s_delay_alu instid0(VALU_DEP_1) | instskip(NEXT) | instid1(VALU_DEP_1)
	v_mul_f64 v[220:221], v[222:223], v[218:219]
	v_fma_f64 v[216:217], -v[216:217], v[220:221], v[222:223]
	s_delay_alu instid0(VALU_DEP_1) | instskip(NEXT) | instid1(VALU_DEP_1)
	v_div_fmas_f64 v[216:217], v[216:217], v[218:219], v[220:221]
	v_div_fixup_f64 v[216:217], v[216:217], v[214:215], v[212:213]
	s_delay_alu instid0(VALU_DEP_1) | instskip(NEXT) | instid1(VALU_DEP_1)
	v_fma_f64 v[212:213], v[212:213], v[216:217], v[214:215]
	v_div_scale_f64 v[214:215], null, v[212:213], v[212:213], 1.0
	s_delay_alu instid0(VALU_DEP_1) | instskip(SKIP_2) | instid1(VALU_DEP_1)
	v_rcp_f64_e32 v[218:219], v[214:215]
	s_waitcnt_depctr 0xfff
	v_fma_f64 v[220:221], -v[214:215], v[218:219], 1.0
	v_fma_f64 v[218:219], v[218:219], v[220:221], v[218:219]
	s_delay_alu instid0(VALU_DEP_1) | instskip(NEXT) | instid1(VALU_DEP_1)
	v_fma_f64 v[220:221], -v[214:215], v[218:219], 1.0
	v_fma_f64 v[218:219], v[218:219], v[220:221], v[218:219]
	v_div_scale_f64 v[220:221], vcc_lo, 1.0, v[212:213], 1.0
	s_delay_alu instid0(VALU_DEP_1) | instskip(NEXT) | instid1(VALU_DEP_1)
	v_mul_f64 v[222:223], v[220:221], v[218:219]
	v_fma_f64 v[214:215], -v[214:215], v[222:223], v[220:221]
	s_delay_alu instid0(VALU_DEP_1) | instskip(NEXT) | instid1(VALU_DEP_1)
	v_div_fmas_f64 v[214:215], v[214:215], v[218:219], v[222:223]
	v_div_fixup_f64 v[218:219], v[214:215], v[212:213], 1.0
                                        ; implicit-def: $vgpr212_vgpr213
	s_delay_alu instid0(VALU_DEP_1)
	v_mul_f64 v[220:221], v[216:217], v[218:219]
	v_xor_b32_e32 v219, 0x80000000, v219
.LBB105_140:
	s_and_not1_saveexec_b32 s3, s3
	s_cbranch_execz .LBB105_142
; %bb.141:
	v_div_scale_f64 v[216:217], null, v[212:213], v[212:213], v[214:215]
	v_div_scale_f64 v[222:223], vcc_lo, v[214:215], v[212:213], v[214:215]
	s_delay_alu instid0(VALU_DEP_2) | instskip(SKIP_2) | instid1(VALU_DEP_1)
	v_rcp_f64_e32 v[218:219], v[216:217]
	s_waitcnt_depctr 0xfff
	v_fma_f64 v[220:221], -v[216:217], v[218:219], 1.0
	v_fma_f64 v[218:219], v[218:219], v[220:221], v[218:219]
	s_delay_alu instid0(VALU_DEP_1) | instskip(NEXT) | instid1(VALU_DEP_1)
	v_fma_f64 v[220:221], -v[216:217], v[218:219], 1.0
	v_fma_f64 v[218:219], v[218:219], v[220:221], v[218:219]
	s_delay_alu instid0(VALU_DEP_1) | instskip(NEXT) | instid1(VALU_DEP_1)
	v_mul_f64 v[220:221], v[222:223], v[218:219]
	v_fma_f64 v[216:217], -v[216:217], v[220:221], v[222:223]
	s_delay_alu instid0(VALU_DEP_1) | instskip(NEXT) | instid1(VALU_DEP_1)
	v_div_fmas_f64 v[216:217], v[216:217], v[218:219], v[220:221]
	v_div_fixup_f64 v[216:217], v[216:217], v[212:213], v[214:215]
	s_delay_alu instid0(VALU_DEP_1) | instskip(NEXT) | instid1(VALU_DEP_1)
	v_fma_f64 v[212:213], v[214:215], v[216:217], v[212:213]
	v_div_scale_f64 v[214:215], null, v[212:213], v[212:213], 1.0
	s_delay_alu instid0(VALU_DEP_1) | instskip(SKIP_2) | instid1(VALU_DEP_1)
	v_rcp_f64_e32 v[218:219], v[214:215]
	s_waitcnt_depctr 0xfff
	v_fma_f64 v[220:221], -v[214:215], v[218:219], 1.0
	v_fma_f64 v[218:219], v[218:219], v[220:221], v[218:219]
	s_delay_alu instid0(VALU_DEP_1) | instskip(NEXT) | instid1(VALU_DEP_1)
	v_fma_f64 v[220:221], -v[214:215], v[218:219], 1.0
	v_fma_f64 v[218:219], v[218:219], v[220:221], v[218:219]
	v_div_scale_f64 v[220:221], vcc_lo, 1.0, v[212:213], 1.0
	s_delay_alu instid0(VALU_DEP_1) | instskip(NEXT) | instid1(VALU_DEP_1)
	v_mul_f64 v[222:223], v[220:221], v[218:219]
	v_fma_f64 v[214:215], -v[214:215], v[222:223], v[220:221]
	s_delay_alu instid0(VALU_DEP_1) | instskip(NEXT) | instid1(VALU_DEP_1)
	v_div_fmas_f64 v[214:215], v[214:215], v[218:219], v[222:223]
	v_div_fixup_f64 v[220:221], v[214:215], v[212:213], 1.0
	s_delay_alu instid0(VALU_DEP_1)
	v_mul_f64 v[218:219], v[216:217], -v[220:221]
.LBB105_142:
	s_or_b32 exec_lo, exec_lo, s3
	ds_store_2addr_b64 v255, v[220:221], v[218:219] offset1:1
.LBB105_143:
	s_or_b32 exec_lo, exec_lo, s4
	s_waitcnt lgkmcnt(0)
	s_barrier
	buffer_gl0_inv
	ds_load_2addr_b64 v[212:215], v255 offset1:1
	s_mov_b32 s3, exec_lo
	s_waitcnt lgkmcnt(0)
	scratch_store_b128 off, v[212:215], off offset:680 ; 16-byte Folded Spill
	v_cmpx_lt_u32_e32 15, v205
	s_cbranch_execz .LBB105_145
; %bb.144:
	scratch_load_b128 v[214:217], off, off offset:680 ; 16-byte Folded Reload
	s_waitcnt vmcnt(0)
	v_mul_f64 v[212:213], v[216:217], v[150:151]
	v_mul_f64 v[150:151], v[214:215], v[150:151]
	s_delay_alu instid0(VALU_DEP_2) | instskip(NEXT) | instid1(VALU_DEP_2)
	v_fma_f64 v[212:213], v[214:215], v[148:149], -v[212:213]
	v_fma_f64 v[150:151], v[216:217], v[148:149], v[150:151]
	ds_load_2addr_b64 v[214:217], v250 offset0:32 offset1:33
	s_waitcnt lgkmcnt(0)
	v_mul_f64 v[148:149], v[216:217], v[150:151]
	s_delay_alu instid0(VALU_DEP_1) | instskip(SKIP_1) | instid1(VALU_DEP_2)
	v_fma_f64 v[148:149], v[214:215], v[212:213], -v[148:149]
	v_mul_f64 v[214:215], v[214:215], v[150:151]
	v_add_f64 v[144:145], v[144:145], -v[148:149]
	s_delay_alu instid0(VALU_DEP_2) | instskip(NEXT) | instid1(VALU_DEP_1)
	v_fma_f64 v[214:215], v[216:217], v[212:213], v[214:215]
	v_add_f64 v[146:147], v[146:147], -v[214:215]
	ds_load_2addr_b64 v[214:217], v250 offset0:34 offset1:35
	s_waitcnt lgkmcnt(0)
	v_mul_f64 v[148:149], v[216:217], v[150:151]
	s_delay_alu instid0(VALU_DEP_1) | instskip(SKIP_1) | instid1(VALU_DEP_2)
	v_fma_f64 v[148:149], v[214:215], v[212:213], -v[148:149]
	v_mul_f64 v[214:215], v[214:215], v[150:151]
	v_add_f64 v[140:141], v[140:141], -v[148:149]
	s_delay_alu instid0(VALU_DEP_2) | instskip(NEXT) | instid1(VALU_DEP_1)
	v_fma_f64 v[214:215], v[216:217], v[212:213], v[214:215]
	v_add_f64 v[142:143], v[142:143], -v[214:215]
	;; [unrolled: 10-line block ×36, first 2 shown]
	ds_load_2addr_b64 v[214:217], v250 offset0:104 offset1:105
	s_waitcnt lgkmcnt(0)
	v_mul_f64 v[148:149], v[216:217], v[150:151]
	s_delay_alu instid0(VALU_DEP_1) | instskip(SKIP_1) | instid1(VALU_DEP_2)
	v_fma_f64 v[148:149], v[214:215], v[212:213], -v[148:149]
	v_mul_f64 v[214:215], v[214:215], v[150:151]
	v_add_f64 v[0:1], v[0:1], -v[148:149]
	s_delay_alu instid0(VALU_DEP_2) | instskip(SKIP_1) | instid1(VALU_DEP_2)
	v_fma_f64 v[214:215], v[216:217], v[212:213], v[214:215]
	v_dual_mov_b32 v148, v212 :: v_dual_mov_b32 v149, v213
	v_add_f64 v[2:3], v[2:3], -v[214:215]
.LBB105_145:
	s_or_b32 exec_lo, exec_lo, s3
	s_delay_alu instid0(SALU_CYCLE_1)
	s_mov_b32 s4, exec_lo
	s_waitcnt_vscnt null, 0x0
	s_barrier
	buffer_gl0_inv
	v_cmpx_eq_u32_e32 16, v205
	s_cbranch_execz .LBB105_152
; %bb.146:
	ds_store_2addr_b64 v255, v[144:145], v[146:147] offset1:1
	ds_store_2addr_b64 v250, v[140:141], v[142:143] offset0:34 offset1:35
	ds_store_2addr_b64 v250, v[136:137], v[138:139] offset0:36 offset1:37
	;; [unrolled: 1-line block ×36, first 2 shown]
	ds_load_2addr_b64 v[212:215], v255 offset1:1
	s_waitcnt lgkmcnt(0)
	v_cmp_neq_f64_e32 vcc_lo, 0, v[212:213]
	v_cmp_neq_f64_e64 s3, 0, v[214:215]
	s_delay_alu instid0(VALU_DEP_1) | instskip(NEXT) | instid1(SALU_CYCLE_1)
	s_or_b32 s3, vcc_lo, s3
	s_and_b32 exec_lo, exec_lo, s3
	s_cbranch_execz .LBB105_152
; %bb.147:
	v_cmp_gt_f64_e32 vcc_lo, 0, v[212:213]
	v_xor_b32_e32 v204, 0x80000000, v213
	s_mov_b32 s3, exec_lo
                                        ; implicit-def: $vgpr220_vgpr221
	s_delay_alu instid0(VALU_DEP_1) | instskip(SKIP_3) | instid1(VALU_DEP_1)
	v_cndmask_b32_e32 v217, v213, v204, vcc_lo
	v_cndmask_b32_e32 v216, v212, v212, vcc_lo
	v_cmp_gt_f64_e32 vcc_lo, 0, v[214:215]
	v_xor_b32_e32 v204, 0x80000000, v215
	v_dual_cndmask_b32 v218, v214, v214 :: v_dual_cndmask_b32 v219, v215, v204
	s_delay_alu instid0(VALU_DEP_1)
	v_cmpx_ngt_f64_e32 v[216:217], v[218:219]
	s_xor_b32 s3, exec_lo, s3
                                        ; implicit-def: $vgpr216_vgpr217_vgpr218_vgpr219
	s_cbranch_execz .LBB105_149
; %bb.148:
	v_div_scale_f64 v[216:217], null, v[214:215], v[214:215], v[212:213]
	v_div_scale_f64 v[222:223], vcc_lo, v[212:213], v[214:215], v[212:213]
	s_delay_alu instid0(VALU_DEP_2) | instskip(SKIP_2) | instid1(VALU_DEP_1)
	v_rcp_f64_e32 v[218:219], v[216:217]
	s_waitcnt_depctr 0xfff
	v_fma_f64 v[220:221], -v[216:217], v[218:219], 1.0
	v_fma_f64 v[218:219], v[218:219], v[220:221], v[218:219]
	s_delay_alu instid0(VALU_DEP_1) | instskip(NEXT) | instid1(VALU_DEP_1)
	v_fma_f64 v[220:221], -v[216:217], v[218:219], 1.0
	v_fma_f64 v[218:219], v[218:219], v[220:221], v[218:219]
	s_delay_alu instid0(VALU_DEP_1) | instskip(NEXT) | instid1(VALU_DEP_1)
	v_mul_f64 v[220:221], v[222:223], v[218:219]
	v_fma_f64 v[216:217], -v[216:217], v[220:221], v[222:223]
	s_delay_alu instid0(VALU_DEP_1) | instskip(NEXT) | instid1(VALU_DEP_1)
	v_div_fmas_f64 v[216:217], v[216:217], v[218:219], v[220:221]
	v_div_fixup_f64 v[216:217], v[216:217], v[214:215], v[212:213]
	s_delay_alu instid0(VALU_DEP_1) | instskip(NEXT) | instid1(VALU_DEP_1)
	v_fma_f64 v[212:213], v[212:213], v[216:217], v[214:215]
	v_div_scale_f64 v[214:215], null, v[212:213], v[212:213], 1.0
	s_delay_alu instid0(VALU_DEP_1) | instskip(SKIP_2) | instid1(VALU_DEP_1)
	v_rcp_f64_e32 v[218:219], v[214:215]
	s_waitcnt_depctr 0xfff
	v_fma_f64 v[220:221], -v[214:215], v[218:219], 1.0
	v_fma_f64 v[218:219], v[218:219], v[220:221], v[218:219]
	s_delay_alu instid0(VALU_DEP_1) | instskip(NEXT) | instid1(VALU_DEP_1)
	v_fma_f64 v[220:221], -v[214:215], v[218:219], 1.0
	v_fma_f64 v[218:219], v[218:219], v[220:221], v[218:219]
	v_div_scale_f64 v[220:221], vcc_lo, 1.0, v[212:213], 1.0
	s_delay_alu instid0(VALU_DEP_1) | instskip(NEXT) | instid1(VALU_DEP_1)
	v_mul_f64 v[222:223], v[220:221], v[218:219]
	v_fma_f64 v[214:215], -v[214:215], v[222:223], v[220:221]
	s_delay_alu instid0(VALU_DEP_1) | instskip(NEXT) | instid1(VALU_DEP_1)
	v_div_fmas_f64 v[214:215], v[214:215], v[218:219], v[222:223]
	v_div_fixup_f64 v[218:219], v[214:215], v[212:213], 1.0
                                        ; implicit-def: $vgpr212_vgpr213
	s_delay_alu instid0(VALU_DEP_1)
	v_mul_f64 v[220:221], v[216:217], v[218:219]
	v_xor_b32_e32 v219, 0x80000000, v219
.LBB105_149:
	s_and_not1_saveexec_b32 s3, s3
	s_cbranch_execz .LBB105_151
; %bb.150:
	v_div_scale_f64 v[216:217], null, v[212:213], v[212:213], v[214:215]
	v_div_scale_f64 v[222:223], vcc_lo, v[214:215], v[212:213], v[214:215]
	s_delay_alu instid0(VALU_DEP_2) | instskip(SKIP_2) | instid1(VALU_DEP_1)
	v_rcp_f64_e32 v[218:219], v[216:217]
	s_waitcnt_depctr 0xfff
	v_fma_f64 v[220:221], -v[216:217], v[218:219], 1.0
	v_fma_f64 v[218:219], v[218:219], v[220:221], v[218:219]
	s_delay_alu instid0(VALU_DEP_1) | instskip(NEXT) | instid1(VALU_DEP_1)
	v_fma_f64 v[220:221], -v[216:217], v[218:219], 1.0
	v_fma_f64 v[218:219], v[218:219], v[220:221], v[218:219]
	s_delay_alu instid0(VALU_DEP_1) | instskip(NEXT) | instid1(VALU_DEP_1)
	v_mul_f64 v[220:221], v[222:223], v[218:219]
	v_fma_f64 v[216:217], -v[216:217], v[220:221], v[222:223]
	s_delay_alu instid0(VALU_DEP_1) | instskip(NEXT) | instid1(VALU_DEP_1)
	v_div_fmas_f64 v[216:217], v[216:217], v[218:219], v[220:221]
	v_div_fixup_f64 v[216:217], v[216:217], v[212:213], v[214:215]
	s_delay_alu instid0(VALU_DEP_1) | instskip(NEXT) | instid1(VALU_DEP_1)
	v_fma_f64 v[212:213], v[214:215], v[216:217], v[212:213]
	v_div_scale_f64 v[214:215], null, v[212:213], v[212:213], 1.0
	s_delay_alu instid0(VALU_DEP_1) | instskip(SKIP_2) | instid1(VALU_DEP_1)
	v_rcp_f64_e32 v[218:219], v[214:215]
	s_waitcnt_depctr 0xfff
	v_fma_f64 v[220:221], -v[214:215], v[218:219], 1.0
	v_fma_f64 v[218:219], v[218:219], v[220:221], v[218:219]
	s_delay_alu instid0(VALU_DEP_1) | instskip(NEXT) | instid1(VALU_DEP_1)
	v_fma_f64 v[220:221], -v[214:215], v[218:219], 1.0
	v_fma_f64 v[218:219], v[218:219], v[220:221], v[218:219]
	v_div_scale_f64 v[220:221], vcc_lo, 1.0, v[212:213], 1.0
	s_delay_alu instid0(VALU_DEP_1) | instskip(NEXT) | instid1(VALU_DEP_1)
	v_mul_f64 v[222:223], v[220:221], v[218:219]
	v_fma_f64 v[214:215], -v[214:215], v[222:223], v[220:221]
	s_delay_alu instid0(VALU_DEP_1) | instskip(NEXT) | instid1(VALU_DEP_1)
	v_div_fmas_f64 v[214:215], v[214:215], v[218:219], v[222:223]
	v_div_fixup_f64 v[220:221], v[214:215], v[212:213], 1.0
	s_delay_alu instid0(VALU_DEP_1)
	v_mul_f64 v[218:219], v[216:217], -v[220:221]
.LBB105_151:
	s_or_b32 exec_lo, exec_lo, s3
	ds_store_2addr_b64 v255, v[220:221], v[218:219] offset1:1
.LBB105_152:
	s_or_b32 exec_lo, exec_lo, s4
	s_waitcnt lgkmcnt(0)
	s_barrier
	buffer_gl0_inv
	ds_load_2addr_b64 v[212:215], v255 offset1:1
	s_mov_b32 s3, exec_lo
	s_waitcnt lgkmcnt(0)
	scratch_store_b128 off, v[212:215], off offset:696 ; 16-byte Folded Spill
	v_cmpx_lt_u32_e32 16, v205
	s_cbranch_execz .LBB105_154
; %bb.153:
	scratch_load_b128 v[214:217], off, off offset:696 ; 16-byte Folded Reload
	s_waitcnt vmcnt(0)
	v_mul_f64 v[212:213], v[216:217], v[146:147]
	v_mul_f64 v[146:147], v[214:215], v[146:147]
	s_delay_alu instid0(VALU_DEP_2) | instskip(NEXT) | instid1(VALU_DEP_2)
	v_fma_f64 v[212:213], v[214:215], v[144:145], -v[212:213]
	v_fma_f64 v[146:147], v[216:217], v[144:145], v[146:147]
	ds_load_2addr_b64 v[214:217], v250 offset0:34 offset1:35
	s_waitcnt lgkmcnt(0)
	v_mul_f64 v[144:145], v[216:217], v[146:147]
	s_delay_alu instid0(VALU_DEP_1) | instskip(SKIP_1) | instid1(VALU_DEP_2)
	v_fma_f64 v[144:145], v[214:215], v[212:213], -v[144:145]
	v_mul_f64 v[214:215], v[214:215], v[146:147]
	v_add_f64 v[140:141], v[140:141], -v[144:145]
	s_delay_alu instid0(VALU_DEP_2) | instskip(NEXT) | instid1(VALU_DEP_1)
	v_fma_f64 v[214:215], v[216:217], v[212:213], v[214:215]
	v_add_f64 v[142:143], v[142:143], -v[214:215]
	ds_load_2addr_b64 v[214:217], v250 offset0:36 offset1:37
	s_waitcnt lgkmcnt(0)
	v_mul_f64 v[144:145], v[216:217], v[146:147]
	s_delay_alu instid0(VALU_DEP_1) | instskip(SKIP_1) | instid1(VALU_DEP_2)
	v_fma_f64 v[144:145], v[214:215], v[212:213], -v[144:145]
	v_mul_f64 v[214:215], v[214:215], v[146:147]
	v_add_f64 v[136:137], v[136:137], -v[144:145]
	s_delay_alu instid0(VALU_DEP_2) | instskip(NEXT) | instid1(VALU_DEP_1)
	v_fma_f64 v[214:215], v[216:217], v[212:213], v[214:215]
	v_add_f64 v[138:139], v[138:139], -v[214:215]
	;; [unrolled: 10-line block ×35, first 2 shown]
	ds_load_2addr_b64 v[214:217], v250 offset0:104 offset1:105
	s_waitcnt lgkmcnt(0)
	v_mul_f64 v[144:145], v[216:217], v[146:147]
	s_delay_alu instid0(VALU_DEP_1) | instskip(SKIP_1) | instid1(VALU_DEP_2)
	v_fma_f64 v[144:145], v[214:215], v[212:213], -v[144:145]
	v_mul_f64 v[214:215], v[214:215], v[146:147]
	v_add_f64 v[0:1], v[0:1], -v[144:145]
	s_delay_alu instid0(VALU_DEP_2) | instskip(SKIP_1) | instid1(VALU_DEP_2)
	v_fma_f64 v[214:215], v[216:217], v[212:213], v[214:215]
	v_dual_mov_b32 v144, v212 :: v_dual_mov_b32 v145, v213
	v_add_f64 v[2:3], v[2:3], -v[214:215]
.LBB105_154:
	s_or_b32 exec_lo, exec_lo, s3
	s_delay_alu instid0(SALU_CYCLE_1)
	s_mov_b32 s4, exec_lo
	s_waitcnt_vscnt null, 0x0
	s_barrier
	buffer_gl0_inv
	v_cmpx_eq_u32_e32 17, v205
	s_cbranch_execz .LBB105_161
; %bb.155:
	ds_store_2addr_b64 v255, v[140:141], v[142:143] offset1:1
	ds_store_2addr_b64 v250, v[136:137], v[138:139] offset0:36 offset1:37
	ds_store_2addr_b64 v250, v[132:133], v[134:135] offset0:38 offset1:39
	;; [unrolled: 1-line block ×35, first 2 shown]
	ds_load_2addr_b64 v[212:215], v255 offset1:1
	s_waitcnt lgkmcnt(0)
	v_cmp_neq_f64_e32 vcc_lo, 0, v[212:213]
	v_cmp_neq_f64_e64 s3, 0, v[214:215]
	s_delay_alu instid0(VALU_DEP_1) | instskip(NEXT) | instid1(SALU_CYCLE_1)
	s_or_b32 s3, vcc_lo, s3
	s_and_b32 exec_lo, exec_lo, s3
	s_cbranch_execz .LBB105_161
; %bb.156:
	v_cmp_gt_f64_e32 vcc_lo, 0, v[212:213]
	v_xor_b32_e32 v204, 0x80000000, v213
	s_mov_b32 s3, exec_lo
                                        ; implicit-def: $vgpr220_vgpr221
	s_delay_alu instid0(VALU_DEP_1) | instskip(SKIP_3) | instid1(VALU_DEP_1)
	v_cndmask_b32_e32 v217, v213, v204, vcc_lo
	v_cndmask_b32_e32 v216, v212, v212, vcc_lo
	v_cmp_gt_f64_e32 vcc_lo, 0, v[214:215]
	v_xor_b32_e32 v204, 0x80000000, v215
	v_dual_cndmask_b32 v218, v214, v214 :: v_dual_cndmask_b32 v219, v215, v204
	s_delay_alu instid0(VALU_DEP_1)
	v_cmpx_ngt_f64_e32 v[216:217], v[218:219]
	s_xor_b32 s3, exec_lo, s3
                                        ; implicit-def: $vgpr216_vgpr217_vgpr218_vgpr219
	s_cbranch_execz .LBB105_158
; %bb.157:
	v_div_scale_f64 v[216:217], null, v[214:215], v[214:215], v[212:213]
	v_div_scale_f64 v[222:223], vcc_lo, v[212:213], v[214:215], v[212:213]
	s_delay_alu instid0(VALU_DEP_2) | instskip(SKIP_2) | instid1(VALU_DEP_1)
	v_rcp_f64_e32 v[218:219], v[216:217]
	s_waitcnt_depctr 0xfff
	v_fma_f64 v[220:221], -v[216:217], v[218:219], 1.0
	v_fma_f64 v[218:219], v[218:219], v[220:221], v[218:219]
	s_delay_alu instid0(VALU_DEP_1) | instskip(NEXT) | instid1(VALU_DEP_1)
	v_fma_f64 v[220:221], -v[216:217], v[218:219], 1.0
	v_fma_f64 v[218:219], v[218:219], v[220:221], v[218:219]
	s_delay_alu instid0(VALU_DEP_1) | instskip(NEXT) | instid1(VALU_DEP_1)
	v_mul_f64 v[220:221], v[222:223], v[218:219]
	v_fma_f64 v[216:217], -v[216:217], v[220:221], v[222:223]
	s_delay_alu instid0(VALU_DEP_1) | instskip(NEXT) | instid1(VALU_DEP_1)
	v_div_fmas_f64 v[216:217], v[216:217], v[218:219], v[220:221]
	v_div_fixup_f64 v[216:217], v[216:217], v[214:215], v[212:213]
	s_delay_alu instid0(VALU_DEP_1) | instskip(NEXT) | instid1(VALU_DEP_1)
	v_fma_f64 v[212:213], v[212:213], v[216:217], v[214:215]
	v_div_scale_f64 v[214:215], null, v[212:213], v[212:213], 1.0
	s_delay_alu instid0(VALU_DEP_1) | instskip(SKIP_2) | instid1(VALU_DEP_1)
	v_rcp_f64_e32 v[218:219], v[214:215]
	s_waitcnt_depctr 0xfff
	v_fma_f64 v[220:221], -v[214:215], v[218:219], 1.0
	v_fma_f64 v[218:219], v[218:219], v[220:221], v[218:219]
	s_delay_alu instid0(VALU_DEP_1) | instskip(NEXT) | instid1(VALU_DEP_1)
	v_fma_f64 v[220:221], -v[214:215], v[218:219], 1.0
	v_fma_f64 v[218:219], v[218:219], v[220:221], v[218:219]
	v_div_scale_f64 v[220:221], vcc_lo, 1.0, v[212:213], 1.0
	s_delay_alu instid0(VALU_DEP_1) | instskip(NEXT) | instid1(VALU_DEP_1)
	v_mul_f64 v[222:223], v[220:221], v[218:219]
	v_fma_f64 v[214:215], -v[214:215], v[222:223], v[220:221]
	s_delay_alu instid0(VALU_DEP_1) | instskip(NEXT) | instid1(VALU_DEP_1)
	v_div_fmas_f64 v[214:215], v[214:215], v[218:219], v[222:223]
	v_div_fixup_f64 v[218:219], v[214:215], v[212:213], 1.0
                                        ; implicit-def: $vgpr212_vgpr213
	s_delay_alu instid0(VALU_DEP_1)
	v_mul_f64 v[220:221], v[216:217], v[218:219]
	v_xor_b32_e32 v219, 0x80000000, v219
.LBB105_158:
	s_and_not1_saveexec_b32 s3, s3
	s_cbranch_execz .LBB105_160
; %bb.159:
	v_div_scale_f64 v[216:217], null, v[212:213], v[212:213], v[214:215]
	v_div_scale_f64 v[222:223], vcc_lo, v[214:215], v[212:213], v[214:215]
	s_delay_alu instid0(VALU_DEP_2) | instskip(SKIP_2) | instid1(VALU_DEP_1)
	v_rcp_f64_e32 v[218:219], v[216:217]
	s_waitcnt_depctr 0xfff
	v_fma_f64 v[220:221], -v[216:217], v[218:219], 1.0
	v_fma_f64 v[218:219], v[218:219], v[220:221], v[218:219]
	s_delay_alu instid0(VALU_DEP_1) | instskip(NEXT) | instid1(VALU_DEP_1)
	v_fma_f64 v[220:221], -v[216:217], v[218:219], 1.0
	v_fma_f64 v[218:219], v[218:219], v[220:221], v[218:219]
	s_delay_alu instid0(VALU_DEP_1) | instskip(NEXT) | instid1(VALU_DEP_1)
	v_mul_f64 v[220:221], v[222:223], v[218:219]
	v_fma_f64 v[216:217], -v[216:217], v[220:221], v[222:223]
	s_delay_alu instid0(VALU_DEP_1) | instskip(NEXT) | instid1(VALU_DEP_1)
	v_div_fmas_f64 v[216:217], v[216:217], v[218:219], v[220:221]
	v_div_fixup_f64 v[216:217], v[216:217], v[212:213], v[214:215]
	s_delay_alu instid0(VALU_DEP_1) | instskip(NEXT) | instid1(VALU_DEP_1)
	v_fma_f64 v[212:213], v[214:215], v[216:217], v[212:213]
	v_div_scale_f64 v[214:215], null, v[212:213], v[212:213], 1.0
	s_delay_alu instid0(VALU_DEP_1) | instskip(SKIP_2) | instid1(VALU_DEP_1)
	v_rcp_f64_e32 v[218:219], v[214:215]
	s_waitcnt_depctr 0xfff
	v_fma_f64 v[220:221], -v[214:215], v[218:219], 1.0
	v_fma_f64 v[218:219], v[218:219], v[220:221], v[218:219]
	s_delay_alu instid0(VALU_DEP_1) | instskip(NEXT) | instid1(VALU_DEP_1)
	v_fma_f64 v[220:221], -v[214:215], v[218:219], 1.0
	v_fma_f64 v[218:219], v[218:219], v[220:221], v[218:219]
	v_div_scale_f64 v[220:221], vcc_lo, 1.0, v[212:213], 1.0
	s_delay_alu instid0(VALU_DEP_1) | instskip(NEXT) | instid1(VALU_DEP_1)
	v_mul_f64 v[222:223], v[220:221], v[218:219]
	v_fma_f64 v[214:215], -v[214:215], v[222:223], v[220:221]
	s_delay_alu instid0(VALU_DEP_1) | instskip(NEXT) | instid1(VALU_DEP_1)
	v_div_fmas_f64 v[214:215], v[214:215], v[218:219], v[222:223]
	v_div_fixup_f64 v[220:221], v[214:215], v[212:213], 1.0
	s_delay_alu instid0(VALU_DEP_1)
	v_mul_f64 v[218:219], v[216:217], -v[220:221]
.LBB105_160:
	s_or_b32 exec_lo, exec_lo, s3
	ds_store_2addr_b64 v255, v[220:221], v[218:219] offset1:1
.LBB105_161:
	s_or_b32 exec_lo, exec_lo, s4
	s_waitcnt lgkmcnt(0)
	s_barrier
	buffer_gl0_inv
	ds_load_2addr_b64 v[212:215], v255 offset1:1
	s_mov_b32 s3, exec_lo
	s_waitcnt lgkmcnt(0)
	scratch_store_b128 off, v[212:215], off offset:712 ; 16-byte Folded Spill
	v_cmpx_lt_u32_e32 17, v205
	s_cbranch_execz .LBB105_163
; %bb.162:
	scratch_load_b128 v[214:217], off, off offset:712 ; 16-byte Folded Reload
	s_waitcnt vmcnt(0)
	v_mul_f64 v[212:213], v[216:217], v[142:143]
	v_mul_f64 v[142:143], v[214:215], v[142:143]
	s_delay_alu instid0(VALU_DEP_2) | instskip(NEXT) | instid1(VALU_DEP_2)
	v_fma_f64 v[212:213], v[214:215], v[140:141], -v[212:213]
	v_fma_f64 v[142:143], v[216:217], v[140:141], v[142:143]
	ds_load_2addr_b64 v[214:217], v250 offset0:36 offset1:37
	s_waitcnt lgkmcnt(0)
	v_mul_f64 v[140:141], v[216:217], v[142:143]
	s_delay_alu instid0(VALU_DEP_1) | instskip(SKIP_1) | instid1(VALU_DEP_2)
	v_fma_f64 v[140:141], v[214:215], v[212:213], -v[140:141]
	v_mul_f64 v[214:215], v[214:215], v[142:143]
	v_add_f64 v[136:137], v[136:137], -v[140:141]
	s_delay_alu instid0(VALU_DEP_2) | instskip(NEXT) | instid1(VALU_DEP_1)
	v_fma_f64 v[214:215], v[216:217], v[212:213], v[214:215]
	v_add_f64 v[138:139], v[138:139], -v[214:215]
	ds_load_2addr_b64 v[214:217], v250 offset0:38 offset1:39
	s_waitcnt lgkmcnt(0)
	v_mul_f64 v[140:141], v[216:217], v[142:143]
	s_delay_alu instid0(VALU_DEP_1) | instskip(SKIP_1) | instid1(VALU_DEP_2)
	v_fma_f64 v[140:141], v[214:215], v[212:213], -v[140:141]
	v_mul_f64 v[214:215], v[214:215], v[142:143]
	v_add_f64 v[132:133], v[132:133], -v[140:141]
	s_delay_alu instid0(VALU_DEP_2) | instskip(NEXT) | instid1(VALU_DEP_1)
	v_fma_f64 v[214:215], v[216:217], v[212:213], v[214:215]
	v_add_f64 v[134:135], v[134:135], -v[214:215]
	ds_load_2addr_b64 v[214:217], v250 offset0:40 offset1:41
	s_waitcnt lgkmcnt(0)
	v_mul_f64 v[140:141], v[216:217], v[142:143]
	s_delay_alu instid0(VALU_DEP_1) | instskip(SKIP_1) | instid1(VALU_DEP_2)
	v_fma_f64 v[140:141], v[214:215], v[212:213], -v[140:141]
	v_mul_f64 v[214:215], v[214:215], v[142:143]
	v_add_f64 v[128:129], v[128:129], -v[140:141]
	s_delay_alu instid0(VALU_DEP_2) | instskip(NEXT) | instid1(VALU_DEP_1)
	v_fma_f64 v[214:215], v[216:217], v[212:213], v[214:215]
	v_add_f64 v[130:131], v[130:131], -v[214:215]
	ds_load_2addr_b64 v[214:217], v250 offset0:42 offset1:43
	s_waitcnt lgkmcnt(0)
	v_mul_f64 v[140:141], v[216:217], v[142:143]
	s_delay_alu instid0(VALU_DEP_1) | instskip(SKIP_1) | instid1(VALU_DEP_2)
	v_fma_f64 v[140:141], v[214:215], v[212:213], -v[140:141]
	v_mul_f64 v[214:215], v[214:215], v[142:143]
	v_add_f64 v[124:125], v[124:125], -v[140:141]
	s_delay_alu instid0(VALU_DEP_2) | instskip(NEXT) | instid1(VALU_DEP_1)
	v_fma_f64 v[214:215], v[216:217], v[212:213], v[214:215]
	v_add_f64 v[126:127], v[126:127], -v[214:215]
	ds_load_2addr_b64 v[214:217], v250 offset0:44 offset1:45
	s_waitcnt lgkmcnt(0)
	v_mul_f64 v[140:141], v[216:217], v[142:143]
	s_delay_alu instid0(VALU_DEP_1) | instskip(SKIP_1) | instid1(VALU_DEP_2)
	v_fma_f64 v[140:141], v[214:215], v[212:213], -v[140:141]
	v_mul_f64 v[214:215], v[214:215], v[142:143]
	v_add_f64 v[120:121], v[120:121], -v[140:141]
	s_delay_alu instid0(VALU_DEP_2) | instskip(NEXT) | instid1(VALU_DEP_1)
	v_fma_f64 v[214:215], v[216:217], v[212:213], v[214:215]
	v_add_f64 v[122:123], v[122:123], -v[214:215]
	ds_load_2addr_b64 v[214:217], v250 offset0:46 offset1:47
	s_waitcnt lgkmcnt(0)
	v_mul_f64 v[140:141], v[216:217], v[142:143]
	s_delay_alu instid0(VALU_DEP_1) | instskip(SKIP_1) | instid1(VALU_DEP_2)
	v_fma_f64 v[140:141], v[214:215], v[212:213], -v[140:141]
	v_mul_f64 v[214:215], v[214:215], v[142:143]
	v_add_f64 v[116:117], v[116:117], -v[140:141]
	s_delay_alu instid0(VALU_DEP_2) | instskip(NEXT) | instid1(VALU_DEP_1)
	v_fma_f64 v[214:215], v[216:217], v[212:213], v[214:215]
	v_add_f64 v[118:119], v[118:119], -v[214:215]
	ds_load_2addr_b64 v[214:217], v250 offset0:48 offset1:49
	s_waitcnt lgkmcnt(0)
	v_mul_f64 v[140:141], v[216:217], v[142:143]
	s_delay_alu instid0(VALU_DEP_1) | instskip(SKIP_1) | instid1(VALU_DEP_2)
	v_fma_f64 v[140:141], v[214:215], v[212:213], -v[140:141]
	v_mul_f64 v[214:215], v[214:215], v[142:143]
	v_add_f64 v[112:113], v[112:113], -v[140:141]
	s_delay_alu instid0(VALU_DEP_2) | instskip(NEXT) | instid1(VALU_DEP_1)
	v_fma_f64 v[214:215], v[216:217], v[212:213], v[214:215]
	v_add_f64 v[114:115], v[114:115], -v[214:215]
	ds_load_2addr_b64 v[214:217], v250 offset0:50 offset1:51
	s_waitcnt lgkmcnt(0)
	v_mul_f64 v[140:141], v[216:217], v[142:143]
	s_delay_alu instid0(VALU_DEP_1) | instskip(SKIP_1) | instid1(VALU_DEP_2)
	v_fma_f64 v[140:141], v[214:215], v[212:213], -v[140:141]
	v_mul_f64 v[214:215], v[214:215], v[142:143]
	v_add_f64 v[108:109], v[108:109], -v[140:141]
	s_delay_alu instid0(VALU_DEP_2) | instskip(NEXT) | instid1(VALU_DEP_1)
	v_fma_f64 v[214:215], v[216:217], v[212:213], v[214:215]
	v_add_f64 v[110:111], v[110:111], -v[214:215]
	ds_load_2addr_b64 v[214:217], v250 offset0:52 offset1:53
	s_waitcnt lgkmcnt(0)
	v_mul_f64 v[140:141], v[216:217], v[142:143]
	s_delay_alu instid0(VALU_DEP_1) | instskip(SKIP_1) | instid1(VALU_DEP_2)
	v_fma_f64 v[140:141], v[214:215], v[212:213], -v[140:141]
	v_mul_f64 v[214:215], v[214:215], v[142:143]
	v_add_f64 v[104:105], v[104:105], -v[140:141]
	s_delay_alu instid0(VALU_DEP_2) | instskip(NEXT) | instid1(VALU_DEP_1)
	v_fma_f64 v[214:215], v[216:217], v[212:213], v[214:215]
	v_add_f64 v[106:107], v[106:107], -v[214:215]
	ds_load_2addr_b64 v[214:217], v250 offset0:54 offset1:55
	s_waitcnt lgkmcnt(0)
	v_mul_f64 v[140:141], v[216:217], v[142:143]
	s_delay_alu instid0(VALU_DEP_1) | instskip(SKIP_1) | instid1(VALU_DEP_2)
	v_fma_f64 v[140:141], v[214:215], v[212:213], -v[140:141]
	v_mul_f64 v[214:215], v[214:215], v[142:143]
	v_add_f64 v[100:101], v[100:101], -v[140:141]
	s_delay_alu instid0(VALU_DEP_2) | instskip(NEXT) | instid1(VALU_DEP_1)
	v_fma_f64 v[214:215], v[216:217], v[212:213], v[214:215]
	v_add_f64 v[102:103], v[102:103], -v[214:215]
	ds_load_2addr_b64 v[214:217], v250 offset0:56 offset1:57
	s_waitcnt lgkmcnt(0)
	v_mul_f64 v[140:141], v[216:217], v[142:143]
	s_delay_alu instid0(VALU_DEP_1) | instskip(SKIP_1) | instid1(VALU_DEP_2)
	v_fma_f64 v[140:141], v[214:215], v[212:213], -v[140:141]
	v_mul_f64 v[214:215], v[214:215], v[142:143]
	v_add_f64 v[96:97], v[96:97], -v[140:141]
	s_delay_alu instid0(VALU_DEP_2) | instskip(NEXT) | instid1(VALU_DEP_1)
	v_fma_f64 v[214:215], v[216:217], v[212:213], v[214:215]
	v_add_f64 v[98:99], v[98:99], -v[214:215]
	ds_load_2addr_b64 v[214:217], v250 offset0:58 offset1:59
	s_waitcnt lgkmcnt(0)
	v_mul_f64 v[140:141], v[216:217], v[142:143]
	s_delay_alu instid0(VALU_DEP_1) | instskip(SKIP_1) | instid1(VALU_DEP_2)
	v_fma_f64 v[140:141], v[214:215], v[212:213], -v[140:141]
	v_mul_f64 v[214:215], v[214:215], v[142:143]
	v_add_f64 v[92:93], v[92:93], -v[140:141]
	s_delay_alu instid0(VALU_DEP_2) | instskip(NEXT) | instid1(VALU_DEP_1)
	v_fma_f64 v[214:215], v[216:217], v[212:213], v[214:215]
	v_add_f64 v[94:95], v[94:95], -v[214:215]
	ds_load_2addr_b64 v[214:217], v250 offset0:60 offset1:61
	s_waitcnt lgkmcnt(0)
	v_mul_f64 v[140:141], v[216:217], v[142:143]
	s_delay_alu instid0(VALU_DEP_1) | instskip(SKIP_1) | instid1(VALU_DEP_2)
	v_fma_f64 v[140:141], v[214:215], v[212:213], -v[140:141]
	v_mul_f64 v[214:215], v[214:215], v[142:143]
	v_add_f64 v[88:89], v[88:89], -v[140:141]
	s_delay_alu instid0(VALU_DEP_2) | instskip(NEXT) | instid1(VALU_DEP_1)
	v_fma_f64 v[214:215], v[216:217], v[212:213], v[214:215]
	v_add_f64 v[90:91], v[90:91], -v[214:215]
	ds_load_2addr_b64 v[214:217], v250 offset0:62 offset1:63
	s_waitcnt lgkmcnt(0)
	v_mul_f64 v[140:141], v[216:217], v[142:143]
	s_delay_alu instid0(VALU_DEP_1) | instskip(SKIP_1) | instid1(VALU_DEP_2)
	v_fma_f64 v[140:141], v[214:215], v[212:213], -v[140:141]
	v_mul_f64 v[214:215], v[214:215], v[142:143]
	v_add_f64 v[84:85], v[84:85], -v[140:141]
	s_delay_alu instid0(VALU_DEP_2) | instskip(NEXT) | instid1(VALU_DEP_1)
	v_fma_f64 v[214:215], v[216:217], v[212:213], v[214:215]
	v_add_f64 v[86:87], v[86:87], -v[214:215]
	ds_load_2addr_b64 v[214:217], v250 offset0:64 offset1:65
	s_waitcnt lgkmcnt(0)
	v_mul_f64 v[140:141], v[216:217], v[142:143]
	s_delay_alu instid0(VALU_DEP_1) | instskip(SKIP_1) | instid1(VALU_DEP_2)
	v_fma_f64 v[140:141], v[214:215], v[212:213], -v[140:141]
	v_mul_f64 v[214:215], v[214:215], v[142:143]
	v_add_f64 v[80:81], v[80:81], -v[140:141]
	s_delay_alu instid0(VALU_DEP_2) | instskip(NEXT) | instid1(VALU_DEP_1)
	v_fma_f64 v[214:215], v[216:217], v[212:213], v[214:215]
	v_add_f64 v[82:83], v[82:83], -v[214:215]
	ds_load_2addr_b64 v[214:217], v250 offset0:66 offset1:67
	s_waitcnt lgkmcnt(0)
	v_mul_f64 v[140:141], v[216:217], v[142:143]
	s_delay_alu instid0(VALU_DEP_1) | instskip(SKIP_1) | instid1(VALU_DEP_2)
	v_fma_f64 v[140:141], v[214:215], v[212:213], -v[140:141]
	v_mul_f64 v[214:215], v[214:215], v[142:143]
	v_add_f64 v[76:77], v[76:77], -v[140:141]
	s_delay_alu instid0(VALU_DEP_2) | instskip(NEXT) | instid1(VALU_DEP_1)
	v_fma_f64 v[214:215], v[216:217], v[212:213], v[214:215]
	v_add_f64 v[78:79], v[78:79], -v[214:215]
	ds_load_2addr_b64 v[214:217], v250 offset0:68 offset1:69
	s_waitcnt lgkmcnt(0)
	v_mul_f64 v[140:141], v[216:217], v[142:143]
	s_delay_alu instid0(VALU_DEP_1) | instskip(SKIP_1) | instid1(VALU_DEP_2)
	v_fma_f64 v[140:141], v[214:215], v[212:213], -v[140:141]
	v_mul_f64 v[214:215], v[214:215], v[142:143]
	v_add_f64 v[72:73], v[72:73], -v[140:141]
	s_delay_alu instid0(VALU_DEP_2) | instskip(NEXT) | instid1(VALU_DEP_1)
	v_fma_f64 v[214:215], v[216:217], v[212:213], v[214:215]
	v_add_f64 v[74:75], v[74:75], -v[214:215]
	ds_load_2addr_b64 v[214:217], v250 offset0:70 offset1:71
	s_waitcnt lgkmcnt(0)
	v_mul_f64 v[140:141], v[216:217], v[142:143]
	s_delay_alu instid0(VALU_DEP_1) | instskip(SKIP_1) | instid1(VALU_DEP_2)
	v_fma_f64 v[140:141], v[214:215], v[212:213], -v[140:141]
	v_mul_f64 v[214:215], v[214:215], v[142:143]
	v_add_f64 v[68:69], v[68:69], -v[140:141]
	s_delay_alu instid0(VALU_DEP_2) | instskip(NEXT) | instid1(VALU_DEP_1)
	v_fma_f64 v[214:215], v[216:217], v[212:213], v[214:215]
	v_add_f64 v[70:71], v[70:71], -v[214:215]
	ds_load_2addr_b64 v[214:217], v250 offset0:72 offset1:73
	s_waitcnt lgkmcnt(0)
	v_mul_f64 v[140:141], v[216:217], v[142:143]
	s_delay_alu instid0(VALU_DEP_1) | instskip(SKIP_1) | instid1(VALU_DEP_2)
	v_fma_f64 v[140:141], v[214:215], v[212:213], -v[140:141]
	v_mul_f64 v[214:215], v[214:215], v[142:143]
	v_add_f64 v[64:65], v[64:65], -v[140:141]
	s_delay_alu instid0(VALU_DEP_2) | instskip(NEXT) | instid1(VALU_DEP_1)
	v_fma_f64 v[214:215], v[216:217], v[212:213], v[214:215]
	v_add_f64 v[66:67], v[66:67], -v[214:215]
	ds_load_2addr_b64 v[214:217], v250 offset0:74 offset1:75
	s_waitcnt lgkmcnt(0)
	v_mul_f64 v[140:141], v[216:217], v[142:143]
	s_delay_alu instid0(VALU_DEP_1) | instskip(SKIP_1) | instid1(VALU_DEP_2)
	v_fma_f64 v[140:141], v[214:215], v[212:213], -v[140:141]
	v_mul_f64 v[214:215], v[214:215], v[142:143]
	v_add_f64 v[60:61], v[60:61], -v[140:141]
	s_delay_alu instid0(VALU_DEP_2) | instskip(NEXT) | instid1(VALU_DEP_1)
	v_fma_f64 v[214:215], v[216:217], v[212:213], v[214:215]
	v_add_f64 v[62:63], v[62:63], -v[214:215]
	ds_load_2addr_b64 v[214:217], v250 offset0:76 offset1:77
	s_waitcnt lgkmcnt(0)
	v_mul_f64 v[140:141], v[216:217], v[142:143]
	s_delay_alu instid0(VALU_DEP_1) | instskip(SKIP_1) | instid1(VALU_DEP_2)
	v_fma_f64 v[140:141], v[214:215], v[212:213], -v[140:141]
	v_mul_f64 v[214:215], v[214:215], v[142:143]
	v_add_f64 v[56:57], v[56:57], -v[140:141]
	s_delay_alu instid0(VALU_DEP_2) | instskip(NEXT) | instid1(VALU_DEP_1)
	v_fma_f64 v[214:215], v[216:217], v[212:213], v[214:215]
	v_add_f64 v[58:59], v[58:59], -v[214:215]
	ds_load_2addr_b64 v[214:217], v250 offset0:78 offset1:79
	s_waitcnt lgkmcnt(0)
	v_mul_f64 v[140:141], v[216:217], v[142:143]
	s_delay_alu instid0(VALU_DEP_1) | instskip(SKIP_1) | instid1(VALU_DEP_2)
	v_fma_f64 v[140:141], v[214:215], v[212:213], -v[140:141]
	v_mul_f64 v[214:215], v[214:215], v[142:143]
	v_add_f64 v[52:53], v[52:53], -v[140:141]
	s_delay_alu instid0(VALU_DEP_2) | instskip(NEXT) | instid1(VALU_DEP_1)
	v_fma_f64 v[214:215], v[216:217], v[212:213], v[214:215]
	v_add_f64 v[54:55], v[54:55], -v[214:215]
	ds_load_2addr_b64 v[214:217], v250 offset0:80 offset1:81
	s_waitcnt lgkmcnt(0)
	v_mul_f64 v[140:141], v[216:217], v[142:143]
	s_delay_alu instid0(VALU_DEP_1) | instskip(SKIP_1) | instid1(VALU_DEP_2)
	v_fma_f64 v[140:141], v[214:215], v[212:213], -v[140:141]
	v_mul_f64 v[214:215], v[214:215], v[142:143]
	v_add_f64 v[48:49], v[48:49], -v[140:141]
	s_delay_alu instid0(VALU_DEP_2) | instskip(NEXT) | instid1(VALU_DEP_1)
	v_fma_f64 v[214:215], v[216:217], v[212:213], v[214:215]
	v_add_f64 v[50:51], v[50:51], -v[214:215]
	ds_load_2addr_b64 v[214:217], v250 offset0:82 offset1:83
	s_waitcnt lgkmcnt(0)
	v_mul_f64 v[140:141], v[216:217], v[142:143]
	s_delay_alu instid0(VALU_DEP_1) | instskip(SKIP_1) | instid1(VALU_DEP_2)
	v_fma_f64 v[140:141], v[214:215], v[212:213], -v[140:141]
	v_mul_f64 v[214:215], v[214:215], v[142:143]
	v_add_f64 v[44:45], v[44:45], -v[140:141]
	s_delay_alu instid0(VALU_DEP_2) | instskip(NEXT) | instid1(VALU_DEP_1)
	v_fma_f64 v[214:215], v[216:217], v[212:213], v[214:215]
	v_add_f64 v[46:47], v[46:47], -v[214:215]
	ds_load_2addr_b64 v[214:217], v250 offset0:84 offset1:85
	s_waitcnt lgkmcnt(0)
	v_mul_f64 v[140:141], v[216:217], v[142:143]
	s_delay_alu instid0(VALU_DEP_1) | instskip(SKIP_1) | instid1(VALU_DEP_2)
	v_fma_f64 v[140:141], v[214:215], v[212:213], -v[140:141]
	v_mul_f64 v[214:215], v[214:215], v[142:143]
	v_add_f64 v[40:41], v[40:41], -v[140:141]
	s_delay_alu instid0(VALU_DEP_2) | instskip(NEXT) | instid1(VALU_DEP_1)
	v_fma_f64 v[214:215], v[216:217], v[212:213], v[214:215]
	v_add_f64 v[42:43], v[42:43], -v[214:215]
	ds_load_2addr_b64 v[214:217], v250 offset0:86 offset1:87
	s_waitcnt lgkmcnt(0)
	v_mul_f64 v[140:141], v[216:217], v[142:143]
	s_delay_alu instid0(VALU_DEP_1) | instskip(SKIP_1) | instid1(VALU_DEP_2)
	v_fma_f64 v[140:141], v[214:215], v[212:213], -v[140:141]
	v_mul_f64 v[214:215], v[214:215], v[142:143]
	v_add_f64 v[36:37], v[36:37], -v[140:141]
	s_delay_alu instid0(VALU_DEP_2) | instskip(NEXT) | instid1(VALU_DEP_1)
	v_fma_f64 v[214:215], v[216:217], v[212:213], v[214:215]
	v_add_f64 v[38:39], v[38:39], -v[214:215]
	ds_load_2addr_b64 v[214:217], v250 offset0:88 offset1:89
	s_waitcnt lgkmcnt(0)
	v_mul_f64 v[140:141], v[216:217], v[142:143]
	s_delay_alu instid0(VALU_DEP_1) | instskip(SKIP_1) | instid1(VALU_DEP_2)
	v_fma_f64 v[140:141], v[214:215], v[212:213], -v[140:141]
	v_mul_f64 v[214:215], v[214:215], v[142:143]
	v_add_f64 v[32:33], v[32:33], -v[140:141]
	s_delay_alu instid0(VALU_DEP_2) | instskip(NEXT) | instid1(VALU_DEP_1)
	v_fma_f64 v[214:215], v[216:217], v[212:213], v[214:215]
	v_add_f64 v[34:35], v[34:35], -v[214:215]
	ds_load_2addr_b64 v[214:217], v250 offset0:90 offset1:91
	s_waitcnt lgkmcnt(0)
	v_mul_f64 v[140:141], v[216:217], v[142:143]
	s_delay_alu instid0(VALU_DEP_1) | instskip(SKIP_1) | instid1(VALU_DEP_2)
	v_fma_f64 v[140:141], v[214:215], v[212:213], -v[140:141]
	v_mul_f64 v[214:215], v[214:215], v[142:143]
	v_add_f64 v[28:29], v[28:29], -v[140:141]
	s_delay_alu instid0(VALU_DEP_2) | instskip(NEXT) | instid1(VALU_DEP_1)
	v_fma_f64 v[214:215], v[216:217], v[212:213], v[214:215]
	v_add_f64 v[30:31], v[30:31], -v[214:215]
	ds_load_2addr_b64 v[214:217], v250 offset0:92 offset1:93
	s_waitcnt lgkmcnt(0)
	v_mul_f64 v[140:141], v[216:217], v[142:143]
	s_delay_alu instid0(VALU_DEP_1) | instskip(SKIP_1) | instid1(VALU_DEP_2)
	v_fma_f64 v[140:141], v[214:215], v[212:213], -v[140:141]
	v_mul_f64 v[214:215], v[214:215], v[142:143]
	v_add_f64 v[24:25], v[24:25], -v[140:141]
	s_delay_alu instid0(VALU_DEP_2) | instskip(NEXT) | instid1(VALU_DEP_1)
	v_fma_f64 v[214:215], v[216:217], v[212:213], v[214:215]
	v_add_f64 v[26:27], v[26:27], -v[214:215]
	ds_load_2addr_b64 v[214:217], v250 offset0:94 offset1:95
	s_waitcnt lgkmcnt(0)
	v_mul_f64 v[140:141], v[216:217], v[142:143]
	s_delay_alu instid0(VALU_DEP_1) | instskip(SKIP_1) | instid1(VALU_DEP_2)
	v_fma_f64 v[140:141], v[214:215], v[212:213], -v[140:141]
	v_mul_f64 v[214:215], v[214:215], v[142:143]
	v_add_f64 v[20:21], v[20:21], -v[140:141]
	s_delay_alu instid0(VALU_DEP_2) | instskip(NEXT) | instid1(VALU_DEP_1)
	v_fma_f64 v[214:215], v[216:217], v[212:213], v[214:215]
	v_add_f64 v[22:23], v[22:23], -v[214:215]
	ds_load_2addr_b64 v[214:217], v250 offset0:96 offset1:97
	s_waitcnt lgkmcnt(0)
	v_mul_f64 v[140:141], v[216:217], v[142:143]
	s_delay_alu instid0(VALU_DEP_1) | instskip(SKIP_1) | instid1(VALU_DEP_2)
	v_fma_f64 v[140:141], v[214:215], v[212:213], -v[140:141]
	v_mul_f64 v[214:215], v[214:215], v[142:143]
	v_add_f64 v[16:17], v[16:17], -v[140:141]
	s_delay_alu instid0(VALU_DEP_2) | instskip(NEXT) | instid1(VALU_DEP_1)
	v_fma_f64 v[214:215], v[216:217], v[212:213], v[214:215]
	v_add_f64 v[18:19], v[18:19], -v[214:215]
	ds_load_2addr_b64 v[214:217], v250 offset0:98 offset1:99
	s_waitcnt lgkmcnt(0)
	v_mul_f64 v[140:141], v[216:217], v[142:143]
	s_delay_alu instid0(VALU_DEP_1) | instskip(SKIP_1) | instid1(VALU_DEP_2)
	v_fma_f64 v[140:141], v[214:215], v[212:213], -v[140:141]
	v_mul_f64 v[214:215], v[214:215], v[142:143]
	v_add_f64 v[12:13], v[12:13], -v[140:141]
	s_delay_alu instid0(VALU_DEP_2) | instskip(NEXT) | instid1(VALU_DEP_1)
	v_fma_f64 v[214:215], v[216:217], v[212:213], v[214:215]
	v_add_f64 v[14:15], v[14:15], -v[214:215]
	ds_load_2addr_b64 v[214:217], v250 offset0:100 offset1:101
	s_waitcnt lgkmcnt(0)
	v_mul_f64 v[140:141], v[216:217], v[142:143]
	s_delay_alu instid0(VALU_DEP_1) | instskip(SKIP_1) | instid1(VALU_DEP_2)
	v_fma_f64 v[140:141], v[214:215], v[212:213], -v[140:141]
	v_mul_f64 v[214:215], v[214:215], v[142:143]
	v_add_f64 v[8:9], v[8:9], -v[140:141]
	s_delay_alu instid0(VALU_DEP_2) | instskip(NEXT) | instid1(VALU_DEP_1)
	v_fma_f64 v[214:215], v[216:217], v[212:213], v[214:215]
	v_add_f64 v[10:11], v[10:11], -v[214:215]
	ds_load_2addr_b64 v[214:217], v250 offset0:102 offset1:103
	s_waitcnt lgkmcnt(0)
	v_mul_f64 v[140:141], v[216:217], v[142:143]
	s_delay_alu instid0(VALU_DEP_1) | instskip(SKIP_1) | instid1(VALU_DEP_2)
	v_fma_f64 v[140:141], v[214:215], v[212:213], -v[140:141]
	v_mul_f64 v[214:215], v[214:215], v[142:143]
	v_add_f64 v[4:5], v[4:5], -v[140:141]
	s_delay_alu instid0(VALU_DEP_2) | instskip(NEXT) | instid1(VALU_DEP_1)
	v_fma_f64 v[214:215], v[216:217], v[212:213], v[214:215]
	v_add_f64 v[6:7], v[6:7], -v[214:215]
	ds_load_2addr_b64 v[214:217], v250 offset0:104 offset1:105
	s_waitcnt lgkmcnt(0)
	v_mul_f64 v[140:141], v[216:217], v[142:143]
	s_delay_alu instid0(VALU_DEP_1) | instskip(SKIP_1) | instid1(VALU_DEP_2)
	v_fma_f64 v[140:141], v[214:215], v[212:213], -v[140:141]
	v_mul_f64 v[214:215], v[214:215], v[142:143]
	v_add_f64 v[0:1], v[0:1], -v[140:141]
	s_delay_alu instid0(VALU_DEP_2) | instskip(SKIP_1) | instid1(VALU_DEP_2)
	v_fma_f64 v[214:215], v[216:217], v[212:213], v[214:215]
	v_dual_mov_b32 v140, v212 :: v_dual_mov_b32 v141, v213
	v_add_f64 v[2:3], v[2:3], -v[214:215]
.LBB105_163:
	s_or_b32 exec_lo, exec_lo, s3
	s_delay_alu instid0(SALU_CYCLE_1)
	s_mov_b32 s4, exec_lo
	s_waitcnt_vscnt null, 0x0
	s_barrier
	buffer_gl0_inv
	v_cmpx_eq_u32_e32 18, v205
	s_cbranch_execz .LBB105_170
; %bb.164:
	ds_store_2addr_b64 v255, v[136:137], v[138:139] offset1:1
	ds_store_2addr_b64 v250, v[132:133], v[134:135] offset0:38 offset1:39
	ds_store_2addr_b64 v250, v[128:129], v[130:131] offset0:40 offset1:41
	;; [unrolled: 1-line block ×34, first 2 shown]
	ds_load_2addr_b64 v[212:215], v255 offset1:1
	s_waitcnt lgkmcnt(0)
	v_cmp_neq_f64_e32 vcc_lo, 0, v[212:213]
	v_cmp_neq_f64_e64 s3, 0, v[214:215]
	s_delay_alu instid0(VALU_DEP_1) | instskip(NEXT) | instid1(SALU_CYCLE_1)
	s_or_b32 s3, vcc_lo, s3
	s_and_b32 exec_lo, exec_lo, s3
	s_cbranch_execz .LBB105_170
; %bb.165:
	v_cmp_gt_f64_e32 vcc_lo, 0, v[212:213]
	v_xor_b32_e32 v204, 0x80000000, v213
	s_mov_b32 s3, exec_lo
                                        ; implicit-def: $vgpr220_vgpr221
	s_delay_alu instid0(VALU_DEP_1) | instskip(SKIP_3) | instid1(VALU_DEP_1)
	v_cndmask_b32_e32 v217, v213, v204, vcc_lo
	v_cndmask_b32_e32 v216, v212, v212, vcc_lo
	v_cmp_gt_f64_e32 vcc_lo, 0, v[214:215]
	v_xor_b32_e32 v204, 0x80000000, v215
	v_dual_cndmask_b32 v218, v214, v214 :: v_dual_cndmask_b32 v219, v215, v204
	s_delay_alu instid0(VALU_DEP_1)
	v_cmpx_ngt_f64_e32 v[216:217], v[218:219]
	s_xor_b32 s3, exec_lo, s3
                                        ; implicit-def: $vgpr216_vgpr217_vgpr218_vgpr219
	s_cbranch_execz .LBB105_167
; %bb.166:
	v_div_scale_f64 v[216:217], null, v[214:215], v[214:215], v[212:213]
	v_div_scale_f64 v[222:223], vcc_lo, v[212:213], v[214:215], v[212:213]
	s_delay_alu instid0(VALU_DEP_2) | instskip(SKIP_2) | instid1(VALU_DEP_1)
	v_rcp_f64_e32 v[218:219], v[216:217]
	s_waitcnt_depctr 0xfff
	v_fma_f64 v[220:221], -v[216:217], v[218:219], 1.0
	v_fma_f64 v[218:219], v[218:219], v[220:221], v[218:219]
	s_delay_alu instid0(VALU_DEP_1) | instskip(NEXT) | instid1(VALU_DEP_1)
	v_fma_f64 v[220:221], -v[216:217], v[218:219], 1.0
	v_fma_f64 v[218:219], v[218:219], v[220:221], v[218:219]
	s_delay_alu instid0(VALU_DEP_1) | instskip(NEXT) | instid1(VALU_DEP_1)
	v_mul_f64 v[220:221], v[222:223], v[218:219]
	v_fma_f64 v[216:217], -v[216:217], v[220:221], v[222:223]
	s_delay_alu instid0(VALU_DEP_1) | instskip(NEXT) | instid1(VALU_DEP_1)
	v_div_fmas_f64 v[216:217], v[216:217], v[218:219], v[220:221]
	v_div_fixup_f64 v[216:217], v[216:217], v[214:215], v[212:213]
	s_delay_alu instid0(VALU_DEP_1) | instskip(NEXT) | instid1(VALU_DEP_1)
	v_fma_f64 v[212:213], v[212:213], v[216:217], v[214:215]
	v_div_scale_f64 v[214:215], null, v[212:213], v[212:213], 1.0
	s_delay_alu instid0(VALU_DEP_1) | instskip(SKIP_2) | instid1(VALU_DEP_1)
	v_rcp_f64_e32 v[218:219], v[214:215]
	s_waitcnt_depctr 0xfff
	v_fma_f64 v[220:221], -v[214:215], v[218:219], 1.0
	v_fma_f64 v[218:219], v[218:219], v[220:221], v[218:219]
	s_delay_alu instid0(VALU_DEP_1) | instskip(NEXT) | instid1(VALU_DEP_1)
	v_fma_f64 v[220:221], -v[214:215], v[218:219], 1.0
	v_fma_f64 v[218:219], v[218:219], v[220:221], v[218:219]
	v_div_scale_f64 v[220:221], vcc_lo, 1.0, v[212:213], 1.0
	s_delay_alu instid0(VALU_DEP_1) | instskip(NEXT) | instid1(VALU_DEP_1)
	v_mul_f64 v[222:223], v[220:221], v[218:219]
	v_fma_f64 v[214:215], -v[214:215], v[222:223], v[220:221]
	s_delay_alu instid0(VALU_DEP_1) | instskip(NEXT) | instid1(VALU_DEP_1)
	v_div_fmas_f64 v[214:215], v[214:215], v[218:219], v[222:223]
	v_div_fixup_f64 v[218:219], v[214:215], v[212:213], 1.0
                                        ; implicit-def: $vgpr212_vgpr213
	s_delay_alu instid0(VALU_DEP_1)
	v_mul_f64 v[220:221], v[216:217], v[218:219]
	v_xor_b32_e32 v219, 0x80000000, v219
.LBB105_167:
	s_and_not1_saveexec_b32 s3, s3
	s_cbranch_execz .LBB105_169
; %bb.168:
	v_div_scale_f64 v[216:217], null, v[212:213], v[212:213], v[214:215]
	v_div_scale_f64 v[222:223], vcc_lo, v[214:215], v[212:213], v[214:215]
	s_delay_alu instid0(VALU_DEP_2) | instskip(SKIP_2) | instid1(VALU_DEP_1)
	v_rcp_f64_e32 v[218:219], v[216:217]
	s_waitcnt_depctr 0xfff
	v_fma_f64 v[220:221], -v[216:217], v[218:219], 1.0
	v_fma_f64 v[218:219], v[218:219], v[220:221], v[218:219]
	s_delay_alu instid0(VALU_DEP_1) | instskip(NEXT) | instid1(VALU_DEP_1)
	v_fma_f64 v[220:221], -v[216:217], v[218:219], 1.0
	v_fma_f64 v[218:219], v[218:219], v[220:221], v[218:219]
	s_delay_alu instid0(VALU_DEP_1) | instskip(NEXT) | instid1(VALU_DEP_1)
	v_mul_f64 v[220:221], v[222:223], v[218:219]
	v_fma_f64 v[216:217], -v[216:217], v[220:221], v[222:223]
	s_delay_alu instid0(VALU_DEP_1) | instskip(NEXT) | instid1(VALU_DEP_1)
	v_div_fmas_f64 v[216:217], v[216:217], v[218:219], v[220:221]
	v_div_fixup_f64 v[216:217], v[216:217], v[212:213], v[214:215]
	s_delay_alu instid0(VALU_DEP_1) | instskip(NEXT) | instid1(VALU_DEP_1)
	v_fma_f64 v[212:213], v[214:215], v[216:217], v[212:213]
	v_div_scale_f64 v[214:215], null, v[212:213], v[212:213], 1.0
	s_delay_alu instid0(VALU_DEP_1) | instskip(SKIP_2) | instid1(VALU_DEP_1)
	v_rcp_f64_e32 v[218:219], v[214:215]
	s_waitcnt_depctr 0xfff
	v_fma_f64 v[220:221], -v[214:215], v[218:219], 1.0
	v_fma_f64 v[218:219], v[218:219], v[220:221], v[218:219]
	s_delay_alu instid0(VALU_DEP_1) | instskip(NEXT) | instid1(VALU_DEP_1)
	v_fma_f64 v[220:221], -v[214:215], v[218:219], 1.0
	v_fma_f64 v[218:219], v[218:219], v[220:221], v[218:219]
	v_div_scale_f64 v[220:221], vcc_lo, 1.0, v[212:213], 1.0
	s_delay_alu instid0(VALU_DEP_1) | instskip(NEXT) | instid1(VALU_DEP_1)
	v_mul_f64 v[222:223], v[220:221], v[218:219]
	v_fma_f64 v[214:215], -v[214:215], v[222:223], v[220:221]
	s_delay_alu instid0(VALU_DEP_1) | instskip(NEXT) | instid1(VALU_DEP_1)
	v_div_fmas_f64 v[214:215], v[214:215], v[218:219], v[222:223]
	v_div_fixup_f64 v[220:221], v[214:215], v[212:213], 1.0
	s_delay_alu instid0(VALU_DEP_1)
	v_mul_f64 v[218:219], v[216:217], -v[220:221]
.LBB105_169:
	s_or_b32 exec_lo, exec_lo, s3
	ds_store_2addr_b64 v255, v[220:221], v[218:219] offset1:1
.LBB105_170:
	s_or_b32 exec_lo, exec_lo, s4
	s_waitcnt lgkmcnt(0)
	s_barrier
	buffer_gl0_inv
	ds_load_2addr_b64 v[212:215], v255 offset1:1
	s_mov_b32 s3, exec_lo
	s_waitcnt lgkmcnt(0)
	scratch_store_b128 off, v[212:215], off offset:728 ; 16-byte Folded Spill
	v_cmpx_lt_u32_e32 18, v205
	s_cbranch_execz .LBB105_172
; %bb.171:
	scratch_load_b128 v[214:217], off, off offset:728 ; 16-byte Folded Reload
	s_waitcnt vmcnt(0)
	v_mul_f64 v[212:213], v[216:217], v[138:139]
	v_mul_f64 v[138:139], v[214:215], v[138:139]
	s_delay_alu instid0(VALU_DEP_2) | instskip(NEXT) | instid1(VALU_DEP_2)
	v_fma_f64 v[212:213], v[214:215], v[136:137], -v[212:213]
	v_fma_f64 v[138:139], v[216:217], v[136:137], v[138:139]
	ds_load_2addr_b64 v[214:217], v250 offset0:38 offset1:39
	s_waitcnt lgkmcnt(0)
	v_mul_f64 v[136:137], v[216:217], v[138:139]
	s_delay_alu instid0(VALU_DEP_1) | instskip(SKIP_1) | instid1(VALU_DEP_2)
	v_fma_f64 v[136:137], v[214:215], v[212:213], -v[136:137]
	v_mul_f64 v[214:215], v[214:215], v[138:139]
	v_add_f64 v[132:133], v[132:133], -v[136:137]
	s_delay_alu instid0(VALU_DEP_2) | instskip(NEXT) | instid1(VALU_DEP_1)
	v_fma_f64 v[214:215], v[216:217], v[212:213], v[214:215]
	v_add_f64 v[134:135], v[134:135], -v[214:215]
	ds_load_2addr_b64 v[214:217], v250 offset0:40 offset1:41
	s_waitcnt lgkmcnt(0)
	v_mul_f64 v[136:137], v[216:217], v[138:139]
	s_delay_alu instid0(VALU_DEP_1) | instskip(SKIP_1) | instid1(VALU_DEP_2)
	v_fma_f64 v[136:137], v[214:215], v[212:213], -v[136:137]
	v_mul_f64 v[214:215], v[214:215], v[138:139]
	v_add_f64 v[128:129], v[128:129], -v[136:137]
	s_delay_alu instid0(VALU_DEP_2) | instskip(NEXT) | instid1(VALU_DEP_1)
	v_fma_f64 v[214:215], v[216:217], v[212:213], v[214:215]
	v_add_f64 v[130:131], v[130:131], -v[214:215]
	;; [unrolled: 10-line block ×33, first 2 shown]
	ds_load_2addr_b64 v[214:217], v250 offset0:104 offset1:105
	s_waitcnt lgkmcnt(0)
	v_mul_f64 v[136:137], v[216:217], v[138:139]
	s_delay_alu instid0(VALU_DEP_1) | instskip(SKIP_1) | instid1(VALU_DEP_2)
	v_fma_f64 v[136:137], v[214:215], v[212:213], -v[136:137]
	v_mul_f64 v[214:215], v[214:215], v[138:139]
	v_add_f64 v[0:1], v[0:1], -v[136:137]
	s_delay_alu instid0(VALU_DEP_2) | instskip(SKIP_1) | instid1(VALU_DEP_2)
	v_fma_f64 v[214:215], v[216:217], v[212:213], v[214:215]
	v_dual_mov_b32 v136, v212 :: v_dual_mov_b32 v137, v213
	v_add_f64 v[2:3], v[2:3], -v[214:215]
.LBB105_172:
	s_or_b32 exec_lo, exec_lo, s3
	s_delay_alu instid0(SALU_CYCLE_1)
	s_mov_b32 s4, exec_lo
	s_waitcnt_vscnt null, 0x0
	s_barrier
	buffer_gl0_inv
	v_cmpx_eq_u32_e32 19, v205
	s_cbranch_execz .LBB105_179
; %bb.173:
	ds_store_2addr_b64 v255, v[132:133], v[134:135] offset1:1
	ds_store_2addr_b64 v250, v[128:129], v[130:131] offset0:40 offset1:41
	ds_store_2addr_b64 v250, v[124:125], v[126:127] offset0:42 offset1:43
	;; [unrolled: 1-line block ×33, first 2 shown]
	ds_load_2addr_b64 v[212:215], v255 offset1:1
	s_waitcnt lgkmcnt(0)
	v_cmp_neq_f64_e32 vcc_lo, 0, v[212:213]
	v_cmp_neq_f64_e64 s3, 0, v[214:215]
	s_delay_alu instid0(VALU_DEP_1) | instskip(NEXT) | instid1(SALU_CYCLE_1)
	s_or_b32 s3, vcc_lo, s3
	s_and_b32 exec_lo, exec_lo, s3
	s_cbranch_execz .LBB105_179
; %bb.174:
	v_cmp_gt_f64_e32 vcc_lo, 0, v[212:213]
	v_xor_b32_e32 v204, 0x80000000, v213
	s_mov_b32 s3, exec_lo
                                        ; implicit-def: $vgpr220_vgpr221
	s_delay_alu instid0(VALU_DEP_1) | instskip(SKIP_3) | instid1(VALU_DEP_1)
	v_cndmask_b32_e32 v217, v213, v204, vcc_lo
	v_cndmask_b32_e32 v216, v212, v212, vcc_lo
	v_cmp_gt_f64_e32 vcc_lo, 0, v[214:215]
	v_xor_b32_e32 v204, 0x80000000, v215
	v_dual_cndmask_b32 v218, v214, v214 :: v_dual_cndmask_b32 v219, v215, v204
	s_delay_alu instid0(VALU_DEP_1)
	v_cmpx_ngt_f64_e32 v[216:217], v[218:219]
	s_xor_b32 s3, exec_lo, s3
                                        ; implicit-def: $vgpr216_vgpr217_vgpr218_vgpr219
	s_cbranch_execz .LBB105_176
; %bb.175:
	v_div_scale_f64 v[216:217], null, v[214:215], v[214:215], v[212:213]
	v_div_scale_f64 v[222:223], vcc_lo, v[212:213], v[214:215], v[212:213]
	s_delay_alu instid0(VALU_DEP_2) | instskip(SKIP_2) | instid1(VALU_DEP_1)
	v_rcp_f64_e32 v[218:219], v[216:217]
	s_waitcnt_depctr 0xfff
	v_fma_f64 v[220:221], -v[216:217], v[218:219], 1.0
	v_fma_f64 v[218:219], v[218:219], v[220:221], v[218:219]
	s_delay_alu instid0(VALU_DEP_1) | instskip(NEXT) | instid1(VALU_DEP_1)
	v_fma_f64 v[220:221], -v[216:217], v[218:219], 1.0
	v_fma_f64 v[218:219], v[218:219], v[220:221], v[218:219]
	s_delay_alu instid0(VALU_DEP_1) | instskip(NEXT) | instid1(VALU_DEP_1)
	v_mul_f64 v[220:221], v[222:223], v[218:219]
	v_fma_f64 v[216:217], -v[216:217], v[220:221], v[222:223]
	s_delay_alu instid0(VALU_DEP_1) | instskip(NEXT) | instid1(VALU_DEP_1)
	v_div_fmas_f64 v[216:217], v[216:217], v[218:219], v[220:221]
	v_div_fixup_f64 v[216:217], v[216:217], v[214:215], v[212:213]
	s_delay_alu instid0(VALU_DEP_1) | instskip(NEXT) | instid1(VALU_DEP_1)
	v_fma_f64 v[212:213], v[212:213], v[216:217], v[214:215]
	v_div_scale_f64 v[214:215], null, v[212:213], v[212:213], 1.0
	s_delay_alu instid0(VALU_DEP_1) | instskip(SKIP_2) | instid1(VALU_DEP_1)
	v_rcp_f64_e32 v[218:219], v[214:215]
	s_waitcnt_depctr 0xfff
	v_fma_f64 v[220:221], -v[214:215], v[218:219], 1.0
	v_fma_f64 v[218:219], v[218:219], v[220:221], v[218:219]
	s_delay_alu instid0(VALU_DEP_1) | instskip(NEXT) | instid1(VALU_DEP_1)
	v_fma_f64 v[220:221], -v[214:215], v[218:219], 1.0
	v_fma_f64 v[218:219], v[218:219], v[220:221], v[218:219]
	v_div_scale_f64 v[220:221], vcc_lo, 1.0, v[212:213], 1.0
	s_delay_alu instid0(VALU_DEP_1) | instskip(NEXT) | instid1(VALU_DEP_1)
	v_mul_f64 v[222:223], v[220:221], v[218:219]
	v_fma_f64 v[214:215], -v[214:215], v[222:223], v[220:221]
	s_delay_alu instid0(VALU_DEP_1) | instskip(NEXT) | instid1(VALU_DEP_1)
	v_div_fmas_f64 v[214:215], v[214:215], v[218:219], v[222:223]
	v_div_fixup_f64 v[218:219], v[214:215], v[212:213], 1.0
                                        ; implicit-def: $vgpr212_vgpr213
	s_delay_alu instid0(VALU_DEP_1)
	v_mul_f64 v[220:221], v[216:217], v[218:219]
	v_xor_b32_e32 v219, 0x80000000, v219
.LBB105_176:
	s_and_not1_saveexec_b32 s3, s3
	s_cbranch_execz .LBB105_178
; %bb.177:
	v_div_scale_f64 v[216:217], null, v[212:213], v[212:213], v[214:215]
	v_div_scale_f64 v[222:223], vcc_lo, v[214:215], v[212:213], v[214:215]
	s_delay_alu instid0(VALU_DEP_2) | instskip(SKIP_2) | instid1(VALU_DEP_1)
	v_rcp_f64_e32 v[218:219], v[216:217]
	s_waitcnt_depctr 0xfff
	v_fma_f64 v[220:221], -v[216:217], v[218:219], 1.0
	v_fma_f64 v[218:219], v[218:219], v[220:221], v[218:219]
	s_delay_alu instid0(VALU_DEP_1) | instskip(NEXT) | instid1(VALU_DEP_1)
	v_fma_f64 v[220:221], -v[216:217], v[218:219], 1.0
	v_fma_f64 v[218:219], v[218:219], v[220:221], v[218:219]
	s_delay_alu instid0(VALU_DEP_1) | instskip(NEXT) | instid1(VALU_DEP_1)
	v_mul_f64 v[220:221], v[222:223], v[218:219]
	v_fma_f64 v[216:217], -v[216:217], v[220:221], v[222:223]
	s_delay_alu instid0(VALU_DEP_1) | instskip(NEXT) | instid1(VALU_DEP_1)
	v_div_fmas_f64 v[216:217], v[216:217], v[218:219], v[220:221]
	v_div_fixup_f64 v[216:217], v[216:217], v[212:213], v[214:215]
	s_delay_alu instid0(VALU_DEP_1) | instskip(NEXT) | instid1(VALU_DEP_1)
	v_fma_f64 v[212:213], v[214:215], v[216:217], v[212:213]
	v_div_scale_f64 v[214:215], null, v[212:213], v[212:213], 1.0
	s_delay_alu instid0(VALU_DEP_1) | instskip(SKIP_2) | instid1(VALU_DEP_1)
	v_rcp_f64_e32 v[218:219], v[214:215]
	s_waitcnt_depctr 0xfff
	v_fma_f64 v[220:221], -v[214:215], v[218:219], 1.0
	v_fma_f64 v[218:219], v[218:219], v[220:221], v[218:219]
	s_delay_alu instid0(VALU_DEP_1) | instskip(NEXT) | instid1(VALU_DEP_1)
	v_fma_f64 v[220:221], -v[214:215], v[218:219], 1.0
	v_fma_f64 v[218:219], v[218:219], v[220:221], v[218:219]
	v_div_scale_f64 v[220:221], vcc_lo, 1.0, v[212:213], 1.0
	s_delay_alu instid0(VALU_DEP_1) | instskip(NEXT) | instid1(VALU_DEP_1)
	v_mul_f64 v[222:223], v[220:221], v[218:219]
	v_fma_f64 v[214:215], -v[214:215], v[222:223], v[220:221]
	s_delay_alu instid0(VALU_DEP_1) | instskip(NEXT) | instid1(VALU_DEP_1)
	v_div_fmas_f64 v[214:215], v[214:215], v[218:219], v[222:223]
	v_div_fixup_f64 v[220:221], v[214:215], v[212:213], 1.0
	s_delay_alu instid0(VALU_DEP_1)
	v_mul_f64 v[218:219], v[216:217], -v[220:221]
.LBB105_178:
	s_or_b32 exec_lo, exec_lo, s3
	ds_store_2addr_b64 v255, v[220:221], v[218:219] offset1:1
.LBB105_179:
	s_or_b32 exec_lo, exec_lo, s4
	s_waitcnt lgkmcnt(0)
	s_barrier
	buffer_gl0_inv
	ds_load_2addr_b64 v[212:215], v255 offset1:1
	s_mov_b32 s3, exec_lo
	s_waitcnt lgkmcnt(0)
	scratch_store_b128 off, v[212:215], off offset:744 ; 16-byte Folded Spill
	v_cmpx_lt_u32_e32 19, v205
	s_cbranch_execz .LBB105_181
; %bb.180:
	scratch_load_b128 v[214:217], off, off offset:744 ; 16-byte Folded Reload
	s_waitcnt vmcnt(0)
	v_mul_f64 v[212:213], v[216:217], v[134:135]
	v_mul_f64 v[134:135], v[214:215], v[134:135]
	s_delay_alu instid0(VALU_DEP_2) | instskip(NEXT) | instid1(VALU_DEP_2)
	v_fma_f64 v[212:213], v[214:215], v[132:133], -v[212:213]
	v_fma_f64 v[134:135], v[216:217], v[132:133], v[134:135]
	ds_load_2addr_b64 v[214:217], v250 offset0:40 offset1:41
	s_waitcnt lgkmcnt(0)
	v_mul_f64 v[132:133], v[216:217], v[134:135]
	s_delay_alu instid0(VALU_DEP_1) | instskip(SKIP_1) | instid1(VALU_DEP_2)
	v_fma_f64 v[132:133], v[214:215], v[212:213], -v[132:133]
	v_mul_f64 v[214:215], v[214:215], v[134:135]
	v_add_f64 v[128:129], v[128:129], -v[132:133]
	s_delay_alu instid0(VALU_DEP_2) | instskip(NEXT) | instid1(VALU_DEP_1)
	v_fma_f64 v[214:215], v[216:217], v[212:213], v[214:215]
	v_add_f64 v[130:131], v[130:131], -v[214:215]
	ds_load_2addr_b64 v[214:217], v250 offset0:42 offset1:43
	s_waitcnt lgkmcnt(0)
	v_mul_f64 v[132:133], v[216:217], v[134:135]
	s_delay_alu instid0(VALU_DEP_1) | instskip(SKIP_1) | instid1(VALU_DEP_2)
	v_fma_f64 v[132:133], v[214:215], v[212:213], -v[132:133]
	v_mul_f64 v[214:215], v[214:215], v[134:135]
	v_add_f64 v[124:125], v[124:125], -v[132:133]
	s_delay_alu instid0(VALU_DEP_2) | instskip(NEXT) | instid1(VALU_DEP_1)
	v_fma_f64 v[214:215], v[216:217], v[212:213], v[214:215]
	v_add_f64 v[126:127], v[126:127], -v[214:215]
	;; [unrolled: 10-line block ×32, first 2 shown]
	ds_load_2addr_b64 v[214:217], v250 offset0:104 offset1:105
	s_waitcnt lgkmcnt(0)
	v_mul_f64 v[132:133], v[216:217], v[134:135]
	s_delay_alu instid0(VALU_DEP_1) | instskip(SKIP_1) | instid1(VALU_DEP_2)
	v_fma_f64 v[132:133], v[214:215], v[212:213], -v[132:133]
	v_mul_f64 v[214:215], v[214:215], v[134:135]
	v_add_f64 v[0:1], v[0:1], -v[132:133]
	s_delay_alu instid0(VALU_DEP_2) | instskip(SKIP_1) | instid1(VALU_DEP_2)
	v_fma_f64 v[214:215], v[216:217], v[212:213], v[214:215]
	v_dual_mov_b32 v132, v212 :: v_dual_mov_b32 v133, v213
	v_add_f64 v[2:3], v[2:3], -v[214:215]
.LBB105_181:
	s_or_b32 exec_lo, exec_lo, s3
	s_delay_alu instid0(SALU_CYCLE_1)
	s_mov_b32 s4, exec_lo
	s_waitcnt_vscnt null, 0x0
	s_barrier
	buffer_gl0_inv
	v_cmpx_eq_u32_e32 20, v205
	s_cbranch_execz .LBB105_188
; %bb.182:
	ds_store_2addr_b64 v255, v[128:129], v[130:131] offset1:1
	ds_store_2addr_b64 v250, v[124:125], v[126:127] offset0:42 offset1:43
	ds_store_2addr_b64 v250, v[120:121], v[122:123] offset0:44 offset1:45
	;; [unrolled: 1-line block ×32, first 2 shown]
	ds_load_2addr_b64 v[212:215], v255 offset1:1
	s_waitcnt lgkmcnt(0)
	v_cmp_neq_f64_e32 vcc_lo, 0, v[212:213]
	v_cmp_neq_f64_e64 s3, 0, v[214:215]
	s_delay_alu instid0(VALU_DEP_1) | instskip(NEXT) | instid1(SALU_CYCLE_1)
	s_or_b32 s3, vcc_lo, s3
	s_and_b32 exec_lo, exec_lo, s3
	s_cbranch_execz .LBB105_188
; %bb.183:
	v_cmp_gt_f64_e32 vcc_lo, 0, v[212:213]
	v_xor_b32_e32 v204, 0x80000000, v213
	s_mov_b32 s3, exec_lo
                                        ; implicit-def: $vgpr220_vgpr221
	s_delay_alu instid0(VALU_DEP_1) | instskip(SKIP_3) | instid1(VALU_DEP_1)
	v_cndmask_b32_e32 v217, v213, v204, vcc_lo
	v_cndmask_b32_e32 v216, v212, v212, vcc_lo
	v_cmp_gt_f64_e32 vcc_lo, 0, v[214:215]
	v_xor_b32_e32 v204, 0x80000000, v215
	v_dual_cndmask_b32 v218, v214, v214 :: v_dual_cndmask_b32 v219, v215, v204
	s_delay_alu instid0(VALU_DEP_1)
	v_cmpx_ngt_f64_e32 v[216:217], v[218:219]
	s_xor_b32 s3, exec_lo, s3
                                        ; implicit-def: $vgpr216_vgpr217_vgpr218_vgpr219
	s_cbranch_execz .LBB105_185
; %bb.184:
	v_div_scale_f64 v[216:217], null, v[214:215], v[214:215], v[212:213]
	v_div_scale_f64 v[222:223], vcc_lo, v[212:213], v[214:215], v[212:213]
	s_delay_alu instid0(VALU_DEP_2) | instskip(SKIP_2) | instid1(VALU_DEP_1)
	v_rcp_f64_e32 v[218:219], v[216:217]
	s_waitcnt_depctr 0xfff
	v_fma_f64 v[220:221], -v[216:217], v[218:219], 1.0
	v_fma_f64 v[218:219], v[218:219], v[220:221], v[218:219]
	s_delay_alu instid0(VALU_DEP_1) | instskip(NEXT) | instid1(VALU_DEP_1)
	v_fma_f64 v[220:221], -v[216:217], v[218:219], 1.0
	v_fma_f64 v[218:219], v[218:219], v[220:221], v[218:219]
	s_delay_alu instid0(VALU_DEP_1) | instskip(NEXT) | instid1(VALU_DEP_1)
	v_mul_f64 v[220:221], v[222:223], v[218:219]
	v_fma_f64 v[216:217], -v[216:217], v[220:221], v[222:223]
	s_delay_alu instid0(VALU_DEP_1) | instskip(NEXT) | instid1(VALU_DEP_1)
	v_div_fmas_f64 v[216:217], v[216:217], v[218:219], v[220:221]
	v_div_fixup_f64 v[216:217], v[216:217], v[214:215], v[212:213]
	s_delay_alu instid0(VALU_DEP_1) | instskip(NEXT) | instid1(VALU_DEP_1)
	v_fma_f64 v[212:213], v[212:213], v[216:217], v[214:215]
	v_div_scale_f64 v[214:215], null, v[212:213], v[212:213], 1.0
	s_delay_alu instid0(VALU_DEP_1) | instskip(SKIP_2) | instid1(VALU_DEP_1)
	v_rcp_f64_e32 v[218:219], v[214:215]
	s_waitcnt_depctr 0xfff
	v_fma_f64 v[220:221], -v[214:215], v[218:219], 1.0
	v_fma_f64 v[218:219], v[218:219], v[220:221], v[218:219]
	s_delay_alu instid0(VALU_DEP_1) | instskip(NEXT) | instid1(VALU_DEP_1)
	v_fma_f64 v[220:221], -v[214:215], v[218:219], 1.0
	v_fma_f64 v[218:219], v[218:219], v[220:221], v[218:219]
	v_div_scale_f64 v[220:221], vcc_lo, 1.0, v[212:213], 1.0
	s_delay_alu instid0(VALU_DEP_1) | instskip(NEXT) | instid1(VALU_DEP_1)
	v_mul_f64 v[222:223], v[220:221], v[218:219]
	v_fma_f64 v[214:215], -v[214:215], v[222:223], v[220:221]
	s_delay_alu instid0(VALU_DEP_1) | instskip(NEXT) | instid1(VALU_DEP_1)
	v_div_fmas_f64 v[214:215], v[214:215], v[218:219], v[222:223]
	v_div_fixup_f64 v[218:219], v[214:215], v[212:213], 1.0
                                        ; implicit-def: $vgpr212_vgpr213
	s_delay_alu instid0(VALU_DEP_1)
	v_mul_f64 v[220:221], v[216:217], v[218:219]
	v_xor_b32_e32 v219, 0x80000000, v219
.LBB105_185:
	s_and_not1_saveexec_b32 s3, s3
	s_cbranch_execz .LBB105_187
; %bb.186:
	v_div_scale_f64 v[216:217], null, v[212:213], v[212:213], v[214:215]
	v_div_scale_f64 v[222:223], vcc_lo, v[214:215], v[212:213], v[214:215]
	s_delay_alu instid0(VALU_DEP_2) | instskip(SKIP_2) | instid1(VALU_DEP_1)
	v_rcp_f64_e32 v[218:219], v[216:217]
	s_waitcnt_depctr 0xfff
	v_fma_f64 v[220:221], -v[216:217], v[218:219], 1.0
	v_fma_f64 v[218:219], v[218:219], v[220:221], v[218:219]
	s_delay_alu instid0(VALU_DEP_1) | instskip(NEXT) | instid1(VALU_DEP_1)
	v_fma_f64 v[220:221], -v[216:217], v[218:219], 1.0
	v_fma_f64 v[218:219], v[218:219], v[220:221], v[218:219]
	s_delay_alu instid0(VALU_DEP_1) | instskip(NEXT) | instid1(VALU_DEP_1)
	v_mul_f64 v[220:221], v[222:223], v[218:219]
	v_fma_f64 v[216:217], -v[216:217], v[220:221], v[222:223]
	s_delay_alu instid0(VALU_DEP_1) | instskip(NEXT) | instid1(VALU_DEP_1)
	v_div_fmas_f64 v[216:217], v[216:217], v[218:219], v[220:221]
	v_div_fixup_f64 v[216:217], v[216:217], v[212:213], v[214:215]
	s_delay_alu instid0(VALU_DEP_1) | instskip(NEXT) | instid1(VALU_DEP_1)
	v_fma_f64 v[212:213], v[214:215], v[216:217], v[212:213]
	v_div_scale_f64 v[214:215], null, v[212:213], v[212:213], 1.0
	s_delay_alu instid0(VALU_DEP_1) | instskip(SKIP_2) | instid1(VALU_DEP_1)
	v_rcp_f64_e32 v[218:219], v[214:215]
	s_waitcnt_depctr 0xfff
	v_fma_f64 v[220:221], -v[214:215], v[218:219], 1.0
	v_fma_f64 v[218:219], v[218:219], v[220:221], v[218:219]
	s_delay_alu instid0(VALU_DEP_1) | instskip(NEXT) | instid1(VALU_DEP_1)
	v_fma_f64 v[220:221], -v[214:215], v[218:219], 1.0
	v_fma_f64 v[218:219], v[218:219], v[220:221], v[218:219]
	v_div_scale_f64 v[220:221], vcc_lo, 1.0, v[212:213], 1.0
	s_delay_alu instid0(VALU_DEP_1) | instskip(NEXT) | instid1(VALU_DEP_1)
	v_mul_f64 v[222:223], v[220:221], v[218:219]
	v_fma_f64 v[214:215], -v[214:215], v[222:223], v[220:221]
	s_delay_alu instid0(VALU_DEP_1) | instskip(NEXT) | instid1(VALU_DEP_1)
	v_div_fmas_f64 v[214:215], v[214:215], v[218:219], v[222:223]
	v_div_fixup_f64 v[220:221], v[214:215], v[212:213], 1.0
	s_delay_alu instid0(VALU_DEP_1)
	v_mul_f64 v[218:219], v[216:217], -v[220:221]
.LBB105_187:
	s_or_b32 exec_lo, exec_lo, s3
	ds_store_2addr_b64 v255, v[220:221], v[218:219] offset1:1
.LBB105_188:
	s_or_b32 exec_lo, exec_lo, s4
	s_waitcnt lgkmcnt(0)
	s_barrier
	buffer_gl0_inv
	ds_load_2addr_b64 v[212:215], v255 offset1:1
	s_mov_b32 s3, exec_lo
	s_waitcnt lgkmcnt(0)
	scratch_store_b128 off, v[212:215], off offset:760 ; 16-byte Folded Spill
	v_cmpx_lt_u32_e32 20, v205
	s_cbranch_execz .LBB105_190
; %bb.189:
	scratch_load_b128 v[214:217], off, off offset:760 ; 16-byte Folded Reload
	s_waitcnt vmcnt(0)
	v_mul_f64 v[212:213], v[216:217], v[130:131]
	v_mul_f64 v[130:131], v[214:215], v[130:131]
	s_delay_alu instid0(VALU_DEP_2) | instskip(NEXT) | instid1(VALU_DEP_2)
	v_fma_f64 v[212:213], v[214:215], v[128:129], -v[212:213]
	v_fma_f64 v[130:131], v[216:217], v[128:129], v[130:131]
	ds_load_2addr_b64 v[214:217], v250 offset0:42 offset1:43
	s_waitcnt lgkmcnt(0)
	v_mul_f64 v[128:129], v[216:217], v[130:131]
	s_delay_alu instid0(VALU_DEP_1) | instskip(SKIP_1) | instid1(VALU_DEP_2)
	v_fma_f64 v[128:129], v[214:215], v[212:213], -v[128:129]
	v_mul_f64 v[214:215], v[214:215], v[130:131]
	v_add_f64 v[124:125], v[124:125], -v[128:129]
	s_delay_alu instid0(VALU_DEP_2) | instskip(NEXT) | instid1(VALU_DEP_1)
	v_fma_f64 v[214:215], v[216:217], v[212:213], v[214:215]
	v_add_f64 v[126:127], v[126:127], -v[214:215]
	ds_load_2addr_b64 v[214:217], v250 offset0:44 offset1:45
	s_waitcnt lgkmcnt(0)
	v_mul_f64 v[128:129], v[216:217], v[130:131]
	s_delay_alu instid0(VALU_DEP_1) | instskip(SKIP_1) | instid1(VALU_DEP_2)
	v_fma_f64 v[128:129], v[214:215], v[212:213], -v[128:129]
	v_mul_f64 v[214:215], v[214:215], v[130:131]
	v_add_f64 v[120:121], v[120:121], -v[128:129]
	s_delay_alu instid0(VALU_DEP_2) | instskip(NEXT) | instid1(VALU_DEP_1)
	v_fma_f64 v[214:215], v[216:217], v[212:213], v[214:215]
	v_add_f64 v[122:123], v[122:123], -v[214:215]
	;; [unrolled: 10-line block ×31, first 2 shown]
	ds_load_2addr_b64 v[214:217], v250 offset0:104 offset1:105
	s_waitcnt lgkmcnt(0)
	v_mul_f64 v[128:129], v[216:217], v[130:131]
	s_delay_alu instid0(VALU_DEP_1) | instskip(SKIP_1) | instid1(VALU_DEP_2)
	v_fma_f64 v[128:129], v[214:215], v[212:213], -v[128:129]
	v_mul_f64 v[214:215], v[214:215], v[130:131]
	v_add_f64 v[0:1], v[0:1], -v[128:129]
	s_delay_alu instid0(VALU_DEP_2) | instskip(SKIP_1) | instid1(VALU_DEP_2)
	v_fma_f64 v[214:215], v[216:217], v[212:213], v[214:215]
	v_dual_mov_b32 v128, v212 :: v_dual_mov_b32 v129, v213
	v_add_f64 v[2:3], v[2:3], -v[214:215]
.LBB105_190:
	s_or_b32 exec_lo, exec_lo, s3
	s_delay_alu instid0(SALU_CYCLE_1)
	s_mov_b32 s4, exec_lo
	s_waitcnt_vscnt null, 0x0
	s_barrier
	buffer_gl0_inv
	v_cmpx_eq_u32_e32 21, v205
	s_cbranch_execz .LBB105_197
; %bb.191:
	ds_store_2addr_b64 v255, v[124:125], v[126:127] offset1:1
	ds_store_2addr_b64 v250, v[120:121], v[122:123] offset0:44 offset1:45
	ds_store_2addr_b64 v250, v[116:117], v[118:119] offset0:46 offset1:47
	;; [unrolled: 1-line block ×31, first 2 shown]
	ds_load_2addr_b64 v[212:215], v255 offset1:1
	s_waitcnt lgkmcnt(0)
	v_cmp_neq_f64_e32 vcc_lo, 0, v[212:213]
	v_cmp_neq_f64_e64 s3, 0, v[214:215]
	s_delay_alu instid0(VALU_DEP_1) | instskip(NEXT) | instid1(SALU_CYCLE_1)
	s_or_b32 s3, vcc_lo, s3
	s_and_b32 exec_lo, exec_lo, s3
	s_cbranch_execz .LBB105_197
; %bb.192:
	v_cmp_gt_f64_e32 vcc_lo, 0, v[212:213]
	v_xor_b32_e32 v204, 0x80000000, v213
	s_mov_b32 s3, exec_lo
                                        ; implicit-def: $vgpr220_vgpr221
	s_delay_alu instid0(VALU_DEP_1) | instskip(SKIP_3) | instid1(VALU_DEP_1)
	v_cndmask_b32_e32 v217, v213, v204, vcc_lo
	v_cndmask_b32_e32 v216, v212, v212, vcc_lo
	v_cmp_gt_f64_e32 vcc_lo, 0, v[214:215]
	v_xor_b32_e32 v204, 0x80000000, v215
	v_dual_cndmask_b32 v218, v214, v214 :: v_dual_cndmask_b32 v219, v215, v204
	s_delay_alu instid0(VALU_DEP_1)
	v_cmpx_ngt_f64_e32 v[216:217], v[218:219]
	s_xor_b32 s3, exec_lo, s3
                                        ; implicit-def: $vgpr216_vgpr217_vgpr218_vgpr219
	s_cbranch_execz .LBB105_194
; %bb.193:
	v_div_scale_f64 v[216:217], null, v[214:215], v[214:215], v[212:213]
	v_div_scale_f64 v[222:223], vcc_lo, v[212:213], v[214:215], v[212:213]
	s_delay_alu instid0(VALU_DEP_2) | instskip(SKIP_2) | instid1(VALU_DEP_1)
	v_rcp_f64_e32 v[218:219], v[216:217]
	s_waitcnt_depctr 0xfff
	v_fma_f64 v[220:221], -v[216:217], v[218:219], 1.0
	v_fma_f64 v[218:219], v[218:219], v[220:221], v[218:219]
	s_delay_alu instid0(VALU_DEP_1) | instskip(NEXT) | instid1(VALU_DEP_1)
	v_fma_f64 v[220:221], -v[216:217], v[218:219], 1.0
	v_fma_f64 v[218:219], v[218:219], v[220:221], v[218:219]
	s_delay_alu instid0(VALU_DEP_1) | instskip(NEXT) | instid1(VALU_DEP_1)
	v_mul_f64 v[220:221], v[222:223], v[218:219]
	v_fma_f64 v[216:217], -v[216:217], v[220:221], v[222:223]
	s_delay_alu instid0(VALU_DEP_1) | instskip(NEXT) | instid1(VALU_DEP_1)
	v_div_fmas_f64 v[216:217], v[216:217], v[218:219], v[220:221]
	v_div_fixup_f64 v[216:217], v[216:217], v[214:215], v[212:213]
	s_delay_alu instid0(VALU_DEP_1) | instskip(NEXT) | instid1(VALU_DEP_1)
	v_fma_f64 v[212:213], v[212:213], v[216:217], v[214:215]
	v_div_scale_f64 v[214:215], null, v[212:213], v[212:213], 1.0
	s_delay_alu instid0(VALU_DEP_1) | instskip(SKIP_2) | instid1(VALU_DEP_1)
	v_rcp_f64_e32 v[218:219], v[214:215]
	s_waitcnt_depctr 0xfff
	v_fma_f64 v[220:221], -v[214:215], v[218:219], 1.0
	v_fma_f64 v[218:219], v[218:219], v[220:221], v[218:219]
	s_delay_alu instid0(VALU_DEP_1) | instskip(NEXT) | instid1(VALU_DEP_1)
	v_fma_f64 v[220:221], -v[214:215], v[218:219], 1.0
	v_fma_f64 v[218:219], v[218:219], v[220:221], v[218:219]
	v_div_scale_f64 v[220:221], vcc_lo, 1.0, v[212:213], 1.0
	s_delay_alu instid0(VALU_DEP_1) | instskip(NEXT) | instid1(VALU_DEP_1)
	v_mul_f64 v[222:223], v[220:221], v[218:219]
	v_fma_f64 v[214:215], -v[214:215], v[222:223], v[220:221]
	s_delay_alu instid0(VALU_DEP_1) | instskip(NEXT) | instid1(VALU_DEP_1)
	v_div_fmas_f64 v[214:215], v[214:215], v[218:219], v[222:223]
	v_div_fixup_f64 v[218:219], v[214:215], v[212:213], 1.0
                                        ; implicit-def: $vgpr212_vgpr213
	s_delay_alu instid0(VALU_DEP_1)
	v_mul_f64 v[220:221], v[216:217], v[218:219]
	v_xor_b32_e32 v219, 0x80000000, v219
.LBB105_194:
	s_and_not1_saveexec_b32 s3, s3
	s_cbranch_execz .LBB105_196
; %bb.195:
	v_div_scale_f64 v[216:217], null, v[212:213], v[212:213], v[214:215]
	v_div_scale_f64 v[222:223], vcc_lo, v[214:215], v[212:213], v[214:215]
	s_delay_alu instid0(VALU_DEP_2) | instskip(SKIP_2) | instid1(VALU_DEP_1)
	v_rcp_f64_e32 v[218:219], v[216:217]
	s_waitcnt_depctr 0xfff
	v_fma_f64 v[220:221], -v[216:217], v[218:219], 1.0
	v_fma_f64 v[218:219], v[218:219], v[220:221], v[218:219]
	s_delay_alu instid0(VALU_DEP_1) | instskip(NEXT) | instid1(VALU_DEP_1)
	v_fma_f64 v[220:221], -v[216:217], v[218:219], 1.0
	v_fma_f64 v[218:219], v[218:219], v[220:221], v[218:219]
	s_delay_alu instid0(VALU_DEP_1) | instskip(NEXT) | instid1(VALU_DEP_1)
	v_mul_f64 v[220:221], v[222:223], v[218:219]
	v_fma_f64 v[216:217], -v[216:217], v[220:221], v[222:223]
	s_delay_alu instid0(VALU_DEP_1) | instskip(NEXT) | instid1(VALU_DEP_1)
	v_div_fmas_f64 v[216:217], v[216:217], v[218:219], v[220:221]
	v_div_fixup_f64 v[216:217], v[216:217], v[212:213], v[214:215]
	s_delay_alu instid0(VALU_DEP_1) | instskip(NEXT) | instid1(VALU_DEP_1)
	v_fma_f64 v[212:213], v[214:215], v[216:217], v[212:213]
	v_div_scale_f64 v[214:215], null, v[212:213], v[212:213], 1.0
	s_delay_alu instid0(VALU_DEP_1) | instskip(SKIP_2) | instid1(VALU_DEP_1)
	v_rcp_f64_e32 v[218:219], v[214:215]
	s_waitcnt_depctr 0xfff
	v_fma_f64 v[220:221], -v[214:215], v[218:219], 1.0
	v_fma_f64 v[218:219], v[218:219], v[220:221], v[218:219]
	s_delay_alu instid0(VALU_DEP_1) | instskip(NEXT) | instid1(VALU_DEP_1)
	v_fma_f64 v[220:221], -v[214:215], v[218:219], 1.0
	v_fma_f64 v[218:219], v[218:219], v[220:221], v[218:219]
	v_div_scale_f64 v[220:221], vcc_lo, 1.0, v[212:213], 1.0
	s_delay_alu instid0(VALU_DEP_1) | instskip(NEXT) | instid1(VALU_DEP_1)
	v_mul_f64 v[222:223], v[220:221], v[218:219]
	v_fma_f64 v[214:215], -v[214:215], v[222:223], v[220:221]
	s_delay_alu instid0(VALU_DEP_1) | instskip(NEXT) | instid1(VALU_DEP_1)
	v_div_fmas_f64 v[214:215], v[214:215], v[218:219], v[222:223]
	v_div_fixup_f64 v[220:221], v[214:215], v[212:213], 1.0
	s_delay_alu instid0(VALU_DEP_1)
	v_mul_f64 v[218:219], v[216:217], -v[220:221]
.LBB105_196:
	s_or_b32 exec_lo, exec_lo, s3
	ds_store_2addr_b64 v255, v[220:221], v[218:219] offset1:1
.LBB105_197:
	s_or_b32 exec_lo, exec_lo, s4
	s_waitcnt lgkmcnt(0)
	s_barrier
	buffer_gl0_inv
	ds_load_2addr_b64 v[212:215], v255 offset1:1
	s_mov_b32 s3, exec_lo
	s_waitcnt lgkmcnt(0)
	scratch_store_b128 off, v[212:215], off offset:776 ; 16-byte Folded Spill
	v_cmpx_lt_u32_e32 21, v205
	s_cbranch_execz .LBB105_199
; %bb.198:
	scratch_load_b128 v[214:217], off, off offset:776 ; 16-byte Folded Reload
	s_waitcnt vmcnt(0)
	v_mul_f64 v[212:213], v[216:217], v[126:127]
	v_mul_f64 v[126:127], v[214:215], v[126:127]
	s_delay_alu instid0(VALU_DEP_2) | instskip(NEXT) | instid1(VALU_DEP_2)
	v_fma_f64 v[212:213], v[214:215], v[124:125], -v[212:213]
	v_fma_f64 v[126:127], v[216:217], v[124:125], v[126:127]
	ds_load_2addr_b64 v[214:217], v250 offset0:44 offset1:45
	s_waitcnt lgkmcnt(0)
	v_mul_f64 v[124:125], v[216:217], v[126:127]
	s_delay_alu instid0(VALU_DEP_1) | instskip(SKIP_1) | instid1(VALU_DEP_2)
	v_fma_f64 v[124:125], v[214:215], v[212:213], -v[124:125]
	v_mul_f64 v[214:215], v[214:215], v[126:127]
	v_add_f64 v[120:121], v[120:121], -v[124:125]
	s_delay_alu instid0(VALU_DEP_2) | instskip(NEXT) | instid1(VALU_DEP_1)
	v_fma_f64 v[214:215], v[216:217], v[212:213], v[214:215]
	v_add_f64 v[122:123], v[122:123], -v[214:215]
	ds_load_2addr_b64 v[214:217], v250 offset0:46 offset1:47
	s_waitcnt lgkmcnt(0)
	v_mul_f64 v[124:125], v[216:217], v[126:127]
	s_delay_alu instid0(VALU_DEP_1) | instskip(SKIP_1) | instid1(VALU_DEP_2)
	v_fma_f64 v[124:125], v[214:215], v[212:213], -v[124:125]
	v_mul_f64 v[214:215], v[214:215], v[126:127]
	v_add_f64 v[116:117], v[116:117], -v[124:125]
	s_delay_alu instid0(VALU_DEP_2) | instskip(NEXT) | instid1(VALU_DEP_1)
	v_fma_f64 v[214:215], v[216:217], v[212:213], v[214:215]
	v_add_f64 v[118:119], v[118:119], -v[214:215]
	;; [unrolled: 10-line block ×30, first 2 shown]
	ds_load_2addr_b64 v[214:217], v250 offset0:104 offset1:105
	s_waitcnt lgkmcnt(0)
	v_mul_f64 v[124:125], v[216:217], v[126:127]
	s_delay_alu instid0(VALU_DEP_1) | instskip(SKIP_1) | instid1(VALU_DEP_2)
	v_fma_f64 v[124:125], v[214:215], v[212:213], -v[124:125]
	v_mul_f64 v[214:215], v[214:215], v[126:127]
	v_add_f64 v[0:1], v[0:1], -v[124:125]
	s_delay_alu instid0(VALU_DEP_2) | instskip(SKIP_1) | instid1(VALU_DEP_2)
	v_fma_f64 v[214:215], v[216:217], v[212:213], v[214:215]
	v_dual_mov_b32 v124, v212 :: v_dual_mov_b32 v125, v213
	v_add_f64 v[2:3], v[2:3], -v[214:215]
.LBB105_199:
	s_or_b32 exec_lo, exec_lo, s3
	s_delay_alu instid0(SALU_CYCLE_1)
	s_mov_b32 s4, exec_lo
	s_waitcnt_vscnt null, 0x0
	s_barrier
	buffer_gl0_inv
	v_cmpx_eq_u32_e32 22, v205
	s_cbranch_execz .LBB105_206
; %bb.200:
	ds_store_2addr_b64 v255, v[120:121], v[122:123] offset1:1
	ds_store_2addr_b64 v250, v[116:117], v[118:119] offset0:46 offset1:47
	ds_store_2addr_b64 v250, v[112:113], v[114:115] offset0:48 offset1:49
	;; [unrolled: 1-line block ×30, first 2 shown]
	ds_load_2addr_b64 v[212:215], v255 offset1:1
	s_waitcnt lgkmcnt(0)
	v_cmp_neq_f64_e32 vcc_lo, 0, v[212:213]
	v_cmp_neq_f64_e64 s3, 0, v[214:215]
	s_delay_alu instid0(VALU_DEP_1) | instskip(NEXT) | instid1(SALU_CYCLE_1)
	s_or_b32 s3, vcc_lo, s3
	s_and_b32 exec_lo, exec_lo, s3
	s_cbranch_execz .LBB105_206
; %bb.201:
	v_cmp_gt_f64_e32 vcc_lo, 0, v[212:213]
	v_xor_b32_e32 v204, 0x80000000, v213
	s_mov_b32 s3, exec_lo
                                        ; implicit-def: $vgpr220_vgpr221
	s_delay_alu instid0(VALU_DEP_1) | instskip(SKIP_3) | instid1(VALU_DEP_1)
	v_cndmask_b32_e32 v217, v213, v204, vcc_lo
	v_cndmask_b32_e32 v216, v212, v212, vcc_lo
	v_cmp_gt_f64_e32 vcc_lo, 0, v[214:215]
	v_xor_b32_e32 v204, 0x80000000, v215
	v_dual_cndmask_b32 v218, v214, v214 :: v_dual_cndmask_b32 v219, v215, v204
	s_delay_alu instid0(VALU_DEP_1)
	v_cmpx_ngt_f64_e32 v[216:217], v[218:219]
	s_xor_b32 s3, exec_lo, s3
                                        ; implicit-def: $vgpr216_vgpr217_vgpr218_vgpr219
	s_cbranch_execz .LBB105_203
; %bb.202:
	v_div_scale_f64 v[216:217], null, v[214:215], v[214:215], v[212:213]
	v_div_scale_f64 v[222:223], vcc_lo, v[212:213], v[214:215], v[212:213]
	s_delay_alu instid0(VALU_DEP_2) | instskip(SKIP_2) | instid1(VALU_DEP_1)
	v_rcp_f64_e32 v[218:219], v[216:217]
	s_waitcnt_depctr 0xfff
	v_fma_f64 v[220:221], -v[216:217], v[218:219], 1.0
	v_fma_f64 v[218:219], v[218:219], v[220:221], v[218:219]
	s_delay_alu instid0(VALU_DEP_1) | instskip(NEXT) | instid1(VALU_DEP_1)
	v_fma_f64 v[220:221], -v[216:217], v[218:219], 1.0
	v_fma_f64 v[218:219], v[218:219], v[220:221], v[218:219]
	s_delay_alu instid0(VALU_DEP_1) | instskip(NEXT) | instid1(VALU_DEP_1)
	v_mul_f64 v[220:221], v[222:223], v[218:219]
	v_fma_f64 v[216:217], -v[216:217], v[220:221], v[222:223]
	s_delay_alu instid0(VALU_DEP_1) | instskip(NEXT) | instid1(VALU_DEP_1)
	v_div_fmas_f64 v[216:217], v[216:217], v[218:219], v[220:221]
	v_div_fixup_f64 v[216:217], v[216:217], v[214:215], v[212:213]
	s_delay_alu instid0(VALU_DEP_1) | instskip(NEXT) | instid1(VALU_DEP_1)
	v_fma_f64 v[212:213], v[212:213], v[216:217], v[214:215]
	v_div_scale_f64 v[214:215], null, v[212:213], v[212:213], 1.0
	s_delay_alu instid0(VALU_DEP_1) | instskip(SKIP_2) | instid1(VALU_DEP_1)
	v_rcp_f64_e32 v[218:219], v[214:215]
	s_waitcnt_depctr 0xfff
	v_fma_f64 v[220:221], -v[214:215], v[218:219], 1.0
	v_fma_f64 v[218:219], v[218:219], v[220:221], v[218:219]
	s_delay_alu instid0(VALU_DEP_1) | instskip(NEXT) | instid1(VALU_DEP_1)
	v_fma_f64 v[220:221], -v[214:215], v[218:219], 1.0
	v_fma_f64 v[218:219], v[218:219], v[220:221], v[218:219]
	v_div_scale_f64 v[220:221], vcc_lo, 1.0, v[212:213], 1.0
	s_delay_alu instid0(VALU_DEP_1) | instskip(NEXT) | instid1(VALU_DEP_1)
	v_mul_f64 v[222:223], v[220:221], v[218:219]
	v_fma_f64 v[214:215], -v[214:215], v[222:223], v[220:221]
	s_delay_alu instid0(VALU_DEP_1) | instskip(NEXT) | instid1(VALU_DEP_1)
	v_div_fmas_f64 v[214:215], v[214:215], v[218:219], v[222:223]
	v_div_fixup_f64 v[218:219], v[214:215], v[212:213], 1.0
                                        ; implicit-def: $vgpr212_vgpr213
	s_delay_alu instid0(VALU_DEP_1)
	v_mul_f64 v[220:221], v[216:217], v[218:219]
	v_xor_b32_e32 v219, 0x80000000, v219
.LBB105_203:
	s_and_not1_saveexec_b32 s3, s3
	s_cbranch_execz .LBB105_205
; %bb.204:
	v_div_scale_f64 v[216:217], null, v[212:213], v[212:213], v[214:215]
	v_div_scale_f64 v[222:223], vcc_lo, v[214:215], v[212:213], v[214:215]
	s_delay_alu instid0(VALU_DEP_2) | instskip(SKIP_2) | instid1(VALU_DEP_1)
	v_rcp_f64_e32 v[218:219], v[216:217]
	s_waitcnt_depctr 0xfff
	v_fma_f64 v[220:221], -v[216:217], v[218:219], 1.0
	v_fma_f64 v[218:219], v[218:219], v[220:221], v[218:219]
	s_delay_alu instid0(VALU_DEP_1) | instskip(NEXT) | instid1(VALU_DEP_1)
	v_fma_f64 v[220:221], -v[216:217], v[218:219], 1.0
	v_fma_f64 v[218:219], v[218:219], v[220:221], v[218:219]
	s_delay_alu instid0(VALU_DEP_1) | instskip(NEXT) | instid1(VALU_DEP_1)
	v_mul_f64 v[220:221], v[222:223], v[218:219]
	v_fma_f64 v[216:217], -v[216:217], v[220:221], v[222:223]
	s_delay_alu instid0(VALU_DEP_1) | instskip(NEXT) | instid1(VALU_DEP_1)
	v_div_fmas_f64 v[216:217], v[216:217], v[218:219], v[220:221]
	v_div_fixup_f64 v[216:217], v[216:217], v[212:213], v[214:215]
	s_delay_alu instid0(VALU_DEP_1) | instskip(NEXT) | instid1(VALU_DEP_1)
	v_fma_f64 v[212:213], v[214:215], v[216:217], v[212:213]
	v_div_scale_f64 v[214:215], null, v[212:213], v[212:213], 1.0
	s_delay_alu instid0(VALU_DEP_1) | instskip(SKIP_2) | instid1(VALU_DEP_1)
	v_rcp_f64_e32 v[218:219], v[214:215]
	s_waitcnt_depctr 0xfff
	v_fma_f64 v[220:221], -v[214:215], v[218:219], 1.0
	v_fma_f64 v[218:219], v[218:219], v[220:221], v[218:219]
	s_delay_alu instid0(VALU_DEP_1) | instskip(NEXT) | instid1(VALU_DEP_1)
	v_fma_f64 v[220:221], -v[214:215], v[218:219], 1.0
	v_fma_f64 v[218:219], v[218:219], v[220:221], v[218:219]
	v_div_scale_f64 v[220:221], vcc_lo, 1.0, v[212:213], 1.0
	s_delay_alu instid0(VALU_DEP_1) | instskip(NEXT) | instid1(VALU_DEP_1)
	v_mul_f64 v[222:223], v[220:221], v[218:219]
	v_fma_f64 v[214:215], -v[214:215], v[222:223], v[220:221]
	s_delay_alu instid0(VALU_DEP_1) | instskip(NEXT) | instid1(VALU_DEP_1)
	v_div_fmas_f64 v[214:215], v[214:215], v[218:219], v[222:223]
	v_div_fixup_f64 v[220:221], v[214:215], v[212:213], 1.0
	s_delay_alu instid0(VALU_DEP_1)
	v_mul_f64 v[218:219], v[216:217], -v[220:221]
.LBB105_205:
	s_or_b32 exec_lo, exec_lo, s3
	ds_store_2addr_b64 v255, v[220:221], v[218:219] offset1:1
.LBB105_206:
	s_or_b32 exec_lo, exec_lo, s4
	s_waitcnt lgkmcnt(0)
	s_barrier
	buffer_gl0_inv
	ds_load_2addr_b64 v[212:215], v255 offset1:1
	s_mov_b32 s3, exec_lo
	s_waitcnt lgkmcnt(0)
	scratch_store_b128 off, v[212:215], off offset:792 ; 16-byte Folded Spill
	v_cmpx_lt_u32_e32 22, v205
	s_cbranch_execz .LBB105_208
; %bb.207:
	scratch_load_b128 v[214:217], off, off offset:792 ; 16-byte Folded Reload
	s_waitcnt vmcnt(0)
	v_mul_f64 v[212:213], v[216:217], v[122:123]
	v_mul_f64 v[122:123], v[214:215], v[122:123]
	s_delay_alu instid0(VALU_DEP_2) | instskip(NEXT) | instid1(VALU_DEP_2)
	v_fma_f64 v[212:213], v[214:215], v[120:121], -v[212:213]
	v_fma_f64 v[122:123], v[216:217], v[120:121], v[122:123]
	ds_load_2addr_b64 v[214:217], v250 offset0:46 offset1:47
	s_waitcnt lgkmcnt(0)
	v_mul_f64 v[120:121], v[216:217], v[122:123]
	s_delay_alu instid0(VALU_DEP_1) | instskip(SKIP_1) | instid1(VALU_DEP_2)
	v_fma_f64 v[120:121], v[214:215], v[212:213], -v[120:121]
	v_mul_f64 v[214:215], v[214:215], v[122:123]
	v_add_f64 v[116:117], v[116:117], -v[120:121]
	s_delay_alu instid0(VALU_DEP_2) | instskip(NEXT) | instid1(VALU_DEP_1)
	v_fma_f64 v[214:215], v[216:217], v[212:213], v[214:215]
	v_add_f64 v[118:119], v[118:119], -v[214:215]
	ds_load_2addr_b64 v[214:217], v250 offset0:48 offset1:49
	s_waitcnt lgkmcnt(0)
	v_mul_f64 v[120:121], v[216:217], v[122:123]
	s_delay_alu instid0(VALU_DEP_1) | instskip(SKIP_1) | instid1(VALU_DEP_2)
	v_fma_f64 v[120:121], v[214:215], v[212:213], -v[120:121]
	v_mul_f64 v[214:215], v[214:215], v[122:123]
	v_add_f64 v[112:113], v[112:113], -v[120:121]
	s_delay_alu instid0(VALU_DEP_2) | instskip(NEXT) | instid1(VALU_DEP_1)
	v_fma_f64 v[214:215], v[216:217], v[212:213], v[214:215]
	v_add_f64 v[114:115], v[114:115], -v[214:215]
	;; [unrolled: 10-line block ×29, first 2 shown]
	ds_load_2addr_b64 v[214:217], v250 offset0:104 offset1:105
	s_waitcnt lgkmcnt(0)
	v_mul_f64 v[120:121], v[216:217], v[122:123]
	s_delay_alu instid0(VALU_DEP_1) | instskip(SKIP_1) | instid1(VALU_DEP_2)
	v_fma_f64 v[120:121], v[214:215], v[212:213], -v[120:121]
	v_mul_f64 v[214:215], v[214:215], v[122:123]
	v_add_f64 v[0:1], v[0:1], -v[120:121]
	s_delay_alu instid0(VALU_DEP_2) | instskip(SKIP_1) | instid1(VALU_DEP_2)
	v_fma_f64 v[214:215], v[216:217], v[212:213], v[214:215]
	v_dual_mov_b32 v120, v212 :: v_dual_mov_b32 v121, v213
	v_add_f64 v[2:3], v[2:3], -v[214:215]
.LBB105_208:
	s_or_b32 exec_lo, exec_lo, s3
	s_delay_alu instid0(SALU_CYCLE_1)
	s_mov_b32 s4, exec_lo
	s_waitcnt_vscnt null, 0x0
	s_barrier
	buffer_gl0_inv
	v_cmpx_eq_u32_e32 23, v205
	s_cbranch_execz .LBB105_215
; %bb.209:
	ds_store_2addr_b64 v255, v[116:117], v[118:119] offset1:1
	ds_store_2addr_b64 v250, v[112:113], v[114:115] offset0:48 offset1:49
	ds_store_2addr_b64 v250, v[108:109], v[110:111] offset0:50 offset1:51
	;; [unrolled: 1-line block ×29, first 2 shown]
	ds_load_2addr_b64 v[212:215], v255 offset1:1
	s_waitcnt lgkmcnt(0)
	v_cmp_neq_f64_e32 vcc_lo, 0, v[212:213]
	v_cmp_neq_f64_e64 s3, 0, v[214:215]
	s_delay_alu instid0(VALU_DEP_1) | instskip(NEXT) | instid1(SALU_CYCLE_1)
	s_or_b32 s3, vcc_lo, s3
	s_and_b32 exec_lo, exec_lo, s3
	s_cbranch_execz .LBB105_215
; %bb.210:
	v_cmp_gt_f64_e32 vcc_lo, 0, v[212:213]
	v_xor_b32_e32 v204, 0x80000000, v213
	s_mov_b32 s3, exec_lo
                                        ; implicit-def: $vgpr220_vgpr221
	s_delay_alu instid0(VALU_DEP_1) | instskip(SKIP_3) | instid1(VALU_DEP_1)
	v_cndmask_b32_e32 v217, v213, v204, vcc_lo
	v_cndmask_b32_e32 v216, v212, v212, vcc_lo
	v_cmp_gt_f64_e32 vcc_lo, 0, v[214:215]
	v_xor_b32_e32 v204, 0x80000000, v215
	v_dual_cndmask_b32 v218, v214, v214 :: v_dual_cndmask_b32 v219, v215, v204
	s_delay_alu instid0(VALU_DEP_1)
	v_cmpx_ngt_f64_e32 v[216:217], v[218:219]
	s_xor_b32 s3, exec_lo, s3
                                        ; implicit-def: $vgpr216_vgpr217_vgpr218_vgpr219
	s_cbranch_execz .LBB105_212
; %bb.211:
	v_div_scale_f64 v[216:217], null, v[214:215], v[214:215], v[212:213]
	v_div_scale_f64 v[222:223], vcc_lo, v[212:213], v[214:215], v[212:213]
	s_delay_alu instid0(VALU_DEP_2) | instskip(SKIP_2) | instid1(VALU_DEP_1)
	v_rcp_f64_e32 v[218:219], v[216:217]
	s_waitcnt_depctr 0xfff
	v_fma_f64 v[220:221], -v[216:217], v[218:219], 1.0
	v_fma_f64 v[218:219], v[218:219], v[220:221], v[218:219]
	s_delay_alu instid0(VALU_DEP_1) | instskip(NEXT) | instid1(VALU_DEP_1)
	v_fma_f64 v[220:221], -v[216:217], v[218:219], 1.0
	v_fma_f64 v[218:219], v[218:219], v[220:221], v[218:219]
	s_delay_alu instid0(VALU_DEP_1) | instskip(NEXT) | instid1(VALU_DEP_1)
	v_mul_f64 v[220:221], v[222:223], v[218:219]
	v_fma_f64 v[216:217], -v[216:217], v[220:221], v[222:223]
	s_delay_alu instid0(VALU_DEP_1) | instskip(NEXT) | instid1(VALU_DEP_1)
	v_div_fmas_f64 v[216:217], v[216:217], v[218:219], v[220:221]
	v_div_fixup_f64 v[216:217], v[216:217], v[214:215], v[212:213]
	s_delay_alu instid0(VALU_DEP_1) | instskip(NEXT) | instid1(VALU_DEP_1)
	v_fma_f64 v[212:213], v[212:213], v[216:217], v[214:215]
	v_div_scale_f64 v[214:215], null, v[212:213], v[212:213], 1.0
	s_delay_alu instid0(VALU_DEP_1) | instskip(SKIP_2) | instid1(VALU_DEP_1)
	v_rcp_f64_e32 v[218:219], v[214:215]
	s_waitcnt_depctr 0xfff
	v_fma_f64 v[220:221], -v[214:215], v[218:219], 1.0
	v_fma_f64 v[218:219], v[218:219], v[220:221], v[218:219]
	s_delay_alu instid0(VALU_DEP_1) | instskip(NEXT) | instid1(VALU_DEP_1)
	v_fma_f64 v[220:221], -v[214:215], v[218:219], 1.0
	v_fma_f64 v[218:219], v[218:219], v[220:221], v[218:219]
	v_div_scale_f64 v[220:221], vcc_lo, 1.0, v[212:213], 1.0
	s_delay_alu instid0(VALU_DEP_1) | instskip(NEXT) | instid1(VALU_DEP_1)
	v_mul_f64 v[222:223], v[220:221], v[218:219]
	v_fma_f64 v[214:215], -v[214:215], v[222:223], v[220:221]
	s_delay_alu instid0(VALU_DEP_1) | instskip(NEXT) | instid1(VALU_DEP_1)
	v_div_fmas_f64 v[214:215], v[214:215], v[218:219], v[222:223]
	v_div_fixup_f64 v[218:219], v[214:215], v[212:213], 1.0
                                        ; implicit-def: $vgpr212_vgpr213
	s_delay_alu instid0(VALU_DEP_1)
	v_mul_f64 v[220:221], v[216:217], v[218:219]
	v_xor_b32_e32 v219, 0x80000000, v219
.LBB105_212:
	s_and_not1_saveexec_b32 s3, s3
	s_cbranch_execz .LBB105_214
; %bb.213:
	v_div_scale_f64 v[216:217], null, v[212:213], v[212:213], v[214:215]
	v_div_scale_f64 v[222:223], vcc_lo, v[214:215], v[212:213], v[214:215]
	s_delay_alu instid0(VALU_DEP_2) | instskip(SKIP_2) | instid1(VALU_DEP_1)
	v_rcp_f64_e32 v[218:219], v[216:217]
	s_waitcnt_depctr 0xfff
	v_fma_f64 v[220:221], -v[216:217], v[218:219], 1.0
	v_fma_f64 v[218:219], v[218:219], v[220:221], v[218:219]
	s_delay_alu instid0(VALU_DEP_1) | instskip(NEXT) | instid1(VALU_DEP_1)
	v_fma_f64 v[220:221], -v[216:217], v[218:219], 1.0
	v_fma_f64 v[218:219], v[218:219], v[220:221], v[218:219]
	s_delay_alu instid0(VALU_DEP_1) | instskip(NEXT) | instid1(VALU_DEP_1)
	v_mul_f64 v[220:221], v[222:223], v[218:219]
	v_fma_f64 v[216:217], -v[216:217], v[220:221], v[222:223]
	s_delay_alu instid0(VALU_DEP_1) | instskip(NEXT) | instid1(VALU_DEP_1)
	v_div_fmas_f64 v[216:217], v[216:217], v[218:219], v[220:221]
	v_div_fixup_f64 v[216:217], v[216:217], v[212:213], v[214:215]
	s_delay_alu instid0(VALU_DEP_1) | instskip(NEXT) | instid1(VALU_DEP_1)
	v_fma_f64 v[212:213], v[214:215], v[216:217], v[212:213]
	v_div_scale_f64 v[214:215], null, v[212:213], v[212:213], 1.0
	s_delay_alu instid0(VALU_DEP_1) | instskip(SKIP_2) | instid1(VALU_DEP_1)
	v_rcp_f64_e32 v[218:219], v[214:215]
	s_waitcnt_depctr 0xfff
	v_fma_f64 v[220:221], -v[214:215], v[218:219], 1.0
	v_fma_f64 v[218:219], v[218:219], v[220:221], v[218:219]
	s_delay_alu instid0(VALU_DEP_1) | instskip(NEXT) | instid1(VALU_DEP_1)
	v_fma_f64 v[220:221], -v[214:215], v[218:219], 1.0
	v_fma_f64 v[218:219], v[218:219], v[220:221], v[218:219]
	v_div_scale_f64 v[220:221], vcc_lo, 1.0, v[212:213], 1.0
	s_delay_alu instid0(VALU_DEP_1) | instskip(NEXT) | instid1(VALU_DEP_1)
	v_mul_f64 v[222:223], v[220:221], v[218:219]
	v_fma_f64 v[214:215], -v[214:215], v[222:223], v[220:221]
	s_delay_alu instid0(VALU_DEP_1) | instskip(NEXT) | instid1(VALU_DEP_1)
	v_div_fmas_f64 v[214:215], v[214:215], v[218:219], v[222:223]
	v_div_fixup_f64 v[220:221], v[214:215], v[212:213], 1.0
	s_delay_alu instid0(VALU_DEP_1)
	v_mul_f64 v[218:219], v[216:217], -v[220:221]
.LBB105_214:
	s_or_b32 exec_lo, exec_lo, s3
	ds_store_2addr_b64 v255, v[220:221], v[218:219] offset1:1
.LBB105_215:
	s_or_b32 exec_lo, exec_lo, s4
	s_waitcnt lgkmcnt(0)
	s_barrier
	buffer_gl0_inv
	ds_load_2addr_b64 v[212:215], v255 offset1:1
	s_mov_b32 s3, exec_lo
	s_waitcnt lgkmcnt(0)
	scratch_store_b128 off, v[212:215], off offset:808 ; 16-byte Folded Spill
	v_cmpx_lt_u32_e32 23, v205
	s_cbranch_execz .LBB105_217
; %bb.216:
	scratch_load_b128 v[214:217], off, off offset:808 ; 16-byte Folded Reload
	s_waitcnt vmcnt(0)
	v_mul_f64 v[212:213], v[216:217], v[118:119]
	v_mul_f64 v[118:119], v[214:215], v[118:119]
	s_delay_alu instid0(VALU_DEP_2) | instskip(NEXT) | instid1(VALU_DEP_2)
	v_fma_f64 v[212:213], v[214:215], v[116:117], -v[212:213]
	v_fma_f64 v[118:119], v[216:217], v[116:117], v[118:119]
	ds_load_2addr_b64 v[214:217], v250 offset0:48 offset1:49
	s_waitcnt lgkmcnt(0)
	v_mul_f64 v[116:117], v[216:217], v[118:119]
	s_delay_alu instid0(VALU_DEP_1) | instskip(SKIP_1) | instid1(VALU_DEP_2)
	v_fma_f64 v[116:117], v[214:215], v[212:213], -v[116:117]
	v_mul_f64 v[214:215], v[214:215], v[118:119]
	v_add_f64 v[112:113], v[112:113], -v[116:117]
	s_delay_alu instid0(VALU_DEP_2) | instskip(NEXT) | instid1(VALU_DEP_1)
	v_fma_f64 v[214:215], v[216:217], v[212:213], v[214:215]
	v_add_f64 v[114:115], v[114:115], -v[214:215]
	ds_load_2addr_b64 v[214:217], v250 offset0:50 offset1:51
	s_waitcnt lgkmcnt(0)
	v_mul_f64 v[116:117], v[216:217], v[118:119]
	s_delay_alu instid0(VALU_DEP_1) | instskip(SKIP_1) | instid1(VALU_DEP_2)
	v_fma_f64 v[116:117], v[214:215], v[212:213], -v[116:117]
	v_mul_f64 v[214:215], v[214:215], v[118:119]
	v_add_f64 v[108:109], v[108:109], -v[116:117]
	s_delay_alu instid0(VALU_DEP_2) | instskip(NEXT) | instid1(VALU_DEP_1)
	v_fma_f64 v[214:215], v[216:217], v[212:213], v[214:215]
	v_add_f64 v[110:111], v[110:111], -v[214:215]
	;; [unrolled: 10-line block ×28, first 2 shown]
	ds_load_2addr_b64 v[214:217], v250 offset0:104 offset1:105
	s_waitcnt lgkmcnt(0)
	v_mul_f64 v[116:117], v[216:217], v[118:119]
	s_delay_alu instid0(VALU_DEP_1) | instskip(SKIP_1) | instid1(VALU_DEP_2)
	v_fma_f64 v[116:117], v[214:215], v[212:213], -v[116:117]
	v_mul_f64 v[214:215], v[214:215], v[118:119]
	v_add_f64 v[0:1], v[0:1], -v[116:117]
	s_delay_alu instid0(VALU_DEP_2) | instskip(SKIP_1) | instid1(VALU_DEP_2)
	v_fma_f64 v[214:215], v[216:217], v[212:213], v[214:215]
	v_dual_mov_b32 v116, v212 :: v_dual_mov_b32 v117, v213
	v_add_f64 v[2:3], v[2:3], -v[214:215]
.LBB105_217:
	s_or_b32 exec_lo, exec_lo, s3
	s_delay_alu instid0(SALU_CYCLE_1)
	s_mov_b32 s4, exec_lo
	s_waitcnt_vscnt null, 0x0
	s_barrier
	buffer_gl0_inv
	v_cmpx_eq_u32_e32 24, v205
	s_cbranch_execz .LBB105_224
; %bb.218:
	ds_store_2addr_b64 v255, v[112:113], v[114:115] offset1:1
	ds_store_2addr_b64 v250, v[108:109], v[110:111] offset0:50 offset1:51
	ds_store_2addr_b64 v250, v[104:105], v[106:107] offset0:52 offset1:53
	;; [unrolled: 1-line block ×28, first 2 shown]
	ds_load_2addr_b64 v[212:215], v255 offset1:1
	s_waitcnt lgkmcnt(0)
	v_cmp_neq_f64_e32 vcc_lo, 0, v[212:213]
	v_cmp_neq_f64_e64 s3, 0, v[214:215]
	s_delay_alu instid0(VALU_DEP_1) | instskip(NEXT) | instid1(SALU_CYCLE_1)
	s_or_b32 s3, vcc_lo, s3
	s_and_b32 exec_lo, exec_lo, s3
	s_cbranch_execz .LBB105_224
; %bb.219:
	v_cmp_gt_f64_e32 vcc_lo, 0, v[212:213]
	v_xor_b32_e32 v204, 0x80000000, v213
	s_mov_b32 s3, exec_lo
                                        ; implicit-def: $vgpr220_vgpr221
	s_delay_alu instid0(VALU_DEP_1) | instskip(SKIP_3) | instid1(VALU_DEP_1)
	v_cndmask_b32_e32 v217, v213, v204, vcc_lo
	v_cndmask_b32_e32 v216, v212, v212, vcc_lo
	v_cmp_gt_f64_e32 vcc_lo, 0, v[214:215]
	v_xor_b32_e32 v204, 0x80000000, v215
	v_dual_cndmask_b32 v218, v214, v214 :: v_dual_cndmask_b32 v219, v215, v204
	s_delay_alu instid0(VALU_DEP_1)
	v_cmpx_ngt_f64_e32 v[216:217], v[218:219]
	s_xor_b32 s3, exec_lo, s3
                                        ; implicit-def: $vgpr216_vgpr217_vgpr218_vgpr219
	s_cbranch_execz .LBB105_221
; %bb.220:
	v_div_scale_f64 v[216:217], null, v[214:215], v[214:215], v[212:213]
	v_div_scale_f64 v[222:223], vcc_lo, v[212:213], v[214:215], v[212:213]
	s_delay_alu instid0(VALU_DEP_2) | instskip(SKIP_2) | instid1(VALU_DEP_1)
	v_rcp_f64_e32 v[218:219], v[216:217]
	s_waitcnt_depctr 0xfff
	v_fma_f64 v[220:221], -v[216:217], v[218:219], 1.0
	v_fma_f64 v[218:219], v[218:219], v[220:221], v[218:219]
	s_delay_alu instid0(VALU_DEP_1) | instskip(NEXT) | instid1(VALU_DEP_1)
	v_fma_f64 v[220:221], -v[216:217], v[218:219], 1.0
	v_fma_f64 v[218:219], v[218:219], v[220:221], v[218:219]
	s_delay_alu instid0(VALU_DEP_1) | instskip(NEXT) | instid1(VALU_DEP_1)
	v_mul_f64 v[220:221], v[222:223], v[218:219]
	v_fma_f64 v[216:217], -v[216:217], v[220:221], v[222:223]
	s_delay_alu instid0(VALU_DEP_1) | instskip(NEXT) | instid1(VALU_DEP_1)
	v_div_fmas_f64 v[216:217], v[216:217], v[218:219], v[220:221]
	v_div_fixup_f64 v[216:217], v[216:217], v[214:215], v[212:213]
	s_delay_alu instid0(VALU_DEP_1) | instskip(NEXT) | instid1(VALU_DEP_1)
	v_fma_f64 v[212:213], v[212:213], v[216:217], v[214:215]
	v_div_scale_f64 v[214:215], null, v[212:213], v[212:213], 1.0
	s_delay_alu instid0(VALU_DEP_1) | instskip(SKIP_2) | instid1(VALU_DEP_1)
	v_rcp_f64_e32 v[218:219], v[214:215]
	s_waitcnt_depctr 0xfff
	v_fma_f64 v[220:221], -v[214:215], v[218:219], 1.0
	v_fma_f64 v[218:219], v[218:219], v[220:221], v[218:219]
	s_delay_alu instid0(VALU_DEP_1) | instskip(NEXT) | instid1(VALU_DEP_1)
	v_fma_f64 v[220:221], -v[214:215], v[218:219], 1.0
	v_fma_f64 v[218:219], v[218:219], v[220:221], v[218:219]
	v_div_scale_f64 v[220:221], vcc_lo, 1.0, v[212:213], 1.0
	s_delay_alu instid0(VALU_DEP_1) | instskip(NEXT) | instid1(VALU_DEP_1)
	v_mul_f64 v[222:223], v[220:221], v[218:219]
	v_fma_f64 v[214:215], -v[214:215], v[222:223], v[220:221]
	s_delay_alu instid0(VALU_DEP_1) | instskip(NEXT) | instid1(VALU_DEP_1)
	v_div_fmas_f64 v[214:215], v[214:215], v[218:219], v[222:223]
	v_div_fixup_f64 v[218:219], v[214:215], v[212:213], 1.0
                                        ; implicit-def: $vgpr212_vgpr213
	s_delay_alu instid0(VALU_DEP_1)
	v_mul_f64 v[220:221], v[216:217], v[218:219]
	v_xor_b32_e32 v219, 0x80000000, v219
.LBB105_221:
	s_and_not1_saveexec_b32 s3, s3
	s_cbranch_execz .LBB105_223
; %bb.222:
	v_div_scale_f64 v[216:217], null, v[212:213], v[212:213], v[214:215]
	v_div_scale_f64 v[222:223], vcc_lo, v[214:215], v[212:213], v[214:215]
	s_delay_alu instid0(VALU_DEP_2) | instskip(SKIP_2) | instid1(VALU_DEP_1)
	v_rcp_f64_e32 v[218:219], v[216:217]
	s_waitcnt_depctr 0xfff
	v_fma_f64 v[220:221], -v[216:217], v[218:219], 1.0
	v_fma_f64 v[218:219], v[218:219], v[220:221], v[218:219]
	s_delay_alu instid0(VALU_DEP_1) | instskip(NEXT) | instid1(VALU_DEP_1)
	v_fma_f64 v[220:221], -v[216:217], v[218:219], 1.0
	v_fma_f64 v[218:219], v[218:219], v[220:221], v[218:219]
	s_delay_alu instid0(VALU_DEP_1) | instskip(NEXT) | instid1(VALU_DEP_1)
	v_mul_f64 v[220:221], v[222:223], v[218:219]
	v_fma_f64 v[216:217], -v[216:217], v[220:221], v[222:223]
	s_delay_alu instid0(VALU_DEP_1) | instskip(NEXT) | instid1(VALU_DEP_1)
	v_div_fmas_f64 v[216:217], v[216:217], v[218:219], v[220:221]
	v_div_fixup_f64 v[216:217], v[216:217], v[212:213], v[214:215]
	s_delay_alu instid0(VALU_DEP_1) | instskip(NEXT) | instid1(VALU_DEP_1)
	v_fma_f64 v[212:213], v[214:215], v[216:217], v[212:213]
	v_div_scale_f64 v[214:215], null, v[212:213], v[212:213], 1.0
	s_delay_alu instid0(VALU_DEP_1) | instskip(SKIP_2) | instid1(VALU_DEP_1)
	v_rcp_f64_e32 v[218:219], v[214:215]
	s_waitcnt_depctr 0xfff
	v_fma_f64 v[220:221], -v[214:215], v[218:219], 1.0
	v_fma_f64 v[218:219], v[218:219], v[220:221], v[218:219]
	s_delay_alu instid0(VALU_DEP_1) | instskip(NEXT) | instid1(VALU_DEP_1)
	v_fma_f64 v[220:221], -v[214:215], v[218:219], 1.0
	v_fma_f64 v[218:219], v[218:219], v[220:221], v[218:219]
	v_div_scale_f64 v[220:221], vcc_lo, 1.0, v[212:213], 1.0
	s_delay_alu instid0(VALU_DEP_1) | instskip(NEXT) | instid1(VALU_DEP_1)
	v_mul_f64 v[222:223], v[220:221], v[218:219]
	v_fma_f64 v[214:215], -v[214:215], v[222:223], v[220:221]
	s_delay_alu instid0(VALU_DEP_1) | instskip(NEXT) | instid1(VALU_DEP_1)
	v_div_fmas_f64 v[214:215], v[214:215], v[218:219], v[222:223]
	v_div_fixup_f64 v[220:221], v[214:215], v[212:213], 1.0
	s_delay_alu instid0(VALU_DEP_1)
	v_mul_f64 v[218:219], v[216:217], -v[220:221]
.LBB105_223:
	s_or_b32 exec_lo, exec_lo, s3
	ds_store_2addr_b64 v255, v[220:221], v[218:219] offset1:1
.LBB105_224:
	s_or_b32 exec_lo, exec_lo, s4
	s_waitcnt lgkmcnt(0)
	s_barrier
	buffer_gl0_inv
	ds_load_2addr_b64 v[212:215], v255 offset1:1
	s_mov_b32 s3, exec_lo
	s_waitcnt lgkmcnt(0)
	scratch_store_b128 off, v[212:215], off offset:824 ; 16-byte Folded Spill
	v_cmpx_lt_u32_e32 24, v205
	s_cbranch_execz .LBB105_226
; %bb.225:
	scratch_load_b128 v[214:217], off, off offset:824 ; 16-byte Folded Reload
	s_waitcnt vmcnt(0)
	v_mul_f64 v[212:213], v[216:217], v[114:115]
	v_mul_f64 v[114:115], v[214:215], v[114:115]
	s_delay_alu instid0(VALU_DEP_2) | instskip(NEXT) | instid1(VALU_DEP_2)
	v_fma_f64 v[212:213], v[214:215], v[112:113], -v[212:213]
	v_fma_f64 v[114:115], v[216:217], v[112:113], v[114:115]
	ds_load_2addr_b64 v[214:217], v250 offset0:50 offset1:51
	s_waitcnt lgkmcnt(0)
	v_mul_f64 v[112:113], v[216:217], v[114:115]
	s_delay_alu instid0(VALU_DEP_1) | instskip(SKIP_1) | instid1(VALU_DEP_2)
	v_fma_f64 v[112:113], v[214:215], v[212:213], -v[112:113]
	v_mul_f64 v[214:215], v[214:215], v[114:115]
	v_add_f64 v[108:109], v[108:109], -v[112:113]
	s_delay_alu instid0(VALU_DEP_2) | instskip(NEXT) | instid1(VALU_DEP_1)
	v_fma_f64 v[214:215], v[216:217], v[212:213], v[214:215]
	v_add_f64 v[110:111], v[110:111], -v[214:215]
	ds_load_2addr_b64 v[214:217], v250 offset0:52 offset1:53
	s_waitcnt lgkmcnt(0)
	v_mul_f64 v[112:113], v[216:217], v[114:115]
	s_delay_alu instid0(VALU_DEP_1) | instskip(SKIP_1) | instid1(VALU_DEP_2)
	v_fma_f64 v[112:113], v[214:215], v[212:213], -v[112:113]
	v_mul_f64 v[214:215], v[214:215], v[114:115]
	v_add_f64 v[104:105], v[104:105], -v[112:113]
	s_delay_alu instid0(VALU_DEP_2) | instskip(NEXT) | instid1(VALU_DEP_1)
	v_fma_f64 v[214:215], v[216:217], v[212:213], v[214:215]
	v_add_f64 v[106:107], v[106:107], -v[214:215]
	ds_load_2addr_b64 v[214:217], v250 offset0:54 offset1:55
	s_waitcnt lgkmcnt(0)
	v_mul_f64 v[112:113], v[216:217], v[114:115]
	s_delay_alu instid0(VALU_DEP_1) | instskip(SKIP_1) | instid1(VALU_DEP_2)
	v_fma_f64 v[112:113], v[214:215], v[212:213], -v[112:113]
	v_mul_f64 v[214:215], v[214:215], v[114:115]
	v_add_f64 v[100:101], v[100:101], -v[112:113]
	s_delay_alu instid0(VALU_DEP_2) | instskip(NEXT) | instid1(VALU_DEP_1)
	v_fma_f64 v[214:215], v[216:217], v[212:213], v[214:215]
	v_add_f64 v[102:103], v[102:103], -v[214:215]
	ds_load_2addr_b64 v[214:217], v250 offset0:56 offset1:57
	s_waitcnt lgkmcnt(0)
	v_mul_f64 v[112:113], v[216:217], v[114:115]
	s_delay_alu instid0(VALU_DEP_1) | instskip(SKIP_1) | instid1(VALU_DEP_2)
	v_fma_f64 v[112:113], v[214:215], v[212:213], -v[112:113]
	v_mul_f64 v[214:215], v[214:215], v[114:115]
	v_add_f64 v[96:97], v[96:97], -v[112:113]
	s_delay_alu instid0(VALU_DEP_2) | instskip(NEXT) | instid1(VALU_DEP_1)
	v_fma_f64 v[214:215], v[216:217], v[212:213], v[214:215]
	v_add_f64 v[98:99], v[98:99], -v[214:215]
	ds_load_2addr_b64 v[214:217], v250 offset0:58 offset1:59
	s_waitcnt lgkmcnt(0)
	v_mul_f64 v[112:113], v[216:217], v[114:115]
	s_delay_alu instid0(VALU_DEP_1) | instskip(SKIP_1) | instid1(VALU_DEP_2)
	v_fma_f64 v[112:113], v[214:215], v[212:213], -v[112:113]
	v_mul_f64 v[214:215], v[214:215], v[114:115]
	v_add_f64 v[92:93], v[92:93], -v[112:113]
	s_delay_alu instid0(VALU_DEP_2) | instskip(NEXT) | instid1(VALU_DEP_1)
	v_fma_f64 v[214:215], v[216:217], v[212:213], v[214:215]
	v_add_f64 v[94:95], v[94:95], -v[214:215]
	ds_load_2addr_b64 v[214:217], v250 offset0:60 offset1:61
	s_waitcnt lgkmcnt(0)
	v_mul_f64 v[112:113], v[216:217], v[114:115]
	s_delay_alu instid0(VALU_DEP_1) | instskip(SKIP_1) | instid1(VALU_DEP_2)
	v_fma_f64 v[112:113], v[214:215], v[212:213], -v[112:113]
	v_mul_f64 v[214:215], v[214:215], v[114:115]
	v_add_f64 v[88:89], v[88:89], -v[112:113]
	s_delay_alu instid0(VALU_DEP_2) | instskip(NEXT) | instid1(VALU_DEP_1)
	v_fma_f64 v[214:215], v[216:217], v[212:213], v[214:215]
	v_add_f64 v[90:91], v[90:91], -v[214:215]
	ds_load_2addr_b64 v[214:217], v250 offset0:62 offset1:63
	s_waitcnt lgkmcnt(0)
	v_mul_f64 v[112:113], v[216:217], v[114:115]
	s_delay_alu instid0(VALU_DEP_1) | instskip(SKIP_1) | instid1(VALU_DEP_2)
	v_fma_f64 v[112:113], v[214:215], v[212:213], -v[112:113]
	v_mul_f64 v[214:215], v[214:215], v[114:115]
	v_add_f64 v[84:85], v[84:85], -v[112:113]
	s_delay_alu instid0(VALU_DEP_2) | instskip(NEXT) | instid1(VALU_DEP_1)
	v_fma_f64 v[214:215], v[216:217], v[212:213], v[214:215]
	v_add_f64 v[86:87], v[86:87], -v[214:215]
	ds_load_2addr_b64 v[214:217], v250 offset0:64 offset1:65
	s_waitcnt lgkmcnt(0)
	v_mul_f64 v[112:113], v[216:217], v[114:115]
	s_delay_alu instid0(VALU_DEP_1) | instskip(SKIP_1) | instid1(VALU_DEP_2)
	v_fma_f64 v[112:113], v[214:215], v[212:213], -v[112:113]
	v_mul_f64 v[214:215], v[214:215], v[114:115]
	v_add_f64 v[80:81], v[80:81], -v[112:113]
	s_delay_alu instid0(VALU_DEP_2) | instskip(NEXT) | instid1(VALU_DEP_1)
	v_fma_f64 v[214:215], v[216:217], v[212:213], v[214:215]
	v_add_f64 v[82:83], v[82:83], -v[214:215]
	ds_load_2addr_b64 v[214:217], v250 offset0:66 offset1:67
	s_waitcnt lgkmcnt(0)
	v_mul_f64 v[112:113], v[216:217], v[114:115]
	s_delay_alu instid0(VALU_DEP_1) | instskip(SKIP_1) | instid1(VALU_DEP_2)
	v_fma_f64 v[112:113], v[214:215], v[212:213], -v[112:113]
	v_mul_f64 v[214:215], v[214:215], v[114:115]
	v_add_f64 v[76:77], v[76:77], -v[112:113]
	s_delay_alu instid0(VALU_DEP_2) | instskip(NEXT) | instid1(VALU_DEP_1)
	v_fma_f64 v[214:215], v[216:217], v[212:213], v[214:215]
	v_add_f64 v[78:79], v[78:79], -v[214:215]
	ds_load_2addr_b64 v[214:217], v250 offset0:68 offset1:69
	s_waitcnt lgkmcnt(0)
	v_mul_f64 v[112:113], v[216:217], v[114:115]
	s_delay_alu instid0(VALU_DEP_1) | instskip(SKIP_1) | instid1(VALU_DEP_2)
	v_fma_f64 v[112:113], v[214:215], v[212:213], -v[112:113]
	v_mul_f64 v[214:215], v[214:215], v[114:115]
	v_add_f64 v[72:73], v[72:73], -v[112:113]
	s_delay_alu instid0(VALU_DEP_2) | instskip(NEXT) | instid1(VALU_DEP_1)
	v_fma_f64 v[214:215], v[216:217], v[212:213], v[214:215]
	v_add_f64 v[74:75], v[74:75], -v[214:215]
	ds_load_2addr_b64 v[214:217], v250 offset0:70 offset1:71
	s_waitcnt lgkmcnt(0)
	v_mul_f64 v[112:113], v[216:217], v[114:115]
	s_delay_alu instid0(VALU_DEP_1) | instskip(SKIP_1) | instid1(VALU_DEP_2)
	v_fma_f64 v[112:113], v[214:215], v[212:213], -v[112:113]
	v_mul_f64 v[214:215], v[214:215], v[114:115]
	v_add_f64 v[68:69], v[68:69], -v[112:113]
	s_delay_alu instid0(VALU_DEP_2) | instskip(NEXT) | instid1(VALU_DEP_1)
	v_fma_f64 v[214:215], v[216:217], v[212:213], v[214:215]
	v_add_f64 v[70:71], v[70:71], -v[214:215]
	ds_load_2addr_b64 v[214:217], v250 offset0:72 offset1:73
	s_waitcnt lgkmcnt(0)
	v_mul_f64 v[112:113], v[216:217], v[114:115]
	s_delay_alu instid0(VALU_DEP_1) | instskip(SKIP_1) | instid1(VALU_DEP_2)
	v_fma_f64 v[112:113], v[214:215], v[212:213], -v[112:113]
	v_mul_f64 v[214:215], v[214:215], v[114:115]
	v_add_f64 v[64:65], v[64:65], -v[112:113]
	s_delay_alu instid0(VALU_DEP_2) | instskip(NEXT) | instid1(VALU_DEP_1)
	v_fma_f64 v[214:215], v[216:217], v[212:213], v[214:215]
	v_add_f64 v[66:67], v[66:67], -v[214:215]
	ds_load_2addr_b64 v[214:217], v250 offset0:74 offset1:75
	s_waitcnt lgkmcnt(0)
	v_mul_f64 v[112:113], v[216:217], v[114:115]
	s_delay_alu instid0(VALU_DEP_1) | instskip(SKIP_1) | instid1(VALU_DEP_2)
	v_fma_f64 v[112:113], v[214:215], v[212:213], -v[112:113]
	v_mul_f64 v[214:215], v[214:215], v[114:115]
	v_add_f64 v[60:61], v[60:61], -v[112:113]
	s_delay_alu instid0(VALU_DEP_2) | instskip(NEXT) | instid1(VALU_DEP_1)
	v_fma_f64 v[214:215], v[216:217], v[212:213], v[214:215]
	v_add_f64 v[62:63], v[62:63], -v[214:215]
	ds_load_2addr_b64 v[214:217], v250 offset0:76 offset1:77
	s_waitcnt lgkmcnt(0)
	v_mul_f64 v[112:113], v[216:217], v[114:115]
	s_delay_alu instid0(VALU_DEP_1) | instskip(SKIP_1) | instid1(VALU_DEP_2)
	v_fma_f64 v[112:113], v[214:215], v[212:213], -v[112:113]
	v_mul_f64 v[214:215], v[214:215], v[114:115]
	v_add_f64 v[56:57], v[56:57], -v[112:113]
	s_delay_alu instid0(VALU_DEP_2) | instskip(NEXT) | instid1(VALU_DEP_1)
	v_fma_f64 v[214:215], v[216:217], v[212:213], v[214:215]
	v_add_f64 v[58:59], v[58:59], -v[214:215]
	ds_load_2addr_b64 v[214:217], v250 offset0:78 offset1:79
	s_waitcnt lgkmcnt(0)
	v_mul_f64 v[112:113], v[216:217], v[114:115]
	s_delay_alu instid0(VALU_DEP_1) | instskip(SKIP_1) | instid1(VALU_DEP_2)
	v_fma_f64 v[112:113], v[214:215], v[212:213], -v[112:113]
	v_mul_f64 v[214:215], v[214:215], v[114:115]
	v_add_f64 v[52:53], v[52:53], -v[112:113]
	s_delay_alu instid0(VALU_DEP_2) | instskip(NEXT) | instid1(VALU_DEP_1)
	v_fma_f64 v[214:215], v[216:217], v[212:213], v[214:215]
	v_add_f64 v[54:55], v[54:55], -v[214:215]
	ds_load_2addr_b64 v[214:217], v250 offset0:80 offset1:81
	s_waitcnt lgkmcnt(0)
	v_mul_f64 v[112:113], v[216:217], v[114:115]
	s_delay_alu instid0(VALU_DEP_1) | instskip(SKIP_1) | instid1(VALU_DEP_2)
	v_fma_f64 v[112:113], v[214:215], v[212:213], -v[112:113]
	v_mul_f64 v[214:215], v[214:215], v[114:115]
	v_add_f64 v[48:49], v[48:49], -v[112:113]
	s_delay_alu instid0(VALU_DEP_2) | instskip(NEXT) | instid1(VALU_DEP_1)
	v_fma_f64 v[214:215], v[216:217], v[212:213], v[214:215]
	v_add_f64 v[50:51], v[50:51], -v[214:215]
	ds_load_2addr_b64 v[214:217], v250 offset0:82 offset1:83
	s_waitcnt lgkmcnt(0)
	v_mul_f64 v[112:113], v[216:217], v[114:115]
	s_delay_alu instid0(VALU_DEP_1) | instskip(SKIP_1) | instid1(VALU_DEP_2)
	v_fma_f64 v[112:113], v[214:215], v[212:213], -v[112:113]
	v_mul_f64 v[214:215], v[214:215], v[114:115]
	v_add_f64 v[44:45], v[44:45], -v[112:113]
	s_delay_alu instid0(VALU_DEP_2) | instskip(NEXT) | instid1(VALU_DEP_1)
	v_fma_f64 v[214:215], v[216:217], v[212:213], v[214:215]
	v_add_f64 v[46:47], v[46:47], -v[214:215]
	ds_load_2addr_b64 v[214:217], v250 offset0:84 offset1:85
	s_waitcnt lgkmcnt(0)
	v_mul_f64 v[112:113], v[216:217], v[114:115]
	s_delay_alu instid0(VALU_DEP_1) | instskip(SKIP_1) | instid1(VALU_DEP_2)
	v_fma_f64 v[112:113], v[214:215], v[212:213], -v[112:113]
	v_mul_f64 v[214:215], v[214:215], v[114:115]
	v_add_f64 v[40:41], v[40:41], -v[112:113]
	s_delay_alu instid0(VALU_DEP_2) | instskip(NEXT) | instid1(VALU_DEP_1)
	v_fma_f64 v[214:215], v[216:217], v[212:213], v[214:215]
	v_add_f64 v[42:43], v[42:43], -v[214:215]
	ds_load_2addr_b64 v[214:217], v250 offset0:86 offset1:87
	s_waitcnt lgkmcnt(0)
	v_mul_f64 v[112:113], v[216:217], v[114:115]
	s_delay_alu instid0(VALU_DEP_1) | instskip(SKIP_1) | instid1(VALU_DEP_2)
	v_fma_f64 v[112:113], v[214:215], v[212:213], -v[112:113]
	v_mul_f64 v[214:215], v[214:215], v[114:115]
	v_add_f64 v[36:37], v[36:37], -v[112:113]
	s_delay_alu instid0(VALU_DEP_2) | instskip(NEXT) | instid1(VALU_DEP_1)
	v_fma_f64 v[214:215], v[216:217], v[212:213], v[214:215]
	v_add_f64 v[38:39], v[38:39], -v[214:215]
	ds_load_2addr_b64 v[214:217], v250 offset0:88 offset1:89
	s_waitcnt lgkmcnt(0)
	v_mul_f64 v[112:113], v[216:217], v[114:115]
	s_delay_alu instid0(VALU_DEP_1) | instskip(SKIP_1) | instid1(VALU_DEP_2)
	v_fma_f64 v[112:113], v[214:215], v[212:213], -v[112:113]
	v_mul_f64 v[214:215], v[214:215], v[114:115]
	v_add_f64 v[32:33], v[32:33], -v[112:113]
	s_delay_alu instid0(VALU_DEP_2) | instskip(NEXT) | instid1(VALU_DEP_1)
	v_fma_f64 v[214:215], v[216:217], v[212:213], v[214:215]
	v_add_f64 v[34:35], v[34:35], -v[214:215]
	ds_load_2addr_b64 v[214:217], v250 offset0:90 offset1:91
	s_waitcnt lgkmcnt(0)
	v_mul_f64 v[112:113], v[216:217], v[114:115]
	s_delay_alu instid0(VALU_DEP_1) | instskip(SKIP_1) | instid1(VALU_DEP_2)
	v_fma_f64 v[112:113], v[214:215], v[212:213], -v[112:113]
	v_mul_f64 v[214:215], v[214:215], v[114:115]
	v_add_f64 v[28:29], v[28:29], -v[112:113]
	s_delay_alu instid0(VALU_DEP_2) | instskip(NEXT) | instid1(VALU_DEP_1)
	v_fma_f64 v[214:215], v[216:217], v[212:213], v[214:215]
	v_add_f64 v[30:31], v[30:31], -v[214:215]
	ds_load_2addr_b64 v[214:217], v250 offset0:92 offset1:93
	s_waitcnt lgkmcnt(0)
	v_mul_f64 v[112:113], v[216:217], v[114:115]
	s_delay_alu instid0(VALU_DEP_1) | instskip(SKIP_1) | instid1(VALU_DEP_2)
	v_fma_f64 v[112:113], v[214:215], v[212:213], -v[112:113]
	v_mul_f64 v[214:215], v[214:215], v[114:115]
	v_add_f64 v[24:25], v[24:25], -v[112:113]
	s_delay_alu instid0(VALU_DEP_2) | instskip(NEXT) | instid1(VALU_DEP_1)
	v_fma_f64 v[214:215], v[216:217], v[212:213], v[214:215]
	v_add_f64 v[26:27], v[26:27], -v[214:215]
	ds_load_2addr_b64 v[214:217], v250 offset0:94 offset1:95
	s_waitcnt lgkmcnt(0)
	v_mul_f64 v[112:113], v[216:217], v[114:115]
	s_delay_alu instid0(VALU_DEP_1) | instskip(SKIP_1) | instid1(VALU_DEP_2)
	v_fma_f64 v[112:113], v[214:215], v[212:213], -v[112:113]
	v_mul_f64 v[214:215], v[214:215], v[114:115]
	v_add_f64 v[20:21], v[20:21], -v[112:113]
	s_delay_alu instid0(VALU_DEP_2) | instskip(NEXT) | instid1(VALU_DEP_1)
	v_fma_f64 v[214:215], v[216:217], v[212:213], v[214:215]
	v_add_f64 v[22:23], v[22:23], -v[214:215]
	ds_load_2addr_b64 v[214:217], v250 offset0:96 offset1:97
	s_waitcnt lgkmcnt(0)
	v_mul_f64 v[112:113], v[216:217], v[114:115]
	s_delay_alu instid0(VALU_DEP_1) | instskip(SKIP_1) | instid1(VALU_DEP_2)
	v_fma_f64 v[112:113], v[214:215], v[212:213], -v[112:113]
	v_mul_f64 v[214:215], v[214:215], v[114:115]
	v_add_f64 v[16:17], v[16:17], -v[112:113]
	s_delay_alu instid0(VALU_DEP_2) | instskip(NEXT) | instid1(VALU_DEP_1)
	v_fma_f64 v[214:215], v[216:217], v[212:213], v[214:215]
	v_add_f64 v[18:19], v[18:19], -v[214:215]
	ds_load_2addr_b64 v[214:217], v250 offset0:98 offset1:99
	s_waitcnt lgkmcnt(0)
	v_mul_f64 v[112:113], v[216:217], v[114:115]
	s_delay_alu instid0(VALU_DEP_1) | instskip(SKIP_1) | instid1(VALU_DEP_2)
	v_fma_f64 v[112:113], v[214:215], v[212:213], -v[112:113]
	v_mul_f64 v[214:215], v[214:215], v[114:115]
	v_add_f64 v[12:13], v[12:13], -v[112:113]
	s_delay_alu instid0(VALU_DEP_2) | instskip(NEXT) | instid1(VALU_DEP_1)
	v_fma_f64 v[214:215], v[216:217], v[212:213], v[214:215]
	v_add_f64 v[14:15], v[14:15], -v[214:215]
	ds_load_2addr_b64 v[214:217], v250 offset0:100 offset1:101
	s_waitcnt lgkmcnt(0)
	v_mul_f64 v[112:113], v[216:217], v[114:115]
	s_delay_alu instid0(VALU_DEP_1) | instskip(SKIP_1) | instid1(VALU_DEP_2)
	v_fma_f64 v[112:113], v[214:215], v[212:213], -v[112:113]
	v_mul_f64 v[214:215], v[214:215], v[114:115]
	v_add_f64 v[8:9], v[8:9], -v[112:113]
	s_delay_alu instid0(VALU_DEP_2) | instskip(NEXT) | instid1(VALU_DEP_1)
	v_fma_f64 v[214:215], v[216:217], v[212:213], v[214:215]
	v_add_f64 v[10:11], v[10:11], -v[214:215]
	ds_load_2addr_b64 v[214:217], v250 offset0:102 offset1:103
	s_waitcnt lgkmcnt(0)
	v_mul_f64 v[112:113], v[216:217], v[114:115]
	s_delay_alu instid0(VALU_DEP_1) | instskip(SKIP_1) | instid1(VALU_DEP_2)
	v_fma_f64 v[112:113], v[214:215], v[212:213], -v[112:113]
	v_mul_f64 v[214:215], v[214:215], v[114:115]
	v_add_f64 v[4:5], v[4:5], -v[112:113]
	s_delay_alu instid0(VALU_DEP_2) | instskip(NEXT) | instid1(VALU_DEP_1)
	v_fma_f64 v[214:215], v[216:217], v[212:213], v[214:215]
	v_add_f64 v[6:7], v[6:7], -v[214:215]
	ds_load_2addr_b64 v[214:217], v250 offset0:104 offset1:105
	s_waitcnt lgkmcnt(0)
	v_mul_f64 v[112:113], v[216:217], v[114:115]
	s_delay_alu instid0(VALU_DEP_1) | instskip(SKIP_1) | instid1(VALU_DEP_2)
	v_fma_f64 v[112:113], v[214:215], v[212:213], -v[112:113]
	v_mul_f64 v[214:215], v[214:215], v[114:115]
	v_add_f64 v[0:1], v[0:1], -v[112:113]
	s_delay_alu instid0(VALU_DEP_2) | instskip(SKIP_1) | instid1(VALU_DEP_2)
	v_fma_f64 v[214:215], v[216:217], v[212:213], v[214:215]
	v_dual_mov_b32 v112, v212 :: v_dual_mov_b32 v113, v213
	v_add_f64 v[2:3], v[2:3], -v[214:215]
.LBB105_226:
	s_or_b32 exec_lo, exec_lo, s3
	s_delay_alu instid0(SALU_CYCLE_1)
	s_mov_b32 s4, exec_lo
	s_waitcnt_vscnt null, 0x0
	s_barrier
	buffer_gl0_inv
	v_cmpx_eq_u32_e32 25, v205
	s_cbranch_execz .LBB105_233
; %bb.227:
	ds_store_2addr_b64 v255, v[108:109], v[110:111] offset1:1
	ds_store_2addr_b64 v250, v[104:105], v[106:107] offset0:52 offset1:53
	ds_store_2addr_b64 v250, v[100:101], v[102:103] offset0:54 offset1:55
	;; [unrolled: 1-line block ×27, first 2 shown]
	ds_load_2addr_b64 v[212:215], v255 offset1:1
	s_waitcnt lgkmcnt(0)
	v_cmp_neq_f64_e32 vcc_lo, 0, v[212:213]
	v_cmp_neq_f64_e64 s3, 0, v[214:215]
	s_delay_alu instid0(VALU_DEP_1) | instskip(NEXT) | instid1(SALU_CYCLE_1)
	s_or_b32 s3, vcc_lo, s3
	s_and_b32 exec_lo, exec_lo, s3
	s_cbranch_execz .LBB105_233
; %bb.228:
	v_cmp_gt_f64_e32 vcc_lo, 0, v[212:213]
	v_xor_b32_e32 v204, 0x80000000, v213
	s_mov_b32 s3, exec_lo
                                        ; implicit-def: $vgpr220_vgpr221
	s_delay_alu instid0(VALU_DEP_1) | instskip(SKIP_3) | instid1(VALU_DEP_1)
	v_cndmask_b32_e32 v217, v213, v204, vcc_lo
	v_cndmask_b32_e32 v216, v212, v212, vcc_lo
	v_cmp_gt_f64_e32 vcc_lo, 0, v[214:215]
	v_xor_b32_e32 v204, 0x80000000, v215
	v_dual_cndmask_b32 v218, v214, v214 :: v_dual_cndmask_b32 v219, v215, v204
	s_delay_alu instid0(VALU_DEP_1)
	v_cmpx_ngt_f64_e32 v[216:217], v[218:219]
	s_xor_b32 s3, exec_lo, s3
                                        ; implicit-def: $vgpr216_vgpr217_vgpr218_vgpr219
	s_cbranch_execz .LBB105_230
; %bb.229:
	v_div_scale_f64 v[216:217], null, v[214:215], v[214:215], v[212:213]
	v_div_scale_f64 v[222:223], vcc_lo, v[212:213], v[214:215], v[212:213]
	s_delay_alu instid0(VALU_DEP_2) | instskip(SKIP_2) | instid1(VALU_DEP_1)
	v_rcp_f64_e32 v[218:219], v[216:217]
	s_waitcnt_depctr 0xfff
	v_fma_f64 v[220:221], -v[216:217], v[218:219], 1.0
	v_fma_f64 v[218:219], v[218:219], v[220:221], v[218:219]
	s_delay_alu instid0(VALU_DEP_1) | instskip(NEXT) | instid1(VALU_DEP_1)
	v_fma_f64 v[220:221], -v[216:217], v[218:219], 1.0
	v_fma_f64 v[218:219], v[218:219], v[220:221], v[218:219]
	s_delay_alu instid0(VALU_DEP_1) | instskip(NEXT) | instid1(VALU_DEP_1)
	v_mul_f64 v[220:221], v[222:223], v[218:219]
	v_fma_f64 v[216:217], -v[216:217], v[220:221], v[222:223]
	s_delay_alu instid0(VALU_DEP_1) | instskip(NEXT) | instid1(VALU_DEP_1)
	v_div_fmas_f64 v[216:217], v[216:217], v[218:219], v[220:221]
	v_div_fixup_f64 v[216:217], v[216:217], v[214:215], v[212:213]
	s_delay_alu instid0(VALU_DEP_1) | instskip(NEXT) | instid1(VALU_DEP_1)
	v_fma_f64 v[212:213], v[212:213], v[216:217], v[214:215]
	v_div_scale_f64 v[214:215], null, v[212:213], v[212:213], 1.0
	s_delay_alu instid0(VALU_DEP_1) | instskip(SKIP_2) | instid1(VALU_DEP_1)
	v_rcp_f64_e32 v[218:219], v[214:215]
	s_waitcnt_depctr 0xfff
	v_fma_f64 v[220:221], -v[214:215], v[218:219], 1.0
	v_fma_f64 v[218:219], v[218:219], v[220:221], v[218:219]
	s_delay_alu instid0(VALU_DEP_1) | instskip(NEXT) | instid1(VALU_DEP_1)
	v_fma_f64 v[220:221], -v[214:215], v[218:219], 1.0
	v_fma_f64 v[218:219], v[218:219], v[220:221], v[218:219]
	v_div_scale_f64 v[220:221], vcc_lo, 1.0, v[212:213], 1.0
	s_delay_alu instid0(VALU_DEP_1) | instskip(NEXT) | instid1(VALU_DEP_1)
	v_mul_f64 v[222:223], v[220:221], v[218:219]
	v_fma_f64 v[214:215], -v[214:215], v[222:223], v[220:221]
	s_delay_alu instid0(VALU_DEP_1) | instskip(NEXT) | instid1(VALU_DEP_1)
	v_div_fmas_f64 v[214:215], v[214:215], v[218:219], v[222:223]
	v_div_fixup_f64 v[218:219], v[214:215], v[212:213], 1.0
                                        ; implicit-def: $vgpr212_vgpr213
	s_delay_alu instid0(VALU_DEP_1)
	v_mul_f64 v[220:221], v[216:217], v[218:219]
	v_xor_b32_e32 v219, 0x80000000, v219
.LBB105_230:
	s_and_not1_saveexec_b32 s3, s3
	s_cbranch_execz .LBB105_232
; %bb.231:
	v_div_scale_f64 v[216:217], null, v[212:213], v[212:213], v[214:215]
	v_div_scale_f64 v[222:223], vcc_lo, v[214:215], v[212:213], v[214:215]
	s_delay_alu instid0(VALU_DEP_2) | instskip(SKIP_2) | instid1(VALU_DEP_1)
	v_rcp_f64_e32 v[218:219], v[216:217]
	s_waitcnt_depctr 0xfff
	v_fma_f64 v[220:221], -v[216:217], v[218:219], 1.0
	v_fma_f64 v[218:219], v[218:219], v[220:221], v[218:219]
	s_delay_alu instid0(VALU_DEP_1) | instskip(NEXT) | instid1(VALU_DEP_1)
	v_fma_f64 v[220:221], -v[216:217], v[218:219], 1.0
	v_fma_f64 v[218:219], v[218:219], v[220:221], v[218:219]
	s_delay_alu instid0(VALU_DEP_1) | instskip(NEXT) | instid1(VALU_DEP_1)
	v_mul_f64 v[220:221], v[222:223], v[218:219]
	v_fma_f64 v[216:217], -v[216:217], v[220:221], v[222:223]
	s_delay_alu instid0(VALU_DEP_1) | instskip(NEXT) | instid1(VALU_DEP_1)
	v_div_fmas_f64 v[216:217], v[216:217], v[218:219], v[220:221]
	v_div_fixup_f64 v[216:217], v[216:217], v[212:213], v[214:215]
	s_delay_alu instid0(VALU_DEP_1) | instskip(NEXT) | instid1(VALU_DEP_1)
	v_fma_f64 v[212:213], v[214:215], v[216:217], v[212:213]
	v_div_scale_f64 v[214:215], null, v[212:213], v[212:213], 1.0
	s_delay_alu instid0(VALU_DEP_1) | instskip(SKIP_2) | instid1(VALU_DEP_1)
	v_rcp_f64_e32 v[218:219], v[214:215]
	s_waitcnt_depctr 0xfff
	v_fma_f64 v[220:221], -v[214:215], v[218:219], 1.0
	v_fma_f64 v[218:219], v[218:219], v[220:221], v[218:219]
	s_delay_alu instid0(VALU_DEP_1) | instskip(NEXT) | instid1(VALU_DEP_1)
	v_fma_f64 v[220:221], -v[214:215], v[218:219], 1.0
	v_fma_f64 v[218:219], v[218:219], v[220:221], v[218:219]
	v_div_scale_f64 v[220:221], vcc_lo, 1.0, v[212:213], 1.0
	s_delay_alu instid0(VALU_DEP_1) | instskip(NEXT) | instid1(VALU_DEP_1)
	v_mul_f64 v[222:223], v[220:221], v[218:219]
	v_fma_f64 v[214:215], -v[214:215], v[222:223], v[220:221]
	s_delay_alu instid0(VALU_DEP_1) | instskip(NEXT) | instid1(VALU_DEP_1)
	v_div_fmas_f64 v[214:215], v[214:215], v[218:219], v[222:223]
	v_div_fixup_f64 v[220:221], v[214:215], v[212:213], 1.0
	s_delay_alu instid0(VALU_DEP_1)
	v_mul_f64 v[218:219], v[216:217], -v[220:221]
.LBB105_232:
	s_or_b32 exec_lo, exec_lo, s3
	ds_store_2addr_b64 v255, v[220:221], v[218:219] offset1:1
.LBB105_233:
	s_or_b32 exec_lo, exec_lo, s4
	s_waitcnt lgkmcnt(0)
	s_barrier
	buffer_gl0_inv
	ds_load_2addr_b64 v[212:215], v255 offset1:1
	s_mov_b32 s3, exec_lo
	s_waitcnt lgkmcnt(0)
	scratch_store_b128 off, v[212:215], off offset:840 ; 16-byte Folded Spill
	v_cmpx_lt_u32_e32 25, v205
	s_cbranch_execz .LBB105_235
; %bb.234:
	scratch_load_b128 v[214:217], off, off offset:840 ; 16-byte Folded Reload
	s_waitcnt vmcnt(0)
	v_mul_f64 v[212:213], v[216:217], v[110:111]
	v_mul_f64 v[110:111], v[214:215], v[110:111]
	s_delay_alu instid0(VALU_DEP_2) | instskip(NEXT) | instid1(VALU_DEP_2)
	v_fma_f64 v[212:213], v[214:215], v[108:109], -v[212:213]
	v_fma_f64 v[110:111], v[216:217], v[108:109], v[110:111]
	ds_load_2addr_b64 v[214:217], v250 offset0:52 offset1:53
	s_waitcnt lgkmcnt(0)
	v_mul_f64 v[108:109], v[216:217], v[110:111]
	s_delay_alu instid0(VALU_DEP_1) | instskip(SKIP_1) | instid1(VALU_DEP_2)
	v_fma_f64 v[108:109], v[214:215], v[212:213], -v[108:109]
	v_mul_f64 v[214:215], v[214:215], v[110:111]
	v_add_f64 v[104:105], v[104:105], -v[108:109]
	s_delay_alu instid0(VALU_DEP_2) | instskip(NEXT) | instid1(VALU_DEP_1)
	v_fma_f64 v[214:215], v[216:217], v[212:213], v[214:215]
	v_add_f64 v[106:107], v[106:107], -v[214:215]
	ds_load_2addr_b64 v[214:217], v250 offset0:54 offset1:55
	s_waitcnt lgkmcnt(0)
	v_mul_f64 v[108:109], v[216:217], v[110:111]
	s_delay_alu instid0(VALU_DEP_1) | instskip(SKIP_1) | instid1(VALU_DEP_2)
	v_fma_f64 v[108:109], v[214:215], v[212:213], -v[108:109]
	v_mul_f64 v[214:215], v[214:215], v[110:111]
	v_add_f64 v[100:101], v[100:101], -v[108:109]
	s_delay_alu instid0(VALU_DEP_2) | instskip(NEXT) | instid1(VALU_DEP_1)
	v_fma_f64 v[214:215], v[216:217], v[212:213], v[214:215]
	v_add_f64 v[102:103], v[102:103], -v[214:215]
	ds_load_2addr_b64 v[214:217], v250 offset0:56 offset1:57
	s_waitcnt lgkmcnt(0)
	v_mul_f64 v[108:109], v[216:217], v[110:111]
	s_delay_alu instid0(VALU_DEP_1) | instskip(SKIP_1) | instid1(VALU_DEP_2)
	v_fma_f64 v[108:109], v[214:215], v[212:213], -v[108:109]
	v_mul_f64 v[214:215], v[214:215], v[110:111]
	v_add_f64 v[96:97], v[96:97], -v[108:109]
	s_delay_alu instid0(VALU_DEP_2) | instskip(NEXT) | instid1(VALU_DEP_1)
	v_fma_f64 v[214:215], v[216:217], v[212:213], v[214:215]
	v_add_f64 v[98:99], v[98:99], -v[214:215]
	ds_load_2addr_b64 v[214:217], v250 offset0:58 offset1:59
	s_waitcnt lgkmcnt(0)
	v_mul_f64 v[108:109], v[216:217], v[110:111]
	s_delay_alu instid0(VALU_DEP_1) | instskip(SKIP_1) | instid1(VALU_DEP_2)
	v_fma_f64 v[108:109], v[214:215], v[212:213], -v[108:109]
	v_mul_f64 v[214:215], v[214:215], v[110:111]
	v_add_f64 v[92:93], v[92:93], -v[108:109]
	s_delay_alu instid0(VALU_DEP_2) | instskip(NEXT) | instid1(VALU_DEP_1)
	v_fma_f64 v[214:215], v[216:217], v[212:213], v[214:215]
	v_add_f64 v[94:95], v[94:95], -v[214:215]
	ds_load_2addr_b64 v[214:217], v250 offset0:60 offset1:61
	s_waitcnt lgkmcnt(0)
	v_mul_f64 v[108:109], v[216:217], v[110:111]
	s_delay_alu instid0(VALU_DEP_1) | instskip(SKIP_1) | instid1(VALU_DEP_2)
	v_fma_f64 v[108:109], v[214:215], v[212:213], -v[108:109]
	v_mul_f64 v[214:215], v[214:215], v[110:111]
	v_add_f64 v[88:89], v[88:89], -v[108:109]
	s_delay_alu instid0(VALU_DEP_2) | instskip(NEXT) | instid1(VALU_DEP_1)
	v_fma_f64 v[214:215], v[216:217], v[212:213], v[214:215]
	v_add_f64 v[90:91], v[90:91], -v[214:215]
	ds_load_2addr_b64 v[214:217], v250 offset0:62 offset1:63
	s_waitcnt lgkmcnt(0)
	v_mul_f64 v[108:109], v[216:217], v[110:111]
	s_delay_alu instid0(VALU_DEP_1) | instskip(SKIP_1) | instid1(VALU_DEP_2)
	v_fma_f64 v[108:109], v[214:215], v[212:213], -v[108:109]
	v_mul_f64 v[214:215], v[214:215], v[110:111]
	v_add_f64 v[84:85], v[84:85], -v[108:109]
	s_delay_alu instid0(VALU_DEP_2) | instskip(NEXT) | instid1(VALU_DEP_1)
	v_fma_f64 v[214:215], v[216:217], v[212:213], v[214:215]
	v_add_f64 v[86:87], v[86:87], -v[214:215]
	ds_load_2addr_b64 v[214:217], v250 offset0:64 offset1:65
	s_waitcnt lgkmcnt(0)
	v_mul_f64 v[108:109], v[216:217], v[110:111]
	s_delay_alu instid0(VALU_DEP_1) | instskip(SKIP_1) | instid1(VALU_DEP_2)
	v_fma_f64 v[108:109], v[214:215], v[212:213], -v[108:109]
	v_mul_f64 v[214:215], v[214:215], v[110:111]
	v_add_f64 v[80:81], v[80:81], -v[108:109]
	s_delay_alu instid0(VALU_DEP_2) | instskip(NEXT) | instid1(VALU_DEP_1)
	v_fma_f64 v[214:215], v[216:217], v[212:213], v[214:215]
	v_add_f64 v[82:83], v[82:83], -v[214:215]
	ds_load_2addr_b64 v[214:217], v250 offset0:66 offset1:67
	s_waitcnt lgkmcnt(0)
	v_mul_f64 v[108:109], v[216:217], v[110:111]
	s_delay_alu instid0(VALU_DEP_1) | instskip(SKIP_1) | instid1(VALU_DEP_2)
	v_fma_f64 v[108:109], v[214:215], v[212:213], -v[108:109]
	v_mul_f64 v[214:215], v[214:215], v[110:111]
	v_add_f64 v[76:77], v[76:77], -v[108:109]
	s_delay_alu instid0(VALU_DEP_2) | instskip(NEXT) | instid1(VALU_DEP_1)
	v_fma_f64 v[214:215], v[216:217], v[212:213], v[214:215]
	v_add_f64 v[78:79], v[78:79], -v[214:215]
	ds_load_2addr_b64 v[214:217], v250 offset0:68 offset1:69
	s_waitcnt lgkmcnt(0)
	v_mul_f64 v[108:109], v[216:217], v[110:111]
	s_delay_alu instid0(VALU_DEP_1) | instskip(SKIP_1) | instid1(VALU_DEP_2)
	v_fma_f64 v[108:109], v[214:215], v[212:213], -v[108:109]
	v_mul_f64 v[214:215], v[214:215], v[110:111]
	v_add_f64 v[72:73], v[72:73], -v[108:109]
	s_delay_alu instid0(VALU_DEP_2) | instskip(NEXT) | instid1(VALU_DEP_1)
	v_fma_f64 v[214:215], v[216:217], v[212:213], v[214:215]
	v_add_f64 v[74:75], v[74:75], -v[214:215]
	ds_load_2addr_b64 v[214:217], v250 offset0:70 offset1:71
	s_waitcnt lgkmcnt(0)
	v_mul_f64 v[108:109], v[216:217], v[110:111]
	s_delay_alu instid0(VALU_DEP_1) | instskip(SKIP_1) | instid1(VALU_DEP_2)
	v_fma_f64 v[108:109], v[214:215], v[212:213], -v[108:109]
	v_mul_f64 v[214:215], v[214:215], v[110:111]
	v_add_f64 v[68:69], v[68:69], -v[108:109]
	s_delay_alu instid0(VALU_DEP_2) | instskip(NEXT) | instid1(VALU_DEP_1)
	v_fma_f64 v[214:215], v[216:217], v[212:213], v[214:215]
	v_add_f64 v[70:71], v[70:71], -v[214:215]
	ds_load_2addr_b64 v[214:217], v250 offset0:72 offset1:73
	s_waitcnt lgkmcnt(0)
	v_mul_f64 v[108:109], v[216:217], v[110:111]
	s_delay_alu instid0(VALU_DEP_1) | instskip(SKIP_1) | instid1(VALU_DEP_2)
	v_fma_f64 v[108:109], v[214:215], v[212:213], -v[108:109]
	v_mul_f64 v[214:215], v[214:215], v[110:111]
	v_add_f64 v[64:65], v[64:65], -v[108:109]
	s_delay_alu instid0(VALU_DEP_2) | instskip(NEXT) | instid1(VALU_DEP_1)
	v_fma_f64 v[214:215], v[216:217], v[212:213], v[214:215]
	v_add_f64 v[66:67], v[66:67], -v[214:215]
	ds_load_2addr_b64 v[214:217], v250 offset0:74 offset1:75
	s_waitcnt lgkmcnt(0)
	v_mul_f64 v[108:109], v[216:217], v[110:111]
	s_delay_alu instid0(VALU_DEP_1) | instskip(SKIP_1) | instid1(VALU_DEP_2)
	v_fma_f64 v[108:109], v[214:215], v[212:213], -v[108:109]
	v_mul_f64 v[214:215], v[214:215], v[110:111]
	v_add_f64 v[60:61], v[60:61], -v[108:109]
	s_delay_alu instid0(VALU_DEP_2) | instskip(NEXT) | instid1(VALU_DEP_1)
	v_fma_f64 v[214:215], v[216:217], v[212:213], v[214:215]
	v_add_f64 v[62:63], v[62:63], -v[214:215]
	ds_load_2addr_b64 v[214:217], v250 offset0:76 offset1:77
	s_waitcnt lgkmcnt(0)
	v_mul_f64 v[108:109], v[216:217], v[110:111]
	s_delay_alu instid0(VALU_DEP_1) | instskip(SKIP_1) | instid1(VALU_DEP_2)
	v_fma_f64 v[108:109], v[214:215], v[212:213], -v[108:109]
	v_mul_f64 v[214:215], v[214:215], v[110:111]
	v_add_f64 v[56:57], v[56:57], -v[108:109]
	s_delay_alu instid0(VALU_DEP_2) | instskip(NEXT) | instid1(VALU_DEP_1)
	v_fma_f64 v[214:215], v[216:217], v[212:213], v[214:215]
	v_add_f64 v[58:59], v[58:59], -v[214:215]
	ds_load_2addr_b64 v[214:217], v250 offset0:78 offset1:79
	s_waitcnt lgkmcnt(0)
	v_mul_f64 v[108:109], v[216:217], v[110:111]
	s_delay_alu instid0(VALU_DEP_1) | instskip(SKIP_1) | instid1(VALU_DEP_2)
	v_fma_f64 v[108:109], v[214:215], v[212:213], -v[108:109]
	v_mul_f64 v[214:215], v[214:215], v[110:111]
	v_add_f64 v[52:53], v[52:53], -v[108:109]
	s_delay_alu instid0(VALU_DEP_2) | instskip(NEXT) | instid1(VALU_DEP_1)
	v_fma_f64 v[214:215], v[216:217], v[212:213], v[214:215]
	v_add_f64 v[54:55], v[54:55], -v[214:215]
	ds_load_2addr_b64 v[214:217], v250 offset0:80 offset1:81
	s_waitcnt lgkmcnt(0)
	v_mul_f64 v[108:109], v[216:217], v[110:111]
	s_delay_alu instid0(VALU_DEP_1) | instskip(SKIP_1) | instid1(VALU_DEP_2)
	v_fma_f64 v[108:109], v[214:215], v[212:213], -v[108:109]
	v_mul_f64 v[214:215], v[214:215], v[110:111]
	v_add_f64 v[48:49], v[48:49], -v[108:109]
	s_delay_alu instid0(VALU_DEP_2) | instskip(NEXT) | instid1(VALU_DEP_1)
	v_fma_f64 v[214:215], v[216:217], v[212:213], v[214:215]
	v_add_f64 v[50:51], v[50:51], -v[214:215]
	ds_load_2addr_b64 v[214:217], v250 offset0:82 offset1:83
	s_waitcnt lgkmcnt(0)
	v_mul_f64 v[108:109], v[216:217], v[110:111]
	s_delay_alu instid0(VALU_DEP_1) | instskip(SKIP_1) | instid1(VALU_DEP_2)
	v_fma_f64 v[108:109], v[214:215], v[212:213], -v[108:109]
	v_mul_f64 v[214:215], v[214:215], v[110:111]
	v_add_f64 v[44:45], v[44:45], -v[108:109]
	s_delay_alu instid0(VALU_DEP_2) | instskip(NEXT) | instid1(VALU_DEP_1)
	v_fma_f64 v[214:215], v[216:217], v[212:213], v[214:215]
	v_add_f64 v[46:47], v[46:47], -v[214:215]
	ds_load_2addr_b64 v[214:217], v250 offset0:84 offset1:85
	s_waitcnt lgkmcnt(0)
	v_mul_f64 v[108:109], v[216:217], v[110:111]
	s_delay_alu instid0(VALU_DEP_1) | instskip(SKIP_1) | instid1(VALU_DEP_2)
	v_fma_f64 v[108:109], v[214:215], v[212:213], -v[108:109]
	v_mul_f64 v[214:215], v[214:215], v[110:111]
	v_add_f64 v[40:41], v[40:41], -v[108:109]
	s_delay_alu instid0(VALU_DEP_2) | instskip(NEXT) | instid1(VALU_DEP_1)
	v_fma_f64 v[214:215], v[216:217], v[212:213], v[214:215]
	v_add_f64 v[42:43], v[42:43], -v[214:215]
	ds_load_2addr_b64 v[214:217], v250 offset0:86 offset1:87
	s_waitcnt lgkmcnt(0)
	v_mul_f64 v[108:109], v[216:217], v[110:111]
	s_delay_alu instid0(VALU_DEP_1) | instskip(SKIP_1) | instid1(VALU_DEP_2)
	v_fma_f64 v[108:109], v[214:215], v[212:213], -v[108:109]
	v_mul_f64 v[214:215], v[214:215], v[110:111]
	v_add_f64 v[36:37], v[36:37], -v[108:109]
	s_delay_alu instid0(VALU_DEP_2) | instskip(NEXT) | instid1(VALU_DEP_1)
	v_fma_f64 v[214:215], v[216:217], v[212:213], v[214:215]
	v_add_f64 v[38:39], v[38:39], -v[214:215]
	ds_load_2addr_b64 v[214:217], v250 offset0:88 offset1:89
	s_waitcnt lgkmcnt(0)
	v_mul_f64 v[108:109], v[216:217], v[110:111]
	s_delay_alu instid0(VALU_DEP_1) | instskip(SKIP_1) | instid1(VALU_DEP_2)
	v_fma_f64 v[108:109], v[214:215], v[212:213], -v[108:109]
	v_mul_f64 v[214:215], v[214:215], v[110:111]
	v_add_f64 v[32:33], v[32:33], -v[108:109]
	s_delay_alu instid0(VALU_DEP_2) | instskip(NEXT) | instid1(VALU_DEP_1)
	v_fma_f64 v[214:215], v[216:217], v[212:213], v[214:215]
	v_add_f64 v[34:35], v[34:35], -v[214:215]
	ds_load_2addr_b64 v[214:217], v250 offset0:90 offset1:91
	s_waitcnt lgkmcnt(0)
	v_mul_f64 v[108:109], v[216:217], v[110:111]
	s_delay_alu instid0(VALU_DEP_1) | instskip(SKIP_1) | instid1(VALU_DEP_2)
	v_fma_f64 v[108:109], v[214:215], v[212:213], -v[108:109]
	v_mul_f64 v[214:215], v[214:215], v[110:111]
	v_add_f64 v[28:29], v[28:29], -v[108:109]
	s_delay_alu instid0(VALU_DEP_2) | instskip(NEXT) | instid1(VALU_DEP_1)
	v_fma_f64 v[214:215], v[216:217], v[212:213], v[214:215]
	v_add_f64 v[30:31], v[30:31], -v[214:215]
	ds_load_2addr_b64 v[214:217], v250 offset0:92 offset1:93
	s_waitcnt lgkmcnt(0)
	v_mul_f64 v[108:109], v[216:217], v[110:111]
	s_delay_alu instid0(VALU_DEP_1) | instskip(SKIP_1) | instid1(VALU_DEP_2)
	v_fma_f64 v[108:109], v[214:215], v[212:213], -v[108:109]
	v_mul_f64 v[214:215], v[214:215], v[110:111]
	v_add_f64 v[24:25], v[24:25], -v[108:109]
	s_delay_alu instid0(VALU_DEP_2) | instskip(NEXT) | instid1(VALU_DEP_1)
	v_fma_f64 v[214:215], v[216:217], v[212:213], v[214:215]
	v_add_f64 v[26:27], v[26:27], -v[214:215]
	ds_load_2addr_b64 v[214:217], v250 offset0:94 offset1:95
	s_waitcnt lgkmcnt(0)
	v_mul_f64 v[108:109], v[216:217], v[110:111]
	s_delay_alu instid0(VALU_DEP_1) | instskip(SKIP_1) | instid1(VALU_DEP_2)
	v_fma_f64 v[108:109], v[214:215], v[212:213], -v[108:109]
	v_mul_f64 v[214:215], v[214:215], v[110:111]
	v_add_f64 v[20:21], v[20:21], -v[108:109]
	s_delay_alu instid0(VALU_DEP_2) | instskip(NEXT) | instid1(VALU_DEP_1)
	v_fma_f64 v[214:215], v[216:217], v[212:213], v[214:215]
	v_add_f64 v[22:23], v[22:23], -v[214:215]
	ds_load_2addr_b64 v[214:217], v250 offset0:96 offset1:97
	s_waitcnt lgkmcnt(0)
	v_mul_f64 v[108:109], v[216:217], v[110:111]
	s_delay_alu instid0(VALU_DEP_1) | instskip(SKIP_1) | instid1(VALU_DEP_2)
	v_fma_f64 v[108:109], v[214:215], v[212:213], -v[108:109]
	v_mul_f64 v[214:215], v[214:215], v[110:111]
	v_add_f64 v[16:17], v[16:17], -v[108:109]
	s_delay_alu instid0(VALU_DEP_2) | instskip(NEXT) | instid1(VALU_DEP_1)
	v_fma_f64 v[214:215], v[216:217], v[212:213], v[214:215]
	v_add_f64 v[18:19], v[18:19], -v[214:215]
	ds_load_2addr_b64 v[214:217], v250 offset0:98 offset1:99
	s_waitcnt lgkmcnt(0)
	v_mul_f64 v[108:109], v[216:217], v[110:111]
	s_delay_alu instid0(VALU_DEP_1) | instskip(SKIP_1) | instid1(VALU_DEP_2)
	v_fma_f64 v[108:109], v[214:215], v[212:213], -v[108:109]
	v_mul_f64 v[214:215], v[214:215], v[110:111]
	v_add_f64 v[12:13], v[12:13], -v[108:109]
	s_delay_alu instid0(VALU_DEP_2) | instskip(NEXT) | instid1(VALU_DEP_1)
	v_fma_f64 v[214:215], v[216:217], v[212:213], v[214:215]
	v_add_f64 v[14:15], v[14:15], -v[214:215]
	ds_load_2addr_b64 v[214:217], v250 offset0:100 offset1:101
	s_waitcnt lgkmcnt(0)
	v_mul_f64 v[108:109], v[216:217], v[110:111]
	s_delay_alu instid0(VALU_DEP_1) | instskip(SKIP_1) | instid1(VALU_DEP_2)
	v_fma_f64 v[108:109], v[214:215], v[212:213], -v[108:109]
	v_mul_f64 v[214:215], v[214:215], v[110:111]
	v_add_f64 v[8:9], v[8:9], -v[108:109]
	s_delay_alu instid0(VALU_DEP_2) | instskip(NEXT) | instid1(VALU_DEP_1)
	v_fma_f64 v[214:215], v[216:217], v[212:213], v[214:215]
	v_add_f64 v[10:11], v[10:11], -v[214:215]
	ds_load_2addr_b64 v[214:217], v250 offset0:102 offset1:103
	s_waitcnt lgkmcnt(0)
	v_mul_f64 v[108:109], v[216:217], v[110:111]
	s_delay_alu instid0(VALU_DEP_1) | instskip(SKIP_1) | instid1(VALU_DEP_2)
	v_fma_f64 v[108:109], v[214:215], v[212:213], -v[108:109]
	v_mul_f64 v[214:215], v[214:215], v[110:111]
	v_add_f64 v[4:5], v[4:5], -v[108:109]
	s_delay_alu instid0(VALU_DEP_2) | instskip(NEXT) | instid1(VALU_DEP_1)
	v_fma_f64 v[214:215], v[216:217], v[212:213], v[214:215]
	v_add_f64 v[6:7], v[6:7], -v[214:215]
	ds_load_2addr_b64 v[214:217], v250 offset0:104 offset1:105
	s_waitcnt lgkmcnt(0)
	v_mul_f64 v[108:109], v[216:217], v[110:111]
	s_delay_alu instid0(VALU_DEP_1) | instskip(SKIP_1) | instid1(VALU_DEP_2)
	v_fma_f64 v[108:109], v[214:215], v[212:213], -v[108:109]
	v_mul_f64 v[214:215], v[214:215], v[110:111]
	v_add_f64 v[0:1], v[0:1], -v[108:109]
	s_delay_alu instid0(VALU_DEP_2) | instskip(SKIP_1) | instid1(VALU_DEP_2)
	v_fma_f64 v[214:215], v[216:217], v[212:213], v[214:215]
	v_dual_mov_b32 v108, v212 :: v_dual_mov_b32 v109, v213
	v_add_f64 v[2:3], v[2:3], -v[214:215]
.LBB105_235:
	s_or_b32 exec_lo, exec_lo, s3
	s_delay_alu instid0(SALU_CYCLE_1)
	s_mov_b32 s4, exec_lo
	s_waitcnt_vscnt null, 0x0
	s_barrier
	buffer_gl0_inv
	v_cmpx_eq_u32_e32 26, v205
	s_cbranch_execz .LBB105_242
; %bb.236:
	ds_store_2addr_b64 v255, v[104:105], v[106:107] offset1:1
	ds_store_2addr_b64 v250, v[100:101], v[102:103] offset0:54 offset1:55
	ds_store_2addr_b64 v250, v[96:97], v[98:99] offset0:56 offset1:57
	;; [unrolled: 1-line block ×26, first 2 shown]
	ds_load_2addr_b64 v[212:215], v255 offset1:1
	s_waitcnt lgkmcnt(0)
	v_cmp_neq_f64_e32 vcc_lo, 0, v[212:213]
	v_cmp_neq_f64_e64 s3, 0, v[214:215]
	s_delay_alu instid0(VALU_DEP_1) | instskip(NEXT) | instid1(SALU_CYCLE_1)
	s_or_b32 s3, vcc_lo, s3
	s_and_b32 exec_lo, exec_lo, s3
	s_cbranch_execz .LBB105_242
; %bb.237:
	v_cmp_gt_f64_e32 vcc_lo, 0, v[212:213]
	v_xor_b32_e32 v204, 0x80000000, v213
	s_mov_b32 s3, exec_lo
                                        ; implicit-def: $vgpr220_vgpr221
	s_delay_alu instid0(VALU_DEP_1) | instskip(SKIP_3) | instid1(VALU_DEP_1)
	v_cndmask_b32_e32 v217, v213, v204, vcc_lo
	v_cndmask_b32_e32 v216, v212, v212, vcc_lo
	v_cmp_gt_f64_e32 vcc_lo, 0, v[214:215]
	v_xor_b32_e32 v204, 0x80000000, v215
	v_dual_cndmask_b32 v218, v214, v214 :: v_dual_cndmask_b32 v219, v215, v204
	s_delay_alu instid0(VALU_DEP_1)
	v_cmpx_ngt_f64_e32 v[216:217], v[218:219]
	s_xor_b32 s3, exec_lo, s3
                                        ; implicit-def: $vgpr216_vgpr217_vgpr218_vgpr219
	s_cbranch_execz .LBB105_239
; %bb.238:
	v_div_scale_f64 v[216:217], null, v[214:215], v[214:215], v[212:213]
	v_div_scale_f64 v[222:223], vcc_lo, v[212:213], v[214:215], v[212:213]
	s_delay_alu instid0(VALU_DEP_2) | instskip(SKIP_2) | instid1(VALU_DEP_1)
	v_rcp_f64_e32 v[218:219], v[216:217]
	s_waitcnt_depctr 0xfff
	v_fma_f64 v[220:221], -v[216:217], v[218:219], 1.0
	v_fma_f64 v[218:219], v[218:219], v[220:221], v[218:219]
	s_delay_alu instid0(VALU_DEP_1) | instskip(NEXT) | instid1(VALU_DEP_1)
	v_fma_f64 v[220:221], -v[216:217], v[218:219], 1.0
	v_fma_f64 v[218:219], v[218:219], v[220:221], v[218:219]
	s_delay_alu instid0(VALU_DEP_1) | instskip(NEXT) | instid1(VALU_DEP_1)
	v_mul_f64 v[220:221], v[222:223], v[218:219]
	v_fma_f64 v[216:217], -v[216:217], v[220:221], v[222:223]
	s_delay_alu instid0(VALU_DEP_1) | instskip(NEXT) | instid1(VALU_DEP_1)
	v_div_fmas_f64 v[216:217], v[216:217], v[218:219], v[220:221]
	v_div_fixup_f64 v[216:217], v[216:217], v[214:215], v[212:213]
	s_delay_alu instid0(VALU_DEP_1) | instskip(NEXT) | instid1(VALU_DEP_1)
	v_fma_f64 v[212:213], v[212:213], v[216:217], v[214:215]
	v_div_scale_f64 v[214:215], null, v[212:213], v[212:213], 1.0
	s_delay_alu instid0(VALU_DEP_1) | instskip(SKIP_2) | instid1(VALU_DEP_1)
	v_rcp_f64_e32 v[218:219], v[214:215]
	s_waitcnt_depctr 0xfff
	v_fma_f64 v[220:221], -v[214:215], v[218:219], 1.0
	v_fma_f64 v[218:219], v[218:219], v[220:221], v[218:219]
	s_delay_alu instid0(VALU_DEP_1) | instskip(NEXT) | instid1(VALU_DEP_1)
	v_fma_f64 v[220:221], -v[214:215], v[218:219], 1.0
	v_fma_f64 v[218:219], v[218:219], v[220:221], v[218:219]
	v_div_scale_f64 v[220:221], vcc_lo, 1.0, v[212:213], 1.0
	s_delay_alu instid0(VALU_DEP_1) | instskip(NEXT) | instid1(VALU_DEP_1)
	v_mul_f64 v[222:223], v[220:221], v[218:219]
	v_fma_f64 v[214:215], -v[214:215], v[222:223], v[220:221]
	s_delay_alu instid0(VALU_DEP_1) | instskip(NEXT) | instid1(VALU_DEP_1)
	v_div_fmas_f64 v[214:215], v[214:215], v[218:219], v[222:223]
	v_div_fixup_f64 v[218:219], v[214:215], v[212:213], 1.0
                                        ; implicit-def: $vgpr212_vgpr213
	s_delay_alu instid0(VALU_DEP_1)
	v_mul_f64 v[220:221], v[216:217], v[218:219]
	v_xor_b32_e32 v219, 0x80000000, v219
.LBB105_239:
	s_and_not1_saveexec_b32 s3, s3
	s_cbranch_execz .LBB105_241
; %bb.240:
	v_div_scale_f64 v[216:217], null, v[212:213], v[212:213], v[214:215]
	v_div_scale_f64 v[222:223], vcc_lo, v[214:215], v[212:213], v[214:215]
	s_delay_alu instid0(VALU_DEP_2) | instskip(SKIP_2) | instid1(VALU_DEP_1)
	v_rcp_f64_e32 v[218:219], v[216:217]
	s_waitcnt_depctr 0xfff
	v_fma_f64 v[220:221], -v[216:217], v[218:219], 1.0
	v_fma_f64 v[218:219], v[218:219], v[220:221], v[218:219]
	s_delay_alu instid0(VALU_DEP_1) | instskip(NEXT) | instid1(VALU_DEP_1)
	v_fma_f64 v[220:221], -v[216:217], v[218:219], 1.0
	v_fma_f64 v[218:219], v[218:219], v[220:221], v[218:219]
	s_delay_alu instid0(VALU_DEP_1) | instskip(NEXT) | instid1(VALU_DEP_1)
	v_mul_f64 v[220:221], v[222:223], v[218:219]
	v_fma_f64 v[216:217], -v[216:217], v[220:221], v[222:223]
	s_delay_alu instid0(VALU_DEP_1) | instskip(NEXT) | instid1(VALU_DEP_1)
	v_div_fmas_f64 v[216:217], v[216:217], v[218:219], v[220:221]
	v_div_fixup_f64 v[216:217], v[216:217], v[212:213], v[214:215]
	s_delay_alu instid0(VALU_DEP_1) | instskip(NEXT) | instid1(VALU_DEP_1)
	v_fma_f64 v[212:213], v[214:215], v[216:217], v[212:213]
	v_div_scale_f64 v[214:215], null, v[212:213], v[212:213], 1.0
	s_delay_alu instid0(VALU_DEP_1) | instskip(SKIP_2) | instid1(VALU_DEP_1)
	v_rcp_f64_e32 v[218:219], v[214:215]
	s_waitcnt_depctr 0xfff
	v_fma_f64 v[220:221], -v[214:215], v[218:219], 1.0
	v_fma_f64 v[218:219], v[218:219], v[220:221], v[218:219]
	s_delay_alu instid0(VALU_DEP_1) | instskip(NEXT) | instid1(VALU_DEP_1)
	v_fma_f64 v[220:221], -v[214:215], v[218:219], 1.0
	v_fma_f64 v[218:219], v[218:219], v[220:221], v[218:219]
	v_div_scale_f64 v[220:221], vcc_lo, 1.0, v[212:213], 1.0
	s_delay_alu instid0(VALU_DEP_1) | instskip(NEXT) | instid1(VALU_DEP_1)
	v_mul_f64 v[222:223], v[220:221], v[218:219]
	v_fma_f64 v[214:215], -v[214:215], v[222:223], v[220:221]
	s_delay_alu instid0(VALU_DEP_1) | instskip(NEXT) | instid1(VALU_DEP_1)
	v_div_fmas_f64 v[214:215], v[214:215], v[218:219], v[222:223]
	v_div_fixup_f64 v[220:221], v[214:215], v[212:213], 1.0
	s_delay_alu instid0(VALU_DEP_1)
	v_mul_f64 v[218:219], v[216:217], -v[220:221]
.LBB105_241:
	s_or_b32 exec_lo, exec_lo, s3
	ds_store_2addr_b64 v255, v[220:221], v[218:219] offset1:1
.LBB105_242:
	s_or_b32 exec_lo, exec_lo, s4
	s_waitcnt lgkmcnt(0)
	s_barrier
	buffer_gl0_inv
	ds_load_2addr_b64 v[212:215], v255 offset1:1
	s_mov_b32 s3, exec_lo
	s_waitcnt lgkmcnt(0)
	scratch_store_b128 off, v[212:215], off offset:856 ; 16-byte Folded Spill
	v_cmpx_lt_u32_e32 26, v205
	s_cbranch_execz .LBB105_244
; %bb.243:
	scratch_load_b128 v[214:217], off, off offset:856 ; 16-byte Folded Reload
	s_waitcnt vmcnt(0)
	v_mul_f64 v[212:213], v[216:217], v[106:107]
	v_mul_f64 v[106:107], v[214:215], v[106:107]
	s_delay_alu instid0(VALU_DEP_2) | instskip(NEXT) | instid1(VALU_DEP_2)
	v_fma_f64 v[212:213], v[214:215], v[104:105], -v[212:213]
	v_fma_f64 v[106:107], v[216:217], v[104:105], v[106:107]
	ds_load_2addr_b64 v[214:217], v250 offset0:54 offset1:55
	s_waitcnt lgkmcnt(0)
	v_mul_f64 v[104:105], v[216:217], v[106:107]
	s_delay_alu instid0(VALU_DEP_1) | instskip(SKIP_1) | instid1(VALU_DEP_2)
	v_fma_f64 v[104:105], v[214:215], v[212:213], -v[104:105]
	v_mul_f64 v[214:215], v[214:215], v[106:107]
	v_add_f64 v[100:101], v[100:101], -v[104:105]
	s_delay_alu instid0(VALU_DEP_2) | instskip(NEXT) | instid1(VALU_DEP_1)
	v_fma_f64 v[214:215], v[216:217], v[212:213], v[214:215]
	v_add_f64 v[102:103], v[102:103], -v[214:215]
	ds_load_2addr_b64 v[214:217], v250 offset0:56 offset1:57
	s_waitcnt lgkmcnt(0)
	v_mul_f64 v[104:105], v[216:217], v[106:107]
	s_delay_alu instid0(VALU_DEP_1) | instskip(SKIP_1) | instid1(VALU_DEP_2)
	v_fma_f64 v[104:105], v[214:215], v[212:213], -v[104:105]
	v_mul_f64 v[214:215], v[214:215], v[106:107]
	v_add_f64 v[96:97], v[96:97], -v[104:105]
	s_delay_alu instid0(VALU_DEP_2) | instskip(NEXT) | instid1(VALU_DEP_1)
	v_fma_f64 v[214:215], v[216:217], v[212:213], v[214:215]
	v_add_f64 v[98:99], v[98:99], -v[214:215]
	;; [unrolled: 10-line block ×25, first 2 shown]
	ds_load_2addr_b64 v[214:217], v250 offset0:104 offset1:105
	s_waitcnt lgkmcnt(0)
	v_mul_f64 v[104:105], v[216:217], v[106:107]
	s_delay_alu instid0(VALU_DEP_1) | instskip(SKIP_1) | instid1(VALU_DEP_2)
	v_fma_f64 v[104:105], v[214:215], v[212:213], -v[104:105]
	v_mul_f64 v[214:215], v[214:215], v[106:107]
	v_add_f64 v[0:1], v[0:1], -v[104:105]
	s_delay_alu instid0(VALU_DEP_2) | instskip(SKIP_1) | instid1(VALU_DEP_2)
	v_fma_f64 v[214:215], v[216:217], v[212:213], v[214:215]
	v_dual_mov_b32 v104, v212 :: v_dual_mov_b32 v105, v213
	v_add_f64 v[2:3], v[2:3], -v[214:215]
.LBB105_244:
	s_or_b32 exec_lo, exec_lo, s3
	s_delay_alu instid0(SALU_CYCLE_1)
	s_mov_b32 s4, exec_lo
	s_waitcnt_vscnt null, 0x0
	s_barrier
	buffer_gl0_inv
	v_cmpx_eq_u32_e32 27, v205
	s_cbranch_execz .LBB105_251
; %bb.245:
	ds_store_2addr_b64 v255, v[100:101], v[102:103] offset1:1
	ds_store_2addr_b64 v250, v[96:97], v[98:99] offset0:56 offset1:57
	ds_store_2addr_b64 v250, v[92:93], v[94:95] offset0:58 offset1:59
	;; [unrolled: 1-line block ×25, first 2 shown]
	ds_load_2addr_b64 v[212:215], v255 offset1:1
	s_waitcnt lgkmcnt(0)
	v_cmp_neq_f64_e32 vcc_lo, 0, v[212:213]
	v_cmp_neq_f64_e64 s3, 0, v[214:215]
	s_delay_alu instid0(VALU_DEP_1) | instskip(NEXT) | instid1(SALU_CYCLE_1)
	s_or_b32 s3, vcc_lo, s3
	s_and_b32 exec_lo, exec_lo, s3
	s_cbranch_execz .LBB105_251
; %bb.246:
	v_cmp_gt_f64_e32 vcc_lo, 0, v[212:213]
	v_xor_b32_e32 v204, 0x80000000, v213
	s_mov_b32 s3, exec_lo
                                        ; implicit-def: $vgpr220_vgpr221
	s_delay_alu instid0(VALU_DEP_1) | instskip(SKIP_3) | instid1(VALU_DEP_1)
	v_cndmask_b32_e32 v217, v213, v204, vcc_lo
	v_cndmask_b32_e32 v216, v212, v212, vcc_lo
	v_cmp_gt_f64_e32 vcc_lo, 0, v[214:215]
	v_xor_b32_e32 v204, 0x80000000, v215
	v_dual_cndmask_b32 v218, v214, v214 :: v_dual_cndmask_b32 v219, v215, v204
	s_delay_alu instid0(VALU_DEP_1)
	v_cmpx_ngt_f64_e32 v[216:217], v[218:219]
	s_xor_b32 s3, exec_lo, s3
                                        ; implicit-def: $vgpr216_vgpr217_vgpr218_vgpr219
	s_cbranch_execz .LBB105_248
; %bb.247:
	v_div_scale_f64 v[216:217], null, v[214:215], v[214:215], v[212:213]
	v_div_scale_f64 v[222:223], vcc_lo, v[212:213], v[214:215], v[212:213]
	s_delay_alu instid0(VALU_DEP_2) | instskip(SKIP_2) | instid1(VALU_DEP_1)
	v_rcp_f64_e32 v[218:219], v[216:217]
	s_waitcnt_depctr 0xfff
	v_fma_f64 v[220:221], -v[216:217], v[218:219], 1.0
	v_fma_f64 v[218:219], v[218:219], v[220:221], v[218:219]
	s_delay_alu instid0(VALU_DEP_1) | instskip(NEXT) | instid1(VALU_DEP_1)
	v_fma_f64 v[220:221], -v[216:217], v[218:219], 1.0
	v_fma_f64 v[218:219], v[218:219], v[220:221], v[218:219]
	s_delay_alu instid0(VALU_DEP_1) | instskip(NEXT) | instid1(VALU_DEP_1)
	v_mul_f64 v[220:221], v[222:223], v[218:219]
	v_fma_f64 v[216:217], -v[216:217], v[220:221], v[222:223]
	s_delay_alu instid0(VALU_DEP_1) | instskip(NEXT) | instid1(VALU_DEP_1)
	v_div_fmas_f64 v[216:217], v[216:217], v[218:219], v[220:221]
	v_div_fixup_f64 v[216:217], v[216:217], v[214:215], v[212:213]
	s_delay_alu instid0(VALU_DEP_1) | instskip(NEXT) | instid1(VALU_DEP_1)
	v_fma_f64 v[212:213], v[212:213], v[216:217], v[214:215]
	v_div_scale_f64 v[214:215], null, v[212:213], v[212:213], 1.0
	s_delay_alu instid0(VALU_DEP_1) | instskip(SKIP_2) | instid1(VALU_DEP_1)
	v_rcp_f64_e32 v[218:219], v[214:215]
	s_waitcnt_depctr 0xfff
	v_fma_f64 v[220:221], -v[214:215], v[218:219], 1.0
	v_fma_f64 v[218:219], v[218:219], v[220:221], v[218:219]
	s_delay_alu instid0(VALU_DEP_1) | instskip(NEXT) | instid1(VALU_DEP_1)
	v_fma_f64 v[220:221], -v[214:215], v[218:219], 1.0
	v_fma_f64 v[218:219], v[218:219], v[220:221], v[218:219]
	v_div_scale_f64 v[220:221], vcc_lo, 1.0, v[212:213], 1.0
	s_delay_alu instid0(VALU_DEP_1) | instskip(NEXT) | instid1(VALU_DEP_1)
	v_mul_f64 v[222:223], v[220:221], v[218:219]
	v_fma_f64 v[214:215], -v[214:215], v[222:223], v[220:221]
	s_delay_alu instid0(VALU_DEP_1) | instskip(NEXT) | instid1(VALU_DEP_1)
	v_div_fmas_f64 v[214:215], v[214:215], v[218:219], v[222:223]
	v_div_fixup_f64 v[218:219], v[214:215], v[212:213], 1.0
                                        ; implicit-def: $vgpr212_vgpr213
	s_delay_alu instid0(VALU_DEP_1)
	v_mul_f64 v[220:221], v[216:217], v[218:219]
	v_xor_b32_e32 v219, 0x80000000, v219
.LBB105_248:
	s_and_not1_saveexec_b32 s3, s3
	s_cbranch_execz .LBB105_250
; %bb.249:
	v_div_scale_f64 v[216:217], null, v[212:213], v[212:213], v[214:215]
	v_div_scale_f64 v[222:223], vcc_lo, v[214:215], v[212:213], v[214:215]
	s_delay_alu instid0(VALU_DEP_2) | instskip(SKIP_2) | instid1(VALU_DEP_1)
	v_rcp_f64_e32 v[218:219], v[216:217]
	s_waitcnt_depctr 0xfff
	v_fma_f64 v[220:221], -v[216:217], v[218:219], 1.0
	v_fma_f64 v[218:219], v[218:219], v[220:221], v[218:219]
	s_delay_alu instid0(VALU_DEP_1) | instskip(NEXT) | instid1(VALU_DEP_1)
	v_fma_f64 v[220:221], -v[216:217], v[218:219], 1.0
	v_fma_f64 v[218:219], v[218:219], v[220:221], v[218:219]
	s_delay_alu instid0(VALU_DEP_1) | instskip(NEXT) | instid1(VALU_DEP_1)
	v_mul_f64 v[220:221], v[222:223], v[218:219]
	v_fma_f64 v[216:217], -v[216:217], v[220:221], v[222:223]
	s_delay_alu instid0(VALU_DEP_1) | instskip(NEXT) | instid1(VALU_DEP_1)
	v_div_fmas_f64 v[216:217], v[216:217], v[218:219], v[220:221]
	v_div_fixup_f64 v[216:217], v[216:217], v[212:213], v[214:215]
	s_delay_alu instid0(VALU_DEP_1) | instskip(NEXT) | instid1(VALU_DEP_1)
	v_fma_f64 v[212:213], v[214:215], v[216:217], v[212:213]
	v_div_scale_f64 v[214:215], null, v[212:213], v[212:213], 1.0
	s_delay_alu instid0(VALU_DEP_1) | instskip(SKIP_2) | instid1(VALU_DEP_1)
	v_rcp_f64_e32 v[218:219], v[214:215]
	s_waitcnt_depctr 0xfff
	v_fma_f64 v[220:221], -v[214:215], v[218:219], 1.0
	v_fma_f64 v[218:219], v[218:219], v[220:221], v[218:219]
	s_delay_alu instid0(VALU_DEP_1) | instskip(NEXT) | instid1(VALU_DEP_1)
	v_fma_f64 v[220:221], -v[214:215], v[218:219], 1.0
	v_fma_f64 v[218:219], v[218:219], v[220:221], v[218:219]
	v_div_scale_f64 v[220:221], vcc_lo, 1.0, v[212:213], 1.0
	s_delay_alu instid0(VALU_DEP_1) | instskip(NEXT) | instid1(VALU_DEP_1)
	v_mul_f64 v[222:223], v[220:221], v[218:219]
	v_fma_f64 v[214:215], -v[214:215], v[222:223], v[220:221]
	s_delay_alu instid0(VALU_DEP_1) | instskip(NEXT) | instid1(VALU_DEP_1)
	v_div_fmas_f64 v[214:215], v[214:215], v[218:219], v[222:223]
	v_div_fixup_f64 v[220:221], v[214:215], v[212:213], 1.0
	s_delay_alu instid0(VALU_DEP_1)
	v_mul_f64 v[218:219], v[216:217], -v[220:221]
.LBB105_250:
	s_or_b32 exec_lo, exec_lo, s3
	ds_store_2addr_b64 v255, v[220:221], v[218:219] offset1:1
.LBB105_251:
	s_or_b32 exec_lo, exec_lo, s4
	s_waitcnt lgkmcnt(0)
	s_barrier
	buffer_gl0_inv
	ds_load_2addr_b64 v[212:215], v255 offset1:1
	s_mov_b32 s3, exec_lo
	s_waitcnt lgkmcnt(0)
	scratch_store_b128 off, v[212:215], off offset:872 ; 16-byte Folded Spill
	v_cmpx_lt_u32_e32 27, v205
	s_cbranch_execz .LBB105_253
; %bb.252:
	scratch_load_b128 v[214:217], off, off offset:872 ; 16-byte Folded Reload
	s_waitcnt vmcnt(0)
	v_mul_f64 v[212:213], v[216:217], v[102:103]
	v_mul_f64 v[102:103], v[214:215], v[102:103]
	s_delay_alu instid0(VALU_DEP_2) | instskip(NEXT) | instid1(VALU_DEP_2)
	v_fma_f64 v[212:213], v[214:215], v[100:101], -v[212:213]
	v_fma_f64 v[102:103], v[216:217], v[100:101], v[102:103]
	ds_load_2addr_b64 v[214:217], v250 offset0:56 offset1:57
	s_waitcnt lgkmcnt(0)
	v_mul_f64 v[100:101], v[216:217], v[102:103]
	s_delay_alu instid0(VALU_DEP_1) | instskip(SKIP_1) | instid1(VALU_DEP_2)
	v_fma_f64 v[100:101], v[214:215], v[212:213], -v[100:101]
	v_mul_f64 v[214:215], v[214:215], v[102:103]
	v_add_f64 v[96:97], v[96:97], -v[100:101]
	s_delay_alu instid0(VALU_DEP_2) | instskip(NEXT) | instid1(VALU_DEP_1)
	v_fma_f64 v[214:215], v[216:217], v[212:213], v[214:215]
	v_add_f64 v[98:99], v[98:99], -v[214:215]
	ds_load_2addr_b64 v[214:217], v250 offset0:58 offset1:59
	s_waitcnt lgkmcnt(0)
	v_mul_f64 v[100:101], v[216:217], v[102:103]
	s_delay_alu instid0(VALU_DEP_1) | instskip(SKIP_1) | instid1(VALU_DEP_2)
	v_fma_f64 v[100:101], v[214:215], v[212:213], -v[100:101]
	v_mul_f64 v[214:215], v[214:215], v[102:103]
	v_add_f64 v[92:93], v[92:93], -v[100:101]
	s_delay_alu instid0(VALU_DEP_2) | instskip(NEXT) | instid1(VALU_DEP_1)
	v_fma_f64 v[214:215], v[216:217], v[212:213], v[214:215]
	v_add_f64 v[94:95], v[94:95], -v[214:215]
	;; [unrolled: 10-line block ×24, first 2 shown]
	ds_load_2addr_b64 v[214:217], v250 offset0:104 offset1:105
	s_waitcnt lgkmcnt(0)
	v_mul_f64 v[100:101], v[216:217], v[102:103]
	s_delay_alu instid0(VALU_DEP_1) | instskip(SKIP_1) | instid1(VALU_DEP_2)
	v_fma_f64 v[100:101], v[214:215], v[212:213], -v[100:101]
	v_mul_f64 v[214:215], v[214:215], v[102:103]
	v_add_f64 v[0:1], v[0:1], -v[100:101]
	s_delay_alu instid0(VALU_DEP_2) | instskip(SKIP_1) | instid1(VALU_DEP_2)
	v_fma_f64 v[214:215], v[216:217], v[212:213], v[214:215]
	v_dual_mov_b32 v100, v212 :: v_dual_mov_b32 v101, v213
	v_add_f64 v[2:3], v[2:3], -v[214:215]
.LBB105_253:
	s_or_b32 exec_lo, exec_lo, s3
	s_delay_alu instid0(SALU_CYCLE_1)
	s_mov_b32 s4, exec_lo
	s_waitcnt_vscnt null, 0x0
	s_barrier
	buffer_gl0_inv
	v_cmpx_eq_u32_e32 28, v205
	s_cbranch_execz .LBB105_260
; %bb.254:
	ds_store_2addr_b64 v255, v[96:97], v[98:99] offset1:1
	ds_store_2addr_b64 v250, v[92:93], v[94:95] offset0:58 offset1:59
	ds_store_2addr_b64 v250, v[88:89], v[90:91] offset0:60 offset1:61
	;; [unrolled: 1-line block ×24, first 2 shown]
	ds_load_2addr_b64 v[212:215], v255 offset1:1
	s_waitcnt lgkmcnt(0)
	v_cmp_neq_f64_e32 vcc_lo, 0, v[212:213]
	v_cmp_neq_f64_e64 s3, 0, v[214:215]
	s_delay_alu instid0(VALU_DEP_1) | instskip(NEXT) | instid1(SALU_CYCLE_1)
	s_or_b32 s3, vcc_lo, s3
	s_and_b32 exec_lo, exec_lo, s3
	s_cbranch_execz .LBB105_260
; %bb.255:
	v_cmp_gt_f64_e32 vcc_lo, 0, v[212:213]
	v_xor_b32_e32 v204, 0x80000000, v213
	s_mov_b32 s3, exec_lo
                                        ; implicit-def: $vgpr220_vgpr221
	s_delay_alu instid0(VALU_DEP_1) | instskip(SKIP_3) | instid1(VALU_DEP_1)
	v_cndmask_b32_e32 v217, v213, v204, vcc_lo
	v_cndmask_b32_e32 v216, v212, v212, vcc_lo
	v_cmp_gt_f64_e32 vcc_lo, 0, v[214:215]
	v_xor_b32_e32 v204, 0x80000000, v215
	v_dual_cndmask_b32 v218, v214, v214 :: v_dual_cndmask_b32 v219, v215, v204
	s_delay_alu instid0(VALU_DEP_1)
	v_cmpx_ngt_f64_e32 v[216:217], v[218:219]
	s_xor_b32 s3, exec_lo, s3
                                        ; implicit-def: $vgpr216_vgpr217_vgpr218_vgpr219
	s_cbranch_execz .LBB105_257
; %bb.256:
	v_div_scale_f64 v[216:217], null, v[214:215], v[214:215], v[212:213]
	v_div_scale_f64 v[222:223], vcc_lo, v[212:213], v[214:215], v[212:213]
	s_delay_alu instid0(VALU_DEP_2) | instskip(SKIP_2) | instid1(VALU_DEP_1)
	v_rcp_f64_e32 v[218:219], v[216:217]
	s_waitcnt_depctr 0xfff
	v_fma_f64 v[220:221], -v[216:217], v[218:219], 1.0
	v_fma_f64 v[218:219], v[218:219], v[220:221], v[218:219]
	s_delay_alu instid0(VALU_DEP_1) | instskip(NEXT) | instid1(VALU_DEP_1)
	v_fma_f64 v[220:221], -v[216:217], v[218:219], 1.0
	v_fma_f64 v[218:219], v[218:219], v[220:221], v[218:219]
	s_delay_alu instid0(VALU_DEP_1) | instskip(NEXT) | instid1(VALU_DEP_1)
	v_mul_f64 v[220:221], v[222:223], v[218:219]
	v_fma_f64 v[216:217], -v[216:217], v[220:221], v[222:223]
	s_delay_alu instid0(VALU_DEP_1) | instskip(NEXT) | instid1(VALU_DEP_1)
	v_div_fmas_f64 v[216:217], v[216:217], v[218:219], v[220:221]
	v_div_fixup_f64 v[216:217], v[216:217], v[214:215], v[212:213]
	s_delay_alu instid0(VALU_DEP_1) | instskip(NEXT) | instid1(VALU_DEP_1)
	v_fma_f64 v[212:213], v[212:213], v[216:217], v[214:215]
	v_div_scale_f64 v[214:215], null, v[212:213], v[212:213], 1.0
	s_delay_alu instid0(VALU_DEP_1) | instskip(SKIP_2) | instid1(VALU_DEP_1)
	v_rcp_f64_e32 v[218:219], v[214:215]
	s_waitcnt_depctr 0xfff
	v_fma_f64 v[220:221], -v[214:215], v[218:219], 1.0
	v_fma_f64 v[218:219], v[218:219], v[220:221], v[218:219]
	s_delay_alu instid0(VALU_DEP_1) | instskip(NEXT) | instid1(VALU_DEP_1)
	v_fma_f64 v[220:221], -v[214:215], v[218:219], 1.0
	v_fma_f64 v[218:219], v[218:219], v[220:221], v[218:219]
	v_div_scale_f64 v[220:221], vcc_lo, 1.0, v[212:213], 1.0
	s_delay_alu instid0(VALU_DEP_1) | instskip(NEXT) | instid1(VALU_DEP_1)
	v_mul_f64 v[222:223], v[220:221], v[218:219]
	v_fma_f64 v[214:215], -v[214:215], v[222:223], v[220:221]
	s_delay_alu instid0(VALU_DEP_1) | instskip(NEXT) | instid1(VALU_DEP_1)
	v_div_fmas_f64 v[214:215], v[214:215], v[218:219], v[222:223]
	v_div_fixup_f64 v[218:219], v[214:215], v[212:213], 1.0
                                        ; implicit-def: $vgpr212_vgpr213
	s_delay_alu instid0(VALU_DEP_1)
	v_mul_f64 v[220:221], v[216:217], v[218:219]
	v_xor_b32_e32 v219, 0x80000000, v219
.LBB105_257:
	s_and_not1_saveexec_b32 s3, s3
	s_cbranch_execz .LBB105_259
; %bb.258:
	v_div_scale_f64 v[216:217], null, v[212:213], v[212:213], v[214:215]
	v_div_scale_f64 v[222:223], vcc_lo, v[214:215], v[212:213], v[214:215]
	s_delay_alu instid0(VALU_DEP_2) | instskip(SKIP_2) | instid1(VALU_DEP_1)
	v_rcp_f64_e32 v[218:219], v[216:217]
	s_waitcnt_depctr 0xfff
	v_fma_f64 v[220:221], -v[216:217], v[218:219], 1.0
	v_fma_f64 v[218:219], v[218:219], v[220:221], v[218:219]
	s_delay_alu instid0(VALU_DEP_1) | instskip(NEXT) | instid1(VALU_DEP_1)
	v_fma_f64 v[220:221], -v[216:217], v[218:219], 1.0
	v_fma_f64 v[218:219], v[218:219], v[220:221], v[218:219]
	s_delay_alu instid0(VALU_DEP_1) | instskip(NEXT) | instid1(VALU_DEP_1)
	v_mul_f64 v[220:221], v[222:223], v[218:219]
	v_fma_f64 v[216:217], -v[216:217], v[220:221], v[222:223]
	s_delay_alu instid0(VALU_DEP_1) | instskip(NEXT) | instid1(VALU_DEP_1)
	v_div_fmas_f64 v[216:217], v[216:217], v[218:219], v[220:221]
	v_div_fixup_f64 v[216:217], v[216:217], v[212:213], v[214:215]
	s_delay_alu instid0(VALU_DEP_1) | instskip(NEXT) | instid1(VALU_DEP_1)
	v_fma_f64 v[212:213], v[214:215], v[216:217], v[212:213]
	v_div_scale_f64 v[214:215], null, v[212:213], v[212:213], 1.0
	s_delay_alu instid0(VALU_DEP_1) | instskip(SKIP_2) | instid1(VALU_DEP_1)
	v_rcp_f64_e32 v[218:219], v[214:215]
	s_waitcnt_depctr 0xfff
	v_fma_f64 v[220:221], -v[214:215], v[218:219], 1.0
	v_fma_f64 v[218:219], v[218:219], v[220:221], v[218:219]
	s_delay_alu instid0(VALU_DEP_1) | instskip(NEXT) | instid1(VALU_DEP_1)
	v_fma_f64 v[220:221], -v[214:215], v[218:219], 1.0
	v_fma_f64 v[218:219], v[218:219], v[220:221], v[218:219]
	v_div_scale_f64 v[220:221], vcc_lo, 1.0, v[212:213], 1.0
	s_delay_alu instid0(VALU_DEP_1) | instskip(NEXT) | instid1(VALU_DEP_1)
	v_mul_f64 v[222:223], v[220:221], v[218:219]
	v_fma_f64 v[214:215], -v[214:215], v[222:223], v[220:221]
	s_delay_alu instid0(VALU_DEP_1) | instskip(NEXT) | instid1(VALU_DEP_1)
	v_div_fmas_f64 v[214:215], v[214:215], v[218:219], v[222:223]
	v_div_fixup_f64 v[220:221], v[214:215], v[212:213], 1.0
	s_delay_alu instid0(VALU_DEP_1)
	v_mul_f64 v[218:219], v[216:217], -v[220:221]
.LBB105_259:
	s_or_b32 exec_lo, exec_lo, s3
	ds_store_2addr_b64 v255, v[220:221], v[218:219] offset1:1
.LBB105_260:
	s_or_b32 exec_lo, exec_lo, s4
	s_waitcnt lgkmcnt(0)
	s_barrier
	buffer_gl0_inv
	ds_load_2addr_b64 v[212:215], v255 offset1:1
	s_mov_b32 s3, exec_lo
	s_waitcnt lgkmcnt(0)
	scratch_store_b128 off, v[212:215], off offset:888 ; 16-byte Folded Spill
	v_cmpx_lt_u32_e32 28, v205
	s_cbranch_execz .LBB105_262
; %bb.261:
	scratch_load_b128 v[214:217], off, off offset:888 ; 16-byte Folded Reload
	s_waitcnt vmcnt(0)
	v_mul_f64 v[212:213], v[216:217], v[98:99]
	v_mul_f64 v[98:99], v[214:215], v[98:99]
	s_delay_alu instid0(VALU_DEP_2) | instskip(NEXT) | instid1(VALU_DEP_2)
	v_fma_f64 v[212:213], v[214:215], v[96:97], -v[212:213]
	v_fma_f64 v[98:99], v[216:217], v[96:97], v[98:99]
	ds_load_2addr_b64 v[214:217], v250 offset0:58 offset1:59
	s_waitcnt lgkmcnt(0)
	v_mul_f64 v[96:97], v[216:217], v[98:99]
	s_delay_alu instid0(VALU_DEP_1) | instskip(SKIP_1) | instid1(VALU_DEP_2)
	v_fma_f64 v[96:97], v[214:215], v[212:213], -v[96:97]
	v_mul_f64 v[214:215], v[214:215], v[98:99]
	v_add_f64 v[92:93], v[92:93], -v[96:97]
	s_delay_alu instid0(VALU_DEP_2) | instskip(NEXT) | instid1(VALU_DEP_1)
	v_fma_f64 v[214:215], v[216:217], v[212:213], v[214:215]
	v_add_f64 v[94:95], v[94:95], -v[214:215]
	ds_load_2addr_b64 v[214:217], v250 offset0:60 offset1:61
	s_waitcnt lgkmcnt(0)
	v_mul_f64 v[96:97], v[216:217], v[98:99]
	s_delay_alu instid0(VALU_DEP_1) | instskip(SKIP_1) | instid1(VALU_DEP_2)
	v_fma_f64 v[96:97], v[214:215], v[212:213], -v[96:97]
	v_mul_f64 v[214:215], v[214:215], v[98:99]
	v_add_f64 v[88:89], v[88:89], -v[96:97]
	s_delay_alu instid0(VALU_DEP_2) | instskip(NEXT) | instid1(VALU_DEP_1)
	v_fma_f64 v[214:215], v[216:217], v[212:213], v[214:215]
	v_add_f64 v[90:91], v[90:91], -v[214:215]
	;; [unrolled: 10-line block ×23, first 2 shown]
	ds_load_2addr_b64 v[214:217], v250 offset0:104 offset1:105
	s_waitcnt lgkmcnt(0)
	v_mul_f64 v[96:97], v[216:217], v[98:99]
	s_delay_alu instid0(VALU_DEP_1) | instskip(SKIP_1) | instid1(VALU_DEP_2)
	v_fma_f64 v[96:97], v[214:215], v[212:213], -v[96:97]
	v_mul_f64 v[214:215], v[214:215], v[98:99]
	v_add_f64 v[0:1], v[0:1], -v[96:97]
	s_delay_alu instid0(VALU_DEP_2) | instskip(SKIP_1) | instid1(VALU_DEP_2)
	v_fma_f64 v[214:215], v[216:217], v[212:213], v[214:215]
	v_dual_mov_b32 v96, v212 :: v_dual_mov_b32 v97, v213
	v_add_f64 v[2:3], v[2:3], -v[214:215]
.LBB105_262:
	s_or_b32 exec_lo, exec_lo, s3
	s_delay_alu instid0(SALU_CYCLE_1)
	s_mov_b32 s4, exec_lo
	s_waitcnt_vscnt null, 0x0
	s_barrier
	buffer_gl0_inv
	v_cmpx_eq_u32_e32 29, v205
	s_cbranch_execz .LBB105_269
; %bb.263:
	ds_store_2addr_b64 v255, v[92:93], v[94:95] offset1:1
	ds_store_2addr_b64 v250, v[88:89], v[90:91] offset0:60 offset1:61
	ds_store_2addr_b64 v250, v[84:85], v[86:87] offset0:62 offset1:63
	;; [unrolled: 1-line block ×23, first 2 shown]
	ds_load_2addr_b64 v[212:215], v255 offset1:1
	s_waitcnt lgkmcnt(0)
	v_cmp_neq_f64_e32 vcc_lo, 0, v[212:213]
	v_cmp_neq_f64_e64 s3, 0, v[214:215]
	s_delay_alu instid0(VALU_DEP_1) | instskip(NEXT) | instid1(SALU_CYCLE_1)
	s_or_b32 s3, vcc_lo, s3
	s_and_b32 exec_lo, exec_lo, s3
	s_cbranch_execz .LBB105_269
; %bb.264:
	v_cmp_gt_f64_e32 vcc_lo, 0, v[212:213]
	v_xor_b32_e32 v204, 0x80000000, v213
	s_mov_b32 s3, exec_lo
                                        ; implicit-def: $vgpr220_vgpr221
	s_delay_alu instid0(VALU_DEP_1) | instskip(SKIP_3) | instid1(VALU_DEP_1)
	v_cndmask_b32_e32 v217, v213, v204, vcc_lo
	v_cndmask_b32_e32 v216, v212, v212, vcc_lo
	v_cmp_gt_f64_e32 vcc_lo, 0, v[214:215]
	v_xor_b32_e32 v204, 0x80000000, v215
	v_dual_cndmask_b32 v218, v214, v214 :: v_dual_cndmask_b32 v219, v215, v204
	s_delay_alu instid0(VALU_DEP_1)
	v_cmpx_ngt_f64_e32 v[216:217], v[218:219]
	s_xor_b32 s3, exec_lo, s3
                                        ; implicit-def: $vgpr216_vgpr217_vgpr218_vgpr219
	s_cbranch_execz .LBB105_266
; %bb.265:
	v_div_scale_f64 v[216:217], null, v[214:215], v[214:215], v[212:213]
	v_div_scale_f64 v[222:223], vcc_lo, v[212:213], v[214:215], v[212:213]
	s_delay_alu instid0(VALU_DEP_2) | instskip(SKIP_2) | instid1(VALU_DEP_1)
	v_rcp_f64_e32 v[218:219], v[216:217]
	s_waitcnt_depctr 0xfff
	v_fma_f64 v[220:221], -v[216:217], v[218:219], 1.0
	v_fma_f64 v[218:219], v[218:219], v[220:221], v[218:219]
	s_delay_alu instid0(VALU_DEP_1) | instskip(NEXT) | instid1(VALU_DEP_1)
	v_fma_f64 v[220:221], -v[216:217], v[218:219], 1.0
	v_fma_f64 v[218:219], v[218:219], v[220:221], v[218:219]
	s_delay_alu instid0(VALU_DEP_1) | instskip(NEXT) | instid1(VALU_DEP_1)
	v_mul_f64 v[220:221], v[222:223], v[218:219]
	v_fma_f64 v[216:217], -v[216:217], v[220:221], v[222:223]
	s_delay_alu instid0(VALU_DEP_1) | instskip(NEXT) | instid1(VALU_DEP_1)
	v_div_fmas_f64 v[216:217], v[216:217], v[218:219], v[220:221]
	v_div_fixup_f64 v[216:217], v[216:217], v[214:215], v[212:213]
	s_delay_alu instid0(VALU_DEP_1) | instskip(NEXT) | instid1(VALU_DEP_1)
	v_fma_f64 v[212:213], v[212:213], v[216:217], v[214:215]
	v_div_scale_f64 v[214:215], null, v[212:213], v[212:213], 1.0
	s_delay_alu instid0(VALU_DEP_1) | instskip(SKIP_2) | instid1(VALU_DEP_1)
	v_rcp_f64_e32 v[218:219], v[214:215]
	s_waitcnt_depctr 0xfff
	v_fma_f64 v[220:221], -v[214:215], v[218:219], 1.0
	v_fma_f64 v[218:219], v[218:219], v[220:221], v[218:219]
	s_delay_alu instid0(VALU_DEP_1) | instskip(NEXT) | instid1(VALU_DEP_1)
	v_fma_f64 v[220:221], -v[214:215], v[218:219], 1.0
	v_fma_f64 v[218:219], v[218:219], v[220:221], v[218:219]
	v_div_scale_f64 v[220:221], vcc_lo, 1.0, v[212:213], 1.0
	s_delay_alu instid0(VALU_DEP_1) | instskip(NEXT) | instid1(VALU_DEP_1)
	v_mul_f64 v[222:223], v[220:221], v[218:219]
	v_fma_f64 v[214:215], -v[214:215], v[222:223], v[220:221]
	s_delay_alu instid0(VALU_DEP_1) | instskip(NEXT) | instid1(VALU_DEP_1)
	v_div_fmas_f64 v[214:215], v[214:215], v[218:219], v[222:223]
	v_div_fixup_f64 v[218:219], v[214:215], v[212:213], 1.0
                                        ; implicit-def: $vgpr212_vgpr213
	s_delay_alu instid0(VALU_DEP_1)
	v_mul_f64 v[220:221], v[216:217], v[218:219]
	v_xor_b32_e32 v219, 0x80000000, v219
.LBB105_266:
	s_and_not1_saveexec_b32 s3, s3
	s_cbranch_execz .LBB105_268
; %bb.267:
	v_div_scale_f64 v[216:217], null, v[212:213], v[212:213], v[214:215]
	v_div_scale_f64 v[222:223], vcc_lo, v[214:215], v[212:213], v[214:215]
	s_delay_alu instid0(VALU_DEP_2) | instskip(SKIP_2) | instid1(VALU_DEP_1)
	v_rcp_f64_e32 v[218:219], v[216:217]
	s_waitcnt_depctr 0xfff
	v_fma_f64 v[220:221], -v[216:217], v[218:219], 1.0
	v_fma_f64 v[218:219], v[218:219], v[220:221], v[218:219]
	s_delay_alu instid0(VALU_DEP_1) | instskip(NEXT) | instid1(VALU_DEP_1)
	v_fma_f64 v[220:221], -v[216:217], v[218:219], 1.0
	v_fma_f64 v[218:219], v[218:219], v[220:221], v[218:219]
	s_delay_alu instid0(VALU_DEP_1) | instskip(NEXT) | instid1(VALU_DEP_1)
	v_mul_f64 v[220:221], v[222:223], v[218:219]
	v_fma_f64 v[216:217], -v[216:217], v[220:221], v[222:223]
	s_delay_alu instid0(VALU_DEP_1) | instskip(NEXT) | instid1(VALU_DEP_1)
	v_div_fmas_f64 v[216:217], v[216:217], v[218:219], v[220:221]
	v_div_fixup_f64 v[216:217], v[216:217], v[212:213], v[214:215]
	s_delay_alu instid0(VALU_DEP_1) | instskip(NEXT) | instid1(VALU_DEP_1)
	v_fma_f64 v[212:213], v[214:215], v[216:217], v[212:213]
	v_div_scale_f64 v[214:215], null, v[212:213], v[212:213], 1.0
	s_delay_alu instid0(VALU_DEP_1) | instskip(SKIP_2) | instid1(VALU_DEP_1)
	v_rcp_f64_e32 v[218:219], v[214:215]
	s_waitcnt_depctr 0xfff
	v_fma_f64 v[220:221], -v[214:215], v[218:219], 1.0
	v_fma_f64 v[218:219], v[218:219], v[220:221], v[218:219]
	s_delay_alu instid0(VALU_DEP_1) | instskip(NEXT) | instid1(VALU_DEP_1)
	v_fma_f64 v[220:221], -v[214:215], v[218:219], 1.0
	v_fma_f64 v[218:219], v[218:219], v[220:221], v[218:219]
	v_div_scale_f64 v[220:221], vcc_lo, 1.0, v[212:213], 1.0
	s_delay_alu instid0(VALU_DEP_1) | instskip(NEXT) | instid1(VALU_DEP_1)
	v_mul_f64 v[222:223], v[220:221], v[218:219]
	v_fma_f64 v[214:215], -v[214:215], v[222:223], v[220:221]
	s_delay_alu instid0(VALU_DEP_1) | instskip(NEXT) | instid1(VALU_DEP_1)
	v_div_fmas_f64 v[214:215], v[214:215], v[218:219], v[222:223]
	v_div_fixup_f64 v[220:221], v[214:215], v[212:213], 1.0
	s_delay_alu instid0(VALU_DEP_1)
	v_mul_f64 v[218:219], v[216:217], -v[220:221]
.LBB105_268:
	s_or_b32 exec_lo, exec_lo, s3
	ds_store_2addr_b64 v255, v[220:221], v[218:219] offset1:1
.LBB105_269:
	s_or_b32 exec_lo, exec_lo, s4
	s_waitcnt lgkmcnt(0)
	s_barrier
	buffer_gl0_inv
	ds_load_2addr_b64 v[212:215], v255 offset1:1
	s_mov_b32 s3, exec_lo
	s_waitcnt lgkmcnt(0)
	scratch_store_b128 off, v[212:215], off offset:904 ; 16-byte Folded Spill
	v_cmpx_lt_u32_e32 29, v205
	s_cbranch_execz .LBB105_271
; %bb.270:
	scratch_load_b128 v[214:217], off, off offset:904 ; 16-byte Folded Reload
	s_waitcnt vmcnt(0)
	v_mul_f64 v[212:213], v[216:217], v[94:95]
	v_mul_f64 v[94:95], v[214:215], v[94:95]
	s_delay_alu instid0(VALU_DEP_2) | instskip(NEXT) | instid1(VALU_DEP_2)
	v_fma_f64 v[212:213], v[214:215], v[92:93], -v[212:213]
	v_fma_f64 v[94:95], v[216:217], v[92:93], v[94:95]
	ds_load_2addr_b64 v[214:217], v250 offset0:60 offset1:61
	s_waitcnt lgkmcnt(0)
	v_mul_f64 v[92:93], v[216:217], v[94:95]
	s_delay_alu instid0(VALU_DEP_1) | instskip(SKIP_1) | instid1(VALU_DEP_2)
	v_fma_f64 v[92:93], v[214:215], v[212:213], -v[92:93]
	v_mul_f64 v[214:215], v[214:215], v[94:95]
	v_add_f64 v[88:89], v[88:89], -v[92:93]
	s_delay_alu instid0(VALU_DEP_2) | instskip(NEXT) | instid1(VALU_DEP_1)
	v_fma_f64 v[214:215], v[216:217], v[212:213], v[214:215]
	v_add_f64 v[90:91], v[90:91], -v[214:215]
	ds_load_2addr_b64 v[214:217], v250 offset0:62 offset1:63
	s_waitcnt lgkmcnt(0)
	v_mul_f64 v[92:93], v[216:217], v[94:95]
	s_delay_alu instid0(VALU_DEP_1) | instskip(SKIP_1) | instid1(VALU_DEP_2)
	v_fma_f64 v[92:93], v[214:215], v[212:213], -v[92:93]
	v_mul_f64 v[214:215], v[214:215], v[94:95]
	v_add_f64 v[84:85], v[84:85], -v[92:93]
	s_delay_alu instid0(VALU_DEP_2) | instskip(NEXT) | instid1(VALU_DEP_1)
	v_fma_f64 v[214:215], v[216:217], v[212:213], v[214:215]
	v_add_f64 v[86:87], v[86:87], -v[214:215]
	ds_load_2addr_b64 v[214:217], v250 offset0:64 offset1:65
	s_waitcnt lgkmcnt(0)
	v_mul_f64 v[92:93], v[216:217], v[94:95]
	s_delay_alu instid0(VALU_DEP_1) | instskip(SKIP_1) | instid1(VALU_DEP_2)
	v_fma_f64 v[92:93], v[214:215], v[212:213], -v[92:93]
	v_mul_f64 v[214:215], v[214:215], v[94:95]
	v_add_f64 v[80:81], v[80:81], -v[92:93]
	s_delay_alu instid0(VALU_DEP_2) | instskip(NEXT) | instid1(VALU_DEP_1)
	v_fma_f64 v[214:215], v[216:217], v[212:213], v[214:215]
	v_add_f64 v[82:83], v[82:83], -v[214:215]
	ds_load_2addr_b64 v[214:217], v250 offset0:66 offset1:67
	s_waitcnt lgkmcnt(0)
	v_mul_f64 v[92:93], v[216:217], v[94:95]
	s_delay_alu instid0(VALU_DEP_1) | instskip(SKIP_1) | instid1(VALU_DEP_2)
	v_fma_f64 v[92:93], v[214:215], v[212:213], -v[92:93]
	v_mul_f64 v[214:215], v[214:215], v[94:95]
	v_add_f64 v[76:77], v[76:77], -v[92:93]
	s_delay_alu instid0(VALU_DEP_2) | instskip(NEXT) | instid1(VALU_DEP_1)
	v_fma_f64 v[214:215], v[216:217], v[212:213], v[214:215]
	v_add_f64 v[78:79], v[78:79], -v[214:215]
	ds_load_2addr_b64 v[214:217], v250 offset0:68 offset1:69
	s_waitcnt lgkmcnt(0)
	v_mul_f64 v[92:93], v[216:217], v[94:95]
	s_delay_alu instid0(VALU_DEP_1) | instskip(SKIP_1) | instid1(VALU_DEP_2)
	v_fma_f64 v[92:93], v[214:215], v[212:213], -v[92:93]
	v_mul_f64 v[214:215], v[214:215], v[94:95]
	v_add_f64 v[72:73], v[72:73], -v[92:93]
	s_delay_alu instid0(VALU_DEP_2) | instskip(NEXT) | instid1(VALU_DEP_1)
	v_fma_f64 v[214:215], v[216:217], v[212:213], v[214:215]
	v_add_f64 v[74:75], v[74:75], -v[214:215]
	ds_load_2addr_b64 v[214:217], v250 offset0:70 offset1:71
	s_waitcnt lgkmcnt(0)
	v_mul_f64 v[92:93], v[216:217], v[94:95]
	s_delay_alu instid0(VALU_DEP_1) | instskip(SKIP_1) | instid1(VALU_DEP_2)
	v_fma_f64 v[92:93], v[214:215], v[212:213], -v[92:93]
	v_mul_f64 v[214:215], v[214:215], v[94:95]
	v_add_f64 v[68:69], v[68:69], -v[92:93]
	s_delay_alu instid0(VALU_DEP_2) | instskip(NEXT) | instid1(VALU_DEP_1)
	v_fma_f64 v[214:215], v[216:217], v[212:213], v[214:215]
	v_add_f64 v[70:71], v[70:71], -v[214:215]
	ds_load_2addr_b64 v[214:217], v250 offset0:72 offset1:73
	s_waitcnt lgkmcnt(0)
	v_mul_f64 v[92:93], v[216:217], v[94:95]
	s_delay_alu instid0(VALU_DEP_1) | instskip(SKIP_1) | instid1(VALU_DEP_2)
	v_fma_f64 v[92:93], v[214:215], v[212:213], -v[92:93]
	v_mul_f64 v[214:215], v[214:215], v[94:95]
	v_add_f64 v[64:65], v[64:65], -v[92:93]
	s_delay_alu instid0(VALU_DEP_2) | instskip(NEXT) | instid1(VALU_DEP_1)
	v_fma_f64 v[214:215], v[216:217], v[212:213], v[214:215]
	v_add_f64 v[66:67], v[66:67], -v[214:215]
	ds_load_2addr_b64 v[214:217], v250 offset0:74 offset1:75
	s_waitcnt lgkmcnt(0)
	v_mul_f64 v[92:93], v[216:217], v[94:95]
	s_delay_alu instid0(VALU_DEP_1) | instskip(SKIP_1) | instid1(VALU_DEP_2)
	v_fma_f64 v[92:93], v[214:215], v[212:213], -v[92:93]
	v_mul_f64 v[214:215], v[214:215], v[94:95]
	v_add_f64 v[60:61], v[60:61], -v[92:93]
	s_delay_alu instid0(VALU_DEP_2) | instskip(NEXT) | instid1(VALU_DEP_1)
	v_fma_f64 v[214:215], v[216:217], v[212:213], v[214:215]
	v_add_f64 v[62:63], v[62:63], -v[214:215]
	ds_load_2addr_b64 v[214:217], v250 offset0:76 offset1:77
	s_waitcnt lgkmcnt(0)
	v_mul_f64 v[92:93], v[216:217], v[94:95]
	s_delay_alu instid0(VALU_DEP_1) | instskip(SKIP_1) | instid1(VALU_DEP_2)
	v_fma_f64 v[92:93], v[214:215], v[212:213], -v[92:93]
	v_mul_f64 v[214:215], v[214:215], v[94:95]
	v_add_f64 v[56:57], v[56:57], -v[92:93]
	s_delay_alu instid0(VALU_DEP_2) | instskip(NEXT) | instid1(VALU_DEP_1)
	v_fma_f64 v[214:215], v[216:217], v[212:213], v[214:215]
	v_add_f64 v[58:59], v[58:59], -v[214:215]
	ds_load_2addr_b64 v[214:217], v250 offset0:78 offset1:79
	s_waitcnt lgkmcnt(0)
	v_mul_f64 v[92:93], v[216:217], v[94:95]
	s_delay_alu instid0(VALU_DEP_1) | instskip(SKIP_1) | instid1(VALU_DEP_2)
	v_fma_f64 v[92:93], v[214:215], v[212:213], -v[92:93]
	v_mul_f64 v[214:215], v[214:215], v[94:95]
	v_add_f64 v[52:53], v[52:53], -v[92:93]
	s_delay_alu instid0(VALU_DEP_2) | instskip(NEXT) | instid1(VALU_DEP_1)
	v_fma_f64 v[214:215], v[216:217], v[212:213], v[214:215]
	v_add_f64 v[54:55], v[54:55], -v[214:215]
	ds_load_2addr_b64 v[214:217], v250 offset0:80 offset1:81
	s_waitcnt lgkmcnt(0)
	v_mul_f64 v[92:93], v[216:217], v[94:95]
	s_delay_alu instid0(VALU_DEP_1) | instskip(SKIP_1) | instid1(VALU_DEP_2)
	v_fma_f64 v[92:93], v[214:215], v[212:213], -v[92:93]
	v_mul_f64 v[214:215], v[214:215], v[94:95]
	v_add_f64 v[48:49], v[48:49], -v[92:93]
	s_delay_alu instid0(VALU_DEP_2) | instskip(NEXT) | instid1(VALU_DEP_1)
	v_fma_f64 v[214:215], v[216:217], v[212:213], v[214:215]
	v_add_f64 v[50:51], v[50:51], -v[214:215]
	ds_load_2addr_b64 v[214:217], v250 offset0:82 offset1:83
	s_waitcnt lgkmcnt(0)
	v_mul_f64 v[92:93], v[216:217], v[94:95]
	s_delay_alu instid0(VALU_DEP_1) | instskip(SKIP_1) | instid1(VALU_DEP_2)
	v_fma_f64 v[92:93], v[214:215], v[212:213], -v[92:93]
	v_mul_f64 v[214:215], v[214:215], v[94:95]
	v_add_f64 v[44:45], v[44:45], -v[92:93]
	s_delay_alu instid0(VALU_DEP_2) | instskip(NEXT) | instid1(VALU_DEP_1)
	v_fma_f64 v[214:215], v[216:217], v[212:213], v[214:215]
	v_add_f64 v[46:47], v[46:47], -v[214:215]
	ds_load_2addr_b64 v[214:217], v250 offset0:84 offset1:85
	s_waitcnt lgkmcnt(0)
	v_mul_f64 v[92:93], v[216:217], v[94:95]
	s_delay_alu instid0(VALU_DEP_1) | instskip(SKIP_1) | instid1(VALU_DEP_2)
	v_fma_f64 v[92:93], v[214:215], v[212:213], -v[92:93]
	v_mul_f64 v[214:215], v[214:215], v[94:95]
	v_add_f64 v[40:41], v[40:41], -v[92:93]
	s_delay_alu instid0(VALU_DEP_2) | instskip(NEXT) | instid1(VALU_DEP_1)
	v_fma_f64 v[214:215], v[216:217], v[212:213], v[214:215]
	v_add_f64 v[42:43], v[42:43], -v[214:215]
	ds_load_2addr_b64 v[214:217], v250 offset0:86 offset1:87
	s_waitcnt lgkmcnt(0)
	v_mul_f64 v[92:93], v[216:217], v[94:95]
	s_delay_alu instid0(VALU_DEP_1) | instskip(SKIP_1) | instid1(VALU_DEP_2)
	v_fma_f64 v[92:93], v[214:215], v[212:213], -v[92:93]
	v_mul_f64 v[214:215], v[214:215], v[94:95]
	v_add_f64 v[36:37], v[36:37], -v[92:93]
	s_delay_alu instid0(VALU_DEP_2) | instskip(NEXT) | instid1(VALU_DEP_1)
	v_fma_f64 v[214:215], v[216:217], v[212:213], v[214:215]
	v_add_f64 v[38:39], v[38:39], -v[214:215]
	ds_load_2addr_b64 v[214:217], v250 offset0:88 offset1:89
	s_waitcnt lgkmcnt(0)
	v_mul_f64 v[92:93], v[216:217], v[94:95]
	s_delay_alu instid0(VALU_DEP_1) | instskip(SKIP_1) | instid1(VALU_DEP_2)
	v_fma_f64 v[92:93], v[214:215], v[212:213], -v[92:93]
	v_mul_f64 v[214:215], v[214:215], v[94:95]
	v_add_f64 v[32:33], v[32:33], -v[92:93]
	s_delay_alu instid0(VALU_DEP_2) | instskip(NEXT) | instid1(VALU_DEP_1)
	v_fma_f64 v[214:215], v[216:217], v[212:213], v[214:215]
	v_add_f64 v[34:35], v[34:35], -v[214:215]
	ds_load_2addr_b64 v[214:217], v250 offset0:90 offset1:91
	s_waitcnt lgkmcnt(0)
	v_mul_f64 v[92:93], v[216:217], v[94:95]
	s_delay_alu instid0(VALU_DEP_1) | instskip(SKIP_1) | instid1(VALU_DEP_2)
	v_fma_f64 v[92:93], v[214:215], v[212:213], -v[92:93]
	v_mul_f64 v[214:215], v[214:215], v[94:95]
	v_add_f64 v[28:29], v[28:29], -v[92:93]
	s_delay_alu instid0(VALU_DEP_2) | instskip(NEXT) | instid1(VALU_DEP_1)
	v_fma_f64 v[214:215], v[216:217], v[212:213], v[214:215]
	v_add_f64 v[30:31], v[30:31], -v[214:215]
	ds_load_2addr_b64 v[214:217], v250 offset0:92 offset1:93
	s_waitcnt lgkmcnt(0)
	v_mul_f64 v[92:93], v[216:217], v[94:95]
	s_delay_alu instid0(VALU_DEP_1) | instskip(SKIP_1) | instid1(VALU_DEP_2)
	v_fma_f64 v[92:93], v[214:215], v[212:213], -v[92:93]
	v_mul_f64 v[214:215], v[214:215], v[94:95]
	v_add_f64 v[24:25], v[24:25], -v[92:93]
	s_delay_alu instid0(VALU_DEP_2) | instskip(NEXT) | instid1(VALU_DEP_1)
	v_fma_f64 v[214:215], v[216:217], v[212:213], v[214:215]
	v_add_f64 v[26:27], v[26:27], -v[214:215]
	ds_load_2addr_b64 v[214:217], v250 offset0:94 offset1:95
	s_waitcnt lgkmcnt(0)
	v_mul_f64 v[92:93], v[216:217], v[94:95]
	s_delay_alu instid0(VALU_DEP_1) | instskip(SKIP_1) | instid1(VALU_DEP_2)
	v_fma_f64 v[92:93], v[214:215], v[212:213], -v[92:93]
	v_mul_f64 v[214:215], v[214:215], v[94:95]
	v_add_f64 v[20:21], v[20:21], -v[92:93]
	s_delay_alu instid0(VALU_DEP_2) | instskip(NEXT) | instid1(VALU_DEP_1)
	v_fma_f64 v[214:215], v[216:217], v[212:213], v[214:215]
	v_add_f64 v[22:23], v[22:23], -v[214:215]
	ds_load_2addr_b64 v[214:217], v250 offset0:96 offset1:97
	s_waitcnt lgkmcnt(0)
	v_mul_f64 v[92:93], v[216:217], v[94:95]
	s_delay_alu instid0(VALU_DEP_1) | instskip(SKIP_1) | instid1(VALU_DEP_2)
	v_fma_f64 v[92:93], v[214:215], v[212:213], -v[92:93]
	v_mul_f64 v[214:215], v[214:215], v[94:95]
	v_add_f64 v[16:17], v[16:17], -v[92:93]
	s_delay_alu instid0(VALU_DEP_2) | instskip(NEXT) | instid1(VALU_DEP_1)
	v_fma_f64 v[214:215], v[216:217], v[212:213], v[214:215]
	v_add_f64 v[18:19], v[18:19], -v[214:215]
	ds_load_2addr_b64 v[214:217], v250 offset0:98 offset1:99
	s_waitcnt lgkmcnt(0)
	v_mul_f64 v[92:93], v[216:217], v[94:95]
	s_delay_alu instid0(VALU_DEP_1) | instskip(SKIP_1) | instid1(VALU_DEP_2)
	v_fma_f64 v[92:93], v[214:215], v[212:213], -v[92:93]
	v_mul_f64 v[214:215], v[214:215], v[94:95]
	v_add_f64 v[12:13], v[12:13], -v[92:93]
	s_delay_alu instid0(VALU_DEP_2) | instskip(NEXT) | instid1(VALU_DEP_1)
	v_fma_f64 v[214:215], v[216:217], v[212:213], v[214:215]
	v_add_f64 v[14:15], v[14:15], -v[214:215]
	ds_load_2addr_b64 v[214:217], v250 offset0:100 offset1:101
	s_waitcnt lgkmcnt(0)
	v_mul_f64 v[92:93], v[216:217], v[94:95]
	s_delay_alu instid0(VALU_DEP_1) | instskip(SKIP_1) | instid1(VALU_DEP_2)
	v_fma_f64 v[92:93], v[214:215], v[212:213], -v[92:93]
	v_mul_f64 v[214:215], v[214:215], v[94:95]
	v_add_f64 v[8:9], v[8:9], -v[92:93]
	s_delay_alu instid0(VALU_DEP_2) | instskip(NEXT) | instid1(VALU_DEP_1)
	v_fma_f64 v[214:215], v[216:217], v[212:213], v[214:215]
	v_add_f64 v[10:11], v[10:11], -v[214:215]
	ds_load_2addr_b64 v[214:217], v250 offset0:102 offset1:103
	s_waitcnt lgkmcnt(0)
	v_mul_f64 v[92:93], v[216:217], v[94:95]
	s_delay_alu instid0(VALU_DEP_1) | instskip(SKIP_1) | instid1(VALU_DEP_2)
	v_fma_f64 v[92:93], v[214:215], v[212:213], -v[92:93]
	v_mul_f64 v[214:215], v[214:215], v[94:95]
	v_add_f64 v[4:5], v[4:5], -v[92:93]
	s_delay_alu instid0(VALU_DEP_2) | instskip(NEXT) | instid1(VALU_DEP_1)
	v_fma_f64 v[214:215], v[216:217], v[212:213], v[214:215]
	v_add_f64 v[6:7], v[6:7], -v[214:215]
	ds_load_2addr_b64 v[214:217], v250 offset0:104 offset1:105
	s_waitcnt lgkmcnt(0)
	v_mul_f64 v[92:93], v[216:217], v[94:95]
	s_delay_alu instid0(VALU_DEP_1) | instskip(SKIP_1) | instid1(VALU_DEP_2)
	v_fma_f64 v[92:93], v[214:215], v[212:213], -v[92:93]
	v_mul_f64 v[214:215], v[214:215], v[94:95]
	v_add_f64 v[0:1], v[0:1], -v[92:93]
	s_delay_alu instid0(VALU_DEP_2) | instskip(SKIP_1) | instid1(VALU_DEP_2)
	v_fma_f64 v[214:215], v[216:217], v[212:213], v[214:215]
	v_dual_mov_b32 v92, v212 :: v_dual_mov_b32 v93, v213
	v_add_f64 v[2:3], v[2:3], -v[214:215]
.LBB105_271:
	s_or_b32 exec_lo, exec_lo, s3
	s_delay_alu instid0(SALU_CYCLE_1)
	s_mov_b32 s4, exec_lo
	s_waitcnt_vscnt null, 0x0
	s_barrier
	buffer_gl0_inv
	v_cmpx_eq_u32_e32 30, v205
	s_cbranch_execz .LBB105_278
; %bb.272:
	ds_store_2addr_b64 v255, v[88:89], v[90:91] offset1:1
	ds_store_2addr_b64 v250, v[84:85], v[86:87] offset0:62 offset1:63
	ds_store_2addr_b64 v250, v[80:81], v[82:83] offset0:64 offset1:65
	;; [unrolled: 1-line block ×22, first 2 shown]
	ds_load_2addr_b64 v[212:215], v255 offset1:1
	s_waitcnt lgkmcnt(0)
	v_cmp_neq_f64_e32 vcc_lo, 0, v[212:213]
	v_cmp_neq_f64_e64 s3, 0, v[214:215]
	s_delay_alu instid0(VALU_DEP_1) | instskip(NEXT) | instid1(SALU_CYCLE_1)
	s_or_b32 s3, vcc_lo, s3
	s_and_b32 exec_lo, exec_lo, s3
	s_cbranch_execz .LBB105_278
; %bb.273:
	v_cmp_gt_f64_e32 vcc_lo, 0, v[212:213]
	v_xor_b32_e32 v204, 0x80000000, v213
	s_mov_b32 s3, exec_lo
                                        ; implicit-def: $vgpr220_vgpr221
	s_delay_alu instid0(VALU_DEP_1) | instskip(SKIP_3) | instid1(VALU_DEP_1)
	v_cndmask_b32_e32 v217, v213, v204, vcc_lo
	v_cndmask_b32_e32 v216, v212, v212, vcc_lo
	v_cmp_gt_f64_e32 vcc_lo, 0, v[214:215]
	v_xor_b32_e32 v204, 0x80000000, v215
	v_dual_cndmask_b32 v218, v214, v214 :: v_dual_cndmask_b32 v219, v215, v204
	s_delay_alu instid0(VALU_DEP_1)
	v_cmpx_ngt_f64_e32 v[216:217], v[218:219]
	s_xor_b32 s3, exec_lo, s3
                                        ; implicit-def: $vgpr216_vgpr217_vgpr218_vgpr219
	s_cbranch_execz .LBB105_275
; %bb.274:
	v_div_scale_f64 v[216:217], null, v[214:215], v[214:215], v[212:213]
	v_div_scale_f64 v[222:223], vcc_lo, v[212:213], v[214:215], v[212:213]
	s_delay_alu instid0(VALU_DEP_2) | instskip(SKIP_2) | instid1(VALU_DEP_1)
	v_rcp_f64_e32 v[218:219], v[216:217]
	s_waitcnt_depctr 0xfff
	v_fma_f64 v[220:221], -v[216:217], v[218:219], 1.0
	v_fma_f64 v[218:219], v[218:219], v[220:221], v[218:219]
	s_delay_alu instid0(VALU_DEP_1) | instskip(NEXT) | instid1(VALU_DEP_1)
	v_fma_f64 v[220:221], -v[216:217], v[218:219], 1.0
	v_fma_f64 v[218:219], v[218:219], v[220:221], v[218:219]
	s_delay_alu instid0(VALU_DEP_1) | instskip(NEXT) | instid1(VALU_DEP_1)
	v_mul_f64 v[220:221], v[222:223], v[218:219]
	v_fma_f64 v[216:217], -v[216:217], v[220:221], v[222:223]
	s_delay_alu instid0(VALU_DEP_1) | instskip(NEXT) | instid1(VALU_DEP_1)
	v_div_fmas_f64 v[216:217], v[216:217], v[218:219], v[220:221]
	v_div_fixup_f64 v[216:217], v[216:217], v[214:215], v[212:213]
	s_delay_alu instid0(VALU_DEP_1) | instskip(NEXT) | instid1(VALU_DEP_1)
	v_fma_f64 v[212:213], v[212:213], v[216:217], v[214:215]
	v_div_scale_f64 v[214:215], null, v[212:213], v[212:213], 1.0
	s_delay_alu instid0(VALU_DEP_1) | instskip(SKIP_2) | instid1(VALU_DEP_1)
	v_rcp_f64_e32 v[218:219], v[214:215]
	s_waitcnt_depctr 0xfff
	v_fma_f64 v[220:221], -v[214:215], v[218:219], 1.0
	v_fma_f64 v[218:219], v[218:219], v[220:221], v[218:219]
	s_delay_alu instid0(VALU_DEP_1) | instskip(NEXT) | instid1(VALU_DEP_1)
	v_fma_f64 v[220:221], -v[214:215], v[218:219], 1.0
	v_fma_f64 v[218:219], v[218:219], v[220:221], v[218:219]
	v_div_scale_f64 v[220:221], vcc_lo, 1.0, v[212:213], 1.0
	s_delay_alu instid0(VALU_DEP_1) | instskip(NEXT) | instid1(VALU_DEP_1)
	v_mul_f64 v[222:223], v[220:221], v[218:219]
	v_fma_f64 v[214:215], -v[214:215], v[222:223], v[220:221]
	s_delay_alu instid0(VALU_DEP_1) | instskip(NEXT) | instid1(VALU_DEP_1)
	v_div_fmas_f64 v[214:215], v[214:215], v[218:219], v[222:223]
	v_div_fixup_f64 v[218:219], v[214:215], v[212:213], 1.0
                                        ; implicit-def: $vgpr212_vgpr213
	s_delay_alu instid0(VALU_DEP_1)
	v_mul_f64 v[220:221], v[216:217], v[218:219]
	v_xor_b32_e32 v219, 0x80000000, v219
.LBB105_275:
	s_and_not1_saveexec_b32 s3, s3
	s_cbranch_execz .LBB105_277
; %bb.276:
	v_div_scale_f64 v[216:217], null, v[212:213], v[212:213], v[214:215]
	v_div_scale_f64 v[222:223], vcc_lo, v[214:215], v[212:213], v[214:215]
	s_delay_alu instid0(VALU_DEP_2) | instskip(SKIP_2) | instid1(VALU_DEP_1)
	v_rcp_f64_e32 v[218:219], v[216:217]
	s_waitcnt_depctr 0xfff
	v_fma_f64 v[220:221], -v[216:217], v[218:219], 1.0
	v_fma_f64 v[218:219], v[218:219], v[220:221], v[218:219]
	s_delay_alu instid0(VALU_DEP_1) | instskip(NEXT) | instid1(VALU_DEP_1)
	v_fma_f64 v[220:221], -v[216:217], v[218:219], 1.0
	v_fma_f64 v[218:219], v[218:219], v[220:221], v[218:219]
	s_delay_alu instid0(VALU_DEP_1) | instskip(NEXT) | instid1(VALU_DEP_1)
	v_mul_f64 v[220:221], v[222:223], v[218:219]
	v_fma_f64 v[216:217], -v[216:217], v[220:221], v[222:223]
	s_delay_alu instid0(VALU_DEP_1) | instskip(NEXT) | instid1(VALU_DEP_1)
	v_div_fmas_f64 v[216:217], v[216:217], v[218:219], v[220:221]
	v_div_fixup_f64 v[216:217], v[216:217], v[212:213], v[214:215]
	s_delay_alu instid0(VALU_DEP_1) | instskip(NEXT) | instid1(VALU_DEP_1)
	v_fma_f64 v[212:213], v[214:215], v[216:217], v[212:213]
	v_div_scale_f64 v[214:215], null, v[212:213], v[212:213], 1.0
	s_delay_alu instid0(VALU_DEP_1) | instskip(SKIP_2) | instid1(VALU_DEP_1)
	v_rcp_f64_e32 v[218:219], v[214:215]
	s_waitcnt_depctr 0xfff
	v_fma_f64 v[220:221], -v[214:215], v[218:219], 1.0
	v_fma_f64 v[218:219], v[218:219], v[220:221], v[218:219]
	s_delay_alu instid0(VALU_DEP_1) | instskip(NEXT) | instid1(VALU_DEP_1)
	v_fma_f64 v[220:221], -v[214:215], v[218:219], 1.0
	v_fma_f64 v[218:219], v[218:219], v[220:221], v[218:219]
	v_div_scale_f64 v[220:221], vcc_lo, 1.0, v[212:213], 1.0
	s_delay_alu instid0(VALU_DEP_1) | instskip(NEXT) | instid1(VALU_DEP_1)
	v_mul_f64 v[222:223], v[220:221], v[218:219]
	v_fma_f64 v[214:215], -v[214:215], v[222:223], v[220:221]
	s_delay_alu instid0(VALU_DEP_1) | instskip(NEXT) | instid1(VALU_DEP_1)
	v_div_fmas_f64 v[214:215], v[214:215], v[218:219], v[222:223]
	v_div_fixup_f64 v[220:221], v[214:215], v[212:213], 1.0
	s_delay_alu instid0(VALU_DEP_1)
	v_mul_f64 v[218:219], v[216:217], -v[220:221]
.LBB105_277:
	s_or_b32 exec_lo, exec_lo, s3
	ds_store_2addr_b64 v255, v[220:221], v[218:219] offset1:1
.LBB105_278:
	s_or_b32 exec_lo, exec_lo, s4
	s_waitcnt lgkmcnt(0)
	s_barrier
	buffer_gl0_inv
	ds_load_2addr_b64 v[212:215], v255 offset1:1
	s_mov_b32 s3, exec_lo
	s_waitcnt lgkmcnt(0)
	scratch_store_b128 off, v[212:215], off offset:920 ; 16-byte Folded Spill
	v_cmpx_lt_u32_e32 30, v205
	s_cbranch_execz .LBB105_280
; %bb.279:
	scratch_load_b128 v[214:217], off, off offset:920 ; 16-byte Folded Reload
	s_waitcnt vmcnt(0)
	v_mul_f64 v[212:213], v[216:217], v[90:91]
	v_mul_f64 v[90:91], v[214:215], v[90:91]
	s_delay_alu instid0(VALU_DEP_2) | instskip(NEXT) | instid1(VALU_DEP_2)
	v_fma_f64 v[212:213], v[214:215], v[88:89], -v[212:213]
	v_fma_f64 v[90:91], v[216:217], v[88:89], v[90:91]
	ds_load_2addr_b64 v[214:217], v250 offset0:62 offset1:63
	s_waitcnt lgkmcnt(0)
	v_mul_f64 v[88:89], v[216:217], v[90:91]
	s_delay_alu instid0(VALU_DEP_1) | instskip(SKIP_1) | instid1(VALU_DEP_2)
	v_fma_f64 v[88:89], v[214:215], v[212:213], -v[88:89]
	v_mul_f64 v[214:215], v[214:215], v[90:91]
	v_add_f64 v[84:85], v[84:85], -v[88:89]
	s_delay_alu instid0(VALU_DEP_2) | instskip(NEXT) | instid1(VALU_DEP_1)
	v_fma_f64 v[214:215], v[216:217], v[212:213], v[214:215]
	v_add_f64 v[86:87], v[86:87], -v[214:215]
	ds_load_2addr_b64 v[214:217], v250 offset0:64 offset1:65
	s_waitcnt lgkmcnt(0)
	v_mul_f64 v[88:89], v[216:217], v[90:91]
	s_delay_alu instid0(VALU_DEP_1) | instskip(SKIP_1) | instid1(VALU_DEP_2)
	v_fma_f64 v[88:89], v[214:215], v[212:213], -v[88:89]
	v_mul_f64 v[214:215], v[214:215], v[90:91]
	v_add_f64 v[80:81], v[80:81], -v[88:89]
	s_delay_alu instid0(VALU_DEP_2) | instskip(NEXT) | instid1(VALU_DEP_1)
	v_fma_f64 v[214:215], v[216:217], v[212:213], v[214:215]
	v_add_f64 v[82:83], v[82:83], -v[214:215]
	;; [unrolled: 10-line block ×21, first 2 shown]
	ds_load_2addr_b64 v[214:217], v250 offset0:104 offset1:105
	s_waitcnt lgkmcnt(0)
	v_mul_f64 v[88:89], v[216:217], v[90:91]
	s_delay_alu instid0(VALU_DEP_1) | instskip(SKIP_1) | instid1(VALU_DEP_2)
	v_fma_f64 v[88:89], v[214:215], v[212:213], -v[88:89]
	v_mul_f64 v[214:215], v[214:215], v[90:91]
	v_add_f64 v[0:1], v[0:1], -v[88:89]
	s_delay_alu instid0(VALU_DEP_2) | instskip(SKIP_1) | instid1(VALU_DEP_2)
	v_fma_f64 v[214:215], v[216:217], v[212:213], v[214:215]
	v_dual_mov_b32 v88, v212 :: v_dual_mov_b32 v89, v213
	v_add_f64 v[2:3], v[2:3], -v[214:215]
.LBB105_280:
	s_or_b32 exec_lo, exec_lo, s3
	s_delay_alu instid0(SALU_CYCLE_1)
	s_mov_b32 s4, exec_lo
	s_waitcnt_vscnt null, 0x0
	s_barrier
	buffer_gl0_inv
	v_cmpx_eq_u32_e32 31, v205
	s_cbranch_execz .LBB105_287
; %bb.281:
	ds_store_2addr_b64 v255, v[84:85], v[86:87] offset1:1
	ds_store_2addr_b64 v250, v[80:81], v[82:83] offset0:64 offset1:65
	ds_store_2addr_b64 v250, v[76:77], v[78:79] offset0:66 offset1:67
	;; [unrolled: 1-line block ×21, first 2 shown]
	ds_load_2addr_b64 v[212:215], v255 offset1:1
	s_waitcnt lgkmcnt(0)
	v_cmp_neq_f64_e32 vcc_lo, 0, v[212:213]
	v_cmp_neq_f64_e64 s3, 0, v[214:215]
	s_delay_alu instid0(VALU_DEP_1) | instskip(NEXT) | instid1(SALU_CYCLE_1)
	s_or_b32 s3, vcc_lo, s3
	s_and_b32 exec_lo, exec_lo, s3
	s_cbranch_execz .LBB105_287
; %bb.282:
	v_cmp_gt_f64_e32 vcc_lo, 0, v[212:213]
	v_xor_b32_e32 v204, 0x80000000, v213
	s_mov_b32 s3, exec_lo
                                        ; implicit-def: $vgpr220_vgpr221
	s_delay_alu instid0(VALU_DEP_1) | instskip(SKIP_3) | instid1(VALU_DEP_1)
	v_cndmask_b32_e32 v217, v213, v204, vcc_lo
	v_cndmask_b32_e32 v216, v212, v212, vcc_lo
	v_cmp_gt_f64_e32 vcc_lo, 0, v[214:215]
	v_xor_b32_e32 v204, 0x80000000, v215
	v_dual_cndmask_b32 v218, v214, v214 :: v_dual_cndmask_b32 v219, v215, v204
	s_delay_alu instid0(VALU_DEP_1)
	v_cmpx_ngt_f64_e32 v[216:217], v[218:219]
	s_xor_b32 s3, exec_lo, s3
                                        ; implicit-def: $vgpr216_vgpr217_vgpr218_vgpr219
	s_cbranch_execz .LBB105_284
; %bb.283:
	v_div_scale_f64 v[216:217], null, v[214:215], v[214:215], v[212:213]
	v_div_scale_f64 v[222:223], vcc_lo, v[212:213], v[214:215], v[212:213]
	s_delay_alu instid0(VALU_DEP_2) | instskip(SKIP_2) | instid1(VALU_DEP_1)
	v_rcp_f64_e32 v[218:219], v[216:217]
	s_waitcnt_depctr 0xfff
	v_fma_f64 v[220:221], -v[216:217], v[218:219], 1.0
	v_fma_f64 v[218:219], v[218:219], v[220:221], v[218:219]
	s_delay_alu instid0(VALU_DEP_1) | instskip(NEXT) | instid1(VALU_DEP_1)
	v_fma_f64 v[220:221], -v[216:217], v[218:219], 1.0
	v_fma_f64 v[218:219], v[218:219], v[220:221], v[218:219]
	s_delay_alu instid0(VALU_DEP_1) | instskip(NEXT) | instid1(VALU_DEP_1)
	v_mul_f64 v[220:221], v[222:223], v[218:219]
	v_fma_f64 v[216:217], -v[216:217], v[220:221], v[222:223]
	s_delay_alu instid0(VALU_DEP_1) | instskip(NEXT) | instid1(VALU_DEP_1)
	v_div_fmas_f64 v[216:217], v[216:217], v[218:219], v[220:221]
	v_div_fixup_f64 v[216:217], v[216:217], v[214:215], v[212:213]
	s_delay_alu instid0(VALU_DEP_1) | instskip(NEXT) | instid1(VALU_DEP_1)
	v_fma_f64 v[212:213], v[212:213], v[216:217], v[214:215]
	v_div_scale_f64 v[214:215], null, v[212:213], v[212:213], 1.0
	s_delay_alu instid0(VALU_DEP_1) | instskip(SKIP_2) | instid1(VALU_DEP_1)
	v_rcp_f64_e32 v[218:219], v[214:215]
	s_waitcnt_depctr 0xfff
	v_fma_f64 v[220:221], -v[214:215], v[218:219], 1.0
	v_fma_f64 v[218:219], v[218:219], v[220:221], v[218:219]
	s_delay_alu instid0(VALU_DEP_1) | instskip(NEXT) | instid1(VALU_DEP_1)
	v_fma_f64 v[220:221], -v[214:215], v[218:219], 1.0
	v_fma_f64 v[218:219], v[218:219], v[220:221], v[218:219]
	v_div_scale_f64 v[220:221], vcc_lo, 1.0, v[212:213], 1.0
	s_delay_alu instid0(VALU_DEP_1) | instskip(NEXT) | instid1(VALU_DEP_1)
	v_mul_f64 v[222:223], v[220:221], v[218:219]
	v_fma_f64 v[214:215], -v[214:215], v[222:223], v[220:221]
	s_delay_alu instid0(VALU_DEP_1) | instskip(NEXT) | instid1(VALU_DEP_1)
	v_div_fmas_f64 v[214:215], v[214:215], v[218:219], v[222:223]
	v_div_fixup_f64 v[218:219], v[214:215], v[212:213], 1.0
                                        ; implicit-def: $vgpr212_vgpr213
	s_delay_alu instid0(VALU_DEP_1)
	v_mul_f64 v[220:221], v[216:217], v[218:219]
	v_xor_b32_e32 v219, 0x80000000, v219
.LBB105_284:
	s_and_not1_saveexec_b32 s3, s3
	s_cbranch_execz .LBB105_286
; %bb.285:
	v_div_scale_f64 v[216:217], null, v[212:213], v[212:213], v[214:215]
	v_div_scale_f64 v[222:223], vcc_lo, v[214:215], v[212:213], v[214:215]
	s_delay_alu instid0(VALU_DEP_2) | instskip(SKIP_2) | instid1(VALU_DEP_1)
	v_rcp_f64_e32 v[218:219], v[216:217]
	s_waitcnt_depctr 0xfff
	v_fma_f64 v[220:221], -v[216:217], v[218:219], 1.0
	v_fma_f64 v[218:219], v[218:219], v[220:221], v[218:219]
	s_delay_alu instid0(VALU_DEP_1) | instskip(NEXT) | instid1(VALU_DEP_1)
	v_fma_f64 v[220:221], -v[216:217], v[218:219], 1.0
	v_fma_f64 v[218:219], v[218:219], v[220:221], v[218:219]
	s_delay_alu instid0(VALU_DEP_1) | instskip(NEXT) | instid1(VALU_DEP_1)
	v_mul_f64 v[220:221], v[222:223], v[218:219]
	v_fma_f64 v[216:217], -v[216:217], v[220:221], v[222:223]
	s_delay_alu instid0(VALU_DEP_1) | instskip(NEXT) | instid1(VALU_DEP_1)
	v_div_fmas_f64 v[216:217], v[216:217], v[218:219], v[220:221]
	v_div_fixup_f64 v[216:217], v[216:217], v[212:213], v[214:215]
	s_delay_alu instid0(VALU_DEP_1) | instskip(NEXT) | instid1(VALU_DEP_1)
	v_fma_f64 v[212:213], v[214:215], v[216:217], v[212:213]
	v_div_scale_f64 v[214:215], null, v[212:213], v[212:213], 1.0
	s_delay_alu instid0(VALU_DEP_1) | instskip(SKIP_2) | instid1(VALU_DEP_1)
	v_rcp_f64_e32 v[218:219], v[214:215]
	s_waitcnt_depctr 0xfff
	v_fma_f64 v[220:221], -v[214:215], v[218:219], 1.0
	v_fma_f64 v[218:219], v[218:219], v[220:221], v[218:219]
	s_delay_alu instid0(VALU_DEP_1) | instskip(NEXT) | instid1(VALU_DEP_1)
	v_fma_f64 v[220:221], -v[214:215], v[218:219], 1.0
	v_fma_f64 v[218:219], v[218:219], v[220:221], v[218:219]
	v_div_scale_f64 v[220:221], vcc_lo, 1.0, v[212:213], 1.0
	s_delay_alu instid0(VALU_DEP_1) | instskip(NEXT) | instid1(VALU_DEP_1)
	v_mul_f64 v[222:223], v[220:221], v[218:219]
	v_fma_f64 v[214:215], -v[214:215], v[222:223], v[220:221]
	s_delay_alu instid0(VALU_DEP_1) | instskip(NEXT) | instid1(VALU_DEP_1)
	v_div_fmas_f64 v[214:215], v[214:215], v[218:219], v[222:223]
	v_div_fixup_f64 v[220:221], v[214:215], v[212:213], 1.0
	s_delay_alu instid0(VALU_DEP_1)
	v_mul_f64 v[218:219], v[216:217], -v[220:221]
.LBB105_286:
	s_or_b32 exec_lo, exec_lo, s3
	ds_store_2addr_b64 v255, v[220:221], v[218:219] offset1:1
.LBB105_287:
	s_or_b32 exec_lo, exec_lo, s4
	s_waitcnt lgkmcnt(0)
	s_barrier
	buffer_gl0_inv
	ds_load_2addr_b64 v[212:215], v255 offset1:1
	s_mov_b32 s3, exec_lo
	s_waitcnt lgkmcnt(0)
	scratch_store_b128 off, v[212:215], off offset:936 ; 16-byte Folded Spill
	v_cmpx_lt_u32_e32 31, v205
	s_cbranch_execz .LBB105_289
; %bb.288:
	scratch_load_b128 v[214:217], off, off offset:936 ; 16-byte Folded Reload
	s_waitcnt vmcnt(0)
	v_mul_f64 v[212:213], v[216:217], v[86:87]
	v_mul_f64 v[86:87], v[214:215], v[86:87]
	s_delay_alu instid0(VALU_DEP_2) | instskip(NEXT) | instid1(VALU_DEP_2)
	v_fma_f64 v[212:213], v[214:215], v[84:85], -v[212:213]
	v_fma_f64 v[86:87], v[216:217], v[84:85], v[86:87]
	ds_load_2addr_b64 v[214:217], v250 offset0:64 offset1:65
	s_waitcnt lgkmcnt(0)
	v_mul_f64 v[84:85], v[216:217], v[86:87]
	s_delay_alu instid0(VALU_DEP_1) | instskip(SKIP_1) | instid1(VALU_DEP_2)
	v_fma_f64 v[84:85], v[214:215], v[212:213], -v[84:85]
	v_mul_f64 v[214:215], v[214:215], v[86:87]
	v_add_f64 v[80:81], v[80:81], -v[84:85]
	s_delay_alu instid0(VALU_DEP_2) | instskip(NEXT) | instid1(VALU_DEP_1)
	v_fma_f64 v[214:215], v[216:217], v[212:213], v[214:215]
	v_add_f64 v[82:83], v[82:83], -v[214:215]
	ds_load_2addr_b64 v[214:217], v250 offset0:66 offset1:67
	s_waitcnt lgkmcnt(0)
	v_mul_f64 v[84:85], v[216:217], v[86:87]
	s_delay_alu instid0(VALU_DEP_1) | instskip(SKIP_1) | instid1(VALU_DEP_2)
	v_fma_f64 v[84:85], v[214:215], v[212:213], -v[84:85]
	v_mul_f64 v[214:215], v[214:215], v[86:87]
	v_add_f64 v[76:77], v[76:77], -v[84:85]
	s_delay_alu instid0(VALU_DEP_2) | instskip(NEXT) | instid1(VALU_DEP_1)
	v_fma_f64 v[214:215], v[216:217], v[212:213], v[214:215]
	v_add_f64 v[78:79], v[78:79], -v[214:215]
	;; [unrolled: 10-line block ×20, first 2 shown]
	ds_load_2addr_b64 v[214:217], v250 offset0:104 offset1:105
	s_waitcnt lgkmcnt(0)
	v_mul_f64 v[84:85], v[216:217], v[86:87]
	s_delay_alu instid0(VALU_DEP_1) | instskip(SKIP_1) | instid1(VALU_DEP_2)
	v_fma_f64 v[84:85], v[214:215], v[212:213], -v[84:85]
	v_mul_f64 v[214:215], v[214:215], v[86:87]
	v_add_f64 v[0:1], v[0:1], -v[84:85]
	s_delay_alu instid0(VALU_DEP_2) | instskip(SKIP_1) | instid1(VALU_DEP_2)
	v_fma_f64 v[214:215], v[216:217], v[212:213], v[214:215]
	v_dual_mov_b32 v84, v212 :: v_dual_mov_b32 v85, v213
	v_add_f64 v[2:3], v[2:3], -v[214:215]
.LBB105_289:
	s_or_b32 exec_lo, exec_lo, s3
	s_delay_alu instid0(SALU_CYCLE_1)
	s_mov_b32 s4, exec_lo
	s_waitcnt_vscnt null, 0x0
	s_barrier
	buffer_gl0_inv
	v_cmpx_eq_u32_e32 32, v205
	s_cbranch_execz .LBB105_296
; %bb.290:
	ds_store_2addr_b64 v255, v[80:81], v[82:83] offset1:1
	ds_store_2addr_b64 v250, v[76:77], v[78:79] offset0:66 offset1:67
	ds_store_2addr_b64 v250, v[72:73], v[74:75] offset0:68 offset1:69
	;; [unrolled: 1-line block ×20, first 2 shown]
	ds_load_2addr_b64 v[212:215], v255 offset1:1
	s_waitcnt lgkmcnt(0)
	v_cmp_neq_f64_e32 vcc_lo, 0, v[212:213]
	v_cmp_neq_f64_e64 s3, 0, v[214:215]
	s_delay_alu instid0(VALU_DEP_1) | instskip(NEXT) | instid1(SALU_CYCLE_1)
	s_or_b32 s3, vcc_lo, s3
	s_and_b32 exec_lo, exec_lo, s3
	s_cbranch_execz .LBB105_296
; %bb.291:
	v_cmp_gt_f64_e32 vcc_lo, 0, v[212:213]
	v_xor_b32_e32 v204, 0x80000000, v213
	s_mov_b32 s3, exec_lo
                                        ; implicit-def: $vgpr220_vgpr221
	s_delay_alu instid0(VALU_DEP_1) | instskip(SKIP_3) | instid1(VALU_DEP_1)
	v_cndmask_b32_e32 v217, v213, v204, vcc_lo
	v_cndmask_b32_e32 v216, v212, v212, vcc_lo
	v_cmp_gt_f64_e32 vcc_lo, 0, v[214:215]
	v_xor_b32_e32 v204, 0x80000000, v215
	v_dual_cndmask_b32 v218, v214, v214 :: v_dual_cndmask_b32 v219, v215, v204
	s_delay_alu instid0(VALU_DEP_1)
	v_cmpx_ngt_f64_e32 v[216:217], v[218:219]
	s_xor_b32 s3, exec_lo, s3
                                        ; implicit-def: $vgpr216_vgpr217_vgpr218_vgpr219
	s_cbranch_execz .LBB105_293
; %bb.292:
	v_div_scale_f64 v[216:217], null, v[214:215], v[214:215], v[212:213]
	v_div_scale_f64 v[222:223], vcc_lo, v[212:213], v[214:215], v[212:213]
	s_delay_alu instid0(VALU_DEP_2) | instskip(SKIP_2) | instid1(VALU_DEP_1)
	v_rcp_f64_e32 v[218:219], v[216:217]
	s_waitcnt_depctr 0xfff
	v_fma_f64 v[220:221], -v[216:217], v[218:219], 1.0
	v_fma_f64 v[218:219], v[218:219], v[220:221], v[218:219]
	s_delay_alu instid0(VALU_DEP_1) | instskip(NEXT) | instid1(VALU_DEP_1)
	v_fma_f64 v[220:221], -v[216:217], v[218:219], 1.0
	v_fma_f64 v[218:219], v[218:219], v[220:221], v[218:219]
	s_delay_alu instid0(VALU_DEP_1) | instskip(NEXT) | instid1(VALU_DEP_1)
	v_mul_f64 v[220:221], v[222:223], v[218:219]
	v_fma_f64 v[216:217], -v[216:217], v[220:221], v[222:223]
	s_delay_alu instid0(VALU_DEP_1) | instskip(NEXT) | instid1(VALU_DEP_1)
	v_div_fmas_f64 v[216:217], v[216:217], v[218:219], v[220:221]
	v_div_fixup_f64 v[216:217], v[216:217], v[214:215], v[212:213]
	s_delay_alu instid0(VALU_DEP_1) | instskip(NEXT) | instid1(VALU_DEP_1)
	v_fma_f64 v[212:213], v[212:213], v[216:217], v[214:215]
	v_div_scale_f64 v[214:215], null, v[212:213], v[212:213], 1.0
	s_delay_alu instid0(VALU_DEP_1) | instskip(SKIP_2) | instid1(VALU_DEP_1)
	v_rcp_f64_e32 v[218:219], v[214:215]
	s_waitcnt_depctr 0xfff
	v_fma_f64 v[220:221], -v[214:215], v[218:219], 1.0
	v_fma_f64 v[218:219], v[218:219], v[220:221], v[218:219]
	s_delay_alu instid0(VALU_DEP_1) | instskip(NEXT) | instid1(VALU_DEP_1)
	v_fma_f64 v[220:221], -v[214:215], v[218:219], 1.0
	v_fma_f64 v[218:219], v[218:219], v[220:221], v[218:219]
	v_div_scale_f64 v[220:221], vcc_lo, 1.0, v[212:213], 1.0
	s_delay_alu instid0(VALU_DEP_1) | instskip(NEXT) | instid1(VALU_DEP_1)
	v_mul_f64 v[222:223], v[220:221], v[218:219]
	v_fma_f64 v[214:215], -v[214:215], v[222:223], v[220:221]
	s_delay_alu instid0(VALU_DEP_1) | instskip(NEXT) | instid1(VALU_DEP_1)
	v_div_fmas_f64 v[214:215], v[214:215], v[218:219], v[222:223]
	v_div_fixup_f64 v[218:219], v[214:215], v[212:213], 1.0
                                        ; implicit-def: $vgpr212_vgpr213
	s_delay_alu instid0(VALU_DEP_1)
	v_mul_f64 v[220:221], v[216:217], v[218:219]
	v_xor_b32_e32 v219, 0x80000000, v219
.LBB105_293:
	s_and_not1_saveexec_b32 s3, s3
	s_cbranch_execz .LBB105_295
; %bb.294:
	v_div_scale_f64 v[216:217], null, v[212:213], v[212:213], v[214:215]
	v_div_scale_f64 v[222:223], vcc_lo, v[214:215], v[212:213], v[214:215]
	s_delay_alu instid0(VALU_DEP_2) | instskip(SKIP_2) | instid1(VALU_DEP_1)
	v_rcp_f64_e32 v[218:219], v[216:217]
	s_waitcnt_depctr 0xfff
	v_fma_f64 v[220:221], -v[216:217], v[218:219], 1.0
	v_fma_f64 v[218:219], v[218:219], v[220:221], v[218:219]
	s_delay_alu instid0(VALU_DEP_1) | instskip(NEXT) | instid1(VALU_DEP_1)
	v_fma_f64 v[220:221], -v[216:217], v[218:219], 1.0
	v_fma_f64 v[218:219], v[218:219], v[220:221], v[218:219]
	s_delay_alu instid0(VALU_DEP_1) | instskip(NEXT) | instid1(VALU_DEP_1)
	v_mul_f64 v[220:221], v[222:223], v[218:219]
	v_fma_f64 v[216:217], -v[216:217], v[220:221], v[222:223]
	s_delay_alu instid0(VALU_DEP_1) | instskip(NEXT) | instid1(VALU_DEP_1)
	v_div_fmas_f64 v[216:217], v[216:217], v[218:219], v[220:221]
	v_div_fixup_f64 v[216:217], v[216:217], v[212:213], v[214:215]
	s_delay_alu instid0(VALU_DEP_1) | instskip(NEXT) | instid1(VALU_DEP_1)
	v_fma_f64 v[212:213], v[214:215], v[216:217], v[212:213]
	v_div_scale_f64 v[214:215], null, v[212:213], v[212:213], 1.0
	s_delay_alu instid0(VALU_DEP_1) | instskip(SKIP_2) | instid1(VALU_DEP_1)
	v_rcp_f64_e32 v[218:219], v[214:215]
	s_waitcnt_depctr 0xfff
	v_fma_f64 v[220:221], -v[214:215], v[218:219], 1.0
	v_fma_f64 v[218:219], v[218:219], v[220:221], v[218:219]
	s_delay_alu instid0(VALU_DEP_1) | instskip(NEXT) | instid1(VALU_DEP_1)
	v_fma_f64 v[220:221], -v[214:215], v[218:219], 1.0
	v_fma_f64 v[218:219], v[218:219], v[220:221], v[218:219]
	v_div_scale_f64 v[220:221], vcc_lo, 1.0, v[212:213], 1.0
	s_delay_alu instid0(VALU_DEP_1) | instskip(NEXT) | instid1(VALU_DEP_1)
	v_mul_f64 v[222:223], v[220:221], v[218:219]
	v_fma_f64 v[214:215], -v[214:215], v[222:223], v[220:221]
	s_delay_alu instid0(VALU_DEP_1) | instskip(NEXT) | instid1(VALU_DEP_1)
	v_div_fmas_f64 v[214:215], v[214:215], v[218:219], v[222:223]
	v_div_fixup_f64 v[220:221], v[214:215], v[212:213], 1.0
	s_delay_alu instid0(VALU_DEP_1)
	v_mul_f64 v[218:219], v[216:217], -v[220:221]
.LBB105_295:
	s_or_b32 exec_lo, exec_lo, s3
	ds_store_2addr_b64 v255, v[220:221], v[218:219] offset1:1
.LBB105_296:
	s_or_b32 exec_lo, exec_lo, s4
	s_waitcnt lgkmcnt(0)
	s_barrier
	buffer_gl0_inv
	ds_load_2addr_b64 v[212:215], v255 offset1:1
	s_mov_b32 s3, exec_lo
	s_waitcnt lgkmcnt(0)
	scratch_store_b128 off, v[212:215], off offset:952 ; 16-byte Folded Spill
	v_cmpx_lt_u32_e32 32, v205
	s_cbranch_execz .LBB105_298
; %bb.297:
	scratch_load_b128 v[214:217], off, off offset:952 ; 16-byte Folded Reload
	s_waitcnt vmcnt(0)
	v_mul_f64 v[212:213], v[216:217], v[82:83]
	v_mul_f64 v[82:83], v[214:215], v[82:83]
	s_delay_alu instid0(VALU_DEP_2) | instskip(NEXT) | instid1(VALU_DEP_2)
	v_fma_f64 v[212:213], v[214:215], v[80:81], -v[212:213]
	v_fma_f64 v[82:83], v[216:217], v[80:81], v[82:83]
	ds_load_2addr_b64 v[214:217], v250 offset0:66 offset1:67
	s_waitcnt lgkmcnt(0)
	v_mul_f64 v[80:81], v[216:217], v[82:83]
	s_delay_alu instid0(VALU_DEP_1) | instskip(SKIP_1) | instid1(VALU_DEP_2)
	v_fma_f64 v[80:81], v[214:215], v[212:213], -v[80:81]
	v_mul_f64 v[214:215], v[214:215], v[82:83]
	v_add_f64 v[76:77], v[76:77], -v[80:81]
	s_delay_alu instid0(VALU_DEP_2) | instskip(NEXT) | instid1(VALU_DEP_1)
	v_fma_f64 v[214:215], v[216:217], v[212:213], v[214:215]
	v_add_f64 v[78:79], v[78:79], -v[214:215]
	ds_load_2addr_b64 v[214:217], v250 offset0:68 offset1:69
	s_waitcnt lgkmcnt(0)
	v_mul_f64 v[80:81], v[216:217], v[82:83]
	s_delay_alu instid0(VALU_DEP_1) | instskip(SKIP_1) | instid1(VALU_DEP_2)
	v_fma_f64 v[80:81], v[214:215], v[212:213], -v[80:81]
	v_mul_f64 v[214:215], v[214:215], v[82:83]
	v_add_f64 v[72:73], v[72:73], -v[80:81]
	s_delay_alu instid0(VALU_DEP_2) | instskip(NEXT) | instid1(VALU_DEP_1)
	v_fma_f64 v[214:215], v[216:217], v[212:213], v[214:215]
	v_add_f64 v[74:75], v[74:75], -v[214:215]
	;; [unrolled: 10-line block ×19, first 2 shown]
	ds_load_2addr_b64 v[214:217], v250 offset0:104 offset1:105
	s_waitcnt lgkmcnt(0)
	v_mul_f64 v[80:81], v[216:217], v[82:83]
	s_delay_alu instid0(VALU_DEP_1) | instskip(SKIP_1) | instid1(VALU_DEP_2)
	v_fma_f64 v[80:81], v[214:215], v[212:213], -v[80:81]
	v_mul_f64 v[214:215], v[214:215], v[82:83]
	v_add_f64 v[0:1], v[0:1], -v[80:81]
	s_delay_alu instid0(VALU_DEP_2) | instskip(SKIP_1) | instid1(VALU_DEP_2)
	v_fma_f64 v[214:215], v[216:217], v[212:213], v[214:215]
	v_dual_mov_b32 v80, v212 :: v_dual_mov_b32 v81, v213
	v_add_f64 v[2:3], v[2:3], -v[214:215]
.LBB105_298:
	s_or_b32 exec_lo, exec_lo, s3
	s_delay_alu instid0(SALU_CYCLE_1)
	s_mov_b32 s4, exec_lo
	s_waitcnt_vscnt null, 0x0
	s_barrier
	buffer_gl0_inv
	v_cmpx_eq_u32_e32 33, v205
	s_cbranch_execz .LBB105_305
; %bb.299:
	ds_store_2addr_b64 v255, v[76:77], v[78:79] offset1:1
	ds_store_2addr_b64 v250, v[72:73], v[74:75] offset0:68 offset1:69
	ds_store_2addr_b64 v250, v[68:69], v[70:71] offset0:70 offset1:71
	;; [unrolled: 1-line block ×19, first 2 shown]
	ds_load_2addr_b64 v[212:215], v255 offset1:1
	s_waitcnt lgkmcnt(0)
	v_cmp_neq_f64_e32 vcc_lo, 0, v[212:213]
	v_cmp_neq_f64_e64 s3, 0, v[214:215]
	s_delay_alu instid0(VALU_DEP_1) | instskip(NEXT) | instid1(SALU_CYCLE_1)
	s_or_b32 s3, vcc_lo, s3
	s_and_b32 exec_lo, exec_lo, s3
	s_cbranch_execz .LBB105_305
; %bb.300:
	v_cmp_gt_f64_e32 vcc_lo, 0, v[212:213]
	v_xor_b32_e32 v204, 0x80000000, v213
	s_mov_b32 s3, exec_lo
                                        ; implicit-def: $vgpr220_vgpr221
	s_delay_alu instid0(VALU_DEP_1) | instskip(SKIP_3) | instid1(VALU_DEP_1)
	v_cndmask_b32_e32 v217, v213, v204, vcc_lo
	v_cndmask_b32_e32 v216, v212, v212, vcc_lo
	v_cmp_gt_f64_e32 vcc_lo, 0, v[214:215]
	v_xor_b32_e32 v204, 0x80000000, v215
	v_dual_cndmask_b32 v218, v214, v214 :: v_dual_cndmask_b32 v219, v215, v204
	s_delay_alu instid0(VALU_DEP_1)
	v_cmpx_ngt_f64_e32 v[216:217], v[218:219]
	s_xor_b32 s3, exec_lo, s3
                                        ; implicit-def: $vgpr216_vgpr217_vgpr218_vgpr219
	s_cbranch_execz .LBB105_302
; %bb.301:
	v_div_scale_f64 v[216:217], null, v[214:215], v[214:215], v[212:213]
	v_div_scale_f64 v[222:223], vcc_lo, v[212:213], v[214:215], v[212:213]
	s_delay_alu instid0(VALU_DEP_2) | instskip(SKIP_2) | instid1(VALU_DEP_1)
	v_rcp_f64_e32 v[218:219], v[216:217]
	s_waitcnt_depctr 0xfff
	v_fma_f64 v[220:221], -v[216:217], v[218:219], 1.0
	v_fma_f64 v[218:219], v[218:219], v[220:221], v[218:219]
	s_delay_alu instid0(VALU_DEP_1) | instskip(NEXT) | instid1(VALU_DEP_1)
	v_fma_f64 v[220:221], -v[216:217], v[218:219], 1.0
	v_fma_f64 v[218:219], v[218:219], v[220:221], v[218:219]
	s_delay_alu instid0(VALU_DEP_1) | instskip(NEXT) | instid1(VALU_DEP_1)
	v_mul_f64 v[220:221], v[222:223], v[218:219]
	v_fma_f64 v[216:217], -v[216:217], v[220:221], v[222:223]
	s_delay_alu instid0(VALU_DEP_1) | instskip(NEXT) | instid1(VALU_DEP_1)
	v_div_fmas_f64 v[216:217], v[216:217], v[218:219], v[220:221]
	v_div_fixup_f64 v[216:217], v[216:217], v[214:215], v[212:213]
	s_delay_alu instid0(VALU_DEP_1) | instskip(NEXT) | instid1(VALU_DEP_1)
	v_fma_f64 v[212:213], v[212:213], v[216:217], v[214:215]
	v_div_scale_f64 v[214:215], null, v[212:213], v[212:213], 1.0
	s_delay_alu instid0(VALU_DEP_1) | instskip(SKIP_2) | instid1(VALU_DEP_1)
	v_rcp_f64_e32 v[218:219], v[214:215]
	s_waitcnt_depctr 0xfff
	v_fma_f64 v[220:221], -v[214:215], v[218:219], 1.0
	v_fma_f64 v[218:219], v[218:219], v[220:221], v[218:219]
	s_delay_alu instid0(VALU_DEP_1) | instskip(NEXT) | instid1(VALU_DEP_1)
	v_fma_f64 v[220:221], -v[214:215], v[218:219], 1.0
	v_fma_f64 v[218:219], v[218:219], v[220:221], v[218:219]
	v_div_scale_f64 v[220:221], vcc_lo, 1.0, v[212:213], 1.0
	s_delay_alu instid0(VALU_DEP_1) | instskip(NEXT) | instid1(VALU_DEP_1)
	v_mul_f64 v[222:223], v[220:221], v[218:219]
	v_fma_f64 v[214:215], -v[214:215], v[222:223], v[220:221]
	s_delay_alu instid0(VALU_DEP_1) | instskip(NEXT) | instid1(VALU_DEP_1)
	v_div_fmas_f64 v[214:215], v[214:215], v[218:219], v[222:223]
	v_div_fixup_f64 v[218:219], v[214:215], v[212:213], 1.0
                                        ; implicit-def: $vgpr212_vgpr213
	s_delay_alu instid0(VALU_DEP_1)
	v_mul_f64 v[220:221], v[216:217], v[218:219]
	v_xor_b32_e32 v219, 0x80000000, v219
.LBB105_302:
	s_and_not1_saveexec_b32 s3, s3
	s_cbranch_execz .LBB105_304
; %bb.303:
	v_div_scale_f64 v[216:217], null, v[212:213], v[212:213], v[214:215]
	v_div_scale_f64 v[222:223], vcc_lo, v[214:215], v[212:213], v[214:215]
	s_delay_alu instid0(VALU_DEP_2) | instskip(SKIP_2) | instid1(VALU_DEP_1)
	v_rcp_f64_e32 v[218:219], v[216:217]
	s_waitcnt_depctr 0xfff
	v_fma_f64 v[220:221], -v[216:217], v[218:219], 1.0
	v_fma_f64 v[218:219], v[218:219], v[220:221], v[218:219]
	s_delay_alu instid0(VALU_DEP_1) | instskip(NEXT) | instid1(VALU_DEP_1)
	v_fma_f64 v[220:221], -v[216:217], v[218:219], 1.0
	v_fma_f64 v[218:219], v[218:219], v[220:221], v[218:219]
	s_delay_alu instid0(VALU_DEP_1) | instskip(NEXT) | instid1(VALU_DEP_1)
	v_mul_f64 v[220:221], v[222:223], v[218:219]
	v_fma_f64 v[216:217], -v[216:217], v[220:221], v[222:223]
	s_delay_alu instid0(VALU_DEP_1) | instskip(NEXT) | instid1(VALU_DEP_1)
	v_div_fmas_f64 v[216:217], v[216:217], v[218:219], v[220:221]
	v_div_fixup_f64 v[216:217], v[216:217], v[212:213], v[214:215]
	s_delay_alu instid0(VALU_DEP_1) | instskip(NEXT) | instid1(VALU_DEP_1)
	v_fma_f64 v[212:213], v[214:215], v[216:217], v[212:213]
	v_div_scale_f64 v[214:215], null, v[212:213], v[212:213], 1.0
	s_delay_alu instid0(VALU_DEP_1) | instskip(SKIP_2) | instid1(VALU_DEP_1)
	v_rcp_f64_e32 v[218:219], v[214:215]
	s_waitcnt_depctr 0xfff
	v_fma_f64 v[220:221], -v[214:215], v[218:219], 1.0
	v_fma_f64 v[218:219], v[218:219], v[220:221], v[218:219]
	s_delay_alu instid0(VALU_DEP_1) | instskip(NEXT) | instid1(VALU_DEP_1)
	v_fma_f64 v[220:221], -v[214:215], v[218:219], 1.0
	v_fma_f64 v[218:219], v[218:219], v[220:221], v[218:219]
	v_div_scale_f64 v[220:221], vcc_lo, 1.0, v[212:213], 1.0
	s_delay_alu instid0(VALU_DEP_1) | instskip(NEXT) | instid1(VALU_DEP_1)
	v_mul_f64 v[222:223], v[220:221], v[218:219]
	v_fma_f64 v[214:215], -v[214:215], v[222:223], v[220:221]
	s_delay_alu instid0(VALU_DEP_1) | instskip(NEXT) | instid1(VALU_DEP_1)
	v_div_fmas_f64 v[214:215], v[214:215], v[218:219], v[222:223]
	v_div_fixup_f64 v[220:221], v[214:215], v[212:213], 1.0
	s_delay_alu instid0(VALU_DEP_1)
	v_mul_f64 v[218:219], v[216:217], -v[220:221]
.LBB105_304:
	s_or_b32 exec_lo, exec_lo, s3
	ds_store_2addr_b64 v255, v[220:221], v[218:219] offset1:1
.LBB105_305:
	s_or_b32 exec_lo, exec_lo, s4
	s_waitcnt lgkmcnt(0)
	s_barrier
	buffer_gl0_inv
	ds_load_2addr_b64 v[212:215], v255 offset1:1
	s_mov_b32 s3, exec_lo
	s_waitcnt lgkmcnt(0)
	scratch_store_b128 off, v[212:215], off offset:968 ; 16-byte Folded Spill
	v_cmpx_lt_u32_e32 33, v205
	s_cbranch_execz .LBB105_307
; %bb.306:
	scratch_load_b128 v[214:217], off, off offset:968 ; 16-byte Folded Reload
	s_waitcnt vmcnt(0)
	v_mul_f64 v[212:213], v[216:217], v[78:79]
	v_mul_f64 v[78:79], v[214:215], v[78:79]
	s_delay_alu instid0(VALU_DEP_2) | instskip(NEXT) | instid1(VALU_DEP_2)
	v_fma_f64 v[212:213], v[214:215], v[76:77], -v[212:213]
	v_fma_f64 v[78:79], v[216:217], v[76:77], v[78:79]
	ds_load_2addr_b64 v[214:217], v250 offset0:68 offset1:69
	s_waitcnt lgkmcnt(0)
	v_mul_f64 v[76:77], v[216:217], v[78:79]
	s_delay_alu instid0(VALU_DEP_1) | instskip(SKIP_1) | instid1(VALU_DEP_2)
	v_fma_f64 v[76:77], v[214:215], v[212:213], -v[76:77]
	v_mul_f64 v[214:215], v[214:215], v[78:79]
	v_add_f64 v[72:73], v[72:73], -v[76:77]
	s_delay_alu instid0(VALU_DEP_2) | instskip(NEXT) | instid1(VALU_DEP_1)
	v_fma_f64 v[214:215], v[216:217], v[212:213], v[214:215]
	v_add_f64 v[74:75], v[74:75], -v[214:215]
	ds_load_2addr_b64 v[214:217], v250 offset0:70 offset1:71
	s_waitcnt lgkmcnt(0)
	v_mul_f64 v[76:77], v[216:217], v[78:79]
	s_delay_alu instid0(VALU_DEP_1) | instskip(SKIP_1) | instid1(VALU_DEP_2)
	v_fma_f64 v[76:77], v[214:215], v[212:213], -v[76:77]
	v_mul_f64 v[214:215], v[214:215], v[78:79]
	v_add_f64 v[68:69], v[68:69], -v[76:77]
	s_delay_alu instid0(VALU_DEP_2) | instskip(NEXT) | instid1(VALU_DEP_1)
	v_fma_f64 v[214:215], v[216:217], v[212:213], v[214:215]
	v_add_f64 v[70:71], v[70:71], -v[214:215]
	;; [unrolled: 10-line block ×18, first 2 shown]
	ds_load_2addr_b64 v[214:217], v250 offset0:104 offset1:105
	s_waitcnt lgkmcnt(0)
	v_mul_f64 v[76:77], v[216:217], v[78:79]
	s_delay_alu instid0(VALU_DEP_1) | instskip(SKIP_1) | instid1(VALU_DEP_2)
	v_fma_f64 v[76:77], v[214:215], v[212:213], -v[76:77]
	v_mul_f64 v[214:215], v[214:215], v[78:79]
	v_add_f64 v[0:1], v[0:1], -v[76:77]
	s_delay_alu instid0(VALU_DEP_2) | instskip(SKIP_1) | instid1(VALU_DEP_2)
	v_fma_f64 v[214:215], v[216:217], v[212:213], v[214:215]
	v_dual_mov_b32 v76, v212 :: v_dual_mov_b32 v77, v213
	v_add_f64 v[2:3], v[2:3], -v[214:215]
.LBB105_307:
	s_or_b32 exec_lo, exec_lo, s3
	s_delay_alu instid0(SALU_CYCLE_1)
	s_mov_b32 s4, exec_lo
	s_waitcnt_vscnt null, 0x0
	s_barrier
	buffer_gl0_inv
	v_cmpx_eq_u32_e32 34, v205
	s_cbranch_execz .LBB105_314
; %bb.308:
	ds_store_2addr_b64 v255, v[72:73], v[74:75] offset1:1
	ds_store_2addr_b64 v250, v[68:69], v[70:71] offset0:70 offset1:71
	ds_store_2addr_b64 v250, v[64:65], v[66:67] offset0:72 offset1:73
	;; [unrolled: 1-line block ×18, first 2 shown]
	ds_load_2addr_b64 v[212:215], v255 offset1:1
	s_waitcnt lgkmcnt(0)
	v_cmp_neq_f64_e32 vcc_lo, 0, v[212:213]
	v_cmp_neq_f64_e64 s3, 0, v[214:215]
	s_delay_alu instid0(VALU_DEP_1) | instskip(NEXT) | instid1(SALU_CYCLE_1)
	s_or_b32 s3, vcc_lo, s3
	s_and_b32 exec_lo, exec_lo, s3
	s_cbranch_execz .LBB105_314
; %bb.309:
	v_cmp_gt_f64_e32 vcc_lo, 0, v[212:213]
	v_xor_b32_e32 v204, 0x80000000, v213
	s_mov_b32 s3, exec_lo
                                        ; implicit-def: $vgpr220_vgpr221
	s_delay_alu instid0(VALU_DEP_1) | instskip(SKIP_3) | instid1(VALU_DEP_1)
	v_cndmask_b32_e32 v217, v213, v204, vcc_lo
	v_cndmask_b32_e32 v216, v212, v212, vcc_lo
	v_cmp_gt_f64_e32 vcc_lo, 0, v[214:215]
	v_xor_b32_e32 v204, 0x80000000, v215
	v_dual_cndmask_b32 v218, v214, v214 :: v_dual_cndmask_b32 v219, v215, v204
	s_delay_alu instid0(VALU_DEP_1)
	v_cmpx_ngt_f64_e32 v[216:217], v[218:219]
	s_xor_b32 s3, exec_lo, s3
                                        ; implicit-def: $vgpr216_vgpr217_vgpr218_vgpr219
	s_cbranch_execz .LBB105_311
; %bb.310:
	v_div_scale_f64 v[216:217], null, v[214:215], v[214:215], v[212:213]
	v_div_scale_f64 v[222:223], vcc_lo, v[212:213], v[214:215], v[212:213]
	s_delay_alu instid0(VALU_DEP_2) | instskip(SKIP_2) | instid1(VALU_DEP_1)
	v_rcp_f64_e32 v[218:219], v[216:217]
	s_waitcnt_depctr 0xfff
	v_fma_f64 v[220:221], -v[216:217], v[218:219], 1.0
	v_fma_f64 v[218:219], v[218:219], v[220:221], v[218:219]
	s_delay_alu instid0(VALU_DEP_1) | instskip(NEXT) | instid1(VALU_DEP_1)
	v_fma_f64 v[220:221], -v[216:217], v[218:219], 1.0
	v_fma_f64 v[218:219], v[218:219], v[220:221], v[218:219]
	s_delay_alu instid0(VALU_DEP_1) | instskip(NEXT) | instid1(VALU_DEP_1)
	v_mul_f64 v[220:221], v[222:223], v[218:219]
	v_fma_f64 v[216:217], -v[216:217], v[220:221], v[222:223]
	s_delay_alu instid0(VALU_DEP_1) | instskip(NEXT) | instid1(VALU_DEP_1)
	v_div_fmas_f64 v[216:217], v[216:217], v[218:219], v[220:221]
	v_div_fixup_f64 v[216:217], v[216:217], v[214:215], v[212:213]
	s_delay_alu instid0(VALU_DEP_1) | instskip(NEXT) | instid1(VALU_DEP_1)
	v_fma_f64 v[212:213], v[212:213], v[216:217], v[214:215]
	v_div_scale_f64 v[214:215], null, v[212:213], v[212:213], 1.0
	s_delay_alu instid0(VALU_DEP_1) | instskip(SKIP_2) | instid1(VALU_DEP_1)
	v_rcp_f64_e32 v[218:219], v[214:215]
	s_waitcnt_depctr 0xfff
	v_fma_f64 v[220:221], -v[214:215], v[218:219], 1.0
	v_fma_f64 v[218:219], v[218:219], v[220:221], v[218:219]
	s_delay_alu instid0(VALU_DEP_1) | instskip(NEXT) | instid1(VALU_DEP_1)
	v_fma_f64 v[220:221], -v[214:215], v[218:219], 1.0
	v_fma_f64 v[218:219], v[218:219], v[220:221], v[218:219]
	v_div_scale_f64 v[220:221], vcc_lo, 1.0, v[212:213], 1.0
	s_delay_alu instid0(VALU_DEP_1) | instskip(NEXT) | instid1(VALU_DEP_1)
	v_mul_f64 v[222:223], v[220:221], v[218:219]
	v_fma_f64 v[214:215], -v[214:215], v[222:223], v[220:221]
	s_delay_alu instid0(VALU_DEP_1) | instskip(NEXT) | instid1(VALU_DEP_1)
	v_div_fmas_f64 v[214:215], v[214:215], v[218:219], v[222:223]
	v_div_fixup_f64 v[218:219], v[214:215], v[212:213], 1.0
                                        ; implicit-def: $vgpr212_vgpr213
	s_delay_alu instid0(VALU_DEP_1)
	v_mul_f64 v[220:221], v[216:217], v[218:219]
	v_xor_b32_e32 v219, 0x80000000, v219
.LBB105_311:
	s_and_not1_saveexec_b32 s3, s3
	s_cbranch_execz .LBB105_313
; %bb.312:
	v_div_scale_f64 v[216:217], null, v[212:213], v[212:213], v[214:215]
	v_div_scale_f64 v[222:223], vcc_lo, v[214:215], v[212:213], v[214:215]
	s_delay_alu instid0(VALU_DEP_2) | instskip(SKIP_2) | instid1(VALU_DEP_1)
	v_rcp_f64_e32 v[218:219], v[216:217]
	s_waitcnt_depctr 0xfff
	v_fma_f64 v[220:221], -v[216:217], v[218:219], 1.0
	v_fma_f64 v[218:219], v[218:219], v[220:221], v[218:219]
	s_delay_alu instid0(VALU_DEP_1) | instskip(NEXT) | instid1(VALU_DEP_1)
	v_fma_f64 v[220:221], -v[216:217], v[218:219], 1.0
	v_fma_f64 v[218:219], v[218:219], v[220:221], v[218:219]
	s_delay_alu instid0(VALU_DEP_1) | instskip(NEXT) | instid1(VALU_DEP_1)
	v_mul_f64 v[220:221], v[222:223], v[218:219]
	v_fma_f64 v[216:217], -v[216:217], v[220:221], v[222:223]
	s_delay_alu instid0(VALU_DEP_1) | instskip(NEXT) | instid1(VALU_DEP_1)
	v_div_fmas_f64 v[216:217], v[216:217], v[218:219], v[220:221]
	v_div_fixup_f64 v[216:217], v[216:217], v[212:213], v[214:215]
	s_delay_alu instid0(VALU_DEP_1) | instskip(NEXT) | instid1(VALU_DEP_1)
	v_fma_f64 v[212:213], v[214:215], v[216:217], v[212:213]
	v_div_scale_f64 v[214:215], null, v[212:213], v[212:213], 1.0
	s_delay_alu instid0(VALU_DEP_1) | instskip(SKIP_2) | instid1(VALU_DEP_1)
	v_rcp_f64_e32 v[218:219], v[214:215]
	s_waitcnt_depctr 0xfff
	v_fma_f64 v[220:221], -v[214:215], v[218:219], 1.0
	v_fma_f64 v[218:219], v[218:219], v[220:221], v[218:219]
	s_delay_alu instid0(VALU_DEP_1) | instskip(NEXT) | instid1(VALU_DEP_1)
	v_fma_f64 v[220:221], -v[214:215], v[218:219], 1.0
	v_fma_f64 v[218:219], v[218:219], v[220:221], v[218:219]
	v_div_scale_f64 v[220:221], vcc_lo, 1.0, v[212:213], 1.0
	s_delay_alu instid0(VALU_DEP_1) | instskip(NEXT) | instid1(VALU_DEP_1)
	v_mul_f64 v[222:223], v[220:221], v[218:219]
	v_fma_f64 v[214:215], -v[214:215], v[222:223], v[220:221]
	s_delay_alu instid0(VALU_DEP_1) | instskip(NEXT) | instid1(VALU_DEP_1)
	v_div_fmas_f64 v[214:215], v[214:215], v[218:219], v[222:223]
	v_div_fixup_f64 v[220:221], v[214:215], v[212:213], 1.0
	s_delay_alu instid0(VALU_DEP_1)
	v_mul_f64 v[218:219], v[216:217], -v[220:221]
.LBB105_313:
	s_or_b32 exec_lo, exec_lo, s3
	ds_store_2addr_b64 v255, v[220:221], v[218:219] offset1:1
.LBB105_314:
	s_or_b32 exec_lo, exec_lo, s4
	s_waitcnt lgkmcnt(0)
	s_barrier
	buffer_gl0_inv
	ds_load_2addr_b64 v[212:215], v255 offset1:1
	s_mov_b32 s3, exec_lo
	s_waitcnt lgkmcnt(0)
	scratch_store_b128 off, v[212:215], off offset:984 ; 16-byte Folded Spill
	v_cmpx_lt_u32_e32 34, v205
	s_cbranch_execz .LBB105_316
; %bb.315:
	scratch_load_b128 v[214:217], off, off offset:984 ; 16-byte Folded Reload
	s_waitcnt vmcnt(0)
	v_mul_f64 v[212:213], v[216:217], v[74:75]
	v_mul_f64 v[74:75], v[214:215], v[74:75]
	s_delay_alu instid0(VALU_DEP_2) | instskip(NEXT) | instid1(VALU_DEP_2)
	v_fma_f64 v[212:213], v[214:215], v[72:73], -v[212:213]
	v_fma_f64 v[74:75], v[216:217], v[72:73], v[74:75]
	ds_load_2addr_b64 v[214:217], v250 offset0:70 offset1:71
	s_waitcnt lgkmcnt(0)
	v_mul_f64 v[72:73], v[216:217], v[74:75]
	s_delay_alu instid0(VALU_DEP_1) | instskip(SKIP_1) | instid1(VALU_DEP_2)
	v_fma_f64 v[72:73], v[214:215], v[212:213], -v[72:73]
	v_mul_f64 v[214:215], v[214:215], v[74:75]
	v_add_f64 v[68:69], v[68:69], -v[72:73]
	s_delay_alu instid0(VALU_DEP_2) | instskip(NEXT) | instid1(VALU_DEP_1)
	v_fma_f64 v[214:215], v[216:217], v[212:213], v[214:215]
	v_add_f64 v[70:71], v[70:71], -v[214:215]
	ds_load_2addr_b64 v[214:217], v250 offset0:72 offset1:73
	s_waitcnt lgkmcnt(0)
	v_mul_f64 v[72:73], v[216:217], v[74:75]
	s_delay_alu instid0(VALU_DEP_1) | instskip(SKIP_1) | instid1(VALU_DEP_2)
	v_fma_f64 v[72:73], v[214:215], v[212:213], -v[72:73]
	v_mul_f64 v[214:215], v[214:215], v[74:75]
	v_add_f64 v[64:65], v[64:65], -v[72:73]
	s_delay_alu instid0(VALU_DEP_2) | instskip(NEXT) | instid1(VALU_DEP_1)
	v_fma_f64 v[214:215], v[216:217], v[212:213], v[214:215]
	v_add_f64 v[66:67], v[66:67], -v[214:215]
	;; [unrolled: 10-line block ×17, first 2 shown]
	ds_load_2addr_b64 v[214:217], v250 offset0:104 offset1:105
	s_waitcnt lgkmcnt(0)
	v_mul_f64 v[72:73], v[216:217], v[74:75]
	s_delay_alu instid0(VALU_DEP_1) | instskip(SKIP_1) | instid1(VALU_DEP_2)
	v_fma_f64 v[72:73], v[214:215], v[212:213], -v[72:73]
	v_mul_f64 v[214:215], v[214:215], v[74:75]
	v_add_f64 v[0:1], v[0:1], -v[72:73]
	s_delay_alu instid0(VALU_DEP_2) | instskip(SKIP_1) | instid1(VALU_DEP_2)
	v_fma_f64 v[214:215], v[216:217], v[212:213], v[214:215]
	v_dual_mov_b32 v72, v212 :: v_dual_mov_b32 v73, v213
	v_add_f64 v[2:3], v[2:3], -v[214:215]
.LBB105_316:
	s_or_b32 exec_lo, exec_lo, s3
	s_delay_alu instid0(SALU_CYCLE_1)
	s_mov_b32 s4, exec_lo
	s_waitcnt_vscnt null, 0x0
	s_barrier
	buffer_gl0_inv
	v_cmpx_eq_u32_e32 35, v205
	s_cbranch_execz .LBB105_323
; %bb.317:
	ds_store_2addr_b64 v255, v[68:69], v[70:71] offset1:1
	ds_store_2addr_b64 v250, v[64:65], v[66:67] offset0:72 offset1:73
	ds_store_2addr_b64 v250, v[60:61], v[62:63] offset0:74 offset1:75
	;; [unrolled: 1-line block ×17, first 2 shown]
	ds_load_2addr_b64 v[212:215], v255 offset1:1
	s_waitcnt lgkmcnt(0)
	v_cmp_neq_f64_e32 vcc_lo, 0, v[212:213]
	v_cmp_neq_f64_e64 s3, 0, v[214:215]
	s_delay_alu instid0(VALU_DEP_1) | instskip(NEXT) | instid1(SALU_CYCLE_1)
	s_or_b32 s3, vcc_lo, s3
	s_and_b32 exec_lo, exec_lo, s3
	s_cbranch_execz .LBB105_323
; %bb.318:
	v_cmp_gt_f64_e32 vcc_lo, 0, v[212:213]
	v_xor_b32_e32 v204, 0x80000000, v213
	s_mov_b32 s3, exec_lo
                                        ; implicit-def: $vgpr220_vgpr221
	s_delay_alu instid0(VALU_DEP_1) | instskip(SKIP_3) | instid1(VALU_DEP_1)
	v_cndmask_b32_e32 v217, v213, v204, vcc_lo
	v_cndmask_b32_e32 v216, v212, v212, vcc_lo
	v_cmp_gt_f64_e32 vcc_lo, 0, v[214:215]
	v_xor_b32_e32 v204, 0x80000000, v215
	v_dual_cndmask_b32 v218, v214, v214 :: v_dual_cndmask_b32 v219, v215, v204
	s_delay_alu instid0(VALU_DEP_1)
	v_cmpx_ngt_f64_e32 v[216:217], v[218:219]
	s_xor_b32 s3, exec_lo, s3
                                        ; implicit-def: $vgpr216_vgpr217_vgpr218_vgpr219
	s_cbranch_execz .LBB105_320
; %bb.319:
	v_div_scale_f64 v[216:217], null, v[214:215], v[214:215], v[212:213]
	v_div_scale_f64 v[222:223], vcc_lo, v[212:213], v[214:215], v[212:213]
	s_delay_alu instid0(VALU_DEP_2) | instskip(SKIP_2) | instid1(VALU_DEP_1)
	v_rcp_f64_e32 v[218:219], v[216:217]
	s_waitcnt_depctr 0xfff
	v_fma_f64 v[220:221], -v[216:217], v[218:219], 1.0
	v_fma_f64 v[218:219], v[218:219], v[220:221], v[218:219]
	s_delay_alu instid0(VALU_DEP_1) | instskip(NEXT) | instid1(VALU_DEP_1)
	v_fma_f64 v[220:221], -v[216:217], v[218:219], 1.0
	v_fma_f64 v[218:219], v[218:219], v[220:221], v[218:219]
	s_delay_alu instid0(VALU_DEP_1) | instskip(NEXT) | instid1(VALU_DEP_1)
	v_mul_f64 v[220:221], v[222:223], v[218:219]
	v_fma_f64 v[216:217], -v[216:217], v[220:221], v[222:223]
	s_delay_alu instid0(VALU_DEP_1) | instskip(NEXT) | instid1(VALU_DEP_1)
	v_div_fmas_f64 v[216:217], v[216:217], v[218:219], v[220:221]
	v_div_fixup_f64 v[216:217], v[216:217], v[214:215], v[212:213]
	s_delay_alu instid0(VALU_DEP_1) | instskip(NEXT) | instid1(VALU_DEP_1)
	v_fma_f64 v[212:213], v[212:213], v[216:217], v[214:215]
	v_div_scale_f64 v[214:215], null, v[212:213], v[212:213], 1.0
	s_delay_alu instid0(VALU_DEP_1) | instskip(SKIP_2) | instid1(VALU_DEP_1)
	v_rcp_f64_e32 v[218:219], v[214:215]
	s_waitcnt_depctr 0xfff
	v_fma_f64 v[220:221], -v[214:215], v[218:219], 1.0
	v_fma_f64 v[218:219], v[218:219], v[220:221], v[218:219]
	s_delay_alu instid0(VALU_DEP_1) | instskip(NEXT) | instid1(VALU_DEP_1)
	v_fma_f64 v[220:221], -v[214:215], v[218:219], 1.0
	v_fma_f64 v[218:219], v[218:219], v[220:221], v[218:219]
	v_div_scale_f64 v[220:221], vcc_lo, 1.0, v[212:213], 1.0
	s_delay_alu instid0(VALU_DEP_1) | instskip(NEXT) | instid1(VALU_DEP_1)
	v_mul_f64 v[222:223], v[220:221], v[218:219]
	v_fma_f64 v[214:215], -v[214:215], v[222:223], v[220:221]
	s_delay_alu instid0(VALU_DEP_1) | instskip(NEXT) | instid1(VALU_DEP_1)
	v_div_fmas_f64 v[214:215], v[214:215], v[218:219], v[222:223]
	v_div_fixup_f64 v[218:219], v[214:215], v[212:213], 1.0
                                        ; implicit-def: $vgpr212_vgpr213
	s_delay_alu instid0(VALU_DEP_1)
	v_mul_f64 v[220:221], v[216:217], v[218:219]
	v_xor_b32_e32 v219, 0x80000000, v219
.LBB105_320:
	s_and_not1_saveexec_b32 s3, s3
	s_cbranch_execz .LBB105_322
; %bb.321:
	v_div_scale_f64 v[216:217], null, v[212:213], v[212:213], v[214:215]
	v_div_scale_f64 v[222:223], vcc_lo, v[214:215], v[212:213], v[214:215]
	s_delay_alu instid0(VALU_DEP_2) | instskip(SKIP_2) | instid1(VALU_DEP_1)
	v_rcp_f64_e32 v[218:219], v[216:217]
	s_waitcnt_depctr 0xfff
	v_fma_f64 v[220:221], -v[216:217], v[218:219], 1.0
	v_fma_f64 v[218:219], v[218:219], v[220:221], v[218:219]
	s_delay_alu instid0(VALU_DEP_1) | instskip(NEXT) | instid1(VALU_DEP_1)
	v_fma_f64 v[220:221], -v[216:217], v[218:219], 1.0
	v_fma_f64 v[218:219], v[218:219], v[220:221], v[218:219]
	s_delay_alu instid0(VALU_DEP_1) | instskip(NEXT) | instid1(VALU_DEP_1)
	v_mul_f64 v[220:221], v[222:223], v[218:219]
	v_fma_f64 v[216:217], -v[216:217], v[220:221], v[222:223]
	s_delay_alu instid0(VALU_DEP_1) | instskip(NEXT) | instid1(VALU_DEP_1)
	v_div_fmas_f64 v[216:217], v[216:217], v[218:219], v[220:221]
	v_div_fixup_f64 v[216:217], v[216:217], v[212:213], v[214:215]
	s_delay_alu instid0(VALU_DEP_1) | instskip(NEXT) | instid1(VALU_DEP_1)
	v_fma_f64 v[212:213], v[214:215], v[216:217], v[212:213]
	v_div_scale_f64 v[214:215], null, v[212:213], v[212:213], 1.0
	s_delay_alu instid0(VALU_DEP_1) | instskip(SKIP_2) | instid1(VALU_DEP_1)
	v_rcp_f64_e32 v[218:219], v[214:215]
	s_waitcnt_depctr 0xfff
	v_fma_f64 v[220:221], -v[214:215], v[218:219], 1.0
	v_fma_f64 v[218:219], v[218:219], v[220:221], v[218:219]
	s_delay_alu instid0(VALU_DEP_1) | instskip(NEXT) | instid1(VALU_DEP_1)
	v_fma_f64 v[220:221], -v[214:215], v[218:219], 1.0
	v_fma_f64 v[218:219], v[218:219], v[220:221], v[218:219]
	v_div_scale_f64 v[220:221], vcc_lo, 1.0, v[212:213], 1.0
	s_delay_alu instid0(VALU_DEP_1) | instskip(NEXT) | instid1(VALU_DEP_1)
	v_mul_f64 v[222:223], v[220:221], v[218:219]
	v_fma_f64 v[214:215], -v[214:215], v[222:223], v[220:221]
	s_delay_alu instid0(VALU_DEP_1) | instskip(NEXT) | instid1(VALU_DEP_1)
	v_div_fmas_f64 v[214:215], v[214:215], v[218:219], v[222:223]
	v_div_fixup_f64 v[220:221], v[214:215], v[212:213], 1.0
	s_delay_alu instid0(VALU_DEP_1)
	v_mul_f64 v[218:219], v[216:217], -v[220:221]
.LBB105_322:
	s_or_b32 exec_lo, exec_lo, s3
	ds_store_2addr_b64 v255, v[220:221], v[218:219] offset1:1
.LBB105_323:
	s_or_b32 exec_lo, exec_lo, s4
	s_waitcnt lgkmcnt(0)
	s_barrier
	buffer_gl0_inv
	ds_load_2addr_b64 v[212:215], v255 offset1:1
	s_mov_b32 s3, exec_lo
	s_waitcnt lgkmcnt(0)
	scratch_store_b128 off, v[212:215], off offset:1000 ; 16-byte Folded Spill
	v_cmpx_lt_u32_e32 35, v205
	s_cbranch_execz .LBB105_325
; %bb.324:
	scratch_load_b128 v[214:217], off, off offset:1000 ; 16-byte Folded Reload
	s_waitcnt vmcnt(0)
	v_mul_f64 v[212:213], v[216:217], v[70:71]
	v_mul_f64 v[70:71], v[214:215], v[70:71]
	s_delay_alu instid0(VALU_DEP_2) | instskip(NEXT) | instid1(VALU_DEP_2)
	v_fma_f64 v[212:213], v[214:215], v[68:69], -v[212:213]
	v_fma_f64 v[70:71], v[216:217], v[68:69], v[70:71]
	ds_load_2addr_b64 v[214:217], v250 offset0:72 offset1:73
	s_waitcnt lgkmcnt(0)
	v_mul_f64 v[68:69], v[216:217], v[70:71]
	s_delay_alu instid0(VALU_DEP_1) | instskip(SKIP_1) | instid1(VALU_DEP_2)
	v_fma_f64 v[68:69], v[214:215], v[212:213], -v[68:69]
	v_mul_f64 v[214:215], v[214:215], v[70:71]
	v_add_f64 v[64:65], v[64:65], -v[68:69]
	s_delay_alu instid0(VALU_DEP_2) | instskip(NEXT) | instid1(VALU_DEP_1)
	v_fma_f64 v[214:215], v[216:217], v[212:213], v[214:215]
	v_add_f64 v[66:67], v[66:67], -v[214:215]
	ds_load_2addr_b64 v[214:217], v250 offset0:74 offset1:75
	s_waitcnt lgkmcnt(0)
	v_mul_f64 v[68:69], v[216:217], v[70:71]
	s_delay_alu instid0(VALU_DEP_1) | instskip(SKIP_1) | instid1(VALU_DEP_2)
	v_fma_f64 v[68:69], v[214:215], v[212:213], -v[68:69]
	v_mul_f64 v[214:215], v[214:215], v[70:71]
	v_add_f64 v[60:61], v[60:61], -v[68:69]
	s_delay_alu instid0(VALU_DEP_2) | instskip(NEXT) | instid1(VALU_DEP_1)
	v_fma_f64 v[214:215], v[216:217], v[212:213], v[214:215]
	v_add_f64 v[62:63], v[62:63], -v[214:215]
	;; [unrolled: 10-line block ×16, first 2 shown]
	ds_load_2addr_b64 v[214:217], v250 offset0:104 offset1:105
	s_waitcnt lgkmcnt(0)
	v_mul_f64 v[68:69], v[216:217], v[70:71]
	s_delay_alu instid0(VALU_DEP_1) | instskip(SKIP_1) | instid1(VALU_DEP_2)
	v_fma_f64 v[68:69], v[214:215], v[212:213], -v[68:69]
	v_mul_f64 v[214:215], v[214:215], v[70:71]
	v_add_f64 v[0:1], v[0:1], -v[68:69]
	s_delay_alu instid0(VALU_DEP_2) | instskip(SKIP_1) | instid1(VALU_DEP_2)
	v_fma_f64 v[214:215], v[216:217], v[212:213], v[214:215]
	v_dual_mov_b32 v68, v212 :: v_dual_mov_b32 v69, v213
	v_add_f64 v[2:3], v[2:3], -v[214:215]
.LBB105_325:
	s_or_b32 exec_lo, exec_lo, s3
	s_delay_alu instid0(SALU_CYCLE_1)
	s_mov_b32 s4, exec_lo
	s_waitcnt_vscnt null, 0x0
	s_barrier
	buffer_gl0_inv
	v_cmpx_eq_u32_e32 36, v205
	s_cbranch_execz .LBB105_332
; %bb.326:
	ds_store_2addr_b64 v255, v[64:65], v[66:67] offset1:1
	ds_store_2addr_b64 v250, v[60:61], v[62:63] offset0:74 offset1:75
	ds_store_2addr_b64 v250, v[56:57], v[58:59] offset0:76 offset1:77
	;; [unrolled: 1-line block ×16, first 2 shown]
	ds_load_2addr_b64 v[212:215], v255 offset1:1
	s_waitcnt lgkmcnt(0)
	v_cmp_neq_f64_e32 vcc_lo, 0, v[212:213]
	v_cmp_neq_f64_e64 s3, 0, v[214:215]
	s_delay_alu instid0(VALU_DEP_1) | instskip(NEXT) | instid1(SALU_CYCLE_1)
	s_or_b32 s3, vcc_lo, s3
	s_and_b32 exec_lo, exec_lo, s3
	s_cbranch_execz .LBB105_332
; %bb.327:
	v_cmp_gt_f64_e32 vcc_lo, 0, v[212:213]
	v_xor_b32_e32 v204, 0x80000000, v213
	s_mov_b32 s3, exec_lo
                                        ; implicit-def: $vgpr220_vgpr221
	s_delay_alu instid0(VALU_DEP_1) | instskip(SKIP_3) | instid1(VALU_DEP_1)
	v_cndmask_b32_e32 v217, v213, v204, vcc_lo
	v_cndmask_b32_e32 v216, v212, v212, vcc_lo
	v_cmp_gt_f64_e32 vcc_lo, 0, v[214:215]
	v_xor_b32_e32 v204, 0x80000000, v215
	v_dual_cndmask_b32 v218, v214, v214 :: v_dual_cndmask_b32 v219, v215, v204
	s_delay_alu instid0(VALU_DEP_1)
	v_cmpx_ngt_f64_e32 v[216:217], v[218:219]
	s_xor_b32 s3, exec_lo, s3
                                        ; implicit-def: $vgpr216_vgpr217_vgpr218_vgpr219
	s_cbranch_execz .LBB105_329
; %bb.328:
	v_div_scale_f64 v[216:217], null, v[214:215], v[214:215], v[212:213]
	v_div_scale_f64 v[222:223], vcc_lo, v[212:213], v[214:215], v[212:213]
	s_delay_alu instid0(VALU_DEP_2) | instskip(SKIP_2) | instid1(VALU_DEP_1)
	v_rcp_f64_e32 v[218:219], v[216:217]
	s_waitcnt_depctr 0xfff
	v_fma_f64 v[220:221], -v[216:217], v[218:219], 1.0
	v_fma_f64 v[218:219], v[218:219], v[220:221], v[218:219]
	s_delay_alu instid0(VALU_DEP_1) | instskip(NEXT) | instid1(VALU_DEP_1)
	v_fma_f64 v[220:221], -v[216:217], v[218:219], 1.0
	v_fma_f64 v[218:219], v[218:219], v[220:221], v[218:219]
	s_delay_alu instid0(VALU_DEP_1) | instskip(NEXT) | instid1(VALU_DEP_1)
	v_mul_f64 v[220:221], v[222:223], v[218:219]
	v_fma_f64 v[216:217], -v[216:217], v[220:221], v[222:223]
	s_delay_alu instid0(VALU_DEP_1) | instskip(NEXT) | instid1(VALU_DEP_1)
	v_div_fmas_f64 v[216:217], v[216:217], v[218:219], v[220:221]
	v_div_fixup_f64 v[216:217], v[216:217], v[214:215], v[212:213]
	s_delay_alu instid0(VALU_DEP_1) | instskip(NEXT) | instid1(VALU_DEP_1)
	v_fma_f64 v[212:213], v[212:213], v[216:217], v[214:215]
	v_div_scale_f64 v[214:215], null, v[212:213], v[212:213], 1.0
	s_delay_alu instid0(VALU_DEP_1) | instskip(SKIP_2) | instid1(VALU_DEP_1)
	v_rcp_f64_e32 v[218:219], v[214:215]
	s_waitcnt_depctr 0xfff
	v_fma_f64 v[220:221], -v[214:215], v[218:219], 1.0
	v_fma_f64 v[218:219], v[218:219], v[220:221], v[218:219]
	s_delay_alu instid0(VALU_DEP_1) | instskip(NEXT) | instid1(VALU_DEP_1)
	v_fma_f64 v[220:221], -v[214:215], v[218:219], 1.0
	v_fma_f64 v[218:219], v[218:219], v[220:221], v[218:219]
	v_div_scale_f64 v[220:221], vcc_lo, 1.0, v[212:213], 1.0
	s_delay_alu instid0(VALU_DEP_1) | instskip(NEXT) | instid1(VALU_DEP_1)
	v_mul_f64 v[222:223], v[220:221], v[218:219]
	v_fma_f64 v[214:215], -v[214:215], v[222:223], v[220:221]
	s_delay_alu instid0(VALU_DEP_1) | instskip(NEXT) | instid1(VALU_DEP_1)
	v_div_fmas_f64 v[214:215], v[214:215], v[218:219], v[222:223]
	v_div_fixup_f64 v[218:219], v[214:215], v[212:213], 1.0
                                        ; implicit-def: $vgpr212_vgpr213
	s_delay_alu instid0(VALU_DEP_1)
	v_mul_f64 v[220:221], v[216:217], v[218:219]
	v_xor_b32_e32 v219, 0x80000000, v219
.LBB105_329:
	s_and_not1_saveexec_b32 s3, s3
	s_cbranch_execz .LBB105_331
; %bb.330:
	v_div_scale_f64 v[216:217], null, v[212:213], v[212:213], v[214:215]
	v_div_scale_f64 v[222:223], vcc_lo, v[214:215], v[212:213], v[214:215]
	s_delay_alu instid0(VALU_DEP_2) | instskip(SKIP_2) | instid1(VALU_DEP_1)
	v_rcp_f64_e32 v[218:219], v[216:217]
	s_waitcnt_depctr 0xfff
	v_fma_f64 v[220:221], -v[216:217], v[218:219], 1.0
	v_fma_f64 v[218:219], v[218:219], v[220:221], v[218:219]
	s_delay_alu instid0(VALU_DEP_1) | instskip(NEXT) | instid1(VALU_DEP_1)
	v_fma_f64 v[220:221], -v[216:217], v[218:219], 1.0
	v_fma_f64 v[218:219], v[218:219], v[220:221], v[218:219]
	s_delay_alu instid0(VALU_DEP_1) | instskip(NEXT) | instid1(VALU_DEP_1)
	v_mul_f64 v[220:221], v[222:223], v[218:219]
	v_fma_f64 v[216:217], -v[216:217], v[220:221], v[222:223]
	s_delay_alu instid0(VALU_DEP_1) | instskip(NEXT) | instid1(VALU_DEP_1)
	v_div_fmas_f64 v[216:217], v[216:217], v[218:219], v[220:221]
	v_div_fixup_f64 v[216:217], v[216:217], v[212:213], v[214:215]
	s_delay_alu instid0(VALU_DEP_1) | instskip(NEXT) | instid1(VALU_DEP_1)
	v_fma_f64 v[212:213], v[214:215], v[216:217], v[212:213]
	v_div_scale_f64 v[214:215], null, v[212:213], v[212:213], 1.0
	s_delay_alu instid0(VALU_DEP_1) | instskip(SKIP_2) | instid1(VALU_DEP_1)
	v_rcp_f64_e32 v[218:219], v[214:215]
	s_waitcnt_depctr 0xfff
	v_fma_f64 v[220:221], -v[214:215], v[218:219], 1.0
	v_fma_f64 v[218:219], v[218:219], v[220:221], v[218:219]
	s_delay_alu instid0(VALU_DEP_1) | instskip(NEXT) | instid1(VALU_DEP_1)
	v_fma_f64 v[220:221], -v[214:215], v[218:219], 1.0
	v_fma_f64 v[218:219], v[218:219], v[220:221], v[218:219]
	v_div_scale_f64 v[220:221], vcc_lo, 1.0, v[212:213], 1.0
	s_delay_alu instid0(VALU_DEP_1) | instskip(NEXT) | instid1(VALU_DEP_1)
	v_mul_f64 v[222:223], v[220:221], v[218:219]
	v_fma_f64 v[214:215], -v[214:215], v[222:223], v[220:221]
	s_delay_alu instid0(VALU_DEP_1) | instskip(NEXT) | instid1(VALU_DEP_1)
	v_div_fmas_f64 v[214:215], v[214:215], v[218:219], v[222:223]
	v_div_fixup_f64 v[220:221], v[214:215], v[212:213], 1.0
	s_delay_alu instid0(VALU_DEP_1)
	v_mul_f64 v[218:219], v[216:217], -v[220:221]
.LBB105_331:
	s_or_b32 exec_lo, exec_lo, s3
	ds_store_2addr_b64 v255, v[220:221], v[218:219] offset1:1
.LBB105_332:
	s_or_b32 exec_lo, exec_lo, s4
	s_waitcnt lgkmcnt(0)
	s_barrier
	buffer_gl0_inv
	ds_load_2addr_b64 v[212:215], v255 offset1:1
	s_mov_b32 s3, exec_lo
	s_waitcnt lgkmcnt(0)
	scratch_store_b128 off, v[212:215], off offset:1016 ; 16-byte Folded Spill
	v_cmpx_lt_u32_e32 36, v205
	s_cbranch_execz .LBB105_334
; %bb.333:
	scratch_load_b128 v[214:217], off, off offset:1016 ; 16-byte Folded Reload
	s_waitcnt vmcnt(0)
	v_mul_f64 v[212:213], v[214:215], v[66:67]
	v_mul_f64 v[66:67], v[216:217], v[66:67]
	s_delay_alu instid0(VALU_DEP_2) | instskip(NEXT) | instid1(VALU_DEP_2)
	v_fma_f64 v[212:213], v[216:217], v[64:65], v[212:213]
	v_fma_f64 v[64:65], v[214:215], v[64:65], -v[66:67]
	ds_load_2addr_b64 v[214:217], v250 offset0:74 offset1:75
	s_waitcnt lgkmcnt(0)
	v_mul_f64 v[66:67], v[216:217], v[212:213]
	s_delay_alu instid0(VALU_DEP_1) | instskip(SKIP_1) | instid1(VALU_DEP_2)
	v_fma_f64 v[66:67], v[214:215], v[64:65], -v[66:67]
	v_mul_f64 v[214:215], v[214:215], v[212:213]
	v_add_f64 v[60:61], v[60:61], -v[66:67]
	s_delay_alu instid0(VALU_DEP_2) | instskip(NEXT) | instid1(VALU_DEP_1)
	v_fma_f64 v[214:215], v[216:217], v[64:65], v[214:215]
	v_add_f64 v[62:63], v[62:63], -v[214:215]
	ds_load_2addr_b64 v[214:217], v250 offset0:76 offset1:77
	s_waitcnt lgkmcnt(0)
	v_mul_f64 v[66:67], v[216:217], v[212:213]
	s_delay_alu instid0(VALU_DEP_1) | instskip(SKIP_1) | instid1(VALU_DEP_2)
	v_fma_f64 v[66:67], v[214:215], v[64:65], -v[66:67]
	v_mul_f64 v[214:215], v[214:215], v[212:213]
	v_add_f64 v[56:57], v[56:57], -v[66:67]
	s_delay_alu instid0(VALU_DEP_2) | instskip(NEXT) | instid1(VALU_DEP_1)
	v_fma_f64 v[214:215], v[216:217], v[64:65], v[214:215]
	v_add_f64 v[58:59], v[58:59], -v[214:215]
	;; [unrolled: 10-line block ×15, first 2 shown]
	ds_load_2addr_b64 v[214:217], v250 offset0:104 offset1:105
	s_waitcnt lgkmcnt(0)
	v_mul_f64 v[66:67], v[216:217], v[212:213]
	s_delay_alu instid0(VALU_DEP_1) | instskip(SKIP_1) | instid1(VALU_DEP_2)
	v_fma_f64 v[66:67], v[214:215], v[64:65], -v[66:67]
	v_mul_f64 v[214:215], v[214:215], v[212:213]
	v_add_f64 v[0:1], v[0:1], -v[66:67]
	s_delay_alu instid0(VALU_DEP_2) | instskip(SKIP_1) | instid1(VALU_DEP_2)
	v_fma_f64 v[214:215], v[216:217], v[64:65], v[214:215]
	v_dual_mov_b32 v66, v212 :: v_dual_mov_b32 v67, v213
	v_add_f64 v[2:3], v[2:3], -v[214:215]
.LBB105_334:
	s_or_b32 exec_lo, exec_lo, s3
	s_delay_alu instid0(SALU_CYCLE_1)
	s_mov_b32 s4, exec_lo
	s_waitcnt_vscnt null, 0x0
	s_barrier
	buffer_gl0_inv
	v_cmpx_eq_u32_e32 37, v205
	s_cbranch_execz .LBB105_341
; %bb.335:
	ds_store_2addr_b64 v255, v[60:61], v[62:63] offset1:1
	ds_store_2addr_b64 v250, v[56:57], v[58:59] offset0:76 offset1:77
	ds_store_2addr_b64 v250, v[52:53], v[54:55] offset0:78 offset1:79
	;; [unrolled: 1-line block ×15, first 2 shown]
	ds_load_2addr_b64 v[212:215], v255 offset1:1
	s_waitcnt lgkmcnt(0)
	v_cmp_neq_f64_e32 vcc_lo, 0, v[212:213]
	v_cmp_neq_f64_e64 s3, 0, v[214:215]
	s_delay_alu instid0(VALU_DEP_1) | instskip(NEXT) | instid1(SALU_CYCLE_1)
	s_or_b32 s3, vcc_lo, s3
	s_and_b32 exec_lo, exec_lo, s3
	s_cbranch_execz .LBB105_341
; %bb.336:
	v_cmp_gt_f64_e32 vcc_lo, 0, v[212:213]
	v_xor_b32_e32 v204, 0x80000000, v213
	s_mov_b32 s3, exec_lo
                                        ; implicit-def: $vgpr220_vgpr221
	s_delay_alu instid0(VALU_DEP_1) | instskip(SKIP_3) | instid1(VALU_DEP_1)
	v_cndmask_b32_e32 v217, v213, v204, vcc_lo
	v_cndmask_b32_e32 v216, v212, v212, vcc_lo
	v_cmp_gt_f64_e32 vcc_lo, 0, v[214:215]
	v_xor_b32_e32 v204, 0x80000000, v215
	v_dual_cndmask_b32 v218, v214, v214 :: v_dual_cndmask_b32 v219, v215, v204
	s_delay_alu instid0(VALU_DEP_1)
	v_cmpx_ngt_f64_e32 v[216:217], v[218:219]
	s_xor_b32 s3, exec_lo, s3
                                        ; implicit-def: $vgpr216_vgpr217_vgpr218_vgpr219
	s_cbranch_execz .LBB105_338
; %bb.337:
	v_div_scale_f64 v[216:217], null, v[214:215], v[214:215], v[212:213]
	v_div_scale_f64 v[222:223], vcc_lo, v[212:213], v[214:215], v[212:213]
	s_delay_alu instid0(VALU_DEP_2) | instskip(SKIP_2) | instid1(VALU_DEP_1)
	v_rcp_f64_e32 v[218:219], v[216:217]
	s_waitcnt_depctr 0xfff
	v_fma_f64 v[220:221], -v[216:217], v[218:219], 1.0
	v_fma_f64 v[218:219], v[218:219], v[220:221], v[218:219]
	s_delay_alu instid0(VALU_DEP_1) | instskip(NEXT) | instid1(VALU_DEP_1)
	v_fma_f64 v[220:221], -v[216:217], v[218:219], 1.0
	v_fma_f64 v[218:219], v[218:219], v[220:221], v[218:219]
	s_delay_alu instid0(VALU_DEP_1) | instskip(NEXT) | instid1(VALU_DEP_1)
	v_mul_f64 v[220:221], v[222:223], v[218:219]
	v_fma_f64 v[216:217], -v[216:217], v[220:221], v[222:223]
	s_delay_alu instid0(VALU_DEP_1) | instskip(NEXT) | instid1(VALU_DEP_1)
	v_div_fmas_f64 v[216:217], v[216:217], v[218:219], v[220:221]
	v_div_fixup_f64 v[216:217], v[216:217], v[214:215], v[212:213]
	s_delay_alu instid0(VALU_DEP_1) | instskip(NEXT) | instid1(VALU_DEP_1)
	v_fma_f64 v[212:213], v[212:213], v[216:217], v[214:215]
	v_div_scale_f64 v[214:215], null, v[212:213], v[212:213], 1.0
	s_delay_alu instid0(VALU_DEP_1) | instskip(SKIP_2) | instid1(VALU_DEP_1)
	v_rcp_f64_e32 v[218:219], v[214:215]
	s_waitcnt_depctr 0xfff
	v_fma_f64 v[220:221], -v[214:215], v[218:219], 1.0
	v_fma_f64 v[218:219], v[218:219], v[220:221], v[218:219]
	s_delay_alu instid0(VALU_DEP_1) | instskip(NEXT) | instid1(VALU_DEP_1)
	v_fma_f64 v[220:221], -v[214:215], v[218:219], 1.0
	v_fma_f64 v[218:219], v[218:219], v[220:221], v[218:219]
	v_div_scale_f64 v[220:221], vcc_lo, 1.0, v[212:213], 1.0
	s_delay_alu instid0(VALU_DEP_1) | instskip(NEXT) | instid1(VALU_DEP_1)
	v_mul_f64 v[222:223], v[220:221], v[218:219]
	v_fma_f64 v[214:215], -v[214:215], v[222:223], v[220:221]
	s_delay_alu instid0(VALU_DEP_1) | instskip(NEXT) | instid1(VALU_DEP_1)
	v_div_fmas_f64 v[214:215], v[214:215], v[218:219], v[222:223]
	v_div_fixup_f64 v[218:219], v[214:215], v[212:213], 1.0
                                        ; implicit-def: $vgpr212_vgpr213
	s_delay_alu instid0(VALU_DEP_1)
	v_mul_f64 v[220:221], v[216:217], v[218:219]
	v_xor_b32_e32 v219, 0x80000000, v219
.LBB105_338:
	s_and_not1_saveexec_b32 s3, s3
	s_cbranch_execz .LBB105_340
; %bb.339:
	v_div_scale_f64 v[216:217], null, v[212:213], v[212:213], v[214:215]
	v_div_scale_f64 v[222:223], vcc_lo, v[214:215], v[212:213], v[214:215]
	s_delay_alu instid0(VALU_DEP_2) | instskip(SKIP_2) | instid1(VALU_DEP_1)
	v_rcp_f64_e32 v[218:219], v[216:217]
	s_waitcnt_depctr 0xfff
	v_fma_f64 v[220:221], -v[216:217], v[218:219], 1.0
	v_fma_f64 v[218:219], v[218:219], v[220:221], v[218:219]
	s_delay_alu instid0(VALU_DEP_1) | instskip(NEXT) | instid1(VALU_DEP_1)
	v_fma_f64 v[220:221], -v[216:217], v[218:219], 1.0
	v_fma_f64 v[218:219], v[218:219], v[220:221], v[218:219]
	s_delay_alu instid0(VALU_DEP_1) | instskip(NEXT) | instid1(VALU_DEP_1)
	v_mul_f64 v[220:221], v[222:223], v[218:219]
	v_fma_f64 v[216:217], -v[216:217], v[220:221], v[222:223]
	s_delay_alu instid0(VALU_DEP_1) | instskip(NEXT) | instid1(VALU_DEP_1)
	v_div_fmas_f64 v[216:217], v[216:217], v[218:219], v[220:221]
	v_div_fixup_f64 v[216:217], v[216:217], v[212:213], v[214:215]
	s_delay_alu instid0(VALU_DEP_1) | instskip(NEXT) | instid1(VALU_DEP_1)
	v_fma_f64 v[212:213], v[214:215], v[216:217], v[212:213]
	v_div_scale_f64 v[214:215], null, v[212:213], v[212:213], 1.0
	s_delay_alu instid0(VALU_DEP_1) | instskip(SKIP_2) | instid1(VALU_DEP_1)
	v_rcp_f64_e32 v[218:219], v[214:215]
	s_waitcnt_depctr 0xfff
	v_fma_f64 v[220:221], -v[214:215], v[218:219], 1.0
	v_fma_f64 v[218:219], v[218:219], v[220:221], v[218:219]
	s_delay_alu instid0(VALU_DEP_1) | instskip(NEXT) | instid1(VALU_DEP_1)
	v_fma_f64 v[220:221], -v[214:215], v[218:219], 1.0
	v_fma_f64 v[218:219], v[218:219], v[220:221], v[218:219]
	v_div_scale_f64 v[220:221], vcc_lo, 1.0, v[212:213], 1.0
	s_delay_alu instid0(VALU_DEP_1) | instskip(NEXT) | instid1(VALU_DEP_1)
	v_mul_f64 v[222:223], v[220:221], v[218:219]
	v_fma_f64 v[214:215], -v[214:215], v[222:223], v[220:221]
	s_delay_alu instid0(VALU_DEP_1) | instskip(NEXT) | instid1(VALU_DEP_1)
	v_div_fmas_f64 v[214:215], v[214:215], v[218:219], v[222:223]
	v_div_fixup_f64 v[220:221], v[214:215], v[212:213], 1.0
	s_delay_alu instid0(VALU_DEP_1)
	v_mul_f64 v[218:219], v[216:217], -v[220:221]
.LBB105_340:
	s_or_b32 exec_lo, exec_lo, s3
	ds_store_2addr_b64 v255, v[220:221], v[218:219] offset1:1
.LBB105_341:
	s_or_b32 exec_lo, exec_lo, s4
	s_waitcnt lgkmcnt(0)
	s_barrier
	buffer_gl0_inv
	ds_load_2addr_b64 v[212:215], v255 offset1:1
	s_mov_b32 s3, exec_lo
	s_waitcnt lgkmcnt(0)
	scratch_store_b128 off, v[212:215], off offset:1032 ; 16-byte Folded Spill
	v_cmpx_lt_u32_e32 37, v205
	s_cbranch_execz .LBB105_343
; %bb.342:
	scratch_load_b128 v[214:217], off, off offset:1032 ; 16-byte Folded Reload
	s_waitcnt vmcnt(0)
	v_mul_f64 v[212:213], v[214:215], v[62:63]
	v_mul_f64 v[62:63], v[216:217], v[62:63]
	s_delay_alu instid0(VALU_DEP_2) | instskip(NEXT) | instid1(VALU_DEP_2)
	v_fma_f64 v[212:213], v[216:217], v[60:61], v[212:213]
	v_fma_f64 v[60:61], v[214:215], v[60:61], -v[62:63]
	ds_load_2addr_b64 v[214:217], v250 offset0:76 offset1:77
	s_waitcnt lgkmcnt(0)
	v_mul_f64 v[62:63], v[216:217], v[212:213]
	s_delay_alu instid0(VALU_DEP_1) | instskip(SKIP_1) | instid1(VALU_DEP_2)
	v_fma_f64 v[62:63], v[214:215], v[60:61], -v[62:63]
	v_mul_f64 v[214:215], v[214:215], v[212:213]
	v_add_f64 v[56:57], v[56:57], -v[62:63]
	s_delay_alu instid0(VALU_DEP_2) | instskip(NEXT) | instid1(VALU_DEP_1)
	v_fma_f64 v[214:215], v[216:217], v[60:61], v[214:215]
	v_add_f64 v[58:59], v[58:59], -v[214:215]
	ds_load_2addr_b64 v[214:217], v250 offset0:78 offset1:79
	s_waitcnt lgkmcnt(0)
	v_mul_f64 v[62:63], v[216:217], v[212:213]
	s_delay_alu instid0(VALU_DEP_1) | instskip(SKIP_1) | instid1(VALU_DEP_2)
	v_fma_f64 v[62:63], v[214:215], v[60:61], -v[62:63]
	v_mul_f64 v[214:215], v[214:215], v[212:213]
	v_add_f64 v[52:53], v[52:53], -v[62:63]
	s_delay_alu instid0(VALU_DEP_2) | instskip(NEXT) | instid1(VALU_DEP_1)
	v_fma_f64 v[214:215], v[216:217], v[60:61], v[214:215]
	v_add_f64 v[54:55], v[54:55], -v[214:215]
	;; [unrolled: 10-line block ×14, first 2 shown]
	ds_load_2addr_b64 v[214:217], v250 offset0:104 offset1:105
	s_waitcnt lgkmcnt(0)
	v_mul_f64 v[62:63], v[216:217], v[212:213]
	s_delay_alu instid0(VALU_DEP_1) | instskip(SKIP_1) | instid1(VALU_DEP_2)
	v_fma_f64 v[62:63], v[214:215], v[60:61], -v[62:63]
	v_mul_f64 v[214:215], v[214:215], v[212:213]
	v_add_f64 v[0:1], v[0:1], -v[62:63]
	s_delay_alu instid0(VALU_DEP_2) | instskip(SKIP_1) | instid1(VALU_DEP_2)
	v_fma_f64 v[214:215], v[216:217], v[60:61], v[214:215]
	v_dual_mov_b32 v62, v212 :: v_dual_mov_b32 v63, v213
	v_add_f64 v[2:3], v[2:3], -v[214:215]
.LBB105_343:
	s_or_b32 exec_lo, exec_lo, s3
	s_delay_alu instid0(SALU_CYCLE_1)
	s_mov_b32 s4, exec_lo
	s_waitcnt_vscnt null, 0x0
	s_barrier
	buffer_gl0_inv
	v_cmpx_eq_u32_e32 38, v205
	s_cbranch_execz .LBB105_350
; %bb.344:
	ds_store_2addr_b64 v255, v[56:57], v[58:59] offset1:1
	ds_store_2addr_b64 v250, v[52:53], v[54:55] offset0:78 offset1:79
	ds_store_2addr_b64 v250, v[48:49], v[50:51] offset0:80 offset1:81
	;; [unrolled: 1-line block ×14, first 2 shown]
	ds_load_2addr_b64 v[212:215], v255 offset1:1
	s_waitcnt lgkmcnt(0)
	v_cmp_neq_f64_e32 vcc_lo, 0, v[212:213]
	v_cmp_neq_f64_e64 s3, 0, v[214:215]
	s_delay_alu instid0(VALU_DEP_1) | instskip(NEXT) | instid1(SALU_CYCLE_1)
	s_or_b32 s3, vcc_lo, s3
	s_and_b32 exec_lo, exec_lo, s3
	s_cbranch_execz .LBB105_350
; %bb.345:
	v_cmp_gt_f64_e32 vcc_lo, 0, v[212:213]
	v_xor_b32_e32 v204, 0x80000000, v213
	s_mov_b32 s3, exec_lo
                                        ; implicit-def: $vgpr220_vgpr221
	s_delay_alu instid0(VALU_DEP_1) | instskip(SKIP_3) | instid1(VALU_DEP_1)
	v_cndmask_b32_e32 v217, v213, v204, vcc_lo
	v_cndmask_b32_e32 v216, v212, v212, vcc_lo
	v_cmp_gt_f64_e32 vcc_lo, 0, v[214:215]
	v_xor_b32_e32 v204, 0x80000000, v215
	v_dual_cndmask_b32 v218, v214, v214 :: v_dual_cndmask_b32 v219, v215, v204
	s_delay_alu instid0(VALU_DEP_1)
	v_cmpx_ngt_f64_e32 v[216:217], v[218:219]
	s_xor_b32 s3, exec_lo, s3
                                        ; implicit-def: $vgpr216_vgpr217_vgpr218_vgpr219
	s_cbranch_execz .LBB105_347
; %bb.346:
	v_div_scale_f64 v[216:217], null, v[214:215], v[214:215], v[212:213]
	v_div_scale_f64 v[222:223], vcc_lo, v[212:213], v[214:215], v[212:213]
	s_delay_alu instid0(VALU_DEP_2) | instskip(SKIP_2) | instid1(VALU_DEP_1)
	v_rcp_f64_e32 v[218:219], v[216:217]
	s_waitcnt_depctr 0xfff
	v_fma_f64 v[220:221], -v[216:217], v[218:219], 1.0
	v_fma_f64 v[218:219], v[218:219], v[220:221], v[218:219]
	s_delay_alu instid0(VALU_DEP_1) | instskip(NEXT) | instid1(VALU_DEP_1)
	v_fma_f64 v[220:221], -v[216:217], v[218:219], 1.0
	v_fma_f64 v[218:219], v[218:219], v[220:221], v[218:219]
	s_delay_alu instid0(VALU_DEP_1) | instskip(NEXT) | instid1(VALU_DEP_1)
	v_mul_f64 v[220:221], v[222:223], v[218:219]
	v_fma_f64 v[216:217], -v[216:217], v[220:221], v[222:223]
	s_delay_alu instid0(VALU_DEP_1) | instskip(NEXT) | instid1(VALU_DEP_1)
	v_div_fmas_f64 v[216:217], v[216:217], v[218:219], v[220:221]
	v_div_fixup_f64 v[216:217], v[216:217], v[214:215], v[212:213]
	s_delay_alu instid0(VALU_DEP_1) | instskip(NEXT) | instid1(VALU_DEP_1)
	v_fma_f64 v[212:213], v[212:213], v[216:217], v[214:215]
	v_div_scale_f64 v[214:215], null, v[212:213], v[212:213], 1.0
	s_delay_alu instid0(VALU_DEP_1) | instskip(SKIP_2) | instid1(VALU_DEP_1)
	v_rcp_f64_e32 v[218:219], v[214:215]
	s_waitcnt_depctr 0xfff
	v_fma_f64 v[220:221], -v[214:215], v[218:219], 1.0
	v_fma_f64 v[218:219], v[218:219], v[220:221], v[218:219]
	s_delay_alu instid0(VALU_DEP_1) | instskip(NEXT) | instid1(VALU_DEP_1)
	v_fma_f64 v[220:221], -v[214:215], v[218:219], 1.0
	v_fma_f64 v[218:219], v[218:219], v[220:221], v[218:219]
	v_div_scale_f64 v[220:221], vcc_lo, 1.0, v[212:213], 1.0
	s_delay_alu instid0(VALU_DEP_1) | instskip(NEXT) | instid1(VALU_DEP_1)
	v_mul_f64 v[222:223], v[220:221], v[218:219]
	v_fma_f64 v[214:215], -v[214:215], v[222:223], v[220:221]
	s_delay_alu instid0(VALU_DEP_1) | instskip(NEXT) | instid1(VALU_DEP_1)
	v_div_fmas_f64 v[214:215], v[214:215], v[218:219], v[222:223]
	v_div_fixup_f64 v[218:219], v[214:215], v[212:213], 1.0
                                        ; implicit-def: $vgpr212_vgpr213
	s_delay_alu instid0(VALU_DEP_1)
	v_mul_f64 v[220:221], v[216:217], v[218:219]
	v_xor_b32_e32 v219, 0x80000000, v219
.LBB105_347:
	s_and_not1_saveexec_b32 s3, s3
	s_cbranch_execz .LBB105_349
; %bb.348:
	v_div_scale_f64 v[216:217], null, v[212:213], v[212:213], v[214:215]
	v_div_scale_f64 v[222:223], vcc_lo, v[214:215], v[212:213], v[214:215]
	s_delay_alu instid0(VALU_DEP_2) | instskip(SKIP_2) | instid1(VALU_DEP_1)
	v_rcp_f64_e32 v[218:219], v[216:217]
	s_waitcnt_depctr 0xfff
	v_fma_f64 v[220:221], -v[216:217], v[218:219], 1.0
	v_fma_f64 v[218:219], v[218:219], v[220:221], v[218:219]
	s_delay_alu instid0(VALU_DEP_1) | instskip(NEXT) | instid1(VALU_DEP_1)
	v_fma_f64 v[220:221], -v[216:217], v[218:219], 1.0
	v_fma_f64 v[218:219], v[218:219], v[220:221], v[218:219]
	s_delay_alu instid0(VALU_DEP_1) | instskip(NEXT) | instid1(VALU_DEP_1)
	v_mul_f64 v[220:221], v[222:223], v[218:219]
	v_fma_f64 v[216:217], -v[216:217], v[220:221], v[222:223]
	s_delay_alu instid0(VALU_DEP_1) | instskip(NEXT) | instid1(VALU_DEP_1)
	v_div_fmas_f64 v[216:217], v[216:217], v[218:219], v[220:221]
	v_div_fixup_f64 v[216:217], v[216:217], v[212:213], v[214:215]
	s_delay_alu instid0(VALU_DEP_1) | instskip(NEXT) | instid1(VALU_DEP_1)
	v_fma_f64 v[212:213], v[214:215], v[216:217], v[212:213]
	v_div_scale_f64 v[214:215], null, v[212:213], v[212:213], 1.0
	s_delay_alu instid0(VALU_DEP_1) | instskip(SKIP_2) | instid1(VALU_DEP_1)
	v_rcp_f64_e32 v[218:219], v[214:215]
	s_waitcnt_depctr 0xfff
	v_fma_f64 v[220:221], -v[214:215], v[218:219], 1.0
	v_fma_f64 v[218:219], v[218:219], v[220:221], v[218:219]
	s_delay_alu instid0(VALU_DEP_1) | instskip(NEXT) | instid1(VALU_DEP_1)
	v_fma_f64 v[220:221], -v[214:215], v[218:219], 1.0
	v_fma_f64 v[218:219], v[218:219], v[220:221], v[218:219]
	v_div_scale_f64 v[220:221], vcc_lo, 1.0, v[212:213], 1.0
	s_delay_alu instid0(VALU_DEP_1) | instskip(NEXT) | instid1(VALU_DEP_1)
	v_mul_f64 v[222:223], v[220:221], v[218:219]
	v_fma_f64 v[214:215], -v[214:215], v[222:223], v[220:221]
	s_delay_alu instid0(VALU_DEP_1) | instskip(NEXT) | instid1(VALU_DEP_1)
	v_div_fmas_f64 v[214:215], v[214:215], v[218:219], v[222:223]
	v_div_fixup_f64 v[220:221], v[214:215], v[212:213], 1.0
	s_delay_alu instid0(VALU_DEP_1)
	v_mul_f64 v[218:219], v[216:217], -v[220:221]
.LBB105_349:
	s_or_b32 exec_lo, exec_lo, s3
	ds_store_2addr_b64 v255, v[220:221], v[218:219] offset1:1
.LBB105_350:
	s_or_b32 exec_lo, exec_lo, s4
	s_waitcnt lgkmcnt(0)
	s_barrier
	buffer_gl0_inv
	ds_load_2addr_b64 v[212:215], v255 offset1:1
	s_mov_b32 s3, exec_lo
	s_waitcnt lgkmcnt(0)
	scratch_store_b128 off, v[212:215], off offset:1048 ; 16-byte Folded Spill
	v_cmpx_lt_u32_e32 38, v205
	s_cbranch_execz .LBB105_352
; %bb.351:
	scratch_load_b128 v[214:217], off, off offset:1048 ; 16-byte Folded Reload
	s_waitcnt vmcnt(0)
	v_mul_f64 v[212:213], v[214:215], v[58:59]
	v_mul_f64 v[58:59], v[216:217], v[58:59]
	s_delay_alu instid0(VALU_DEP_2) | instskip(NEXT) | instid1(VALU_DEP_2)
	v_fma_f64 v[212:213], v[216:217], v[56:57], v[212:213]
	v_fma_f64 v[56:57], v[214:215], v[56:57], -v[58:59]
	ds_load_2addr_b64 v[214:217], v250 offset0:78 offset1:79
	s_waitcnt lgkmcnt(0)
	v_mul_f64 v[58:59], v[216:217], v[212:213]
	s_delay_alu instid0(VALU_DEP_1) | instskip(SKIP_1) | instid1(VALU_DEP_2)
	v_fma_f64 v[58:59], v[214:215], v[56:57], -v[58:59]
	v_mul_f64 v[214:215], v[214:215], v[212:213]
	v_add_f64 v[52:53], v[52:53], -v[58:59]
	s_delay_alu instid0(VALU_DEP_2) | instskip(NEXT) | instid1(VALU_DEP_1)
	v_fma_f64 v[214:215], v[216:217], v[56:57], v[214:215]
	v_add_f64 v[54:55], v[54:55], -v[214:215]
	ds_load_2addr_b64 v[214:217], v250 offset0:80 offset1:81
	s_waitcnt lgkmcnt(0)
	v_mul_f64 v[58:59], v[216:217], v[212:213]
	s_delay_alu instid0(VALU_DEP_1) | instskip(SKIP_1) | instid1(VALU_DEP_2)
	v_fma_f64 v[58:59], v[214:215], v[56:57], -v[58:59]
	v_mul_f64 v[214:215], v[214:215], v[212:213]
	v_add_f64 v[48:49], v[48:49], -v[58:59]
	s_delay_alu instid0(VALU_DEP_2) | instskip(NEXT) | instid1(VALU_DEP_1)
	v_fma_f64 v[214:215], v[216:217], v[56:57], v[214:215]
	v_add_f64 v[50:51], v[50:51], -v[214:215]
	;; [unrolled: 10-line block ×13, first 2 shown]
	ds_load_2addr_b64 v[214:217], v250 offset0:104 offset1:105
	s_waitcnt lgkmcnt(0)
	v_mul_f64 v[58:59], v[216:217], v[212:213]
	s_delay_alu instid0(VALU_DEP_1) | instskip(SKIP_1) | instid1(VALU_DEP_2)
	v_fma_f64 v[58:59], v[214:215], v[56:57], -v[58:59]
	v_mul_f64 v[214:215], v[214:215], v[212:213]
	v_add_f64 v[0:1], v[0:1], -v[58:59]
	s_delay_alu instid0(VALU_DEP_2) | instskip(SKIP_1) | instid1(VALU_DEP_2)
	v_fma_f64 v[214:215], v[216:217], v[56:57], v[214:215]
	v_dual_mov_b32 v58, v212 :: v_dual_mov_b32 v59, v213
	v_add_f64 v[2:3], v[2:3], -v[214:215]
.LBB105_352:
	s_or_b32 exec_lo, exec_lo, s3
	s_delay_alu instid0(SALU_CYCLE_1)
	s_mov_b32 s4, exec_lo
	s_waitcnt_vscnt null, 0x0
	s_barrier
	buffer_gl0_inv
	v_cmpx_eq_u32_e32 39, v205
	s_cbranch_execz .LBB105_359
; %bb.353:
	ds_store_2addr_b64 v255, v[52:53], v[54:55] offset1:1
	ds_store_2addr_b64 v250, v[48:49], v[50:51] offset0:80 offset1:81
	ds_store_2addr_b64 v250, v[44:45], v[46:47] offset0:82 offset1:83
	;; [unrolled: 1-line block ×13, first 2 shown]
	ds_load_2addr_b64 v[212:215], v255 offset1:1
	s_waitcnt lgkmcnt(0)
	v_cmp_neq_f64_e32 vcc_lo, 0, v[212:213]
	v_cmp_neq_f64_e64 s3, 0, v[214:215]
	s_delay_alu instid0(VALU_DEP_1) | instskip(NEXT) | instid1(SALU_CYCLE_1)
	s_or_b32 s3, vcc_lo, s3
	s_and_b32 exec_lo, exec_lo, s3
	s_cbranch_execz .LBB105_359
; %bb.354:
	v_cmp_gt_f64_e32 vcc_lo, 0, v[212:213]
	v_xor_b32_e32 v204, 0x80000000, v213
	s_mov_b32 s3, exec_lo
                                        ; implicit-def: $vgpr220_vgpr221
	s_delay_alu instid0(VALU_DEP_1) | instskip(SKIP_3) | instid1(VALU_DEP_1)
	v_cndmask_b32_e32 v217, v213, v204, vcc_lo
	v_cndmask_b32_e32 v216, v212, v212, vcc_lo
	v_cmp_gt_f64_e32 vcc_lo, 0, v[214:215]
	v_xor_b32_e32 v204, 0x80000000, v215
	v_dual_cndmask_b32 v218, v214, v214 :: v_dual_cndmask_b32 v219, v215, v204
	s_delay_alu instid0(VALU_DEP_1)
	v_cmpx_ngt_f64_e32 v[216:217], v[218:219]
	s_xor_b32 s3, exec_lo, s3
                                        ; implicit-def: $vgpr216_vgpr217_vgpr218_vgpr219
	s_cbranch_execz .LBB105_356
; %bb.355:
	v_div_scale_f64 v[216:217], null, v[214:215], v[214:215], v[212:213]
	v_div_scale_f64 v[222:223], vcc_lo, v[212:213], v[214:215], v[212:213]
	s_delay_alu instid0(VALU_DEP_2) | instskip(SKIP_2) | instid1(VALU_DEP_1)
	v_rcp_f64_e32 v[218:219], v[216:217]
	s_waitcnt_depctr 0xfff
	v_fma_f64 v[220:221], -v[216:217], v[218:219], 1.0
	v_fma_f64 v[218:219], v[218:219], v[220:221], v[218:219]
	s_delay_alu instid0(VALU_DEP_1) | instskip(NEXT) | instid1(VALU_DEP_1)
	v_fma_f64 v[220:221], -v[216:217], v[218:219], 1.0
	v_fma_f64 v[218:219], v[218:219], v[220:221], v[218:219]
	s_delay_alu instid0(VALU_DEP_1) | instskip(NEXT) | instid1(VALU_DEP_1)
	v_mul_f64 v[220:221], v[222:223], v[218:219]
	v_fma_f64 v[216:217], -v[216:217], v[220:221], v[222:223]
	s_delay_alu instid0(VALU_DEP_1) | instskip(NEXT) | instid1(VALU_DEP_1)
	v_div_fmas_f64 v[216:217], v[216:217], v[218:219], v[220:221]
	v_div_fixup_f64 v[216:217], v[216:217], v[214:215], v[212:213]
	s_delay_alu instid0(VALU_DEP_1) | instskip(NEXT) | instid1(VALU_DEP_1)
	v_fma_f64 v[212:213], v[212:213], v[216:217], v[214:215]
	v_div_scale_f64 v[214:215], null, v[212:213], v[212:213], 1.0
	s_delay_alu instid0(VALU_DEP_1) | instskip(SKIP_2) | instid1(VALU_DEP_1)
	v_rcp_f64_e32 v[218:219], v[214:215]
	s_waitcnt_depctr 0xfff
	v_fma_f64 v[220:221], -v[214:215], v[218:219], 1.0
	v_fma_f64 v[218:219], v[218:219], v[220:221], v[218:219]
	s_delay_alu instid0(VALU_DEP_1) | instskip(NEXT) | instid1(VALU_DEP_1)
	v_fma_f64 v[220:221], -v[214:215], v[218:219], 1.0
	v_fma_f64 v[218:219], v[218:219], v[220:221], v[218:219]
	v_div_scale_f64 v[220:221], vcc_lo, 1.0, v[212:213], 1.0
	s_delay_alu instid0(VALU_DEP_1) | instskip(NEXT) | instid1(VALU_DEP_1)
	v_mul_f64 v[222:223], v[220:221], v[218:219]
	v_fma_f64 v[214:215], -v[214:215], v[222:223], v[220:221]
	s_delay_alu instid0(VALU_DEP_1) | instskip(NEXT) | instid1(VALU_DEP_1)
	v_div_fmas_f64 v[214:215], v[214:215], v[218:219], v[222:223]
	v_div_fixup_f64 v[218:219], v[214:215], v[212:213], 1.0
                                        ; implicit-def: $vgpr212_vgpr213
	s_delay_alu instid0(VALU_DEP_1)
	v_mul_f64 v[220:221], v[216:217], v[218:219]
	v_xor_b32_e32 v219, 0x80000000, v219
.LBB105_356:
	s_and_not1_saveexec_b32 s3, s3
	s_cbranch_execz .LBB105_358
; %bb.357:
	v_div_scale_f64 v[216:217], null, v[212:213], v[212:213], v[214:215]
	v_div_scale_f64 v[222:223], vcc_lo, v[214:215], v[212:213], v[214:215]
	s_delay_alu instid0(VALU_DEP_2) | instskip(SKIP_2) | instid1(VALU_DEP_1)
	v_rcp_f64_e32 v[218:219], v[216:217]
	s_waitcnt_depctr 0xfff
	v_fma_f64 v[220:221], -v[216:217], v[218:219], 1.0
	v_fma_f64 v[218:219], v[218:219], v[220:221], v[218:219]
	s_delay_alu instid0(VALU_DEP_1) | instskip(NEXT) | instid1(VALU_DEP_1)
	v_fma_f64 v[220:221], -v[216:217], v[218:219], 1.0
	v_fma_f64 v[218:219], v[218:219], v[220:221], v[218:219]
	s_delay_alu instid0(VALU_DEP_1) | instskip(NEXT) | instid1(VALU_DEP_1)
	v_mul_f64 v[220:221], v[222:223], v[218:219]
	v_fma_f64 v[216:217], -v[216:217], v[220:221], v[222:223]
	s_delay_alu instid0(VALU_DEP_1) | instskip(NEXT) | instid1(VALU_DEP_1)
	v_div_fmas_f64 v[216:217], v[216:217], v[218:219], v[220:221]
	v_div_fixup_f64 v[216:217], v[216:217], v[212:213], v[214:215]
	s_delay_alu instid0(VALU_DEP_1) | instskip(NEXT) | instid1(VALU_DEP_1)
	v_fma_f64 v[212:213], v[214:215], v[216:217], v[212:213]
	v_div_scale_f64 v[214:215], null, v[212:213], v[212:213], 1.0
	s_delay_alu instid0(VALU_DEP_1) | instskip(SKIP_2) | instid1(VALU_DEP_1)
	v_rcp_f64_e32 v[218:219], v[214:215]
	s_waitcnt_depctr 0xfff
	v_fma_f64 v[220:221], -v[214:215], v[218:219], 1.0
	v_fma_f64 v[218:219], v[218:219], v[220:221], v[218:219]
	s_delay_alu instid0(VALU_DEP_1) | instskip(NEXT) | instid1(VALU_DEP_1)
	v_fma_f64 v[220:221], -v[214:215], v[218:219], 1.0
	v_fma_f64 v[218:219], v[218:219], v[220:221], v[218:219]
	v_div_scale_f64 v[220:221], vcc_lo, 1.0, v[212:213], 1.0
	s_delay_alu instid0(VALU_DEP_1) | instskip(NEXT) | instid1(VALU_DEP_1)
	v_mul_f64 v[222:223], v[220:221], v[218:219]
	v_fma_f64 v[214:215], -v[214:215], v[222:223], v[220:221]
	s_delay_alu instid0(VALU_DEP_1) | instskip(NEXT) | instid1(VALU_DEP_1)
	v_div_fmas_f64 v[214:215], v[214:215], v[218:219], v[222:223]
	v_div_fixup_f64 v[220:221], v[214:215], v[212:213], 1.0
	s_delay_alu instid0(VALU_DEP_1)
	v_mul_f64 v[218:219], v[216:217], -v[220:221]
.LBB105_358:
	s_or_b32 exec_lo, exec_lo, s3
	ds_store_2addr_b64 v255, v[220:221], v[218:219] offset1:1
.LBB105_359:
	s_or_b32 exec_lo, exec_lo, s4
	s_waitcnt lgkmcnt(0)
	s_barrier
	buffer_gl0_inv
	ds_load_2addr_b64 v[212:215], v255 offset1:1
	s_mov_b32 s3, exec_lo
	s_waitcnt lgkmcnt(0)
	scratch_store_b128 off, v[212:215], off offset:1064 ; 16-byte Folded Spill
	v_cmpx_lt_u32_e32 39, v205
	s_cbranch_execz .LBB105_361
; %bb.360:
	scratch_load_b128 v[214:217], off, off offset:1064 ; 16-byte Folded Reload
	s_waitcnt vmcnt(0)
	v_mul_f64 v[212:213], v[214:215], v[54:55]
	v_mul_f64 v[54:55], v[216:217], v[54:55]
	s_delay_alu instid0(VALU_DEP_2) | instskip(NEXT) | instid1(VALU_DEP_2)
	v_fma_f64 v[212:213], v[216:217], v[52:53], v[212:213]
	v_fma_f64 v[52:53], v[214:215], v[52:53], -v[54:55]
	ds_load_2addr_b64 v[214:217], v250 offset0:80 offset1:81
	s_waitcnt lgkmcnt(0)
	v_mul_f64 v[54:55], v[216:217], v[212:213]
	s_delay_alu instid0(VALU_DEP_1) | instskip(SKIP_1) | instid1(VALU_DEP_2)
	v_fma_f64 v[54:55], v[214:215], v[52:53], -v[54:55]
	v_mul_f64 v[214:215], v[214:215], v[212:213]
	v_add_f64 v[48:49], v[48:49], -v[54:55]
	s_delay_alu instid0(VALU_DEP_2) | instskip(NEXT) | instid1(VALU_DEP_1)
	v_fma_f64 v[214:215], v[216:217], v[52:53], v[214:215]
	v_add_f64 v[50:51], v[50:51], -v[214:215]
	ds_load_2addr_b64 v[214:217], v250 offset0:82 offset1:83
	s_waitcnt lgkmcnt(0)
	v_mul_f64 v[54:55], v[216:217], v[212:213]
	s_delay_alu instid0(VALU_DEP_1) | instskip(SKIP_1) | instid1(VALU_DEP_2)
	v_fma_f64 v[54:55], v[214:215], v[52:53], -v[54:55]
	v_mul_f64 v[214:215], v[214:215], v[212:213]
	v_add_f64 v[44:45], v[44:45], -v[54:55]
	s_delay_alu instid0(VALU_DEP_2) | instskip(NEXT) | instid1(VALU_DEP_1)
	v_fma_f64 v[214:215], v[216:217], v[52:53], v[214:215]
	v_add_f64 v[46:47], v[46:47], -v[214:215]
	;; [unrolled: 10-line block ×12, first 2 shown]
	ds_load_2addr_b64 v[214:217], v250 offset0:104 offset1:105
	s_waitcnt lgkmcnt(0)
	v_mul_f64 v[54:55], v[216:217], v[212:213]
	s_delay_alu instid0(VALU_DEP_1) | instskip(SKIP_1) | instid1(VALU_DEP_2)
	v_fma_f64 v[54:55], v[214:215], v[52:53], -v[54:55]
	v_mul_f64 v[214:215], v[214:215], v[212:213]
	v_add_f64 v[0:1], v[0:1], -v[54:55]
	s_delay_alu instid0(VALU_DEP_2) | instskip(SKIP_1) | instid1(VALU_DEP_2)
	v_fma_f64 v[214:215], v[216:217], v[52:53], v[214:215]
	v_dual_mov_b32 v54, v212 :: v_dual_mov_b32 v55, v213
	v_add_f64 v[2:3], v[2:3], -v[214:215]
.LBB105_361:
	s_or_b32 exec_lo, exec_lo, s3
	s_delay_alu instid0(SALU_CYCLE_1)
	s_mov_b32 s4, exec_lo
	s_waitcnt_vscnt null, 0x0
	s_barrier
	buffer_gl0_inv
	v_cmpx_eq_u32_e32 40, v205
	s_cbranch_execz .LBB105_368
; %bb.362:
	ds_store_2addr_b64 v255, v[48:49], v[50:51] offset1:1
	ds_store_2addr_b64 v250, v[44:45], v[46:47] offset0:82 offset1:83
	ds_store_2addr_b64 v250, v[40:41], v[42:43] offset0:84 offset1:85
	;; [unrolled: 1-line block ×12, first 2 shown]
	ds_load_2addr_b64 v[212:215], v255 offset1:1
	s_waitcnt lgkmcnt(0)
	v_cmp_neq_f64_e32 vcc_lo, 0, v[212:213]
	v_cmp_neq_f64_e64 s3, 0, v[214:215]
	s_delay_alu instid0(VALU_DEP_1) | instskip(NEXT) | instid1(SALU_CYCLE_1)
	s_or_b32 s3, vcc_lo, s3
	s_and_b32 exec_lo, exec_lo, s3
	s_cbranch_execz .LBB105_368
; %bb.363:
	v_cmp_gt_f64_e32 vcc_lo, 0, v[212:213]
	v_xor_b32_e32 v204, 0x80000000, v213
	s_mov_b32 s3, exec_lo
                                        ; implicit-def: $vgpr220_vgpr221
	s_delay_alu instid0(VALU_DEP_1) | instskip(SKIP_3) | instid1(VALU_DEP_1)
	v_cndmask_b32_e32 v217, v213, v204, vcc_lo
	v_cndmask_b32_e32 v216, v212, v212, vcc_lo
	v_cmp_gt_f64_e32 vcc_lo, 0, v[214:215]
	v_xor_b32_e32 v204, 0x80000000, v215
	v_dual_cndmask_b32 v218, v214, v214 :: v_dual_cndmask_b32 v219, v215, v204
	s_delay_alu instid0(VALU_DEP_1)
	v_cmpx_ngt_f64_e32 v[216:217], v[218:219]
	s_xor_b32 s3, exec_lo, s3
                                        ; implicit-def: $vgpr216_vgpr217_vgpr218_vgpr219
	s_cbranch_execz .LBB105_365
; %bb.364:
	v_div_scale_f64 v[216:217], null, v[214:215], v[214:215], v[212:213]
	v_div_scale_f64 v[222:223], vcc_lo, v[212:213], v[214:215], v[212:213]
	s_delay_alu instid0(VALU_DEP_2) | instskip(SKIP_2) | instid1(VALU_DEP_1)
	v_rcp_f64_e32 v[218:219], v[216:217]
	s_waitcnt_depctr 0xfff
	v_fma_f64 v[220:221], -v[216:217], v[218:219], 1.0
	v_fma_f64 v[218:219], v[218:219], v[220:221], v[218:219]
	s_delay_alu instid0(VALU_DEP_1) | instskip(NEXT) | instid1(VALU_DEP_1)
	v_fma_f64 v[220:221], -v[216:217], v[218:219], 1.0
	v_fma_f64 v[218:219], v[218:219], v[220:221], v[218:219]
	s_delay_alu instid0(VALU_DEP_1) | instskip(NEXT) | instid1(VALU_DEP_1)
	v_mul_f64 v[220:221], v[222:223], v[218:219]
	v_fma_f64 v[216:217], -v[216:217], v[220:221], v[222:223]
	s_delay_alu instid0(VALU_DEP_1) | instskip(NEXT) | instid1(VALU_DEP_1)
	v_div_fmas_f64 v[216:217], v[216:217], v[218:219], v[220:221]
	v_div_fixup_f64 v[216:217], v[216:217], v[214:215], v[212:213]
	s_delay_alu instid0(VALU_DEP_1) | instskip(NEXT) | instid1(VALU_DEP_1)
	v_fma_f64 v[212:213], v[212:213], v[216:217], v[214:215]
	v_div_scale_f64 v[214:215], null, v[212:213], v[212:213], 1.0
	s_delay_alu instid0(VALU_DEP_1) | instskip(SKIP_2) | instid1(VALU_DEP_1)
	v_rcp_f64_e32 v[218:219], v[214:215]
	s_waitcnt_depctr 0xfff
	v_fma_f64 v[220:221], -v[214:215], v[218:219], 1.0
	v_fma_f64 v[218:219], v[218:219], v[220:221], v[218:219]
	s_delay_alu instid0(VALU_DEP_1) | instskip(NEXT) | instid1(VALU_DEP_1)
	v_fma_f64 v[220:221], -v[214:215], v[218:219], 1.0
	v_fma_f64 v[218:219], v[218:219], v[220:221], v[218:219]
	v_div_scale_f64 v[220:221], vcc_lo, 1.0, v[212:213], 1.0
	s_delay_alu instid0(VALU_DEP_1) | instskip(NEXT) | instid1(VALU_DEP_1)
	v_mul_f64 v[222:223], v[220:221], v[218:219]
	v_fma_f64 v[214:215], -v[214:215], v[222:223], v[220:221]
	s_delay_alu instid0(VALU_DEP_1) | instskip(NEXT) | instid1(VALU_DEP_1)
	v_div_fmas_f64 v[214:215], v[214:215], v[218:219], v[222:223]
	v_div_fixup_f64 v[218:219], v[214:215], v[212:213], 1.0
                                        ; implicit-def: $vgpr212_vgpr213
	s_delay_alu instid0(VALU_DEP_1)
	v_mul_f64 v[220:221], v[216:217], v[218:219]
	v_xor_b32_e32 v219, 0x80000000, v219
.LBB105_365:
	s_and_not1_saveexec_b32 s3, s3
	s_cbranch_execz .LBB105_367
; %bb.366:
	v_div_scale_f64 v[216:217], null, v[212:213], v[212:213], v[214:215]
	v_div_scale_f64 v[222:223], vcc_lo, v[214:215], v[212:213], v[214:215]
	s_delay_alu instid0(VALU_DEP_2) | instskip(SKIP_2) | instid1(VALU_DEP_1)
	v_rcp_f64_e32 v[218:219], v[216:217]
	s_waitcnt_depctr 0xfff
	v_fma_f64 v[220:221], -v[216:217], v[218:219], 1.0
	v_fma_f64 v[218:219], v[218:219], v[220:221], v[218:219]
	s_delay_alu instid0(VALU_DEP_1) | instskip(NEXT) | instid1(VALU_DEP_1)
	v_fma_f64 v[220:221], -v[216:217], v[218:219], 1.0
	v_fma_f64 v[218:219], v[218:219], v[220:221], v[218:219]
	s_delay_alu instid0(VALU_DEP_1) | instskip(NEXT) | instid1(VALU_DEP_1)
	v_mul_f64 v[220:221], v[222:223], v[218:219]
	v_fma_f64 v[216:217], -v[216:217], v[220:221], v[222:223]
	s_delay_alu instid0(VALU_DEP_1) | instskip(NEXT) | instid1(VALU_DEP_1)
	v_div_fmas_f64 v[216:217], v[216:217], v[218:219], v[220:221]
	v_div_fixup_f64 v[216:217], v[216:217], v[212:213], v[214:215]
	s_delay_alu instid0(VALU_DEP_1) | instskip(NEXT) | instid1(VALU_DEP_1)
	v_fma_f64 v[212:213], v[214:215], v[216:217], v[212:213]
	v_div_scale_f64 v[214:215], null, v[212:213], v[212:213], 1.0
	s_delay_alu instid0(VALU_DEP_1) | instskip(SKIP_2) | instid1(VALU_DEP_1)
	v_rcp_f64_e32 v[218:219], v[214:215]
	s_waitcnt_depctr 0xfff
	v_fma_f64 v[220:221], -v[214:215], v[218:219], 1.0
	v_fma_f64 v[218:219], v[218:219], v[220:221], v[218:219]
	s_delay_alu instid0(VALU_DEP_1) | instskip(NEXT) | instid1(VALU_DEP_1)
	v_fma_f64 v[220:221], -v[214:215], v[218:219], 1.0
	v_fma_f64 v[218:219], v[218:219], v[220:221], v[218:219]
	v_div_scale_f64 v[220:221], vcc_lo, 1.0, v[212:213], 1.0
	s_delay_alu instid0(VALU_DEP_1) | instskip(NEXT) | instid1(VALU_DEP_1)
	v_mul_f64 v[222:223], v[220:221], v[218:219]
	v_fma_f64 v[214:215], -v[214:215], v[222:223], v[220:221]
	s_delay_alu instid0(VALU_DEP_1) | instskip(NEXT) | instid1(VALU_DEP_1)
	v_div_fmas_f64 v[214:215], v[214:215], v[218:219], v[222:223]
	v_div_fixup_f64 v[220:221], v[214:215], v[212:213], 1.0
	s_delay_alu instid0(VALU_DEP_1)
	v_mul_f64 v[218:219], v[216:217], -v[220:221]
.LBB105_367:
	s_or_b32 exec_lo, exec_lo, s3
	ds_store_2addr_b64 v255, v[220:221], v[218:219] offset1:1
.LBB105_368:
	s_or_b32 exec_lo, exec_lo, s4
	s_waitcnt lgkmcnt(0)
	s_barrier
	buffer_gl0_inv
	ds_load_2addr_b64 v[212:215], v255 offset1:1
	s_mov_b32 s3, exec_lo
	s_waitcnt lgkmcnt(0)
	scratch_store_b128 off, v[212:215], off offset:1080 ; 16-byte Folded Spill
	v_cmpx_lt_u32_e32 40, v205
	s_cbranch_execz .LBB105_370
; %bb.369:
	scratch_load_b128 v[214:217], off, off offset:1080 ; 16-byte Folded Reload
	s_waitcnt vmcnt(0)
	v_mul_f64 v[212:213], v[214:215], v[50:51]
	v_mul_f64 v[50:51], v[216:217], v[50:51]
	s_delay_alu instid0(VALU_DEP_2) | instskip(NEXT) | instid1(VALU_DEP_2)
	v_fma_f64 v[212:213], v[216:217], v[48:49], v[212:213]
	v_fma_f64 v[48:49], v[214:215], v[48:49], -v[50:51]
	ds_load_2addr_b64 v[214:217], v250 offset0:82 offset1:83
	s_waitcnt lgkmcnt(0)
	v_mul_f64 v[50:51], v[216:217], v[212:213]
	s_delay_alu instid0(VALU_DEP_1) | instskip(SKIP_1) | instid1(VALU_DEP_2)
	v_fma_f64 v[50:51], v[214:215], v[48:49], -v[50:51]
	v_mul_f64 v[214:215], v[214:215], v[212:213]
	v_add_f64 v[44:45], v[44:45], -v[50:51]
	s_delay_alu instid0(VALU_DEP_2) | instskip(NEXT) | instid1(VALU_DEP_1)
	v_fma_f64 v[214:215], v[216:217], v[48:49], v[214:215]
	v_add_f64 v[46:47], v[46:47], -v[214:215]
	ds_load_2addr_b64 v[214:217], v250 offset0:84 offset1:85
	s_waitcnt lgkmcnt(0)
	v_mul_f64 v[50:51], v[216:217], v[212:213]
	s_delay_alu instid0(VALU_DEP_1) | instskip(SKIP_1) | instid1(VALU_DEP_2)
	v_fma_f64 v[50:51], v[214:215], v[48:49], -v[50:51]
	v_mul_f64 v[214:215], v[214:215], v[212:213]
	v_add_f64 v[40:41], v[40:41], -v[50:51]
	s_delay_alu instid0(VALU_DEP_2) | instskip(NEXT) | instid1(VALU_DEP_1)
	v_fma_f64 v[214:215], v[216:217], v[48:49], v[214:215]
	v_add_f64 v[42:43], v[42:43], -v[214:215]
	;; [unrolled: 10-line block ×11, first 2 shown]
	ds_load_2addr_b64 v[214:217], v250 offset0:104 offset1:105
	s_waitcnt lgkmcnt(0)
	v_mul_f64 v[50:51], v[216:217], v[212:213]
	s_delay_alu instid0(VALU_DEP_1) | instskip(SKIP_1) | instid1(VALU_DEP_2)
	v_fma_f64 v[50:51], v[214:215], v[48:49], -v[50:51]
	v_mul_f64 v[214:215], v[214:215], v[212:213]
	v_add_f64 v[0:1], v[0:1], -v[50:51]
	s_delay_alu instid0(VALU_DEP_2) | instskip(SKIP_1) | instid1(VALU_DEP_2)
	v_fma_f64 v[214:215], v[216:217], v[48:49], v[214:215]
	v_dual_mov_b32 v50, v212 :: v_dual_mov_b32 v51, v213
	v_add_f64 v[2:3], v[2:3], -v[214:215]
.LBB105_370:
	s_or_b32 exec_lo, exec_lo, s3
	s_delay_alu instid0(SALU_CYCLE_1)
	s_mov_b32 s4, exec_lo
	s_waitcnt_vscnt null, 0x0
	s_barrier
	buffer_gl0_inv
	v_cmpx_eq_u32_e32 41, v205
	s_cbranch_execz .LBB105_377
; %bb.371:
	ds_store_2addr_b64 v255, v[44:45], v[46:47] offset1:1
	ds_store_2addr_b64 v250, v[40:41], v[42:43] offset0:84 offset1:85
	ds_store_2addr_b64 v250, v[36:37], v[38:39] offset0:86 offset1:87
	;; [unrolled: 1-line block ×11, first 2 shown]
	ds_load_2addr_b64 v[212:215], v255 offset1:1
	s_waitcnt lgkmcnt(0)
	v_cmp_neq_f64_e32 vcc_lo, 0, v[212:213]
	v_cmp_neq_f64_e64 s3, 0, v[214:215]
	s_delay_alu instid0(VALU_DEP_1) | instskip(NEXT) | instid1(SALU_CYCLE_1)
	s_or_b32 s3, vcc_lo, s3
	s_and_b32 exec_lo, exec_lo, s3
	s_cbranch_execz .LBB105_377
; %bb.372:
	v_cmp_gt_f64_e32 vcc_lo, 0, v[212:213]
	v_xor_b32_e32 v204, 0x80000000, v213
	s_mov_b32 s3, exec_lo
                                        ; implicit-def: $vgpr220_vgpr221
	s_delay_alu instid0(VALU_DEP_1) | instskip(SKIP_3) | instid1(VALU_DEP_1)
	v_cndmask_b32_e32 v217, v213, v204, vcc_lo
	v_cndmask_b32_e32 v216, v212, v212, vcc_lo
	v_cmp_gt_f64_e32 vcc_lo, 0, v[214:215]
	v_xor_b32_e32 v204, 0x80000000, v215
	v_dual_cndmask_b32 v218, v214, v214 :: v_dual_cndmask_b32 v219, v215, v204
	s_delay_alu instid0(VALU_DEP_1)
	v_cmpx_ngt_f64_e32 v[216:217], v[218:219]
	s_xor_b32 s3, exec_lo, s3
                                        ; implicit-def: $vgpr216_vgpr217_vgpr218_vgpr219
	s_cbranch_execz .LBB105_374
; %bb.373:
	v_div_scale_f64 v[216:217], null, v[214:215], v[214:215], v[212:213]
	v_div_scale_f64 v[222:223], vcc_lo, v[212:213], v[214:215], v[212:213]
	s_delay_alu instid0(VALU_DEP_2) | instskip(SKIP_2) | instid1(VALU_DEP_1)
	v_rcp_f64_e32 v[218:219], v[216:217]
	s_waitcnt_depctr 0xfff
	v_fma_f64 v[220:221], -v[216:217], v[218:219], 1.0
	v_fma_f64 v[218:219], v[218:219], v[220:221], v[218:219]
	s_delay_alu instid0(VALU_DEP_1) | instskip(NEXT) | instid1(VALU_DEP_1)
	v_fma_f64 v[220:221], -v[216:217], v[218:219], 1.0
	v_fma_f64 v[218:219], v[218:219], v[220:221], v[218:219]
	s_delay_alu instid0(VALU_DEP_1) | instskip(NEXT) | instid1(VALU_DEP_1)
	v_mul_f64 v[220:221], v[222:223], v[218:219]
	v_fma_f64 v[216:217], -v[216:217], v[220:221], v[222:223]
	s_delay_alu instid0(VALU_DEP_1) | instskip(NEXT) | instid1(VALU_DEP_1)
	v_div_fmas_f64 v[216:217], v[216:217], v[218:219], v[220:221]
	v_div_fixup_f64 v[216:217], v[216:217], v[214:215], v[212:213]
	s_delay_alu instid0(VALU_DEP_1) | instskip(NEXT) | instid1(VALU_DEP_1)
	v_fma_f64 v[212:213], v[212:213], v[216:217], v[214:215]
	v_div_scale_f64 v[214:215], null, v[212:213], v[212:213], 1.0
	s_delay_alu instid0(VALU_DEP_1) | instskip(SKIP_2) | instid1(VALU_DEP_1)
	v_rcp_f64_e32 v[218:219], v[214:215]
	s_waitcnt_depctr 0xfff
	v_fma_f64 v[220:221], -v[214:215], v[218:219], 1.0
	v_fma_f64 v[218:219], v[218:219], v[220:221], v[218:219]
	s_delay_alu instid0(VALU_DEP_1) | instskip(NEXT) | instid1(VALU_DEP_1)
	v_fma_f64 v[220:221], -v[214:215], v[218:219], 1.0
	v_fma_f64 v[218:219], v[218:219], v[220:221], v[218:219]
	v_div_scale_f64 v[220:221], vcc_lo, 1.0, v[212:213], 1.0
	s_delay_alu instid0(VALU_DEP_1) | instskip(NEXT) | instid1(VALU_DEP_1)
	v_mul_f64 v[222:223], v[220:221], v[218:219]
	v_fma_f64 v[214:215], -v[214:215], v[222:223], v[220:221]
	s_delay_alu instid0(VALU_DEP_1) | instskip(NEXT) | instid1(VALU_DEP_1)
	v_div_fmas_f64 v[214:215], v[214:215], v[218:219], v[222:223]
	v_div_fixup_f64 v[218:219], v[214:215], v[212:213], 1.0
                                        ; implicit-def: $vgpr212_vgpr213
	s_delay_alu instid0(VALU_DEP_1)
	v_mul_f64 v[220:221], v[216:217], v[218:219]
	v_xor_b32_e32 v219, 0x80000000, v219
.LBB105_374:
	s_and_not1_saveexec_b32 s3, s3
	s_cbranch_execz .LBB105_376
; %bb.375:
	v_div_scale_f64 v[216:217], null, v[212:213], v[212:213], v[214:215]
	v_div_scale_f64 v[222:223], vcc_lo, v[214:215], v[212:213], v[214:215]
	s_delay_alu instid0(VALU_DEP_2) | instskip(SKIP_2) | instid1(VALU_DEP_1)
	v_rcp_f64_e32 v[218:219], v[216:217]
	s_waitcnt_depctr 0xfff
	v_fma_f64 v[220:221], -v[216:217], v[218:219], 1.0
	v_fma_f64 v[218:219], v[218:219], v[220:221], v[218:219]
	s_delay_alu instid0(VALU_DEP_1) | instskip(NEXT) | instid1(VALU_DEP_1)
	v_fma_f64 v[220:221], -v[216:217], v[218:219], 1.0
	v_fma_f64 v[218:219], v[218:219], v[220:221], v[218:219]
	s_delay_alu instid0(VALU_DEP_1) | instskip(NEXT) | instid1(VALU_DEP_1)
	v_mul_f64 v[220:221], v[222:223], v[218:219]
	v_fma_f64 v[216:217], -v[216:217], v[220:221], v[222:223]
	s_delay_alu instid0(VALU_DEP_1) | instskip(NEXT) | instid1(VALU_DEP_1)
	v_div_fmas_f64 v[216:217], v[216:217], v[218:219], v[220:221]
	v_div_fixup_f64 v[216:217], v[216:217], v[212:213], v[214:215]
	s_delay_alu instid0(VALU_DEP_1) | instskip(NEXT) | instid1(VALU_DEP_1)
	v_fma_f64 v[212:213], v[214:215], v[216:217], v[212:213]
	v_div_scale_f64 v[214:215], null, v[212:213], v[212:213], 1.0
	s_delay_alu instid0(VALU_DEP_1) | instskip(SKIP_2) | instid1(VALU_DEP_1)
	v_rcp_f64_e32 v[218:219], v[214:215]
	s_waitcnt_depctr 0xfff
	v_fma_f64 v[220:221], -v[214:215], v[218:219], 1.0
	v_fma_f64 v[218:219], v[218:219], v[220:221], v[218:219]
	s_delay_alu instid0(VALU_DEP_1) | instskip(NEXT) | instid1(VALU_DEP_1)
	v_fma_f64 v[220:221], -v[214:215], v[218:219], 1.0
	v_fma_f64 v[218:219], v[218:219], v[220:221], v[218:219]
	v_div_scale_f64 v[220:221], vcc_lo, 1.0, v[212:213], 1.0
	s_delay_alu instid0(VALU_DEP_1) | instskip(NEXT) | instid1(VALU_DEP_1)
	v_mul_f64 v[222:223], v[220:221], v[218:219]
	v_fma_f64 v[214:215], -v[214:215], v[222:223], v[220:221]
	s_delay_alu instid0(VALU_DEP_1) | instskip(NEXT) | instid1(VALU_DEP_1)
	v_div_fmas_f64 v[214:215], v[214:215], v[218:219], v[222:223]
	v_div_fixup_f64 v[220:221], v[214:215], v[212:213], 1.0
	s_delay_alu instid0(VALU_DEP_1)
	v_mul_f64 v[218:219], v[216:217], -v[220:221]
.LBB105_376:
	s_or_b32 exec_lo, exec_lo, s3
	ds_store_2addr_b64 v255, v[220:221], v[218:219] offset1:1
.LBB105_377:
	s_or_b32 exec_lo, exec_lo, s4
	s_waitcnt lgkmcnt(0)
	s_barrier
	buffer_gl0_inv
	ds_load_2addr_b64 v[212:215], v255 offset1:1
	s_mov_b32 s3, exec_lo
	s_waitcnt lgkmcnt(0)
	scratch_store_b128 off, v[212:215], off offset:1096 ; 16-byte Folded Spill
	v_cmpx_lt_u32_e32 41, v205
	s_cbranch_execz .LBB105_379
; %bb.378:
	scratch_load_b128 v[218:221], off, off offset:1096 ; 16-byte Folded Reload
	s_waitcnt vmcnt(0)
	v_mul_f64 v[212:213], v[218:219], v[46:47]
	v_mul_f64 v[46:47], v[220:221], v[46:47]
	s_delay_alu instid0(VALU_DEP_2) | instskip(SKIP_4) | instid1(VALU_DEP_1)
	v_fma_f64 v[216:217], v[220:221], v[44:45], v[212:213]
	ds_load_2addr_b64 v[212:215], v250 offset0:84 offset1:85
	v_fma_f64 v[44:45], v[218:219], v[44:45], -v[46:47]
	s_waitcnt lgkmcnt(0)
	v_mul_f64 v[46:47], v[214:215], v[216:217]
	v_fma_f64 v[46:47], v[212:213], v[44:45], -v[46:47]
	v_mul_f64 v[212:213], v[212:213], v[216:217]
	s_delay_alu instid0(VALU_DEP_2) | instskip(NEXT) | instid1(VALU_DEP_2)
	v_add_f64 v[40:41], v[40:41], -v[46:47]
	v_fma_f64 v[212:213], v[214:215], v[44:45], v[212:213]
	s_delay_alu instid0(VALU_DEP_1) | instskip(SKIP_3) | instid1(VALU_DEP_1)
	v_add_f64 v[42:43], v[42:43], -v[212:213]
	ds_load_2addr_b64 v[212:215], v250 offset0:86 offset1:87
	s_waitcnt lgkmcnt(0)
	v_mul_f64 v[46:47], v[214:215], v[216:217]
	v_fma_f64 v[46:47], v[212:213], v[44:45], -v[46:47]
	v_mul_f64 v[212:213], v[212:213], v[216:217]
	s_delay_alu instid0(VALU_DEP_2) | instskip(NEXT) | instid1(VALU_DEP_2)
	v_add_f64 v[36:37], v[36:37], -v[46:47]
	v_fma_f64 v[212:213], v[214:215], v[44:45], v[212:213]
	s_delay_alu instid0(VALU_DEP_1) | instskip(SKIP_3) | instid1(VALU_DEP_1)
	v_add_f64 v[38:39], v[38:39], -v[212:213]
	ds_load_2addr_b64 v[212:215], v250 offset0:88 offset1:89
	;; [unrolled: 10-line block ×10, first 2 shown]
	s_waitcnt lgkmcnt(0)
	v_mul_f64 v[46:47], v[214:215], v[216:217]
	v_fma_f64 v[46:47], v[212:213], v[44:45], -v[46:47]
	v_mul_f64 v[212:213], v[212:213], v[216:217]
	s_delay_alu instid0(VALU_DEP_2) | instskip(NEXT) | instid1(VALU_DEP_2)
	v_add_f64 v[0:1], v[0:1], -v[46:47]
	v_fma_f64 v[212:213], v[214:215], v[44:45], v[212:213]
	v_dual_mov_b32 v46, v216 :: v_dual_mov_b32 v47, v217
	s_delay_alu instid0(VALU_DEP_2)
	v_add_f64 v[2:3], v[2:3], -v[212:213]
.LBB105_379:
	s_or_b32 exec_lo, exec_lo, s3
	s_delay_alu instid0(SALU_CYCLE_1)
	s_mov_b32 s4, exec_lo
	s_waitcnt_vscnt null, 0x0
	s_barrier
	buffer_gl0_inv
	v_cmpx_eq_u32_e32 42, v205
	s_cbranch_execz .LBB105_386
; %bb.380:
	ds_store_2addr_b64 v255, v[40:41], v[42:43] offset1:1
	ds_store_2addr_b64 v250, v[36:37], v[38:39] offset0:86 offset1:87
	ds_store_2addr_b64 v250, v[32:33], v[34:35] offset0:88 offset1:89
	ds_store_2addr_b64 v250, v[28:29], v[30:31] offset0:90 offset1:91
	ds_store_2addr_b64 v250, v[24:25], v[26:27] offset0:92 offset1:93
	ds_store_2addr_b64 v250, v[20:21], v[22:23] offset0:94 offset1:95
	ds_store_2addr_b64 v250, v[16:17], v[18:19] offset0:96 offset1:97
	ds_store_2addr_b64 v250, v[12:13], v[14:15] offset0:98 offset1:99
	ds_store_2addr_b64 v250, v[8:9], v[10:11] offset0:100 offset1:101
	ds_store_2addr_b64 v250, v[4:5], v[6:7] offset0:102 offset1:103
	ds_store_2addr_b64 v250, v[0:1], v[2:3] offset0:104 offset1:105
	ds_load_2addr_b64 v[212:215], v255 offset1:1
	s_waitcnt lgkmcnt(0)
	v_cmp_neq_f64_e32 vcc_lo, 0, v[212:213]
	v_cmp_neq_f64_e64 s3, 0, v[214:215]
	s_delay_alu instid0(VALU_DEP_1) | instskip(NEXT) | instid1(SALU_CYCLE_1)
	s_or_b32 s3, vcc_lo, s3
	s_and_b32 exec_lo, exec_lo, s3
	s_cbranch_execz .LBB105_386
; %bb.381:
	v_cmp_gt_f64_e32 vcc_lo, 0, v[212:213]
	v_xor_b32_e32 v204, 0x80000000, v213
	s_mov_b32 s3, exec_lo
                                        ; implicit-def: $vgpr220_vgpr221
	s_delay_alu instid0(VALU_DEP_1) | instskip(SKIP_3) | instid1(VALU_DEP_1)
	v_cndmask_b32_e32 v217, v213, v204, vcc_lo
	v_cndmask_b32_e32 v216, v212, v212, vcc_lo
	v_cmp_gt_f64_e32 vcc_lo, 0, v[214:215]
	v_xor_b32_e32 v204, 0x80000000, v215
	v_dual_cndmask_b32 v218, v214, v214 :: v_dual_cndmask_b32 v219, v215, v204
	s_delay_alu instid0(VALU_DEP_1)
	v_cmpx_ngt_f64_e32 v[216:217], v[218:219]
	s_xor_b32 s3, exec_lo, s3
                                        ; implicit-def: $vgpr216_vgpr217_vgpr218_vgpr219
	s_cbranch_execz .LBB105_383
; %bb.382:
	v_div_scale_f64 v[216:217], null, v[214:215], v[214:215], v[212:213]
	v_div_scale_f64 v[222:223], vcc_lo, v[212:213], v[214:215], v[212:213]
	s_delay_alu instid0(VALU_DEP_2) | instskip(SKIP_2) | instid1(VALU_DEP_1)
	v_rcp_f64_e32 v[218:219], v[216:217]
	s_waitcnt_depctr 0xfff
	v_fma_f64 v[220:221], -v[216:217], v[218:219], 1.0
	v_fma_f64 v[218:219], v[218:219], v[220:221], v[218:219]
	s_delay_alu instid0(VALU_DEP_1) | instskip(NEXT) | instid1(VALU_DEP_1)
	v_fma_f64 v[220:221], -v[216:217], v[218:219], 1.0
	v_fma_f64 v[218:219], v[218:219], v[220:221], v[218:219]
	s_delay_alu instid0(VALU_DEP_1) | instskip(NEXT) | instid1(VALU_DEP_1)
	v_mul_f64 v[220:221], v[222:223], v[218:219]
	v_fma_f64 v[216:217], -v[216:217], v[220:221], v[222:223]
	s_delay_alu instid0(VALU_DEP_1) | instskip(NEXT) | instid1(VALU_DEP_1)
	v_div_fmas_f64 v[216:217], v[216:217], v[218:219], v[220:221]
	v_div_fixup_f64 v[216:217], v[216:217], v[214:215], v[212:213]
	s_delay_alu instid0(VALU_DEP_1) | instskip(NEXT) | instid1(VALU_DEP_1)
	v_fma_f64 v[212:213], v[212:213], v[216:217], v[214:215]
	v_div_scale_f64 v[214:215], null, v[212:213], v[212:213], 1.0
	s_delay_alu instid0(VALU_DEP_1) | instskip(SKIP_2) | instid1(VALU_DEP_1)
	v_rcp_f64_e32 v[218:219], v[214:215]
	s_waitcnt_depctr 0xfff
	v_fma_f64 v[220:221], -v[214:215], v[218:219], 1.0
	v_fma_f64 v[218:219], v[218:219], v[220:221], v[218:219]
	s_delay_alu instid0(VALU_DEP_1) | instskip(NEXT) | instid1(VALU_DEP_1)
	v_fma_f64 v[220:221], -v[214:215], v[218:219], 1.0
	v_fma_f64 v[218:219], v[218:219], v[220:221], v[218:219]
	v_div_scale_f64 v[220:221], vcc_lo, 1.0, v[212:213], 1.0
	s_delay_alu instid0(VALU_DEP_1) | instskip(NEXT) | instid1(VALU_DEP_1)
	v_mul_f64 v[222:223], v[220:221], v[218:219]
	v_fma_f64 v[214:215], -v[214:215], v[222:223], v[220:221]
	s_delay_alu instid0(VALU_DEP_1) | instskip(NEXT) | instid1(VALU_DEP_1)
	v_div_fmas_f64 v[214:215], v[214:215], v[218:219], v[222:223]
	v_div_fixup_f64 v[218:219], v[214:215], v[212:213], 1.0
                                        ; implicit-def: $vgpr212_vgpr213
	s_delay_alu instid0(VALU_DEP_1)
	v_mul_f64 v[220:221], v[216:217], v[218:219]
	v_xor_b32_e32 v219, 0x80000000, v219
.LBB105_383:
	s_and_not1_saveexec_b32 s3, s3
	s_cbranch_execz .LBB105_385
; %bb.384:
	v_div_scale_f64 v[216:217], null, v[212:213], v[212:213], v[214:215]
	v_div_scale_f64 v[222:223], vcc_lo, v[214:215], v[212:213], v[214:215]
	s_delay_alu instid0(VALU_DEP_2) | instskip(SKIP_2) | instid1(VALU_DEP_1)
	v_rcp_f64_e32 v[218:219], v[216:217]
	s_waitcnt_depctr 0xfff
	v_fma_f64 v[220:221], -v[216:217], v[218:219], 1.0
	v_fma_f64 v[218:219], v[218:219], v[220:221], v[218:219]
	s_delay_alu instid0(VALU_DEP_1) | instskip(NEXT) | instid1(VALU_DEP_1)
	v_fma_f64 v[220:221], -v[216:217], v[218:219], 1.0
	v_fma_f64 v[218:219], v[218:219], v[220:221], v[218:219]
	s_delay_alu instid0(VALU_DEP_1) | instskip(NEXT) | instid1(VALU_DEP_1)
	v_mul_f64 v[220:221], v[222:223], v[218:219]
	v_fma_f64 v[216:217], -v[216:217], v[220:221], v[222:223]
	s_delay_alu instid0(VALU_DEP_1) | instskip(NEXT) | instid1(VALU_DEP_1)
	v_div_fmas_f64 v[216:217], v[216:217], v[218:219], v[220:221]
	v_div_fixup_f64 v[216:217], v[216:217], v[212:213], v[214:215]
	s_delay_alu instid0(VALU_DEP_1) | instskip(NEXT) | instid1(VALU_DEP_1)
	v_fma_f64 v[212:213], v[214:215], v[216:217], v[212:213]
	v_div_scale_f64 v[214:215], null, v[212:213], v[212:213], 1.0
	s_delay_alu instid0(VALU_DEP_1) | instskip(SKIP_2) | instid1(VALU_DEP_1)
	v_rcp_f64_e32 v[218:219], v[214:215]
	s_waitcnt_depctr 0xfff
	v_fma_f64 v[220:221], -v[214:215], v[218:219], 1.0
	v_fma_f64 v[218:219], v[218:219], v[220:221], v[218:219]
	s_delay_alu instid0(VALU_DEP_1) | instskip(NEXT) | instid1(VALU_DEP_1)
	v_fma_f64 v[220:221], -v[214:215], v[218:219], 1.0
	v_fma_f64 v[218:219], v[218:219], v[220:221], v[218:219]
	v_div_scale_f64 v[220:221], vcc_lo, 1.0, v[212:213], 1.0
	s_delay_alu instid0(VALU_DEP_1) | instskip(NEXT) | instid1(VALU_DEP_1)
	v_mul_f64 v[222:223], v[220:221], v[218:219]
	v_fma_f64 v[214:215], -v[214:215], v[222:223], v[220:221]
	s_delay_alu instid0(VALU_DEP_1) | instskip(NEXT) | instid1(VALU_DEP_1)
	v_div_fmas_f64 v[214:215], v[214:215], v[218:219], v[222:223]
	v_div_fixup_f64 v[220:221], v[214:215], v[212:213], 1.0
	s_delay_alu instid0(VALU_DEP_1)
	v_mul_f64 v[218:219], v[216:217], -v[220:221]
.LBB105_385:
	s_or_b32 exec_lo, exec_lo, s3
	ds_store_2addr_b64 v255, v[220:221], v[218:219] offset1:1
.LBB105_386:
	s_or_b32 exec_lo, exec_lo, s4
	s_waitcnt lgkmcnt(0)
	s_barrier
	buffer_gl0_inv
	ds_load_2addr_b64 v[212:215], v255 offset1:1
	s_mov_b32 s3, exec_lo
	s_waitcnt lgkmcnt(0)
	scratch_store_b128 off, v[212:215], off offset:1112 ; 16-byte Folded Spill
	v_cmpx_lt_u32_e32 42, v205
	s_cbranch_execz .LBB105_388
; %bb.387:
	scratch_load_b128 v[218:221], off, off offset:1112 ; 16-byte Folded Reload
	s_waitcnt vmcnt(0)
	v_mul_f64 v[212:213], v[218:219], v[42:43]
	v_mul_f64 v[42:43], v[220:221], v[42:43]
	s_delay_alu instid0(VALU_DEP_2) | instskip(SKIP_4) | instid1(VALU_DEP_1)
	v_fma_f64 v[216:217], v[220:221], v[40:41], v[212:213]
	ds_load_2addr_b64 v[212:215], v250 offset0:86 offset1:87
	v_fma_f64 v[40:41], v[218:219], v[40:41], -v[42:43]
	s_waitcnt lgkmcnt(0)
	v_mul_f64 v[42:43], v[214:215], v[216:217]
	v_fma_f64 v[42:43], v[212:213], v[40:41], -v[42:43]
	v_mul_f64 v[212:213], v[212:213], v[216:217]
	s_delay_alu instid0(VALU_DEP_2) | instskip(NEXT) | instid1(VALU_DEP_2)
	v_add_f64 v[36:37], v[36:37], -v[42:43]
	v_fma_f64 v[212:213], v[214:215], v[40:41], v[212:213]
	s_delay_alu instid0(VALU_DEP_1) | instskip(SKIP_3) | instid1(VALU_DEP_1)
	v_add_f64 v[38:39], v[38:39], -v[212:213]
	ds_load_2addr_b64 v[212:215], v250 offset0:88 offset1:89
	s_waitcnt lgkmcnt(0)
	v_mul_f64 v[42:43], v[214:215], v[216:217]
	v_fma_f64 v[42:43], v[212:213], v[40:41], -v[42:43]
	v_mul_f64 v[212:213], v[212:213], v[216:217]
	s_delay_alu instid0(VALU_DEP_2) | instskip(NEXT) | instid1(VALU_DEP_2)
	v_add_f64 v[32:33], v[32:33], -v[42:43]
	v_fma_f64 v[212:213], v[214:215], v[40:41], v[212:213]
	s_delay_alu instid0(VALU_DEP_1) | instskip(SKIP_3) | instid1(VALU_DEP_1)
	v_add_f64 v[34:35], v[34:35], -v[212:213]
	ds_load_2addr_b64 v[212:215], v250 offset0:90 offset1:91
	;; [unrolled: 10-line block ×9, first 2 shown]
	s_waitcnt lgkmcnt(0)
	v_mul_f64 v[42:43], v[214:215], v[216:217]
	v_fma_f64 v[42:43], v[212:213], v[40:41], -v[42:43]
	v_mul_f64 v[212:213], v[212:213], v[216:217]
	s_delay_alu instid0(VALU_DEP_2) | instskip(NEXT) | instid1(VALU_DEP_2)
	v_add_f64 v[0:1], v[0:1], -v[42:43]
	v_fma_f64 v[212:213], v[214:215], v[40:41], v[212:213]
	v_dual_mov_b32 v42, v216 :: v_dual_mov_b32 v43, v217
	s_delay_alu instid0(VALU_DEP_2)
	v_add_f64 v[2:3], v[2:3], -v[212:213]
.LBB105_388:
	s_or_b32 exec_lo, exec_lo, s3
	s_delay_alu instid0(SALU_CYCLE_1)
	s_mov_b32 s4, exec_lo
	s_waitcnt_vscnt null, 0x0
	s_barrier
	buffer_gl0_inv
	v_cmpx_eq_u32_e32 43, v205
	s_cbranch_execz .LBB105_395
; %bb.389:
	ds_store_2addr_b64 v255, v[36:37], v[38:39] offset1:1
	ds_store_2addr_b64 v250, v[32:33], v[34:35] offset0:88 offset1:89
	ds_store_2addr_b64 v250, v[28:29], v[30:31] offset0:90 offset1:91
	;; [unrolled: 1-line block ×9, first 2 shown]
	ds_load_2addr_b64 v[212:215], v255 offset1:1
	s_waitcnt lgkmcnt(0)
	v_cmp_neq_f64_e32 vcc_lo, 0, v[212:213]
	v_cmp_neq_f64_e64 s3, 0, v[214:215]
	s_delay_alu instid0(VALU_DEP_1) | instskip(NEXT) | instid1(SALU_CYCLE_1)
	s_or_b32 s3, vcc_lo, s3
	s_and_b32 exec_lo, exec_lo, s3
	s_cbranch_execz .LBB105_395
; %bb.390:
	v_cmp_gt_f64_e32 vcc_lo, 0, v[212:213]
	v_xor_b32_e32 v204, 0x80000000, v213
	s_mov_b32 s3, exec_lo
                                        ; implicit-def: $vgpr220_vgpr221
	s_delay_alu instid0(VALU_DEP_1) | instskip(SKIP_3) | instid1(VALU_DEP_1)
	v_cndmask_b32_e32 v217, v213, v204, vcc_lo
	v_cndmask_b32_e32 v216, v212, v212, vcc_lo
	v_cmp_gt_f64_e32 vcc_lo, 0, v[214:215]
	v_xor_b32_e32 v204, 0x80000000, v215
	v_dual_cndmask_b32 v218, v214, v214 :: v_dual_cndmask_b32 v219, v215, v204
	s_delay_alu instid0(VALU_DEP_1)
	v_cmpx_ngt_f64_e32 v[216:217], v[218:219]
	s_xor_b32 s3, exec_lo, s3
                                        ; implicit-def: $vgpr216_vgpr217_vgpr218_vgpr219
	s_cbranch_execz .LBB105_392
; %bb.391:
	v_div_scale_f64 v[216:217], null, v[214:215], v[214:215], v[212:213]
	v_div_scale_f64 v[222:223], vcc_lo, v[212:213], v[214:215], v[212:213]
	s_delay_alu instid0(VALU_DEP_2) | instskip(SKIP_2) | instid1(VALU_DEP_1)
	v_rcp_f64_e32 v[218:219], v[216:217]
	s_waitcnt_depctr 0xfff
	v_fma_f64 v[220:221], -v[216:217], v[218:219], 1.0
	v_fma_f64 v[218:219], v[218:219], v[220:221], v[218:219]
	s_delay_alu instid0(VALU_DEP_1) | instskip(NEXT) | instid1(VALU_DEP_1)
	v_fma_f64 v[220:221], -v[216:217], v[218:219], 1.0
	v_fma_f64 v[218:219], v[218:219], v[220:221], v[218:219]
	s_delay_alu instid0(VALU_DEP_1) | instskip(NEXT) | instid1(VALU_DEP_1)
	v_mul_f64 v[220:221], v[222:223], v[218:219]
	v_fma_f64 v[216:217], -v[216:217], v[220:221], v[222:223]
	s_delay_alu instid0(VALU_DEP_1) | instskip(NEXT) | instid1(VALU_DEP_1)
	v_div_fmas_f64 v[216:217], v[216:217], v[218:219], v[220:221]
	v_div_fixup_f64 v[216:217], v[216:217], v[214:215], v[212:213]
	s_delay_alu instid0(VALU_DEP_1) | instskip(NEXT) | instid1(VALU_DEP_1)
	v_fma_f64 v[212:213], v[212:213], v[216:217], v[214:215]
	v_div_scale_f64 v[214:215], null, v[212:213], v[212:213], 1.0
	s_delay_alu instid0(VALU_DEP_1) | instskip(SKIP_2) | instid1(VALU_DEP_1)
	v_rcp_f64_e32 v[218:219], v[214:215]
	s_waitcnt_depctr 0xfff
	v_fma_f64 v[220:221], -v[214:215], v[218:219], 1.0
	v_fma_f64 v[218:219], v[218:219], v[220:221], v[218:219]
	s_delay_alu instid0(VALU_DEP_1) | instskip(NEXT) | instid1(VALU_DEP_1)
	v_fma_f64 v[220:221], -v[214:215], v[218:219], 1.0
	v_fma_f64 v[218:219], v[218:219], v[220:221], v[218:219]
	v_div_scale_f64 v[220:221], vcc_lo, 1.0, v[212:213], 1.0
	s_delay_alu instid0(VALU_DEP_1) | instskip(NEXT) | instid1(VALU_DEP_1)
	v_mul_f64 v[222:223], v[220:221], v[218:219]
	v_fma_f64 v[214:215], -v[214:215], v[222:223], v[220:221]
	s_delay_alu instid0(VALU_DEP_1) | instskip(NEXT) | instid1(VALU_DEP_1)
	v_div_fmas_f64 v[214:215], v[214:215], v[218:219], v[222:223]
	v_div_fixup_f64 v[218:219], v[214:215], v[212:213], 1.0
                                        ; implicit-def: $vgpr212_vgpr213
	s_delay_alu instid0(VALU_DEP_1)
	v_mul_f64 v[220:221], v[216:217], v[218:219]
	v_xor_b32_e32 v219, 0x80000000, v219
.LBB105_392:
	s_and_not1_saveexec_b32 s3, s3
	s_cbranch_execz .LBB105_394
; %bb.393:
	v_div_scale_f64 v[216:217], null, v[212:213], v[212:213], v[214:215]
	v_div_scale_f64 v[222:223], vcc_lo, v[214:215], v[212:213], v[214:215]
	s_delay_alu instid0(VALU_DEP_2) | instskip(SKIP_2) | instid1(VALU_DEP_1)
	v_rcp_f64_e32 v[218:219], v[216:217]
	s_waitcnt_depctr 0xfff
	v_fma_f64 v[220:221], -v[216:217], v[218:219], 1.0
	v_fma_f64 v[218:219], v[218:219], v[220:221], v[218:219]
	s_delay_alu instid0(VALU_DEP_1) | instskip(NEXT) | instid1(VALU_DEP_1)
	v_fma_f64 v[220:221], -v[216:217], v[218:219], 1.0
	v_fma_f64 v[218:219], v[218:219], v[220:221], v[218:219]
	s_delay_alu instid0(VALU_DEP_1) | instskip(NEXT) | instid1(VALU_DEP_1)
	v_mul_f64 v[220:221], v[222:223], v[218:219]
	v_fma_f64 v[216:217], -v[216:217], v[220:221], v[222:223]
	s_delay_alu instid0(VALU_DEP_1) | instskip(NEXT) | instid1(VALU_DEP_1)
	v_div_fmas_f64 v[216:217], v[216:217], v[218:219], v[220:221]
	v_div_fixup_f64 v[216:217], v[216:217], v[212:213], v[214:215]
	s_delay_alu instid0(VALU_DEP_1) | instskip(NEXT) | instid1(VALU_DEP_1)
	v_fma_f64 v[212:213], v[214:215], v[216:217], v[212:213]
	v_div_scale_f64 v[214:215], null, v[212:213], v[212:213], 1.0
	s_delay_alu instid0(VALU_DEP_1) | instskip(SKIP_2) | instid1(VALU_DEP_1)
	v_rcp_f64_e32 v[218:219], v[214:215]
	s_waitcnt_depctr 0xfff
	v_fma_f64 v[220:221], -v[214:215], v[218:219], 1.0
	v_fma_f64 v[218:219], v[218:219], v[220:221], v[218:219]
	s_delay_alu instid0(VALU_DEP_1) | instskip(NEXT) | instid1(VALU_DEP_1)
	v_fma_f64 v[220:221], -v[214:215], v[218:219], 1.0
	v_fma_f64 v[218:219], v[218:219], v[220:221], v[218:219]
	v_div_scale_f64 v[220:221], vcc_lo, 1.0, v[212:213], 1.0
	s_delay_alu instid0(VALU_DEP_1) | instskip(NEXT) | instid1(VALU_DEP_1)
	v_mul_f64 v[222:223], v[220:221], v[218:219]
	v_fma_f64 v[214:215], -v[214:215], v[222:223], v[220:221]
	s_delay_alu instid0(VALU_DEP_1) | instskip(NEXT) | instid1(VALU_DEP_1)
	v_div_fmas_f64 v[214:215], v[214:215], v[218:219], v[222:223]
	v_div_fixup_f64 v[220:221], v[214:215], v[212:213], 1.0
	s_delay_alu instid0(VALU_DEP_1)
	v_mul_f64 v[218:219], v[216:217], -v[220:221]
.LBB105_394:
	s_or_b32 exec_lo, exec_lo, s3
	ds_store_2addr_b64 v255, v[220:221], v[218:219] offset1:1
.LBB105_395:
	s_or_b32 exec_lo, exec_lo, s4
	s_waitcnt lgkmcnt(0)
	s_barrier
	buffer_gl0_inv
	ds_load_2addr_b64 v[212:215], v255 offset1:1
	s_mov_b32 s3, exec_lo
	s_waitcnt lgkmcnt(0)
	scratch_store_b128 off, v[212:215], off offset:1128 ; 16-byte Folded Spill
	v_cmpx_lt_u32_e32 43, v205
	s_cbranch_execz .LBB105_397
; %bb.396:
	scratch_load_b128 v[218:221], off, off offset:1128 ; 16-byte Folded Reload
	s_waitcnt vmcnt(0)
	v_mul_f64 v[212:213], v[218:219], v[38:39]
	v_mul_f64 v[38:39], v[220:221], v[38:39]
	s_delay_alu instid0(VALU_DEP_2) | instskip(SKIP_4) | instid1(VALU_DEP_1)
	v_fma_f64 v[216:217], v[220:221], v[36:37], v[212:213]
	ds_load_2addr_b64 v[212:215], v250 offset0:88 offset1:89
	v_fma_f64 v[36:37], v[218:219], v[36:37], -v[38:39]
	s_waitcnt lgkmcnt(0)
	v_mul_f64 v[38:39], v[214:215], v[216:217]
	v_fma_f64 v[38:39], v[212:213], v[36:37], -v[38:39]
	v_mul_f64 v[212:213], v[212:213], v[216:217]
	s_delay_alu instid0(VALU_DEP_2) | instskip(NEXT) | instid1(VALU_DEP_2)
	v_add_f64 v[32:33], v[32:33], -v[38:39]
	v_fma_f64 v[212:213], v[214:215], v[36:37], v[212:213]
	s_delay_alu instid0(VALU_DEP_1) | instskip(SKIP_3) | instid1(VALU_DEP_1)
	v_add_f64 v[34:35], v[34:35], -v[212:213]
	ds_load_2addr_b64 v[212:215], v250 offset0:90 offset1:91
	s_waitcnt lgkmcnt(0)
	v_mul_f64 v[38:39], v[214:215], v[216:217]
	v_fma_f64 v[38:39], v[212:213], v[36:37], -v[38:39]
	v_mul_f64 v[212:213], v[212:213], v[216:217]
	s_delay_alu instid0(VALU_DEP_2) | instskip(NEXT) | instid1(VALU_DEP_2)
	v_add_f64 v[28:29], v[28:29], -v[38:39]
	v_fma_f64 v[212:213], v[214:215], v[36:37], v[212:213]
	s_delay_alu instid0(VALU_DEP_1) | instskip(SKIP_3) | instid1(VALU_DEP_1)
	v_add_f64 v[30:31], v[30:31], -v[212:213]
	ds_load_2addr_b64 v[212:215], v250 offset0:92 offset1:93
	;; [unrolled: 10-line block ×8, first 2 shown]
	s_waitcnt lgkmcnt(0)
	v_mul_f64 v[38:39], v[214:215], v[216:217]
	v_fma_f64 v[38:39], v[212:213], v[36:37], -v[38:39]
	v_mul_f64 v[212:213], v[212:213], v[216:217]
	s_delay_alu instid0(VALU_DEP_2) | instskip(NEXT) | instid1(VALU_DEP_2)
	v_add_f64 v[0:1], v[0:1], -v[38:39]
	v_fma_f64 v[212:213], v[214:215], v[36:37], v[212:213]
	v_dual_mov_b32 v38, v216 :: v_dual_mov_b32 v39, v217
	s_delay_alu instid0(VALU_DEP_2)
	v_add_f64 v[2:3], v[2:3], -v[212:213]
.LBB105_397:
	s_or_b32 exec_lo, exec_lo, s3
	s_delay_alu instid0(SALU_CYCLE_1)
	s_mov_b32 s4, exec_lo
	s_waitcnt_vscnt null, 0x0
	s_barrier
	buffer_gl0_inv
	v_cmpx_eq_u32_e32 44, v205
	s_cbranch_execz .LBB105_404
; %bb.398:
	ds_store_2addr_b64 v255, v[32:33], v[34:35] offset1:1
	ds_store_2addr_b64 v250, v[28:29], v[30:31] offset0:90 offset1:91
	ds_store_2addr_b64 v250, v[24:25], v[26:27] offset0:92 offset1:93
	;; [unrolled: 1-line block ×8, first 2 shown]
	ds_load_2addr_b64 v[212:215], v255 offset1:1
	s_waitcnt lgkmcnt(0)
	v_cmp_neq_f64_e32 vcc_lo, 0, v[212:213]
	v_cmp_neq_f64_e64 s3, 0, v[214:215]
	s_delay_alu instid0(VALU_DEP_1) | instskip(NEXT) | instid1(SALU_CYCLE_1)
	s_or_b32 s3, vcc_lo, s3
	s_and_b32 exec_lo, exec_lo, s3
	s_cbranch_execz .LBB105_404
; %bb.399:
	v_cmp_gt_f64_e32 vcc_lo, 0, v[212:213]
	v_xor_b32_e32 v204, 0x80000000, v213
	s_mov_b32 s3, exec_lo
                                        ; implicit-def: $vgpr220_vgpr221
	s_delay_alu instid0(VALU_DEP_1) | instskip(SKIP_3) | instid1(VALU_DEP_1)
	v_cndmask_b32_e32 v217, v213, v204, vcc_lo
	v_cndmask_b32_e32 v216, v212, v212, vcc_lo
	v_cmp_gt_f64_e32 vcc_lo, 0, v[214:215]
	v_xor_b32_e32 v204, 0x80000000, v215
	v_dual_cndmask_b32 v218, v214, v214 :: v_dual_cndmask_b32 v219, v215, v204
	s_delay_alu instid0(VALU_DEP_1)
	v_cmpx_ngt_f64_e32 v[216:217], v[218:219]
	s_xor_b32 s3, exec_lo, s3
                                        ; implicit-def: $vgpr216_vgpr217_vgpr218_vgpr219
	s_cbranch_execz .LBB105_401
; %bb.400:
	v_div_scale_f64 v[216:217], null, v[214:215], v[214:215], v[212:213]
	v_div_scale_f64 v[222:223], vcc_lo, v[212:213], v[214:215], v[212:213]
	s_delay_alu instid0(VALU_DEP_2) | instskip(SKIP_2) | instid1(VALU_DEP_1)
	v_rcp_f64_e32 v[218:219], v[216:217]
	s_waitcnt_depctr 0xfff
	v_fma_f64 v[220:221], -v[216:217], v[218:219], 1.0
	v_fma_f64 v[218:219], v[218:219], v[220:221], v[218:219]
	s_delay_alu instid0(VALU_DEP_1) | instskip(NEXT) | instid1(VALU_DEP_1)
	v_fma_f64 v[220:221], -v[216:217], v[218:219], 1.0
	v_fma_f64 v[218:219], v[218:219], v[220:221], v[218:219]
	s_delay_alu instid0(VALU_DEP_1) | instskip(NEXT) | instid1(VALU_DEP_1)
	v_mul_f64 v[220:221], v[222:223], v[218:219]
	v_fma_f64 v[216:217], -v[216:217], v[220:221], v[222:223]
	s_delay_alu instid0(VALU_DEP_1) | instskip(NEXT) | instid1(VALU_DEP_1)
	v_div_fmas_f64 v[216:217], v[216:217], v[218:219], v[220:221]
	v_div_fixup_f64 v[216:217], v[216:217], v[214:215], v[212:213]
	s_delay_alu instid0(VALU_DEP_1) | instskip(NEXT) | instid1(VALU_DEP_1)
	v_fma_f64 v[212:213], v[212:213], v[216:217], v[214:215]
	v_div_scale_f64 v[214:215], null, v[212:213], v[212:213], 1.0
	s_delay_alu instid0(VALU_DEP_1) | instskip(SKIP_2) | instid1(VALU_DEP_1)
	v_rcp_f64_e32 v[218:219], v[214:215]
	s_waitcnt_depctr 0xfff
	v_fma_f64 v[220:221], -v[214:215], v[218:219], 1.0
	v_fma_f64 v[218:219], v[218:219], v[220:221], v[218:219]
	s_delay_alu instid0(VALU_DEP_1) | instskip(NEXT) | instid1(VALU_DEP_1)
	v_fma_f64 v[220:221], -v[214:215], v[218:219], 1.0
	v_fma_f64 v[218:219], v[218:219], v[220:221], v[218:219]
	v_div_scale_f64 v[220:221], vcc_lo, 1.0, v[212:213], 1.0
	s_delay_alu instid0(VALU_DEP_1) | instskip(NEXT) | instid1(VALU_DEP_1)
	v_mul_f64 v[222:223], v[220:221], v[218:219]
	v_fma_f64 v[214:215], -v[214:215], v[222:223], v[220:221]
	s_delay_alu instid0(VALU_DEP_1) | instskip(NEXT) | instid1(VALU_DEP_1)
	v_div_fmas_f64 v[214:215], v[214:215], v[218:219], v[222:223]
	v_div_fixup_f64 v[218:219], v[214:215], v[212:213], 1.0
                                        ; implicit-def: $vgpr212_vgpr213
	s_delay_alu instid0(VALU_DEP_1)
	v_mul_f64 v[220:221], v[216:217], v[218:219]
	v_xor_b32_e32 v219, 0x80000000, v219
.LBB105_401:
	s_and_not1_saveexec_b32 s3, s3
	s_cbranch_execz .LBB105_403
; %bb.402:
	v_div_scale_f64 v[216:217], null, v[212:213], v[212:213], v[214:215]
	v_div_scale_f64 v[222:223], vcc_lo, v[214:215], v[212:213], v[214:215]
	s_delay_alu instid0(VALU_DEP_2) | instskip(SKIP_2) | instid1(VALU_DEP_1)
	v_rcp_f64_e32 v[218:219], v[216:217]
	s_waitcnt_depctr 0xfff
	v_fma_f64 v[220:221], -v[216:217], v[218:219], 1.0
	v_fma_f64 v[218:219], v[218:219], v[220:221], v[218:219]
	s_delay_alu instid0(VALU_DEP_1) | instskip(NEXT) | instid1(VALU_DEP_1)
	v_fma_f64 v[220:221], -v[216:217], v[218:219], 1.0
	v_fma_f64 v[218:219], v[218:219], v[220:221], v[218:219]
	s_delay_alu instid0(VALU_DEP_1) | instskip(NEXT) | instid1(VALU_DEP_1)
	v_mul_f64 v[220:221], v[222:223], v[218:219]
	v_fma_f64 v[216:217], -v[216:217], v[220:221], v[222:223]
	s_delay_alu instid0(VALU_DEP_1) | instskip(NEXT) | instid1(VALU_DEP_1)
	v_div_fmas_f64 v[216:217], v[216:217], v[218:219], v[220:221]
	v_div_fixup_f64 v[216:217], v[216:217], v[212:213], v[214:215]
	s_delay_alu instid0(VALU_DEP_1) | instskip(NEXT) | instid1(VALU_DEP_1)
	v_fma_f64 v[212:213], v[214:215], v[216:217], v[212:213]
	v_div_scale_f64 v[214:215], null, v[212:213], v[212:213], 1.0
	s_delay_alu instid0(VALU_DEP_1) | instskip(SKIP_2) | instid1(VALU_DEP_1)
	v_rcp_f64_e32 v[218:219], v[214:215]
	s_waitcnt_depctr 0xfff
	v_fma_f64 v[220:221], -v[214:215], v[218:219], 1.0
	v_fma_f64 v[218:219], v[218:219], v[220:221], v[218:219]
	s_delay_alu instid0(VALU_DEP_1) | instskip(NEXT) | instid1(VALU_DEP_1)
	v_fma_f64 v[220:221], -v[214:215], v[218:219], 1.0
	v_fma_f64 v[218:219], v[218:219], v[220:221], v[218:219]
	v_div_scale_f64 v[220:221], vcc_lo, 1.0, v[212:213], 1.0
	s_delay_alu instid0(VALU_DEP_1) | instskip(NEXT) | instid1(VALU_DEP_1)
	v_mul_f64 v[222:223], v[220:221], v[218:219]
	v_fma_f64 v[214:215], -v[214:215], v[222:223], v[220:221]
	s_delay_alu instid0(VALU_DEP_1) | instskip(NEXT) | instid1(VALU_DEP_1)
	v_div_fmas_f64 v[214:215], v[214:215], v[218:219], v[222:223]
	v_div_fixup_f64 v[220:221], v[214:215], v[212:213], 1.0
	s_delay_alu instid0(VALU_DEP_1)
	v_mul_f64 v[218:219], v[216:217], -v[220:221]
.LBB105_403:
	s_or_b32 exec_lo, exec_lo, s3
	ds_store_2addr_b64 v255, v[220:221], v[218:219] offset1:1
.LBB105_404:
	s_or_b32 exec_lo, exec_lo, s4
	s_waitcnt lgkmcnt(0)
	s_barrier
	buffer_gl0_inv
	ds_load_2addr_b64 v[212:215], v255 offset1:1
	s_mov_b32 s3, exec_lo
	v_cmpx_lt_u32_e32 44, v205
	s_cbranch_execz .LBB105_406
; %bb.405:
	s_waitcnt lgkmcnt(0)
	v_mul_f64 v[216:217], v[212:213], v[34:35]
	v_mul_f64 v[34:35], v[214:215], v[34:35]
	s_delay_alu instid0(VALU_DEP_2) | instskip(SKIP_4) | instid1(VALU_DEP_1)
	v_fma_f64 v[220:221], v[214:215], v[32:33], v[216:217]
	ds_load_2addr_b64 v[216:219], v250 offset0:90 offset1:91
	v_fma_f64 v[32:33], v[212:213], v[32:33], -v[34:35]
	s_waitcnt lgkmcnt(0)
	v_mul_f64 v[34:35], v[218:219], v[220:221]
	v_fma_f64 v[34:35], v[216:217], v[32:33], -v[34:35]
	v_mul_f64 v[216:217], v[216:217], v[220:221]
	s_delay_alu instid0(VALU_DEP_2) | instskip(NEXT) | instid1(VALU_DEP_2)
	v_add_f64 v[28:29], v[28:29], -v[34:35]
	v_fma_f64 v[216:217], v[218:219], v[32:33], v[216:217]
	s_delay_alu instid0(VALU_DEP_1) | instskip(SKIP_3) | instid1(VALU_DEP_1)
	v_add_f64 v[30:31], v[30:31], -v[216:217]
	ds_load_2addr_b64 v[216:219], v250 offset0:92 offset1:93
	s_waitcnt lgkmcnt(0)
	v_mul_f64 v[34:35], v[218:219], v[220:221]
	v_fma_f64 v[34:35], v[216:217], v[32:33], -v[34:35]
	v_mul_f64 v[216:217], v[216:217], v[220:221]
	s_delay_alu instid0(VALU_DEP_2) | instskip(NEXT) | instid1(VALU_DEP_2)
	v_add_f64 v[24:25], v[24:25], -v[34:35]
	v_fma_f64 v[216:217], v[218:219], v[32:33], v[216:217]
	s_delay_alu instid0(VALU_DEP_1) | instskip(SKIP_3) | instid1(VALU_DEP_1)
	v_add_f64 v[26:27], v[26:27], -v[216:217]
	ds_load_2addr_b64 v[216:219], v250 offset0:94 offset1:95
	;; [unrolled: 10-line block ×7, first 2 shown]
	s_waitcnt lgkmcnt(0)
	v_mul_f64 v[34:35], v[218:219], v[220:221]
	v_fma_f64 v[34:35], v[216:217], v[32:33], -v[34:35]
	v_mul_f64 v[216:217], v[216:217], v[220:221]
	s_delay_alu instid0(VALU_DEP_2) | instskip(NEXT) | instid1(VALU_DEP_2)
	v_add_f64 v[0:1], v[0:1], -v[34:35]
	v_fma_f64 v[216:217], v[218:219], v[32:33], v[216:217]
	v_dual_mov_b32 v34, v220 :: v_dual_mov_b32 v35, v221
	s_delay_alu instid0(VALU_DEP_2)
	v_add_f64 v[2:3], v[2:3], -v[216:217]
.LBB105_406:
	s_or_b32 exec_lo, exec_lo, s3
	s_delay_alu instid0(SALU_CYCLE_1)
	s_mov_b32 s4, exec_lo
	s_waitcnt lgkmcnt(0)
	s_barrier
	buffer_gl0_inv
	v_cmpx_eq_u32_e32 45, v205
	s_cbranch_execz .LBB105_413
; %bb.407:
	ds_store_2addr_b64 v255, v[28:29], v[30:31] offset1:1
	ds_store_2addr_b64 v250, v[24:25], v[26:27] offset0:92 offset1:93
	ds_store_2addr_b64 v250, v[20:21], v[22:23] offset0:94 offset1:95
	;; [unrolled: 1-line block ×7, first 2 shown]
	ds_load_2addr_b64 v[216:219], v255 offset1:1
	s_waitcnt lgkmcnt(0)
	v_cmp_neq_f64_e32 vcc_lo, 0, v[216:217]
	v_cmp_neq_f64_e64 s3, 0, v[218:219]
	s_delay_alu instid0(VALU_DEP_1) | instskip(NEXT) | instid1(SALU_CYCLE_1)
	s_or_b32 s3, vcc_lo, s3
	s_and_b32 exec_lo, exec_lo, s3
	s_cbranch_execz .LBB105_413
; %bb.408:
	v_cmp_gt_f64_e32 vcc_lo, 0, v[216:217]
	v_xor_b32_e32 v204, 0x80000000, v217
	s_mov_b32 s3, exec_lo
                                        ; implicit-def: $vgpr224_vgpr225
	s_delay_alu instid0(VALU_DEP_1) | instskip(SKIP_3) | instid1(VALU_DEP_1)
	v_cndmask_b32_e32 v221, v217, v204, vcc_lo
	v_cndmask_b32_e32 v220, v216, v216, vcc_lo
	v_cmp_gt_f64_e32 vcc_lo, 0, v[218:219]
	v_xor_b32_e32 v204, 0x80000000, v219
	v_dual_cndmask_b32 v222, v218, v218 :: v_dual_cndmask_b32 v223, v219, v204
	s_delay_alu instid0(VALU_DEP_1)
	v_cmpx_ngt_f64_e32 v[220:221], v[222:223]
	s_xor_b32 s3, exec_lo, s3
                                        ; implicit-def: $vgpr220_vgpr221_vgpr222_vgpr223
	s_cbranch_execz .LBB105_410
; %bb.409:
	v_div_scale_f64 v[220:221], null, v[218:219], v[218:219], v[216:217]
	v_div_scale_f64 v[226:227], vcc_lo, v[216:217], v[218:219], v[216:217]
	s_delay_alu instid0(VALU_DEP_2) | instskip(SKIP_2) | instid1(VALU_DEP_1)
	v_rcp_f64_e32 v[222:223], v[220:221]
	s_waitcnt_depctr 0xfff
	v_fma_f64 v[224:225], -v[220:221], v[222:223], 1.0
	v_fma_f64 v[222:223], v[222:223], v[224:225], v[222:223]
	s_delay_alu instid0(VALU_DEP_1) | instskip(NEXT) | instid1(VALU_DEP_1)
	v_fma_f64 v[224:225], -v[220:221], v[222:223], 1.0
	v_fma_f64 v[222:223], v[222:223], v[224:225], v[222:223]
	s_delay_alu instid0(VALU_DEP_1) | instskip(NEXT) | instid1(VALU_DEP_1)
	v_mul_f64 v[224:225], v[226:227], v[222:223]
	v_fma_f64 v[220:221], -v[220:221], v[224:225], v[226:227]
	s_delay_alu instid0(VALU_DEP_1) | instskip(NEXT) | instid1(VALU_DEP_1)
	v_div_fmas_f64 v[220:221], v[220:221], v[222:223], v[224:225]
	v_div_fixup_f64 v[220:221], v[220:221], v[218:219], v[216:217]
	s_delay_alu instid0(VALU_DEP_1) | instskip(NEXT) | instid1(VALU_DEP_1)
	v_fma_f64 v[216:217], v[216:217], v[220:221], v[218:219]
	v_div_scale_f64 v[218:219], null, v[216:217], v[216:217], 1.0
	s_delay_alu instid0(VALU_DEP_1) | instskip(SKIP_2) | instid1(VALU_DEP_1)
	v_rcp_f64_e32 v[222:223], v[218:219]
	s_waitcnt_depctr 0xfff
	v_fma_f64 v[224:225], -v[218:219], v[222:223], 1.0
	v_fma_f64 v[222:223], v[222:223], v[224:225], v[222:223]
	s_delay_alu instid0(VALU_DEP_1) | instskip(NEXT) | instid1(VALU_DEP_1)
	v_fma_f64 v[224:225], -v[218:219], v[222:223], 1.0
	v_fma_f64 v[222:223], v[222:223], v[224:225], v[222:223]
	v_div_scale_f64 v[224:225], vcc_lo, 1.0, v[216:217], 1.0
	s_delay_alu instid0(VALU_DEP_1) | instskip(NEXT) | instid1(VALU_DEP_1)
	v_mul_f64 v[226:227], v[224:225], v[222:223]
	v_fma_f64 v[218:219], -v[218:219], v[226:227], v[224:225]
	s_delay_alu instid0(VALU_DEP_1) | instskip(NEXT) | instid1(VALU_DEP_1)
	v_div_fmas_f64 v[218:219], v[218:219], v[222:223], v[226:227]
	v_div_fixup_f64 v[222:223], v[218:219], v[216:217], 1.0
                                        ; implicit-def: $vgpr216_vgpr217
	s_delay_alu instid0(VALU_DEP_1)
	v_mul_f64 v[224:225], v[220:221], v[222:223]
	v_xor_b32_e32 v223, 0x80000000, v223
.LBB105_410:
	s_and_not1_saveexec_b32 s3, s3
	s_cbranch_execz .LBB105_412
; %bb.411:
	v_div_scale_f64 v[220:221], null, v[216:217], v[216:217], v[218:219]
	v_div_scale_f64 v[226:227], vcc_lo, v[218:219], v[216:217], v[218:219]
	s_delay_alu instid0(VALU_DEP_2) | instskip(SKIP_2) | instid1(VALU_DEP_1)
	v_rcp_f64_e32 v[222:223], v[220:221]
	s_waitcnt_depctr 0xfff
	v_fma_f64 v[224:225], -v[220:221], v[222:223], 1.0
	v_fma_f64 v[222:223], v[222:223], v[224:225], v[222:223]
	s_delay_alu instid0(VALU_DEP_1) | instskip(NEXT) | instid1(VALU_DEP_1)
	v_fma_f64 v[224:225], -v[220:221], v[222:223], 1.0
	v_fma_f64 v[222:223], v[222:223], v[224:225], v[222:223]
	s_delay_alu instid0(VALU_DEP_1) | instskip(NEXT) | instid1(VALU_DEP_1)
	v_mul_f64 v[224:225], v[226:227], v[222:223]
	v_fma_f64 v[220:221], -v[220:221], v[224:225], v[226:227]
	s_delay_alu instid0(VALU_DEP_1) | instskip(NEXT) | instid1(VALU_DEP_1)
	v_div_fmas_f64 v[220:221], v[220:221], v[222:223], v[224:225]
	v_div_fixup_f64 v[220:221], v[220:221], v[216:217], v[218:219]
	s_delay_alu instid0(VALU_DEP_1) | instskip(NEXT) | instid1(VALU_DEP_1)
	v_fma_f64 v[216:217], v[218:219], v[220:221], v[216:217]
	v_div_scale_f64 v[218:219], null, v[216:217], v[216:217], 1.0
	s_delay_alu instid0(VALU_DEP_1) | instskip(SKIP_2) | instid1(VALU_DEP_1)
	v_rcp_f64_e32 v[222:223], v[218:219]
	s_waitcnt_depctr 0xfff
	v_fma_f64 v[224:225], -v[218:219], v[222:223], 1.0
	v_fma_f64 v[222:223], v[222:223], v[224:225], v[222:223]
	s_delay_alu instid0(VALU_DEP_1) | instskip(NEXT) | instid1(VALU_DEP_1)
	v_fma_f64 v[224:225], -v[218:219], v[222:223], 1.0
	v_fma_f64 v[222:223], v[222:223], v[224:225], v[222:223]
	v_div_scale_f64 v[224:225], vcc_lo, 1.0, v[216:217], 1.0
	s_delay_alu instid0(VALU_DEP_1) | instskip(NEXT) | instid1(VALU_DEP_1)
	v_mul_f64 v[226:227], v[224:225], v[222:223]
	v_fma_f64 v[218:219], -v[218:219], v[226:227], v[224:225]
	s_delay_alu instid0(VALU_DEP_1) | instskip(NEXT) | instid1(VALU_DEP_1)
	v_div_fmas_f64 v[218:219], v[218:219], v[222:223], v[226:227]
	v_div_fixup_f64 v[224:225], v[218:219], v[216:217], 1.0
	s_delay_alu instid0(VALU_DEP_1)
	v_mul_f64 v[222:223], v[220:221], -v[224:225]
.LBB105_412:
	s_or_b32 exec_lo, exec_lo, s3
	ds_store_2addr_b64 v255, v[224:225], v[222:223] offset1:1
.LBB105_413:
	s_or_b32 exec_lo, exec_lo, s4
	s_waitcnt lgkmcnt(0)
	s_barrier
	buffer_gl0_inv
	ds_load_2addr_b64 v[216:219], v255 offset1:1
	s_mov_b32 s3, exec_lo
	v_cmpx_lt_u32_e32 45, v205
	s_cbranch_execz .LBB105_415
; %bb.414:
	s_waitcnt lgkmcnt(0)
	v_mul_f64 v[220:221], v[216:217], v[30:31]
	v_mul_f64 v[30:31], v[218:219], v[30:31]
	s_delay_alu instid0(VALU_DEP_2) | instskip(SKIP_4) | instid1(VALU_DEP_1)
	v_fma_f64 v[224:225], v[218:219], v[28:29], v[220:221]
	ds_load_2addr_b64 v[220:223], v250 offset0:92 offset1:93
	v_fma_f64 v[28:29], v[216:217], v[28:29], -v[30:31]
	s_waitcnt lgkmcnt(0)
	v_mul_f64 v[30:31], v[222:223], v[224:225]
	v_fma_f64 v[30:31], v[220:221], v[28:29], -v[30:31]
	v_mul_f64 v[220:221], v[220:221], v[224:225]
	s_delay_alu instid0(VALU_DEP_2) | instskip(NEXT) | instid1(VALU_DEP_2)
	v_add_f64 v[24:25], v[24:25], -v[30:31]
	v_fma_f64 v[220:221], v[222:223], v[28:29], v[220:221]
	s_delay_alu instid0(VALU_DEP_1) | instskip(SKIP_3) | instid1(VALU_DEP_1)
	v_add_f64 v[26:27], v[26:27], -v[220:221]
	ds_load_2addr_b64 v[220:223], v250 offset0:94 offset1:95
	s_waitcnt lgkmcnt(0)
	v_mul_f64 v[30:31], v[222:223], v[224:225]
	v_fma_f64 v[30:31], v[220:221], v[28:29], -v[30:31]
	v_mul_f64 v[220:221], v[220:221], v[224:225]
	s_delay_alu instid0(VALU_DEP_2) | instskip(NEXT) | instid1(VALU_DEP_2)
	v_add_f64 v[20:21], v[20:21], -v[30:31]
	v_fma_f64 v[220:221], v[222:223], v[28:29], v[220:221]
	s_delay_alu instid0(VALU_DEP_1) | instskip(SKIP_3) | instid1(VALU_DEP_1)
	v_add_f64 v[22:23], v[22:23], -v[220:221]
	ds_load_2addr_b64 v[220:223], v250 offset0:96 offset1:97
	;; [unrolled: 10-line block ×6, first 2 shown]
	s_waitcnt lgkmcnt(0)
	v_mul_f64 v[30:31], v[222:223], v[224:225]
	v_fma_f64 v[30:31], v[220:221], v[28:29], -v[30:31]
	v_mul_f64 v[220:221], v[220:221], v[224:225]
	s_delay_alu instid0(VALU_DEP_2) | instskip(NEXT) | instid1(VALU_DEP_2)
	v_add_f64 v[0:1], v[0:1], -v[30:31]
	v_fma_f64 v[220:221], v[222:223], v[28:29], v[220:221]
	v_dual_mov_b32 v30, v224 :: v_dual_mov_b32 v31, v225
	s_delay_alu instid0(VALU_DEP_2)
	v_add_f64 v[2:3], v[2:3], -v[220:221]
.LBB105_415:
	s_or_b32 exec_lo, exec_lo, s3
	s_delay_alu instid0(SALU_CYCLE_1)
	s_mov_b32 s4, exec_lo
	s_waitcnt lgkmcnt(0)
	s_barrier
	buffer_gl0_inv
	v_cmpx_eq_u32_e32 46, v205
	s_cbranch_execz .LBB105_422
; %bb.416:
	ds_store_2addr_b64 v255, v[24:25], v[26:27] offset1:1
	ds_store_2addr_b64 v250, v[20:21], v[22:23] offset0:94 offset1:95
	ds_store_2addr_b64 v250, v[16:17], v[18:19] offset0:96 offset1:97
	;; [unrolled: 1-line block ×6, first 2 shown]
	ds_load_2addr_b64 v[220:223], v255 offset1:1
	s_waitcnt lgkmcnt(0)
	v_cmp_neq_f64_e32 vcc_lo, 0, v[220:221]
	v_cmp_neq_f64_e64 s3, 0, v[222:223]
	s_delay_alu instid0(VALU_DEP_1) | instskip(NEXT) | instid1(SALU_CYCLE_1)
	s_or_b32 s3, vcc_lo, s3
	s_and_b32 exec_lo, exec_lo, s3
	s_cbranch_execz .LBB105_422
; %bb.417:
	v_cmp_gt_f64_e32 vcc_lo, 0, v[220:221]
	v_xor_b32_e32 v204, 0x80000000, v221
	s_mov_b32 s3, exec_lo
                                        ; implicit-def: $vgpr228_vgpr229
	s_delay_alu instid0(VALU_DEP_1) | instskip(SKIP_3) | instid1(VALU_DEP_1)
	v_cndmask_b32_e32 v225, v221, v204, vcc_lo
	v_cndmask_b32_e32 v224, v220, v220, vcc_lo
	v_cmp_gt_f64_e32 vcc_lo, 0, v[222:223]
	v_xor_b32_e32 v204, 0x80000000, v223
	v_dual_cndmask_b32 v226, v222, v222 :: v_dual_cndmask_b32 v227, v223, v204
	s_delay_alu instid0(VALU_DEP_1)
	v_cmpx_ngt_f64_e32 v[224:225], v[226:227]
	s_xor_b32 s3, exec_lo, s3
                                        ; implicit-def: $vgpr224_vgpr225_vgpr226_vgpr227
	s_cbranch_execz .LBB105_419
; %bb.418:
	v_div_scale_f64 v[224:225], null, v[222:223], v[222:223], v[220:221]
	v_div_scale_f64 v[230:231], vcc_lo, v[220:221], v[222:223], v[220:221]
	s_delay_alu instid0(VALU_DEP_2) | instskip(SKIP_2) | instid1(VALU_DEP_1)
	v_rcp_f64_e32 v[226:227], v[224:225]
	s_waitcnt_depctr 0xfff
	v_fma_f64 v[228:229], -v[224:225], v[226:227], 1.0
	v_fma_f64 v[226:227], v[226:227], v[228:229], v[226:227]
	s_delay_alu instid0(VALU_DEP_1) | instskip(NEXT) | instid1(VALU_DEP_1)
	v_fma_f64 v[228:229], -v[224:225], v[226:227], 1.0
	v_fma_f64 v[226:227], v[226:227], v[228:229], v[226:227]
	s_delay_alu instid0(VALU_DEP_1) | instskip(NEXT) | instid1(VALU_DEP_1)
	v_mul_f64 v[228:229], v[230:231], v[226:227]
	v_fma_f64 v[224:225], -v[224:225], v[228:229], v[230:231]
	s_delay_alu instid0(VALU_DEP_1) | instskip(NEXT) | instid1(VALU_DEP_1)
	v_div_fmas_f64 v[224:225], v[224:225], v[226:227], v[228:229]
	v_div_fixup_f64 v[224:225], v[224:225], v[222:223], v[220:221]
	s_delay_alu instid0(VALU_DEP_1) | instskip(NEXT) | instid1(VALU_DEP_1)
	v_fma_f64 v[220:221], v[220:221], v[224:225], v[222:223]
	v_div_scale_f64 v[222:223], null, v[220:221], v[220:221], 1.0
	s_delay_alu instid0(VALU_DEP_1) | instskip(SKIP_2) | instid1(VALU_DEP_1)
	v_rcp_f64_e32 v[226:227], v[222:223]
	s_waitcnt_depctr 0xfff
	v_fma_f64 v[228:229], -v[222:223], v[226:227], 1.0
	v_fma_f64 v[226:227], v[226:227], v[228:229], v[226:227]
	s_delay_alu instid0(VALU_DEP_1) | instskip(NEXT) | instid1(VALU_DEP_1)
	v_fma_f64 v[228:229], -v[222:223], v[226:227], 1.0
	v_fma_f64 v[226:227], v[226:227], v[228:229], v[226:227]
	v_div_scale_f64 v[228:229], vcc_lo, 1.0, v[220:221], 1.0
	s_delay_alu instid0(VALU_DEP_1) | instskip(NEXT) | instid1(VALU_DEP_1)
	v_mul_f64 v[230:231], v[228:229], v[226:227]
	v_fma_f64 v[222:223], -v[222:223], v[230:231], v[228:229]
	s_delay_alu instid0(VALU_DEP_1) | instskip(NEXT) | instid1(VALU_DEP_1)
	v_div_fmas_f64 v[222:223], v[222:223], v[226:227], v[230:231]
	v_div_fixup_f64 v[226:227], v[222:223], v[220:221], 1.0
                                        ; implicit-def: $vgpr220_vgpr221
	s_delay_alu instid0(VALU_DEP_1)
	v_mul_f64 v[228:229], v[224:225], v[226:227]
	v_xor_b32_e32 v227, 0x80000000, v227
.LBB105_419:
	s_and_not1_saveexec_b32 s3, s3
	s_cbranch_execz .LBB105_421
; %bb.420:
	v_div_scale_f64 v[224:225], null, v[220:221], v[220:221], v[222:223]
	v_div_scale_f64 v[230:231], vcc_lo, v[222:223], v[220:221], v[222:223]
	s_delay_alu instid0(VALU_DEP_2) | instskip(SKIP_2) | instid1(VALU_DEP_1)
	v_rcp_f64_e32 v[226:227], v[224:225]
	s_waitcnt_depctr 0xfff
	v_fma_f64 v[228:229], -v[224:225], v[226:227], 1.0
	v_fma_f64 v[226:227], v[226:227], v[228:229], v[226:227]
	s_delay_alu instid0(VALU_DEP_1) | instskip(NEXT) | instid1(VALU_DEP_1)
	v_fma_f64 v[228:229], -v[224:225], v[226:227], 1.0
	v_fma_f64 v[226:227], v[226:227], v[228:229], v[226:227]
	s_delay_alu instid0(VALU_DEP_1) | instskip(NEXT) | instid1(VALU_DEP_1)
	v_mul_f64 v[228:229], v[230:231], v[226:227]
	v_fma_f64 v[224:225], -v[224:225], v[228:229], v[230:231]
	s_delay_alu instid0(VALU_DEP_1) | instskip(NEXT) | instid1(VALU_DEP_1)
	v_div_fmas_f64 v[224:225], v[224:225], v[226:227], v[228:229]
	v_div_fixup_f64 v[224:225], v[224:225], v[220:221], v[222:223]
	s_delay_alu instid0(VALU_DEP_1) | instskip(NEXT) | instid1(VALU_DEP_1)
	v_fma_f64 v[220:221], v[222:223], v[224:225], v[220:221]
	v_div_scale_f64 v[222:223], null, v[220:221], v[220:221], 1.0
	s_delay_alu instid0(VALU_DEP_1) | instskip(SKIP_2) | instid1(VALU_DEP_1)
	v_rcp_f64_e32 v[226:227], v[222:223]
	s_waitcnt_depctr 0xfff
	v_fma_f64 v[228:229], -v[222:223], v[226:227], 1.0
	v_fma_f64 v[226:227], v[226:227], v[228:229], v[226:227]
	s_delay_alu instid0(VALU_DEP_1) | instskip(NEXT) | instid1(VALU_DEP_1)
	v_fma_f64 v[228:229], -v[222:223], v[226:227], 1.0
	v_fma_f64 v[226:227], v[226:227], v[228:229], v[226:227]
	v_div_scale_f64 v[228:229], vcc_lo, 1.0, v[220:221], 1.0
	s_delay_alu instid0(VALU_DEP_1) | instskip(NEXT) | instid1(VALU_DEP_1)
	v_mul_f64 v[230:231], v[228:229], v[226:227]
	v_fma_f64 v[222:223], -v[222:223], v[230:231], v[228:229]
	s_delay_alu instid0(VALU_DEP_1) | instskip(NEXT) | instid1(VALU_DEP_1)
	v_div_fmas_f64 v[222:223], v[222:223], v[226:227], v[230:231]
	v_div_fixup_f64 v[228:229], v[222:223], v[220:221], 1.0
	s_delay_alu instid0(VALU_DEP_1)
	v_mul_f64 v[226:227], v[224:225], -v[228:229]
.LBB105_421:
	s_or_b32 exec_lo, exec_lo, s3
	ds_store_2addr_b64 v255, v[228:229], v[226:227] offset1:1
.LBB105_422:
	s_or_b32 exec_lo, exec_lo, s4
	s_waitcnt lgkmcnt(0)
	s_barrier
	buffer_gl0_inv
	ds_load_2addr_b64 v[220:223], v255 offset1:1
	s_mov_b32 s3, exec_lo
	v_cmpx_lt_u32_e32 46, v205
	s_cbranch_execz .LBB105_424
; %bb.423:
	s_waitcnt lgkmcnt(0)
	v_mul_f64 v[224:225], v[220:221], v[26:27]
	v_mul_f64 v[26:27], v[222:223], v[26:27]
	s_delay_alu instid0(VALU_DEP_2) | instskip(SKIP_4) | instid1(VALU_DEP_1)
	v_fma_f64 v[228:229], v[222:223], v[24:25], v[224:225]
	ds_load_2addr_b64 v[224:227], v250 offset0:94 offset1:95
	v_fma_f64 v[24:25], v[220:221], v[24:25], -v[26:27]
	s_waitcnt lgkmcnt(0)
	v_mul_f64 v[26:27], v[226:227], v[228:229]
	v_fma_f64 v[26:27], v[224:225], v[24:25], -v[26:27]
	v_mul_f64 v[224:225], v[224:225], v[228:229]
	s_delay_alu instid0(VALU_DEP_2) | instskip(NEXT) | instid1(VALU_DEP_2)
	v_add_f64 v[20:21], v[20:21], -v[26:27]
	v_fma_f64 v[224:225], v[226:227], v[24:25], v[224:225]
	s_delay_alu instid0(VALU_DEP_1) | instskip(SKIP_3) | instid1(VALU_DEP_1)
	v_add_f64 v[22:23], v[22:23], -v[224:225]
	ds_load_2addr_b64 v[224:227], v250 offset0:96 offset1:97
	s_waitcnt lgkmcnt(0)
	v_mul_f64 v[26:27], v[226:227], v[228:229]
	v_fma_f64 v[26:27], v[224:225], v[24:25], -v[26:27]
	v_mul_f64 v[224:225], v[224:225], v[228:229]
	s_delay_alu instid0(VALU_DEP_2) | instskip(NEXT) | instid1(VALU_DEP_2)
	v_add_f64 v[16:17], v[16:17], -v[26:27]
	v_fma_f64 v[224:225], v[226:227], v[24:25], v[224:225]
	s_delay_alu instid0(VALU_DEP_1) | instskip(SKIP_3) | instid1(VALU_DEP_1)
	v_add_f64 v[18:19], v[18:19], -v[224:225]
	ds_load_2addr_b64 v[224:227], v250 offset0:98 offset1:99
	;; [unrolled: 10-line block ×5, first 2 shown]
	s_waitcnt lgkmcnt(0)
	v_mul_f64 v[26:27], v[226:227], v[228:229]
	v_fma_f64 v[26:27], v[224:225], v[24:25], -v[26:27]
	v_mul_f64 v[224:225], v[224:225], v[228:229]
	s_delay_alu instid0(VALU_DEP_2) | instskip(NEXT) | instid1(VALU_DEP_2)
	v_add_f64 v[0:1], v[0:1], -v[26:27]
	v_fma_f64 v[224:225], v[226:227], v[24:25], v[224:225]
	v_dual_mov_b32 v26, v228 :: v_dual_mov_b32 v27, v229
	s_delay_alu instid0(VALU_DEP_2)
	v_add_f64 v[2:3], v[2:3], -v[224:225]
.LBB105_424:
	s_or_b32 exec_lo, exec_lo, s3
	s_delay_alu instid0(SALU_CYCLE_1)
	s_mov_b32 s4, exec_lo
	s_waitcnt lgkmcnt(0)
	s_barrier
	buffer_gl0_inv
	v_cmpx_eq_u32_e32 47, v205
	s_cbranch_execz .LBB105_431
; %bb.425:
	ds_store_2addr_b64 v255, v[20:21], v[22:23] offset1:1
	ds_store_2addr_b64 v250, v[16:17], v[18:19] offset0:96 offset1:97
	ds_store_2addr_b64 v250, v[12:13], v[14:15] offset0:98 offset1:99
	;; [unrolled: 1-line block ×5, first 2 shown]
	ds_load_2addr_b64 v[224:227], v255 offset1:1
	s_waitcnt lgkmcnt(0)
	v_cmp_neq_f64_e32 vcc_lo, 0, v[224:225]
	v_cmp_neq_f64_e64 s3, 0, v[226:227]
	s_delay_alu instid0(VALU_DEP_1) | instskip(NEXT) | instid1(SALU_CYCLE_1)
	s_or_b32 s3, vcc_lo, s3
	s_and_b32 exec_lo, exec_lo, s3
	s_cbranch_execz .LBB105_431
; %bb.426:
	v_cmp_gt_f64_e32 vcc_lo, 0, v[224:225]
	v_xor_b32_e32 v204, 0x80000000, v225
	s_mov_b32 s3, exec_lo
                                        ; implicit-def: $vgpr232_vgpr233
	s_delay_alu instid0(VALU_DEP_1) | instskip(SKIP_3) | instid1(VALU_DEP_1)
	v_cndmask_b32_e32 v229, v225, v204, vcc_lo
	v_cndmask_b32_e32 v228, v224, v224, vcc_lo
	v_cmp_gt_f64_e32 vcc_lo, 0, v[226:227]
	v_xor_b32_e32 v204, 0x80000000, v227
	v_dual_cndmask_b32 v230, v226, v226 :: v_dual_cndmask_b32 v231, v227, v204
	s_delay_alu instid0(VALU_DEP_1)
	v_cmpx_ngt_f64_e32 v[228:229], v[230:231]
	s_xor_b32 s3, exec_lo, s3
                                        ; implicit-def: $vgpr228_vgpr229_vgpr230_vgpr231
	s_cbranch_execz .LBB105_428
; %bb.427:
	v_div_scale_f64 v[228:229], null, v[226:227], v[226:227], v[224:225]
	v_div_scale_f64 v[234:235], vcc_lo, v[224:225], v[226:227], v[224:225]
	s_delay_alu instid0(VALU_DEP_2) | instskip(SKIP_2) | instid1(VALU_DEP_1)
	v_rcp_f64_e32 v[230:231], v[228:229]
	s_waitcnt_depctr 0xfff
	v_fma_f64 v[232:233], -v[228:229], v[230:231], 1.0
	v_fma_f64 v[230:231], v[230:231], v[232:233], v[230:231]
	s_delay_alu instid0(VALU_DEP_1) | instskip(NEXT) | instid1(VALU_DEP_1)
	v_fma_f64 v[232:233], -v[228:229], v[230:231], 1.0
	v_fma_f64 v[230:231], v[230:231], v[232:233], v[230:231]
	s_delay_alu instid0(VALU_DEP_1) | instskip(NEXT) | instid1(VALU_DEP_1)
	v_mul_f64 v[232:233], v[234:235], v[230:231]
	v_fma_f64 v[228:229], -v[228:229], v[232:233], v[234:235]
	s_delay_alu instid0(VALU_DEP_1) | instskip(NEXT) | instid1(VALU_DEP_1)
	v_div_fmas_f64 v[228:229], v[228:229], v[230:231], v[232:233]
	v_div_fixup_f64 v[228:229], v[228:229], v[226:227], v[224:225]
	s_delay_alu instid0(VALU_DEP_1) | instskip(NEXT) | instid1(VALU_DEP_1)
	v_fma_f64 v[224:225], v[224:225], v[228:229], v[226:227]
	v_div_scale_f64 v[226:227], null, v[224:225], v[224:225], 1.0
	s_delay_alu instid0(VALU_DEP_1) | instskip(SKIP_2) | instid1(VALU_DEP_1)
	v_rcp_f64_e32 v[230:231], v[226:227]
	s_waitcnt_depctr 0xfff
	v_fma_f64 v[232:233], -v[226:227], v[230:231], 1.0
	v_fma_f64 v[230:231], v[230:231], v[232:233], v[230:231]
	s_delay_alu instid0(VALU_DEP_1) | instskip(NEXT) | instid1(VALU_DEP_1)
	v_fma_f64 v[232:233], -v[226:227], v[230:231], 1.0
	v_fma_f64 v[230:231], v[230:231], v[232:233], v[230:231]
	v_div_scale_f64 v[232:233], vcc_lo, 1.0, v[224:225], 1.0
	s_delay_alu instid0(VALU_DEP_1) | instskip(NEXT) | instid1(VALU_DEP_1)
	v_mul_f64 v[234:235], v[232:233], v[230:231]
	v_fma_f64 v[226:227], -v[226:227], v[234:235], v[232:233]
	s_delay_alu instid0(VALU_DEP_1) | instskip(NEXT) | instid1(VALU_DEP_1)
	v_div_fmas_f64 v[226:227], v[226:227], v[230:231], v[234:235]
	v_div_fixup_f64 v[230:231], v[226:227], v[224:225], 1.0
                                        ; implicit-def: $vgpr224_vgpr225
	s_delay_alu instid0(VALU_DEP_1)
	v_mul_f64 v[232:233], v[228:229], v[230:231]
	v_xor_b32_e32 v231, 0x80000000, v231
.LBB105_428:
	s_and_not1_saveexec_b32 s3, s3
	s_cbranch_execz .LBB105_430
; %bb.429:
	v_div_scale_f64 v[228:229], null, v[224:225], v[224:225], v[226:227]
	v_div_scale_f64 v[234:235], vcc_lo, v[226:227], v[224:225], v[226:227]
	s_delay_alu instid0(VALU_DEP_2) | instskip(SKIP_2) | instid1(VALU_DEP_1)
	v_rcp_f64_e32 v[230:231], v[228:229]
	s_waitcnt_depctr 0xfff
	v_fma_f64 v[232:233], -v[228:229], v[230:231], 1.0
	v_fma_f64 v[230:231], v[230:231], v[232:233], v[230:231]
	s_delay_alu instid0(VALU_DEP_1) | instskip(NEXT) | instid1(VALU_DEP_1)
	v_fma_f64 v[232:233], -v[228:229], v[230:231], 1.0
	v_fma_f64 v[230:231], v[230:231], v[232:233], v[230:231]
	s_delay_alu instid0(VALU_DEP_1) | instskip(NEXT) | instid1(VALU_DEP_1)
	v_mul_f64 v[232:233], v[234:235], v[230:231]
	v_fma_f64 v[228:229], -v[228:229], v[232:233], v[234:235]
	s_delay_alu instid0(VALU_DEP_1) | instskip(NEXT) | instid1(VALU_DEP_1)
	v_div_fmas_f64 v[228:229], v[228:229], v[230:231], v[232:233]
	v_div_fixup_f64 v[228:229], v[228:229], v[224:225], v[226:227]
	s_delay_alu instid0(VALU_DEP_1) | instskip(NEXT) | instid1(VALU_DEP_1)
	v_fma_f64 v[224:225], v[226:227], v[228:229], v[224:225]
	v_div_scale_f64 v[226:227], null, v[224:225], v[224:225], 1.0
	s_delay_alu instid0(VALU_DEP_1) | instskip(SKIP_2) | instid1(VALU_DEP_1)
	v_rcp_f64_e32 v[230:231], v[226:227]
	s_waitcnt_depctr 0xfff
	v_fma_f64 v[232:233], -v[226:227], v[230:231], 1.0
	v_fma_f64 v[230:231], v[230:231], v[232:233], v[230:231]
	s_delay_alu instid0(VALU_DEP_1) | instskip(NEXT) | instid1(VALU_DEP_1)
	v_fma_f64 v[232:233], -v[226:227], v[230:231], 1.0
	v_fma_f64 v[230:231], v[230:231], v[232:233], v[230:231]
	v_div_scale_f64 v[232:233], vcc_lo, 1.0, v[224:225], 1.0
	s_delay_alu instid0(VALU_DEP_1) | instskip(NEXT) | instid1(VALU_DEP_1)
	v_mul_f64 v[234:235], v[232:233], v[230:231]
	v_fma_f64 v[226:227], -v[226:227], v[234:235], v[232:233]
	s_delay_alu instid0(VALU_DEP_1) | instskip(NEXT) | instid1(VALU_DEP_1)
	v_div_fmas_f64 v[226:227], v[226:227], v[230:231], v[234:235]
	v_div_fixup_f64 v[232:233], v[226:227], v[224:225], 1.0
	s_delay_alu instid0(VALU_DEP_1)
	v_mul_f64 v[230:231], v[228:229], -v[232:233]
.LBB105_430:
	s_or_b32 exec_lo, exec_lo, s3
	ds_store_2addr_b64 v255, v[232:233], v[230:231] offset1:1
.LBB105_431:
	s_or_b32 exec_lo, exec_lo, s4
	s_waitcnt lgkmcnt(0)
	s_barrier
	buffer_gl0_inv
	ds_load_2addr_b64 v[224:227], v255 offset1:1
	s_mov_b32 s3, exec_lo
	v_cmpx_lt_u32_e32 47, v205
	s_cbranch_execz .LBB105_433
; %bb.432:
	s_waitcnt lgkmcnt(0)
	v_mul_f64 v[228:229], v[224:225], v[22:23]
	v_mul_f64 v[22:23], v[226:227], v[22:23]
	s_delay_alu instid0(VALU_DEP_2) | instskip(SKIP_4) | instid1(VALU_DEP_1)
	v_fma_f64 v[232:233], v[226:227], v[20:21], v[228:229]
	ds_load_2addr_b64 v[228:231], v250 offset0:96 offset1:97
	v_fma_f64 v[20:21], v[224:225], v[20:21], -v[22:23]
	s_waitcnt lgkmcnt(0)
	v_mul_f64 v[22:23], v[230:231], v[232:233]
	v_fma_f64 v[22:23], v[228:229], v[20:21], -v[22:23]
	v_mul_f64 v[228:229], v[228:229], v[232:233]
	s_delay_alu instid0(VALU_DEP_2) | instskip(NEXT) | instid1(VALU_DEP_2)
	v_add_f64 v[16:17], v[16:17], -v[22:23]
	v_fma_f64 v[228:229], v[230:231], v[20:21], v[228:229]
	s_delay_alu instid0(VALU_DEP_1) | instskip(SKIP_3) | instid1(VALU_DEP_1)
	v_add_f64 v[18:19], v[18:19], -v[228:229]
	ds_load_2addr_b64 v[228:231], v250 offset0:98 offset1:99
	s_waitcnt lgkmcnt(0)
	v_mul_f64 v[22:23], v[230:231], v[232:233]
	v_fma_f64 v[22:23], v[228:229], v[20:21], -v[22:23]
	v_mul_f64 v[228:229], v[228:229], v[232:233]
	s_delay_alu instid0(VALU_DEP_2) | instskip(NEXT) | instid1(VALU_DEP_2)
	v_add_f64 v[12:13], v[12:13], -v[22:23]
	v_fma_f64 v[228:229], v[230:231], v[20:21], v[228:229]
	s_delay_alu instid0(VALU_DEP_1) | instskip(SKIP_3) | instid1(VALU_DEP_1)
	v_add_f64 v[14:15], v[14:15], -v[228:229]
	ds_load_2addr_b64 v[228:231], v250 offset0:100 offset1:101
	;; [unrolled: 10-line block ×4, first 2 shown]
	s_waitcnt lgkmcnt(0)
	v_mul_f64 v[22:23], v[230:231], v[232:233]
	v_fma_f64 v[22:23], v[228:229], v[20:21], -v[22:23]
	v_mul_f64 v[228:229], v[228:229], v[232:233]
	s_delay_alu instid0(VALU_DEP_2) | instskip(NEXT) | instid1(VALU_DEP_2)
	v_add_f64 v[0:1], v[0:1], -v[22:23]
	v_fma_f64 v[228:229], v[230:231], v[20:21], v[228:229]
	v_dual_mov_b32 v22, v232 :: v_dual_mov_b32 v23, v233
	s_delay_alu instid0(VALU_DEP_2)
	v_add_f64 v[2:3], v[2:3], -v[228:229]
.LBB105_433:
	s_or_b32 exec_lo, exec_lo, s3
	s_delay_alu instid0(SALU_CYCLE_1)
	s_mov_b32 s4, exec_lo
	s_waitcnt lgkmcnt(0)
	s_barrier
	buffer_gl0_inv
	v_cmpx_eq_u32_e32 48, v205
	s_cbranch_execz .LBB105_440
; %bb.434:
	ds_store_2addr_b64 v255, v[16:17], v[18:19] offset1:1
	ds_store_2addr_b64 v250, v[12:13], v[14:15] offset0:98 offset1:99
	ds_store_2addr_b64 v250, v[8:9], v[10:11] offset0:100 offset1:101
	ds_store_2addr_b64 v250, v[4:5], v[6:7] offset0:102 offset1:103
	ds_store_2addr_b64 v250, v[0:1], v[2:3] offset0:104 offset1:105
	ds_load_2addr_b64 v[228:231], v255 offset1:1
	s_waitcnt lgkmcnt(0)
	v_cmp_neq_f64_e32 vcc_lo, 0, v[228:229]
	v_cmp_neq_f64_e64 s3, 0, v[230:231]
	s_delay_alu instid0(VALU_DEP_1) | instskip(NEXT) | instid1(SALU_CYCLE_1)
	s_or_b32 s3, vcc_lo, s3
	s_and_b32 exec_lo, exec_lo, s3
	s_cbranch_execz .LBB105_440
; %bb.435:
	v_cmp_gt_f64_e32 vcc_lo, 0, v[228:229]
	v_xor_b32_e32 v204, 0x80000000, v229
	s_mov_b32 s3, exec_lo
                                        ; implicit-def: $vgpr236_vgpr237
	s_delay_alu instid0(VALU_DEP_1) | instskip(SKIP_3) | instid1(VALU_DEP_1)
	v_cndmask_b32_e32 v233, v229, v204, vcc_lo
	v_cndmask_b32_e32 v232, v228, v228, vcc_lo
	v_cmp_gt_f64_e32 vcc_lo, 0, v[230:231]
	v_xor_b32_e32 v204, 0x80000000, v231
	v_dual_cndmask_b32 v234, v230, v230 :: v_dual_cndmask_b32 v235, v231, v204
	s_delay_alu instid0(VALU_DEP_1)
	v_cmpx_ngt_f64_e32 v[232:233], v[234:235]
	s_xor_b32 s3, exec_lo, s3
                                        ; implicit-def: $vgpr232_vgpr233_vgpr234_vgpr235
	s_cbranch_execz .LBB105_437
; %bb.436:
	v_div_scale_f64 v[232:233], null, v[230:231], v[230:231], v[228:229]
	v_div_scale_f64 v[238:239], vcc_lo, v[228:229], v[230:231], v[228:229]
	s_delay_alu instid0(VALU_DEP_2) | instskip(SKIP_2) | instid1(VALU_DEP_1)
	v_rcp_f64_e32 v[234:235], v[232:233]
	s_waitcnt_depctr 0xfff
	v_fma_f64 v[236:237], -v[232:233], v[234:235], 1.0
	v_fma_f64 v[234:235], v[234:235], v[236:237], v[234:235]
	s_delay_alu instid0(VALU_DEP_1) | instskip(NEXT) | instid1(VALU_DEP_1)
	v_fma_f64 v[236:237], -v[232:233], v[234:235], 1.0
	v_fma_f64 v[234:235], v[234:235], v[236:237], v[234:235]
	s_delay_alu instid0(VALU_DEP_1) | instskip(NEXT) | instid1(VALU_DEP_1)
	v_mul_f64 v[236:237], v[238:239], v[234:235]
	v_fma_f64 v[232:233], -v[232:233], v[236:237], v[238:239]
	s_delay_alu instid0(VALU_DEP_1) | instskip(NEXT) | instid1(VALU_DEP_1)
	v_div_fmas_f64 v[232:233], v[232:233], v[234:235], v[236:237]
	v_div_fixup_f64 v[232:233], v[232:233], v[230:231], v[228:229]
	s_delay_alu instid0(VALU_DEP_1) | instskip(NEXT) | instid1(VALU_DEP_1)
	v_fma_f64 v[228:229], v[228:229], v[232:233], v[230:231]
	v_div_scale_f64 v[230:231], null, v[228:229], v[228:229], 1.0
	s_delay_alu instid0(VALU_DEP_1) | instskip(SKIP_2) | instid1(VALU_DEP_1)
	v_rcp_f64_e32 v[234:235], v[230:231]
	s_waitcnt_depctr 0xfff
	v_fma_f64 v[236:237], -v[230:231], v[234:235], 1.0
	v_fma_f64 v[234:235], v[234:235], v[236:237], v[234:235]
	s_delay_alu instid0(VALU_DEP_1) | instskip(NEXT) | instid1(VALU_DEP_1)
	v_fma_f64 v[236:237], -v[230:231], v[234:235], 1.0
	v_fma_f64 v[234:235], v[234:235], v[236:237], v[234:235]
	v_div_scale_f64 v[236:237], vcc_lo, 1.0, v[228:229], 1.0
	s_delay_alu instid0(VALU_DEP_1) | instskip(NEXT) | instid1(VALU_DEP_1)
	v_mul_f64 v[238:239], v[236:237], v[234:235]
	v_fma_f64 v[230:231], -v[230:231], v[238:239], v[236:237]
	s_delay_alu instid0(VALU_DEP_1) | instskip(NEXT) | instid1(VALU_DEP_1)
	v_div_fmas_f64 v[230:231], v[230:231], v[234:235], v[238:239]
	v_div_fixup_f64 v[234:235], v[230:231], v[228:229], 1.0
                                        ; implicit-def: $vgpr228_vgpr229
	s_delay_alu instid0(VALU_DEP_1)
	v_mul_f64 v[236:237], v[232:233], v[234:235]
	v_xor_b32_e32 v235, 0x80000000, v235
.LBB105_437:
	s_and_not1_saveexec_b32 s3, s3
	s_cbranch_execz .LBB105_439
; %bb.438:
	v_div_scale_f64 v[232:233], null, v[228:229], v[228:229], v[230:231]
	v_div_scale_f64 v[238:239], vcc_lo, v[230:231], v[228:229], v[230:231]
	s_delay_alu instid0(VALU_DEP_2) | instskip(SKIP_2) | instid1(VALU_DEP_1)
	v_rcp_f64_e32 v[234:235], v[232:233]
	s_waitcnt_depctr 0xfff
	v_fma_f64 v[236:237], -v[232:233], v[234:235], 1.0
	v_fma_f64 v[234:235], v[234:235], v[236:237], v[234:235]
	s_delay_alu instid0(VALU_DEP_1) | instskip(NEXT) | instid1(VALU_DEP_1)
	v_fma_f64 v[236:237], -v[232:233], v[234:235], 1.0
	v_fma_f64 v[234:235], v[234:235], v[236:237], v[234:235]
	s_delay_alu instid0(VALU_DEP_1) | instskip(NEXT) | instid1(VALU_DEP_1)
	v_mul_f64 v[236:237], v[238:239], v[234:235]
	v_fma_f64 v[232:233], -v[232:233], v[236:237], v[238:239]
	s_delay_alu instid0(VALU_DEP_1) | instskip(NEXT) | instid1(VALU_DEP_1)
	v_div_fmas_f64 v[232:233], v[232:233], v[234:235], v[236:237]
	v_div_fixup_f64 v[232:233], v[232:233], v[228:229], v[230:231]
	s_delay_alu instid0(VALU_DEP_1) | instskip(NEXT) | instid1(VALU_DEP_1)
	v_fma_f64 v[228:229], v[230:231], v[232:233], v[228:229]
	v_div_scale_f64 v[230:231], null, v[228:229], v[228:229], 1.0
	s_delay_alu instid0(VALU_DEP_1) | instskip(SKIP_2) | instid1(VALU_DEP_1)
	v_rcp_f64_e32 v[234:235], v[230:231]
	s_waitcnt_depctr 0xfff
	v_fma_f64 v[236:237], -v[230:231], v[234:235], 1.0
	v_fma_f64 v[234:235], v[234:235], v[236:237], v[234:235]
	s_delay_alu instid0(VALU_DEP_1) | instskip(NEXT) | instid1(VALU_DEP_1)
	v_fma_f64 v[236:237], -v[230:231], v[234:235], 1.0
	v_fma_f64 v[234:235], v[234:235], v[236:237], v[234:235]
	v_div_scale_f64 v[236:237], vcc_lo, 1.0, v[228:229], 1.0
	s_delay_alu instid0(VALU_DEP_1) | instskip(NEXT) | instid1(VALU_DEP_1)
	v_mul_f64 v[238:239], v[236:237], v[234:235]
	v_fma_f64 v[230:231], -v[230:231], v[238:239], v[236:237]
	s_delay_alu instid0(VALU_DEP_1) | instskip(NEXT) | instid1(VALU_DEP_1)
	v_div_fmas_f64 v[230:231], v[230:231], v[234:235], v[238:239]
	v_div_fixup_f64 v[236:237], v[230:231], v[228:229], 1.0
	s_delay_alu instid0(VALU_DEP_1)
	v_mul_f64 v[234:235], v[232:233], -v[236:237]
.LBB105_439:
	s_or_b32 exec_lo, exec_lo, s3
	ds_store_2addr_b64 v255, v[236:237], v[234:235] offset1:1
.LBB105_440:
	s_or_b32 exec_lo, exec_lo, s4
	s_waitcnt lgkmcnt(0)
	s_barrier
	buffer_gl0_inv
	ds_load_2addr_b64 v[228:231], v255 offset1:1
	s_mov_b32 s3, exec_lo
	v_cmpx_lt_u32_e32 48, v205
	s_cbranch_execz .LBB105_442
; %bb.441:
	s_waitcnt lgkmcnt(0)
	v_mul_f64 v[232:233], v[228:229], v[18:19]
	v_mul_f64 v[18:19], v[230:231], v[18:19]
	s_delay_alu instid0(VALU_DEP_2) | instskip(SKIP_4) | instid1(VALU_DEP_1)
	v_fma_f64 v[236:237], v[230:231], v[16:17], v[232:233]
	ds_load_2addr_b64 v[232:235], v250 offset0:98 offset1:99
	v_fma_f64 v[16:17], v[228:229], v[16:17], -v[18:19]
	s_waitcnt lgkmcnt(0)
	v_mul_f64 v[18:19], v[234:235], v[236:237]
	v_fma_f64 v[18:19], v[232:233], v[16:17], -v[18:19]
	v_mul_f64 v[232:233], v[232:233], v[236:237]
	s_delay_alu instid0(VALU_DEP_2) | instskip(NEXT) | instid1(VALU_DEP_2)
	v_add_f64 v[12:13], v[12:13], -v[18:19]
	v_fma_f64 v[232:233], v[234:235], v[16:17], v[232:233]
	s_delay_alu instid0(VALU_DEP_1) | instskip(SKIP_3) | instid1(VALU_DEP_1)
	v_add_f64 v[14:15], v[14:15], -v[232:233]
	ds_load_2addr_b64 v[232:235], v250 offset0:100 offset1:101
	s_waitcnt lgkmcnt(0)
	v_mul_f64 v[18:19], v[234:235], v[236:237]
	v_fma_f64 v[18:19], v[232:233], v[16:17], -v[18:19]
	v_mul_f64 v[232:233], v[232:233], v[236:237]
	s_delay_alu instid0(VALU_DEP_2) | instskip(NEXT) | instid1(VALU_DEP_2)
	v_add_f64 v[8:9], v[8:9], -v[18:19]
	v_fma_f64 v[232:233], v[234:235], v[16:17], v[232:233]
	s_delay_alu instid0(VALU_DEP_1) | instskip(SKIP_3) | instid1(VALU_DEP_1)
	v_add_f64 v[10:11], v[10:11], -v[232:233]
	ds_load_2addr_b64 v[232:235], v250 offset0:102 offset1:103
	;; [unrolled: 10-line block ×3, first 2 shown]
	s_waitcnt lgkmcnt(0)
	v_mul_f64 v[18:19], v[234:235], v[236:237]
	v_fma_f64 v[18:19], v[232:233], v[16:17], -v[18:19]
	v_mul_f64 v[232:233], v[232:233], v[236:237]
	s_delay_alu instid0(VALU_DEP_2) | instskip(NEXT) | instid1(VALU_DEP_2)
	v_add_f64 v[0:1], v[0:1], -v[18:19]
	v_fma_f64 v[232:233], v[234:235], v[16:17], v[232:233]
	v_dual_mov_b32 v18, v236 :: v_dual_mov_b32 v19, v237
	s_delay_alu instid0(VALU_DEP_2)
	v_add_f64 v[2:3], v[2:3], -v[232:233]
.LBB105_442:
	s_or_b32 exec_lo, exec_lo, s3
	s_delay_alu instid0(SALU_CYCLE_1)
	s_mov_b32 s4, exec_lo
	s_waitcnt lgkmcnt(0)
	s_barrier
	buffer_gl0_inv
	v_cmpx_eq_u32_e32 49, v205
	s_cbranch_execz .LBB105_449
; %bb.443:
	ds_store_2addr_b64 v255, v[12:13], v[14:15] offset1:1
	ds_store_2addr_b64 v250, v[8:9], v[10:11] offset0:100 offset1:101
	ds_store_2addr_b64 v250, v[4:5], v[6:7] offset0:102 offset1:103
	;; [unrolled: 1-line block ×3, first 2 shown]
	ds_load_2addr_b64 v[232:235], v255 offset1:1
	s_waitcnt lgkmcnt(0)
	v_cmp_neq_f64_e32 vcc_lo, 0, v[232:233]
	v_cmp_neq_f64_e64 s3, 0, v[234:235]
	s_delay_alu instid0(VALU_DEP_1) | instskip(NEXT) | instid1(SALU_CYCLE_1)
	s_or_b32 s3, vcc_lo, s3
	s_and_b32 exec_lo, exec_lo, s3
	s_cbranch_execz .LBB105_449
; %bb.444:
	v_cmp_gt_f64_e32 vcc_lo, 0, v[232:233]
	v_xor_b32_e32 v204, 0x80000000, v233
	s_mov_b32 s3, exec_lo
                                        ; implicit-def: $vgpr240_vgpr241
	s_delay_alu instid0(VALU_DEP_1) | instskip(SKIP_3) | instid1(VALU_DEP_1)
	v_cndmask_b32_e32 v237, v233, v204, vcc_lo
	v_cndmask_b32_e32 v236, v232, v232, vcc_lo
	v_cmp_gt_f64_e32 vcc_lo, 0, v[234:235]
	v_xor_b32_e32 v204, 0x80000000, v235
	v_dual_cndmask_b32 v238, v234, v234 :: v_dual_cndmask_b32 v239, v235, v204
	s_delay_alu instid0(VALU_DEP_1)
	v_cmpx_ngt_f64_e32 v[236:237], v[238:239]
	s_xor_b32 s3, exec_lo, s3
                                        ; implicit-def: $vgpr236_vgpr237_vgpr238_vgpr239
	s_cbranch_execz .LBB105_446
; %bb.445:
	v_div_scale_f64 v[236:237], null, v[234:235], v[234:235], v[232:233]
	v_div_scale_f64 v[242:243], vcc_lo, v[232:233], v[234:235], v[232:233]
	s_delay_alu instid0(VALU_DEP_2) | instskip(SKIP_2) | instid1(VALU_DEP_1)
	v_rcp_f64_e32 v[238:239], v[236:237]
	s_waitcnt_depctr 0xfff
	v_fma_f64 v[240:241], -v[236:237], v[238:239], 1.0
	v_fma_f64 v[238:239], v[238:239], v[240:241], v[238:239]
	s_delay_alu instid0(VALU_DEP_1) | instskip(NEXT) | instid1(VALU_DEP_1)
	v_fma_f64 v[240:241], -v[236:237], v[238:239], 1.0
	v_fma_f64 v[238:239], v[238:239], v[240:241], v[238:239]
	s_delay_alu instid0(VALU_DEP_1) | instskip(NEXT) | instid1(VALU_DEP_1)
	v_mul_f64 v[240:241], v[242:243], v[238:239]
	v_fma_f64 v[236:237], -v[236:237], v[240:241], v[242:243]
	s_delay_alu instid0(VALU_DEP_1) | instskip(NEXT) | instid1(VALU_DEP_1)
	v_div_fmas_f64 v[236:237], v[236:237], v[238:239], v[240:241]
	v_div_fixup_f64 v[236:237], v[236:237], v[234:235], v[232:233]
	s_delay_alu instid0(VALU_DEP_1) | instskip(NEXT) | instid1(VALU_DEP_1)
	v_fma_f64 v[232:233], v[232:233], v[236:237], v[234:235]
	v_div_scale_f64 v[234:235], null, v[232:233], v[232:233], 1.0
	s_delay_alu instid0(VALU_DEP_1) | instskip(SKIP_2) | instid1(VALU_DEP_1)
	v_rcp_f64_e32 v[238:239], v[234:235]
	s_waitcnt_depctr 0xfff
	v_fma_f64 v[240:241], -v[234:235], v[238:239], 1.0
	v_fma_f64 v[238:239], v[238:239], v[240:241], v[238:239]
	s_delay_alu instid0(VALU_DEP_1) | instskip(NEXT) | instid1(VALU_DEP_1)
	v_fma_f64 v[240:241], -v[234:235], v[238:239], 1.0
	v_fma_f64 v[238:239], v[238:239], v[240:241], v[238:239]
	v_div_scale_f64 v[240:241], vcc_lo, 1.0, v[232:233], 1.0
	s_delay_alu instid0(VALU_DEP_1) | instskip(NEXT) | instid1(VALU_DEP_1)
	v_mul_f64 v[242:243], v[240:241], v[238:239]
	v_fma_f64 v[234:235], -v[234:235], v[242:243], v[240:241]
	s_delay_alu instid0(VALU_DEP_1) | instskip(NEXT) | instid1(VALU_DEP_1)
	v_div_fmas_f64 v[234:235], v[234:235], v[238:239], v[242:243]
	v_div_fixup_f64 v[238:239], v[234:235], v[232:233], 1.0
                                        ; implicit-def: $vgpr232_vgpr233
	s_delay_alu instid0(VALU_DEP_1)
	v_mul_f64 v[240:241], v[236:237], v[238:239]
	v_xor_b32_e32 v239, 0x80000000, v239
.LBB105_446:
	s_and_not1_saveexec_b32 s3, s3
	s_cbranch_execz .LBB105_448
; %bb.447:
	v_div_scale_f64 v[236:237], null, v[232:233], v[232:233], v[234:235]
	v_div_scale_f64 v[242:243], vcc_lo, v[234:235], v[232:233], v[234:235]
	s_delay_alu instid0(VALU_DEP_2) | instskip(SKIP_2) | instid1(VALU_DEP_1)
	v_rcp_f64_e32 v[238:239], v[236:237]
	s_waitcnt_depctr 0xfff
	v_fma_f64 v[240:241], -v[236:237], v[238:239], 1.0
	v_fma_f64 v[238:239], v[238:239], v[240:241], v[238:239]
	s_delay_alu instid0(VALU_DEP_1) | instskip(NEXT) | instid1(VALU_DEP_1)
	v_fma_f64 v[240:241], -v[236:237], v[238:239], 1.0
	v_fma_f64 v[238:239], v[238:239], v[240:241], v[238:239]
	s_delay_alu instid0(VALU_DEP_1) | instskip(NEXT) | instid1(VALU_DEP_1)
	v_mul_f64 v[240:241], v[242:243], v[238:239]
	v_fma_f64 v[236:237], -v[236:237], v[240:241], v[242:243]
	s_delay_alu instid0(VALU_DEP_1) | instskip(NEXT) | instid1(VALU_DEP_1)
	v_div_fmas_f64 v[236:237], v[236:237], v[238:239], v[240:241]
	v_div_fixup_f64 v[236:237], v[236:237], v[232:233], v[234:235]
	s_delay_alu instid0(VALU_DEP_1) | instskip(NEXT) | instid1(VALU_DEP_1)
	v_fma_f64 v[232:233], v[234:235], v[236:237], v[232:233]
	v_div_scale_f64 v[234:235], null, v[232:233], v[232:233], 1.0
	s_delay_alu instid0(VALU_DEP_1) | instskip(SKIP_2) | instid1(VALU_DEP_1)
	v_rcp_f64_e32 v[238:239], v[234:235]
	s_waitcnt_depctr 0xfff
	v_fma_f64 v[240:241], -v[234:235], v[238:239], 1.0
	v_fma_f64 v[238:239], v[238:239], v[240:241], v[238:239]
	s_delay_alu instid0(VALU_DEP_1) | instskip(NEXT) | instid1(VALU_DEP_1)
	v_fma_f64 v[240:241], -v[234:235], v[238:239], 1.0
	v_fma_f64 v[238:239], v[238:239], v[240:241], v[238:239]
	v_div_scale_f64 v[240:241], vcc_lo, 1.0, v[232:233], 1.0
	s_delay_alu instid0(VALU_DEP_1) | instskip(NEXT) | instid1(VALU_DEP_1)
	v_mul_f64 v[242:243], v[240:241], v[238:239]
	v_fma_f64 v[234:235], -v[234:235], v[242:243], v[240:241]
	s_delay_alu instid0(VALU_DEP_1) | instskip(NEXT) | instid1(VALU_DEP_1)
	v_div_fmas_f64 v[234:235], v[234:235], v[238:239], v[242:243]
	v_div_fixup_f64 v[240:241], v[234:235], v[232:233], 1.0
	s_delay_alu instid0(VALU_DEP_1)
	v_mul_f64 v[238:239], v[236:237], -v[240:241]
.LBB105_448:
	s_or_b32 exec_lo, exec_lo, s3
	ds_store_2addr_b64 v255, v[240:241], v[238:239] offset1:1
.LBB105_449:
	s_or_b32 exec_lo, exec_lo, s4
	s_waitcnt lgkmcnt(0)
	s_barrier
	buffer_gl0_inv
	ds_load_2addr_b64 v[232:235], v255 offset1:1
	s_mov_b32 s3, exec_lo
	v_cmpx_lt_u32_e32 49, v205
	s_cbranch_execz .LBB105_451
; %bb.450:
	s_waitcnt lgkmcnt(0)
	v_mul_f64 v[236:237], v[232:233], v[14:15]
	v_mul_f64 v[14:15], v[234:235], v[14:15]
	s_delay_alu instid0(VALU_DEP_2) | instskip(SKIP_4) | instid1(VALU_DEP_1)
	v_fma_f64 v[240:241], v[234:235], v[12:13], v[236:237]
	ds_load_2addr_b64 v[236:239], v250 offset0:100 offset1:101
	v_fma_f64 v[12:13], v[232:233], v[12:13], -v[14:15]
	s_waitcnt lgkmcnt(0)
	v_mul_f64 v[14:15], v[238:239], v[240:241]
	v_fma_f64 v[14:15], v[236:237], v[12:13], -v[14:15]
	v_mul_f64 v[236:237], v[236:237], v[240:241]
	s_delay_alu instid0(VALU_DEP_2) | instskip(NEXT) | instid1(VALU_DEP_2)
	v_add_f64 v[8:9], v[8:9], -v[14:15]
	v_fma_f64 v[236:237], v[238:239], v[12:13], v[236:237]
	s_delay_alu instid0(VALU_DEP_1) | instskip(SKIP_3) | instid1(VALU_DEP_1)
	v_add_f64 v[10:11], v[10:11], -v[236:237]
	ds_load_2addr_b64 v[236:239], v250 offset0:102 offset1:103
	s_waitcnt lgkmcnt(0)
	v_mul_f64 v[14:15], v[238:239], v[240:241]
	v_fma_f64 v[14:15], v[236:237], v[12:13], -v[14:15]
	v_mul_f64 v[236:237], v[236:237], v[240:241]
	s_delay_alu instid0(VALU_DEP_2) | instskip(NEXT) | instid1(VALU_DEP_2)
	v_add_f64 v[4:5], v[4:5], -v[14:15]
	v_fma_f64 v[236:237], v[238:239], v[12:13], v[236:237]
	s_delay_alu instid0(VALU_DEP_1) | instskip(SKIP_3) | instid1(VALU_DEP_1)
	v_add_f64 v[6:7], v[6:7], -v[236:237]
	ds_load_2addr_b64 v[236:239], v250 offset0:104 offset1:105
	s_waitcnt lgkmcnt(0)
	v_mul_f64 v[14:15], v[238:239], v[240:241]
	v_fma_f64 v[14:15], v[236:237], v[12:13], -v[14:15]
	v_mul_f64 v[236:237], v[236:237], v[240:241]
	s_delay_alu instid0(VALU_DEP_2) | instskip(NEXT) | instid1(VALU_DEP_2)
	v_add_f64 v[0:1], v[0:1], -v[14:15]
	v_fma_f64 v[236:237], v[238:239], v[12:13], v[236:237]
	v_dual_mov_b32 v14, v240 :: v_dual_mov_b32 v15, v241
	s_delay_alu instid0(VALU_DEP_2)
	v_add_f64 v[2:3], v[2:3], -v[236:237]
.LBB105_451:
	s_or_b32 exec_lo, exec_lo, s3
	s_delay_alu instid0(SALU_CYCLE_1)
	s_mov_b32 s4, exec_lo
	s_waitcnt lgkmcnt(0)
	s_barrier
	buffer_gl0_inv
	v_cmpx_eq_u32_e32 50, v205
	s_cbranch_execz .LBB105_458
; %bb.452:
	ds_store_2addr_b64 v255, v[8:9], v[10:11] offset1:1
	ds_store_2addr_b64 v250, v[4:5], v[6:7] offset0:102 offset1:103
	ds_store_2addr_b64 v250, v[0:1], v[2:3] offset0:104 offset1:105
	ds_load_2addr_b64 v[236:239], v255 offset1:1
	s_waitcnt lgkmcnt(0)
	v_cmp_neq_f64_e32 vcc_lo, 0, v[236:237]
	v_cmp_neq_f64_e64 s3, 0, v[238:239]
	s_delay_alu instid0(VALU_DEP_1) | instskip(NEXT) | instid1(SALU_CYCLE_1)
	s_or_b32 s3, vcc_lo, s3
	s_and_b32 exec_lo, exec_lo, s3
	s_cbranch_execz .LBB105_458
; %bb.453:
	v_cmp_gt_f64_e32 vcc_lo, 0, v[236:237]
	v_xor_b32_e32 v204, 0x80000000, v237
	s_mov_b32 s3, exec_lo
                                        ; implicit-def: $vgpr244_vgpr245
	s_delay_alu instid0(VALU_DEP_1) | instskip(SKIP_3) | instid1(VALU_DEP_1)
	v_cndmask_b32_e32 v241, v237, v204, vcc_lo
	v_cndmask_b32_e32 v240, v236, v236, vcc_lo
	v_cmp_gt_f64_e32 vcc_lo, 0, v[238:239]
	v_xor_b32_e32 v204, 0x80000000, v239
	v_dual_cndmask_b32 v242, v238, v238 :: v_dual_cndmask_b32 v243, v239, v204
	s_delay_alu instid0(VALU_DEP_1)
	v_cmpx_ngt_f64_e32 v[240:241], v[242:243]
	s_xor_b32 s3, exec_lo, s3
                                        ; implicit-def: $vgpr240_vgpr241_vgpr242_vgpr243
	s_cbranch_execz .LBB105_455
; %bb.454:
	v_div_scale_f64 v[240:241], null, v[238:239], v[238:239], v[236:237]
	v_div_scale_f64 v[246:247], vcc_lo, v[236:237], v[238:239], v[236:237]
	s_delay_alu instid0(VALU_DEP_2) | instskip(SKIP_2) | instid1(VALU_DEP_1)
	v_rcp_f64_e32 v[242:243], v[240:241]
	s_waitcnt_depctr 0xfff
	v_fma_f64 v[244:245], -v[240:241], v[242:243], 1.0
	v_fma_f64 v[242:243], v[242:243], v[244:245], v[242:243]
	s_delay_alu instid0(VALU_DEP_1) | instskip(NEXT) | instid1(VALU_DEP_1)
	v_fma_f64 v[244:245], -v[240:241], v[242:243], 1.0
	v_fma_f64 v[242:243], v[242:243], v[244:245], v[242:243]
	s_delay_alu instid0(VALU_DEP_1) | instskip(NEXT) | instid1(VALU_DEP_1)
	v_mul_f64 v[244:245], v[246:247], v[242:243]
	v_fma_f64 v[240:241], -v[240:241], v[244:245], v[246:247]
	s_delay_alu instid0(VALU_DEP_1) | instskip(NEXT) | instid1(VALU_DEP_1)
	v_div_fmas_f64 v[240:241], v[240:241], v[242:243], v[244:245]
	v_div_fixup_f64 v[240:241], v[240:241], v[238:239], v[236:237]
	s_delay_alu instid0(VALU_DEP_1) | instskip(NEXT) | instid1(VALU_DEP_1)
	v_fma_f64 v[236:237], v[236:237], v[240:241], v[238:239]
	v_div_scale_f64 v[238:239], null, v[236:237], v[236:237], 1.0
	s_delay_alu instid0(VALU_DEP_1) | instskip(SKIP_2) | instid1(VALU_DEP_1)
	v_rcp_f64_e32 v[242:243], v[238:239]
	s_waitcnt_depctr 0xfff
	v_fma_f64 v[244:245], -v[238:239], v[242:243], 1.0
	v_fma_f64 v[242:243], v[242:243], v[244:245], v[242:243]
	s_delay_alu instid0(VALU_DEP_1) | instskip(NEXT) | instid1(VALU_DEP_1)
	v_fma_f64 v[244:245], -v[238:239], v[242:243], 1.0
	v_fma_f64 v[242:243], v[242:243], v[244:245], v[242:243]
	v_div_scale_f64 v[244:245], vcc_lo, 1.0, v[236:237], 1.0
	s_delay_alu instid0(VALU_DEP_1) | instskip(NEXT) | instid1(VALU_DEP_1)
	v_mul_f64 v[246:247], v[244:245], v[242:243]
	v_fma_f64 v[238:239], -v[238:239], v[246:247], v[244:245]
	s_delay_alu instid0(VALU_DEP_1) | instskip(NEXT) | instid1(VALU_DEP_1)
	v_div_fmas_f64 v[238:239], v[238:239], v[242:243], v[246:247]
	v_div_fixup_f64 v[242:243], v[238:239], v[236:237], 1.0
                                        ; implicit-def: $vgpr236_vgpr237
	s_delay_alu instid0(VALU_DEP_1)
	v_mul_f64 v[244:245], v[240:241], v[242:243]
	v_xor_b32_e32 v243, 0x80000000, v243
.LBB105_455:
	s_and_not1_saveexec_b32 s3, s3
	s_cbranch_execz .LBB105_457
; %bb.456:
	v_div_scale_f64 v[240:241], null, v[236:237], v[236:237], v[238:239]
	v_div_scale_f64 v[246:247], vcc_lo, v[238:239], v[236:237], v[238:239]
	s_delay_alu instid0(VALU_DEP_2) | instskip(SKIP_2) | instid1(VALU_DEP_1)
	v_rcp_f64_e32 v[242:243], v[240:241]
	s_waitcnt_depctr 0xfff
	v_fma_f64 v[244:245], -v[240:241], v[242:243], 1.0
	v_fma_f64 v[242:243], v[242:243], v[244:245], v[242:243]
	s_delay_alu instid0(VALU_DEP_1) | instskip(NEXT) | instid1(VALU_DEP_1)
	v_fma_f64 v[244:245], -v[240:241], v[242:243], 1.0
	v_fma_f64 v[242:243], v[242:243], v[244:245], v[242:243]
	s_delay_alu instid0(VALU_DEP_1) | instskip(NEXT) | instid1(VALU_DEP_1)
	v_mul_f64 v[244:245], v[246:247], v[242:243]
	v_fma_f64 v[240:241], -v[240:241], v[244:245], v[246:247]
	s_delay_alu instid0(VALU_DEP_1) | instskip(NEXT) | instid1(VALU_DEP_1)
	v_div_fmas_f64 v[240:241], v[240:241], v[242:243], v[244:245]
	v_div_fixup_f64 v[240:241], v[240:241], v[236:237], v[238:239]
	s_delay_alu instid0(VALU_DEP_1) | instskip(NEXT) | instid1(VALU_DEP_1)
	v_fma_f64 v[236:237], v[238:239], v[240:241], v[236:237]
	v_div_scale_f64 v[238:239], null, v[236:237], v[236:237], 1.0
	s_delay_alu instid0(VALU_DEP_1) | instskip(SKIP_2) | instid1(VALU_DEP_1)
	v_rcp_f64_e32 v[242:243], v[238:239]
	s_waitcnt_depctr 0xfff
	v_fma_f64 v[244:245], -v[238:239], v[242:243], 1.0
	v_fma_f64 v[242:243], v[242:243], v[244:245], v[242:243]
	s_delay_alu instid0(VALU_DEP_1) | instskip(NEXT) | instid1(VALU_DEP_1)
	v_fma_f64 v[244:245], -v[238:239], v[242:243], 1.0
	v_fma_f64 v[242:243], v[242:243], v[244:245], v[242:243]
	v_div_scale_f64 v[244:245], vcc_lo, 1.0, v[236:237], 1.0
	s_delay_alu instid0(VALU_DEP_1) | instskip(NEXT) | instid1(VALU_DEP_1)
	v_mul_f64 v[246:247], v[244:245], v[242:243]
	v_fma_f64 v[238:239], -v[238:239], v[246:247], v[244:245]
	s_delay_alu instid0(VALU_DEP_1) | instskip(NEXT) | instid1(VALU_DEP_1)
	v_div_fmas_f64 v[238:239], v[238:239], v[242:243], v[246:247]
	v_div_fixup_f64 v[244:245], v[238:239], v[236:237], 1.0
	s_delay_alu instid0(VALU_DEP_1)
	v_mul_f64 v[242:243], v[240:241], -v[244:245]
.LBB105_457:
	s_or_b32 exec_lo, exec_lo, s3
	ds_store_2addr_b64 v255, v[244:245], v[242:243] offset1:1
.LBB105_458:
	s_or_b32 exec_lo, exec_lo, s4
	s_waitcnt lgkmcnt(0)
	s_barrier
	buffer_gl0_inv
	ds_load_2addr_b64 v[236:239], v255 offset1:1
	s_mov_b32 s3, exec_lo
	v_cmpx_lt_u32_e32 50, v205
	s_cbranch_execz .LBB105_460
; %bb.459:
	s_waitcnt lgkmcnt(0)
	v_mul_f64 v[240:241], v[236:237], v[10:11]
	v_mul_f64 v[10:11], v[238:239], v[10:11]
	s_delay_alu instid0(VALU_DEP_2) | instskip(SKIP_4) | instid1(VALU_DEP_1)
	v_fma_f64 v[244:245], v[238:239], v[8:9], v[240:241]
	ds_load_2addr_b64 v[240:243], v250 offset0:102 offset1:103
	v_fma_f64 v[8:9], v[236:237], v[8:9], -v[10:11]
	s_waitcnt lgkmcnt(0)
	v_mul_f64 v[10:11], v[242:243], v[244:245]
	v_fma_f64 v[10:11], v[240:241], v[8:9], -v[10:11]
	v_mul_f64 v[240:241], v[240:241], v[244:245]
	s_delay_alu instid0(VALU_DEP_2) | instskip(NEXT) | instid1(VALU_DEP_2)
	v_add_f64 v[4:5], v[4:5], -v[10:11]
	v_fma_f64 v[240:241], v[242:243], v[8:9], v[240:241]
	s_delay_alu instid0(VALU_DEP_1) | instskip(SKIP_3) | instid1(VALU_DEP_1)
	v_add_f64 v[6:7], v[6:7], -v[240:241]
	ds_load_2addr_b64 v[240:243], v250 offset0:104 offset1:105
	s_waitcnt lgkmcnt(0)
	v_mul_f64 v[10:11], v[242:243], v[244:245]
	v_fma_f64 v[10:11], v[240:241], v[8:9], -v[10:11]
	v_mul_f64 v[240:241], v[240:241], v[244:245]
	s_delay_alu instid0(VALU_DEP_2) | instskip(NEXT) | instid1(VALU_DEP_2)
	v_add_f64 v[0:1], v[0:1], -v[10:11]
	v_fma_f64 v[240:241], v[242:243], v[8:9], v[240:241]
	v_dual_mov_b32 v10, v244 :: v_dual_mov_b32 v11, v245
	s_delay_alu instid0(VALU_DEP_2)
	v_add_f64 v[2:3], v[2:3], -v[240:241]
.LBB105_460:
	s_or_b32 exec_lo, exec_lo, s3
	s_delay_alu instid0(SALU_CYCLE_1)
	s_mov_b32 s4, exec_lo
	s_waitcnt lgkmcnt(0)
	s_barrier
	buffer_gl0_inv
	v_cmpx_eq_u32_e32 51, v205
	s_cbranch_execz .LBB105_467
; %bb.461:
	ds_store_2addr_b64 v255, v[4:5], v[6:7] offset1:1
	ds_store_2addr_b64 v250, v[0:1], v[2:3] offset0:104 offset1:105
	ds_load_2addr_b64 v[240:243], v255 offset1:1
	s_waitcnt lgkmcnt(0)
	v_cmp_neq_f64_e32 vcc_lo, 0, v[240:241]
	v_cmp_neq_f64_e64 s3, 0, v[242:243]
	s_delay_alu instid0(VALU_DEP_1) | instskip(NEXT) | instid1(SALU_CYCLE_1)
	s_or_b32 s3, vcc_lo, s3
	s_and_b32 exec_lo, exec_lo, s3
	s_cbranch_execz .LBB105_467
; %bb.462:
	v_cmp_gt_f64_e32 vcc_lo, 0, v[240:241]
	v_xor_b32_e32 v204, 0x80000000, v241
	s_mov_b32 s3, exec_lo
                                        ; implicit-def: $vgpr248_vgpr249
	s_delay_alu instid0(VALU_DEP_1) | instskip(SKIP_3) | instid1(VALU_DEP_1)
	v_cndmask_b32_e32 v245, v241, v204, vcc_lo
	v_cndmask_b32_e32 v244, v240, v240, vcc_lo
	v_cmp_gt_f64_e32 vcc_lo, 0, v[242:243]
	v_xor_b32_e32 v204, 0x80000000, v243
	v_dual_cndmask_b32 v246, v242, v242 :: v_dual_cndmask_b32 v247, v243, v204
	s_delay_alu instid0(VALU_DEP_1)
	v_cmpx_ngt_f64_e32 v[244:245], v[246:247]
	s_xor_b32 s3, exec_lo, s3
                                        ; implicit-def: $vgpr244_vgpr245_vgpr246_vgpr247
	s_cbranch_execz .LBB105_464
; %bb.463:
	v_div_scale_f64 v[244:245], null, v[242:243], v[242:243], v[240:241]
	v_dual_mov_b32 v254, v211 :: v_dual_mov_b32 v253, v210
	v_dual_mov_b32 v252, v209 :: v_dual_mov_b32 v251, v208
	v_div_scale_f64 v[208:209], vcc_lo, v[240:241], v[242:243], v[240:241]
	s_delay_alu instid0(VALU_DEP_4) | instskip(SKIP_2) | instid1(VALU_DEP_1)
	v_rcp_f64_e32 v[246:247], v[244:245]
	s_waitcnt_depctr 0xfff
	v_fma_f64 v[248:249], -v[244:245], v[246:247], 1.0
	v_fma_f64 v[246:247], v[246:247], v[248:249], v[246:247]
	s_delay_alu instid0(VALU_DEP_1) | instskip(NEXT) | instid1(VALU_DEP_1)
	v_fma_f64 v[248:249], -v[244:245], v[246:247], 1.0
	v_fma_f64 v[210:211], v[246:247], v[248:249], v[246:247]
	s_delay_alu instid0(VALU_DEP_1) | instskip(NEXT) | instid1(VALU_DEP_1)
	v_mul_f64 v[246:247], v[208:209], v[210:211]
	v_fma_f64 v[208:209], -v[244:245], v[246:247], v[208:209]
	s_delay_alu instid0(VALU_DEP_1) | instskip(NEXT) | instid1(VALU_DEP_1)
	v_div_fmas_f64 v[208:209], v[208:209], v[210:211], v[246:247]
	v_div_fixup_f64 v[208:209], v[208:209], v[242:243], v[240:241]
	s_delay_alu instid0(VALU_DEP_1) | instskip(NEXT) | instid1(VALU_DEP_1)
	v_fma_f64 v[210:211], v[240:241], v[208:209], v[242:243]
	v_div_scale_f64 v[240:241], null, v[210:211], v[210:211], 1.0
	s_delay_alu instid0(VALU_DEP_1) | instskip(SKIP_2) | instid1(VALU_DEP_1)
	v_rcp_f64_e32 v[242:243], v[240:241]
	s_waitcnt_depctr 0xfff
	v_fma_f64 v[244:245], -v[240:241], v[242:243], 1.0
	v_fma_f64 v[242:243], v[242:243], v[244:245], v[242:243]
	s_delay_alu instid0(VALU_DEP_1) | instskip(NEXT) | instid1(VALU_DEP_1)
	v_fma_f64 v[244:245], -v[240:241], v[242:243], 1.0
	v_fma_f64 v[242:243], v[242:243], v[244:245], v[242:243]
	v_div_scale_f64 v[244:245], vcc_lo, 1.0, v[210:211], 1.0
	s_delay_alu instid0(VALU_DEP_1) | instskip(NEXT) | instid1(VALU_DEP_1)
	v_mul_f64 v[246:247], v[244:245], v[242:243]
	v_fma_f64 v[240:241], -v[240:241], v[246:247], v[244:245]
	s_delay_alu instid0(VALU_DEP_1) | instskip(NEXT) | instid1(VALU_DEP_1)
	v_div_fmas_f64 v[240:241], v[240:241], v[242:243], v[246:247]
	v_div_fixup_f64 v[246:247], v[240:241], v[210:211], 1.0
                                        ; implicit-def: $vgpr240_vgpr241
	s_delay_alu instid0(VALU_DEP_1)
	v_mul_f64 v[248:249], v[208:209], v[246:247]
	v_dual_mov_b32 v208, v251 :: v_dual_mov_b32 v209, v252
	v_dual_mov_b32 v210, v253 :: v_dual_mov_b32 v211, v254
	v_xor_b32_e32 v247, 0x80000000, v247
.LBB105_464:
	s_and_not1_saveexec_b32 s3, s3
	s_cbranch_execz .LBB105_466
; %bb.465:
	s_delay_alu instid0(VALU_DEP_2) | instskip(SKIP_3) | instid1(VALU_DEP_2)
	v_dual_mov_b32 v254, v211 :: v_dual_mov_b32 v253, v210
	v_dual_mov_b32 v252, v209 :: v_dual_mov_b32 v251, v208
	v_div_scale_f64 v[208:209], null, v[240:241], v[240:241], v[242:243]
	v_div_scale_f64 v[246:247], vcc_lo, v[242:243], v[240:241], v[242:243]
	v_rcp_f64_e32 v[210:211], v[208:209]
	s_waitcnt_depctr 0xfff
	v_fma_f64 v[244:245], -v[208:209], v[210:211], 1.0
	s_delay_alu instid0(VALU_DEP_1) | instskip(NEXT) | instid1(VALU_DEP_1)
	v_fma_f64 v[210:211], v[210:211], v[244:245], v[210:211]
	v_fma_f64 v[244:245], -v[208:209], v[210:211], 1.0
	s_delay_alu instid0(VALU_DEP_1) | instskip(NEXT) | instid1(VALU_DEP_1)
	v_fma_f64 v[210:211], v[210:211], v[244:245], v[210:211]
	v_mul_f64 v[244:245], v[246:247], v[210:211]
	s_delay_alu instid0(VALU_DEP_1) | instskip(NEXT) | instid1(VALU_DEP_1)
	v_fma_f64 v[208:209], -v[208:209], v[244:245], v[246:247]
	v_div_fmas_f64 v[208:209], v[208:209], v[210:211], v[244:245]
	s_delay_alu instid0(VALU_DEP_1) | instskip(NEXT) | instid1(VALU_DEP_1)
	v_div_fixup_f64 v[208:209], v[208:209], v[240:241], v[242:243]
	v_fma_f64 v[210:211], v[242:243], v[208:209], v[240:241]
	s_delay_alu instid0(VALU_DEP_1) | instskip(NEXT) | instid1(VALU_DEP_1)
	v_div_scale_f64 v[240:241], null, v[210:211], v[210:211], 1.0
	v_rcp_f64_e32 v[242:243], v[240:241]
	s_waitcnt_depctr 0xfff
	v_fma_f64 v[244:245], -v[240:241], v[242:243], 1.0
	s_delay_alu instid0(VALU_DEP_1) | instskip(NEXT) | instid1(VALU_DEP_1)
	v_fma_f64 v[242:243], v[242:243], v[244:245], v[242:243]
	v_fma_f64 v[244:245], -v[240:241], v[242:243], 1.0
	s_delay_alu instid0(VALU_DEP_1) | instskip(SKIP_1) | instid1(VALU_DEP_1)
	v_fma_f64 v[242:243], v[242:243], v[244:245], v[242:243]
	v_div_scale_f64 v[244:245], vcc_lo, 1.0, v[210:211], 1.0
	v_mul_f64 v[246:247], v[244:245], v[242:243]
	s_delay_alu instid0(VALU_DEP_1) | instskip(NEXT) | instid1(VALU_DEP_1)
	v_fma_f64 v[240:241], -v[240:241], v[246:247], v[244:245]
	v_div_fmas_f64 v[240:241], v[240:241], v[242:243], v[246:247]
	s_delay_alu instid0(VALU_DEP_1) | instskip(NEXT) | instid1(VALU_DEP_1)
	v_div_fixup_f64 v[248:249], v[240:241], v[210:211], 1.0
	v_mul_f64 v[246:247], v[208:209], -v[248:249]
	v_dual_mov_b32 v208, v251 :: v_dual_mov_b32 v209, v252
	v_dual_mov_b32 v210, v253 :: v_dual_mov_b32 v211, v254
.LBB105_466:
	s_or_b32 exec_lo, exec_lo, s3
	ds_store_2addr_b64 v255, v[248:249], v[246:247] offset1:1
.LBB105_467:
	s_or_b32 exec_lo, exec_lo, s4
	s_waitcnt lgkmcnt(0)
	s_barrier
	buffer_gl0_inv
	ds_load_2addr_b64 v[240:243], v255 offset1:1
	s_mov_b32 s3, exec_lo
	v_cmpx_lt_u32_e32 51, v205
	s_cbranch_execz .LBB105_469
; %bb.468:
	v_dual_mov_b32 v254, v211 :: v_dual_mov_b32 v253, v210
	v_dual_mov_b32 v252, v209 :: v_dual_mov_b32 v251, v208
	s_waitcnt lgkmcnt(0)
	v_mul_f64 v[208:209], v[240:241], v[6:7]
	v_mul_f64 v[6:7], v[242:243], v[6:7]
	ds_load_2addr_b64 v[244:247], v250 offset0:104 offset1:105
	v_fma_f64 v[208:209], v[242:243], v[4:5], v[208:209]
	v_fma_f64 v[4:5], v[240:241], v[4:5], -v[6:7]
	s_waitcnt lgkmcnt(0)
	s_delay_alu instid0(VALU_DEP_2) | instskip(SKIP_1) | instid1(VALU_DEP_2)
	v_mul_f64 v[6:7], v[246:247], v[208:209]
	v_mul_f64 v[210:211], v[244:245], v[208:209]
	v_fma_f64 v[6:7], v[244:245], v[4:5], -v[6:7]
	s_delay_alu instid0(VALU_DEP_2) | instskip(NEXT) | instid1(VALU_DEP_2)
	v_fma_f64 v[210:211], v[246:247], v[4:5], v[210:211]
	v_add_f64 v[0:1], v[0:1], -v[6:7]
	s_delay_alu instid0(VALU_DEP_2)
	v_add_f64 v[2:3], v[2:3], -v[210:211]
	v_dual_mov_b32 v6, v208 :: v_dual_mov_b32 v7, v209
	v_dual_mov_b32 v208, v251 :: v_dual_mov_b32 v209, v252
	;; [unrolled: 1-line block ×3, first 2 shown]
.LBB105_469:
	s_or_b32 exec_lo, exec_lo, s3
	s_delay_alu instid0(SALU_CYCLE_1)
	s_mov_b32 s4, exec_lo
	s_waitcnt lgkmcnt(0)
	s_barrier
	buffer_gl0_inv
	v_cmpx_eq_u32_e32 52, v205
	s_cbranch_execz .LBB105_476
; %bb.470:
	v_cmp_neq_f64_e32 vcc_lo, 0, v[0:1]
	v_cmp_neq_f64_e64 s3, 0, v[2:3]
	ds_store_2addr_b64 v255, v[0:1], v[2:3] offset1:1
	s_or_b32 s3, vcc_lo, s3
	s_delay_alu instid0(SALU_CYCLE_1)
	s_and_b32 exec_lo, exec_lo, s3
	s_cbranch_execz .LBB105_476
; %bb.471:
	v_cmp_gt_f64_e32 vcc_lo, 0, v[0:1]
	v_xor_b32_e32 v204, 0x80000000, v1
	v_dual_mov_b32 v254, v211 :: v_dual_mov_b32 v253, v210
	v_dual_mov_b32 v252, v209 :: v_dual_mov_b32 v251, v208
	s_mov_b32 s3, exec_lo
                                        ; implicit-def: $vgpr248_vgpr249
	s_delay_alu instid0(VALU_DEP_3) | instskip(SKIP_3) | instid1(VALU_DEP_1)
	v_cndmask_b32_e32 v209, v1, v204, vcc_lo
	v_cndmask_b32_e32 v208, v0, v0, vcc_lo
	v_cmp_gt_f64_e32 vcc_lo, 0, v[2:3]
	v_xor_b32_e32 v204, 0x80000000, v3
	v_dual_cndmask_b32 v210, v2, v2 :: v_dual_cndmask_b32 v211, v3, v204
	s_delay_alu instid0(VALU_DEP_1)
	v_cmpx_ngt_f64_e32 v[208:209], v[210:211]
	s_xor_b32 s3, exec_lo, s3
                                        ; implicit-def: $vgpr244_vgpr245_vgpr246_vgpr247
	s_cbranch_execz .LBB105_473
; %bb.472:
	v_div_scale_f64 v[208:209], null, v[2:3], v[2:3], v[0:1]
	v_div_scale_f64 v[246:247], vcc_lo, v[0:1], v[2:3], v[0:1]
	v_mov_b32_e32 v250, v205
	s_delay_alu instid0(VALU_DEP_3) | instskip(SKIP_2) | instid1(VALU_DEP_1)
	v_rcp_f64_e32 v[210:211], v[208:209]
	s_waitcnt_depctr 0xfff
	v_fma_f64 v[244:245], -v[208:209], v[210:211], 1.0
	v_fma_f64 v[210:211], v[210:211], v[244:245], v[210:211]
	s_delay_alu instid0(VALU_DEP_1) | instskip(NEXT) | instid1(VALU_DEP_1)
	v_fma_f64 v[244:245], -v[208:209], v[210:211], 1.0
	v_fma_f64 v[210:211], v[210:211], v[244:245], v[210:211]
	s_delay_alu instid0(VALU_DEP_1) | instskip(NEXT) | instid1(VALU_DEP_1)
	v_mul_f64 v[244:245], v[246:247], v[210:211]
	v_fma_f64 v[208:209], -v[208:209], v[244:245], v[246:247]
	s_delay_alu instid0(VALU_DEP_1) | instskip(NEXT) | instid1(VALU_DEP_1)
	v_div_fmas_f64 v[208:209], v[208:209], v[210:211], v[244:245]
	v_div_fixup_f64 v[208:209], v[208:209], v[2:3], v[0:1]
	s_delay_alu instid0(VALU_DEP_1) | instskip(NEXT) | instid1(VALU_DEP_1)
	v_fma_f64 v[210:211], v[0:1], v[208:209], v[2:3]
	v_div_scale_f64 v[244:245], null, v[210:211], v[210:211], 1.0
	s_delay_alu instid0(VALU_DEP_1) | instskip(SKIP_2) | instid1(VALU_DEP_1)
	v_rcp_f64_e32 v[246:247], v[244:245]
	s_waitcnt_depctr 0xfff
	v_fma_f64 v[248:249], -v[244:245], v[246:247], 1.0
	v_fma_f64 v[246:247], v[246:247], v[248:249], v[246:247]
	s_delay_alu instid0(VALU_DEP_1) | instskip(NEXT) | instid1(VALU_DEP_1)
	v_fma_f64 v[248:249], -v[244:245], v[246:247], 1.0
	v_fma_f64 v[246:247], v[246:247], v[248:249], v[246:247]
	v_div_scale_f64 v[248:249], vcc_lo, 1.0, v[210:211], 1.0
	s_delay_alu instid0(VALU_DEP_1) | instskip(NEXT) | instid1(VALU_DEP_1)
	v_mul_f64 v[204:205], v[248:249], v[246:247]
	v_fma_f64 v[206:207], -v[244:245], v[204:205], v[248:249]
	s_delay_alu instid0(VALU_DEP_1) | instskip(NEXT) | instid1(VALU_DEP_1)
	v_div_fmas_f64 v[204:205], v[206:207], v[246:247], v[204:205]
	v_div_fixup_f64 v[246:247], v[204:205], v[210:211], 1.0
	v_mov_b32_e32 v205, v250
	s_delay_alu instid0(VALU_DEP_2)
	v_mul_f64 v[248:249], v[208:209], v[246:247]
	v_xor_b32_e32 v247, 0x80000000, v247
.LBB105_473:
	s_and_not1_saveexec_b32 s3, s3
	s_cbranch_execz .LBB105_475
; %bb.474:
	v_mov_b32_e32 v250, v205
	v_div_scale_f64 v[204:205], null, v[0:1], v[0:1], v[2:3]
	v_div_scale_f64 v[210:211], vcc_lo, v[2:3], v[0:1], v[2:3]
	s_delay_alu instid0(VALU_DEP_2) | instskip(SKIP_2) | instid1(VALU_DEP_1)
	v_rcp_f64_e32 v[206:207], v[204:205]
	s_waitcnt_depctr 0xfff
	v_fma_f64 v[208:209], -v[204:205], v[206:207], 1.0
	v_fma_f64 v[206:207], v[206:207], v[208:209], v[206:207]
	s_delay_alu instid0(VALU_DEP_1) | instskip(NEXT) | instid1(VALU_DEP_1)
	v_fma_f64 v[208:209], -v[204:205], v[206:207], 1.0
	v_fma_f64 v[206:207], v[206:207], v[208:209], v[206:207]
	s_delay_alu instid0(VALU_DEP_1) | instskip(NEXT) | instid1(VALU_DEP_1)
	v_mul_f64 v[208:209], v[210:211], v[206:207]
	v_fma_f64 v[204:205], -v[204:205], v[208:209], v[210:211]
	s_delay_alu instid0(VALU_DEP_1) | instskip(NEXT) | instid1(VALU_DEP_1)
	v_div_fmas_f64 v[204:205], v[204:205], v[206:207], v[208:209]
	v_div_fixup_f64 v[204:205], v[204:205], v[0:1], v[2:3]
	s_delay_alu instid0(VALU_DEP_1) | instskip(NEXT) | instid1(VALU_DEP_1)
	v_fma_f64 v[206:207], v[2:3], v[204:205], v[0:1]
	v_div_scale_f64 v[208:209], null, v[206:207], v[206:207], 1.0
	s_delay_alu instid0(VALU_DEP_1) | instskip(SKIP_2) | instid1(VALU_DEP_1)
	v_rcp_f64_e32 v[210:211], v[208:209]
	s_waitcnt_depctr 0xfff
	v_fma_f64 v[244:245], -v[208:209], v[210:211], 1.0
	v_fma_f64 v[210:211], v[210:211], v[244:245], v[210:211]
	s_delay_alu instid0(VALU_DEP_1) | instskip(NEXT) | instid1(VALU_DEP_1)
	v_fma_f64 v[244:245], -v[208:209], v[210:211], 1.0
	v_fma_f64 v[210:211], v[210:211], v[244:245], v[210:211]
	v_div_scale_f64 v[244:245], vcc_lo, 1.0, v[206:207], 1.0
	s_delay_alu instid0(VALU_DEP_1) | instskip(NEXT) | instid1(VALU_DEP_1)
	v_mul_f64 v[246:247], v[244:245], v[210:211]
	v_fma_f64 v[208:209], -v[208:209], v[246:247], v[244:245]
	s_delay_alu instid0(VALU_DEP_1) | instskip(NEXT) | instid1(VALU_DEP_1)
	v_div_fmas_f64 v[208:209], v[208:209], v[210:211], v[246:247]
	v_div_fixup_f64 v[248:249], v[208:209], v[206:207], 1.0
	s_delay_alu instid0(VALU_DEP_1)
	v_mul_f64 v[246:247], v[204:205], -v[248:249]
	v_mov_b32_e32 v205, v250
.LBB105_475:
	s_or_b32 exec_lo, exec_lo, s3
	v_dual_mov_b32 v208, v251 :: v_dual_mov_b32 v209, v252
	v_dual_mov_b32 v210, v253 :: v_dual_mov_b32 v211, v254
	ds_store_2addr_b64 v255, v[248:249], v[246:247] offset1:1
.LBB105_476:
	s_or_b32 exec_lo, exec_lo, s4
	s_waitcnt lgkmcnt(0)
	s_barrier
	buffer_gl0_inv
	ds_load_2addr_b64 v[244:247], v255 offset1:1
	s_mov_b32 s3, exec_lo
	v_cmpx_lt_u32_e32 52, v205
	s_cbranch_execz .LBB105_478
; %bb.477:
	s_waitcnt lgkmcnt(0)
	v_mul_f64 v[204:205], v[246:247], v[2:3]
	v_mul_f64 v[2:3], v[244:245], v[2:3]
	s_delay_alu instid0(VALU_DEP_2) | instskip(NEXT) | instid1(VALU_DEP_2)
	v_fma_f64 v[204:205], v[244:245], v[0:1], -v[204:205]
	v_fma_f64 v[2:3], v[246:247], v[0:1], v[2:3]
	s_delay_alu instid0(VALU_DEP_2)
	v_dual_mov_b32 v0, v204 :: v_dual_mov_b32 v1, v205
.LBB105_478:
	s_or_b32 exec_lo, exec_lo, s3
	s_waitcnt lgkmcnt(0)
	s_barrier
	buffer_gl0_inv
	s_and_saveexec_b32 s12, s2
	s_cbranch_execz .LBB105_481
; %bb.479:
	s_clause 0x1
	scratch_load_b128 v[204:207], off, off offset:440
	scratch_load_b128 v[248:251], off, off offset:520
	s_waitcnt vmcnt(1)
	v_cmp_eq_f64_e32 vcc_lo, 0, v[204:205]
	v_cmp_eq_f64_e64 s2, 0, v[206:207]
	scratch_load_b128 v[204:207], off, off offset:456 ; 16-byte Folded Reload
	s_and_b32 s2, vcc_lo, s2
	s_waitcnt vmcnt(0)
	v_cmp_neq_f64_e64 s3, 0, v[204:205]
	v_cmp_neq_f64_e64 s4, 0, v[206:207]
	scratch_load_b128 v[204:207], off, off offset:472 ; 16-byte Folded Reload
	s_or_b32 s3, s3, s4
	s_delay_alu instid0(SALU_CYCLE_1)
	s_or_b32 vcc_lo, s3, s2
	s_waitcnt vmcnt(0)
	v_cmp_eq_f64_e64 s5, 0, v[204:205]
	v_cmp_eq_f64_e64 s6, 0, v[206:207]
	scratch_load_b128 v[204:207], off, off offset:488 ; 16-byte Folded Reload
	s_and_b32 s4, s5, s6
	s_waitcnt vmcnt(0)
	v_cmp_eq_f64_e64 s7, 0, v[204:205]
	v_cmp_eq_f64_e64 s8, 0, v[206:207]
	scratch_load_b128 v[204:207], off, off offset:504 ; 16-byte Folded Reload
	s_and_b32 s6, s7, s8
	s_waitcnt vmcnt(0)
	v_cmp_eq_f64_e64 s9, 0, v[204:205]
	v_cndmask_b32_e64 v204, 0, 1, s2
	v_cmp_eq_f64_e64 s2, 0, v[250:251]
	v_cmp_eq_f64_e64 s10, 0, v[206:207]
	s_delay_alu instid0(VALU_DEP_3) | instskip(SKIP_3) | instid1(VALU_DEP_1)
	v_cndmask_b32_e32 v204, 2, v204, vcc_lo
	v_cmp_eq_f64_e32 vcc_lo, 0, v[248:249]
	scratch_load_b128 v[248:251], off, off offset:536 ; 16-byte Folded Reload
	v_cmp_eq_u32_e64 s3, 0, v204
	s_and_b32 s3, s4, s3
	s_delay_alu instid0(SALU_CYCLE_1) | instskip(NEXT) | instid1(VALU_DEP_1)
	v_cndmask_b32_e64 v204, v204, 3, s3
	v_cmp_eq_u32_e64 s5, 0, v204
	s_delay_alu instid0(VALU_DEP_1) | instskip(NEXT) | instid1(SALU_CYCLE_1)
	s_and_b32 s5, s6, s5
	v_cndmask_b32_e64 v204, v204, 4, s5
	s_delay_alu instid0(VALU_DEP_1)
	v_cmp_eq_u32_e64 s7, 0, v204
	s_and_b32 s8, s9, s10
	s_delay_alu instid0(VALU_DEP_1) | instid1(SALU_CYCLE_1)
	s_and_b32 s7, s8, s7
	s_delay_alu instid0(SALU_CYCLE_1) | instskip(SKIP_1) | instid1(VALU_DEP_1)
	v_cndmask_b32_e64 v204, v204, 5, s7
	s_and_b32 s2, vcc_lo, s2
	v_cmp_eq_u32_e64 s9, 0, v204
	s_delay_alu instid0(VALU_DEP_1) | instskip(NEXT) | instid1(SALU_CYCLE_1)
	s_and_b32 s2, s2, s9
	v_cndmask_b32_e64 v204, v204, 6, s2
	s_delay_alu instid0(VALU_DEP_1)
	v_cmp_eq_u32_e64 s9, 0, v204
	s_waitcnt vmcnt(0)
	v_cmp_eq_f64_e64 s3, 0, v[248:249]
	v_cmp_eq_f64_e64 s4, 0, v[250:251]
	scratch_load_b128 v[248:251], off, off offset:552 ; 16-byte Folded Reload
	s_and_b32 s3, s3, s4
	s_delay_alu instid0(SALU_CYCLE_1) | instskip(NEXT) | instid1(SALU_CYCLE_1)
	s_and_b32 s3, s3, s9
	v_cndmask_b32_e64 v204, v204, 7, s3
	s_delay_alu instid0(VALU_DEP_1)
	v_cmp_eq_u32_e64 s9, 0, v204
	s_waitcnt vmcnt(0)
	v_cmp_eq_f64_e64 s5, 0, v[248:249]
	v_cmp_eq_f64_e64 s6, 0, v[250:251]
	scratch_load_b128 v[248:251], off, off offset:568 ; 16-byte Folded Reload
	s_and_b32 s5, s5, s6
	s_delay_alu instid0(SALU_CYCLE_1) | instskip(NEXT) | instid1(SALU_CYCLE_1)
	s_and_b32 s5, s5, s9
	v_cndmask_b32_e64 v204, v204, 8, s5
	s_delay_alu instid0(VALU_DEP_1)
	v_cmp_eq_u32_e64 s9, 0, v204
	s_waitcnt vmcnt(0)
	v_cmp_eq_f64_e64 s7, 0, v[248:249]
	v_cmp_eq_f64_e64 s8, 0, v[250:251]
	scratch_load_b128 v[248:251], off, off offset:584 ; 16-byte Folded Reload
	s_and_b32 s7, s7, s8
	s_delay_alu instid0(SALU_CYCLE_1) | instskip(NEXT) | instid1(SALU_CYCLE_1)
	s_and_b32 s7, s7, s9
	v_cndmask_b32_e64 v204, v204, 9, s7
	s_delay_alu instid0(VALU_DEP_1)
	v_cmp_eq_u32_e64 s9, 0, v204
	s_waitcnt vmcnt(0)
	v_cmp_eq_f64_e32 vcc_lo, 0, v[248:249]
	v_cmp_eq_f64_e64 s2, 0, v[250:251]
	scratch_load_b128 v[248:251], off, off offset:600 ; 16-byte Folded Reload
	s_and_b32 s2, vcc_lo, s2
	s_delay_alu instid0(SALU_CYCLE_1) | instskip(NEXT) | instid1(SALU_CYCLE_1)
	s_and_b32 s2, s2, s9
	v_cndmask_b32_e64 v204, v204, 10, s2
	s_delay_alu instid0(VALU_DEP_1)
	v_cmp_eq_u32_e64 s9, 0, v204
	s_waitcnt vmcnt(0)
	v_cmp_eq_f64_e64 s3, 0, v[248:249]
	v_cmp_eq_f64_e64 s4, 0, v[250:251]
	scratch_load_b128 v[248:251], off, off offset:616 ; 16-byte Folded Reload
	s_and_b32 s3, s3, s4
	s_delay_alu instid0(SALU_CYCLE_1) | instskip(NEXT) | instid1(SALU_CYCLE_1)
	s_and_b32 s3, s3, s9
	v_cndmask_b32_e64 v204, v204, 11, s3
	s_delay_alu instid0(VALU_DEP_1)
	v_cmp_eq_u32_e64 s9, 0, v204
	s_waitcnt vmcnt(0)
	v_cmp_eq_f64_e64 s5, 0, v[248:249]
	v_cmp_eq_f64_e64 s6, 0, v[250:251]
	scratch_load_b128 v[248:251], off, off offset:632 ; 16-byte Folded Reload
	s_and_b32 s5, s5, s6
	s_delay_alu instid0(SALU_CYCLE_1) | instskip(NEXT) | instid1(SALU_CYCLE_1)
	s_and_b32 s5, s5, s9
	v_cndmask_b32_e64 v204, v204, 12, s5
	s_delay_alu instid0(VALU_DEP_1)
	v_cmp_eq_u32_e64 s9, 0, v204
	s_waitcnt vmcnt(0)
	v_cmp_eq_f64_e64 s7, 0, v[248:249]
	v_cmp_eq_f64_e64 s8, 0, v[250:251]
	scratch_load_b128 v[248:251], off, off offset:648 ; 16-byte Folded Reload
	s_and_b32 s7, s7, s8
	s_delay_alu instid0(SALU_CYCLE_1) | instskip(NEXT) | instid1(SALU_CYCLE_1)
	s_and_b32 s7, s7, s9
	v_cndmask_b32_e64 v204, v204, 13, s7
	s_delay_alu instid0(VALU_DEP_1)
	v_cmp_eq_u32_e64 s9, 0, v204
	s_waitcnt vmcnt(0)
	v_cmp_eq_f64_e32 vcc_lo, 0, v[248:249]
	v_cmp_eq_f64_e64 s2, 0, v[250:251]
	scratch_load_b128 v[248:251], off, off offset:664 ; 16-byte Folded Reload
	s_and_b32 s2, vcc_lo, s2
	s_delay_alu instid0(SALU_CYCLE_1) | instskip(NEXT) | instid1(SALU_CYCLE_1)
	;; [unrolled: 40-line block ×3, first 2 shown]
	s_and_b32 s2, s2, s9
	v_cndmask_b32_e64 v204, v204, 18, s2
	s_delay_alu instid0(VALU_DEP_1)
	v_cmp_eq_u32_e32 vcc_lo, 0, v204
	s_waitcnt vmcnt(0)
	v_cmp_eq_f64_e64 s3, 0, v[248:249]
	v_cmp_eq_f64_e64 s4, 0, v[250:251]
	scratch_load_b128 v[248:251], off, off offset:744 ; 16-byte Folded Reload
	s_and_b32 s2, s3, s4
	s_delay_alu instid0(SALU_CYCLE_1) | instskip(NEXT) | instid1(SALU_CYCLE_1)
	s_and_b32 s2, s2, vcc_lo
	v_cndmask_b32_e64 v204, v204, 19, s2
	s_delay_alu instid0(VALU_DEP_1)
	v_cmp_eq_u32_e32 vcc_lo, 0, v204
	s_waitcnt vmcnt(0)
	v_cmp_eq_f64_e64 s5, 0, v[248:249]
	v_cmp_eq_f64_e64 s6, 0, v[250:251]
	scratch_load_b128 v[248:251], off, off offset:760 ; 16-byte Folded Reload
	s_and_b32 s2, s5, s6
	s_delay_alu instid0(SALU_CYCLE_1) | instskip(NEXT) | instid1(SALU_CYCLE_1)
	s_and_b32 s2, s2, vcc_lo
	;; [unrolled: 10-line block ×3, first 2 shown]
	v_cndmask_b32_e64 v204, v204, 21, s2
	s_delay_alu instid0(VALU_DEP_1)
	v_cmp_eq_u32_e64 s6, 0, v204
	s_waitcnt vmcnt(0)
	v_cmp_eq_f64_e64 s9, 0, v[248:249]
	v_cmp_eq_f64_e64 s10, 0, v[250:251]
	scratch_load_b128 v[248:251], off, off offset:792 ; 16-byte Folded Reload
	s_and_b32 s7, s9, s10
	s_load_b64 s[8:9], s[0:1], 0x28
	s_and_b32 s0, s7, s6
	s_delay_alu instid0(SALU_CYCLE_1) | instskip(NEXT) | instid1(VALU_DEP_1)
	v_cndmask_b32_e64 v204, v204, 22, s0
	v_cmp_eq_u32_e64 s6, 0, v204
	s_waitcnt vmcnt(0)
	v_cmp_eq_f64_e64 s3, 0, v[248:249]
	v_cmp_eq_f64_e64 s4, 0, v[250:251]
	scratch_load_b128 v[248:251], off, off offset:808 ; 16-byte Folded Reload
	s_and_b32 s3, s3, s4
	s_delay_alu instid0(SALU_CYCLE_1) | instskip(NEXT) | instid1(SALU_CYCLE_1)
	s_and_b32 s3, s3, s6
	v_cndmask_b32_e64 v206, v204, 23, s3
	scratch_load_b64 v[204:205], off, off offset:1144 ; 8-byte Folded Reload
	s_waitcnt vmcnt(1)
	v_cmp_eq_f64_e64 s11, 0, v[248:249]
	v_cmp_eq_f64_e64 s5, 0, v[250:251]
	scratch_load_b128 v[248:251], off, off offset:824 ; 16-byte Folded Reload
	s_and_b32 s7, s11, s5
	v_cmp_eq_u32_e64 s5, 0, v206
	s_waitcnt vmcnt(1)
	v_lshlrev_b64 v[204:205], 2, v[204:205]
	s_delay_alu instid0(VALU_DEP_2)
	s_and_b32 s5, s7, s5
	s_waitcnt vmcnt(0)
	v_cmp_eq_f64_e32 vcc_lo, 0, v[248:249]
	v_cmp_eq_f64_e64 s2, 0, v[250:251]
	scratch_load_b128 v[248:251], off, off offset:840 ; 16-byte Folded Reload
	s_and_b32 s2, vcc_lo, s2
	s_waitcnt vmcnt(0)
	v_cmp_eq_f64_e64 s0, 0, v[248:249]
	v_cmp_eq_f64_e64 s1, 0, v[250:251]
	scratch_load_b128 v[248:251], off, off offset:856 ; 16-byte Folded Reload
	s_and_b32 s0, s0, s1
	s_waitcnt vmcnt(0)
	v_cmp_eq_f64_e64 s4, 0, v[250:251]
	scratch_load_b128 v[250:253], off, off offset:872 ; 16-byte Folded Reload
	v_cmp_eq_f64_e64 s3, 0, v[248:249]
	s_waitcnt lgkmcnt(0)
	v_add_co_u32 v248, s6, s8, v204
	s_delay_alu instid0(VALU_DEP_1) | instskip(SKIP_3) | instid1(VALU_DEP_1)
	v_add_co_ci_u32_e64 v249, s6, s9, v205, s6
	v_cndmask_b32_e64 v204, v206, 24, s5
	global_load_b32 v205, v[248:249], off
	v_cmp_eq_u32_e64 s7, 0, v204
	s_and_b32 s2, s2, s7
	s_delay_alu instid0(SALU_CYCLE_1) | instskip(NEXT) | instid1(VALU_DEP_1)
	v_cndmask_b32_e64 v204, v204, 25, s2
	v_cmp_eq_u32_e64 s7, 0, v204
	s_delay_alu instid0(VALU_DEP_1) | instskip(NEXT) | instid1(SALU_CYCLE_1)
	s_and_b32 s0, s0, s7
	v_cndmask_b32_e64 v204, v204, 26, s0
	s_delay_alu instid0(VALU_DEP_1)
	v_cmp_eq_u32_e64 s7, 0, v204
	s_and_b32 s3, s3, s4
	s_delay_alu instid0(VALU_DEP_1) | instid1(SALU_CYCLE_1)
	s_and_b32 s3, s3, s7
	s_delay_alu instid0(SALU_CYCLE_1) | instskip(NEXT) | instid1(VALU_DEP_1)
	v_cndmask_b32_e64 v204, v204, 27, s3
	v_cmp_eq_u32_e64 s7, 0, v204
	s_waitcnt vmcnt(1)
	v_cmp_eq_f64_e64 s5, 0, v[250:251]
	v_cmp_eq_f64_e64 s6, 0, v[252:253]
	scratch_load_b128 v[250:253], off, off offset:888 ; 16-byte Folded Reload
	s_and_b32 s5, s5, s6
	s_delay_alu instid0(SALU_CYCLE_1) | instskip(NEXT) | instid1(SALU_CYCLE_1)
	s_and_b32 s5, s5, s7
	v_cndmask_b32_e64 v204, v204, 28, s5
	s_delay_alu instid0(VALU_DEP_1)
	v_cmp_eq_u32_e64 s7, 0, v204
	s_waitcnt vmcnt(0)
	v_cmp_eq_f64_e32 vcc_lo, 0, v[250:251]
	v_cmp_eq_f64_e64 s2, 0, v[252:253]
	scratch_load_b128 v[250:253], off, off offset:904 ; 16-byte Folded Reload
	s_and_b32 s2, vcc_lo, s2
	s_delay_alu instid0(SALU_CYCLE_1) | instskip(NEXT) | instid1(SALU_CYCLE_1)
	s_and_b32 s2, s2, s7
	v_cndmask_b32_e64 v204, v204, 29, s2
	s_delay_alu instid0(VALU_DEP_1)
	v_cmp_eq_u32_e64 s7, 0, v204
	s_waitcnt vmcnt(0)
	v_cmp_eq_f64_e64 s0, 0, v[250:251]
	v_cmp_eq_f64_e64 s1, 0, v[252:253]
	scratch_load_b128 v[250:253], off, off offset:920 ; 16-byte Folded Reload
	s_and_b32 s0, s0, s1
	s_delay_alu instid0(SALU_CYCLE_1) | instskip(NEXT) | instid1(SALU_CYCLE_1)
	s_and_b32 s0, s0, s7
	v_cndmask_b32_e64 v204, v204, 30, s0
	s_delay_alu instid0(VALU_DEP_1)
	v_cmp_eq_u32_e64 s7, 0, v204
	s_waitcnt vmcnt(0)
	v_cmp_eq_f64_e64 s3, 0, v[250:251]
	v_cmp_eq_f64_e64 s4, 0, v[252:253]
	scratch_load_b128 v[250:253], off, off offset:936 ; 16-byte Folded Reload
	s_and_b32 s3, s3, s4
	s_delay_alu instid0(SALU_CYCLE_1) | instskip(NEXT) | instid1(SALU_CYCLE_1)
	s_and_b32 s3, s3, s7
	v_cndmask_b32_e64 v204, v204, 31, s3
	s_delay_alu instid0(VALU_DEP_1)
	v_cmp_eq_u32_e64 s7, 0, v204
	s_waitcnt vmcnt(0)
	v_cmp_eq_f64_e64 s5, 0, v[250:251]
	v_cmp_eq_f64_e64 s6, 0, v[252:253]
	scratch_load_b128 v[250:253], off, off offset:952 ; 16-byte Folded Reload
	s_and_b32 s5, s5, s6
	s_delay_alu instid0(SALU_CYCLE_1) | instskip(NEXT) | instid1(SALU_CYCLE_1)
	s_and_b32 s5, s5, s7
	v_cndmask_b32_e64 v204, v204, 32, s5
	s_delay_alu instid0(VALU_DEP_1)
	v_cmp_eq_u32_e64 s7, 0, v204
	s_waitcnt vmcnt(0)
	v_cmp_eq_f64_e32 vcc_lo, 0, v[250:251]
	v_cmp_eq_f64_e64 s2, 0, v[252:253]
	scratch_load_b128 v[250:253], off, off offset:968 ; 16-byte Folded Reload
	s_and_b32 s2, vcc_lo, s2
	s_delay_alu instid0(SALU_CYCLE_1) | instskip(NEXT) | instid1(SALU_CYCLE_1)
	s_and_b32 s2, s2, s7
	v_cndmask_b32_e64 v204, v204, 33, s2
	s_delay_alu instid0(VALU_DEP_1)
	v_cmp_eq_u32_e64 s7, 0, v204
	s_waitcnt vmcnt(0)
	v_cmp_eq_f64_e64 s0, 0, v[250:251]
	v_cmp_eq_f64_e64 s1, 0, v[252:253]
	scratch_load_b128 v[250:253], off, off offset:984 ; 16-byte Folded Reload
	s_and_b32 s0, s0, s1
	s_delay_alu instid0(SALU_CYCLE_1) | instskip(NEXT) | instid1(SALU_CYCLE_1)
	s_and_b32 s0, s0, s7
	v_cndmask_b32_e64 v204, v204, 34, s0
	s_delay_alu instid0(VALU_DEP_1)
	v_cmp_eq_u32_e64 s7, 0, v204
	s_waitcnt vmcnt(0)
	v_cmp_eq_f64_e64 s3, 0, v[250:251]
	v_cmp_eq_f64_e64 s4, 0, v[252:253]
	scratch_load_b128 v[250:253], off, off offset:1000 ; 16-byte Folded Reload
	s_and_b32 s3, s3, s4
	s_delay_alu instid0(SALU_CYCLE_1) | instskip(NEXT) | instid1(SALU_CYCLE_1)
	s_and_b32 s3, s3, s7
	v_cndmask_b32_e64 v204, v204, 35, s3
	s_delay_alu instid0(VALU_DEP_1)
	;; [unrolled: 40-line block ×3, first 2 shown]
	v_cmp_eq_u32_e64 s7, 0, v204
	s_waitcnt vmcnt(0)
	v_cmp_eq_f64_e64 s5, 0, v[250:251]
	v_cmp_eq_f64_e64 s6, 0, v[252:253]
	scratch_load_b128 v[250:253], off, off offset:1080 ; 16-byte Folded Reload
	s_and_b32 s5, s5, s6
	s_delay_alu instid0(SALU_CYCLE_1) | instskip(NEXT) | instid1(SALU_CYCLE_1)
	s_and_b32 s5, s5, s7
	v_cndmask_b32_e64 v204, v204, 40, s5
	s_delay_alu instid0(VALU_DEP_1)
	v_cmp_eq_u32_e64 s7, 0, v204
	s_waitcnt vmcnt(0)
	v_cmp_eq_f64_e32 vcc_lo, 0, v[250:251]
	v_cmp_eq_f64_e64 s2, 0, v[252:253]
	scratch_load_b128 v[250:253], off, off offset:1096 ; 16-byte Folded Reload
	s_and_b32 s2, vcc_lo, s2
	v_cmp_eq_f64_e32 vcc_lo, 0, v[212:213]
	s_and_b32 s2, s2, s7
	s_delay_alu instid0(SALU_CYCLE_1) | instskip(SKIP_1) | instid1(VALU_DEP_2)
	v_cndmask_b32_e64 v204, v204, 41, s2
	v_cmp_eq_f64_e64 s2, 0, v[214:215]
	v_cmp_eq_u32_e64 s7, 0, v204
	s_delay_alu instid0(VALU_DEP_2)
	s_and_b32 s2, vcc_lo, s2
	v_cmp_eq_f64_e32 vcc_lo, 0, v[228:229]
	s_waitcnt vmcnt(0)
	v_cmp_eq_f64_e64 s0, 0, v[250:251]
	v_cmp_eq_f64_e64 s1, 0, v[252:253]
	scratch_load_b128 v[250:253], off, off offset:1112 ; 16-byte Folded Reload
	s_and_b32 s0, s0, s1
	v_cmp_eq_f64_e64 s1, 0, v[218:219]
	s_and_b32 s0, s0, s7
	s_delay_alu instid0(SALU_CYCLE_1) | instskip(SKIP_1) | instid1(VALU_DEP_2)
	v_cndmask_b32_e64 v204, v204, 42, s0
	v_cmp_eq_f64_e64 s0, 0, v[216:217]
	v_cmp_eq_u32_e64 s7, 0, v204
	s_delay_alu instid0(VALU_DEP_2)
	s_and_b32 s0, s0, s1
	v_cmp_eq_f64_e64 s1, 0, v[234:235]
	s_waitcnt vmcnt(0)
	v_cmp_eq_f64_e64 s3, 0, v[250:251]
	v_cmp_eq_f64_e64 s4, 0, v[252:253]
	scratch_load_b128 v[250:253], off, off offset:1128 ; 16-byte Folded Reload
	s_and_b32 s3, s3, s4
	v_cmp_eq_f64_e64 s4, 0, v[222:223]
	s_and_b32 s3, s3, s7
	s_delay_alu instid0(SALU_CYCLE_1) | instskip(SKIP_1) | instid1(VALU_DEP_2)
	v_cndmask_b32_e64 v204, v204, 43, s3
	v_cmp_eq_f64_e64 s3, 0, v[220:221]
	v_cmp_eq_u32_e64 s7, 0, v204
	s_delay_alu instid0(VALU_DEP_2) | instskip(SKIP_4) | instid1(VALU_DEP_1)
	s_and_b32 s3, s3, s4
	v_cmp_eq_f64_e64 s4, 0, v[238:239]
	s_waitcnt vmcnt(0)
	v_cmp_eq_f64_e64 s5, 0, v[250:251]
	v_cmp_eq_f64_e64 s6, 0, v[252:253]
	s_and_b32 s5, s5, s6
	v_cmp_eq_f64_e64 s6, 0, v[226:227]
	s_and_b32 s5, s5, s7
	s_delay_alu instid0(SALU_CYCLE_1) | instskip(SKIP_1) | instid1(VALU_DEP_2)
	v_cndmask_b32_e64 v204, v204, 44, s5
	v_cmp_eq_f64_e64 s5, 0, v[224:225]
	v_cmp_eq_u32_e64 s7, 0, v204
	s_delay_alu instid0(VALU_DEP_1) | instskip(NEXT) | instid1(SALU_CYCLE_1)
	s_and_b32 s2, s2, s7
	v_cndmask_b32_e64 v204, v204, 45, s2
	v_cmp_eq_f64_e64 s2, 0, v[230:231]
	s_delay_alu instid0(VALU_DEP_2) | instskip(NEXT) | instid1(VALU_DEP_1)
	v_cmp_eq_u32_e64 s7, 0, v204
	s_and_b32 s0, s0, s7
	s_delay_alu instid0(SALU_CYCLE_1) | instskip(SKIP_1) | instid1(VALU_DEP_2)
	v_cndmask_b32_e64 v204, v204, 46, s0
	v_cmp_eq_f64_e64 s0, 0, v[232:233]
	v_cmp_eq_u32_e64 s7, 0, v204
	s_delay_alu instid0(VALU_DEP_1) | instskip(NEXT) | instid1(SALU_CYCLE_1)
	s_and_b32 s3, s3, s7
	v_cndmask_b32_e64 v204, v204, 47, s3
	v_cmp_eq_f64_e64 s3, 0, v[236:237]
	s_and_b32 s5, s5, s6
	v_cmp_eq_f64_e64 s6, 0, v[242:243]
	s_delay_alu instid0(VALU_DEP_3) | instskip(NEXT) | instid1(VALU_DEP_1)
	v_cmp_eq_u32_e64 s7, 0, v204
	s_and_b32 s5, s5, s7
	s_delay_alu instid0(SALU_CYCLE_1) | instskip(SKIP_3) | instid1(VALU_DEP_3)
	v_cndmask_b32_e64 v204, v204, 48, s5
	v_cmp_eq_f64_e64 s5, 0, v[240:241]
	s_and_b32 s2, vcc_lo, s2
	v_cmp_eq_f64_e32 vcc_lo, 0, v[244:245]
	v_cmp_eq_u32_e64 s7, 0, v204
	s_delay_alu instid0(VALU_DEP_1) | instskip(NEXT) | instid1(SALU_CYCLE_1)
	s_and_b32 s2, s2, s7
	v_cndmask_b32_e64 v204, v204, 49, s2
	v_cmp_eq_f64_e64 s2, 0, v[246:247]
	s_and_b32 s0, s0, s1
	s_delay_alu instid0(VALU_DEP_2) | instskip(NEXT) | instid1(VALU_DEP_1)
	v_cmp_eq_u32_e64 s7, 0, v204
	s_and_b32 s0, s0, s7
	s_delay_alu instid0(SALU_CYCLE_1) | instskip(SKIP_1) | instid1(VALU_DEP_1)
	v_cndmask_b32_e64 v204, v204, 50, s0
	s_and_b32 s1, s3, s4
	v_cmp_eq_u32_e64 s0, 0, v204
	s_delay_alu instid0(VALU_DEP_1) | instskip(NEXT) | instid1(SALU_CYCLE_1)
	s_and_b32 s0, s1, s0
	v_cndmask_b32_e64 v204, v204, 51, s0
	s_and_b32 s1, s5, s6
	s_delay_alu instid0(VALU_DEP_1) | instskip(NEXT) | instid1(VALU_DEP_1)
	v_cmp_eq_u32_e64 s0, 0, v204
	s_and_b32 s0, s1, s0
	s_delay_alu instid0(SALU_CYCLE_1) | instskip(SKIP_2) | instid1(VALU_DEP_2)
	v_cndmask_b32_e64 v204, v204, 52, s0
	s_and_b32 s1, vcc_lo, s2
	v_cmp_eq_u32_e32 vcc_lo, 0, v205
	v_cmp_eq_u32_e64 s0, 0, v204
	s_delay_alu instid0(VALU_DEP_1) | instskip(NEXT) | instid1(SALU_CYCLE_1)
	s_and_b32 s0, s1, s0
	v_cndmask_b32_e64 v212, v204, 53, s0
	s_delay_alu instid0(VALU_DEP_1) | instskip(NEXT) | instid1(VALU_DEP_1)
	v_cmp_ne_u32_e64 s0, 0, v212
	s_and_b32 s0, vcc_lo, s0
	s_delay_alu instid0(SALU_CYCLE_1)
	s_and_b32 exec_lo, exec_lo, s0
	s_cbranch_execz .LBB105_481
; %bb.480:
	v_add_nc_u32_e32 v204, s13, v212
	global_store_b32 v[248:249], v204, off
.LBB105_481:
	s_or_b32 exec_lo, exec_lo, s12
	s_clause 0x1
	scratch_load_b64 v[204:205], off, off offset:424
	scratch_load_b128 v[212:215], off, off
	s_waitcnt vmcnt(0)
	global_store_b128 v[204:205], v[212:215], off
	scratch_load_b64 v[204:205], off, off offset:432 ; 8-byte Folded Reload
	s_waitcnt vmcnt(0)
	global_store_b128 v[204:205], v[208:211], off
	scratch_load_b64 v[204:205], off, off offset:416 ; 8-byte Folded Reload
	;; [unrolled: 3-line block ×52, first 2 shown]
	s_waitcnt vmcnt(0)
	global_store_b128 v[4:5], v[0:3], off
.LBB105_482:
	s_nop 0
	s_sendmsg sendmsg(MSG_DEALLOC_VGPRS)
	s_endpgm
	.section	.rodata,"a",@progbits
	.p2align	6, 0x0
	.amdhsa_kernel _ZN9rocsolver6v33100L23getf2_npvt_small_kernelILi53E19rocblas_complex_numIdEiiPKPS3_EEvT1_T3_lS7_lPT2_S7_S7_
		.amdhsa_group_segment_fixed_size 0
		.amdhsa_private_segment_fixed_size 1156
		.amdhsa_kernarg_size 312
		.amdhsa_user_sgpr_count 14
		.amdhsa_user_sgpr_dispatch_ptr 0
		.amdhsa_user_sgpr_queue_ptr 0
		.amdhsa_user_sgpr_kernarg_segment_ptr 1
		.amdhsa_user_sgpr_dispatch_id 0
		.amdhsa_user_sgpr_private_segment_size 0
		.amdhsa_wavefront_size32 1
		.amdhsa_uses_dynamic_stack 0
		.amdhsa_enable_private_segment 1
		.amdhsa_system_sgpr_workgroup_id_x 1
		.amdhsa_system_sgpr_workgroup_id_y 1
		.amdhsa_system_sgpr_workgroup_id_z 0
		.amdhsa_system_sgpr_workgroup_info 0
		.amdhsa_system_vgpr_workitem_id 1
		.amdhsa_next_free_vgpr 256
		.amdhsa_next_free_sgpr 18
		.amdhsa_reserve_vcc 1
		.amdhsa_float_round_mode_32 0
		.amdhsa_float_round_mode_16_64 0
		.amdhsa_float_denorm_mode_32 3
		.amdhsa_float_denorm_mode_16_64 3
		.amdhsa_dx10_clamp 1
		.amdhsa_ieee_mode 1
		.amdhsa_fp16_overflow 0
		.amdhsa_workgroup_processor_mode 1
		.amdhsa_memory_ordered 1
		.amdhsa_forward_progress 0
		.amdhsa_shared_vgpr_count 0
		.amdhsa_exception_fp_ieee_invalid_op 0
		.amdhsa_exception_fp_denorm_src 0
		.amdhsa_exception_fp_ieee_div_zero 0
		.amdhsa_exception_fp_ieee_overflow 0
		.amdhsa_exception_fp_ieee_underflow 0
		.amdhsa_exception_fp_ieee_inexact 0
		.amdhsa_exception_int_div_zero 0
	.end_amdhsa_kernel
	.section	.text._ZN9rocsolver6v33100L23getf2_npvt_small_kernelILi53E19rocblas_complex_numIdEiiPKPS3_EEvT1_T3_lS7_lPT2_S7_S7_,"axG",@progbits,_ZN9rocsolver6v33100L23getf2_npvt_small_kernelILi53E19rocblas_complex_numIdEiiPKPS3_EEvT1_T3_lS7_lPT2_S7_S7_,comdat
.Lfunc_end105:
	.size	_ZN9rocsolver6v33100L23getf2_npvt_small_kernelILi53E19rocblas_complex_numIdEiiPKPS3_EEvT1_T3_lS7_lPT2_S7_S7_, .Lfunc_end105-_ZN9rocsolver6v33100L23getf2_npvt_small_kernelILi53E19rocblas_complex_numIdEiiPKPS3_EEvT1_T3_lS7_lPT2_S7_S7_
                                        ; -- End function
	.section	.AMDGPU.csdata,"",@progbits
; Kernel info:
; codeLenInByte = 151396
; NumSgprs: 20
; NumVgprs: 256
; ScratchSize: 1156
; MemoryBound: 1
; FloatMode: 240
; IeeeMode: 1
; LDSByteSize: 0 bytes/workgroup (compile time only)
; SGPRBlocks: 2
; VGPRBlocks: 31
; NumSGPRsForWavesPerEU: 20
; NumVGPRsForWavesPerEU: 256
; Occupancy: 5
; WaveLimiterHint : 1
; COMPUTE_PGM_RSRC2:SCRATCH_EN: 1
; COMPUTE_PGM_RSRC2:USER_SGPR: 14
; COMPUTE_PGM_RSRC2:TRAP_HANDLER: 0
; COMPUTE_PGM_RSRC2:TGID_X_EN: 1
; COMPUTE_PGM_RSRC2:TGID_Y_EN: 1
; COMPUTE_PGM_RSRC2:TGID_Z_EN: 0
; COMPUTE_PGM_RSRC2:TIDIG_COMP_CNT: 1
	.section	.text._ZN9rocsolver6v33100L18getf2_small_kernelILi54E19rocblas_complex_numIdEiiPKPS3_EEvT1_T3_lS7_lPS7_llPT2_S7_S7_S9_l,"axG",@progbits,_ZN9rocsolver6v33100L18getf2_small_kernelILi54E19rocblas_complex_numIdEiiPKPS3_EEvT1_T3_lS7_lPS7_llPT2_S7_S7_S9_l,comdat
	.globl	_ZN9rocsolver6v33100L18getf2_small_kernelILi54E19rocblas_complex_numIdEiiPKPS3_EEvT1_T3_lS7_lPS7_llPT2_S7_S7_S9_l ; -- Begin function _ZN9rocsolver6v33100L18getf2_small_kernelILi54E19rocblas_complex_numIdEiiPKPS3_EEvT1_T3_lS7_lPS7_llPT2_S7_S7_S9_l
	.p2align	8
	.type	_ZN9rocsolver6v33100L18getf2_small_kernelILi54E19rocblas_complex_numIdEiiPKPS3_EEvT1_T3_lS7_lPS7_llPT2_S7_S7_S9_l,@function
_ZN9rocsolver6v33100L18getf2_small_kernelILi54E19rocblas_complex_numIdEiiPKPS3_EEvT1_T3_lS7_lPS7_llPT2_S7_S7_S9_l: ; @_ZN9rocsolver6v33100L18getf2_small_kernelILi54E19rocblas_complex_numIdEiiPKPS3_EEvT1_T3_lS7_lPS7_llPT2_S7_S7_S9_l
; %bb.0:
	s_clause 0x1
	s_load_b32 s2, s[0:1], 0x6c
	s_load_b64 s[12:13], s[0:1], 0x48
	v_bfe_u32 v216, v0, 10, 10
	s_waitcnt lgkmcnt(0)
	s_lshr_b32 s2, s2, 16
	s_delay_alu instid0(VALU_DEP_1) | instid1(SALU_CYCLE_1)
	v_mad_u64_u32 v[212:213], null, s15, s2, v[216:217]
	s_mov_b32 s2, exec_lo
	s_delay_alu instid0(VALU_DEP_1)
	v_cmpx_gt_i32_e64 s12, v212
	s_cbranch_execnz .LBB106_1
; %bb.1138:
	s_getpc_b64 s[16:17]
.Lpost_getpc14:
	s_add_u32 s16, s16, (.LBB106_1137-.Lpost_getpc14)&4294967295
	s_addc_u32 s17, s17, (.LBB106_1137-.Lpost_getpc14)>>32
	s_setpc_b64 s[16:17]
.LBB106_1:
	s_clause 0x1
	s_load_b128 s[4:7], s[0:1], 0x8
	s_load_b128 s[8:11], s[0:1], 0x50
	v_ashrrev_i32_e32 v213, 31, v212
	v_mov_b32_e32 v214, 0
	v_mov_b32_e32 v215, 0
	s_delay_alu instid0(VALU_DEP_3) | instskip(SKIP_1) | instid1(VALU_DEP_1)
	v_lshlrev_b64 v[1:2], 3, v[212:213]
	s_waitcnt lgkmcnt(0)
	v_add_co_u32 v1, vcc_lo, s4, v1
	s_delay_alu instid0(VALU_DEP_2)
	v_add_co_ci_u32_e32 v2, vcc_lo, s5, v2, vcc_lo
	s_cmp_eq_u64 s[8:9], 0
	s_cselect_b32 s4, -1, 0
	global_load_b64 v[1:2], v[1:2], off
	s_and_b32 vcc_lo, exec_lo, s4
	s_cbranch_vccnz .LBB106_3
; %bb.2:
	v_mul_lo_u32 v5, v213, s10
	v_mul_lo_u32 v6, v212, s11
	v_mad_u64_u32 v[3:4], null, v212, s10, 0
	s_delay_alu instid0(VALU_DEP_1) | instskip(NEXT) | instid1(VALU_DEP_1)
	v_add3_u32 v4, v4, v6, v5
	v_lshlrev_b64 v[3:4], 2, v[3:4]
	s_delay_alu instid0(VALU_DEP_1) | instskip(NEXT) | instid1(VALU_DEP_2)
	v_add_co_u32 v214, vcc_lo, s8, v3
	v_add_co_ci_u32_e32 v215, vcc_lo, s9, v4, vcc_lo
.LBB106_3:
	s_clause 0x1
	s_load_b32 s8, s[0:1], 0x18
	s_load_b32 s5, s[0:1], 0x0
	v_and_b32_e32 v231, 0x3ff, v0
	s_lshl_b64 s[2:3], s[6:7], 4
	s_waitcnt vmcnt(0)
	v_add_co_u32 v227, vcc_lo, v1, s2
	v_add_co_ci_u32_e32 v228, vcc_lo, s3, v2, vcc_lo
	v_lshlrev_b32_e32 v223, 4, v231
	s_waitcnt lgkmcnt(0)
	v_add3_u32 v3, s8, s8, v231
	s_ashr_i32 s9, s8, 31
	s_max_i32 s2, s5, 54
	s_lshl_b64 s[10:11], s[8:9], 4
	s_cmp_lt_i32 s5, 2
	v_add_nc_u32_e32 v5, s8, v3
	v_ashrrev_i32_e32 v4, 31, v3
	s_delay_alu instid0(VALU_DEP_2) | instskip(NEXT) | instid1(VALU_DEP_2)
	v_add_nc_u32_e32 v0, s8, v5
	v_lshlrev_b64 v[3:4], 4, v[3:4]
	v_ashrrev_i32_e32 v6, 31, v5
	s_delay_alu instid0(VALU_DEP_3) | instskip(SKIP_1) | instid1(VALU_DEP_4)
	v_add_nc_u32_e32 v2, s8, v0
	v_ashrrev_i32_e32 v1, 31, v0
	v_add_co_u32 v7, vcc_lo, v227, v3
	v_add_co_ci_u32_e32 v8, vcc_lo, v228, v4, vcc_lo
	s_delay_alu instid0(VALU_DEP_4) | instskip(SKIP_3) | instid1(VALU_DEP_4)
	v_add_nc_u32_e32 v4, s8, v2
	v_lshlrev_b64 v[5:6], 4, v[5:6]
	v_ashrrev_i32_e32 v3, 31, v2
	v_lshlrev_b64 v[0:1], 4, v[0:1]
	v_add_nc_u32_e32 v11, s8, v4
	s_delay_alu instid0(VALU_DEP_4) | instskip(SKIP_1) | instid1(VALU_DEP_3)
	v_add_co_u32 v9, vcc_lo, v227, v5
	v_ashrrev_i32_e32 v5, 31, v4
	v_add_nc_u32_e32 v13, s8, v11
	v_lshlrev_b64 v[2:3], 4, v[2:3]
	v_ashrrev_i32_e32 v12, 31, v11
	v_add_co_ci_u32_e32 v10, vcc_lo, v228, v6, vcc_lo
	s_delay_alu instid0(VALU_DEP_4) | instskip(SKIP_3) | instid1(VALU_DEP_4)
	v_add_nc_u32_e32 v15, s8, v13
	v_add_co_u32 v0, vcc_lo, v227, v0
	v_lshlrev_b64 v[4:5], 4, v[4:5]
	v_ashrrev_i32_e32 v14, 31, v13
	v_add_nc_u32_e32 v17, s8, v15
	v_add_co_ci_u32_e32 v1, vcc_lo, v228, v1, vcc_lo
	v_add_co_u32 v2, vcc_lo, v227, v2
	s_delay_alu instid0(VALU_DEP_3) | instskip(SKIP_3) | instid1(VALU_DEP_4)
	v_add_nc_u32_e32 v19, s8, v17
	v_lshlrev_b64 v[11:12], 4, v[11:12]
	v_ashrrev_i32_e32 v16, 31, v15
	v_add_co_ci_u32_e32 v3, vcc_lo, v228, v3, vcc_lo
	v_add_nc_u32_e32 v21, s8, v19
	v_add_co_u32 v4, vcc_lo, v227, v4
	v_lshlrev_b64 v[13:14], 4, v[13:14]
	v_ashrrev_i32_e32 v18, 31, v17
	s_delay_alu instid0(VALU_DEP_4) | instskip(SKIP_2) | instid1(VALU_DEP_3)
	v_add_nc_u32_e32 v23, s8, v21
	v_add_co_ci_u32_e32 v5, vcc_lo, v228, v5, vcc_lo
	v_add_co_u32 v11, vcc_lo, v227, v11
	v_add_nc_u32_e32 v25, s8, v23
	v_lshlrev_b64 v[15:16], 4, v[15:16]
	v_ashrrev_i32_e32 v20, 31, v19
	v_add_co_ci_u32_e32 v12, vcc_lo, v228, v12, vcc_lo
	s_delay_alu instid0(VALU_DEP_4) | instskip(SKIP_3) | instid1(VALU_DEP_4)
	v_add_nc_u32_e32 v27, s8, v25
	v_add_co_u32 v13, vcc_lo, v227, v13
	v_lshlrev_b64 v[17:18], 4, v[17:18]
	v_ashrrev_i32_e32 v22, 31, v21
	v_add_nc_u32_e32 v29, s8, v27
	v_add_co_ci_u32_e32 v14, vcc_lo, v228, v14, vcc_lo
	v_add_co_u32 v15, vcc_lo, v227, v15
	s_delay_alu instid0(VALU_DEP_3) | instskip(SKIP_3) | instid1(VALU_DEP_4)
	v_add_nc_u32_e32 v31, s8, v29
	v_lshlrev_b64 v[19:20], 4, v[19:20]
	v_ashrrev_i32_e32 v24, 31, v23
	v_add_co_ci_u32_e32 v16, vcc_lo, v228, v16, vcc_lo
	v_add_nc_u32_e32 v33, s8, v31
	v_add_co_u32 v17, vcc_lo, v227, v17
	v_lshlrev_b64 v[21:22], 4, v[21:22]
	v_ashrrev_i32_e32 v26, 31, v25
	s_delay_alu instid0(VALU_DEP_4) | instskip(SKIP_2) | instid1(VALU_DEP_3)
	v_add_nc_u32_e32 v35, s8, v33
	v_add_co_ci_u32_e32 v18, vcc_lo, v228, v18, vcc_lo
	v_add_co_u32 v19, vcc_lo, v227, v19
	v_add_nc_u32_e32 v37, s8, v35
	v_lshlrev_b64 v[23:24], 4, v[23:24]
	v_ashrrev_i32_e32 v28, 31, v27
	v_add_co_ci_u32_e32 v20, vcc_lo, v228, v20, vcc_lo
	s_delay_alu instid0(VALU_DEP_4) | instskip(SKIP_3) | instid1(VALU_DEP_4)
	v_add_nc_u32_e32 v39, s8, v37
	v_add_co_u32 v21, vcc_lo, v227, v21
	v_lshlrev_b64 v[25:26], 4, v[25:26]
	v_ashrrev_i32_e32 v30, 31, v29
	v_add_nc_u32_e32 v41, s8, v39
	v_add_co_ci_u32_e32 v22, vcc_lo, v228, v22, vcc_lo
	v_add_co_u32 v23, vcc_lo, v227, v23
	s_delay_alu instid0(VALU_DEP_3) | instskip(SKIP_3) | instid1(VALU_DEP_4)
	v_add_nc_u32_e32 v43, s8, v41
	v_lshlrev_b64 v[27:28], 4, v[27:28]
	v_ashrrev_i32_e32 v32, 31, v31
	v_add_co_ci_u32_e32 v24, vcc_lo, v228, v24, vcc_lo
	v_add_nc_u32_e32 v45, s8, v43
	v_add_co_u32 v25, vcc_lo, v227, v25
	v_lshlrev_b64 v[29:30], 4, v[29:30]
	v_ashrrev_i32_e32 v34, 31, v33
	s_delay_alu instid0(VALU_DEP_4) | instskip(SKIP_2) | instid1(VALU_DEP_3)
	v_add_nc_u32_e32 v47, s8, v45
	v_add_co_ci_u32_e32 v26, vcc_lo, v228, v26, vcc_lo
	v_add_co_u32 v27, vcc_lo, v227, v27
	v_add_nc_u32_e32 v49, s8, v47
	v_lshlrev_b64 v[31:32], 4, v[31:32]
	v_ashrrev_i32_e32 v36, 31, v35
	v_add_co_ci_u32_e32 v28, vcc_lo, v228, v28, vcc_lo
	s_delay_alu instid0(VALU_DEP_4) | instskip(SKIP_3) | instid1(VALU_DEP_4)
	v_add_nc_u32_e32 v51, s8, v49
	v_add_co_u32 v29, vcc_lo, v227, v29
	v_lshlrev_b64 v[33:34], 4, v[33:34]
	v_ashrrev_i32_e32 v38, 31, v37
	v_add_nc_u32_e32 v53, s8, v51
	v_add_co_ci_u32_e32 v30, vcc_lo, v228, v30, vcc_lo
	v_add_co_u32 v31, vcc_lo, v227, v31
	v_lshlrev_b64 v[35:36], 4, v[35:36]
	v_ashrrev_i32_e32 v40, 31, v39
	v_add_co_ci_u32_e32 v32, vcc_lo, v228, v32, vcc_lo
	v_add_nc_u32_e32 v55, s8, v53
	v_add_co_u32 v33, vcc_lo, v227, v33
	v_lshlrev_b64 v[37:38], 4, v[37:38]
	v_ashrrev_i32_e32 v42, 31, v41
	v_add_co_ci_u32_e32 v34, vcc_lo, v228, v34, vcc_lo
	v_add_co_u32 v35, vcc_lo, v227, v35
	v_lshlrev_b64 v[39:40], 4, v[39:40]
	v_ashrrev_i32_e32 v44, 31, v43
	v_add_nc_u32_e32 v57, s8, v55
	v_add_co_ci_u32_e32 v36, vcc_lo, v228, v36, vcc_lo
	v_add_co_u32 v37, vcc_lo, v227, v37
	v_lshlrev_b64 v[41:42], 4, v[41:42]
	v_ashrrev_i32_e32 v46, 31, v45
	v_add_co_ci_u32_e32 v38, vcc_lo, v228, v38, vcc_lo
	v_add_co_u32 v39, vcc_lo, v227, v39
	v_lshlrev_b64 v[43:44], 4, v[43:44]
	v_add_nc_u32_e32 v59, s8, v57
	v_ashrrev_i32_e32 v48, 31, v47
	v_add_co_ci_u32_e32 v40, vcc_lo, v228, v40, vcc_lo
	v_add_co_u32 v41, vcc_lo, v227, v41
	v_lshlrev_b64 v[45:46], 4, v[45:46]
	v_ashrrev_i32_e32 v50, 31, v49
	v_add_co_ci_u32_e32 v42, vcc_lo, v228, v42, vcc_lo
	v_add_nc_u32_e32 v61, s8, v59
	v_add_co_u32 v43, vcc_lo, v227, v43
	v_lshlrev_b64 v[47:48], 4, v[47:48]
	v_ashrrev_i32_e32 v52, 31, v51
	v_add_co_ci_u32_e32 v44, vcc_lo, v228, v44, vcc_lo
	v_add_co_u32 v45, vcc_lo, v227, v45
	v_lshlrev_b64 v[49:50], 4, v[49:50]
	v_ashrrev_i32_e32 v54, 31, v53
	v_add_nc_u32_e32 v63, s8, v61
	v_add_co_ci_u32_e32 v46, vcc_lo, v228, v46, vcc_lo
	v_add_co_u32 v47, vcc_lo, v227, v47
	v_lshlrev_b64 v[51:52], 4, v[51:52]
	v_ashrrev_i32_e32 v56, 31, v55
	v_add_co_ci_u32_e32 v48, vcc_lo, v228, v48, vcc_lo
	v_add_co_u32 v49, vcc_lo, v227, v49
	v_lshlrev_b64 v[53:54], 4, v[53:54]
	v_add_nc_u32_e32 v65, s8, v63
	v_ashrrev_i32_e32 v58, 31, v57
	;; [unrolled: 23-line block ×3, first 2 shown]
	v_add_co_ci_u32_e32 v60, vcc_lo, v228, v60, vcc_lo
	v_add_co_u32 v61, vcc_lo, v227, v61
	v_lshlrev_b64 v[65:66], 4, v[65:66]
	v_ashrrev_i32_e32 v70, 31, v69
	v_add_co_ci_u32_e32 v62, vcc_lo, v228, v62, vcc_lo
	v_add_nc_u32_e32 v73, s8, v71
	v_add_co_u32 v63, vcc_lo, v227, v63
	v_lshlrev_b64 v[67:68], 4, v[67:68]
	v_ashrrev_i32_e32 v72, 31, v71
	v_add_co_ci_u32_e32 v64, vcc_lo, v228, v64, vcc_lo
	v_add_co_u32 v65, vcc_lo, v227, v65
	v_lshlrev_b64 v[69:70], 4, v[69:70]
	v_add_nc_u32_e32 v75, s8, v73
	v_add_co_ci_u32_e32 v66, vcc_lo, v228, v66, vcc_lo
	v_add_co_u32 v67, vcc_lo, v227, v67
	v_lshlrev_b64 v[71:72], 4, v[71:72]
	v_ashrrev_i32_e32 v74, 31, v73
	v_add_co_ci_u32_e32 v68, vcc_lo, v228, v68, vcc_lo
	v_add_co_u32 v69, vcc_lo, v227, v69
	v_ashrrev_i32_e32 v76, 31, v75
	v_add_nc_u32_e32 v77, s8, v75
	v_add_co_ci_u32_e32 v70, vcc_lo, v228, v70, vcc_lo
	v_lshlrev_b64 v[73:74], 4, v[73:74]
	v_add_co_u32 v217, vcc_lo, v227, v71
	v_add_co_ci_u32_e32 v218, vcc_lo, v228, v72, vcc_lo
	v_lshlrev_b64 v[71:72], 4, v[75:76]
	v_ashrrev_i32_e32 v78, 31, v77
	v_add_nc_u32_e32 v75, s8, v77
	v_add_co_u32 v224, vcc_lo, v227, v73
	v_add_co_ci_u32_e32 v225, vcc_lo, v228, v74, vcc_lo
	s_delay_alu instid0(VALU_DEP_4) | instskip(NEXT) | instid1(VALU_DEP_4)
	v_lshlrev_b64 v[73:74], 4, v[77:78]
	v_ashrrev_i32_e32 v76, 31, v75
	v_add_nc_u32_e32 v77, s8, v75
	v_add_co_u32 v229, vcc_lo, v227, v71
	v_add_co_ci_u32_e32 v230, vcc_lo, v228, v72, vcc_lo
	s_delay_alu instid0(VALU_DEP_4) | instskip(NEXT) | instid1(VALU_DEP_4)
	;; [unrolled: 6-line block ×11, first 2 shown]
	v_lshlrev_b64 v[73:74], 4, v[77:78]
	v_add_nc_u32_e32 v77, s8, v75
	v_ashrrev_i32_e32 v76, 31, v75
	v_add_co_u32 v250, vcc_lo, v227, v71
	v_add_co_ci_u32_e32 v251, vcc_lo, v228, v72, vcc_lo
	s_delay_alu instid0(VALU_DEP_4) | instskip(NEXT) | instid1(VALU_DEP_4)
	v_ashrrev_i32_e32 v78, 31, v77
	v_lshlrev_b64 v[71:72], 4, v[75:76]
	v_add_co_u32 v252, vcc_lo, v227, v73
	v_add_co_ci_u32_e32 v253, vcc_lo, v228, v74, vcc_lo
	s_delay_alu instid0(VALU_DEP_4) | instskip(SKIP_3) | instid1(VALU_DEP_4)
	v_lshlrev_b64 v[73:74], 4, v[77:78]
	v_add_nc_u32_e32 v75, s8, v77
	v_add_co_u32 v254, vcc_lo, v227, v71
	v_add_co_ci_u32_e32 v255, vcc_lo, v228, v72, vcc_lo
	v_add_co_u32 v219, vcc_lo, v227, v73
	s_delay_alu instid0(VALU_DEP_4) | instskip(SKIP_3) | instid1(VALU_DEP_4)
	v_ashrrev_i32_e32 v76, 31, v75
	v_add_co_ci_u32_e32 v220, vcc_lo, v228, v74, vcc_lo
	v_add_co_u32 v73, vcc_lo, v227, v223
	v_add_co_ci_u32_e32 v74, vcc_lo, 0, v228, vcc_lo
	v_lshlrev_b64 v[71:72], 4, v[75:76]
	s_delay_alu instid0(VALU_DEP_3) | instskip(NEXT) | instid1(VALU_DEP_3)
	v_add_co_u32 v75, vcc_lo, v73, s10
	v_add_co_ci_u32_e32 v76, vcc_lo, s11, v74, vcc_lo
	s_delay_alu instid0(VALU_DEP_3) | instskip(NEXT) | instid1(VALU_DEP_4)
	v_add_co_u32 v221, vcc_lo, v227, v71
	v_add_co_ci_u32_e32 v222, vcc_lo, v228, v72, vcc_lo
	s_clause 0x1f
	global_load_b128 v[208:211], v[73:74], off
	global_load_b128 v[204:207], v[75:76], off
	;; [unrolled: 1-line block ×32, first 2 shown]
	s_clause 0x15
	global_load_b128 v[84:87], v[61:62], off
	global_load_b128 v[80:83], v[63:64], off
	;; [unrolled: 1-line block ×22, first 2 shown]
	v_mov_b32_e32 v224, 0
	v_mul_lo_u32 v220, s2, v216
	s_delay_alu instid0(VALU_DEP_1) | instskip(SKIP_1) | instid1(VALU_DEP_2)
	v_lshl_add_u32 v226, v220, 4, 0
	v_lshlrev_b32_e32 v230, 4, v220
	v_add_nc_u32_e32 v216, v226, v223
	s_waitcnt vmcnt(53)
	scratch_store_b128 off, v[208:211], off ; 16-byte Folded Spill
	ds_store_2addr_b64 v216, v[208:209], v[210:211] offset1:1
	s_waitcnt vmcnt(0) lgkmcnt(0)
	s_waitcnt_vscnt null, 0x0
	s_barrier
	buffer_gl0_inv
	ds_load_2addr_b64 v[216:219], v226 offset1:1
	s_cbranch_scc1 .LBB106_6
; %bb.4:
	v_add3_u32 v225, v230, 0, 16
	v_mov_b32_e32 v224, 0
	s_mov_b32 s6, 1
	s_set_inst_prefetch_distance 0x1
	.p2align	6
.LBB106_5:                              ; =>This Inner Loop Header: Depth=1
	ds_load_2addr_b64 v[232:235], v225 offset1:1
	s_waitcnt lgkmcnt(1)
	v_cmp_gt_f64_e32 vcc_lo, 0, v[216:217]
	v_xor_b32_e32 v220, 0x80000000, v217
	v_cmp_gt_f64_e64 s2, 0, v[218:219]
	v_xor_b32_e32 v222, 0x80000000, v219
	v_add_nc_u32_e32 v225, 16, v225
	s_waitcnt lgkmcnt(0)
	v_cmp_gt_f64_e64 s3, 0, v[232:233]
	v_mov_b32_e32 v236, v232
	v_dual_mov_b32 v238, v234 :: v_dual_cndmask_b32 v221, v217, v220
	v_xor_b32_e32 v220, 0x80000000, v233
	v_cndmask_b32_e64 v223, v219, v222, s2
	v_xor_b32_e32 v222, 0x80000000, v235
	s_delay_alu instid0(VALU_DEP_3) | instskip(SKIP_2) | instid1(VALU_DEP_2)
	v_cndmask_b32_e64 v237, v233, v220, s3
	v_cmp_gt_f64_e64 s3, 0, v[234:235]
	v_cndmask_b32_e32 v220, v216, v216, vcc_lo
	v_cndmask_b32_e64 v239, v235, v222, s3
	v_cndmask_b32_e64 v222, v218, v218, s2
	s_delay_alu instid0(VALU_DEP_2) | instskip(NEXT) | instid1(VALU_DEP_2)
	v_add_f64 v[236:237], v[236:237], v[238:239]
	v_add_f64 v[220:221], v[220:221], v[222:223]
	s_delay_alu instid0(VALU_DEP_1)
	v_cmp_lt_f64_e32 vcc_lo, v[220:221], v[236:237]
	v_cndmask_b32_e32 v219, v219, v235, vcc_lo
	v_dual_cndmask_b32 v217, v217, v233 :: v_dual_cndmask_b32 v216, v216, v232
	v_cndmask_b32_e32 v218, v218, v234, vcc_lo
	v_cndmask_b32_e64 v224, v224, s6, vcc_lo
	s_add_i32 s6, s6, 1
	s_delay_alu instid0(SALU_CYCLE_1)
	s_cmp_eq_u32 s5, s6
	s_cbranch_scc0 .LBB106_5
.LBB106_6:
	s_set_inst_prefetch_distance 0x2
	s_waitcnt lgkmcnt(0)
	v_cmp_neq_f64_e32 vcc_lo, 0, v[216:217]
	v_cmp_neq_f64_e64 s2, 0, v[218:219]
	v_dual_mov_b32 v211, v207 :: v_dual_mov_b32 v210, v206
	v_dual_mov_b32 v209, v205 :: v_dual_mov_b32 v208, v204
	;; [unrolled: 1-line block ×5, first 2 shown]
	v_mov_b32_e32 v229, 1
	v_mov_b32_e32 v233, 1
	s_or_b32 s2, vcc_lo, s2
	s_mov_b32 s3, exec_lo
	v_dual_mov_b32 v203, v9 :: v_dual_mov_b32 v202, v8
	v_dual_mov_b32 v201, v7 :: v_dual_mov_b32 v200, v6
	s_and_b32 s2, s3, s2
	s_delay_alu instid0(SALU_CYCLE_1)
	s_mov_b32 exec_lo, s2
	s_cbranch_execz .LBB106_12
; %bb.7:
	v_cmp_gt_f64_e32 vcc_lo, 0, v[216:217]
	v_cmp_gt_f64_e64 s2, 0, v[218:219]
	v_xor_b32_e32 v220, 0x80000000, v217
	v_xor_b32_e32 v222, 0x80000000, v219
                                        ; implicit-def: $sgpr6
                                        ; implicit-def: $sgpr7
	s_delay_alu instid0(VALU_DEP_2) | instskip(NEXT) | instid1(VALU_DEP_2)
	v_cndmask_b32_e32 v221, v217, v220, vcc_lo
	v_cndmask_b32_e64 v223, v219, v222, s2
	v_cndmask_b32_e32 v220, v216, v216, vcc_lo
	v_cndmask_b32_e64 v222, v218, v218, s2
	s_mov_b32 s2, exec_lo
	s_delay_alu instid0(VALU_DEP_1)
	v_cmpx_ngt_f64_e32 v[220:221], v[222:223]
	s_xor_b32 s2, exec_lo, s2
	s_cbranch_execz .LBB106_9
; %bb.8:
	v_div_scale_f64 v[220:221], null, v[218:219], v[218:219], v[216:217]
	v_div_scale_f64 v[234:235], vcc_lo, v[216:217], v[218:219], v[216:217]
	s_mov_b32 s7, 2
	s_mov_b32 s6, 0
	s_delay_alu instid0(VALU_DEP_2) | instskip(SKIP_2) | instid1(VALU_DEP_1)
	v_rcp_f64_e32 v[222:223], v[220:221]
	s_waitcnt_depctr 0xfff
	v_fma_f64 v[232:233], -v[220:221], v[222:223], 1.0
	v_fma_f64 v[222:223], v[222:223], v[232:233], v[222:223]
	s_delay_alu instid0(VALU_DEP_1) | instskip(NEXT) | instid1(VALU_DEP_1)
	v_fma_f64 v[232:233], -v[220:221], v[222:223], 1.0
	v_fma_f64 v[222:223], v[222:223], v[232:233], v[222:223]
	s_delay_alu instid0(VALU_DEP_1) | instskip(NEXT) | instid1(VALU_DEP_1)
	v_mul_f64 v[232:233], v[234:235], v[222:223]
	v_fma_f64 v[220:221], -v[220:221], v[232:233], v[234:235]
	s_delay_alu instid0(VALU_DEP_1) | instskip(NEXT) | instid1(VALU_DEP_1)
	v_div_fmas_f64 v[220:221], v[220:221], v[222:223], v[232:233]
	v_div_fixup_f64 v[220:221], v[220:221], v[218:219], v[216:217]
	s_delay_alu instid0(VALU_DEP_1) | instskip(NEXT) | instid1(VALU_DEP_1)
	v_fma_f64 v[216:217], v[216:217], v[220:221], v[218:219]
	v_div_scale_f64 v[218:219], null, v[216:217], v[216:217], 1.0
	s_delay_alu instid0(VALU_DEP_1) | instskip(SKIP_2) | instid1(VALU_DEP_1)
	v_rcp_f64_e32 v[222:223], v[218:219]
	s_waitcnt_depctr 0xfff
	v_fma_f64 v[232:233], -v[218:219], v[222:223], 1.0
	v_fma_f64 v[222:223], v[222:223], v[232:233], v[222:223]
	s_delay_alu instid0(VALU_DEP_1) | instskip(NEXT) | instid1(VALU_DEP_1)
	v_fma_f64 v[232:233], -v[218:219], v[222:223], 1.0
	v_fma_f64 v[222:223], v[222:223], v[232:233], v[222:223]
	v_div_scale_f64 v[232:233], vcc_lo, 1.0, v[216:217], 1.0
	s_delay_alu instid0(VALU_DEP_1) | instskip(NEXT) | instid1(VALU_DEP_1)
	v_mul_f64 v[234:235], v[232:233], v[222:223]
	v_fma_f64 v[218:219], -v[218:219], v[234:235], v[232:233]
	s_delay_alu instid0(VALU_DEP_1) | instskip(NEXT) | instid1(VALU_DEP_1)
	v_div_fmas_f64 v[218:219], v[218:219], v[222:223], v[234:235]
	v_div_fixup_f64 v[218:219], v[218:219], v[216:217], 1.0
	s_delay_alu instid0(VALU_DEP_1)
	v_mul_f64 v[216:217], v[220:221], v[218:219]
	v_xor_b32_e32 v219, 0x80000000, v219
.LBB106_9:
	s_or_saveexec_b32 s2, s2
	v_mov_b32_e32 v233, s6
	v_mov_b32_e32 v229, s7
	s_xor_b32 exec_lo, exec_lo, s2
	s_cbranch_execz .LBB106_11
; %bb.10:
	s_delay_alu instid0(VALU_DEP_4) | instskip(SKIP_2) | instid1(VALU_DEP_3)
	v_div_scale_f64 v[220:221], null, v[216:217], v[216:217], v[218:219]
	v_div_scale_f64 v[234:235], vcc_lo, v[218:219], v[216:217], v[218:219]
	v_mov_b32_e32 v229, 2
	v_rcp_f64_e32 v[222:223], v[220:221]
	s_waitcnt_depctr 0xfff
	v_fma_f64 v[232:233], -v[220:221], v[222:223], 1.0
	s_delay_alu instid0(VALU_DEP_1) | instskip(NEXT) | instid1(VALU_DEP_1)
	v_fma_f64 v[222:223], v[222:223], v[232:233], v[222:223]
	v_fma_f64 v[232:233], -v[220:221], v[222:223], 1.0
	s_delay_alu instid0(VALU_DEP_1) | instskip(NEXT) | instid1(VALU_DEP_1)
	v_fma_f64 v[222:223], v[222:223], v[232:233], v[222:223]
	v_mul_f64 v[232:233], v[234:235], v[222:223]
	s_delay_alu instid0(VALU_DEP_1) | instskip(NEXT) | instid1(VALU_DEP_1)
	v_fma_f64 v[220:221], -v[220:221], v[232:233], v[234:235]
	v_div_fmas_f64 v[220:221], v[220:221], v[222:223], v[232:233]
	s_delay_alu instid0(VALU_DEP_1) | instskip(NEXT) | instid1(VALU_DEP_1)
	v_div_fixup_f64 v[220:221], v[220:221], v[216:217], v[218:219]
	v_fma_f64 v[216:217], v[218:219], v[220:221], v[216:217]
	s_delay_alu instid0(VALU_DEP_1) | instskip(NEXT) | instid1(VALU_DEP_1)
	v_div_scale_f64 v[218:219], null, v[216:217], v[216:217], 1.0
	v_rcp_f64_e32 v[222:223], v[218:219]
	s_waitcnt_depctr 0xfff
	v_fma_f64 v[232:233], -v[218:219], v[222:223], 1.0
	s_delay_alu instid0(VALU_DEP_1) | instskip(NEXT) | instid1(VALU_DEP_1)
	v_fma_f64 v[222:223], v[222:223], v[232:233], v[222:223]
	v_fma_f64 v[232:233], -v[218:219], v[222:223], 1.0
	s_delay_alu instid0(VALU_DEP_1) | instskip(SKIP_1) | instid1(VALU_DEP_1)
	v_fma_f64 v[222:223], v[222:223], v[232:233], v[222:223]
	v_div_scale_f64 v[232:233], vcc_lo, 1.0, v[216:217], 1.0
	v_mul_f64 v[234:235], v[232:233], v[222:223]
	s_delay_alu instid0(VALU_DEP_1) | instskip(SKIP_1) | instid1(VALU_DEP_2)
	v_fma_f64 v[218:219], -v[218:219], v[234:235], v[232:233]
	v_mov_b32_e32 v233, 0
	v_div_fmas_f64 v[218:219], v[218:219], v[222:223], v[234:235]
	s_delay_alu instid0(VALU_DEP_1) | instskip(NEXT) | instid1(VALU_DEP_1)
	v_div_fixup_f64 v[216:217], v[218:219], v[216:217], 1.0
	v_mul_f64 v[218:219], v[220:221], -v[216:217]
.LBB106_11:
	s_or_b32 exec_lo, exec_lo, s2
.LBB106_12:
	s_delay_alu instid0(SALU_CYCLE_1) | instskip(NEXT) | instid1(SALU_CYCLE_1)
	s_or_b32 exec_lo, exec_lo, s3
	s_mov_b32 s2, exec_lo
	v_cmpx_ne_u32_e64 v231, v224
	s_xor_b32 s2, exec_lo, s2
	s_cbranch_execz .LBB106_18
; %bb.13:
	s_mov_b32 s3, exec_lo
	v_cmpx_eq_u32_e32 0, v231
	s_cbranch_execz .LBB106_17
; %bb.14:
	v_cmp_ne_u32_e32 vcc_lo, 0, v224
	s_xor_b32 s6, s4, -1
	s_delay_alu instid0(SALU_CYCLE_1) | instskip(NEXT) | instid1(SALU_CYCLE_1)
	s_and_b32 s7, s6, vcc_lo
	s_and_saveexec_b32 s6, s7
	s_cbranch_execz .LBB106_16
; %bb.15:
	v_ashrrev_i32_e32 v225, 31, v224
	s_delay_alu instid0(VALU_DEP_1) | instskip(NEXT) | instid1(VALU_DEP_1)
	v_lshlrev_b64 v[220:221], 2, v[224:225]
	v_add_co_u32 v220, vcc_lo, v214, v220
	s_delay_alu instid0(VALU_DEP_2)
	v_add_co_ci_u32_e32 v221, vcc_lo, v215, v221, vcc_lo
	s_clause 0x1
	flat_load_b32 v222, v[220:221]
	flat_load_b32 v223, v[214:215]
	s_waitcnt vmcnt(1) lgkmcnt(1)
	flat_store_b32 v[214:215], v222
	s_waitcnt vmcnt(0) lgkmcnt(1)
	flat_store_b32 v[220:221], v223
.LBB106_16:
	s_or_b32 exec_lo, exec_lo, s6
	v_mov_b32_e32 v231, v224
.LBB106_17:
	s_or_b32 exec_lo, exec_lo, s3
.LBB106_18:
	s_or_saveexec_b32 s2, s2
	s_delay_alu instid0(VALU_DEP_1)
	v_mov_b32_e32 v232, v231
	s_xor_b32 exec_lo, exec_lo, s2
	s_cbranch_execz .LBB106_20
; %bb.19:
	v_mov_b32_e32 v232, 0
	ds_store_2addr_b64 v226, v[208:209], v[210:211] offset0:2 offset1:3
	ds_store_2addr_b64 v226, v[204:205], v[206:207] offset0:4 offset1:5
	;; [unrolled: 1-line block ×53, first 2 shown]
.LBB106_20:
	s_or_b32 exec_lo, exec_lo, s2
	s_delay_alu instid0(SALU_CYCLE_1)
	s_mov_b32 s2, exec_lo
	s_waitcnt lgkmcnt(0)
	s_waitcnt_vscnt null, 0x0
	s_barrier
	buffer_gl0_inv
	v_cmpx_lt_i32_e32 0, v232
	s_cbranch_execz .LBB106_22
; %bb.21:
	scratch_load_b128 v[6:9], off, off      ; 16-byte Folded Reload
	v_dual_mov_b32 v212, v214 :: v_dual_mov_b32 v213, v215
	s_waitcnt vmcnt(0)
	v_mul_f64 v[214:215], v[216:217], v[8:9]
	v_mul_f64 v[220:221], v[218:219], v[8:9]
	s_delay_alu instid0(VALU_DEP_2) | instskip(NEXT) | instid1(VALU_DEP_2)
	v_fma_f64 v[8:9], v[218:219], v[6:7], v[214:215]
	v_fma_f64 v[224:225], v[216:217], v[6:7], -v[220:221]
	ds_load_2addr_b64 v[216:219], v226 offset0:2 offset1:3
	v_dual_mov_b32 v215, v213 :: v_dual_mov_b32 v214, v212
	s_waitcnt lgkmcnt(0)
	v_mul_f64 v[212:213], v[218:219], v[8:9]
	v_dual_mov_b32 v6, v224 :: v_dual_mov_b32 v7, v225
	scratch_store_b128 off, v[6:9], off     ; 16-byte Folded Spill
	v_fma_f64 v[212:213], v[216:217], v[224:225], -v[212:213]
	v_mul_f64 v[216:217], v[216:217], v[8:9]
	s_delay_alu instid0(VALU_DEP_2) | instskip(NEXT) | instid1(VALU_DEP_2)
	v_add_f64 v[208:209], v[208:209], -v[212:213]
	v_fma_f64 v[216:217], v[218:219], v[224:225], v[216:217]
	s_delay_alu instid0(VALU_DEP_1) | instskip(SKIP_3) | instid1(VALU_DEP_1)
	v_add_f64 v[210:211], v[210:211], -v[216:217]
	ds_load_2addr_b64 v[216:219], v226 offset0:4 offset1:5
	s_waitcnt lgkmcnt(0)
	v_mul_f64 v[212:213], v[218:219], v[8:9]
	v_fma_f64 v[212:213], v[216:217], v[224:225], -v[212:213]
	v_mul_f64 v[216:217], v[216:217], v[8:9]
	s_delay_alu instid0(VALU_DEP_2) | instskip(NEXT) | instid1(VALU_DEP_2)
	v_add_f64 v[204:205], v[204:205], -v[212:213]
	v_fma_f64 v[216:217], v[218:219], v[224:225], v[216:217]
	s_delay_alu instid0(VALU_DEP_1) | instskip(SKIP_3) | instid1(VALU_DEP_1)
	v_add_f64 v[206:207], v[206:207], -v[216:217]
	ds_load_2addr_b64 v[216:219], v226 offset0:6 offset1:7
	s_waitcnt lgkmcnt(0)
	v_mul_f64 v[212:213], v[218:219], v[8:9]
	;; [unrolled: 10-line block ×52, first 2 shown]
	v_fma_f64 v[212:213], v[216:217], v[224:225], -v[212:213]
	v_mul_f64 v[216:217], v[216:217], v[8:9]
	s_delay_alu instid0(VALU_DEP_2) | instskip(NEXT) | instid1(VALU_DEP_2)
	v_add_f64 v[0:1], v[0:1], -v[212:213]
	v_fma_f64 v[216:217], v[218:219], v[224:225], v[216:217]
	s_delay_alu instid0(VALU_DEP_1)
	v_add_f64 v[2:3], v[2:3], -v[216:217]
.LBB106_22:
	s_or_b32 exec_lo, exec_lo, s2
	v_lshl_add_u32 v216, v232, 4, v226
	s_waitcnt_vscnt null, 0x0
	s_barrier
	buffer_gl0_inv
	v_mov_b32_e32 v224, 1
	ds_store_2addr_b64 v216, v[208:209], v[210:211] offset1:1
	s_waitcnt lgkmcnt(0)
	s_barrier
	buffer_gl0_inv
	ds_load_2addr_b64 v[216:219], v226 offset0:2 offset1:3
	s_cmp_lt_i32 s5, 3
	s_cbranch_scc1 .LBB106_25
; %bb.23:
	v_add3_u32 v225, v230, 0, 32
	v_mov_b32_e32 v224, 1
	s_mov_b32 s6, 2
	s_set_inst_prefetch_distance 0x1
	.p2align	6
.LBB106_24:                             ; =>This Inner Loop Header: Depth=1
	ds_load_2addr_b64 v[234:237], v225 offset1:1
	s_waitcnt lgkmcnt(1)
	v_cmp_gt_f64_e32 vcc_lo, 0, v[216:217]
	v_xor_b32_e32 v220, 0x80000000, v217
	v_cmp_gt_f64_e64 s2, 0, v[218:219]
	v_xor_b32_e32 v222, 0x80000000, v219
	v_add_nc_u32_e32 v225, 16, v225
	s_waitcnt lgkmcnt(0)
	v_cmp_gt_f64_e64 s3, 0, v[234:235]
	v_mov_b32_e32 v238, v234
	v_dual_mov_b32 v240, v236 :: v_dual_cndmask_b32 v221, v217, v220
	v_xor_b32_e32 v220, 0x80000000, v235
	v_cndmask_b32_e64 v223, v219, v222, s2
	v_xor_b32_e32 v222, 0x80000000, v237
	s_delay_alu instid0(VALU_DEP_3) | instskip(SKIP_2) | instid1(VALU_DEP_2)
	v_cndmask_b32_e64 v239, v235, v220, s3
	v_cmp_gt_f64_e64 s3, 0, v[236:237]
	v_cndmask_b32_e32 v220, v216, v216, vcc_lo
	v_cndmask_b32_e64 v241, v237, v222, s3
	v_cndmask_b32_e64 v222, v218, v218, s2
	s_delay_alu instid0(VALU_DEP_2) | instskip(NEXT) | instid1(VALU_DEP_2)
	v_add_f64 v[238:239], v[238:239], v[240:241]
	v_add_f64 v[220:221], v[220:221], v[222:223]
	s_delay_alu instid0(VALU_DEP_1)
	v_cmp_lt_f64_e32 vcc_lo, v[220:221], v[238:239]
	v_cndmask_b32_e32 v219, v219, v237, vcc_lo
	v_dual_cndmask_b32 v217, v217, v235 :: v_dual_cndmask_b32 v216, v216, v234
	v_cndmask_b32_e32 v218, v218, v236, vcc_lo
	v_cndmask_b32_e64 v224, v224, s6, vcc_lo
	s_add_i32 s6, s6, 1
	s_delay_alu instid0(SALU_CYCLE_1)
	s_cmp_lg_u32 s5, s6
	s_cbranch_scc1 .LBB106_24
.LBB106_25:
	s_set_inst_prefetch_distance 0x2
	s_waitcnt lgkmcnt(0)
	v_cmp_neq_f64_e32 vcc_lo, 0, v[216:217]
	v_cmp_neq_f64_e64 s2, 0, v[218:219]
	s_delay_alu instid0(VALU_DEP_1) | instskip(NEXT) | instid1(SALU_CYCLE_1)
	s_or_b32 s2, vcc_lo, s2
	s_and_saveexec_b32 s3, s2
	s_cbranch_execz .LBB106_31
; %bb.26:
	v_cmp_gt_f64_e32 vcc_lo, 0, v[216:217]
	v_cmp_gt_f64_e64 s2, 0, v[218:219]
	v_xor_b32_e32 v220, 0x80000000, v217
	v_xor_b32_e32 v222, 0x80000000, v219
	s_delay_alu instid0(VALU_DEP_2) | instskip(NEXT) | instid1(VALU_DEP_2)
	v_cndmask_b32_e32 v221, v217, v220, vcc_lo
	v_cndmask_b32_e64 v223, v219, v222, s2
	v_cndmask_b32_e32 v220, v216, v216, vcc_lo
	v_cndmask_b32_e64 v222, v218, v218, s2
	s_mov_b32 s2, exec_lo
	s_delay_alu instid0(VALU_DEP_1)
	v_cmpx_ngt_f64_e32 v[220:221], v[222:223]
	s_xor_b32 s2, exec_lo, s2
	s_cbranch_execz .LBB106_28
; %bb.27:
	v_div_scale_f64 v[220:221], null, v[218:219], v[218:219], v[216:217]
	v_div_scale_f64 v[236:237], vcc_lo, v[216:217], v[218:219], v[216:217]
	s_delay_alu instid0(VALU_DEP_2) | instskip(SKIP_2) | instid1(VALU_DEP_1)
	v_rcp_f64_e32 v[222:223], v[220:221]
	s_waitcnt_depctr 0xfff
	v_fma_f64 v[234:235], -v[220:221], v[222:223], 1.0
	v_fma_f64 v[222:223], v[222:223], v[234:235], v[222:223]
	s_delay_alu instid0(VALU_DEP_1) | instskip(NEXT) | instid1(VALU_DEP_1)
	v_fma_f64 v[234:235], -v[220:221], v[222:223], 1.0
	v_fma_f64 v[222:223], v[222:223], v[234:235], v[222:223]
	s_delay_alu instid0(VALU_DEP_1) | instskip(NEXT) | instid1(VALU_DEP_1)
	v_mul_f64 v[234:235], v[236:237], v[222:223]
	v_fma_f64 v[220:221], -v[220:221], v[234:235], v[236:237]
	s_delay_alu instid0(VALU_DEP_1) | instskip(NEXT) | instid1(VALU_DEP_1)
	v_div_fmas_f64 v[220:221], v[220:221], v[222:223], v[234:235]
	v_div_fixup_f64 v[220:221], v[220:221], v[218:219], v[216:217]
	s_delay_alu instid0(VALU_DEP_1) | instskip(NEXT) | instid1(VALU_DEP_1)
	v_fma_f64 v[216:217], v[216:217], v[220:221], v[218:219]
	v_div_scale_f64 v[218:219], null, v[216:217], v[216:217], 1.0
	s_delay_alu instid0(VALU_DEP_1) | instskip(SKIP_2) | instid1(VALU_DEP_1)
	v_rcp_f64_e32 v[222:223], v[218:219]
	s_waitcnt_depctr 0xfff
	v_fma_f64 v[234:235], -v[218:219], v[222:223], 1.0
	v_fma_f64 v[222:223], v[222:223], v[234:235], v[222:223]
	s_delay_alu instid0(VALU_DEP_1) | instskip(NEXT) | instid1(VALU_DEP_1)
	v_fma_f64 v[234:235], -v[218:219], v[222:223], 1.0
	v_fma_f64 v[222:223], v[222:223], v[234:235], v[222:223]
	v_div_scale_f64 v[234:235], vcc_lo, 1.0, v[216:217], 1.0
	s_delay_alu instid0(VALU_DEP_1) | instskip(NEXT) | instid1(VALU_DEP_1)
	v_mul_f64 v[236:237], v[234:235], v[222:223]
	v_fma_f64 v[218:219], -v[218:219], v[236:237], v[234:235]
	s_delay_alu instid0(VALU_DEP_1) | instskip(NEXT) | instid1(VALU_DEP_1)
	v_div_fmas_f64 v[218:219], v[218:219], v[222:223], v[236:237]
	v_div_fixup_f64 v[218:219], v[218:219], v[216:217], 1.0
	s_delay_alu instid0(VALU_DEP_1)
	v_mul_f64 v[216:217], v[220:221], v[218:219]
	v_xor_b32_e32 v219, 0x80000000, v219
.LBB106_28:
	s_and_not1_saveexec_b32 s2, s2
	s_cbranch_execz .LBB106_30
; %bb.29:
	s_delay_alu instid0(VALU_DEP_1) | instskip(SKIP_1) | instid1(VALU_DEP_2)
	v_div_scale_f64 v[220:221], null, v[216:217], v[216:217], v[218:219]
	v_div_scale_f64 v[236:237], vcc_lo, v[218:219], v[216:217], v[218:219]
	v_rcp_f64_e32 v[222:223], v[220:221]
	s_waitcnt_depctr 0xfff
	v_fma_f64 v[234:235], -v[220:221], v[222:223], 1.0
	s_delay_alu instid0(VALU_DEP_1) | instskip(NEXT) | instid1(VALU_DEP_1)
	v_fma_f64 v[222:223], v[222:223], v[234:235], v[222:223]
	v_fma_f64 v[234:235], -v[220:221], v[222:223], 1.0
	s_delay_alu instid0(VALU_DEP_1) | instskip(NEXT) | instid1(VALU_DEP_1)
	v_fma_f64 v[222:223], v[222:223], v[234:235], v[222:223]
	v_mul_f64 v[234:235], v[236:237], v[222:223]
	s_delay_alu instid0(VALU_DEP_1) | instskip(NEXT) | instid1(VALU_DEP_1)
	v_fma_f64 v[220:221], -v[220:221], v[234:235], v[236:237]
	v_div_fmas_f64 v[220:221], v[220:221], v[222:223], v[234:235]
	s_delay_alu instid0(VALU_DEP_1) | instskip(NEXT) | instid1(VALU_DEP_1)
	v_div_fixup_f64 v[220:221], v[220:221], v[216:217], v[218:219]
	v_fma_f64 v[216:217], v[218:219], v[220:221], v[216:217]
	s_delay_alu instid0(VALU_DEP_1) | instskip(NEXT) | instid1(VALU_DEP_1)
	v_div_scale_f64 v[218:219], null, v[216:217], v[216:217], 1.0
	v_rcp_f64_e32 v[222:223], v[218:219]
	s_waitcnt_depctr 0xfff
	v_fma_f64 v[234:235], -v[218:219], v[222:223], 1.0
	s_delay_alu instid0(VALU_DEP_1) | instskip(NEXT) | instid1(VALU_DEP_1)
	v_fma_f64 v[222:223], v[222:223], v[234:235], v[222:223]
	v_fma_f64 v[234:235], -v[218:219], v[222:223], 1.0
	s_delay_alu instid0(VALU_DEP_1) | instskip(SKIP_1) | instid1(VALU_DEP_1)
	v_fma_f64 v[222:223], v[222:223], v[234:235], v[222:223]
	v_div_scale_f64 v[234:235], vcc_lo, 1.0, v[216:217], 1.0
	v_mul_f64 v[236:237], v[234:235], v[222:223]
	s_delay_alu instid0(VALU_DEP_1) | instskip(NEXT) | instid1(VALU_DEP_1)
	v_fma_f64 v[218:219], -v[218:219], v[236:237], v[234:235]
	v_div_fmas_f64 v[218:219], v[218:219], v[222:223], v[236:237]
	s_delay_alu instid0(VALU_DEP_1) | instskip(NEXT) | instid1(VALU_DEP_1)
	v_div_fixup_f64 v[216:217], v[218:219], v[216:217], 1.0
	v_mul_f64 v[218:219], v[220:221], -v[216:217]
.LBB106_30:
	s_or_b32 exec_lo, exec_lo, s2
	v_mov_b32_e32 v229, v233
.LBB106_31:
	s_or_b32 exec_lo, exec_lo, s3
	s_delay_alu instid0(SALU_CYCLE_1)
	s_mov_b32 s2, exec_lo
	v_cmpx_ne_u32_e64 v232, v224
	s_xor_b32 s2, exec_lo, s2
	s_cbranch_execz .LBB106_37
; %bb.32:
	s_mov_b32 s3, exec_lo
	v_cmpx_eq_u32_e32 1, v232
	s_cbranch_execz .LBB106_36
; %bb.33:
	v_cmp_ne_u32_e32 vcc_lo, 1, v224
	s_xor_b32 s6, s4, -1
	s_delay_alu instid0(SALU_CYCLE_1) | instskip(NEXT) | instid1(SALU_CYCLE_1)
	s_and_b32 s7, s6, vcc_lo
	s_and_saveexec_b32 s6, s7
	s_cbranch_execz .LBB106_35
; %bb.34:
	v_ashrrev_i32_e32 v225, 31, v224
	s_delay_alu instid0(VALU_DEP_1) | instskip(NEXT) | instid1(VALU_DEP_1)
	v_lshlrev_b64 v[220:221], 2, v[224:225]
	v_add_co_u32 v220, vcc_lo, v214, v220
	s_delay_alu instid0(VALU_DEP_2)
	v_add_co_ci_u32_e32 v221, vcc_lo, v215, v221, vcc_lo
	s_clause 0x1
	flat_load_b32 v222, v[220:221]
	flat_load_b32 v223, v[214:215] offset:4
	s_waitcnt vmcnt(1) lgkmcnt(1)
	flat_store_b32 v[214:215], v222 offset:4
	s_waitcnt vmcnt(0) lgkmcnt(1)
	flat_store_b32 v[220:221], v223
.LBB106_35:
	s_or_b32 exec_lo, exec_lo, s6
	v_mov_b32_e32 v232, v224
	v_mov_b32_e32 v231, v224
.LBB106_36:
	s_or_b32 exec_lo, exec_lo, s3
.LBB106_37:
	s_and_not1_saveexec_b32 s2, s2
	s_cbranch_execz .LBB106_39
; %bb.38:
	v_mov_b32_e32 v232, 1
	ds_store_2addr_b64 v226, v[204:205], v[206:207] offset0:4 offset1:5
	ds_store_2addr_b64 v226, v[200:201], v[202:203] offset0:6 offset1:7
	;; [unrolled: 1-line block ×52, first 2 shown]
.LBB106_39:
	s_or_b32 exec_lo, exec_lo, s2
	s_delay_alu instid0(SALU_CYCLE_1)
	s_mov_b32 s2, exec_lo
	s_waitcnt lgkmcnt(0)
	s_waitcnt_vscnt null, 0x0
	s_barrier
	buffer_gl0_inv
	v_cmpx_lt_i32_e32 1, v232
	s_cbranch_execz .LBB106_41
; %bb.40:
	v_mul_f64 v[220:221], v[218:219], v[210:211]
	v_mul_f64 v[210:211], v[216:217], v[210:211]
	s_delay_alu instid0(VALU_DEP_2) | instskip(NEXT) | instid1(VALU_DEP_2)
	v_fma_f64 v[224:225], v[216:217], v[208:209], -v[220:221]
	v_fma_f64 v[210:211], v[218:219], v[208:209], v[210:211]
	ds_load_2addr_b64 v[216:219], v226 offset0:4 offset1:5
	s_waitcnt lgkmcnt(0)
	v_mul_f64 v[208:209], v[218:219], v[210:211]
	s_delay_alu instid0(VALU_DEP_1) | instskip(SKIP_1) | instid1(VALU_DEP_2)
	v_fma_f64 v[208:209], v[216:217], v[224:225], -v[208:209]
	v_mul_f64 v[216:217], v[216:217], v[210:211]
	v_add_f64 v[204:205], v[204:205], -v[208:209]
	s_delay_alu instid0(VALU_DEP_2) | instskip(NEXT) | instid1(VALU_DEP_1)
	v_fma_f64 v[216:217], v[218:219], v[224:225], v[216:217]
	v_add_f64 v[206:207], v[206:207], -v[216:217]
	ds_load_2addr_b64 v[216:219], v226 offset0:6 offset1:7
	s_waitcnt lgkmcnt(0)
	v_mul_f64 v[208:209], v[218:219], v[210:211]
	s_delay_alu instid0(VALU_DEP_1) | instskip(SKIP_1) | instid1(VALU_DEP_2)
	v_fma_f64 v[208:209], v[216:217], v[224:225], -v[208:209]
	v_mul_f64 v[216:217], v[216:217], v[210:211]
	v_add_f64 v[200:201], v[200:201], -v[208:209]
	s_delay_alu instid0(VALU_DEP_2) | instskip(NEXT) | instid1(VALU_DEP_1)
	v_fma_f64 v[216:217], v[218:219], v[224:225], v[216:217]
	v_add_f64 v[202:203], v[202:203], -v[216:217]
	;; [unrolled: 10-line block ×51, first 2 shown]
	ds_load_2addr_b64 v[216:219], v226 offset0:106 offset1:107
	s_waitcnt lgkmcnt(0)
	v_mul_f64 v[208:209], v[218:219], v[210:211]
	s_delay_alu instid0(VALU_DEP_1) | instskip(SKIP_1) | instid1(VALU_DEP_2)
	v_fma_f64 v[208:209], v[216:217], v[224:225], -v[208:209]
	v_mul_f64 v[216:217], v[216:217], v[210:211]
	v_add_f64 v[0:1], v[0:1], -v[208:209]
	s_delay_alu instid0(VALU_DEP_2) | instskip(SKIP_1) | instid1(VALU_DEP_2)
	v_fma_f64 v[216:217], v[218:219], v[224:225], v[216:217]
	v_dual_mov_b32 v208, v224 :: v_dual_mov_b32 v209, v225
	v_add_f64 v[2:3], v[2:3], -v[216:217]
.LBB106_41:
	s_or_b32 exec_lo, exec_lo, s2
	v_lshl_add_u32 v216, v232, 4, v226
	s_barrier
	buffer_gl0_inv
	v_mov_b32_e32 v224, 2
	ds_store_2addr_b64 v216, v[204:205], v[206:207] offset1:1
	s_waitcnt lgkmcnt(0)
	s_barrier
	buffer_gl0_inv
	ds_load_2addr_b64 v[216:219], v226 offset0:4 offset1:5
	s_cmp_lt_i32 s5, 4
	s_cbranch_scc1 .LBB106_44
; %bb.42:
	v_add3_u32 v225, v230, 0, 48
	v_mov_b32_e32 v224, 2
	s_mov_b32 s6, 3
	s_set_inst_prefetch_distance 0x1
	.p2align	6
.LBB106_43:                             ; =>This Inner Loop Header: Depth=1
	ds_load_2addr_b64 v[233:236], v225 offset1:1
	s_waitcnt lgkmcnt(1)
	v_cmp_gt_f64_e32 vcc_lo, 0, v[216:217]
	v_xor_b32_e32 v220, 0x80000000, v217
	v_cmp_gt_f64_e64 s2, 0, v[218:219]
	v_xor_b32_e32 v222, 0x80000000, v219
	v_add_nc_u32_e32 v225, 16, v225
	s_waitcnt lgkmcnt(0)
	v_cmp_gt_f64_e64 s3, 0, v[233:234]
	v_mov_b32_e32 v237, v233
	v_mov_b32_e32 v239, v235
	v_cndmask_b32_e32 v221, v217, v220, vcc_lo
	v_xor_b32_e32 v220, 0x80000000, v234
	v_cndmask_b32_e64 v223, v219, v222, s2
	v_xor_b32_e32 v222, 0x80000000, v236
	s_delay_alu instid0(VALU_DEP_3) | instskip(SKIP_2) | instid1(VALU_DEP_2)
	v_cndmask_b32_e64 v238, v234, v220, s3
	v_cmp_gt_f64_e64 s3, 0, v[235:236]
	v_cndmask_b32_e32 v220, v216, v216, vcc_lo
	v_cndmask_b32_e64 v240, v236, v222, s3
	v_cndmask_b32_e64 v222, v218, v218, s2
	s_delay_alu instid0(VALU_DEP_2) | instskip(NEXT) | instid1(VALU_DEP_2)
	v_add_f64 v[237:238], v[237:238], v[239:240]
	v_add_f64 v[220:221], v[220:221], v[222:223]
	s_delay_alu instid0(VALU_DEP_1) | instskip(SKIP_4) | instid1(SALU_CYCLE_1)
	v_cmp_lt_f64_e32 vcc_lo, v[220:221], v[237:238]
	v_dual_cndmask_b32 v216, v216, v233 :: v_dual_cndmask_b32 v217, v217, v234
	v_dual_cndmask_b32 v219, v219, v236 :: v_dual_cndmask_b32 v218, v218, v235
	v_cndmask_b32_e64 v224, v224, s6, vcc_lo
	s_add_i32 s6, s6, 1
	s_cmp_lg_u32 s5, s6
	s_cbranch_scc1 .LBB106_43
.LBB106_44:
	s_set_inst_prefetch_distance 0x2
	s_waitcnt lgkmcnt(0)
	v_cmp_eq_f64_e32 vcc_lo, 0, v[216:217]
	v_cmp_eq_f64_e64 s2, 0, v[218:219]
	s_delay_alu instid0(VALU_DEP_1) | instskip(NEXT) | instid1(SALU_CYCLE_1)
	s_and_b32 s2, vcc_lo, s2
	s_and_saveexec_b32 s3, s2
	s_delay_alu instid0(SALU_CYCLE_1)
	s_xor_b32 s2, exec_lo, s3
; %bb.45:
	v_cmp_ne_u32_e32 vcc_lo, 0, v229
	v_cndmask_b32_e32 v229, 3, v229, vcc_lo
; %bb.46:
	s_and_not1_saveexec_b32 s3, s2
	s_cbranch_execz .LBB106_52
; %bb.47:
	v_cmp_gt_f64_e32 vcc_lo, 0, v[216:217]
	v_cmp_gt_f64_e64 s2, 0, v[218:219]
	v_xor_b32_e32 v220, 0x80000000, v217
	v_xor_b32_e32 v222, 0x80000000, v219
	s_delay_alu instid0(VALU_DEP_2) | instskip(NEXT) | instid1(VALU_DEP_2)
	v_cndmask_b32_e32 v221, v217, v220, vcc_lo
	v_cndmask_b32_e64 v223, v219, v222, s2
	v_cndmask_b32_e32 v220, v216, v216, vcc_lo
	v_cndmask_b32_e64 v222, v218, v218, s2
	s_mov_b32 s2, exec_lo
	s_delay_alu instid0(VALU_DEP_1)
	v_cmpx_ngt_f64_e32 v[220:221], v[222:223]
	s_xor_b32 s2, exec_lo, s2
	s_cbranch_execz .LBB106_49
; %bb.48:
	v_div_scale_f64 v[220:221], null, v[218:219], v[218:219], v[216:217]
	v_div_scale_f64 v[235:236], vcc_lo, v[216:217], v[218:219], v[216:217]
	s_delay_alu instid0(VALU_DEP_2) | instskip(SKIP_2) | instid1(VALU_DEP_1)
	v_rcp_f64_e32 v[222:223], v[220:221]
	s_waitcnt_depctr 0xfff
	v_fma_f64 v[233:234], -v[220:221], v[222:223], 1.0
	v_fma_f64 v[222:223], v[222:223], v[233:234], v[222:223]
	s_delay_alu instid0(VALU_DEP_1) | instskip(NEXT) | instid1(VALU_DEP_1)
	v_fma_f64 v[233:234], -v[220:221], v[222:223], 1.0
	v_fma_f64 v[222:223], v[222:223], v[233:234], v[222:223]
	s_delay_alu instid0(VALU_DEP_1) | instskip(NEXT) | instid1(VALU_DEP_1)
	v_mul_f64 v[233:234], v[235:236], v[222:223]
	v_fma_f64 v[220:221], -v[220:221], v[233:234], v[235:236]
	s_delay_alu instid0(VALU_DEP_1) | instskip(NEXT) | instid1(VALU_DEP_1)
	v_div_fmas_f64 v[220:221], v[220:221], v[222:223], v[233:234]
	v_div_fixup_f64 v[220:221], v[220:221], v[218:219], v[216:217]
	s_delay_alu instid0(VALU_DEP_1) | instskip(NEXT) | instid1(VALU_DEP_1)
	v_fma_f64 v[216:217], v[216:217], v[220:221], v[218:219]
	v_div_scale_f64 v[218:219], null, v[216:217], v[216:217], 1.0
	s_delay_alu instid0(VALU_DEP_1) | instskip(SKIP_2) | instid1(VALU_DEP_1)
	v_rcp_f64_e32 v[222:223], v[218:219]
	s_waitcnt_depctr 0xfff
	v_fma_f64 v[233:234], -v[218:219], v[222:223], 1.0
	v_fma_f64 v[222:223], v[222:223], v[233:234], v[222:223]
	s_delay_alu instid0(VALU_DEP_1) | instskip(NEXT) | instid1(VALU_DEP_1)
	v_fma_f64 v[233:234], -v[218:219], v[222:223], 1.0
	v_fma_f64 v[222:223], v[222:223], v[233:234], v[222:223]
	v_div_scale_f64 v[233:234], vcc_lo, 1.0, v[216:217], 1.0
	s_delay_alu instid0(VALU_DEP_1) | instskip(NEXT) | instid1(VALU_DEP_1)
	v_mul_f64 v[235:236], v[233:234], v[222:223]
	v_fma_f64 v[218:219], -v[218:219], v[235:236], v[233:234]
	s_delay_alu instid0(VALU_DEP_1) | instskip(NEXT) | instid1(VALU_DEP_1)
	v_div_fmas_f64 v[218:219], v[218:219], v[222:223], v[235:236]
	v_div_fixup_f64 v[218:219], v[218:219], v[216:217], 1.0
	s_delay_alu instid0(VALU_DEP_1)
	v_mul_f64 v[216:217], v[220:221], v[218:219]
	v_xor_b32_e32 v219, 0x80000000, v219
.LBB106_49:
	s_and_not1_saveexec_b32 s2, s2
	s_cbranch_execz .LBB106_51
; %bb.50:
	s_delay_alu instid0(VALU_DEP_1) | instskip(SKIP_1) | instid1(VALU_DEP_2)
	v_div_scale_f64 v[220:221], null, v[216:217], v[216:217], v[218:219]
	v_div_scale_f64 v[235:236], vcc_lo, v[218:219], v[216:217], v[218:219]
	v_rcp_f64_e32 v[222:223], v[220:221]
	s_waitcnt_depctr 0xfff
	v_fma_f64 v[233:234], -v[220:221], v[222:223], 1.0
	s_delay_alu instid0(VALU_DEP_1) | instskip(NEXT) | instid1(VALU_DEP_1)
	v_fma_f64 v[222:223], v[222:223], v[233:234], v[222:223]
	v_fma_f64 v[233:234], -v[220:221], v[222:223], 1.0
	s_delay_alu instid0(VALU_DEP_1) | instskip(NEXT) | instid1(VALU_DEP_1)
	v_fma_f64 v[222:223], v[222:223], v[233:234], v[222:223]
	v_mul_f64 v[233:234], v[235:236], v[222:223]
	s_delay_alu instid0(VALU_DEP_1) | instskip(NEXT) | instid1(VALU_DEP_1)
	v_fma_f64 v[220:221], -v[220:221], v[233:234], v[235:236]
	v_div_fmas_f64 v[220:221], v[220:221], v[222:223], v[233:234]
	s_delay_alu instid0(VALU_DEP_1) | instskip(NEXT) | instid1(VALU_DEP_1)
	v_div_fixup_f64 v[220:221], v[220:221], v[216:217], v[218:219]
	v_fma_f64 v[216:217], v[218:219], v[220:221], v[216:217]
	s_delay_alu instid0(VALU_DEP_1) | instskip(NEXT) | instid1(VALU_DEP_1)
	v_div_scale_f64 v[218:219], null, v[216:217], v[216:217], 1.0
	v_rcp_f64_e32 v[222:223], v[218:219]
	s_waitcnt_depctr 0xfff
	v_fma_f64 v[233:234], -v[218:219], v[222:223], 1.0
	s_delay_alu instid0(VALU_DEP_1) | instskip(NEXT) | instid1(VALU_DEP_1)
	v_fma_f64 v[222:223], v[222:223], v[233:234], v[222:223]
	v_fma_f64 v[233:234], -v[218:219], v[222:223], 1.0
	s_delay_alu instid0(VALU_DEP_1) | instskip(SKIP_1) | instid1(VALU_DEP_1)
	v_fma_f64 v[222:223], v[222:223], v[233:234], v[222:223]
	v_div_scale_f64 v[233:234], vcc_lo, 1.0, v[216:217], 1.0
	v_mul_f64 v[235:236], v[233:234], v[222:223]
	s_delay_alu instid0(VALU_DEP_1) | instskip(NEXT) | instid1(VALU_DEP_1)
	v_fma_f64 v[218:219], -v[218:219], v[235:236], v[233:234]
	v_div_fmas_f64 v[218:219], v[218:219], v[222:223], v[235:236]
	s_delay_alu instid0(VALU_DEP_1) | instskip(NEXT) | instid1(VALU_DEP_1)
	v_div_fixup_f64 v[216:217], v[218:219], v[216:217], 1.0
	v_mul_f64 v[218:219], v[220:221], -v[216:217]
.LBB106_51:
	s_or_b32 exec_lo, exec_lo, s2
.LBB106_52:
	s_delay_alu instid0(SALU_CYCLE_1) | instskip(NEXT) | instid1(SALU_CYCLE_1)
	s_or_b32 exec_lo, exec_lo, s3
	s_mov_b32 s2, exec_lo
	v_cmpx_ne_u32_e64 v232, v224
	s_xor_b32 s2, exec_lo, s2
	s_cbranch_execz .LBB106_58
; %bb.53:
	s_mov_b32 s3, exec_lo
	v_cmpx_eq_u32_e32 2, v232
	s_cbranch_execz .LBB106_57
; %bb.54:
	v_cmp_ne_u32_e32 vcc_lo, 2, v224
	s_xor_b32 s6, s4, -1
	s_delay_alu instid0(SALU_CYCLE_1) | instskip(NEXT) | instid1(SALU_CYCLE_1)
	s_and_b32 s7, s6, vcc_lo
	s_and_saveexec_b32 s6, s7
	s_cbranch_execz .LBB106_56
; %bb.55:
	v_ashrrev_i32_e32 v225, 31, v224
	s_delay_alu instid0(VALU_DEP_1) | instskip(NEXT) | instid1(VALU_DEP_1)
	v_lshlrev_b64 v[220:221], 2, v[224:225]
	v_add_co_u32 v220, vcc_lo, v214, v220
	s_delay_alu instid0(VALU_DEP_2)
	v_add_co_ci_u32_e32 v221, vcc_lo, v215, v221, vcc_lo
	s_clause 0x1
	flat_load_b32 v222, v[220:221]
	flat_load_b32 v223, v[214:215] offset:8
	s_waitcnt vmcnt(1) lgkmcnt(1)
	flat_store_b32 v[214:215], v222 offset:8
	s_waitcnt vmcnt(0) lgkmcnt(1)
	flat_store_b32 v[220:221], v223
.LBB106_56:
	s_or_b32 exec_lo, exec_lo, s6
	v_mov_b32_e32 v232, v224
	v_mov_b32_e32 v231, v224
.LBB106_57:
	s_or_b32 exec_lo, exec_lo, s3
.LBB106_58:
	s_and_not1_saveexec_b32 s2, s2
	s_cbranch_execz .LBB106_60
; %bb.59:
	v_mov_b32_e32 v232, 2
	ds_store_2addr_b64 v226, v[200:201], v[202:203] offset0:6 offset1:7
	ds_store_2addr_b64 v226, v[196:197], v[198:199] offset0:8 offset1:9
	;; [unrolled: 1-line block ×51, first 2 shown]
.LBB106_60:
	s_or_b32 exec_lo, exec_lo, s2
	s_delay_alu instid0(SALU_CYCLE_1)
	s_mov_b32 s2, exec_lo
	s_waitcnt lgkmcnt(0)
	s_waitcnt_vscnt null, 0x0
	s_barrier
	buffer_gl0_inv
	v_cmpx_lt_i32_e32 2, v232
	s_cbranch_execz .LBB106_62
; %bb.61:
	v_mul_f64 v[220:221], v[218:219], v[206:207]
	v_mul_f64 v[206:207], v[216:217], v[206:207]
	s_delay_alu instid0(VALU_DEP_2) | instskip(NEXT) | instid1(VALU_DEP_2)
	v_fma_f64 v[224:225], v[216:217], v[204:205], -v[220:221]
	v_fma_f64 v[206:207], v[218:219], v[204:205], v[206:207]
	ds_load_2addr_b64 v[216:219], v226 offset0:6 offset1:7
	s_waitcnt lgkmcnt(0)
	v_mul_f64 v[204:205], v[218:219], v[206:207]
	s_delay_alu instid0(VALU_DEP_1) | instskip(SKIP_1) | instid1(VALU_DEP_2)
	v_fma_f64 v[204:205], v[216:217], v[224:225], -v[204:205]
	v_mul_f64 v[216:217], v[216:217], v[206:207]
	v_add_f64 v[200:201], v[200:201], -v[204:205]
	s_delay_alu instid0(VALU_DEP_2) | instskip(NEXT) | instid1(VALU_DEP_1)
	v_fma_f64 v[216:217], v[218:219], v[224:225], v[216:217]
	v_add_f64 v[202:203], v[202:203], -v[216:217]
	ds_load_2addr_b64 v[216:219], v226 offset0:8 offset1:9
	s_waitcnt lgkmcnt(0)
	v_mul_f64 v[204:205], v[218:219], v[206:207]
	s_delay_alu instid0(VALU_DEP_1) | instskip(SKIP_1) | instid1(VALU_DEP_2)
	v_fma_f64 v[204:205], v[216:217], v[224:225], -v[204:205]
	v_mul_f64 v[216:217], v[216:217], v[206:207]
	v_add_f64 v[196:197], v[196:197], -v[204:205]
	s_delay_alu instid0(VALU_DEP_2) | instskip(NEXT) | instid1(VALU_DEP_1)
	v_fma_f64 v[216:217], v[218:219], v[224:225], v[216:217]
	v_add_f64 v[198:199], v[198:199], -v[216:217]
	;; [unrolled: 10-line block ×50, first 2 shown]
	ds_load_2addr_b64 v[216:219], v226 offset0:106 offset1:107
	s_waitcnt lgkmcnt(0)
	v_mul_f64 v[204:205], v[218:219], v[206:207]
	s_delay_alu instid0(VALU_DEP_1) | instskip(SKIP_1) | instid1(VALU_DEP_2)
	v_fma_f64 v[204:205], v[216:217], v[224:225], -v[204:205]
	v_mul_f64 v[216:217], v[216:217], v[206:207]
	v_add_f64 v[0:1], v[0:1], -v[204:205]
	s_delay_alu instid0(VALU_DEP_2) | instskip(SKIP_1) | instid1(VALU_DEP_2)
	v_fma_f64 v[216:217], v[218:219], v[224:225], v[216:217]
	v_dual_mov_b32 v204, v224 :: v_dual_mov_b32 v205, v225
	v_add_f64 v[2:3], v[2:3], -v[216:217]
.LBB106_62:
	s_or_b32 exec_lo, exec_lo, s2
	v_lshl_add_u32 v216, v232, 4, v226
	s_barrier
	buffer_gl0_inv
	v_mov_b32_e32 v224, 3
	ds_store_2addr_b64 v216, v[200:201], v[202:203] offset1:1
	s_waitcnt lgkmcnt(0)
	s_barrier
	buffer_gl0_inv
	ds_load_2addr_b64 v[216:219], v226 offset0:6 offset1:7
	s_cmp_lt_i32 s5, 5
	s_mov_b32 s6, 4
	s_cbranch_scc1 .LBB106_65
; %bb.63:
	v_add3_u32 v225, v230, 0, 64
	v_mov_b32_e32 v224, 3
	s_set_inst_prefetch_distance 0x1
	.p2align	6
.LBB106_64:                             ; =>This Inner Loop Header: Depth=1
	ds_load_2addr_b64 v[233:236], v225 offset1:1
	s_waitcnt lgkmcnt(1)
	v_cmp_gt_f64_e32 vcc_lo, 0, v[216:217]
	v_xor_b32_e32 v220, 0x80000000, v217
	v_cmp_gt_f64_e64 s2, 0, v[218:219]
	v_xor_b32_e32 v222, 0x80000000, v219
	v_add_nc_u32_e32 v225, 16, v225
	s_waitcnt lgkmcnt(0)
	v_cmp_gt_f64_e64 s3, 0, v[233:234]
	v_mov_b32_e32 v237, v233
	v_mov_b32_e32 v239, v235
	v_cndmask_b32_e32 v221, v217, v220, vcc_lo
	v_xor_b32_e32 v220, 0x80000000, v234
	v_cndmask_b32_e64 v223, v219, v222, s2
	v_xor_b32_e32 v222, 0x80000000, v236
	s_delay_alu instid0(VALU_DEP_3) | instskip(SKIP_2) | instid1(VALU_DEP_2)
	v_cndmask_b32_e64 v238, v234, v220, s3
	v_cmp_gt_f64_e64 s3, 0, v[235:236]
	v_cndmask_b32_e32 v220, v216, v216, vcc_lo
	v_cndmask_b32_e64 v240, v236, v222, s3
	v_cndmask_b32_e64 v222, v218, v218, s2
	s_delay_alu instid0(VALU_DEP_2) | instskip(NEXT) | instid1(VALU_DEP_2)
	v_add_f64 v[237:238], v[237:238], v[239:240]
	v_add_f64 v[220:221], v[220:221], v[222:223]
	s_delay_alu instid0(VALU_DEP_1) | instskip(SKIP_4) | instid1(SALU_CYCLE_1)
	v_cmp_lt_f64_e32 vcc_lo, v[220:221], v[237:238]
	v_dual_cndmask_b32 v216, v216, v233 :: v_dual_cndmask_b32 v217, v217, v234
	v_dual_cndmask_b32 v219, v219, v236 :: v_dual_cndmask_b32 v218, v218, v235
	v_cndmask_b32_e64 v224, v224, s6, vcc_lo
	s_add_i32 s6, s6, 1
	s_cmp_lg_u32 s5, s6
	s_cbranch_scc1 .LBB106_64
.LBB106_65:
	s_set_inst_prefetch_distance 0x2
	s_waitcnt lgkmcnt(0)
	v_cmp_eq_f64_e32 vcc_lo, 0, v[216:217]
	v_cmp_eq_f64_e64 s2, 0, v[218:219]
	s_delay_alu instid0(VALU_DEP_1) | instskip(NEXT) | instid1(SALU_CYCLE_1)
	s_and_b32 s2, vcc_lo, s2
	s_and_saveexec_b32 s3, s2
	s_delay_alu instid0(SALU_CYCLE_1)
	s_xor_b32 s2, exec_lo, s3
; %bb.66:
	v_cmp_ne_u32_e32 vcc_lo, 0, v229
	v_cndmask_b32_e32 v229, 4, v229, vcc_lo
; %bb.67:
	s_and_not1_saveexec_b32 s3, s2
	s_cbranch_execz .LBB106_73
; %bb.68:
	v_cmp_gt_f64_e32 vcc_lo, 0, v[216:217]
	v_cmp_gt_f64_e64 s2, 0, v[218:219]
	v_xor_b32_e32 v220, 0x80000000, v217
	v_xor_b32_e32 v222, 0x80000000, v219
	s_delay_alu instid0(VALU_DEP_2) | instskip(NEXT) | instid1(VALU_DEP_2)
	v_cndmask_b32_e32 v221, v217, v220, vcc_lo
	v_cndmask_b32_e64 v223, v219, v222, s2
	v_cndmask_b32_e32 v220, v216, v216, vcc_lo
	v_cndmask_b32_e64 v222, v218, v218, s2
	s_mov_b32 s2, exec_lo
	s_delay_alu instid0(VALU_DEP_1)
	v_cmpx_ngt_f64_e32 v[220:221], v[222:223]
	s_xor_b32 s2, exec_lo, s2
	s_cbranch_execz .LBB106_70
; %bb.69:
	v_div_scale_f64 v[220:221], null, v[218:219], v[218:219], v[216:217]
	v_div_scale_f64 v[235:236], vcc_lo, v[216:217], v[218:219], v[216:217]
	s_delay_alu instid0(VALU_DEP_2) | instskip(SKIP_2) | instid1(VALU_DEP_1)
	v_rcp_f64_e32 v[222:223], v[220:221]
	s_waitcnt_depctr 0xfff
	v_fma_f64 v[233:234], -v[220:221], v[222:223], 1.0
	v_fma_f64 v[222:223], v[222:223], v[233:234], v[222:223]
	s_delay_alu instid0(VALU_DEP_1) | instskip(NEXT) | instid1(VALU_DEP_1)
	v_fma_f64 v[233:234], -v[220:221], v[222:223], 1.0
	v_fma_f64 v[222:223], v[222:223], v[233:234], v[222:223]
	s_delay_alu instid0(VALU_DEP_1) | instskip(NEXT) | instid1(VALU_DEP_1)
	v_mul_f64 v[233:234], v[235:236], v[222:223]
	v_fma_f64 v[220:221], -v[220:221], v[233:234], v[235:236]
	s_delay_alu instid0(VALU_DEP_1) | instskip(NEXT) | instid1(VALU_DEP_1)
	v_div_fmas_f64 v[220:221], v[220:221], v[222:223], v[233:234]
	v_div_fixup_f64 v[220:221], v[220:221], v[218:219], v[216:217]
	s_delay_alu instid0(VALU_DEP_1) | instskip(NEXT) | instid1(VALU_DEP_1)
	v_fma_f64 v[216:217], v[216:217], v[220:221], v[218:219]
	v_div_scale_f64 v[218:219], null, v[216:217], v[216:217], 1.0
	s_delay_alu instid0(VALU_DEP_1) | instskip(SKIP_2) | instid1(VALU_DEP_1)
	v_rcp_f64_e32 v[222:223], v[218:219]
	s_waitcnt_depctr 0xfff
	v_fma_f64 v[233:234], -v[218:219], v[222:223], 1.0
	v_fma_f64 v[222:223], v[222:223], v[233:234], v[222:223]
	s_delay_alu instid0(VALU_DEP_1) | instskip(NEXT) | instid1(VALU_DEP_1)
	v_fma_f64 v[233:234], -v[218:219], v[222:223], 1.0
	v_fma_f64 v[222:223], v[222:223], v[233:234], v[222:223]
	v_div_scale_f64 v[233:234], vcc_lo, 1.0, v[216:217], 1.0
	s_delay_alu instid0(VALU_DEP_1) | instskip(NEXT) | instid1(VALU_DEP_1)
	v_mul_f64 v[235:236], v[233:234], v[222:223]
	v_fma_f64 v[218:219], -v[218:219], v[235:236], v[233:234]
	s_delay_alu instid0(VALU_DEP_1) | instskip(NEXT) | instid1(VALU_DEP_1)
	v_div_fmas_f64 v[218:219], v[218:219], v[222:223], v[235:236]
	v_div_fixup_f64 v[218:219], v[218:219], v[216:217], 1.0
	s_delay_alu instid0(VALU_DEP_1)
	v_mul_f64 v[216:217], v[220:221], v[218:219]
	v_xor_b32_e32 v219, 0x80000000, v219
.LBB106_70:
	s_and_not1_saveexec_b32 s2, s2
	s_cbranch_execz .LBB106_72
; %bb.71:
	s_delay_alu instid0(VALU_DEP_1) | instskip(SKIP_1) | instid1(VALU_DEP_2)
	v_div_scale_f64 v[220:221], null, v[216:217], v[216:217], v[218:219]
	v_div_scale_f64 v[235:236], vcc_lo, v[218:219], v[216:217], v[218:219]
	v_rcp_f64_e32 v[222:223], v[220:221]
	s_waitcnt_depctr 0xfff
	v_fma_f64 v[233:234], -v[220:221], v[222:223], 1.0
	s_delay_alu instid0(VALU_DEP_1) | instskip(NEXT) | instid1(VALU_DEP_1)
	v_fma_f64 v[222:223], v[222:223], v[233:234], v[222:223]
	v_fma_f64 v[233:234], -v[220:221], v[222:223], 1.0
	s_delay_alu instid0(VALU_DEP_1) | instskip(NEXT) | instid1(VALU_DEP_1)
	v_fma_f64 v[222:223], v[222:223], v[233:234], v[222:223]
	v_mul_f64 v[233:234], v[235:236], v[222:223]
	s_delay_alu instid0(VALU_DEP_1) | instskip(NEXT) | instid1(VALU_DEP_1)
	v_fma_f64 v[220:221], -v[220:221], v[233:234], v[235:236]
	v_div_fmas_f64 v[220:221], v[220:221], v[222:223], v[233:234]
	s_delay_alu instid0(VALU_DEP_1) | instskip(NEXT) | instid1(VALU_DEP_1)
	v_div_fixup_f64 v[220:221], v[220:221], v[216:217], v[218:219]
	v_fma_f64 v[216:217], v[218:219], v[220:221], v[216:217]
	s_delay_alu instid0(VALU_DEP_1) | instskip(NEXT) | instid1(VALU_DEP_1)
	v_div_scale_f64 v[218:219], null, v[216:217], v[216:217], 1.0
	v_rcp_f64_e32 v[222:223], v[218:219]
	s_waitcnt_depctr 0xfff
	v_fma_f64 v[233:234], -v[218:219], v[222:223], 1.0
	s_delay_alu instid0(VALU_DEP_1) | instskip(NEXT) | instid1(VALU_DEP_1)
	v_fma_f64 v[222:223], v[222:223], v[233:234], v[222:223]
	v_fma_f64 v[233:234], -v[218:219], v[222:223], 1.0
	s_delay_alu instid0(VALU_DEP_1) | instskip(SKIP_1) | instid1(VALU_DEP_1)
	v_fma_f64 v[222:223], v[222:223], v[233:234], v[222:223]
	v_div_scale_f64 v[233:234], vcc_lo, 1.0, v[216:217], 1.0
	v_mul_f64 v[235:236], v[233:234], v[222:223]
	s_delay_alu instid0(VALU_DEP_1) | instskip(NEXT) | instid1(VALU_DEP_1)
	v_fma_f64 v[218:219], -v[218:219], v[235:236], v[233:234]
	v_div_fmas_f64 v[218:219], v[218:219], v[222:223], v[235:236]
	s_delay_alu instid0(VALU_DEP_1) | instskip(NEXT) | instid1(VALU_DEP_1)
	v_div_fixup_f64 v[216:217], v[218:219], v[216:217], 1.0
	v_mul_f64 v[218:219], v[220:221], -v[216:217]
.LBB106_72:
	s_or_b32 exec_lo, exec_lo, s2
.LBB106_73:
	s_delay_alu instid0(SALU_CYCLE_1) | instskip(NEXT) | instid1(SALU_CYCLE_1)
	s_or_b32 exec_lo, exec_lo, s3
	s_mov_b32 s2, exec_lo
	v_cmpx_ne_u32_e64 v232, v224
	s_xor_b32 s2, exec_lo, s2
	s_cbranch_execz .LBB106_79
; %bb.74:
	s_mov_b32 s3, exec_lo
	v_cmpx_eq_u32_e32 3, v232
	s_cbranch_execz .LBB106_78
; %bb.75:
	v_cmp_ne_u32_e32 vcc_lo, 3, v224
	s_xor_b32 s6, s4, -1
	s_delay_alu instid0(SALU_CYCLE_1) | instskip(NEXT) | instid1(SALU_CYCLE_1)
	s_and_b32 s7, s6, vcc_lo
	s_and_saveexec_b32 s6, s7
	s_cbranch_execz .LBB106_77
; %bb.76:
	v_ashrrev_i32_e32 v225, 31, v224
	s_delay_alu instid0(VALU_DEP_1) | instskip(NEXT) | instid1(VALU_DEP_1)
	v_lshlrev_b64 v[220:221], 2, v[224:225]
	v_add_co_u32 v220, vcc_lo, v214, v220
	s_delay_alu instid0(VALU_DEP_2)
	v_add_co_ci_u32_e32 v221, vcc_lo, v215, v221, vcc_lo
	s_clause 0x1
	flat_load_b32 v222, v[220:221]
	flat_load_b32 v223, v[214:215] offset:12
	s_waitcnt vmcnt(1) lgkmcnt(1)
	flat_store_b32 v[214:215], v222 offset:12
	s_waitcnt vmcnt(0) lgkmcnt(1)
	flat_store_b32 v[220:221], v223
.LBB106_77:
	s_or_b32 exec_lo, exec_lo, s6
	v_mov_b32_e32 v232, v224
	v_mov_b32_e32 v231, v224
.LBB106_78:
	s_or_b32 exec_lo, exec_lo, s3
.LBB106_79:
	s_and_not1_saveexec_b32 s2, s2
	s_cbranch_execz .LBB106_81
; %bb.80:
	v_mov_b32_e32 v232, 3
	ds_store_2addr_b64 v226, v[196:197], v[198:199] offset0:8 offset1:9
	ds_store_2addr_b64 v226, v[192:193], v[194:195] offset0:10 offset1:11
	;; [unrolled: 1-line block ×50, first 2 shown]
.LBB106_81:
	s_or_b32 exec_lo, exec_lo, s2
	s_delay_alu instid0(SALU_CYCLE_1)
	s_mov_b32 s2, exec_lo
	s_waitcnt lgkmcnt(0)
	s_waitcnt_vscnt null, 0x0
	s_barrier
	buffer_gl0_inv
	v_cmpx_lt_i32_e32 3, v232
	s_cbranch_execz .LBB106_83
; %bb.82:
	v_mul_f64 v[220:221], v[218:219], v[202:203]
	v_mul_f64 v[202:203], v[216:217], v[202:203]
	s_delay_alu instid0(VALU_DEP_2) | instskip(NEXT) | instid1(VALU_DEP_2)
	v_fma_f64 v[224:225], v[216:217], v[200:201], -v[220:221]
	v_fma_f64 v[202:203], v[218:219], v[200:201], v[202:203]
	ds_load_2addr_b64 v[216:219], v226 offset0:8 offset1:9
	s_waitcnt lgkmcnt(0)
	v_mul_f64 v[200:201], v[218:219], v[202:203]
	s_delay_alu instid0(VALU_DEP_1) | instskip(SKIP_1) | instid1(VALU_DEP_2)
	v_fma_f64 v[200:201], v[216:217], v[224:225], -v[200:201]
	v_mul_f64 v[216:217], v[216:217], v[202:203]
	v_add_f64 v[196:197], v[196:197], -v[200:201]
	s_delay_alu instid0(VALU_DEP_2) | instskip(NEXT) | instid1(VALU_DEP_1)
	v_fma_f64 v[216:217], v[218:219], v[224:225], v[216:217]
	v_add_f64 v[198:199], v[198:199], -v[216:217]
	ds_load_2addr_b64 v[216:219], v226 offset0:10 offset1:11
	s_waitcnt lgkmcnt(0)
	v_mul_f64 v[200:201], v[218:219], v[202:203]
	s_delay_alu instid0(VALU_DEP_1) | instskip(SKIP_1) | instid1(VALU_DEP_2)
	v_fma_f64 v[200:201], v[216:217], v[224:225], -v[200:201]
	v_mul_f64 v[216:217], v[216:217], v[202:203]
	v_add_f64 v[192:193], v[192:193], -v[200:201]
	s_delay_alu instid0(VALU_DEP_2) | instskip(NEXT) | instid1(VALU_DEP_1)
	v_fma_f64 v[216:217], v[218:219], v[224:225], v[216:217]
	v_add_f64 v[194:195], v[194:195], -v[216:217]
	;; [unrolled: 10-line block ×49, first 2 shown]
	ds_load_2addr_b64 v[216:219], v226 offset0:106 offset1:107
	s_waitcnt lgkmcnt(0)
	v_mul_f64 v[200:201], v[218:219], v[202:203]
	s_delay_alu instid0(VALU_DEP_1) | instskip(SKIP_1) | instid1(VALU_DEP_2)
	v_fma_f64 v[200:201], v[216:217], v[224:225], -v[200:201]
	v_mul_f64 v[216:217], v[216:217], v[202:203]
	v_add_f64 v[0:1], v[0:1], -v[200:201]
	s_delay_alu instid0(VALU_DEP_2) | instskip(SKIP_1) | instid1(VALU_DEP_2)
	v_fma_f64 v[216:217], v[218:219], v[224:225], v[216:217]
	v_dual_mov_b32 v200, v224 :: v_dual_mov_b32 v201, v225
	v_add_f64 v[2:3], v[2:3], -v[216:217]
.LBB106_83:
	s_or_b32 exec_lo, exec_lo, s2
	v_lshl_add_u32 v216, v232, 4, v226
	s_barrier
	buffer_gl0_inv
	v_mov_b32_e32 v224, 4
	ds_store_2addr_b64 v216, v[196:197], v[198:199] offset1:1
	s_waitcnt lgkmcnt(0)
	s_barrier
	buffer_gl0_inv
	ds_load_2addr_b64 v[216:219], v226 offset0:8 offset1:9
	s_cmp_lt_i32 s5, 6
	s_cbranch_scc1 .LBB106_86
; %bb.84:
	v_add3_u32 v225, v230, 0, 0x50
	v_mov_b32_e32 v224, 4
	s_mov_b32 s6, 5
	s_set_inst_prefetch_distance 0x1
	.p2align	6
.LBB106_85:                             ; =>This Inner Loop Header: Depth=1
	ds_load_2addr_b64 v[233:236], v225 offset1:1
	s_waitcnt lgkmcnt(1)
	v_cmp_gt_f64_e32 vcc_lo, 0, v[216:217]
	v_xor_b32_e32 v220, 0x80000000, v217
	v_cmp_gt_f64_e64 s2, 0, v[218:219]
	v_xor_b32_e32 v222, 0x80000000, v219
	v_add_nc_u32_e32 v225, 16, v225
	s_waitcnt lgkmcnt(0)
	v_cmp_gt_f64_e64 s3, 0, v[233:234]
	v_mov_b32_e32 v237, v233
	v_mov_b32_e32 v239, v235
	v_cndmask_b32_e32 v221, v217, v220, vcc_lo
	v_xor_b32_e32 v220, 0x80000000, v234
	v_cndmask_b32_e64 v223, v219, v222, s2
	v_xor_b32_e32 v222, 0x80000000, v236
	s_delay_alu instid0(VALU_DEP_3) | instskip(SKIP_2) | instid1(VALU_DEP_2)
	v_cndmask_b32_e64 v238, v234, v220, s3
	v_cmp_gt_f64_e64 s3, 0, v[235:236]
	v_cndmask_b32_e32 v220, v216, v216, vcc_lo
	v_cndmask_b32_e64 v240, v236, v222, s3
	v_cndmask_b32_e64 v222, v218, v218, s2
	s_delay_alu instid0(VALU_DEP_2) | instskip(NEXT) | instid1(VALU_DEP_2)
	v_add_f64 v[237:238], v[237:238], v[239:240]
	v_add_f64 v[220:221], v[220:221], v[222:223]
	s_delay_alu instid0(VALU_DEP_1) | instskip(SKIP_4) | instid1(SALU_CYCLE_1)
	v_cmp_lt_f64_e32 vcc_lo, v[220:221], v[237:238]
	v_dual_cndmask_b32 v216, v216, v233 :: v_dual_cndmask_b32 v217, v217, v234
	v_dual_cndmask_b32 v219, v219, v236 :: v_dual_cndmask_b32 v218, v218, v235
	v_cndmask_b32_e64 v224, v224, s6, vcc_lo
	s_add_i32 s6, s6, 1
	s_cmp_lg_u32 s5, s6
	s_cbranch_scc1 .LBB106_85
.LBB106_86:
	s_set_inst_prefetch_distance 0x2
	s_waitcnt lgkmcnt(0)
	v_cmp_eq_f64_e32 vcc_lo, 0, v[216:217]
	v_cmp_eq_f64_e64 s2, 0, v[218:219]
	s_delay_alu instid0(VALU_DEP_1) | instskip(NEXT) | instid1(SALU_CYCLE_1)
	s_and_b32 s2, vcc_lo, s2
	s_and_saveexec_b32 s3, s2
	s_delay_alu instid0(SALU_CYCLE_1)
	s_xor_b32 s2, exec_lo, s3
; %bb.87:
	v_cmp_ne_u32_e32 vcc_lo, 0, v229
	v_cndmask_b32_e32 v229, 5, v229, vcc_lo
; %bb.88:
	s_and_not1_saveexec_b32 s3, s2
	s_cbranch_execz .LBB106_94
; %bb.89:
	v_cmp_gt_f64_e32 vcc_lo, 0, v[216:217]
	v_cmp_gt_f64_e64 s2, 0, v[218:219]
	v_xor_b32_e32 v220, 0x80000000, v217
	v_xor_b32_e32 v222, 0x80000000, v219
	s_delay_alu instid0(VALU_DEP_2) | instskip(NEXT) | instid1(VALU_DEP_2)
	v_cndmask_b32_e32 v221, v217, v220, vcc_lo
	v_cndmask_b32_e64 v223, v219, v222, s2
	v_cndmask_b32_e32 v220, v216, v216, vcc_lo
	v_cndmask_b32_e64 v222, v218, v218, s2
	s_mov_b32 s2, exec_lo
	s_delay_alu instid0(VALU_DEP_1)
	v_cmpx_ngt_f64_e32 v[220:221], v[222:223]
	s_xor_b32 s2, exec_lo, s2
	s_cbranch_execz .LBB106_91
; %bb.90:
	v_div_scale_f64 v[220:221], null, v[218:219], v[218:219], v[216:217]
	v_div_scale_f64 v[235:236], vcc_lo, v[216:217], v[218:219], v[216:217]
	s_delay_alu instid0(VALU_DEP_2) | instskip(SKIP_2) | instid1(VALU_DEP_1)
	v_rcp_f64_e32 v[222:223], v[220:221]
	s_waitcnt_depctr 0xfff
	v_fma_f64 v[233:234], -v[220:221], v[222:223], 1.0
	v_fma_f64 v[222:223], v[222:223], v[233:234], v[222:223]
	s_delay_alu instid0(VALU_DEP_1) | instskip(NEXT) | instid1(VALU_DEP_1)
	v_fma_f64 v[233:234], -v[220:221], v[222:223], 1.0
	v_fma_f64 v[222:223], v[222:223], v[233:234], v[222:223]
	s_delay_alu instid0(VALU_DEP_1) | instskip(NEXT) | instid1(VALU_DEP_1)
	v_mul_f64 v[233:234], v[235:236], v[222:223]
	v_fma_f64 v[220:221], -v[220:221], v[233:234], v[235:236]
	s_delay_alu instid0(VALU_DEP_1) | instskip(NEXT) | instid1(VALU_DEP_1)
	v_div_fmas_f64 v[220:221], v[220:221], v[222:223], v[233:234]
	v_div_fixup_f64 v[220:221], v[220:221], v[218:219], v[216:217]
	s_delay_alu instid0(VALU_DEP_1) | instskip(NEXT) | instid1(VALU_DEP_1)
	v_fma_f64 v[216:217], v[216:217], v[220:221], v[218:219]
	v_div_scale_f64 v[218:219], null, v[216:217], v[216:217], 1.0
	s_delay_alu instid0(VALU_DEP_1) | instskip(SKIP_2) | instid1(VALU_DEP_1)
	v_rcp_f64_e32 v[222:223], v[218:219]
	s_waitcnt_depctr 0xfff
	v_fma_f64 v[233:234], -v[218:219], v[222:223], 1.0
	v_fma_f64 v[222:223], v[222:223], v[233:234], v[222:223]
	s_delay_alu instid0(VALU_DEP_1) | instskip(NEXT) | instid1(VALU_DEP_1)
	v_fma_f64 v[233:234], -v[218:219], v[222:223], 1.0
	v_fma_f64 v[222:223], v[222:223], v[233:234], v[222:223]
	v_div_scale_f64 v[233:234], vcc_lo, 1.0, v[216:217], 1.0
	s_delay_alu instid0(VALU_DEP_1) | instskip(NEXT) | instid1(VALU_DEP_1)
	v_mul_f64 v[235:236], v[233:234], v[222:223]
	v_fma_f64 v[218:219], -v[218:219], v[235:236], v[233:234]
	s_delay_alu instid0(VALU_DEP_1) | instskip(NEXT) | instid1(VALU_DEP_1)
	v_div_fmas_f64 v[218:219], v[218:219], v[222:223], v[235:236]
	v_div_fixup_f64 v[218:219], v[218:219], v[216:217], 1.0
	s_delay_alu instid0(VALU_DEP_1)
	v_mul_f64 v[216:217], v[220:221], v[218:219]
	v_xor_b32_e32 v219, 0x80000000, v219
.LBB106_91:
	s_and_not1_saveexec_b32 s2, s2
	s_cbranch_execz .LBB106_93
; %bb.92:
	s_delay_alu instid0(VALU_DEP_1) | instskip(SKIP_1) | instid1(VALU_DEP_2)
	v_div_scale_f64 v[220:221], null, v[216:217], v[216:217], v[218:219]
	v_div_scale_f64 v[235:236], vcc_lo, v[218:219], v[216:217], v[218:219]
	v_rcp_f64_e32 v[222:223], v[220:221]
	s_waitcnt_depctr 0xfff
	v_fma_f64 v[233:234], -v[220:221], v[222:223], 1.0
	s_delay_alu instid0(VALU_DEP_1) | instskip(NEXT) | instid1(VALU_DEP_1)
	v_fma_f64 v[222:223], v[222:223], v[233:234], v[222:223]
	v_fma_f64 v[233:234], -v[220:221], v[222:223], 1.0
	s_delay_alu instid0(VALU_DEP_1) | instskip(NEXT) | instid1(VALU_DEP_1)
	v_fma_f64 v[222:223], v[222:223], v[233:234], v[222:223]
	v_mul_f64 v[233:234], v[235:236], v[222:223]
	s_delay_alu instid0(VALU_DEP_1) | instskip(NEXT) | instid1(VALU_DEP_1)
	v_fma_f64 v[220:221], -v[220:221], v[233:234], v[235:236]
	v_div_fmas_f64 v[220:221], v[220:221], v[222:223], v[233:234]
	s_delay_alu instid0(VALU_DEP_1) | instskip(NEXT) | instid1(VALU_DEP_1)
	v_div_fixup_f64 v[220:221], v[220:221], v[216:217], v[218:219]
	v_fma_f64 v[216:217], v[218:219], v[220:221], v[216:217]
	s_delay_alu instid0(VALU_DEP_1) | instskip(NEXT) | instid1(VALU_DEP_1)
	v_div_scale_f64 v[218:219], null, v[216:217], v[216:217], 1.0
	v_rcp_f64_e32 v[222:223], v[218:219]
	s_waitcnt_depctr 0xfff
	v_fma_f64 v[233:234], -v[218:219], v[222:223], 1.0
	s_delay_alu instid0(VALU_DEP_1) | instskip(NEXT) | instid1(VALU_DEP_1)
	v_fma_f64 v[222:223], v[222:223], v[233:234], v[222:223]
	v_fma_f64 v[233:234], -v[218:219], v[222:223], 1.0
	s_delay_alu instid0(VALU_DEP_1) | instskip(SKIP_1) | instid1(VALU_DEP_1)
	v_fma_f64 v[222:223], v[222:223], v[233:234], v[222:223]
	v_div_scale_f64 v[233:234], vcc_lo, 1.0, v[216:217], 1.0
	v_mul_f64 v[235:236], v[233:234], v[222:223]
	s_delay_alu instid0(VALU_DEP_1) | instskip(NEXT) | instid1(VALU_DEP_1)
	v_fma_f64 v[218:219], -v[218:219], v[235:236], v[233:234]
	v_div_fmas_f64 v[218:219], v[218:219], v[222:223], v[235:236]
	s_delay_alu instid0(VALU_DEP_1) | instskip(NEXT) | instid1(VALU_DEP_1)
	v_div_fixup_f64 v[216:217], v[218:219], v[216:217], 1.0
	v_mul_f64 v[218:219], v[220:221], -v[216:217]
.LBB106_93:
	s_or_b32 exec_lo, exec_lo, s2
.LBB106_94:
	s_delay_alu instid0(SALU_CYCLE_1) | instskip(NEXT) | instid1(SALU_CYCLE_1)
	s_or_b32 exec_lo, exec_lo, s3
	s_mov_b32 s2, exec_lo
	v_cmpx_ne_u32_e64 v232, v224
	s_xor_b32 s2, exec_lo, s2
	s_cbranch_execz .LBB106_100
; %bb.95:
	s_mov_b32 s3, exec_lo
	v_cmpx_eq_u32_e32 4, v232
	s_cbranch_execz .LBB106_99
; %bb.96:
	v_cmp_ne_u32_e32 vcc_lo, 4, v224
	s_xor_b32 s6, s4, -1
	s_delay_alu instid0(SALU_CYCLE_1) | instskip(NEXT) | instid1(SALU_CYCLE_1)
	s_and_b32 s7, s6, vcc_lo
	s_and_saveexec_b32 s6, s7
	s_cbranch_execz .LBB106_98
; %bb.97:
	v_ashrrev_i32_e32 v225, 31, v224
	s_delay_alu instid0(VALU_DEP_1) | instskip(NEXT) | instid1(VALU_DEP_1)
	v_lshlrev_b64 v[220:221], 2, v[224:225]
	v_add_co_u32 v220, vcc_lo, v214, v220
	s_delay_alu instid0(VALU_DEP_2)
	v_add_co_ci_u32_e32 v221, vcc_lo, v215, v221, vcc_lo
	s_clause 0x1
	flat_load_b32 v222, v[220:221]
	flat_load_b32 v223, v[214:215] offset:16
	s_waitcnt vmcnt(1) lgkmcnt(1)
	flat_store_b32 v[214:215], v222 offset:16
	s_waitcnt vmcnt(0) lgkmcnt(1)
	flat_store_b32 v[220:221], v223
.LBB106_98:
	s_or_b32 exec_lo, exec_lo, s6
	v_mov_b32_e32 v232, v224
	v_mov_b32_e32 v231, v224
.LBB106_99:
	s_or_b32 exec_lo, exec_lo, s3
.LBB106_100:
	s_and_not1_saveexec_b32 s2, s2
	s_cbranch_execz .LBB106_102
; %bb.101:
	v_mov_b32_e32 v232, 4
	ds_store_2addr_b64 v226, v[192:193], v[194:195] offset0:10 offset1:11
	ds_store_2addr_b64 v226, v[188:189], v[190:191] offset0:12 offset1:13
	;; [unrolled: 1-line block ×49, first 2 shown]
.LBB106_102:
	s_or_b32 exec_lo, exec_lo, s2
	s_delay_alu instid0(SALU_CYCLE_1)
	s_mov_b32 s2, exec_lo
	s_waitcnt lgkmcnt(0)
	s_waitcnt_vscnt null, 0x0
	s_barrier
	buffer_gl0_inv
	v_cmpx_lt_i32_e32 4, v232
	s_cbranch_execz .LBB106_104
; %bb.103:
	v_mul_f64 v[220:221], v[218:219], v[198:199]
	v_mul_f64 v[198:199], v[216:217], v[198:199]
	s_delay_alu instid0(VALU_DEP_2) | instskip(NEXT) | instid1(VALU_DEP_2)
	v_fma_f64 v[224:225], v[216:217], v[196:197], -v[220:221]
	v_fma_f64 v[198:199], v[218:219], v[196:197], v[198:199]
	ds_load_2addr_b64 v[216:219], v226 offset0:10 offset1:11
	s_waitcnt lgkmcnt(0)
	v_mul_f64 v[196:197], v[218:219], v[198:199]
	s_delay_alu instid0(VALU_DEP_1) | instskip(SKIP_1) | instid1(VALU_DEP_2)
	v_fma_f64 v[196:197], v[216:217], v[224:225], -v[196:197]
	v_mul_f64 v[216:217], v[216:217], v[198:199]
	v_add_f64 v[192:193], v[192:193], -v[196:197]
	s_delay_alu instid0(VALU_DEP_2) | instskip(NEXT) | instid1(VALU_DEP_1)
	v_fma_f64 v[216:217], v[218:219], v[224:225], v[216:217]
	v_add_f64 v[194:195], v[194:195], -v[216:217]
	ds_load_2addr_b64 v[216:219], v226 offset0:12 offset1:13
	s_waitcnt lgkmcnt(0)
	v_mul_f64 v[196:197], v[218:219], v[198:199]
	s_delay_alu instid0(VALU_DEP_1) | instskip(SKIP_1) | instid1(VALU_DEP_2)
	v_fma_f64 v[196:197], v[216:217], v[224:225], -v[196:197]
	v_mul_f64 v[216:217], v[216:217], v[198:199]
	v_add_f64 v[188:189], v[188:189], -v[196:197]
	s_delay_alu instid0(VALU_DEP_2) | instskip(NEXT) | instid1(VALU_DEP_1)
	v_fma_f64 v[216:217], v[218:219], v[224:225], v[216:217]
	v_add_f64 v[190:191], v[190:191], -v[216:217]
	;; [unrolled: 10-line block ×48, first 2 shown]
	ds_load_2addr_b64 v[216:219], v226 offset0:106 offset1:107
	s_waitcnt lgkmcnt(0)
	v_mul_f64 v[196:197], v[218:219], v[198:199]
	s_delay_alu instid0(VALU_DEP_1) | instskip(SKIP_1) | instid1(VALU_DEP_2)
	v_fma_f64 v[196:197], v[216:217], v[224:225], -v[196:197]
	v_mul_f64 v[216:217], v[216:217], v[198:199]
	v_add_f64 v[0:1], v[0:1], -v[196:197]
	s_delay_alu instid0(VALU_DEP_2) | instskip(SKIP_1) | instid1(VALU_DEP_2)
	v_fma_f64 v[216:217], v[218:219], v[224:225], v[216:217]
	v_dual_mov_b32 v196, v224 :: v_dual_mov_b32 v197, v225
	v_add_f64 v[2:3], v[2:3], -v[216:217]
.LBB106_104:
	s_or_b32 exec_lo, exec_lo, s2
	v_lshl_add_u32 v216, v232, 4, v226
	s_barrier
	buffer_gl0_inv
	v_mov_b32_e32 v224, 5
	ds_store_2addr_b64 v216, v[192:193], v[194:195] offset1:1
	s_waitcnt lgkmcnt(0)
	s_barrier
	buffer_gl0_inv
	ds_load_2addr_b64 v[216:219], v226 offset0:10 offset1:11
	s_cmp_lt_i32 s5, 7
	s_cbranch_scc1 .LBB106_107
; %bb.105:
	v_add3_u32 v225, v230, 0, 0x60
	v_mov_b32_e32 v224, 5
	s_mov_b32 s6, 6
	s_set_inst_prefetch_distance 0x1
	.p2align	6
.LBB106_106:                            ; =>This Inner Loop Header: Depth=1
	ds_load_2addr_b64 v[233:236], v225 offset1:1
	s_waitcnt lgkmcnt(1)
	v_cmp_gt_f64_e32 vcc_lo, 0, v[216:217]
	v_xor_b32_e32 v220, 0x80000000, v217
	v_cmp_gt_f64_e64 s2, 0, v[218:219]
	v_xor_b32_e32 v222, 0x80000000, v219
	v_add_nc_u32_e32 v225, 16, v225
	s_waitcnt lgkmcnt(0)
	v_cmp_gt_f64_e64 s3, 0, v[233:234]
	v_mov_b32_e32 v237, v233
	v_mov_b32_e32 v239, v235
	v_cndmask_b32_e32 v221, v217, v220, vcc_lo
	v_xor_b32_e32 v220, 0x80000000, v234
	v_cndmask_b32_e64 v223, v219, v222, s2
	v_xor_b32_e32 v222, 0x80000000, v236
	s_delay_alu instid0(VALU_DEP_3) | instskip(SKIP_2) | instid1(VALU_DEP_2)
	v_cndmask_b32_e64 v238, v234, v220, s3
	v_cmp_gt_f64_e64 s3, 0, v[235:236]
	v_cndmask_b32_e32 v220, v216, v216, vcc_lo
	v_cndmask_b32_e64 v240, v236, v222, s3
	v_cndmask_b32_e64 v222, v218, v218, s2
	s_delay_alu instid0(VALU_DEP_2) | instskip(NEXT) | instid1(VALU_DEP_2)
	v_add_f64 v[237:238], v[237:238], v[239:240]
	v_add_f64 v[220:221], v[220:221], v[222:223]
	s_delay_alu instid0(VALU_DEP_1) | instskip(SKIP_4) | instid1(SALU_CYCLE_1)
	v_cmp_lt_f64_e32 vcc_lo, v[220:221], v[237:238]
	v_dual_cndmask_b32 v216, v216, v233 :: v_dual_cndmask_b32 v217, v217, v234
	v_dual_cndmask_b32 v219, v219, v236 :: v_dual_cndmask_b32 v218, v218, v235
	v_cndmask_b32_e64 v224, v224, s6, vcc_lo
	s_add_i32 s6, s6, 1
	s_cmp_lg_u32 s5, s6
	s_cbranch_scc1 .LBB106_106
.LBB106_107:
	s_set_inst_prefetch_distance 0x2
	s_waitcnt lgkmcnt(0)
	v_cmp_eq_f64_e32 vcc_lo, 0, v[216:217]
	v_cmp_eq_f64_e64 s2, 0, v[218:219]
	s_delay_alu instid0(VALU_DEP_1) | instskip(NEXT) | instid1(SALU_CYCLE_1)
	s_and_b32 s2, vcc_lo, s2
	s_and_saveexec_b32 s3, s2
	s_delay_alu instid0(SALU_CYCLE_1)
	s_xor_b32 s2, exec_lo, s3
; %bb.108:
	v_cmp_ne_u32_e32 vcc_lo, 0, v229
	v_cndmask_b32_e32 v229, 6, v229, vcc_lo
; %bb.109:
	s_and_not1_saveexec_b32 s3, s2
	s_cbranch_execz .LBB106_115
; %bb.110:
	v_cmp_gt_f64_e32 vcc_lo, 0, v[216:217]
	v_cmp_gt_f64_e64 s2, 0, v[218:219]
	v_xor_b32_e32 v220, 0x80000000, v217
	v_xor_b32_e32 v222, 0x80000000, v219
	s_delay_alu instid0(VALU_DEP_2) | instskip(NEXT) | instid1(VALU_DEP_2)
	v_cndmask_b32_e32 v221, v217, v220, vcc_lo
	v_cndmask_b32_e64 v223, v219, v222, s2
	v_cndmask_b32_e32 v220, v216, v216, vcc_lo
	v_cndmask_b32_e64 v222, v218, v218, s2
	s_mov_b32 s2, exec_lo
	s_delay_alu instid0(VALU_DEP_1)
	v_cmpx_ngt_f64_e32 v[220:221], v[222:223]
	s_xor_b32 s2, exec_lo, s2
	s_cbranch_execz .LBB106_112
; %bb.111:
	v_div_scale_f64 v[220:221], null, v[218:219], v[218:219], v[216:217]
	v_div_scale_f64 v[235:236], vcc_lo, v[216:217], v[218:219], v[216:217]
	s_delay_alu instid0(VALU_DEP_2) | instskip(SKIP_2) | instid1(VALU_DEP_1)
	v_rcp_f64_e32 v[222:223], v[220:221]
	s_waitcnt_depctr 0xfff
	v_fma_f64 v[233:234], -v[220:221], v[222:223], 1.0
	v_fma_f64 v[222:223], v[222:223], v[233:234], v[222:223]
	s_delay_alu instid0(VALU_DEP_1) | instskip(NEXT) | instid1(VALU_DEP_1)
	v_fma_f64 v[233:234], -v[220:221], v[222:223], 1.0
	v_fma_f64 v[222:223], v[222:223], v[233:234], v[222:223]
	s_delay_alu instid0(VALU_DEP_1) | instskip(NEXT) | instid1(VALU_DEP_1)
	v_mul_f64 v[233:234], v[235:236], v[222:223]
	v_fma_f64 v[220:221], -v[220:221], v[233:234], v[235:236]
	s_delay_alu instid0(VALU_DEP_1) | instskip(NEXT) | instid1(VALU_DEP_1)
	v_div_fmas_f64 v[220:221], v[220:221], v[222:223], v[233:234]
	v_div_fixup_f64 v[220:221], v[220:221], v[218:219], v[216:217]
	s_delay_alu instid0(VALU_DEP_1) | instskip(NEXT) | instid1(VALU_DEP_1)
	v_fma_f64 v[216:217], v[216:217], v[220:221], v[218:219]
	v_div_scale_f64 v[218:219], null, v[216:217], v[216:217], 1.0
	s_delay_alu instid0(VALU_DEP_1) | instskip(SKIP_2) | instid1(VALU_DEP_1)
	v_rcp_f64_e32 v[222:223], v[218:219]
	s_waitcnt_depctr 0xfff
	v_fma_f64 v[233:234], -v[218:219], v[222:223], 1.0
	v_fma_f64 v[222:223], v[222:223], v[233:234], v[222:223]
	s_delay_alu instid0(VALU_DEP_1) | instskip(NEXT) | instid1(VALU_DEP_1)
	v_fma_f64 v[233:234], -v[218:219], v[222:223], 1.0
	v_fma_f64 v[222:223], v[222:223], v[233:234], v[222:223]
	v_div_scale_f64 v[233:234], vcc_lo, 1.0, v[216:217], 1.0
	s_delay_alu instid0(VALU_DEP_1) | instskip(NEXT) | instid1(VALU_DEP_1)
	v_mul_f64 v[235:236], v[233:234], v[222:223]
	v_fma_f64 v[218:219], -v[218:219], v[235:236], v[233:234]
	s_delay_alu instid0(VALU_DEP_1) | instskip(NEXT) | instid1(VALU_DEP_1)
	v_div_fmas_f64 v[218:219], v[218:219], v[222:223], v[235:236]
	v_div_fixup_f64 v[218:219], v[218:219], v[216:217], 1.0
	s_delay_alu instid0(VALU_DEP_1)
	v_mul_f64 v[216:217], v[220:221], v[218:219]
	v_xor_b32_e32 v219, 0x80000000, v219
.LBB106_112:
	s_and_not1_saveexec_b32 s2, s2
	s_cbranch_execz .LBB106_114
; %bb.113:
	s_delay_alu instid0(VALU_DEP_1) | instskip(SKIP_1) | instid1(VALU_DEP_2)
	v_div_scale_f64 v[220:221], null, v[216:217], v[216:217], v[218:219]
	v_div_scale_f64 v[235:236], vcc_lo, v[218:219], v[216:217], v[218:219]
	v_rcp_f64_e32 v[222:223], v[220:221]
	s_waitcnt_depctr 0xfff
	v_fma_f64 v[233:234], -v[220:221], v[222:223], 1.0
	s_delay_alu instid0(VALU_DEP_1) | instskip(NEXT) | instid1(VALU_DEP_1)
	v_fma_f64 v[222:223], v[222:223], v[233:234], v[222:223]
	v_fma_f64 v[233:234], -v[220:221], v[222:223], 1.0
	s_delay_alu instid0(VALU_DEP_1) | instskip(NEXT) | instid1(VALU_DEP_1)
	v_fma_f64 v[222:223], v[222:223], v[233:234], v[222:223]
	v_mul_f64 v[233:234], v[235:236], v[222:223]
	s_delay_alu instid0(VALU_DEP_1) | instskip(NEXT) | instid1(VALU_DEP_1)
	v_fma_f64 v[220:221], -v[220:221], v[233:234], v[235:236]
	v_div_fmas_f64 v[220:221], v[220:221], v[222:223], v[233:234]
	s_delay_alu instid0(VALU_DEP_1) | instskip(NEXT) | instid1(VALU_DEP_1)
	v_div_fixup_f64 v[220:221], v[220:221], v[216:217], v[218:219]
	v_fma_f64 v[216:217], v[218:219], v[220:221], v[216:217]
	s_delay_alu instid0(VALU_DEP_1) | instskip(NEXT) | instid1(VALU_DEP_1)
	v_div_scale_f64 v[218:219], null, v[216:217], v[216:217], 1.0
	v_rcp_f64_e32 v[222:223], v[218:219]
	s_waitcnt_depctr 0xfff
	v_fma_f64 v[233:234], -v[218:219], v[222:223], 1.0
	s_delay_alu instid0(VALU_DEP_1) | instskip(NEXT) | instid1(VALU_DEP_1)
	v_fma_f64 v[222:223], v[222:223], v[233:234], v[222:223]
	v_fma_f64 v[233:234], -v[218:219], v[222:223], 1.0
	s_delay_alu instid0(VALU_DEP_1) | instskip(SKIP_1) | instid1(VALU_DEP_1)
	v_fma_f64 v[222:223], v[222:223], v[233:234], v[222:223]
	v_div_scale_f64 v[233:234], vcc_lo, 1.0, v[216:217], 1.0
	v_mul_f64 v[235:236], v[233:234], v[222:223]
	s_delay_alu instid0(VALU_DEP_1) | instskip(NEXT) | instid1(VALU_DEP_1)
	v_fma_f64 v[218:219], -v[218:219], v[235:236], v[233:234]
	v_div_fmas_f64 v[218:219], v[218:219], v[222:223], v[235:236]
	s_delay_alu instid0(VALU_DEP_1) | instskip(NEXT) | instid1(VALU_DEP_1)
	v_div_fixup_f64 v[216:217], v[218:219], v[216:217], 1.0
	v_mul_f64 v[218:219], v[220:221], -v[216:217]
.LBB106_114:
	s_or_b32 exec_lo, exec_lo, s2
.LBB106_115:
	s_delay_alu instid0(SALU_CYCLE_1) | instskip(NEXT) | instid1(SALU_CYCLE_1)
	s_or_b32 exec_lo, exec_lo, s3
	s_mov_b32 s2, exec_lo
	v_cmpx_ne_u32_e64 v232, v224
	s_xor_b32 s2, exec_lo, s2
	s_cbranch_execz .LBB106_121
; %bb.116:
	s_mov_b32 s3, exec_lo
	v_cmpx_eq_u32_e32 5, v232
	s_cbranch_execz .LBB106_120
; %bb.117:
	v_cmp_ne_u32_e32 vcc_lo, 5, v224
	s_xor_b32 s6, s4, -1
	s_delay_alu instid0(SALU_CYCLE_1) | instskip(NEXT) | instid1(SALU_CYCLE_1)
	s_and_b32 s7, s6, vcc_lo
	s_and_saveexec_b32 s6, s7
	s_cbranch_execz .LBB106_119
; %bb.118:
	v_ashrrev_i32_e32 v225, 31, v224
	s_delay_alu instid0(VALU_DEP_1) | instskip(NEXT) | instid1(VALU_DEP_1)
	v_lshlrev_b64 v[220:221], 2, v[224:225]
	v_add_co_u32 v220, vcc_lo, v214, v220
	s_delay_alu instid0(VALU_DEP_2)
	v_add_co_ci_u32_e32 v221, vcc_lo, v215, v221, vcc_lo
	s_clause 0x1
	flat_load_b32 v222, v[220:221]
	flat_load_b32 v223, v[214:215] offset:20
	s_waitcnt vmcnt(1) lgkmcnt(1)
	flat_store_b32 v[214:215], v222 offset:20
	s_waitcnt vmcnt(0) lgkmcnt(1)
	flat_store_b32 v[220:221], v223
.LBB106_119:
	s_or_b32 exec_lo, exec_lo, s6
	v_mov_b32_e32 v232, v224
	v_mov_b32_e32 v231, v224
.LBB106_120:
	s_or_b32 exec_lo, exec_lo, s3
.LBB106_121:
	s_and_not1_saveexec_b32 s2, s2
	s_cbranch_execz .LBB106_123
; %bb.122:
	v_mov_b32_e32 v232, 5
	ds_store_2addr_b64 v226, v[188:189], v[190:191] offset0:12 offset1:13
	ds_store_2addr_b64 v226, v[184:185], v[186:187] offset0:14 offset1:15
	;; [unrolled: 1-line block ×48, first 2 shown]
.LBB106_123:
	s_or_b32 exec_lo, exec_lo, s2
	s_delay_alu instid0(SALU_CYCLE_1)
	s_mov_b32 s2, exec_lo
	s_waitcnt lgkmcnt(0)
	s_waitcnt_vscnt null, 0x0
	s_barrier
	buffer_gl0_inv
	v_cmpx_lt_i32_e32 5, v232
	s_cbranch_execz .LBB106_125
; %bb.124:
	v_mul_f64 v[220:221], v[218:219], v[194:195]
	v_mul_f64 v[194:195], v[216:217], v[194:195]
	s_delay_alu instid0(VALU_DEP_2) | instskip(NEXT) | instid1(VALU_DEP_2)
	v_fma_f64 v[224:225], v[216:217], v[192:193], -v[220:221]
	v_fma_f64 v[194:195], v[218:219], v[192:193], v[194:195]
	ds_load_2addr_b64 v[216:219], v226 offset0:12 offset1:13
	s_waitcnt lgkmcnt(0)
	v_mul_f64 v[192:193], v[218:219], v[194:195]
	s_delay_alu instid0(VALU_DEP_1) | instskip(SKIP_1) | instid1(VALU_DEP_2)
	v_fma_f64 v[192:193], v[216:217], v[224:225], -v[192:193]
	v_mul_f64 v[216:217], v[216:217], v[194:195]
	v_add_f64 v[188:189], v[188:189], -v[192:193]
	s_delay_alu instid0(VALU_DEP_2) | instskip(NEXT) | instid1(VALU_DEP_1)
	v_fma_f64 v[216:217], v[218:219], v[224:225], v[216:217]
	v_add_f64 v[190:191], v[190:191], -v[216:217]
	ds_load_2addr_b64 v[216:219], v226 offset0:14 offset1:15
	s_waitcnt lgkmcnt(0)
	v_mul_f64 v[192:193], v[218:219], v[194:195]
	s_delay_alu instid0(VALU_DEP_1) | instskip(SKIP_1) | instid1(VALU_DEP_2)
	v_fma_f64 v[192:193], v[216:217], v[224:225], -v[192:193]
	v_mul_f64 v[216:217], v[216:217], v[194:195]
	v_add_f64 v[184:185], v[184:185], -v[192:193]
	s_delay_alu instid0(VALU_DEP_2) | instskip(NEXT) | instid1(VALU_DEP_1)
	v_fma_f64 v[216:217], v[218:219], v[224:225], v[216:217]
	v_add_f64 v[186:187], v[186:187], -v[216:217]
	;; [unrolled: 10-line block ×47, first 2 shown]
	ds_load_2addr_b64 v[216:219], v226 offset0:106 offset1:107
	s_waitcnt lgkmcnt(0)
	v_mul_f64 v[192:193], v[218:219], v[194:195]
	s_delay_alu instid0(VALU_DEP_1) | instskip(SKIP_1) | instid1(VALU_DEP_2)
	v_fma_f64 v[192:193], v[216:217], v[224:225], -v[192:193]
	v_mul_f64 v[216:217], v[216:217], v[194:195]
	v_add_f64 v[0:1], v[0:1], -v[192:193]
	s_delay_alu instid0(VALU_DEP_2) | instskip(SKIP_1) | instid1(VALU_DEP_2)
	v_fma_f64 v[216:217], v[218:219], v[224:225], v[216:217]
	v_dual_mov_b32 v192, v224 :: v_dual_mov_b32 v193, v225
	v_add_f64 v[2:3], v[2:3], -v[216:217]
.LBB106_125:
	s_or_b32 exec_lo, exec_lo, s2
	v_lshl_add_u32 v216, v232, 4, v226
	s_barrier
	buffer_gl0_inv
	v_mov_b32_e32 v224, 6
	ds_store_2addr_b64 v216, v[188:189], v[190:191] offset1:1
	s_waitcnt lgkmcnt(0)
	s_barrier
	buffer_gl0_inv
	ds_load_2addr_b64 v[216:219], v226 offset0:12 offset1:13
	s_cmp_lt_i32 s5, 8
	s_cbranch_scc1 .LBB106_128
; %bb.126:
	v_add3_u32 v225, v230, 0, 0x70
	v_mov_b32_e32 v224, 6
	s_mov_b32 s6, 7
	s_set_inst_prefetch_distance 0x1
	.p2align	6
.LBB106_127:                            ; =>This Inner Loop Header: Depth=1
	ds_load_2addr_b64 v[233:236], v225 offset1:1
	s_waitcnt lgkmcnt(1)
	v_cmp_gt_f64_e32 vcc_lo, 0, v[216:217]
	v_xor_b32_e32 v220, 0x80000000, v217
	v_cmp_gt_f64_e64 s2, 0, v[218:219]
	v_xor_b32_e32 v222, 0x80000000, v219
	v_add_nc_u32_e32 v225, 16, v225
	s_waitcnt lgkmcnt(0)
	v_cmp_gt_f64_e64 s3, 0, v[233:234]
	v_mov_b32_e32 v237, v233
	v_mov_b32_e32 v239, v235
	v_cndmask_b32_e32 v221, v217, v220, vcc_lo
	v_xor_b32_e32 v220, 0x80000000, v234
	v_cndmask_b32_e64 v223, v219, v222, s2
	v_xor_b32_e32 v222, 0x80000000, v236
	s_delay_alu instid0(VALU_DEP_3) | instskip(SKIP_2) | instid1(VALU_DEP_2)
	v_cndmask_b32_e64 v238, v234, v220, s3
	v_cmp_gt_f64_e64 s3, 0, v[235:236]
	v_cndmask_b32_e32 v220, v216, v216, vcc_lo
	v_cndmask_b32_e64 v240, v236, v222, s3
	v_cndmask_b32_e64 v222, v218, v218, s2
	s_delay_alu instid0(VALU_DEP_2) | instskip(NEXT) | instid1(VALU_DEP_2)
	v_add_f64 v[237:238], v[237:238], v[239:240]
	v_add_f64 v[220:221], v[220:221], v[222:223]
	s_delay_alu instid0(VALU_DEP_1) | instskip(SKIP_4) | instid1(SALU_CYCLE_1)
	v_cmp_lt_f64_e32 vcc_lo, v[220:221], v[237:238]
	v_dual_cndmask_b32 v216, v216, v233 :: v_dual_cndmask_b32 v217, v217, v234
	v_dual_cndmask_b32 v219, v219, v236 :: v_dual_cndmask_b32 v218, v218, v235
	v_cndmask_b32_e64 v224, v224, s6, vcc_lo
	s_add_i32 s6, s6, 1
	s_cmp_lg_u32 s5, s6
	s_cbranch_scc1 .LBB106_127
.LBB106_128:
	s_set_inst_prefetch_distance 0x2
	s_waitcnt lgkmcnt(0)
	v_cmp_eq_f64_e32 vcc_lo, 0, v[216:217]
	v_cmp_eq_f64_e64 s2, 0, v[218:219]
	s_delay_alu instid0(VALU_DEP_1) | instskip(NEXT) | instid1(SALU_CYCLE_1)
	s_and_b32 s2, vcc_lo, s2
	s_and_saveexec_b32 s3, s2
	s_delay_alu instid0(SALU_CYCLE_1)
	s_xor_b32 s2, exec_lo, s3
; %bb.129:
	v_cmp_ne_u32_e32 vcc_lo, 0, v229
	v_cndmask_b32_e32 v229, 7, v229, vcc_lo
; %bb.130:
	s_and_not1_saveexec_b32 s3, s2
	s_cbranch_execz .LBB106_136
; %bb.131:
	v_cmp_gt_f64_e32 vcc_lo, 0, v[216:217]
	v_cmp_gt_f64_e64 s2, 0, v[218:219]
	v_xor_b32_e32 v220, 0x80000000, v217
	v_xor_b32_e32 v222, 0x80000000, v219
	s_delay_alu instid0(VALU_DEP_2) | instskip(NEXT) | instid1(VALU_DEP_2)
	v_cndmask_b32_e32 v221, v217, v220, vcc_lo
	v_cndmask_b32_e64 v223, v219, v222, s2
	v_cndmask_b32_e32 v220, v216, v216, vcc_lo
	v_cndmask_b32_e64 v222, v218, v218, s2
	s_mov_b32 s2, exec_lo
	s_delay_alu instid0(VALU_DEP_1)
	v_cmpx_ngt_f64_e32 v[220:221], v[222:223]
	s_xor_b32 s2, exec_lo, s2
	s_cbranch_execz .LBB106_133
; %bb.132:
	v_div_scale_f64 v[220:221], null, v[218:219], v[218:219], v[216:217]
	v_div_scale_f64 v[235:236], vcc_lo, v[216:217], v[218:219], v[216:217]
	s_delay_alu instid0(VALU_DEP_2) | instskip(SKIP_2) | instid1(VALU_DEP_1)
	v_rcp_f64_e32 v[222:223], v[220:221]
	s_waitcnt_depctr 0xfff
	v_fma_f64 v[233:234], -v[220:221], v[222:223], 1.0
	v_fma_f64 v[222:223], v[222:223], v[233:234], v[222:223]
	s_delay_alu instid0(VALU_DEP_1) | instskip(NEXT) | instid1(VALU_DEP_1)
	v_fma_f64 v[233:234], -v[220:221], v[222:223], 1.0
	v_fma_f64 v[222:223], v[222:223], v[233:234], v[222:223]
	s_delay_alu instid0(VALU_DEP_1) | instskip(NEXT) | instid1(VALU_DEP_1)
	v_mul_f64 v[233:234], v[235:236], v[222:223]
	v_fma_f64 v[220:221], -v[220:221], v[233:234], v[235:236]
	s_delay_alu instid0(VALU_DEP_1) | instskip(NEXT) | instid1(VALU_DEP_1)
	v_div_fmas_f64 v[220:221], v[220:221], v[222:223], v[233:234]
	v_div_fixup_f64 v[220:221], v[220:221], v[218:219], v[216:217]
	s_delay_alu instid0(VALU_DEP_1) | instskip(NEXT) | instid1(VALU_DEP_1)
	v_fma_f64 v[216:217], v[216:217], v[220:221], v[218:219]
	v_div_scale_f64 v[218:219], null, v[216:217], v[216:217], 1.0
	s_delay_alu instid0(VALU_DEP_1) | instskip(SKIP_2) | instid1(VALU_DEP_1)
	v_rcp_f64_e32 v[222:223], v[218:219]
	s_waitcnt_depctr 0xfff
	v_fma_f64 v[233:234], -v[218:219], v[222:223], 1.0
	v_fma_f64 v[222:223], v[222:223], v[233:234], v[222:223]
	s_delay_alu instid0(VALU_DEP_1) | instskip(NEXT) | instid1(VALU_DEP_1)
	v_fma_f64 v[233:234], -v[218:219], v[222:223], 1.0
	v_fma_f64 v[222:223], v[222:223], v[233:234], v[222:223]
	v_div_scale_f64 v[233:234], vcc_lo, 1.0, v[216:217], 1.0
	s_delay_alu instid0(VALU_DEP_1) | instskip(NEXT) | instid1(VALU_DEP_1)
	v_mul_f64 v[235:236], v[233:234], v[222:223]
	v_fma_f64 v[218:219], -v[218:219], v[235:236], v[233:234]
	s_delay_alu instid0(VALU_DEP_1) | instskip(NEXT) | instid1(VALU_DEP_1)
	v_div_fmas_f64 v[218:219], v[218:219], v[222:223], v[235:236]
	v_div_fixup_f64 v[218:219], v[218:219], v[216:217], 1.0
	s_delay_alu instid0(VALU_DEP_1)
	v_mul_f64 v[216:217], v[220:221], v[218:219]
	v_xor_b32_e32 v219, 0x80000000, v219
.LBB106_133:
	s_and_not1_saveexec_b32 s2, s2
	s_cbranch_execz .LBB106_135
; %bb.134:
	s_delay_alu instid0(VALU_DEP_1) | instskip(SKIP_1) | instid1(VALU_DEP_2)
	v_div_scale_f64 v[220:221], null, v[216:217], v[216:217], v[218:219]
	v_div_scale_f64 v[235:236], vcc_lo, v[218:219], v[216:217], v[218:219]
	v_rcp_f64_e32 v[222:223], v[220:221]
	s_waitcnt_depctr 0xfff
	v_fma_f64 v[233:234], -v[220:221], v[222:223], 1.0
	s_delay_alu instid0(VALU_DEP_1) | instskip(NEXT) | instid1(VALU_DEP_1)
	v_fma_f64 v[222:223], v[222:223], v[233:234], v[222:223]
	v_fma_f64 v[233:234], -v[220:221], v[222:223], 1.0
	s_delay_alu instid0(VALU_DEP_1) | instskip(NEXT) | instid1(VALU_DEP_1)
	v_fma_f64 v[222:223], v[222:223], v[233:234], v[222:223]
	v_mul_f64 v[233:234], v[235:236], v[222:223]
	s_delay_alu instid0(VALU_DEP_1) | instskip(NEXT) | instid1(VALU_DEP_1)
	v_fma_f64 v[220:221], -v[220:221], v[233:234], v[235:236]
	v_div_fmas_f64 v[220:221], v[220:221], v[222:223], v[233:234]
	s_delay_alu instid0(VALU_DEP_1) | instskip(NEXT) | instid1(VALU_DEP_1)
	v_div_fixup_f64 v[220:221], v[220:221], v[216:217], v[218:219]
	v_fma_f64 v[216:217], v[218:219], v[220:221], v[216:217]
	s_delay_alu instid0(VALU_DEP_1) | instskip(NEXT) | instid1(VALU_DEP_1)
	v_div_scale_f64 v[218:219], null, v[216:217], v[216:217], 1.0
	v_rcp_f64_e32 v[222:223], v[218:219]
	s_waitcnt_depctr 0xfff
	v_fma_f64 v[233:234], -v[218:219], v[222:223], 1.0
	s_delay_alu instid0(VALU_DEP_1) | instskip(NEXT) | instid1(VALU_DEP_1)
	v_fma_f64 v[222:223], v[222:223], v[233:234], v[222:223]
	v_fma_f64 v[233:234], -v[218:219], v[222:223], 1.0
	s_delay_alu instid0(VALU_DEP_1) | instskip(SKIP_1) | instid1(VALU_DEP_1)
	v_fma_f64 v[222:223], v[222:223], v[233:234], v[222:223]
	v_div_scale_f64 v[233:234], vcc_lo, 1.0, v[216:217], 1.0
	v_mul_f64 v[235:236], v[233:234], v[222:223]
	s_delay_alu instid0(VALU_DEP_1) | instskip(NEXT) | instid1(VALU_DEP_1)
	v_fma_f64 v[218:219], -v[218:219], v[235:236], v[233:234]
	v_div_fmas_f64 v[218:219], v[218:219], v[222:223], v[235:236]
	s_delay_alu instid0(VALU_DEP_1) | instskip(NEXT) | instid1(VALU_DEP_1)
	v_div_fixup_f64 v[216:217], v[218:219], v[216:217], 1.0
	v_mul_f64 v[218:219], v[220:221], -v[216:217]
.LBB106_135:
	s_or_b32 exec_lo, exec_lo, s2
.LBB106_136:
	s_delay_alu instid0(SALU_CYCLE_1) | instskip(NEXT) | instid1(SALU_CYCLE_1)
	s_or_b32 exec_lo, exec_lo, s3
	s_mov_b32 s2, exec_lo
	v_cmpx_ne_u32_e64 v232, v224
	s_xor_b32 s2, exec_lo, s2
	s_cbranch_execz .LBB106_142
; %bb.137:
	s_mov_b32 s3, exec_lo
	v_cmpx_eq_u32_e32 6, v232
	s_cbranch_execz .LBB106_141
; %bb.138:
	v_cmp_ne_u32_e32 vcc_lo, 6, v224
	s_xor_b32 s6, s4, -1
	s_delay_alu instid0(SALU_CYCLE_1) | instskip(NEXT) | instid1(SALU_CYCLE_1)
	s_and_b32 s7, s6, vcc_lo
	s_and_saveexec_b32 s6, s7
	s_cbranch_execz .LBB106_140
; %bb.139:
	v_ashrrev_i32_e32 v225, 31, v224
	s_delay_alu instid0(VALU_DEP_1) | instskip(NEXT) | instid1(VALU_DEP_1)
	v_lshlrev_b64 v[220:221], 2, v[224:225]
	v_add_co_u32 v220, vcc_lo, v214, v220
	s_delay_alu instid0(VALU_DEP_2)
	v_add_co_ci_u32_e32 v221, vcc_lo, v215, v221, vcc_lo
	s_clause 0x1
	flat_load_b32 v222, v[220:221]
	flat_load_b32 v223, v[214:215] offset:24
	s_waitcnt vmcnt(1) lgkmcnt(1)
	flat_store_b32 v[214:215], v222 offset:24
	s_waitcnt vmcnt(0) lgkmcnt(1)
	flat_store_b32 v[220:221], v223
.LBB106_140:
	s_or_b32 exec_lo, exec_lo, s6
	v_mov_b32_e32 v232, v224
	v_mov_b32_e32 v231, v224
.LBB106_141:
	s_or_b32 exec_lo, exec_lo, s3
.LBB106_142:
	s_and_not1_saveexec_b32 s2, s2
	s_cbranch_execz .LBB106_144
; %bb.143:
	v_mov_b32_e32 v232, 6
	ds_store_2addr_b64 v226, v[184:185], v[186:187] offset0:14 offset1:15
	ds_store_2addr_b64 v226, v[180:181], v[182:183] offset0:16 offset1:17
	;; [unrolled: 1-line block ×47, first 2 shown]
.LBB106_144:
	s_or_b32 exec_lo, exec_lo, s2
	s_delay_alu instid0(SALU_CYCLE_1)
	s_mov_b32 s2, exec_lo
	s_waitcnt lgkmcnt(0)
	s_waitcnt_vscnt null, 0x0
	s_barrier
	buffer_gl0_inv
	v_cmpx_lt_i32_e32 6, v232
	s_cbranch_execz .LBB106_146
; %bb.145:
	v_mul_f64 v[220:221], v[218:219], v[190:191]
	v_mul_f64 v[190:191], v[216:217], v[190:191]
	s_delay_alu instid0(VALU_DEP_2) | instskip(NEXT) | instid1(VALU_DEP_2)
	v_fma_f64 v[224:225], v[216:217], v[188:189], -v[220:221]
	v_fma_f64 v[190:191], v[218:219], v[188:189], v[190:191]
	ds_load_2addr_b64 v[216:219], v226 offset0:14 offset1:15
	s_waitcnt lgkmcnt(0)
	v_mul_f64 v[188:189], v[218:219], v[190:191]
	s_delay_alu instid0(VALU_DEP_1) | instskip(SKIP_1) | instid1(VALU_DEP_2)
	v_fma_f64 v[188:189], v[216:217], v[224:225], -v[188:189]
	v_mul_f64 v[216:217], v[216:217], v[190:191]
	v_add_f64 v[184:185], v[184:185], -v[188:189]
	s_delay_alu instid0(VALU_DEP_2) | instskip(NEXT) | instid1(VALU_DEP_1)
	v_fma_f64 v[216:217], v[218:219], v[224:225], v[216:217]
	v_add_f64 v[186:187], v[186:187], -v[216:217]
	ds_load_2addr_b64 v[216:219], v226 offset0:16 offset1:17
	s_waitcnt lgkmcnt(0)
	v_mul_f64 v[188:189], v[218:219], v[190:191]
	s_delay_alu instid0(VALU_DEP_1) | instskip(SKIP_1) | instid1(VALU_DEP_2)
	v_fma_f64 v[188:189], v[216:217], v[224:225], -v[188:189]
	v_mul_f64 v[216:217], v[216:217], v[190:191]
	v_add_f64 v[180:181], v[180:181], -v[188:189]
	s_delay_alu instid0(VALU_DEP_2) | instskip(NEXT) | instid1(VALU_DEP_1)
	v_fma_f64 v[216:217], v[218:219], v[224:225], v[216:217]
	v_add_f64 v[182:183], v[182:183], -v[216:217]
	;; [unrolled: 10-line block ×46, first 2 shown]
	ds_load_2addr_b64 v[216:219], v226 offset0:106 offset1:107
	s_waitcnt lgkmcnt(0)
	v_mul_f64 v[188:189], v[218:219], v[190:191]
	s_delay_alu instid0(VALU_DEP_1) | instskip(SKIP_1) | instid1(VALU_DEP_2)
	v_fma_f64 v[188:189], v[216:217], v[224:225], -v[188:189]
	v_mul_f64 v[216:217], v[216:217], v[190:191]
	v_add_f64 v[0:1], v[0:1], -v[188:189]
	s_delay_alu instid0(VALU_DEP_2) | instskip(SKIP_1) | instid1(VALU_DEP_2)
	v_fma_f64 v[216:217], v[218:219], v[224:225], v[216:217]
	v_dual_mov_b32 v188, v224 :: v_dual_mov_b32 v189, v225
	v_add_f64 v[2:3], v[2:3], -v[216:217]
.LBB106_146:
	s_or_b32 exec_lo, exec_lo, s2
	v_lshl_add_u32 v216, v232, 4, v226
	s_barrier
	buffer_gl0_inv
	v_mov_b32_e32 v224, 7
	ds_store_2addr_b64 v216, v[184:185], v[186:187] offset1:1
	s_waitcnt lgkmcnt(0)
	s_barrier
	buffer_gl0_inv
	ds_load_2addr_b64 v[216:219], v226 offset0:14 offset1:15
	s_cmp_lt_i32 s5, 9
	s_cbranch_scc1 .LBB106_149
; %bb.147:
	v_add3_u32 v225, v230, 0, 0x80
	v_mov_b32_e32 v224, 7
	s_mov_b32 s6, 8
	s_set_inst_prefetch_distance 0x1
	.p2align	6
.LBB106_148:                            ; =>This Inner Loop Header: Depth=1
	ds_load_2addr_b64 v[233:236], v225 offset1:1
	s_waitcnt lgkmcnt(1)
	v_cmp_gt_f64_e32 vcc_lo, 0, v[216:217]
	v_xor_b32_e32 v220, 0x80000000, v217
	v_cmp_gt_f64_e64 s2, 0, v[218:219]
	v_xor_b32_e32 v222, 0x80000000, v219
	v_add_nc_u32_e32 v225, 16, v225
	s_waitcnt lgkmcnt(0)
	v_cmp_gt_f64_e64 s3, 0, v[233:234]
	v_mov_b32_e32 v237, v233
	v_mov_b32_e32 v239, v235
	v_cndmask_b32_e32 v221, v217, v220, vcc_lo
	v_xor_b32_e32 v220, 0x80000000, v234
	v_cndmask_b32_e64 v223, v219, v222, s2
	v_xor_b32_e32 v222, 0x80000000, v236
	s_delay_alu instid0(VALU_DEP_3) | instskip(SKIP_2) | instid1(VALU_DEP_2)
	v_cndmask_b32_e64 v238, v234, v220, s3
	v_cmp_gt_f64_e64 s3, 0, v[235:236]
	v_cndmask_b32_e32 v220, v216, v216, vcc_lo
	v_cndmask_b32_e64 v240, v236, v222, s3
	v_cndmask_b32_e64 v222, v218, v218, s2
	s_delay_alu instid0(VALU_DEP_2) | instskip(NEXT) | instid1(VALU_DEP_2)
	v_add_f64 v[237:238], v[237:238], v[239:240]
	v_add_f64 v[220:221], v[220:221], v[222:223]
	s_delay_alu instid0(VALU_DEP_1) | instskip(SKIP_4) | instid1(SALU_CYCLE_1)
	v_cmp_lt_f64_e32 vcc_lo, v[220:221], v[237:238]
	v_dual_cndmask_b32 v216, v216, v233 :: v_dual_cndmask_b32 v217, v217, v234
	v_dual_cndmask_b32 v219, v219, v236 :: v_dual_cndmask_b32 v218, v218, v235
	v_cndmask_b32_e64 v224, v224, s6, vcc_lo
	s_add_i32 s6, s6, 1
	s_cmp_lg_u32 s5, s6
	s_cbranch_scc1 .LBB106_148
.LBB106_149:
	s_set_inst_prefetch_distance 0x2
	s_waitcnt lgkmcnt(0)
	v_cmp_eq_f64_e32 vcc_lo, 0, v[216:217]
	v_cmp_eq_f64_e64 s2, 0, v[218:219]
	s_delay_alu instid0(VALU_DEP_1) | instskip(NEXT) | instid1(SALU_CYCLE_1)
	s_and_b32 s2, vcc_lo, s2
	s_and_saveexec_b32 s3, s2
	s_delay_alu instid0(SALU_CYCLE_1)
	s_xor_b32 s2, exec_lo, s3
; %bb.150:
	v_cmp_ne_u32_e32 vcc_lo, 0, v229
	v_cndmask_b32_e32 v229, 8, v229, vcc_lo
; %bb.151:
	s_and_not1_saveexec_b32 s3, s2
	s_cbranch_execz .LBB106_157
; %bb.152:
	v_cmp_gt_f64_e32 vcc_lo, 0, v[216:217]
	v_cmp_gt_f64_e64 s2, 0, v[218:219]
	v_xor_b32_e32 v220, 0x80000000, v217
	v_xor_b32_e32 v222, 0x80000000, v219
	s_delay_alu instid0(VALU_DEP_2) | instskip(NEXT) | instid1(VALU_DEP_2)
	v_cndmask_b32_e32 v221, v217, v220, vcc_lo
	v_cndmask_b32_e64 v223, v219, v222, s2
	v_cndmask_b32_e32 v220, v216, v216, vcc_lo
	v_cndmask_b32_e64 v222, v218, v218, s2
	s_mov_b32 s2, exec_lo
	s_delay_alu instid0(VALU_DEP_1)
	v_cmpx_ngt_f64_e32 v[220:221], v[222:223]
	s_xor_b32 s2, exec_lo, s2
	s_cbranch_execz .LBB106_154
; %bb.153:
	v_div_scale_f64 v[220:221], null, v[218:219], v[218:219], v[216:217]
	v_div_scale_f64 v[235:236], vcc_lo, v[216:217], v[218:219], v[216:217]
	s_delay_alu instid0(VALU_DEP_2) | instskip(SKIP_2) | instid1(VALU_DEP_1)
	v_rcp_f64_e32 v[222:223], v[220:221]
	s_waitcnt_depctr 0xfff
	v_fma_f64 v[233:234], -v[220:221], v[222:223], 1.0
	v_fma_f64 v[222:223], v[222:223], v[233:234], v[222:223]
	s_delay_alu instid0(VALU_DEP_1) | instskip(NEXT) | instid1(VALU_DEP_1)
	v_fma_f64 v[233:234], -v[220:221], v[222:223], 1.0
	v_fma_f64 v[222:223], v[222:223], v[233:234], v[222:223]
	s_delay_alu instid0(VALU_DEP_1) | instskip(NEXT) | instid1(VALU_DEP_1)
	v_mul_f64 v[233:234], v[235:236], v[222:223]
	v_fma_f64 v[220:221], -v[220:221], v[233:234], v[235:236]
	s_delay_alu instid0(VALU_DEP_1) | instskip(NEXT) | instid1(VALU_DEP_1)
	v_div_fmas_f64 v[220:221], v[220:221], v[222:223], v[233:234]
	v_div_fixup_f64 v[220:221], v[220:221], v[218:219], v[216:217]
	s_delay_alu instid0(VALU_DEP_1) | instskip(NEXT) | instid1(VALU_DEP_1)
	v_fma_f64 v[216:217], v[216:217], v[220:221], v[218:219]
	v_div_scale_f64 v[218:219], null, v[216:217], v[216:217], 1.0
	s_delay_alu instid0(VALU_DEP_1) | instskip(SKIP_2) | instid1(VALU_DEP_1)
	v_rcp_f64_e32 v[222:223], v[218:219]
	s_waitcnt_depctr 0xfff
	v_fma_f64 v[233:234], -v[218:219], v[222:223], 1.0
	v_fma_f64 v[222:223], v[222:223], v[233:234], v[222:223]
	s_delay_alu instid0(VALU_DEP_1) | instskip(NEXT) | instid1(VALU_DEP_1)
	v_fma_f64 v[233:234], -v[218:219], v[222:223], 1.0
	v_fma_f64 v[222:223], v[222:223], v[233:234], v[222:223]
	v_div_scale_f64 v[233:234], vcc_lo, 1.0, v[216:217], 1.0
	s_delay_alu instid0(VALU_DEP_1) | instskip(NEXT) | instid1(VALU_DEP_1)
	v_mul_f64 v[235:236], v[233:234], v[222:223]
	v_fma_f64 v[218:219], -v[218:219], v[235:236], v[233:234]
	s_delay_alu instid0(VALU_DEP_1) | instskip(NEXT) | instid1(VALU_DEP_1)
	v_div_fmas_f64 v[218:219], v[218:219], v[222:223], v[235:236]
	v_div_fixup_f64 v[218:219], v[218:219], v[216:217], 1.0
	s_delay_alu instid0(VALU_DEP_1)
	v_mul_f64 v[216:217], v[220:221], v[218:219]
	v_xor_b32_e32 v219, 0x80000000, v219
.LBB106_154:
	s_and_not1_saveexec_b32 s2, s2
	s_cbranch_execz .LBB106_156
; %bb.155:
	s_delay_alu instid0(VALU_DEP_1) | instskip(SKIP_1) | instid1(VALU_DEP_2)
	v_div_scale_f64 v[220:221], null, v[216:217], v[216:217], v[218:219]
	v_div_scale_f64 v[235:236], vcc_lo, v[218:219], v[216:217], v[218:219]
	v_rcp_f64_e32 v[222:223], v[220:221]
	s_waitcnt_depctr 0xfff
	v_fma_f64 v[233:234], -v[220:221], v[222:223], 1.0
	s_delay_alu instid0(VALU_DEP_1) | instskip(NEXT) | instid1(VALU_DEP_1)
	v_fma_f64 v[222:223], v[222:223], v[233:234], v[222:223]
	v_fma_f64 v[233:234], -v[220:221], v[222:223], 1.0
	s_delay_alu instid0(VALU_DEP_1) | instskip(NEXT) | instid1(VALU_DEP_1)
	v_fma_f64 v[222:223], v[222:223], v[233:234], v[222:223]
	v_mul_f64 v[233:234], v[235:236], v[222:223]
	s_delay_alu instid0(VALU_DEP_1) | instskip(NEXT) | instid1(VALU_DEP_1)
	v_fma_f64 v[220:221], -v[220:221], v[233:234], v[235:236]
	v_div_fmas_f64 v[220:221], v[220:221], v[222:223], v[233:234]
	s_delay_alu instid0(VALU_DEP_1) | instskip(NEXT) | instid1(VALU_DEP_1)
	v_div_fixup_f64 v[220:221], v[220:221], v[216:217], v[218:219]
	v_fma_f64 v[216:217], v[218:219], v[220:221], v[216:217]
	s_delay_alu instid0(VALU_DEP_1) | instskip(NEXT) | instid1(VALU_DEP_1)
	v_div_scale_f64 v[218:219], null, v[216:217], v[216:217], 1.0
	v_rcp_f64_e32 v[222:223], v[218:219]
	s_waitcnt_depctr 0xfff
	v_fma_f64 v[233:234], -v[218:219], v[222:223], 1.0
	s_delay_alu instid0(VALU_DEP_1) | instskip(NEXT) | instid1(VALU_DEP_1)
	v_fma_f64 v[222:223], v[222:223], v[233:234], v[222:223]
	v_fma_f64 v[233:234], -v[218:219], v[222:223], 1.0
	s_delay_alu instid0(VALU_DEP_1) | instskip(SKIP_1) | instid1(VALU_DEP_1)
	v_fma_f64 v[222:223], v[222:223], v[233:234], v[222:223]
	v_div_scale_f64 v[233:234], vcc_lo, 1.0, v[216:217], 1.0
	v_mul_f64 v[235:236], v[233:234], v[222:223]
	s_delay_alu instid0(VALU_DEP_1) | instskip(NEXT) | instid1(VALU_DEP_1)
	v_fma_f64 v[218:219], -v[218:219], v[235:236], v[233:234]
	v_div_fmas_f64 v[218:219], v[218:219], v[222:223], v[235:236]
	s_delay_alu instid0(VALU_DEP_1) | instskip(NEXT) | instid1(VALU_DEP_1)
	v_div_fixup_f64 v[216:217], v[218:219], v[216:217], 1.0
	v_mul_f64 v[218:219], v[220:221], -v[216:217]
.LBB106_156:
	s_or_b32 exec_lo, exec_lo, s2
.LBB106_157:
	s_delay_alu instid0(SALU_CYCLE_1) | instskip(NEXT) | instid1(SALU_CYCLE_1)
	s_or_b32 exec_lo, exec_lo, s3
	s_mov_b32 s2, exec_lo
	v_cmpx_ne_u32_e64 v232, v224
	s_xor_b32 s2, exec_lo, s2
	s_cbranch_execz .LBB106_163
; %bb.158:
	s_mov_b32 s3, exec_lo
	v_cmpx_eq_u32_e32 7, v232
	s_cbranch_execz .LBB106_162
; %bb.159:
	v_cmp_ne_u32_e32 vcc_lo, 7, v224
	s_xor_b32 s6, s4, -1
	s_delay_alu instid0(SALU_CYCLE_1) | instskip(NEXT) | instid1(SALU_CYCLE_1)
	s_and_b32 s7, s6, vcc_lo
	s_and_saveexec_b32 s6, s7
	s_cbranch_execz .LBB106_161
; %bb.160:
	v_ashrrev_i32_e32 v225, 31, v224
	s_delay_alu instid0(VALU_DEP_1) | instskip(NEXT) | instid1(VALU_DEP_1)
	v_lshlrev_b64 v[220:221], 2, v[224:225]
	v_add_co_u32 v220, vcc_lo, v214, v220
	s_delay_alu instid0(VALU_DEP_2)
	v_add_co_ci_u32_e32 v221, vcc_lo, v215, v221, vcc_lo
	s_clause 0x1
	flat_load_b32 v222, v[220:221]
	flat_load_b32 v223, v[214:215] offset:28
	s_waitcnt vmcnt(1) lgkmcnt(1)
	flat_store_b32 v[214:215], v222 offset:28
	s_waitcnt vmcnt(0) lgkmcnt(1)
	flat_store_b32 v[220:221], v223
.LBB106_161:
	s_or_b32 exec_lo, exec_lo, s6
	v_mov_b32_e32 v232, v224
	v_mov_b32_e32 v231, v224
.LBB106_162:
	s_or_b32 exec_lo, exec_lo, s3
.LBB106_163:
	s_and_not1_saveexec_b32 s2, s2
	s_cbranch_execz .LBB106_165
; %bb.164:
	v_mov_b32_e32 v232, 7
	ds_store_2addr_b64 v226, v[180:181], v[182:183] offset0:16 offset1:17
	ds_store_2addr_b64 v226, v[176:177], v[178:179] offset0:18 offset1:19
	;; [unrolled: 1-line block ×46, first 2 shown]
.LBB106_165:
	s_or_b32 exec_lo, exec_lo, s2
	s_delay_alu instid0(SALU_CYCLE_1)
	s_mov_b32 s2, exec_lo
	s_waitcnt lgkmcnt(0)
	s_waitcnt_vscnt null, 0x0
	s_barrier
	buffer_gl0_inv
	v_cmpx_lt_i32_e32 7, v232
	s_cbranch_execz .LBB106_167
; %bb.166:
	v_mul_f64 v[220:221], v[218:219], v[186:187]
	v_mul_f64 v[186:187], v[216:217], v[186:187]
	s_delay_alu instid0(VALU_DEP_2) | instskip(NEXT) | instid1(VALU_DEP_2)
	v_fma_f64 v[224:225], v[216:217], v[184:185], -v[220:221]
	v_fma_f64 v[186:187], v[218:219], v[184:185], v[186:187]
	ds_load_2addr_b64 v[216:219], v226 offset0:16 offset1:17
	s_waitcnt lgkmcnt(0)
	v_mul_f64 v[184:185], v[218:219], v[186:187]
	s_delay_alu instid0(VALU_DEP_1) | instskip(SKIP_1) | instid1(VALU_DEP_2)
	v_fma_f64 v[184:185], v[216:217], v[224:225], -v[184:185]
	v_mul_f64 v[216:217], v[216:217], v[186:187]
	v_add_f64 v[180:181], v[180:181], -v[184:185]
	s_delay_alu instid0(VALU_DEP_2) | instskip(NEXT) | instid1(VALU_DEP_1)
	v_fma_f64 v[216:217], v[218:219], v[224:225], v[216:217]
	v_add_f64 v[182:183], v[182:183], -v[216:217]
	ds_load_2addr_b64 v[216:219], v226 offset0:18 offset1:19
	s_waitcnt lgkmcnt(0)
	v_mul_f64 v[184:185], v[218:219], v[186:187]
	s_delay_alu instid0(VALU_DEP_1) | instskip(SKIP_1) | instid1(VALU_DEP_2)
	v_fma_f64 v[184:185], v[216:217], v[224:225], -v[184:185]
	v_mul_f64 v[216:217], v[216:217], v[186:187]
	v_add_f64 v[176:177], v[176:177], -v[184:185]
	s_delay_alu instid0(VALU_DEP_2) | instskip(NEXT) | instid1(VALU_DEP_1)
	v_fma_f64 v[216:217], v[218:219], v[224:225], v[216:217]
	v_add_f64 v[178:179], v[178:179], -v[216:217]
	;; [unrolled: 10-line block ×45, first 2 shown]
	ds_load_2addr_b64 v[216:219], v226 offset0:106 offset1:107
	s_waitcnt lgkmcnt(0)
	v_mul_f64 v[184:185], v[218:219], v[186:187]
	s_delay_alu instid0(VALU_DEP_1) | instskip(SKIP_1) | instid1(VALU_DEP_2)
	v_fma_f64 v[184:185], v[216:217], v[224:225], -v[184:185]
	v_mul_f64 v[216:217], v[216:217], v[186:187]
	v_add_f64 v[0:1], v[0:1], -v[184:185]
	s_delay_alu instid0(VALU_DEP_2) | instskip(SKIP_1) | instid1(VALU_DEP_2)
	v_fma_f64 v[216:217], v[218:219], v[224:225], v[216:217]
	v_dual_mov_b32 v184, v224 :: v_dual_mov_b32 v185, v225
	v_add_f64 v[2:3], v[2:3], -v[216:217]
.LBB106_167:
	s_or_b32 exec_lo, exec_lo, s2
	v_lshl_add_u32 v216, v232, 4, v226
	s_barrier
	buffer_gl0_inv
	v_mov_b32_e32 v224, 8
	ds_store_2addr_b64 v216, v[180:181], v[182:183] offset1:1
	s_waitcnt lgkmcnt(0)
	s_barrier
	buffer_gl0_inv
	ds_load_2addr_b64 v[216:219], v226 offset0:16 offset1:17
	s_cmp_lt_i32 s5, 10
	s_cbranch_scc1 .LBB106_170
; %bb.168:
	v_add3_u32 v225, v230, 0, 0x90
	v_mov_b32_e32 v224, 8
	s_mov_b32 s6, 9
	s_set_inst_prefetch_distance 0x1
	.p2align	6
.LBB106_169:                            ; =>This Inner Loop Header: Depth=1
	ds_load_2addr_b64 v[233:236], v225 offset1:1
	s_waitcnt lgkmcnt(1)
	v_cmp_gt_f64_e32 vcc_lo, 0, v[216:217]
	v_xor_b32_e32 v220, 0x80000000, v217
	v_cmp_gt_f64_e64 s2, 0, v[218:219]
	v_xor_b32_e32 v222, 0x80000000, v219
	v_add_nc_u32_e32 v225, 16, v225
	s_waitcnt lgkmcnt(0)
	v_cmp_gt_f64_e64 s3, 0, v[233:234]
	v_mov_b32_e32 v237, v233
	v_mov_b32_e32 v239, v235
	v_cndmask_b32_e32 v221, v217, v220, vcc_lo
	v_xor_b32_e32 v220, 0x80000000, v234
	v_cndmask_b32_e64 v223, v219, v222, s2
	v_xor_b32_e32 v222, 0x80000000, v236
	s_delay_alu instid0(VALU_DEP_3) | instskip(SKIP_2) | instid1(VALU_DEP_2)
	v_cndmask_b32_e64 v238, v234, v220, s3
	v_cmp_gt_f64_e64 s3, 0, v[235:236]
	v_cndmask_b32_e32 v220, v216, v216, vcc_lo
	v_cndmask_b32_e64 v240, v236, v222, s3
	v_cndmask_b32_e64 v222, v218, v218, s2
	s_delay_alu instid0(VALU_DEP_2) | instskip(NEXT) | instid1(VALU_DEP_2)
	v_add_f64 v[237:238], v[237:238], v[239:240]
	v_add_f64 v[220:221], v[220:221], v[222:223]
	s_delay_alu instid0(VALU_DEP_1) | instskip(SKIP_4) | instid1(SALU_CYCLE_1)
	v_cmp_lt_f64_e32 vcc_lo, v[220:221], v[237:238]
	v_dual_cndmask_b32 v216, v216, v233 :: v_dual_cndmask_b32 v217, v217, v234
	v_dual_cndmask_b32 v219, v219, v236 :: v_dual_cndmask_b32 v218, v218, v235
	v_cndmask_b32_e64 v224, v224, s6, vcc_lo
	s_add_i32 s6, s6, 1
	s_cmp_lg_u32 s5, s6
	s_cbranch_scc1 .LBB106_169
.LBB106_170:
	s_set_inst_prefetch_distance 0x2
	s_waitcnt lgkmcnt(0)
	v_cmp_eq_f64_e32 vcc_lo, 0, v[216:217]
	v_cmp_eq_f64_e64 s2, 0, v[218:219]
	s_delay_alu instid0(VALU_DEP_1) | instskip(NEXT) | instid1(SALU_CYCLE_1)
	s_and_b32 s2, vcc_lo, s2
	s_and_saveexec_b32 s3, s2
	s_delay_alu instid0(SALU_CYCLE_1)
	s_xor_b32 s2, exec_lo, s3
; %bb.171:
	v_cmp_ne_u32_e32 vcc_lo, 0, v229
	v_cndmask_b32_e32 v229, 9, v229, vcc_lo
; %bb.172:
	s_and_not1_saveexec_b32 s3, s2
	s_cbranch_execz .LBB106_178
; %bb.173:
	v_cmp_gt_f64_e32 vcc_lo, 0, v[216:217]
	v_cmp_gt_f64_e64 s2, 0, v[218:219]
	v_xor_b32_e32 v220, 0x80000000, v217
	v_xor_b32_e32 v222, 0x80000000, v219
	s_delay_alu instid0(VALU_DEP_2) | instskip(NEXT) | instid1(VALU_DEP_2)
	v_cndmask_b32_e32 v221, v217, v220, vcc_lo
	v_cndmask_b32_e64 v223, v219, v222, s2
	v_cndmask_b32_e32 v220, v216, v216, vcc_lo
	v_cndmask_b32_e64 v222, v218, v218, s2
	s_mov_b32 s2, exec_lo
	s_delay_alu instid0(VALU_DEP_1)
	v_cmpx_ngt_f64_e32 v[220:221], v[222:223]
	s_xor_b32 s2, exec_lo, s2
	s_cbranch_execz .LBB106_175
; %bb.174:
	v_div_scale_f64 v[220:221], null, v[218:219], v[218:219], v[216:217]
	v_div_scale_f64 v[235:236], vcc_lo, v[216:217], v[218:219], v[216:217]
	s_delay_alu instid0(VALU_DEP_2) | instskip(SKIP_2) | instid1(VALU_DEP_1)
	v_rcp_f64_e32 v[222:223], v[220:221]
	s_waitcnt_depctr 0xfff
	v_fma_f64 v[233:234], -v[220:221], v[222:223], 1.0
	v_fma_f64 v[222:223], v[222:223], v[233:234], v[222:223]
	s_delay_alu instid0(VALU_DEP_1) | instskip(NEXT) | instid1(VALU_DEP_1)
	v_fma_f64 v[233:234], -v[220:221], v[222:223], 1.0
	v_fma_f64 v[222:223], v[222:223], v[233:234], v[222:223]
	s_delay_alu instid0(VALU_DEP_1) | instskip(NEXT) | instid1(VALU_DEP_1)
	v_mul_f64 v[233:234], v[235:236], v[222:223]
	v_fma_f64 v[220:221], -v[220:221], v[233:234], v[235:236]
	s_delay_alu instid0(VALU_DEP_1) | instskip(NEXT) | instid1(VALU_DEP_1)
	v_div_fmas_f64 v[220:221], v[220:221], v[222:223], v[233:234]
	v_div_fixup_f64 v[220:221], v[220:221], v[218:219], v[216:217]
	s_delay_alu instid0(VALU_DEP_1) | instskip(NEXT) | instid1(VALU_DEP_1)
	v_fma_f64 v[216:217], v[216:217], v[220:221], v[218:219]
	v_div_scale_f64 v[218:219], null, v[216:217], v[216:217], 1.0
	s_delay_alu instid0(VALU_DEP_1) | instskip(SKIP_2) | instid1(VALU_DEP_1)
	v_rcp_f64_e32 v[222:223], v[218:219]
	s_waitcnt_depctr 0xfff
	v_fma_f64 v[233:234], -v[218:219], v[222:223], 1.0
	v_fma_f64 v[222:223], v[222:223], v[233:234], v[222:223]
	s_delay_alu instid0(VALU_DEP_1) | instskip(NEXT) | instid1(VALU_DEP_1)
	v_fma_f64 v[233:234], -v[218:219], v[222:223], 1.0
	v_fma_f64 v[222:223], v[222:223], v[233:234], v[222:223]
	v_div_scale_f64 v[233:234], vcc_lo, 1.0, v[216:217], 1.0
	s_delay_alu instid0(VALU_DEP_1) | instskip(NEXT) | instid1(VALU_DEP_1)
	v_mul_f64 v[235:236], v[233:234], v[222:223]
	v_fma_f64 v[218:219], -v[218:219], v[235:236], v[233:234]
	s_delay_alu instid0(VALU_DEP_1) | instskip(NEXT) | instid1(VALU_DEP_1)
	v_div_fmas_f64 v[218:219], v[218:219], v[222:223], v[235:236]
	v_div_fixup_f64 v[218:219], v[218:219], v[216:217], 1.0
	s_delay_alu instid0(VALU_DEP_1)
	v_mul_f64 v[216:217], v[220:221], v[218:219]
	v_xor_b32_e32 v219, 0x80000000, v219
.LBB106_175:
	s_and_not1_saveexec_b32 s2, s2
	s_cbranch_execz .LBB106_177
; %bb.176:
	s_delay_alu instid0(VALU_DEP_1) | instskip(SKIP_1) | instid1(VALU_DEP_2)
	v_div_scale_f64 v[220:221], null, v[216:217], v[216:217], v[218:219]
	v_div_scale_f64 v[235:236], vcc_lo, v[218:219], v[216:217], v[218:219]
	v_rcp_f64_e32 v[222:223], v[220:221]
	s_waitcnt_depctr 0xfff
	v_fma_f64 v[233:234], -v[220:221], v[222:223], 1.0
	s_delay_alu instid0(VALU_DEP_1) | instskip(NEXT) | instid1(VALU_DEP_1)
	v_fma_f64 v[222:223], v[222:223], v[233:234], v[222:223]
	v_fma_f64 v[233:234], -v[220:221], v[222:223], 1.0
	s_delay_alu instid0(VALU_DEP_1) | instskip(NEXT) | instid1(VALU_DEP_1)
	v_fma_f64 v[222:223], v[222:223], v[233:234], v[222:223]
	v_mul_f64 v[233:234], v[235:236], v[222:223]
	s_delay_alu instid0(VALU_DEP_1) | instskip(NEXT) | instid1(VALU_DEP_1)
	v_fma_f64 v[220:221], -v[220:221], v[233:234], v[235:236]
	v_div_fmas_f64 v[220:221], v[220:221], v[222:223], v[233:234]
	s_delay_alu instid0(VALU_DEP_1) | instskip(NEXT) | instid1(VALU_DEP_1)
	v_div_fixup_f64 v[220:221], v[220:221], v[216:217], v[218:219]
	v_fma_f64 v[216:217], v[218:219], v[220:221], v[216:217]
	s_delay_alu instid0(VALU_DEP_1) | instskip(NEXT) | instid1(VALU_DEP_1)
	v_div_scale_f64 v[218:219], null, v[216:217], v[216:217], 1.0
	v_rcp_f64_e32 v[222:223], v[218:219]
	s_waitcnt_depctr 0xfff
	v_fma_f64 v[233:234], -v[218:219], v[222:223], 1.0
	s_delay_alu instid0(VALU_DEP_1) | instskip(NEXT) | instid1(VALU_DEP_1)
	v_fma_f64 v[222:223], v[222:223], v[233:234], v[222:223]
	v_fma_f64 v[233:234], -v[218:219], v[222:223], 1.0
	s_delay_alu instid0(VALU_DEP_1) | instskip(SKIP_1) | instid1(VALU_DEP_1)
	v_fma_f64 v[222:223], v[222:223], v[233:234], v[222:223]
	v_div_scale_f64 v[233:234], vcc_lo, 1.0, v[216:217], 1.0
	v_mul_f64 v[235:236], v[233:234], v[222:223]
	s_delay_alu instid0(VALU_DEP_1) | instskip(NEXT) | instid1(VALU_DEP_1)
	v_fma_f64 v[218:219], -v[218:219], v[235:236], v[233:234]
	v_div_fmas_f64 v[218:219], v[218:219], v[222:223], v[235:236]
	s_delay_alu instid0(VALU_DEP_1) | instskip(NEXT) | instid1(VALU_DEP_1)
	v_div_fixup_f64 v[216:217], v[218:219], v[216:217], 1.0
	v_mul_f64 v[218:219], v[220:221], -v[216:217]
.LBB106_177:
	s_or_b32 exec_lo, exec_lo, s2
.LBB106_178:
	s_delay_alu instid0(SALU_CYCLE_1) | instskip(NEXT) | instid1(SALU_CYCLE_1)
	s_or_b32 exec_lo, exec_lo, s3
	s_mov_b32 s2, exec_lo
	v_cmpx_ne_u32_e64 v232, v224
	s_xor_b32 s2, exec_lo, s2
	s_cbranch_execz .LBB106_184
; %bb.179:
	s_mov_b32 s3, exec_lo
	v_cmpx_eq_u32_e32 8, v232
	s_cbranch_execz .LBB106_183
; %bb.180:
	v_cmp_ne_u32_e32 vcc_lo, 8, v224
	s_xor_b32 s6, s4, -1
	s_delay_alu instid0(SALU_CYCLE_1) | instskip(NEXT) | instid1(SALU_CYCLE_1)
	s_and_b32 s7, s6, vcc_lo
	s_and_saveexec_b32 s6, s7
	s_cbranch_execz .LBB106_182
; %bb.181:
	v_ashrrev_i32_e32 v225, 31, v224
	s_delay_alu instid0(VALU_DEP_1) | instskip(NEXT) | instid1(VALU_DEP_1)
	v_lshlrev_b64 v[220:221], 2, v[224:225]
	v_add_co_u32 v220, vcc_lo, v214, v220
	s_delay_alu instid0(VALU_DEP_2)
	v_add_co_ci_u32_e32 v221, vcc_lo, v215, v221, vcc_lo
	s_clause 0x1
	flat_load_b32 v222, v[220:221]
	flat_load_b32 v223, v[214:215] offset:32
	s_waitcnt vmcnt(1) lgkmcnt(1)
	flat_store_b32 v[214:215], v222 offset:32
	s_waitcnt vmcnt(0) lgkmcnt(1)
	flat_store_b32 v[220:221], v223
.LBB106_182:
	s_or_b32 exec_lo, exec_lo, s6
	v_mov_b32_e32 v232, v224
	v_mov_b32_e32 v231, v224
.LBB106_183:
	s_or_b32 exec_lo, exec_lo, s3
.LBB106_184:
	s_and_not1_saveexec_b32 s2, s2
	s_cbranch_execz .LBB106_186
; %bb.185:
	v_mov_b32_e32 v232, 8
	ds_store_2addr_b64 v226, v[176:177], v[178:179] offset0:18 offset1:19
	ds_store_2addr_b64 v226, v[172:173], v[174:175] offset0:20 offset1:21
	;; [unrolled: 1-line block ×45, first 2 shown]
.LBB106_186:
	s_or_b32 exec_lo, exec_lo, s2
	s_delay_alu instid0(SALU_CYCLE_1)
	s_mov_b32 s2, exec_lo
	s_waitcnt lgkmcnt(0)
	s_waitcnt_vscnt null, 0x0
	s_barrier
	buffer_gl0_inv
	v_cmpx_lt_i32_e32 8, v232
	s_cbranch_execz .LBB106_188
; %bb.187:
	v_mul_f64 v[220:221], v[218:219], v[182:183]
	v_mul_f64 v[182:183], v[216:217], v[182:183]
	s_delay_alu instid0(VALU_DEP_2) | instskip(NEXT) | instid1(VALU_DEP_2)
	v_fma_f64 v[224:225], v[216:217], v[180:181], -v[220:221]
	v_fma_f64 v[182:183], v[218:219], v[180:181], v[182:183]
	ds_load_2addr_b64 v[216:219], v226 offset0:18 offset1:19
	s_waitcnt lgkmcnt(0)
	v_mul_f64 v[180:181], v[218:219], v[182:183]
	s_delay_alu instid0(VALU_DEP_1) | instskip(SKIP_1) | instid1(VALU_DEP_2)
	v_fma_f64 v[180:181], v[216:217], v[224:225], -v[180:181]
	v_mul_f64 v[216:217], v[216:217], v[182:183]
	v_add_f64 v[176:177], v[176:177], -v[180:181]
	s_delay_alu instid0(VALU_DEP_2) | instskip(NEXT) | instid1(VALU_DEP_1)
	v_fma_f64 v[216:217], v[218:219], v[224:225], v[216:217]
	v_add_f64 v[178:179], v[178:179], -v[216:217]
	ds_load_2addr_b64 v[216:219], v226 offset0:20 offset1:21
	s_waitcnt lgkmcnt(0)
	v_mul_f64 v[180:181], v[218:219], v[182:183]
	s_delay_alu instid0(VALU_DEP_1) | instskip(SKIP_1) | instid1(VALU_DEP_2)
	v_fma_f64 v[180:181], v[216:217], v[224:225], -v[180:181]
	v_mul_f64 v[216:217], v[216:217], v[182:183]
	v_add_f64 v[172:173], v[172:173], -v[180:181]
	s_delay_alu instid0(VALU_DEP_2) | instskip(NEXT) | instid1(VALU_DEP_1)
	v_fma_f64 v[216:217], v[218:219], v[224:225], v[216:217]
	v_add_f64 v[174:175], v[174:175], -v[216:217]
	;; [unrolled: 10-line block ×44, first 2 shown]
	ds_load_2addr_b64 v[216:219], v226 offset0:106 offset1:107
	s_waitcnt lgkmcnt(0)
	v_mul_f64 v[180:181], v[218:219], v[182:183]
	s_delay_alu instid0(VALU_DEP_1) | instskip(SKIP_1) | instid1(VALU_DEP_2)
	v_fma_f64 v[180:181], v[216:217], v[224:225], -v[180:181]
	v_mul_f64 v[216:217], v[216:217], v[182:183]
	v_add_f64 v[0:1], v[0:1], -v[180:181]
	s_delay_alu instid0(VALU_DEP_2) | instskip(SKIP_1) | instid1(VALU_DEP_2)
	v_fma_f64 v[216:217], v[218:219], v[224:225], v[216:217]
	v_dual_mov_b32 v180, v224 :: v_dual_mov_b32 v181, v225
	v_add_f64 v[2:3], v[2:3], -v[216:217]
.LBB106_188:
	s_or_b32 exec_lo, exec_lo, s2
	v_lshl_add_u32 v216, v232, 4, v226
	s_barrier
	buffer_gl0_inv
	v_mov_b32_e32 v224, 9
	ds_store_2addr_b64 v216, v[176:177], v[178:179] offset1:1
	s_waitcnt lgkmcnt(0)
	s_barrier
	buffer_gl0_inv
	ds_load_2addr_b64 v[216:219], v226 offset0:18 offset1:19
	s_cmp_lt_i32 s5, 11
	s_cbranch_scc1 .LBB106_191
; %bb.189:
	v_add3_u32 v225, v230, 0, 0xa0
	v_mov_b32_e32 v224, 9
	s_mov_b32 s6, 10
	s_set_inst_prefetch_distance 0x1
	.p2align	6
.LBB106_190:                            ; =>This Inner Loop Header: Depth=1
	ds_load_2addr_b64 v[233:236], v225 offset1:1
	s_waitcnt lgkmcnt(1)
	v_cmp_gt_f64_e32 vcc_lo, 0, v[216:217]
	v_xor_b32_e32 v220, 0x80000000, v217
	v_cmp_gt_f64_e64 s2, 0, v[218:219]
	v_xor_b32_e32 v222, 0x80000000, v219
	v_add_nc_u32_e32 v225, 16, v225
	s_waitcnt lgkmcnt(0)
	v_cmp_gt_f64_e64 s3, 0, v[233:234]
	v_mov_b32_e32 v237, v233
	v_mov_b32_e32 v239, v235
	v_cndmask_b32_e32 v221, v217, v220, vcc_lo
	v_xor_b32_e32 v220, 0x80000000, v234
	v_cndmask_b32_e64 v223, v219, v222, s2
	v_xor_b32_e32 v222, 0x80000000, v236
	s_delay_alu instid0(VALU_DEP_3) | instskip(SKIP_2) | instid1(VALU_DEP_2)
	v_cndmask_b32_e64 v238, v234, v220, s3
	v_cmp_gt_f64_e64 s3, 0, v[235:236]
	v_cndmask_b32_e32 v220, v216, v216, vcc_lo
	v_cndmask_b32_e64 v240, v236, v222, s3
	v_cndmask_b32_e64 v222, v218, v218, s2
	s_delay_alu instid0(VALU_DEP_2) | instskip(NEXT) | instid1(VALU_DEP_2)
	v_add_f64 v[237:238], v[237:238], v[239:240]
	v_add_f64 v[220:221], v[220:221], v[222:223]
	s_delay_alu instid0(VALU_DEP_1) | instskip(SKIP_4) | instid1(SALU_CYCLE_1)
	v_cmp_lt_f64_e32 vcc_lo, v[220:221], v[237:238]
	v_dual_cndmask_b32 v216, v216, v233 :: v_dual_cndmask_b32 v217, v217, v234
	v_dual_cndmask_b32 v219, v219, v236 :: v_dual_cndmask_b32 v218, v218, v235
	v_cndmask_b32_e64 v224, v224, s6, vcc_lo
	s_add_i32 s6, s6, 1
	s_cmp_lg_u32 s5, s6
	s_cbranch_scc1 .LBB106_190
.LBB106_191:
	s_set_inst_prefetch_distance 0x2
	s_waitcnt lgkmcnt(0)
	v_cmp_eq_f64_e32 vcc_lo, 0, v[216:217]
	v_cmp_eq_f64_e64 s2, 0, v[218:219]
	s_delay_alu instid0(VALU_DEP_1) | instskip(NEXT) | instid1(SALU_CYCLE_1)
	s_and_b32 s2, vcc_lo, s2
	s_and_saveexec_b32 s3, s2
	s_delay_alu instid0(SALU_CYCLE_1)
	s_xor_b32 s2, exec_lo, s3
; %bb.192:
	v_cmp_ne_u32_e32 vcc_lo, 0, v229
	v_cndmask_b32_e32 v229, 10, v229, vcc_lo
; %bb.193:
	s_and_not1_saveexec_b32 s3, s2
	s_cbranch_execz .LBB106_199
; %bb.194:
	v_cmp_gt_f64_e32 vcc_lo, 0, v[216:217]
	v_cmp_gt_f64_e64 s2, 0, v[218:219]
	v_xor_b32_e32 v220, 0x80000000, v217
	v_xor_b32_e32 v222, 0x80000000, v219
	s_delay_alu instid0(VALU_DEP_2) | instskip(NEXT) | instid1(VALU_DEP_2)
	v_cndmask_b32_e32 v221, v217, v220, vcc_lo
	v_cndmask_b32_e64 v223, v219, v222, s2
	v_cndmask_b32_e32 v220, v216, v216, vcc_lo
	v_cndmask_b32_e64 v222, v218, v218, s2
	s_mov_b32 s2, exec_lo
	s_delay_alu instid0(VALU_DEP_1)
	v_cmpx_ngt_f64_e32 v[220:221], v[222:223]
	s_xor_b32 s2, exec_lo, s2
	s_cbranch_execz .LBB106_196
; %bb.195:
	v_div_scale_f64 v[220:221], null, v[218:219], v[218:219], v[216:217]
	v_div_scale_f64 v[235:236], vcc_lo, v[216:217], v[218:219], v[216:217]
	s_delay_alu instid0(VALU_DEP_2) | instskip(SKIP_2) | instid1(VALU_DEP_1)
	v_rcp_f64_e32 v[222:223], v[220:221]
	s_waitcnt_depctr 0xfff
	v_fma_f64 v[233:234], -v[220:221], v[222:223], 1.0
	v_fma_f64 v[222:223], v[222:223], v[233:234], v[222:223]
	s_delay_alu instid0(VALU_DEP_1) | instskip(NEXT) | instid1(VALU_DEP_1)
	v_fma_f64 v[233:234], -v[220:221], v[222:223], 1.0
	v_fma_f64 v[222:223], v[222:223], v[233:234], v[222:223]
	s_delay_alu instid0(VALU_DEP_1) | instskip(NEXT) | instid1(VALU_DEP_1)
	v_mul_f64 v[233:234], v[235:236], v[222:223]
	v_fma_f64 v[220:221], -v[220:221], v[233:234], v[235:236]
	s_delay_alu instid0(VALU_DEP_1) | instskip(NEXT) | instid1(VALU_DEP_1)
	v_div_fmas_f64 v[220:221], v[220:221], v[222:223], v[233:234]
	v_div_fixup_f64 v[220:221], v[220:221], v[218:219], v[216:217]
	s_delay_alu instid0(VALU_DEP_1) | instskip(NEXT) | instid1(VALU_DEP_1)
	v_fma_f64 v[216:217], v[216:217], v[220:221], v[218:219]
	v_div_scale_f64 v[218:219], null, v[216:217], v[216:217], 1.0
	s_delay_alu instid0(VALU_DEP_1) | instskip(SKIP_2) | instid1(VALU_DEP_1)
	v_rcp_f64_e32 v[222:223], v[218:219]
	s_waitcnt_depctr 0xfff
	v_fma_f64 v[233:234], -v[218:219], v[222:223], 1.0
	v_fma_f64 v[222:223], v[222:223], v[233:234], v[222:223]
	s_delay_alu instid0(VALU_DEP_1) | instskip(NEXT) | instid1(VALU_DEP_1)
	v_fma_f64 v[233:234], -v[218:219], v[222:223], 1.0
	v_fma_f64 v[222:223], v[222:223], v[233:234], v[222:223]
	v_div_scale_f64 v[233:234], vcc_lo, 1.0, v[216:217], 1.0
	s_delay_alu instid0(VALU_DEP_1) | instskip(NEXT) | instid1(VALU_DEP_1)
	v_mul_f64 v[235:236], v[233:234], v[222:223]
	v_fma_f64 v[218:219], -v[218:219], v[235:236], v[233:234]
	s_delay_alu instid0(VALU_DEP_1) | instskip(NEXT) | instid1(VALU_DEP_1)
	v_div_fmas_f64 v[218:219], v[218:219], v[222:223], v[235:236]
	v_div_fixup_f64 v[218:219], v[218:219], v[216:217], 1.0
	s_delay_alu instid0(VALU_DEP_1)
	v_mul_f64 v[216:217], v[220:221], v[218:219]
	v_xor_b32_e32 v219, 0x80000000, v219
.LBB106_196:
	s_and_not1_saveexec_b32 s2, s2
	s_cbranch_execz .LBB106_198
; %bb.197:
	s_delay_alu instid0(VALU_DEP_1) | instskip(SKIP_1) | instid1(VALU_DEP_2)
	v_div_scale_f64 v[220:221], null, v[216:217], v[216:217], v[218:219]
	v_div_scale_f64 v[235:236], vcc_lo, v[218:219], v[216:217], v[218:219]
	v_rcp_f64_e32 v[222:223], v[220:221]
	s_waitcnt_depctr 0xfff
	v_fma_f64 v[233:234], -v[220:221], v[222:223], 1.0
	s_delay_alu instid0(VALU_DEP_1) | instskip(NEXT) | instid1(VALU_DEP_1)
	v_fma_f64 v[222:223], v[222:223], v[233:234], v[222:223]
	v_fma_f64 v[233:234], -v[220:221], v[222:223], 1.0
	s_delay_alu instid0(VALU_DEP_1) | instskip(NEXT) | instid1(VALU_DEP_1)
	v_fma_f64 v[222:223], v[222:223], v[233:234], v[222:223]
	v_mul_f64 v[233:234], v[235:236], v[222:223]
	s_delay_alu instid0(VALU_DEP_1) | instskip(NEXT) | instid1(VALU_DEP_1)
	v_fma_f64 v[220:221], -v[220:221], v[233:234], v[235:236]
	v_div_fmas_f64 v[220:221], v[220:221], v[222:223], v[233:234]
	s_delay_alu instid0(VALU_DEP_1) | instskip(NEXT) | instid1(VALU_DEP_1)
	v_div_fixup_f64 v[220:221], v[220:221], v[216:217], v[218:219]
	v_fma_f64 v[216:217], v[218:219], v[220:221], v[216:217]
	s_delay_alu instid0(VALU_DEP_1) | instskip(NEXT) | instid1(VALU_DEP_1)
	v_div_scale_f64 v[218:219], null, v[216:217], v[216:217], 1.0
	v_rcp_f64_e32 v[222:223], v[218:219]
	s_waitcnt_depctr 0xfff
	v_fma_f64 v[233:234], -v[218:219], v[222:223], 1.0
	s_delay_alu instid0(VALU_DEP_1) | instskip(NEXT) | instid1(VALU_DEP_1)
	v_fma_f64 v[222:223], v[222:223], v[233:234], v[222:223]
	v_fma_f64 v[233:234], -v[218:219], v[222:223], 1.0
	s_delay_alu instid0(VALU_DEP_1) | instskip(SKIP_1) | instid1(VALU_DEP_1)
	v_fma_f64 v[222:223], v[222:223], v[233:234], v[222:223]
	v_div_scale_f64 v[233:234], vcc_lo, 1.0, v[216:217], 1.0
	v_mul_f64 v[235:236], v[233:234], v[222:223]
	s_delay_alu instid0(VALU_DEP_1) | instskip(NEXT) | instid1(VALU_DEP_1)
	v_fma_f64 v[218:219], -v[218:219], v[235:236], v[233:234]
	v_div_fmas_f64 v[218:219], v[218:219], v[222:223], v[235:236]
	s_delay_alu instid0(VALU_DEP_1) | instskip(NEXT) | instid1(VALU_DEP_1)
	v_div_fixup_f64 v[216:217], v[218:219], v[216:217], 1.0
	v_mul_f64 v[218:219], v[220:221], -v[216:217]
.LBB106_198:
	s_or_b32 exec_lo, exec_lo, s2
.LBB106_199:
	s_delay_alu instid0(SALU_CYCLE_1) | instskip(NEXT) | instid1(SALU_CYCLE_1)
	s_or_b32 exec_lo, exec_lo, s3
	s_mov_b32 s2, exec_lo
	v_cmpx_ne_u32_e64 v232, v224
	s_xor_b32 s2, exec_lo, s2
	s_cbranch_execz .LBB106_205
; %bb.200:
	s_mov_b32 s3, exec_lo
	v_cmpx_eq_u32_e32 9, v232
	s_cbranch_execz .LBB106_204
; %bb.201:
	v_cmp_ne_u32_e32 vcc_lo, 9, v224
	s_xor_b32 s6, s4, -1
	s_delay_alu instid0(SALU_CYCLE_1) | instskip(NEXT) | instid1(SALU_CYCLE_1)
	s_and_b32 s7, s6, vcc_lo
	s_and_saveexec_b32 s6, s7
	s_cbranch_execz .LBB106_203
; %bb.202:
	v_ashrrev_i32_e32 v225, 31, v224
	s_delay_alu instid0(VALU_DEP_1) | instskip(NEXT) | instid1(VALU_DEP_1)
	v_lshlrev_b64 v[220:221], 2, v[224:225]
	v_add_co_u32 v220, vcc_lo, v214, v220
	s_delay_alu instid0(VALU_DEP_2)
	v_add_co_ci_u32_e32 v221, vcc_lo, v215, v221, vcc_lo
	s_clause 0x1
	flat_load_b32 v222, v[220:221]
	flat_load_b32 v223, v[214:215] offset:36
	s_waitcnt vmcnt(1) lgkmcnt(1)
	flat_store_b32 v[214:215], v222 offset:36
	s_waitcnt vmcnt(0) lgkmcnt(1)
	flat_store_b32 v[220:221], v223
.LBB106_203:
	s_or_b32 exec_lo, exec_lo, s6
	v_mov_b32_e32 v232, v224
	v_mov_b32_e32 v231, v224
.LBB106_204:
	s_or_b32 exec_lo, exec_lo, s3
.LBB106_205:
	s_and_not1_saveexec_b32 s2, s2
	s_cbranch_execz .LBB106_207
; %bb.206:
	v_mov_b32_e32 v232, 9
	ds_store_2addr_b64 v226, v[172:173], v[174:175] offset0:20 offset1:21
	ds_store_2addr_b64 v226, v[168:169], v[170:171] offset0:22 offset1:23
	;; [unrolled: 1-line block ×44, first 2 shown]
.LBB106_207:
	s_or_b32 exec_lo, exec_lo, s2
	s_delay_alu instid0(SALU_CYCLE_1)
	s_mov_b32 s2, exec_lo
	s_waitcnt lgkmcnt(0)
	s_waitcnt_vscnt null, 0x0
	s_barrier
	buffer_gl0_inv
	v_cmpx_lt_i32_e32 9, v232
	s_cbranch_execz .LBB106_209
; %bb.208:
	v_mul_f64 v[220:221], v[218:219], v[178:179]
	v_mul_f64 v[178:179], v[216:217], v[178:179]
	s_delay_alu instid0(VALU_DEP_2) | instskip(NEXT) | instid1(VALU_DEP_2)
	v_fma_f64 v[224:225], v[216:217], v[176:177], -v[220:221]
	v_fma_f64 v[178:179], v[218:219], v[176:177], v[178:179]
	ds_load_2addr_b64 v[216:219], v226 offset0:20 offset1:21
	s_waitcnt lgkmcnt(0)
	v_mul_f64 v[176:177], v[218:219], v[178:179]
	s_delay_alu instid0(VALU_DEP_1) | instskip(SKIP_1) | instid1(VALU_DEP_2)
	v_fma_f64 v[176:177], v[216:217], v[224:225], -v[176:177]
	v_mul_f64 v[216:217], v[216:217], v[178:179]
	v_add_f64 v[172:173], v[172:173], -v[176:177]
	s_delay_alu instid0(VALU_DEP_2) | instskip(NEXT) | instid1(VALU_DEP_1)
	v_fma_f64 v[216:217], v[218:219], v[224:225], v[216:217]
	v_add_f64 v[174:175], v[174:175], -v[216:217]
	ds_load_2addr_b64 v[216:219], v226 offset0:22 offset1:23
	s_waitcnt lgkmcnt(0)
	v_mul_f64 v[176:177], v[218:219], v[178:179]
	s_delay_alu instid0(VALU_DEP_1) | instskip(SKIP_1) | instid1(VALU_DEP_2)
	v_fma_f64 v[176:177], v[216:217], v[224:225], -v[176:177]
	v_mul_f64 v[216:217], v[216:217], v[178:179]
	v_add_f64 v[168:169], v[168:169], -v[176:177]
	s_delay_alu instid0(VALU_DEP_2) | instskip(NEXT) | instid1(VALU_DEP_1)
	v_fma_f64 v[216:217], v[218:219], v[224:225], v[216:217]
	v_add_f64 v[170:171], v[170:171], -v[216:217]
	;; [unrolled: 10-line block ×43, first 2 shown]
	ds_load_2addr_b64 v[216:219], v226 offset0:106 offset1:107
	s_waitcnt lgkmcnt(0)
	v_mul_f64 v[176:177], v[218:219], v[178:179]
	s_delay_alu instid0(VALU_DEP_1) | instskip(SKIP_1) | instid1(VALU_DEP_2)
	v_fma_f64 v[176:177], v[216:217], v[224:225], -v[176:177]
	v_mul_f64 v[216:217], v[216:217], v[178:179]
	v_add_f64 v[0:1], v[0:1], -v[176:177]
	s_delay_alu instid0(VALU_DEP_2) | instskip(SKIP_1) | instid1(VALU_DEP_2)
	v_fma_f64 v[216:217], v[218:219], v[224:225], v[216:217]
	v_dual_mov_b32 v176, v224 :: v_dual_mov_b32 v177, v225
	v_add_f64 v[2:3], v[2:3], -v[216:217]
.LBB106_209:
	s_or_b32 exec_lo, exec_lo, s2
	v_lshl_add_u32 v216, v232, 4, v226
	s_barrier
	buffer_gl0_inv
	v_mov_b32_e32 v224, 10
	ds_store_2addr_b64 v216, v[172:173], v[174:175] offset1:1
	s_waitcnt lgkmcnt(0)
	s_barrier
	buffer_gl0_inv
	ds_load_2addr_b64 v[216:219], v226 offset0:20 offset1:21
	s_cmp_lt_i32 s5, 12
	s_cbranch_scc1 .LBB106_212
; %bb.210:
	v_add3_u32 v225, v230, 0, 0xb0
	v_mov_b32_e32 v224, 10
	s_mov_b32 s6, 11
	s_set_inst_prefetch_distance 0x1
	.p2align	6
.LBB106_211:                            ; =>This Inner Loop Header: Depth=1
	ds_load_2addr_b64 v[233:236], v225 offset1:1
	s_waitcnt lgkmcnt(1)
	v_cmp_gt_f64_e32 vcc_lo, 0, v[216:217]
	v_xor_b32_e32 v220, 0x80000000, v217
	v_cmp_gt_f64_e64 s2, 0, v[218:219]
	v_xor_b32_e32 v222, 0x80000000, v219
	v_add_nc_u32_e32 v225, 16, v225
	s_waitcnt lgkmcnt(0)
	v_cmp_gt_f64_e64 s3, 0, v[233:234]
	v_mov_b32_e32 v237, v233
	v_mov_b32_e32 v239, v235
	v_cndmask_b32_e32 v221, v217, v220, vcc_lo
	v_xor_b32_e32 v220, 0x80000000, v234
	v_cndmask_b32_e64 v223, v219, v222, s2
	v_xor_b32_e32 v222, 0x80000000, v236
	s_delay_alu instid0(VALU_DEP_3) | instskip(SKIP_2) | instid1(VALU_DEP_2)
	v_cndmask_b32_e64 v238, v234, v220, s3
	v_cmp_gt_f64_e64 s3, 0, v[235:236]
	v_cndmask_b32_e32 v220, v216, v216, vcc_lo
	v_cndmask_b32_e64 v240, v236, v222, s3
	v_cndmask_b32_e64 v222, v218, v218, s2
	s_delay_alu instid0(VALU_DEP_2) | instskip(NEXT) | instid1(VALU_DEP_2)
	v_add_f64 v[237:238], v[237:238], v[239:240]
	v_add_f64 v[220:221], v[220:221], v[222:223]
	s_delay_alu instid0(VALU_DEP_1) | instskip(SKIP_4) | instid1(SALU_CYCLE_1)
	v_cmp_lt_f64_e32 vcc_lo, v[220:221], v[237:238]
	v_dual_cndmask_b32 v216, v216, v233 :: v_dual_cndmask_b32 v217, v217, v234
	v_dual_cndmask_b32 v219, v219, v236 :: v_dual_cndmask_b32 v218, v218, v235
	v_cndmask_b32_e64 v224, v224, s6, vcc_lo
	s_add_i32 s6, s6, 1
	s_cmp_lg_u32 s5, s6
	s_cbranch_scc1 .LBB106_211
.LBB106_212:
	s_set_inst_prefetch_distance 0x2
	s_waitcnt lgkmcnt(0)
	v_cmp_eq_f64_e32 vcc_lo, 0, v[216:217]
	v_cmp_eq_f64_e64 s2, 0, v[218:219]
	s_delay_alu instid0(VALU_DEP_1) | instskip(NEXT) | instid1(SALU_CYCLE_1)
	s_and_b32 s2, vcc_lo, s2
	s_and_saveexec_b32 s3, s2
	s_delay_alu instid0(SALU_CYCLE_1)
	s_xor_b32 s2, exec_lo, s3
; %bb.213:
	v_cmp_ne_u32_e32 vcc_lo, 0, v229
	v_cndmask_b32_e32 v229, 11, v229, vcc_lo
; %bb.214:
	s_and_not1_saveexec_b32 s3, s2
	s_cbranch_execz .LBB106_220
; %bb.215:
	v_cmp_gt_f64_e32 vcc_lo, 0, v[216:217]
	v_cmp_gt_f64_e64 s2, 0, v[218:219]
	v_xor_b32_e32 v220, 0x80000000, v217
	v_xor_b32_e32 v222, 0x80000000, v219
	s_delay_alu instid0(VALU_DEP_2) | instskip(NEXT) | instid1(VALU_DEP_2)
	v_cndmask_b32_e32 v221, v217, v220, vcc_lo
	v_cndmask_b32_e64 v223, v219, v222, s2
	v_cndmask_b32_e32 v220, v216, v216, vcc_lo
	v_cndmask_b32_e64 v222, v218, v218, s2
	s_mov_b32 s2, exec_lo
	s_delay_alu instid0(VALU_DEP_1)
	v_cmpx_ngt_f64_e32 v[220:221], v[222:223]
	s_xor_b32 s2, exec_lo, s2
	s_cbranch_execz .LBB106_217
; %bb.216:
	v_div_scale_f64 v[220:221], null, v[218:219], v[218:219], v[216:217]
	v_div_scale_f64 v[235:236], vcc_lo, v[216:217], v[218:219], v[216:217]
	s_delay_alu instid0(VALU_DEP_2) | instskip(SKIP_2) | instid1(VALU_DEP_1)
	v_rcp_f64_e32 v[222:223], v[220:221]
	s_waitcnt_depctr 0xfff
	v_fma_f64 v[233:234], -v[220:221], v[222:223], 1.0
	v_fma_f64 v[222:223], v[222:223], v[233:234], v[222:223]
	s_delay_alu instid0(VALU_DEP_1) | instskip(NEXT) | instid1(VALU_DEP_1)
	v_fma_f64 v[233:234], -v[220:221], v[222:223], 1.0
	v_fma_f64 v[222:223], v[222:223], v[233:234], v[222:223]
	s_delay_alu instid0(VALU_DEP_1) | instskip(NEXT) | instid1(VALU_DEP_1)
	v_mul_f64 v[233:234], v[235:236], v[222:223]
	v_fma_f64 v[220:221], -v[220:221], v[233:234], v[235:236]
	s_delay_alu instid0(VALU_DEP_1) | instskip(NEXT) | instid1(VALU_DEP_1)
	v_div_fmas_f64 v[220:221], v[220:221], v[222:223], v[233:234]
	v_div_fixup_f64 v[220:221], v[220:221], v[218:219], v[216:217]
	s_delay_alu instid0(VALU_DEP_1) | instskip(NEXT) | instid1(VALU_DEP_1)
	v_fma_f64 v[216:217], v[216:217], v[220:221], v[218:219]
	v_div_scale_f64 v[218:219], null, v[216:217], v[216:217], 1.0
	s_delay_alu instid0(VALU_DEP_1) | instskip(SKIP_2) | instid1(VALU_DEP_1)
	v_rcp_f64_e32 v[222:223], v[218:219]
	s_waitcnt_depctr 0xfff
	v_fma_f64 v[233:234], -v[218:219], v[222:223], 1.0
	v_fma_f64 v[222:223], v[222:223], v[233:234], v[222:223]
	s_delay_alu instid0(VALU_DEP_1) | instskip(NEXT) | instid1(VALU_DEP_1)
	v_fma_f64 v[233:234], -v[218:219], v[222:223], 1.0
	v_fma_f64 v[222:223], v[222:223], v[233:234], v[222:223]
	v_div_scale_f64 v[233:234], vcc_lo, 1.0, v[216:217], 1.0
	s_delay_alu instid0(VALU_DEP_1) | instskip(NEXT) | instid1(VALU_DEP_1)
	v_mul_f64 v[235:236], v[233:234], v[222:223]
	v_fma_f64 v[218:219], -v[218:219], v[235:236], v[233:234]
	s_delay_alu instid0(VALU_DEP_1) | instskip(NEXT) | instid1(VALU_DEP_1)
	v_div_fmas_f64 v[218:219], v[218:219], v[222:223], v[235:236]
	v_div_fixup_f64 v[218:219], v[218:219], v[216:217], 1.0
	s_delay_alu instid0(VALU_DEP_1)
	v_mul_f64 v[216:217], v[220:221], v[218:219]
	v_xor_b32_e32 v219, 0x80000000, v219
.LBB106_217:
	s_and_not1_saveexec_b32 s2, s2
	s_cbranch_execz .LBB106_219
; %bb.218:
	s_delay_alu instid0(VALU_DEP_1) | instskip(SKIP_1) | instid1(VALU_DEP_2)
	v_div_scale_f64 v[220:221], null, v[216:217], v[216:217], v[218:219]
	v_div_scale_f64 v[235:236], vcc_lo, v[218:219], v[216:217], v[218:219]
	v_rcp_f64_e32 v[222:223], v[220:221]
	s_waitcnt_depctr 0xfff
	v_fma_f64 v[233:234], -v[220:221], v[222:223], 1.0
	s_delay_alu instid0(VALU_DEP_1) | instskip(NEXT) | instid1(VALU_DEP_1)
	v_fma_f64 v[222:223], v[222:223], v[233:234], v[222:223]
	v_fma_f64 v[233:234], -v[220:221], v[222:223], 1.0
	s_delay_alu instid0(VALU_DEP_1) | instskip(NEXT) | instid1(VALU_DEP_1)
	v_fma_f64 v[222:223], v[222:223], v[233:234], v[222:223]
	v_mul_f64 v[233:234], v[235:236], v[222:223]
	s_delay_alu instid0(VALU_DEP_1) | instskip(NEXT) | instid1(VALU_DEP_1)
	v_fma_f64 v[220:221], -v[220:221], v[233:234], v[235:236]
	v_div_fmas_f64 v[220:221], v[220:221], v[222:223], v[233:234]
	s_delay_alu instid0(VALU_DEP_1) | instskip(NEXT) | instid1(VALU_DEP_1)
	v_div_fixup_f64 v[220:221], v[220:221], v[216:217], v[218:219]
	v_fma_f64 v[216:217], v[218:219], v[220:221], v[216:217]
	s_delay_alu instid0(VALU_DEP_1) | instskip(NEXT) | instid1(VALU_DEP_1)
	v_div_scale_f64 v[218:219], null, v[216:217], v[216:217], 1.0
	v_rcp_f64_e32 v[222:223], v[218:219]
	s_waitcnt_depctr 0xfff
	v_fma_f64 v[233:234], -v[218:219], v[222:223], 1.0
	s_delay_alu instid0(VALU_DEP_1) | instskip(NEXT) | instid1(VALU_DEP_1)
	v_fma_f64 v[222:223], v[222:223], v[233:234], v[222:223]
	v_fma_f64 v[233:234], -v[218:219], v[222:223], 1.0
	s_delay_alu instid0(VALU_DEP_1) | instskip(SKIP_1) | instid1(VALU_DEP_1)
	v_fma_f64 v[222:223], v[222:223], v[233:234], v[222:223]
	v_div_scale_f64 v[233:234], vcc_lo, 1.0, v[216:217], 1.0
	v_mul_f64 v[235:236], v[233:234], v[222:223]
	s_delay_alu instid0(VALU_DEP_1) | instskip(NEXT) | instid1(VALU_DEP_1)
	v_fma_f64 v[218:219], -v[218:219], v[235:236], v[233:234]
	v_div_fmas_f64 v[218:219], v[218:219], v[222:223], v[235:236]
	s_delay_alu instid0(VALU_DEP_1) | instskip(NEXT) | instid1(VALU_DEP_1)
	v_div_fixup_f64 v[216:217], v[218:219], v[216:217], 1.0
	v_mul_f64 v[218:219], v[220:221], -v[216:217]
.LBB106_219:
	s_or_b32 exec_lo, exec_lo, s2
.LBB106_220:
	s_delay_alu instid0(SALU_CYCLE_1) | instskip(NEXT) | instid1(SALU_CYCLE_1)
	s_or_b32 exec_lo, exec_lo, s3
	s_mov_b32 s2, exec_lo
	v_cmpx_ne_u32_e64 v232, v224
	s_xor_b32 s2, exec_lo, s2
	s_cbranch_execz .LBB106_226
; %bb.221:
	s_mov_b32 s3, exec_lo
	v_cmpx_eq_u32_e32 10, v232
	s_cbranch_execz .LBB106_225
; %bb.222:
	v_cmp_ne_u32_e32 vcc_lo, 10, v224
	s_xor_b32 s6, s4, -1
	s_delay_alu instid0(SALU_CYCLE_1) | instskip(NEXT) | instid1(SALU_CYCLE_1)
	s_and_b32 s7, s6, vcc_lo
	s_and_saveexec_b32 s6, s7
	s_cbranch_execz .LBB106_224
; %bb.223:
	v_ashrrev_i32_e32 v225, 31, v224
	s_delay_alu instid0(VALU_DEP_1) | instskip(NEXT) | instid1(VALU_DEP_1)
	v_lshlrev_b64 v[220:221], 2, v[224:225]
	v_add_co_u32 v220, vcc_lo, v214, v220
	s_delay_alu instid0(VALU_DEP_2)
	v_add_co_ci_u32_e32 v221, vcc_lo, v215, v221, vcc_lo
	s_clause 0x1
	flat_load_b32 v222, v[220:221]
	flat_load_b32 v223, v[214:215] offset:40
	s_waitcnt vmcnt(1) lgkmcnt(1)
	flat_store_b32 v[214:215], v222 offset:40
	s_waitcnt vmcnt(0) lgkmcnt(1)
	flat_store_b32 v[220:221], v223
.LBB106_224:
	s_or_b32 exec_lo, exec_lo, s6
	v_mov_b32_e32 v232, v224
	v_mov_b32_e32 v231, v224
.LBB106_225:
	s_or_b32 exec_lo, exec_lo, s3
.LBB106_226:
	s_and_not1_saveexec_b32 s2, s2
	s_cbranch_execz .LBB106_228
; %bb.227:
	v_mov_b32_e32 v232, 10
	ds_store_2addr_b64 v226, v[168:169], v[170:171] offset0:22 offset1:23
	ds_store_2addr_b64 v226, v[164:165], v[166:167] offset0:24 offset1:25
	;; [unrolled: 1-line block ×43, first 2 shown]
.LBB106_228:
	s_or_b32 exec_lo, exec_lo, s2
	s_delay_alu instid0(SALU_CYCLE_1)
	s_mov_b32 s2, exec_lo
	s_waitcnt lgkmcnt(0)
	s_waitcnt_vscnt null, 0x0
	s_barrier
	buffer_gl0_inv
	v_cmpx_lt_i32_e32 10, v232
	s_cbranch_execz .LBB106_230
; %bb.229:
	v_mul_f64 v[220:221], v[218:219], v[174:175]
	v_mul_f64 v[174:175], v[216:217], v[174:175]
	s_delay_alu instid0(VALU_DEP_2) | instskip(NEXT) | instid1(VALU_DEP_2)
	v_fma_f64 v[224:225], v[216:217], v[172:173], -v[220:221]
	v_fma_f64 v[174:175], v[218:219], v[172:173], v[174:175]
	ds_load_2addr_b64 v[216:219], v226 offset0:22 offset1:23
	s_waitcnt lgkmcnt(0)
	v_mul_f64 v[172:173], v[218:219], v[174:175]
	s_delay_alu instid0(VALU_DEP_1) | instskip(SKIP_1) | instid1(VALU_DEP_2)
	v_fma_f64 v[172:173], v[216:217], v[224:225], -v[172:173]
	v_mul_f64 v[216:217], v[216:217], v[174:175]
	v_add_f64 v[168:169], v[168:169], -v[172:173]
	s_delay_alu instid0(VALU_DEP_2) | instskip(NEXT) | instid1(VALU_DEP_1)
	v_fma_f64 v[216:217], v[218:219], v[224:225], v[216:217]
	v_add_f64 v[170:171], v[170:171], -v[216:217]
	ds_load_2addr_b64 v[216:219], v226 offset0:24 offset1:25
	s_waitcnt lgkmcnt(0)
	v_mul_f64 v[172:173], v[218:219], v[174:175]
	s_delay_alu instid0(VALU_DEP_1) | instskip(SKIP_1) | instid1(VALU_DEP_2)
	v_fma_f64 v[172:173], v[216:217], v[224:225], -v[172:173]
	v_mul_f64 v[216:217], v[216:217], v[174:175]
	v_add_f64 v[164:165], v[164:165], -v[172:173]
	s_delay_alu instid0(VALU_DEP_2) | instskip(NEXT) | instid1(VALU_DEP_1)
	v_fma_f64 v[216:217], v[218:219], v[224:225], v[216:217]
	v_add_f64 v[166:167], v[166:167], -v[216:217]
	;; [unrolled: 10-line block ×42, first 2 shown]
	ds_load_2addr_b64 v[216:219], v226 offset0:106 offset1:107
	s_waitcnt lgkmcnt(0)
	v_mul_f64 v[172:173], v[218:219], v[174:175]
	s_delay_alu instid0(VALU_DEP_1) | instskip(SKIP_1) | instid1(VALU_DEP_2)
	v_fma_f64 v[172:173], v[216:217], v[224:225], -v[172:173]
	v_mul_f64 v[216:217], v[216:217], v[174:175]
	v_add_f64 v[0:1], v[0:1], -v[172:173]
	s_delay_alu instid0(VALU_DEP_2) | instskip(SKIP_1) | instid1(VALU_DEP_2)
	v_fma_f64 v[216:217], v[218:219], v[224:225], v[216:217]
	v_dual_mov_b32 v172, v224 :: v_dual_mov_b32 v173, v225
	v_add_f64 v[2:3], v[2:3], -v[216:217]
.LBB106_230:
	s_or_b32 exec_lo, exec_lo, s2
	v_lshl_add_u32 v216, v232, 4, v226
	s_barrier
	buffer_gl0_inv
	v_mov_b32_e32 v224, 11
	ds_store_2addr_b64 v216, v[168:169], v[170:171] offset1:1
	s_waitcnt lgkmcnt(0)
	s_barrier
	buffer_gl0_inv
	ds_load_2addr_b64 v[216:219], v226 offset0:22 offset1:23
	s_cmp_lt_i32 s5, 13
	s_cbranch_scc1 .LBB106_233
; %bb.231:
	v_add3_u32 v225, v230, 0, 0xc0
	v_mov_b32_e32 v224, 11
	s_mov_b32 s6, 12
	s_set_inst_prefetch_distance 0x1
	.p2align	6
.LBB106_232:                            ; =>This Inner Loop Header: Depth=1
	ds_load_2addr_b64 v[233:236], v225 offset1:1
	s_waitcnt lgkmcnt(1)
	v_cmp_gt_f64_e32 vcc_lo, 0, v[216:217]
	v_xor_b32_e32 v220, 0x80000000, v217
	v_cmp_gt_f64_e64 s2, 0, v[218:219]
	v_xor_b32_e32 v222, 0x80000000, v219
	v_add_nc_u32_e32 v225, 16, v225
	s_waitcnt lgkmcnt(0)
	v_cmp_gt_f64_e64 s3, 0, v[233:234]
	v_mov_b32_e32 v237, v233
	v_mov_b32_e32 v239, v235
	v_cndmask_b32_e32 v221, v217, v220, vcc_lo
	v_xor_b32_e32 v220, 0x80000000, v234
	v_cndmask_b32_e64 v223, v219, v222, s2
	v_xor_b32_e32 v222, 0x80000000, v236
	s_delay_alu instid0(VALU_DEP_3) | instskip(SKIP_2) | instid1(VALU_DEP_2)
	v_cndmask_b32_e64 v238, v234, v220, s3
	v_cmp_gt_f64_e64 s3, 0, v[235:236]
	v_cndmask_b32_e32 v220, v216, v216, vcc_lo
	v_cndmask_b32_e64 v240, v236, v222, s3
	v_cndmask_b32_e64 v222, v218, v218, s2
	s_delay_alu instid0(VALU_DEP_2) | instskip(NEXT) | instid1(VALU_DEP_2)
	v_add_f64 v[237:238], v[237:238], v[239:240]
	v_add_f64 v[220:221], v[220:221], v[222:223]
	s_delay_alu instid0(VALU_DEP_1) | instskip(SKIP_4) | instid1(SALU_CYCLE_1)
	v_cmp_lt_f64_e32 vcc_lo, v[220:221], v[237:238]
	v_dual_cndmask_b32 v216, v216, v233 :: v_dual_cndmask_b32 v217, v217, v234
	v_dual_cndmask_b32 v219, v219, v236 :: v_dual_cndmask_b32 v218, v218, v235
	v_cndmask_b32_e64 v224, v224, s6, vcc_lo
	s_add_i32 s6, s6, 1
	s_cmp_lg_u32 s5, s6
	s_cbranch_scc1 .LBB106_232
.LBB106_233:
	s_set_inst_prefetch_distance 0x2
	s_waitcnt lgkmcnt(0)
	v_cmp_eq_f64_e32 vcc_lo, 0, v[216:217]
	v_cmp_eq_f64_e64 s2, 0, v[218:219]
	s_delay_alu instid0(VALU_DEP_1) | instskip(NEXT) | instid1(SALU_CYCLE_1)
	s_and_b32 s2, vcc_lo, s2
	s_and_saveexec_b32 s3, s2
	s_delay_alu instid0(SALU_CYCLE_1)
	s_xor_b32 s2, exec_lo, s3
; %bb.234:
	v_cmp_ne_u32_e32 vcc_lo, 0, v229
	v_cndmask_b32_e32 v229, 12, v229, vcc_lo
; %bb.235:
	s_and_not1_saveexec_b32 s3, s2
	s_cbranch_execz .LBB106_241
; %bb.236:
	v_cmp_gt_f64_e32 vcc_lo, 0, v[216:217]
	v_cmp_gt_f64_e64 s2, 0, v[218:219]
	v_xor_b32_e32 v220, 0x80000000, v217
	v_xor_b32_e32 v222, 0x80000000, v219
	s_delay_alu instid0(VALU_DEP_2) | instskip(NEXT) | instid1(VALU_DEP_2)
	v_cndmask_b32_e32 v221, v217, v220, vcc_lo
	v_cndmask_b32_e64 v223, v219, v222, s2
	v_cndmask_b32_e32 v220, v216, v216, vcc_lo
	v_cndmask_b32_e64 v222, v218, v218, s2
	s_mov_b32 s2, exec_lo
	s_delay_alu instid0(VALU_DEP_1)
	v_cmpx_ngt_f64_e32 v[220:221], v[222:223]
	s_xor_b32 s2, exec_lo, s2
	s_cbranch_execz .LBB106_238
; %bb.237:
	v_div_scale_f64 v[220:221], null, v[218:219], v[218:219], v[216:217]
	v_div_scale_f64 v[235:236], vcc_lo, v[216:217], v[218:219], v[216:217]
	s_delay_alu instid0(VALU_DEP_2) | instskip(SKIP_2) | instid1(VALU_DEP_1)
	v_rcp_f64_e32 v[222:223], v[220:221]
	s_waitcnt_depctr 0xfff
	v_fma_f64 v[233:234], -v[220:221], v[222:223], 1.0
	v_fma_f64 v[222:223], v[222:223], v[233:234], v[222:223]
	s_delay_alu instid0(VALU_DEP_1) | instskip(NEXT) | instid1(VALU_DEP_1)
	v_fma_f64 v[233:234], -v[220:221], v[222:223], 1.0
	v_fma_f64 v[222:223], v[222:223], v[233:234], v[222:223]
	s_delay_alu instid0(VALU_DEP_1) | instskip(NEXT) | instid1(VALU_DEP_1)
	v_mul_f64 v[233:234], v[235:236], v[222:223]
	v_fma_f64 v[220:221], -v[220:221], v[233:234], v[235:236]
	s_delay_alu instid0(VALU_DEP_1) | instskip(NEXT) | instid1(VALU_DEP_1)
	v_div_fmas_f64 v[220:221], v[220:221], v[222:223], v[233:234]
	v_div_fixup_f64 v[220:221], v[220:221], v[218:219], v[216:217]
	s_delay_alu instid0(VALU_DEP_1) | instskip(NEXT) | instid1(VALU_DEP_1)
	v_fma_f64 v[216:217], v[216:217], v[220:221], v[218:219]
	v_div_scale_f64 v[218:219], null, v[216:217], v[216:217], 1.0
	s_delay_alu instid0(VALU_DEP_1) | instskip(SKIP_2) | instid1(VALU_DEP_1)
	v_rcp_f64_e32 v[222:223], v[218:219]
	s_waitcnt_depctr 0xfff
	v_fma_f64 v[233:234], -v[218:219], v[222:223], 1.0
	v_fma_f64 v[222:223], v[222:223], v[233:234], v[222:223]
	s_delay_alu instid0(VALU_DEP_1) | instskip(NEXT) | instid1(VALU_DEP_1)
	v_fma_f64 v[233:234], -v[218:219], v[222:223], 1.0
	v_fma_f64 v[222:223], v[222:223], v[233:234], v[222:223]
	v_div_scale_f64 v[233:234], vcc_lo, 1.0, v[216:217], 1.0
	s_delay_alu instid0(VALU_DEP_1) | instskip(NEXT) | instid1(VALU_DEP_1)
	v_mul_f64 v[235:236], v[233:234], v[222:223]
	v_fma_f64 v[218:219], -v[218:219], v[235:236], v[233:234]
	s_delay_alu instid0(VALU_DEP_1) | instskip(NEXT) | instid1(VALU_DEP_1)
	v_div_fmas_f64 v[218:219], v[218:219], v[222:223], v[235:236]
	v_div_fixup_f64 v[218:219], v[218:219], v[216:217], 1.0
	s_delay_alu instid0(VALU_DEP_1)
	v_mul_f64 v[216:217], v[220:221], v[218:219]
	v_xor_b32_e32 v219, 0x80000000, v219
.LBB106_238:
	s_and_not1_saveexec_b32 s2, s2
	s_cbranch_execz .LBB106_240
; %bb.239:
	s_delay_alu instid0(VALU_DEP_1) | instskip(SKIP_1) | instid1(VALU_DEP_2)
	v_div_scale_f64 v[220:221], null, v[216:217], v[216:217], v[218:219]
	v_div_scale_f64 v[235:236], vcc_lo, v[218:219], v[216:217], v[218:219]
	v_rcp_f64_e32 v[222:223], v[220:221]
	s_waitcnt_depctr 0xfff
	v_fma_f64 v[233:234], -v[220:221], v[222:223], 1.0
	s_delay_alu instid0(VALU_DEP_1) | instskip(NEXT) | instid1(VALU_DEP_1)
	v_fma_f64 v[222:223], v[222:223], v[233:234], v[222:223]
	v_fma_f64 v[233:234], -v[220:221], v[222:223], 1.0
	s_delay_alu instid0(VALU_DEP_1) | instskip(NEXT) | instid1(VALU_DEP_1)
	v_fma_f64 v[222:223], v[222:223], v[233:234], v[222:223]
	v_mul_f64 v[233:234], v[235:236], v[222:223]
	s_delay_alu instid0(VALU_DEP_1) | instskip(NEXT) | instid1(VALU_DEP_1)
	v_fma_f64 v[220:221], -v[220:221], v[233:234], v[235:236]
	v_div_fmas_f64 v[220:221], v[220:221], v[222:223], v[233:234]
	s_delay_alu instid0(VALU_DEP_1) | instskip(NEXT) | instid1(VALU_DEP_1)
	v_div_fixup_f64 v[220:221], v[220:221], v[216:217], v[218:219]
	v_fma_f64 v[216:217], v[218:219], v[220:221], v[216:217]
	s_delay_alu instid0(VALU_DEP_1) | instskip(NEXT) | instid1(VALU_DEP_1)
	v_div_scale_f64 v[218:219], null, v[216:217], v[216:217], 1.0
	v_rcp_f64_e32 v[222:223], v[218:219]
	s_waitcnt_depctr 0xfff
	v_fma_f64 v[233:234], -v[218:219], v[222:223], 1.0
	s_delay_alu instid0(VALU_DEP_1) | instskip(NEXT) | instid1(VALU_DEP_1)
	v_fma_f64 v[222:223], v[222:223], v[233:234], v[222:223]
	v_fma_f64 v[233:234], -v[218:219], v[222:223], 1.0
	s_delay_alu instid0(VALU_DEP_1) | instskip(SKIP_1) | instid1(VALU_DEP_1)
	v_fma_f64 v[222:223], v[222:223], v[233:234], v[222:223]
	v_div_scale_f64 v[233:234], vcc_lo, 1.0, v[216:217], 1.0
	v_mul_f64 v[235:236], v[233:234], v[222:223]
	s_delay_alu instid0(VALU_DEP_1) | instskip(NEXT) | instid1(VALU_DEP_1)
	v_fma_f64 v[218:219], -v[218:219], v[235:236], v[233:234]
	v_div_fmas_f64 v[218:219], v[218:219], v[222:223], v[235:236]
	s_delay_alu instid0(VALU_DEP_1) | instskip(NEXT) | instid1(VALU_DEP_1)
	v_div_fixup_f64 v[216:217], v[218:219], v[216:217], 1.0
	v_mul_f64 v[218:219], v[220:221], -v[216:217]
.LBB106_240:
	s_or_b32 exec_lo, exec_lo, s2
.LBB106_241:
	s_delay_alu instid0(SALU_CYCLE_1) | instskip(NEXT) | instid1(SALU_CYCLE_1)
	s_or_b32 exec_lo, exec_lo, s3
	s_mov_b32 s2, exec_lo
	v_cmpx_ne_u32_e64 v232, v224
	s_xor_b32 s2, exec_lo, s2
	s_cbranch_execz .LBB106_247
; %bb.242:
	s_mov_b32 s3, exec_lo
	v_cmpx_eq_u32_e32 11, v232
	s_cbranch_execz .LBB106_246
; %bb.243:
	v_cmp_ne_u32_e32 vcc_lo, 11, v224
	s_xor_b32 s6, s4, -1
	s_delay_alu instid0(SALU_CYCLE_1) | instskip(NEXT) | instid1(SALU_CYCLE_1)
	s_and_b32 s7, s6, vcc_lo
	s_and_saveexec_b32 s6, s7
	s_cbranch_execz .LBB106_245
; %bb.244:
	v_ashrrev_i32_e32 v225, 31, v224
	s_delay_alu instid0(VALU_DEP_1) | instskip(NEXT) | instid1(VALU_DEP_1)
	v_lshlrev_b64 v[220:221], 2, v[224:225]
	v_add_co_u32 v220, vcc_lo, v214, v220
	s_delay_alu instid0(VALU_DEP_2)
	v_add_co_ci_u32_e32 v221, vcc_lo, v215, v221, vcc_lo
	s_clause 0x1
	flat_load_b32 v222, v[220:221]
	flat_load_b32 v223, v[214:215] offset:44
	s_waitcnt vmcnt(1) lgkmcnt(1)
	flat_store_b32 v[214:215], v222 offset:44
	s_waitcnt vmcnt(0) lgkmcnt(1)
	flat_store_b32 v[220:221], v223
.LBB106_245:
	s_or_b32 exec_lo, exec_lo, s6
	v_mov_b32_e32 v232, v224
	v_mov_b32_e32 v231, v224
.LBB106_246:
	s_or_b32 exec_lo, exec_lo, s3
.LBB106_247:
	s_and_not1_saveexec_b32 s2, s2
	s_cbranch_execz .LBB106_249
; %bb.248:
	v_mov_b32_e32 v232, 11
	ds_store_2addr_b64 v226, v[164:165], v[166:167] offset0:24 offset1:25
	ds_store_2addr_b64 v226, v[160:161], v[162:163] offset0:26 offset1:27
	;; [unrolled: 1-line block ×42, first 2 shown]
.LBB106_249:
	s_or_b32 exec_lo, exec_lo, s2
	s_delay_alu instid0(SALU_CYCLE_1)
	s_mov_b32 s2, exec_lo
	s_waitcnt lgkmcnt(0)
	s_waitcnt_vscnt null, 0x0
	s_barrier
	buffer_gl0_inv
	v_cmpx_lt_i32_e32 11, v232
	s_cbranch_execz .LBB106_251
; %bb.250:
	v_mul_f64 v[220:221], v[218:219], v[170:171]
	v_mul_f64 v[170:171], v[216:217], v[170:171]
	s_delay_alu instid0(VALU_DEP_2) | instskip(NEXT) | instid1(VALU_DEP_2)
	v_fma_f64 v[224:225], v[216:217], v[168:169], -v[220:221]
	v_fma_f64 v[170:171], v[218:219], v[168:169], v[170:171]
	ds_load_2addr_b64 v[216:219], v226 offset0:24 offset1:25
	s_waitcnt lgkmcnt(0)
	v_mul_f64 v[168:169], v[218:219], v[170:171]
	s_delay_alu instid0(VALU_DEP_1) | instskip(SKIP_1) | instid1(VALU_DEP_2)
	v_fma_f64 v[168:169], v[216:217], v[224:225], -v[168:169]
	v_mul_f64 v[216:217], v[216:217], v[170:171]
	v_add_f64 v[164:165], v[164:165], -v[168:169]
	s_delay_alu instid0(VALU_DEP_2) | instskip(NEXT) | instid1(VALU_DEP_1)
	v_fma_f64 v[216:217], v[218:219], v[224:225], v[216:217]
	v_add_f64 v[166:167], v[166:167], -v[216:217]
	ds_load_2addr_b64 v[216:219], v226 offset0:26 offset1:27
	s_waitcnt lgkmcnt(0)
	v_mul_f64 v[168:169], v[218:219], v[170:171]
	s_delay_alu instid0(VALU_DEP_1) | instskip(SKIP_1) | instid1(VALU_DEP_2)
	v_fma_f64 v[168:169], v[216:217], v[224:225], -v[168:169]
	v_mul_f64 v[216:217], v[216:217], v[170:171]
	v_add_f64 v[160:161], v[160:161], -v[168:169]
	s_delay_alu instid0(VALU_DEP_2) | instskip(NEXT) | instid1(VALU_DEP_1)
	v_fma_f64 v[216:217], v[218:219], v[224:225], v[216:217]
	v_add_f64 v[162:163], v[162:163], -v[216:217]
	ds_load_2addr_b64 v[216:219], v226 offset0:28 offset1:29
	s_waitcnt lgkmcnt(0)
	v_mul_f64 v[168:169], v[218:219], v[170:171]
	s_delay_alu instid0(VALU_DEP_1) | instskip(SKIP_1) | instid1(VALU_DEP_2)
	v_fma_f64 v[168:169], v[216:217], v[224:225], -v[168:169]
	v_mul_f64 v[216:217], v[216:217], v[170:171]
	v_add_f64 v[156:157], v[156:157], -v[168:169]
	s_delay_alu instid0(VALU_DEP_2) | instskip(NEXT) | instid1(VALU_DEP_1)
	v_fma_f64 v[216:217], v[218:219], v[224:225], v[216:217]
	v_add_f64 v[158:159], v[158:159], -v[216:217]
	ds_load_2addr_b64 v[216:219], v226 offset0:30 offset1:31
	s_waitcnt lgkmcnt(0)
	v_mul_f64 v[168:169], v[218:219], v[170:171]
	s_delay_alu instid0(VALU_DEP_1) | instskip(SKIP_1) | instid1(VALU_DEP_2)
	v_fma_f64 v[168:169], v[216:217], v[224:225], -v[168:169]
	v_mul_f64 v[216:217], v[216:217], v[170:171]
	v_add_f64 v[152:153], v[152:153], -v[168:169]
	s_delay_alu instid0(VALU_DEP_2) | instskip(NEXT) | instid1(VALU_DEP_1)
	v_fma_f64 v[216:217], v[218:219], v[224:225], v[216:217]
	v_add_f64 v[154:155], v[154:155], -v[216:217]
	ds_load_2addr_b64 v[216:219], v226 offset0:32 offset1:33
	s_waitcnt lgkmcnt(0)
	v_mul_f64 v[168:169], v[218:219], v[170:171]
	s_delay_alu instid0(VALU_DEP_1) | instskip(SKIP_1) | instid1(VALU_DEP_2)
	v_fma_f64 v[168:169], v[216:217], v[224:225], -v[168:169]
	v_mul_f64 v[216:217], v[216:217], v[170:171]
	v_add_f64 v[148:149], v[148:149], -v[168:169]
	s_delay_alu instid0(VALU_DEP_2) | instskip(NEXT) | instid1(VALU_DEP_1)
	v_fma_f64 v[216:217], v[218:219], v[224:225], v[216:217]
	v_add_f64 v[150:151], v[150:151], -v[216:217]
	ds_load_2addr_b64 v[216:219], v226 offset0:34 offset1:35
	s_waitcnt lgkmcnt(0)
	v_mul_f64 v[168:169], v[218:219], v[170:171]
	s_delay_alu instid0(VALU_DEP_1) | instskip(SKIP_1) | instid1(VALU_DEP_2)
	v_fma_f64 v[168:169], v[216:217], v[224:225], -v[168:169]
	v_mul_f64 v[216:217], v[216:217], v[170:171]
	v_add_f64 v[144:145], v[144:145], -v[168:169]
	s_delay_alu instid0(VALU_DEP_2) | instskip(NEXT) | instid1(VALU_DEP_1)
	v_fma_f64 v[216:217], v[218:219], v[224:225], v[216:217]
	v_add_f64 v[146:147], v[146:147], -v[216:217]
	ds_load_2addr_b64 v[216:219], v226 offset0:36 offset1:37
	s_waitcnt lgkmcnt(0)
	v_mul_f64 v[168:169], v[218:219], v[170:171]
	s_delay_alu instid0(VALU_DEP_1) | instskip(SKIP_1) | instid1(VALU_DEP_2)
	v_fma_f64 v[168:169], v[216:217], v[224:225], -v[168:169]
	v_mul_f64 v[216:217], v[216:217], v[170:171]
	v_add_f64 v[140:141], v[140:141], -v[168:169]
	s_delay_alu instid0(VALU_DEP_2) | instskip(NEXT) | instid1(VALU_DEP_1)
	v_fma_f64 v[216:217], v[218:219], v[224:225], v[216:217]
	v_add_f64 v[142:143], v[142:143], -v[216:217]
	ds_load_2addr_b64 v[216:219], v226 offset0:38 offset1:39
	s_waitcnt lgkmcnt(0)
	v_mul_f64 v[168:169], v[218:219], v[170:171]
	s_delay_alu instid0(VALU_DEP_1) | instskip(SKIP_1) | instid1(VALU_DEP_2)
	v_fma_f64 v[168:169], v[216:217], v[224:225], -v[168:169]
	v_mul_f64 v[216:217], v[216:217], v[170:171]
	v_add_f64 v[136:137], v[136:137], -v[168:169]
	s_delay_alu instid0(VALU_DEP_2) | instskip(NEXT) | instid1(VALU_DEP_1)
	v_fma_f64 v[216:217], v[218:219], v[224:225], v[216:217]
	v_add_f64 v[138:139], v[138:139], -v[216:217]
	ds_load_2addr_b64 v[216:219], v226 offset0:40 offset1:41
	s_waitcnt lgkmcnt(0)
	v_mul_f64 v[168:169], v[218:219], v[170:171]
	s_delay_alu instid0(VALU_DEP_1) | instskip(SKIP_1) | instid1(VALU_DEP_2)
	v_fma_f64 v[168:169], v[216:217], v[224:225], -v[168:169]
	v_mul_f64 v[216:217], v[216:217], v[170:171]
	v_add_f64 v[132:133], v[132:133], -v[168:169]
	s_delay_alu instid0(VALU_DEP_2) | instskip(NEXT) | instid1(VALU_DEP_1)
	v_fma_f64 v[216:217], v[218:219], v[224:225], v[216:217]
	v_add_f64 v[134:135], v[134:135], -v[216:217]
	ds_load_2addr_b64 v[216:219], v226 offset0:42 offset1:43
	s_waitcnt lgkmcnt(0)
	v_mul_f64 v[168:169], v[218:219], v[170:171]
	s_delay_alu instid0(VALU_DEP_1) | instskip(SKIP_1) | instid1(VALU_DEP_2)
	v_fma_f64 v[168:169], v[216:217], v[224:225], -v[168:169]
	v_mul_f64 v[216:217], v[216:217], v[170:171]
	v_add_f64 v[128:129], v[128:129], -v[168:169]
	s_delay_alu instid0(VALU_DEP_2) | instskip(NEXT) | instid1(VALU_DEP_1)
	v_fma_f64 v[216:217], v[218:219], v[224:225], v[216:217]
	v_add_f64 v[130:131], v[130:131], -v[216:217]
	ds_load_2addr_b64 v[216:219], v226 offset0:44 offset1:45
	s_waitcnt lgkmcnt(0)
	v_mul_f64 v[168:169], v[218:219], v[170:171]
	s_delay_alu instid0(VALU_DEP_1) | instskip(SKIP_1) | instid1(VALU_DEP_2)
	v_fma_f64 v[168:169], v[216:217], v[224:225], -v[168:169]
	v_mul_f64 v[216:217], v[216:217], v[170:171]
	v_add_f64 v[124:125], v[124:125], -v[168:169]
	s_delay_alu instid0(VALU_DEP_2) | instskip(NEXT) | instid1(VALU_DEP_1)
	v_fma_f64 v[216:217], v[218:219], v[224:225], v[216:217]
	v_add_f64 v[126:127], v[126:127], -v[216:217]
	ds_load_2addr_b64 v[216:219], v226 offset0:46 offset1:47
	s_waitcnt lgkmcnt(0)
	v_mul_f64 v[168:169], v[218:219], v[170:171]
	s_delay_alu instid0(VALU_DEP_1) | instskip(SKIP_1) | instid1(VALU_DEP_2)
	v_fma_f64 v[168:169], v[216:217], v[224:225], -v[168:169]
	v_mul_f64 v[216:217], v[216:217], v[170:171]
	v_add_f64 v[120:121], v[120:121], -v[168:169]
	s_delay_alu instid0(VALU_DEP_2) | instskip(NEXT) | instid1(VALU_DEP_1)
	v_fma_f64 v[216:217], v[218:219], v[224:225], v[216:217]
	v_add_f64 v[122:123], v[122:123], -v[216:217]
	ds_load_2addr_b64 v[216:219], v226 offset0:48 offset1:49
	s_waitcnt lgkmcnt(0)
	v_mul_f64 v[168:169], v[218:219], v[170:171]
	s_delay_alu instid0(VALU_DEP_1) | instskip(SKIP_1) | instid1(VALU_DEP_2)
	v_fma_f64 v[168:169], v[216:217], v[224:225], -v[168:169]
	v_mul_f64 v[216:217], v[216:217], v[170:171]
	v_add_f64 v[116:117], v[116:117], -v[168:169]
	s_delay_alu instid0(VALU_DEP_2) | instskip(NEXT) | instid1(VALU_DEP_1)
	v_fma_f64 v[216:217], v[218:219], v[224:225], v[216:217]
	v_add_f64 v[118:119], v[118:119], -v[216:217]
	ds_load_2addr_b64 v[216:219], v226 offset0:50 offset1:51
	s_waitcnt lgkmcnt(0)
	v_mul_f64 v[168:169], v[218:219], v[170:171]
	s_delay_alu instid0(VALU_DEP_1) | instskip(SKIP_1) | instid1(VALU_DEP_2)
	v_fma_f64 v[168:169], v[216:217], v[224:225], -v[168:169]
	v_mul_f64 v[216:217], v[216:217], v[170:171]
	v_add_f64 v[112:113], v[112:113], -v[168:169]
	s_delay_alu instid0(VALU_DEP_2) | instskip(NEXT) | instid1(VALU_DEP_1)
	v_fma_f64 v[216:217], v[218:219], v[224:225], v[216:217]
	v_add_f64 v[114:115], v[114:115], -v[216:217]
	ds_load_2addr_b64 v[216:219], v226 offset0:52 offset1:53
	s_waitcnt lgkmcnt(0)
	v_mul_f64 v[168:169], v[218:219], v[170:171]
	s_delay_alu instid0(VALU_DEP_1) | instskip(SKIP_1) | instid1(VALU_DEP_2)
	v_fma_f64 v[168:169], v[216:217], v[224:225], -v[168:169]
	v_mul_f64 v[216:217], v[216:217], v[170:171]
	v_add_f64 v[108:109], v[108:109], -v[168:169]
	s_delay_alu instid0(VALU_DEP_2) | instskip(NEXT) | instid1(VALU_DEP_1)
	v_fma_f64 v[216:217], v[218:219], v[224:225], v[216:217]
	v_add_f64 v[110:111], v[110:111], -v[216:217]
	ds_load_2addr_b64 v[216:219], v226 offset0:54 offset1:55
	s_waitcnt lgkmcnt(0)
	v_mul_f64 v[168:169], v[218:219], v[170:171]
	s_delay_alu instid0(VALU_DEP_1) | instskip(SKIP_1) | instid1(VALU_DEP_2)
	v_fma_f64 v[168:169], v[216:217], v[224:225], -v[168:169]
	v_mul_f64 v[216:217], v[216:217], v[170:171]
	v_add_f64 v[104:105], v[104:105], -v[168:169]
	s_delay_alu instid0(VALU_DEP_2) | instskip(NEXT) | instid1(VALU_DEP_1)
	v_fma_f64 v[216:217], v[218:219], v[224:225], v[216:217]
	v_add_f64 v[106:107], v[106:107], -v[216:217]
	ds_load_2addr_b64 v[216:219], v226 offset0:56 offset1:57
	s_waitcnt lgkmcnt(0)
	v_mul_f64 v[168:169], v[218:219], v[170:171]
	s_delay_alu instid0(VALU_DEP_1) | instskip(SKIP_1) | instid1(VALU_DEP_2)
	v_fma_f64 v[168:169], v[216:217], v[224:225], -v[168:169]
	v_mul_f64 v[216:217], v[216:217], v[170:171]
	v_add_f64 v[100:101], v[100:101], -v[168:169]
	s_delay_alu instid0(VALU_DEP_2) | instskip(NEXT) | instid1(VALU_DEP_1)
	v_fma_f64 v[216:217], v[218:219], v[224:225], v[216:217]
	v_add_f64 v[102:103], v[102:103], -v[216:217]
	ds_load_2addr_b64 v[216:219], v226 offset0:58 offset1:59
	s_waitcnt lgkmcnt(0)
	v_mul_f64 v[168:169], v[218:219], v[170:171]
	s_delay_alu instid0(VALU_DEP_1) | instskip(SKIP_1) | instid1(VALU_DEP_2)
	v_fma_f64 v[168:169], v[216:217], v[224:225], -v[168:169]
	v_mul_f64 v[216:217], v[216:217], v[170:171]
	v_add_f64 v[96:97], v[96:97], -v[168:169]
	s_delay_alu instid0(VALU_DEP_2) | instskip(NEXT) | instid1(VALU_DEP_1)
	v_fma_f64 v[216:217], v[218:219], v[224:225], v[216:217]
	v_add_f64 v[98:99], v[98:99], -v[216:217]
	ds_load_2addr_b64 v[216:219], v226 offset0:60 offset1:61
	s_waitcnt lgkmcnt(0)
	v_mul_f64 v[168:169], v[218:219], v[170:171]
	s_delay_alu instid0(VALU_DEP_1) | instskip(SKIP_1) | instid1(VALU_DEP_2)
	v_fma_f64 v[168:169], v[216:217], v[224:225], -v[168:169]
	v_mul_f64 v[216:217], v[216:217], v[170:171]
	v_add_f64 v[92:93], v[92:93], -v[168:169]
	s_delay_alu instid0(VALU_DEP_2) | instskip(NEXT) | instid1(VALU_DEP_1)
	v_fma_f64 v[216:217], v[218:219], v[224:225], v[216:217]
	v_add_f64 v[94:95], v[94:95], -v[216:217]
	ds_load_2addr_b64 v[216:219], v226 offset0:62 offset1:63
	s_waitcnt lgkmcnt(0)
	v_mul_f64 v[168:169], v[218:219], v[170:171]
	s_delay_alu instid0(VALU_DEP_1) | instskip(SKIP_1) | instid1(VALU_DEP_2)
	v_fma_f64 v[168:169], v[216:217], v[224:225], -v[168:169]
	v_mul_f64 v[216:217], v[216:217], v[170:171]
	v_add_f64 v[88:89], v[88:89], -v[168:169]
	s_delay_alu instid0(VALU_DEP_2) | instskip(NEXT) | instid1(VALU_DEP_1)
	v_fma_f64 v[216:217], v[218:219], v[224:225], v[216:217]
	v_add_f64 v[90:91], v[90:91], -v[216:217]
	ds_load_2addr_b64 v[216:219], v226 offset0:64 offset1:65
	s_waitcnt lgkmcnt(0)
	v_mul_f64 v[168:169], v[218:219], v[170:171]
	s_delay_alu instid0(VALU_DEP_1) | instskip(SKIP_1) | instid1(VALU_DEP_2)
	v_fma_f64 v[168:169], v[216:217], v[224:225], -v[168:169]
	v_mul_f64 v[216:217], v[216:217], v[170:171]
	v_add_f64 v[84:85], v[84:85], -v[168:169]
	s_delay_alu instid0(VALU_DEP_2) | instskip(NEXT) | instid1(VALU_DEP_1)
	v_fma_f64 v[216:217], v[218:219], v[224:225], v[216:217]
	v_add_f64 v[86:87], v[86:87], -v[216:217]
	ds_load_2addr_b64 v[216:219], v226 offset0:66 offset1:67
	s_waitcnt lgkmcnt(0)
	v_mul_f64 v[168:169], v[218:219], v[170:171]
	s_delay_alu instid0(VALU_DEP_1) | instskip(SKIP_1) | instid1(VALU_DEP_2)
	v_fma_f64 v[168:169], v[216:217], v[224:225], -v[168:169]
	v_mul_f64 v[216:217], v[216:217], v[170:171]
	v_add_f64 v[80:81], v[80:81], -v[168:169]
	s_delay_alu instid0(VALU_DEP_2) | instskip(NEXT) | instid1(VALU_DEP_1)
	v_fma_f64 v[216:217], v[218:219], v[224:225], v[216:217]
	v_add_f64 v[82:83], v[82:83], -v[216:217]
	ds_load_2addr_b64 v[216:219], v226 offset0:68 offset1:69
	s_waitcnt lgkmcnt(0)
	v_mul_f64 v[168:169], v[218:219], v[170:171]
	s_delay_alu instid0(VALU_DEP_1) | instskip(SKIP_1) | instid1(VALU_DEP_2)
	v_fma_f64 v[168:169], v[216:217], v[224:225], -v[168:169]
	v_mul_f64 v[216:217], v[216:217], v[170:171]
	v_add_f64 v[76:77], v[76:77], -v[168:169]
	s_delay_alu instid0(VALU_DEP_2) | instskip(NEXT) | instid1(VALU_DEP_1)
	v_fma_f64 v[216:217], v[218:219], v[224:225], v[216:217]
	v_add_f64 v[78:79], v[78:79], -v[216:217]
	ds_load_2addr_b64 v[216:219], v226 offset0:70 offset1:71
	s_waitcnt lgkmcnt(0)
	v_mul_f64 v[168:169], v[218:219], v[170:171]
	s_delay_alu instid0(VALU_DEP_1) | instskip(SKIP_1) | instid1(VALU_DEP_2)
	v_fma_f64 v[168:169], v[216:217], v[224:225], -v[168:169]
	v_mul_f64 v[216:217], v[216:217], v[170:171]
	v_add_f64 v[72:73], v[72:73], -v[168:169]
	s_delay_alu instid0(VALU_DEP_2) | instskip(NEXT) | instid1(VALU_DEP_1)
	v_fma_f64 v[216:217], v[218:219], v[224:225], v[216:217]
	v_add_f64 v[74:75], v[74:75], -v[216:217]
	ds_load_2addr_b64 v[216:219], v226 offset0:72 offset1:73
	s_waitcnt lgkmcnt(0)
	v_mul_f64 v[168:169], v[218:219], v[170:171]
	s_delay_alu instid0(VALU_DEP_1) | instskip(SKIP_1) | instid1(VALU_DEP_2)
	v_fma_f64 v[168:169], v[216:217], v[224:225], -v[168:169]
	v_mul_f64 v[216:217], v[216:217], v[170:171]
	v_add_f64 v[68:69], v[68:69], -v[168:169]
	s_delay_alu instid0(VALU_DEP_2) | instskip(NEXT) | instid1(VALU_DEP_1)
	v_fma_f64 v[216:217], v[218:219], v[224:225], v[216:217]
	v_add_f64 v[70:71], v[70:71], -v[216:217]
	ds_load_2addr_b64 v[216:219], v226 offset0:74 offset1:75
	s_waitcnt lgkmcnt(0)
	v_mul_f64 v[168:169], v[218:219], v[170:171]
	s_delay_alu instid0(VALU_DEP_1) | instskip(SKIP_1) | instid1(VALU_DEP_2)
	v_fma_f64 v[168:169], v[216:217], v[224:225], -v[168:169]
	v_mul_f64 v[216:217], v[216:217], v[170:171]
	v_add_f64 v[64:65], v[64:65], -v[168:169]
	s_delay_alu instid0(VALU_DEP_2) | instskip(NEXT) | instid1(VALU_DEP_1)
	v_fma_f64 v[216:217], v[218:219], v[224:225], v[216:217]
	v_add_f64 v[66:67], v[66:67], -v[216:217]
	ds_load_2addr_b64 v[216:219], v226 offset0:76 offset1:77
	s_waitcnt lgkmcnt(0)
	v_mul_f64 v[168:169], v[218:219], v[170:171]
	s_delay_alu instid0(VALU_DEP_1) | instskip(SKIP_1) | instid1(VALU_DEP_2)
	v_fma_f64 v[168:169], v[216:217], v[224:225], -v[168:169]
	v_mul_f64 v[216:217], v[216:217], v[170:171]
	v_add_f64 v[60:61], v[60:61], -v[168:169]
	s_delay_alu instid0(VALU_DEP_2) | instskip(NEXT) | instid1(VALU_DEP_1)
	v_fma_f64 v[216:217], v[218:219], v[224:225], v[216:217]
	v_add_f64 v[62:63], v[62:63], -v[216:217]
	ds_load_2addr_b64 v[216:219], v226 offset0:78 offset1:79
	s_waitcnt lgkmcnt(0)
	v_mul_f64 v[168:169], v[218:219], v[170:171]
	s_delay_alu instid0(VALU_DEP_1) | instskip(SKIP_1) | instid1(VALU_DEP_2)
	v_fma_f64 v[168:169], v[216:217], v[224:225], -v[168:169]
	v_mul_f64 v[216:217], v[216:217], v[170:171]
	v_add_f64 v[56:57], v[56:57], -v[168:169]
	s_delay_alu instid0(VALU_DEP_2) | instskip(NEXT) | instid1(VALU_DEP_1)
	v_fma_f64 v[216:217], v[218:219], v[224:225], v[216:217]
	v_add_f64 v[58:59], v[58:59], -v[216:217]
	ds_load_2addr_b64 v[216:219], v226 offset0:80 offset1:81
	s_waitcnt lgkmcnt(0)
	v_mul_f64 v[168:169], v[218:219], v[170:171]
	s_delay_alu instid0(VALU_DEP_1) | instskip(SKIP_1) | instid1(VALU_DEP_2)
	v_fma_f64 v[168:169], v[216:217], v[224:225], -v[168:169]
	v_mul_f64 v[216:217], v[216:217], v[170:171]
	v_add_f64 v[52:53], v[52:53], -v[168:169]
	s_delay_alu instid0(VALU_DEP_2) | instskip(NEXT) | instid1(VALU_DEP_1)
	v_fma_f64 v[216:217], v[218:219], v[224:225], v[216:217]
	v_add_f64 v[54:55], v[54:55], -v[216:217]
	ds_load_2addr_b64 v[216:219], v226 offset0:82 offset1:83
	s_waitcnt lgkmcnt(0)
	v_mul_f64 v[168:169], v[218:219], v[170:171]
	s_delay_alu instid0(VALU_DEP_1) | instskip(SKIP_1) | instid1(VALU_DEP_2)
	v_fma_f64 v[168:169], v[216:217], v[224:225], -v[168:169]
	v_mul_f64 v[216:217], v[216:217], v[170:171]
	v_add_f64 v[48:49], v[48:49], -v[168:169]
	s_delay_alu instid0(VALU_DEP_2) | instskip(NEXT) | instid1(VALU_DEP_1)
	v_fma_f64 v[216:217], v[218:219], v[224:225], v[216:217]
	v_add_f64 v[50:51], v[50:51], -v[216:217]
	ds_load_2addr_b64 v[216:219], v226 offset0:84 offset1:85
	s_waitcnt lgkmcnt(0)
	v_mul_f64 v[168:169], v[218:219], v[170:171]
	s_delay_alu instid0(VALU_DEP_1) | instskip(SKIP_1) | instid1(VALU_DEP_2)
	v_fma_f64 v[168:169], v[216:217], v[224:225], -v[168:169]
	v_mul_f64 v[216:217], v[216:217], v[170:171]
	v_add_f64 v[44:45], v[44:45], -v[168:169]
	s_delay_alu instid0(VALU_DEP_2) | instskip(NEXT) | instid1(VALU_DEP_1)
	v_fma_f64 v[216:217], v[218:219], v[224:225], v[216:217]
	v_add_f64 v[46:47], v[46:47], -v[216:217]
	ds_load_2addr_b64 v[216:219], v226 offset0:86 offset1:87
	s_waitcnt lgkmcnt(0)
	v_mul_f64 v[168:169], v[218:219], v[170:171]
	s_delay_alu instid0(VALU_DEP_1) | instskip(SKIP_1) | instid1(VALU_DEP_2)
	v_fma_f64 v[168:169], v[216:217], v[224:225], -v[168:169]
	v_mul_f64 v[216:217], v[216:217], v[170:171]
	v_add_f64 v[40:41], v[40:41], -v[168:169]
	s_delay_alu instid0(VALU_DEP_2) | instskip(NEXT) | instid1(VALU_DEP_1)
	v_fma_f64 v[216:217], v[218:219], v[224:225], v[216:217]
	v_add_f64 v[42:43], v[42:43], -v[216:217]
	ds_load_2addr_b64 v[216:219], v226 offset0:88 offset1:89
	s_waitcnt lgkmcnt(0)
	v_mul_f64 v[168:169], v[218:219], v[170:171]
	s_delay_alu instid0(VALU_DEP_1) | instskip(SKIP_1) | instid1(VALU_DEP_2)
	v_fma_f64 v[168:169], v[216:217], v[224:225], -v[168:169]
	v_mul_f64 v[216:217], v[216:217], v[170:171]
	v_add_f64 v[36:37], v[36:37], -v[168:169]
	s_delay_alu instid0(VALU_DEP_2) | instskip(NEXT) | instid1(VALU_DEP_1)
	v_fma_f64 v[216:217], v[218:219], v[224:225], v[216:217]
	v_add_f64 v[38:39], v[38:39], -v[216:217]
	ds_load_2addr_b64 v[216:219], v226 offset0:90 offset1:91
	s_waitcnt lgkmcnt(0)
	v_mul_f64 v[168:169], v[218:219], v[170:171]
	s_delay_alu instid0(VALU_DEP_1) | instskip(SKIP_1) | instid1(VALU_DEP_2)
	v_fma_f64 v[168:169], v[216:217], v[224:225], -v[168:169]
	v_mul_f64 v[216:217], v[216:217], v[170:171]
	v_add_f64 v[32:33], v[32:33], -v[168:169]
	s_delay_alu instid0(VALU_DEP_2) | instskip(NEXT) | instid1(VALU_DEP_1)
	v_fma_f64 v[216:217], v[218:219], v[224:225], v[216:217]
	v_add_f64 v[34:35], v[34:35], -v[216:217]
	ds_load_2addr_b64 v[216:219], v226 offset0:92 offset1:93
	s_waitcnt lgkmcnt(0)
	v_mul_f64 v[168:169], v[218:219], v[170:171]
	s_delay_alu instid0(VALU_DEP_1) | instskip(SKIP_1) | instid1(VALU_DEP_2)
	v_fma_f64 v[168:169], v[216:217], v[224:225], -v[168:169]
	v_mul_f64 v[216:217], v[216:217], v[170:171]
	v_add_f64 v[28:29], v[28:29], -v[168:169]
	s_delay_alu instid0(VALU_DEP_2) | instskip(NEXT) | instid1(VALU_DEP_1)
	v_fma_f64 v[216:217], v[218:219], v[224:225], v[216:217]
	v_add_f64 v[30:31], v[30:31], -v[216:217]
	ds_load_2addr_b64 v[216:219], v226 offset0:94 offset1:95
	s_waitcnt lgkmcnt(0)
	v_mul_f64 v[168:169], v[218:219], v[170:171]
	s_delay_alu instid0(VALU_DEP_1) | instskip(SKIP_1) | instid1(VALU_DEP_2)
	v_fma_f64 v[168:169], v[216:217], v[224:225], -v[168:169]
	v_mul_f64 v[216:217], v[216:217], v[170:171]
	v_add_f64 v[24:25], v[24:25], -v[168:169]
	s_delay_alu instid0(VALU_DEP_2) | instskip(NEXT) | instid1(VALU_DEP_1)
	v_fma_f64 v[216:217], v[218:219], v[224:225], v[216:217]
	v_add_f64 v[26:27], v[26:27], -v[216:217]
	ds_load_2addr_b64 v[216:219], v226 offset0:96 offset1:97
	s_waitcnt lgkmcnt(0)
	v_mul_f64 v[168:169], v[218:219], v[170:171]
	s_delay_alu instid0(VALU_DEP_1) | instskip(SKIP_1) | instid1(VALU_DEP_2)
	v_fma_f64 v[168:169], v[216:217], v[224:225], -v[168:169]
	v_mul_f64 v[216:217], v[216:217], v[170:171]
	v_add_f64 v[20:21], v[20:21], -v[168:169]
	s_delay_alu instid0(VALU_DEP_2) | instskip(NEXT) | instid1(VALU_DEP_1)
	v_fma_f64 v[216:217], v[218:219], v[224:225], v[216:217]
	v_add_f64 v[22:23], v[22:23], -v[216:217]
	ds_load_2addr_b64 v[216:219], v226 offset0:98 offset1:99
	s_waitcnt lgkmcnt(0)
	v_mul_f64 v[168:169], v[218:219], v[170:171]
	s_delay_alu instid0(VALU_DEP_1) | instskip(SKIP_1) | instid1(VALU_DEP_2)
	v_fma_f64 v[168:169], v[216:217], v[224:225], -v[168:169]
	v_mul_f64 v[216:217], v[216:217], v[170:171]
	v_add_f64 v[16:17], v[16:17], -v[168:169]
	s_delay_alu instid0(VALU_DEP_2) | instskip(NEXT) | instid1(VALU_DEP_1)
	v_fma_f64 v[216:217], v[218:219], v[224:225], v[216:217]
	v_add_f64 v[18:19], v[18:19], -v[216:217]
	ds_load_2addr_b64 v[216:219], v226 offset0:100 offset1:101
	s_waitcnt lgkmcnt(0)
	v_mul_f64 v[168:169], v[218:219], v[170:171]
	s_delay_alu instid0(VALU_DEP_1) | instskip(SKIP_1) | instid1(VALU_DEP_2)
	v_fma_f64 v[168:169], v[216:217], v[224:225], -v[168:169]
	v_mul_f64 v[216:217], v[216:217], v[170:171]
	v_add_f64 v[12:13], v[12:13], -v[168:169]
	s_delay_alu instid0(VALU_DEP_2) | instskip(NEXT) | instid1(VALU_DEP_1)
	v_fma_f64 v[216:217], v[218:219], v[224:225], v[216:217]
	v_add_f64 v[14:15], v[14:15], -v[216:217]
	ds_load_2addr_b64 v[216:219], v226 offset0:102 offset1:103
	s_waitcnt lgkmcnt(0)
	v_mul_f64 v[168:169], v[218:219], v[170:171]
	s_delay_alu instid0(VALU_DEP_1) | instskip(SKIP_1) | instid1(VALU_DEP_2)
	v_fma_f64 v[168:169], v[216:217], v[224:225], -v[168:169]
	v_mul_f64 v[216:217], v[216:217], v[170:171]
	v_add_f64 v[251:252], v[251:252], -v[168:169]
	s_delay_alu instid0(VALU_DEP_2) | instskip(NEXT) | instid1(VALU_DEP_1)
	v_fma_f64 v[216:217], v[218:219], v[224:225], v[216:217]
	v_add_f64 v[253:254], v[253:254], -v[216:217]
	ds_load_2addr_b64 v[216:219], v226 offset0:104 offset1:105
	s_waitcnt lgkmcnt(0)
	v_mul_f64 v[168:169], v[218:219], v[170:171]
	s_delay_alu instid0(VALU_DEP_1) | instskip(SKIP_1) | instid1(VALU_DEP_2)
	v_fma_f64 v[168:169], v[216:217], v[224:225], -v[168:169]
	v_mul_f64 v[216:217], v[216:217], v[170:171]
	v_add_f64 v[247:248], v[247:248], -v[168:169]
	s_delay_alu instid0(VALU_DEP_2) | instskip(NEXT) | instid1(VALU_DEP_1)
	v_fma_f64 v[216:217], v[218:219], v[224:225], v[216:217]
	v_add_f64 v[249:250], v[249:250], -v[216:217]
	ds_load_2addr_b64 v[216:219], v226 offset0:106 offset1:107
	s_waitcnt lgkmcnt(0)
	v_mul_f64 v[168:169], v[218:219], v[170:171]
	s_delay_alu instid0(VALU_DEP_1) | instskip(SKIP_1) | instid1(VALU_DEP_2)
	v_fma_f64 v[168:169], v[216:217], v[224:225], -v[168:169]
	v_mul_f64 v[216:217], v[216:217], v[170:171]
	v_add_f64 v[0:1], v[0:1], -v[168:169]
	s_delay_alu instid0(VALU_DEP_2) | instskip(SKIP_1) | instid1(VALU_DEP_2)
	v_fma_f64 v[216:217], v[218:219], v[224:225], v[216:217]
	v_dual_mov_b32 v168, v224 :: v_dual_mov_b32 v169, v225
	v_add_f64 v[2:3], v[2:3], -v[216:217]
.LBB106_251:
	s_or_b32 exec_lo, exec_lo, s2
	v_lshl_add_u32 v216, v232, 4, v226
	s_barrier
	buffer_gl0_inv
	v_mov_b32_e32 v224, 12
	ds_store_2addr_b64 v216, v[164:165], v[166:167] offset1:1
	s_waitcnt lgkmcnt(0)
	s_barrier
	buffer_gl0_inv
	ds_load_2addr_b64 v[216:219], v226 offset0:24 offset1:25
	s_cmp_lt_i32 s5, 14
	s_cbranch_scc1 .LBB106_254
; %bb.252:
	v_add3_u32 v225, v230, 0, 0xd0
	v_mov_b32_e32 v224, 12
	s_mov_b32 s6, 13
	s_set_inst_prefetch_distance 0x1
	.p2align	6
.LBB106_253:                            ; =>This Inner Loop Header: Depth=1
	ds_load_2addr_b64 v[233:236], v225 offset1:1
	s_waitcnt lgkmcnt(1)
	v_cmp_gt_f64_e32 vcc_lo, 0, v[216:217]
	v_xor_b32_e32 v220, 0x80000000, v217
	v_cmp_gt_f64_e64 s2, 0, v[218:219]
	v_xor_b32_e32 v222, 0x80000000, v219
	v_add_nc_u32_e32 v225, 16, v225
	s_waitcnt lgkmcnt(0)
	v_cmp_gt_f64_e64 s3, 0, v[233:234]
	v_mov_b32_e32 v237, v233
	v_mov_b32_e32 v239, v235
	v_cndmask_b32_e32 v221, v217, v220, vcc_lo
	v_xor_b32_e32 v220, 0x80000000, v234
	v_cndmask_b32_e64 v223, v219, v222, s2
	v_xor_b32_e32 v222, 0x80000000, v236
	s_delay_alu instid0(VALU_DEP_3) | instskip(SKIP_2) | instid1(VALU_DEP_2)
	v_cndmask_b32_e64 v238, v234, v220, s3
	v_cmp_gt_f64_e64 s3, 0, v[235:236]
	v_cndmask_b32_e32 v220, v216, v216, vcc_lo
	v_cndmask_b32_e64 v240, v236, v222, s3
	v_cndmask_b32_e64 v222, v218, v218, s2
	s_delay_alu instid0(VALU_DEP_2) | instskip(NEXT) | instid1(VALU_DEP_2)
	v_add_f64 v[237:238], v[237:238], v[239:240]
	v_add_f64 v[220:221], v[220:221], v[222:223]
	s_delay_alu instid0(VALU_DEP_1) | instskip(SKIP_4) | instid1(SALU_CYCLE_1)
	v_cmp_lt_f64_e32 vcc_lo, v[220:221], v[237:238]
	v_dual_cndmask_b32 v216, v216, v233 :: v_dual_cndmask_b32 v217, v217, v234
	v_dual_cndmask_b32 v219, v219, v236 :: v_dual_cndmask_b32 v218, v218, v235
	v_cndmask_b32_e64 v224, v224, s6, vcc_lo
	s_add_i32 s6, s6, 1
	s_cmp_lg_u32 s5, s6
	s_cbranch_scc1 .LBB106_253
.LBB106_254:
	s_set_inst_prefetch_distance 0x2
	s_waitcnt lgkmcnt(0)
	v_cmp_eq_f64_e32 vcc_lo, 0, v[216:217]
	v_cmp_eq_f64_e64 s2, 0, v[218:219]
	s_delay_alu instid0(VALU_DEP_1) | instskip(NEXT) | instid1(SALU_CYCLE_1)
	s_and_b32 s2, vcc_lo, s2
	s_and_saveexec_b32 s3, s2
	s_delay_alu instid0(SALU_CYCLE_1)
	s_xor_b32 s2, exec_lo, s3
; %bb.255:
	v_cmp_ne_u32_e32 vcc_lo, 0, v229
	v_cndmask_b32_e32 v229, 13, v229, vcc_lo
; %bb.256:
	s_and_not1_saveexec_b32 s3, s2
	s_cbranch_execz .LBB106_262
; %bb.257:
	v_cmp_gt_f64_e32 vcc_lo, 0, v[216:217]
	v_cmp_gt_f64_e64 s2, 0, v[218:219]
	v_xor_b32_e32 v220, 0x80000000, v217
	v_xor_b32_e32 v222, 0x80000000, v219
	s_delay_alu instid0(VALU_DEP_2) | instskip(NEXT) | instid1(VALU_DEP_2)
	v_cndmask_b32_e32 v221, v217, v220, vcc_lo
	v_cndmask_b32_e64 v223, v219, v222, s2
	v_cndmask_b32_e32 v220, v216, v216, vcc_lo
	v_cndmask_b32_e64 v222, v218, v218, s2
	s_mov_b32 s2, exec_lo
	s_delay_alu instid0(VALU_DEP_1)
	v_cmpx_ngt_f64_e32 v[220:221], v[222:223]
	s_xor_b32 s2, exec_lo, s2
	s_cbranch_execz .LBB106_259
; %bb.258:
	v_div_scale_f64 v[220:221], null, v[218:219], v[218:219], v[216:217]
	v_div_scale_f64 v[235:236], vcc_lo, v[216:217], v[218:219], v[216:217]
	s_delay_alu instid0(VALU_DEP_2) | instskip(SKIP_2) | instid1(VALU_DEP_1)
	v_rcp_f64_e32 v[222:223], v[220:221]
	s_waitcnt_depctr 0xfff
	v_fma_f64 v[233:234], -v[220:221], v[222:223], 1.0
	v_fma_f64 v[222:223], v[222:223], v[233:234], v[222:223]
	s_delay_alu instid0(VALU_DEP_1) | instskip(NEXT) | instid1(VALU_DEP_1)
	v_fma_f64 v[233:234], -v[220:221], v[222:223], 1.0
	v_fma_f64 v[222:223], v[222:223], v[233:234], v[222:223]
	s_delay_alu instid0(VALU_DEP_1) | instskip(NEXT) | instid1(VALU_DEP_1)
	v_mul_f64 v[233:234], v[235:236], v[222:223]
	v_fma_f64 v[220:221], -v[220:221], v[233:234], v[235:236]
	s_delay_alu instid0(VALU_DEP_1) | instskip(NEXT) | instid1(VALU_DEP_1)
	v_div_fmas_f64 v[220:221], v[220:221], v[222:223], v[233:234]
	v_div_fixup_f64 v[220:221], v[220:221], v[218:219], v[216:217]
	s_delay_alu instid0(VALU_DEP_1) | instskip(NEXT) | instid1(VALU_DEP_1)
	v_fma_f64 v[216:217], v[216:217], v[220:221], v[218:219]
	v_div_scale_f64 v[218:219], null, v[216:217], v[216:217], 1.0
	s_delay_alu instid0(VALU_DEP_1) | instskip(SKIP_2) | instid1(VALU_DEP_1)
	v_rcp_f64_e32 v[222:223], v[218:219]
	s_waitcnt_depctr 0xfff
	v_fma_f64 v[233:234], -v[218:219], v[222:223], 1.0
	v_fma_f64 v[222:223], v[222:223], v[233:234], v[222:223]
	s_delay_alu instid0(VALU_DEP_1) | instskip(NEXT) | instid1(VALU_DEP_1)
	v_fma_f64 v[233:234], -v[218:219], v[222:223], 1.0
	v_fma_f64 v[222:223], v[222:223], v[233:234], v[222:223]
	v_div_scale_f64 v[233:234], vcc_lo, 1.0, v[216:217], 1.0
	s_delay_alu instid0(VALU_DEP_1) | instskip(NEXT) | instid1(VALU_DEP_1)
	v_mul_f64 v[235:236], v[233:234], v[222:223]
	v_fma_f64 v[218:219], -v[218:219], v[235:236], v[233:234]
	s_delay_alu instid0(VALU_DEP_1) | instskip(NEXT) | instid1(VALU_DEP_1)
	v_div_fmas_f64 v[218:219], v[218:219], v[222:223], v[235:236]
	v_div_fixup_f64 v[218:219], v[218:219], v[216:217], 1.0
	s_delay_alu instid0(VALU_DEP_1)
	v_mul_f64 v[216:217], v[220:221], v[218:219]
	v_xor_b32_e32 v219, 0x80000000, v219
.LBB106_259:
	s_and_not1_saveexec_b32 s2, s2
	s_cbranch_execz .LBB106_261
; %bb.260:
	s_delay_alu instid0(VALU_DEP_1) | instskip(SKIP_1) | instid1(VALU_DEP_2)
	v_div_scale_f64 v[220:221], null, v[216:217], v[216:217], v[218:219]
	v_div_scale_f64 v[235:236], vcc_lo, v[218:219], v[216:217], v[218:219]
	v_rcp_f64_e32 v[222:223], v[220:221]
	s_waitcnt_depctr 0xfff
	v_fma_f64 v[233:234], -v[220:221], v[222:223], 1.0
	s_delay_alu instid0(VALU_DEP_1) | instskip(NEXT) | instid1(VALU_DEP_1)
	v_fma_f64 v[222:223], v[222:223], v[233:234], v[222:223]
	v_fma_f64 v[233:234], -v[220:221], v[222:223], 1.0
	s_delay_alu instid0(VALU_DEP_1) | instskip(NEXT) | instid1(VALU_DEP_1)
	v_fma_f64 v[222:223], v[222:223], v[233:234], v[222:223]
	v_mul_f64 v[233:234], v[235:236], v[222:223]
	s_delay_alu instid0(VALU_DEP_1) | instskip(NEXT) | instid1(VALU_DEP_1)
	v_fma_f64 v[220:221], -v[220:221], v[233:234], v[235:236]
	v_div_fmas_f64 v[220:221], v[220:221], v[222:223], v[233:234]
	s_delay_alu instid0(VALU_DEP_1) | instskip(NEXT) | instid1(VALU_DEP_1)
	v_div_fixup_f64 v[220:221], v[220:221], v[216:217], v[218:219]
	v_fma_f64 v[216:217], v[218:219], v[220:221], v[216:217]
	s_delay_alu instid0(VALU_DEP_1) | instskip(NEXT) | instid1(VALU_DEP_1)
	v_div_scale_f64 v[218:219], null, v[216:217], v[216:217], 1.0
	v_rcp_f64_e32 v[222:223], v[218:219]
	s_waitcnt_depctr 0xfff
	v_fma_f64 v[233:234], -v[218:219], v[222:223], 1.0
	s_delay_alu instid0(VALU_DEP_1) | instskip(NEXT) | instid1(VALU_DEP_1)
	v_fma_f64 v[222:223], v[222:223], v[233:234], v[222:223]
	v_fma_f64 v[233:234], -v[218:219], v[222:223], 1.0
	s_delay_alu instid0(VALU_DEP_1) | instskip(SKIP_1) | instid1(VALU_DEP_1)
	v_fma_f64 v[222:223], v[222:223], v[233:234], v[222:223]
	v_div_scale_f64 v[233:234], vcc_lo, 1.0, v[216:217], 1.0
	v_mul_f64 v[235:236], v[233:234], v[222:223]
	s_delay_alu instid0(VALU_DEP_1) | instskip(NEXT) | instid1(VALU_DEP_1)
	v_fma_f64 v[218:219], -v[218:219], v[235:236], v[233:234]
	v_div_fmas_f64 v[218:219], v[218:219], v[222:223], v[235:236]
	s_delay_alu instid0(VALU_DEP_1) | instskip(NEXT) | instid1(VALU_DEP_1)
	v_div_fixup_f64 v[216:217], v[218:219], v[216:217], 1.0
	v_mul_f64 v[218:219], v[220:221], -v[216:217]
.LBB106_261:
	s_or_b32 exec_lo, exec_lo, s2
.LBB106_262:
	s_delay_alu instid0(SALU_CYCLE_1) | instskip(NEXT) | instid1(SALU_CYCLE_1)
	s_or_b32 exec_lo, exec_lo, s3
	s_mov_b32 s2, exec_lo
	v_cmpx_ne_u32_e64 v232, v224
	s_xor_b32 s2, exec_lo, s2
	s_cbranch_execz .LBB106_268
; %bb.263:
	s_mov_b32 s3, exec_lo
	v_cmpx_eq_u32_e32 12, v232
	s_cbranch_execz .LBB106_267
; %bb.264:
	v_cmp_ne_u32_e32 vcc_lo, 12, v224
	s_xor_b32 s6, s4, -1
	s_delay_alu instid0(SALU_CYCLE_1) | instskip(NEXT) | instid1(SALU_CYCLE_1)
	s_and_b32 s7, s6, vcc_lo
	s_and_saveexec_b32 s6, s7
	s_cbranch_execz .LBB106_266
; %bb.265:
	v_ashrrev_i32_e32 v225, 31, v224
	s_delay_alu instid0(VALU_DEP_1) | instskip(NEXT) | instid1(VALU_DEP_1)
	v_lshlrev_b64 v[220:221], 2, v[224:225]
	v_add_co_u32 v220, vcc_lo, v214, v220
	s_delay_alu instid0(VALU_DEP_2)
	v_add_co_ci_u32_e32 v221, vcc_lo, v215, v221, vcc_lo
	s_clause 0x1
	flat_load_b32 v222, v[220:221]
	flat_load_b32 v223, v[214:215] offset:48
	s_waitcnt vmcnt(1) lgkmcnt(1)
	flat_store_b32 v[214:215], v222 offset:48
	s_waitcnt vmcnt(0) lgkmcnt(1)
	flat_store_b32 v[220:221], v223
.LBB106_266:
	s_or_b32 exec_lo, exec_lo, s6
	v_mov_b32_e32 v232, v224
	v_mov_b32_e32 v231, v224
.LBB106_267:
	s_or_b32 exec_lo, exec_lo, s3
.LBB106_268:
	s_and_not1_saveexec_b32 s2, s2
	s_cbranch_execz .LBB106_270
; %bb.269:
	v_mov_b32_e32 v232, 12
	ds_store_2addr_b64 v226, v[160:161], v[162:163] offset0:26 offset1:27
	ds_store_2addr_b64 v226, v[156:157], v[158:159] offset0:28 offset1:29
	;; [unrolled: 1-line block ×41, first 2 shown]
.LBB106_270:
	s_or_b32 exec_lo, exec_lo, s2
	s_delay_alu instid0(SALU_CYCLE_1)
	s_mov_b32 s2, exec_lo
	s_waitcnt lgkmcnt(0)
	s_waitcnt_vscnt null, 0x0
	s_barrier
	buffer_gl0_inv
	v_cmpx_lt_i32_e32 12, v232
	s_cbranch_execz .LBB106_272
; %bb.271:
	v_mul_f64 v[220:221], v[218:219], v[166:167]
	v_mul_f64 v[166:167], v[216:217], v[166:167]
	s_delay_alu instid0(VALU_DEP_2) | instskip(NEXT) | instid1(VALU_DEP_2)
	v_fma_f64 v[224:225], v[216:217], v[164:165], -v[220:221]
	v_fma_f64 v[166:167], v[218:219], v[164:165], v[166:167]
	ds_load_2addr_b64 v[216:219], v226 offset0:26 offset1:27
	s_waitcnt lgkmcnt(0)
	v_mul_f64 v[164:165], v[218:219], v[166:167]
	s_delay_alu instid0(VALU_DEP_1) | instskip(SKIP_1) | instid1(VALU_DEP_2)
	v_fma_f64 v[164:165], v[216:217], v[224:225], -v[164:165]
	v_mul_f64 v[216:217], v[216:217], v[166:167]
	v_add_f64 v[160:161], v[160:161], -v[164:165]
	s_delay_alu instid0(VALU_DEP_2) | instskip(NEXT) | instid1(VALU_DEP_1)
	v_fma_f64 v[216:217], v[218:219], v[224:225], v[216:217]
	v_add_f64 v[162:163], v[162:163], -v[216:217]
	ds_load_2addr_b64 v[216:219], v226 offset0:28 offset1:29
	s_waitcnt lgkmcnt(0)
	v_mul_f64 v[164:165], v[218:219], v[166:167]
	s_delay_alu instid0(VALU_DEP_1) | instskip(SKIP_1) | instid1(VALU_DEP_2)
	v_fma_f64 v[164:165], v[216:217], v[224:225], -v[164:165]
	v_mul_f64 v[216:217], v[216:217], v[166:167]
	v_add_f64 v[156:157], v[156:157], -v[164:165]
	s_delay_alu instid0(VALU_DEP_2) | instskip(NEXT) | instid1(VALU_DEP_1)
	v_fma_f64 v[216:217], v[218:219], v[224:225], v[216:217]
	v_add_f64 v[158:159], v[158:159], -v[216:217]
	;; [unrolled: 10-line block ×40, first 2 shown]
	ds_load_2addr_b64 v[216:219], v226 offset0:106 offset1:107
	s_waitcnt lgkmcnt(0)
	v_mul_f64 v[164:165], v[218:219], v[166:167]
	s_delay_alu instid0(VALU_DEP_1) | instskip(SKIP_1) | instid1(VALU_DEP_2)
	v_fma_f64 v[164:165], v[216:217], v[224:225], -v[164:165]
	v_mul_f64 v[216:217], v[216:217], v[166:167]
	v_add_f64 v[0:1], v[0:1], -v[164:165]
	s_delay_alu instid0(VALU_DEP_2) | instskip(SKIP_1) | instid1(VALU_DEP_2)
	v_fma_f64 v[216:217], v[218:219], v[224:225], v[216:217]
	v_dual_mov_b32 v164, v224 :: v_dual_mov_b32 v165, v225
	v_add_f64 v[2:3], v[2:3], -v[216:217]
.LBB106_272:
	s_or_b32 exec_lo, exec_lo, s2
	v_lshl_add_u32 v216, v232, 4, v226
	s_barrier
	buffer_gl0_inv
	v_mov_b32_e32 v224, 13
	ds_store_2addr_b64 v216, v[160:161], v[162:163] offset1:1
	s_waitcnt lgkmcnt(0)
	s_barrier
	buffer_gl0_inv
	ds_load_2addr_b64 v[216:219], v226 offset0:26 offset1:27
	s_cmp_lt_i32 s5, 15
	s_cbranch_scc1 .LBB106_275
; %bb.273:
	v_add3_u32 v225, v230, 0, 0xe0
	v_mov_b32_e32 v224, 13
	s_mov_b32 s6, 14
	s_set_inst_prefetch_distance 0x1
	.p2align	6
.LBB106_274:                            ; =>This Inner Loop Header: Depth=1
	ds_load_2addr_b64 v[233:236], v225 offset1:1
	s_waitcnt lgkmcnt(1)
	v_cmp_gt_f64_e32 vcc_lo, 0, v[216:217]
	v_xor_b32_e32 v220, 0x80000000, v217
	v_cmp_gt_f64_e64 s2, 0, v[218:219]
	v_xor_b32_e32 v222, 0x80000000, v219
	v_add_nc_u32_e32 v225, 16, v225
	s_waitcnt lgkmcnt(0)
	v_cmp_gt_f64_e64 s3, 0, v[233:234]
	v_mov_b32_e32 v237, v233
	v_mov_b32_e32 v239, v235
	v_cndmask_b32_e32 v221, v217, v220, vcc_lo
	v_xor_b32_e32 v220, 0x80000000, v234
	v_cndmask_b32_e64 v223, v219, v222, s2
	v_xor_b32_e32 v222, 0x80000000, v236
	s_delay_alu instid0(VALU_DEP_3) | instskip(SKIP_2) | instid1(VALU_DEP_2)
	v_cndmask_b32_e64 v238, v234, v220, s3
	v_cmp_gt_f64_e64 s3, 0, v[235:236]
	v_cndmask_b32_e32 v220, v216, v216, vcc_lo
	v_cndmask_b32_e64 v240, v236, v222, s3
	v_cndmask_b32_e64 v222, v218, v218, s2
	s_delay_alu instid0(VALU_DEP_2) | instskip(NEXT) | instid1(VALU_DEP_2)
	v_add_f64 v[237:238], v[237:238], v[239:240]
	v_add_f64 v[220:221], v[220:221], v[222:223]
	s_delay_alu instid0(VALU_DEP_1) | instskip(SKIP_4) | instid1(SALU_CYCLE_1)
	v_cmp_lt_f64_e32 vcc_lo, v[220:221], v[237:238]
	v_dual_cndmask_b32 v216, v216, v233 :: v_dual_cndmask_b32 v217, v217, v234
	v_dual_cndmask_b32 v219, v219, v236 :: v_dual_cndmask_b32 v218, v218, v235
	v_cndmask_b32_e64 v224, v224, s6, vcc_lo
	s_add_i32 s6, s6, 1
	s_cmp_lg_u32 s5, s6
	s_cbranch_scc1 .LBB106_274
.LBB106_275:
	s_set_inst_prefetch_distance 0x2
	s_waitcnt lgkmcnt(0)
	v_cmp_eq_f64_e32 vcc_lo, 0, v[216:217]
	v_cmp_eq_f64_e64 s2, 0, v[218:219]
	s_delay_alu instid0(VALU_DEP_1) | instskip(NEXT) | instid1(SALU_CYCLE_1)
	s_and_b32 s2, vcc_lo, s2
	s_and_saveexec_b32 s3, s2
	s_delay_alu instid0(SALU_CYCLE_1)
	s_xor_b32 s2, exec_lo, s3
; %bb.276:
	v_cmp_ne_u32_e32 vcc_lo, 0, v229
	v_cndmask_b32_e32 v229, 14, v229, vcc_lo
; %bb.277:
	s_and_not1_saveexec_b32 s3, s2
	s_cbranch_execz .LBB106_283
; %bb.278:
	v_cmp_gt_f64_e32 vcc_lo, 0, v[216:217]
	v_cmp_gt_f64_e64 s2, 0, v[218:219]
	v_xor_b32_e32 v220, 0x80000000, v217
	v_xor_b32_e32 v222, 0x80000000, v219
	s_delay_alu instid0(VALU_DEP_2) | instskip(NEXT) | instid1(VALU_DEP_2)
	v_cndmask_b32_e32 v221, v217, v220, vcc_lo
	v_cndmask_b32_e64 v223, v219, v222, s2
	v_cndmask_b32_e32 v220, v216, v216, vcc_lo
	v_cndmask_b32_e64 v222, v218, v218, s2
	s_mov_b32 s2, exec_lo
	s_delay_alu instid0(VALU_DEP_1)
	v_cmpx_ngt_f64_e32 v[220:221], v[222:223]
	s_xor_b32 s2, exec_lo, s2
	s_cbranch_execz .LBB106_280
; %bb.279:
	v_div_scale_f64 v[220:221], null, v[218:219], v[218:219], v[216:217]
	v_div_scale_f64 v[235:236], vcc_lo, v[216:217], v[218:219], v[216:217]
	s_delay_alu instid0(VALU_DEP_2) | instskip(SKIP_2) | instid1(VALU_DEP_1)
	v_rcp_f64_e32 v[222:223], v[220:221]
	s_waitcnt_depctr 0xfff
	v_fma_f64 v[233:234], -v[220:221], v[222:223], 1.0
	v_fma_f64 v[222:223], v[222:223], v[233:234], v[222:223]
	s_delay_alu instid0(VALU_DEP_1) | instskip(NEXT) | instid1(VALU_DEP_1)
	v_fma_f64 v[233:234], -v[220:221], v[222:223], 1.0
	v_fma_f64 v[222:223], v[222:223], v[233:234], v[222:223]
	s_delay_alu instid0(VALU_DEP_1) | instskip(NEXT) | instid1(VALU_DEP_1)
	v_mul_f64 v[233:234], v[235:236], v[222:223]
	v_fma_f64 v[220:221], -v[220:221], v[233:234], v[235:236]
	s_delay_alu instid0(VALU_DEP_1) | instskip(NEXT) | instid1(VALU_DEP_1)
	v_div_fmas_f64 v[220:221], v[220:221], v[222:223], v[233:234]
	v_div_fixup_f64 v[220:221], v[220:221], v[218:219], v[216:217]
	s_delay_alu instid0(VALU_DEP_1) | instskip(NEXT) | instid1(VALU_DEP_1)
	v_fma_f64 v[216:217], v[216:217], v[220:221], v[218:219]
	v_div_scale_f64 v[218:219], null, v[216:217], v[216:217], 1.0
	s_delay_alu instid0(VALU_DEP_1) | instskip(SKIP_2) | instid1(VALU_DEP_1)
	v_rcp_f64_e32 v[222:223], v[218:219]
	s_waitcnt_depctr 0xfff
	v_fma_f64 v[233:234], -v[218:219], v[222:223], 1.0
	v_fma_f64 v[222:223], v[222:223], v[233:234], v[222:223]
	s_delay_alu instid0(VALU_DEP_1) | instskip(NEXT) | instid1(VALU_DEP_1)
	v_fma_f64 v[233:234], -v[218:219], v[222:223], 1.0
	v_fma_f64 v[222:223], v[222:223], v[233:234], v[222:223]
	v_div_scale_f64 v[233:234], vcc_lo, 1.0, v[216:217], 1.0
	s_delay_alu instid0(VALU_DEP_1) | instskip(NEXT) | instid1(VALU_DEP_1)
	v_mul_f64 v[235:236], v[233:234], v[222:223]
	v_fma_f64 v[218:219], -v[218:219], v[235:236], v[233:234]
	s_delay_alu instid0(VALU_DEP_1) | instskip(NEXT) | instid1(VALU_DEP_1)
	v_div_fmas_f64 v[218:219], v[218:219], v[222:223], v[235:236]
	v_div_fixup_f64 v[218:219], v[218:219], v[216:217], 1.0
	s_delay_alu instid0(VALU_DEP_1)
	v_mul_f64 v[216:217], v[220:221], v[218:219]
	v_xor_b32_e32 v219, 0x80000000, v219
.LBB106_280:
	s_and_not1_saveexec_b32 s2, s2
	s_cbranch_execz .LBB106_282
; %bb.281:
	s_delay_alu instid0(VALU_DEP_1) | instskip(SKIP_1) | instid1(VALU_DEP_2)
	v_div_scale_f64 v[220:221], null, v[216:217], v[216:217], v[218:219]
	v_div_scale_f64 v[235:236], vcc_lo, v[218:219], v[216:217], v[218:219]
	v_rcp_f64_e32 v[222:223], v[220:221]
	s_waitcnt_depctr 0xfff
	v_fma_f64 v[233:234], -v[220:221], v[222:223], 1.0
	s_delay_alu instid0(VALU_DEP_1) | instskip(NEXT) | instid1(VALU_DEP_1)
	v_fma_f64 v[222:223], v[222:223], v[233:234], v[222:223]
	v_fma_f64 v[233:234], -v[220:221], v[222:223], 1.0
	s_delay_alu instid0(VALU_DEP_1) | instskip(NEXT) | instid1(VALU_DEP_1)
	v_fma_f64 v[222:223], v[222:223], v[233:234], v[222:223]
	v_mul_f64 v[233:234], v[235:236], v[222:223]
	s_delay_alu instid0(VALU_DEP_1) | instskip(NEXT) | instid1(VALU_DEP_1)
	v_fma_f64 v[220:221], -v[220:221], v[233:234], v[235:236]
	v_div_fmas_f64 v[220:221], v[220:221], v[222:223], v[233:234]
	s_delay_alu instid0(VALU_DEP_1) | instskip(NEXT) | instid1(VALU_DEP_1)
	v_div_fixup_f64 v[220:221], v[220:221], v[216:217], v[218:219]
	v_fma_f64 v[216:217], v[218:219], v[220:221], v[216:217]
	s_delay_alu instid0(VALU_DEP_1) | instskip(NEXT) | instid1(VALU_DEP_1)
	v_div_scale_f64 v[218:219], null, v[216:217], v[216:217], 1.0
	v_rcp_f64_e32 v[222:223], v[218:219]
	s_waitcnt_depctr 0xfff
	v_fma_f64 v[233:234], -v[218:219], v[222:223], 1.0
	s_delay_alu instid0(VALU_DEP_1) | instskip(NEXT) | instid1(VALU_DEP_1)
	v_fma_f64 v[222:223], v[222:223], v[233:234], v[222:223]
	v_fma_f64 v[233:234], -v[218:219], v[222:223], 1.0
	s_delay_alu instid0(VALU_DEP_1) | instskip(SKIP_1) | instid1(VALU_DEP_1)
	v_fma_f64 v[222:223], v[222:223], v[233:234], v[222:223]
	v_div_scale_f64 v[233:234], vcc_lo, 1.0, v[216:217], 1.0
	v_mul_f64 v[235:236], v[233:234], v[222:223]
	s_delay_alu instid0(VALU_DEP_1) | instskip(NEXT) | instid1(VALU_DEP_1)
	v_fma_f64 v[218:219], -v[218:219], v[235:236], v[233:234]
	v_div_fmas_f64 v[218:219], v[218:219], v[222:223], v[235:236]
	s_delay_alu instid0(VALU_DEP_1) | instskip(NEXT) | instid1(VALU_DEP_1)
	v_div_fixup_f64 v[216:217], v[218:219], v[216:217], 1.0
	v_mul_f64 v[218:219], v[220:221], -v[216:217]
.LBB106_282:
	s_or_b32 exec_lo, exec_lo, s2
.LBB106_283:
	s_delay_alu instid0(SALU_CYCLE_1) | instskip(NEXT) | instid1(SALU_CYCLE_1)
	s_or_b32 exec_lo, exec_lo, s3
	s_mov_b32 s2, exec_lo
	v_cmpx_ne_u32_e64 v232, v224
	s_xor_b32 s2, exec_lo, s2
	s_cbranch_execz .LBB106_289
; %bb.284:
	s_mov_b32 s3, exec_lo
	v_cmpx_eq_u32_e32 13, v232
	s_cbranch_execz .LBB106_288
; %bb.285:
	v_cmp_ne_u32_e32 vcc_lo, 13, v224
	s_xor_b32 s6, s4, -1
	s_delay_alu instid0(SALU_CYCLE_1) | instskip(NEXT) | instid1(SALU_CYCLE_1)
	s_and_b32 s7, s6, vcc_lo
	s_and_saveexec_b32 s6, s7
	s_cbranch_execz .LBB106_287
; %bb.286:
	v_ashrrev_i32_e32 v225, 31, v224
	s_delay_alu instid0(VALU_DEP_1) | instskip(NEXT) | instid1(VALU_DEP_1)
	v_lshlrev_b64 v[220:221], 2, v[224:225]
	v_add_co_u32 v220, vcc_lo, v214, v220
	s_delay_alu instid0(VALU_DEP_2)
	v_add_co_ci_u32_e32 v221, vcc_lo, v215, v221, vcc_lo
	s_clause 0x1
	flat_load_b32 v222, v[220:221]
	flat_load_b32 v223, v[214:215] offset:52
	s_waitcnt vmcnt(1) lgkmcnt(1)
	flat_store_b32 v[214:215], v222 offset:52
	s_waitcnt vmcnt(0) lgkmcnt(1)
	flat_store_b32 v[220:221], v223
.LBB106_287:
	s_or_b32 exec_lo, exec_lo, s6
	v_mov_b32_e32 v232, v224
	v_mov_b32_e32 v231, v224
.LBB106_288:
	s_or_b32 exec_lo, exec_lo, s3
.LBB106_289:
	s_and_not1_saveexec_b32 s2, s2
	s_cbranch_execz .LBB106_291
; %bb.290:
	v_mov_b32_e32 v232, 13
	ds_store_2addr_b64 v226, v[156:157], v[158:159] offset0:28 offset1:29
	ds_store_2addr_b64 v226, v[152:153], v[154:155] offset0:30 offset1:31
	;; [unrolled: 1-line block ×40, first 2 shown]
.LBB106_291:
	s_or_b32 exec_lo, exec_lo, s2
	s_delay_alu instid0(SALU_CYCLE_1)
	s_mov_b32 s2, exec_lo
	s_waitcnt lgkmcnt(0)
	s_waitcnt_vscnt null, 0x0
	s_barrier
	buffer_gl0_inv
	v_cmpx_lt_i32_e32 13, v232
	s_cbranch_execz .LBB106_293
; %bb.292:
	v_mul_f64 v[220:221], v[218:219], v[162:163]
	v_mul_f64 v[162:163], v[216:217], v[162:163]
	s_delay_alu instid0(VALU_DEP_2) | instskip(NEXT) | instid1(VALU_DEP_2)
	v_fma_f64 v[224:225], v[216:217], v[160:161], -v[220:221]
	v_fma_f64 v[162:163], v[218:219], v[160:161], v[162:163]
	ds_load_2addr_b64 v[216:219], v226 offset0:28 offset1:29
	s_waitcnt lgkmcnt(0)
	v_mul_f64 v[160:161], v[218:219], v[162:163]
	s_delay_alu instid0(VALU_DEP_1) | instskip(SKIP_1) | instid1(VALU_DEP_2)
	v_fma_f64 v[160:161], v[216:217], v[224:225], -v[160:161]
	v_mul_f64 v[216:217], v[216:217], v[162:163]
	v_add_f64 v[156:157], v[156:157], -v[160:161]
	s_delay_alu instid0(VALU_DEP_2) | instskip(NEXT) | instid1(VALU_DEP_1)
	v_fma_f64 v[216:217], v[218:219], v[224:225], v[216:217]
	v_add_f64 v[158:159], v[158:159], -v[216:217]
	ds_load_2addr_b64 v[216:219], v226 offset0:30 offset1:31
	s_waitcnt lgkmcnt(0)
	v_mul_f64 v[160:161], v[218:219], v[162:163]
	s_delay_alu instid0(VALU_DEP_1) | instskip(SKIP_1) | instid1(VALU_DEP_2)
	v_fma_f64 v[160:161], v[216:217], v[224:225], -v[160:161]
	v_mul_f64 v[216:217], v[216:217], v[162:163]
	v_add_f64 v[152:153], v[152:153], -v[160:161]
	s_delay_alu instid0(VALU_DEP_2) | instskip(NEXT) | instid1(VALU_DEP_1)
	v_fma_f64 v[216:217], v[218:219], v[224:225], v[216:217]
	v_add_f64 v[154:155], v[154:155], -v[216:217]
	;; [unrolled: 10-line block ×39, first 2 shown]
	ds_load_2addr_b64 v[216:219], v226 offset0:106 offset1:107
	s_waitcnt lgkmcnt(0)
	v_mul_f64 v[160:161], v[218:219], v[162:163]
	s_delay_alu instid0(VALU_DEP_1) | instskip(SKIP_1) | instid1(VALU_DEP_2)
	v_fma_f64 v[160:161], v[216:217], v[224:225], -v[160:161]
	v_mul_f64 v[216:217], v[216:217], v[162:163]
	v_add_f64 v[0:1], v[0:1], -v[160:161]
	s_delay_alu instid0(VALU_DEP_2) | instskip(SKIP_1) | instid1(VALU_DEP_2)
	v_fma_f64 v[216:217], v[218:219], v[224:225], v[216:217]
	v_dual_mov_b32 v160, v224 :: v_dual_mov_b32 v161, v225
	v_add_f64 v[2:3], v[2:3], -v[216:217]
.LBB106_293:
	s_or_b32 exec_lo, exec_lo, s2
	v_lshl_add_u32 v216, v232, 4, v226
	s_barrier
	buffer_gl0_inv
	v_mov_b32_e32 v224, 14
	ds_store_2addr_b64 v216, v[156:157], v[158:159] offset1:1
	s_waitcnt lgkmcnt(0)
	s_barrier
	buffer_gl0_inv
	ds_load_2addr_b64 v[216:219], v226 offset0:28 offset1:29
	s_cmp_lt_i32 s5, 16
	s_cbranch_scc1 .LBB106_296
; %bb.294:
	v_add3_u32 v225, v230, 0, 0xf0
	v_mov_b32_e32 v224, 14
	s_mov_b32 s6, 15
	s_set_inst_prefetch_distance 0x1
	.p2align	6
.LBB106_295:                            ; =>This Inner Loop Header: Depth=1
	ds_load_2addr_b64 v[233:236], v225 offset1:1
	s_waitcnt lgkmcnt(1)
	v_cmp_gt_f64_e32 vcc_lo, 0, v[216:217]
	v_xor_b32_e32 v220, 0x80000000, v217
	v_cmp_gt_f64_e64 s2, 0, v[218:219]
	v_xor_b32_e32 v222, 0x80000000, v219
	v_add_nc_u32_e32 v225, 16, v225
	s_waitcnt lgkmcnt(0)
	v_cmp_gt_f64_e64 s3, 0, v[233:234]
	v_mov_b32_e32 v237, v233
	v_mov_b32_e32 v239, v235
	v_cndmask_b32_e32 v221, v217, v220, vcc_lo
	v_xor_b32_e32 v220, 0x80000000, v234
	v_cndmask_b32_e64 v223, v219, v222, s2
	v_xor_b32_e32 v222, 0x80000000, v236
	s_delay_alu instid0(VALU_DEP_3) | instskip(SKIP_2) | instid1(VALU_DEP_2)
	v_cndmask_b32_e64 v238, v234, v220, s3
	v_cmp_gt_f64_e64 s3, 0, v[235:236]
	v_cndmask_b32_e32 v220, v216, v216, vcc_lo
	v_cndmask_b32_e64 v240, v236, v222, s3
	v_cndmask_b32_e64 v222, v218, v218, s2
	s_delay_alu instid0(VALU_DEP_2) | instskip(NEXT) | instid1(VALU_DEP_2)
	v_add_f64 v[237:238], v[237:238], v[239:240]
	v_add_f64 v[220:221], v[220:221], v[222:223]
	s_delay_alu instid0(VALU_DEP_1) | instskip(SKIP_4) | instid1(SALU_CYCLE_1)
	v_cmp_lt_f64_e32 vcc_lo, v[220:221], v[237:238]
	v_dual_cndmask_b32 v216, v216, v233 :: v_dual_cndmask_b32 v217, v217, v234
	v_dual_cndmask_b32 v219, v219, v236 :: v_dual_cndmask_b32 v218, v218, v235
	v_cndmask_b32_e64 v224, v224, s6, vcc_lo
	s_add_i32 s6, s6, 1
	s_cmp_lg_u32 s5, s6
	s_cbranch_scc1 .LBB106_295
.LBB106_296:
	s_set_inst_prefetch_distance 0x2
	s_waitcnt lgkmcnt(0)
	v_cmp_eq_f64_e32 vcc_lo, 0, v[216:217]
	v_cmp_eq_f64_e64 s2, 0, v[218:219]
	s_delay_alu instid0(VALU_DEP_1) | instskip(NEXT) | instid1(SALU_CYCLE_1)
	s_and_b32 s2, vcc_lo, s2
	s_and_saveexec_b32 s3, s2
	s_delay_alu instid0(SALU_CYCLE_1)
	s_xor_b32 s2, exec_lo, s3
; %bb.297:
	v_cmp_ne_u32_e32 vcc_lo, 0, v229
	v_cndmask_b32_e32 v229, 15, v229, vcc_lo
; %bb.298:
	s_and_not1_saveexec_b32 s3, s2
	s_cbranch_execz .LBB106_304
; %bb.299:
	v_cmp_gt_f64_e32 vcc_lo, 0, v[216:217]
	v_cmp_gt_f64_e64 s2, 0, v[218:219]
	v_xor_b32_e32 v220, 0x80000000, v217
	v_xor_b32_e32 v222, 0x80000000, v219
	s_delay_alu instid0(VALU_DEP_2) | instskip(NEXT) | instid1(VALU_DEP_2)
	v_cndmask_b32_e32 v221, v217, v220, vcc_lo
	v_cndmask_b32_e64 v223, v219, v222, s2
	v_cndmask_b32_e32 v220, v216, v216, vcc_lo
	v_cndmask_b32_e64 v222, v218, v218, s2
	s_mov_b32 s2, exec_lo
	s_delay_alu instid0(VALU_DEP_1)
	v_cmpx_ngt_f64_e32 v[220:221], v[222:223]
	s_xor_b32 s2, exec_lo, s2
	s_cbranch_execz .LBB106_301
; %bb.300:
	v_div_scale_f64 v[220:221], null, v[218:219], v[218:219], v[216:217]
	v_div_scale_f64 v[235:236], vcc_lo, v[216:217], v[218:219], v[216:217]
	s_delay_alu instid0(VALU_DEP_2) | instskip(SKIP_2) | instid1(VALU_DEP_1)
	v_rcp_f64_e32 v[222:223], v[220:221]
	s_waitcnt_depctr 0xfff
	v_fma_f64 v[233:234], -v[220:221], v[222:223], 1.0
	v_fma_f64 v[222:223], v[222:223], v[233:234], v[222:223]
	s_delay_alu instid0(VALU_DEP_1) | instskip(NEXT) | instid1(VALU_DEP_1)
	v_fma_f64 v[233:234], -v[220:221], v[222:223], 1.0
	v_fma_f64 v[222:223], v[222:223], v[233:234], v[222:223]
	s_delay_alu instid0(VALU_DEP_1) | instskip(NEXT) | instid1(VALU_DEP_1)
	v_mul_f64 v[233:234], v[235:236], v[222:223]
	v_fma_f64 v[220:221], -v[220:221], v[233:234], v[235:236]
	s_delay_alu instid0(VALU_DEP_1) | instskip(NEXT) | instid1(VALU_DEP_1)
	v_div_fmas_f64 v[220:221], v[220:221], v[222:223], v[233:234]
	v_div_fixup_f64 v[220:221], v[220:221], v[218:219], v[216:217]
	s_delay_alu instid0(VALU_DEP_1) | instskip(NEXT) | instid1(VALU_DEP_1)
	v_fma_f64 v[216:217], v[216:217], v[220:221], v[218:219]
	v_div_scale_f64 v[218:219], null, v[216:217], v[216:217], 1.0
	s_delay_alu instid0(VALU_DEP_1) | instskip(SKIP_2) | instid1(VALU_DEP_1)
	v_rcp_f64_e32 v[222:223], v[218:219]
	s_waitcnt_depctr 0xfff
	v_fma_f64 v[233:234], -v[218:219], v[222:223], 1.0
	v_fma_f64 v[222:223], v[222:223], v[233:234], v[222:223]
	s_delay_alu instid0(VALU_DEP_1) | instskip(NEXT) | instid1(VALU_DEP_1)
	v_fma_f64 v[233:234], -v[218:219], v[222:223], 1.0
	v_fma_f64 v[222:223], v[222:223], v[233:234], v[222:223]
	v_div_scale_f64 v[233:234], vcc_lo, 1.0, v[216:217], 1.0
	s_delay_alu instid0(VALU_DEP_1) | instskip(NEXT) | instid1(VALU_DEP_1)
	v_mul_f64 v[235:236], v[233:234], v[222:223]
	v_fma_f64 v[218:219], -v[218:219], v[235:236], v[233:234]
	s_delay_alu instid0(VALU_DEP_1) | instskip(NEXT) | instid1(VALU_DEP_1)
	v_div_fmas_f64 v[218:219], v[218:219], v[222:223], v[235:236]
	v_div_fixup_f64 v[218:219], v[218:219], v[216:217], 1.0
	s_delay_alu instid0(VALU_DEP_1)
	v_mul_f64 v[216:217], v[220:221], v[218:219]
	v_xor_b32_e32 v219, 0x80000000, v219
.LBB106_301:
	s_and_not1_saveexec_b32 s2, s2
	s_cbranch_execz .LBB106_303
; %bb.302:
	s_delay_alu instid0(VALU_DEP_1) | instskip(SKIP_1) | instid1(VALU_DEP_2)
	v_div_scale_f64 v[220:221], null, v[216:217], v[216:217], v[218:219]
	v_div_scale_f64 v[235:236], vcc_lo, v[218:219], v[216:217], v[218:219]
	v_rcp_f64_e32 v[222:223], v[220:221]
	s_waitcnt_depctr 0xfff
	v_fma_f64 v[233:234], -v[220:221], v[222:223], 1.0
	s_delay_alu instid0(VALU_DEP_1) | instskip(NEXT) | instid1(VALU_DEP_1)
	v_fma_f64 v[222:223], v[222:223], v[233:234], v[222:223]
	v_fma_f64 v[233:234], -v[220:221], v[222:223], 1.0
	s_delay_alu instid0(VALU_DEP_1) | instskip(NEXT) | instid1(VALU_DEP_1)
	v_fma_f64 v[222:223], v[222:223], v[233:234], v[222:223]
	v_mul_f64 v[233:234], v[235:236], v[222:223]
	s_delay_alu instid0(VALU_DEP_1) | instskip(NEXT) | instid1(VALU_DEP_1)
	v_fma_f64 v[220:221], -v[220:221], v[233:234], v[235:236]
	v_div_fmas_f64 v[220:221], v[220:221], v[222:223], v[233:234]
	s_delay_alu instid0(VALU_DEP_1) | instskip(NEXT) | instid1(VALU_DEP_1)
	v_div_fixup_f64 v[220:221], v[220:221], v[216:217], v[218:219]
	v_fma_f64 v[216:217], v[218:219], v[220:221], v[216:217]
	s_delay_alu instid0(VALU_DEP_1) | instskip(NEXT) | instid1(VALU_DEP_1)
	v_div_scale_f64 v[218:219], null, v[216:217], v[216:217], 1.0
	v_rcp_f64_e32 v[222:223], v[218:219]
	s_waitcnt_depctr 0xfff
	v_fma_f64 v[233:234], -v[218:219], v[222:223], 1.0
	s_delay_alu instid0(VALU_DEP_1) | instskip(NEXT) | instid1(VALU_DEP_1)
	v_fma_f64 v[222:223], v[222:223], v[233:234], v[222:223]
	v_fma_f64 v[233:234], -v[218:219], v[222:223], 1.0
	s_delay_alu instid0(VALU_DEP_1) | instskip(SKIP_1) | instid1(VALU_DEP_1)
	v_fma_f64 v[222:223], v[222:223], v[233:234], v[222:223]
	v_div_scale_f64 v[233:234], vcc_lo, 1.0, v[216:217], 1.0
	v_mul_f64 v[235:236], v[233:234], v[222:223]
	s_delay_alu instid0(VALU_DEP_1) | instskip(NEXT) | instid1(VALU_DEP_1)
	v_fma_f64 v[218:219], -v[218:219], v[235:236], v[233:234]
	v_div_fmas_f64 v[218:219], v[218:219], v[222:223], v[235:236]
	s_delay_alu instid0(VALU_DEP_1) | instskip(NEXT) | instid1(VALU_DEP_1)
	v_div_fixup_f64 v[216:217], v[218:219], v[216:217], 1.0
	v_mul_f64 v[218:219], v[220:221], -v[216:217]
.LBB106_303:
	s_or_b32 exec_lo, exec_lo, s2
.LBB106_304:
	s_delay_alu instid0(SALU_CYCLE_1) | instskip(NEXT) | instid1(SALU_CYCLE_1)
	s_or_b32 exec_lo, exec_lo, s3
	s_mov_b32 s2, exec_lo
	v_cmpx_ne_u32_e64 v232, v224
	s_xor_b32 s2, exec_lo, s2
	s_cbranch_execz .LBB106_310
; %bb.305:
	s_mov_b32 s3, exec_lo
	v_cmpx_eq_u32_e32 14, v232
	s_cbranch_execz .LBB106_309
; %bb.306:
	v_cmp_ne_u32_e32 vcc_lo, 14, v224
	s_xor_b32 s6, s4, -1
	s_delay_alu instid0(SALU_CYCLE_1) | instskip(NEXT) | instid1(SALU_CYCLE_1)
	s_and_b32 s7, s6, vcc_lo
	s_and_saveexec_b32 s6, s7
	s_cbranch_execz .LBB106_308
; %bb.307:
	v_ashrrev_i32_e32 v225, 31, v224
	s_delay_alu instid0(VALU_DEP_1) | instskip(NEXT) | instid1(VALU_DEP_1)
	v_lshlrev_b64 v[220:221], 2, v[224:225]
	v_add_co_u32 v220, vcc_lo, v214, v220
	s_delay_alu instid0(VALU_DEP_2)
	v_add_co_ci_u32_e32 v221, vcc_lo, v215, v221, vcc_lo
	s_clause 0x1
	flat_load_b32 v222, v[220:221]
	flat_load_b32 v223, v[214:215] offset:56
	s_waitcnt vmcnt(1) lgkmcnt(1)
	flat_store_b32 v[214:215], v222 offset:56
	s_waitcnt vmcnt(0) lgkmcnt(1)
	flat_store_b32 v[220:221], v223
.LBB106_308:
	s_or_b32 exec_lo, exec_lo, s6
	v_mov_b32_e32 v232, v224
	v_mov_b32_e32 v231, v224
.LBB106_309:
	s_or_b32 exec_lo, exec_lo, s3
.LBB106_310:
	s_and_not1_saveexec_b32 s2, s2
	s_cbranch_execz .LBB106_312
; %bb.311:
	v_mov_b32_e32 v232, 14
	ds_store_2addr_b64 v226, v[152:153], v[154:155] offset0:30 offset1:31
	ds_store_2addr_b64 v226, v[148:149], v[150:151] offset0:32 offset1:33
	;; [unrolled: 1-line block ×39, first 2 shown]
.LBB106_312:
	s_or_b32 exec_lo, exec_lo, s2
	s_delay_alu instid0(SALU_CYCLE_1)
	s_mov_b32 s2, exec_lo
	s_waitcnt lgkmcnt(0)
	s_waitcnt_vscnt null, 0x0
	s_barrier
	buffer_gl0_inv
	v_cmpx_lt_i32_e32 14, v232
	s_cbranch_execz .LBB106_314
; %bb.313:
	v_mul_f64 v[220:221], v[218:219], v[158:159]
	v_mul_f64 v[158:159], v[216:217], v[158:159]
	s_delay_alu instid0(VALU_DEP_2) | instskip(NEXT) | instid1(VALU_DEP_2)
	v_fma_f64 v[224:225], v[216:217], v[156:157], -v[220:221]
	v_fma_f64 v[158:159], v[218:219], v[156:157], v[158:159]
	ds_load_2addr_b64 v[216:219], v226 offset0:30 offset1:31
	s_waitcnt lgkmcnt(0)
	v_mul_f64 v[156:157], v[218:219], v[158:159]
	s_delay_alu instid0(VALU_DEP_1) | instskip(SKIP_1) | instid1(VALU_DEP_2)
	v_fma_f64 v[156:157], v[216:217], v[224:225], -v[156:157]
	v_mul_f64 v[216:217], v[216:217], v[158:159]
	v_add_f64 v[152:153], v[152:153], -v[156:157]
	s_delay_alu instid0(VALU_DEP_2) | instskip(NEXT) | instid1(VALU_DEP_1)
	v_fma_f64 v[216:217], v[218:219], v[224:225], v[216:217]
	v_add_f64 v[154:155], v[154:155], -v[216:217]
	ds_load_2addr_b64 v[216:219], v226 offset0:32 offset1:33
	s_waitcnt lgkmcnt(0)
	v_mul_f64 v[156:157], v[218:219], v[158:159]
	s_delay_alu instid0(VALU_DEP_1) | instskip(SKIP_1) | instid1(VALU_DEP_2)
	v_fma_f64 v[156:157], v[216:217], v[224:225], -v[156:157]
	v_mul_f64 v[216:217], v[216:217], v[158:159]
	v_add_f64 v[148:149], v[148:149], -v[156:157]
	s_delay_alu instid0(VALU_DEP_2) | instskip(NEXT) | instid1(VALU_DEP_1)
	v_fma_f64 v[216:217], v[218:219], v[224:225], v[216:217]
	v_add_f64 v[150:151], v[150:151], -v[216:217]
	;; [unrolled: 10-line block ×38, first 2 shown]
	ds_load_2addr_b64 v[216:219], v226 offset0:106 offset1:107
	s_waitcnt lgkmcnt(0)
	v_mul_f64 v[156:157], v[218:219], v[158:159]
	s_delay_alu instid0(VALU_DEP_1) | instskip(SKIP_1) | instid1(VALU_DEP_2)
	v_fma_f64 v[156:157], v[216:217], v[224:225], -v[156:157]
	v_mul_f64 v[216:217], v[216:217], v[158:159]
	v_add_f64 v[0:1], v[0:1], -v[156:157]
	s_delay_alu instid0(VALU_DEP_2) | instskip(SKIP_1) | instid1(VALU_DEP_2)
	v_fma_f64 v[216:217], v[218:219], v[224:225], v[216:217]
	v_dual_mov_b32 v156, v224 :: v_dual_mov_b32 v157, v225
	v_add_f64 v[2:3], v[2:3], -v[216:217]
.LBB106_314:
	s_or_b32 exec_lo, exec_lo, s2
	v_lshl_add_u32 v216, v232, 4, v226
	s_barrier
	buffer_gl0_inv
	v_mov_b32_e32 v224, 15
	ds_store_2addr_b64 v216, v[152:153], v[154:155] offset1:1
	s_waitcnt lgkmcnt(0)
	s_barrier
	buffer_gl0_inv
	ds_load_2addr_b64 v[216:219], v226 offset0:30 offset1:31
	s_cmp_lt_i32 s5, 17
	s_cbranch_scc1 .LBB106_317
; %bb.315:
	v_add3_u32 v225, v230, 0, 0x100
	v_mov_b32_e32 v224, 15
	s_mov_b32 s6, 16
	s_set_inst_prefetch_distance 0x1
	.p2align	6
.LBB106_316:                            ; =>This Inner Loop Header: Depth=1
	ds_load_2addr_b64 v[233:236], v225 offset1:1
	s_waitcnt lgkmcnt(1)
	v_cmp_gt_f64_e32 vcc_lo, 0, v[216:217]
	v_xor_b32_e32 v220, 0x80000000, v217
	v_cmp_gt_f64_e64 s2, 0, v[218:219]
	v_xor_b32_e32 v222, 0x80000000, v219
	v_add_nc_u32_e32 v225, 16, v225
	s_waitcnt lgkmcnt(0)
	v_cmp_gt_f64_e64 s3, 0, v[233:234]
	v_mov_b32_e32 v237, v233
	v_mov_b32_e32 v239, v235
	v_cndmask_b32_e32 v221, v217, v220, vcc_lo
	v_xor_b32_e32 v220, 0x80000000, v234
	v_cndmask_b32_e64 v223, v219, v222, s2
	v_xor_b32_e32 v222, 0x80000000, v236
	s_delay_alu instid0(VALU_DEP_3) | instskip(SKIP_2) | instid1(VALU_DEP_2)
	v_cndmask_b32_e64 v238, v234, v220, s3
	v_cmp_gt_f64_e64 s3, 0, v[235:236]
	v_cndmask_b32_e32 v220, v216, v216, vcc_lo
	v_cndmask_b32_e64 v240, v236, v222, s3
	v_cndmask_b32_e64 v222, v218, v218, s2
	s_delay_alu instid0(VALU_DEP_2) | instskip(NEXT) | instid1(VALU_DEP_2)
	v_add_f64 v[237:238], v[237:238], v[239:240]
	v_add_f64 v[220:221], v[220:221], v[222:223]
	s_delay_alu instid0(VALU_DEP_1) | instskip(SKIP_4) | instid1(SALU_CYCLE_1)
	v_cmp_lt_f64_e32 vcc_lo, v[220:221], v[237:238]
	v_dual_cndmask_b32 v216, v216, v233 :: v_dual_cndmask_b32 v217, v217, v234
	v_dual_cndmask_b32 v219, v219, v236 :: v_dual_cndmask_b32 v218, v218, v235
	v_cndmask_b32_e64 v224, v224, s6, vcc_lo
	s_add_i32 s6, s6, 1
	s_cmp_lg_u32 s5, s6
	s_cbranch_scc1 .LBB106_316
.LBB106_317:
	s_set_inst_prefetch_distance 0x2
	s_waitcnt lgkmcnt(0)
	v_cmp_eq_f64_e32 vcc_lo, 0, v[216:217]
	v_cmp_eq_f64_e64 s2, 0, v[218:219]
	s_delay_alu instid0(VALU_DEP_1) | instskip(NEXT) | instid1(SALU_CYCLE_1)
	s_and_b32 s2, vcc_lo, s2
	s_and_saveexec_b32 s3, s2
	s_delay_alu instid0(SALU_CYCLE_1)
	s_xor_b32 s2, exec_lo, s3
; %bb.318:
	v_cmp_ne_u32_e32 vcc_lo, 0, v229
	v_cndmask_b32_e32 v229, 16, v229, vcc_lo
; %bb.319:
	s_and_not1_saveexec_b32 s3, s2
	s_cbranch_execz .LBB106_325
; %bb.320:
	v_cmp_gt_f64_e32 vcc_lo, 0, v[216:217]
	v_cmp_gt_f64_e64 s2, 0, v[218:219]
	v_xor_b32_e32 v220, 0x80000000, v217
	v_xor_b32_e32 v222, 0x80000000, v219
	s_delay_alu instid0(VALU_DEP_2) | instskip(NEXT) | instid1(VALU_DEP_2)
	v_cndmask_b32_e32 v221, v217, v220, vcc_lo
	v_cndmask_b32_e64 v223, v219, v222, s2
	v_cndmask_b32_e32 v220, v216, v216, vcc_lo
	v_cndmask_b32_e64 v222, v218, v218, s2
	s_mov_b32 s2, exec_lo
	s_delay_alu instid0(VALU_DEP_1)
	v_cmpx_ngt_f64_e32 v[220:221], v[222:223]
	s_xor_b32 s2, exec_lo, s2
	s_cbranch_execz .LBB106_322
; %bb.321:
	v_div_scale_f64 v[220:221], null, v[218:219], v[218:219], v[216:217]
	v_div_scale_f64 v[235:236], vcc_lo, v[216:217], v[218:219], v[216:217]
	s_delay_alu instid0(VALU_DEP_2) | instskip(SKIP_2) | instid1(VALU_DEP_1)
	v_rcp_f64_e32 v[222:223], v[220:221]
	s_waitcnt_depctr 0xfff
	v_fma_f64 v[233:234], -v[220:221], v[222:223], 1.0
	v_fma_f64 v[222:223], v[222:223], v[233:234], v[222:223]
	s_delay_alu instid0(VALU_DEP_1) | instskip(NEXT) | instid1(VALU_DEP_1)
	v_fma_f64 v[233:234], -v[220:221], v[222:223], 1.0
	v_fma_f64 v[222:223], v[222:223], v[233:234], v[222:223]
	s_delay_alu instid0(VALU_DEP_1) | instskip(NEXT) | instid1(VALU_DEP_1)
	v_mul_f64 v[233:234], v[235:236], v[222:223]
	v_fma_f64 v[220:221], -v[220:221], v[233:234], v[235:236]
	s_delay_alu instid0(VALU_DEP_1) | instskip(NEXT) | instid1(VALU_DEP_1)
	v_div_fmas_f64 v[220:221], v[220:221], v[222:223], v[233:234]
	v_div_fixup_f64 v[220:221], v[220:221], v[218:219], v[216:217]
	s_delay_alu instid0(VALU_DEP_1) | instskip(NEXT) | instid1(VALU_DEP_1)
	v_fma_f64 v[216:217], v[216:217], v[220:221], v[218:219]
	v_div_scale_f64 v[218:219], null, v[216:217], v[216:217], 1.0
	s_delay_alu instid0(VALU_DEP_1) | instskip(SKIP_2) | instid1(VALU_DEP_1)
	v_rcp_f64_e32 v[222:223], v[218:219]
	s_waitcnt_depctr 0xfff
	v_fma_f64 v[233:234], -v[218:219], v[222:223], 1.0
	v_fma_f64 v[222:223], v[222:223], v[233:234], v[222:223]
	s_delay_alu instid0(VALU_DEP_1) | instskip(NEXT) | instid1(VALU_DEP_1)
	v_fma_f64 v[233:234], -v[218:219], v[222:223], 1.0
	v_fma_f64 v[222:223], v[222:223], v[233:234], v[222:223]
	v_div_scale_f64 v[233:234], vcc_lo, 1.0, v[216:217], 1.0
	s_delay_alu instid0(VALU_DEP_1) | instskip(NEXT) | instid1(VALU_DEP_1)
	v_mul_f64 v[235:236], v[233:234], v[222:223]
	v_fma_f64 v[218:219], -v[218:219], v[235:236], v[233:234]
	s_delay_alu instid0(VALU_DEP_1) | instskip(NEXT) | instid1(VALU_DEP_1)
	v_div_fmas_f64 v[218:219], v[218:219], v[222:223], v[235:236]
	v_div_fixup_f64 v[218:219], v[218:219], v[216:217], 1.0
	s_delay_alu instid0(VALU_DEP_1)
	v_mul_f64 v[216:217], v[220:221], v[218:219]
	v_xor_b32_e32 v219, 0x80000000, v219
.LBB106_322:
	s_and_not1_saveexec_b32 s2, s2
	s_cbranch_execz .LBB106_324
; %bb.323:
	s_delay_alu instid0(VALU_DEP_1) | instskip(SKIP_1) | instid1(VALU_DEP_2)
	v_div_scale_f64 v[220:221], null, v[216:217], v[216:217], v[218:219]
	v_div_scale_f64 v[235:236], vcc_lo, v[218:219], v[216:217], v[218:219]
	v_rcp_f64_e32 v[222:223], v[220:221]
	s_waitcnt_depctr 0xfff
	v_fma_f64 v[233:234], -v[220:221], v[222:223], 1.0
	s_delay_alu instid0(VALU_DEP_1) | instskip(NEXT) | instid1(VALU_DEP_1)
	v_fma_f64 v[222:223], v[222:223], v[233:234], v[222:223]
	v_fma_f64 v[233:234], -v[220:221], v[222:223], 1.0
	s_delay_alu instid0(VALU_DEP_1) | instskip(NEXT) | instid1(VALU_DEP_1)
	v_fma_f64 v[222:223], v[222:223], v[233:234], v[222:223]
	v_mul_f64 v[233:234], v[235:236], v[222:223]
	s_delay_alu instid0(VALU_DEP_1) | instskip(NEXT) | instid1(VALU_DEP_1)
	v_fma_f64 v[220:221], -v[220:221], v[233:234], v[235:236]
	v_div_fmas_f64 v[220:221], v[220:221], v[222:223], v[233:234]
	s_delay_alu instid0(VALU_DEP_1) | instskip(NEXT) | instid1(VALU_DEP_1)
	v_div_fixup_f64 v[220:221], v[220:221], v[216:217], v[218:219]
	v_fma_f64 v[216:217], v[218:219], v[220:221], v[216:217]
	s_delay_alu instid0(VALU_DEP_1) | instskip(NEXT) | instid1(VALU_DEP_1)
	v_div_scale_f64 v[218:219], null, v[216:217], v[216:217], 1.0
	v_rcp_f64_e32 v[222:223], v[218:219]
	s_waitcnt_depctr 0xfff
	v_fma_f64 v[233:234], -v[218:219], v[222:223], 1.0
	s_delay_alu instid0(VALU_DEP_1) | instskip(NEXT) | instid1(VALU_DEP_1)
	v_fma_f64 v[222:223], v[222:223], v[233:234], v[222:223]
	v_fma_f64 v[233:234], -v[218:219], v[222:223], 1.0
	s_delay_alu instid0(VALU_DEP_1) | instskip(SKIP_1) | instid1(VALU_DEP_1)
	v_fma_f64 v[222:223], v[222:223], v[233:234], v[222:223]
	v_div_scale_f64 v[233:234], vcc_lo, 1.0, v[216:217], 1.0
	v_mul_f64 v[235:236], v[233:234], v[222:223]
	s_delay_alu instid0(VALU_DEP_1) | instskip(NEXT) | instid1(VALU_DEP_1)
	v_fma_f64 v[218:219], -v[218:219], v[235:236], v[233:234]
	v_div_fmas_f64 v[218:219], v[218:219], v[222:223], v[235:236]
	s_delay_alu instid0(VALU_DEP_1) | instskip(NEXT) | instid1(VALU_DEP_1)
	v_div_fixup_f64 v[216:217], v[218:219], v[216:217], 1.0
	v_mul_f64 v[218:219], v[220:221], -v[216:217]
.LBB106_324:
	s_or_b32 exec_lo, exec_lo, s2
.LBB106_325:
	s_delay_alu instid0(SALU_CYCLE_1) | instskip(NEXT) | instid1(SALU_CYCLE_1)
	s_or_b32 exec_lo, exec_lo, s3
	s_mov_b32 s2, exec_lo
	v_cmpx_ne_u32_e64 v232, v224
	s_xor_b32 s2, exec_lo, s2
	s_cbranch_execz .LBB106_331
; %bb.326:
	s_mov_b32 s3, exec_lo
	v_cmpx_eq_u32_e32 15, v232
	s_cbranch_execz .LBB106_330
; %bb.327:
	v_cmp_ne_u32_e32 vcc_lo, 15, v224
	s_xor_b32 s6, s4, -1
	s_delay_alu instid0(SALU_CYCLE_1) | instskip(NEXT) | instid1(SALU_CYCLE_1)
	s_and_b32 s7, s6, vcc_lo
	s_and_saveexec_b32 s6, s7
	s_cbranch_execz .LBB106_329
; %bb.328:
	v_ashrrev_i32_e32 v225, 31, v224
	s_delay_alu instid0(VALU_DEP_1) | instskip(NEXT) | instid1(VALU_DEP_1)
	v_lshlrev_b64 v[220:221], 2, v[224:225]
	v_add_co_u32 v220, vcc_lo, v214, v220
	s_delay_alu instid0(VALU_DEP_2)
	v_add_co_ci_u32_e32 v221, vcc_lo, v215, v221, vcc_lo
	s_clause 0x1
	flat_load_b32 v222, v[220:221]
	flat_load_b32 v223, v[214:215] offset:60
	s_waitcnt vmcnt(1) lgkmcnt(1)
	flat_store_b32 v[214:215], v222 offset:60
	s_waitcnt vmcnt(0) lgkmcnt(1)
	flat_store_b32 v[220:221], v223
.LBB106_329:
	s_or_b32 exec_lo, exec_lo, s6
	v_mov_b32_e32 v232, v224
	v_mov_b32_e32 v231, v224
.LBB106_330:
	s_or_b32 exec_lo, exec_lo, s3
.LBB106_331:
	s_and_not1_saveexec_b32 s2, s2
	s_cbranch_execz .LBB106_333
; %bb.332:
	v_mov_b32_e32 v232, 15
	ds_store_2addr_b64 v226, v[148:149], v[150:151] offset0:32 offset1:33
	ds_store_2addr_b64 v226, v[144:145], v[146:147] offset0:34 offset1:35
	;; [unrolled: 1-line block ×38, first 2 shown]
.LBB106_333:
	s_or_b32 exec_lo, exec_lo, s2
	s_delay_alu instid0(SALU_CYCLE_1)
	s_mov_b32 s2, exec_lo
	s_waitcnt lgkmcnt(0)
	s_waitcnt_vscnt null, 0x0
	s_barrier
	buffer_gl0_inv
	v_cmpx_lt_i32_e32 15, v232
	s_cbranch_execz .LBB106_335
; %bb.334:
	v_mul_f64 v[220:221], v[218:219], v[154:155]
	v_mul_f64 v[154:155], v[216:217], v[154:155]
	s_delay_alu instid0(VALU_DEP_2) | instskip(NEXT) | instid1(VALU_DEP_2)
	v_fma_f64 v[224:225], v[216:217], v[152:153], -v[220:221]
	v_fma_f64 v[154:155], v[218:219], v[152:153], v[154:155]
	ds_load_2addr_b64 v[216:219], v226 offset0:32 offset1:33
	s_waitcnt lgkmcnt(0)
	v_mul_f64 v[152:153], v[218:219], v[154:155]
	s_delay_alu instid0(VALU_DEP_1) | instskip(SKIP_1) | instid1(VALU_DEP_2)
	v_fma_f64 v[152:153], v[216:217], v[224:225], -v[152:153]
	v_mul_f64 v[216:217], v[216:217], v[154:155]
	v_add_f64 v[148:149], v[148:149], -v[152:153]
	s_delay_alu instid0(VALU_DEP_2) | instskip(NEXT) | instid1(VALU_DEP_1)
	v_fma_f64 v[216:217], v[218:219], v[224:225], v[216:217]
	v_add_f64 v[150:151], v[150:151], -v[216:217]
	ds_load_2addr_b64 v[216:219], v226 offset0:34 offset1:35
	s_waitcnt lgkmcnt(0)
	v_mul_f64 v[152:153], v[218:219], v[154:155]
	s_delay_alu instid0(VALU_DEP_1) | instskip(SKIP_1) | instid1(VALU_DEP_2)
	v_fma_f64 v[152:153], v[216:217], v[224:225], -v[152:153]
	v_mul_f64 v[216:217], v[216:217], v[154:155]
	v_add_f64 v[144:145], v[144:145], -v[152:153]
	s_delay_alu instid0(VALU_DEP_2) | instskip(NEXT) | instid1(VALU_DEP_1)
	v_fma_f64 v[216:217], v[218:219], v[224:225], v[216:217]
	v_add_f64 v[146:147], v[146:147], -v[216:217]
	;; [unrolled: 10-line block ×37, first 2 shown]
	ds_load_2addr_b64 v[216:219], v226 offset0:106 offset1:107
	s_waitcnt lgkmcnt(0)
	v_mul_f64 v[152:153], v[218:219], v[154:155]
	s_delay_alu instid0(VALU_DEP_1) | instskip(SKIP_1) | instid1(VALU_DEP_2)
	v_fma_f64 v[152:153], v[216:217], v[224:225], -v[152:153]
	v_mul_f64 v[216:217], v[216:217], v[154:155]
	v_add_f64 v[0:1], v[0:1], -v[152:153]
	s_delay_alu instid0(VALU_DEP_2) | instskip(SKIP_1) | instid1(VALU_DEP_2)
	v_fma_f64 v[216:217], v[218:219], v[224:225], v[216:217]
	v_dual_mov_b32 v152, v224 :: v_dual_mov_b32 v153, v225
	v_add_f64 v[2:3], v[2:3], -v[216:217]
.LBB106_335:
	s_or_b32 exec_lo, exec_lo, s2
	v_lshl_add_u32 v216, v232, 4, v226
	s_barrier
	buffer_gl0_inv
	v_mov_b32_e32 v224, 16
	ds_store_2addr_b64 v216, v[148:149], v[150:151] offset1:1
	s_waitcnt lgkmcnt(0)
	s_barrier
	buffer_gl0_inv
	ds_load_2addr_b64 v[216:219], v226 offset0:32 offset1:33
	s_cmp_lt_i32 s5, 18
	s_cbranch_scc1 .LBB106_338
; %bb.336:
	v_add3_u32 v225, v230, 0, 0x110
	v_mov_b32_e32 v224, 16
	s_mov_b32 s6, 17
	s_set_inst_prefetch_distance 0x1
	.p2align	6
.LBB106_337:                            ; =>This Inner Loop Header: Depth=1
	ds_load_2addr_b64 v[233:236], v225 offset1:1
	s_waitcnt lgkmcnt(1)
	v_cmp_gt_f64_e32 vcc_lo, 0, v[216:217]
	v_xor_b32_e32 v220, 0x80000000, v217
	v_cmp_gt_f64_e64 s2, 0, v[218:219]
	v_xor_b32_e32 v222, 0x80000000, v219
	v_add_nc_u32_e32 v225, 16, v225
	s_waitcnt lgkmcnt(0)
	v_cmp_gt_f64_e64 s3, 0, v[233:234]
	v_mov_b32_e32 v237, v233
	v_mov_b32_e32 v239, v235
	v_cndmask_b32_e32 v221, v217, v220, vcc_lo
	v_xor_b32_e32 v220, 0x80000000, v234
	v_cndmask_b32_e64 v223, v219, v222, s2
	v_xor_b32_e32 v222, 0x80000000, v236
	s_delay_alu instid0(VALU_DEP_3) | instskip(SKIP_2) | instid1(VALU_DEP_2)
	v_cndmask_b32_e64 v238, v234, v220, s3
	v_cmp_gt_f64_e64 s3, 0, v[235:236]
	v_cndmask_b32_e32 v220, v216, v216, vcc_lo
	v_cndmask_b32_e64 v240, v236, v222, s3
	v_cndmask_b32_e64 v222, v218, v218, s2
	s_delay_alu instid0(VALU_DEP_2) | instskip(NEXT) | instid1(VALU_DEP_2)
	v_add_f64 v[237:238], v[237:238], v[239:240]
	v_add_f64 v[220:221], v[220:221], v[222:223]
	s_delay_alu instid0(VALU_DEP_1) | instskip(SKIP_4) | instid1(SALU_CYCLE_1)
	v_cmp_lt_f64_e32 vcc_lo, v[220:221], v[237:238]
	v_dual_cndmask_b32 v216, v216, v233 :: v_dual_cndmask_b32 v217, v217, v234
	v_dual_cndmask_b32 v219, v219, v236 :: v_dual_cndmask_b32 v218, v218, v235
	v_cndmask_b32_e64 v224, v224, s6, vcc_lo
	s_add_i32 s6, s6, 1
	s_cmp_lg_u32 s5, s6
	s_cbranch_scc1 .LBB106_337
.LBB106_338:
	s_set_inst_prefetch_distance 0x2
	s_waitcnt lgkmcnt(0)
	v_cmp_eq_f64_e32 vcc_lo, 0, v[216:217]
	v_cmp_eq_f64_e64 s2, 0, v[218:219]
	s_delay_alu instid0(VALU_DEP_1) | instskip(NEXT) | instid1(SALU_CYCLE_1)
	s_and_b32 s2, vcc_lo, s2
	s_and_saveexec_b32 s3, s2
	s_delay_alu instid0(SALU_CYCLE_1)
	s_xor_b32 s2, exec_lo, s3
; %bb.339:
	v_cmp_ne_u32_e32 vcc_lo, 0, v229
	v_cndmask_b32_e32 v229, 17, v229, vcc_lo
; %bb.340:
	s_and_not1_saveexec_b32 s3, s2
	s_cbranch_execz .LBB106_346
; %bb.341:
	v_cmp_gt_f64_e32 vcc_lo, 0, v[216:217]
	v_cmp_gt_f64_e64 s2, 0, v[218:219]
	v_xor_b32_e32 v220, 0x80000000, v217
	v_xor_b32_e32 v222, 0x80000000, v219
	s_delay_alu instid0(VALU_DEP_2) | instskip(NEXT) | instid1(VALU_DEP_2)
	v_cndmask_b32_e32 v221, v217, v220, vcc_lo
	v_cndmask_b32_e64 v223, v219, v222, s2
	v_cndmask_b32_e32 v220, v216, v216, vcc_lo
	v_cndmask_b32_e64 v222, v218, v218, s2
	s_mov_b32 s2, exec_lo
	s_delay_alu instid0(VALU_DEP_1)
	v_cmpx_ngt_f64_e32 v[220:221], v[222:223]
	s_xor_b32 s2, exec_lo, s2
	s_cbranch_execz .LBB106_343
; %bb.342:
	v_div_scale_f64 v[220:221], null, v[218:219], v[218:219], v[216:217]
	v_div_scale_f64 v[235:236], vcc_lo, v[216:217], v[218:219], v[216:217]
	s_delay_alu instid0(VALU_DEP_2) | instskip(SKIP_2) | instid1(VALU_DEP_1)
	v_rcp_f64_e32 v[222:223], v[220:221]
	s_waitcnt_depctr 0xfff
	v_fma_f64 v[233:234], -v[220:221], v[222:223], 1.0
	v_fma_f64 v[222:223], v[222:223], v[233:234], v[222:223]
	s_delay_alu instid0(VALU_DEP_1) | instskip(NEXT) | instid1(VALU_DEP_1)
	v_fma_f64 v[233:234], -v[220:221], v[222:223], 1.0
	v_fma_f64 v[222:223], v[222:223], v[233:234], v[222:223]
	s_delay_alu instid0(VALU_DEP_1) | instskip(NEXT) | instid1(VALU_DEP_1)
	v_mul_f64 v[233:234], v[235:236], v[222:223]
	v_fma_f64 v[220:221], -v[220:221], v[233:234], v[235:236]
	s_delay_alu instid0(VALU_DEP_1) | instskip(NEXT) | instid1(VALU_DEP_1)
	v_div_fmas_f64 v[220:221], v[220:221], v[222:223], v[233:234]
	v_div_fixup_f64 v[220:221], v[220:221], v[218:219], v[216:217]
	s_delay_alu instid0(VALU_DEP_1) | instskip(NEXT) | instid1(VALU_DEP_1)
	v_fma_f64 v[216:217], v[216:217], v[220:221], v[218:219]
	v_div_scale_f64 v[218:219], null, v[216:217], v[216:217], 1.0
	s_delay_alu instid0(VALU_DEP_1) | instskip(SKIP_2) | instid1(VALU_DEP_1)
	v_rcp_f64_e32 v[222:223], v[218:219]
	s_waitcnt_depctr 0xfff
	v_fma_f64 v[233:234], -v[218:219], v[222:223], 1.0
	v_fma_f64 v[222:223], v[222:223], v[233:234], v[222:223]
	s_delay_alu instid0(VALU_DEP_1) | instskip(NEXT) | instid1(VALU_DEP_1)
	v_fma_f64 v[233:234], -v[218:219], v[222:223], 1.0
	v_fma_f64 v[222:223], v[222:223], v[233:234], v[222:223]
	v_div_scale_f64 v[233:234], vcc_lo, 1.0, v[216:217], 1.0
	s_delay_alu instid0(VALU_DEP_1) | instskip(NEXT) | instid1(VALU_DEP_1)
	v_mul_f64 v[235:236], v[233:234], v[222:223]
	v_fma_f64 v[218:219], -v[218:219], v[235:236], v[233:234]
	s_delay_alu instid0(VALU_DEP_1) | instskip(NEXT) | instid1(VALU_DEP_1)
	v_div_fmas_f64 v[218:219], v[218:219], v[222:223], v[235:236]
	v_div_fixup_f64 v[218:219], v[218:219], v[216:217], 1.0
	s_delay_alu instid0(VALU_DEP_1)
	v_mul_f64 v[216:217], v[220:221], v[218:219]
	v_xor_b32_e32 v219, 0x80000000, v219
.LBB106_343:
	s_and_not1_saveexec_b32 s2, s2
	s_cbranch_execz .LBB106_345
; %bb.344:
	s_delay_alu instid0(VALU_DEP_1) | instskip(SKIP_1) | instid1(VALU_DEP_2)
	v_div_scale_f64 v[220:221], null, v[216:217], v[216:217], v[218:219]
	v_div_scale_f64 v[235:236], vcc_lo, v[218:219], v[216:217], v[218:219]
	v_rcp_f64_e32 v[222:223], v[220:221]
	s_waitcnt_depctr 0xfff
	v_fma_f64 v[233:234], -v[220:221], v[222:223], 1.0
	s_delay_alu instid0(VALU_DEP_1) | instskip(NEXT) | instid1(VALU_DEP_1)
	v_fma_f64 v[222:223], v[222:223], v[233:234], v[222:223]
	v_fma_f64 v[233:234], -v[220:221], v[222:223], 1.0
	s_delay_alu instid0(VALU_DEP_1) | instskip(NEXT) | instid1(VALU_DEP_1)
	v_fma_f64 v[222:223], v[222:223], v[233:234], v[222:223]
	v_mul_f64 v[233:234], v[235:236], v[222:223]
	s_delay_alu instid0(VALU_DEP_1) | instskip(NEXT) | instid1(VALU_DEP_1)
	v_fma_f64 v[220:221], -v[220:221], v[233:234], v[235:236]
	v_div_fmas_f64 v[220:221], v[220:221], v[222:223], v[233:234]
	s_delay_alu instid0(VALU_DEP_1) | instskip(NEXT) | instid1(VALU_DEP_1)
	v_div_fixup_f64 v[220:221], v[220:221], v[216:217], v[218:219]
	v_fma_f64 v[216:217], v[218:219], v[220:221], v[216:217]
	s_delay_alu instid0(VALU_DEP_1) | instskip(NEXT) | instid1(VALU_DEP_1)
	v_div_scale_f64 v[218:219], null, v[216:217], v[216:217], 1.0
	v_rcp_f64_e32 v[222:223], v[218:219]
	s_waitcnt_depctr 0xfff
	v_fma_f64 v[233:234], -v[218:219], v[222:223], 1.0
	s_delay_alu instid0(VALU_DEP_1) | instskip(NEXT) | instid1(VALU_DEP_1)
	v_fma_f64 v[222:223], v[222:223], v[233:234], v[222:223]
	v_fma_f64 v[233:234], -v[218:219], v[222:223], 1.0
	s_delay_alu instid0(VALU_DEP_1) | instskip(SKIP_1) | instid1(VALU_DEP_1)
	v_fma_f64 v[222:223], v[222:223], v[233:234], v[222:223]
	v_div_scale_f64 v[233:234], vcc_lo, 1.0, v[216:217], 1.0
	v_mul_f64 v[235:236], v[233:234], v[222:223]
	s_delay_alu instid0(VALU_DEP_1) | instskip(NEXT) | instid1(VALU_DEP_1)
	v_fma_f64 v[218:219], -v[218:219], v[235:236], v[233:234]
	v_div_fmas_f64 v[218:219], v[218:219], v[222:223], v[235:236]
	s_delay_alu instid0(VALU_DEP_1) | instskip(NEXT) | instid1(VALU_DEP_1)
	v_div_fixup_f64 v[216:217], v[218:219], v[216:217], 1.0
	v_mul_f64 v[218:219], v[220:221], -v[216:217]
.LBB106_345:
	s_or_b32 exec_lo, exec_lo, s2
.LBB106_346:
	s_delay_alu instid0(SALU_CYCLE_1) | instskip(NEXT) | instid1(SALU_CYCLE_1)
	s_or_b32 exec_lo, exec_lo, s3
	s_mov_b32 s2, exec_lo
	v_cmpx_ne_u32_e64 v232, v224
	s_xor_b32 s2, exec_lo, s2
	s_cbranch_execz .LBB106_352
; %bb.347:
	s_mov_b32 s3, exec_lo
	v_cmpx_eq_u32_e32 16, v232
	s_cbranch_execz .LBB106_351
; %bb.348:
	v_cmp_ne_u32_e32 vcc_lo, 16, v224
	s_xor_b32 s6, s4, -1
	s_delay_alu instid0(SALU_CYCLE_1) | instskip(NEXT) | instid1(SALU_CYCLE_1)
	s_and_b32 s7, s6, vcc_lo
	s_and_saveexec_b32 s6, s7
	s_cbranch_execz .LBB106_350
; %bb.349:
	v_ashrrev_i32_e32 v225, 31, v224
	s_delay_alu instid0(VALU_DEP_1) | instskip(NEXT) | instid1(VALU_DEP_1)
	v_lshlrev_b64 v[220:221], 2, v[224:225]
	v_add_co_u32 v220, vcc_lo, v214, v220
	s_delay_alu instid0(VALU_DEP_2)
	v_add_co_ci_u32_e32 v221, vcc_lo, v215, v221, vcc_lo
	s_clause 0x1
	flat_load_b32 v222, v[220:221]
	flat_load_b32 v223, v[214:215] offset:64
	s_waitcnt vmcnt(1) lgkmcnt(1)
	flat_store_b32 v[214:215], v222 offset:64
	s_waitcnt vmcnt(0) lgkmcnt(1)
	flat_store_b32 v[220:221], v223
.LBB106_350:
	s_or_b32 exec_lo, exec_lo, s6
	v_mov_b32_e32 v232, v224
	v_mov_b32_e32 v231, v224
.LBB106_351:
	s_or_b32 exec_lo, exec_lo, s3
.LBB106_352:
	s_and_not1_saveexec_b32 s2, s2
	s_cbranch_execz .LBB106_354
; %bb.353:
	v_mov_b32_e32 v232, 16
	ds_store_2addr_b64 v226, v[144:145], v[146:147] offset0:34 offset1:35
	ds_store_2addr_b64 v226, v[140:141], v[142:143] offset0:36 offset1:37
	;; [unrolled: 1-line block ×37, first 2 shown]
.LBB106_354:
	s_or_b32 exec_lo, exec_lo, s2
	s_delay_alu instid0(SALU_CYCLE_1)
	s_mov_b32 s2, exec_lo
	s_waitcnt lgkmcnt(0)
	s_waitcnt_vscnt null, 0x0
	s_barrier
	buffer_gl0_inv
	v_cmpx_lt_i32_e32 16, v232
	s_cbranch_execz .LBB106_356
; %bb.355:
	v_mul_f64 v[220:221], v[218:219], v[150:151]
	v_mul_f64 v[150:151], v[216:217], v[150:151]
	s_delay_alu instid0(VALU_DEP_2) | instskip(NEXT) | instid1(VALU_DEP_2)
	v_fma_f64 v[224:225], v[216:217], v[148:149], -v[220:221]
	v_fma_f64 v[150:151], v[218:219], v[148:149], v[150:151]
	ds_load_2addr_b64 v[216:219], v226 offset0:34 offset1:35
	s_waitcnt lgkmcnt(0)
	v_mul_f64 v[148:149], v[218:219], v[150:151]
	s_delay_alu instid0(VALU_DEP_1) | instskip(SKIP_1) | instid1(VALU_DEP_2)
	v_fma_f64 v[148:149], v[216:217], v[224:225], -v[148:149]
	v_mul_f64 v[216:217], v[216:217], v[150:151]
	v_add_f64 v[144:145], v[144:145], -v[148:149]
	s_delay_alu instid0(VALU_DEP_2) | instskip(NEXT) | instid1(VALU_DEP_1)
	v_fma_f64 v[216:217], v[218:219], v[224:225], v[216:217]
	v_add_f64 v[146:147], v[146:147], -v[216:217]
	ds_load_2addr_b64 v[216:219], v226 offset0:36 offset1:37
	s_waitcnt lgkmcnt(0)
	v_mul_f64 v[148:149], v[218:219], v[150:151]
	s_delay_alu instid0(VALU_DEP_1) | instskip(SKIP_1) | instid1(VALU_DEP_2)
	v_fma_f64 v[148:149], v[216:217], v[224:225], -v[148:149]
	v_mul_f64 v[216:217], v[216:217], v[150:151]
	v_add_f64 v[140:141], v[140:141], -v[148:149]
	s_delay_alu instid0(VALU_DEP_2) | instskip(NEXT) | instid1(VALU_DEP_1)
	v_fma_f64 v[216:217], v[218:219], v[224:225], v[216:217]
	v_add_f64 v[142:143], v[142:143], -v[216:217]
	;; [unrolled: 10-line block ×36, first 2 shown]
	ds_load_2addr_b64 v[216:219], v226 offset0:106 offset1:107
	s_waitcnt lgkmcnt(0)
	v_mul_f64 v[148:149], v[218:219], v[150:151]
	s_delay_alu instid0(VALU_DEP_1) | instskip(SKIP_1) | instid1(VALU_DEP_2)
	v_fma_f64 v[148:149], v[216:217], v[224:225], -v[148:149]
	v_mul_f64 v[216:217], v[216:217], v[150:151]
	v_add_f64 v[0:1], v[0:1], -v[148:149]
	s_delay_alu instid0(VALU_DEP_2) | instskip(SKIP_1) | instid1(VALU_DEP_2)
	v_fma_f64 v[216:217], v[218:219], v[224:225], v[216:217]
	v_dual_mov_b32 v148, v224 :: v_dual_mov_b32 v149, v225
	v_add_f64 v[2:3], v[2:3], -v[216:217]
.LBB106_356:
	s_or_b32 exec_lo, exec_lo, s2
	v_lshl_add_u32 v216, v232, 4, v226
	s_barrier
	buffer_gl0_inv
	v_mov_b32_e32 v224, 17
	ds_store_2addr_b64 v216, v[144:145], v[146:147] offset1:1
	s_waitcnt lgkmcnt(0)
	s_barrier
	buffer_gl0_inv
	ds_load_2addr_b64 v[216:219], v226 offset0:34 offset1:35
	s_cmp_lt_i32 s5, 19
	s_cbranch_scc1 .LBB106_359
; %bb.357:
	v_add3_u32 v225, v230, 0, 0x120
	v_mov_b32_e32 v224, 17
	s_mov_b32 s6, 18
	s_set_inst_prefetch_distance 0x1
	.p2align	6
.LBB106_358:                            ; =>This Inner Loop Header: Depth=1
	ds_load_2addr_b64 v[233:236], v225 offset1:1
	s_waitcnt lgkmcnt(1)
	v_cmp_gt_f64_e32 vcc_lo, 0, v[216:217]
	v_xor_b32_e32 v220, 0x80000000, v217
	v_cmp_gt_f64_e64 s2, 0, v[218:219]
	v_xor_b32_e32 v222, 0x80000000, v219
	v_add_nc_u32_e32 v225, 16, v225
	s_waitcnt lgkmcnt(0)
	v_cmp_gt_f64_e64 s3, 0, v[233:234]
	v_mov_b32_e32 v237, v233
	v_mov_b32_e32 v239, v235
	v_cndmask_b32_e32 v221, v217, v220, vcc_lo
	v_xor_b32_e32 v220, 0x80000000, v234
	v_cndmask_b32_e64 v223, v219, v222, s2
	v_xor_b32_e32 v222, 0x80000000, v236
	s_delay_alu instid0(VALU_DEP_3) | instskip(SKIP_2) | instid1(VALU_DEP_2)
	v_cndmask_b32_e64 v238, v234, v220, s3
	v_cmp_gt_f64_e64 s3, 0, v[235:236]
	v_cndmask_b32_e32 v220, v216, v216, vcc_lo
	v_cndmask_b32_e64 v240, v236, v222, s3
	v_cndmask_b32_e64 v222, v218, v218, s2
	s_delay_alu instid0(VALU_DEP_2) | instskip(NEXT) | instid1(VALU_DEP_2)
	v_add_f64 v[237:238], v[237:238], v[239:240]
	v_add_f64 v[220:221], v[220:221], v[222:223]
	s_delay_alu instid0(VALU_DEP_1) | instskip(SKIP_4) | instid1(SALU_CYCLE_1)
	v_cmp_lt_f64_e32 vcc_lo, v[220:221], v[237:238]
	v_dual_cndmask_b32 v216, v216, v233 :: v_dual_cndmask_b32 v217, v217, v234
	v_dual_cndmask_b32 v219, v219, v236 :: v_dual_cndmask_b32 v218, v218, v235
	v_cndmask_b32_e64 v224, v224, s6, vcc_lo
	s_add_i32 s6, s6, 1
	s_cmp_lg_u32 s5, s6
	s_cbranch_scc1 .LBB106_358
.LBB106_359:
	s_set_inst_prefetch_distance 0x2
	s_waitcnt lgkmcnt(0)
	v_cmp_eq_f64_e32 vcc_lo, 0, v[216:217]
	v_cmp_eq_f64_e64 s2, 0, v[218:219]
	s_delay_alu instid0(VALU_DEP_1) | instskip(NEXT) | instid1(SALU_CYCLE_1)
	s_and_b32 s2, vcc_lo, s2
	s_and_saveexec_b32 s3, s2
	s_delay_alu instid0(SALU_CYCLE_1)
	s_xor_b32 s2, exec_lo, s3
; %bb.360:
	v_cmp_ne_u32_e32 vcc_lo, 0, v229
	v_cndmask_b32_e32 v229, 18, v229, vcc_lo
; %bb.361:
	s_and_not1_saveexec_b32 s3, s2
	s_cbranch_execz .LBB106_367
; %bb.362:
	v_cmp_gt_f64_e32 vcc_lo, 0, v[216:217]
	v_cmp_gt_f64_e64 s2, 0, v[218:219]
	v_xor_b32_e32 v220, 0x80000000, v217
	v_xor_b32_e32 v222, 0x80000000, v219
	s_delay_alu instid0(VALU_DEP_2) | instskip(NEXT) | instid1(VALU_DEP_2)
	v_cndmask_b32_e32 v221, v217, v220, vcc_lo
	v_cndmask_b32_e64 v223, v219, v222, s2
	v_cndmask_b32_e32 v220, v216, v216, vcc_lo
	v_cndmask_b32_e64 v222, v218, v218, s2
	s_mov_b32 s2, exec_lo
	s_delay_alu instid0(VALU_DEP_1)
	v_cmpx_ngt_f64_e32 v[220:221], v[222:223]
	s_xor_b32 s2, exec_lo, s2
	s_cbranch_execz .LBB106_364
; %bb.363:
	v_div_scale_f64 v[220:221], null, v[218:219], v[218:219], v[216:217]
	v_div_scale_f64 v[235:236], vcc_lo, v[216:217], v[218:219], v[216:217]
	s_delay_alu instid0(VALU_DEP_2) | instskip(SKIP_2) | instid1(VALU_DEP_1)
	v_rcp_f64_e32 v[222:223], v[220:221]
	s_waitcnt_depctr 0xfff
	v_fma_f64 v[233:234], -v[220:221], v[222:223], 1.0
	v_fma_f64 v[222:223], v[222:223], v[233:234], v[222:223]
	s_delay_alu instid0(VALU_DEP_1) | instskip(NEXT) | instid1(VALU_DEP_1)
	v_fma_f64 v[233:234], -v[220:221], v[222:223], 1.0
	v_fma_f64 v[222:223], v[222:223], v[233:234], v[222:223]
	s_delay_alu instid0(VALU_DEP_1) | instskip(NEXT) | instid1(VALU_DEP_1)
	v_mul_f64 v[233:234], v[235:236], v[222:223]
	v_fma_f64 v[220:221], -v[220:221], v[233:234], v[235:236]
	s_delay_alu instid0(VALU_DEP_1) | instskip(NEXT) | instid1(VALU_DEP_1)
	v_div_fmas_f64 v[220:221], v[220:221], v[222:223], v[233:234]
	v_div_fixup_f64 v[220:221], v[220:221], v[218:219], v[216:217]
	s_delay_alu instid0(VALU_DEP_1) | instskip(NEXT) | instid1(VALU_DEP_1)
	v_fma_f64 v[216:217], v[216:217], v[220:221], v[218:219]
	v_div_scale_f64 v[218:219], null, v[216:217], v[216:217], 1.0
	s_delay_alu instid0(VALU_DEP_1) | instskip(SKIP_2) | instid1(VALU_DEP_1)
	v_rcp_f64_e32 v[222:223], v[218:219]
	s_waitcnt_depctr 0xfff
	v_fma_f64 v[233:234], -v[218:219], v[222:223], 1.0
	v_fma_f64 v[222:223], v[222:223], v[233:234], v[222:223]
	s_delay_alu instid0(VALU_DEP_1) | instskip(NEXT) | instid1(VALU_DEP_1)
	v_fma_f64 v[233:234], -v[218:219], v[222:223], 1.0
	v_fma_f64 v[222:223], v[222:223], v[233:234], v[222:223]
	v_div_scale_f64 v[233:234], vcc_lo, 1.0, v[216:217], 1.0
	s_delay_alu instid0(VALU_DEP_1) | instskip(NEXT) | instid1(VALU_DEP_1)
	v_mul_f64 v[235:236], v[233:234], v[222:223]
	v_fma_f64 v[218:219], -v[218:219], v[235:236], v[233:234]
	s_delay_alu instid0(VALU_DEP_1) | instskip(NEXT) | instid1(VALU_DEP_1)
	v_div_fmas_f64 v[218:219], v[218:219], v[222:223], v[235:236]
	v_div_fixup_f64 v[218:219], v[218:219], v[216:217], 1.0
	s_delay_alu instid0(VALU_DEP_1)
	v_mul_f64 v[216:217], v[220:221], v[218:219]
	v_xor_b32_e32 v219, 0x80000000, v219
.LBB106_364:
	s_and_not1_saveexec_b32 s2, s2
	s_cbranch_execz .LBB106_366
; %bb.365:
	s_delay_alu instid0(VALU_DEP_1) | instskip(SKIP_1) | instid1(VALU_DEP_2)
	v_div_scale_f64 v[220:221], null, v[216:217], v[216:217], v[218:219]
	v_div_scale_f64 v[235:236], vcc_lo, v[218:219], v[216:217], v[218:219]
	v_rcp_f64_e32 v[222:223], v[220:221]
	s_waitcnt_depctr 0xfff
	v_fma_f64 v[233:234], -v[220:221], v[222:223], 1.0
	s_delay_alu instid0(VALU_DEP_1) | instskip(NEXT) | instid1(VALU_DEP_1)
	v_fma_f64 v[222:223], v[222:223], v[233:234], v[222:223]
	v_fma_f64 v[233:234], -v[220:221], v[222:223], 1.0
	s_delay_alu instid0(VALU_DEP_1) | instskip(NEXT) | instid1(VALU_DEP_1)
	v_fma_f64 v[222:223], v[222:223], v[233:234], v[222:223]
	v_mul_f64 v[233:234], v[235:236], v[222:223]
	s_delay_alu instid0(VALU_DEP_1) | instskip(NEXT) | instid1(VALU_DEP_1)
	v_fma_f64 v[220:221], -v[220:221], v[233:234], v[235:236]
	v_div_fmas_f64 v[220:221], v[220:221], v[222:223], v[233:234]
	s_delay_alu instid0(VALU_DEP_1) | instskip(NEXT) | instid1(VALU_DEP_1)
	v_div_fixup_f64 v[220:221], v[220:221], v[216:217], v[218:219]
	v_fma_f64 v[216:217], v[218:219], v[220:221], v[216:217]
	s_delay_alu instid0(VALU_DEP_1) | instskip(NEXT) | instid1(VALU_DEP_1)
	v_div_scale_f64 v[218:219], null, v[216:217], v[216:217], 1.0
	v_rcp_f64_e32 v[222:223], v[218:219]
	s_waitcnt_depctr 0xfff
	v_fma_f64 v[233:234], -v[218:219], v[222:223], 1.0
	s_delay_alu instid0(VALU_DEP_1) | instskip(NEXT) | instid1(VALU_DEP_1)
	v_fma_f64 v[222:223], v[222:223], v[233:234], v[222:223]
	v_fma_f64 v[233:234], -v[218:219], v[222:223], 1.0
	s_delay_alu instid0(VALU_DEP_1) | instskip(SKIP_1) | instid1(VALU_DEP_1)
	v_fma_f64 v[222:223], v[222:223], v[233:234], v[222:223]
	v_div_scale_f64 v[233:234], vcc_lo, 1.0, v[216:217], 1.0
	v_mul_f64 v[235:236], v[233:234], v[222:223]
	s_delay_alu instid0(VALU_DEP_1) | instskip(NEXT) | instid1(VALU_DEP_1)
	v_fma_f64 v[218:219], -v[218:219], v[235:236], v[233:234]
	v_div_fmas_f64 v[218:219], v[218:219], v[222:223], v[235:236]
	s_delay_alu instid0(VALU_DEP_1) | instskip(NEXT) | instid1(VALU_DEP_1)
	v_div_fixup_f64 v[216:217], v[218:219], v[216:217], 1.0
	v_mul_f64 v[218:219], v[220:221], -v[216:217]
.LBB106_366:
	s_or_b32 exec_lo, exec_lo, s2
.LBB106_367:
	s_delay_alu instid0(SALU_CYCLE_1) | instskip(NEXT) | instid1(SALU_CYCLE_1)
	s_or_b32 exec_lo, exec_lo, s3
	s_mov_b32 s2, exec_lo
	v_cmpx_ne_u32_e64 v232, v224
	s_xor_b32 s2, exec_lo, s2
	s_cbranch_execz .LBB106_373
; %bb.368:
	s_mov_b32 s3, exec_lo
	v_cmpx_eq_u32_e32 17, v232
	s_cbranch_execz .LBB106_372
; %bb.369:
	v_cmp_ne_u32_e32 vcc_lo, 17, v224
	s_xor_b32 s6, s4, -1
	s_delay_alu instid0(SALU_CYCLE_1) | instskip(NEXT) | instid1(SALU_CYCLE_1)
	s_and_b32 s7, s6, vcc_lo
	s_and_saveexec_b32 s6, s7
	s_cbranch_execz .LBB106_371
; %bb.370:
	v_ashrrev_i32_e32 v225, 31, v224
	s_delay_alu instid0(VALU_DEP_1) | instskip(NEXT) | instid1(VALU_DEP_1)
	v_lshlrev_b64 v[220:221], 2, v[224:225]
	v_add_co_u32 v220, vcc_lo, v214, v220
	s_delay_alu instid0(VALU_DEP_2)
	v_add_co_ci_u32_e32 v221, vcc_lo, v215, v221, vcc_lo
	s_clause 0x1
	flat_load_b32 v222, v[220:221]
	flat_load_b32 v223, v[214:215] offset:68
	s_waitcnt vmcnt(1) lgkmcnt(1)
	flat_store_b32 v[214:215], v222 offset:68
	s_waitcnt vmcnt(0) lgkmcnt(1)
	flat_store_b32 v[220:221], v223
.LBB106_371:
	s_or_b32 exec_lo, exec_lo, s6
	v_mov_b32_e32 v232, v224
	v_mov_b32_e32 v231, v224
.LBB106_372:
	s_or_b32 exec_lo, exec_lo, s3
.LBB106_373:
	s_and_not1_saveexec_b32 s2, s2
	s_cbranch_execz .LBB106_375
; %bb.374:
	v_mov_b32_e32 v232, 17
	ds_store_2addr_b64 v226, v[140:141], v[142:143] offset0:36 offset1:37
	ds_store_2addr_b64 v226, v[136:137], v[138:139] offset0:38 offset1:39
	;; [unrolled: 1-line block ×36, first 2 shown]
.LBB106_375:
	s_or_b32 exec_lo, exec_lo, s2
	s_delay_alu instid0(SALU_CYCLE_1)
	s_mov_b32 s2, exec_lo
	s_waitcnt lgkmcnt(0)
	s_waitcnt_vscnt null, 0x0
	s_barrier
	buffer_gl0_inv
	v_cmpx_lt_i32_e32 17, v232
	s_cbranch_execz .LBB106_377
; %bb.376:
	v_mul_f64 v[220:221], v[218:219], v[146:147]
	v_mul_f64 v[146:147], v[216:217], v[146:147]
	s_delay_alu instid0(VALU_DEP_2) | instskip(NEXT) | instid1(VALU_DEP_2)
	v_fma_f64 v[224:225], v[216:217], v[144:145], -v[220:221]
	v_fma_f64 v[146:147], v[218:219], v[144:145], v[146:147]
	ds_load_2addr_b64 v[216:219], v226 offset0:36 offset1:37
	s_waitcnt lgkmcnt(0)
	v_mul_f64 v[144:145], v[218:219], v[146:147]
	s_delay_alu instid0(VALU_DEP_1) | instskip(SKIP_1) | instid1(VALU_DEP_2)
	v_fma_f64 v[144:145], v[216:217], v[224:225], -v[144:145]
	v_mul_f64 v[216:217], v[216:217], v[146:147]
	v_add_f64 v[140:141], v[140:141], -v[144:145]
	s_delay_alu instid0(VALU_DEP_2) | instskip(NEXT) | instid1(VALU_DEP_1)
	v_fma_f64 v[216:217], v[218:219], v[224:225], v[216:217]
	v_add_f64 v[142:143], v[142:143], -v[216:217]
	ds_load_2addr_b64 v[216:219], v226 offset0:38 offset1:39
	s_waitcnt lgkmcnt(0)
	v_mul_f64 v[144:145], v[218:219], v[146:147]
	s_delay_alu instid0(VALU_DEP_1) | instskip(SKIP_1) | instid1(VALU_DEP_2)
	v_fma_f64 v[144:145], v[216:217], v[224:225], -v[144:145]
	v_mul_f64 v[216:217], v[216:217], v[146:147]
	v_add_f64 v[136:137], v[136:137], -v[144:145]
	s_delay_alu instid0(VALU_DEP_2) | instskip(NEXT) | instid1(VALU_DEP_1)
	v_fma_f64 v[216:217], v[218:219], v[224:225], v[216:217]
	v_add_f64 v[138:139], v[138:139], -v[216:217]
	;; [unrolled: 10-line block ×35, first 2 shown]
	ds_load_2addr_b64 v[216:219], v226 offset0:106 offset1:107
	s_waitcnt lgkmcnt(0)
	v_mul_f64 v[144:145], v[218:219], v[146:147]
	s_delay_alu instid0(VALU_DEP_1) | instskip(SKIP_1) | instid1(VALU_DEP_2)
	v_fma_f64 v[144:145], v[216:217], v[224:225], -v[144:145]
	v_mul_f64 v[216:217], v[216:217], v[146:147]
	v_add_f64 v[0:1], v[0:1], -v[144:145]
	s_delay_alu instid0(VALU_DEP_2) | instskip(SKIP_1) | instid1(VALU_DEP_2)
	v_fma_f64 v[216:217], v[218:219], v[224:225], v[216:217]
	v_dual_mov_b32 v144, v224 :: v_dual_mov_b32 v145, v225
	v_add_f64 v[2:3], v[2:3], -v[216:217]
.LBB106_377:
	s_or_b32 exec_lo, exec_lo, s2
	v_lshl_add_u32 v216, v232, 4, v226
	s_barrier
	buffer_gl0_inv
	v_mov_b32_e32 v224, 18
	ds_store_2addr_b64 v216, v[140:141], v[142:143] offset1:1
	s_waitcnt lgkmcnt(0)
	s_barrier
	buffer_gl0_inv
	ds_load_2addr_b64 v[216:219], v226 offset0:36 offset1:37
	s_cmp_lt_i32 s5, 20
	s_cbranch_scc1 .LBB106_380
; %bb.378:
	v_add3_u32 v225, v230, 0, 0x130
	v_mov_b32_e32 v224, 18
	s_mov_b32 s6, 19
	s_set_inst_prefetch_distance 0x1
	.p2align	6
.LBB106_379:                            ; =>This Inner Loop Header: Depth=1
	ds_load_2addr_b64 v[233:236], v225 offset1:1
	s_waitcnt lgkmcnt(1)
	v_cmp_gt_f64_e32 vcc_lo, 0, v[216:217]
	v_xor_b32_e32 v220, 0x80000000, v217
	v_cmp_gt_f64_e64 s2, 0, v[218:219]
	v_xor_b32_e32 v222, 0x80000000, v219
	v_add_nc_u32_e32 v225, 16, v225
	s_waitcnt lgkmcnt(0)
	v_cmp_gt_f64_e64 s3, 0, v[233:234]
	v_mov_b32_e32 v237, v233
	v_mov_b32_e32 v239, v235
	v_cndmask_b32_e32 v221, v217, v220, vcc_lo
	v_xor_b32_e32 v220, 0x80000000, v234
	v_cndmask_b32_e64 v223, v219, v222, s2
	v_xor_b32_e32 v222, 0x80000000, v236
	s_delay_alu instid0(VALU_DEP_3) | instskip(SKIP_2) | instid1(VALU_DEP_2)
	v_cndmask_b32_e64 v238, v234, v220, s3
	v_cmp_gt_f64_e64 s3, 0, v[235:236]
	v_cndmask_b32_e32 v220, v216, v216, vcc_lo
	v_cndmask_b32_e64 v240, v236, v222, s3
	v_cndmask_b32_e64 v222, v218, v218, s2
	s_delay_alu instid0(VALU_DEP_2) | instskip(NEXT) | instid1(VALU_DEP_2)
	v_add_f64 v[237:238], v[237:238], v[239:240]
	v_add_f64 v[220:221], v[220:221], v[222:223]
	s_delay_alu instid0(VALU_DEP_1) | instskip(SKIP_4) | instid1(SALU_CYCLE_1)
	v_cmp_lt_f64_e32 vcc_lo, v[220:221], v[237:238]
	v_dual_cndmask_b32 v216, v216, v233 :: v_dual_cndmask_b32 v217, v217, v234
	v_dual_cndmask_b32 v219, v219, v236 :: v_dual_cndmask_b32 v218, v218, v235
	v_cndmask_b32_e64 v224, v224, s6, vcc_lo
	s_add_i32 s6, s6, 1
	s_cmp_lg_u32 s5, s6
	s_cbranch_scc1 .LBB106_379
.LBB106_380:
	s_set_inst_prefetch_distance 0x2
	s_waitcnt lgkmcnt(0)
	v_cmp_eq_f64_e32 vcc_lo, 0, v[216:217]
	v_cmp_eq_f64_e64 s2, 0, v[218:219]
	s_delay_alu instid0(VALU_DEP_1) | instskip(NEXT) | instid1(SALU_CYCLE_1)
	s_and_b32 s2, vcc_lo, s2
	s_and_saveexec_b32 s3, s2
	s_delay_alu instid0(SALU_CYCLE_1)
	s_xor_b32 s2, exec_lo, s3
; %bb.381:
	v_cmp_ne_u32_e32 vcc_lo, 0, v229
	v_cndmask_b32_e32 v229, 19, v229, vcc_lo
; %bb.382:
	s_and_not1_saveexec_b32 s3, s2
	s_cbranch_execz .LBB106_388
; %bb.383:
	v_cmp_gt_f64_e32 vcc_lo, 0, v[216:217]
	v_cmp_gt_f64_e64 s2, 0, v[218:219]
	v_xor_b32_e32 v220, 0x80000000, v217
	v_xor_b32_e32 v222, 0x80000000, v219
	s_delay_alu instid0(VALU_DEP_2) | instskip(NEXT) | instid1(VALU_DEP_2)
	v_cndmask_b32_e32 v221, v217, v220, vcc_lo
	v_cndmask_b32_e64 v223, v219, v222, s2
	v_cndmask_b32_e32 v220, v216, v216, vcc_lo
	v_cndmask_b32_e64 v222, v218, v218, s2
	s_mov_b32 s2, exec_lo
	s_delay_alu instid0(VALU_DEP_1)
	v_cmpx_ngt_f64_e32 v[220:221], v[222:223]
	s_xor_b32 s2, exec_lo, s2
	s_cbranch_execz .LBB106_385
; %bb.384:
	v_div_scale_f64 v[220:221], null, v[218:219], v[218:219], v[216:217]
	v_div_scale_f64 v[235:236], vcc_lo, v[216:217], v[218:219], v[216:217]
	s_delay_alu instid0(VALU_DEP_2) | instskip(SKIP_2) | instid1(VALU_DEP_1)
	v_rcp_f64_e32 v[222:223], v[220:221]
	s_waitcnt_depctr 0xfff
	v_fma_f64 v[233:234], -v[220:221], v[222:223], 1.0
	v_fma_f64 v[222:223], v[222:223], v[233:234], v[222:223]
	s_delay_alu instid0(VALU_DEP_1) | instskip(NEXT) | instid1(VALU_DEP_1)
	v_fma_f64 v[233:234], -v[220:221], v[222:223], 1.0
	v_fma_f64 v[222:223], v[222:223], v[233:234], v[222:223]
	s_delay_alu instid0(VALU_DEP_1) | instskip(NEXT) | instid1(VALU_DEP_1)
	v_mul_f64 v[233:234], v[235:236], v[222:223]
	v_fma_f64 v[220:221], -v[220:221], v[233:234], v[235:236]
	s_delay_alu instid0(VALU_DEP_1) | instskip(NEXT) | instid1(VALU_DEP_1)
	v_div_fmas_f64 v[220:221], v[220:221], v[222:223], v[233:234]
	v_div_fixup_f64 v[220:221], v[220:221], v[218:219], v[216:217]
	s_delay_alu instid0(VALU_DEP_1) | instskip(NEXT) | instid1(VALU_DEP_1)
	v_fma_f64 v[216:217], v[216:217], v[220:221], v[218:219]
	v_div_scale_f64 v[218:219], null, v[216:217], v[216:217], 1.0
	s_delay_alu instid0(VALU_DEP_1) | instskip(SKIP_2) | instid1(VALU_DEP_1)
	v_rcp_f64_e32 v[222:223], v[218:219]
	s_waitcnt_depctr 0xfff
	v_fma_f64 v[233:234], -v[218:219], v[222:223], 1.0
	v_fma_f64 v[222:223], v[222:223], v[233:234], v[222:223]
	s_delay_alu instid0(VALU_DEP_1) | instskip(NEXT) | instid1(VALU_DEP_1)
	v_fma_f64 v[233:234], -v[218:219], v[222:223], 1.0
	v_fma_f64 v[222:223], v[222:223], v[233:234], v[222:223]
	v_div_scale_f64 v[233:234], vcc_lo, 1.0, v[216:217], 1.0
	s_delay_alu instid0(VALU_DEP_1) | instskip(NEXT) | instid1(VALU_DEP_1)
	v_mul_f64 v[235:236], v[233:234], v[222:223]
	v_fma_f64 v[218:219], -v[218:219], v[235:236], v[233:234]
	s_delay_alu instid0(VALU_DEP_1) | instskip(NEXT) | instid1(VALU_DEP_1)
	v_div_fmas_f64 v[218:219], v[218:219], v[222:223], v[235:236]
	v_div_fixup_f64 v[218:219], v[218:219], v[216:217], 1.0
	s_delay_alu instid0(VALU_DEP_1)
	v_mul_f64 v[216:217], v[220:221], v[218:219]
	v_xor_b32_e32 v219, 0x80000000, v219
.LBB106_385:
	s_and_not1_saveexec_b32 s2, s2
	s_cbranch_execz .LBB106_387
; %bb.386:
	s_delay_alu instid0(VALU_DEP_1) | instskip(SKIP_1) | instid1(VALU_DEP_2)
	v_div_scale_f64 v[220:221], null, v[216:217], v[216:217], v[218:219]
	v_div_scale_f64 v[235:236], vcc_lo, v[218:219], v[216:217], v[218:219]
	v_rcp_f64_e32 v[222:223], v[220:221]
	s_waitcnt_depctr 0xfff
	v_fma_f64 v[233:234], -v[220:221], v[222:223], 1.0
	s_delay_alu instid0(VALU_DEP_1) | instskip(NEXT) | instid1(VALU_DEP_1)
	v_fma_f64 v[222:223], v[222:223], v[233:234], v[222:223]
	v_fma_f64 v[233:234], -v[220:221], v[222:223], 1.0
	s_delay_alu instid0(VALU_DEP_1) | instskip(NEXT) | instid1(VALU_DEP_1)
	v_fma_f64 v[222:223], v[222:223], v[233:234], v[222:223]
	v_mul_f64 v[233:234], v[235:236], v[222:223]
	s_delay_alu instid0(VALU_DEP_1) | instskip(NEXT) | instid1(VALU_DEP_1)
	v_fma_f64 v[220:221], -v[220:221], v[233:234], v[235:236]
	v_div_fmas_f64 v[220:221], v[220:221], v[222:223], v[233:234]
	s_delay_alu instid0(VALU_DEP_1) | instskip(NEXT) | instid1(VALU_DEP_1)
	v_div_fixup_f64 v[220:221], v[220:221], v[216:217], v[218:219]
	v_fma_f64 v[216:217], v[218:219], v[220:221], v[216:217]
	s_delay_alu instid0(VALU_DEP_1) | instskip(NEXT) | instid1(VALU_DEP_1)
	v_div_scale_f64 v[218:219], null, v[216:217], v[216:217], 1.0
	v_rcp_f64_e32 v[222:223], v[218:219]
	s_waitcnt_depctr 0xfff
	v_fma_f64 v[233:234], -v[218:219], v[222:223], 1.0
	s_delay_alu instid0(VALU_DEP_1) | instskip(NEXT) | instid1(VALU_DEP_1)
	v_fma_f64 v[222:223], v[222:223], v[233:234], v[222:223]
	v_fma_f64 v[233:234], -v[218:219], v[222:223], 1.0
	s_delay_alu instid0(VALU_DEP_1) | instskip(SKIP_1) | instid1(VALU_DEP_1)
	v_fma_f64 v[222:223], v[222:223], v[233:234], v[222:223]
	v_div_scale_f64 v[233:234], vcc_lo, 1.0, v[216:217], 1.0
	v_mul_f64 v[235:236], v[233:234], v[222:223]
	s_delay_alu instid0(VALU_DEP_1) | instskip(NEXT) | instid1(VALU_DEP_1)
	v_fma_f64 v[218:219], -v[218:219], v[235:236], v[233:234]
	v_div_fmas_f64 v[218:219], v[218:219], v[222:223], v[235:236]
	s_delay_alu instid0(VALU_DEP_1) | instskip(NEXT) | instid1(VALU_DEP_1)
	v_div_fixup_f64 v[216:217], v[218:219], v[216:217], 1.0
	v_mul_f64 v[218:219], v[220:221], -v[216:217]
.LBB106_387:
	s_or_b32 exec_lo, exec_lo, s2
.LBB106_388:
	s_delay_alu instid0(SALU_CYCLE_1) | instskip(NEXT) | instid1(SALU_CYCLE_1)
	s_or_b32 exec_lo, exec_lo, s3
	s_mov_b32 s2, exec_lo
	v_cmpx_ne_u32_e64 v232, v224
	s_xor_b32 s2, exec_lo, s2
	s_cbranch_execz .LBB106_394
; %bb.389:
	s_mov_b32 s3, exec_lo
	v_cmpx_eq_u32_e32 18, v232
	s_cbranch_execz .LBB106_393
; %bb.390:
	v_cmp_ne_u32_e32 vcc_lo, 18, v224
	s_xor_b32 s6, s4, -1
	s_delay_alu instid0(SALU_CYCLE_1) | instskip(NEXT) | instid1(SALU_CYCLE_1)
	s_and_b32 s7, s6, vcc_lo
	s_and_saveexec_b32 s6, s7
	s_cbranch_execz .LBB106_392
; %bb.391:
	v_ashrrev_i32_e32 v225, 31, v224
	s_delay_alu instid0(VALU_DEP_1) | instskip(NEXT) | instid1(VALU_DEP_1)
	v_lshlrev_b64 v[220:221], 2, v[224:225]
	v_add_co_u32 v220, vcc_lo, v214, v220
	s_delay_alu instid0(VALU_DEP_2)
	v_add_co_ci_u32_e32 v221, vcc_lo, v215, v221, vcc_lo
	s_clause 0x1
	flat_load_b32 v222, v[220:221]
	flat_load_b32 v223, v[214:215] offset:72
	s_waitcnt vmcnt(1) lgkmcnt(1)
	flat_store_b32 v[214:215], v222 offset:72
	s_waitcnt vmcnt(0) lgkmcnt(1)
	flat_store_b32 v[220:221], v223
.LBB106_392:
	s_or_b32 exec_lo, exec_lo, s6
	v_mov_b32_e32 v232, v224
	v_mov_b32_e32 v231, v224
.LBB106_393:
	s_or_b32 exec_lo, exec_lo, s3
.LBB106_394:
	s_and_not1_saveexec_b32 s2, s2
	s_cbranch_execz .LBB106_396
; %bb.395:
	v_mov_b32_e32 v232, 18
	ds_store_2addr_b64 v226, v[136:137], v[138:139] offset0:38 offset1:39
	ds_store_2addr_b64 v226, v[132:133], v[134:135] offset0:40 offset1:41
	;; [unrolled: 1-line block ×35, first 2 shown]
.LBB106_396:
	s_or_b32 exec_lo, exec_lo, s2
	s_delay_alu instid0(SALU_CYCLE_1)
	s_mov_b32 s2, exec_lo
	s_waitcnt lgkmcnt(0)
	s_waitcnt_vscnt null, 0x0
	s_barrier
	buffer_gl0_inv
	v_cmpx_lt_i32_e32 18, v232
	s_cbranch_execz .LBB106_398
; %bb.397:
	v_mul_f64 v[220:221], v[218:219], v[142:143]
	v_mul_f64 v[142:143], v[216:217], v[142:143]
	s_delay_alu instid0(VALU_DEP_2) | instskip(NEXT) | instid1(VALU_DEP_2)
	v_fma_f64 v[224:225], v[216:217], v[140:141], -v[220:221]
	v_fma_f64 v[142:143], v[218:219], v[140:141], v[142:143]
	ds_load_2addr_b64 v[216:219], v226 offset0:38 offset1:39
	s_waitcnt lgkmcnt(0)
	v_mul_f64 v[140:141], v[218:219], v[142:143]
	s_delay_alu instid0(VALU_DEP_1) | instskip(SKIP_1) | instid1(VALU_DEP_2)
	v_fma_f64 v[140:141], v[216:217], v[224:225], -v[140:141]
	v_mul_f64 v[216:217], v[216:217], v[142:143]
	v_add_f64 v[136:137], v[136:137], -v[140:141]
	s_delay_alu instid0(VALU_DEP_2) | instskip(NEXT) | instid1(VALU_DEP_1)
	v_fma_f64 v[216:217], v[218:219], v[224:225], v[216:217]
	v_add_f64 v[138:139], v[138:139], -v[216:217]
	ds_load_2addr_b64 v[216:219], v226 offset0:40 offset1:41
	s_waitcnt lgkmcnt(0)
	v_mul_f64 v[140:141], v[218:219], v[142:143]
	s_delay_alu instid0(VALU_DEP_1) | instskip(SKIP_1) | instid1(VALU_DEP_2)
	v_fma_f64 v[140:141], v[216:217], v[224:225], -v[140:141]
	v_mul_f64 v[216:217], v[216:217], v[142:143]
	v_add_f64 v[132:133], v[132:133], -v[140:141]
	s_delay_alu instid0(VALU_DEP_2) | instskip(NEXT) | instid1(VALU_DEP_1)
	v_fma_f64 v[216:217], v[218:219], v[224:225], v[216:217]
	v_add_f64 v[134:135], v[134:135], -v[216:217]
	;; [unrolled: 10-line block ×34, first 2 shown]
	ds_load_2addr_b64 v[216:219], v226 offset0:106 offset1:107
	s_waitcnt lgkmcnt(0)
	v_mul_f64 v[140:141], v[218:219], v[142:143]
	s_delay_alu instid0(VALU_DEP_1) | instskip(SKIP_1) | instid1(VALU_DEP_2)
	v_fma_f64 v[140:141], v[216:217], v[224:225], -v[140:141]
	v_mul_f64 v[216:217], v[216:217], v[142:143]
	v_add_f64 v[0:1], v[0:1], -v[140:141]
	s_delay_alu instid0(VALU_DEP_2) | instskip(SKIP_1) | instid1(VALU_DEP_2)
	v_fma_f64 v[216:217], v[218:219], v[224:225], v[216:217]
	v_dual_mov_b32 v140, v224 :: v_dual_mov_b32 v141, v225
	v_add_f64 v[2:3], v[2:3], -v[216:217]
.LBB106_398:
	s_or_b32 exec_lo, exec_lo, s2
	v_lshl_add_u32 v216, v232, 4, v226
	s_barrier
	buffer_gl0_inv
	v_mov_b32_e32 v224, 19
	ds_store_2addr_b64 v216, v[136:137], v[138:139] offset1:1
	s_waitcnt lgkmcnt(0)
	s_barrier
	buffer_gl0_inv
	ds_load_2addr_b64 v[216:219], v226 offset0:38 offset1:39
	s_cmp_lt_i32 s5, 21
	s_cbranch_scc1 .LBB106_401
; %bb.399:
	v_add3_u32 v225, v230, 0, 0x140
	v_mov_b32_e32 v224, 19
	s_mov_b32 s6, 20
	s_set_inst_prefetch_distance 0x1
	.p2align	6
.LBB106_400:                            ; =>This Inner Loop Header: Depth=1
	ds_load_2addr_b64 v[233:236], v225 offset1:1
	s_waitcnt lgkmcnt(1)
	v_cmp_gt_f64_e32 vcc_lo, 0, v[216:217]
	v_xor_b32_e32 v220, 0x80000000, v217
	v_cmp_gt_f64_e64 s2, 0, v[218:219]
	v_xor_b32_e32 v222, 0x80000000, v219
	v_add_nc_u32_e32 v225, 16, v225
	s_waitcnt lgkmcnt(0)
	v_cmp_gt_f64_e64 s3, 0, v[233:234]
	v_mov_b32_e32 v237, v233
	v_mov_b32_e32 v239, v235
	v_cndmask_b32_e32 v221, v217, v220, vcc_lo
	v_xor_b32_e32 v220, 0x80000000, v234
	v_cndmask_b32_e64 v223, v219, v222, s2
	v_xor_b32_e32 v222, 0x80000000, v236
	s_delay_alu instid0(VALU_DEP_3) | instskip(SKIP_2) | instid1(VALU_DEP_2)
	v_cndmask_b32_e64 v238, v234, v220, s3
	v_cmp_gt_f64_e64 s3, 0, v[235:236]
	v_cndmask_b32_e32 v220, v216, v216, vcc_lo
	v_cndmask_b32_e64 v240, v236, v222, s3
	v_cndmask_b32_e64 v222, v218, v218, s2
	s_delay_alu instid0(VALU_DEP_2) | instskip(NEXT) | instid1(VALU_DEP_2)
	v_add_f64 v[237:238], v[237:238], v[239:240]
	v_add_f64 v[220:221], v[220:221], v[222:223]
	s_delay_alu instid0(VALU_DEP_1) | instskip(SKIP_4) | instid1(SALU_CYCLE_1)
	v_cmp_lt_f64_e32 vcc_lo, v[220:221], v[237:238]
	v_dual_cndmask_b32 v216, v216, v233 :: v_dual_cndmask_b32 v217, v217, v234
	v_dual_cndmask_b32 v219, v219, v236 :: v_dual_cndmask_b32 v218, v218, v235
	v_cndmask_b32_e64 v224, v224, s6, vcc_lo
	s_add_i32 s6, s6, 1
	s_cmp_lg_u32 s5, s6
	s_cbranch_scc1 .LBB106_400
.LBB106_401:
	s_set_inst_prefetch_distance 0x2
	s_waitcnt lgkmcnt(0)
	v_cmp_eq_f64_e32 vcc_lo, 0, v[216:217]
	v_cmp_eq_f64_e64 s2, 0, v[218:219]
	s_delay_alu instid0(VALU_DEP_1) | instskip(NEXT) | instid1(SALU_CYCLE_1)
	s_and_b32 s2, vcc_lo, s2
	s_and_saveexec_b32 s3, s2
	s_delay_alu instid0(SALU_CYCLE_1)
	s_xor_b32 s2, exec_lo, s3
; %bb.402:
	v_cmp_ne_u32_e32 vcc_lo, 0, v229
	v_cndmask_b32_e32 v229, 20, v229, vcc_lo
; %bb.403:
	s_and_not1_saveexec_b32 s3, s2
	s_cbranch_execz .LBB106_409
; %bb.404:
	v_cmp_gt_f64_e32 vcc_lo, 0, v[216:217]
	v_cmp_gt_f64_e64 s2, 0, v[218:219]
	v_xor_b32_e32 v220, 0x80000000, v217
	v_xor_b32_e32 v222, 0x80000000, v219
	s_delay_alu instid0(VALU_DEP_2) | instskip(NEXT) | instid1(VALU_DEP_2)
	v_cndmask_b32_e32 v221, v217, v220, vcc_lo
	v_cndmask_b32_e64 v223, v219, v222, s2
	v_cndmask_b32_e32 v220, v216, v216, vcc_lo
	v_cndmask_b32_e64 v222, v218, v218, s2
	s_mov_b32 s2, exec_lo
	s_delay_alu instid0(VALU_DEP_1)
	v_cmpx_ngt_f64_e32 v[220:221], v[222:223]
	s_xor_b32 s2, exec_lo, s2
	s_cbranch_execz .LBB106_406
; %bb.405:
	v_div_scale_f64 v[220:221], null, v[218:219], v[218:219], v[216:217]
	v_div_scale_f64 v[235:236], vcc_lo, v[216:217], v[218:219], v[216:217]
	s_delay_alu instid0(VALU_DEP_2) | instskip(SKIP_2) | instid1(VALU_DEP_1)
	v_rcp_f64_e32 v[222:223], v[220:221]
	s_waitcnt_depctr 0xfff
	v_fma_f64 v[233:234], -v[220:221], v[222:223], 1.0
	v_fma_f64 v[222:223], v[222:223], v[233:234], v[222:223]
	s_delay_alu instid0(VALU_DEP_1) | instskip(NEXT) | instid1(VALU_DEP_1)
	v_fma_f64 v[233:234], -v[220:221], v[222:223], 1.0
	v_fma_f64 v[222:223], v[222:223], v[233:234], v[222:223]
	s_delay_alu instid0(VALU_DEP_1) | instskip(NEXT) | instid1(VALU_DEP_1)
	v_mul_f64 v[233:234], v[235:236], v[222:223]
	v_fma_f64 v[220:221], -v[220:221], v[233:234], v[235:236]
	s_delay_alu instid0(VALU_DEP_1) | instskip(NEXT) | instid1(VALU_DEP_1)
	v_div_fmas_f64 v[220:221], v[220:221], v[222:223], v[233:234]
	v_div_fixup_f64 v[220:221], v[220:221], v[218:219], v[216:217]
	s_delay_alu instid0(VALU_DEP_1) | instskip(NEXT) | instid1(VALU_DEP_1)
	v_fma_f64 v[216:217], v[216:217], v[220:221], v[218:219]
	v_div_scale_f64 v[218:219], null, v[216:217], v[216:217], 1.0
	s_delay_alu instid0(VALU_DEP_1) | instskip(SKIP_2) | instid1(VALU_DEP_1)
	v_rcp_f64_e32 v[222:223], v[218:219]
	s_waitcnt_depctr 0xfff
	v_fma_f64 v[233:234], -v[218:219], v[222:223], 1.0
	v_fma_f64 v[222:223], v[222:223], v[233:234], v[222:223]
	s_delay_alu instid0(VALU_DEP_1) | instskip(NEXT) | instid1(VALU_DEP_1)
	v_fma_f64 v[233:234], -v[218:219], v[222:223], 1.0
	v_fma_f64 v[222:223], v[222:223], v[233:234], v[222:223]
	v_div_scale_f64 v[233:234], vcc_lo, 1.0, v[216:217], 1.0
	s_delay_alu instid0(VALU_DEP_1) | instskip(NEXT) | instid1(VALU_DEP_1)
	v_mul_f64 v[235:236], v[233:234], v[222:223]
	v_fma_f64 v[218:219], -v[218:219], v[235:236], v[233:234]
	s_delay_alu instid0(VALU_DEP_1) | instskip(NEXT) | instid1(VALU_DEP_1)
	v_div_fmas_f64 v[218:219], v[218:219], v[222:223], v[235:236]
	v_div_fixup_f64 v[218:219], v[218:219], v[216:217], 1.0
	s_delay_alu instid0(VALU_DEP_1)
	v_mul_f64 v[216:217], v[220:221], v[218:219]
	v_xor_b32_e32 v219, 0x80000000, v219
.LBB106_406:
	s_and_not1_saveexec_b32 s2, s2
	s_cbranch_execz .LBB106_408
; %bb.407:
	s_delay_alu instid0(VALU_DEP_1) | instskip(SKIP_1) | instid1(VALU_DEP_2)
	v_div_scale_f64 v[220:221], null, v[216:217], v[216:217], v[218:219]
	v_div_scale_f64 v[235:236], vcc_lo, v[218:219], v[216:217], v[218:219]
	v_rcp_f64_e32 v[222:223], v[220:221]
	s_waitcnt_depctr 0xfff
	v_fma_f64 v[233:234], -v[220:221], v[222:223], 1.0
	s_delay_alu instid0(VALU_DEP_1) | instskip(NEXT) | instid1(VALU_DEP_1)
	v_fma_f64 v[222:223], v[222:223], v[233:234], v[222:223]
	v_fma_f64 v[233:234], -v[220:221], v[222:223], 1.0
	s_delay_alu instid0(VALU_DEP_1) | instskip(NEXT) | instid1(VALU_DEP_1)
	v_fma_f64 v[222:223], v[222:223], v[233:234], v[222:223]
	v_mul_f64 v[233:234], v[235:236], v[222:223]
	s_delay_alu instid0(VALU_DEP_1) | instskip(NEXT) | instid1(VALU_DEP_1)
	v_fma_f64 v[220:221], -v[220:221], v[233:234], v[235:236]
	v_div_fmas_f64 v[220:221], v[220:221], v[222:223], v[233:234]
	s_delay_alu instid0(VALU_DEP_1) | instskip(NEXT) | instid1(VALU_DEP_1)
	v_div_fixup_f64 v[220:221], v[220:221], v[216:217], v[218:219]
	v_fma_f64 v[216:217], v[218:219], v[220:221], v[216:217]
	s_delay_alu instid0(VALU_DEP_1) | instskip(NEXT) | instid1(VALU_DEP_1)
	v_div_scale_f64 v[218:219], null, v[216:217], v[216:217], 1.0
	v_rcp_f64_e32 v[222:223], v[218:219]
	s_waitcnt_depctr 0xfff
	v_fma_f64 v[233:234], -v[218:219], v[222:223], 1.0
	s_delay_alu instid0(VALU_DEP_1) | instskip(NEXT) | instid1(VALU_DEP_1)
	v_fma_f64 v[222:223], v[222:223], v[233:234], v[222:223]
	v_fma_f64 v[233:234], -v[218:219], v[222:223], 1.0
	s_delay_alu instid0(VALU_DEP_1) | instskip(SKIP_1) | instid1(VALU_DEP_1)
	v_fma_f64 v[222:223], v[222:223], v[233:234], v[222:223]
	v_div_scale_f64 v[233:234], vcc_lo, 1.0, v[216:217], 1.0
	v_mul_f64 v[235:236], v[233:234], v[222:223]
	s_delay_alu instid0(VALU_DEP_1) | instskip(NEXT) | instid1(VALU_DEP_1)
	v_fma_f64 v[218:219], -v[218:219], v[235:236], v[233:234]
	v_div_fmas_f64 v[218:219], v[218:219], v[222:223], v[235:236]
	s_delay_alu instid0(VALU_DEP_1) | instskip(NEXT) | instid1(VALU_DEP_1)
	v_div_fixup_f64 v[216:217], v[218:219], v[216:217], 1.0
	v_mul_f64 v[218:219], v[220:221], -v[216:217]
.LBB106_408:
	s_or_b32 exec_lo, exec_lo, s2
.LBB106_409:
	s_delay_alu instid0(SALU_CYCLE_1) | instskip(NEXT) | instid1(SALU_CYCLE_1)
	s_or_b32 exec_lo, exec_lo, s3
	s_mov_b32 s2, exec_lo
	v_cmpx_ne_u32_e64 v232, v224
	s_xor_b32 s2, exec_lo, s2
	s_cbranch_execz .LBB106_415
; %bb.410:
	s_mov_b32 s3, exec_lo
	v_cmpx_eq_u32_e32 19, v232
	s_cbranch_execz .LBB106_414
; %bb.411:
	v_cmp_ne_u32_e32 vcc_lo, 19, v224
	s_xor_b32 s6, s4, -1
	s_delay_alu instid0(SALU_CYCLE_1) | instskip(NEXT) | instid1(SALU_CYCLE_1)
	s_and_b32 s7, s6, vcc_lo
	s_and_saveexec_b32 s6, s7
	s_cbranch_execz .LBB106_413
; %bb.412:
	v_ashrrev_i32_e32 v225, 31, v224
	s_delay_alu instid0(VALU_DEP_1) | instskip(NEXT) | instid1(VALU_DEP_1)
	v_lshlrev_b64 v[220:221], 2, v[224:225]
	v_add_co_u32 v220, vcc_lo, v214, v220
	s_delay_alu instid0(VALU_DEP_2)
	v_add_co_ci_u32_e32 v221, vcc_lo, v215, v221, vcc_lo
	s_clause 0x1
	flat_load_b32 v222, v[220:221]
	flat_load_b32 v223, v[214:215] offset:76
	s_waitcnt vmcnt(1) lgkmcnt(1)
	flat_store_b32 v[214:215], v222 offset:76
	s_waitcnt vmcnt(0) lgkmcnt(1)
	flat_store_b32 v[220:221], v223
.LBB106_413:
	s_or_b32 exec_lo, exec_lo, s6
	v_mov_b32_e32 v232, v224
	v_mov_b32_e32 v231, v224
.LBB106_414:
	s_or_b32 exec_lo, exec_lo, s3
.LBB106_415:
	s_and_not1_saveexec_b32 s2, s2
	s_cbranch_execz .LBB106_417
; %bb.416:
	v_mov_b32_e32 v232, 19
	ds_store_2addr_b64 v226, v[132:133], v[134:135] offset0:40 offset1:41
	ds_store_2addr_b64 v226, v[128:129], v[130:131] offset0:42 offset1:43
	;; [unrolled: 1-line block ×34, first 2 shown]
.LBB106_417:
	s_or_b32 exec_lo, exec_lo, s2
	s_delay_alu instid0(SALU_CYCLE_1)
	s_mov_b32 s2, exec_lo
	s_waitcnt lgkmcnt(0)
	s_waitcnt_vscnt null, 0x0
	s_barrier
	buffer_gl0_inv
	v_cmpx_lt_i32_e32 19, v232
	s_cbranch_execz .LBB106_419
; %bb.418:
	v_mul_f64 v[220:221], v[218:219], v[138:139]
	v_mul_f64 v[138:139], v[216:217], v[138:139]
	s_delay_alu instid0(VALU_DEP_2) | instskip(NEXT) | instid1(VALU_DEP_2)
	v_fma_f64 v[224:225], v[216:217], v[136:137], -v[220:221]
	v_fma_f64 v[138:139], v[218:219], v[136:137], v[138:139]
	ds_load_2addr_b64 v[216:219], v226 offset0:40 offset1:41
	s_waitcnt lgkmcnt(0)
	v_mul_f64 v[136:137], v[218:219], v[138:139]
	s_delay_alu instid0(VALU_DEP_1) | instskip(SKIP_1) | instid1(VALU_DEP_2)
	v_fma_f64 v[136:137], v[216:217], v[224:225], -v[136:137]
	v_mul_f64 v[216:217], v[216:217], v[138:139]
	v_add_f64 v[132:133], v[132:133], -v[136:137]
	s_delay_alu instid0(VALU_DEP_2) | instskip(NEXT) | instid1(VALU_DEP_1)
	v_fma_f64 v[216:217], v[218:219], v[224:225], v[216:217]
	v_add_f64 v[134:135], v[134:135], -v[216:217]
	ds_load_2addr_b64 v[216:219], v226 offset0:42 offset1:43
	s_waitcnt lgkmcnt(0)
	v_mul_f64 v[136:137], v[218:219], v[138:139]
	s_delay_alu instid0(VALU_DEP_1) | instskip(SKIP_1) | instid1(VALU_DEP_2)
	v_fma_f64 v[136:137], v[216:217], v[224:225], -v[136:137]
	v_mul_f64 v[216:217], v[216:217], v[138:139]
	v_add_f64 v[128:129], v[128:129], -v[136:137]
	s_delay_alu instid0(VALU_DEP_2) | instskip(NEXT) | instid1(VALU_DEP_1)
	v_fma_f64 v[216:217], v[218:219], v[224:225], v[216:217]
	v_add_f64 v[130:131], v[130:131], -v[216:217]
	;; [unrolled: 10-line block ×33, first 2 shown]
	ds_load_2addr_b64 v[216:219], v226 offset0:106 offset1:107
	s_waitcnt lgkmcnt(0)
	v_mul_f64 v[136:137], v[218:219], v[138:139]
	s_delay_alu instid0(VALU_DEP_1) | instskip(SKIP_1) | instid1(VALU_DEP_2)
	v_fma_f64 v[136:137], v[216:217], v[224:225], -v[136:137]
	v_mul_f64 v[216:217], v[216:217], v[138:139]
	v_add_f64 v[0:1], v[0:1], -v[136:137]
	s_delay_alu instid0(VALU_DEP_2) | instskip(SKIP_1) | instid1(VALU_DEP_2)
	v_fma_f64 v[216:217], v[218:219], v[224:225], v[216:217]
	v_dual_mov_b32 v136, v224 :: v_dual_mov_b32 v137, v225
	v_add_f64 v[2:3], v[2:3], -v[216:217]
.LBB106_419:
	s_or_b32 exec_lo, exec_lo, s2
	v_lshl_add_u32 v216, v232, 4, v226
	s_barrier
	buffer_gl0_inv
	v_mov_b32_e32 v224, 20
	ds_store_2addr_b64 v216, v[132:133], v[134:135] offset1:1
	s_waitcnt lgkmcnt(0)
	s_barrier
	buffer_gl0_inv
	ds_load_2addr_b64 v[216:219], v226 offset0:40 offset1:41
	s_cmp_lt_i32 s5, 22
	s_cbranch_scc1 .LBB106_422
; %bb.420:
	v_add3_u32 v225, v230, 0, 0x150
	v_mov_b32_e32 v224, 20
	s_mov_b32 s6, 21
	s_set_inst_prefetch_distance 0x1
	.p2align	6
.LBB106_421:                            ; =>This Inner Loop Header: Depth=1
	ds_load_2addr_b64 v[233:236], v225 offset1:1
	s_waitcnt lgkmcnt(1)
	v_cmp_gt_f64_e32 vcc_lo, 0, v[216:217]
	v_xor_b32_e32 v220, 0x80000000, v217
	v_cmp_gt_f64_e64 s2, 0, v[218:219]
	v_xor_b32_e32 v222, 0x80000000, v219
	v_add_nc_u32_e32 v225, 16, v225
	s_waitcnt lgkmcnt(0)
	v_cmp_gt_f64_e64 s3, 0, v[233:234]
	v_mov_b32_e32 v237, v233
	v_mov_b32_e32 v239, v235
	v_cndmask_b32_e32 v221, v217, v220, vcc_lo
	v_xor_b32_e32 v220, 0x80000000, v234
	v_cndmask_b32_e64 v223, v219, v222, s2
	v_xor_b32_e32 v222, 0x80000000, v236
	s_delay_alu instid0(VALU_DEP_3) | instskip(SKIP_2) | instid1(VALU_DEP_2)
	v_cndmask_b32_e64 v238, v234, v220, s3
	v_cmp_gt_f64_e64 s3, 0, v[235:236]
	v_cndmask_b32_e32 v220, v216, v216, vcc_lo
	v_cndmask_b32_e64 v240, v236, v222, s3
	v_cndmask_b32_e64 v222, v218, v218, s2
	s_delay_alu instid0(VALU_DEP_2) | instskip(NEXT) | instid1(VALU_DEP_2)
	v_add_f64 v[237:238], v[237:238], v[239:240]
	v_add_f64 v[220:221], v[220:221], v[222:223]
	s_delay_alu instid0(VALU_DEP_1) | instskip(SKIP_4) | instid1(SALU_CYCLE_1)
	v_cmp_lt_f64_e32 vcc_lo, v[220:221], v[237:238]
	v_dual_cndmask_b32 v216, v216, v233 :: v_dual_cndmask_b32 v217, v217, v234
	v_dual_cndmask_b32 v219, v219, v236 :: v_dual_cndmask_b32 v218, v218, v235
	v_cndmask_b32_e64 v224, v224, s6, vcc_lo
	s_add_i32 s6, s6, 1
	s_cmp_lg_u32 s5, s6
	s_cbranch_scc1 .LBB106_421
.LBB106_422:
	s_set_inst_prefetch_distance 0x2
	s_waitcnt lgkmcnt(0)
	v_cmp_eq_f64_e32 vcc_lo, 0, v[216:217]
	v_cmp_eq_f64_e64 s2, 0, v[218:219]
	s_delay_alu instid0(VALU_DEP_1) | instskip(NEXT) | instid1(SALU_CYCLE_1)
	s_and_b32 s2, vcc_lo, s2
	s_and_saveexec_b32 s3, s2
	s_delay_alu instid0(SALU_CYCLE_1)
	s_xor_b32 s2, exec_lo, s3
; %bb.423:
	v_cmp_ne_u32_e32 vcc_lo, 0, v229
	v_cndmask_b32_e32 v229, 21, v229, vcc_lo
; %bb.424:
	s_and_not1_saveexec_b32 s3, s2
	s_cbranch_execz .LBB106_430
; %bb.425:
	v_cmp_gt_f64_e32 vcc_lo, 0, v[216:217]
	v_cmp_gt_f64_e64 s2, 0, v[218:219]
	v_xor_b32_e32 v220, 0x80000000, v217
	v_xor_b32_e32 v222, 0x80000000, v219
	s_delay_alu instid0(VALU_DEP_2) | instskip(NEXT) | instid1(VALU_DEP_2)
	v_cndmask_b32_e32 v221, v217, v220, vcc_lo
	v_cndmask_b32_e64 v223, v219, v222, s2
	v_cndmask_b32_e32 v220, v216, v216, vcc_lo
	v_cndmask_b32_e64 v222, v218, v218, s2
	s_mov_b32 s2, exec_lo
	s_delay_alu instid0(VALU_DEP_1)
	v_cmpx_ngt_f64_e32 v[220:221], v[222:223]
	s_xor_b32 s2, exec_lo, s2
	s_cbranch_execz .LBB106_427
; %bb.426:
	v_div_scale_f64 v[220:221], null, v[218:219], v[218:219], v[216:217]
	v_div_scale_f64 v[235:236], vcc_lo, v[216:217], v[218:219], v[216:217]
	s_delay_alu instid0(VALU_DEP_2) | instskip(SKIP_2) | instid1(VALU_DEP_1)
	v_rcp_f64_e32 v[222:223], v[220:221]
	s_waitcnt_depctr 0xfff
	v_fma_f64 v[233:234], -v[220:221], v[222:223], 1.0
	v_fma_f64 v[222:223], v[222:223], v[233:234], v[222:223]
	s_delay_alu instid0(VALU_DEP_1) | instskip(NEXT) | instid1(VALU_DEP_1)
	v_fma_f64 v[233:234], -v[220:221], v[222:223], 1.0
	v_fma_f64 v[222:223], v[222:223], v[233:234], v[222:223]
	s_delay_alu instid0(VALU_DEP_1) | instskip(NEXT) | instid1(VALU_DEP_1)
	v_mul_f64 v[233:234], v[235:236], v[222:223]
	v_fma_f64 v[220:221], -v[220:221], v[233:234], v[235:236]
	s_delay_alu instid0(VALU_DEP_1) | instskip(NEXT) | instid1(VALU_DEP_1)
	v_div_fmas_f64 v[220:221], v[220:221], v[222:223], v[233:234]
	v_div_fixup_f64 v[220:221], v[220:221], v[218:219], v[216:217]
	s_delay_alu instid0(VALU_DEP_1) | instskip(NEXT) | instid1(VALU_DEP_1)
	v_fma_f64 v[216:217], v[216:217], v[220:221], v[218:219]
	v_div_scale_f64 v[218:219], null, v[216:217], v[216:217], 1.0
	s_delay_alu instid0(VALU_DEP_1) | instskip(SKIP_2) | instid1(VALU_DEP_1)
	v_rcp_f64_e32 v[222:223], v[218:219]
	s_waitcnt_depctr 0xfff
	v_fma_f64 v[233:234], -v[218:219], v[222:223], 1.0
	v_fma_f64 v[222:223], v[222:223], v[233:234], v[222:223]
	s_delay_alu instid0(VALU_DEP_1) | instskip(NEXT) | instid1(VALU_DEP_1)
	v_fma_f64 v[233:234], -v[218:219], v[222:223], 1.0
	v_fma_f64 v[222:223], v[222:223], v[233:234], v[222:223]
	v_div_scale_f64 v[233:234], vcc_lo, 1.0, v[216:217], 1.0
	s_delay_alu instid0(VALU_DEP_1) | instskip(NEXT) | instid1(VALU_DEP_1)
	v_mul_f64 v[235:236], v[233:234], v[222:223]
	v_fma_f64 v[218:219], -v[218:219], v[235:236], v[233:234]
	s_delay_alu instid0(VALU_DEP_1) | instskip(NEXT) | instid1(VALU_DEP_1)
	v_div_fmas_f64 v[218:219], v[218:219], v[222:223], v[235:236]
	v_div_fixup_f64 v[218:219], v[218:219], v[216:217], 1.0
	s_delay_alu instid0(VALU_DEP_1)
	v_mul_f64 v[216:217], v[220:221], v[218:219]
	v_xor_b32_e32 v219, 0x80000000, v219
.LBB106_427:
	s_and_not1_saveexec_b32 s2, s2
	s_cbranch_execz .LBB106_429
; %bb.428:
	s_delay_alu instid0(VALU_DEP_1) | instskip(SKIP_1) | instid1(VALU_DEP_2)
	v_div_scale_f64 v[220:221], null, v[216:217], v[216:217], v[218:219]
	v_div_scale_f64 v[235:236], vcc_lo, v[218:219], v[216:217], v[218:219]
	v_rcp_f64_e32 v[222:223], v[220:221]
	s_waitcnt_depctr 0xfff
	v_fma_f64 v[233:234], -v[220:221], v[222:223], 1.0
	s_delay_alu instid0(VALU_DEP_1) | instskip(NEXT) | instid1(VALU_DEP_1)
	v_fma_f64 v[222:223], v[222:223], v[233:234], v[222:223]
	v_fma_f64 v[233:234], -v[220:221], v[222:223], 1.0
	s_delay_alu instid0(VALU_DEP_1) | instskip(NEXT) | instid1(VALU_DEP_1)
	v_fma_f64 v[222:223], v[222:223], v[233:234], v[222:223]
	v_mul_f64 v[233:234], v[235:236], v[222:223]
	s_delay_alu instid0(VALU_DEP_1) | instskip(NEXT) | instid1(VALU_DEP_1)
	v_fma_f64 v[220:221], -v[220:221], v[233:234], v[235:236]
	v_div_fmas_f64 v[220:221], v[220:221], v[222:223], v[233:234]
	s_delay_alu instid0(VALU_DEP_1) | instskip(NEXT) | instid1(VALU_DEP_1)
	v_div_fixup_f64 v[220:221], v[220:221], v[216:217], v[218:219]
	v_fma_f64 v[216:217], v[218:219], v[220:221], v[216:217]
	s_delay_alu instid0(VALU_DEP_1) | instskip(NEXT) | instid1(VALU_DEP_1)
	v_div_scale_f64 v[218:219], null, v[216:217], v[216:217], 1.0
	v_rcp_f64_e32 v[222:223], v[218:219]
	s_waitcnt_depctr 0xfff
	v_fma_f64 v[233:234], -v[218:219], v[222:223], 1.0
	s_delay_alu instid0(VALU_DEP_1) | instskip(NEXT) | instid1(VALU_DEP_1)
	v_fma_f64 v[222:223], v[222:223], v[233:234], v[222:223]
	v_fma_f64 v[233:234], -v[218:219], v[222:223], 1.0
	s_delay_alu instid0(VALU_DEP_1) | instskip(SKIP_1) | instid1(VALU_DEP_1)
	v_fma_f64 v[222:223], v[222:223], v[233:234], v[222:223]
	v_div_scale_f64 v[233:234], vcc_lo, 1.0, v[216:217], 1.0
	v_mul_f64 v[235:236], v[233:234], v[222:223]
	s_delay_alu instid0(VALU_DEP_1) | instskip(NEXT) | instid1(VALU_DEP_1)
	v_fma_f64 v[218:219], -v[218:219], v[235:236], v[233:234]
	v_div_fmas_f64 v[218:219], v[218:219], v[222:223], v[235:236]
	s_delay_alu instid0(VALU_DEP_1) | instskip(NEXT) | instid1(VALU_DEP_1)
	v_div_fixup_f64 v[216:217], v[218:219], v[216:217], 1.0
	v_mul_f64 v[218:219], v[220:221], -v[216:217]
.LBB106_429:
	s_or_b32 exec_lo, exec_lo, s2
.LBB106_430:
	s_delay_alu instid0(SALU_CYCLE_1) | instskip(NEXT) | instid1(SALU_CYCLE_1)
	s_or_b32 exec_lo, exec_lo, s3
	s_mov_b32 s2, exec_lo
	v_cmpx_ne_u32_e64 v232, v224
	s_xor_b32 s2, exec_lo, s2
	s_cbranch_execz .LBB106_436
; %bb.431:
	s_mov_b32 s3, exec_lo
	v_cmpx_eq_u32_e32 20, v232
	s_cbranch_execz .LBB106_435
; %bb.432:
	v_cmp_ne_u32_e32 vcc_lo, 20, v224
	s_xor_b32 s6, s4, -1
	s_delay_alu instid0(SALU_CYCLE_1) | instskip(NEXT) | instid1(SALU_CYCLE_1)
	s_and_b32 s7, s6, vcc_lo
	s_and_saveexec_b32 s6, s7
	s_cbranch_execz .LBB106_434
; %bb.433:
	v_ashrrev_i32_e32 v225, 31, v224
	s_delay_alu instid0(VALU_DEP_1) | instskip(NEXT) | instid1(VALU_DEP_1)
	v_lshlrev_b64 v[220:221], 2, v[224:225]
	v_add_co_u32 v220, vcc_lo, v214, v220
	s_delay_alu instid0(VALU_DEP_2)
	v_add_co_ci_u32_e32 v221, vcc_lo, v215, v221, vcc_lo
	s_clause 0x1
	flat_load_b32 v222, v[220:221]
	flat_load_b32 v223, v[214:215] offset:80
	s_waitcnt vmcnt(1) lgkmcnt(1)
	flat_store_b32 v[214:215], v222 offset:80
	s_waitcnt vmcnt(0) lgkmcnt(1)
	flat_store_b32 v[220:221], v223
.LBB106_434:
	s_or_b32 exec_lo, exec_lo, s6
	v_mov_b32_e32 v232, v224
	v_mov_b32_e32 v231, v224
.LBB106_435:
	s_or_b32 exec_lo, exec_lo, s3
.LBB106_436:
	s_and_not1_saveexec_b32 s2, s2
	s_cbranch_execz .LBB106_438
; %bb.437:
	v_mov_b32_e32 v232, 20
	ds_store_2addr_b64 v226, v[128:129], v[130:131] offset0:42 offset1:43
	ds_store_2addr_b64 v226, v[124:125], v[126:127] offset0:44 offset1:45
	;; [unrolled: 1-line block ×33, first 2 shown]
.LBB106_438:
	s_or_b32 exec_lo, exec_lo, s2
	s_delay_alu instid0(SALU_CYCLE_1)
	s_mov_b32 s2, exec_lo
	s_waitcnt lgkmcnt(0)
	s_waitcnt_vscnt null, 0x0
	s_barrier
	buffer_gl0_inv
	v_cmpx_lt_i32_e32 20, v232
	s_cbranch_execz .LBB106_440
; %bb.439:
	v_mul_f64 v[220:221], v[218:219], v[134:135]
	v_mul_f64 v[134:135], v[216:217], v[134:135]
	s_delay_alu instid0(VALU_DEP_2) | instskip(NEXT) | instid1(VALU_DEP_2)
	v_fma_f64 v[224:225], v[216:217], v[132:133], -v[220:221]
	v_fma_f64 v[134:135], v[218:219], v[132:133], v[134:135]
	ds_load_2addr_b64 v[216:219], v226 offset0:42 offset1:43
	s_waitcnt lgkmcnt(0)
	v_mul_f64 v[132:133], v[218:219], v[134:135]
	s_delay_alu instid0(VALU_DEP_1) | instskip(SKIP_1) | instid1(VALU_DEP_2)
	v_fma_f64 v[132:133], v[216:217], v[224:225], -v[132:133]
	v_mul_f64 v[216:217], v[216:217], v[134:135]
	v_add_f64 v[128:129], v[128:129], -v[132:133]
	s_delay_alu instid0(VALU_DEP_2) | instskip(NEXT) | instid1(VALU_DEP_1)
	v_fma_f64 v[216:217], v[218:219], v[224:225], v[216:217]
	v_add_f64 v[130:131], v[130:131], -v[216:217]
	ds_load_2addr_b64 v[216:219], v226 offset0:44 offset1:45
	s_waitcnt lgkmcnt(0)
	v_mul_f64 v[132:133], v[218:219], v[134:135]
	s_delay_alu instid0(VALU_DEP_1) | instskip(SKIP_1) | instid1(VALU_DEP_2)
	v_fma_f64 v[132:133], v[216:217], v[224:225], -v[132:133]
	v_mul_f64 v[216:217], v[216:217], v[134:135]
	v_add_f64 v[124:125], v[124:125], -v[132:133]
	s_delay_alu instid0(VALU_DEP_2) | instskip(NEXT) | instid1(VALU_DEP_1)
	v_fma_f64 v[216:217], v[218:219], v[224:225], v[216:217]
	v_add_f64 v[126:127], v[126:127], -v[216:217]
	;; [unrolled: 10-line block ×32, first 2 shown]
	ds_load_2addr_b64 v[216:219], v226 offset0:106 offset1:107
	s_waitcnt lgkmcnt(0)
	v_mul_f64 v[132:133], v[218:219], v[134:135]
	s_delay_alu instid0(VALU_DEP_1) | instskip(SKIP_1) | instid1(VALU_DEP_2)
	v_fma_f64 v[132:133], v[216:217], v[224:225], -v[132:133]
	v_mul_f64 v[216:217], v[216:217], v[134:135]
	v_add_f64 v[0:1], v[0:1], -v[132:133]
	s_delay_alu instid0(VALU_DEP_2) | instskip(SKIP_1) | instid1(VALU_DEP_2)
	v_fma_f64 v[216:217], v[218:219], v[224:225], v[216:217]
	v_dual_mov_b32 v132, v224 :: v_dual_mov_b32 v133, v225
	v_add_f64 v[2:3], v[2:3], -v[216:217]
.LBB106_440:
	s_or_b32 exec_lo, exec_lo, s2
	v_lshl_add_u32 v216, v232, 4, v226
	s_barrier
	buffer_gl0_inv
	v_mov_b32_e32 v224, 21
	ds_store_2addr_b64 v216, v[128:129], v[130:131] offset1:1
	s_waitcnt lgkmcnt(0)
	s_barrier
	buffer_gl0_inv
	ds_load_2addr_b64 v[216:219], v226 offset0:42 offset1:43
	s_cmp_lt_i32 s5, 23
	s_cbranch_scc1 .LBB106_443
; %bb.441:
	v_add3_u32 v225, v230, 0, 0x160
	v_mov_b32_e32 v224, 21
	s_mov_b32 s6, 22
	s_set_inst_prefetch_distance 0x1
	.p2align	6
.LBB106_442:                            ; =>This Inner Loop Header: Depth=1
	ds_load_2addr_b64 v[233:236], v225 offset1:1
	s_waitcnt lgkmcnt(1)
	v_cmp_gt_f64_e32 vcc_lo, 0, v[216:217]
	v_xor_b32_e32 v220, 0x80000000, v217
	v_cmp_gt_f64_e64 s2, 0, v[218:219]
	v_xor_b32_e32 v222, 0x80000000, v219
	v_add_nc_u32_e32 v225, 16, v225
	s_waitcnt lgkmcnt(0)
	v_cmp_gt_f64_e64 s3, 0, v[233:234]
	v_mov_b32_e32 v237, v233
	v_mov_b32_e32 v239, v235
	v_cndmask_b32_e32 v221, v217, v220, vcc_lo
	v_xor_b32_e32 v220, 0x80000000, v234
	v_cndmask_b32_e64 v223, v219, v222, s2
	v_xor_b32_e32 v222, 0x80000000, v236
	s_delay_alu instid0(VALU_DEP_3) | instskip(SKIP_2) | instid1(VALU_DEP_2)
	v_cndmask_b32_e64 v238, v234, v220, s3
	v_cmp_gt_f64_e64 s3, 0, v[235:236]
	v_cndmask_b32_e32 v220, v216, v216, vcc_lo
	v_cndmask_b32_e64 v240, v236, v222, s3
	v_cndmask_b32_e64 v222, v218, v218, s2
	s_delay_alu instid0(VALU_DEP_2) | instskip(NEXT) | instid1(VALU_DEP_2)
	v_add_f64 v[237:238], v[237:238], v[239:240]
	v_add_f64 v[220:221], v[220:221], v[222:223]
	s_delay_alu instid0(VALU_DEP_1) | instskip(SKIP_4) | instid1(SALU_CYCLE_1)
	v_cmp_lt_f64_e32 vcc_lo, v[220:221], v[237:238]
	v_dual_cndmask_b32 v216, v216, v233 :: v_dual_cndmask_b32 v217, v217, v234
	v_dual_cndmask_b32 v219, v219, v236 :: v_dual_cndmask_b32 v218, v218, v235
	v_cndmask_b32_e64 v224, v224, s6, vcc_lo
	s_add_i32 s6, s6, 1
	s_cmp_lg_u32 s5, s6
	s_cbranch_scc1 .LBB106_442
.LBB106_443:
	s_set_inst_prefetch_distance 0x2
	s_waitcnt lgkmcnt(0)
	v_cmp_eq_f64_e32 vcc_lo, 0, v[216:217]
	v_cmp_eq_f64_e64 s2, 0, v[218:219]
	s_delay_alu instid0(VALU_DEP_1) | instskip(NEXT) | instid1(SALU_CYCLE_1)
	s_and_b32 s2, vcc_lo, s2
	s_and_saveexec_b32 s3, s2
	s_delay_alu instid0(SALU_CYCLE_1)
	s_xor_b32 s2, exec_lo, s3
; %bb.444:
	v_cmp_ne_u32_e32 vcc_lo, 0, v229
	v_cndmask_b32_e32 v229, 22, v229, vcc_lo
; %bb.445:
	s_and_not1_saveexec_b32 s3, s2
	s_cbranch_execz .LBB106_451
; %bb.446:
	v_cmp_gt_f64_e32 vcc_lo, 0, v[216:217]
	v_cmp_gt_f64_e64 s2, 0, v[218:219]
	v_xor_b32_e32 v220, 0x80000000, v217
	v_xor_b32_e32 v222, 0x80000000, v219
	s_delay_alu instid0(VALU_DEP_2) | instskip(NEXT) | instid1(VALU_DEP_2)
	v_cndmask_b32_e32 v221, v217, v220, vcc_lo
	v_cndmask_b32_e64 v223, v219, v222, s2
	v_cndmask_b32_e32 v220, v216, v216, vcc_lo
	v_cndmask_b32_e64 v222, v218, v218, s2
	s_mov_b32 s2, exec_lo
	s_delay_alu instid0(VALU_DEP_1)
	v_cmpx_ngt_f64_e32 v[220:221], v[222:223]
	s_xor_b32 s2, exec_lo, s2
	s_cbranch_execz .LBB106_448
; %bb.447:
	v_div_scale_f64 v[220:221], null, v[218:219], v[218:219], v[216:217]
	v_div_scale_f64 v[235:236], vcc_lo, v[216:217], v[218:219], v[216:217]
	s_delay_alu instid0(VALU_DEP_2) | instskip(SKIP_2) | instid1(VALU_DEP_1)
	v_rcp_f64_e32 v[222:223], v[220:221]
	s_waitcnt_depctr 0xfff
	v_fma_f64 v[233:234], -v[220:221], v[222:223], 1.0
	v_fma_f64 v[222:223], v[222:223], v[233:234], v[222:223]
	s_delay_alu instid0(VALU_DEP_1) | instskip(NEXT) | instid1(VALU_DEP_1)
	v_fma_f64 v[233:234], -v[220:221], v[222:223], 1.0
	v_fma_f64 v[222:223], v[222:223], v[233:234], v[222:223]
	s_delay_alu instid0(VALU_DEP_1) | instskip(NEXT) | instid1(VALU_DEP_1)
	v_mul_f64 v[233:234], v[235:236], v[222:223]
	v_fma_f64 v[220:221], -v[220:221], v[233:234], v[235:236]
	s_delay_alu instid0(VALU_DEP_1) | instskip(NEXT) | instid1(VALU_DEP_1)
	v_div_fmas_f64 v[220:221], v[220:221], v[222:223], v[233:234]
	v_div_fixup_f64 v[220:221], v[220:221], v[218:219], v[216:217]
	s_delay_alu instid0(VALU_DEP_1) | instskip(NEXT) | instid1(VALU_DEP_1)
	v_fma_f64 v[216:217], v[216:217], v[220:221], v[218:219]
	v_div_scale_f64 v[218:219], null, v[216:217], v[216:217], 1.0
	s_delay_alu instid0(VALU_DEP_1) | instskip(SKIP_2) | instid1(VALU_DEP_1)
	v_rcp_f64_e32 v[222:223], v[218:219]
	s_waitcnt_depctr 0xfff
	v_fma_f64 v[233:234], -v[218:219], v[222:223], 1.0
	v_fma_f64 v[222:223], v[222:223], v[233:234], v[222:223]
	s_delay_alu instid0(VALU_DEP_1) | instskip(NEXT) | instid1(VALU_DEP_1)
	v_fma_f64 v[233:234], -v[218:219], v[222:223], 1.0
	v_fma_f64 v[222:223], v[222:223], v[233:234], v[222:223]
	v_div_scale_f64 v[233:234], vcc_lo, 1.0, v[216:217], 1.0
	s_delay_alu instid0(VALU_DEP_1) | instskip(NEXT) | instid1(VALU_DEP_1)
	v_mul_f64 v[235:236], v[233:234], v[222:223]
	v_fma_f64 v[218:219], -v[218:219], v[235:236], v[233:234]
	s_delay_alu instid0(VALU_DEP_1) | instskip(NEXT) | instid1(VALU_DEP_1)
	v_div_fmas_f64 v[218:219], v[218:219], v[222:223], v[235:236]
	v_div_fixup_f64 v[218:219], v[218:219], v[216:217], 1.0
	s_delay_alu instid0(VALU_DEP_1)
	v_mul_f64 v[216:217], v[220:221], v[218:219]
	v_xor_b32_e32 v219, 0x80000000, v219
.LBB106_448:
	s_and_not1_saveexec_b32 s2, s2
	s_cbranch_execz .LBB106_450
; %bb.449:
	s_delay_alu instid0(VALU_DEP_1) | instskip(SKIP_1) | instid1(VALU_DEP_2)
	v_div_scale_f64 v[220:221], null, v[216:217], v[216:217], v[218:219]
	v_div_scale_f64 v[235:236], vcc_lo, v[218:219], v[216:217], v[218:219]
	v_rcp_f64_e32 v[222:223], v[220:221]
	s_waitcnt_depctr 0xfff
	v_fma_f64 v[233:234], -v[220:221], v[222:223], 1.0
	s_delay_alu instid0(VALU_DEP_1) | instskip(NEXT) | instid1(VALU_DEP_1)
	v_fma_f64 v[222:223], v[222:223], v[233:234], v[222:223]
	v_fma_f64 v[233:234], -v[220:221], v[222:223], 1.0
	s_delay_alu instid0(VALU_DEP_1) | instskip(NEXT) | instid1(VALU_DEP_1)
	v_fma_f64 v[222:223], v[222:223], v[233:234], v[222:223]
	v_mul_f64 v[233:234], v[235:236], v[222:223]
	s_delay_alu instid0(VALU_DEP_1) | instskip(NEXT) | instid1(VALU_DEP_1)
	v_fma_f64 v[220:221], -v[220:221], v[233:234], v[235:236]
	v_div_fmas_f64 v[220:221], v[220:221], v[222:223], v[233:234]
	s_delay_alu instid0(VALU_DEP_1) | instskip(NEXT) | instid1(VALU_DEP_1)
	v_div_fixup_f64 v[220:221], v[220:221], v[216:217], v[218:219]
	v_fma_f64 v[216:217], v[218:219], v[220:221], v[216:217]
	s_delay_alu instid0(VALU_DEP_1) | instskip(NEXT) | instid1(VALU_DEP_1)
	v_div_scale_f64 v[218:219], null, v[216:217], v[216:217], 1.0
	v_rcp_f64_e32 v[222:223], v[218:219]
	s_waitcnt_depctr 0xfff
	v_fma_f64 v[233:234], -v[218:219], v[222:223], 1.0
	s_delay_alu instid0(VALU_DEP_1) | instskip(NEXT) | instid1(VALU_DEP_1)
	v_fma_f64 v[222:223], v[222:223], v[233:234], v[222:223]
	v_fma_f64 v[233:234], -v[218:219], v[222:223], 1.0
	s_delay_alu instid0(VALU_DEP_1) | instskip(SKIP_1) | instid1(VALU_DEP_1)
	v_fma_f64 v[222:223], v[222:223], v[233:234], v[222:223]
	v_div_scale_f64 v[233:234], vcc_lo, 1.0, v[216:217], 1.0
	v_mul_f64 v[235:236], v[233:234], v[222:223]
	s_delay_alu instid0(VALU_DEP_1) | instskip(NEXT) | instid1(VALU_DEP_1)
	v_fma_f64 v[218:219], -v[218:219], v[235:236], v[233:234]
	v_div_fmas_f64 v[218:219], v[218:219], v[222:223], v[235:236]
	s_delay_alu instid0(VALU_DEP_1) | instskip(NEXT) | instid1(VALU_DEP_1)
	v_div_fixup_f64 v[216:217], v[218:219], v[216:217], 1.0
	v_mul_f64 v[218:219], v[220:221], -v[216:217]
.LBB106_450:
	s_or_b32 exec_lo, exec_lo, s2
.LBB106_451:
	s_delay_alu instid0(SALU_CYCLE_1) | instskip(NEXT) | instid1(SALU_CYCLE_1)
	s_or_b32 exec_lo, exec_lo, s3
	s_mov_b32 s2, exec_lo
	v_cmpx_ne_u32_e64 v232, v224
	s_xor_b32 s2, exec_lo, s2
	s_cbranch_execz .LBB106_457
; %bb.452:
	s_mov_b32 s3, exec_lo
	v_cmpx_eq_u32_e32 21, v232
	s_cbranch_execz .LBB106_456
; %bb.453:
	v_cmp_ne_u32_e32 vcc_lo, 21, v224
	s_xor_b32 s6, s4, -1
	s_delay_alu instid0(SALU_CYCLE_1) | instskip(NEXT) | instid1(SALU_CYCLE_1)
	s_and_b32 s7, s6, vcc_lo
	s_and_saveexec_b32 s6, s7
	s_cbranch_execz .LBB106_455
; %bb.454:
	v_ashrrev_i32_e32 v225, 31, v224
	s_delay_alu instid0(VALU_DEP_1) | instskip(NEXT) | instid1(VALU_DEP_1)
	v_lshlrev_b64 v[220:221], 2, v[224:225]
	v_add_co_u32 v220, vcc_lo, v214, v220
	s_delay_alu instid0(VALU_DEP_2)
	v_add_co_ci_u32_e32 v221, vcc_lo, v215, v221, vcc_lo
	s_clause 0x1
	flat_load_b32 v222, v[220:221]
	flat_load_b32 v223, v[214:215] offset:84
	s_waitcnt vmcnt(1) lgkmcnt(1)
	flat_store_b32 v[214:215], v222 offset:84
	s_waitcnt vmcnt(0) lgkmcnt(1)
	flat_store_b32 v[220:221], v223
.LBB106_455:
	s_or_b32 exec_lo, exec_lo, s6
	v_mov_b32_e32 v232, v224
	v_mov_b32_e32 v231, v224
.LBB106_456:
	s_or_b32 exec_lo, exec_lo, s3
.LBB106_457:
	s_and_not1_saveexec_b32 s2, s2
	s_cbranch_execz .LBB106_459
; %bb.458:
	v_mov_b32_e32 v232, 21
	ds_store_2addr_b64 v226, v[124:125], v[126:127] offset0:44 offset1:45
	ds_store_2addr_b64 v226, v[120:121], v[122:123] offset0:46 offset1:47
	;; [unrolled: 1-line block ×32, first 2 shown]
.LBB106_459:
	s_or_b32 exec_lo, exec_lo, s2
	s_delay_alu instid0(SALU_CYCLE_1)
	s_mov_b32 s2, exec_lo
	s_waitcnt lgkmcnt(0)
	s_waitcnt_vscnt null, 0x0
	s_barrier
	buffer_gl0_inv
	v_cmpx_lt_i32_e32 21, v232
	s_cbranch_execz .LBB106_461
; %bb.460:
	v_mul_f64 v[220:221], v[218:219], v[130:131]
	v_mul_f64 v[130:131], v[216:217], v[130:131]
	s_delay_alu instid0(VALU_DEP_2) | instskip(NEXT) | instid1(VALU_DEP_2)
	v_fma_f64 v[224:225], v[216:217], v[128:129], -v[220:221]
	v_fma_f64 v[130:131], v[218:219], v[128:129], v[130:131]
	ds_load_2addr_b64 v[216:219], v226 offset0:44 offset1:45
	s_waitcnt lgkmcnt(0)
	v_mul_f64 v[128:129], v[218:219], v[130:131]
	s_delay_alu instid0(VALU_DEP_1) | instskip(SKIP_1) | instid1(VALU_DEP_2)
	v_fma_f64 v[128:129], v[216:217], v[224:225], -v[128:129]
	v_mul_f64 v[216:217], v[216:217], v[130:131]
	v_add_f64 v[124:125], v[124:125], -v[128:129]
	s_delay_alu instid0(VALU_DEP_2) | instskip(NEXT) | instid1(VALU_DEP_1)
	v_fma_f64 v[216:217], v[218:219], v[224:225], v[216:217]
	v_add_f64 v[126:127], v[126:127], -v[216:217]
	ds_load_2addr_b64 v[216:219], v226 offset0:46 offset1:47
	s_waitcnt lgkmcnt(0)
	v_mul_f64 v[128:129], v[218:219], v[130:131]
	s_delay_alu instid0(VALU_DEP_1) | instskip(SKIP_1) | instid1(VALU_DEP_2)
	v_fma_f64 v[128:129], v[216:217], v[224:225], -v[128:129]
	v_mul_f64 v[216:217], v[216:217], v[130:131]
	v_add_f64 v[120:121], v[120:121], -v[128:129]
	s_delay_alu instid0(VALU_DEP_2) | instskip(NEXT) | instid1(VALU_DEP_1)
	v_fma_f64 v[216:217], v[218:219], v[224:225], v[216:217]
	v_add_f64 v[122:123], v[122:123], -v[216:217]
	;; [unrolled: 10-line block ×31, first 2 shown]
	ds_load_2addr_b64 v[216:219], v226 offset0:106 offset1:107
	s_waitcnt lgkmcnt(0)
	v_mul_f64 v[128:129], v[218:219], v[130:131]
	s_delay_alu instid0(VALU_DEP_1) | instskip(SKIP_1) | instid1(VALU_DEP_2)
	v_fma_f64 v[128:129], v[216:217], v[224:225], -v[128:129]
	v_mul_f64 v[216:217], v[216:217], v[130:131]
	v_add_f64 v[0:1], v[0:1], -v[128:129]
	s_delay_alu instid0(VALU_DEP_2) | instskip(SKIP_1) | instid1(VALU_DEP_2)
	v_fma_f64 v[216:217], v[218:219], v[224:225], v[216:217]
	v_dual_mov_b32 v128, v224 :: v_dual_mov_b32 v129, v225
	v_add_f64 v[2:3], v[2:3], -v[216:217]
.LBB106_461:
	s_or_b32 exec_lo, exec_lo, s2
	v_lshl_add_u32 v216, v232, 4, v226
	s_barrier
	buffer_gl0_inv
	v_mov_b32_e32 v224, 22
	ds_store_2addr_b64 v216, v[124:125], v[126:127] offset1:1
	s_waitcnt lgkmcnt(0)
	s_barrier
	buffer_gl0_inv
	ds_load_2addr_b64 v[216:219], v226 offset0:44 offset1:45
	s_cmp_lt_i32 s5, 24
	s_cbranch_scc1 .LBB106_464
; %bb.462:
	v_add3_u32 v225, v230, 0, 0x170
	v_mov_b32_e32 v224, 22
	s_mov_b32 s6, 23
	s_set_inst_prefetch_distance 0x1
	.p2align	6
.LBB106_463:                            ; =>This Inner Loop Header: Depth=1
	ds_load_2addr_b64 v[233:236], v225 offset1:1
	s_waitcnt lgkmcnt(1)
	v_cmp_gt_f64_e32 vcc_lo, 0, v[216:217]
	v_xor_b32_e32 v220, 0x80000000, v217
	v_cmp_gt_f64_e64 s2, 0, v[218:219]
	v_xor_b32_e32 v222, 0x80000000, v219
	v_add_nc_u32_e32 v225, 16, v225
	s_waitcnt lgkmcnt(0)
	v_cmp_gt_f64_e64 s3, 0, v[233:234]
	v_mov_b32_e32 v237, v233
	v_mov_b32_e32 v239, v235
	v_cndmask_b32_e32 v221, v217, v220, vcc_lo
	v_xor_b32_e32 v220, 0x80000000, v234
	v_cndmask_b32_e64 v223, v219, v222, s2
	v_xor_b32_e32 v222, 0x80000000, v236
	s_delay_alu instid0(VALU_DEP_3) | instskip(SKIP_2) | instid1(VALU_DEP_2)
	v_cndmask_b32_e64 v238, v234, v220, s3
	v_cmp_gt_f64_e64 s3, 0, v[235:236]
	v_cndmask_b32_e32 v220, v216, v216, vcc_lo
	v_cndmask_b32_e64 v240, v236, v222, s3
	v_cndmask_b32_e64 v222, v218, v218, s2
	s_delay_alu instid0(VALU_DEP_2) | instskip(NEXT) | instid1(VALU_DEP_2)
	v_add_f64 v[237:238], v[237:238], v[239:240]
	v_add_f64 v[220:221], v[220:221], v[222:223]
	s_delay_alu instid0(VALU_DEP_1) | instskip(SKIP_4) | instid1(SALU_CYCLE_1)
	v_cmp_lt_f64_e32 vcc_lo, v[220:221], v[237:238]
	v_dual_cndmask_b32 v216, v216, v233 :: v_dual_cndmask_b32 v217, v217, v234
	v_dual_cndmask_b32 v219, v219, v236 :: v_dual_cndmask_b32 v218, v218, v235
	v_cndmask_b32_e64 v224, v224, s6, vcc_lo
	s_add_i32 s6, s6, 1
	s_cmp_lg_u32 s5, s6
	s_cbranch_scc1 .LBB106_463
.LBB106_464:
	s_set_inst_prefetch_distance 0x2
	s_waitcnt lgkmcnt(0)
	v_cmp_eq_f64_e32 vcc_lo, 0, v[216:217]
	v_cmp_eq_f64_e64 s2, 0, v[218:219]
	s_delay_alu instid0(VALU_DEP_1) | instskip(NEXT) | instid1(SALU_CYCLE_1)
	s_and_b32 s2, vcc_lo, s2
	s_and_saveexec_b32 s3, s2
	s_delay_alu instid0(SALU_CYCLE_1)
	s_xor_b32 s2, exec_lo, s3
; %bb.465:
	v_cmp_ne_u32_e32 vcc_lo, 0, v229
	v_cndmask_b32_e32 v229, 23, v229, vcc_lo
; %bb.466:
	s_and_not1_saveexec_b32 s3, s2
	s_cbranch_execz .LBB106_472
; %bb.467:
	v_cmp_gt_f64_e32 vcc_lo, 0, v[216:217]
	v_cmp_gt_f64_e64 s2, 0, v[218:219]
	v_xor_b32_e32 v220, 0x80000000, v217
	v_xor_b32_e32 v222, 0x80000000, v219
	s_delay_alu instid0(VALU_DEP_2) | instskip(NEXT) | instid1(VALU_DEP_2)
	v_cndmask_b32_e32 v221, v217, v220, vcc_lo
	v_cndmask_b32_e64 v223, v219, v222, s2
	v_cndmask_b32_e32 v220, v216, v216, vcc_lo
	v_cndmask_b32_e64 v222, v218, v218, s2
	s_mov_b32 s2, exec_lo
	s_delay_alu instid0(VALU_DEP_1)
	v_cmpx_ngt_f64_e32 v[220:221], v[222:223]
	s_xor_b32 s2, exec_lo, s2
	s_cbranch_execz .LBB106_469
; %bb.468:
	v_div_scale_f64 v[220:221], null, v[218:219], v[218:219], v[216:217]
	v_div_scale_f64 v[235:236], vcc_lo, v[216:217], v[218:219], v[216:217]
	s_delay_alu instid0(VALU_DEP_2) | instskip(SKIP_2) | instid1(VALU_DEP_1)
	v_rcp_f64_e32 v[222:223], v[220:221]
	s_waitcnt_depctr 0xfff
	v_fma_f64 v[233:234], -v[220:221], v[222:223], 1.0
	v_fma_f64 v[222:223], v[222:223], v[233:234], v[222:223]
	s_delay_alu instid0(VALU_DEP_1) | instskip(NEXT) | instid1(VALU_DEP_1)
	v_fma_f64 v[233:234], -v[220:221], v[222:223], 1.0
	v_fma_f64 v[222:223], v[222:223], v[233:234], v[222:223]
	s_delay_alu instid0(VALU_DEP_1) | instskip(NEXT) | instid1(VALU_DEP_1)
	v_mul_f64 v[233:234], v[235:236], v[222:223]
	v_fma_f64 v[220:221], -v[220:221], v[233:234], v[235:236]
	s_delay_alu instid0(VALU_DEP_1) | instskip(NEXT) | instid1(VALU_DEP_1)
	v_div_fmas_f64 v[220:221], v[220:221], v[222:223], v[233:234]
	v_div_fixup_f64 v[220:221], v[220:221], v[218:219], v[216:217]
	s_delay_alu instid0(VALU_DEP_1) | instskip(NEXT) | instid1(VALU_DEP_1)
	v_fma_f64 v[216:217], v[216:217], v[220:221], v[218:219]
	v_div_scale_f64 v[218:219], null, v[216:217], v[216:217], 1.0
	s_delay_alu instid0(VALU_DEP_1) | instskip(SKIP_2) | instid1(VALU_DEP_1)
	v_rcp_f64_e32 v[222:223], v[218:219]
	s_waitcnt_depctr 0xfff
	v_fma_f64 v[233:234], -v[218:219], v[222:223], 1.0
	v_fma_f64 v[222:223], v[222:223], v[233:234], v[222:223]
	s_delay_alu instid0(VALU_DEP_1) | instskip(NEXT) | instid1(VALU_DEP_1)
	v_fma_f64 v[233:234], -v[218:219], v[222:223], 1.0
	v_fma_f64 v[222:223], v[222:223], v[233:234], v[222:223]
	v_div_scale_f64 v[233:234], vcc_lo, 1.0, v[216:217], 1.0
	s_delay_alu instid0(VALU_DEP_1) | instskip(NEXT) | instid1(VALU_DEP_1)
	v_mul_f64 v[235:236], v[233:234], v[222:223]
	v_fma_f64 v[218:219], -v[218:219], v[235:236], v[233:234]
	s_delay_alu instid0(VALU_DEP_1) | instskip(NEXT) | instid1(VALU_DEP_1)
	v_div_fmas_f64 v[218:219], v[218:219], v[222:223], v[235:236]
	v_div_fixup_f64 v[218:219], v[218:219], v[216:217], 1.0
	s_delay_alu instid0(VALU_DEP_1)
	v_mul_f64 v[216:217], v[220:221], v[218:219]
	v_xor_b32_e32 v219, 0x80000000, v219
.LBB106_469:
	s_and_not1_saveexec_b32 s2, s2
	s_cbranch_execz .LBB106_471
; %bb.470:
	s_delay_alu instid0(VALU_DEP_1) | instskip(SKIP_1) | instid1(VALU_DEP_2)
	v_div_scale_f64 v[220:221], null, v[216:217], v[216:217], v[218:219]
	v_div_scale_f64 v[235:236], vcc_lo, v[218:219], v[216:217], v[218:219]
	v_rcp_f64_e32 v[222:223], v[220:221]
	s_waitcnt_depctr 0xfff
	v_fma_f64 v[233:234], -v[220:221], v[222:223], 1.0
	s_delay_alu instid0(VALU_DEP_1) | instskip(NEXT) | instid1(VALU_DEP_1)
	v_fma_f64 v[222:223], v[222:223], v[233:234], v[222:223]
	v_fma_f64 v[233:234], -v[220:221], v[222:223], 1.0
	s_delay_alu instid0(VALU_DEP_1) | instskip(NEXT) | instid1(VALU_DEP_1)
	v_fma_f64 v[222:223], v[222:223], v[233:234], v[222:223]
	v_mul_f64 v[233:234], v[235:236], v[222:223]
	s_delay_alu instid0(VALU_DEP_1) | instskip(NEXT) | instid1(VALU_DEP_1)
	v_fma_f64 v[220:221], -v[220:221], v[233:234], v[235:236]
	v_div_fmas_f64 v[220:221], v[220:221], v[222:223], v[233:234]
	s_delay_alu instid0(VALU_DEP_1) | instskip(NEXT) | instid1(VALU_DEP_1)
	v_div_fixup_f64 v[220:221], v[220:221], v[216:217], v[218:219]
	v_fma_f64 v[216:217], v[218:219], v[220:221], v[216:217]
	s_delay_alu instid0(VALU_DEP_1) | instskip(NEXT) | instid1(VALU_DEP_1)
	v_div_scale_f64 v[218:219], null, v[216:217], v[216:217], 1.0
	v_rcp_f64_e32 v[222:223], v[218:219]
	s_waitcnt_depctr 0xfff
	v_fma_f64 v[233:234], -v[218:219], v[222:223], 1.0
	s_delay_alu instid0(VALU_DEP_1) | instskip(NEXT) | instid1(VALU_DEP_1)
	v_fma_f64 v[222:223], v[222:223], v[233:234], v[222:223]
	v_fma_f64 v[233:234], -v[218:219], v[222:223], 1.0
	s_delay_alu instid0(VALU_DEP_1) | instskip(SKIP_1) | instid1(VALU_DEP_1)
	v_fma_f64 v[222:223], v[222:223], v[233:234], v[222:223]
	v_div_scale_f64 v[233:234], vcc_lo, 1.0, v[216:217], 1.0
	v_mul_f64 v[235:236], v[233:234], v[222:223]
	s_delay_alu instid0(VALU_DEP_1) | instskip(NEXT) | instid1(VALU_DEP_1)
	v_fma_f64 v[218:219], -v[218:219], v[235:236], v[233:234]
	v_div_fmas_f64 v[218:219], v[218:219], v[222:223], v[235:236]
	s_delay_alu instid0(VALU_DEP_1) | instskip(NEXT) | instid1(VALU_DEP_1)
	v_div_fixup_f64 v[216:217], v[218:219], v[216:217], 1.0
	v_mul_f64 v[218:219], v[220:221], -v[216:217]
.LBB106_471:
	s_or_b32 exec_lo, exec_lo, s2
.LBB106_472:
	s_delay_alu instid0(SALU_CYCLE_1) | instskip(NEXT) | instid1(SALU_CYCLE_1)
	s_or_b32 exec_lo, exec_lo, s3
	s_mov_b32 s2, exec_lo
	v_cmpx_ne_u32_e64 v232, v224
	s_xor_b32 s2, exec_lo, s2
	s_cbranch_execz .LBB106_478
; %bb.473:
	s_mov_b32 s3, exec_lo
	v_cmpx_eq_u32_e32 22, v232
	s_cbranch_execz .LBB106_477
; %bb.474:
	v_cmp_ne_u32_e32 vcc_lo, 22, v224
	s_xor_b32 s6, s4, -1
	s_delay_alu instid0(SALU_CYCLE_1) | instskip(NEXT) | instid1(SALU_CYCLE_1)
	s_and_b32 s7, s6, vcc_lo
	s_and_saveexec_b32 s6, s7
	s_cbranch_execz .LBB106_476
; %bb.475:
	v_ashrrev_i32_e32 v225, 31, v224
	s_delay_alu instid0(VALU_DEP_1) | instskip(NEXT) | instid1(VALU_DEP_1)
	v_lshlrev_b64 v[220:221], 2, v[224:225]
	v_add_co_u32 v220, vcc_lo, v214, v220
	s_delay_alu instid0(VALU_DEP_2)
	v_add_co_ci_u32_e32 v221, vcc_lo, v215, v221, vcc_lo
	s_clause 0x1
	flat_load_b32 v222, v[220:221]
	flat_load_b32 v223, v[214:215] offset:88
	s_waitcnt vmcnt(1) lgkmcnt(1)
	flat_store_b32 v[214:215], v222 offset:88
	s_waitcnt vmcnt(0) lgkmcnt(1)
	flat_store_b32 v[220:221], v223
.LBB106_476:
	s_or_b32 exec_lo, exec_lo, s6
	v_mov_b32_e32 v232, v224
	v_mov_b32_e32 v231, v224
.LBB106_477:
	s_or_b32 exec_lo, exec_lo, s3
.LBB106_478:
	s_and_not1_saveexec_b32 s2, s2
	s_cbranch_execz .LBB106_480
; %bb.479:
	v_mov_b32_e32 v232, 22
	ds_store_2addr_b64 v226, v[120:121], v[122:123] offset0:46 offset1:47
	ds_store_2addr_b64 v226, v[116:117], v[118:119] offset0:48 offset1:49
	;; [unrolled: 1-line block ×31, first 2 shown]
.LBB106_480:
	s_or_b32 exec_lo, exec_lo, s2
	s_delay_alu instid0(SALU_CYCLE_1)
	s_mov_b32 s2, exec_lo
	s_waitcnt lgkmcnt(0)
	s_waitcnt_vscnt null, 0x0
	s_barrier
	buffer_gl0_inv
	v_cmpx_lt_i32_e32 22, v232
	s_cbranch_execz .LBB106_482
; %bb.481:
	v_mul_f64 v[220:221], v[218:219], v[126:127]
	v_mul_f64 v[126:127], v[216:217], v[126:127]
	s_delay_alu instid0(VALU_DEP_2) | instskip(NEXT) | instid1(VALU_DEP_2)
	v_fma_f64 v[224:225], v[216:217], v[124:125], -v[220:221]
	v_fma_f64 v[126:127], v[218:219], v[124:125], v[126:127]
	ds_load_2addr_b64 v[216:219], v226 offset0:46 offset1:47
	s_waitcnt lgkmcnt(0)
	v_mul_f64 v[124:125], v[218:219], v[126:127]
	s_delay_alu instid0(VALU_DEP_1) | instskip(SKIP_1) | instid1(VALU_DEP_2)
	v_fma_f64 v[124:125], v[216:217], v[224:225], -v[124:125]
	v_mul_f64 v[216:217], v[216:217], v[126:127]
	v_add_f64 v[120:121], v[120:121], -v[124:125]
	s_delay_alu instid0(VALU_DEP_2) | instskip(NEXT) | instid1(VALU_DEP_1)
	v_fma_f64 v[216:217], v[218:219], v[224:225], v[216:217]
	v_add_f64 v[122:123], v[122:123], -v[216:217]
	ds_load_2addr_b64 v[216:219], v226 offset0:48 offset1:49
	s_waitcnt lgkmcnt(0)
	v_mul_f64 v[124:125], v[218:219], v[126:127]
	s_delay_alu instid0(VALU_DEP_1) | instskip(SKIP_1) | instid1(VALU_DEP_2)
	v_fma_f64 v[124:125], v[216:217], v[224:225], -v[124:125]
	v_mul_f64 v[216:217], v[216:217], v[126:127]
	v_add_f64 v[116:117], v[116:117], -v[124:125]
	s_delay_alu instid0(VALU_DEP_2) | instskip(NEXT) | instid1(VALU_DEP_1)
	v_fma_f64 v[216:217], v[218:219], v[224:225], v[216:217]
	v_add_f64 v[118:119], v[118:119], -v[216:217]
	;; [unrolled: 10-line block ×30, first 2 shown]
	ds_load_2addr_b64 v[216:219], v226 offset0:106 offset1:107
	s_waitcnt lgkmcnt(0)
	v_mul_f64 v[124:125], v[218:219], v[126:127]
	s_delay_alu instid0(VALU_DEP_1) | instskip(SKIP_1) | instid1(VALU_DEP_2)
	v_fma_f64 v[124:125], v[216:217], v[224:225], -v[124:125]
	v_mul_f64 v[216:217], v[216:217], v[126:127]
	v_add_f64 v[0:1], v[0:1], -v[124:125]
	s_delay_alu instid0(VALU_DEP_2) | instskip(SKIP_1) | instid1(VALU_DEP_2)
	v_fma_f64 v[216:217], v[218:219], v[224:225], v[216:217]
	v_dual_mov_b32 v124, v224 :: v_dual_mov_b32 v125, v225
	v_add_f64 v[2:3], v[2:3], -v[216:217]
.LBB106_482:
	s_or_b32 exec_lo, exec_lo, s2
	v_lshl_add_u32 v216, v232, 4, v226
	s_barrier
	buffer_gl0_inv
	v_mov_b32_e32 v224, 23
	ds_store_2addr_b64 v216, v[120:121], v[122:123] offset1:1
	s_waitcnt lgkmcnt(0)
	s_barrier
	buffer_gl0_inv
	ds_load_2addr_b64 v[216:219], v226 offset0:46 offset1:47
	s_cmp_lt_i32 s5, 25
	s_cbranch_scc1 .LBB106_485
; %bb.483:
	v_add3_u32 v225, v230, 0, 0x180
	v_mov_b32_e32 v224, 23
	s_mov_b32 s6, 24
	s_set_inst_prefetch_distance 0x1
	.p2align	6
.LBB106_484:                            ; =>This Inner Loop Header: Depth=1
	ds_load_2addr_b64 v[233:236], v225 offset1:1
	s_waitcnt lgkmcnt(1)
	v_cmp_gt_f64_e32 vcc_lo, 0, v[216:217]
	v_xor_b32_e32 v220, 0x80000000, v217
	v_cmp_gt_f64_e64 s2, 0, v[218:219]
	v_xor_b32_e32 v222, 0x80000000, v219
	v_add_nc_u32_e32 v225, 16, v225
	s_waitcnt lgkmcnt(0)
	v_cmp_gt_f64_e64 s3, 0, v[233:234]
	v_mov_b32_e32 v237, v233
	v_mov_b32_e32 v239, v235
	v_cndmask_b32_e32 v221, v217, v220, vcc_lo
	v_xor_b32_e32 v220, 0x80000000, v234
	v_cndmask_b32_e64 v223, v219, v222, s2
	v_xor_b32_e32 v222, 0x80000000, v236
	s_delay_alu instid0(VALU_DEP_3) | instskip(SKIP_2) | instid1(VALU_DEP_2)
	v_cndmask_b32_e64 v238, v234, v220, s3
	v_cmp_gt_f64_e64 s3, 0, v[235:236]
	v_cndmask_b32_e32 v220, v216, v216, vcc_lo
	v_cndmask_b32_e64 v240, v236, v222, s3
	v_cndmask_b32_e64 v222, v218, v218, s2
	s_delay_alu instid0(VALU_DEP_2) | instskip(NEXT) | instid1(VALU_DEP_2)
	v_add_f64 v[237:238], v[237:238], v[239:240]
	v_add_f64 v[220:221], v[220:221], v[222:223]
	s_delay_alu instid0(VALU_DEP_1) | instskip(SKIP_4) | instid1(SALU_CYCLE_1)
	v_cmp_lt_f64_e32 vcc_lo, v[220:221], v[237:238]
	v_dual_cndmask_b32 v216, v216, v233 :: v_dual_cndmask_b32 v217, v217, v234
	v_dual_cndmask_b32 v219, v219, v236 :: v_dual_cndmask_b32 v218, v218, v235
	v_cndmask_b32_e64 v224, v224, s6, vcc_lo
	s_add_i32 s6, s6, 1
	s_cmp_lg_u32 s5, s6
	s_cbranch_scc1 .LBB106_484
.LBB106_485:
	s_set_inst_prefetch_distance 0x2
	s_waitcnt lgkmcnt(0)
	v_cmp_eq_f64_e32 vcc_lo, 0, v[216:217]
	v_cmp_eq_f64_e64 s2, 0, v[218:219]
	s_delay_alu instid0(VALU_DEP_1) | instskip(NEXT) | instid1(SALU_CYCLE_1)
	s_and_b32 s2, vcc_lo, s2
	s_and_saveexec_b32 s3, s2
	s_delay_alu instid0(SALU_CYCLE_1)
	s_xor_b32 s2, exec_lo, s3
; %bb.486:
	v_cmp_ne_u32_e32 vcc_lo, 0, v229
	v_cndmask_b32_e32 v229, 24, v229, vcc_lo
; %bb.487:
	s_and_not1_saveexec_b32 s3, s2
	s_cbranch_execz .LBB106_493
; %bb.488:
	v_cmp_gt_f64_e32 vcc_lo, 0, v[216:217]
	v_cmp_gt_f64_e64 s2, 0, v[218:219]
	v_xor_b32_e32 v220, 0x80000000, v217
	v_xor_b32_e32 v222, 0x80000000, v219
	s_delay_alu instid0(VALU_DEP_2) | instskip(NEXT) | instid1(VALU_DEP_2)
	v_cndmask_b32_e32 v221, v217, v220, vcc_lo
	v_cndmask_b32_e64 v223, v219, v222, s2
	v_cndmask_b32_e32 v220, v216, v216, vcc_lo
	v_cndmask_b32_e64 v222, v218, v218, s2
	s_mov_b32 s2, exec_lo
	s_delay_alu instid0(VALU_DEP_1)
	v_cmpx_ngt_f64_e32 v[220:221], v[222:223]
	s_xor_b32 s2, exec_lo, s2
	s_cbranch_execz .LBB106_490
; %bb.489:
	v_div_scale_f64 v[220:221], null, v[218:219], v[218:219], v[216:217]
	v_div_scale_f64 v[235:236], vcc_lo, v[216:217], v[218:219], v[216:217]
	s_delay_alu instid0(VALU_DEP_2) | instskip(SKIP_2) | instid1(VALU_DEP_1)
	v_rcp_f64_e32 v[222:223], v[220:221]
	s_waitcnt_depctr 0xfff
	v_fma_f64 v[233:234], -v[220:221], v[222:223], 1.0
	v_fma_f64 v[222:223], v[222:223], v[233:234], v[222:223]
	s_delay_alu instid0(VALU_DEP_1) | instskip(NEXT) | instid1(VALU_DEP_1)
	v_fma_f64 v[233:234], -v[220:221], v[222:223], 1.0
	v_fma_f64 v[222:223], v[222:223], v[233:234], v[222:223]
	s_delay_alu instid0(VALU_DEP_1) | instskip(NEXT) | instid1(VALU_DEP_1)
	v_mul_f64 v[233:234], v[235:236], v[222:223]
	v_fma_f64 v[220:221], -v[220:221], v[233:234], v[235:236]
	s_delay_alu instid0(VALU_DEP_1) | instskip(NEXT) | instid1(VALU_DEP_1)
	v_div_fmas_f64 v[220:221], v[220:221], v[222:223], v[233:234]
	v_div_fixup_f64 v[220:221], v[220:221], v[218:219], v[216:217]
	s_delay_alu instid0(VALU_DEP_1) | instskip(NEXT) | instid1(VALU_DEP_1)
	v_fma_f64 v[216:217], v[216:217], v[220:221], v[218:219]
	v_div_scale_f64 v[218:219], null, v[216:217], v[216:217], 1.0
	s_delay_alu instid0(VALU_DEP_1) | instskip(SKIP_2) | instid1(VALU_DEP_1)
	v_rcp_f64_e32 v[222:223], v[218:219]
	s_waitcnt_depctr 0xfff
	v_fma_f64 v[233:234], -v[218:219], v[222:223], 1.0
	v_fma_f64 v[222:223], v[222:223], v[233:234], v[222:223]
	s_delay_alu instid0(VALU_DEP_1) | instskip(NEXT) | instid1(VALU_DEP_1)
	v_fma_f64 v[233:234], -v[218:219], v[222:223], 1.0
	v_fma_f64 v[222:223], v[222:223], v[233:234], v[222:223]
	v_div_scale_f64 v[233:234], vcc_lo, 1.0, v[216:217], 1.0
	s_delay_alu instid0(VALU_DEP_1) | instskip(NEXT) | instid1(VALU_DEP_1)
	v_mul_f64 v[235:236], v[233:234], v[222:223]
	v_fma_f64 v[218:219], -v[218:219], v[235:236], v[233:234]
	s_delay_alu instid0(VALU_DEP_1) | instskip(NEXT) | instid1(VALU_DEP_1)
	v_div_fmas_f64 v[218:219], v[218:219], v[222:223], v[235:236]
	v_div_fixup_f64 v[218:219], v[218:219], v[216:217], 1.0
	s_delay_alu instid0(VALU_DEP_1)
	v_mul_f64 v[216:217], v[220:221], v[218:219]
	v_xor_b32_e32 v219, 0x80000000, v219
.LBB106_490:
	s_and_not1_saveexec_b32 s2, s2
	s_cbranch_execz .LBB106_492
; %bb.491:
	s_delay_alu instid0(VALU_DEP_1) | instskip(SKIP_1) | instid1(VALU_DEP_2)
	v_div_scale_f64 v[220:221], null, v[216:217], v[216:217], v[218:219]
	v_div_scale_f64 v[235:236], vcc_lo, v[218:219], v[216:217], v[218:219]
	v_rcp_f64_e32 v[222:223], v[220:221]
	s_waitcnt_depctr 0xfff
	v_fma_f64 v[233:234], -v[220:221], v[222:223], 1.0
	s_delay_alu instid0(VALU_DEP_1) | instskip(NEXT) | instid1(VALU_DEP_1)
	v_fma_f64 v[222:223], v[222:223], v[233:234], v[222:223]
	v_fma_f64 v[233:234], -v[220:221], v[222:223], 1.0
	s_delay_alu instid0(VALU_DEP_1) | instskip(NEXT) | instid1(VALU_DEP_1)
	v_fma_f64 v[222:223], v[222:223], v[233:234], v[222:223]
	v_mul_f64 v[233:234], v[235:236], v[222:223]
	s_delay_alu instid0(VALU_DEP_1) | instskip(NEXT) | instid1(VALU_DEP_1)
	v_fma_f64 v[220:221], -v[220:221], v[233:234], v[235:236]
	v_div_fmas_f64 v[220:221], v[220:221], v[222:223], v[233:234]
	s_delay_alu instid0(VALU_DEP_1) | instskip(NEXT) | instid1(VALU_DEP_1)
	v_div_fixup_f64 v[220:221], v[220:221], v[216:217], v[218:219]
	v_fma_f64 v[216:217], v[218:219], v[220:221], v[216:217]
	s_delay_alu instid0(VALU_DEP_1) | instskip(NEXT) | instid1(VALU_DEP_1)
	v_div_scale_f64 v[218:219], null, v[216:217], v[216:217], 1.0
	v_rcp_f64_e32 v[222:223], v[218:219]
	s_waitcnt_depctr 0xfff
	v_fma_f64 v[233:234], -v[218:219], v[222:223], 1.0
	s_delay_alu instid0(VALU_DEP_1) | instskip(NEXT) | instid1(VALU_DEP_1)
	v_fma_f64 v[222:223], v[222:223], v[233:234], v[222:223]
	v_fma_f64 v[233:234], -v[218:219], v[222:223], 1.0
	s_delay_alu instid0(VALU_DEP_1) | instskip(SKIP_1) | instid1(VALU_DEP_1)
	v_fma_f64 v[222:223], v[222:223], v[233:234], v[222:223]
	v_div_scale_f64 v[233:234], vcc_lo, 1.0, v[216:217], 1.0
	v_mul_f64 v[235:236], v[233:234], v[222:223]
	s_delay_alu instid0(VALU_DEP_1) | instskip(NEXT) | instid1(VALU_DEP_1)
	v_fma_f64 v[218:219], -v[218:219], v[235:236], v[233:234]
	v_div_fmas_f64 v[218:219], v[218:219], v[222:223], v[235:236]
	s_delay_alu instid0(VALU_DEP_1) | instskip(NEXT) | instid1(VALU_DEP_1)
	v_div_fixup_f64 v[216:217], v[218:219], v[216:217], 1.0
	v_mul_f64 v[218:219], v[220:221], -v[216:217]
.LBB106_492:
	s_or_b32 exec_lo, exec_lo, s2
.LBB106_493:
	s_delay_alu instid0(SALU_CYCLE_1) | instskip(NEXT) | instid1(SALU_CYCLE_1)
	s_or_b32 exec_lo, exec_lo, s3
	s_mov_b32 s2, exec_lo
	v_cmpx_ne_u32_e64 v232, v224
	s_xor_b32 s2, exec_lo, s2
	s_cbranch_execz .LBB106_499
; %bb.494:
	s_mov_b32 s3, exec_lo
	v_cmpx_eq_u32_e32 23, v232
	s_cbranch_execz .LBB106_498
; %bb.495:
	v_cmp_ne_u32_e32 vcc_lo, 23, v224
	s_xor_b32 s6, s4, -1
	s_delay_alu instid0(SALU_CYCLE_1) | instskip(NEXT) | instid1(SALU_CYCLE_1)
	s_and_b32 s7, s6, vcc_lo
	s_and_saveexec_b32 s6, s7
	s_cbranch_execz .LBB106_497
; %bb.496:
	v_ashrrev_i32_e32 v225, 31, v224
	s_delay_alu instid0(VALU_DEP_1) | instskip(NEXT) | instid1(VALU_DEP_1)
	v_lshlrev_b64 v[220:221], 2, v[224:225]
	v_add_co_u32 v220, vcc_lo, v214, v220
	s_delay_alu instid0(VALU_DEP_2)
	v_add_co_ci_u32_e32 v221, vcc_lo, v215, v221, vcc_lo
	s_clause 0x1
	flat_load_b32 v222, v[220:221]
	flat_load_b32 v223, v[214:215] offset:92
	s_waitcnt vmcnt(1) lgkmcnt(1)
	flat_store_b32 v[214:215], v222 offset:92
	s_waitcnt vmcnt(0) lgkmcnt(1)
	flat_store_b32 v[220:221], v223
.LBB106_497:
	s_or_b32 exec_lo, exec_lo, s6
	v_mov_b32_e32 v232, v224
	v_mov_b32_e32 v231, v224
.LBB106_498:
	s_or_b32 exec_lo, exec_lo, s3
.LBB106_499:
	s_and_not1_saveexec_b32 s2, s2
	s_cbranch_execz .LBB106_501
; %bb.500:
	v_mov_b32_e32 v232, 23
	ds_store_2addr_b64 v226, v[116:117], v[118:119] offset0:48 offset1:49
	ds_store_2addr_b64 v226, v[112:113], v[114:115] offset0:50 offset1:51
	ds_store_2addr_b64 v226, v[108:109], v[110:111] offset0:52 offset1:53
	ds_store_2addr_b64 v226, v[104:105], v[106:107] offset0:54 offset1:55
	ds_store_2addr_b64 v226, v[100:101], v[102:103] offset0:56 offset1:57
	ds_store_2addr_b64 v226, v[96:97], v[98:99] offset0:58 offset1:59
	ds_store_2addr_b64 v226, v[92:93], v[94:95] offset0:60 offset1:61
	ds_store_2addr_b64 v226, v[88:89], v[90:91] offset0:62 offset1:63
	ds_store_2addr_b64 v226, v[84:85], v[86:87] offset0:64 offset1:65
	ds_store_2addr_b64 v226, v[80:81], v[82:83] offset0:66 offset1:67
	ds_store_2addr_b64 v226, v[76:77], v[78:79] offset0:68 offset1:69
	ds_store_2addr_b64 v226, v[72:73], v[74:75] offset0:70 offset1:71
	ds_store_2addr_b64 v226, v[68:69], v[70:71] offset0:72 offset1:73
	ds_store_2addr_b64 v226, v[64:65], v[66:67] offset0:74 offset1:75
	ds_store_2addr_b64 v226, v[60:61], v[62:63] offset0:76 offset1:77
	ds_store_2addr_b64 v226, v[56:57], v[58:59] offset0:78 offset1:79
	ds_store_2addr_b64 v226, v[52:53], v[54:55] offset0:80 offset1:81
	ds_store_2addr_b64 v226, v[48:49], v[50:51] offset0:82 offset1:83
	ds_store_2addr_b64 v226, v[44:45], v[46:47] offset0:84 offset1:85
	ds_store_2addr_b64 v226, v[40:41], v[42:43] offset0:86 offset1:87
	ds_store_2addr_b64 v226, v[36:37], v[38:39] offset0:88 offset1:89
	ds_store_2addr_b64 v226, v[32:33], v[34:35] offset0:90 offset1:91
	ds_store_2addr_b64 v226, v[28:29], v[30:31] offset0:92 offset1:93
	ds_store_2addr_b64 v226, v[24:25], v[26:27] offset0:94 offset1:95
	ds_store_2addr_b64 v226, v[20:21], v[22:23] offset0:96 offset1:97
	ds_store_2addr_b64 v226, v[16:17], v[18:19] offset0:98 offset1:99
	ds_store_2addr_b64 v226, v[12:13], v[14:15] offset0:100 offset1:101
	ds_store_2addr_b64 v226, v[251:252], v[253:254] offset0:102 offset1:103
	ds_store_2addr_b64 v226, v[247:248], v[249:250] offset0:104 offset1:105
	ds_store_2addr_b64 v226, v[0:1], v[2:3] offset0:106 offset1:107
.LBB106_501:
	s_or_b32 exec_lo, exec_lo, s2
	s_delay_alu instid0(SALU_CYCLE_1)
	s_mov_b32 s2, exec_lo
	s_waitcnt lgkmcnt(0)
	s_waitcnt_vscnt null, 0x0
	s_barrier
	buffer_gl0_inv
	v_cmpx_lt_i32_e32 23, v232
	s_cbranch_execz .LBB106_503
; %bb.502:
	v_mul_f64 v[220:221], v[218:219], v[122:123]
	v_mul_f64 v[122:123], v[216:217], v[122:123]
	s_delay_alu instid0(VALU_DEP_2) | instskip(NEXT) | instid1(VALU_DEP_2)
	v_fma_f64 v[224:225], v[216:217], v[120:121], -v[220:221]
	v_fma_f64 v[122:123], v[218:219], v[120:121], v[122:123]
	ds_load_2addr_b64 v[216:219], v226 offset0:48 offset1:49
	s_waitcnt lgkmcnt(0)
	v_mul_f64 v[120:121], v[218:219], v[122:123]
	s_delay_alu instid0(VALU_DEP_1) | instskip(SKIP_1) | instid1(VALU_DEP_2)
	v_fma_f64 v[120:121], v[216:217], v[224:225], -v[120:121]
	v_mul_f64 v[216:217], v[216:217], v[122:123]
	v_add_f64 v[116:117], v[116:117], -v[120:121]
	s_delay_alu instid0(VALU_DEP_2) | instskip(NEXT) | instid1(VALU_DEP_1)
	v_fma_f64 v[216:217], v[218:219], v[224:225], v[216:217]
	v_add_f64 v[118:119], v[118:119], -v[216:217]
	ds_load_2addr_b64 v[216:219], v226 offset0:50 offset1:51
	s_waitcnt lgkmcnt(0)
	v_mul_f64 v[120:121], v[218:219], v[122:123]
	s_delay_alu instid0(VALU_DEP_1) | instskip(SKIP_1) | instid1(VALU_DEP_2)
	v_fma_f64 v[120:121], v[216:217], v[224:225], -v[120:121]
	v_mul_f64 v[216:217], v[216:217], v[122:123]
	v_add_f64 v[112:113], v[112:113], -v[120:121]
	s_delay_alu instid0(VALU_DEP_2) | instskip(NEXT) | instid1(VALU_DEP_1)
	v_fma_f64 v[216:217], v[218:219], v[224:225], v[216:217]
	v_add_f64 v[114:115], v[114:115], -v[216:217]
	;; [unrolled: 10-line block ×29, first 2 shown]
	ds_load_2addr_b64 v[216:219], v226 offset0:106 offset1:107
	s_waitcnt lgkmcnt(0)
	v_mul_f64 v[120:121], v[218:219], v[122:123]
	s_delay_alu instid0(VALU_DEP_1) | instskip(SKIP_1) | instid1(VALU_DEP_2)
	v_fma_f64 v[120:121], v[216:217], v[224:225], -v[120:121]
	v_mul_f64 v[216:217], v[216:217], v[122:123]
	v_add_f64 v[0:1], v[0:1], -v[120:121]
	s_delay_alu instid0(VALU_DEP_2) | instskip(SKIP_1) | instid1(VALU_DEP_2)
	v_fma_f64 v[216:217], v[218:219], v[224:225], v[216:217]
	v_dual_mov_b32 v120, v224 :: v_dual_mov_b32 v121, v225
	v_add_f64 v[2:3], v[2:3], -v[216:217]
.LBB106_503:
	s_or_b32 exec_lo, exec_lo, s2
	v_lshl_add_u32 v216, v232, 4, v226
	s_barrier
	buffer_gl0_inv
	v_mov_b32_e32 v224, 24
	ds_store_2addr_b64 v216, v[116:117], v[118:119] offset1:1
	s_waitcnt lgkmcnt(0)
	s_barrier
	buffer_gl0_inv
	ds_load_2addr_b64 v[216:219], v226 offset0:48 offset1:49
	s_cmp_lt_i32 s5, 26
	s_cbranch_scc1 .LBB106_506
; %bb.504:
	v_add3_u32 v225, v230, 0, 0x190
	v_mov_b32_e32 v224, 24
	s_mov_b32 s6, 25
	s_set_inst_prefetch_distance 0x1
	.p2align	6
.LBB106_505:                            ; =>This Inner Loop Header: Depth=1
	ds_load_2addr_b64 v[233:236], v225 offset1:1
	s_waitcnt lgkmcnt(1)
	v_cmp_gt_f64_e32 vcc_lo, 0, v[216:217]
	v_xor_b32_e32 v220, 0x80000000, v217
	v_cmp_gt_f64_e64 s2, 0, v[218:219]
	v_xor_b32_e32 v222, 0x80000000, v219
	v_add_nc_u32_e32 v225, 16, v225
	s_waitcnt lgkmcnt(0)
	v_cmp_gt_f64_e64 s3, 0, v[233:234]
	v_mov_b32_e32 v237, v233
	v_mov_b32_e32 v239, v235
	v_cndmask_b32_e32 v221, v217, v220, vcc_lo
	v_xor_b32_e32 v220, 0x80000000, v234
	v_cndmask_b32_e64 v223, v219, v222, s2
	v_xor_b32_e32 v222, 0x80000000, v236
	s_delay_alu instid0(VALU_DEP_3) | instskip(SKIP_2) | instid1(VALU_DEP_2)
	v_cndmask_b32_e64 v238, v234, v220, s3
	v_cmp_gt_f64_e64 s3, 0, v[235:236]
	v_cndmask_b32_e32 v220, v216, v216, vcc_lo
	v_cndmask_b32_e64 v240, v236, v222, s3
	v_cndmask_b32_e64 v222, v218, v218, s2
	s_delay_alu instid0(VALU_DEP_2) | instskip(NEXT) | instid1(VALU_DEP_2)
	v_add_f64 v[237:238], v[237:238], v[239:240]
	v_add_f64 v[220:221], v[220:221], v[222:223]
	s_delay_alu instid0(VALU_DEP_1) | instskip(SKIP_4) | instid1(SALU_CYCLE_1)
	v_cmp_lt_f64_e32 vcc_lo, v[220:221], v[237:238]
	v_dual_cndmask_b32 v216, v216, v233 :: v_dual_cndmask_b32 v217, v217, v234
	v_dual_cndmask_b32 v219, v219, v236 :: v_dual_cndmask_b32 v218, v218, v235
	v_cndmask_b32_e64 v224, v224, s6, vcc_lo
	s_add_i32 s6, s6, 1
	s_cmp_lg_u32 s5, s6
	s_cbranch_scc1 .LBB106_505
.LBB106_506:
	s_set_inst_prefetch_distance 0x2
	s_waitcnt lgkmcnt(0)
	v_cmp_eq_f64_e32 vcc_lo, 0, v[216:217]
	v_cmp_eq_f64_e64 s2, 0, v[218:219]
	s_delay_alu instid0(VALU_DEP_1) | instskip(NEXT) | instid1(SALU_CYCLE_1)
	s_and_b32 s2, vcc_lo, s2
	s_and_saveexec_b32 s3, s2
	s_delay_alu instid0(SALU_CYCLE_1)
	s_xor_b32 s2, exec_lo, s3
; %bb.507:
	v_cmp_ne_u32_e32 vcc_lo, 0, v229
	v_cndmask_b32_e32 v229, 25, v229, vcc_lo
; %bb.508:
	s_and_not1_saveexec_b32 s3, s2
	s_cbranch_execz .LBB106_514
; %bb.509:
	v_cmp_gt_f64_e32 vcc_lo, 0, v[216:217]
	v_cmp_gt_f64_e64 s2, 0, v[218:219]
	v_xor_b32_e32 v220, 0x80000000, v217
	v_xor_b32_e32 v222, 0x80000000, v219
	s_delay_alu instid0(VALU_DEP_2) | instskip(NEXT) | instid1(VALU_DEP_2)
	v_cndmask_b32_e32 v221, v217, v220, vcc_lo
	v_cndmask_b32_e64 v223, v219, v222, s2
	v_cndmask_b32_e32 v220, v216, v216, vcc_lo
	v_cndmask_b32_e64 v222, v218, v218, s2
	s_mov_b32 s2, exec_lo
	s_delay_alu instid0(VALU_DEP_1)
	v_cmpx_ngt_f64_e32 v[220:221], v[222:223]
	s_xor_b32 s2, exec_lo, s2
	s_cbranch_execz .LBB106_511
; %bb.510:
	v_div_scale_f64 v[220:221], null, v[218:219], v[218:219], v[216:217]
	v_div_scale_f64 v[235:236], vcc_lo, v[216:217], v[218:219], v[216:217]
	s_delay_alu instid0(VALU_DEP_2) | instskip(SKIP_2) | instid1(VALU_DEP_1)
	v_rcp_f64_e32 v[222:223], v[220:221]
	s_waitcnt_depctr 0xfff
	v_fma_f64 v[233:234], -v[220:221], v[222:223], 1.0
	v_fma_f64 v[222:223], v[222:223], v[233:234], v[222:223]
	s_delay_alu instid0(VALU_DEP_1) | instskip(NEXT) | instid1(VALU_DEP_1)
	v_fma_f64 v[233:234], -v[220:221], v[222:223], 1.0
	v_fma_f64 v[222:223], v[222:223], v[233:234], v[222:223]
	s_delay_alu instid0(VALU_DEP_1) | instskip(NEXT) | instid1(VALU_DEP_1)
	v_mul_f64 v[233:234], v[235:236], v[222:223]
	v_fma_f64 v[220:221], -v[220:221], v[233:234], v[235:236]
	s_delay_alu instid0(VALU_DEP_1) | instskip(NEXT) | instid1(VALU_DEP_1)
	v_div_fmas_f64 v[220:221], v[220:221], v[222:223], v[233:234]
	v_div_fixup_f64 v[220:221], v[220:221], v[218:219], v[216:217]
	s_delay_alu instid0(VALU_DEP_1) | instskip(NEXT) | instid1(VALU_DEP_1)
	v_fma_f64 v[216:217], v[216:217], v[220:221], v[218:219]
	v_div_scale_f64 v[218:219], null, v[216:217], v[216:217], 1.0
	s_delay_alu instid0(VALU_DEP_1) | instskip(SKIP_2) | instid1(VALU_DEP_1)
	v_rcp_f64_e32 v[222:223], v[218:219]
	s_waitcnt_depctr 0xfff
	v_fma_f64 v[233:234], -v[218:219], v[222:223], 1.0
	v_fma_f64 v[222:223], v[222:223], v[233:234], v[222:223]
	s_delay_alu instid0(VALU_DEP_1) | instskip(NEXT) | instid1(VALU_DEP_1)
	v_fma_f64 v[233:234], -v[218:219], v[222:223], 1.0
	v_fma_f64 v[222:223], v[222:223], v[233:234], v[222:223]
	v_div_scale_f64 v[233:234], vcc_lo, 1.0, v[216:217], 1.0
	s_delay_alu instid0(VALU_DEP_1) | instskip(NEXT) | instid1(VALU_DEP_1)
	v_mul_f64 v[235:236], v[233:234], v[222:223]
	v_fma_f64 v[218:219], -v[218:219], v[235:236], v[233:234]
	s_delay_alu instid0(VALU_DEP_1) | instskip(NEXT) | instid1(VALU_DEP_1)
	v_div_fmas_f64 v[218:219], v[218:219], v[222:223], v[235:236]
	v_div_fixup_f64 v[218:219], v[218:219], v[216:217], 1.0
	s_delay_alu instid0(VALU_DEP_1)
	v_mul_f64 v[216:217], v[220:221], v[218:219]
	v_xor_b32_e32 v219, 0x80000000, v219
.LBB106_511:
	s_and_not1_saveexec_b32 s2, s2
	s_cbranch_execz .LBB106_513
; %bb.512:
	s_delay_alu instid0(VALU_DEP_1) | instskip(SKIP_1) | instid1(VALU_DEP_2)
	v_div_scale_f64 v[220:221], null, v[216:217], v[216:217], v[218:219]
	v_div_scale_f64 v[235:236], vcc_lo, v[218:219], v[216:217], v[218:219]
	v_rcp_f64_e32 v[222:223], v[220:221]
	s_waitcnt_depctr 0xfff
	v_fma_f64 v[233:234], -v[220:221], v[222:223], 1.0
	s_delay_alu instid0(VALU_DEP_1) | instskip(NEXT) | instid1(VALU_DEP_1)
	v_fma_f64 v[222:223], v[222:223], v[233:234], v[222:223]
	v_fma_f64 v[233:234], -v[220:221], v[222:223], 1.0
	s_delay_alu instid0(VALU_DEP_1) | instskip(NEXT) | instid1(VALU_DEP_1)
	v_fma_f64 v[222:223], v[222:223], v[233:234], v[222:223]
	v_mul_f64 v[233:234], v[235:236], v[222:223]
	s_delay_alu instid0(VALU_DEP_1) | instskip(NEXT) | instid1(VALU_DEP_1)
	v_fma_f64 v[220:221], -v[220:221], v[233:234], v[235:236]
	v_div_fmas_f64 v[220:221], v[220:221], v[222:223], v[233:234]
	s_delay_alu instid0(VALU_DEP_1) | instskip(NEXT) | instid1(VALU_DEP_1)
	v_div_fixup_f64 v[220:221], v[220:221], v[216:217], v[218:219]
	v_fma_f64 v[216:217], v[218:219], v[220:221], v[216:217]
	s_delay_alu instid0(VALU_DEP_1) | instskip(NEXT) | instid1(VALU_DEP_1)
	v_div_scale_f64 v[218:219], null, v[216:217], v[216:217], 1.0
	v_rcp_f64_e32 v[222:223], v[218:219]
	s_waitcnt_depctr 0xfff
	v_fma_f64 v[233:234], -v[218:219], v[222:223], 1.0
	s_delay_alu instid0(VALU_DEP_1) | instskip(NEXT) | instid1(VALU_DEP_1)
	v_fma_f64 v[222:223], v[222:223], v[233:234], v[222:223]
	v_fma_f64 v[233:234], -v[218:219], v[222:223], 1.0
	s_delay_alu instid0(VALU_DEP_1) | instskip(SKIP_1) | instid1(VALU_DEP_1)
	v_fma_f64 v[222:223], v[222:223], v[233:234], v[222:223]
	v_div_scale_f64 v[233:234], vcc_lo, 1.0, v[216:217], 1.0
	v_mul_f64 v[235:236], v[233:234], v[222:223]
	s_delay_alu instid0(VALU_DEP_1) | instskip(NEXT) | instid1(VALU_DEP_1)
	v_fma_f64 v[218:219], -v[218:219], v[235:236], v[233:234]
	v_div_fmas_f64 v[218:219], v[218:219], v[222:223], v[235:236]
	s_delay_alu instid0(VALU_DEP_1) | instskip(NEXT) | instid1(VALU_DEP_1)
	v_div_fixup_f64 v[216:217], v[218:219], v[216:217], 1.0
	v_mul_f64 v[218:219], v[220:221], -v[216:217]
.LBB106_513:
	s_or_b32 exec_lo, exec_lo, s2
.LBB106_514:
	s_delay_alu instid0(SALU_CYCLE_1) | instskip(NEXT) | instid1(SALU_CYCLE_1)
	s_or_b32 exec_lo, exec_lo, s3
	s_mov_b32 s2, exec_lo
	v_cmpx_ne_u32_e64 v232, v224
	s_xor_b32 s2, exec_lo, s2
	s_cbranch_execz .LBB106_520
; %bb.515:
	s_mov_b32 s3, exec_lo
	v_cmpx_eq_u32_e32 24, v232
	s_cbranch_execz .LBB106_519
; %bb.516:
	v_cmp_ne_u32_e32 vcc_lo, 24, v224
	s_xor_b32 s6, s4, -1
	s_delay_alu instid0(SALU_CYCLE_1) | instskip(NEXT) | instid1(SALU_CYCLE_1)
	s_and_b32 s7, s6, vcc_lo
	s_and_saveexec_b32 s6, s7
	s_cbranch_execz .LBB106_518
; %bb.517:
	v_ashrrev_i32_e32 v225, 31, v224
	s_delay_alu instid0(VALU_DEP_1) | instskip(NEXT) | instid1(VALU_DEP_1)
	v_lshlrev_b64 v[220:221], 2, v[224:225]
	v_add_co_u32 v220, vcc_lo, v214, v220
	s_delay_alu instid0(VALU_DEP_2)
	v_add_co_ci_u32_e32 v221, vcc_lo, v215, v221, vcc_lo
	s_clause 0x1
	flat_load_b32 v222, v[220:221]
	flat_load_b32 v223, v[214:215] offset:96
	s_waitcnt vmcnt(1) lgkmcnt(1)
	flat_store_b32 v[214:215], v222 offset:96
	s_waitcnt vmcnt(0) lgkmcnt(1)
	flat_store_b32 v[220:221], v223
.LBB106_518:
	s_or_b32 exec_lo, exec_lo, s6
	v_mov_b32_e32 v232, v224
	v_mov_b32_e32 v231, v224
.LBB106_519:
	s_or_b32 exec_lo, exec_lo, s3
.LBB106_520:
	s_and_not1_saveexec_b32 s2, s2
	s_cbranch_execz .LBB106_522
; %bb.521:
	v_mov_b32_e32 v232, 24
	ds_store_2addr_b64 v226, v[112:113], v[114:115] offset0:50 offset1:51
	ds_store_2addr_b64 v226, v[108:109], v[110:111] offset0:52 offset1:53
	;; [unrolled: 1-line block ×29, first 2 shown]
.LBB106_522:
	s_or_b32 exec_lo, exec_lo, s2
	s_delay_alu instid0(SALU_CYCLE_1)
	s_mov_b32 s2, exec_lo
	s_waitcnt lgkmcnt(0)
	s_waitcnt_vscnt null, 0x0
	s_barrier
	buffer_gl0_inv
	v_cmpx_lt_i32_e32 24, v232
	s_cbranch_execz .LBB106_524
; %bb.523:
	v_mul_f64 v[220:221], v[218:219], v[118:119]
	v_mul_f64 v[118:119], v[216:217], v[118:119]
	s_delay_alu instid0(VALU_DEP_2) | instskip(NEXT) | instid1(VALU_DEP_2)
	v_fma_f64 v[224:225], v[216:217], v[116:117], -v[220:221]
	v_fma_f64 v[118:119], v[218:219], v[116:117], v[118:119]
	ds_load_2addr_b64 v[216:219], v226 offset0:50 offset1:51
	s_waitcnt lgkmcnt(0)
	v_mul_f64 v[116:117], v[218:219], v[118:119]
	s_delay_alu instid0(VALU_DEP_1) | instskip(SKIP_1) | instid1(VALU_DEP_2)
	v_fma_f64 v[116:117], v[216:217], v[224:225], -v[116:117]
	v_mul_f64 v[216:217], v[216:217], v[118:119]
	v_add_f64 v[112:113], v[112:113], -v[116:117]
	s_delay_alu instid0(VALU_DEP_2) | instskip(NEXT) | instid1(VALU_DEP_1)
	v_fma_f64 v[216:217], v[218:219], v[224:225], v[216:217]
	v_add_f64 v[114:115], v[114:115], -v[216:217]
	ds_load_2addr_b64 v[216:219], v226 offset0:52 offset1:53
	s_waitcnt lgkmcnt(0)
	v_mul_f64 v[116:117], v[218:219], v[118:119]
	s_delay_alu instid0(VALU_DEP_1) | instskip(SKIP_1) | instid1(VALU_DEP_2)
	v_fma_f64 v[116:117], v[216:217], v[224:225], -v[116:117]
	v_mul_f64 v[216:217], v[216:217], v[118:119]
	v_add_f64 v[108:109], v[108:109], -v[116:117]
	s_delay_alu instid0(VALU_DEP_2) | instskip(NEXT) | instid1(VALU_DEP_1)
	v_fma_f64 v[216:217], v[218:219], v[224:225], v[216:217]
	v_add_f64 v[110:111], v[110:111], -v[216:217]
	;; [unrolled: 10-line block ×28, first 2 shown]
	ds_load_2addr_b64 v[216:219], v226 offset0:106 offset1:107
	s_waitcnt lgkmcnt(0)
	v_mul_f64 v[116:117], v[218:219], v[118:119]
	s_delay_alu instid0(VALU_DEP_1) | instskip(SKIP_1) | instid1(VALU_DEP_2)
	v_fma_f64 v[116:117], v[216:217], v[224:225], -v[116:117]
	v_mul_f64 v[216:217], v[216:217], v[118:119]
	v_add_f64 v[0:1], v[0:1], -v[116:117]
	s_delay_alu instid0(VALU_DEP_2) | instskip(SKIP_1) | instid1(VALU_DEP_2)
	v_fma_f64 v[216:217], v[218:219], v[224:225], v[216:217]
	v_dual_mov_b32 v116, v224 :: v_dual_mov_b32 v117, v225
	v_add_f64 v[2:3], v[2:3], -v[216:217]
.LBB106_524:
	s_or_b32 exec_lo, exec_lo, s2
	v_lshl_add_u32 v216, v232, 4, v226
	s_barrier
	buffer_gl0_inv
	v_mov_b32_e32 v224, 25
	ds_store_2addr_b64 v216, v[112:113], v[114:115] offset1:1
	s_waitcnt lgkmcnt(0)
	s_barrier
	buffer_gl0_inv
	ds_load_2addr_b64 v[216:219], v226 offset0:50 offset1:51
	s_cmp_lt_i32 s5, 27
	s_cbranch_scc1 .LBB106_527
; %bb.525:
	v_add3_u32 v225, v230, 0, 0x1a0
	v_mov_b32_e32 v224, 25
	s_mov_b32 s6, 26
	s_set_inst_prefetch_distance 0x1
	.p2align	6
.LBB106_526:                            ; =>This Inner Loop Header: Depth=1
	ds_load_2addr_b64 v[233:236], v225 offset1:1
	s_waitcnt lgkmcnt(1)
	v_cmp_gt_f64_e32 vcc_lo, 0, v[216:217]
	v_xor_b32_e32 v220, 0x80000000, v217
	v_cmp_gt_f64_e64 s2, 0, v[218:219]
	v_xor_b32_e32 v222, 0x80000000, v219
	v_add_nc_u32_e32 v225, 16, v225
	s_waitcnt lgkmcnt(0)
	v_cmp_gt_f64_e64 s3, 0, v[233:234]
	v_mov_b32_e32 v237, v233
	v_mov_b32_e32 v239, v235
	v_cndmask_b32_e32 v221, v217, v220, vcc_lo
	v_xor_b32_e32 v220, 0x80000000, v234
	v_cndmask_b32_e64 v223, v219, v222, s2
	v_xor_b32_e32 v222, 0x80000000, v236
	s_delay_alu instid0(VALU_DEP_3) | instskip(SKIP_2) | instid1(VALU_DEP_2)
	v_cndmask_b32_e64 v238, v234, v220, s3
	v_cmp_gt_f64_e64 s3, 0, v[235:236]
	v_cndmask_b32_e32 v220, v216, v216, vcc_lo
	v_cndmask_b32_e64 v240, v236, v222, s3
	v_cndmask_b32_e64 v222, v218, v218, s2
	s_delay_alu instid0(VALU_DEP_2) | instskip(NEXT) | instid1(VALU_DEP_2)
	v_add_f64 v[237:238], v[237:238], v[239:240]
	v_add_f64 v[220:221], v[220:221], v[222:223]
	s_delay_alu instid0(VALU_DEP_1) | instskip(SKIP_4) | instid1(SALU_CYCLE_1)
	v_cmp_lt_f64_e32 vcc_lo, v[220:221], v[237:238]
	v_dual_cndmask_b32 v216, v216, v233 :: v_dual_cndmask_b32 v217, v217, v234
	v_dual_cndmask_b32 v219, v219, v236 :: v_dual_cndmask_b32 v218, v218, v235
	v_cndmask_b32_e64 v224, v224, s6, vcc_lo
	s_add_i32 s6, s6, 1
	s_cmp_lg_u32 s5, s6
	s_cbranch_scc1 .LBB106_526
.LBB106_527:
	s_set_inst_prefetch_distance 0x2
	s_waitcnt lgkmcnt(0)
	v_cmp_eq_f64_e32 vcc_lo, 0, v[216:217]
	v_cmp_eq_f64_e64 s2, 0, v[218:219]
	s_delay_alu instid0(VALU_DEP_1) | instskip(NEXT) | instid1(SALU_CYCLE_1)
	s_and_b32 s2, vcc_lo, s2
	s_and_saveexec_b32 s3, s2
	s_delay_alu instid0(SALU_CYCLE_1)
	s_xor_b32 s2, exec_lo, s3
; %bb.528:
	v_cmp_ne_u32_e32 vcc_lo, 0, v229
	v_cndmask_b32_e32 v229, 26, v229, vcc_lo
; %bb.529:
	s_and_not1_saveexec_b32 s3, s2
	s_cbranch_execz .LBB106_535
; %bb.530:
	v_cmp_gt_f64_e32 vcc_lo, 0, v[216:217]
	v_cmp_gt_f64_e64 s2, 0, v[218:219]
	v_xor_b32_e32 v220, 0x80000000, v217
	v_xor_b32_e32 v222, 0x80000000, v219
	s_delay_alu instid0(VALU_DEP_2) | instskip(NEXT) | instid1(VALU_DEP_2)
	v_cndmask_b32_e32 v221, v217, v220, vcc_lo
	v_cndmask_b32_e64 v223, v219, v222, s2
	v_cndmask_b32_e32 v220, v216, v216, vcc_lo
	v_cndmask_b32_e64 v222, v218, v218, s2
	s_mov_b32 s2, exec_lo
	s_delay_alu instid0(VALU_DEP_1)
	v_cmpx_ngt_f64_e32 v[220:221], v[222:223]
	s_xor_b32 s2, exec_lo, s2
	s_cbranch_execz .LBB106_532
; %bb.531:
	v_div_scale_f64 v[220:221], null, v[218:219], v[218:219], v[216:217]
	v_div_scale_f64 v[235:236], vcc_lo, v[216:217], v[218:219], v[216:217]
	s_delay_alu instid0(VALU_DEP_2) | instskip(SKIP_2) | instid1(VALU_DEP_1)
	v_rcp_f64_e32 v[222:223], v[220:221]
	s_waitcnt_depctr 0xfff
	v_fma_f64 v[233:234], -v[220:221], v[222:223], 1.0
	v_fma_f64 v[222:223], v[222:223], v[233:234], v[222:223]
	s_delay_alu instid0(VALU_DEP_1) | instskip(NEXT) | instid1(VALU_DEP_1)
	v_fma_f64 v[233:234], -v[220:221], v[222:223], 1.0
	v_fma_f64 v[222:223], v[222:223], v[233:234], v[222:223]
	s_delay_alu instid0(VALU_DEP_1) | instskip(NEXT) | instid1(VALU_DEP_1)
	v_mul_f64 v[233:234], v[235:236], v[222:223]
	v_fma_f64 v[220:221], -v[220:221], v[233:234], v[235:236]
	s_delay_alu instid0(VALU_DEP_1) | instskip(NEXT) | instid1(VALU_DEP_1)
	v_div_fmas_f64 v[220:221], v[220:221], v[222:223], v[233:234]
	v_div_fixup_f64 v[220:221], v[220:221], v[218:219], v[216:217]
	s_delay_alu instid0(VALU_DEP_1) | instskip(NEXT) | instid1(VALU_DEP_1)
	v_fma_f64 v[216:217], v[216:217], v[220:221], v[218:219]
	v_div_scale_f64 v[218:219], null, v[216:217], v[216:217], 1.0
	s_delay_alu instid0(VALU_DEP_1) | instskip(SKIP_2) | instid1(VALU_DEP_1)
	v_rcp_f64_e32 v[222:223], v[218:219]
	s_waitcnt_depctr 0xfff
	v_fma_f64 v[233:234], -v[218:219], v[222:223], 1.0
	v_fma_f64 v[222:223], v[222:223], v[233:234], v[222:223]
	s_delay_alu instid0(VALU_DEP_1) | instskip(NEXT) | instid1(VALU_DEP_1)
	v_fma_f64 v[233:234], -v[218:219], v[222:223], 1.0
	v_fma_f64 v[222:223], v[222:223], v[233:234], v[222:223]
	v_div_scale_f64 v[233:234], vcc_lo, 1.0, v[216:217], 1.0
	s_delay_alu instid0(VALU_DEP_1) | instskip(NEXT) | instid1(VALU_DEP_1)
	v_mul_f64 v[235:236], v[233:234], v[222:223]
	v_fma_f64 v[218:219], -v[218:219], v[235:236], v[233:234]
	s_delay_alu instid0(VALU_DEP_1) | instskip(NEXT) | instid1(VALU_DEP_1)
	v_div_fmas_f64 v[218:219], v[218:219], v[222:223], v[235:236]
	v_div_fixup_f64 v[218:219], v[218:219], v[216:217], 1.0
	s_delay_alu instid0(VALU_DEP_1)
	v_mul_f64 v[216:217], v[220:221], v[218:219]
	v_xor_b32_e32 v219, 0x80000000, v219
.LBB106_532:
	s_and_not1_saveexec_b32 s2, s2
	s_cbranch_execz .LBB106_534
; %bb.533:
	s_delay_alu instid0(VALU_DEP_1) | instskip(SKIP_1) | instid1(VALU_DEP_2)
	v_div_scale_f64 v[220:221], null, v[216:217], v[216:217], v[218:219]
	v_div_scale_f64 v[235:236], vcc_lo, v[218:219], v[216:217], v[218:219]
	v_rcp_f64_e32 v[222:223], v[220:221]
	s_waitcnt_depctr 0xfff
	v_fma_f64 v[233:234], -v[220:221], v[222:223], 1.0
	s_delay_alu instid0(VALU_DEP_1) | instskip(NEXT) | instid1(VALU_DEP_1)
	v_fma_f64 v[222:223], v[222:223], v[233:234], v[222:223]
	v_fma_f64 v[233:234], -v[220:221], v[222:223], 1.0
	s_delay_alu instid0(VALU_DEP_1) | instskip(NEXT) | instid1(VALU_DEP_1)
	v_fma_f64 v[222:223], v[222:223], v[233:234], v[222:223]
	v_mul_f64 v[233:234], v[235:236], v[222:223]
	s_delay_alu instid0(VALU_DEP_1) | instskip(NEXT) | instid1(VALU_DEP_1)
	v_fma_f64 v[220:221], -v[220:221], v[233:234], v[235:236]
	v_div_fmas_f64 v[220:221], v[220:221], v[222:223], v[233:234]
	s_delay_alu instid0(VALU_DEP_1) | instskip(NEXT) | instid1(VALU_DEP_1)
	v_div_fixup_f64 v[220:221], v[220:221], v[216:217], v[218:219]
	v_fma_f64 v[216:217], v[218:219], v[220:221], v[216:217]
	s_delay_alu instid0(VALU_DEP_1) | instskip(NEXT) | instid1(VALU_DEP_1)
	v_div_scale_f64 v[218:219], null, v[216:217], v[216:217], 1.0
	v_rcp_f64_e32 v[222:223], v[218:219]
	s_waitcnt_depctr 0xfff
	v_fma_f64 v[233:234], -v[218:219], v[222:223], 1.0
	s_delay_alu instid0(VALU_DEP_1) | instskip(NEXT) | instid1(VALU_DEP_1)
	v_fma_f64 v[222:223], v[222:223], v[233:234], v[222:223]
	v_fma_f64 v[233:234], -v[218:219], v[222:223], 1.0
	s_delay_alu instid0(VALU_DEP_1) | instskip(SKIP_1) | instid1(VALU_DEP_1)
	v_fma_f64 v[222:223], v[222:223], v[233:234], v[222:223]
	v_div_scale_f64 v[233:234], vcc_lo, 1.0, v[216:217], 1.0
	v_mul_f64 v[235:236], v[233:234], v[222:223]
	s_delay_alu instid0(VALU_DEP_1) | instskip(NEXT) | instid1(VALU_DEP_1)
	v_fma_f64 v[218:219], -v[218:219], v[235:236], v[233:234]
	v_div_fmas_f64 v[218:219], v[218:219], v[222:223], v[235:236]
	s_delay_alu instid0(VALU_DEP_1) | instskip(NEXT) | instid1(VALU_DEP_1)
	v_div_fixup_f64 v[216:217], v[218:219], v[216:217], 1.0
	v_mul_f64 v[218:219], v[220:221], -v[216:217]
.LBB106_534:
	s_or_b32 exec_lo, exec_lo, s2
.LBB106_535:
	s_delay_alu instid0(SALU_CYCLE_1) | instskip(NEXT) | instid1(SALU_CYCLE_1)
	s_or_b32 exec_lo, exec_lo, s3
	s_mov_b32 s2, exec_lo
	v_cmpx_ne_u32_e64 v232, v224
	s_xor_b32 s2, exec_lo, s2
	s_cbranch_execz .LBB106_541
; %bb.536:
	s_mov_b32 s3, exec_lo
	v_cmpx_eq_u32_e32 25, v232
	s_cbranch_execz .LBB106_540
; %bb.537:
	v_cmp_ne_u32_e32 vcc_lo, 25, v224
	s_xor_b32 s6, s4, -1
	s_delay_alu instid0(SALU_CYCLE_1) | instskip(NEXT) | instid1(SALU_CYCLE_1)
	s_and_b32 s7, s6, vcc_lo
	s_and_saveexec_b32 s6, s7
	s_cbranch_execz .LBB106_539
; %bb.538:
	v_ashrrev_i32_e32 v225, 31, v224
	s_delay_alu instid0(VALU_DEP_1) | instskip(NEXT) | instid1(VALU_DEP_1)
	v_lshlrev_b64 v[220:221], 2, v[224:225]
	v_add_co_u32 v220, vcc_lo, v214, v220
	s_delay_alu instid0(VALU_DEP_2)
	v_add_co_ci_u32_e32 v221, vcc_lo, v215, v221, vcc_lo
	s_clause 0x1
	flat_load_b32 v222, v[220:221]
	flat_load_b32 v223, v[214:215] offset:100
	s_waitcnt vmcnt(1) lgkmcnt(1)
	flat_store_b32 v[214:215], v222 offset:100
	s_waitcnt vmcnt(0) lgkmcnt(1)
	flat_store_b32 v[220:221], v223
.LBB106_539:
	s_or_b32 exec_lo, exec_lo, s6
	v_mov_b32_e32 v232, v224
	v_mov_b32_e32 v231, v224
.LBB106_540:
	s_or_b32 exec_lo, exec_lo, s3
.LBB106_541:
	s_and_not1_saveexec_b32 s2, s2
	s_cbranch_execz .LBB106_543
; %bb.542:
	v_mov_b32_e32 v232, 25
	ds_store_2addr_b64 v226, v[108:109], v[110:111] offset0:52 offset1:53
	ds_store_2addr_b64 v226, v[104:105], v[106:107] offset0:54 offset1:55
	;; [unrolled: 1-line block ×28, first 2 shown]
.LBB106_543:
	s_or_b32 exec_lo, exec_lo, s2
	s_delay_alu instid0(SALU_CYCLE_1)
	s_mov_b32 s2, exec_lo
	s_waitcnt lgkmcnt(0)
	s_waitcnt_vscnt null, 0x0
	s_barrier
	buffer_gl0_inv
	v_cmpx_lt_i32_e32 25, v232
	s_cbranch_execz .LBB106_545
; %bb.544:
	v_mul_f64 v[220:221], v[218:219], v[114:115]
	v_mul_f64 v[114:115], v[216:217], v[114:115]
	s_delay_alu instid0(VALU_DEP_2) | instskip(NEXT) | instid1(VALU_DEP_2)
	v_fma_f64 v[224:225], v[216:217], v[112:113], -v[220:221]
	v_fma_f64 v[114:115], v[218:219], v[112:113], v[114:115]
	ds_load_2addr_b64 v[216:219], v226 offset0:52 offset1:53
	s_waitcnt lgkmcnt(0)
	v_mul_f64 v[112:113], v[218:219], v[114:115]
	s_delay_alu instid0(VALU_DEP_1) | instskip(SKIP_1) | instid1(VALU_DEP_2)
	v_fma_f64 v[112:113], v[216:217], v[224:225], -v[112:113]
	v_mul_f64 v[216:217], v[216:217], v[114:115]
	v_add_f64 v[108:109], v[108:109], -v[112:113]
	s_delay_alu instid0(VALU_DEP_2) | instskip(NEXT) | instid1(VALU_DEP_1)
	v_fma_f64 v[216:217], v[218:219], v[224:225], v[216:217]
	v_add_f64 v[110:111], v[110:111], -v[216:217]
	ds_load_2addr_b64 v[216:219], v226 offset0:54 offset1:55
	s_waitcnt lgkmcnt(0)
	v_mul_f64 v[112:113], v[218:219], v[114:115]
	s_delay_alu instid0(VALU_DEP_1) | instskip(SKIP_1) | instid1(VALU_DEP_2)
	v_fma_f64 v[112:113], v[216:217], v[224:225], -v[112:113]
	v_mul_f64 v[216:217], v[216:217], v[114:115]
	v_add_f64 v[104:105], v[104:105], -v[112:113]
	s_delay_alu instid0(VALU_DEP_2) | instskip(NEXT) | instid1(VALU_DEP_1)
	v_fma_f64 v[216:217], v[218:219], v[224:225], v[216:217]
	v_add_f64 v[106:107], v[106:107], -v[216:217]
	ds_load_2addr_b64 v[216:219], v226 offset0:56 offset1:57
	s_waitcnt lgkmcnt(0)
	v_mul_f64 v[112:113], v[218:219], v[114:115]
	s_delay_alu instid0(VALU_DEP_1) | instskip(SKIP_1) | instid1(VALU_DEP_2)
	v_fma_f64 v[112:113], v[216:217], v[224:225], -v[112:113]
	v_mul_f64 v[216:217], v[216:217], v[114:115]
	v_add_f64 v[100:101], v[100:101], -v[112:113]
	s_delay_alu instid0(VALU_DEP_2) | instskip(NEXT) | instid1(VALU_DEP_1)
	v_fma_f64 v[216:217], v[218:219], v[224:225], v[216:217]
	v_add_f64 v[102:103], v[102:103], -v[216:217]
	ds_load_2addr_b64 v[216:219], v226 offset0:58 offset1:59
	s_waitcnt lgkmcnt(0)
	v_mul_f64 v[112:113], v[218:219], v[114:115]
	s_delay_alu instid0(VALU_DEP_1) | instskip(SKIP_1) | instid1(VALU_DEP_2)
	v_fma_f64 v[112:113], v[216:217], v[224:225], -v[112:113]
	v_mul_f64 v[216:217], v[216:217], v[114:115]
	v_add_f64 v[96:97], v[96:97], -v[112:113]
	s_delay_alu instid0(VALU_DEP_2) | instskip(NEXT) | instid1(VALU_DEP_1)
	v_fma_f64 v[216:217], v[218:219], v[224:225], v[216:217]
	v_add_f64 v[98:99], v[98:99], -v[216:217]
	ds_load_2addr_b64 v[216:219], v226 offset0:60 offset1:61
	s_waitcnt lgkmcnt(0)
	v_mul_f64 v[112:113], v[218:219], v[114:115]
	s_delay_alu instid0(VALU_DEP_1) | instskip(SKIP_1) | instid1(VALU_DEP_2)
	v_fma_f64 v[112:113], v[216:217], v[224:225], -v[112:113]
	v_mul_f64 v[216:217], v[216:217], v[114:115]
	v_add_f64 v[92:93], v[92:93], -v[112:113]
	s_delay_alu instid0(VALU_DEP_2) | instskip(NEXT) | instid1(VALU_DEP_1)
	v_fma_f64 v[216:217], v[218:219], v[224:225], v[216:217]
	v_add_f64 v[94:95], v[94:95], -v[216:217]
	ds_load_2addr_b64 v[216:219], v226 offset0:62 offset1:63
	s_waitcnt lgkmcnt(0)
	v_mul_f64 v[112:113], v[218:219], v[114:115]
	s_delay_alu instid0(VALU_DEP_1) | instskip(SKIP_1) | instid1(VALU_DEP_2)
	v_fma_f64 v[112:113], v[216:217], v[224:225], -v[112:113]
	v_mul_f64 v[216:217], v[216:217], v[114:115]
	v_add_f64 v[88:89], v[88:89], -v[112:113]
	s_delay_alu instid0(VALU_DEP_2) | instskip(NEXT) | instid1(VALU_DEP_1)
	v_fma_f64 v[216:217], v[218:219], v[224:225], v[216:217]
	v_add_f64 v[90:91], v[90:91], -v[216:217]
	ds_load_2addr_b64 v[216:219], v226 offset0:64 offset1:65
	s_waitcnt lgkmcnt(0)
	v_mul_f64 v[112:113], v[218:219], v[114:115]
	s_delay_alu instid0(VALU_DEP_1) | instskip(SKIP_1) | instid1(VALU_DEP_2)
	v_fma_f64 v[112:113], v[216:217], v[224:225], -v[112:113]
	v_mul_f64 v[216:217], v[216:217], v[114:115]
	v_add_f64 v[84:85], v[84:85], -v[112:113]
	s_delay_alu instid0(VALU_DEP_2) | instskip(NEXT) | instid1(VALU_DEP_1)
	v_fma_f64 v[216:217], v[218:219], v[224:225], v[216:217]
	v_add_f64 v[86:87], v[86:87], -v[216:217]
	ds_load_2addr_b64 v[216:219], v226 offset0:66 offset1:67
	s_waitcnt lgkmcnt(0)
	v_mul_f64 v[112:113], v[218:219], v[114:115]
	s_delay_alu instid0(VALU_DEP_1) | instskip(SKIP_1) | instid1(VALU_DEP_2)
	v_fma_f64 v[112:113], v[216:217], v[224:225], -v[112:113]
	v_mul_f64 v[216:217], v[216:217], v[114:115]
	v_add_f64 v[80:81], v[80:81], -v[112:113]
	s_delay_alu instid0(VALU_DEP_2) | instskip(NEXT) | instid1(VALU_DEP_1)
	v_fma_f64 v[216:217], v[218:219], v[224:225], v[216:217]
	v_add_f64 v[82:83], v[82:83], -v[216:217]
	ds_load_2addr_b64 v[216:219], v226 offset0:68 offset1:69
	s_waitcnt lgkmcnt(0)
	v_mul_f64 v[112:113], v[218:219], v[114:115]
	s_delay_alu instid0(VALU_DEP_1) | instskip(SKIP_1) | instid1(VALU_DEP_2)
	v_fma_f64 v[112:113], v[216:217], v[224:225], -v[112:113]
	v_mul_f64 v[216:217], v[216:217], v[114:115]
	v_add_f64 v[76:77], v[76:77], -v[112:113]
	s_delay_alu instid0(VALU_DEP_2) | instskip(NEXT) | instid1(VALU_DEP_1)
	v_fma_f64 v[216:217], v[218:219], v[224:225], v[216:217]
	v_add_f64 v[78:79], v[78:79], -v[216:217]
	ds_load_2addr_b64 v[216:219], v226 offset0:70 offset1:71
	s_waitcnt lgkmcnt(0)
	v_mul_f64 v[112:113], v[218:219], v[114:115]
	s_delay_alu instid0(VALU_DEP_1) | instskip(SKIP_1) | instid1(VALU_DEP_2)
	v_fma_f64 v[112:113], v[216:217], v[224:225], -v[112:113]
	v_mul_f64 v[216:217], v[216:217], v[114:115]
	v_add_f64 v[72:73], v[72:73], -v[112:113]
	s_delay_alu instid0(VALU_DEP_2) | instskip(NEXT) | instid1(VALU_DEP_1)
	v_fma_f64 v[216:217], v[218:219], v[224:225], v[216:217]
	v_add_f64 v[74:75], v[74:75], -v[216:217]
	ds_load_2addr_b64 v[216:219], v226 offset0:72 offset1:73
	s_waitcnt lgkmcnt(0)
	v_mul_f64 v[112:113], v[218:219], v[114:115]
	s_delay_alu instid0(VALU_DEP_1) | instskip(SKIP_1) | instid1(VALU_DEP_2)
	v_fma_f64 v[112:113], v[216:217], v[224:225], -v[112:113]
	v_mul_f64 v[216:217], v[216:217], v[114:115]
	v_add_f64 v[68:69], v[68:69], -v[112:113]
	s_delay_alu instid0(VALU_DEP_2) | instskip(NEXT) | instid1(VALU_DEP_1)
	v_fma_f64 v[216:217], v[218:219], v[224:225], v[216:217]
	v_add_f64 v[70:71], v[70:71], -v[216:217]
	ds_load_2addr_b64 v[216:219], v226 offset0:74 offset1:75
	s_waitcnt lgkmcnt(0)
	v_mul_f64 v[112:113], v[218:219], v[114:115]
	s_delay_alu instid0(VALU_DEP_1) | instskip(SKIP_1) | instid1(VALU_DEP_2)
	v_fma_f64 v[112:113], v[216:217], v[224:225], -v[112:113]
	v_mul_f64 v[216:217], v[216:217], v[114:115]
	v_add_f64 v[64:65], v[64:65], -v[112:113]
	s_delay_alu instid0(VALU_DEP_2) | instskip(NEXT) | instid1(VALU_DEP_1)
	v_fma_f64 v[216:217], v[218:219], v[224:225], v[216:217]
	v_add_f64 v[66:67], v[66:67], -v[216:217]
	ds_load_2addr_b64 v[216:219], v226 offset0:76 offset1:77
	s_waitcnt lgkmcnt(0)
	v_mul_f64 v[112:113], v[218:219], v[114:115]
	s_delay_alu instid0(VALU_DEP_1) | instskip(SKIP_1) | instid1(VALU_DEP_2)
	v_fma_f64 v[112:113], v[216:217], v[224:225], -v[112:113]
	v_mul_f64 v[216:217], v[216:217], v[114:115]
	v_add_f64 v[60:61], v[60:61], -v[112:113]
	s_delay_alu instid0(VALU_DEP_2) | instskip(NEXT) | instid1(VALU_DEP_1)
	v_fma_f64 v[216:217], v[218:219], v[224:225], v[216:217]
	v_add_f64 v[62:63], v[62:63], -v[216:217]
	ds_load_2addr_b64 v[216:219], v226 offset0:78 offset1:79
	s_waitcnt lgkmcnt(0)
	v_mul_f64 v[112:113], v[218:219], v[114:115]
	s_delay_alu instid0(VALU_DEP_1) | instskip(SKIP_1) | instid1(VALU_DEP_2)
	v_fma_f64 v[112:113], v[216:217], v[224:225], -v[112:113]
	v_mul_f64 v[216:217], v[216:217], v[114:115]
	v_add_f64 v[56:57], v[56:57], -v[112:113]
	s_delay_alu instid0(VALU_DEP_2) | instskip(NEXT) | instid1(VALU_DEP_1)
	v_fma_f64 v[216:217], v[218:219], v[224:225], v[216:217]
	v_add_f64 v[58:59], v[58:59], -v[216:217]
	ds_load_2addr_b64 v[216:219], v226 offset0:80 offset1:81
	s_waitcnt lgkmcnt(0)
	v_mul_f64 v[112:113], v[218:219], v[114:115]
	s_delay_alu instid0(VALU_DEP_1) | instskip(SKIP_1) | instid1(VALU_DEP_2)
	v_fma_f64 v[112:113], v[216:217], v[224:225], -v[112:113]
	v_mul_f64 v[216:217], v[216:217], v[114:115]
	v_add_f64 v[52:53], v[52:53], -v[112:113]
	s_delay_alu instid0(VALU_DEP_2) | instskip(NEXT) | instid1(VALU_DEP_1)
	v_fma_f64 v[216:217], v[218:219], v[224:225], v[216:217]
	v_add_f64 v[54:55], v[54:55], -v[216:217]
	ds_load_2addr_b64 v[216:219], v226 offset0:82 offset1:83
	s_waitcnt lgkmcnt(0)
	v_mul_f64 v[112:113], v[218:219], v[114:115]
	s_delay_alu instid0(VALU_DEP_1) | instskip(SKIP_1) | instid1(VALU_DEP_2)
	v_fma_f64 v[112:113], v[216:217], v[224:225], -v[112:113]
	v_mul_f64 v[216:217], v[216:217], v[114:115]
	v_add_f64 v[48:49], v[48:49], -v[112:113]
	s_delay_alu instid0(VALU_DEP_2) | instskip(NEXT) | instid1(VALU_DEP_1)
	v_fma_f64 v[216:217], v[218:219], v[224:225], v[216:217]
	v_add_f64 v[50:51], v[50:51], -v[216:217]
	ds_load_2addr_b64 v[216:219], v226 offset0:84 offset1:85
	s_waitcnt lgkmcnt(0)
	v_mul_f64 v[112:113], v[218:219], v[114:115]
	s_delay_alu instid0(VALU_DEP_1) | instskip(SKIP_1) | instid1(VALU_DEP_2)
	v_fma_f64 v[112:113], v[216:217], v[224:225], -v[112:113]
	v_mul_f64 v[216:217], v[216:217], v[114:115]
	v_add_f64 v[44:45], v[44:45], -v[112:113]
	s_delay_alu instid0(VALU_DEP_2) | instskip(NEXT) | instid1(VALU_DEP_1)
	v_fma_f64 v[216:217], v[218:219], v[224:225], v[216:217]
	v_add_f64 v[46:47], v[46:47], -v[216:217]
	ds_load_2addr_b64 v[216:219], v226 offset0:86 offset1:87
	s_waitcnt lgkmcnt(0)
	v_mul_f64 v[112:113], v[218:219], v[114:115]
	s_delay_alu instid0(VALU_DEP_1) | instskip(SKIP_1) | instid1(VALU_DEP_2)
	v_fma_f64 v[112:113], v[216:217], v[224:225], -v[112:113]
	v_mul_f64 v[216:217], v[216:217], v[114:115]
	v_add_f64 v[40:41], v[40:41], -v[112:113]
	s_delay_alu instid0(VALU_DEP_2) | instskip(NEXT) | instid1(VALU_DEP_1)
	v_fma_f64 v[216:217], v[218:219], v[224:225], v[216:217]
	v_add_f64 v[42:43], v[42:43], -v[216:217]
	ds_load_2addr_b64 v[216:219], v226 offset0:88 offset1:89
	s_waitcnt lgkmcnt(0)
	v_mul_f64 v[112:113], v[218:219], v[114:115]
	s_delay_alu instid0(VALU_DEP_1) | instskip(SKIP_1) | instid1(VALU_DEP_2)
	v_fma_f64 v[112:113], v[216:217], v[224:225], -v[112:113]
	v_mul_f64 v[216:217], v[216:217], v[114:115]
	v_add_f64 v[36:37], v[36:37], -v[112:113]
	s_delay_alu instid0(VALU_DEP_2) | instskip(NEXT) | instid1(VALU_DEP_1)
	v_fma_f64 v[216:217], v[218:219], v[224:225], v[216:217]
	v_add_f64 v[38:39], v[38:39], -v[216:217]
	ds_load_2addr_b64 v[216:219], v226 offset0:90 offset1:91
	s_waitcnt lgkmcnt(0)
	v_mul_f64 v[112:113], v[218:219], v[114:115]
	s_delay_alu instid0(VALU_DEP_1) | instskip(SKIP_1) | instid1(VALU_DEP_2)
	v_fma_f64 v[112:113], v[216:217], v[224:225], -v[112:113]
	v_mul_f64 v[216:217], v[216:217], v[114:115]
	v_add_f64 v[32:33], v[32:33], -v[112:113]
	s_delay_alu instid0(VALU_DEP_2) | instskip(NEXT) | instid1(VALU_DEP_1)
	v_fma_f64 v[216:217], v[218:219], v[224:225], v[216:217]
	v_add_f64 v[34:35], v[34:35], -v[216:217]
	ds_load_2addr_b64 v[216:219], v226 offset0:92 offset1:93
	s_waitcnt lgkmcnt(0)
	v_mul_f64 v[112:113], v[218:219], v[114:115]
	s_delay_alu instid0(VALU_DEP_1) | instskip(SKIP_1) | instid1(VALU_DEP_2)
	v_fma_f64 v[112:113], v[216:217], v[224:225], -v[112:113]
	v_mul_f64 v[216:217], v[216:217], v[114:115]
	v_add_f64 v[28:29], v[28:29], -v[112:113]
	s_delay_alu instid0(VALU_DEP_2) | instskip(NEXT) | instid1(VALU_DEP_1)
	v_fma_f64 v[216:217], v[218:219], v[224:225], v[216:217]
	v_add_f64 v[30:31], v[30:31], -v[216:217]
	ds_load_2addr_b64 v[216:219], v226 offset0:94 offset1:95
	s_waitcnt lgkmcnt(0)
	v_mul_f64 v[112:113], v[218:219], v[114:115]
	s_delay_alu instid0(VALU_DEP_1) | instskip(SKIP_1) | instid1(VALU_DEP_2)
	v_fma_f64 v[112:113], v[216:217], v[224:225], -v[112:113]
	v_mul_f64 v[216:217], v[216:217], v[114:115]
	v_add_f64 v[24:25], v[24:25], -v[112:113]
	s_delay_alu instid0(VALU_DEP_2) | instskip(NEXT) | instid1(VALU_DEP_1)
	v_fma_f64 v[216:217], v[218:219], v[224:225], v[216:217]
	v_add_f64 v[26:27], v[26:27], -v[216:217]
	ds_load_2addr_b64 v[216:219], v226 offset0:96 offset1:97
	s_waitcnt lgkmcnt(0)
	v_mul_f64 v[112:113], v[218:219], v[114:115]
	s_delay_alu instid0(VALU_DEP_1) | instskip(SKIP_1) | instid1(VALU_DEP_2)
	v_fma_f64 v[112:113], v[216:217], v[224:225], -v[112:113]
	v_mul_f64 v[216:217], v[216:217], v[114:115]
	v_add_f64 v[20:21], v[20:21], -v[112:113]
	s_delay_alu instid0(VALU_DEP_2) | instskip(NEXT) | instid1(VALU_DEP_1)
	v_fma_f64 v[216:217], v[218:219], v[224:225], v[216:217]
	v_add_f64 v[22:23], v[22:23], -v[216:217]
	ds_load_2addr_b64 v[216:219], v226 offset0:98 offset1:99
	s_waitcnt lgkmcnt(0)
	v_mul_f64 v[112:113], v[218:219], v[114:115]
	s_delay_alu instid0(VALU_DEP_1) | instskip(SKIP_1) | instid1(VALU_DEP_2)
	v_fma_f64 v[112:113], v[216:217], v[224:225], -v[112:113]
	v_mul_f64 v[216:217], v[216:217], v[114:115]
	v_add_f64 v[16:17], v[16:17], -v[112:113]
	s_delay_alu instid0(VALU_DEP_2) | instskip(NEXT) | instid1(VALU_DEP_1)
	v_fma_f64 v[216:217], v[218:219], v[224:225], v[216:217]
	v_add_f64 v[18:19], v[18:19], -v[216:217]
	ds_load_2addr_b64 v[216:219], v226 offset0:100 offset1:101
	s_waitcnt lgkmcnt(0)
	v_mul_f64 v[112:113], v[218:219], v[114:115]
	s_delay_alu instid0(VALU_DEP_1) | instskip(SKIP_1) | instid1(VALU_DEP_2)
	v_fma_f64 v[112:113], v[216:217], v[224:225], -v[112:113]
	v_mul_f64 v[216:217], v[216:217], v[114:115]
	v_add_f64 v[12:13], v[12:13], -v[112:113]
	s_delay_alu instid0(VALU_DEP_2) | instskip(NEXT) | instid1(VALU_DEP_1)
	v_fma_f64 v[216:217], v[218:219], v[224:225], v[216:217]
	v_add_f64 v[14:15], v[14:15], -v[216:217]
	ds_load_2addr_b64 v[216:219], v226 offset0:102 offset1:103
	s_waitcnt lgkmcnt(0)
	v_mul_f64 v[112:113], v[218:219], v[114:115]
	s_delay_alu instid0(VALU_DEP_1) | instskip(SKIP_1) | instid1(VALU_DEP_2)
	v_fma_f64 v[112:113], v[216:217], v[224:225], -v[112:113]
	v_mul_f64 v[216:217], v[216:217], v[114:115]
	v_add_f64 v[251:252], v[251:252], -v[112:113]
	s_delay_alu instid0(VALU_DEP_2) | instskip(NEXT) | instid1(VALU_DEP_1)
	v_fma_f64 v[216:217], v[218:219], v[224:225], v[216:217]
	v_add_f64 v[253:254], v[253:254], -v[216:217]
	ds_load_2addr_b64 v[216:219], v226 offset0:104 offset1:105
	s_waitcnt lgkmcnt(0)
	v_mul_f64 v[112:113], v[218:219], v[114:115]
	s_delay_alu instid0(VALU_DEP_1) | instskip(SKIP_1) | instid1(VALU_DEP_2)
	v_fma_f64 v[112:113], v[216:217], v[224:225], -v[112:113]
	v_mul_f64 v[216:217], v[216:217], v[114:115]
	v_add_f64 v[247:248], v[247:248], -v[112:113]
	s_delay_alu instid0(VALU_DEP_2) | instskip(NEXT) | instid1(VALU_DEP_1)
	v_fma_f64 v[216:217], v[218:219], v[224:225], v[216:217]
	v_add_f64 v[249:250], v[249:250], -v[216:217]
	ds_load_2addr_b64 v[216:219], v226 offset0:106 offset1:107
	s_waitcnt lgkmcnt(0)
	v_mul_f64 v[112:113], v[218:219], v[114:115]
	s_delay_alu instid0(VALU_DEP_1) | instskip(SKIP_1) | instid1(VALU_DEP_2)
	v_fma_f64 v[112:113], v[216:217], v[224:225], -v[112:113]
	v_mul_f64 v[216:217], v[216:217], v[114:115]
	v_add_f64 v[0:1], v[0:1], -v[112:113]
	s_delay_alu instid0(VALU_DEP_2) | instskip(SKIP_1) | instid1(VALU_DEP_2)
	v_fma_f64 v[216:217], v[218:219], v[224:225], v[216:217]
	v_dual_mov_b32 v112, v224 :: v_dual_mov_b32 v113, v225
	v_add_f64 v[2:3], v[2:3], -v[216:217]
.LBB106_545:
	s_or_b32 exec_lo, exec_lo, s2
	v_lshl_add_u32 v216, v232, 4, v226
	s_barrier
	buffer_gl0_inv
	v_mov_b32_e32 v224, 26
	ds_store_2addr_b64 v216, v[108:109], v[110:111] offset1:1
	s_waitcnt lgkmcnt(0)
	s_barrier
	buffer_gl0_inv
	ds_load_2addr_b64 v[216:219], v226 offset0:52 offset1:53
	s_cmp_lt_i32 s5, 28
	s_cbranch_scc1 .LBB106_548
; %bb.546:
	v_add3_u32 v225, v230, 0, 0x1b0
	v_mov_b32_e32 v224, 26
	s_mov_b32 s6, 27
	s_set_inst_prefetch_distance 0x1
	.p2align	6
.LBB106_547:                            ; =>This Inner Loop Header: Depth=1
	ds_load_2addr_b64 v[233:236], v225 offset1:1
	s_waitcnt lgkmcnt(1)
	v_cmp_gt_f64_e32 vcc_lo, 0, v[216:217]
	v_xor_b32_e32 v220, 0x80000000, v217
	v_cmp_gt_f64_e64 s2, 0, v[218:219]
	v_xor_b32_e32 v222, 0x80000000, v219
	v_add_nc_u32_e32 v225, 16, v225
	s_waitcnt lgkmcnt(0)
	v_cmp_gt_f64_e64 s3, 0, v[233:234]
	v_mov_b32_e32 v237, v233
	v_mov_b32_e32 v239, v235
	v_cndmask_b32_e32 v221, v217, v220, vcc_lo
	v_xor_b32_e32 v220, 0x80000000, v234
	v_cndmask_b32_e64 v223, v219, v222, s2
	v_xor_b32_e32 v222, 0x80000000, v236
	s_delay_alu instid0(VALU_DEP_3) | instskip(SKIP_2) | instid1(VALU_DEP_2)
	v_cndmask_b32_e64 v238, v234, v220, s3
	v_cmp_gt_f64_e64 s3, 0, v[235:236]
	v_cndmask_b32_e32 v220, v216, v216, vcc_lo
	v_cndmask_b32_e64 v240, v236, v222, s3
	v_cndmask_b32_e64 v222, v218, v218, s2
	s_delay_alu instid0(VALU_DEP_2) | instskip(NEXT) | instid1(VALU_DEP_2)
	v_add_f64 v[237:238], v[237:238], v[239:240]
	v_add_f64 v[220:221], v[220:221], v[222:223]
	s_delay_alu instid0(VALU_DEP_1) | instskip(SKIP_4) | instid1(SALU_CYCLE_1)
	v_cmp_lt_f64_e32 vcc_lo, v[220:221], v[237:238]
	v_dual_cndmask_b32 v216, v216, v233 :: v_dual_cndmask_b32 v217, v217, v234
	v_dual_cndmask_b32 v219, v219, v236 :: v_dual_cndmask_b32 v218, v218, v235
	v_cndmask_b32_e64 v224, v224, s6, vcc_lo
	s_add_i32 s6, s6, 1
	s_cmp_lg_u32 s5, s6
	s_cbranch_scc1 .LBB106_547
.LBB106_548:
	s_set_inst_prefetch_distance 0x2
	s_waitcnt lgkmcnt(0)
	v_cmp_eq_f64_e32 vcc_lo, 0, v[216:217]
	v_cmp_eq_f64_e64 s2, 0, v[218:219]
	s_delay_alu instid0(VALU_DEP_1) | instskip(NEXT) | instid1(SALU_CYCLE_1)
	s_and_b32 s2, vcc_lo, s2
	s_and_saveexec_b32 s3, s2
	s_delay_alu instid0(SALU_CYCLE_1)
	s_xor_b32 s2, exec_lo, s3
; %bb.549:
	v_cmp_ne_u32_e32 vcc_lo, 0, v229
	v_cndmask_b32_e32 v229, 27, v229, vcc_lo
; %bb.550:
	s_and_not1_saveexec_b32 s3, s2
	s_cbranch_execz .LBB106_556
; %bb.551:
	v_cmp_gt_f64_e32 vcc_lo, 0, v[216:217]
	v_cmp_gt_f64_e64 s2, 0, v[218:219]
	v_xor_b32_e32 v220, 0x80000000, v217
	v_xor_b32_e32 v222, 0x80000000, v219
	s_delay_alu instid0(VALU_DEP_2) | instskip(NEXT) | instid1(VALU_DEP_2)
	v_cndmask_b32_e32 v221, v217, v220, vcc_lo
	v_cndmask_b32_e64 v223, v219, v222, s2
	v_cndmask_b32_e32 v220, v216, v216, vcc_lo
	v_cndmask_b32_e64 v222, v218, v218, s2
	s_mov_b32 s2, exec_lo
	s_delay_alu instid0(VALU_DEP_1)
	v_cmpx_ngt_f64_e32 v[220:221], v[222:223]
	s_xor_b32 s2, exec_lo, s2
	s_cbranch_execz .LBB106_553
; %bb.552:
	v_div_scale_f64 v[220:221], null, v[218:219], v[218:219], v[216:217]
	v_div_scale_f64 v[235:236], vcc_lo, v[216:217], v[218:219], v[216:217]
	s_delay_alu instid0(VALU_DEP_2) | instskip(SKIP_2) | instid1(VALU_DEP_1)
	v_rcp_f64_e32 v[222:223], v[220:221]
	s_waitcnt_depctr 0xfff
	v_fma_f64 v[233:234], -v[220:221], v[222:223], 1.0
	v_fma_f64 v[222:223], v[222:223], v[233:234], v[222:223]
	s_delay_alu instid0(VALU_DEP_1) | instskip(NEXT) | instid1(VALU_DEP_1)
	v_fma_f64 v[233:234], -v[220:221], v[222:223], 1.0
	v_fma_f64 v[222:223], v[222:223], v[233:234], v[222:223]
	s_delay_alu instid0(VALU_DEP_1) | instskip(NEXT) | instid1(VALU_DEP_1)
	v_mul_f64 v[233:234], v[235:236], v[222:223]
	v_fma_f64 v[220:221], -v[220:221], v[233:234], v[235:236]
	s_delay_alu instid0(VALU_DEP_1) | instskip(NEXT) | instid1(VALU_DEP_1)
	v_div_fmas_f64 v[220:221], v[220:221], v[222:223], v[233:234]
	v_div_fixup_f64 v[220:221], v[220:221], v[218:219], v[216:217]
	s_delay_alu instid0(VALU_DEP_1) | instskip(NEXT) | instid1(VALU_DEP_1)
	v_fma_f64 v[216:217], v[216:217], v[220:221], v[218:219]
	v_div_scale_f64 v[218:219], null, v[216:217], v[216:217], 1.0
	s_delay_alu instid0(VALU_DEP_1) | instskip(SKIP_2) | instid1(VALU_DEP_1)
	v_rcp_f64_e32 v[222:223], v[218:219]
	s_waitcnt_depctr 0xfff
	v_fma_f64 v[233:234], -v[218:219], v[222:223], 1.0
	v_fma_f64 v[222:223], v[222:223], v[233:234], v[222:223]
	s_delay_alu instid0(VALU_DEP_1) | instskip(NEXT) | instid1(VALU_DEP_1)
	v_fma_f64 v[233:234], -v[218:219], v[222:223], 1.0
	v_fma_f64 v[222:223], v[222:223], v[233:234], v[222:223]
	v_div_scale_f64 v[233:234], vcc_lo, 1.0, v[216:217], 1.0
	s_delay_alu instid0(VALU_DEP_1) | instskip(NEXT) | instid1(VALU_DEP_1)
	v_mul_f64 v[235:236], v[233:234], v[222:223]
	v_fma_f64 v[218:219], -v[218:219], v[235:236], v[233:234]
	s_delay_alu instid0(VALU_DEP_1) | instskip(NEXT) | instid1(VALU_DEP_1)
	v_div_fmas_f64 v[218:219], v[218:219], v[222:223], v[235:236]
	v_div_fixup_f64 v[218:219], v[218:219], v[216:217], 1.0
	s_delay_alu instid0(VALU_DEP_1)
	v_mul_f64 v[216:217], v[220:221], v[218:219]
	v_xor_b32_e32 v219, 0x80000000, v219
.LBB106_553:
	s_and_not1_saveexec_b32 s2, s2
	s_cbranch_execz .LBB106_555
; %bb.554:
	s_delay_alu instid0(VALU_DEP_1) | instskip(SKIP_1) | instid1(VALU_DEP_2)
	v_div_scale_f64 v[220:221], null, v[216:217], v[216:217], v[218:219]
	v_div_scale_f64 v[235:236], vcc_lo, v[218:219], v[216:217], v[218:219]
	v_rcp_f64_e32 v[222:223], v[220:221]
	s_waitcnt_depctr 0xfff
	v_fma_f64 v[233:234], -v[220:221], v[222:223], 1.0
	s_delay_alu instid0(VALU_DEP_1) | instskip(NEXT) | instid1(VALU_DEP_1)
	v_fma_f64 v[222:223], v[222:223], v[233:234], v[222:223]
	v_fma_f64 v[233:234], -v[220:221], v[222:223], 1.0
	s_delay_alu instid0(VALU_DEP_1) | instskip(NEXT) | instid1(VALU_DEP_1)
	v_fma_f64 v[222:223], v[222:223], v[233:234], v[222:223]
	v_mul_f64 v[233:234], v[235:236], v[222:223]
	s_delay_alu instid0(VALU_DEP_1) | instskip(NEXT) | instid1(VALU_DEP_1)
	v_fma_f64 v[220:221], -v[220:221], v[233:234], v[235:236]
	v_div_fmas_f64 v[220:221], v[220:221], v[222:223], v[233:234]
	s_delay_alu instid0(VALU_DEP_1) | instskip(NEXT) | instid1(VALU_DEP_1)
	v_div_fixup_f64 v[220:221], v[220:221], v[216:217], v[218:219]
	v_fma_f64 v[216:217], v[218:219], v[220:221], v[216:217]
	s_delay_alu instid0(VALU_DEP_1) | instskip(NEXT) | instid1(VALU_DEP_1)
	v_div_scale_f64 v[218:219], null, v[216:217], v[216:217], 1.0
	v_rcp_f64_e32 v[222:223], v[218:219]
	s_waitcnt_depctr 0xfff
	v_fma_f64 v[233:234], -v[218:219], v[222:223], 1.0
	s_delay_alu instid0(VALU_DEP_1) | instskip(NEXT) | instid1(VALU_DEP_1)
	v_fma_f64 v[222:223], v[222:223], v[233:234], v[222:223]
	v_fma_f64 v[233:234], -v[218:219], v[222:223], 1.0
	s_delay_alu instid0(VALU_DEP_1) | instskip(SKIP_1) | instid1(VALU_DEP_1)
	v_fma_f64 v[222:223], v[222:223], v[233:234], v[222:223]
	v_div_scale_f64 v[233:234], vcc_lo, 1.0, v[216:217], 1.0
	v_mul_f64 v[235:236], v[233:234], v[222:223]
	s_delay_alu instid0(VALU_DEP_1) | instskip(NEXT) | instid1(VALU_DEP_1)
	v_fma_f64 v[218:219], -v[218:219], v[235:236], v[233:234]
	v_div_fmas_f64 v[218:219], v[218:219], v[222:223], v[235:236]
	s_delay_alu instid0(VALU_DEP_1) | instskip(NEXT) | instid1(VALU_DEP_1)
	v_div_fixup_f64 v[216:217], v[218:219], v[216:217], 1.0
	v_mul_f64 v[218:219], v[220:221], -v[216:217]
.LBB106_555:
	s_or_b32 exec_lo, exec_lo, s2
.LBB106_556:
	s_delay_alu instid0(SALU_CYCLE_1) | instskip(NEXT) | instid1(SALU_CYCLE_1)
	s_or_b32 exec_lo, exec_lo, s3
	s_mov_b32 s2, exec_lo
	v_cmpx_ne_u32_e64 v232, v224
	s_xor_b32 s2, exec_lo, s2
	s_cbranch_execz .LBB106_562
; %bb.557:
	s_mov_b32 s3, exec_lo
	v_cmpx_eq_u32_e32 26, v232
	s_cbranch_execz .LBB106_561
; %bb.558:
	v_cmp_ne_u32_e32 vcc_lo, 26, v224
	s_xor_b32 s6, s4, -1
	s_delay_alu instid0(SALU_CYCLE_1) | instskip(NEXT) | instid1(SALU_CYCLE_1)
	s_and_b32 s7, s6, vcc_lo
	s_and_saveexec_b32 s6, s7
	s_cbranch_execz .LBB106_560
; %bb.559:
	v_ashrrev_i32_e32 v225, 31, v224
	s_delay_alu instid0(VALU_DEP_1) | instskip(NEXT) | instid1(VALU_DEP_1)
	v_lshlrev_b64 v[220:221], 2, v[224:225]
	v_add_co_u32 v220, vcc_lo, v214, v220
	s_delay_alu instid0(VALU_DEP_2)
	v_add_co_ci_u32_e32 v221, vcc_lo, v215, v221, vcc_lo
	s_clause 0x1
	flat_load_b32 v222, v[220:221]
	flat_load_b32 v223, v[214:215] offset:104
	s_waitcnt vmcnt(1) lgkmcnt(1)
	flat_store_b32 v[214:215], v222 offset:104
	s_waitcnt vmcnt(0) lgkmcnt(1)
	flat_store_b32 v[220:221], v223
.LBB106_560:
	s_or_b32 exec_lo, exec_lo, s6
	v_mov_b32_e32 v232, v224
	v_mov_b32_e32 v231, v224
.LBB106_561:
	s_or_b32 exec_lo, exec_lo, s3
.LBB106_562:
	s_and_not1_saveexec_b32 s2, s2
	s_cbranch_execz .LBB106_564
; %bb.563:
	v_mov_b32_e32 v232, 26
	ds_store_2addr_b64 v226, v[104:105], v[106:107] offset0:54 offset1:55
	ds_store_2addr_b64 v226, v[100:101], v[102:103] offset0:56 offset1:57
	;; [unrolled: 1-line block ×27, first 2 shown]
.LBB106_564:
	s_or_b32 exec_lo, exec_lo, s2
	s_delay_alu instid0(SALU_CYCLE_1)
	s_mov_b32 s2, exec_lo
	s_waitcnt lgkmcnt(0)
	s_waitcnt_vscnt null, 0x0
	s_barrier
	buffer_gl0_inv
	v_cmpx_lt_i32_e32 26, v232
	s_cbranch_execz .LBB106_566
; %bb.565:
	v_mul_f64 v[220:221], v[218:219], v[110:111]
	v_mul_f64 v[110:111], v[216:217], v[110:111]
	s_delay_alu instid0(VALU_DEP_2) | instskip(NEXT) | instid1(VALU_DEP_2)
	v_fma_f64 v[224:225], v[216:217], v[108:109], -v[220:221]
	v_fma_f64 v[110:111], v[218:219], v[108:109], v[110:111]
	ds_load_2addr_b64 v[216:219], v226 offset0:54 offset1:55
	s_waitcnt lgkmcnt(0)
	v_mul_f64 v[108:109], v[218:219], v[110:111]
	s_delay_alu instid0(VALU_DEP_1) | instskip(SKIP_1) | instid1(VALU_DEP_2)
	v_fma_f64 v[108:109], v[216:217], v[224:225], -v[108:109]
	v_mul_f64 v[216:217], v[216:217], v[110:111]
	v_add_f64 v[104:105], v[104:105], -v[108:109]
	s_delay_alu instid0(VALU_DEP_2) | instskip(NEXT) | instid1(VALU_DEP_1)
	v_fma_f64 v[216:217], v[218:219], v[224:225], v[216:217]
	v_add_f64 v[106:107], v[106:107], -v[216:217]
	ds_load_2addr_b64 v[216:219], v226 offset0:56 offset1:57
	s_waitcnt lgkmcnt(0)
	v_mul_f64 v[108:109], v[218:219], v[110:111]
	s_delay_alu instid0(VALU_DEP_1) | instskip(SKIP_1) | instid1(VALU_DEP_2)
	v_fma_f64 v[108:109], v[216:217], v[224:225], -v[108:109]
	v_mul_f64 v[216:217], v[216:217], v[110:111]
	v_add_f64 v[100:101], v[100:101], -v[108:109]
	s_delay_alu instid0(VALU_DEP_2) | instskip(NEXT) | instid1(VALU_DEP_1)
	v_fma_f64 v[216:217], v[218:219], v[224:225], v[216:217]
	v_add_f64 v[102:103], v[102:103], -v[216:217]
	;; [unrolled: 10-line block ×26, first 2 shown]
	ds_load_2addr_b64 v[216:219], v226 offset0:106 offset1:107
	s_waitcnt lgkmcnt(0)
	v_mul_f64 v[108:109], v[218:219], v[110:111]
	s_delay_alu instid0(VALU_DEP_1) | instskip(SKIP_1) | instid1(VALU_DEP_2)
	v_fma_f64 v[108:109], v[216:217], v[224:225], -v[108:109]
	v_mul_f64 v[216:217], v[216:217], v[110:111]
	v_add_f64 v[0:1], v[0:1], -v[108:109]
	s_delay_alu instid0(VALU_DEP_2) | instskip(SKIP_1) | instid1(VALU_DEP_2)
	v_fma_f64 v[216:217], v[218:219], v[224:225], v[216:217]
	v_dual_mov_b32 v108, v224 :: v_dual_mov_b32 v109, v225
	v_add_f64 v[2:3], v[2:3], -v[216:217]
.LBB106_566:
	s_or_b32 exec_lo, exec_lo, s2
	v_lshl_add_u32 v216, v232, 4, v226
	s_barrier
	buffer_gl0_inv
	v_mov_b32_e32 v224, 27
	ds_store_2addr_b64 v216, v[104:105], v[106:107] offset1:1
	s_waitcnt lgkmcnt(0)
	s_barrier
	buffer_gl0_inv
	ds_load_2addr_b64 v[216:219], v226 offset0:54 offset1:55
	s_cmp_lt_i32 s5, 29
	s_cbranch_scc1 .LBB106_569
; %bb.567:
	v_add3_u32 v225, v230, 0, 0x1c0
	v_mov_b32_e32 v224, 27
	s_mov_b32 s6, 28
	s_set_inst_prefetch_distance 0x1
	.p2align	6
.LBB106_568:                            ; =>This Inner Loop Header: Depth=1
	ds_load_2addr_b64 v[233:236], v225 offset1:1
	s_waitcnt lgkmcnt(1)
	v_cmp_gt_f64_e32 vcc_lo, 0, v[216:217]
	v_xor_b32_e32 v220, 0x80000000, v217
	v_cmp_gt_f64_e64 s2, 0, v[218:219]
	v_xor_b32_e32 v222, 0x80000000, v219
	v_add_nc_u32_e32 v225, 16, v225
	s_waitcnt lgkmcnt(0)
	v_cmp_gt_f64_e64 s3, 0, v[233:234]
	v_mov_b32_e32 v237, v233
	v_mov_b32_e32 v239, v235
	v_cndmask_b32_e32 v221, v217, v220, vcc_lo
	v_xor_b32_e32 v220, 0x80000000, v234
	v_cndmask_b32_e64 v223, v219, v222, s2
	v_xor_b32_e32 v222, 0x80000000, v236
	s_delay_alu instid0(VALU_DEP_3) | instskip(SKIP_2) | instid1(VALU_DEP_2)
	v_cndmask_b32_e64 v238, v234, v220, s3
	v_cmp_gt_f64_e64 s3, 0, v[235:236]
	v_cndmask_b32_e32 v220, v216, v216, vcc_lo
	v_cndmask_b32_e64 v240, v236, v222, s3
	v_cndmask_b32_e64 v222, v218, v218, s2
	s_delay_alu instid0(VALU_DEP_2) | instskip(NEXT) | instid1(VALU_DEP_2)
	v_add_f64 v[237:238], v[237:238], v[239:240]
	v_add_f64 v[220:221], v[220:221], v[222:223]
	s_delay_alu instid0(VALU_DEP_1) | instskip(SKIP_4) | instid1(SALU_CYCLE_1)
	v_cmp_lt_f64_e32 vcc_lo, v[220:221], v[237:238]
	v_dual_cndmask_b32 v216, v216, v233 :: v_dual_cndmask_b32 v217, v217, v234
	v_dual_cndmask_b32 v219, v219, v236 :: v_dual_cndmask_b32 v218, v218, v235
	v_cndmask_b32_e64 v224, v224, s6, vcc_lo
	s_add_i32 s6, s6, 1
	s_cmp_lg_u32 s5, s6
	s_cbranch_scc1 .LBB106_568
.LBB106_569:
	s_set_inst_prefetch_distance 0x2
	s_waitcnt lgkmcnt(0)
	v_cmp_eq_f64_e32 vcc_lo, 0, v[216:217]
	v_cmp_eq_f64_e64 s2, 0, v[218:219]
	s_delay_alu instid0(VALU_DEP_1) | instskip(NEXT) | instid1(SALU_CYCLE_1)
	s_and_b32 s2, vcc_lo, s2
	s_and_saveexec_b32 s3, s2
	s_delay_alu instid0(SALU_CYCLE_1)
	s_xor_b32 s2, exec_lo, s3
; %bb.570:
	v_cmp_ne_u32_e32 vcc_lo, 0, v229
	v_cndmask_b32_e32 v229, 28, v229, vcc_lo
; %bb.571:
	s_and_not1_saveexec_b32 s3, s2
	s_cbranch_execz .LBB106_577
; %bb.572:
	v_cmp_gt_f64_e32 vcc_lo, 0, v[216:217]
	v_cmp_gt_f64_e64 s2, 0, v[218:219]
	v_xor_b32_e32 v220, 0x80000000, v217
	v_xor_b32_e32 v222, 0x80000000, v219
	s_delay_alu instid0(VALU_DEP_2) | instskip(NEXT) | instid1(VALU_DEP_2)
	v_cndmask_b32_e32 v221, v217, v220, vcc_lo
	v_cndmask_b32_e64 v223, v219, v222, s2
	v_cndmask_b32_e32 v220, v216, v216, vcc_lo
	v_cndmask_b32_e64 v222, v218, v218, s2
	s_mov_b32 s2, exec_lo
	s_delay_alu instid0(VALU_DEP_1)
	v_cmpx_ngt_f64_e32 v[220:221], v[222:223]
	s_xor_b32 s2, exec_lo, s2
	s_cbranch_execz .LBB106_574
; %bb.573:
	v_div_scale_f64 v[220:221], null, v[218:219], v[218:219], v[216:217]
	v_div_scale_f64 v[235:236], vcc_lo, v[216:217], v[218:219], v[216:217]
	s_delay_alu instid0(VALU_DEP_2) | instskip(SKIP_2) | instid1(VALU_DEP_1)
	v_rcp_f64_e32 v[222:223], v[220:221]
	s_waitcnt_depctr 0xfff
	v_fma_f64 v[233:234], -v[220:221], v[222:223], 1.0
	v_fma_f64 v[222:223], v[222:223], v[233:234], v[222:223]
	s_delay_alu instid0(VALU_DEP_1) | instskip(NEXT) | instid1(VALU_DEP_1)
	v_fma_f64 v[233:234], -v[220:221], v[222:223], 1.0
	v_fma_f64 v[222:223], v[222:223], v[233:234], v[222:223]
	s_delay_alu instid0(VALU_DEP_1) | instskip(NEXT) | instid1(VALU_DEP_1)
	v_mul_f64 v[233:234], v[235:236], v[222:223]
	v_fma_f64 v[220:221], -v[220:221], v[233:234], v[235:236]
	s_delay_alu instid0(VALU_DEP_1) | instskip(NEXT) | instid1(VALU_DEP_1)
	v_div_fmas_f64 v[220:221], v[220:221], v[222:223], v[233:234]
	v_div_fixup_f64 v[220:221], v[220:221], v[218:219], v[216:217]
	s_delay_alu instid0(VALU_DEP_1) | instskip(NEXT) | instid1(VALU_DEP_1)
	v_fma_f64 v[216:217], v[216:217], v[220:221], v[218:219]
	v_div_scale_f64 v[218:219], null, v[216:217], v[216:217], 1.0
	s_delay_alu instid0(VALU_DEP_1) | instskip(SKIP_2) | instid1(VALU_DEP_1)
	v_rcp_f64_e32 v[222:223], v[218:219]
	s_waitcnt_depctr 0xfff
	v_fma_f64 v[233:234], -v[218:219], v[222:223], 1.0
	v_fma_f64 v[222:223], v[222:223], v[233:234], v[222:223]
	s_delay_alu instid0(VALU_DEP_1) | instskip(NEXT) | instid1(VALU_DEP_1)
	v_fma_f64 v[233:234], -v[218:219], v[222:223], 1.0
	v_fma_f64 v[222:223], v[222:223], v[233:234], v[222:223]
	v_div_scale_f64 v[233:234], vcc_lo, 1.0, v[216:217], 1.0
	s_delay_alu instid0(VALU_DEP_1) | instskip(NEXT) | instid1(VALU_DEP_1)
	v_mul_f64 v[235:236], v[233:234], v[222:223]
	v_fma_f64 v[218:219], -v[218:219], v[235:236], v[233:234]
	s_delay_alu instid0(VALU_DEP_1) | instskip(NEXT) | instid1(VALU_DEP_1)
	v_div_fmas_f64 v[218:219], v[218:219], v[222:223], v[235:236]
	v_div_fixup_f64 v[218:219], v[218:219], v[216:217], 1.0
	s_delay_alu instid0(VALU_DEP_1)
	v_mul_f64 v[216:217], v[220:221], v[218:219]
	v_xor_b32_e32 v219, 0x80000000, v219
.LBB106_574:
	s_and_not1_saveexec_b32 s2, s2
	s_cbranch_execz .LBB106_576
; %bb.575:
	s_delay_alu instid0(VALU_DEP_1) | instskip(SKIP_1) | instid1(VALU_DEP_2)
	v_div_scale_f64 v[220:221], null, v[216:217], v[216:217], v[218:219]
	v_div_scale_f64 v[235:236], vcc_lo, v[218:219], v[216:217], v[218:219]
	v_rcp_f64_e32 v[222:223], v[220:221]
	s_waitcnt_depctr 0xfff
	v_fma_f64 v[233:234], -v[220:221], v[222:223], 1.0
	s_delay_alu instid0(VALU_DEP_1) | instskip(NEXT) | instid1(VALU_DEP_1)
	v_fma_f64 v[222:223], v[222:223], v[233:234], v[222:223]
	v_fma_f64 v[233:234], -v[220:221], v[222:223], 1.0
	s_delay_alu instid0(VALU_DEP_1) | instskip(NEXT) | instid1(VALU_DEP_1)
	v_fma_f64 v[222:223], v[222:223], v[233:234], v[222:223]
	v_mul_f64 v[233:234], v[235:236], v[222:223]
	s_delay_alu instid0(VALU_DEP_1) | instskip(NEXT) | instid1(VALU_DEP_1)
	v_fma_f64 v[220:221], -v[220:221], v[233:234], v[235:236]
	v_div_fmas_f64 v[220:221], v[220:221], v[222:223], v[233:234]
	s_delay_alu instid0(VALU_DEP_1) | instskip(NEXT) | instid1(VALU_DEP_1)
	v_div_fixup_f64 v[220:221], v[220:221], v[216:217], v[218:219]
	v_fma_f64 v[216:217], v[218:219], v[220:221], v[216:217]
	s_delay_alu instid0(VALU_DEP_1) | instskip(NEXT) | instid1(VALU_DEP_1)
	v_div_scale_f64 v[218:219], null, v[216:217], v[216:217], 1.0
	v_rcp_f64_e32 v[222:223], v[218:219]
	s_waitcnt_depctr 0xfff
	v_fma_f64 v[233:234], -v[218:219], v[222:223], 1.0
	s_delay_alu instid0(VALU_DEP_1) | instskip(NEXT) | instid1(VALU_DEP_1)
	v_fma_f64 v[222:223], v[222:223], v[233:234], v[222:223]
	v_fma_f64 v[233:234], -v[218:219], v[222:223], 1.0
	s_delay_alu instid0(VALU_DEP_1) | instskip(SKIP_1) | instid1(VALU_DEP_1)
	v_fma_f64 v[222:223], v[222:223], v[233:234], v[222:223]
	v_div_scale_f64 v[233:234], vcc_lo, 1.0, v[216:217], 1.0
	v_mul_f64 v[235:236], v[233:234], v[222:223]
	s_delay_alu instid0(VALU_DEP_1) | instskip(NEXT) | instid1(VALU_DEP_1)
	v_fma_f64 v[218:219], -v[218:219], v[235:236], v[233:234]
	v_div_fmas_f64 v[218:219], v[218:219], v[222:223], v[235:236]
	s_delay_alu instid0(VALU_DEP_1) | instskip(NEXT) | instid1(VALU_DEP_1)
	v_div_fixup_f64 v[216:217], v[218:219], v[216:217], 1.0
	v_mul_f64 v[218:219], v[220:221], -v[216:217]
.LBB106_576:
	s_or_b32 exec_lo, exec_lo, s2
.LBB106_577:
	s_delay_alu instid0(SALU_CYCLE_1) | instskip(NEXT) | instid1(SALU_CYCLE_1)
	s_or_b32 exec_lo, exec_lo, s3
	s_mov_b32 s2, exec_lo
	v_cmpx_ne_u32_e64 v232, v224
	s_xor_b32 s2, exec_lo, s2
	s_cbranch_execz .LBB106_583
; %bb.578:
	s_mov_b32 s3, exec_lo
	v_cmpx_eq_u32_e32 27, v232
	s_cbranch_execz .LBB106_582
; %bb.579:
	v_cmp_ne_u32_e32 vcc_lo, 27, v224
	s_xor_b32 s6, s4, -1
	s_delay_alu instid0(SALU_CYCLE_1) | instskip(NEXT) | instid1(SALU_CYCLE_1)
	s_and_b32 s7, s6, vcc_lo
	s_and_saveexec_b32 s6, s7
	s_cbranch_execz .LBB106_581
; %bb.580:
	v_ashrrev_i32_e32 v225, 31, v224
	s_delay_alu instid0(VALU_DEP_1) | instskip(NEXT) | instid1(VALU_DEP_1)
	v_lshlrev_b64 v[220:221], 2, v[224:225]
	v_add_co_u32 v220, vcc_lo, v214, v220
	s_delay_alu instid0(VALU_DEP_2)
	v_add_co_ci_u32_e32 v221, vcc_lo, v215, v221, vcc_lo
	s_clause 0x1
	flat_load_b32 v222, v[220:221]
	flat_load_b32 v223, v[214:215] offset:108
	s_waitcnt vmcnt(1) lgkmcnt(1)
	flat_store_b32 v[214:215], v222 offset:108
	s_waitcnt vmcnt(0) lgkmcnt(1)
	flat_store_b32 v[220:221], v223
.LBB106_581:
	s_or_b32 exec_lo, exec_lo, s6
	v_mov_b32_e32 v232, v224
	v_mov_b32_e32 v231, v224
.LBB106_582:
	s_or_b32 exec_lo, exec_lo, s3
.LBB106_583:
	s_and_not1_saveexec_b32 s2, s2
	s_cbranch_execz .LBB106_585
; %bb.584:
	v_mov_b32_e32 v232, 27
	ds_store_2addr_b64 v226, v[100:101], v[102:103] offset0:56 offset1:57
	ds_store_2addr_b64 v226, v[96:97], v[98:99] offset0:58 offset1:59
	ds_store_2addr_b64 v226, v[92:93], v[94:95] offset0:60 offset1:61
	ds_store_2addr_b64 v226, v[88:89], v[90:91] offset0:62 offset1:63
	ds_store_2addr_b64 v226, v[84:85], v[86:87] offset0:64 offset1:65
	ds_store_2addr_b64 v226, v[80:81], v[82:83] offset0:66 offset1:67
	ds_store_2addr_b64 v226, v[76:77], v[78:79] offset0:68 offset1:69
	ds_store_2addr_b64 v226, v[72:73], v[74:75] offset0:70 offset1:71
	ds_store_2addr_b64 v226, v[68:69], v[70:71] offset0:72 offset1:73
	ds_store_2addr_b64 v226, v[64:65], v[66:67] offset0:74 offset1:75
	ds_store_2addr_b64 v226, v[60:61], v[62:63] offset0:76 offset1:77
	ds_store_2addr_b64 v226, v[56:57], v[58:59] offset0:78 offset1:79
	ds_store_2addr_b64 v226, v[52:53], v[54:55] offset0:80 offset1:81
	ds_store_2addr_b64 v226, v[48:49], v[50:51] offset0:82 offset1:83
	ds_store_2addr_b64 v226, v[44:45], v[46:47] offset0:84 offset1:85
	ds_store_2addr_b64 v226, v[40:41], v[42:43] offset0:86 offset1:87
	ds_store_2addr_b64 v226, v[36:37], v[38:39] offset0:88 offset1:89
	ds_store_2addr_b64 v226, v[32:33], v[34:35] offset0:90 offset1:91
	ds_store_2addr_b64 v226, v[28:29], v[30:31] offset0:92 offset1:93
	ds_store_2addr_b64 v226, v[24:25], v[26:27] offset0:94 offset1:95
	ds_store_2addr_b64 v226, v[20:21], v[22:23] offset0:96 offset1:97
	ds_store_2addr_b64 v226, v[16:17], v[18:19] offset0:98 offset1:99
	ds_store_2addr_b64 v226, v[12:13], v[14:15] offset0:100 offset1:101
	ds_store_2addr_b64 v226, v[251:252], v[253:254] offset0:102 offset1:103
	ds_store_2addr_b64 v226, v[247:248], v[249:250] offset0:104 offset1:105
	ds_store_2addr_b64 v226, v[0:1], v[2:3] offset0:106 offset1:107
.LBB106_585:
	s_or_b32 exec_lo, exec_lo, s2
	s_delay_alu instid0(SALU_CYCLE_1)
	s_mov_b32 s2, exec_lo
	s_waitcnt lgkmcnt(0)
	s_waitcnt_vscnt null, 0x0
	s_barrier
	buffer_gl0_inv
	v_cmpx_lt_i32_e32 27, v232
	s_cbranch_execz .LBB106_587
; %bb.586:
	v_mul_f64 v[220:221], v[218:219], v[106:107]
	v_mul_f64 v[106:107], v[216:217], v[106:107]
	s_delay_alu instid0(VALU_DEP_2) | instskip(NEXT) | instid1(VALU_DEP_2)
	v_fma_f64 v[224:225], v[216:217], v[104:105], -v[220:221]
	v_fma_f64 v[106:107], v[218:219], v[104:105], v[106:107]
	ds_load_2addr_b64 v[216:219], v226 offset0:56 offset1:57
	s_waitcnt lgkmcnt(0)
	v_mul_f64 v[104:105], v[218:219], v[106:107]
	s_delay_alu instid0(VALU_DEP_1) | instskip(SKIP_1) | instid1(VALU_DEP_2)
	v_fma_f64 v[104:105], v[216:217], v[224:225], -v[104:105]
	v_mul_f64 v[216:217], v[216:217], v[106:107]
	v_add_f64 v[100:101], v[100:101], -v[104:105]
	s_delay_alu instid0(VALU_DEP_2) | instskip(NEXT) | instid1(VALU_DEP_1)
	v_fma_f64 v[216:217], v[218:219], v[224:225], v[216:217]
	v_add_f64 v[102:103], v[102:103], -v[216:217]
	ds_load_2addr_b64 v[216:219], v226 offset0:58 offset1:59
	s_waitcnt lgkmcnt(0)
	v_mul_f64 v[104:105], v[218:219], v[106:107]
	s_delay_alu instid0(VALU_DEP_1) | instskip(SKIP_1) | instid1(VALU_DEP_2)
	v_fma_f64 v[104:105], v[216:217], v[224:225], -v[104:105]
	v_mul_f64 v[216:217], v[216:217], v[106:107]
	v_add_f64 v[96:97], v[96:97], -v[104:105]
	s_delay_alu instid0(VALU_DEP_2) | instskip(NEXT) | instid1(VALU_DEP_1)
	v_fma_f64 v[216:217], v[218:219], v[224:225], v[216:217]
	v_add_f64 v[98:99], v[98:99], -v[216:217]
	;; [unrolled: 10-line block ×25, first 2 shown]
	ds_load_2addr_b64 v[216:219], v226 offset0:106 offset1:107
	s_waitcnt lgkmcnt(0)
	v_mul_f64 v[104:105], v[218:219], v[106:107]
	s_delay_alu instid0(VALU_DEP_1) | instskip(SKIP_1) | instid1(VALU_DEP_2)
	v_fma_f64 v[104:105], v[216:217], v[224:225], -v[104:105]
	v_mul_f64 v[216:217], v[216:217], v[106:107]
	v_add_f64 v[0:1], v[0:1], -v[104:105]
	s_delay_alu instid0(VALU_DEP_2) | instskip(SKIP_1) | instid1(VALU_DEP_2)
	v_fma_f64 v[216:217], v[218:219], v[224:225], v[216:217]
	v_dual_mov_b32 v104, v224 :: v_dual_mov_b32 v105, v225
	v_add_f64 v[2:3], v[2:3], -v[216:217]
.LBB106_587:
	s_or_b32 exec_lo, exec_lo, s2
	v_lshl_add_u32 v216, v232, 4, v226
	s_barrier
	buffer_gl0_inv
	v_mov_b32_e32 v224, 28
	ds_store_2addr_b64 v216, v[100:101], v[102:103] offset1:1
	s_waitcnt lgkmcnt(0)
	s_barrier
	buffer_gl0_inv
	ds_load_2addr_b64 v[216:219], v226 offset0:56 offset1:57
	s_cmp_lt_i32 s5, 30
	s_cbranch_scc1 .LBB106_590
; %bb.588:
	v_add3_u32 v225, v230, 0, 0x1d0
	v_mov_b32_e32 v224, 28
	s_mov_b32 s6, 29
	s_set_inst_prefetch_distance 0x1
	.p2align	6
.LBB106_589:                            ; =>This Inner Loop Header: Depth=1
	ds_load_2addr_b64 v[233:236], v225 offset1:1
	s_waitcnt lgkmcnt(1)
	v_cmp_gt_f64_e32 vcc_lo, 0, v[216:217]
	v_xor_b32_e32 v220, 0x80000000, v217
	v_cmp_gt_f64_e64 s2, 0, v[218:219]
	v_xor_b32_e32 v222, 0x80000000, v219
	v_add_nc_u32_e32 v225, 16, v225
	s_waitcnt lgkmcnt(0)
	v_cmp_gt_f64_e64 s3, 0, v[233:234]
	v_mov_b32_e32 v237, v233
	v_mov_b32_e32 v239, v235
	v_cndmask_b32_e32 v221, v217, v220, vcc_lo
	v_xor_b32_e32 v220, 0x80000000, v234
	v_cndmask_b32_e64 v223, v219, v222, s2
	v_xor_b32_e32 v222, 0x80000000, v236
	s_delay_alu instid0(VALU_DEP_3) | instskip(SKIP_2) | instid1(VALU_DEP_2)
	v_cndmask_b32_e64 v238, v234, v220, s3
	v_cmp_gt_f64_e64 s3, 0, v[235:236]
	v_cndmask_b32_e32 v220, v216, v216, vcc_lo
	v_cndmask_b32_e64 v240, v236, v222, s3
	v_cndmask_b32_e64 v222, v218, v218, s2
	s_delay_alu instid0(VALU_DEP_2) | instskip(NEXT) | instid1(VALU_DEP_2)
	v_add_f64 v[237:238], v[237:238], v[239:240]
	v_add_f64 v[220:221], v[220:221], v[222:223]
	s_delay_alu instid0(VALU_DEP_1) | instskip(SKIP_4) | instid1(SALU_CYCLE_1)
	v_cmp_lt_f64_e32 vcc_lo, v[220:221], v[237:238]
	v_dual_cndmask_b32 v216, v216, v233 :: v_dual_cndmask_b32 v217, v217, v234
	v_dual_cndmask_b32 v219, v219, v236 :: v_dual_cndmask_b32 v218, v218, v235
	v_cndmask_b32_e64 v224, v224, s6, vcc_lo
	s_add_i32 s6, s6, 1
	s_cmp_lg_u32 s5, s6
	s_cbranch_scc1 .LBB106_589
.LBB106_590:
	s_set_inst_prefetch_distance 0x2
	s_waitcnt lgkmcnt(0)
	v_cmp_eq_f64_e32 vcc_lo, 0, v[216:217]
	v_cmp_eq_f64_e64 s2, 0, v[218:219]
	s_delay_alu instid0(VALU_DEP_1) | instskip(NEXT) | instid1(SALU_CYCLE_1)
	s_and_b32 s2, vcc_lo, s2
	s_and_saveexec_b32 s3, s2
	s_delay_alu instid0(SALU_CYCLE_1)
	s_xor_b32 s2, exec_lo, s3
; %bb.591:
	v_cmp_ne_u32_e32 vcc_lo, 0, v229
	v_cndmask_b32_e32 v229, 29, v229, vcc_lo
; %bb.592:
	s_and_not1_saveexec_b32 s3, s2
	s_cbranch_execz .LBB106_598
; %bb.593:
	v_cmp_gt_f64_e32 vcc_lo, 0, v[216:217]
	v_cmp_gt_f64_e64 s2, 0, v[218:219]
	v_xor_b32_e32 v220, 0x80000000, v217
	v_xor_b32_e32 v222, 0x80000000, v219
	s_delay_alu instid0(VALU_DEP_2) | instskip(NEXT) | instid1(VALU_DEP_2)
	v_cndmask_b32_e32 v221, v217, v220, vcc_lo
	v_cndmask_b32_e64 v223, v219, v222, s2
	v_cndmask_b32_e32 v220, v216, v216, vcc_lo
	v_cndmask_b32_e64 v222, v218, v218, s2
	s_mov_b32 s2, exec_lo
	s_delay_alu instid0(VALU_DEP_1)
	v_cmpx_ngt_f64_e32 v[220:221], v[222:223]
	s_xor_b32 s2, exec_lo, s2
	s_cbranch_execz .LBB106_595
; %bb.594:
	v_div_scale_f64 v[220:221], null, v[218:219], v[218:219], v[216:217]
	v_div_scale_f64 v[235:236], vcc_lo, v[216:217], v[218:219], v[216:217]
	s_delay_alu instid0(VALU_DEP_2) | instskip(SKIP_2) | instid1(VALU_DEP_1)
	v_rcp_f64_e32 v[222:223], v[220:221]
	s_waitcnt_depctr 0xfff
	v_fma_f64 v[233:234], -v[220:221], v[222:223], 1.0
	v_fma_f64 v[222:223], v[222:223], v[233:234], v[222:223]
	s_delay_alu instid0(VALU_DEP_1) | instskip(NEXT) | instid1(VALU_DEP_1)
	v_fma_f64 v[233:234], -v[220:221], v[222:223], 1.0
	v_fma_f64 v[222:223], v[222:223], v[233:234], v[222:223]
	s_delay_alu instid0(VALU_DEP_1) | instskip(NEXT) | instid1(VALU_DEP_1)
	v_mul_f64 v[233:234], v[235:236], v[222:223]
	v_fma_f64 v[220:221], -v[220:221], v[233:234], v[235:236]
	s_delay_alu instid0(VALU_DEP_1) | instskip(NEXT) | instid1(VALU_DEP_1)
	v_div_fmas_f64 v[220:221], v[220:221], v[222:223], v[233:234]
	v_div_fixup_f64 v[220:221], v[220:221], v[218:219], v[216:217]
	s_delay_alu instid0(VALU_DEP_1) | instskip(NEXT) | instid1(VALU_DEP_1)
	v_fma_f64 v[216:217], v[216:217], v[220:221], v[218:219]
	v_div_scale_f64 v[218:219], null, v[216:217], v[216:217], 1.0
	s_delay_alu instid0(VALU_DEP_1) | instskip(SKIP_2) | instid1(VALU_DEP_1)
	v_rcp_f64_e32 v[222:223], v[218:219]
	s_waitcnt_depctr 0xfff
	v_fma_f64 v[233:234], -v[218:219], v[222:223], 1.0
	v_fma_f64 v[222:223], v[222:223], v[233:234], v[222:223]
	s_delay_alu instid0(VALU_DEP_1) | instskip(NEXT) | instid1(VALU_DEP_1)
	v_fma_f64 v[233:234], -v[218:219], v[222:223], 1.0
	v_fma_f64 v[222:223], v[222:223], v[233:234], v[222:223]
	v_div_scale_f64 v[233:234], vcc_lo, 1.0, v[216:217], 1.0
	s_delay_alu instid0(VALU_DEP_1) | instskip(NEXT) | instid1(VALU_DEP_1)
	v_mul_f64 v[235:236], v[233:234], v[222:223]
	v_fma_f64 v[218:219], -v[218:219], v[235:236], v[233:234]
	s_delay_alu instid0(VALU_DEP_1) | instskip(NEXT) | instid1(VALU_DEP_1)
	v_div_fmas_f64 v[218:219], v[218:219], v[222:223], v[235:236]
	v_div_fixup_f64 v[218:219], v[218:219], v[216:217], 1.0
	s_delay_alu instid0(VALU_DEP_1)
	v_mul_f64 v[216:217], v[220:221], v[218:219]
	v_xor_b32_e32 v219, 0x80000000, v219
.LBB106_595:
	s_and_not1_saveexec_b32 s2, s2
	s_cbranch_execz .LBB106_597
; %bb.596:
	s_delay_alu instid0(VALU_DEP_1) | instskip(SKIP_1) | instid1(VALU_DEP_2)
	v_div_scale_f64 v[220:221], null, v[216:217], v[216:217], v[218:219]
	v_div_scale_f64 v[235:236], vcc_lo, v[218:219], v[216:217], v[218:219]
	v_rcp_f64_e32 v[222:223], v[220:221]
	s_waitcnt_depctr 0xfff
	v_fma_f64 v[233:234], -v[220:221], v[222:223], 1.0
	s_delay_alu instid0(VALU_DEP_1) | instskip(NEXT) | instid1(VALU_DEP_1)
	v_fma_f64 v[222:223], v[222:223], v[233:234], v[222:223]
	v_fma_f64 v[233:234], -v[220:221], v[222:223], 1.0
	s_delay_alu instid0(VALU_DEP_1) | instskip(NEXT) | instid1(VALU_DEP_1)
	v_fma_f64 v[222:223], v[222:223], v[233:234], v[222:223]
	v_mul_f64 v[233:234], v[235:236], v[222:223]
	s_delay_alu instid0(VALU_DEP_1) | instskip(NEXT) | instid1(VALU_DEP_1)
	v_fma_f64 v[220:221], -v[220:221], v[233:234], v[235:236]
	v_div_fmas_f64 v[220:221], v[220:221], v[222:223], v[233:234]
	s_delay_alu instid0(VALU_DEP_1) | instskip(NEXT) | instid1(VALU_DEP_1)
	v_div_fixup_f64 v[220:221], v[220:221], v[216:217], v[218:219]
	v_fma_f64 v[216:217], v[218:219], v[220:221], v[216:217]
	s_delay_alu instid0(VALU_DEP_1) | instskip(NEXT) | instid1(VALU_DEP_1)
	v_div_scale_f64 v[218:219], null, v[216:217], v[216:217], 1.0
	v_rcp_f64_e32 v[222:223], v[218:219]
	s_waitcnt_depctr 0xfff
	v_fma_f64 v[233:234], -v[218:219], v[222:223], 1.0
	s_delay_alu instid0(VALU_DEP_1) | instskip(NEXT) | instid1(VALU_DEP_1)
	v_fma_f64 v[222:223], v[222:223], v[233:234], v[222:223]
	v_fma_f64 v[233:234], -v[218:219], v[222:223], 1.0
	s_delay_alu instid0(VALU_DEP_1) | instskip(SKIP_1) | instid1(VALU_DEP_1)
	v_fma_f64 v[222:223], v[222:223], v[233:234], v[222:223]
	v_div_scale_f64 v[233:234], vcc_lo, 1.0, v[216:217], 1.0
	v_mul_f64 v[235:236], v[233:234], v[222:223]
	s_delay_alu instid0(VALU_DEP_1) | instskip(NEXT) | instid1(VALU_DEP_1)
	v_fma_f64 v[218:219], -v[218:219], v[235:236], v[233:234]
	v_div_fmas_f64 v[218:219], v[218:219], v[222:223], v[235:236]
	s_delay_alu instid0(VALU_DEP_1) | instskip(NEXT) | instid1(VALU_DEP_1)
	v_div_fixup_f64 v[216:217], v[218:219], v[216:217], 1.0
	v_mul_f64 v[218:219], v[220:221], -v[216:217]
.LBB106_597:
	s_or_b32 exec_lo, exec_lo, s2
.LBB106_598:
	s_delay_alu instid0(SALU_CYCLE_1) | instskip(NEXT) | instid1(SALU_CYCLE_1)
	s_or_b32 exec_lo, exec_lo, s3
	s_mov_b32 s2, exec_lo
	v_cmpx_ne_u32_e64 v232, v224
	s_xor_b32 s2, exec_lo, s2
	s_cbranch_execz .LBB106_604
; %bb.599:
	s_mov_b32 s3, exec_lo
	v_cmpx_eq_u32_e32 28, v232
	s_cbranch_execz .LBB106_603
; %bb.600:
	v_cmp_ne_u32_e32 vcc_lo, 28, v224
	s_xor_b32 s6, s4, -1
	s_delay_alu instid0(SALU_CYCLE_1) | instskip(NEXT) | instid1(SALU_CYCLE_1)
	s_and_b32 s7, s6, vcc_lo
	s_and_saveexec_b32 s6, s7
	s_cbranch_execz .LBB106_602
; %bb.601:
	v_ashrrev_i32_e32 v225, 31, v224
	s_delay_alu instid0(VALU_DEP_1) | instskip(NEXT) | instid1(VALU_DEP_1)
	v_lshlrev_b64 v[220:221], 2, v[224:225]
	v_add_co_u32 v220, vcc_lo, v214, v220
	s_delay_alu instid0(VALU_DEP_2)
	v_add_co_ci_u32_e32 v221, vcc_lo, v215, v221, vcc_lo
	s_clause 0x1
	flat_load_b32 v222, v[220:221]
	flat_load_b32 v223, v[214:215] offset:112
	s_waitcnt vmcnt(1) lgkmcnt(1)
	flat_store_b32 v[214:215], v222 offset:112
	s_waitcnt vmcnt(0) lgkmcnt(1)
	flat_store_b32 v[220:221], v223
.LBB106_602:
	s_or_b32 exec_lo, exec_lo, s6
	v_mov_b32_e32 v232, v224
	v_mov_b32_e32 v231, v224
.LBB106_603:
	s_or_b32 exec_lo, exec_lo, s3
.LBB106_604:
	s_and_not1_saveexec_b32 s2, s2
	s_cbranch_execz .LBB106_606
; %bb.605:
	v_mov_b32_e32 v232, 28
	ds_store_2addr_b64 v226, v[96:97], v[98:99] offset0:58 offset1:59
	ds_store_2addr_b64 v226, v[92:93], v[94:95] offset0:60 offset1:61
	;; [unrolled: 1-line block ×25, first 2 shown]
.LBB106_606:
	s_or_b32 exec_lo, exec_lo, s2
	s_delay_alu instid0(SALU_CYCLE_1)
	s_mov_b32 s2, exec_lo
	s_waitcnt lgkmcnt(0)
	s_waitcnt_vscnt null, 0x0
	s_barrier
	buffer_gl0_inv
	v_cmpx_lt_i32_e32 28, v232
	s_cbranch_execz .LBB106_608
; %bb.607:
	v_mul_f64 v[220:221], v[218:219], v[102:103]
	v_mul_f64 v[102:103], v[216:217], v[102:103]
	s_delay_alu instid0(VALU_DEP_2) | instskip(NEXT) | instid1(VALU_DEP_2)
	v_fma_f64 v[224:225], v[216:217], v[100:101], -v[220:221]
	v_fma_f64 v[102:103], v[218:219], v[100:101], v[102:103]
	ds_load_2addr_b64 v[216:219], v226 offset0:58 offset1:59
	s_waitcnt lgkmcnt(0)
	v_mul_f64 v[100:101], v[218:219], v[102:103]
	s_delay_alu instid0(VALU_DEP_1) | instskip(SKIP_1) | instid1(VALU_DEP_2)
	v_fma_f64 v[100:101], v[216:217], v[224:225], -v[100:101]
	v_mul_f64 v[216:217], v[216:217], v[102:103]
	v_add_f64 v[96:97], v[96:97], -v[100:101]
	s_delay_alu instid0(VALU_DEP_2) | instskip(NEXT) | instid1(VALU_DEP_1)
	v_fma_f64 v[216:217], v[218:219], v[224:225], v[216:217]
	v_add_f64 v[98:99], v[98:99], -v[216:217]
	ds_load_2addr_b64 v[216:219], v226 offset0:60 offset1:61
	s_waitcnt lgkmcnt(0)
	v_mul_f64 v[100:101], v[218:219], v[102:103]
	s_delay_alu instid0(VALU_DEP_1) | instskip(SKIP_1) | instid1(VALU_DEP_2)
	v_fma_f64 v[100:101], v[216:217], v[224:225], -v[100:101]
	v_mul_f64 v[216:217], v[216:217], v[102:103]
	v_add_f64 v[92:93], v[92:93], -v[100:101]
	s_delay_alu instid0(VALU_DEP_2) | instskip(NEXT) | instid1(VALU_DEP_1)
	v_fma_f64 v[216:217], v[218:219], v[224:225], v[216:217]
	v_add_f64 v[94:95], v[94:95], -v[216:217]
	;; [unrolled: 10-line block ×24, first 2 shown]
	ds_load_2addr_b64 v[216:219], v226 offset0:106 offset1:107
	s_waitcnt lgkmcnt(0)
	v_mul_f64 v[100:101], v[218:219], v[102:103]
	s_delay_alu instid0(VALU_DEP_1) | instskip(SKIP_1) | instid1(VALU_DEP_2)
	v_fma_f64 v[100:101], v[216:217], v[224:225], -v[100:101]
	v_mul_f64 v[216:217], v[216:217], v[102:103]
	v_add_f64 v[0:1], v[0:1], -v[100:101]
	s_delay_alu instid0(VALU_DEP_2) | instskip(SKIP_1) | instid1(VALU_DEP_2)
	v_fma_f64 v[216:217], v[218:219], v[224:225], v[216:217]
	v_dual_mov_b32 v100, v224 :: v_dual_mov_b32 v101, v225
	v_add_f64 v[2:3], v[2:3], -v[216:217]
.LBB106_608:
	s_or_b32 exec_lo, exec_lo, s2
	v_lshl_add_u32 v216, v232, 4, v226
	s_barrier
	buffer_gl0_inv
	v_mov_b32_e32 v224, 29
	ds_store_2addr_b64 v216, v[96:97], v[98:99] offset1:1
	s_waitcnt lgkmcnt(0)
	s_barrier
	buffer_gl0_inv
	ds_load_2addr_b64 v[216:219], v226 offset0:58 offset1:59
	s_cmp_lt_i32 s5, 31
	s_cbranch_scc1 .LBB106_611
; %bb.609:
	v_add3_u32 v225, v230, 0, 0x1e0
	v_mov_b32_e32 v224, 29
	s_mov_b32 s6, 30
	s_set_inst_prefetch_distance 0x1
	.p2align	6
.LBB106_610:                            ; =>This Inner Loop Header: Depth=1
	ds_load_2addr_b64 v[233:236], v225 offset1:1
	s_waitcnt lgkmcnt(1)
	v_cmp_gt_f64_e32 vcc_lo, 0, v[216:217]
	v_xor_b32_e32 v220, 0x80000000, v217
	v_cmp_gt_f64_e64 s2, 0, v[218:219]
	v_xor_b32_e32 v222, 0x80000000, v219
	v_add_nc_u32_e32 v225, 16, v225
	s_waitcnt lgkmcnt(0)
	v_cmp_gt_f64_e64 s3, 0, v[233:234]
	v_mov_b32_e32 v237, v233
	v_mov_b32_e32 v239, v235
	v_cndmask_b32_e32 v221, v217, v220, vcc_lo
	v_xor_b32_e32 v220, 0x80000000, v234
	v_cndmask_b32_e64 v223, v219, v222, s2
	v_xor_b32_e32 v222, 0x80000000, v236
	s_delay_alu instid0(VALU_DEP_3) | instskip(SKIP_2) | instid1(VALU_DEP_2)
	v_cndmask_b32_e64 v238, v234, v220, s3
	v_cmp_gt_f64_e64 s3, 0, v[235:236]
	v_cndmask_b32_e32 v220, v216, v216, vcc_lo
	v_cndmask_b32_e64 v240, v236, v222, s3
	v_cndmask_b32_e64 v222, v218, v218, s2
	s_delay_alu instid0(VALU_DEP_2) | instskip(NEXT) | instid1(VALU_DEP_2)
	v_add_f64 v[237:238], v[237:238], v[239:240]
	v_add_f64 v[220:221], v[220:221], v[222:223]
	s_delay_alu instid0(VALU_DEP_1) | instskip(SKIP_4) | instid1(SALU_CYCLE_1)
	v_cmp_lt_f64_e32 vcc_lo, v[220:221], v[237:238]
	v_dual_cndmask_b32 v216, v216, v233 :: v_dual_cndmask_b32 v217, v217, v234
	v_dual_cndmask_b32 v219, v219, v236 :: v_dual_cndmask_b32 v218, v218, v235
	v_cndmask_b32_e64 v224, v224, s6, vcc_lo
	s_add_i32 s6, s6, 1
	s_cmp_lg_u32 s5, s6
	s_cbranch_scc1 .LBB106_610
.LBB106_611:
	s_set_inst_prefetch_distance 0x2
	s_waitcnt lgkmcnt(0)
	v_cmp_eq_f64_e32 vcc_lo, 0, v[216:217]
	v_cmp_eq_f64_e64 s2, 0, v[218:219]
	s_delay_alu instid0(VALU_DEP_1) | instskip(NEXT) | instid1(SALU_CYCLE_1)
	s_and_b32 s2, vcc_lo, s2
	s_and_saveexec_b32 s3, s2
	s_delay_alu instid0(SALU_CYCLE_1)
	s_xor_b32 s2, exec_lo, s3
; %bb.612:
	v_cmp_ne_u32_e32 vcc_lo, 0, v229
	v_cndmask_b32_e32 v229, 30, v229, vcc_lo
; %bb.613:
	s_and_not1_saveexec_b32 s3, s2
	s_cbranch_execz .LBB106_619
; %bb.614:
	v_cmp_gt_f64_e32 vcc_lo, 0, v[216:217]
	v_cmp_gt_f64_e64 s2, 0, v[218:219]
	v_xor_b32_e32 v220, 0x80000000, v217
	v_xor_b32_e32 v222, 0x80000000, v219
	s_delay_alu instid0(VALU_DEP_2) | instskip(NEXT) | instid1(VALU_DEP_2)
	v_cndmask_b32_e32 v221, v217, v220, vcc_lo
	v_cndmask_b32_e64 v223, v219, v222, s2
	v_cndmask_b32_e32 v220, v216, v216, vcc_lo
	v_cndmask_b32_e64 v222, v218, v218, s2
	s_mov_b32 s2, exec_lo
	s_delay_alu instid0(VALU_DEP_1)
	v_cmpx_ngt_f64_e32 v[220:221], v[222:223]
	s_xor_b32 s2, exec_lo, s2
	s_cbranch_execz .LBB106_616
; %bb.615:
	v_div_scale_f64 v[220:221], null, v[218:219], v[218:219], v[216:217]
	v_div_scale_f64 v[235:236], vcc_lo, v[216:217], v[218:219], v[216:217]
	s_delay_alu instid0(VALU_DEP_2) | instskip(SKIP_2) | instid1(VALU_DEP_1)
	v_rcp_f64_e32 v[222:223], v[220:221]
	s_waitcnt_depctr 0xfff
	v_fma_f64 v[233:234], -v[220:221], v[222:223], 1.0
	v_fma_f64 v[222:223], v[222:223], v[233:234], v[222:223]
	s_delay_alu instid0(VALU_DEP_1) | instskip(NEXT) | instid1(VALU_DEP_1)
	v_fma_f64 v[233:234], -v[220:221], v[222:223], 1.0
	v_fma_f64 v[222:223], v[222:223], v[233:234], v[222:223]
	s_delay_alu instid0(VALU_DEP_1) | instskip(NEXT) | instid1(VALU_DEP_1)
	v_mul_f64 v[233:234], v[235:236], v[222:223]
	v_fma_f64 v[220:221], -v[220:221], v[233:234], v[235:236]
	s_delay_alu instid0(VALU_DEP_1) | instskip(NEXT) | instid1(VALU_DEP_1)
	v_div_fmas_f64 v[220:221], v[220:221], v[222:223], v[233:234]
	v_div_fixup_f64 v[220:221], v[220:221], v[218:219], v[216:217]
	s_delay_alu instid0(VALU_DEP_1) | instskip(NEXT) | instid1(VALU_DEP_1)
	v_fma_f64 v[216:217], v[216:217], v[220:221], v[218:219]
	v_div_scale_f64 v[218:219], null, v[216:217], v[216:217], 1.0
	s_delay_alu instid0(VALU_DEP_1) | instskip(SKIP_2) | instid1(VALU_DEP_1)
	v_rcp_f64_e32 v[222:223], v[218:219]
	s_waitcnt_depctr 0xfff
	v_fma_f64 v[233:234], -v[218:219], v[222:223], 1.0
	v_fma_f64 v[222:223], v[222:223], v[233:234], v[222:223]
	s_delay_alu instid0(VALU_DEP_1) | instskip(NEXT) | instid1(VALU_DEP_1)
	v_fma_f64 v[233:234], -v[218:219], v[222:223], 1.0
	v_fma_f64 v[222:223], v[222:223], v[233:234], v[222:223]
	v_div_scale_f64 v[233:234], vcc_lo, 1.0, v[216:217], 1.0
	s_delay_alu instid0(VALU_DEP_1) | instskip(NEXT) | instid1(VALU_DEP_1)
	v_mul_f64 v[235:236], v[233:234], v[222:223]
	v_fma_f64 v[218:219], -v[218:219], v[235:236], v[233:234]
	s_delay_alu instid0(VALU_DEP_1) | instskip(NEXT) | instid1(VALU_DEP_1)
	v_div_fmas_f64 v[218:219], v[218:219], v[222:223], v[235:236]
	v_div_fixup_f64 v[218:219], v[218:219], v[216:217], 1.0
	s_delay_alu instid0(VALU_DEP_1)
	v_mul_f64 v[216:217], v[220:221], v[218:219]
	v_xor_b32_e32 v219, 0x80000000, v219
.LBB106_616:
	s_and_not1_saveexec_b32 s2, s2
	s_cbranch_execz .LBB106_618
; %bb.617:
	s_delay_alu instid0(VALU_DEP_1) | instskip(SKIP_1) | instid1(VALU_DEP_2)
	v_div_scale_f64 v[220:221], null, v[216:217], v[216:217], v[218:219]
	v_div_scale_f64 v[235:236], vcc_lo, v[218:219], v[216:217], v[218:219]
	v_rcp_f64_e32 v[222:223], v[220:221]
	s_waitcnt_depctr 0xfff
	v_fma_f64 v[233:234], -v[220:221], v[222:223], 1.0
	s_delay_alu instid0(VALU_DEP_1) | instskip(NEXT) | instid1(VALU_DEP_1)
	v_fma_f64 v[222:223], v[222:223], v[233:234], v[222:223]
	v_fma_f64 v[233:234], -v[220:221], v[222:223], 1.0
	s_delay_alu instid0(VALU_DEP_1) | instskip(NEXT) | instid1(VALU_DEP_1)
	v_fma_f64 v[222:223], v[222:223], v[233:234], v[222:223]
	v_mul_f64 v[233:234], v[235:236], v[222:223]
	s_delay_alu instid0(VALU_DEP_1) | instskip(NEXT) | instid1(VALU_DEP_1)
	v_fma_f64 v[220:221], -v[220:221], v[233:234], v[235:236]
	v_div_fmas_f64 v[220:221], v[220:221], v[222:223], v[233:234]
	s_delay_alu instid0(VALU_DEP_1) | instskip(NEXT) | instid1(VALU_DEP_1)
	v_div_fixup_f64 v[220:221], v[220:221], v[216:217], v[218:219]
	v_fma_f64 v[216:217], v[218:219], v[220:221], v[216:217]
	s_delay_alu instid0(VALU_DEP_1) | instskip(NEXT) | instid1(VALU_DEP_1)
	v_div_scale_f64 v[218:219], null, v[216:217], v[216:217], 1.0
	v_rcp_f64_e32 v[222:223], v[218:219]
	s_waitcnt_depctr 0xfff
	v_fma_f64 v[233:234], -v[218:219], v[222:223], 1.0
	s_delay_alu instid0(VALU_DEP_1) | instskip(NEXT) | instid1(VALU_DEP_1)
	v_fma_f64 v[222:223], v[222:223], v[233:234], v[222:223]
	v_fma_f64 v[233:234], -v[218:219], v[222:223], 1.0
	s_delay_alu instid0(VALU_DEP_1) | instskip(SKIP_1) | instid1(VALU_DEP_1)
	v_fma_f64 v[222:223], v[222:223], v[233:234], v[222:223]
	v_div_scale_f64 v[233:234], vcc_lo, 1.0, v[216:217], 1.0
	v_mul_f64 v[235:236], v[233:234], v[222:223]
	s_delay_alu instid0(VALU_DEP_1) | instskip(NEXT) | instid1(VALU_DEP_1)
	v_fma_f64 v[218:219], -v[218:219], v[235:236], v[233:234]
	v_div_fmas_f64 v[218:219], v[218:219], v[222:223], v[235:236]
	s_delay_alu instid0(VALU_DEP_1) | instskip(NEXT) | instid1(VALU_DEP_1)
	v_div_fixup_f64 v[216:217], v[218:219], v[216:217], 1.0
	v_mul_f64 v[218:219], v[220:221], -v[216:217]
.LBB106_618:
	s_or_b32 exec_lo, exec_lo, s2
.LBB106_619:
	s_delay_alu instid0(SALU_CYCLE_1) | instskip(NEXT) | instid1(SALU_CYCLE_1)
	s_or_b32 exec_lo, exec_lo, s3
	s_mov_b32 s2, exec_lo
	v_cmpx_ne_u32_e64 v232, v224
	s_xor_b32 s2, exec_lo, s2
	s_cbranch_execz .LBB106_625
; %bb.620:
	s_mov_b32 s3, exec_lo
	v_cmpx_eq_u32_e32 29, v232
	s_cbranch_execz .LBB106_624
; %bb.621:
	v_cmp_ne_u32_e32 vcc_lo, 29, v224
	s_xor_b32 s6, s4, -1
	s_delay_alu instid0(SALU_CYCLE_1) | instskip(NEXT) | instid1(SALU_CYCLE_1)
	s_and_b32 s7, s6, vcc_lo
	s_and_saveexec_b32 s6, s7
	s_cbranch_execz .LBB106_623
; %bb.622:
	v_ashrrev_i32_e32 v225, 31, v224
	s_delay_alu instid0(VALU_DEP_1) | instskip(NEXT) | instid1(VALU_DEP_1)
	v_lshlrev_b64 v[220:221], 2, v[224:225]
	v_add_co_u32 v220, vcc_lo, v214, v220
	s_delay_alu instid0(VALU_DEP_2)
	v_add_co_ci_u32_e32 v221, vcc_lo, v215, v221, vcc_lo
	s_clause 0x1
	flat_load_b32 v222, v[220:221]
	flat_load_b32 v223, v[214:215] offset:116
	s_waitcnt vmcnt(1) lgkmcnt(1)
	flat_store_b32 v[214:215], v222 offset:116
	s_waitcnt vmcnt(0) lgkmcnt(1)
	flat_store_b32 v[220:221], v223
.LBB106_623:
	s_or_b32 exec_lo, exec_lo, s6
	v_mov_b32_e32 v232, v224
	v_mov_b32_e32 v231, v224
.LBB106_624:
	s_or_b32 exec_lo, exec_lo, s3
.LBB106_625:
	s_and_not1_saveexec_b32 s2, s2
	s_cbranch_execz .LBB106_627
; %bb.626:
	v_mov_b32_e32 v232, 29
	ds_store_2addr_b64 v226, v[92:93], v[94:95] offset0:60 offset1:61
	ds_store_2addr_b64 v226, v[88:89], v[90:91] offset0:62 offset1:63
	;; [unrolled: 1-line block ×24, first 2 shown]
.LBB106_627:
	s_or_b32 exec_lo, exec_lo, s2
	s_delay_alu instid0(SALU_CYCLE_1)
	s_mov_b32 s2, exec_lo
	s_waitcnt lgkmcnt(0)
	s_waitcnt_vscnt null, 0x0
	s_barrier
	buffer_gl0_inv
	v_cmpx_lt_i32_e32 29, v232
	s_cbranch_execz .LBB106_629
; %bb.628:
	v_mul_f64 v[220:221], v[218:219], v[98:99]
	v_mul_f64 v[98:99], v[216:217], v[98:99]
	s_delay_alu instid0(VALU_DEP_2) | instskip(NEXT) | instid1(VALU_DEP_2)
	v_fma_f64 v[224:225], v[216:217], v[96:97], -v[220:221]
	v_fma_f64 v[98:99], v[218:219], v[96:97], v[98:99]
	ds_load_2addr_b64 v[216:219], v226 offset0:60 offset1:61
	s_waitcnt lgkmcnt(0)
	v_mul_f64 v[96:97], v[218:219], v[98:99]
	s_delay_alu instid0(VALU_DEP_1) | instskip(SKIP_1) | instid1(VALU_DEP_2)
	v_fma_f64 v[96:97], v[216:217], v[224:225], -v[96:97]
	v_mul_f64 v[216:217], v[216:217], v[98:99]
	v_add_f64 v[92:93], v[92:93], -v[96:97]
	s_delay_alu instid0(VALU_DEP_2) | instskip(NEXT) | instid1(VALU_DEP_1)
	v_fma_f64 v[216:217], v[218:219], v[224:225], v[216:217]
	v_add_f64 v[94:95], v[94:95], -v[216:217]
	ds_load_2addr_b64 v[216:219], v226 offset0:62 offset1:63
	s_waitcnt lgkmcnt(0)
	v_mul_f64 v[96:97], v[218:219], v[98:99]
	s_delay_alu instid0(VALU_DEP_1) | instskip(SKIP_1) | instid1(VALU_DEP_2)
	v_fma_f64 v[96:97], v[216:217], v[224:225], -v[96:97]
	v_mul_f64 v[216:217], v[216:217], v[98:99]
	v_add_f64 v[88:89], v[88:89], -v[96:97]
	s_delay_alu instid0(VALU_DEP_2) | instskip(NEXT) | instid1(VALU_DEP_1)
	v_fma_f64 v[216:217], v[218:219], v[224:225], v[216:217]
	v_add_f64 v[90:91], v[90:91], -v[216:217]
	ds_load_2addr_b64 v[216:219], v226 offset0:64 offset1:65
	s_waitcnt lgkmcnt(0)
	v_mul_f64 v[96:97], v[218:219], v[98:99]
	s_delay_alu instid0(VALU_DEP_1) | instskip(SKIP_1) | instid1(VALU_DEP_2)
	v_fma_f64 v[96:97], v[216:217], v[224:225], -v[96:97]
	v_mul_f64 v[216:217], v[216:217], v[98:99]
	v_add_f64 v[84:85], v[84:85], -v[96:97]
	s_delay_alu instid0(VALU_DEP_2) | instskip(NEXT) | instid1(VALU_DEP_1)
	v_fma_f64 v[216:217], v[218:219], v[224:225], v[216:217]
	v_add_f64 v[86:87], v[86:87], -v[216:217]
	ds_load_2addr_b64 v[216:219], v226 offset0:66 offset1:67
	s_waitcnt lgkmcnt(0)
	v_mul_f64 v[96:97], v[218:219], v[98:99]
	s_delay_alu instid0(VALU_DEP_1) | instskip(SKIP_1) | instid1(VALU_DEP_2)
	v_fma_f64 v[96:97], v[216:217], v[224:225], -v[96:97]
	v_mul_f64 v[216:217], v[216:217], v[98:99]
	v_add_f64 v[80:81], v[80:81], -v[96:97]
	s_delay_alu instid0(VALU_DEP_2) | instskip(NEXT) | instid1(VALU_DEP_1)
	v_fma_f64 v[216:217], v[218:219], v[224:225], v[216:217]
	v_add_f64 v[82:83], v[82:83], -v[216:217]
	ds_load_2addr_b64 v[216:219], v226 offset0:68 offset1:69
	s_waitcnt lgkmcnt(0)
	v_mul_f64 v[96:97], v[218:219], v[98:99]
	s_delay_alu instid0(VALU_DEP_1) | instskip(SKIP_1) | instid1(VALU_DEP_2)
	v_fma_f64 v[96:97], v[216:217], v[224:225], -v[96:97]
	v_mul_f64 v[216:217], v[216:217], v[98:99]
	v_add_f64 v[76:77], v[76:77], -v[96:97]
	s_delay_alu instid0(VALU_DEP_2) | instskip(NEXT) | instid1(VALU_DEP_1)
	v_fma_f64 v[216:217], v[218:219], v[224:225], v[216:217]
	v_add_f64 v[78:79], v[78:79], -v[216:217]
	ds_load_2addr_b64 v[216:219], v226 offset0:70 offset1:71
	s_waitcnt lgkmcnt(0)
	v_mul_f64 v[96:97], v[218:219], v[98:99]
	s_delay_alu instid0(VALU_DEP_1) | instskip(SKIP_1) | instid1(VALU_DEP_2)
	v_fma_f64 v[96:97], v[216:217], v[224:225], -v[96:97]
	v_mul_f64 v[216:217], v[216:217], v[98:99]
	v_add_f64 v[72:73], v[72:73], -v[96:97]
	s_delay_alu instid0(VALU_DEP_2) | instskip(NEXT) | instid1(VALU_DEP_1)
	v_fma_f64 v[216:217], v[218:219], v[224:225], v[216:217]
	v_add_f64 v[74:75], v[74:75], -v[216:217]
	ds_load_2addr_b64 v[216:219], v226 offset0:72 offset1:73
	s_waitcnt lgkmcnt(0)
	v_mul_f64 v[96:97], v[218:219], v[98:99]
	s_delay_alu instid0(VALU_DEP_1) | instskip(SKIP_1) | instid1(VALU_DEP_2)
	v_fma_f64 v[96:97], v[216:217], v[224:225], -v[96:97]
	v_mul_f64 v[216:217], v[216:217], v[98:99]
	v_add_f64 v[68:69], v[68:69], -v[96:97]
	s_delay_alu instid0(VALU_DEP_2) | instskip(NEXT) | instid1(VALU_DEP_1)
	v_fma_f64 v[216:217], v[218:219], v[224:225], v[216:217]
	v_add_f64 v[70:71], v[70:71], -v[216:217]
	ds_load_2addr_b64 v[216:219], v226 offset0:74 offset1:75
	s_waitcnt lgkmcnt(0)
	v_mul_f64 v[96:97], v[218:219], v[98:99]
	s_delay_alu instid0(VALU_DEP_1) | instskip(SKIP_1) | instid1(VALU_DEP_2)
	v_fma_f64 v[96:97], v[216:217], v[224:225], -v[96:97]
	v_mul_f64 v[216:217], v[216:217], v[98:99]
	v_add_f64 v[64:65], v[64:65], -v[96:97]
	s_delay_alu instid0(VALU_DEP_2) | instskip(NEXT) | instid1(VALU_DEP_1)
	v_fma_f64 v[216:217], v[218:219], v[224:225], v[216:217]
	v_add_f64 v[66:67], v[66:67], -v[216:217]
	ds_load_2addr_b64 v[216:219], v226 offset0:76 offset1:77
	s_waitcnt lgkmcnt(0)
	v_mul_f64 v[96:97], v[218:219], v[98:99]
	s_delay_alu instid0(VALU_DEP_1) | instskip(SKIP_1) | instid1(VALU_DEP_2)
	v_fma_f64 v[96:97], v[216:217], v[224:225], -v[96:97]
	v_mul_f64 v[216:217], v[216:217], v[98:99]
	v_add_f64 v[60:61], v[60:61], -v[96:97]
	s_delay_alu instid0(VALU_DEP_2) | instskip(NEXT) | instid1(VALU_DEP_1)
	v_fma_f64 v[216:217], v[218:219], v[224:225], v[216:217]
	v_add_f64 v[62:63], v[62:63], -v[216:217]
	ds_load_2addr_b64 v[216:219], v226 offset0:78 offset1:79
	s_waitcnt lgkmcnt(0)
	v_mul_f64 v[96:97], v[218:219], v[98:99]
	s_delay_alu instid0(VALU_DEP_1) | instskip(SKIP_1) | instid1(VALU_DEP_2)
	v_fma_f64 v[96:97], v[216:217], v[224:225], -v[96:97]
	v_mul_f64 v[216:217], v[216:217], v[98:99]
	v_add_f64 v[56:57], v[56:57], -v[96:97]
	s_delay_alu instid0(VALU_DEP_2) | instskip(NEXT) | instid1(VALU_DEP_1)
	v_fma_f64 v[216:217], v[218:219], v[224:225], v[216:217]
	v_add_f64 v[58:59], v[58:59], -v[216:217]
	ds_load_2addr_b64 v[216:219], v226 offset0:80 offset1:81
	s_waitcnt lgkmcnt(0)
	v_mul_f64 v[96:97], v[218:219], v[98:99]
	s_delay_alu instid0(VALU_DEP_1) | instskip(SKIP_1) | instid1(VALU_DEP_2)
	v_fma_f64 v[96:97], v[216:217], v[224:225], -v[96:97]
	v_mul_f64 v[216:217], v[216:217], v[98:99]
	v_add_f64 v[52:53], v[52:53], -v[96:97]
	s_delay_alu instid0(VALU_DEP_2) | instskip(NEXT) | instid1(VALU_DEP_1)
	v_fma_f64 v[216:217], v[218:219], v[224:225], v[216:217]
	v_add_f64 v[54:55], v[54:55], -v[216:217]
	ds_load_2addr_b64 v[216:219], v226 offset0:82 offset1:83
	s_waitcnt lgkmcnt(0)
	v_mul_f64 v[96:97], v[218:219], v[98:99]
	s_delay_alu instid0(VALU_DEP_1) | instskip(SKIP_1) | instid1(VALU_DEP_2)
	v_fma_f64 v[96:97], v[216:217], v[224:225], -v[96:97]
	v_mul_f64 v[216:217], v[216:217], v[98:99]
	v_add_f64 v[48:49], v[48:49], -v[96:97]
	s_delay_alu instid0(VALU_DEP_2) | instskip(NEXT) | instid1(VALU_DEP_1)
	v_fma_f64 v[216:217], v[218:219], v[224:225], v[216:217]
	v_add_f64 v[50:51], v[50:51], -v[216:217]
	ds_load_2addr_b64 v[216:219], v226 offset0:84 offset1:85
	s_waitcnt lgkmcnt(0)
	v_mul_f64 v[96:97], v[218:219], v[98:99]
	s_delay_alu instid0(VALU_DEP_1) | instskip(SKIP_1) | instid1(VALU_DEP_2)
	v_fma_f64 v[96:97], v[216:217], v[224:225], -v[96:97]
	v_mul_f64 v[216:217], v[216:217], v[98:99]
	v_add_f64 v[44:45], v[44:45], -v[96:97]
	s_delay_alu instid0(VALU_DEP_2) | instskip(NEXT) | instid1(VALU_DEP_1)
	v_fma_f64 v[216:217], v[218:219], v[224:225], v[216:217]
	v_add_f64 v[46:47], v[46:47], -v[216:217]
	ds_load_2addr_b64 v[216:219], v226 offset0:86 offset1:87
	s_waitcnt lgkmcnt(0)
	v_mul_f64 v[96:97], v[218:219], v[98:99]
	s_delay_alu instid0(VALU_DEP_1) | instskip(SKIP_1) | instid1(VALU_DEP_2)
	v_fma_f64 v[96:97], v[216:217], v[224:225], -v[96:97]
	v_mul_f64 v[216:217], v[216:217], v[98:99]
	v_add_f64 v[40:41], v[40:41], -v[96:97]
	s_delay_alu instid0(VALU_DEP_2) | instskip(NEXT) | instid1(VALU_DEP_1)
	v_fma_f64 v[216:217], v[218:219], v[224:225], v[216:217]
	v_add_f64 v[42:43], v[42:43], -v[216:217]
	ds_load_2addr_b64 v[216:219], v226 offset0:88 offset1:89
	s_waitcnt lgkmcnt(0)
	v_mul_f64 v[96:97], v[218:219], v[98:99]
	s_delay_alu instid0(VALU_DEP_1) | instskip(SKIP_1) | instid1(VALU_DEP_2)
	v_fma_f64 v[96:97], v[216:217], v[224:225], -v[96:97]
	v_mul_f64 v[216:217], v[216:217], v[98:99]
	v_add_f64 v[36:37], v[36:37], -v[96:97]
	s_delay_alu instid0(VALU_DEP_2) | instskip(NEXT) | instid1(VALU_DEP_1)
	v_fma_f64 v[216:217], v[218:219], v[224:225], v[216:217]
	v_add_f64 v[38:39], v[38:39], -v[216:217]
	ds_load_2addr_b64 v[216:219], v226 offset0:90 offset1:91
	s_waitcnt lgkmcnt(0)
	v_mul_f64 v[96:97], v[218:219], v[98:99]
	s_delay_alu instid0(VALU_DEP_1) | instskip(SKIP_1) | instid1(VALU_DEP_2)
	v_fma_f64 v[96:97], v[216:217], v[224:225], -v[96:97]
	v_mul_f64 v[216:217], v[216:217], v[98:99]
	v_add_f64 v[32:33], v[32:33], -v[96:97]
	s_delay_alu instid0(VALU_DEP_2) | instskip(NEXT) | instid1(VALU_DEP_1)
	v_fma_f64 v[216:217], v[218:219], v[224:225], v[216:217]
	v_add_f64 v[34:35], v[34:35], -v[216:217]
	ds_load_2addr_b64 v[216:219], v226 offset0:92 offset1:93
	s_waitcnt lgkmcnt(0)
	v_mul_f64 v[96:97], v[218:219], v[98:99]
	s_delay_alu instid0(VALU_DEP_1) | instskip(SKIP_1) | instid1(VALU_DEP_2)
	v_fma_f64 v[96:97], v[216:217], v[224:225], -v[96:97]
	v_mul_f64 v[216:217], v[216:217], v[98:99]
	v_add_f64 v[28:29], v[28:29], -v[96:97]
	s_delay_alu instid0(VALU_DEP_2) | instskip(NEXT) | instid1(VALU_DEP_1)
	v_fma_f64 v[216:217], v[218:219], v[224:225], v[216:217]
	v_add_f64 v[30:31], v[30:31], -v[216:217]
	ds_load_2addr_b64 v[216:219], v226 offset0:94 offset1:95
	s_waitcnt lgkmcnt(0)
	v_mul_f64 v[96:97], v[218:219], v[98:99]
	s_delay_alu instid0(VALU_DEP_1) | instskip(SKIP_1) | instid1(VALU_DEP_2)
	v_fma_f64 v[96:97], v[216:217], v[224:225], -v[96:97]
	v_mul_f64 v[216:217], v[216:217], v[98:99]
	v_add_f64 v[24:25], v[24:25], -v[96:97]
	s_delay_alu instid0(VALU_DEP_2) | instskip(NEXT) | instid1(VALU_DEP_1)
	v_fma_f64 v[216:217], v[218:219], v[224:225], v[216:217]
	v_add_f64 v[26:27], v[26:27], -v[216:217]
	ds_load_2addr_b64 v[216:219], v226 offset0:96 offset1:97
	s_waitcnt lgkmcnt(0)
	v_mul_f64 v[96:97], v[218:219], v[98:99]
	s_delay_alu instid0(VALU_DEP_1) | instskip(SKIP_1) | instid1(VALU_DEP_2)
	v_fma_f64 v[96:97], v[216:217], v[224:225], -v[96:97]
	v_mul_f64 v[216:217], v[216:217], v[98:99]
	v_add_f64 v[20:21], v[20:21], -v[96:97]
	s_delay_alu instid0(VALU_DEP_2) | instskip(NEXT) | instid1(VALU_DEP_1)
	v_fma_f64 v[216:217], v[218:219], v[224:225], v[216:217]
	v_add_f64 v[22:23], v[22:23], -v[216:217]
	ds_load_2addr_b64 v[216:219], v226 offset0:98 offset1:99
	s_waitcnt lgkmcnt(0)
	v_mul_f64 v[96:97], v[218:219], v[98:99]
	s_delay_alu instid0(VALU_DEP_1) | instskip(SKIP_1) | instid1(VALU_DEP_2)
	v_fma_f64 v[96:97], v[216:217], v[224:225], -v[96:97]
	v_mul_f64 v[216:217], v[216:217], v[98:99]
	v_add_f64 v[16:17], v[16:17], -v[96:97]
	s_delay_alu instid0(VALU_DEP_2) | instskip(NEXT) | instid1(VALU_DEP_1)
	v_fma_f64 v[216:217], v[218:219], v[224:225], v[216:217]
	v_add_f64 v[18:19], v[18:19], -v[216:217]
	ds_load_2addr_b64 v[216:219], v226 offset0:100 offset1:101
	s_waitcnt lgkmcnt(0)
	v_mul_f64 v[96:97], v[218:219], v[98:99]
	s_delay_alu instid0(VALU_DEP_1) | instskip(SKIP_1) | instid1(VALU_DEP_2)
	v_fma_f64 v[96:97], v[216:217], v[224:225], -v[96:97]
	v_mul_f64 v[216:217], v[216:217], v[98:99]
	v_add_f64 v[12:13], v[12:13], -v[96:97]
	s_delay_alu instid0(VALU_DEP_2) | instskip(NEXT) | instid1(VALU_DEP_1)
	v_fma_f64 v[216:217], v[218:219], v[224:225], v[216:217]
	v_add_f64 v[14:15], v[14:15], -v[216:217]
	ds_load_2addr_b64 v[216:219], v226 offset0:102 offset1:103
	s_waitcnt lgkmcnt(0)
	v_mul_f64 v[96:97], v[218:219], v[98:99]
	s_delay_alu instid0(VALU_DEP_1) | instskip(SKIP_1) | instid1(VALU_DEP_2)
	v_fma_f64 v[96:97], v[216:217], v[224:225], -v[96:97]
	v_mul_f64 v[216:217], v[216:217], v[98:99]
	v_add_f64 v[251:252], v[251:252], -v[96:97]
	s_delay_alu instid0(VALU_DEP_2) | instskip(NEXT) | instid1(VALU_DEP_1)
	v_fma_f64 v[216:217], v[218:219], v[224:225], v[216:217]
	v_add_f64 v[253:254], v[253:254], -v[216:217]
	ds_load_2addr_b64 v[216:219], v226 offset0:104 offset1:105
	s_waitcnt lgkmcnt(0)
	v_mul_f64 v[96:97], v[218:219], v[98:99]
	s_delay_alu instid0(VALU_DEP_1) | instskip(SKIP_1) | instid1(VALU_DEP_2)
	v_fma_f64 v[96:97], v[216:217], v[224:225], -v[96:97]
	v_mul_f64 v[216:217], v[216:217], v[98:99]
	v_add_f64 v[247:248], v[247:248], -v[96:97]
	s_delay_alu instid0(VALU_DEP_2) | instskip(NEXT) | instid1(VALU_DEP_1)
	v_fma_f64 v[216:217], v[218:219], v[224:225], v[216:217]
	v_add_f64 v[249:250], v[249:250], -v[216:217]
	ds_load_2addr_b64 v[216:219], v226 offset0:106 offset1:107
	s_waitcnt lgkmcnt(0)
	v_mul_f64 v[96:97], v[218:219], v[98:99]
	s_delay_alu instid0(VALU_DEP_1) | instskip(SKIP_1) | instid1(VALU_DEP_2)
	v_fma_f64 v[96:97], v[216:217], v[224:225], -v[96:97]
	v_mul_f64 v[216:217], v[216:217], v[98:99]
	v_add_f64 v[0:1], v[0:1], -v[96:97]
	s_delay_alu instid0(VALU_DEP_2) | instskip(SKIP_1) | instid1(VALU_DEP_2)
	v_fma_f64 v[216:217], v[218:219], v[224:225], v[216:217]
	v_dual_mov_b32 v96, v224 :: v_dual_mov_b32 v97, v225
	v_add_f64 v[2:3], v[2:3], -v[216:217]
.LBB106_629:
	s_or_b32 exec_lo, exec_lo, s2
	v_lshl_add_u32 v216, v232, 4, v226
	s_barrier
	buffer_gl0_inv
	v_mov_b32_e32 v224, 30
	ds_store_2addr_b64 v216, v[92:93], v[94:95] offset1:1
	s_waitcnt lgkmcnt(0)
	s_barrier
	buffer_gl0_inv
	ds_load_2addr_b64 v[216:219], v226 offset0:60 offset1:61
	s_cmp_lt_i32 s5, 32
	s_cbranch_scc1 .LBB106_632
; %bb.630:
	v_add3_u32 v225, v230, 0, 0x1f0
	v_mov_b32_e32 v224, 30
	s_mov_b32 s6, 31
	s_set_inst_prefetch_distance 0x1
	.p2align	6
.LBB106_631:                            ; =>This Inner Loop Header: Depth=1
	ds_load_2addr_b64 v[233:236], v225 offset1:1
	s_waitcnt lgkmcnt(1)
	v_cmp_gt_f64_e32 vcc_lo, 0, v[216:217]
	v_xor_b32_e32 v220, 0x80000000, v217
	v_cmp_gt_f64_e64 s2, 0, v[218:219]
	v_xor_b32_e32 v222, 0x80000000, v219
	v_add_nc_u32_e32 v225, 16, v225
	s_waitcnt lgkmcnt(0)
	v_cmp_gt_f64_e64 s3, 0, v[233:234]
	v_mov_b32_e32 v237, v233
	v_mov_b32_e32 v239, v235
	v_cndmask_b32_e32 v221, v217, v220, vcc_lo
	v_xor_b32_e32 v220, 0x80000000, v234
	v_cndmask_b32_e64 v223, v219, v222, s2
	v_xor_b32_e32 v222, 0x80000000, v236
	s_delay_alu instid0(VALU_DEP_3) | instskip(SKIP_2) | instid1(VALU_DEP_2)
	v_cndmask_b32_e64 v238, v234, v220, s3
	v_cmp_gt_f64_e64 s3, 0, v[235:236]
	v_cndmask_b32_e32 v220, v216, v216, vcc_lo
	v_cndmask_b32_e64 v240, v236, v222, s3
	v_cndmask_b32_e64 v222, v218, v218, s2
	s_delay_alu instid0(VALU_DEP_2) | instskip(NEXT) | instid1(VALU_DEP_2)
	v_add_f64 v[237:238], v[237:238], v[239:240]
	v_add_f64 v[220:221], v[220:221], v[222:223]
	s_delay_alu instid0(VALU_DEP_1) | instskip(SKIP_4) | instid1(SALU_CYCLE_1)
	v_cmp_lt_f64_e32 vcc_lo, v[220:221], v[237:238]
	v_dual_cndmask_b32 v216, v216, v233 :: v_dual_cndmask_b32 v217, v217, v234
	v_dual_cndmask_b32 v219, v219, v236 :: v_dual_cndmask_b32 v218, v218, v235
	v_cndmask_b32_e64 v224, v224, s6, vcc_lo
	s_add_i32 s6, s6, 1
	s_cmp_lg_u32 s5, s6
	s_cbranch_scc1 .LBB106_631
.LBB106_632:
	s_set_inst_prefetch_distance 0x2
	s_waitcnt lgkmcnt(0)
	v_cmp_eq_f64_e32 vcc_lo, 0, v[216:217]
	v_cmp_eq_f64_e64 s2, 0, v[218:219]
	s_delay_alu instid0(VALU_DEP_1) | instskip(NEXT) | instid1(SALU_CYCLE_1)
	s_and_b32 s2, vcc_lo, s2
	s_and_saveexec_b32 s3, s2
	s_delay_alu instid0(SALU_CYCLE_1)
	s_xor_b32 s2, exec_lo, s3
; %bb.633:
	v_cmp_ne_u32_e32 vcc_lo, 0, v229
	v_cndmask_b32_e32 v229, 31, v229, vcc_lo
; %bb.634:
	s_and_not1_saveexec_b32 s3, s2
	s_cbranch_execz .LBB106_640
; %bb.635:
	v_cmp_gt_f64_e32 vcc_lo, 0, v[216:217]
	v_cmp_gt_f64_e64 s2, 0, v[218:219]
	v_xor_b32_e32 v220, 0x80000000, v217
	v_xor_b32_e32 v222, 0x80000000, v219
	s_delay_alu instid0(VALU_DEP_2) | instskip(NEXT) | instid1(VALU_DEP_2)
	v_cndmask_b32_e32 v221, v217, v220, vcc_lo
	v_cndmask_b32_e64 v223, v219, v222, s2
	v_cndmask_b32_e32 v220, v216, v216, vcc_lo
	v_cndmask_b32_e64 v222, v218, v218, s2
	s_mov_b32 s2, exec_lo
	s_delay_alu instid0(VALU_DEP_1)
	v_cmpx_ngt_f64_e32 v[220:221], v[222:223]
	s_xor_b32 s2, exec_lo, s2
	s_cbranch_execz .LBB106_637
; %bb.636:
	v_div_scale_f64 v[220:221], null, v[218:219], v[218:219], v[216:217]
	v_div_scale_f64 v[235:236], vcc_lo, v[216:217], v[218:219], v[216:217]
	s_delay_alu instid0(VALU_DEP_2) | instskip(SKIP_2) | instid1(VALU_DEP_1)
	v_rcp_f64_e32 v[222:223], v[220:221]
	s_waitcnt_depctr 0xfff
	v_fma_f64 v[233:234], -v[220:221], v[222:223], 1.0
	v_fma_f64 v[222:223], v[222:223], v[233:234], v[222:223]
	s_delay_alu instid0(VALU_DEP_1) | instskip(NEXT) | instid1(VALU_DEP_1)
	v_fma_f64 v[233:234], -v[220:221], v[222:223], 1.0
	v_fma_f64 v[222:223], v[222:223], v[233:234], v[222:223]
	s_delay_alu instid0(VALU_DEP_1) | instskip(NEXT) | instid1(VALU_DEP_1)
	v_mul_f64 v[233:234], v[235:236], v[222:223]
	v_fma_f64 v[220:221], -v[220:221], v[233:234], v[235:236]
	s_delay_alu instid0(VALU_DEP_1) | instskip(NEXT) | instid1(VALU_DEP_1)
	v_div_fmas_f64 v[220:221], v[220:221], v[222:223], v[233:234]
	v_div_fixup_f64 v[220:221], v[220:221], v[218:219], v[216:217]
	s_delay_alu instid0(VALU_DEP_1) | instskip(NEXT) | instid1(VALU_DEP_1)
	v_fma_f64 v[216:217], v[216:217], v[220:221], v[218:219]
	v_div_scale_f64 v[218:219], null, v[216:217], v[216:217], 1.0
	s_delay_alu instid0(VALU_DEP_1) | instskip(SKIP_2) | instid1(VALU_DEP_1)
	v_rcp_f64_e32 v[222:223], v[218:219]
	s_waitcnt_depctr 0xfff
	v_fma_f64 v[233:234], -v[218:219], v[222:223], 1.0
	v_fma_f64 v[222:223], v[222:223], v[233:234], v[222:223]
	s_delay_alu instid0(VALU_DEP_1) | instskip(NEXT) | instid1(VALU_DEP_1)
	v_fma_f64 v[233:234], -v[218:219], v[222:223], 1.0
	v_fma_f64 v[222:223], v[222:223], v[233:234], v[222:223]
	v_div_scale_f64 v[233:234], vcc_lo, 1.0, v[216:217], 1.0
	s_delay_alu instid0(VALU_DEP_1) | instskip(NEXT) | instid1(VALU_DEP_1)
	v_mul_f64 v[235:236], v[233:234], v[222:223]
	v_fma_f64 v[218:219], -v[218:219], v[235:236], v[233:234]
	s_delay_alu instid0(VALU_DEP_1) | instskip(NEXT) | instid1(VALU_DEP_1)
	v_div_fmas_f64 v[218:219], v[218:219], v[222:223], v[235:236]
	v_div_fixup_f64 v[218:219], v[218:219], v[216:217], 1.0
	s_delay_alu instid0(VALU_DEP_1)
	v_mul_f64 v[216:217], v[220:221], v[218:219]
	v_xor_b32_e32 v219, 0x80000000, v219
.LBB106_637:
	s_and_not1_saveexec_b32 s2, s2
	s_cbranch_execz .LBB106_639
; %bb.638:
	s_delay_alu instid0(VALU_DEP_1) | instskip(SKIP_1) | instid1(VALU_DEP_2)
	v_div_scale_f64 v[220:221], null, v[216:217], v[216:217], v[218:219]
	v_div_scale_f64 v[235:236], vcc_lo, v[218:219], v[216:217], v[218:219]
	v_rcp_f64_e32 v[222:223], v[220:221]
	s_waitcnt_depctr 0xfff
	v_fma_f64 v[233:234], -v[220:221], v[222:223], 1.0
	s_delay_alu instid0(VALU_DEP_1) | instskip(NEXT) | instid1(VALU_DEP_1)
	v_fma_f64 v[222:223], v[222:223], v[233:234], v[222:223]
	v_fma_f64 v[233:234], -v[220:221], v[222:223], 1.0
	s_delay_alu instid0(VALU_DEP_1) | instskip(NEXT) | instid1(VALU_DEP_1)
	v_fma_f64 v[222:223], v[222:223], v[233:234], v[222:223]
	v_mul_f64 v[233:234], v[235:236], v[222:223]
	s_delay_alu instid0(VALU_DEP_1) | instskip(NEXT) | instid1(VALU_DEP_1)
	v_fma_f64 v[220:221], -v[220:221], v[233:234], v[235:236]
	v_div_fmas_f64 v[220:221], v[220:221], v[222:223], v[233:234]
	s_delay_alu instid0(VALU_DEP_1) | instskip(NEXT) | instid1(VALU_DEP_1)
	v_div_fixup_f64 v[220:221], v[220:221], v[216:217], v[218:219]
	v_fma_f64 v[216:217], v[218:219], v[220:221], v[216:217]
	s_delay_alu instid0(VALU_DEP_1) | instskip(NEXT) | instid1(VALU_DEP_1)
	v_div_scale_f64 v[218:219], null, v[216:217], v[216:217], 1.0
	v_rcp_f64_e32 v[222:223], v[218:219]
	s_waitcnt_depctr 0xfff
	v_fma_f64 v[233:234], -v[218:219], v[222:223], 1.0
	s_delay_alu instid0(VALU_DEP_1) | instskip(NEXT) | instid1(VALU_DEP_1)
	v_fma_f64 v[222:223], v[222:223], v[233:234], v[222:223]
	v_fma_f64 v[233:234], -v[218:219], v[222:223], 1.0
	s_delay_alu instid0(VALU_DEP_1) | instskip(SKIP_1) | instid1(VALU_DEP_1)
	v_fma_f64 v[222:223], v[222:223], v[233:234], v[222:223]
	v_div_scale_f64 v[233:234], vcc_lo, 1.0, v[216:217], 1.0
	v_mul_f64 v[235:236], v[233:234], v[222:223]
	s_delay_alu instid0(VALU_DEP_1) | instskip(NEXT) | instid1(VALU_DEP_1)
	v_fma_f64 v[218:219], -v[218:219], v[235:236], v[233:234]
	v_div_fmas_f64 v[218:219], v[218:219], v[222:223], v[235:236]
	s_delay_alu instid0(VALU_DEP_1) | instskip(NEXT) | instid1(VALU_DEP_1)
	v_div_fixup_f64 v[216:217], v[218:219], v[216:217], 1.0
	v_mul_f64 v[218:219], v[220:221], -v[216:217]
.LBB106_639:
	s_or_b32 exec_lo, exec_lo, s2
.LBB106_640:
	s_delay_alu instid0(SALU_CYCLE_1) | instskip(NEXT) | instid1(SALU_CYCLE_1)
	s_or_b32 exec_lo, exec_lo, s3
	s_mov_b32 s2, exec_lo
	v_cmpx_ne_u32_e64 v232, v224
	s_xor_b32 s2, exec_lo, s2
	s_cbranch_execz .LBB106_646
; %bb.641:
	s_mov_b32 s3, exec_lo
	v_cmpx_eq_u32_e32 30, v232
	s_cbranch_execz .LBB106_645
; %bb.642:
	v_cmp_ne_u32_e32 vcc_lo, 30, v224
	s_xor_b32 s6, s4, -1
	s_delay_alu instid0(SALU_CYCLE_1) | instskip(NEXT) | instid1(SALU_CYCLE_1)
	s_and_b32 s7, s6, vcc_lo
	s_and_saveexec_b32 s6, s7
	s_cbranch_execz .LBB106_644
; %bb.643:
	v_ashrrev_i32_e32 v225, 31, v224
	s_delay_alu instid0(VALU_DEP_1) | instskip(NEXT) | instid1(VALU_DEP_1)
	v_lshlrev_b64 v[220:221], 2, v[224:225]
	v_add_co_u32 v220, vcc_lo, v214, v220
	s_delay_alu instid0(VALU_DEP_2)
	v_add_co_ci_u32_e32 v221, vcc_lo, v215, v221, vcc_lo
	s_clause 0x1
	flat_load_b32 v222, v[220:221]
	flat_load_b32 v223, v[214:215] offset:120
	s_waitcnt vmcnt(1) lgkmcnt(1)
	flat_store_b32 v[214:215], v222 offset:120
	s_waitcnt vmcnt(0) lgkmcnt(1)
	flat_store_b32 v[220:221], v223
.LBB106_644:
	s_or_b32 exec_lo, exec_lo, s6
	v_mov_b32_e32 v232, v224
	v_mov_b32_e32 v231, v224
.LBB106_645:
	s_or_b32 exec_lo, exec_lo, s3
.LBB106_646:
	s_and_not1_saveexec_b32 s2, s2
	s_cbranch_execz .LBB106_648
; %bb.647:
	v_mov_b32_e32 v232, 30
	ds_store_2addr_b64 v226, v[88:89], v[90:91] offset0:62 offset1:63
	ds_store_2addr_b64 v226, v[84:85], v[86:87] offset0:64 offset1:65
	;; [unrolled: 1-line block ×23, first 2 shown]
.LBB106_648:
	s_or_b32 exec_lo, exec_lo, s2
	s_delay_alu instid0(SALU_CYCLE_1)
	s_mov_b32 s2, exec_lo
	s_waitcnt lgkmcnt(0)
	s_waitcnt_vscnt null, 0x0
	s_barrier
	buffer_gl0_inv
	v_cmpx_lt_i32_e32 30, v232
	s_cbranch_execz .LBB106_650
; %bb.649:
	v_mul_f64 v[220:221], v[218:219], v[94:95]
	v_mul_f64 v[94:95], v[216:217], v[94:95]
	s_delay_alu instid0(VALU_DEP_2) | instskip(NEXT) | instid1(VALU_DEP_2)
	v_fma_f64 v[224:225], v[216:217], v[92:93], -v[220:221]
	v_fma_f64 v[94:95], v[218:219], v[92:93], v[94:95]
	ds_load_2addr_b64 v[216:219], v226 offset0:62 offset1:63
	s_waitcnt lgkmcnt(0)
	v_mul_f64 v[92:93], v[218:219], v[94:95]
	s_delay_alu instid0(VALU_DEP_1) | instskip(SKIP_1) | instid1(VALU_DEP_2)
	v_fma_f64 v[92:93], v[216:217], v[224:225], -v[92:93]
	v_mul_f64 v[216:217], v[216:217], v[94:95]
	v_add_f64 v[88:89], v[88:89], -v[92:93]
	s_delay_alu instid0(VALU_DEP_2) | instskip(NEXT) | instid1(VALU_DEP_1)
	v_fma_f64 v[216:217], v[218:219], v[224:225], v[216:217]
	v_add_f64 v[90:91], v[90:91], -v[216:217]
	ds_load_2addr_b64 v[216:219], v226 offset0:64 offset1:65
	s_waitcnt lgkmcnt(0)
	v_mul_f64 v[92:93], v[218:219], v[94:95]
	s_delay_alu instid0(VALU_DEP_1) | instskip(SKIP_1) | instid1(VALU_DEP_2)
	v_fma_f64 v[92:93], v[216:217], v[224:225], -v[92:93]
	v_mul_f64 v[216:217], v[216:217], v[94:95]
	v_add_f64 v[84:85], v[84:85], -v[92:93]
	s_delay_alu instid0(VALU_DEP_2) | instskip(NEXT) | instid1(VALU_DEP_1)
	v_fma_f64 v[216:217], v[218:219], v[224:225], v[216:217]
	v_add_f64 v[86:87], v[86:87], -v[216:217]
	;; [unrolled: 10-line block ×22, first 2 shown]
	ds_load_2addr_b64 v[216:219], v226 offset0:106 offset1:107
	s_waitcnt lgkmcnt(0)
	v_mul_f64 v[92:93], v[218:219], v[94:95]
	s_delay_alu instid0(VALU_DEP_1) | instskip(SKIP_1) | instid1(VALU_DEP_2)
	v_fma_f64 v[92:93], v[216:217], v[224:225], -v[92:93]
	v_mul_f64 v[216:217], v[216:217], v[94:95]
	v_add_f64 v[0:1], v[0:1], -v[92:93]
	s_delay_alu instid0(VALU_DEP_2) | instskip(SKIP_1) | instid1(VALU_DEP_2)
	v_fma_f64 v[216:217], v[218:219], v[224:225], v[216:217]
	v_dual_mov_b32 v92, v224 :: v_dual_mov_b32 v93, v225
	v_add_f64 v[2:3], v[2:3], -v[216:217]
.LBB106_650:
	s_or_b32 exec_lo, exec_lo, s2
	v_lshl_add_u32 v216, v232, 4, v226
	s_barrier
	buffer_gl0_inv
	v_mov_b32_e32 v224, 31
	ds_store_2addr_b64 v216, v[88:89], v[90:91] offset1:1
	s_waitcnt lgkmcnt(0)
	s_barrier
	buffer_gl0_inv
	ds_load_2addr_b64 v[216:219], v226 offset0:62 offset1:63
	s_cmp_lt_i32 s5, 33
	s_cbranch_scc1 .LBB106_653
; %bb.651:
	v_add3_u32 v225, v230, 0, 0x200
	v_mov_b32_e32 v224, 31
	s_mov_b32 s6, 32
	s_set_inst_prefetch_distance 0x1
	.p2align	6
.LBB106_652:                            ; =>This Inner Loop Header: Depth=1
	ds_load_2addr_b64 v[233:236], v225 offset1:1
	s_waitcnt lgkmcnt(1)
	v_cmp_gt_f64_e32 vcc_lo, 0, v[216:217]
	v_xor_b32_e32 v220, 0x80000000, v217
	v_cmp_gt_f64_e64 s2, 0, v[218:219]
	v_xor_b32_e32 v222, 0x80000000, v219
	v_add_nc_u32_e32 v225, 16, v225
	s_waitcnt lgkmcnt(0)
	v_cmp_gt_f64_e64 s3, 0, v[233:234]
	v_mov_b32_e32 v237, v233
	v_mov_b32_e32 v239, v235
	v_cndmask_b32_e32 v221, v217, v220, vcc_lo
	v_xor_b32_e32 v220, 0x80000000, v234
	v_cndmask_b32_e64 v223, v219, v222, s2
	v_xor_b32_e32 v222, 0x80000000, v236
	s_delay_alu instid0(VALU_DEP_3) | instskip(SKIP_2) | instid1(VALU_DEP_2)
	v_cndmask_b32_e64 v238, v234, v220, s3
	v_cmp_gt_f64_e64 s3, 0, v[235:236]
	v_cndmask_b32_e32 v220, v216, v216, vcc_lo
	v_cndmask_b32_e64 v240, v236, v222, s3
	v_cndmask_b32_e64 v222, v218, v218, s2
	s_delay_alu instid0(VALU_DEP_2) | instskip(NEXT) | instid1(VALU_DEP_2)
	v_add_f64 v[237:238], v[237:238], v[239:240]
	v_add_f64 v[220:221], v[220:221], v[222:223]
	s_delay_alu instid0(VALU_DEP_1) | instskip(SKIP_4) | instid1(SALU_CYCLE_1)
	v_cmp_lt_f64_e32 vcc_lo, v[220:221], v[237:238]
	v_dual_cndmask_b32 v216, v216, v233 :: v_dual_cndmask_b32 v217, v217, v234
	v_dual_cndmask_b32 v219, v219, v236 :: v_dual_cndmask_b32 v218, v218, v235
	v_cndmask_b32_e64 v224, v224, s6, vcc_lo
	s_add_i32 s6, s6, 1
	s_cmp_lg_u32 s5, s6
	s_cbranch_scc1 .LBB106_652
.LBB106_653:
	s_set_inst_prefetch_distance 0x2
	s_waitcnt lgkmcnt(0)
	v_cmp_eq_f64_e32 vcc_lo, 0, v[216:217]
	v_cmp_eq_f64_e64 s2, 0, v[218:219]
	s_delay_alu instid0(VALU_DEP_1) | instskip(NEXT) | instid1(SALU_CYCLE_1)
	s_and_b32 s2, vcc_lo, s2
	s_and_saveexec_b32 s3, s2
	s_delay_alu instid0(SALU_CYCLE_1)
	s_xor_b32 s2, exec_lo, s3
; %bb.654:
	v_cmp_ne_u32_e32 vcc_lo, 0, v229
	v_cndmask_b32_e32 v229, 32, v229, vcc_lo
; %bb.655:
	s_and_not1_saveexec_b32 s3, s2
	s_cbranch_execz .LBB106_661
; %bb.656:
	v_cmp_gt_f64_e32 vcc_lo, 0, v[216:217]
	v_cmp_gt_f64_e64 s2, 0, v[218:219]
	v_xor_b32_e32 v220, 0x80000000, v217
	v_xor_b32_e32 v222, 0x80000000, v219
	s_delay_alu instid0(VALU_DEP_2) | instskip(NEXT) | instid1(VALU_DEP_2)
	v_cndmask_b32_e32 v221, v217, v220, vcc_lo
	v_cndmask_b32_e64 v223, v219, v222, s2
	v_cndmask_b32_e32 v220, v216, v216, vcc_lo
	v_cndmask_b32_e64 v222, v218, v218, s2
	s_mov_b32 s2, exec_lo
	s_delay_alu instid0(VALU_DEP_1)
	v_cmpx_ngt_f64_e32 v[220:221], v[222:223]
	s_xor_b32 s2, exec_lo, s2
	s_cbranch_execz .LBB106_658
; %bb.657:
	v_div_scale_f64 v[220:221], null, v[218:219], v[218:219], v[216:217]
	v_div_scale_f64 v[235:236], vcc_lo, v[216:217], v[218:219], v[216:217]
	s_delay_alu instid0(VALU_DEP_2) | instskip(SKIP_2) | instid1(VALU_DEP_1)
	v_rcp_f64_e32 v[222:223], v[220:221]
	s_waitcnt_depctr 0xfff
	v_fma_f64 v[233:234], -v[220:221], v[222:223], 1.0
	v_fma_f64 v[222:223], v[222:223], v[233:234], v[222:223]
	s_delay_alu instid0(VALU_DEP_1) | instskip(NEXT) | instid1(VALU_DEP_1)
	v_fma_f64 v[233:234], -v[220:221], v[222:223], 1.0
	v_fma_f64 v[222:223], v[222:223], v[233:234], v[222:223]
	s_delay_alu instid0(VALU_DEP_1) | instskip(NEXT) | instid1(VALU_DEP_1)
	v_mul_f64 v[233:234], v[235:236], v[222:223]
	v_fma_f64 v[220:221], -v[220:221], v[233:234], v[235:236]
	s_delay_alu instid0(VALU_DEP_1) | instskip(NEXT) | instid1(VALU_DEP_1)
	v_div_fmas_f64 v[220:221], v[220:221], v[222:223], v[233:234]
	v_div_fixup_f64 v[220:221], v[220:221], v[218:219], v[216:217]
	s_delay_alu instid0(VALU_DEP_1) | instskip(NEXT) | instid1(VALU_DEP_1)
	v_fma_f64 v[216:217], v[216:217], v[220:221], v[218:219]
	v_div_scale_f64 v[218:219], null, v[216:217], v[216:217], 1.0
	s_delay_alu instid0(VALU_DEP_1) | instskip(SKIP_2) | instid1(VALU_DEP_1)
	v_rcp_f64_e32 v[222:223], v[218:219]
	s_waitcnt_depctr 0xfff
	v_fma_f64 v[233:234], -v[218:219], v[222:223], 1.0
	v_fma_f64 v[222:223], v[222:223], v[233:234], v[222:223]
	s_delay_alu instid0(VALU_DEP_1) | instskip(NEXT) | instid1(VALU_DEP_1)
	v_fma_f64 v[233:234], -v[218:219], v[222:223], 1.0
	v_fma_f64 v[222:223], v[222:223], v[233:234], v[222:223]
	v_div_scale_f64 v[233:234], vcc_lo, 1.0, v[216:217], 1.0
	s_delay_alu instid0(VALU_DEP_1) | instskip(NEXT) | instid1(VALU_DEP_1)
	v_mul_f64 v[235:236], v[233:234], v[222:223]
	v_fma_f64 v[218:219], -v[218:219], v[235:236], v[233:234]
	s_delay_alu instid0(VALU_DEP_1) | instskip(NEXT) | instid1(VALU_DEP_1)
	v_div_fmas_f64 v[218:219], v[218:219], v[222:223], v[235:236]
	v_div_fixup_f64 v[218:219], v[218:219], v[216:217], 1.0
	s_delay_alu instid0(VALU_DEP_1)
	v_mul_f64 v[216:217], v[220:221], v[218:219]
	v_xor_b32_e32 v219, 0x80000000, v219
.LBB106_658:
	s_and_not1_saveexec_b32 s2, s2
	s_cbranch_execz .LBB106_660
; %bb.659:
	s_delay_alu instid0(VALU_DEP_1) | instskip(SKIP_1) | instid1(VALU_DEP_2)
	v_div_scale_f64 v[220:221], null, v[216:217], v[216:217], v[218:219]
	v_div_scale_f64 v[235:236], vcc_lo, v[218:219], v[216:217], v[218:219]
	v_rcp_f64_e32 v[222:223], v[220:221]
	s_waitcnt_depctr 0xfff
	v_fma_f64 v[233:234], -v[220:221], v[222:223], 1.0
	s_delay_alu instid0(VALU_DEP_1) | instskip(NEXT) | instid1(VALU_DEP_1)
	v_fma_f64 v[222:223], v[222:223], v[233:234], v[222:223]
	v_fma_f64 v[233:234], -v[220:221], v[222:223], 1.0
	s_delay_alu instid0(VALU_DEP_1) | instskip(NEXT) | instid1(VALU_DEP_1)
	v_fma_f64 v[222:223], v[222:223], v[233:234], v[222:223]
	v_mul_f64 v[233:234], v[235:236], v[222:223]
	s_delay_alu instid0(VALU_DEP_1) | instskip(NEXT) | instid1(VALU_DEP_1)
	v_fma_f64 v[220:221], -v[220:221], v[233:234], v[235:236]
	v_div_fmas_f64 v[220:221], v[220:221], v[222:223], v[233:234]
	s_delay_alu instid0(VALU_DEP_1) | instskip(NEXT) | instid1(VALU_DEP_1)
	v_div_fixup_f64 v[220:221], v[220:221], v[216:217], v[218:219]
	v_fma_f64 v[216:217], v[218:219], v[220:221], v[216:217]
	s_delay_alu instid0(VALU_DEP_1) | instskip(NEXT) | instid1(VALU_DEP_1)
	v_div_scale_f64 v[218:219], null, v[216:217], v[216:217], 1.0
	v_rcp_f64_e32 v[222:223], v[218:219]
	s_waitcnt_depctr 0xfff
	v_fma_f64 v[233:234], -v[218:219], v[222:223], 1.0
	s_delay_alu instid0(VALU_DEP_1) | instskip(NEXT) | instid1(VALU_DEP_1)
	v_fma_f64 v[222:223], v[222:223], v[233:234], v[222:223]
	v_fma_f64 v[233:234], -v[218:219], v[222:223], 1.0
	s_delay_alu instid0(VALU_DEP_1) | instskip(SKIP_1) | instid1(VALU_DEP_1)
	v_fma_f64 v[222:223], v[222:223], v[233:234], v[222:223]
	v_div_scale_f64 v[233:234], vcc_lo, 1.0, v[216:217], 1.0
	v_mul_f64 v[235:236], v[233:234], v[222:223]
	s_delay_alu instid0(VALU_DEP_1) | instskip(NEXT) | instid1(VALU_DEP_1)
	v_fma_f64 v[218:219], -v[218:219], v[235:236], v[233:234]
	v_div_fmas_f64 v[218:219], v[218:219], v[222:223], v[235:236]
	s_delay_alu instid0(VALU_DEP_1) | instskip(NEXT) | instid1(VALU_DEP_1)
	v_div_fixup_f64 v[216:217], v[218:219], v[216:217], 1.0
	v_mul_f64 v[218:219], v[220:221], -v[216:217]
.LBB106_660:
	s_or_b32 exec_lo, exec_lo, s2
.LBB106_661:
	s_delay_alu instid0(SALU_CYCLE_1) | instskip(NEXT) | instid1(SALU_CYCLE_1)
	s_or_b32 exec_lo, exec_lo, s3
	s_mov_b32 s2, exec_lo
	v_cmpx_ne_u32_e64 v232, v224
	s_xor_b32 s2, exec_lo, s2
	s_cbranch_execz .LBB106_667
; %bb.662:
	s_mov_b32 s3, exec_lo
	v_cmpx_eq_u32_e32 31, v232
	s_cbranch_execz .LBB106_666
; %bb.663:
	v_cmp_ne_u32_e32 vcc_lo, 31, v224
	s_xor_b32 s6, s4, -1
	s_delay_alu instid0(SALU_CYCLE_1) | instskip(NEXT) | instid1(SALU_CYCLE_1)
	s_and_b32 s7, s6, vcc_lo
	s_and_saveexec_b32 s6, s7
	s_cbranch_execz .LBB106_665
; %bb.664:
	v_ashrrev_i32_e32 v225, 31, v224
	s_delay_alu instid0(VALU_DEP_1) | instskip(NEXT) | instid1(VALU_DEP_1)
	v_lshlrev_b64 v[220:221], 2, v[224:225]
	v_add_co_u32 v220, vcc_lo, v214, v220
	s_delay_alu instid0(VALU_DEP_2)
	v_add_co_ci_u32_e32 v221, vcc_lo, v215, v221, vcc_lo
	s_clause 0x1
	flat_load_b32 v222, v[220:221]
	flat_load_b32 v223, v[214:215] offset:124
	s_waitcnt vmcnt(1) lgkmcnt(1)
	flat_store_b32 v[214:215], v222 offset:124
	s_waitcnt vmcnt(0) lgkmcnt(1)
	flat_store_b32 v[220:221], v223
.LBB106_665:
	s_or_b32 exec_lo, exec_lo, s6
	v_mov_b32_e32 v232, v224
	v_mov_b32_e32 v231, v224
.LBB106_666:
	s_or_b32 exec_lo, exec_lo, s3
.LBB106_667:
	s_and_not1_saveexec_b32 s2, s2
	s_cbranch_execz .LBB106_669
; %bb.668:
	v_mov_b32_e32 v232, 31
	ds_store_2addr_b64 v226, v[84:85], v[86:87] offset0:64 offset1:65
	ds_store_2addr_b64 v226, v[80:81], v[82:83] offset0:66 offset1:67
	;; [unrolled: 1-line block ×22, first 2 shown]
.LBB106_669:
	s_or_b32 exec_lo, exec_lo, s2
	s_delay_alu instid0(SALU_CYCLE_1)
	s_mov_b32 s2, exec_lo
	s_waitcnt lgkmcnt(0)
	s_waitcnt_vscnt null, 0x0
	s_barrier
	buffer_gl0_inv
	v_cmpx_lt_i32_e32 31, v232
	s_cbranch_execz .LBB106_671
; %bb.670:
	v_mul_f64 v[220:221], v[218:219], v[90:91]
	v_mul_f64 v[90:91], v[216:217], v[90:91]
	s_delay_alu instid0(VALU_DEP_2) | instskip(NEXT) | instid1(VALU_DEP_2)
	v_fma_f64 v[224:225], v[216:217], v[88:89], -v[220:221]
	v_fma_f64 v[90:91], v[218:219], v[88:89], v[90:91]
	ds_load_2addr_b64 v[216:219], v226 offset0:64 offset1:65
	s_waitcnt lgkmcnt(0)
	v_mul_f64 v[88:89], v[218:219], v[90:91]
	s_delay_alu instid0(VALU_DEP_1) | instskip(SKIP_1) | instid1(VALU_DEP_2)
	v_fma_f64 v[88:89], v[216:217], v[224:225], -v[88:89]
	v_mul_f64 v[216:217], v[216:217], v[90:91]
	v_add_f64 v[84:85], v[84:85], -v[88:89]
	s_delay_alu instid0(VALU_DEP_2) | instskip(NEXT) | instid1(VALU_DEP_1)
	v_fma_f64 v[216:217], v[218:219], v[224:225], v[216:217]
	v_add_f64 v[86:87], v[86:87], -v[216:217]
	ds_load_2addr_b64 v[216:219], v226 offset0:66 offset1:67
	s_waitcnt lgkmcnt(0)
	v_mul_f64 v[88:89], v[218:219], v[90:91]
	s_delay_alu instid0(VALU_DEP_1) | instskip(SKIP_1) | instid1(VALU_DEP_2)
	v_fma_f64 v[88:89], v[216:217], v[224:225], -v[88:89]
	v_mul_f64 v[216:217], v[216:217], v[90:91]
	v_add_f64 v[80:81], v[80:81], -v[88:89]
	s_delay_alu instid0(VALU_DEP_2) | instskip(NEXT) | instid1(VALU_DEP_1)
	v_fma_f64 v[216:217], v[218:219], v[224:225], v[216:217]
	v_add_f64 v[82:83], v[82:83], -v[216:217]
	;; [unrolled: 10-line block ×21, first 2 shown]
	ds_load_2addr_b64 v[216:219], v226 offset0:106 offset1:107
	s_waitcnt lgkmcnt(0)
	v_mul_f64 v[88:89], v[218:219], v[90:91]
	s_delay_alu instid0(VALU_DEP_1) | instskip(SKIP_1) | instid1(VALU_DEP_2)
	v_fma_f64 v[88:89], v[216:217], v[224:225], -v[88:89]
	v_mul_f64 v[216:217], v[216:217], v[90:91]
	v_add_f64 v[0:1], v[0:1], -v[88:89]
	s_delay_alu instid0(VALU_DEP_2) | instskip(SKIP_1) | instid1(VALU_DEP_2)
	v_fma_f64 v[216:217], v[218:219], v[224:225], v[216:217]
	v_dual_mov_b32 v88, v224 :: v_dual_mov_b32 v89, v225
	v_add_f64 v[2:3], v[2:3], -v[216:217]
.LBB106_671:
	s_or_b32 exec_lo, exec_lo, s2
	v_lshl_add_u32 v216, v232, 4, v226
	s_barrier
	buffer_gl0_inv
	v_mov_b32_e32 v224, 32
	ds_store_2addr_b64 v216, v[84:85], v[86:87] offset1:1
	s_waitcnt lgkmcnt(0)
	s_barrier
	buffer_gl0_inv
	ds_load_2addr_b64 v[216:219], v226 offset0:64 offset1:65
	s_cmp_lt_i32 s5, 34
	s_cbranch_scc1 .LBB106_674
; %bb.672:
	v_add3_u32 v225, v230, 0, 0x210
	v_mov_b32_e32 v224, 32
	s_mov_b32 s6, 33
	s_set_inst_prefetch_distance 0x1
	.p2align	6
.LBB106_673:                            ; =>This Inner Loop Header: Depth=1
	ds_load_2addr_b64 v[233:236], v225 offset1:1
	s_waitcnt lgkmcnt(1)
	v_cmp_gt_f64_e32 vcc_lo, 0, v[216:217]
	v_xor_b32_e32 v220, 0x80000000, v217
	v_cmp_gt_f64_e64 s2, 0, v[218:219]
	v_xor_b32_e32 v222, 0x80000000, v219
	v_add_nc_u32_e32 v225, 16, v225
	s_waitcnt lgkmcnt(0)
	v_cmp_gt_f64_e64 s3, 0, v[233:234]
	v_mov_b32_e32 v237, v233
	v_mov_b32_e32 v239, v235
	v_cndmask_b32_e32 v221, v217, v220, vcc_lo
	v_xor_b32_e32 v220, 0x80000000, v234
	v_cndmask_b32_e64 v223, v219, v222, s2
	v_xor_b32_e32 v222, 0x80000000, v236
	s_delay_alu instid0(VALU_DEP_3) | instskip(SKIP_2) | instid1(VALU_DEP_2)
	v_cndmask_b32_e64 v238, v234, v220, s3
	v_cmp_gt_f64_e64 s3, 0, v[235:236]
	v_cndmask_b32_e32 v220, v216, v216, vcc_lo
	v_cndmask_b32_e64 v240, v236, v222, s3
	v_cndmask_b32_e64 v222, v218, v218, s2
	s_delay_alu instid0(VALU_DEP_2) | instskip(NEXT) | instid1(VALU_DEP_2)
	v_add_f64 v[237:238], v[237:238], v[239:240]
	v_add_f64 v[220:221], v[220:221], v[222:223]
	s_delay_alu instid0(VALU_DEP_1) | instskip(SKIP_4) | instid1(SALU_CYCLE_1)
	v_cmp_lt_f64_e32 vcc_lo, v[220:221], v[237:238]
	v_dual_cndmask_b32 v216, v216, v233 :: v_dual_cndmask_b32 v217, v217, v234
	v_dual_cndmask_b32 v219, v219, v236 :: v_dual_cndmask_b32 v218, v218, v235
	v_cndmask_b32_e64 v224, v224, s6, vcc_lo
	s_add_i32 s6, s6, 1
	s_cmp_lg_u32 s5, s6
	s_cbranch_scc1 .LBB106_673
.LBB106_674:
	s_set_inst_prefetch_distance 0x2
	s_waitcnt lgkmcnt(0)
	v_cmp_eq_f64_e32 vcc_lo, 0, v[216:217]
	v_cmp_eq_f64_e64 s2, 0, v[218:219]
	s_delay_alu instid0(VALU_DEP_1) | instskip(NEXT) | instid1(SALU_CYCLE_1)
	s_and_b32 s2, vcc_lo, s2
	s_and_saveexec_b32 s3, s2
	s_delay_alu instid0(SALU_CYCLE_1)
	s_xor_b32 s2, exec_lo, s3
; %bb.675:
	v_cmp_ne_u32_e32 vcc_lo, 0, v229
	v_cndmask_b32_e32 v229, 33, v229, vcc_lo
; %bb.676:
	s_and_not1_saveexec_b32 s3, s2
	s_cbranch_execz .LBB106_682
; %bb.677:
	v_cmp_gt_f64_e32 vcc_lo, 0, v[216:217]
	v_cmp_gt_f64_e64 s2, 0, v[218:219]
	v_xor_b32_e32 v220, 0x80000000, v217
	v_xor_b32_e32 v222, 0x80000000, v219
	s_delay_alu instid0(VALU_DEP_2) | instskip(NEXT) | instid1(VALU_DEP_2)
	v_cndmask_b32_e32 v221, v217, v220, vcc_lo
	v_cndmask_b32_e64 v223, v219, v222, s2
	v_cndmask_b32_e32 v220, v216, v216, vcc_lo
	v_cndmask_b32_e64 v222, v218, v218, s2
	s_mov_b32 s2, exec_lo
	s_delay_alu instid0(VALU_DEP_1)
	v_cmpx_ngt_f64_e32 v[220:221], v[222:223]
	s_xor_b32 s2, exec_lo, s2
	s_cbranch_execz .LBB106_679
; %bb.678:
	v_div_scale_f64 v[220:221], null, v[218:219], v[218:219], v[216:217]
	v_div_scale_f64 v[235:236], vcc_lo, v[216:217], v[218:219], v[216:217]
	s_delay_alu instid0(VALU_DEP_2) | instskip(SKIP_2) | instid1(VALU_DEP_1)
	v_rcp_f64_e32 v[222:223], v[220:221]
	s_waitcnt_depctr 0xfff
	v_fma_f64 v[233:234], -v[220:221], v[222:223], 1.0
	v_fma_f64 v[222:223], v[222:223], v[233:234], v[222:223]
	s_delay_alu instid0(VALU_DEP_1) | instskip(NEXT) | instid1(VALU_DEP_1)
	v_fma_f64 v[233:234], -v[220:221], v[222:223], 1.0
	v_fma_f64 v[222:223], v[222:223], v[233:234], v[222:223]
	s_delay_alu instid0(VALU_DEP_1) | instskip(NEXT) | instid1(VALU_DEP_1)
	v_mul_f64 v[233:234], v[235:236], v[222:223]
	v_fma_f64 v[220:221], -v[220:221], v[233:234], v[235:236]
	s_delay_alu instid0(VALU_DEP_1) | instskip(NEXT) | instid1(VALU_DEP_1)
	v_div_fmas_f64 v[220:221], v[220:221], v[222:223], v[233:234]
	v_div_fixup_f64 v[220:221], v[220:221], v[218:219], v[216:217]
	s_delay_alu instid0(VALU_DEP_1) | instskip(NEXT) | instid1(VALU_DEP_1)
	v_fma_f64 v[216:217], v[216:217], v[220:221], v[218:219]
	v_div_scale_f64 v[218:219], null, v[216:217], v[216:217], 1.0
	s_delay_alu instid0(VALU_DEP_1) | instskip(SKIP_2) | instid1(VALU_DEP_1)
	v_rcp_f64_e32 v[222:223], v[218:219]
	s_waitcnt_depctr 0xfff
	v_fma_f64 v[233:234], -v[218:219], v[222:223], 1.0
	v_fma_f64 v[222:223], v[222:223], v[233:234], v[222:223]
	s_delay_alu instid0(VALU_DEP_1) | instskip(NEXT) | instid1(VALU_DEP_1)
	v_fma_f64 v[233:234], -v[218:219], v[222:223], 1.0
	v_fma_f64 v[222:223], v[222:223], v[233:234], v[222:223]
	v_div_scale_f64 v[233:234], vcc_lo, 1.0, v[216:217], 1.0
	s_delay_alu instid0(VALU_DEP_1) | instskip(NEXT) | instid1(VALU_DEP_1)
	v_mul_f64 v[235:236], v[233:234], v[222:223]
	v_fma_f64 v[218:219], -v[218:219], v[235:236], v[233:234]
	s_delay_alu instid0(VALU_DEP_1) | instskip(NEXT) | instid1(VALU_DEP_1)
	v_div_fmas_f64 v[218:219], v[218:219], v[222:223], v[235:236]
	v_div_fixup_f64 v[218:219], v[218:219], v[216:217], 1.0
	s_delay_alu instid0(VALU_DEP_1)
	v_mul_f64 v[216:217], v[220:221], v[218:219]
	v_xor_b32_e32 v219, 0x80000000, v219
.LBB106_679:
	s_and_not1_saveexec_b32 s2, s2
	s_cbranch_execz .LBB106_681
; %bb.680:
	s_delay_alu instid0(VALU_DEP_1) | instskip(SKIP_1) | instid1(VALU_DEP_2)
	v_div_scale_f64 v[220:221], null, v[216:217], v[216:217], v[218:219]
	v_div_scale_f64 v[235:236], vcc_lo, v[218:219], v[216:217], v[218:219]
	v_rcp_f64_e32 v[222:223], v[220:221]
	s_waitcnt_depctr 0xfff
	v_fma_f64 v[233:234], -v[220:221], v[222:223], 1.0
	s_delay_alu instid0(VALU_DEP_1) | instskip(NEXT) | instid1(VALU_DEP_1)
	v_fma_f64 v[222:223], v[222:223], v[233:234], v[222:223]
	v_fma_f64 v[233:234], -v[220:221], v[222:223], 1.0
	s_delay_alu instid0(VALU_DEP_1) | instskip(NEXT) | instid1(VALU_DEP_1)
	v_fma_f64 v[222:223], v[222:223], v[233:234], v[222:223]
	v_mul_f64 v[233:234], v[235:236], v[222:223]
	s_delay_alu instid0(VALU_DEP_1) | instskip(NEXT) | instid1(VALU_DEP_1)
	v_fma_f64 v[220:221], -v[220:221], v[233:234], v[235:236]
	v_div_fmas_f64 v[220:221], v[220:221], v[222:223], v[233:234]
	s_delay_alu instid0(VALU_DEP_1) | instskip(NEXT) | instid1(VALU_DEP_1)
	v_div_fixup_f64 v[220:221], v[220:221], v[216:217], v[218:219]
	v_fma_f64 v[216:217], v[218:219], v[220:221], v[216:217]
	s_delay_alu instid0(VALU_DEP_1) | instskip(NEXT) | instid1(VALU_DEP_1)
	v_div_scale_f64 v[218:219], null, v[216:217], v[216:217], 1.0
	v_rcp_f64_e32 v[222:223], v[218:219]
	s_waitcnt_depctr 0xfff
	v_fma_f64 v[233:234], -v[218:219], v[222:223], 1.0
	s_delay_alu instid0(VALU_DEP_1) | instskip(NEXT) | instid1(VALU_DEP_1)
	v_fma_f64 v[222:223], v[222:223], v[233:234], v[222:223]
	v_fma_f64 v[233:234], -v[218:219], v[222:223], 1.0
	s_delay_alu instid0(VALU_DEP_1) | instskip(SKIP_1) | instid1(VALU_DEP_1)
	v_fma_f64 v[222:223], v[222:223], v[233:234], v[222:223]
	v_div_scale_f64 v[233:234], vcc_lo, 1.0, v[216:217], 1.0
	v_mul_f64 v[235:236], v[233:234], v[222:223]
	s_delay_alu instid0(VALU_DEP_1) | instskip(NEXT) | instid1(VALU_DEP_1)
	v_fma_f64 v[218:219], -v[218:219], v[235:236], v[233:234]
	v_div_fmas_f64 v[218:219], v[218:219], v[222:223], v[235:236]
	s_delay_alu instid0(VALU_DEP_1) | instskip(NEXT) | instid1(VALU_DEP_1)
	v_div_fixup_f64 v[216:217], v[218:219], v[216:217], 1.0
	v_mul_f64 v[218:219], v[220:221], -v[216:217]
.LBB106_681:
	s_or_b32 exec_lo, exec_lo, s2
.LBB106_682:
	s_delay_alu instid0(SALU_CYCLE_1) | instskip(NEXT) | instid1(SALU_CYCLE_1)
	s_or_b32 exec_lo, exec_lo, s3
	s_mov_b32 s2, exec_lo
	v_cmpx_ne_u32_e64 v232, v224
	s_xor_b32 s2, exec_lo, s2
	s_cbranch_execz .LBB106_688
; %bb.683:
	s_mov_b32 s3, exec_lo
	v_cmpx_eq_u32_e32 32, v232
	s_cbranch_execz .LBB106_687
; %bb.684:
	v_cmp_ne_u32_e32 vcc_lo, 32, v224
	s_xor_b32 s6, s4, -1
	s_delay_alu instid0(SALU_CYCLE_1) | instskip(NEXT) | instid1(SALU_CYCLE_1)
	s_and_b32 s7, s6, vcc_lo
	s_and_saveexec_b32 s6, s7
	s_cbranch_execz .LBB106_686
; %bb.685:
	v_ashrrev_i32_e32 v225, 31, v224
	s_delay_alu instid0(VALU_DEP_1) | instskip(NEXT) | instid1(VALU_DEP_1)
	v_lshlrev_b64 v[220:221], 2, v[224:225]
	v_add_co_u32 v220, vcc_lo, v214, v220
	s_delay_alu instid0(VALU_DEP_2)
	v_add_co_ci_u32_e32 v221, vcc_lo, v215, v221, vcc_lo
	s_clause 0x1
	flat_load_b32 v222, v[220:221]
	flat_load_b32 v223, v[214:215] offset:128
	s_waitcnt vmcnt(1) lgkmcnt(1)
	flat_store_b32 v[214:215], v222 offset:128
	s_waitcnt vmcnt(0) lgkmcnt(1)
	flat_store_b32 v[220:221], v223
.LBB106_686:
	s_or_b32 exec_lo, exec_lo, s6
	v_mov_b32_e32 v232, v224
	v_mov_b32_e32 v231, v224
.LBB106_687:
	s_or_b32 exec_lo, exec_lo, s3
.LBB106_688:
	s_and_not1_saveexec_b32 s2, s2
	s_cbranch_execz .LBB106_690
; %bb.689:
	v_mov_b32_e32 v232, 32
	ds_store_2addr_b64 v226, v[80:81], v[82:83] offset0:66 offset1:67
	ds_store_2addr_b64 v226, v[76:77], v[78:79] offset0:68 offset1:69
	;; [unrolled: 1-line block ×21, first 2 shown]
.LBB106_690:
	s_or_b32 exec_lo, exec_lo, s2
	s_delay_alu instid0(SALU_CYCLE_1)
	s_mov_b32 s2, exec_lo
	s_waitcnt lgkmcnt(0)
	s_waitcnt_vscnt null, 0x0
	s_barrier
	buffer_gl0_inv
	v_cmpx_lt_i32_e32 32, v232
	s_cbranch_execz .LBB106_692
; %bb.691:
	v_mul_f64 v[220:221], v[218:219], v[86:87]
	v_mul_f64 v[86:87], v[216:217], v[86:87]
	s_delay_alu instid0(VALU_DEP_2) | instskip(NEXT) | instid1(VALU_DEP_2)
	v_fma_f64 v[224:225], v[216:217], v[84:85], -v[220:221]
	v_fma_f64 v[86:87], v[218:219], v[84:85], v[86:87]
	ds_load_2addr_b64 v[216:219], v226 offset0:66 offset1:67
	s_waitcnt lgkmcnt(0)
	v_mul_f64 v[84:85], v[218:219], v[86:87]
	s_delay_alu instid0(VALU_DEP_1) | instskip(SKIP_1) | instid1(VALU_DEP_2)
	v_fma_f64 v[84:85], v[216:217], v[224:225], -v[84:85]
	v_mul_f64 v[216:217], v[216:217], v[86:87]
	v_add_f64 v[80:81], v[80:81], -v[84:85]
	s_delay_alu instid0(VALU_DEP_2) | instskip(NEXT) | instid1(VALU_DEP_1)
	v_fma_f64 v[216:217], v[218:219], v[224:225], v[216:217]
	v_add_f64 v[82:83], v[82:83], -v[216:217]
	ds_load_2addr_b64 v[216:219], v226 offset0:68 offset1:69
	s_waitcnt lgkmcnt(0)
	v_mul_f64 v[84:85], v[218:219], v[86:87]
	s_delay_alu instid0(VALU_DEP_1) | instskip(SKIP_1) | instid1(VALU_DEP_2)
	v_fma_f64 v[84:85], v[216:217], v[224:225], -v[84:85]
	v_mul_f64 v[216:217], v[216:217], v[86:87]
	v_add_f64 v[76:77], v[76:77], -v[84:85]
	s_delay_alu instid0(VALU_DEP_2) | instskip(NEXT) | instid1(VALU_DEP_1)
	v_fma_f64 v[216:217], v[218:219], v[224:225], v[216:217]
	v_add_f64 v[78:79], v[78:79], -v[216:217]
	;; [unrolled: 10-line block ×20, first 2 shown]
	ds_load_2addr_b64 v[216:219], v226 offset0:106 offset1:107
	s_waitcnt lgkmcnt(0)
	v_mul_f64 v[84:85], v[218:219], v[86:87]
	s_delay_alu instid0(VALU_DEP_1) | instskip(SKIP_1) | instid1(VALU_DEP_2)
	v_fma_f64 v[84:85], v[216:217], v[224:225], -v[84:85]
	v_mul_f64 v[216:217], v[216:217], v[86:87]
	v_add_f64 v[0:1], v[0:1], -v[84:85]
	s_delay_alu instid0(VALU_DEP_2) | instskip(SKIP_1) | instid1(VALU_DEP_2)
	v_fma_f64 v[216:217], v[218:219], v[224:225], v[216:217]
	v_dual_mov_b32 v84, v224 :: v_dual_mov_b32 v85, v225
	v_add_f64 v[2:3], v[2:3], -v[216:217]
.LBB106_692:
	s_or_b32 exec_lo, exec_lo, s2
	v_lshl_add_u32 v216, v232, 4, v226
	s_barrier
	buffer_gl0_inv
	v_mov_b32_e32 v224, 33
	ds_store_2addr_b64 v216, v[80:81], v[82:83] offset1:1
	s_waitcnt lgkmcnt(0)
	s_barrier
	buffer_gl0_inv
	ds_load_2addr_b64 v[216:219], v226 offset0:66 offset1:67
	s_cmp_lt_i32 s5, 35
	s_cbranch_scc1 .LBB106_695
; %bb.693:
	v_add3_u32 v225, v230, 0, 0x220
	v_mov_b32_e32 v224, 33
	s_mov_b32 s6, 34
	s_set_inst_prefetch_distance 0x1
	.p2align	6
.LBB106_694:                            ; =>This Inner Loop Header: Depth=1
	ds_load_2addr_b64 v[233:236], v225 offset1:1
	s_waitcnt lgkmcnt(1)
	v_cmp_gt_f64_e32 vcc_lo, 0, v[216:217]
	v_xor_b32_e32 v220, 0x80000000, v217
	v_cmp_gt_f64_e64 s2, 0, v[218:219]
	v_xor_b32_e32 v222, 0x80000000, v219
	v_add_nc_u32_e32 v225, 16, v225
	s_waitcnt lgkmcnt(0)
	v_cmp_gt_f64_e64 s3, 0, v[233:234]
	v_mov_b32_e32 v237, v233
	v_mov_b32_e32 v239, v235
	v_cndmask_b32_e32 v221, v217, v220, vcc_lo
	v_xor_b32_e32 v220, 0x80000000, v234
	v_cndmask_b32_e64 v223, v219, v222, s2
	v_xor_b32_e32 v222, 0x80000000, v236
	s_delay_alu instid0(VALU_DEP_3) | instskip(SKIP_2) | instid1(VALU_DEP_2)
	v_cndmask_b32_e64 v238, v234, v220, s3
	v_cmp_gt_f64_e64 s3, 0, v[235:236]
	v_cndmask_b32_e32 v220, v216, v216, vcc_lo
	v_cndmask_b32_e64 v240, v236, v222, s3
	v_cndmask_b32_e64 v222, v218, v218, s2
	s_delay_alu instid0(VALU_DEP_2) | instskip(NEXT) | instid1(VALU_DEP_2)
	v_add_f64 v[237:238], v[237:238], v[239:240]
	v_add_f64 v[220:221], v[220:221], v[222:223]
	s_delay_alu instid0(VALU_DEP_1) | instskip(SKIP_4) | instid1(SALU_CYCLE_1)
	v_cmp_lt_f64_e32 vcc_lo, v[220:221], v[237:238]
	v_dual_cndmask_b32 v216, v216, v233 :: v_dual_cndmask_b32 v217, v217, v234
	v_dual_cndmask_b32 v219, v219, v236 :: v_dual_cndmask_b32 v218, v218, v235
	v_cndmask_b32_e64 v224, v224, s6, vcc_lo
	s_add_i32 s6, s6, 1
	s_cmp_lg_u32 s5, s6
	s_cbranch_scc1 .LBB106_694
.LBB106_695:
	s_set_inst_prefetch_distance 0x2
	s_waitcnt lgkmcnt(0)
	v_cmp_eq_f64_e32 vcc_lo, 0, v[216:217]
	v_cmp_eq_f64_e64 s2, 0, v[218:219]
	s_delay_alu instid0(VALU_DEP_1) | instskip(NEXT) | instid1(SALU_CYCLE_1)
	s_and_b32 s2, vcc_lo, s2
	s_and_saveexec_b32 s3, s2
	s_delay_alu instid0(SALU_CYCLE_1)
	s_xor_b32 s2, exec_lo, s3
; %bb.696:
	v_cmp_ne_u32_e32 vcc_lo, 0, v229
	v_cndmask_b32_e32 v229, 34, v229, vcc_lo
; %bb.697:
	s_and_not1_saveexec_b32 s3, s2
	s_cbranch_execz .LBB106_703
; %bb.698:
	v_cmp_gt_f64_e32 vcc_lo, 0, v[216:217]
	v_cmp_gt_f64_e64 s2, 0, v[218:219]
	v_xor_b32_e32 v220, 0x80000000, v217
	v_xor_b32_e32 v222, 0x80000000, v219
	s_delay_alu instid0(VALU_DEP_2) | instskip(NEXT) | instid1(VALU_DEP_2)
	v_cndmask_b32_e32 v221, v217, v220, vcc_lo
	v_cndmask_b32_e64 v223, v219, v222, s2
	v_cndmask_b32_e32 v220, v216, v216, vcc_lo
	v_cndmask_b32_e64 v222, v218, v218, s2
	s_mov_b32 s2, exec_lo
	s_delay_alu instid0(VALU_DEP_1)
	v_cmpx_ngt_f64_e32 v[220:221], v[222:223]
	s_xor_b32 s2, exec_lo, s2
	s_cbranch_execz .LBB106_700
; %bb.699:
	v_div_scale_f64 v[220:221], null, v[218:219], v[218:219], v[216:217]
	v_div_scale_f64 v[235:236], vcc_lo, v[216:217], v[218:219], v[216:217]
	s_delay_alu instid0(VALU_DEP_2) | instskip(SKIP_2) | instid1(VALU_DEP_1)
	v_rcp_f64_e32 v[222:223], v[220:221]
	s_waitcnt_depctr 0xfff
	v_fma_f64 v[233:234], -v[220:221], v[222:223], 1.0
	v_fma_f64 v[222:223], v[222:223], v[233:234], v[222:223]
	s_delay_alu instid0(VALU_DEP_1) | instskip(NEXT) | instid1(VALU_DEP_1)
	v_fma_f64 v[233:234], -v[220:221], v[222:223], 1.0
	v_fma_f64 v[222:223], v[222:223], v[233:234], v[222:223]
	s_delay_alu instid0(VALU_DEP_1) | instskip(NEXT) | instid1(VALU_DEP_1)
	v_mul_f64 v[233:234], v[235:236], v[222:223]
	v_fma_f64 v[220:221], -v[220:221], v[233:234], v[235:236]
	s_delay_alu instid0(VALU_DEP_1) | instskip(NEXT) | instid1(VALU_DEP_1)
	v_div_fmas_f64 v[220:221], v[220:221], v[222:223], v[233:234]
	v_div_fixup_f64 v[220:221], v[220:221], v[218:219], v[216:217]
	s_delay_alu instid0(VALU_DEP_1) | instskip(NEXT) | instid1(VALU_DEP_1)
	v_fma_f64 v[216:217], v[216:217], v[220:221], v[218:219]
	v_div_scale_f64 v[218:219], null, v[216:217], v[216:217], 1.0
	s_delay_alu instid0(VALU_DEP_1) | instskip(SKIP_2) | instid1(VALU_DEP_1)
	v_rcp_f64_e32 v[222:223], v[218:219]
	s_waitcnt_depctr 0xfff
	v_fma_f64 v[233:234], -v[218:219], v[222:223], 1.0
	v_fma_f64 v[222:223], v[222:223], v[233:234], v[222:223]
	s_delay_alu instid0(VALU_DEP_1) | instskip(NEXT) | instid1(VALU_DEP_1)
	v_fma_f64 v[233:234], -v[218:219], v[222:223], 1.0
	v_fma_f64 v[222:223], v[222:223], v[233:234], v[222:223]
	v_div_scale_f64 v[233:234], vcc_lo, 1.0, v[216:217], 1.0
	s_delay_alu instid0(VALU_DEP_1) | instskip(NEXT) | instid1(VALU_DEP_1)
	v_mul_f64 v[235:236], v[233:234], v[222:223]
	v_fma_f64 v[218:219], -v[218:219], v[235:236], v[233:234]
	s_delay_alu instid0(VALU_DEP_1) | instskip(NEXT) | instid1(VALU_DEP_1)
	v_div_fmas_f64 v[218:219], v[218:219], v[222:223], v[235:236]
	v_div_fixup_f64 v[218:219], v[218:219], v[216:217], 1.0
	s_delay_alu instid0(VALU_DEP_1)
	v_mul_f64 v[216:217], v[220:221], v[218:219]
	v_xor_b32_e32 v219, 0x80000000, v219
.LBB106_700:
	s_and_not1_saveexec_b32 s2, s2
	s_cbranch_execz .LBB106_702
; %bb.701:
	s_delay_alu instid0(VALU_DEP_1) | instskip(SKIP_1) | instid1(VALU_DEP_2)
	v_div_scale_f64 v[220:221], null, v[216:217], v[216:217], v[218:219]
	v_div_scale_f64 v[235:236], vcc_lo, v[218:219], v[216:217], v[218:219]
	v_rcp_f64_e32 v[222:223], v[220:221]
	s_waitcnt_depctr 0xfff
	v_fma_f64 v[233:234], -v[220:221], v[222:223], 1.0
	s_delay_alu instid0(VALU_DEP_1) | instskip(NEXT) | instid1(VALU_DEP_1)
	v_fma_f64 v[222:223], v[222:223], v[233:234], v[222:223]
	v_fma_f64 v[233:234], -v[220:221], v[222:223], 1.0
	s_delay_alu instid0(VALU_DEP_1) | instskip(NEXT) | instid1(VALU_DEP_1)
	v_fma_f64 v[222:223], v[222:223], v[233:234], v[222:223]
	v_mul_f64 v[233:234], v[235:236], v[222:223]
	s_delay_alu instid0(VALU_DEP_1) | instskip(NEXT) | instid1(VALU_DEP_1)
	v_fma_f64 v[220:221], -v[220:221], v[233:234], v[235:236]
	v_div_fmas_f64 v[220:221], v[220:221], v[222:223], v[233:234]
	s_delay_alu instid0(VALU_DEP_1) | instskip(NEXT) | instid1(VALU_DEP_1)
	v_div_fixup_f64 v[220:221], v[220:221], v[216:217], v[218:219]
	v_fma_f64 v[216:217], v[218:219], v[220:221], v[216:217]
	s_delay_alu instid0(VALU_DEP_1) | instskip(NEXT) | instid1(VALU_DEP_1)
	v_div_scale_f64 v[218:219], null, v[216:217], v[216:217], 1.0
	v_rcp_f64_e32 v[222:223], v[218:219]
	s_waitcnt_depctr 0xfff
	v_fma_f64 v[233:234], -v[218:219], v[222:223], 1.0
	s_delay_alu instid0(VALU_DEP_1) | instskip(NEXT) | instid1(VALU_DEP_1)
	v_fma_f64 v[222:223], v[222:223], v[233:234], v[222:223]
	v_fma_f64 v[233:234], -v[218:219], v[222:223], 1.0
	s_delay_alu instid0(VALU_DEP_1) | instskip(SKIP_1) | instid1(VALU_DEP_1)
	v_fma_f64 v[222:223], v[222:223], v[233:234], v[222:223]
	v_div_scale_f64 v[233:234], vcc_lo, 1.0, v[216:217], 1.0
	v_mul_f64 v[235:236], v[233:234], v[222:223]
	s_delay_alu instid0(VALU_DEP_1) | instskip(NEXT) | instid1(VALU_DEP_1)
	v_fma_f64 v[218:219], -v[218:219], v[235:236], v[233:234]
	v_div_fmas_f64 v[218:219], v[218:219], v[222:223], v[235:236]
	s_delay_alu instid0(VALU_DEP_1) | instskip(NEXT) | instid1(VALU_DEP_1)
	v_div_fixup_f64 v[216:217], v[218:219], v[216:217], 1.0
	v_mul_f64 v[218:219], v[220:221], -v[216:217]
.LBB106_702:
	s_or_b32 exec_lo, exec_lo, s2
.LBB106_703:
	s_delay_alu instid0(SALU_CYCLE_1) | instskip(NEXT) | instid1(SALU_CYCLE_1)
	s_or_b32 exec_lo, exec_lo, s3
	s_mov_b32 s2, exec_lo
	v_cmpx_ne_u32_e64 v232, v224
	s_xor_b32 s2, exec_lo, s2
	s_cbranch_execz .LBB106_709
; %bb.704:
	s_mov_b32 s3, exec_lo
	v_cmpx_eq_u32_e32 33, v232
	s_cbranch_execz .LBB106_708
; %bb.705:
	v_cmp_ne_u32_e32 vcc_lo, 33, v224
	s_xor_b32 s6, s4, -1
	s_delay_alu instid0(SALU_CYCLE_1) | instskip(NEXT) | instid1(SALU_CYCLE_1)
	s_and_b32 s7, s6, vcc_lo
	s_and_saveexec_b32 s6, s7
	s_cbranch_execz .LBB106_707
; %bb.706:
	v_ashrrev_i32_e32 v225, 31, v224
	s_delay_alu instid0(VALU_DEP_1) | instskip(NEXT) | instid1(VALU_DEP_1)
	v_lshlrev_b64 v[220:221], 2, v[224:225]
	v_add_co_u32 v220, vcc_lo, v214, v220
	s_delay_alu instid0(VALU_DEP_2)
	v_add_co_ci_u32_e32 v221, vcc_lo, v215, v221, vcc_lo
	s_clause 0x1
	flat_load_b32 v222, v[220:221]
	flat_load_b32 v223, v[214:215] offset:132
	s_waitcnt vmcnt(1) lgkmcnt(1)
	flat_store_b32 v[214:215], v222 offset:132
	s_waitcnt vmcnt(0) lgkmcnt(1)
	flat_store_b32 v[220:221], v223
.LBB106_707:
	s_or_b32 exec_lo, exec_lo, s6
	v_mov_b32_e32 v232, v224
	v_mov_b32_e32 v231, v224
.LBB106_708:
	s_or_b32 exec_lo, exec_lo, s3
.LBB106_709:
	s_and_not1_saveexec_b32 s2, s2
	s_cbranch_execz .LBB106_711
; %bb.710:
	v_mov_b32_e32 v232, 33
	ds_store_2addr_b64 v226, v[76:77], v[78:79] offset0:68 offset1:69
	ds_store_2addr_b64 v226, v[72:73], v[74:75] offset0:70 offset1:71
	;; [unrolled: 1-line block ×20, first 2 shown]
.LBB106_711:
	s_or_b32 exec_lo, exec_lo, s2
	s_delay_alu instid0(SALU_CYCLE_1)
	s_mov_b32 s2, exec_lo
	s_waitcnt lgkmcnt(0)
	s_waitcnt_vscnt null, 0x0
	s_barrier
	buffer_gl0_inv
	v_cmpx_lt_i32_e32 33, v232
	s_cbranch_execz .LBB106_713
; %bb.712:
	v_mul_f64 v[220:221], v[218:219], v[82:83]
	v_mul_f64 v[82:83], v[216:217], v[82:83]
	s_delay_alu instid0(VALU_DEP_2) | instskip(NEXT) | instid1(VALU_DEP_2)
	v_fma_f64 v[224:225], v[216:217], v[80:81], -v[220:221]
	v_fma_f64 v[82:83], v[218:219], v[80:81], v[82:83]
	ds_load_2addr_b64 v[216:219], v226 offset0:68 offset1:69
	s_waitcnt lgkmcnt(0)
	v_mul_f64 v[80:81], v[218:219], v[82:83]
	s_delay_alu instid0(VALU_DEP_1) | instskip(SKIP_1) | instid1(VALU_DEP_2)
	v_fma_f64 v[80:81], v[216:217], v[224:225], -v[80:81]
	v_mul_f64 v[216:217], v[216:217], v[82:83]
	v_add_f64 v[76:77], v[76:77], -v[80:81]
	s_delay_alu instid0(VALU_DEP_2) | instskip(NEXT) | instid1(VALU_DEP_1)
	v_fma_f64 v[216:217], v[218:219], v[224:225], v[216:217]
	v_add_f64 v[78:79], v[78:79], -v[216:217]
	ds_load_2addr_b64 v[216:219], v226 offset0:70 offset1:71
	s_waitcnt lgkmcnt(0)
	v_mul_f64 v[80:81], v[218:219], v[82:83]
	s_delay_alu instid0(VALU_DEP_1) | instskip(SKIP_1) | instid1(VALU_DEP_2)
	v_fma_f64 v[80:81], v[216:217], v[224:225], -v[80:81]
	v_mul_f64 v[216:217], v[216:217], v[82:83]
	v_add_f64 v[72:73], v[72:73], -v[80:81]
	s_delay_alu instid0(VALU_DEP_2) | instskip(NEXT) | instid1(VALU_DEP_1)
	v_fma_f64 v[216:217], v[218:219], v[224:225], v[216:217]
	v_add_f64 v[74:75], v[74:75], -v[216:217]
	;; [unrolled: 10-line block ×19, first 2 shown]
	ds_load_2addr_b64 v[216:219], v226 offset0:106 offset1:107
	s_waitcnt lgkmcnt(0)
	v_mul_f64 v[80:81], v[218:219], v[82:83]
	s_delay_alu instid0(VALU_DEP_1) | instskip(SKIP_1) | instid1(VALU_DEP_2)
	v_fma_f64 v[80:81], v[216:217], v[224:225], -v[80:81]
	v_mul_f64 v[216:217], v[216:217], v[82:83]
	v_add_f64 v[0:1], v[0:1], -v[80:81]
	s_delay_alu instid0(VALU_DEP_2) | instskip(SKIP_1) | instid1(VALU_DEP_2)
	v_fma_f64 v[216:217], v[218:219], v[224:225], v[216:217]
	v_dual_mov_b32 v80, v224 :: v_dual_mov_b32 v81, v225
	v_add_f64 v[2:3], v[2:3], -v[216:217]
.LBB106_713:
	s_or_b32 exec_lo, exec_lo, s2
	v_lshl_add_u32 v216, v232, 4, v226
	s_barrier
	buffer_gl0_inv
	v_mov_b32_e32 v224, 34
	ds_store_2addr_b64 v216, v[76:77], v[78:79] offset1:1
	s_waitcnt lgkmcnt(0)
	s_barrier
	buffer_gl0_inv
	ds_load_2addr_b64 v[216:219], v226 offset0:68 offset1:69
	s_cmp_lt_i32 s5, 36
	s_cbranch_scc1 .LBB106_716
; %bb.714:
	v_add3_u32 v225, v230, 0, 0x230
	v_mov_b32_e32 v224, 34
	s_mov_b32 s6, 35
	s_set_inst_prefetch_distance 0x1
	.p2align	6
.LBB106_715:                            ; =>This Inner Loop Header: Depth=1
	ds_load_2addr_b64 v[233:236], v225 offset1:1
	s_waitcnt lgkmcnt(1)
	v_cmp_gt_f64_e32 vcc_lo, 0, v[216:217]
	v_xor_b32_e32 v220, 0x80000000, v217
	v_cmp_gt_f64_e64 s2, 0, v[218:219]
	v_xor_b32_e32 v222, 0x80000000, v219
	v_add_nc_u32_e32 v225, 16, v225
	s_waitcnt lgkmcnt(0)
	v_cmp_gt_f64_e64 s3, 0, v[233:234]
	v_mov_b32_e32 v237, v233
	v_mov_b32_e32 v239, v235
	v_cndmask_b32_e32 v221, v217, v220, vcc_lo
	v_xor_b32_e32 v220, 0x80000000, v234
	v_cndmask_b32_e64 v223, v219, v222, s2
	v_xor_b32_e32 v222, 0x80000000, v236
	s_delay_alu instid0(VALU_DEP_3) | instskip(SKIP_2) | instid1(VALU_DEP_2)
	v_cndmask_b32_e64 v238, v234, v220, s3
	v_cmp_gt_f64_e64 s3, 0, v[235:236]
	v_cndmask_b32_e32 v220, v216, v216, vcc_lo
	v_cndmask_b32_e64 v240, v236, v222, s3
	v_cndmask_b32_e64 v222, v218, v218, s2
	s_delay_alu instid0(VALU_DEP_2) | instskip(NEXT) | instid1(VALU_DEP_2)
	v_add_f64 v[237:238], v[237:238], v[239:240]
	v_add_f64 v[220:221], v[220:221], v[222:223]
	s_delay_alu instid0(VALU_DEP_1) | instskip(SKIP_4) | instid1(SALU_CYCLE_1)
	v_cmp_lt_f64_e32 vcc_lo, v[220:221], v[237:238]
	v_dual_cndmask_b32 v216, v216, v233 :: v_dual_cndmask_b32 v217, v217, v234
	v_dual_cndmask_b32 v219, v219, v236 :: v_dual_cndmask_b32 v218, v218, v235
	v_cndmask_b32_e64 v224, v224, s6, vcc_lo
	s_add_i32 s6, s6, 1
	s_cmp_lg_u32 s5, s6
	s_cbranch_scc1 .LBB106_715
.LBB106_716:
	s_set_inst_prefetch_distance 0x2
	s_waitcnt lgkmcnt(0)
	v_cmp_eq_f64_e32 vcc_lo, 0, v[216:217]
	v_cmp_eq_f64_e64 s2, 0, v[218:219]
	s_delay_alu instid0(VALU_DEP_1) | instskip(NEXT) | instid1(SALU_CYCLE_1)
	s_and_b32 s2, vcc_lo, s2
	s_and_saveexec_b32 s3, s2
	s_delay_alu instid0(SALU_CYCLE_1)
	s_xor_b32 s2, exec_lo, s3
; %bb.717:
	v_cmp_ne_u32_e32 vcc_lo, 0, v229
	v_cndmask_b32_e32 v229, 35, v229, vcc_lo
; %bb.718:
	s_and_not1_saveexec_b32 s3, s2
	s_cbranch_execz .LBB106_724
; %bb.719:
	v_cmp_gt_f64_e32 vcc_lo, 0, v[216:217]
	v_cmp_gt_f64_e64 s2, 0, v[218:219]
	v_xor_b32_e32 v220, 0x80000000, v217
	v_xor_b32_e32 v222, 0x80000000, v219
	s_delay_alu instid0(VALU_DEP_2) | instskip(NEXT) | instid1(VALU_DEP_2)
	v_cndmask_b32_e32 v221, v217, v220, vcc_lo
	v_cndmask_b32_e64 v223, v219, v222, s2
	v_cndmask_b32_e32 v220, v216, v216, vcc_lo
	v_cndmask_b32_e64 v222, v218, v218, s2
	s_mov_b32 s2, exec_lo
	s_delay_alu instid0(VALU_DEP_1)
	v_cmpx_ngt_f64_e32 v[220:221], v[222:223]
	s_xor_b32 s2, exec_lo, s2
	s_cbranch_execz .LBB106_721
; %bb.720:
	v_div_scale_f64 v[220:221], null, v[218:219], v[218:219], v[216:217]
	v_div_scale_f64 v[235:236], vcc_lo, v[216:217], v[218:219], v[216:217]
	s_delay_alu instid0(VALU_DEP_2) | instskip(SKIP_2) | instid1(VALU_DEP_1)
	v_rcp_f64_e32 v[222:223], v[220:221]
	s_waitcnt_depctr 0xfff
	v_fma_f64 v[233:234], -v[220:221], v[222:223], 1.0
	v_fma_f64 v[222:223], v[222:223], v[233:234], v[222:223]
	s_delay_alu instid0(VALU_DEP_1) | instskip(NEXT) | instid1(VALU_DEP_1)
	v_fma_f64 v[233:234], -v[220:221], v[222:223], 1.0
	v_fma_f64 v[222:223], v[222:223], v[233:234], v[222:223]
	s_delay_alu instid0(VALU_DEP_1) | instskip(NEXT) | instid1(VALU_DEP_1)
	v_mul_f64 v[233:234], v[235:236], v[222:223]
	v_fma_f64 v[220:221], -v[220:221], v[233:234], v[235:236]
	s_delay_alu instid0(VALU_DEP_1) | instskip(NEXT) | instid1(VALU_DEP_1)
	v_div_fmas_f64 v[220:221], v[220:221], v[222:223], v[233:234]
	v_div_fixup_f64 v[220:221], v[220:221], v[218:219], v[216:217]
	s_delay_alu instid0(VALU_DEP_1) | instskip(NEXT) | instid1(VALU_DEP_1)
	v_fma_f64 v[216:217], v[216:217], v[220:221], v[218:219]
	v_div_scale_f64 v[218:219], null, v[216:217], v[216:217], 1.0
	s_delay_alu instid0(VALU_DEP_1) | instskip(SKIP_2) | instid1(VALU_DEP_1)
	v_rcp_f64_e32 v[222:223], v[218:219]
	s_waitcnt_depctr 0xfff
	v_fma_f64 v[233:234], -v[218:219], v[222:223], 1.0
	v_fma_f64 v[222:223], v[222:223], v[233:234], v[222:223]
	s_delay_alu instid0(VALU_DEP_1) | instskip(NEXT) | instid1(VALU_DEP_1)
	v_fma_f64 v[233:234], -v[218:219], v[222:223], 1.0
	v_fma_f64 v[222:223], v[222:223], v[233:234], v[222:223]
	v_div_scale_f64 v[233:234], vcc_lo, 1.0, v[216:217], 1.0
	s_delay_alu instid0(VALU_DEP_1) | instskip(NEXT) | instid1(VALU_DEP_1)
	v_mul_f64 v[235:236], v[233:234], v[222:223]
	v_fma_f64 v[218:219], -v[218:219], v[235:236], v[233:234]
	s_delay_alu instid0(VALU_DEP_1) | instskip(NEXT) | instid1(VALU_DEP_1)
	v_div_fmas_f64 v[218:219], v[218:219], v[222:223], v[235:236]
	v_div_fixup_f64 v[218:219], v[218:219], v[216:217], 1.0
	s_delay_alu instid0(VALU_DEP_1)
	v_mul_f64 v[216:217], v[220:221], v[218:219]
	v_xor_b32_e32 v219, 0x80000000, v219
.LBB106_721:
	s_and_not1_saveexec_b32 s2, s2
	s_cbranch_execz .LBB106_723
; %bb.722:
	s_delay_alu instid0(VALU_DEP_1) | instskip(SKIP_1) | instid1(VALU_DEP_2)
	v_div_scale_f64 v[220:221], null, v[216:217], v[216:217], v[218:219]
	v_div_scale_f64 v[235:236], vcc_lo, v[218:219], v[216:217], v[218:219]
	v_rcp_f64_e32 v[222:223], v[220:221]
	s_waitcnt_depctr 0xfff
	v_fma_f64 v[233:234], -v[220:221], v[222:223], 1.0
	s_delay_alu instid0(VALU_DEP_1) | instskip(NEXT) | instid1(VALU_DEP_1)
	v_fma_f64 v[222:223], v[222:223], v[233:234], v[222:223]
	v_fma_f64 v[233:234], -v[220:221], v[222:223], 1.0
	s_delay_alu instid0(VALU_DEP_1) | instskip(NEXT) | instid1(VALU_DEP_1)
	v_fma_f64 v[222:223], v[222:223], v[233:234], v[222:223]
	v_mul_f64 v[233:234], v[235:236], v[222:223]
	s_delay_alu instid0(VALU_DEP_1) | instskip(NEXT) | instid1(VALU_DEP_1)
	v_fma_f64 v[220:221], -v[220:221], v[233:234], v[235:236]
	v_div_fmas_f64 v[220:221], v[220:221], v[222:223], v[233:234]
	s_delay_alu instid0(VALU_DEP_1) | instskip(NEXT) | instid1(VALU_DEP_1)
	v_div_fixup_f64 v[220:221], v[220:221], v[216:217], v[218:219]
	v_fma_f64 v[216:217], v[218:219], v[220:221], v[216:217]
	s_delay_alu instid0(VALU_DEP_1) | instskip(NEXT) | instid1(VALU_DEP_1)
	v_div_scale_f64 v[218:219], null, v[216:217], v[216:217], 1.0
	v_rcp_f64_e32 v[222:223], v[218:219]
	s_waitcnt_depctr 0xfff
	v_fma_f64 v[233:234], -v[218:219], v[222:223], 1.0
	s_delay_alu instid0(VALU_DEP_1) | instskip(NEXT) | instid1(VALU_DEP_1)
	v_fma_f64 v[222:223], v[222:223], v[233:234], v[222:223]
	v_fma_f64 v[233:234], -v[218:219], v[222:223], 1.0
	s_delay_alu instid0(VALU_DEP_1) | instskip(SKIP_1) | instid1(VALU_DEP_1)
	v_fma_f64 v[222:223], v[222:223], v[233:234], v[222:223]
	v_div_scale_f64 v[233:234], vcc_lo, 1.0, v[216:217], 1.0
	v_mul_f64 v[235:236], v[233:234], v[222:223]
	s_delay_alu instid0(VALU_DEP_1) | instskip(NEXT) | instid1(VALU_DEP_1)
	v_fma_f64 v[218:219], -v[218:219], v[235:236], v[233:234]
	v_div_fmas_f64 v[218:219], v[218:219], v[222:223], v[235:236]
	s_delay_alu instid0(VALU_DEP_1) | instskip(NEXT) | instid1(VALU_DEP_1)
	v_div_fixup_f64 v[216:217], v[218:219], v[216:217], 1.0
	v_mul_f64 v[218:219], v[220:221], -v[216:217]
.LBB106_723:
	s_or_b32 exec_lo, exec_lo, s2
.LBB106_724:
	s_delay_alu instid0(SALU_CYCLE_1) | instskip(NEXT) | instid1(SALU_CYCLE_1)
	s_or_b32 exec_lo, exec_lo, s3
	s_mov_b32 s2, exec_lo
	v_cmpx_ne_u32_e64 v232, v224
	s_xor_b32 s2, exec_lo, s2
	s_cbranch_execz .LBB106_730
; %bb.725:
	s_mov_b32 s3, exec_lo
	v_cmpx_eq_u32_e32 34, v232
	s_cbranch_execz .LBB106_729
; %bb.726:
	v_cmp_ne_u32_e32 vcc_lo, 34, v224
	s_xor_b32 s6, s4, -1
	s_delay_alu instid0(SALU_CYCLE_1) | instskip(NEXT) | instid1(SALU_CYCLE_1)
	s_and_b32 s7, s6, vcc_lo
	s_and_saveexec_b32 s6, s7
	s_cbranch_execz .LBB106_728
; %bb.727:
	v_ashrrev_i32_e32 v225, 31, v224
	s_delay_alu instid0(VALU_DEP_1) | instskip(NEXT) | instid1(VALU_DEP_1)
	v_lshlrev_b64 v[220:221], 2, v[224:225]
	v_add_co_u32 v220, vcc_lo, v214, v220
	s_delay_alu instid0(VALU_DEP_2)
	v_add_co_ci_u32_e32 v221, vcc_lo, v215, v221, vcc_lo
	s_clause 0x1
	flat_load_b32 v222, v[220:221]
	flat_load_b32 v223, v[214:215] offset:136
	s_waitcnt vmcnt(1) lgkmcnt(1)
	flat_store_b32 v[214:215], v222 offset:136
	s_waitcnt vmcnt(0) lgkmcnt(1)
	flat_store_b32 v[220:221], v223
.LBB106_728:
	s_or_b32 exec_lo, exec_lo, s6
	v_mov_b32_e32 v232, v224
	v_mov_b32_e32 v231, v224
.LBB106_729:
	s_or_b32 exec_lo, exec_lo, s3
.LBB106_730:
	s_and_not1_saveexec_b32 s2, s2
	s_cbranch_execz .LBB106_732
; %bb.731:
	v_mov_b32_e32 v232, 34
	ds_store_2addr_b64 v226, v[72:73], v[74:75] offset0:70 offset1:71
	ds_store_2addr_b64 v226, v[68:69], v[70:71] offset0:72 offset1:73
	;; [unrolled: 1-line block ×19, first 2 shown]
.LBB106_732:
	s_or_b32 exec_lo, exec_lo, s2
	s_delay_alu instid0(SALU_CYCLE_1)
	s_mov_b32 s2, exec_lo
	s_waitcnt lgkmcnt(0)
	s_waitcnt_vscnt null, 0x0
	s_barrier
	buffer_gl0_inv
	v_cmpx_lt_i32_e32 34, v232
	s_cbranch_execz .LBB106_734
; %bb.733:
	v_mul_f64 v[220:221], v[218:219], v[78:79]
	v_mul_f64 v[78:79], v[216:217], v[78:79]
	s_delay_alu instid0(VALU_DEP_2) | instskip(NEXT) | instid1(VALU_DEP_2)
	v_fma_f64 v[224:225], v[216:217], v[76:77], -v[220:221]
	v_fma_f64 v[78:79], v[218:219], v[76:77], v[78:79]
	ds_load_2addr_b64 v[216:219], v226 offset0:70 offset1:71
	s_waitcnt lgkmcnt(0)
	v_mul_f64 v[76:77], v[218:219], v[78:79]
	s_delay_alu instid0(VALU_DEP_1) | instskip(SKIP_1) | instid1(VALU_DEP_2)
	v_fma_f64 v[76:77], v[216:217], v[224:225], -v[76:77]
	v_mul_f64 v[216:217], v[216:217], v[78:79]
	v_add_f64 v[72:73], v[72:73], -v[76:77]
	s_delay_alu instid0(VALU_DEP_2) | instskip(NEXT) | instid1(VALU_DEP_1)
	v_fma_f64 v[216:217], v[218:219], v[224:225], v[216:217]
	v_add_f64 v[74:75], v[74:75], -v[216:217]
	ds_load_2addr_b64 v[216:219], v226 offset0:72 offset1:73
	s_waitcnt lgkmcnt(0)
	v_mul_f64 v[76:77], v[218:219], v[78:79]
	s_delay_alu instid0(VALU_DEP_1) | instskip(SKIP_1) | instid1(VALU_DEP_2)
	v_fma_f64 v[76:77], v[216:217], v[224:225], -v[76:77]
	v_mul_f64 v[216:217], v[216:217], v[78:79]
	v_add_f64 v[68:69], v[68:69], -v[76:77]
	s_delay_alu instid0(VALU_DEP_2) | instskip(NEXT) | instid1(VALU_DEP_1)
	v_fma_f64 v[216:217], v[218:219], v[224:225], v[216:217]
	v_add_f64 v[70:71], v[70:71], -v[216:217]
	;; [unrolled: 10-line block ×18, first 2 shown]
	ds_load_2addr_b64 v[216:219], v226 offset0:106 offset1:107
	s_waitcnt lgkmcnt(0)
	v_mul_f64 v[76:77], v[218:219], v[78:79]
	s_delay_alu instid0(VALU_DEP_1) | instskip(SKIP_1) | instid1(VALU_DEP_2)
	v_fma_f64 v[76:77], v[216:217], v[224:225], -v[76:77]
	v_mul_f64 v[216:217], v[216:217], v[78:79]
	v_add_f64 v[0:1], v[0:1], -v[76:77]
	s_delay_alu instid0(VALU_DEP_2) | instskip(SKIP_1) | instid1(VALU_DEP_2)
	v_fma_f64 v[216:217], v[218:219], v[224:225], v[216:217]
	v_dual_mov_b32 v76, v224 :: v_dual_mov_b32 v77, v225
	v_add_f64 v[2:3], v[2:3], -v[216:217]
.LBB106_734:
	s_or_b32 exec_lo, exec_lo, s2
	v_lshl_add_u32 v216, v232, 4, v226
	s_barrier
	buffer_gl0_inv
	v_mov_b32_e32 v224, 35
	ds_store_2addr_b64 v216, v[72:73], v[74:75] offset1:1
	s_waitcnt lgkmcnt(0)
	s_barrier
	buffer_gl0_inv
	ds_load_2addr_b64 v[216:219], v226 offset0:70 offset1:71
	s_cmp_lt_i32 s5, 37
	s_cbranch_scc1 .LBB106_737
; %bb.735:
	v_add3_u32 v225, v230, 0, 0x240
	v_mov_b32_e32 v224, 35
	s_mov_b32 s6, 36
	s_set_inst_prefetch_distance 0x1
	.p2align	6
.LBB106_736:                            ; =>This Inner Loop Header: Depth=1
	ds_load_2addr_b64 v[233:236], v225 offset1:1
	s_waitcnt lgkmcnt(1)
	v_cmp_gt_f64_e32 vcc_lo, 0, v[216:217]
	v_xor_b32_e32 v220, 0x80000000, v217
	v_cmp_gt_f64_e64 s2, 0, v[218:219]
	v_xor_b32_e32 v222, 0x80000000, v219
	v_add_nc_u32_e32 v225, 16, v225
	s_waitcnt lgkmcnt(0)
	v_cmp_gt_f64_e64 s3, 0, v[233:234]
	v_mov_b32_e32 v237, v233
	v_mov_b32_e32 v239, v235
	v_cndmask_b32_e32 v221, v217, v220, vcc_lo
	v_xor_b32_e32 v220, 0x80000000, v234
	v_cndmask_b32_e64 v223, v219, v222, s2
	v_xor_b32_e32 v222, 0x80000000, v236
	s_delay_alu instid0(VALU_DEP_3) | instskip(SKIP_2) | instid1(VALU_DEP_2)
	v_cndmask_b32_e64 v238, v234, v220, s3
	v_cmp_gt_f64_e64 s3, 0, v[235:236]
	v_cndmask_b32_e32 v220, v216, v216, vcc_lo
	v_cndmask_b32_e64 v240, v236, v222, s3
	v_cndmask_b32_e64 v222, v218, v218, s2
	s_delay_alu instid0(VALU_DEP_2) | instskip(NEXT) | instid1(VALU_DEP_2)
	v_add_f64 v[237:238], v[237:238], v[239:240]
	v_add_f64 v[220:221], v[220:221], v[222:223]
	s_delay_alu instid0(VALU_DEP_1) | instskip(SKIP_4) | instid1(SALU_CYCLE_1)
	v_cmp_lt_f64_e32 vcc_lo, v[220:221], v[237:238]
	v_dual_cndmask_b32 v216, v216, v233 :: v_dual_cndmask_b32 v217, v217, v234
	v_dual_cndmask_b32 v219, v219, v236 :: v_dual_cndmask_b32 v218, v218, v235
	v_cndmask_b32_e64 v224, v224, s6, vcc_lo
	s_add_i32 s6, s6, 1
	s_cmp_lg_u32 s5, s6
	s_cbranch_scc1 .LBB106_736
.LBB106_737:
	s_set_inst_prefetch_distance 0x2
	s_waitcnt lgkmcnt(0)
	v_cmp_eq_f64_e32 vcc_lo, 0, v[216:217]
	v_cmp_eq_f64_e64 s2, 0, v[218:219]
	s_delay_alu instid0(VALU_DEP_1) | instskip(NEXT) | instid1(SALU_CYCLE_1)
	s_and_b32 s2, vcc_lo, s2
	s_and_saveexec_b32 s3, s2
	s_delay_alu instid0(SALU_CYCLE_1)
	s_xor_b32 s2, exec_lo, s3
; %bb.738:
	v_cmp_ne_u32_e32 vcc_lo, 0, v229
	v_cndmask_b32_e32 v229, 36, v229, vcc_lo
; %bb.739:
	s_and_not1_saveexec_b32 s3, s2
	s_cbranch_execz .LBB106_745
; %bb.740:
	v_cmp_gt_f64_e32 vcc_lo, 0, v[216:217]
	v_cmp_gt_f64_e64 s2, 0, v[218:219]
	v_xor_b32_e32 v220, 0x80000000, v217
	v_xor_b32_e32 v222, 0x80000000, v219
	s_delay_alu instid0(VALU_DEP_2) | instskip(NEXT) | instid1(VALU_DEP_2)
	v_cndmask_b32_e32 v221, v217, v220, vcc_lo
	v_cndmask_b32_e64 v223, v219, v222, s2
	v_cndmask_b32_e32 v220, v216, v216, vcc_lo
	v_cndmask_b32_e64 v222, v218, v218, s2
	s_mov_b32 s2, exec_lo
	s_delay_alu instid0(VALU_DEP_1)
	v_cmpx_ngt_f64_e32 v[220:221], v[222:223]
	s_xor_b32 s2, exec_lo, s2
	s_cbranch_execz .LBB106_742
; %bb.741:
	v_div_scale_f64 v[220:221], null, v[218:219], v[218:219], v[216:217]
	v_div_scale_f64 v[235:236], vcc_lo, v[216:217], v[218:219], v[216:217]
	s_delay_alu instid0(VALU_DEP_2) | instskip(SKIP_2) | instid1(VALU_DEP_1)
	v_rcp_f64_e32 v[222:223], v[220:221]
	s_waitcnt_depctr 0xfff
	v_fma_f64 v[233:234], -v[220:221], v[222:223], 1.0
	v_fma_f64 v[222:223], v[222:223], v[233:234], v[222:223]
	s_delay_alu instid0(VALU_DEP_1) | instskip(NEXT) | instid1(VALU_DEP_1)
	v_fma_f64 v[233:234], -v[220:221], v[222:223], 1.0
	v_fma_f64 v[222:223], v[222:223], v[233:234], v[222:223]
	s_delay_alu instid0(VALU_DEP_1) | instskip(NEXT) | instid1(VALU_DEP_1)
	v_mul_f64 v[233:234], v[235:236], v[222:223]
	v_fma_f64 v[220:221], -v[220:221], v[233:234], v[235:236]
	s_delay_alu instid0(VALU_DEP_1) | instskip(NEXT) | instid1(VALU_DEP_1)
	v_div_fmas_f64 v[220:221], v[220:221], v[222:223], v[233:234]
	v_div_fixup_f64 v[220:221], v[220:221], v[218:219], v[216:217]
	s_delay_alu instid0(VALU_DEP_1) | instskip(NEXT) | instid1(VALU_DEP_1)
	v_fma_f64 v[216:217], v[216:217], v[220:221], v[218:219]
	v_div_scale_f64 v[218:219], null, v[216:217], v[216:217], 1.0
	s_delay_alu instid0(VALU_DEP_1) | instskip(SKIP_2) | instid1(VALU_DEP_1)
	v_rcp_f64_e32 v[222:223], v[218:219]
	s_waitcnt_depctr 0xfff
	v_fma_f64 v[233:234], -v[218:219], v[222:223], 1.0
	v_fma_f64 v[222:223], v[222:223], v[233:234], v[222:223]
	s_delay_alu instid0(VALU_DEP_1) | instskip(NEXT) | instid1(VALU_DEP_1)
	v_fma_f64 v[233:234], -v[218:219], v[222:223], 1.0
	v_fma_f64 v[222:223], v[222:223], v[233:234], v[222:223]
	v_div_scale_f64 v[233:234], vcc_lo, 1.0, v[216:217], 1.0
	s_delay_alu instid0(VALU_DEP_1) | instskip(NEXT) | instid1(VALU_DEP_1)
	v_mul_f64 v[235:236], v[233:234], v[222:223]
	v_fma_f64 v[218:219], -v[218:219], v[235:236], v[233:234]
	s_delay_alu instid0(VALU_DEP_1) | instskip(NEXT) | instid1(VALU_DEP_1)
	v_div_fmas_f64 v[218:219], v[218:219], v[222:223], v[235:236]
	v_div_fixup_f64 v[218:219], v[218:219], v[216:217], 1.0
	s_delay_alu instid0(VALU_DEP_1)
	v_mul_f64 v[216:217], v[220:221], v[218:219]
	v_xor_b32_e32 v219, 0x80000000, v219
.LBB106_742:
	s_and_not1_saveexec_b32 s2, s2
	s_cbranch_execz .LBB106_744
; %bb.743:
	s_delay_alu instid0(VALU_DEP_1) | instskip(SKIP_1) | instid1(VALU_DEP_2)
	v_div_scale_f64 v[220:221], null, v[216:217], v[216:217], v[218:219]
	v_div_scale_f64 v[235:236], vcc_lo, v[218:219], v[216:217], v[218:219]
	v_rcp_f64_e32 v[222:223], v[220:221]
	s_waitcnt_depctr 0xfff
	v_fma_f64 v[233:234], -v[220:221], v[222:223], 1.0
	s_delay_alu instid0(VALU_DEP_1) | instskip(NEXT) | instid1(VALU_DEP_1)
	v_fma_f64 v[222:223], v[222:223], v[233:234], v[222:223]
	v_fma_f64 v[233:234], -v[220:221], v[222:223], 1.0
	s_delay_alu instid0(VALU_DEP_1) | instskip(NEXT) | instid1(VALU_DEP_1)
	v_fma_f64 v[222:223], v[222:223], v[233:234], v[222:223]
	v_mul_f64 v[233:234], v[235:236], v[222:223]
	s_delay_alu instid0(VALU_DEP_1) | instskip(NEXT) | instid1(VALU_DEP_1)
	v_fma_f64 v[220:221], -v[220:221], v[233:234], v[235:236]
	v_div_fmas_f64 v[220:221], v[220:221], v[222:223], v[233:234]
	s_delay_alu instid0(VALU_DEP_1) | instskip(NEXT) | instid1(VALU_DEP_1)
	v_div_fixup_f64 v[220:221], v[220:221], v[216:217], v[218:219]
	v_fma_f64 v[216:217], v[218:219], v[220:221], v[216:217]
	s_delay_alu instid0(VALU_DEP_1) | instskip(NEXT) | instid1(VALU_DEP_1)
	v_div_scale_f64 v[218:219], null, v[216:217], v[216:217], 1.0
	v_rcp_f64_e32 v[222:223], v[218:219]
	s_waitcnt_depctr 0xfff
	v_fma_f64 v[233:234], -v[218:219], v[222:223], 1.0
	s_delay_alu instid0(VALU_DEP_1) | instskip(NEXT) | instid1(VALU_DEP_1)
	v_fma_f64 v[222:223], v[222:223], v[233:234], v[222:223]
	v_fma_f64 v[233:234], -v[218:219], v[222:223], 1.0
	s_delay_alu instid0(VALU_DEP_1) | instskip(SKIP_1) | instid1(VALU_DEP_1)
	v_fma_f64 v[222:223], v[222:223], v[233:234], v[222:223]
	v_div_scale_f64 v[233:234], vcc_lo, 1.0, v[216:217], 1.0
	v_mul_f64 v[235:236], v[233:234], v[222:223]
	s_delay_alu instid0(VALU_DEP_1) | instskip(NEXT) | instid1(VALU_DEP_1)
	v_fma_f64 v[218:219], -v[218:219], v[235:236], v[233:234]
	v_div_fmas_f64 v[218:219], v[218:219], v[222:223], v[235:236]
	s_delay_alu instid0(VALU_DEP_1) | instskip(NEXT) | instid1(VALU_DEP_1)
	v_div_fixup_f64 v[216:217], v[218:219], v[216:217], 1.0
	v_mul_f64 v[218:219], v[220:221], -v[216:217]
.LBB106_744:
	s_or_b32 exec_lo, exec_lo, s2
.LBB106_745:
	s_delay_alu instid0(SALU_CYCLE_1) | instskip(NEXT) | instid1(SALU_CYCLE_1)
	s_or_b32 exec_lo, exec_lo, s3
	s_mov_b32 s2, exec_lo
	v_cmpx_ne_u32_e64 v232, v224
	s_xor_b32 s2, exec_lo, s2
	s_cbranch_execz .LBB106_751
; %bb.746:
	s_mov_b32 s3, exec_lo
	v_cmpx_eq_u32_e32 35, v232
	s_cbranch_execz .LBB106_750
; %bb.747:
	v_cmp_ne_u32_e32 vcc_lo, 35, v224
	s_xor_b32 s6, s4, -1
	s_delay_alu instid0(SALU_CYCLE_1) | instskip(NEXT) | instid1(SALU_CYCLE_1)
	s_and_b32 s7, s6, vcc_lo
	s_and_saveexec_b32 s6, s7
	s_cbranch_execz .LBB106_749
; %bb.748:
	v_ashrrev_i32_e32 v225, 31, v224
	s_delay_alu instid0(VALU_DEP_1) | instskip(NEXT) | instid1(VALU_DEP_1)
	v_lshlrev_b64 v[220:221], 2, v[224:225]
	v_add_co_u32 v220, vcc_lo, v214, v220
	s_delay_alu instid0(VALU_DEP_2)
	v_add_co_ci_u32_e32 v221, vcc_lo, v215, v221, vcc_lo
	s_clause 0x1
	flat_load_b32 v222, v[220:221]
	flat_load_b32 v223, v[214:215] offset:140
	s_waitcnt vmcnt(1) lgkmcnt(1)
	flat_store_b32 v[214:215], v222 offset:140
	s_waitcnt vmcnt(0) lgkmcnt(1)
	flat_store_b32 v[220:221], v223
.LBB106_749:
	s_or_b32 exec_lo, exec_lo, s6
	v_mov_b32_e32 v232, v224
	v_mov_b32_e32 v231, v224
.LBB106_750:
	s_or_b32 exec_lo, exec_lo, s3
.LBB106_751:
	s_and_not1_saveexec_b32 s2, s2
	s_cbranch_execz .LBB106_753
; %bb.752:
	v_mov_b32_e32 v232, 35
	ds_store_2addr_b64 v226, v[68:69], v[70:71] offset0:72 offset1:73
	ds_store_2addr_b64 v226, v[64:65], v[66:67] offset0:74 offset1:75
	;; [unrolled: 1-line block ×18, first 2 shown]
.LBB106_753:
	s_or_b32 exec_lo, exec_lo, s2
	s_delay_alu instid0(SALU_CYCLE_1)
	s_mov_b32 s2, exec_lo
	s_waitcnt lgkmcnt(0)
	s_waitcnt_vscnt null, 0x0
	s_barrier
	buffer_gl0_inv
	v_cmpx_lt_i32_e32 35, v232
	s_cbranch_execz .LBB106_755
; %bb.754:
	v_mul_f64 v[220:221], v[218:219], v[74:75]
	v_mul_f64 v[74:75], v[216:217], v[74:75]
	s_delay_alu instid0(VALU_DEP_2) | instskip(NEXT) | instid1(VALU_DEP_2)
	v_fma_f64 v[224:225], v[216:217], v[72:73], -v[220:221]
	v_fma_f64 v[74:75], v[218:219], v[72:73], v[74:75]
	ds_load_2addr_b64 v[216:219], v226 offset0:72 offset1:73
	s_waitcnt lgkmcnt(0)
	v_mul_f64 v[72:73], v[218:219], v[74:75]
	s_delay_alu instid0(VALU_DEP_1) | instskip(SKIP_1) | instid1(VALU_DEP_2)
	v_fma_f64 v[72:73], v[216:217], v[224:225], -v[72:73]
	v_mul_f64 v[216:217], v[216:217], v[74:75]
	v_add_f64 v[68:69], v[68:69], -v[72:73]
	s_delay_alu instid0(VALU_DEP_2) | instskip(NEXT) | instid1(VALU_DEP_1)
	v_fma_f64 v[216:217], v[218:219], v[224:225], v[216:217]
	v_add_f64 v[70:71], v[70:71], -v[216:217]
	ds_load_2addr_b64 v[216:219], v226 offset0:74 offset1:75
	s_waitcnt lgkmcnt(0)
	v_mul_f64 v[72:73], v[218:219], v[74:75]
	s_delay_alu instid0(VALU_DEP_1) | instskip(SKIP_1) | instid1(VALU_DEP_2)
	v_fma_f64 v[72:73], v[216:217], v[224:225], -v[72:73]
	v_mul_f64 v[216:217], v[216:217], v[74:75]
	v_add_f64 v[64:65], v[64:65], -v[72:73]
	s_delay_alu instid0(VALU_DEP_2) | instskip(NEXT) | instid1(VALU_DEP_1)
	v_fma_f64 v[216:217], v[218:219], v[224:225], v[216:217]
	v_add_f64 v[66:67], v[66:67], -v[216:217]
	;; [unrolled: 10-line block ×17, first 2 shown]
	ds_load_2addr_b64 v[216:219], v226 offset0:106 offset1:107
	s_waitcnt lgkmcnt(0)
	v_mul_f64 v[72:73], v[218:219], v[74:75]
	s_delay_alu instid0(VALU_DEP_1) | instskip(SKIP_1) | instid1(VALU_DEP_2)
	v_fma_f64 v[72:73], v[216:217], v[224:225], -v[72:73]
	v_mul_f64 v[216:217], v[216:217], v[74:75]
	v_add_f64 v[0:1], v[0:1], -v[72:73]
	s_delay_alu instid0(VALU_DEP_2) | instskip(SKIP_1) | instid1(VALU_DEP_2)
	v_fma_f64 v[216:217], v[218:219], v[224:225], v[216:217]
	v_dual_mov_b32 v72, v224 :: v_dual_mov_b32 v73, v225
	v_add_f64 v[2:3], v[2:3], -v[216:217]
.LBB106_755:
	s_or_b32 exec_lo, exec_lo, s2
	v_lshl_add_u32 v216, v232, 4, v226
	s_barrier
	buffer_gl0_inv
	v_mov_b32_e32 v224, 36
	ds_store_2addr_b64 v216, v[68:69], v[70:71] offset1:1
	s_waitcnt lgkmcnt(0)
	s_barrier
	buffer_gl0_inv
	ds_load_2addr_b64 v[216:219], v226 offset0:72 offset1:73
	s_cmp_lt_i32 s5, 38
	s_cbranch_scc1 .LBB106_758
; %bb.756:
	v_add3_u32 v225, v230, 0, 0x250
	v_mov_b32_e32 v224, 36
	s_mov_b32 s6, 37
	s_set_inst_prefetch_distance 0x1
	.p2align	6
.LBB106_757:                            ; =>This Inner Loop Header: Depth=1
	ds_load_2addr_b64 v[233:236], v225 offset1:1
	s_waitcnt lgkmcnt(1)
	v_cmp_gt_f64_e32 vcc_lo, 0, v[216:217]
	v_xor_b32_e32 v220, 0x80000000, v217
	v_cmp_gt_f64_e64 s2, 0, v[218:219]
	v_xor_b32_e32 v222, 0x80000000, v219
	v_add_nc_u32_e32 v225, 16, v225
	s_waitcnt lgkmcnt(0)
	v_cmp_gt_f64_e64 s3, 0, v[233:234]
	v_mov_b32_e32 v237, v233
	v_mov_b32_e32 v239, v235
	v_cndmask_b32_e32 v221, v217, v220, vcc_lo
	v_xor_b32_e32 v220, 0x80000000, v234
	v_cndmask_b32_e64 v223, v219, v222, s2
	v_xor_b32_e32 v222, 0x80000000, v236
	s_delay_alu instid0(VALU_DEP_3) | instskip(SKIP_2) | instid1(VALU_DEP_2)
	v_cndmask_b32_e64 v238, v234, v220, s3
	v_cmp_gt_f64_e64 s3, 0, v[235:236]
	v_cndmask_b32_e32 v220, v216, v216, vcc_lo
	v_cndmask_b32_e64 v240, v236, v222, s3
	v_cndmask_b32_e64 v222, v218, v218, s2
	s_delay_alu instid0(VALU_DEP_2) | instskip(NEXT) | instid1(VALU_DEP_2)
	v_add_f64 v[237:238], v[237:238], v[239:240]
	v_add_f64 v[220:221], v[220:221], v[222:223]
	s_delay_alu instid0(VALU_DEP_1) | instskip(SKIP_4) | instid1(SALU_CYCLE_1)
	v_cmp_lt_f64_e32 vcc_lo, v[220:221], v[237:238]
	v_dual_cndmask_b32 v216, v216, v233 :: v_dual_cndmask_b32 v217, v217, v234
	v_dual_cndmask_b32 v219, v219, v236 :: v_dual_cndmask_b32 v218, v218, v235
	v_cndmask_b32_e64 v224, v224, s6, vcc_lo
	s_add_i32 s6, s6, 1
	s_cmp_lg_u32 s5, s6
	s_cbranch_scc1 .LBB106_757
.LBB106_758:
	s_set_inst_prefetch_distance 0x2
	s_waitcnt lgkmcnt(0)
	v_cmp_eq_f64_e32 vcc_lo, 0, v[216:217]
	v_cmp_eq_f64_e64 s2, 0, v[218:219]
	s_delay_alu instid0(VALU_DEP_1) | instskip(NEXT) | instid1(SALU_CYCLE_1)
	s_and_b32 s2, vcc_lo, s2
	s_and_saveexec_b32 s3, s2
	s_delay_alu instid0(SALU_CYCLE_1)
	s_xor_b32 s2, exec_lo, s3
; %bb.759:
	v_cmp_ne_u32_e32 vcc_lo, 0, v229
	v_cndmask_b32_e32 v229, 37, v229, vcc_lo
; %bb.760:
	s_and_not1_saveexec_b32 s3, s2
	s_cbranch_execz .LBB106_766
; %bb.761:
	v_cmp_gt_f64_e32 vcc_lo, 0, v[216:217]
	v_cmp_gt_f64_e64 s2, 0, v[218:219]
	v_xor_b32_e32 v220, 0x80000000, v217
	v_xor_b32_e32 v222, 0x80000000, v219
	s_delay_alu instid0(VALU_DEP_2) | instskip(NEXT) | instid1(VALU_DEP_2)
	v_cndmask_b32_e32 v221, v217, v220, vcc_lo
	v_cndmask_b32_e64 v223, v219, v222, s2
	v_cndmask_b32_e32 v220, v216, v216, vcc_lo
	v_cndmask_b32_e64 v222, v218, v218, s2
	s_mov_b32 s2, exec_lo
	s_delay_alu instid0(VALU_DEP_1)
	v_cmpx_ngt_f64_e32 v[220:221], v[222:223]
	s_xor_b32 s2, exec_lo, s2
	s_cbranch_execz .LBB106_763
; %bb.762:
	v_div_scale_f64 v[220:221], null, v[218:219], v[218:219], v[216:217]
	v_div_scale_f64 v[235:236], vcc_lo, v[216:217], v[218:219], v[216:217]
	s_delay_alu instid0(VALU_DEP_2) | instskip(SKIP_2) | instid1(VALU_DEP_1)
	v_rcp_f64_e32 v[222:223], v[220:221]
	s_waitcnt_depctr 0xfff
	v_fma_f64 v[233:234], -v[220:221], v[222:223], 1.0
	v_fma_f64 v[222:223], v[222:223], v[233:234], v[222:223]
	s_delay_alu instid0(VALU_DEP_1) | instskip(NEXT) | instid1(VALU_DEP_1)
	v_fma_f64 v[233:234], -v[220:221], v[222:223], 1.0
	v_fma_f64 v[222:223], v[222:223], v[233:234], v[222:223]
	s_delay_alu instid0(VALU_DEP_1) | instskip(NEXT) | instid1(VALU_DEP_1)
	v_mul_f64 v[233:234], v[235:236], v[222:223]
	v_fma_f64 v[220:221], -v[220:221], v[233:234], v[235:236]
	s_delay_alu instid0(VALU_DEP_1) | instskip(NEXT) | instid1(VALU_DEP_1)
	v_div_fmas_f64 v[220:221], v[220:221], v[222:223], v[233:234]
	v_div_fixup_f64 v[220:221], v[220:221], v[218:219], v[216:217]
	s_delay_alu instid0(VALU_DEP_1) | instskip(NEXT) | instid1(VALU_DEP_1)
	v_fma_f64 v[216:217], v[216:217], v[220:221], v[218:219]
	v_div_scale_f64 v[218:219], null, v[216:217], v[216:217], 1.0
	s_delay_alu instid0(VALU_DEP_1) | instskip(SKIP_2) | instid1(VALU_DEP_1)
	v_rcp_f64_e32 v[222:223], v[218:219]
	s_waitcnt_depctr 0xfff
	v_fma_f64 v[233:234], -v[218:219], v[222:223], 1.0
	v_fma_f64 v[222:223], v[222:223], v[233:234], v[222:223]
	s_delay_alu instid0(VALU_DEP_1) | instskip(NEXT) | instid1(VALU_DEP_1)
	v_fma_f64 v[233:234], -v[218:219], v[222:223], 1.0
	v_fma_f64 v[222:223], v[222:223], v[233:234], v[222:223]
	v_div_scale_f64 v[233:234], vcc_lo, 1.0, v[216:217], 1.0
	s_delay_alu instid0(VALU_DEP_1) | instskip(NEXT) | instid1(VALU_DEP_1)
	v_mul_f64 v[235:236], v[233:234], v[222:223]
	v_fma_f64 v[218:219], -v[218:219], v[235:236], v[233:234]
	s_delay_alu instid0(VALU_DEP_1) | instskip(NEXT) | instid1(VALU_DEP_1)
	v_div_fmas_f64 v[218:219], v[218:219], v[222:223], v[235:236]
	v_div_fixup_f64 v[218:219], v[218:219], v[216:217], 1.0
	s_delay_alu instid0(VALU_DEP_1)
	v_mul_f64 v[216:217], v[220:221], v[218:219]
	v_xor_b32_e32 v219, 0x80000000, v219
.LBB106_763:
	s_and_not1_saveexec_b32 s2, s2
	s_cbranch_execz .LBB106_765
; %bb.764:
	s_delay_alu instid0(VALU_DEP_1) | instskip(SKIP_1) | instid1(VALU_DEP_2)
	v_div_scale_f64 v[220:221], null, v[216:217], v[216:217], v[218:219]
	v_div_scale_f64 v[235:236], vcc_lo, v[218:219], v[216:217], v[218:219]
	v_rcp_f64_e32 v[222:223], v[220:221]
	s_waitcnt_depctr 0xfff
	v_fma_f64 v[233:234], -v[220:221], v[222:223], 1.0
	s_delay_alu instid0(VALU_DEP_1) | instskip(NEXT) | instid1(VALU_DEP_1)
	v_fma_f64 v[222:223], v[222:223], v[233:234], v[222:223]
	v_fma_f64 v[233:234], -v[220:221], v[222:223], 1.0
	s_delay_alu instid0(VALU_DEP_1) | instskip(NEXT) | instid1(VALU_DEP_1)
	v_fma_f64 v[222:223], v[222:223], v[233:234], v[222:223]
	v_mul_f64 v[233:234], v[235:236], v[222:223]
	s_delay_alu instid0(VALU_DEP_1) | instskip(NEXT) | instid1(VALU_DEP_1)
	v_fma_f64 v[220:221], -v[220:221], v[233:234], v[235:236]
	v_div_fmas_f64 v[220:221], v[220:221], v[222:223], v[233:234]
	s_delay_alu instid0(VALU_DEP_1) | instskip(NEXT) | instid1(VALU_DEP_1)
	v_div_fixup_f64 v[220:221], v[220:221], v[216:217], v[218:219]
	v_fma_f64 v[216:217], v[218:219], v[220:221], v[216:217]
	s_delay_alu instid0(VALU_DEP_1) | instskip(NEXT) | instid1(VALU_DEP_1)
	v_div_scale_f64 v[218:219], null, v[216:217], v[216:217], 1.0
	v_rcp_f64_e32 v[222:223], v[218:219]
	s_waitcnt_depctr 0xfff
	v_fma_f64 v[233:234], -v[218:219], v[222:223], 1.0
	s_delay_alu instid0(VALU_DEP_1) | instskip(NEXT) | instid1(VALU_DEP_1)
	v_fma_f64 v[222:223], v[222:223], v[233:234], v[222:223]
	v_fma_f64 v[233:234], -v[218:219], v[222:223], 1.0
	s_delay_alu instid0(VALU_DEP_1) | instskip(SKIP_1) | instid1(VALU_DEP_1)
	v_fma_f64 v[222:223], v[222:223], v[233:234], v[222:223]
	v_div_scale_f64 v[233:234], vcc_lo, 1.0, v[216:217], 1.0
	v_mul_f64 v[235:236], v[233:234], v[222:223]
	s_delay_alu instid0(VALU_DEP_1) | instskip(NEXT) | instid1(VALU_DEP_1)
	v_fma_f64 v[218:219], -v[218:219], v[235:236], v[233:234]
	v_div_fmas_f64 v[218:219], v[218:219], v[222:223], v[235:236]
	s_delay_alu instid0(VALU_DEP_1) | instskip(NEXT) | instid1(VALU_DEP_1)
	v_div_fixup_f64 v[216:217], v[218:219], v[216:217], 1.0
	v_mul_f64 v[218:219], v[220:221], -v[216:217]
.LBB106_765:
	s_or_b32 exec_lo, exec_lo, s2
.LBB106_766:
	s_delay_alu instid0(SALU_CYCLE_1) | instskip(NEXT) | instid1(SALU_CYCLE_1)
	s_or_b32 exec_lo, exec_lo, s3
	s_mov_b32 s2, exec_lo
	v_cmpx_ne_u32_e64 v232, v224
	s_xor_b32 s2, exec_lo, s2
	s_cbranch_execz .LBB106_772
; %bb.767:
	s_mov_b32 s3, exec_lo
	v_cmpx_eq_u32_e32 36, v232
	s_cbranch_execz .LBB106_771
; %bb.768:
	v_cmp_ne_u32_e32 vcc_lo, 36, v224
	s_xor_b32 s6, s4, -1
	s_delay_alu instid0(SALU_CYCLE_1) | instskip(NEXT) | instid1(SALU_CYCLE_1)
	s_and_b32 s7, s6, vcc_lo
	s_and_saveexec_b32 s6, s7
	s_cbranch_execz .LBB106_770
; %bb.769:
	v_ashrrev_i32_e32 v225, 31, v224
	s_delay_alu instid0(VALU_DEP_1) | instskip(NEXT) | instid1(VALU_DEP_1)
	v_lshlrev_b64 v[220:221], 2, v[224:225]
	v_add_co_u32 v220, vcc_lo, v214, v220
	s_delay_alu instid0(VALU_DEP_2)
	v_add_co_ci_u32_e32 v221, vcc_lo, v215, v221, vcc_lo
	s_clause 0x1
	flat_load_b32 v222, v[220:221]
	flat_load_b32 v223, v[214:215] offset:144
	s_waitcnt vmcnt(1) lgkmcnt(1)
	flat_store_b32 v[214:215], v222 offset:144
	s_waitcnt vmcnt(0) lgkmcnt(1)
	flat_store_b32 v[220:221], v223
.LBB106_770:
	s_or_b32 exec_lo, exec_lo, s6
	v_mov_b32_e32 v232, v224
	v_mov_b32_e32 v231, v224
.LBB106_771:
	s_or_b32 exec_lo, exec_lo, s3
.LBB106_772:
	s_and_not1_saveexec_b32 s2, s2
	s_cbranch_execz .LBB106_774
; %bb.773:
	v_mov_b32_e32 v232, 36
	ds_store_2addr_b64 v226, v[64:65], v[66:67] offset0:74 offset1:75
	ds_store_2addr_b64 v226, v[60:61], v[62:63] offset0:76 offset1:77
	;; [unrolled: 1-line block ×17, first 2 shown]
.LBB106_774:
	s_or_b32 exec_lo, exec_lo, s2
	s_delay_alu instid0(SALU_CYCLE_1)
	s_mov_b32 s2, exec_lo
	s_waitcnt lgkmcnt(0)
	s_waitcnt_vscnt null, 0x0
	s_barrier
	buffer_gl0_inv
	v_cmpx_lt_i32_e32 36, v232
	s_cbranch_execz .LBB106_776
; %bb.775:
	v_mul_f64 v[220:221], v[218:219], v[70:71]
	v_mul_f64 v[70:71], v[216:217], v[70:71]
	s_delay_alu instid0(VALU_DEP_2) | instskip(NEXT) | instid1(VALU_DEP_2)
	v_fma_f64 v[224:225], v[216:217], v[68:69], -v[220:221]
	v_fma_f64 v[70:71], v[218:219], v[68:69], v[70:71]
	ds_load_2addr_b64 v[216:219], v226 offset0:74 offset1:75
	s_waitcnt lgkmcnt(0)
	v_mul_f64 v[68:69], v[218:219], v[70:71]
	s_delay_alu instid0(VALU_DEP_1) | instskip(SKIP_1) | instid1(VALU_DEP_2)
	v_fma_f64 v[68:69], v[216:217], v[224:225], -v[68:69]
	v_mul_f64 v[216:217], v[216:217], v[70:71]
	v_add_f64 v[64:65], v[64:65], -v[68:69]
	s_delay_alu instid0(VALU_DEP_2) | instskip(NEXT) | instid1(VALU_DEP_1)
	v_fma_f64 v[216:217], v[218:219], v[224:225], v[216:217]
	v_add_f64 v[66:67], v[66:67], -v[216:217]
	ds_load_2addr_b64 v[216:219], v226 offset0:76 offset1:77
	s_waitcnt lgkmcnt(0)
	v_mul_f64 v[68:69], v[218:219], v[70:71]
	s_delay_alu instid0(VALU_DEP_1) | instskip(SKIP_1) | instid1(VALU_DEP_2)
	v_fma_f64 v[68:69], v[216:217], v[224:225], -v[68:69]
	v_mul_f64 v[216:217], v[216:217], v[70:71]
	v_add_f64 v[60:61], v[60:61], -v[68:69]
	s_delay_alu instid0(VALU_DEP_2) | instskip(NEXT) | instid1(VALU_DEP_1)
	v_fma_f64 v[216:217], v[218:219], v[224:225], v[216:217]
	v_add_f64 v[62:63], v[62:63], -v[216:217]
	;; [unrolled: 10-line block ×16, first 2 shown]
	ds_load_2addr_b64 v[216:219], v226 offset0:106 offset1:107
	s_waitcnt lgkmcnt(0)
	v_mul_f64 v[68:69], v[218:219], v[70:71]
	s_delay_alu instid0(VALU_DEP_1) | instskip(SKIP_1) | instid1(VALU_DEP_2)
	v_fma_f64 v[68:69], v[216:217], v[224:225], -v[68:69]
	v_mul_f64 v[216:217], v[216:217], v[70:71]
	v_add_f64 v[0:1], v[0:1], -v[68:69]
	s_delay_alu instid0(VALU_DEP_2) | instskip(SKIP_1) | instid1(VALU_DEP_2)
	v_fma_f64 v[216:217], v[218:219], v[224:225], v[216:217]
	v_dual_mov_b32 v68, v224 :: v_dual_mov_b32 v69, v225
	v_add_f64 v[2:3], v[2:3], -v[216:217]
.LBB106_776:
	s_or_b32 exec_lo, exec_lo, s2
	v_lshl_add_u32 v216, v232, 4, v226
	s_barrier
	buffer_gl0_inv
	v_mov_b32_e32 v224, 37
	ds_store_2addr_b64 v216, v[64:65], v[66:67] offset1:1
	s_waitcnt lgkmcnt(0)
	s_barrier
	buffer_gl0_inv
	ds_load_2addr_b64 v[216:219], v226 offset0:74 offset1:75
	s_cmp_lt_i32 s5, 39
	s_cbranch_scc1 .LBB106_779
; %bb.777:
	v_add3_u32 v225, v230, 0, 0x260
	v_mov_b32_e32 v224, 37
	s_mov_b32 s6, 38
	s_set_inst_prefetch_distance 0x1
	.p2align	6
.LBB106_778:                            ; =>This Inner Loop Header: Depth=1
	ds_load_2addr_b64 v[233:236], v225 offset1:1
	s_waitcnt lgkmcnt(1)
	v_cmp_gt_f64_e32 vcc_lo, 0, v[216:217]
	v_xor_b32_e32 v220, 0x80000000, v217
	v_cmp_gt_f64_e64 s2, 0, v[218:219]
	v_xor_b32_e32 v222, 0x80000000, v219
	v_add_nc_u32_e32 v225, 16, v225
	s_waitcnt lgkmcnt(0)
	v_cmp_gt_f64_e64 s3, 0, v[233:234]
	v_mov_b32_e32 v237, v233
	v_mov_b32_e32 v239, v235
	v_cndmask_b32_e32 v221, v217, v220, vcc_lo
	v_xor_b32_e32 v220, 0x80000000, v234
	v_cndmask_b32_e64 v223, v219, v222, s2
	v_xor_b32_e32 v222, 0x80000000, v236
	s_delay_alu instid0(VALU_DEP_3) | instskip(SKIP_2) | instid1(VALU_DEP_2)
	v_cndmask_b32_e64 v238, v234, v220, s3
	v_cmp_gt_f64_e64 s3, 0, v[235:236]
	v_cndmask_b32_e32 v220, v216, v216, vcc_lo
	v_cndmask_b32_e64 v240, v236, v222, s3
	v_cndmask_b32_e64 v222, v218, v218, s2
	s_delay_alu instid0(VALU_DEP_2) | instskip(NEXT) | instid1(VALU_DEP_2)
	v_add_f64 v[237:238], v[237:238], v[239:240]
	v_add_f64 v[220:221], v[220:221], v[222:223]
	s_delay_alu instid0(VALU_DEP_1) | instskip(SKIP_4) | instid1(SALU_CYCLE_1)
	v_cmp_lt_f64_e32 vcc_lo, v[220:221], v[237:238]
	v_dual_cndmask_b32 v216, v216, v233 :: v_dual_cndmask_b32 v217, v217, v234
	v_dual_cndmask_b32 v219, v219, v236 :: v_dual_cndmask_b32 v218, v218, v235
	v_cndmask_b32_e64 v224, v224, s6, vcc_lo
	s_add_i32 s6, s6, 1
	s_cmp_lg_u32 s5, s6
	s_cbranch_scc1 .LBB106_778
.LBB106_779:
	s_set_inst_prefetch_distance 0x2
	s_waitcnt lgkmcnt(0)
	v_cmp_eq_f64_e32 vcc_lo, 0, v[216:217]
	v_cmp_eq_f64_e64 s2, 0, v[218:219]
	s_delay_alu instid0(VALU_DEP_1) | instskip(NEXT) | instid1(SALU_CYCLE_1)
	s_and_b32 s2, vcc_lo, s2
	s_and_saveexec_b32 s3, s2
	s_delay_alu instid0(SALU_CYCLE_1)
	s_xor_b32 s2, exec_lo, s3
; %bb.780:
	v_cmp_ne_u32_e32 vcc_lo, 0, v229
	v_cndmask_b32_e32 v229, 38, v229, vcc_lo
; %bb.781:
	s_and_not1_saveexec_b32 s3, s2
	s_cbranch_execz .LBB106_787
; %bb.782:
	v_cmp_gt_f64_e32 vcc_lo, 0, v[216:217]
	v_cmp_gt_f64_e64 s2, 0, v[218:219]
	v_xor_b32_e32 v220, 0x80000000, v217
	v_xor_b32_e32 v222, 0x80000000, v219
	s_delay_alu instid0(VALU_DEP_2) | instskip(NEXT) | instid1(VALU_DEP_2)
	v_cndmask_b32_e32 v221, v217, v220, vcc_lo
	v_cndmask_b32_e64 v223, v219, v222, s2
	v_cndmask_b32_e32 v220, v216, v216, vcc_lo
	v_cndmask_b32_e64 v222, v218, v218, s2
	s_mov_b32 s2, exec_lo
	s_delay_alu instid0(VALU_DEP_1)
	v_cmpx_ngt_f64_e32 v[220:221], v[222:223]
	s_xor_b32 s2, exec_lo, s2
	s_cbranch_execz .LBB106_784
; %bb.783:
	v_div_scale_f64 v[220:221], null, v[218:219], v[218:219], v[216:217]
	v_div_scale_f64 v[235:236], vcc_lo, v[216:217], v[218:219], v[216:217]
	s_delay_alu instid0(VALU_DEP_2) | instskip(SKIP_2) | instid1(VALU_DEP_1)
	v_rcp_f64_e32 v[222:223], v[220:221]
	s_waitcnt_depctr 0xfff
	v_fma_f64 v[233:234], -v[220:221], v[222:223], 1.0
	v_fma_f64 v[222:223], v[222:223], v[233:234], v[222:223]
	s_delay_alu instid0(VALU_DEP_1) | instskip(NEXT) | instid1(VALU_DEP_1)
	v_fma_f64 v[233:234], -v[220:221], v[222:223], 1.0
	v_fma_f64 v[222:223], v[222:223], v[233:234], v[222:223]
	s_delay_alu instid0(VALU_DEP_1) | instskip(NEXT) | instid1(VALU_DEP_1)
	v_mul_f64 v[233:234], v[235:236], v[222:223]
	v_fma_f64 v[220:221], -v[220:221], v[233:234], v[235:236]
	s_delay_alu instid0(VALU_DEP_1) | instskip(NEXT) | instid1(VALU_DEP_1)
	v_div_fmas_f64 v[220:221], v[220:221], v[222:223], v[233:234]
	v_div_fixup_f64 v[220:221], v[220:221], v[218:219], v[216:217]
	s_delay_alu instid0(VALU_DEP_1) | instskip(NEXT) | instid1(VALU_DEP_1)
	v_fma_f64 v[216:217], v[216:217], v[220:221], v[218:219]
	v_div_scale_f64 v[218:219], null, v[216:217], v[216:217], 1.0
	s_delay_alu instid0(VALU_DEP_1) | instskip(SKIP_2) | instid1(VALU_DEP_1)
	v_rcp_f64_e32 v[222:223], v[218:219]
	s_waitcnt_depctr 0xfff
	v_fma_f64 v[233:234], -v[218:219], v[222:223], 1.0
	v_fma_f64 v[222:223], v[222:223], v[233:234], v[222:223]
	s_delay_alu instid0(VALU_DEP_1) | instskip(NEXT) | instid1(VALU_DEP_1)
	v_fma_f64 v[233:234], -v[218:219], v[222:223], 1.0
	v_fma_f64 v[222:223], v[222:223], v[233:234], v[222:223]
	v_div_scale_f64 v[233:234], vcc_lo, 1.0, v[216:217], 1.0
	s_delay_alu instid0(VALU_DEP_1) | instskip(NEXT) | instid1(VALU_DEP_1)
	v_mul_f64 v[235:236], v[233:234], v[222:223]
	v_fma_f64 v[218:219], -v[218:219], v[235:236], v[233:234]
	s_delay_alu instid0(VALU_DEP_1) | instskip(NEXT) | instid1(VALU_DEP_1)
	v_div_fmas_f64 v[218:219], v[218:219], v[222:223], v[235:236]
	v_div_fixup_f64 v[218:219], v[218:219], v[216:217], 1.0
	s_delay_alu instid0(VALU_DEP_1)
	v_mul_f64 v[216:217], v[220:221], v[218:219]
	v_xor_b32_e32 v219, 0x80000000, v219
.LBB106_784:
	s_and_not1_saveexec_b32 s2, s2
	s_cbranch_execz .LBB106_786
; %bb.785:
	s_delay_alu instid0(VALU_DEP_1) | instskip(SKIP_1) | instid1(VALU_DEP_2)
	v_div_scale_f64 v[220:221], null, v[216:217], v[216:217], v[218:219]
	v_div_scale_f64 v[235:236], vcc_lo, v[218:219], v[216:217], v[218:219]
	v_rcp_f64_e32 v[222:223], v[220:221]
	s_waitcnt_depctr 0xfff
	v_fma_f64 v[233:234], -v[220:221], v[222:223], 1.0
	s_delay_alu instid0(VALU_DEP_1) | instskip(NEXT) | instid1(VALU_DEP_1)
	v_fma_f64 v[222:223], v[222:223], v[233:234], v[222:223]
	v_fma_f64 v[233:234], -v[220:221], v[222:223], 1.0
	s_delay_alu instid0(VALU_DEP_1) | instskip(NEXT) | instid1(VALU_DEP_1)
	v_fma_f64 v[222:223], v[222:223], v[233:234], v[222:223]
	v_mul_f64 v[233:234], v[235:236], v[222:223]
	s_delay_alu instid0(VALU_DEP_1) | instskip(NEXT) | instid1(VALU_DEP_1)
	v_fma_f64 v[220:221], -v[220:221], v[233:234], v[235:236]
	v_div_fmas_f64 v[220:221], v[220:221], v[222:223], v[233:234]
	s_delay_alu instid0(VALU_DEP_1) | instskip(NEXT) | instid1(VALU_DEP_1)
	v_div_fixup_f64 v[220:221], v[220:221], v[216:217], v[218:219]
	v_fma_f64 v[216:217], v[218:219], v[220:221], v[216:217]
	s_delay_alu instid0(VALU_DEP_1) | instskip(NEXT) | instid1(VALU_DEP_1)
	v_div_scale_f64 v[218:219], null, v[216:217], v[216:217], 1.0
	v_rcp_f64_e32 v[222:223], v[218:219]
	s_waitcnt_depctr 0xfff
	v_fma_f64 v[233:234], -v[218:219], v[222:223], 1.0
	s_delay_alu instid0(VALU_DEP_1) | instskip(NEXT) | instid1(VALU_DEP_1)
	v_fma_f64 v[222:223], v[222:223], v[233:234], v[222:223]
	v_fma_f64 v[233:234], -v[218:219], v[222:223], 1.0
	s_delay_alu instid0(VALU_DEP_1) | instskip(SKIP_1) | instid1(VALU_DEP_1)
	v_fma_f64 v[222:223], v[222:223], v[233:234], v[222:223]
	v_div_scale_f64 v[233:234], vcc_lo, 1.0, v[216:217], 1.0
	v_mul_f64 v[235:236], v[233:234], v[222:223]
	s_delay_alu instid0(VALU_DEP_1) | instskip(NEXT) | instid1(VALU_DEP_1)
	v_fma_f64 v[218:219], -v[218:219], v[235:236], v[233:234]
	v_div_fmas_f64 v[218:219], v[218:219], v[222:223], v[235:236]
	s_delay_alu instid0(VALU_DEP_1) | instskip(NEXT) | instid1(VALU_DEP_1)
	v_div_fixup_f64 v[216:217], v[218:219], v[216:217], 1.0
	v_mul_f64 v[218:219], v[220:221], -v[216:217]
.LBB106_786:
	s_or_b32 exec_lo, exec_lo, s2
.LBB106_787:
	s_delay_alu instid0(SALU_CYCLE_1) | instskip(NEXT) | instid1(SALU_CYCLE_1)
	s_or_b32 exec_lo, exec_lo, s3
	s_mov_b32 s2, exec_lo
	v_cmpx_ne_u32_e64 v232, v224
	s_xor_b32 s2, exec_lo, s2
	s_cbranch_execz .LBB106_793
; %bb.788:
	s_mov_b32 s3, exec_lo
	v_cmpx_eq_u32_e32 37, v232
	s_cbranch_execz .LBB106_792
; %bb.789:
	v_cmp_ne_u32_e32 vcc_lo, 37, v224
	s_xor_b32 s6, s4, -1
	s_delay_alu instid0(SALU_CYCLE_1) | instskip(NEXT) | instid1(SALU_CYCLE_1)
	s_and_b32 s7, s6, vcc_lo
	s_and_saveexec_b32 s6, s7
	s_cbranch_execz .LBB106_791
; %bb.790:
	v_ashrrev_i32_e32 v225, 31, v224
	s_delay_alu instid0(VALU_DEP_1) | instskip(NEXT) | instid1(VALU_DEP_1)
	v_lshlrev_b64 v[220:221], 2, v[224:225]
	v_add_co_u32 v220, vcc_lo, v214, v220
	s_delay_alu instid0(VALU_DEP_2)
	v_add_co_ci_u32_e32 v221, vcc_lo, v215, v221, vcc_lo
	s_clause 0x1
	flat_load_b32 v222, v[220:221]
	flat_load_b32 v223, v[214:215] offset:148
	s_waitcnt vmcnt(1) lgkmcnt(1)
	flat_store_b32 v[214:215], v222 offset:148
	s_waitcnt vmcnt(0) lgkmcnt(1)
	flat_store_b32 v[220:221], v223
.LBB106_791:
	s_or_b32 exec_lo, exec_lo, s6
	v_mov_b32_e32 v232, v224
	v_mov_b32_e32 v231, v224
.LBB106_792:
	s_or_b32 exec_lo, exec_lo, s3
.LBB106_793:
	s_and_not1_saveexec_b32 s2, s2
	s_cbranch_execz .LBB106_795
; %bb.794:
	v_mov_b32_e32 v232, 37
	ds_store_2addr_b64 v226, v[60:61], v[62:63] offset0:76 offset1:77
	ds_store_2addr_b64 v226, v[56:57], v[58:59] offset0:78 offset1:79
	ds_store_2addr_b64 v226, v[52:53], v[54:55] offset0:80 offset1:81
	ds_store_2addr_b64 v226, v[48:49], v[50:51] offset0:82 offset1:83
	ds_store_2addr_b64 v226, v[44:45], v[46:47] offset0:84 offset1:85
	ds_store_2addr_b64 v226, v[40:41], v[42:43] offset0:86 offset1:87
	ds_store_2addr_b64 v226, v[36:37], v[38:39] offset0:88 offset1:89
	ds_store_2addr_b64 v226, v[32:33], v[34:35] offset0:90 offset1:91
	ds_store_2addr_b64 v226, v[28:29], v[30:31] offset0:92 offset1:93
	ds_store_2addr_b64 v226, v[24:25], v[26:27] offset0:94 offset1:95
	ds_store_2addr_b64 v226, v[20:21], v[22:23] offset0:96 offset1:97
	ds_store_2addr_b64 v226, v[16:17], v[18:19] offset0:98 offset1:99
	ds_store_2addr_b64 v226, v[12:13], v[14:15] offset0:100 offset1:101
	ds_store_2addr_b64 v226, v[251:252], v[253:254] offset0:102 offset1:103
	ds_store_2addr_b64 v226, v[247:248], v[249:250] offset0:104 offset1:105
	ds_store_2addr_b64 v226, v[0:1], v[2:3] offset0:106 offset1:107
.LBB106_795:
	s_or_b32 exec_lo, exec_lo, s2
	s_delay_alu instid0(SALU_CYCLE_1)
	s_mov_b32 s2, exec_lo
	s_waitcnt lgkmcnt(0)
	s_waitcnt_vscnt null, 0x0
	s_barrier
	buffer_gl0_inv
	v_cmpx_lt_i32_e32 37, v232
	s_cbranch_execz .LBB106_797
; %bb.796:
	v_mul_f64 v[220:221], v[216:217], v[66:67]
	v_mul_f64 v[66:67], v[218:219], v[66:67]
	s_delay_alu instid0(VALU_DEP_2) | instskip(NEXT) | instid1(VALU_DEP_2)
	v_fma_f64 v[224:225], v[218:219], v[64:65], v[220:221]
	v_fma_f64 v[64:65], v[216:217], v[64:65], -v[66:67]
	ds_load_2addr_b64 v[216:219], v226 offset0:76 offset1:77
	s_waitcnt lgkmcnt(0)
	v_mul_f64 v[66:67], v[218:219], v[224:225]
	s_delay_alu instid0(VALU_DEP_1) | instskip(SKIP_1) | instid1(VALU_DEP_2)
	v_fma_f64 v[66:67], v[216:217], v[64:65], -v[66:67]
	v_mul_f64 v[216:217], v[216:217], v[224:225]
	v_add_f64 v[60:61], v[60:61], -v[66:67]
	s_delay_alu instid0(VALU_DEP_2) | instskip(NEXT) | instid1(VALU_DEP_1)
	v_fma_f64 v[216:217], v[218:219], v[64:65], v[216:217]
	v_add_f64 v[62:63], v[62:63], -v[216:217]
	ds_load_2addr_b64 v[216:219], v226 offset0:78 offset1:79
	s_waitcnt lgkmcnt(0)
	v_mul_f64 v[66:67], v[218:219], v[224:225]
	s_delay_alu instid0(VALU_DEP_1) | instskip(SKIP_1) | instid1(VALU_DEP_2)
	v_fma_f64 v[66:67], v[216:217], v[64:65], -v[66:67]
	v_mul_f64 v[216:217], v[216:217], v[224:225]
	v_add_f64 v[56:57], v[56:57], -v[66:67]
	s_delay_alu instid0(VALU_DEP_2) | instskip(NEXT) | instid1(VALU_DEP_1)
	v_fma_f64 v[216:217], v[218:219], v[64:65], v[216:217]
	v_add_f64 v[58:59], v[58:59], -v[216:217]
	;; [unrolled: 10-line block ×15, first 2 shown]
	ds_load_2addr_b64 v[216:219], v226 offset0:106 offset1:107
	s_waitcnt lgkmcnt(0)
	v_mul_f64 v[66:67], v[218:219], v[224:225]
	s_delay_alu instid0(VALU_DEP_1) | instskip(SKIP_1) | instid1(VALU_DEP_2)
	v_fma_f64 v[66:67], v[216:217], v[64:65], -v[66:67]
	v_mul_f64 v[216:217], v[216:217], v[224:225]
	v_add_f64 v[0:1], v[0:1], -v[66:67]
	s_delay_alu instid0(VALU_DEP_2) | instskip(SKIP_1) | instid1(VALU_DEP_2)
	v_fma_f64 v[216:217], v[218:219], v[64:65], v[216:217]
	v_dual_mov_b32 v66, v224 :: v_dual_mov_b32 v67, v225
	v_add_f64 v[2:3], v[2:3], -v[216:217]
.LBB106_797:
	s_or_b32 exec_lo, exec_lo, s2
	v_lshl_add_u32 v216, v232, 4, v226
	s_barrier
	buffer_gl0_inv
	v_mov_b32_e32 v224, 38
	ds_store_2addr_b64 v216, v[60:61], v[62:63] offset1:1
	s_waitcnt lgkmcnt(0)
	s_barrier
	buffer_gl0_inv
	ds_load_2addr_b64 v[216:219], v226 offset0:76 offset1:77
	s_cmp_lt_i32 s5, 40
	s_cbranch_scc1 .LBB106_800
; %bb.798:
	v_add3_u32 v225, v230, 0, 0x270
	v_mov_b32_e32 v224, 38
	s_mov_b32 s6, 39
	s_set_inst_prefetch_distance 0x1
	.p2align	6
.LBB106_799:                            ; =>This Inner Loop Header: Depth=1
	ds_load_2addr_b64 v[233:236], v225 offset1:1
	s_waitcnt lgkmcnt(1)
	v_cmp_gt_f64_e32 vcc_lo, 0, v[216:217]
	v_xor_b32_e32 v220, 0x80000000, v217
	v_cmp_gt_f64_e64 s2, 0, v[218:219]
	v_xor_b32_e32 v222, 0x80000000, v219
	v_add_nc_u32_e32 v225, 16, v225
	s_waitcnt lgkmcnt(0)
	v_cmp_gt_f64_e64 s3, 0, v[233:234]
	v_mov_b32_e32 v237, v233
	v_mov_b32_e32 v239, v235
	v_cndmask_b32_e32 v221, v217, v220, vcc_lo
	v_xor_b32_e32 v220, 0x80000000, v234
	v_cndmask_b32_e64 v223, v219, v222, s2
	v_xor_b32_e32 v222, 0x80000000, v236
	s_delay_alu instid0(VALU_DEP_3) | instskip(SKIP_2) | instid1(VALU_DEP_2)
	v_cndmask_b32_e64 v238, v234, v220, s3
	v_cmp_gt_f64_e64 s3, 0, v[235:236]
	v_cndmask_b32_e32 v220, v216, v216, vcc_lo
	v_cndmask_b32_e64 v240, v236, v222, s3
	v_cndmask_b32_e64 v222, v218, v218, s2
	s_delay_alu instid0(VALU_DEP_2) | instskip(NEXT) | instid1(VALU_DEP_2)
	v_add_f64 v[237:238], v[237:238], v[239:240]
	v_add_f64 v[220:221], v[220:221], v[222:223]
	s_delay_alu instid0(VALU_DEP_1) | instskip(SKIP_4) | instid1(SALU_CYCLE_1)
	v_cmp_lt_f64_e32 vcc_lo, v[220:221], v[237:238]
	v_dual_cndmask_b32 v216, v216, v233 :: v_dual_cndmask_b32 v217, v217, v234
	v_dual_cndmask_b32 v219, v219, v236 :: v_dual_cndmask_b32 v218, v218, v235
	v_cndmask_b32_e64 v224, v224, s6, vcc_lo
	s_add_i32 s6, s6, 1
	s_cmp_lg_u32 s5, s6
	s_cbranch_scc1 .LBB106_799
.LBB106_800:
	s_set_inst_prefetch_distance 0x2
	s_waitcnt lgkmcnt(0)
	v_cmp_eq_f64_e32 vcc_lo, 0, v[216:217]
	v_cmp_eq_f64_e64 s2, 0, v[218:219]
	s_delay_alu instid0(VALU_DEP_1) | instskip(NEXT) | instid1(SALU_CYCLE_1)
	s_and_b32 s2, vcc_lo, s2
	s_and_saveexec_b32 s3, s2
	s_delay_alu instid0(SALU_CYCLE_1)
	s_xor_b32 s2, exec_lo, s3
; %bb.801:
	v_cmp_ne_u32_e32 vcc_lo, 0, v229
	v_cndmask_b32_e32 v229, 39, v229, vcc_lo
; %bb.802:
	s_and_not1_saveexec_b32 s3, s2
	s_cbranch_execz .LBB106_808
; %bb.803:
	v_cmp_gt_f64_e32 vcc_lo, 0, v[216:217]
	v_cmp_gt_f64_e64 s2, 0, v[218:219]
	v_xor_b32_e32 v220, 0x80000000, v217
	v_xor_b32_e32 v222, 0x80000000, v219
	s_delay_alu instid0(VALU_DEP_2) | instskip(NEXT) | instid1(VALU_DEP_2)
	v_cndmask_b32_e32 v221, v217, v220, vcc_lo
	v_cndmask_b32_e64 v223, v219, v222, s2
	v_cndmask_b32_e32 v220, v216, v216, vcc_lo
	v_cndmask_b32_e64 v222, v218, v218, s2
	s_mov_b32 s2, exec_lo
	s_delay_alu instid0(VALU_DEP_1)
	v_cmpx_ngt_f64_e32 v[220:221], v[222:223]
	s_xor_b32 s2, exec_lo, s2
	s_cbranch_execz .LBB106_805
; %bb.804:
	v_div_scale_f64 v[220:221], null, v[218:219], v[218:219], v[216:217]
	v_div_scale_f64 v[235:236], vcc_lo, v[216:217], v[218:219], v[216:217]
	s_delay_alu instid0(VALU_DEP_2) | instskip(SKIP_2) | instid1(VALU_DEP_1)
	v_rcp_f64_e32 v[222:223], v[220:221]
	s_waitcnt_depctr 0xfff
	v_fma_f64 v[233:234], -v[220:221], v[222:223], 1.0
	v_fma_f64 v[222:223], v[222:223], v[233:234], v[222:223]
	s_delay_alu instid0(VALU_DEP_1) | instskip(NEXT) | instid1(VALU_DEP_1)
	v_fma_f64 v[233:234], -v[220:221], v[222:223], 1.0
	v_fma_f64 v[222:223], v[222:223], v[233:234], v[222:223]
	s_delay_alu instid0(VALU_DEP_1) | instskip(NEXT) | instid1(VALU_DEP_1)
	v_mul_f64 v[233:234], v[235:236], v[222:223]
	v_fma_f64 v[220:221], -v[220:221], v[233:234], v[235:236]
	s_delay_alu instid0(VALU_DEP_1) | instskip(NEXT) | instid1(VALU_DEP_1)
	v_div_fmas_f64 v[220:221], v[220:221], v[222:223], v[233:234]
	v_div_fixup_f64 v[220:221], v[220:221], v[218:219], v[216:217]
	s_delay_alu instid0(VALU_DEP_1) | instskip(NEXT) | instid1(VALU_DEP_1)
	v_fma_f64 v[216:217], v[216:217], v[220:221], v[218:219]
	v_div_scale_f64 v[218:219], null, v[216:217], v[216:217], 1.0
	s_delay_alu instid0(VALU_DEP_1) | instskip(SKIP_2) | instid1(VALU_DEP_1)
	v_rcp_f64_e32 v[222:223], v[218:219]
	s_waitcnt_depctr 0xfff
	v_fma_f64 v[233:234], -v[218:219], v[222:223], 1.0
	v_fma_f64 v[222:223], v[222:223], v[233:234], v[222:223]
	s_delay_alu instid0(VALU_DEP_1) | instskip(NEXT) | instid1(VALU_DEP_1)
	v_fma_f64 v[233:234], -v[218:219], v[222:223], 1.0
	v_fma_f64 v[222:223], v[222:223], v[233:234], v[222:223]
	v_div_scale_f64 v[233:234], vcc_lo, 1.0, v[216:217], 1.0
	s_delay_alu instid0(VALU_DEP_1) | instskip(NEXT) | instid1(VALU_DEP_1)
	v_mul_f64 v[235:236], v[233:234], v[222:223]
	v_fma_f64 v[218:219], -v[218:219], v[235:236], v[233:234]
	s_delay_alu instid0(VALU_DEP_1) | instskip(NEXT) | instid1(VALU_DEP_1)
	v_div_fmas_f64 v[218:219], v[218:219], v[222:223], v[235:236]
	v_div_fixup_f64 v[218:219], v[218:219], v[216:217], 1.0
	s_delay_alu instid0(VALU_DEP_1)
	v_mul_f64 v[216:217], v[220:221], v[218:219]
	v_xor_b32_e32 v219, 0x80000000, v219
.LBB106_805:
	s_and_not1_saveexec_b32 s2, s2
	s_cbranch_execz .LBB106_807
; %bb.806:
	s_delay_alu instid0(VALU_DEP_1) | instskip(SKIP_1) | instid1(VALU_DEP_2)
	v_div_scale_f64 v[220:221], null, v[216:217], v[216:217], v[218:219]
	v_div_scale_f64 v[235:236], vcc_lo, v[218:219], v[216:217], v[218:219]
	v_rcp_f64_e32 v[222:223], v[220:221]
	s_waitcnt_depctr 0xfff
	v_fma_f64 v[233:234], -v[220:221], v[222:223], 1.0
	s_delay_alu instid0(VALU_DEP_1) | instskip(NEXT) | instid1(VALU_DEP_1)
	v_fma_f64 v[222:223], v[222:223], v[233:234], v[222:223]
	v_fma_f64 v[233:234], -v[220:221], v[222:223], 1.0
	s_delay_alu instid0(VALU_DEP_1) | instskip(NEXT) | instid1(VALU_DEP_1)
	v_fma_f64 v[222:223], v[222:223], v[233:234], v[222:223]
	v_mul_f64 v[233:234], v[235:236], v[222:223]
	s_delay_alu instid0(VALU_DEP_1) | instskip(NEXT) | instid1(VALU_DEP_1)
	v_fma_f64 v[220:221], -v[220:221], v[233:234], v[235:236]
	v_div_fmas_f64 v[220:221], v[220:221], v[222:223], v[233:234]
	s_delay_alu instid0(VALU_DEP_1) | instskip(NEXT) | instid1(VALU_DEP_1)
	v_div_fixup_f64 v[220:221], v[220:221], v[216:217], v[218:219]
	v_fma_f64 v[216:217], v[218:219], v[220:221], v[216:217]
	s_delay_alu instid0(VALU_DEP_1) | instskip(NEXT) | instid1(VALU_DEP_1)
	v_div_scale_f64 v[218:219], null, v[216:217], v[216:217], 1.0
	v_rcp_f64_e32 v[222:223], v[218:219]
	s_waitcnt_depctr 0xfff
	v_fma_f64 v[233:234], -v[218:219], v[222:223], 1.0
	s_delay_alu instid0(VALU_DEP_1) | instskip(NEXT) | instid1(VALU_DEP_1)
	v_fma_f64 v[222:223], v[222:223], v[233:234], v[222:223]
	v_fma_f64 v[233:234], -v[218:219], v[222:223], 1.0
	s_delay_alu instid0(VALU_DEP_1) | instskip(SKIP_1) | instid1(VALU_DEP_1)
	v_fma_f64 v[222:223], v[222:223], v[233:234], v[222:223]
	v_div_scale_f64 v[233:234], vcc_lo, 1.0, v[216:217], 1.0
	v_mul_f64 v[235:236], v[233:234], v[222:223]
	s_delay_alu instid0(VALU_DEP_1) | instskip(NEXT) | instid1(VALU_DEP_1)
	v_fma_f64 v[218:219], -v[218:219], v[235:236], v[233:234]
	v_div_fmas_f64 v[218:219], v[218:219], v[222:223], v[235:236]
	s_delay_alu instid0(VALU_DEP_1) | instskip(NEXT) | instid1(VALU_DEP_1)
	v_div_fixup_f64 v[216:217], v[218:219], v[216:217], 1.0
	v_mul_f64 v[218:219], v[220:221], -v[216:217]
.LBB106_807:
	s_or_b32 exec_lo, exec_lo, s2
.LBB106_808:
	s_delay_alu instid0(SALU_CYCLE_1) | instskip(NEXT) | instid1(SALU_CYCLE_1)
	s_or_b32 exec_lo, exec_lo, s3
	s_mov_b32 s2, exec_lo
	v_cmpx_ne_u32_e64 v232, v224
	s_xor_b32 s2, exec_lo, s2
	s_cbranch_execz .LBB106_814
; %bb.809:
	s_mov_b32 s3, exec_lo
	v_cmpx_eq_u32_e32 38, v232
	s_cbranch_execz .LBB106_813
; %bb.810:
	v_cmp_ne_u32_e32 vcc_lo, 38, v224
	s_xor_b32 s6, s4, -1
	s_delay_alu instid0(SALU_CYCLE_1) | instskip(NEXT) | instid1(SALU_CYCLE_1)
	s_and_b32 s7, s6, vcc_lo
	s_and_saveexec_b32 s6, s7
	s_cbranch_execz .LBB106_812
; %bb.811:
	v_ashrrev_i32_e32 v225, 31, v224
	s_delay_alu instid0(VALU_DEP_1) | instskip(NEXT) | instid1(VALU_DEP_1)
	v_lshlrev_b64 v[220:221], 2, v[224:225]
	v_add_co_u32 v220, vcc_lo, v214, v220
	s_delay_alu instid0(VALU_DEP_2)
	v_add_co_ci_u32_e32 v221, vcc_lo, v215, v221, vcc_lo
	s_clause 0x1
	flat_load_b32 v222, v[220:221]
	flat_load_b32 v223, v[214:215] offset:152
	s_waitcnt vmcnt(1) lgkmcnt(1)
	flat_store_b32 v[214:215], v222 offset:152
	s_waitcnt vmcnt(0) lgkmcnt(1)
	flat_store_b32 v[220:221], v223
.LBB106_812:
	s_or_b32 exec_lo, exec_lo, s6
	v_mov_b32_e32 v232, v224
	v_mov_b32_e32 v231, v224
.LBB106_813:
	s_or_b32 exec_lo, exec_lo, s3
.LBB106_814:
	s_and_not1_saveexec_b32 s2, s2
	s_cbranch_execz .LBB106_816
; %bb.815:
	v_mov_b32_e32 v232, 38
	ds_store_2addr_b64 v226, v[56:57], v[58:59] offset0:78 offset1:79
	ds_store_2addr_b64 v226, v[52:53], v[54:55] offset0:80 offset1:81
	;; [unrolled: 1-line block ×15, first 2 shown]
.LBB106_816:
	s_or_b32 exec_lo, exec_lo, s2
	s_delay_alu instid0(SALU_CYCLE_1)
	s_mov_b32 s2, exec_lo
	s_waitcnt lgkmcnt(0)
	s_waitcnt_vscnt null, 0x0
	s_barrier
	buffer_gl0_inv
	v_cmpx_lt_i32_e32 38, v232
	s_cbranch_execz .LBB106_818
; %bb.817:
	v_mul_f64 v[220:221], v[216:217], v[62:63]
	v_mul_f64 v[62:63], v[218:219], v[62:63]
	s_delay_alu instid0(VALU_DEP_2) | instskip(NEXT) | instid1(VALU_DEP_2)
	v_fma_f64 v[224:225], v[218:219], v[60:61], v[220:221]
	v_fma_f64 v[60:61], v[216:217], v[60:61], -v[62:63]
	ds_load_2addr_b64 v[216:219], v226 offset0:78 offset1:79
	s_waitcnt lgkmcnt(0)
	v_mul_f64 v[62:63], v[218:219], v[224:225]
	s_delay_alu instid0(VALU_DEP_1) | instskip(SKIP_1) | instid1(VALU_DEP_2)
	v_fma_f64 v[62:63], v[216:217], v[60:61], -v[62:63]
	v_mul_f64 v[216:217], v[216:217], v[224:225]
	v_add_f64 v[56:57], v[56:57], -v[62:63]
	s_delay_alu instid0(VALU_DEP_2) | instskip(NEXT) | instid1(VALU_DEP_1)
	v_fma_f64 v[216:217], v[218:219], v[60:61], v[216:217]
	v_add_f64 v[58:59], v[58:59], -v[216:217]
	ds_load_2addr_b64 v[216:219], v226 offset0:80 offset1:81
	s_waitcnt lgkmcnt(0)
	v_mul_f64 v[62:63], v[218:219], v[224:225]
	s_delay_alu instid0(VALU_DEP_1) | instskip(SKIP_1) | instid1(VALU_DEP_2)
	v_fma_f64 v[62:63], v[216:217], v[60:61], -v[62:63]
	v_mul_f64 v[216:217], v[216:217], v[224:225]
	v_add_f64 v[52:53], v[52:53], -v[62:63]
	s_delay_alu instid0(VALU_DEP_2) | instskip(NEXT) | instid1(VALU_DEP_1)
	v_fma_f64 v[216:217], v[218:219], v[60:61], v[216:217]
	v_add_f64 v[54:55], v[54:55], -v[216:217]
	;; [unrolled: 10-line block ×14, first 2 shown]
	ds_load_2addr_b64 v[216:219], v226 offset0:106 offset1:107
	s_waitcnt lgkmcnt(0)
	v_mul_f64 v[62:63], v[218:219], v[224:225]
	s_delay_alu instid0(VALU_DEP_1) | instskip(SKIP_1) | instid1(VALU_DEP_2)
	v_fma_f64 v[62:63], v[216:217], v[60:61], -v[62:63]
	v_mul_f64 v[216:217], v[216:217], v[224:225]
	v_add_f64 v[0:1], v[0:1], -v[62:63]
	s_delay_alu instid0(VALU_DEP_2) | instskip(SKIP_1) | instid1(VALU_DEP_2)
	v_fma_f64 v[216:217], v[218:219], v[60:61], v[216:217]
	v_dual_mov_b32 v62, v224 :: v_dual_mov_b32 v63, v225
	v_add_f64 v[2:3], v[2:3], -v[216:217]
.LBB106_818:
	s_or_b32 exec_lo, exec_lo, s2
	v_lshl_add_u32 v216, v232, 4, v226
	s_barrier
	buffer_gl0_inv
	v_mov_b32_e32 v224, 39
	ds_store_2addr_b64 v216, v[56:57], v[58:59] offset1:1
	s_waitcnt lgkmcnt(0)
	s_barrier
	buffer_gl0_inv
	ds_load_2addr_b64 v[216:219], v226 offset0:78 offset1:79
	s_cmp_lt_i32 s5, 41
	s_cbranch_scc1 .LBB106_821
; %bb.819:
	v_add3_u32 v225, v230, 0, 0x280
	v_mov_b32_e32 v224, 39
	s_mov_b32 s6, 40
	s_set_inst_prefetch_distance 0x1
	.p2align	6
.LBB106_820:                            ; =>This Inner Loop Header: Depth=1
	ds_load_2addr_b64 v[233:236], v225 offset1:1
	s_waitcnt lgkmcnt(1)
	v_cmp_gt_f64_e32 vcc_lo, 0, v[216:217]
	v_xor_b32_e32 v220, 0x80000000, v217
	v_cmp_gt_f64_e64 s2, 0, v[218:219]
	v_xor_b32_e32 v222, 0x80000000, v219
	v_add_nc_u32_e32 v225, 16, v225
	s_waitcnt lgkmcnt(0)
	v_cmp_gt_f64_e64 s3, 0, v[233:234]
	v_mov_b32_e32 v237, v233
	v_mov_b32_e32 v239, v235
	v_cndmask_b32_e32 v221, v217, v220, vcc_lo
	v_xor_b32_e32 v220, 0x80000000, v234
	v_cndmask_b32_e64 v223, v219, v222, s2
	v_xor_b32_e32 v222, 0x80000000, v236
	s_delay_alu instid0(VALU_DEP_3) | instskip(SKIP_2) | instid1(VALU_DEP_2)
	v_cndmask_b32_e64 v238, v234, v220, s3
	v_cmp_gt_f64_e64 s3, 0, v[235:236]
	v_cndmask_b32_e32 v220, v216, v216, vcc_lo
	v_cndmask_b32_e64 v240, v236, v222, s3
	v_cndmask_b32_e64 v222, v218, v218, s2
	s_delay_alu instid0(VALU_DEP_2) | instskip(NEXT) | instid1(VALU_DEP_2)
	v_add_f64 v[237:238], v[237:238], v[239:240]
	v_add_f64 v[220:221], v[220:221], v[222:223]
	s_delay_alu instid0(VALU_DEP_1) | instskip(SKIP_4) | instid1(SALU_CYCLE_1)
	v_cmp_lt_f64_e32 vcc_lo, v[220:221], v[237:238]
	v_dual_cndmask_b32 v216, v216, v233 :: v_dual_cndmask_b32 v217, v217, v234
	v_dual_cndmask_b32 v219, v219, v236 :: v_dual_cndmask_b32 v218, v218, v235
	v_cndmask_b32_e64 v224, v224, s6, vcc_lo
	s_add_i32 s6, s6, 1
	s_cmp_lg_u32 s5, s6
	s_cbranch_scc1 .LBB106_820
.LBB106_821:
	s_set_inst_prefetch_distance 0x2
	s_waitcnt lgkmcnt(0)
	v_cmp_eq_f64_e32 vcc_lo, 0, v[216:217]
	v_cmp_eq_f64_e64 s2, 0, v[218:219]
	s_delay_alu instid0(VALU_DEP_1) | instskip(NEXT) | instid1(SALU_CYCLE_1)
	s_and_b32 s2, vcc_lo, s2
	s_and_saveexec_b32 s3, s2
	s_delay_alu instid0(SALU_CYCLE_1)
	s_xor_b32 s2, exec_lo, s3
; %bb.822:
	v_cmp_ne_u32_e32 vcc_lo, 0, v229
	v_cndmask_b32_e32 v229, 40, v229, vcc_lo
; %bb.823:
	s_and_not1_saveexec_b32 s3, s2
	s_cbranch_execz .LBB106_829
; %bb.824:
	v_cmp_gt_f64_e32 vcc_lo, 0, v[216:217]
	v_cmp_gt_f64_e64 s2, 0, v[218:219]
	v_xor_b32_e32 v220, 0x80000000, v217
	v_xor_b32_e32 v222, 0x80000000, v219
	s_delay_alu instid0(VALU_DEP_2) | instskip(NEXT) | instid1(VALU_DEP_2)
	v_cndmask_b32_e32 v221, v217, v220, vcc_lo
	v_cndmask_b32_e64 v223, v219, v222, s2
	v_cndmask_b32_e32 v220, v216, v216, vcc_lo
	v_cndmask_b32_e64 v222, v218, v218, s2
	s_mov_b32 s2, exec_lo
	s_delay_alu instid0(VALU_DEP_1)
	v_cmpx_ngt_f64_e32 v[220:221], v[222:223]
	s_xor_b32 s2, exec_lo, s2
	s_cbranch_execz .LBB106_826
; %bb.825:
	v_div_scale_f64 v[220:221], null, v[218:219], v[218:219], v[216:217]
	v_div_scale_f64 v[235:236], vcc_lo, v[216:217], v[218:219], v[216:217]
	s_delay_alu instid0(VALU_DEP_2) | instskip(SKIP_2) | instid1(VALU_DEP_1)
	v_rcp_f64_e32 v[222:223], v[220:221]
	s_waitcnt_depctr 0xfff
	v_fma_f64 v[233:234], -v[220:221], v[222:223], 1.0
	v_fma_f64 v[222:223], v[222:223], v[233:234], v[222:223]
	s_delay_alu instid0(VALU_DEP_1) | instskip(NEXT) | instid1(VALU_DEP_1)
	v_fma_f64 v[233:234], -v[220:221], v[222:223], 1.0
	v_fma_f64 v[222:223], v[222:223], v[233:234], v[222:223]
	s_delay_alu instid0(VALU_DEP_1) | instskip(NEXT) | instid1(VALU_DEP_1)
	v_mul_f64 v[233:234], v[235:236], v[222:223]
	v_fma_f64 v[220:221], -v[220:221], v[233:234], v[235:236]
	s_delay_alu instid0(VALU_DEP_1) | instskip(NEXT) | instid1(VALU_DEP_1)
	v_div_fmas_f64 v[220:221], v[220:221], v[222:223], v[233:234]
	v_div_fixup_f64 v[220:221], v[220:221], v[218:219], v[216:217]
	s_delay_alu instid0(VALU_DEP_1) | instskip(NEXT) | instid1(VALU_DEP_1)
	v_fma_f64 v[216:217], v[216:217], v[220:221], v[218:219]
	v_div_scale_f64 v[218:219], null, v[216:217], v[216:217], 1.0
	s_delay_alu instid0(VALU_DEP_1) | instskip(SKIP_2) | instid1(VALU_DEP_1)
	v_rcp_f64_e32 v[222:223], v[218:219]
	s_waitcnt_depctr 0xfff
	v_fma_f64 v[233:234], -v[218:219], v[222:223], 1.0
	v_fma_f64 v[222:223], v[222:223], v[233:234], v[222:223]
	s_delay_alu instid0(VALU_DEP_1) | instskip(NEXT) | instid1(VALU_DEP_1)
	v_fma_f64 v[233:234], -v[218:219], v[222:223], 1.0
	v_fma_f64 v[222:223], v[222:223], v[233:234], v[222:223]
	v_div_scale_f64 v[233:234], vcc_lo, 1.0, v[216:217], 1.0
	s_delay_alu instid0(VALU_DEP_1) | instskip(NEXT) | instid1(VALU_DEP_1)
	v_mul_f64 v[235:236], v[233:234], v[222:223]
	v_fma_f64 v[218:219], -v[218:219], v[235:236], v[233:234]
	s_delay_alu instid0(VALU_DEP_1) | instskip(NEXT) | instid1(VALU_DEP_1)
	v_div_fmas_f64 v[218:219], v[218:219], v[222:223], v[235:236]
	v_div_fixup_f64 v[218:219], v[218:219], v[216:217], 1.0
	s_delay_alu instid0(VALU_DEP_1)
	v_mul_f64 v[216:217], v[220:221], v[218:219]
	v_xor_b32_e32 v219, 0x80000000, v219
.LBB106_826:
	s_and_not1_saveexec_b32 s2, s2
	s_cbranch_execz .LBB106_828
; %bb.827:
	s_delay_alu instid0(VALU_DEP_1) | instskip(SKIP_1) | instid1(VALU_DEP_2)
	v_div_scale_f64 v[220:221], null, v[216:217], v[216:217], v[218:219]
	v_div_scale_f64 v[235:236], vcc_lo, v[218:219], v[216:217], v[218:219]
	v_rcp_f64_e32 v[222:223], v[220:221]
	s_waitcnt_depctr 0xfff
	v_fma_f64 v[233:234], -v[220:221], v[222:223], 1.0
	s_delay_alu instid0(VALU_DEP_1) | instskip(NEXT) | instid1(VALU_DEP_1)
	v_fma_f64 v[222:223], v[222:223], v[233:234], v[222:223]
	v_fma_f64 v[233:234], -v[220:221], v[222:223], 1.0
	s_delay_alu instid0(VALU_DEP_1) | instskip(NEXT) | instid1(VALU_DEP_1)
	v_fma_f64 v[222:223], v[222:223], v[233:234], v[222:223]
	v_mul_f64 v[233:234], v[235:236], v[222:223]
	s_delay_alu instid0(VALU_DEP_1) | instskip(NEXT) | instid1(VALU_DEP_1)
	v_fma_f64 v[220:221], -v[220:221], v[233:234], v[235:236]
	v_div_fmas_f64 v[220:221], v[220:221], v[222:223], v[233:234]
	s_delay_alu instid0(VALU_DEP_1) | instskip(NEXT) | instid1(VALU_DEP_1)
	v_div_fixup_f64 v[220:221], v[220:221], v[216:217], v[218:219]
	v_fma_f64 v[216:217], v[218:219], v[220:221], v[216:217]
	s_delay_alu instid0(VALU_DEP_1) | instskip(NEXT) | instid1(VALU_DEP_1)
	v_div_scale_f64 v[218:219], null, v[216:217], v[216:217], 1.0
	v_rcp_f64_e32 v[222:223], v[218:219]
	s_waitcnt_depctr 0xfff
	v_fma_f64 v[233:234], -v[218:219], v[222:223], 1.0
	s_delay_alu instid0(VALU_DEP_1) | instskip(NEXT) | instid1(VALU_DEP_1)
	v_fma_f64 v[222:223], v[222:223], v[233:234], v[222:223]
	v_fma_f64 v[233:234], -v[218:219], v[222:223], 1.0
	s_delay_alu instid0(VALU_DEP_1) | instskip(SKIP_1) | instid1(VALU_DEP_1)
	v_fma_f64 v[222:223], v[222:223], v[233:234], v[222:223]
	v_div_scale_f64 v[233:234], vcc_lo, 1.0, v[216:217], 1.0
	v_mul_f64 v[235:236], v[233:234], v[222:223]
	s_delay_alu instid0(VALU_DEP_1) | instskip(NEXT) | instid1(VALU_DEP_1)
	v_fma_f64 v[218:219], -v[218:219], v[235:236], v[233:234]
	v_div_fmas_f64 v[218:219], v[218:219], v[222:223], v[235:236]
	s_delay_alu instid0(VALU_DEP_1) | instskip(NEXT) | instid1(VALU_DEP_1)
	v_div_fixup_f64 v[216:217], v[218:219], v[216:217], 1.0
	v_mul_f64 v[218:219], v[220:221], -v[216:217]
.LBB106_828:
	s_or_b32 exec_lo, exec_lo, s2
.LBB106_829:
	s_delay_alu instid0(SALU_CYCLE_1) | instskip(NEXT) | instid1(SALU_CYCLE_1)
	s_or_b32 exec_lo, exec_lo, s3
	s_mov_b32 s2, exec_lo
	v_cmpx_ne_u32_e64 v232, v224
	s_xor_b32 s2, exec_lo, s2
	s_cbranch_execz .LBB106_835
; %bb.830:
	s_mov_b32 s3, exec_lo
	v_cmpx_eq_u32_e32 39, v232
	s_cbranch_execz .LBB106_834
; %bb.831:
	v_cmp_ne_u32_e32 vcc_lo, 39, v224
	s_xor_b32 s6, s4, -1
	s_delay_alu instid0(SALU_CYCLE_1) | instskip(NEXT) | instid1(SALU_CYCLE_1)
	s_and_b32 s7, s6, vcc_lo
	s_and_saveexec_b32 s6, s7
	s_cbranch_execz .LBB106_833
; %bb.832:
	v_ashrrev_i32_e32 v225, 31, v224
	s_delay_alu instid0(VALU_DEP_1) | instskip(NEXT) | instid1(VALU_DEP_1)
	v_lshlrev_b64 v[220:221], 2, v[224:225]
	v_add_co_u32 v220, vcc_lo, v214, v220
	s_delay_alu instid0(VALU_DEP_2)
	v_add_co_ci_u32_e32 v221, vcc_lo, v215, v221, vcc_lo
	s_clause 0x1
	flat_load_b32 v222, v[220:221]
	flat_load_b32 v223, v[214:215] offset:156
	s_waitcnt vmcnt(1) lgkmcnt(1)
	flat_store_b32 v[214:215], v222 offset:156
	s_waitcnt vmcnt(0) lgkmcnt(1)
	flat_store_b32 v[220:221], v223
.LBB106_833:
	s_or_b32 exec_lo, exec_lo, s6
	v_mov_b32_e32 v232, v224
	v_mov_b32_e32 v231, v224
.LBB106_834:
	s_or_b32 exec_lo, exec_lo, s3
.LBB106_835:
	s_and_not1_saveexec_b32 s2, s2
	s_cbranch_execz .LBB106_837
; %bb.836:
	v_mov_b32_e32 v232, 39
	ds_store_2addr_b64 v226, v[52:53], v[54:55] offset0:80 offset1:81
	ds_store_2addr_b64 v226, v[48:49], v[50:51] offset0:82 offset1:83
	ds_store_2addr_b64 v226, v[44:45], v[46:47] offset0:84 offset1:85
	ds_store_2addr_b64 v226, v[40:41], v[42:43] offset0:86 offset1:87
	ds_store_2addr_b64 v226, v[36:37], v[38:39] offset0:88 offset1:89
	ds_store_2addr_b64 v226, v[32:33], v[34:35] offset0:90 offset1:91
	ds_store_2addr_b64 v226, v[28:29], v[30:31] offset0:92 offset1:93
	ds_store_2addr_b64 v226, v[24:25], v[26:27] offset0:94 offset1:95
	ds_store_2addr_b64 v226, v[20:21], v[22:23] offset0:96 offset1:97
	ds_store_2addr_b64 v226, v[16:17], v[18:19] offset0:98 offset1:99
	ds_store_2addr_b64 v226, v[12:13], v[14:15] offset0:100 offset1:101
	ds_store_2addr_b64 v226, v[251:252], v[253:254] offset0:102 offset1:103
	ds_store_2addr_b64 v226, v[247:248], v[249:250] offset0:104 offset1:105
	ds_store_2addr_b64 v226, v[0:1], v[2:3] offset0:106 offset1:107
.LBB106_837:
	s_or_b32 exec_lo, exec_lo, s2
	s_delay_alu instid0(SALU_CYCLE_1)
	s_mov_b32 s2, exec_lo
	s_waitcnt lgkmcnt(0)
	s_waitcnt_vscnt null, 0x0
	s_barrier
	buffer_gl0_inv
	v_cmpx_lt_i32_e32 39, v232
	s_cbranch_execz .LBB106_839
; %bb.838:
	v_mul_f64 v[220:221], v[216:217], v[58:59]
	v_mul_f64 v[58:59], v[218:219], v[58:59]
	s_delay_alu instid0(VALU_DEP_2) | instskip(NEXT) | instid1(VALU_DEP_2)
	v_fma_f64 v[224:225], v[218:219], v[56:57], v[220:221]
	v_fma_f64 v[56:57], v[216:217], v[56:57], -v[58:59]
	ds_load_2addr_b64 v[216:219], v226 offset0:80 offset1:81
	s_waitcnt lgkmcnt(0)
	v_mul_f64 v[58:59], v[218:219], v[224:225]
	s_delay_alu instid0(VALU_DEP_1) | instskip(SKIP_1) | instid1(VALU_DEP_2)
	v_fma_f64 v[58:59], v[216:217], v[56:57], -v[58:59]
	v_mul_f64 v[216:217], v[216:217], v[224:225]
	v_add_f64 v[52:53], v[52:53], -v[58:59]
	s_delay_alu instid0(VALU_DEP_2) | instskip(NEXT) | instid1(VALU_DEP_1)
	v_fma_f64 v[216:217], v[218:219], v[56:57], v[216:217]
	v_add_f64 v[54:55], v[54:55], -v[216:217]
	ds_load_2addr_b64 v[216:219], v226 offset0:82 offset1:83
	s_waitcnt lgkmcnt(0)
	v_mul_f64 v[58:59], v[218:219], v[224:225]
	s_delay_alu instid0(VALU_DEP_1) | instskip(SKIP_1) | instid1(VALU_DEP_2)
	v_fma_f64 v[58:59], v[216:217], v[56:57], -v[58:59]
	v_mul_f64 v[216:217], v[216:217], v[224:225]
	v_add_f64 v[48:49], v[48:49], -v[58:59]
	s_delay_alu instid0(VALU_DEP_2) | instskip(NEXT) | instid1(VALU_DEP_1)
	v_fma_f64 v[216:217], v[218:219], v[56:57], v[216:217]
	v_add_f64 v[50:51], v[50:51], -v[216:217]
	;; [unrolled: 10-line block ×13, first 2 shown]
	ds_load_2addr_b64 v[216:219], v226 offset0:106 offset1:107
	s_waitcnt lgkmcnt(0)
	v_mul_f64 v[58:59], v[218:219], v[224:225]
	s_delay_alu instid0(VALU_DEP_1) | instskip(SKIP_1) | instid1(VALU_DEP_2)
	v_fma_f64 v[58:59], v[216:217], v[56:57], -v[58:59]
	v_mul_f64 v[216:217], v[216:217], v[224:225]
	v_add_f64 v[0:1], v[0:1], -v[58:59]
	s_delay_alu instid0(VALU_DEP_2) | instskip(SKIP_1) | instid1(VALU_DEP_2)
	v_fma_f64 v[216:217], v[218:219], v[56:57], v[216:217]
	v_dual_mov_b32 v58, v224 :: v_dual_mov_b32 v59, v225
	v_add_f64 v[2:3], v[2:3], -v[216:217]
.LBB106_839:
	s_or_b32 exec_lo, exec_lo, s2
	v_lshl_add_u32 v216, v232, 4, v226
	s_barrier
	buffer_gl0_inv
	v_mov_b32_e32 v224, 40
	ds_store_2addr_b64 v216, v[52:53], v[54:55] offset1:1
	s_waitcnt lgkmcnt(0)
	s_barrier
	buffer_gl0_inv
	ds_load_2addr_b64 v[216:219], v226 offset0:80 offset1:81
	s_cmp_lt_i32 s5, 42
	s_cbranch_scc1 .LBB106_842
; %bb.840:
	v_add3_u32 v225, v230, 0, 0x290
	v_mov_b32_e32 v224, 40
	s_mov_b32 s6, 41
	s_set_inst_prefetch_distance 0x1
	.p2align	6
.LBB106_841:                            ; =>This Inner Loop Header: Depth=1
	ds_load_2addr_b64 v[233:236], v225 offset1:1
	s_waitcnt lgkmcnt(1)
	v_cmp_gt_f64_e32 vcc_lo, 0, v[216:217]
	v_xor_b32_e32 v220, 0x80000000, v217
	v_cmp_gt_f64_e64 s2, 0, v[218:219]
	v_xor_b32_e32 v222, 0x80000000, v219
	v_add_nc_u32_e32 v225, 16, v225
	s_waitcnt lgkmcnt(0)
	v_cmp_gt_f64_e64 s3, 0, v[233:234]
	v_mov_b32_e32 v237, v233
	v_mov_b32_e32 v239, v235
	v_cndmask_b32_e32 v221, v217, v220, vcc_lo
	v_xor_b32_e32 v220, 0x80000000, v234
	v_cndmask_b32_e64 v223, v219, v222, s2
	v_xor_b32_e32 v222, 0x80000000, v236
	s_delay_alu instid0(VALU_DEP_3) | instskip(SKIP_2) | instid1(VALU_DEP_2)
	v_cndmask_b32_e64 v238, v234, v220, s3
	v_cmp_gt_f64_e64 s3, 0, v[235:236]
	v_cndmask_b32_e32 v220, v216, v216, vcc_lo
	v_cndmask_b32_e64 v240, v236, v222, s3
	v_cndmask_b32_e64 v222, v218, v218, s2
	s_delay_alu instid0(VALU_DEP_2) | instskip(NEXT) | instid1(VALU_DEP_2)
	v_add_f64 v[237:238], v[237:238], v[239:240]
	v_add_f64 v[220:221], v[220:221], v[222:223]
	s_delay_alu instid0(VALU_DEP_1) | instskip(SKIP_4) | instid1(SALU_CYCLE_1)
	v_cmp_lt_f64_e32 vcc_lo, v[220:221], v[237:238]
	v_dual_cndmask_b32 v216, v216, v233 :: v_dual_cndmask_b32 v217, v217, v234
	v_dual_cndmask_b32 v219, v219, v236 :: v_dual_cndmask_b32 v218, v218, v235
	v_cndmask_b32_e64 v224, v224, s6, vcc_lo
	s_add_i32 s6, s6, 1
	s_cmp_lg_u32 s5, s6
	s_cbranch_scc1 .LBB106_841
.LBB106_842:
	s_set_inst_prefetch_distance 0x2
	s_waitcnt lgkmcnt(0)
	v_cmp_eq_f64_e32 vcc_lo, 0, v[216:217]
	v_cmp_eq_f64_e64 s2, 0, v[218:219]
	s_delay_alu instid0(VALU_DEP_1) | instskip(NEXT) | instid1(SALU_CYCLE_1)
	s_and_b32 s2, vcc_lo, s2
	s_and_saveexec_b32 s3, s2
	s_delay_alu instid0(SALU_CYCLE_1)
	s_xor_b32 s2, exec_lo, s3
; %bb.843:
	v_cmp_ne_u32_e32 vcc_lo, 0, v229
	v_cndmask_b32_e32 v229, 41, v229, vcc_lo
; %bb.844:
	s_and_not1_saveexec_b32 s3, s2
	s_cbranch_execz .LBB106_850
; %bb.845:
	v_cmp_gt_f64_e32 vcc_lo, 0, v[216:217]
	v_cmp_gt_f64_e64 s2, 0, v[218:219]
	v_xor_b32_e32 v220, 0x80000000, v217
	v_xor_b32_e32 v222, 0x80000000, v219
	s_delay_alu instid0(VALU_DEP_2) | instskip(NEXT) | instid1(VALU_DEP_2)
	v_cndmask_b32_e32 v221, v217, v220, vcc_lo
	v_cndmask_b32_e64 v223, v219, v222, s2
	v_cndmask_b32_e32 v220, v216, v216, vcc_lo
	v_cndmask_b32_e64 v222, v218, v218, s2
	s_mov_b32 s2, exec_lo
	s_delay_alu instid0(VALU_DEP_1)
	v_cmpx_ngt_f64_e32 v[220:221], v[222:223]
	s_xor_b32 s2, exec_lo, s2
	s_cbranch_execz .LBB106_847
; %bb.846:
	v_div_scale_f64 v[220:221], null, v[218:219], v[218:219], v[216:217]
	v_div_scale_f64 v[235:236], vcc_lo, v[216:217], v[218:219], v[216:217]
	s_delay_alu instid0(VALU_DEP_2) | instskip(SKIP_2) | instid1(VALU_DEP_1)
	v_rcp_f64_e32 v[222:223], v[220:221]
	s_waitcnt_depctr 0xfff
	v_fma_f64 v[233:234], -v[220:221], v[222:223], 1.0
	v_fma_f64 v[222:223], v[222:223], v[233:234], v[222:223]
	s_delay_alu instid0(VALU_DEP_1) | instskip(NEXT) | instid1(VALU_DEP_1)
	v_fma_f64 v[233:234], -v[220:221], v[222:223], 1.0
	v_fma_f64 v[222:223], v[222:223], v[233:234], v[222:223]
	s_delay_alu instid0(VALU_DEP_1) | instskip(NEXT) | instid1(VALU_DEP_1)
	v_mul_f64 v[233:234], v[235:236], v[222:223]
	v_fma_f64 v[220:221], -v[220:221], v[233:234], v[235:236]
	s_delay_alu instid0(VALU_DEP_1) | instskip(NEXT) | instid1(VALU_DEP_1)
	v_div_fmas_f64 v[220:221], v[220:221], v[222:223], v[233:234]
	v_div_fixup_f64 v[220:221], v[220:221], v[218:219], v[216:217]
	s_delay_alu instid0(VALU_DEP_1) | instskip(NEXT) | instid1(VALU_DEP_1)
	v_fma_f64 v[216:217], v[216:217], v[220:221], v[218:219]
	v_div_scale_f64 v[218:219], null, v[216:217], v[216:217], 1.0
	s_delay_alu instid0(VALU_DEP_1) | instskip(SKIP_2) | instid1(VALU_DEP_1)
	v_rcp_f64_e32 v[222:223], v[218:219]
	s_waitcnt_depctr 0xfff
	v_fma_f64 v[233:234], -v[218:219], v[222:223], 1.0
	v_fma_f64 v[222:223], v[222:223], v[233:234], v[222:223]
	s_delay_alu instid0(VALU_DEP_1) | instskip(NEXT) | instid1(VALU_DEP_1)
	v_fma_f64 v[233:234], -v[218:219], v[222:223], 1.0
	v_fma_f64 v[222:223], v[222:223], v[233:234], v[222:223]
	v_div_scale_f64 v[233:234], vcc_lo, 1.0, v[216:217], 1.0
	s_delay_alu instid0(VALU_DEP_1) | instskip(NEXT) | instid1(VALU_DEP_1)
	v_mul_f64 v[235:236], v[233:234], v[222:223]
	v_fma_f64 v[218:219], -v[218:219], v[235:236], v[233:234]
	s_delay_alu instid0(VALU_DEP_1) | instskip(NEXT) | instid1(VALU_DEP_1)
	v_div_fmas_f64 v[218:219], v[218:219], v[222:223], v[235:236]
	v_div_fixup_f64 v[218:219], v[218:219], v[216:217], 1.0
	s_delay_alu instid0(VALU_DEP_1)
	v_mul_f64 v[216:217], v[220:221], v[218:219]
	v_xor_b32_e32 v219, 0x80000000, v219
.LBB106_847:
	s_and_not1_saveexec_b32 s2, s2
	s_cbranch_execz .LBB106_849
; %bb.848:
	s_delay_alu instid0(VALU_DEP_1) | instskip(SKIP_1) | instid1(VALU_DEP_2)
	v_div_scale_f64 v[220:221], null, v[216:217], v[216:217], v[218:219]
	v_div_scale_f64 v[235:236], vcc_lo, v[218:219], v[216:217], v[218:219]
	v_rcp_f64_e32 v[222:223], v[220:221]
	s_waitcnt_depctr 0xfff
	v_fma_f64 v[233:234], -v[220:221], v[222:223], 1.0
	s_delay_alu instid0(VALU_DEP_1) | instskip(NEXT) | instid1(VALU_DEP_1)
	v_fma_f64 v[222:223], v[222:223], v[233:234], v[222:223]
	v_fma_f64 v[233:234], -v[220:221], v[222:223], 1.0
	s_delay_alu instid0(VALU_DEP_1) | instskip(NEXT) | instid1(VALU_DEP_1)
	v_fma_f64 v[222:223], v[222:223], v[233:234], v[222:223]
	v_mul_f64 v[233:234], v[235:236], v[222:223]
	s_delay_alu instid0(VALU_DEP_1) | instskip(NEXT) | instid1(VALU_DEP_1)
	v_fma_f64 v[220:221], -v[220:221], v[233:234], v[235:236]
	v_div_fmas_f64 v[220:221], v[220:221], v[222:223], v[233:234]
	s_delay_alu instid0(VALU_DEP_1) | instskip(NEXT) | instid1(VALU_DEP_1)
	v_div_fixup_f64 v[220:221], v[220:221], v[216:217], v[218:219]
	v_fma_f64 v[216:217], v[218:219], v[220:221], v[216:217]
	s_delay_alu instid0(VALU_DEP_1) | instskip(NEXT) | instid1(VALU_DEP_1)
	v_div_scale_f64 v[218:219], null, v[216:217], v[216:217], 1.0
	v_rcp_f64_e32 v[222:223], v[218:219]
	s_waitcnt_depctr 0xfff
	v_fma_f64 v[233:234], -v[218:219], v[222:223], 1.0
	s_delay_alu instid0(VALU_DEP_1) | instskip(NEXT) | instid1(VALU_DEP_1)
	v_fma_f64 v[222:223], v[222:223], v[233:234], v[222:223]
	v_fma_f64 v[233:234], -v[218:219], v[222:223], 1.0
	s_delay_alu instid0(VALU_DEP_1) | instskip(SKIP_1) | instid1(VALU_DEP_1)
	v_fma_f64 v[222:223], v[222:223], v[233:234], v[222:223]
	v_div_scale_f64 v[233:234], vcc_lo, 1.0, v[216:217], 1.0
	v_mul_f64 v[235:236], v[233:234], v[222:223]
	s_delay_alu instid0(VALU_DEP_1) | instskip(NEXT) | instid1(VALU_DEP_1)
	v_fma_f64 v[218:219], -v[218:219], v[235:236], v[233:234]
	v_div_fmas_f64 v[218:219], v[218:219], v[222:223], v[235:236]
	s_delay_alu instid0(VALU_DEP_1) | instskip(NEXT) | instid1(VALU_DEP_1)
	v_div_fixup_f64 v[216:217], v[218:219], v[216:217], 1.0
	v_mul_f64 v[218:219], v[220:221], -v[216:217]
.LBB106_849:
	s_or_b32 exec_lo, exec_lo, s2
.LBB106_850:
	s_delay_alu instid0(SALU_CYCLE_1) | instskip(NEXT) | instid1(SALU_CYCLE_1)
	s_or_b32 exec_lo, exec_lo, s3
	s_mov_b32 s2, exec_lo
	v_cmpx_ne_u32_e64 v232, v224
	s_xor_b32 s2, exec_lo, s2
	s_cbranch_execz .LBB106_856
; %bb.851:
	s_mov_b32 s3, exec_lo
	v_cmpx_eq_u32_e32 40, v232
	s_cbranch_execz .LBB106_855
; %bb.852:
	v_cmp_ne_u32_e32 vcc_lo, 40, v224
	s_xor_b32 s6, s4, -1
	s_delay_alu instid0(SALU_CYCLE_1) | instskip(NEXT) | instid1(SALU_CYCLE_1)
	s_and_b32 s7, s6, vcc_lo
	s_and_saveexec_b32 s6, s7
	s_cbranch_execz .LBB106_854
; %bb.853:
	v_ashrrev_i32_e32 v225, 31, v224
	s_delay_alu instid0(VALU_DEP_1) | instskip(NEXT) | instid1(VALU_DEP_1)
	v_lshlrev_b64 v[220:221], 2, v[224:225]
	v_add_co_u32 v220, vcc_lo, v214, v220
	s_delay_alu instid0(VALU_DEP_2)
	v_add_co_ci_u32_e32 v221, vcc_lo, v215, v221, vcc_lo
	s_clause 0x1
	flat_load_b32 v222, v[220:221]
	flat_load_b32 v223, v[214:215] offset:160
	s_waitcnt vmcnt(1) lgkmcnt(1)
	flat_store_b32 v[214:215], v222 offset:160
	s_waitcnt vmcnt(0) lgkmcnt(1)
	flat_store_b32 v[220:221], v223
.LBB106_854:
	s_or_b32 exec_lo, exec_lo, s6
	v_mov_b32_e32 v232, v224
	v_mov_b32_e32 v231, v224
.LBB106_855:
	s_or_b32 exec_lo, exec_lo, s3
.LBB106_856:
	s_and_not1_saveexec_b32 s2, s2
	s_cbranch_execz .LBB106_858
; %bb.857:
	v_mov_b32_e32 v232, 40
	ds_store_2addr_b64 v226, v[48:49], v[50:51] offset0:82 offset1:83
	ds_store_2addr_b64 v226, v[44:45], v[46:47] offset0:84 offset1:85
	ds_store_2addr_b64 v226, v[40:41], v[42:43] offset0:86 offset1:87
	ds_store_2addr_b64 v226, v[36:37], v[38:39] offset0:88 offset1:89
	ds_store_2addr_b64 v226, v[32:33], v[34:35] offset0:90 offset1:91
	ds_store_2addr_b64 v226, v[28:29], v[30:31] offset0:92 offset1:93
	ds_store_2addr_b64 v226, v[24:25], v[26:27] offset0:94 offset1:95
	ds_store_2addr_b64 v226, v[20:21], v[22:23] offset0:96 offset1:97
	ds_store_2addr_b64 v226, v[16:17], v[18:19] offset0:98 offset1:99
	ds_store_2addr_b64 v226, v[12:13], v[14:15] offset0:100 offset1:101
	ds_store_2addr_b64 v226, v[251:252], v[253:254] offset0:102 offset1:103
	ds_store_2addr_b64 v226, v[247:248], v[249:250] offset0:104 offset1:105
	ds_store_2addr_b64 v226, v[0:1], v[2:3] offset0:106 offset1:107
.LBB106_858:
	s_or_b32 exec_lo, exec_lo, s2
	s_delay_alu instid0(SALU_CYCLE_1)
	s_mov_b32 s2, exec_lo
	s_waitcnt lgkmcnt(0)
	s_waitcnt_vscnt null, 0x0
	s_barrier
	buffer_gl0_inv
	v_cmpx_lt_i32_e32 40, v232
	s_cbranch_execz .LBB106_860
; %bb.859:
	v_mul_f64 v[220:221], v[216:217], v[54:55]
	v_mul_f64 v[54:55], v[218:219], v[54:55]
	s_delay_alu instid0(VALU_DEP_2) | instskip(NEXT) | instid1(VALU_DEP_2)
	v_fma_f64 v[224:225], v[218:219], v[52:53], v[220:221]
	v_fma_f64 v[52:53], v[216:217], v[52:53], -v[54:55]
	ds_load_2addr_b64 v[216:219], v226 offset0:82 offset1:83
	s_waitcnt lgkmcnt(0)
	v_mul_f64 v[54:55], v[218:219], v[224:225]
	s_delay_alu instid0(VALU_DEP_1) | instskip(SKIP_1) | instid1(VALU_DEP_2)
	v_fma_f64 v[54:55], v[216:217], v[52:53], -v[54:55]
	v_mul_f64 v[216:217], v[216:217], v[224:225]
	v_add_f64 v[48:49], v[48:49], -v[54:55]
	s_delay_alu instid0(VALU_DEP_2) | instskip(NEXT) | instid1(VALU_DEP_1)
	v_fma_f64 v[216:217], v[218:219], v[52:53], v[216:217]
	v_add_f64 v[50:51], v[50:51], -v[216:217]
	ds_load_2addr_b64 v[216:219], v226 offset0:84 offset1:85
	s_waitcnt lgkmcnt(0)
	v_mul_f64 v[54:55], v[218:219], v[224:225]
	s_delay_alu instid0(VALU_DEP_1) | instskip(SKIP_1) | instid1(VALU_DEP_2)
	v_fma_f64 v[54:55], v[216:217], v[52:53], -v[54:55]
	v_mul_f64 v[216:217], v[216:217], v[224:225]
	v_add_f64 v[44:45], v[44:45], -v[54:55]
	s_delay_alu instid0(VALU_DEP_2) | instskip(NEXT) | instid1(VALU_DEP_1)
	v_fma_f64 v[216:217], v[218:219], v[52:53], v[216:217]
	v_add_f64 v[46:47], v[46:47], -v[216:217]
	ds_load_2addr_b64 v[216:219], v226 offset0:86 offset1:87
	s_waitcnt lgkmcnt(0)
	v_mul_f64 v[54:55], v[218:219], v[224:225]
	s_delay_alu instid0(VALU_DEP_1) | instskip(SKIP_1) | instid1(VALU_DEP_2)
	v_fma_f64 v[54:55], v[216:217], v[52:53], -v[54:55]
	v_mul_f64 v[216:217], v[216:217], v[224:225]
	v_add_f64 v[40:41], v[40:41], -v[54:55]
	s_delay_alu instid0(VALU_DEP_2) | instskip(NEXT) | instid1(VALU_DEP_1)
	v_fma_f64 v[216:217], v[218:219], v[52:53], v[216:217]
	v_add_f64 v[42:43], v[42:43], -v[216:217]
	ds_load_2addr_b64 v[216:219], v226 offset0:88 offset1:89
	s_waitcnt lgkmcnt(0)
	v_mul_f64 v[54:55], v[218:219], v[224:225]
	s_delay_alu instid0(VALU_DEP_1) | instskip(SKIP_1) | instid1(VALU_DEP_2)
	v_fma_f64 v[54:55], v[216:217], v[52:53], -v[54:55]
	v_mul_f64 v[216:217], v[216:217], v[224:225]
	v_add_f64 v[36:37], v[36:37], -v[54:55]
	s_delay_alu instid0(VALU_DEP_2) | instskip(NEXT) | instid1(VALU_DEP_1)
	v_fma_f64 v[216:217], v[218:219], v[52:53], v[216:217]
	v_add_f64 v[38:39], v[38:39], -v[216:217]
	ds_load_2addr_b64 v[216:219], v226 offset0:90 offset1:91
	s_waitcnt lgkmcnt(0)
	v_mul_f64 v[54:55], v[218:219], v[224:225]
	s_delay_alu instid0(VALU_DEP_1) | instskip(SKIP_1) | instid1(VALU_DEP_2)
	v_fma_f64 v[54:55], v[216:217], v[52:53], -v[54:55]
	v_mul_f64 v[216:217], v[216:217], v[224:225]
	v_add_f64 v[32:33], v[32:33], -v[54:55]
	s_delay_alu instid0(VALU_DEP_2) | instskip(NEXT) | instid1(VALU_DEP_1)
	v_fma_f64 v[216:217], v[218:219], v[52:53], v[216:217]
	v_add_f64 v[34:35], v[34:35], -v[216:217]
	ds_load_2addr_b64 v[216:219], v226 offset0:92 offset1:93
	s_waitcnt lgkmcnt(0)
	v_mul_f64 v[54:55], v[218:219], v[224:225]
	s_delay_alu instid0(VALU_DEP_1) | instskip(SKIP_1) | instid1(VALU_DEP_2)
	v_fma_f64 v[54:55], v[216:217], v[52:53], -v[54:55]
	v_mul_f64 v[216:217], v[216:217], v[224:225]
	v_add_f64 v[28:29], v[28:29], -v[54:55]
	s_delay_alu instid0(VALU_DEP_2) | instskip(NEXT) | instid1(VALU_DEP_1)
	v_fma_f64 v[216:217], v[218:219], v[52:53], v[216:217]
	v_add_f64 v[30:31], v[30:31], -v[216:217]
	ds_load_2addr_b64 v[216:219], v226 offset0:94 offset1:95
	s_waitcnt lgkmcnt(0)
	v_mul_f64 v[54:55], v[218:219], v[224:225]
	s_delay_alu instid0(VALU_DEP_1) | instskip(SKIP_1) | instid1(VALU_DEP_2)
	v_fma_f64 v[54:55], v[216:217], v[52:53], -v[54:55]
	v_mul_f64 v[216:217], v[216:217], v[224:225]
	v_add_f64 v[24:25], v[24:25], -v[54:55]
	s_delay_alu instid0(VALU_DEP_2) | instskip(NEXT) | instid1(VALU_DEP_1)
	v_fma_f64 v[216:217], v[218:219], v[52:53], v[216:217]
	v_add_f64 v[26:27], v[26:27], -v[216:217]
	ds_load_2addr_b64 v[216:219], v226 offset0:96 offset1:97
	s_waitcnt lgkmcnt(0)
	v_mul_f64 v[54:55], v[218:219], v[224:225]
	s_delay_alu instid0(VALU_DEP_1) | instskip(SKIP_1) | instid1(VALU_DEP_2)
	v_fma_f64 v[54:55], v[216:217], v[52:53], -v[54:55]
	v_mul_f64 v[216:217], v[216:217], v[224:225]
	v_add_f64 v[20:21], v[20:21], -v[54:55]
	s_delay_alu instid0(VALU_DEP_2) | instskip(NEXT) | instid1(VALU_DEP_1)
	v_fma_f64 v[216:217], v[218:219], v[52:53], v[216:217]
	v_add_f64 v[22:23], v[22:23], -v[216:217]
	ds_load_2addr_b64 v[216:219], v226 offset0:98 offset1:99
	s_waitcnt lgkmcnt(0)
	v_mul_f64 v[54:55], v[218:219], v[224:225]
	s_delay_alu instid0(VALU_DEP_1) | instskip(SKIP_1) | instid1(VALU_DEP_2)
	v_fma_f64 v[54:55], v[216:217], v[52:53], -v[54:55]
	v_mul_f64 v[216:217], v[216:217], v[224:225]
	v_add_f64 v[16:17], v[16:17], -v[54:55]
	s_delay_alu instid0(VALU_DEP_2) | instskip(NEXT) | instid1(VALU_DEP_1)
	v_fma_f64 v[216:217], v[218:219], v[52:53], v[216:217]
	v_add_f64 v[18:19], v[18:19], -v[216:217]
	ds_load_2addr_b64 v[216:219], v226 offset0:100 offset1:101
	s_waitcnt lgkmcnt(0)
	v_mul_f64 v[54:55], v[218:219], v[224:225]
	s_delay_alu instid0(VALU_DEP_1) | instskip(SKIP_1) | instid1(VALU_DEP_2)
	v_fma_f64 v[54:55], v[216:217], v[52:53], -v[54:55]
	v_mul_f64 v[216:217], v[216:217], v[224:225]
	v_add_f64 v[12:13], v[12:13], -v[54:55]
	s_delay_alu instid0(VALU_DEP_2) | instskip(NEXT) | instid1(VALU_DEP_1)
	v_fma_f64 v[216:217], v[218:219], v[52:53], v[216:217]
	v_add_f64 v[14:15], v[14:15], -v[216:217]
	ds_load_2addr_b64 v[216:219], v226 offset0:102 offset1:103
	s_waitcnt lgkmcnt(0)
	v_mul_f64 v[54:55], v[218:219], v[224:225]
	s_delay_alu instid0(VALU_DEP_1) | instskip(SKIP_1) | instid1(VALU_DEP_2)
	v_fma_f64 v[54:55], v[216:217], v[52:53], -v[54:55]
	v_mul_f64 v[216:217], v[216:217], v[224:225]
	v_add_f64 v[251:252], v[251:252], -v[54:55]
	s_delay_alu instid0(VALU_DEP_2) | instskip(NEXT) | instid1(VALU_DEP_1)
	v_fma_f64 v[216:217], v[218:219], v[52:53], v[216:217]
	v_add_f64 v[253:254], v[253:254], -v[216:217]
	ds_load_2addr_b64 v[216:219], v226 offset0:104 offset1:105
	s_waitcnt lgkmcnt(0)
	v_mul_f64 v[54:55], v[218:219], v[224:225]
	s_delay_alu instid0(VALU_DEP_1) | instskip(SKIP_1) | instid1(VALU_DEP_2)
	v_fma_f64 v[54:55], v[216:217], v[52:53], -v[54:55]
	v_mul_f64 v[216:217], v[216:217], v[224:225]
	v_add_f64 v[247:248], v[247:248], -v[54:55]
	s_delay_alu instid0(VALU_DEP_2) | instskip(NEXT) | instid1(VALU_DEP_1)
	v_fma_f64 v[216:217], v[218:219], v[52:53], v[216:217]
	v_add_f64 v[249:250], v[249:250], -v[216:217]
	ds_load_2addr_b64 v[216:219], v226 offset0:106 offset1:107
	s_waitcnt lgkmcnt(0)
	v_mul_f64 v[54:55], v[218:219], v[224:225]
	s_delay_alu instid0(VALU_DEP_1) | instskip(SKIP_1) | instid1(VALU_DEP_2)
	v_fma_f64 v[54:55], v[216:217], v[52:53], -v[54:55]
	v_mul_f64 v[216:217], v[216:217], v[224:225]
	v_add_f64 v[0:1], v[0:1], -v[54:55]
	s_delay_alu instid0(VALU_DEP_2) | instskip(SKIP_1) | instid1(VALU_DEP_2)
	v_fma_f64 v[216:217], v[218:219], v[52:53], v[216:217]
	v_dual_mov_b32 v54, v224 :: v_dual_mov_b32 v55, v225
	v_add_f64 v[2:3], v[2:3], -v[216:217]
.LBB106_860:
	s_or_b32 exec_lo, exec_lo, s2
	v_lshl_add_u32 v216, v232, 4, v226
	s_barrier
	buffer_gl0_inv
	v_mov_b32_e32 v224, 41
	ds_store_2addr_b64 v216, v[48:49], v[50:51] offset1:1
	s_waitcnt lgkmcnt(0)
	s_barrier
	buffer_gl0_inv
	ds_load_2addr_b64 v[216:219], v226 offset0:82 offset1:83
	s_cmp_lt_i32 s5, 43
	s_cbranch_scc1 .LBB106_863
; %bb.861:
	v_add3_u32 v225, v230, 0, 0x2a0
	v_mov_b32_e32 v224, 41
	s_mov_b32 s6, 42
	s_set_inst_prefetch_distance 0x1
	.p2align	6
.LBB106_862:                            ; =>This Inner Loop Header: Depth=1
	ds_load_2addr_b64 v[233:236], v225 offset1:1
	s_waitcnt lgkmcnt(1)
	v_cmp_gt_f64_e32 vcc_lo, 0, v[216:217]
	v_xor_b32_e32 v220, 0x80000000, v217
	v_cmp_gt_f64_e64 s2, 0, v[218:219]
	v_xor_b32_e32 v222, 0x80000000, v219
	v_add_nc_u32_e32 v225, 16, v225
	s_waitcnt lgkmcnt(0)
	v_cmp_gt_f64_e64 s3, 0, v[233:234]
	v_mov_b32_e32 v237, v233
	v_mov_b32_e32 v239, v235
	v_cndmask_b32_e32 v221, v217, v220, vcc_lo
	v_xor_b32_e32 v220, 0x80000000, v234
	v_cndmask_b32_e64 v223, v219, v222, s2
	v_xor_b32_e32 v222, 0x80000000, v236
	s_delay_alu instid0(VALU_DEP_3) | instskip(SKIP_2) | instid1(VALU_DEP_2)
	v_cndmask_b32_e64 v238, v234, v220, s3
	v_cmp_gt_f64_e64 s3, 0, v[235:236]
	v_cndmask_b32_e32 v220, v216, v216, vcc_lo
	v_cndmask_b32_e64 v240, v236, v222, s3
	v_cndmask_b32_e64 v222, v218, v218, s2
	s_delay_alu instid0(VALU_DEP_2) | instskip(NEXT) | instid1(VALU_DEP_2)
	v_add_f64 v[237:238], v[237:238], v[239:240]
	v_add_f64 v[220:221], v[220:221], v[222:223]
	s_delay_alu instid0(VALU_DEP_1) | instskip(SKIP_4) | instid1(SALU_CYCLE_1)
	v_cmp_lt_f64_e32 vcc_lo, v[220:221], v[237:238]
	v_dual_cndmask_b32 v216, v216, v233 :: v_dual_cndmask_b32 v217, v217, v234
	v_dual_cndmask_b32 v219, v219, v236 :: v_dual_cndmask_b32 v218, v218, v235
	v_cndmask_b32_e64 v224, v224, s6, vcc_lo
	s_add_i32 s6, s6, 1
	s_cmp_lg_u32 s5, s6
	s_cbranch_scc1 .LBB106_862
.LBB106_863:
	s_set_inst_prefetch_distance 0x2
	s_waitcnt lgkmcnt(0)
	v_cmp_eq_f64_e32 vcc_lo, 0, v[216:217]
	v_cmp_eq_f64_e64 s2, 0, v[218:219]
	s_delay_alu instid0(VALU_DEP_1) | instskip(NEXT) | instid1(SALU_CYCLE_1)
	s_and_b32 s2, vcc_lo, s2
	s_and_saveexec_b32 s3, s2
	s_delay_alu instid0(SALU_CYCLE_1)
	s_xor_b32 s2, exec_lo, s3
; %bb.864:
	v_cmp_ne_u32_e32 vcc_lo, 0, v229
	v_cndmask_b32_e32 v229, 42, v229, vcc_lo
; %bb.865:
	s_and_not1_saveexec_b32 s3, s2
	s_cbranch_execz .LBB106_871
; %bb.866:
	v_cmp_gt_f64_e32 vcc_lo, 0, v[216:217]
	v_cmp_gt_f64_e64 s2, 0, v[218:219]
	v_xor_b32_e32 v220, 0x80000000, v217
	v_xor_b32_e32 v222, 0x80000000, v219
	s_delay_alu instid0(VALU_DEP_2) | instskip(NEXT) | instid1(VALU_DEP_2)
	v_cndmask_b32_e32 v221, v217, v220, vcc_lo
	v_cndmask_b32_e64 v223, v219, v222, s2
	v_cndmask_b32_e32 v220, v216, v216, vcc_lo
	v_cndmask_b32_e64 v222, v218, v218, s2
	s_mov_b32 s2, exec_lo
	s_delay_alu instid0(VALU_DEP_1)
	v_cmpx_ngt_f64_e32 v[220:221], v[222:223]
	s_xor_b32 s2, exec_lo, s2
	s_cbranch_execz .LBB106_868
; %bb.867:
	v_div_scale_f64 v[220:221], null, v[218:219], v[218:219], v[216:217]
	v_div_scale_f64 v[235:236], vcc_lo, v[216:217], v[218:219], v[216:217]
	s_delay_alu instid0(VALU_DEP_2) | instskip(SKIP_2) | instid1(VALU_DEP_1)
	v_rcp_f64_e32 v[222:223], v[220:221]
	s_waitcnt_depctr 0xfff
	v_fma_f64 v[233:234], -v[220:221], v[222:223], 1.0
	v_fma_f64 v[222:223], v[222:223], v[233:234], v[222:223]
	s_delay_alu instid0(VALU_DEP_1) | instskip(NEXT) | instid1(VALU_DEP_1)
	v_fma_f64 v[233:234], -v[220:221], v[222:223], 1.0
	v_fma_f64 v[222:223], v[222:223], v[233:234], v[222:223]
	s_delay_alu instid0(VALU_DEP_1) | instskip(NEXT) | instid1(VALU_DEP_1)
	v_mul_f64 v[233:234], v[235:236], v[222:223]
	v_fma_f64 v[220:221], -v[220:221], v[233:234], v[235:236]
	s_delay_alu instid0(VALU_DEP_1) | instskip(NEXT) | instid1(VALU_DEP_1)
	v_div_fmas_f64 v[220:221], v[220:221], v[222:223], v[233:234]
	v_div_fixup_f64 v[220:221], v[220:221], v[218:219], v[216:217]
	s_delay_alu instid0(VALU_DEP_1) | instskip(NEXT) | instid1(VALU_DEP_1)
	v_fma_f64 v[216:217], v[216:217], v[220:221], v[218:219]
	v_div_scale_f64 v[218:219], null, v[216:217], v[216:217], 1.0
	s_delay_alu instid0(VALU_DEP_1) | instskip(SKIP_2) | instid1(VALU_DEP_1)
	v_rcp_f64_e32 v[222:223], v[218:219]
	s_waitcnt_depctr 0xfff
	v_fma_f64 v[233:234], -v[218:219], v[222:223], 1.0
	v_fma_f64 v[222:223], v[222:223], v[233:234], v[222:223]
	s_delay_alu instid0(VALU_DEP_1) | instskip(NEXT) | instid1(VALU_DEP_1)
	v_fma_f64 v[233:234], -v[218:219], v[222:223], 1.0
	v_fma_f64 v[222:223], v[222:223], v[233:234], v[222:223]
	v_div_scale_f64 v[233:234], vcc_lo, 1.0, v[216:217], 1.0
	s_delay_alu instid0(VALU_DEP_1) | instskip(NEXT) | instid1(VALU_DEP_1)
	v_mul_f64 v[235:236], v[233:234], v[222:223]
	v_fma_f64 v[218:219], -v[218:219], v[235:236], v[233:234]
	s_delay_alu instid0(VALU_DEP_1) | instskip(NEXT) | instid1(VALU_DEP_1)
	v_div_fmas_f64 v[218:219], v[218:219], v[222:223], v[235:236]
	v_div_fixup_f64 v[218:219], v[218:219], v[216:217], 1.0
	s_delay_alu instid0(VALU_DEP_1)
	v_mul_f64 v[216:217], v[220:221], v[218:219]
	v_xor_b32_e32 v219, 0x80000000, v219
.LBB106_868:
	s_and_not1_saveexec_b32 s2, s2
	s_cbranch_execz .LBB106_870
; %bb.869:
	s_delay_alu instid0(VALU_DEP_1) | instskip(SKIP_1) | instid1(VALU_DEP_2)
	v_div_scale_f64 v[220:221], null, v[216:217], v[216:217], v[218:219]
	v_div_scale_f64 v[235:236], vcc_lo, v[218:219], v[216:217], v[218:219]
	v_rcp_f64_e32 v[222:223], v[220:221]
	s_waitcnt_depctr 0xfff
	v_fma_f64 v[233:234], -v[220:221], v[222:223], 1.0
	s_delay_alu instid0(VALU_DEP_1) | instskip(NEXT) | instid1(VALU_DEP_1)
	v_fma_f64 v[222:223], v[222:223], v[233:234], v[222:223]
	v_fma_f64 v[233:234], -v[220:221], v[222:223], 1.0
	s_delay_alu instid0(VALU_DEP_1) | instskip(NEXT) | instid1(VALU_DEP_1)
	v_fma_f64 v[222:223], v[222:223], v[233:234], v[222:223]
	v_mul_f64 v[233:234], v[235:236], v[222:223]
	s_delay_alu instid0(VALU_DEP_1) | instskip(NEXT) | instid1(VALU_DEP_1)
	v_fma_f64 v[220:221], -v[220:221], v[233:234], v[235:236]
	v_div_fmas_f64 v[220:221], v[220:221], v[222:223], v[233:234]
	s_delay_alu instid0(VALU_DEP_1) | instskip(NEXT) | instid1(VALU_DEP_1)
	v_div_fixup_f64 v[220:221], v[220:221], v[216:217], v[218:219]
	v_fma_f64 v[216:217], v[218:219], v[220:221], v[216:217]
	s_delay_alu instid0(VALU_DEP_1) | instskip(NEXT) | instid1(VALU_DEP_1)
	v_div_scale_f64 v[218:219], null, v[216:217], v[216:217], 1.0
	v_rcp_f64_e32 v[222:223], v[218:219]
	s_waitcnt_depctr 0xfff
	v_fma_f64 v[233:234], -v[218:219], v[222:223], 1.0
	s_delay_alu instid0(VALU_DEP_1) | instskip(NEXT) | instid1(VALU_DEP_1)
	v_fma_f64 v[222:223], v[222:223], v[233:234], v[222:223]
	v_fma_f64 v[233:234], -v[218:219], v[222:223], 1.0
	s_delay_alu instid0(VALU_DEP_1) | instskip(SKIP_1) | instid1(VALU_DEP_1)
	v_fma_f64 v[222:223], v[222:223], v[233:234], v[222:223]
	v_div_scale_f64 v[233:234], vcc_lo, 1.0, v[216:217], 1.0
	v_mul_f64 v[235:236], v[233:234], v[222:223]
	s_delay_alu instid0(VALU_DEP_1) | instskip(NEXT) | instid1(VALU_DEP_1)
	v_fma_f64 v[218:219], -v[218:219], v[235:236], v[233:234]
	v_div_fmas_f64 v[218:219], v[218:219], v[222:223], v[235:236]
	s_delay_alu instid0(VALU_DEP_1) | instskip(NEXT) | instid1(VALU_DEP_1)
	v_div_fixup_f64 v[216:217], v[218:219], v[216:217], 1.0
	v_mul_f64 v[218:219], v[220:221], -v[216:217]
.LBB106_870:
	s_or_b32 exec_lo, exec_lo, s2
.LBB106_871:
	s_delay_alu instid0(SALU_CYCLE_1) | instskip(NEXT) | instid1(SALU_CYCLE_1)
	s_or_b32 exec_lo, exec_lo, s3
	s_mov_b32 s2, exec_lo
	v_cmpx_ne_u32_e64 v232, v224
	s_xor_b32 s2, exec_lo, s2
	s_cbranch_execz .LBB106_877
; %bb.872:
	s_mov_b32 s3, exec_lo
	v_cmpx_eq_u32_e32 41, v232
	s_cbranch_execz .LBB106_876
; %bb.873:
	v_cmp_ne_u32_e32 vcc_lo, 41, v224
	s_xor_b32 s6, s4, -1
	s_delay_alu instid0(SALU_CYCLE_1) | instskip(NEXT) | instid1(SALU_CYCLE_1)
	s_and_b32 s7, s6, vcc_lo
	s_and_saveexec_b32 s6, s7
	s_cbranch_execz .LBB106_875
; %bb.874:
	v_ashrrev_i32_e32 v225, 31, v224
	s_delay_alu instid0(VALU_DEP_1) | instskip(NEXT) | instid1(VALU_DEP_1)
	v_lshlrev_b64 v[220:221], 2, v[224:225]
	v_add_co_u32 v220, vcc_lo, v214, v220
	s_delay_alu instid0(VALU_DEP_2)
	v_add_co_ci_u32_e32 v221, vcc_lo, v215, v221, vcc_lo
	s_clause 0x1
	flat_load_b32 v222, v[220:221]
	flat_load_b32 v223, v[214:215] offset:164
	s_waitcnt vmcnt(1) lgkmcnt(1)
	flat_store_b32 v[214:215], v222 offset:164
	s_waitcnt vmcnt(0) lgkmcnt(1)
	flat_store_b32 v[220:221], v223
.LBB106_875:
	s_or_b32 exec_lo, exec_lo, s6
	v_mov_b32_e32 v232, v224
	v_mov_b32_e32 v231, v224
.LBB106_876:
	s_or_b32 exec_lo, exec_lo, s3
.LBB106_877:
	s_and_not1_saveexec_b32 s2, s2
	s_cbranch_execz .LBB106_879
; %bb.878:
	v_mov_b32_e32 v232, 41
	ds_store_2addr_b64 v226, v[44:45], v[46:47] offset0:84 offset1:85
	ds_store_2addr_b64 v226, v[40:41], v[42:43] offset0:86 offset1:87
	;; [unrolled: 1-line block ×12, first 2 shown]
.LBB106_879:
	s_or_b32 exec_lo, exec_lo, s2
	s_delay_alu instid0(SALU_CYCLE_1)
	s_mov_b32 s2, exec_lo
	s_waitcnt lgkmcnt(0)
	s_waitcnt_vscnt null, 0x0
	s_barrier
	buffer_gl0_inv
	v_cmpx_lt_i32_e32 41, v232
	s_cbranch_execz .LBB106_881
; %bb.880:
	v_mul_f64 v[220:221], v[216:217], v[50:51]
	v_mul_f64 v[50:51], v[218:219], v[50:51]
	s_delay_alu instid0(VALU_DEP_2) | instskip(NEXT) | instid1(VALU_DEP_2)
	v_fma_f64 v[220:221], v[218:219], v[48:49], v[220:221]
	v_fma_f64 v[48:49], v[216:217], v[48:49], -v[50:51]
	ds_load_2addr_b64 v[216:219], v226 offset0:84 offset1:85
	s_waitcnt lgkmcnt(0)
	v_mul_f64 v[50:51], v[218:219], v[220:221]
	s_delay_alu instid0(VALU_DEP_1) | instskip(SKIP_1) | instid1(VALU_DEP_2)
	v_fma_f64 v[50:51], v[216:217], v[48:49], -v[50:51]
	v_mul_f64 v[216:217], v[216:217], v[220:221]
	v_add_f64 v[44:45], v[44:45], -v[50:51]
	s_delay_alu instid0(VALU_DEP_2) | instskip(NEXT) | instid1(VALU_DEP_1)
	v_fma_f64 v[216:217], v[218:219], v[48:49], v[216:217]
	v_add_f64 v[46:47], v[46:47], -v[216:217]
	ds_load_2addr_b64 v[216:219], v226 offset0:86 offset1:87
	s_waitcnt lgkmcnt(0)
	v_mul_f64 v[50:51], v[218:219], v[220:221]
	s_delay_alu instid0(VALU_DEP_1) | instskip(SKIP_1) | instid1(VALU_DEP_2)
	v_fma_f64 v[50:51], v[216:217], v[48:49], -v[50:51]
	v_mul_f64 v[216:217], v[216:217], v[220:221]
	v_add_f64 v[40:41], v[40:41], -v[50:51]
	s_delay_alu instid0(VALU_DEP_2) | instskip(NEXT) | instid1(VALU_DEP_1)
	v_fma_f64 v[216:217], v[218:219], v[48:49], v[216:217]
	v_add_f64 v[42:43], v[42:43], -v[216:217]
	;; [unrolled: 10-line block ×11, first 2 shown]
	ds_load_2addr_b64 v[216:219], v226 offset0:106 offset1:107
	s_waitcnt lgkmcnt(0)
	v_mul_f64 v[50:51], v[218:219], v[220:221]
	s_delay_alu instid0(VALU_DEP_1) | instskip(SKIP_1) | instid1(VALU_DEP_2)
	v_fma_f64 v[50:51], v[216:217], v[48:49], -v[50:51]
	v_mul_f64 v[216:217], v[216:217], v[220:221]
	v_add_f64 v[0:1], v[0:1], -v[50:51]
	s_delay_alu instid0(VALU_DEP_2) | instskip(SKIP_1) | instid1(VALU_DEP_2)
	v_fma_f64 v[216:217], v[218:219], v[48:49], v[216:217]
	v_dual_mov_b32 v50, v220 :: v_dual_mov_b32 v51, v221
	v_add_f64 v[2:3], v[2:3], -v[216:217]
.LBB106_881:
	s_or_b32 exec_lo, exec_lo, s2
	v_lshl_add_u32 v216, v232, 4, v226
	s_barrier
	buffer_gl0_inv
	v_mov_b32_e32 v224, 42
	ds_store_2addr_b64 v216, v[44:45], v[46:47] offset1:1
	s_waitcnt lgkmcnt(0)
	s_barrier
	buffer_gl0_inv
	ds_load_2addr_b64 v[216:219], v226 offset0:84 offset1:85
	s_cmp_lt_i32 s5, 44
	s_cbranch_scc1 .LBB106_884
; %bb.882:
	v_add3_u32 v225, v230, 0, 0x2b0
	v_mov_b32_e32 v224, 42
	s_mov_b32 s6, 43
	s_set_inst_prefetch_distance 0x1
	.p2align	6
.LBB106_883:                            ; =>This Inner Loop Header: Depth=1
	ds_load_2addr_b64 v[233:236], v225 offset1:1
	s_waitcnt lgkmcnt(1)
	v_cmp_gt_f64_e32 vcc_lo, 0, v[216:217]
	v_xor_b32_e32 v220, 0x80000000, v217
	v_cmp_gt_f64_e64 s2, 0, v[218:219]
	v_xor_b32_e32 v222, 0x80000000, v219
	v_add_nc_u32_e32 v225, 16, v225
	s_waitcnt lgkmcnt(0)
	v_cmp_gt_f64_e64 s3, 0, v[233:234]
	v_mov_b32_e32 v237, v233
	v_mov_b32_e32 v239, v235
	v_cndmask_b32_e32 v221, v217, v220, vcc_lo
	v_xor_b32_e32 v220, 0x80000000, v234
	v_cndmask_b32_e64 v223, v219, v222, s2
	v_xor_b32_e32 v222, 0x80000000, v236
	s_delay_alu instid0(VALU_DEP_3) | instskip(SKIP_2) | instid1(VALU_DEP_2)
	v_cndmask_b32_e64 v238, v234, v220, s3
	v_cmp_gt_f64_e64 s3, 0, v[235:236]
	v_cndmask_b32_e32 v220, v216, v216, vcc_lo
	v_cndmask_b32_e64 v240, v236, v222, s3
	v_cndmask_b32_e64 v222, v218, v218, s2
	s_delay_alu instid0(VALU_DEP_2) | instskip(NEXT) | instid1(VALU_DEP_2)
	v_add_f64 v[237:238], v[237:238], v[239:240]
	v_add_f64 v[220:221], v[220:221], v[222:223]
	s_delay_alu instid0(VALU_DEP_1) | instskip(SKIP_4) | instid1(SALU_CYCLE_1)
	v_cmp_lt_f64_e32 vcc_lo, v[220:221], v[237:238]
	v_dual_cndmask_b32 v216, v216, v233 :: v_dual_cndmask_b32 v217, v217, v234
	v_dual_cndmask_b32 v219, v219, v236 :: v_dual_cndmask_b32 v218, v218, v235
	v_cndmask_b32_e64 v224, v224, s6, vcc_lo
	s_add_i32 s6, s6, 1
	s_cmp_lg_u32 s5, s6
	s_cbranch_scc1 .LBB106_883
.LBB106_884:
	s_set_inst_prefetch_distance 0x2
	s_waitcnt lgkmcnt(0)
	v_cmp_eq_f64_e32 vcc_lo, 0, v[216:217]
	v_cmp_eq_f64_e64 s2, 0, v[218:219]
	s_delay_alu instid0(VALU_DEP_1) | instskip(NEXT) | instid1(SALU_CYCLE_1)
	s_and_b32 s2, vcc_lo, s2
	s_and_saveexec_b32 s3, s2
	s_delay_alu instid0(SALU_CYCLE_1)
	s_xor_b32 s2, exec_lo, s3
; %bb.885:
	v_cmp_ne_u32_e32 vcc_lo, 0, v229
	v_cndmask_b32_e32 v229, 43, v229, vcc_lo
; %bb.886:
	s_and_not1_saveexec_b32 s3, s2
	s_cbranch_execz .LBB106_892
; %bb.887:
	v_cmp_gt_f64_e32 vcc_lo, 0, v[216:217]
	v_cmp_gt_f64_e64 s2, 0, v[218:219]
	v_xor_b32_e32 v220, 0x80000000, v217
	v_xor_b32_e32 v222, 0x80000000, v219
	s_delay_alu instid0(VALU_DEP_2) | instskip(NEXT) | instid1(VALU_DEP_2)
	v_cndmask_b32_e32 v221, v217, v220, vcc_lo
	v_cndmask_b32_e64 v223, v219, v222, s2
	v_cndmask_b32_e32 v220, v216, v216, vcc_lo
	v_cndmask_b32_e64 v222, v218, v218, s2
	s_mov_b32 s2, exec_lo
	s_delay_alu instid0(VALU_DEP_1)
	v_cmpx_ngt_f64_e32 v[220:221], v[222:223]
	s_xor_b32 s2, exec_lo, s2
	s_cbranch_execz .LBB106_889
; %bb.888:
	v_div_scale_f64 v[220:221], null, v[218:219], v[218:219], v[216:217]
	v_div_scale_f64 v[235:236], vcc_lo, v[216:217], v[218:219], v[216:217]
	s_delay_alu instid0(VALU_DEP_2) | instskip(SKIP_2) | instid1(VALU_DEP_1)
	v_rcp_f64_e32 v[222:223], v[220:221]
	s_waitcnt_depctr 0xfff
	v_fma_f64 v[233:234], -v[220:221], v[222:223], 1.0
	v_fma_f64 v[222:223], v[222:223], v[233:234], v[222:223]
	s_delay_alu instid0(VALU_DEP_1) | instskip(NEXT) | instid1(VALU_DEP_1)
	v_fma_f64 v[233:234], -v[220:221], v[222:223], 1.0
	v_fma_f64 v[222:223], v[222:223], v[233:234], v[222:223]
	s_delay_alu instid0(VALU_DEP_1) | instskip(NEXT) | instid1(VALU_DEP_1)
	v_mul_f64 v[233:234], v[235:236], v[222:223]
	v_fma_f64 v[220:221], -v[220:221], v[233:234], v[235:236]
	s_delay_alu instid0(VALU_DEP_1) | instskip(NEXT) | instid1(VALU_DEP_1)
	v_div_fmas_f64 v[220:221], v[220:221], v[222:223], v[233:234]
	v_div_fixup_f64 v[220:221], v[220:221], v[218:219], v[216:217]
	s_delay_alu instid0(VALU_DEP_1) | instskip(NEXT) | instid1(VALU_DEP_1)
	v_fma_f64 v[216:217], v[216:217], v[220:221], v[218:219]
	v_div_scale_f64 v[218:219], null, v[216:217], v[216:217], 1.0
	s_delay_alu instid0(VALU_DEP_1) | instskip(SKIP_2) | instid1(VALU_DEP_1)
	v_rcp_f64_e32 v[222:223], v[218:219]
	s_waitcnt_depctr 0xfff
	v_fma_f64 v[233:234], -v[218:219], v[222:223], 1.0
	v_fma_f64 v[222:223], v[222:223], v[233:234], v[222:223]
	s_delay_alu instid0(VALU_DEP_1) | instskip(NEXT) | instid1(VALU_DEP_1)
	v_fma_f64 v[233:234], -v[218:219], v[222:223], 1.0
	v_fma_f64 v[222:223], v[222:223], v[233:234], v[222:223]
	v_div_scale_f64 v[233:234], vcc_lo, 1.0, v[216:217], 1.0
	s_delay_alu instid0(VALU_DEP_1) | instskip(NEXT) | instid1(VALU_DEP_1)
	v_mul_f64 v[235:236], v[233:234], v[222:223]
	v_fma_f64 v[218:219], -v[218:219], v[235:236], v[233:234]
	s_delay_alu instid0(VALU_DEP_1) | instskip(NEXT) | instid1(VALU_DEP_1)
	v_div_fmas_f64 v[218:219], v[218:219], v[222:223], v[235:236]
	v_div_fixup_f64 v[218:219], v[218:219], v[216:217], 1.0
	s_delay_alu instid0(VALU_DEP_1)
	v_mul_f64 v[216:217], v[220:221], v[218:219]
	v_xor_b32_e32 v219, 0x80000000, v219
.LBB106_889:
	s_and_not1_saveexec_b32 s2, s2
	s_cbranch_execz .LBB106_891
; %bb.890:
	s_delay_alu instid0(VALU_DEP_1) | instskip(SKIP_1) | instid1(VALU_DEP_2)
	v_div_scale_f64 v[220:221], null, v[216:217], v[216:217], v[218:219]
	v_div_scale_f64 v[235:236], vcc_lo, v[218:219], v[216:217], v[218:219]
	v_rcp_f64_e32 v[222:223], v[220:221]
	s_waitcnt_depctr 0xfff
	v_fma_f64 v[233:234], -v[220:221], v[222:223], 1.0
	s_delay_alu instid0(VALU_DEP_1) | instskip(NEXT) | instid1(VALU_DEP_1)
	v_fma_f64 v[222:223], v[222:223], v[233:234], v[222:223]
	v_fma_f64 v[233:234], -v[220:221], v[222:223], 1.0
	s_delay_alu instid0(VALU_DEP_1) | instskip(NEXT) | instid1(VALU_DEP_1)
	v_fma_f64 v[222:223], v[222:223], v[233:234], v[222:223]
	v_mul_f64 v[233:234], v[235:236], v[222:223]
	s_delay_alu instid0(VALU_DEP_1) | instskip(NEXT) | instid1(VALU_DEP_1)
	v_fma_f64 v[220:221], -v[220:221], v[233:234], v[235:236]
	v_div_fmas_f64 v[220:221], v[220:221], v[222:223], v[233:234]
	s_delay_alu instid0(VALU_DEP_1) | instskip(NEXT) | instid1(VALU_DEP_1)
	v_div_fixup_f64 v[220:221], v[220:221], v[216:217], v[218:219]
	v_fma_f64 v[216:217], v[218:219], v[220:221], v[216:217]
	s_delay_alu instid0(VALU_DEP_1) | instskip(NEXT) | instid1(VALU_DEP_1)
	v_div_scale_f64 v[218:219], null, v[216:217], v[216:217], 1.0
	v_rcp_f64_e32 v[222:223], v[218:219]
	s_waitcnt_depctr 0xfff
	v_fma_f64 v[233:234], -v[218:219], v[222:223], 1.0
	s_delay_alu instid0(VALU_DEP_1) | instskip(NEXT) | instid1(VALU_DEP_1)
	v_fma_f64 v[222:223], v[222:223], v[233:234], v[222:223]
	v_fma_f64 v[233:234], -v[218:219], v[222:223], 1.0
	s_delay_alu instid0(VALU_DEP_1) | instskip(SKIP_1) | instid1(VALU_DEP_1)
	v_fma_f64 v[222:223], v[222:223], v[233:234], v[222:223]
	v_div_scale_f64 v[233:234], vcc_lo, 1.0, v[216:217], 1.0
	v_mul_f64 v[235:236], v[233:234], v[222:223]
	s_delay_alu instid0(VALU_DEP_1) | instskip(NEXT) | instid1(VALU_DEP_1)
	v_fma_f64 v[218:219], -v[218:219], v[235:236], v[233:234]
	v_div_fmas_f64 v[218:219], v[218:219], v[222:223], v[235:236]
	s_delay_alu instid0(VALU_DEP_1) | instskip(NEXT) | instid1(VALU_DEP_1)
	v_div_fixup_f64 v[216:217], v[218:219], v[216:217], 1.0
	v_mul_f64 v[218:219], v[220:221], -v[216:217]
.LBB106_891:
	s_or_b32 exec_lo, exec_lo, s2
.LBB106_892:
	s_delay_alu instid0(SALU_CYCLE_1) | instskip(NEXT) | instid1(SALU_CYCLE_1)
	s_or_b32 exec_lo, exec_lo, s3
	s_mov_b32 s2, exec_lo
	v_cmpx_ne_u32_e64 v232, v224
	s_xor_b32 s2, exec_lo, s2
	s_cbranch_execz .LBB106_898
; %bb.893:
	s_mov_b32 s3, exec_lo
	v_cmpx_eq_u32_e32 42, v232
	s_cbranch_execz .LBB106_897
; %bb.894:
	v_cmp_ne_u32_e32 vcc_lo, 42, v224
	s_xor_b32 s6, s4, -1
	s_delay_alu instid0(SALU_CYCLE_1) | instskip(NEXT) | instid1(SALU_CYCLE_1)
	s_and_b32 s7, s6, vcc_lo
	s_and_saveexec_b32 s6, s7
	s_cbranch_execz .LBB106_896
; %bb.895:
	v_ashrrev_i32_e32 v225, 31, v224
	s_delay_alu instid0(VALU_DEP_1) | instskip(NEXT) | instid1(VALU_DEP_1)
	v_lshlrev_b64 v[220:221], 2, v[224:225]
	v_add_co_u32 v220, vcc_lo, v214, v220
	s_delay_alu instid0(VALU_DEP_2)
	v_add_co_ci_u32_e32 v221, vcc_lo, v215, v221, vcc_lo
	s_clause 0x1
	flat_load_b32 v222, v[220:221]
	flat_load_b32 v223, v[214:215] offset:168
	s_waitcnt vmcnt(1) lgkmcnt(1)
	flat_store_b32 v[214:215], v222 offset:168
	s_waitcnt vmcnt(0) lgkmcnt(1)
	flat_store_b32 v[220:221], v223
.LBB106_896:
	s_or_b32 exec_lo, exec_lo, s6
	v_mov_b32_e32 v232, v224
	v_mov_b32_e32 v231, v224
.LBB106_897:
	s_or_b32 exec_lo, exec_lo, s3
.LBB106_898:
	s_and_not1_saveexec_b32 s2, s2
	s_cbranch_execz .LBB106_900
; %bb.899:
	v_mov_b32_e32 v232, 42
	ds_store_2addr_b64 v226, v[40:41], v[42:43] offset0:86 offset1:87
	ds_store_2addr_b64 v226, v[36:37], v[38:39] offset0:88 offset1:89
	;; [unrolled: 1-line block ×11, first 2 shown]
.LBB106_900:
	s_or_b32 exec_lo, exec_lo, s2
	s_delay_alu instid0(SALU_CYCLE_1)
	s_mov_b32 s2, exec_lo
	s_waitcnt lgkmcnt(0)
	s_waitcnt_vscnt null, 0x0
	s_barrier
	buffer_gl0_inv
	v_cmpx_lt_i32_e32 42, v232
	s_cbranch_execz .LBB106_902
; %bb.901:
	v_mul_f64 v[220:221], v[216:217], v[46:47]
	v_mul_f64 v[46:47], v[218:219], v[46:47]
	s_delay_alu instid0(VALU_DEP_2) | instskip(NEXT) | instid1(VALU_DEP_2)
	v_fma_f64 v[220:221], v[218:219], v[44:45], v[220:221]
	v_fma_f64 v[44:45], v[216:217], v[44:45], -v[46:47]
	ds_load_2addr_b64 v[216:219], v226 offset0:86 offset1:87
	s_waitcnt lgkmcnt(0)
	v_mul_f64 v[46:47], v[218:219], v[220:221]
	s_delay_alu instid0(VALU_DEP_1) | instskip(SKIP_1) | instid1(VALU_DEP_2)
	v_fma_f64 v[46:47], v[216:217], v[44:45], -v[46:47]
	v_mul_f64 v[216:217], v[216:217], v[220:221]
	v_add_f64 v[40:41], v[40:41], -v[46:47]
	s_delay_alu instid0(VALU_DEP_2) | instskip(NEXT) | instid1(VALU_DEP_1)
	v_fma_f64 v[216:217], v[218:219], v[44:45], v[216:217]
	v_add_f64 v[42:43], v[42:43], -v[216:217]
	ds_load_2addr_b64 v[216:219], v226 offset0:88 offset1:89
	s_waitcnt lgkmcnt(0)
	v_mul_f64 v[46:47], v[218:219], v[220:221]
	s_delay_alu instid0(VALU_DEP_1) | instskip(SKIP_1) | instid1(VALU_DEP_2)
	v_fma_f64 v[46:47], v[216:217], v[44:45], -v[46:47]
	v_mul_f64 v[216:217], v[216:217], v[220:221]
	v_add_f64 v[36:37], v[36:37], -v[46:47]
	s_delay_alu instid0(VALU_DEP_2) | instskip(NEXT) | instid1(VALU_DEP_1)
	v_fma_f64 v[216:217], v[218:219], v[44:45], v[216:217]
	v_add_f64 v[38:39], v[38:39], -v[216:217]
	;; [unrolled: 10-line block ×10, first 2 shown]
	ds_load_2addr_b64 v[216:219], v226 offset0:106 offset1:107
	s_waitcnt lgkmcnt(0)
	v_mul_f64 v[46:47], v[218:219], v[220:221]
	s_delay_alu instid0(VALU_DEP_1) | instskip(SKIP_1) | instid1(VALU_DEP_2)
	v_fma_f64 v[46:47], v[216:217], v[44:45], -v[46:47]
	v_mul_f64 v[216:217], v[216:217], v[220:221]
	v_add_f64 v[0:1], v[0:1], -v[46:47]
	s_delay_alu instid0(VALU_DEP_2) | instskip(SKIP_1) | instid1(VALU_DEP_2)
	v_fma_f64 v[216:217], v[218:219], v[44:45], v[216:217]
	v_dual_mov_b32 v46, v220 :: v_dual_mov_b32 v47, v221
	v_add_f64 v[2:3], v[2:3], -v[216:217]
.LBB106_902:
	s_or_b32 exec_lo, exec_lo, s2
	v_lshl_add_u32 v216, v232, 4, v226
	s_barrier
	buffer_gl0_inv
	v_mov_b32_e32 v224, 43
	ds_store_2addr_b64 v216, v[40:41], v[42:43] offset1:1
	s_waitcnt lgkmcnt(0)
	s_barrier
	buffer_gl0_inv
	ds_load_2addr_b64 v[216:219], v226 offset0:86 offset1:87
	s_cmp_lt_i32 s5, 45
	s_cbranch_scc1 .LBB106_905
; %bb.903:
	v_add3_u32 v225, v230, 0, 0x2c0
	v_mov_b32_e32 v224, 43
	s_mov_b32 s6, 44
	s_set_inst_prefetch_distance 0x1
	.p2align	6
.LBB106_904:                            ; =>This Inner Loop Header: Depth=1
	ds_load_2addr_b64 v[233:236], v225 offset1:1
	s_waitcnt lgkmcnt(1)
	v_cmp_gt_f64_e32 vcc_lo, 0, v[216:217]
	v_xor_b32_e32 v220, 0x80000000, v217
	v_cmp_gt_f64_e64 s2, 0, v[218:219]
	v_xor_b32_e32 v222, 0x80000000, v219
	v_add_nc_u32_e32 v225, 16, v225
	s_waitcnt lgkmcnt(0)
	v_cmp_gt_f64_e64 s3, 0, v[233:234]
	v_mov_b32_e32 v237, v233
	v_mov_b32_e32 v239, v235
	v_cndmask_b32_e32 v221, v217, v220, vcc_lo
	v_xor_b32_e32 v220, 0x80000000, v234
	v_cndmask_b32_e64 v223, v219, v222, s2
	v_xor_b32_e32 v222, 0x80000000, v236
	s_delay_alu instid0(VALU_DEP_3) | instskip(SKIP_2) | instid1(VALU_DEP_2)
	v_cndmask_b32_e64 v238, v234, v220, s3
	v_cmp_gt_f64_e64 s3, 0, v[235:236]
	v_cndmask_b32_e32 v220, v216, v216, vcc_lo
	v_cndmask_b32_e64 v240, v236, v222, s3
	v_cndmask_b32_e64 v222, v218, v218, s2
	s_delay_alu instid0(VALU_DEP_2) | instskip(NEXT) | instid1(VALU_DEP_2)
	v_add_f64 v[237:238], v[237:238], v[239:240]
	v_add_f64 v[220:221], v[220:221], v[222:223]
	s_delay_alu instid0(VALU_DEP_1) | instskip(SKIP_4) | instid1(SALU_CYCLE_1)
	v_cmp_lt_f64_e32 vcc_lo, v[220:221], v[237:238]
	v_dual_cndmask_b32 v216, v216, v233 :: v_dual_cndmask_b32 v217, v217, v234
	v_dual_cndmask_b32 v219, v219, v236 :: v_dual_cndmask_b32 v218, v218, v235
	v_cndmask_b32_e64 v224, v224, s6, vcc_lo
	s_add_i32 s6, s6, 1
	s_cmp_lg_u32 s5, s6
	s_cbranch_scc1 .LBB106_904
.LBB106_905:
	s_set_inst_prefetch_distance 0x2
	s_waitcnt lgkmcnt(0)
	v_cmp_eq_f64_e32 vcc_lo, 0, v[216:217]
	v_cmp_eq_f64_e64 s2, 0, v[218:219]
	s_delay_alu instid0(VALU_DEP_1) | instskip(NEXT) | instid1(SALU_CYCLE_1)
	s_and_b32 s2, vcc_lo, s2
	s_and_saveexec_b32 s3, s2
	s_delay_alu instid0(SALU_CYCLE_1)
	s_xor_b32 s2, exec_lo, s3
; %bb.906:
	v_cmp_ne_u32_e32 vcc_lo, 0, v229
	v_cndmask_b32_e32 v229, 44, v229, vcc_lo
; %bb.907:
	s_and_not1_saveexec_b32 s3, s2
	s_cbranch_execz .LBB106_913
; %bb.908:
	v_cmp_gt_f64_e32 vcc_lo, 0, v[216:217]
	v_cmp_gt_f64_e64 s2, 0, v[218:219]
	v_xor_b32_e32 v220, 0x80000000, v217
	v_xor_b32_e32 v222, 0x80000000, v219
	s_delay_alu instid0(VALU_DEP_2) | instskip(NEXT) | instid1(VALU_DEP_2)
	v_cndmask_b32_e32 v221, v217, v220, vcc_lo
	v_cndmask_b32_e64 v223, v219, v222, s2
	v_cndmask_b32_e32 v220, v216, v216, vcc_lo
	v_cndmask_b32_e64 v222, v218, v218, s2
	s_mov_b32 s2, exec_lo
	s_delay_alu instid0(VALU_DEP_1)
	v_cmpx_ngt_f64_e32 v[220:221], v[222:223]
	s_xor_b32 s2, exec_lo, s2
	s_cbranch_execz .LBB106_910
; %bb.909:
	v_div_scale_f64 v[220:221], null, v[218:219], v[218:219], v[216:217]
	v_div_scale_f64 v[235:236], vcc_lo, v[216:217], v[218:219], v[216:217]
	s_delay_alu instid0(VALU_DEP_2) | instskip(SKIP_2) | instid1(VALU_DEP_1)
	v_rcp_f64_e32 v[222:223], v[220:221]
	s_waitcnt_depctr 0xfff
	v_fma_f64 v[233:234], -v[220:221], v[222:223], 1.0
	v_fma_f64 v[222:223], v[222:223], v[233:234], v[222:223]
	s_delay_alu instid0(VALU_DEP_1) | instskip(NEXT) | instid1(VALU_DEP_1)
	v_fma_f64 v[233:234], -v[220:221], v[222:223], 1.0
	v_fma_f64 v[222:223], v[222:223], v[233:234], v[222:223]
	s_delay_alu instid0(VALU_DEP_1) | instskip(NEXT) | instid1(VALU_DEP_1)
	v_mul_f64 v[233:234], v[235:236], v[222:223]
	v_fma_f64 v[220:221], -v[220:221], v[233:234], v[235:236]
	s_delay_alu instid0(VALU_DEP_1) | instskip(NEXT) | instid1(VALU_DEP_1)
	v_div_fmas_f64 v[220:221], v[220:221], v[222:223], v[233:234]
	v_div_fixup_f64 v[220:221], v[220:221], v[218:219], v[216:217]
	s_delay_alu instid0(VALU_DEP_1) | instskip(NEXT) | instid1(VALU_DEP_1)
	v_fma_f64 v[216:217], v[216:217], v[220:221], v[218:219]
	v_div_scale_f64 v[218:219], null, v[216:217], v[216:217], 1.0
	s_delay_alu instid0(VALU_DEP_1) | instskip(SKIP_2) | instid1(VALU_DEP_1)
	v_rcp_f64_e32 v[222:223], v[218:219]
	s_waitcnt_depctr 0xfff
	v_fma_f64 v[233:234], -v[218:219], v[222:223], 1.0
	v_fma_f64 v[222:223], v[222:223], v[233:234], v[222:223]
	s_delay_alu instid0(VALU_DEP_1) | instskip(NEXT) | instid1(VALU_DEP_1)
	v_fma_f64 v[233:234], -v[218:219], v[222:223], 1.0
	v_fma_f64 v[222:223], v[222:223], v[233:234], v[222:223]
	v_div_scale_f64 v[233:234], vcc_lo, 1.0, v[216:217], 1.0
	s_delay_alu instid0(VALU_DEP_1) | instskip(NEXT) | instid1(VALU_DEP_1)
	v_mul_f64 v[235:236], v[233:234], v[222:223]
	v_fma_f64 v[218:219], -v[218:219], v[235:236], v[233:234]
	s_delay_alu instid0(VALU_DEP_1) | instskip(NEXT) | instid1(VALU_DEP_1)
	v_div_fmas_f64 v[218:219], v[218:219], v[222:223], v[235:236]
	v_div_fixup_f64 v[218:219], v[218:219], v[216:217], 1.0
	s_delay_alu instid0(VALU_DEP_1)
	v_mul_f64 v[216:217], v[220:221], v[218:219]
	v_xor_b32_e32 v219, 0x80000000, v219
.LBB106_910:
	s_and_not1_saveexec_b32 s2, s2
	s_cbranch_execz .LBB106_912
; %bb.911:
	s_delay_alu instid0(VALU_DEP_1) | instskip(SKIP_1) | instid1(VALU_DEP_2)
	v_div_scale_f64 v[220:221], null, v[216:217], v[216:217], v[218:219]
	v_div_scale_f64 v[235:236], vcc_lo, v[218:219], v[216:217], v[218:219]
	v_rcp_f64_e32 v[222:223], v[220:221]
	s_waitcnt_depctr 0xfff
	v_fma_f64 v[233:234], -v[220:221], v[222:223], 1.0
	s_delay_alu instid0(VALU_DEP_1) | instskip(NEXT) | instid1(VALU_DEP_1)
	v_fma_f64 v[222:223], v[222:223], v[233:234], v[222:223]
	v_fma_f64 v[233:234], -v[220:221], v[222:223], 1.0
	s_delay_alu instid0(VALU_DEP_1) | instskip(NEXT) | instid1(VALU_DEP_1)
	v_fma_f64 v[222:223], v[222:223], v[233:234], v[222:223]
	v_mul_f64 v[233:234], v[235:236], v[222:223]
	s_delay_alu instid0(VALU_DEP_1) | instskip(NEXT) | instid1(VALU_DEP_1)
	v_fma_f64 v[220:221], -v[220:221], v[233:234], v[235:236]
	v_div_fmas_f64 v[220:221], v[220:221], v[222:223], v[233:234]
	s_delay_alu instid0(VALU_DEP_1) | instskip(NEXT) | instid1(VALU_DEP_1)
	v_div_fixup_f64 v[220:221], v[220:221], v[216:217], v[218:219]
	v_fma_f64 v[216:217], v[218:219], v[220:221], v[216:217]
	s_delay_alu instid0(VALU_DEP_1) | instskip(NEXT) | instid1(VALU_DEP_1)
	v_div_scale_f64 v[218:219], null, v[216:217], v[216:217], 1.0
	v_rcp_f64_e32 v[222:223], v[218:219]
	s_waitcnt_depctr 0xfff
	v_fma_f64 v[233:234], -v[218:219], v[222:223], 1.0
	s_delay_alu instid0(VALU_DEP_1) | instskip(NEXT) | instid1(VALU_DEP_1)
	v_fma_f64 v[222:223], v[222:223], v[233:234], v[222:223]
	v_fma_f64 v[233:234], -v[218:219], v[222:223], 1.0
	s_delay_alu instid0(VALU_DEP_1) | instskip(SKIP_1) | instid1(VALU_DEP_1)
	v_fma_f64 v[222:223], v[222:223], v[233:234], v[222:223]
	v_div_scale_f64 v[233:234], vcc_lo, 1.0, v[216:217], 1.0
	v_mul_f64 v[235:236], v[233:234], v[222:223]
	s_delay_alu instid0(VALU_DEP_1) | instskip(NEXT) | instid1(VALU_DEP_1)
	v_fma_f64 v[218:219], -v[218:219], v[235:236], v[233:234]
	v_div_fmas_f64 v[218:219], v[218:219], v[222:223], v[235:236]
	s_delay_alu instid0(VALU_DEP_1) | instskip(NEXT) | instid1(VALU_DEP_1)
	v_div_fixup_f64 v[216:217], v[218:219], v[216:217], 1.0
	v_mul_f64 v[218:219], v[220:221], -v[216:217]
.LBB106_912:
	s_or_b32 exec_lo, exec_lo, s2
.LBB106_913:
	s_delay_alu instid0(SALU_CYCLE_1) | instskip(NEXT) | instid1(SALU_CYCLE_1)
	s_or_b32 exec_lo, exec_lo, s3
	s_mov_b32 s2, exec_lo
	v_cmpx_ne_u32_e64 v232, v224
	s_xor_b32 s2, exec_lo, s2
	s_cbranch_execz .LBB106_919
; %bb.914:
	s_mov_b32 s3, exec_lo
	v_cmpx_eq_u32_e32 43, v232
	s_cbranch_execz .LBB106_918
; %bb.915:
	v_cmp_ne_u32_e32 vcc_lo, 43, v224
	s_xor_b32 s6, s4, -1
	s_delay_alu instid0(SALU_CYCLE_1) | instskip(NEXT) | instid1(SALU_CYCLE_1)
	s_and_b32 s7, s6, vcc_lo
	s_and_saveexec_b32 s6, s7
	s_cbranch_execz .LBB106_917
; %bb.916:
	v_ashrrev_i32_e32 v225, 31, v224
	s_delay_alu instid0(VALU_DEP_1) | instskip(NEXT) | instid1(VALU_DEP_1)
	v_lshlrev_b64 v[220:221], 2, v[224:225]
	v_add_co_u32 v220, vcc_lo, v214, v220
	s_delay_alu instid0(VALU_DEP_2)
	v_add_co_ci_u32_e32 v221, vcc_lo, v215, v221, vcc_lo
	s_clause 0x1
	flat_load_b32 v222, v[220:221]
	flat_load_b32 v223, v[214:215] offset:172
	s_waitcnt vmcnt(1) lgkmcnt(1)
	flat_store_b32 v[214:215], v222 offset:172
	s_waitcnt vmcnt(0) lgkmcnt(1)
	flat_store_b32 v[220:221], v223
.LBB106_917:
	s_or_b32 exec_lo, exec_lo, s6
	v_mov_b32_e32 v232, v224
	v_mov_b32_e32 v231, v224
.LBB106_918:
	s_or_b32 exec_lo, exec_lo, s3
.LBB106_919:
	s_and_not1_saveexec_b32 s2, s2
	s_cbranch_execz .LBB106_921
; %bb.920:
	v_mov_b32_e32 v232, 43
	ds_store_2addr_b64 v226, v[36:37], v[38:39] offset0:88 offset1:89
	ds_store_2addr_b64 v226, v[32:33], v[34:35] offset0:90 offset1:91
	;; [unrolled: 1-line block ×10, first 2 shown]
.LBB106_921:
	s_or_b32 exec_lo, exec_lo, s2
	s_delay_alu instid0(SALU_CYCLE_1)
	s_mov_b32 s2, exec_lo
	s_waitcnt lgkmcnt(0)
	s_waitcnt_vscnt null, 0x0
	s_barrier
	buffer_gl0_inv
	v_cmpx_lt_i32_e32 43, v232
	s_cbranch_execz .LBB106_923
; %bb.922:
	v_mul_f64 v[220:221], v[216:217], v[42:43]
	v_mul_f64 v[42:43], v[218:219], v[42:43]
	s_delay_alu instid0(VALU_DEP_2) | instskip(NEXT) | instid1(VALU_DEP_2)
	v_fma_f64 v[220:221], v[218:219], v[40:41], v[220:221]
	v_fma_f64 v[40:41], v[216:217], v[40:41], -v[42:43]
	ds_load_2addr_b64 v[216:219], v226 offset0:88 offset1:89
	s_waitcnt lgkmcnt(0)
	v_mul_f64 v[42:43], v[218:219], v[220:221]
	s_delay_alu instid0(VALU_DEP_1) | instskip(SKIP_1) | instid1(VALU_DEP_2)
	v_fma_f64 v[42:43], v[216:217], v[40:41], -v[42:43]
	v_mul_f64 v[216:217], v[216:217], v[220:221]
	v_add_f64 v[36:37], v[36:37], -v[42:43]
	s_delay_alu instid0(VALU_DEP_2) | instskip(NEXT) | instid1(VALU_DEP_1)
	v_fma_f64 v[216:217], v[218:219], v[40:41], v[216:217]
	v_add_f64 v[38:39], v[38:39], -v[216:217]
	ds_load_2addr_b64 v[216:219], v226 offset0:90 offset1:91
	s_waitcnt lgkmcnt(0)
	v_mul_f64 v[42:43], v[218:219], v[220:221]
	s_delay_alu instid0(VALU_DEP_1) | instskip(SKIP_1) | instid1(VALU_DEP_2)
	v_fma_f64 v[42:43], v[216:217], v[40:41], -v[42:43]
	v_mul_f64 v[216:217], v[216:217], v[220:221]
	v_add_f64 v[32:33], v[32:33], -v[42:43]
	s_delay_alu instid0(VALU_DEP_2) | instskip(NEXT) | instid1(VALU_DEP_1)
	v_fma_f64 v[216:217], v[218:219], v[40:41], v[216:217]
	v_add_f64 v[34:35], v[34:35], -v[216:217]
	;; [unrolled: 10-line block ×9, first 2 shown]
	ds_load_2addr_b64 v[216:219], v226 offset0:106 offset1:107
	s_waitcnt lgkmcnt(0)
	v_mul_f64 v[42:43], v[218:219], v[220:221]
	s_delay_alu instid0(VALU_DEP_1) | instskip(SKIP_1) | instid1(VALU_DEP_2)
	v_fma_f64 v[42:43], v[216:217], v[40:41], -v[42:43]
	v_mul_f64 v[216:217], v[216:217], v[220:221]
	v_add_f64 v[0:1], v[0:1], -v[42:43]
	s_delay_alu instid0(VALU_DEP_2) | instskip(SKIP_1) | instid1(VALU_DEP_2)
	v_fma_f64 v[216:217], v[218:219], v[40:41], v[216:217]
	v_dual_mov_b32 v42, v220 :: v_dual_mov_b32 v43, v221
	v_add_f64 v[2:3], v[2:3], -v[216:217]
.LBB106_923:
	s_or_b32 exec_lo, exec_lo, s2
	v_lshl_add_u32 v216, v232, 4, v226
	s_barrier
	buffer_gl0_inv
	v_mov_b32_e32 v224, 44
	ds_store_2addr_b64 v216, v[36:37], v[38:39] offset1:1
	s_waitcnt lgkmcnt(0)
	s_barrier
	buffer_gl0_inv
	ds_load_2addr_b64 v[216:219], v226 offset0:88 offset1:89
	s_cmp_lt_i32 s5, 46
	s_cbranch_scc1 .LBB106_926
; %bb.924:
	v_add3_u32 v225, v230, 0, 0x2d0
	v_mov_b32_e32 v224, 44
	s_mov_b32 s6, 45
	s_set_inst_prefetch_distance 0x1
	.p2align	6
.LBB106_925:                            ; =>This Inner Loop Header: Depth=1
	ds_load_2addr_b64 v[233:236], v225 offset1:1
	s_waitcnt lgkmcnt(1)
	v_cmp_gt_f64_e32 vcc_lo, 0, v[216:217]
	v_xor_b32_e32 v220, 0x80000000, v217
	v_cmp_gt_f64_e64 s2, 0, v[218:219]
	v_xor_b32_e32 v222, 0x80000000, v219
	v_add_nc_u32_e32 v225, 16, v225
	s_waitcnt lgkmcnt(0)
	v_cmp_gt_f64_e64 s3, 0, v[233:234]
	v_mov_b32_e32 v237, v233
	v_mov_b32_e32 v239, v235
	v_cndmask_b32_e32 v221, v217, v220, vcc_lo
	v_xor_b32_e32 v220, 0x80000000, v234
	v_cndmask_b32_e64 v223, v219, v222, s2
	v_xor_b32_e32 v222, 0x80000000, v236
	s_delay_alu instid0(VALU_DEP_3) | instskip(SKIP_2) | instid1(VALU_DEP_2)
	v_cndmask_b32_e64 v238, v234, v220, s3
	v_cmp_gt_f64_e64 s3, 0, v[235:236]
	v_cndmask_b32_e32 v220, v216, v216, vcc_lo
	v_cndmask_b32_e64 v240, v236, v222, s3
	v_cndmask_b32_e64 v222, v218, v218, s2
	s_delay_alu instid0(VALU_DEP_2) | instskip(NEXT) | instid1(VALU_DEP_2)
	v_add_f64 v[237:238], v[237:238], v[239:240]
	v_add_f64 v[220:221], v[220:221], v[222:223]
	s_delay_alu instid0(VALU_DEP_1) | instskip(SKIP_4) | instid1(SALU_CYCLE_1)
	v_cmp_lt_f64_e32 vcc_lo, v[220:221], v[237:238]
	v_dual_cndmask_b32 v216, v216, v233 :: v_dual_cndmask_b32 v217, v217, v234
	v_dual_cndmask_b32 v219, v219, v236 :: v_dual_cndmask_b32 v218, v218, v235
	v_cndmask_b32_e64 v224, v224, s6, vcc_lo
	s_add_i32 s6, s6, 1
	s_cmp_lg_u32 s5, s6
	s_cbranch_scc1 .LBB106_925
.LBB106_926:
	s_set_inst_prefetch_distance 0x2
	s_waitcnt lgkmcnt(0)
	v_cmp_eq_f64_e32 vcc_lo, 0, v[216:217]
	v_cmp_eq_f64_e64 s2, 0, v[218:219]
	s_delay_alu instid0(VALU_DEP_1) | instskip(NEXT) | instid1(SALU_CYCLE_1)
	s_and_b32 s2, vcc_lo, s2
	s_and_saveexec_b32 s3, s2
	s_delay_alu instid0(SALU_CYCLE_1)
	s_xor_b32 s2, exec_lo, s3
; %bb.927:
	v_cmp_ne_u32_e32 vcc_lo, 0, v229
	v_cndmask_b32_e32 v229, 45, v229, vcc_lo
; %bb.928:
	s_and_not1_saveexec_b32 s3, s2
	s_cbranch_execz .LBB106_934
; %bb.929:
	v_cmp_gt_f64_e32 vcc_lo, 0, v[216:217]
	v_cmp_gt_f64_e64 s2, 0, v[218:219]
	v_xor_b32_e32 v220, 0x80000000, v217
	v_xor_b32_e32 v222, 0x80000000, v219
	s_delay_alu instid0(VALU_DEP_2) | instskip(NEXT) | instid1(VALU_DEP_2)
	v_cndmask_b32_e32 v221, v217, v220, vcc_lo
	v_cndmask_b32_e64 v223, v219, v222, s2
	v_cndmask_b32_e32 v220, v216, v216, vcc_lo
	v_cndmask_b32_e64 v222, v218, v218, s2
	s_mov_b32 s2, exec_lo
	s_delay_alu instid0(VALU_DEP_1)
	v_cmpx_ngt_f64_e32 v[220:221], v[222:223]
	s_xor_b32 s2, exec_lo, s2
	s_cbranch_execz .LBB106_931
; %bb.930:
	v_div_scale_f64 v[220:221], null, v[218:219], v[218:219], v[216:217]
	v_div_scale_f64 v[235:236], vcc_lo, v[216:217], v[218:219], v[216:217]
	s_delay_alu instid0(VALU_DEP_2) | instskip(SKIP_2) | instid1(VALU_DEP_1)
	v_rcp_f64_e32 v[222:223], v[220:221]
	s_waitcnt_depctr 0xfff
	v_fma_f64 v[233:234], -v[220:221], v[222:223], 1.0
	v_fma_f64 v[222:223], v[222:223], v[233:234], v[222:223]
	s_delay_alu instid0(VALU_DEP_1) | instskip(NEXT) | instid1(VALU_DEP_1)
	v_fma_f64 v[233:234], -v[220:221], v[222:223], 1.0
	v_fma_f64 v[222:223], v[222:223], v[233:234], v[222:223]
	s_delay_alu instid0(VALU_DEP_1) | instskip(NEXT) | instid1(VALU_DEP_1)
	v_mul_f64 v[233:234], v[235:236], v[222:223]
	v_fma_f64 v[220:221], -v[220:221], v[233:234], v[235:236]
	s_delay_alu instid0(VALU_DEP_1) | instskip(NEXT) | instid1(VALU_DEP_1)
	v_div_fmas_f64 v[220:221], v[220:221], v[222:223], v[233:234]
	v_div_fixup_f64 v[220:221], v[220:221], v[218:219], v[216:217]
	s_delay_alu instid0(VALU_DEP_1) | instskip(NEXT) | instid1(VALU_DEP_1)
	v_fma_f64 v[216:217], v[216:217], v[220:221], v[218:219]
	v_div_scale_f64 v[218:219], null, v[216:217], v[216:217], 1.0
	s_delay_alu instid0(VALU_DEP_1) | instskip(SKIP_2) | instid1(VALU_DEP_1)
	v_rcp_f64_e32 v[222:223], v[218:219]
	s_waitcnt_depctr 0xfff
	v_fma_f64 v[233:234], -v[218:219], v[222:223], 1.0
	v_fma_f64 v[222:223], v[222:223], v[233:234], v[222:223]
	s_delay_alu instid0(VALU_DEP_1) | instskip(NEXT) | instid1(VALU_DEP_1)
	v_fma_f64 v[233:234], -v[218:219], v[222:223], 1.0
	v_fma_f64 v[222:223], v[222:223], v[233:234], v[222:223]
	v_div_scale_f64 v[233:234], vcc_lo, 1.0, v[216:217], 1.0
	s_delay_alu instid0(VALU_DEP_1) | instskip(NEXT) | instid1(VALU_DEP_1)
	v_mul_f64 v[235:236], v[233:234], v[222:223]
	v_fma_f64 v[218:219], -v[218:219], v[235:236], v[233:234]
	s_delay_alu instid0(VALU_DEP_1) | instskip(NEXT) | instid1(VALU_DEP_1)
	v_div_fmas_f64 v[218:219], v[218:219], v[222:223], v[235:236]
	v_div_fixup_f64 v[218:219], v[218:219], v[216:217], 1.0
	s_delay_alu instid0(VALU_DEP_1)
	v_mul_f64 v[216:217], v[220:221], v[218:219]
	v_xor_b32_e32 v219, 0x80000000, v219
.LBB106_931:
	s_and_not1_saveexec_b32 s2, s2
	s_cbranch_execz .LBB106_933
; %bb.932:
	s_delay_alu instid0(VALU_DEP_1) | instskip(SKIP_1) | instid1(VALU_DEP_2)
	v_div_scale_f64 v[220:221], null, v[216:217], v[216:217], v[218:219]
	v_div_scale_f64 v[235:236], vcc_lo, v[218:219], v[216:217], v[218:219]
	v_rcp_f64_e32 v[222:223], v[220:221]
	s_waitcnt_depctr 0xfff
	v_fma_f64 v[233:234], -v[220:221], v[222:223], 1.0
	s_delay_alu instid0(VALU_DEP_1) | instskip(NEXT) | instid1(VALU_DEP_1)
	v_fma_f64 v[222:223], v[222:223], v[233:234], v[222:223]
	v_fma_f64 v[233:234], -v[220:221], v[222:223], 1.0
	s_delay_alu instid0(VALU_DEP_1) | instskip(NEXT) | instid1(VALU_DEP_1)
	v_fma_f64 v[222:223], v[222:223], v[233:234], v[222:223]
	v_mul_f64 v[233:234], v[235:236], v[222:223]
	s_delay_alu instid0(VALU_DEP_1) | instskip(NEXT) | instid1(VALU_DEP_1)
	v_fma_f64 v[220:221], -v[220:221], v[233:234], v[235:236]
	v_div_fmas_f64 v[220:221], v[220:221], v[222:223], v[233:234]
	s_delay_alu instid0(VALU_DEP_1) | instskip(NEXT) | instid1(VALU_DEP_1)
	v_div_fixup_f64 v[220:221], v[220:221], v[216:217], v[218:219]
	v_fma_f64 v[216:217], v[218:219], v[220:221], v[216:217]
	s_delay_alu instid0(VALU_DEP_1) | instskip(NEXT) | instid1(VALU_DEP_1)
	v_div_scale_f64 v[218:219], null, v[216:217], v[216:217], 1.0
	v_rcp_f64_e32 v[222:223], v[218:219]
	s_waitcnt_depctr 0xfff
	v_fma_f64 v[233:234], -v[218:219], v[222:223], 1.0
	s_delay_alu instid0(VALU_DEP_1) | instskip(NEXT) | instid1(VALU_DEP_1)
	v_fma_f64 v[222:223], v[222:223], v[233:234], v[222:223]
	v_fma_f64 v[233:234], -v[218:219], v[222:223], 1.0
	s_delay_alu instid0(VALU_DEP_1) | instskip(SKIP_1) | instid1(VALU_DEP_1)
	v_fma_f64 v[222:223], v[222:223], v[233:234], v[222:223]
	v_div_scale_f64 v[233:234], vcc_lo, 1.0, v[216:217], 1.0
	v_mul_f64 v[235:236], v[233:234], v[222:223]
	s_delay_alu instid0(VALU_DEP_1) | instskip(NEXT) | instid1(VALU_DEP_1)
	v_fma_f64 v[218:219], -v[218:219], v[235:236], v[233:234]
	v_div_fmas_f64 v[218:219], v[218:219], v[222:223], v[235:236]
	s_delay_alu instid0(VALU_DEP_1) | instskip(NEXT) | instid1(VALU_DEP_1)
	v_div_fixup_f64 v[216:217], v[218:219], v[216:217], 1.0
	v_mul_f64 v[218:219], v[220:221], -v[216:217]
.LBB106_933:
	s_or_b32 exec_lo, exec_lo, s2
.LBB106_934:
	s_delay_alu instid0(SALU_CYCLE_1) | instskip(NEXT) | instid1(SALU_CYCLE_1)
	s_or_b32 exec_lo, exec_lo, s3
	s_mov_b32 s2, exec_lo
	v_cmpx_ne_u32_e64 v232, v224
	s_xor_b32 s2, exec_lo, s2
	s_cbranch_execz .LBB106_940
; %bb.935:
	s_mov_b32 s3, exec_lo
	v_cmpx_eq_u32_e32 44, v232
	s_cbranch_execz .LBB106_939
; %bb.936:
	v_cmp_ne_u32_e32 vcc_lo, 44, v224
	s_xor_b32 s6, s4, -1
	s_delay_alu instid0(SALU_CYCLE_1) | instskip(NEXT) | instid1(SALU_CYCLE_1)
	s_and_b32 s7, s6, vcc_lo
	s_and_saveexec_b32 s6, s7
	s_cbranch_execz .LBB106_938
; %bb.937:
	v_ashrrev_i32_e32 v225, 31, v224
	s_delay_alu instid0(VALU_DEP_1) | instskip(NEXT) | instid1(VALU_DEP_1)
	v_lshlrev_b64 v[220:221], 2, v[224:225]
	v_add_co_u32 v220, vcc_lo, v214, v220
	s_delay_alu instid0(VALU_DEP_2)
	v_add_co_ci_u32_e32 v221, vcc_lo, v215, v221, vcc_lo
	s_clause 0x1
	flat_load_b32 v222, v[220:221]
	flat_load_b32 v223, v[214:215] offset:176
	s_waitcnt vmcnt(1) lgkmcnt(1)
	flat_store_b32 v[214:215], v222 offset:176
	s_waitcnt vmcnt(0) lgkmcnt(1)
	flat_store_b32 v[220:221], v223
.LBB106_938:
	s_or_b32 exec_lo, exec_lo, s6
	v_mov_b32_e32 v232, v224
	v_mov_b32_e32 v231, v224
.LBB106_939:
	s_or_b32 exec_lo, exec_lo, s3
.LBB106_940:
	s_and_not1_saveexec_b32 s2, s2
	s_cbranch_execz .LBB106_942
; %bb.941:
	v_mov_b32_e32 v232, 44
	ds_store_2addr_b64 v226, v[32:33], v[34:35] offset0:90 offset1:91
	ds_store_2addr_b64 v226, v[28:29], v[30:31] offset0:92 offset1:93
	;; [unrolled: 1-line block ×9, first 2 shown]
.LBB106_942:
	s_or_b32 exec_lo, exec_lo, s2
	s_delay_alu instid0(SALU_CYCLE_1)
	s_mov_b32 s2, exec_lo
	s_waitcnt lgkmcnt(0)
	s_waitcnt_vscnt null, 0x0
	s_barrier
	buffer_gl0_inv
	v_cmpx_lt_i32_e32 44, v232
	s_cbranch_execz .LBB106_944
; %bb.943:
	v_mul_f64 v[220:221], v[216:217], v[38:39]
	v_mul_f64 v[38:39], v[218:219], v[38:39]
	s_delay_alu instid0(VALU_DEP_2) | instskip(NEXT) | instid1(VALU_DEP_2)
	v_fma_f64 v[220:221], v[218:219], v[36:37], v[220:221]
	v_fma_f64 v[36:37], v[216:217], v[36:37], -v[38:39]
	ds_load_2addr_b64 v[216:219], v226 offset0:90 offset1:91
	s_waitcnt lgkmcnt(0)
	v_mul_f64 v[38:39], v[218:219], v[220:221]
	s_delay_alu instid0(VALU_DEP_1) | instskip(SKIP_1) | instid1(VALU_DEP_2)
	v_fma_f64 v[38:39], v[216:217], v[36:37], -v[38:39]
	v_mul_f64 v[216:217], v[216:217], v[220:221]
	v_add_f64 v[32:33], v[32:33], -v[38:39]
	s_delay_alu instid0(VALU_DEP_2) | instskip(NEXT) | instid1(VALU_DEP_1)
	v_fma_f64 v[216:217], v[218:219], v[36:37], v[216:217]
	v_add_f64 v[34:35], v[34:35], -v[216:217]
	ds_load_2addr_b64 v[216:219], v226 offset0:92 offset1:93
	s_waitcnt lgkmcnt(0)
	v_mul_f64 v[38:39], v[218:219], v[220:221]
	s_delay_alu instid0(VALU_DEP_1) | instskip(SKIP_1) | instid1(VALU_DEP_2)
	v_fma_f64 v[38:39], v[216:217], v[36:37], -v[38:39]
	v_mul_f64 v[216:217], v[216:217], v[220:221]
	v_add_f64 v[28:29], v[28:29], -v[38:39]
	s_delay_alu instid0(VALU_DEP_2) | instskip(NEXT) | instid1(VALU_DEP_1)
	v_fma_f64 v[216:217], v[218:219], v[36:37], v[216:217]
	v_add_f64 v[30:31], v[30:31], -v[216:217]
	;; [unrolled: 10-line block ×8, first 2 shown]
	ds_load_2addr_b64 v[216:219], v226 offset0:106 offset1:107
	s_waitcnt lgkmcnt(0)
	v_mul_f64 v[38:39], v[218:219], v[220:221]
	s_delay_alu instid0(VALU_DEP_1) | instskip(SKIP_1) | instid1(VALU_DEP_2)
	v_fma_f64 v[38:39], v[216:217], v[36:37], -v[38:39]
	v_mul_f64 v[216:217], v[216:217], v[220:221]
	v_add_f64 v[0:1], v[0:1], -v[38:39]
	s_delay_alu instid0(VALU_DEP_2) | instskip(SKIP_1) | instid1(VALU_DEP_2)
	v_fma_f64 v[216:217], v[218:219], v[36:37], v[216:217]
	v_dual_mov_b32 v38, v220 :: v_dual_mov_b32 v39, v221
	v_add_f64 v[2:3], v[2:3], -v[216:217]
.LBB106_944:
	s_or_b32 exec_lo, exec_lo, s2
	v_lshl_add_u32 v216, v232, 4, v226
	s_barrier
	buffer_gl0_inv
	v_mov_b32_e32 v224, 45
	ds_store_2addr_b64 v216, v[32:33], v[34:35] offset1:1
	s_waitcnt lgkmcnt(0)
	s_barrier
	buffer_gl0_inv
	ds_load_2addr_b64 v[216:219], v226 offset0:90 offset1:91
	s_cmp_lt_i32 s5, 47
	s_cbranch_scc1 .LBB106_947
; %bb.945:
	v_add3_u32 v225, v230, 0, 0x2e0
	v_mov_b32_e32 v224, 45
	s_mov_b32 s6, 46
	s_set_inst_prefetch_distance 0x1
	.p2align	6
.LBB106_946:                            ; =>This Inner Loop Header: Depth=1
	ds_load_2addr_b64 v[233:236], v225 offset1:1
	s_waitcnt lgkmcnt(1)
	v_cmp_gt_f64_e32 vcc_lo, 0, v[216:217]
	v_xor_b32_e32 v220, 0x80000000, v217
	v_cmp_gt_f64_e64 s2, 0, v[218:219]
	v_xor_b32_e32 v222, 0x80000000, v219
	v_add_nc_u32_e32 v225, 16, v225
	s_waitcnt lgkmcnt(0)
	v_cmp_gt_f64_e64 s3, 0, v[233:234]
	v_mov_b32_e32 v237, v233
	v_mov_b32_e32 v239, v235
	v_cndmask_b32_e32 v221, v217, v220, vcc_lo
	v_xor_b32_e32 v220, 0x80000000, v234
	v_cndmask_b32_e64 v223, v219, v222, s2
	v_xor_b32_e32 v222, 0x80000000, v236
	s_delay_alu instid0(VALU_DEP_3) | instskip(SKIP_2) | instid1(VALU_DEP_2)
	v_cndmask_b32_e64 v238, v234, v220, s3
	v_cmp_gt_f64_e64 s3, 0, v[235:236]
	v_cndmask_b32_e32 v220, v216, v216, vcc_lo
	v_cndmask_b32_e64 v240, v236, v222, s3
	v_cndmask_b32_e64 v222, v218, v218, s2
	s_delay_alu instid0(VALU_DEP_2) | instskip(NEXT) | instid1(VALU_DEP_2)
	v_add_f64 v[237:238], v[237:238], v[239:240]
	v_add_f64 v[220:221], v[220:221], v[222:223]
	s_delay_alu instid0(VALU_DEP_1) | instskip(SKIP_4) | instid1(SALU_CYCLE_1)
	v_cmp_lt_f64_e32 vcc_lo, v[220:221], v[237:238]
	v_dual_cndmask_b32 v216, v216, v233 :: v_dual_cndmask_b32 v217, v217, v234
	v_dual_cndmask_b32 v219, v219, v236 :: v_dual_cndmask_b32 v218, v218, v235
	v_cndmask_b32_e64 v224, v224, s6, vcc_lo
	s_add_i32 s6, s6, 1
	s_cmp_lg_u32 s5, s6
	s_cbranch_scc1 .LBB106_946
.LBB106_947:
	s_set_inst_prefetch_distance 0x2
	s_waitcnt lgkmcnt(0)
	v_cmp_eq_f64_e32 vcc_lo, 0, v[216:217]
	v_cmp_eq_f64_e64 s2, 0, v[218:219]
	s_delay_alu instid0(VALU_DEP_1) | instskip(NEXT) | instid1(SALU_CYCLE_1)
	s_and_b32 s2, vcc_lo, s2
	s_and_saveexec_b32 s3, s2
	s_delay_alu instid0(SALU_CYCLE_1)
	s_xor_b32 s2, exec_lo, s3
; %bb.948:
	v_cmp_ne_u32_e32 vcc_lo, 0, v229
	v_cndmask_b32_e32 v229, 46, v229, vcc_lo
; %bb.949:
	s_and_not1_saveexec_b32 s3, s2
	s_cbranch_execz .LBB106_955
; %bb.950:
	v_cmp_gt_f64_e32 vcc_lo, 0, v[216:217]
	v_cmp_gt_f64_e64 s2, 0, v[218:219]
	v_xor_b32_e32 v220, 0x80000000, v217
	v_xor_b32_e32 v222, 0x80000000, v219
	s_delay_alu instid0(VALU_DEP_2) | instskip(NEXT) | instid1(VALU_DEP_2)
	v_cndmask_b32_e32 v221, v217, v220, vcc_lo
	v_cndmask_b32_e64 v223, v219, v222, s2
	v_cndmask_b32_e32 v220, v216, v216, vcc_lo
	v_cndmask_b32_e64 v222, v218, v218, s2
	s_mov_b32 s2, exec_lo
	s_delay_alu instid0(VALU_DEP_1)
	v_cmpx_ngt_f64_e32 v[220:221], v[222:223]
	s_xor_b32 s2, exec_lo, s2
	s_cbranch_execz .LBB106_952
; %bb.951:
	v_div_scale_f64 v[220:221], null, v[218:219], v[218:219], v[216:217]
	v_div_scale_f64 v[235:236], vcc_lo, v[216:217], v[218:219], v[216:217]
	s_delay_alu instid0(VALU_DEP_2) | instskip(SKIP_2) | instid1(VALU_DEP_1)
	v_rcp_f64_e32 v[222:223], v[220:221]
	s_waitcnt_depctr 0xfff
	v_fma_f64 v[233:234], -v[220:221], v[222:223], 1.0
	v_fma_f64 v[222:223], v[222:223], v[233:234], v[222:223]
	s_delay_alu instid0(VALU_DEP_1) | instskip(NEXT) | instid1(VALU_DEP_1)
	v_fma_f64 v[233:234], -v[220:221], v[222:223], 1.0
	v_fma_f64 v[222:223], v[222:223], v[233:234], v[222:223]
	s_delay_alu instid0(VALU_DEP_1) | instskip(NEXT) | instid1(VALU_DEP_1)
	v_mul_f64 v[233:234], v[235:236], v[222:223]
	v_fma_f64 v[220:221], -v[220:221], v[233:234], v[235:236]
	s_delay_alu instid0(VALU_DEP_1) | instskip(NEXT) | instid1(VALU_DEP_1)
	v_div_fmas_f64 v[220:221], v[220:221], v[222:223], v[233:234]
	v_div_fixup_f64 v[220:221], v[220:221], v[218:219], v[216:217]
	s_delay_alu instid0(VALU_DEP_1) | instskip(NEXT) | instid1(VALU_DEP_1)
	v_fma_f64 v[216:217], v[216:217], v[220:221], v[218:219]
	v_div_scale_f64 v[218:219], null, v[216:217], v[216:217], 1.0
	s_delay_alu instid0(VALU_DEP_1) | instskip(SKIP_2) | instid1(VALU_DEP_1)
	v_rcp_f64_e32 v[222:223], v[218:219]
	s_waitcnt_depctr 0xfff
	v_fma_f64 v[233:234], -v[218:219], v[222:223], 1.0
	v_fma_f64 v[222:223], v[222:223], v[233:234], v[222:223]
	s_delay_alu instid0(VALU_DEP_1) | instskip(NEXT) | instid1(VALU_DEP_1)
	v_fma_f64 v[233:234], -v[218:219], v[222:223], 1.0
	v_fma_f64 v[222:223], v[222:223], v[233:234], v[222:223]
	v_div_scale_f64 v[233:234], vcc_lo, 1.0, v[216:217], 1.0
	s_delay_alu instid0(VALU_DEP_1) | instskip(NEXT) | instid1(VALU_DEP_1)
	v_mul_f64 v[235:236], v[233:234], v[222:223]
	v_fma_f64 v[218:219], -v[218:219], v[235:236], v[233:234]
	s_delay_alu instid0(VALU_DEP_1) | instskip(NEXT) | instid1(VALU_DEP_1)
	v_div_fmas_f64 v[218:219], v[218:219], v[222:223], v[235:236]
	v_div_fixup_f64 v[218:219], v[218:219], v[216:217], 1.0
	s_delay_alu instid0(VALU_DEP_1)
	v_mul_f64 v[216:217], v[220:221], v[218:219]
	v_xor_b32_e32 v219, 0x80000000, v219
.LBB106_952:
	s_and_not1_saveexec_b32 s2, s2
	s_cbranch_execz .LBB106_954
; %bb.953:
	s_delay_alu instid0(VALU_DEP_1) | instskip(SKIP_1) | instid1(VALU_DEP_2)
	v_div_scale_f64 v[220:221], null, v[216:217], v[216:217], v[218:219]
	v_div_scale_f64 v[235:236], vcc_lo, v[218:219], v[216:217], v[218:219]
	v_rcp_f64_e32 v[222:223], v[220:221]
	s_waitcnt_depctr 0xfff
	v_fma_f64 v[233:234], -v[220:221], v[222:223], 1.0
	s_delay_alu instid0(VALU_DEP_1) | instskip(NEXT) | instid1(VALU_DEP_1)
	v_fma_f64 v[222:223], v[222:223], v[233:234], v[222:223]
	v_fma_f64 v[233:234], -v[220:221], v[222:223], 1.0
	s_delay_alu instid0(VALU_DEP_1) | instskip(NEXT) | instid1(VALU_DEP_1)
	v_fma_f64 v[222:223], v[222:223], v[233:234], v[222:223]
	v_mul_f64 v[233:234], v[235:236], v[222:223]
	s_delay_alu instid0(VALU_DEP_1) | instskip(NEXT) | instid1(VALU_DEP_1)
	v_fma_f64 v[220:221], -v[220:221], v[233:234], v[235:236]
	v_div_fmas_f64 v[220:221], v[220:221], v[222:223], v[233:234]
	s_delay_alu instid0(VALU_DEP_1) | instskip(NEXT) | instid1(VALU_DEP_1)
	v_div_fixup_f64 v[220:221], v[220:221], v[216:217], v[218:219]
	v_fma_f64 v[216:217], v[218:219], v[220:221], v[216:217]
	s_delay_alu instid0(VALU_DEP_1) | instskip(NEXT) | instid1(VALU_DEP_1)
	v_div_scale_f64 v[218:219], null, v[216:217], v[216:217], 1.0
	v_rcp_f64_e32 v[222:223], v[218:219]
	s_waitcnt_depctr 0xfff
	v_fma_f64 v[233:234], -v[218:219], v[222:223], 1.0
	s_delay_alu instid0(VALU_DEP_1) | instskip(NEXT) | instid1(VALU_DEP_1)
	v_fma_f64 v[222:223], v[222:223], v[233:234], v[222:223]
	v_fma_f64 v[233:234], -v[218:219], v[222:223], 1.0
	s_delay_alu instid0(VALU_DEP_1) | instskip(SKIP_1) | instid1(VALU_DEP_1)
	v_fma_f64 v[222:223], v[222:223], v[233:234], v[222:223]
	v_div_scale_f64 v[233:234], vcc_lo, 1.0, v[216:217], 1.0
	v_mul_f64 v[235:236], v[233:234], v[222:223]
	s_delay_alu instid0(VALU_DEP_1) | instskip(NEXT) | instid1(VALU_DEP_1)
	v_fma_f64 v[218:219], -v[218:219], v[235:236], v[233:234]
	v_div_fmas_f64 v[218:219], v[218:219], v[222:223], v[235:236]
	s_delay_alu instid0(VALU_DEP_1) | instskip(NEXT) | instid1(VALU_DEP_1)
	v_div_fixup_f64 v[216:217], v[218:219], v[216:217], 1.0
	v_mul_f64 v[218:219], v[220:221], -v[216:217]
.LBB106_954:
	s_or_b32 exec_lo, exec_lo, s2
.LBB106_955:
	s_delay_alu instid0(SALU_CYCLE_1) | instskip(NEXT) | instid1(SALU_CYCLE_1)
	s_or_b32 exec_lo, exec_lo, s3
	s_mov_b32 s2, exec_lo
	v_cmpx_ne_u32_e64 v232, v224
	s_xor_b32 s2, exec_lo, s2
	s_cbranch_execz .LBB106_961
; %bb.956:
	s_mov_b32 s3, exec_lo
	v_cmpx_eq_u32_e32 45, v232
	s_cbranch_execz .LBB106_960
; %bb.957:
	v_cmp_ne_u32_e32 vcc_lo, 45, v224
	s_xor_b32 s6, s4, -1
	s_delay_alu instid0(SALU_CYCLE_1) | instskip(NEXT) | instid1(SALU_CYCLE_1)
	s_and_b32 s7, s6, vcc_lo
	s_and_saveexec_b32 s6, s7
	s_cbranch_execz .LBB106_959
; %bb.958:
	v_ashrrev_i32_e32 v225, 31, v224
	s_delay_alu instid0(VALU_DEP_1) | instskip(NEXT) | instid1(VALU_DEP_1)
	v_lshlrev_b64 v[220:221], 2, v[224:225]
	v_add_co_u32 v220, vcc_lo, v214, v220
	s_delay_alu instid0(VALU_DEP_2)
	v_add_co_ci_u32_e32 v221, vcc_lo, v215, v221, vcc_lo
	s_clause 0x1
	flat_load_b32 v222, v[220:221]
	flat_load_b32 v223, v[214:215] offset:180
	s_waitcnt vmcnt(1) lgkmcnt(1)
	flat_store_b32 v[214:215], v222 offset:180
	s_waitcnt vmcnt(0) lgkmcnt(1)
	flat_store_b32 v[220:221], v223
.LBB106_959:
	s_or_b32 exec_lo, exec_lo, s6
	v_mov_b32_e32 v232, v224
	v_mov_b32_e32 v231, v224
.LBB106_960:
	s_or_b32 exec_lo, exec_lo, s3
.LBB106_961:
	s_and_not1_saveexec_b32 s2, s2
	s_cbranch_execz .LBB106_963
; %bb.962:
	v_mov_b32_e32 v232, 45
	ds_store_2addr_b64 v226, v[28:29], v[30:31] offset0:92 offset1:93
	ds_store_2addr_b64 v226, v[24:25], v[26:27] offset0:94 offset1:95
	;; [unrolled: 1-line block ×8, first 2 shown]
.LBB106_963:
	s_or_b32 exec_lo, exec_lo, s2
	s_delay_alu instid0(SALU_CYCLE_1)
	s_mov_b32 s2, exec_lo
	s_waitcnt lgkmcnt(0)
	s_waitcnt_vscnt null, 0x0
	s_barrier
	buffer_gl0_inv
	v_cmpx_lt_i32_e32 45, v232
	s_cbranch_execz .LBB106_965
; %bb.964:
	v_mul_f64 v[220:221], v[216:217], v[34:35]
	v_mul_f64 v[34:35], v[218:219], v[34:35]
	s_delay_alu instid0(VALU_DEP_2) | instskip(NEXT) | instid1(VALU_DEP_2)
	v_fma_f64 v[220:221], v[218:219], v[32:33], v[220:221]
	v_fma_f64 v[32:33], v[216:217], v[32:33], -v[34:35]
	ds_load_2addr_b64 v[216:219], v226 offset0:92 offset1:93
	s_waitcnt lgkmcnt(0)
	v_mul_f64 v[34:35], v[218:219], v[220:221]
	s_delay_alu instid0(VALU_DEP_1) | instskip(SKIP_1) | instid1(VALU_DEP_2)
	v_fma_f64 v[34:35], v[216:217], v[32:33], -v[34:35]
	v_mul_f64 v[216:217], v[216:217], v[220:221]
	v_add_f64 v[28:29], v[28:29], -v[34:35]
	s_delay_alu instid0(VALU_DEP_2) | instskip(NEXT) | instid1(VALU_DEP_1)
	v_fma_f64 v[216:217], v[218:219], v[32:33], v[216:217]
	v_add_f64 v[30:31], v[30:31], -v[216:217]
	ds_load_2addr_b64 v[216:219], v226 offset0:94 offset1:95
	s_waitcnt lgkmcnt(0)
	v_mul_f64 v[34:35], v[218:219], v[220:221]
	s_delay_alu instid0(VALU_DEP_1) | instskip(SKIP_1) | instid1(VALU_DEP_2)
	v_fma_f64 v[34:35], v[216:217], v[32:33], -v[34:35]
	v_mul_f64 v[216:217], v[216:217], v[220:221]
	v_add_f64 v[24:25], v[24:25], -v[34:35]
	s_delay_alu instid0(VALU_DEP_2) | instskip(NEXT) | instid1(VALU_DEP_1)
	v_fma_f64 v[216:217], v[218:219], v[32:33], v[216:217]
	v_add_f64 v[26:27], v[26:27], -v[216:217]
	;; [unrolled: 10-line block ×7, first 2 shown]
	ds_load_2addr_b64 v[216:219], v226 offset0:106 offset1:107
	s_waitcnt lgkmcnt(0)
	v_mul_f64 v[34:35], v[218:219], v[220:221]
	s_delay_alu instid0(VALU_DEP_1) | instskip(SKIP_1) | instid1(VALU_DEP_2)
	v_fma_f64 v[34:35], v[216:217], v[32:33], -v[34:35]
	v_mul_f64 v[216:217], v[216:217], v[220:221]
	v_add_f64 v[0:1], v[0:1], -v[34:35]
	s_delay_alu instid0(VALU_DEP_2) | instskip(SKIP_1) | instid1(VALU_DEP_2)
	v_fma_f64 v[216:217], v[218:219], v[32:33], v[216:217]
	v_dual_mov_b32 v34, v220 :: v_dual_mov_b32 v35, v221
	v_add_f64 v[2:3], v[2:3], -v[216:217]
.LBB106_965:
	s_or_b32 exec_lo, exec_lo, s2
	v_lshl_add_u32 v216, v232, 4, v226
	s_barrier
	buffer_gl0_inv
	v_mov_b32_e32 v224, 46
	ds_store_2addr_b64 v216, v[28:29], v[30:31] offset1:1
	s_waitcnt lgkmcnt(0)
	s_barrier
	buffer_gl0_inv
	ds_load_2addr_b64 v[216:219], v226 offset0:92 offset1:93
	s_cmp_lt_i32 s5, 48
	s_cbranch_scc1 .LBB106_968
; %bb.966:
	v_add3_u32 v225, v230, 0, 0x2f0
	v_mov_b32_e32 v224, 46
	s_mov_b32 s6, 47
	s_set_inst_prefetch_distance 0x1
	.p2align	6
.LBB106_967:                            ; =>This Inner Loop Header: Depth=1
	ds_load_2addr_b64 v[233:236], v225 offset1:1
	s_waitcnt lgkmcnt(1)
	v_cmp_gt_f64_e32 vcc_lo, 0, v[216:217]
	v_xor_b32_e32 v220, 0x80000000, v217
	v_cmp_gt_f64_e64 s2, 0, v[218:219]
	v_xor_b32_e32 v222, 0x80000000, v219
	v_add_nc_u32_e32 v225, 16, v225
	s_waitcnt lgkmcnt(0)
	v_cmp_gt_f64_e64 s3, 0, v[233:234]
	v_mov_b32_e32 v237, v233
	v_mov_b32_e32 v239, v235
	v_cndmask_b32_e32 v221, v217, v220, vcc_lo
	v_xor_b32_e32 v220, 0x80000000, v234
	v_cndmask_b32_e64 v223, v219, v222, s2
	v_xor_b32_e32 v222, 0x80000000, v236
	s_delay_alu instid0(VALU_DEP_3) | instskip(SKIP_2) | instid1(VALU_DEP_2)
	v_cndmask_b32_e64 v238, v234, v220, s3
	v_cmp_gt_f64_e64 s3, 0, v[235:236]
	v_cndmask_b32_e32 v220, v216, v216, vcc_lo
	v_cndmask_b32_e64 v240, v236, v222, s3
	v_cndmask_b32_e64 v222, v218, v218, s2
	s_delay_alu instid0(VALU_DEP_2) | instskip(NEXT) | instid1(VALU_DEP_2)
	v_add_f64 v[237:238], v[237:238], v[239:240]
	v_add_f64 v[220:221], v[220:221], v[222:223]
	s_delay_alu instid0(VALU_DEP_1) | instskip(SKIP_4) | instid1(SALU_CYCLE_1)
	v_cmp_lt_f64_e32 vcc_lo, v[220:221], v[237:238]
	v_dual_cndmask_b32 v216, v216, v233 :: v_dual_cndmask_b32 v217, v217, v234
	v_dual_cndmask_b32 v219, v219, v236 :: v_dual_cndmask_b32 v218, v218, v235
	v_cndmask_b32_e64 v224, v224, s6, vcc_lo
	s_add_i32 s6, s6, 1
	s_cmp_lg_u32 s5, s6
	s_cbranch_scc1 .LBB106_967
.LBB106_968:
	s_set_inst_prefetch_distance 0x2
	s_waitcnt lgkmcnt(0)
	v_cmp_eq_f64_e32 vcc_lo, 0, v[216:217]
	v_cmp_eq_f64_e64 s2, 0, v[218:219]
	s_delay_alu instid0(VALU_DEP_1) | instskip(NEXT) | instid1(SALU_CYCLE_1)
	s_and_b32 s2, vcc_lo, s2
	s_and_saveexec_b32 s3, s2
	s_delay_alu instid0(SALU_CYCLE_1)
	s_xor_b32 s2, exec_lo, s3
; %bb.969:
	v_cmp_ne_u32_e32 vcc_lo, 0, v229
	v_cndmask_b32_e32 v229, 47, v229, vcc_lo
; %bb.970:
	s_and_not1_saveexec_b32 s3, s2
	s_cbranch_execz .LBB106_976
; %bb.971:
	v_cmp_gt_f64_e32 vcc_lo, 0, v[216:217]
	v_cmp_gt_f64_e64 s2, 0, v[218:219]
	v_xor_b32_e32 v220, 0x80000000, v217
	v_xor_b32_e32 v222, 0x80000000, v219
	s_delay_alu instid0(VALU_DEP_2) | instskip(NEXT) | instid1(VALU_DEP_2)
	v_cndmask_b32_e32 v221, v217, v220, vcc_lo
	v_cndmask_b32_e64 v223, v219, v222, s2
	v_cndmask_b32_e32 v220, v216, v216, vcc_lo
	v_cndmask_b32_e64 v222, v218, v218, s2
	s_mov_b32 s2, exec_lo
	s_delay_alu instid0(VALU_DEP_1)
	v_cmpx_ngt_f64_e32 v[220:221], v[222:223]
	s_xor_b32 s2, exec_lo, s2
	s_cbranch_execz .LBB106_973
; %bb.972:
	v_div_scale_f64 v[220:221], null, v[218:219], v[218:219], v[216:217]
	v_div_scale_f64 v[235:236], vcc_lo, v[216:217], v[218:219], v[216:217]
	s_delay_alu instid0(VALU_DEP_2) | instskip(SKIP_2) | instid1(VALU_DEP_1)
	v_rcp_f64_e32 v[222:223], v[220:221]
	s_waitcnt_depctr 0xfff
	v_fma_f64 v[233:234], -v[220:221], v[222:223], 1.0
	v_fma_f64 v[222:223], v[222:223], v[233:234], v[222:223]
	s_delay_alu instid0(VALU_DEP_1) | instskip(NEXT) | instid1(VALU_DEP_1)
	v_fma_f64 v[233:234], -v[220:221], v[222:223], 1.0
	v_fma_f64 v[222:223], v[222:223], v[233:234], v[222:223]
	s_delay_alu instid0(VALU_DEP_1) | instskip(NEXT) | instid1(VALU_DEP_1)
	v_mul_f64 v[233:234], v[235:236], v[222:223]
	v_fma_f64 v[220:221], -v[220:221], v[233:234], v[235:236]
	s_delay_alu instid0(VALU_DEP_1) | instskip(NEXT) | instid1(VALU_DEP_1)
	v_div_fmas_f64 v[220:221], v[220:221], v[222:223], v[233:234]
	v_div_fixup_f64 v[220:221], v[220:221], v[218:219], v[216:217]
	s_delay_alu instid0(VALU_DEP_1) | instskip(NEXT) | instid1(VALU_DEP_1)
	v_fma_f64 v[216:217], v[216:217], v[220:221], v[218:219]
	v_div_scale_f64 v[218:219], null, v[216:217], v[216:217], 1.0
	s_delay_alu instid0(VALU_DEP_1) | instskip(SKIP_2) | instid1(VALU_DEP_1)
	v_rcp_f64_e32 v[222:223], v[218:219]
	s_waitcnt_depctr 0xfff
	v_fma_f64 v[233:234], -v[218:219], v[222:223], 1.0
	v_fma_f64 v[222:223], v[222:223], v[233:234], v[222:223]
	s_delay_alu instid0(VALU_DEP_1) | instskip(NEXT) | instid1(VALU_DEP_1)
	v_fma_f64 v[233:234], -v[218:219], v[222:223], 1.0
	v_fma_f64 v[222:223], v[222:223], v[233:234], v[222:223]
	v_div_scale_f64 v[233:234], vcc_lo, 1.0, v[216:217], 1.0
	s_delay_alu instid0(VALU_DEP_1) | instskip(NEXT) | instid1(VALU_DEP_1)
	v_mul_f64 v[235:236], v[233:234], v[222:223]
	v_fma_f64 v[218:219], -v[218:219], v[235:236], v[233:234]
	s_delay_alu instid0(VALU_DEP_1) | instskip(NEXT) | instid1(VALU_DEP_1)
	v_div_fmas_f64 v[218:219], v[218:219], v[222:223], v[235:236]
	v_div_fixup_f64 v[218:219], v[218:219], v[216:217], 1.0
	s_delay_alu instid0(VALU_DEP_1)
	v_mul_f64 v[216:217], v[220:221], v[218:219]
	v_xor_b32_e32 v219, 0x80000000, v219
.LBB106_973:
	s_and_not1_saveexec_b32 s2, s2
	s_cbranch_execz .LBB106_975
; %bb.974:
	s_delay_alu instid0(VALU_DEP_1) | instskip(SKIP_1) | instid1(VALU_DEP_2)
	v_div_scale_f64 v[220:221], null, v[216:217], v[216:217], v[218:219]
	v_div_scale_f64 v[235:236], vcc_lo, v[218:219], v[216:217], v[218:219]
	v_rcp_f64_e32 v[222:223], v[220:221]
	s_waitcnt_depctr 0xfff
	v_fma_f64 v[233:234], -v[220:221], v[222:223], 1.0
	s_delay_alu instid0(VALU_DEP_1) | instskip(NEXT) | instid1(VALU_DEP_1)
	v_fma_f64 v[222:223], v[222:223], v[233:234], v[222:223]
	v_fma_f64 v[233:234], -v[220:221], v[222:223], 1.0
	s_delay_alu instid0(VALU_DEP_1) | instskip(NEXT) | instid1(VALU_DEP_1)
	v_fma_f64 v[222:223], v[222:223], v[233:234], v[222:223]
	v_mul_f64 v[233:234], v[235:236], v[222:223]
	s_delay_alu instid0(VALU_DEP_1) | instskip(NEXT) | instid1(VALU_DEP_1)
	v_fma_f64 v[220:221], -v[220:221], v[233:234], v[235:236]
	v_div_fmas_f64 v[220:221], v[220:221], v[222:223], v[233:234]
	s_delay_alu instid0(VALU_DEP_1) | instskip(NEXT) | instid1(VALU_DEP_1)
	v_div_fixup_f64 v[220:221], v[220:221], v[216:217], v[218:219]
	v_fma_f64 v[216:217], v[218:219], v[220:221], v[216:217]
	s_delay_alu instid0(VALU_DEP_1) | instskip(NEXT) | instid1(VALU_DEP_1)
	v_div_scale_f64 v[218:219], null, v[216:217], v[216:217], 1.0
	v_rcp_f64_e32 v[222:223], v[218:219]
	s_waitcnt_depctr 0xfff
	v_fma_f64 v[233:234], -v[218:219], v[222:223], 1.0
	s_delay_alu instid0(VALU_DEP_1) | instskip(NEXT) | instid1(VALU_DEP_1)
	v_fma_f64 v[222:223], v[222:223], v[233:234], v[222:223]
	v_fma_f64 v[233:234], -v[218:219], v[222:223], 1.0
	s_delay_alu instid0(VALU_DEP_1) | instskip(SKIP_1) | instid1(VALU_DEP_1)
	v_fma_f64 v[222:223], v[222:223], v[233:234], v[222:223]
	v_div_scale_f64 v[233:234], vcc_lo, 1.0, v[216:217], 1.0
	v_mul_f64 v[235:236], v[233:234], v[222:223]
	s_delay_alu instid0(VALU_DEP_1) | instskip(NEXT) | instid1(VALU_DEP_1)
	v_fma_f64 v[218:219], -v[218:219], v[235:236], v[233:234]
	v_div_fmas_f64 v[218:219], v[218:219], v[222:223], v[235:236]
	s_delay_alu instid0(VALU_DEP_1) | instskip(NEXT) | instid1(VALU_DEP_1)
	v_div_fixup_f64 v[216:217], v[218:219], v[216:217], 1.0
	v_mul_f64 v[218:219], v[220:221], -v[216:217]
.LBB106_975:
	s_or_b32 exec_lo, exec_lo, s2
.LBB106_976:
	s_delay_alu instid0(SALU_CYCLE_1) | instskip(NEXT) | instid1(SALU_CYCLE_1)
	s_or_b32 exec_lo, exec_lo, s3
	s_mov_b32 s2, exec_lo
	v_cmpx_ne_u32_e64 v232, v224
	s_xor_b32 s2, exec_lo, s2
	s_cbranch_execz .LBB106_982
; %bb.977:
	s_mov_b32 s3, exec_lo
	v_cmpx_eq_u32_e32 46, v232
	s_cbranch_execz .LBB106_981
; %bb.978:
	v_cmp_ne_u32_e32 vcc_lo, 46, v224
	s_xor_b32 s6, s4, -1
	s_delay_alu instid0(SALU_CYCLE_1) | instskip(NEXT) | instid1(SALU_CYCLE_1)
	s_and_b32 s7, s6, vcc_lo
	s_and_saveexec_b32 s6, s7
	s_cbranch_execz .LBB106_980
; %bb.979:
	v_ashrrev_i32_e32 v225, 31, v224
	s_delay_alu instid0(VALU_DEP_1) | instskip(NEXT) | instid1(VALU_DEP_1)
	v_lshlrev_b64 v[220:221], 2, v[224:225]
	v_add_co_u32 v220, vcc_lo, v214, v220
	s_delay_alu instid0(VALU_DEP_2)
	v_add_co_ci_u32_e32 v221, vcc_lo, v215, v221, vcc_lo
	s_clause 0x1
	flat_load_b32 v222, v[220:221]
	flat_load_b32 v223, v[214:215] offset:184
	s_waitcnt vmcnt(1) lgkmcnt(1)
	flat_store_b32 v[214:215], v222 offset:184
	s_waitcnt vmcnt(0) lgkmcnt(1)
	flat_store_b32 v[220:221], v223
.LBB106_980:
	s_or_b32 exec_lo, exec_lo, s6
	v_mov_b32_e32 v232, v224
	v_mov_b32_e32 v231, v224
.LBB106_981:
	s_or_b32 exec_lo, exec_lo, s3
.LBB106_982:
	s_and_not1_saveexec_b32 s2, s2
	s_cbranch_execz .LBB106_984
; %bb.983:
	v_mov_b32_e32 v232, 46
	ds_store_2addr_b64 v226, v[24:25], v[26:27] offset0:94 offset1:95
	ds_store_2addr_b64 v226, v[20:21], v[22:23] offset0:96 offset1:97
	ds_store_2addr_b64 v226, v[16:17], v[18:19] offset0:98 offset1:99
	ds_store_2addr_b64 v226, v[12:13], v[14:15] offset0:100 offset1:101
	ds_store_2addr_b64 v226, v[251:252], v[253:254] offset0:102 offset1:103
	ds_store_2addr_b64 v226, v[247:248], v[249:250] offset0:104 offset1:105
	ds_store_2addr_b64 v226, v[0:1], v[2:3] offset0:106 offset1:107
.LBB106_984:
	s_or_b32 exec_lo, exec_lo, s2
	s_delay_alu instid0(SALU_CYCLE_1)
	s_mov_b32 s2, exec_lo
	s_waitcnt lgkmcnt(0)
	s_waitcnt_vscnt null, 0x0
	s_barrier
	buffer_gl0_inv
	v_cmpx_lt_i32_e32 46, v232
	s_cbranch_execz .LBB106_986
; %bb.985:
	v_mul_f64 v[220:221], v[216:217], v[30:31]
	v_mul_f64 v[30:31], v[218:219], v[30:31]
	s_delay_alu instid0(VALU_DEP_2) | instskip(NEXT) | instid1(VALU_DEP_2)
	v_fma_f64 v[220:221], v[218:219], v[28:29], v[220:221]
	v_fma_f64 v[28:29], v[216:217], v[28:29], -v[30:31]
	ds_load_2addr_b64 v[216:219], v226 offset0:94 offset1:95
	s_waitcnt lgkmcnt(0)
	v_mul_f64 v[30:31], v[218:219], v[220:221]
	s_delay_alu instid0(VALU_DEP_1) | instskip(SKIP_1) | instid1(VALU_DEP_2)
	v_fma_f64 v[30:31], v[216:217], v[28:29], -v[30:31]
	v_mul_f64 v[216:217], v[216:217], v[220:221]
	v_add_f64 v[24:25], v[24:25], -v[30:31]
	s_delay_alu instid0(VALU_DEP_2) | instskip(NEXT) | instid1(VALU_DEP_1)
	v_fma_f64 v[216:217], v[218:219], v[28:29], v[216:217]
	v_add_f64 v[26:27], v[26:27], -v[216:217]
	ds_load_2addr_b64 v[216:219], v226 offset0:96 offset1:97
	s_waitcnt lgkmcnt(0)
	v_mul_f64 v[30:31], v[218:219], v[220:221]
	s_delay_alu instid0(VALU_DEP_1) | instskip(SKIP_1) | instid1(VALU_DEP_2)
	v_fma_f64 v[30:31], v[216:217], v[28:29], -v[30:31]
	v_mul_f64 v[216:217], v[216:217], v[220:221]
	v_add_f64 v[20:21], v[20:21], -v[30:31]
	s_delay_alu instid0(VALU_DEP_2) | instskip(NEXT) | instid1(VALU_DEP_1)
	v_fma_f64 v[216:217], v[218:219], v[28:29], v[216:217]
	v_add_f64 v[22:23], v[22:23], -v[216:217]
	;; [unrolled: 10-line block ×6, first 2 shown]
	ds_load_2addr_b64 v[216:219], v226 offset0:106 offset1:107
	s_waitcnt lgkmcnt(0)
	v_mul_f64 v[30:31], v[218:219], v[220:221]
	s_delay_alu instid0(VALU_DEP_1) | instskip(SKIP_1) | instid1(VALU_DEP_2)
	v_fma_f64 v[30:31], v[216:217], v[28:29], -v[30:31]
	v_mul_f64 v[216:217], v[216:217], v[220:221]
	v_add_f64 v[0:1], v[0:1], -v[30:31]
	s_delay_alu instid0(VALU_DEP_2) | instskip(SKIP_1) | instid1(VALU_DEP_2)
	v_fma_f64 v[216:217], v[218:219], v[28:29], v[216:217]
	v_dual_mov_b32 v30, v220 :: v_dual_mov_b32 v31, v221
	v_add_f64 v[2:3], v[2:3], -v[216:217]
.LBB106_986:
	s_or_b32 exec_lo, exec_lo, s2
	v_lshl_add_u32 v216, v232, 4, v226
	s_barrier
	buffer_gl0_inv
	v_mov_b32_e32 v224, 47
	ds_store_2addr_b64 v216, v[24:25], v[26:27] offset1:1
	s_waitcnt lgkmcnt(0)
	s_barrier
	buffer_gl0_inv
	ds_load_2addr_b64 v[216:219], v226 offset0:94 offset1:95
	s_cmp_lt_i32 s5, 49
	s_cbranch_scc1 .LBB106_989
; %bb.987:
	v_add3_u32 v225, v230, 0, 0x300
	v_mov_b32_e32 v224, 47
	s_mov_b32 s6, 48
	s_set_inst_prefetch_distance 0x1
	.p2align	6
.LBB106_988:                            ; =>This Inner Loop Header: Depth=1
	ds_load_2addr_b64 v[233:236], v225 offset1:1
	s_waitcnt lgkmcnt(1)
	v_cmp_gt_f64_e32 vcc_lo, 0, v[216:217]
	v_xor_b32_e32 v220, 0x80000000, v217
	v_cmp_gt_f64_e64 s2, 0, v[218:219]
	v_xor_b32_e32 v222, 0x80000000, v219
	v_add_nc_u32_e32 v225, 16, v225
	s_waitcnt lgkmcnt(0)
	v_cmp_gt_f64_e64 s3, 0, v[233:234]
	v_mov_b32_e32 v237, v233
	v_mov_b32_e32 v239, v235
	v_cndmask_b32_e32 v221, v217, v220, vcc_lo
	v_xor_b32_e32 v220, 0x80000000, v234
	v_cndmask_b32_e64 v223, v219, v222, s2
	v_xor_b32_e32 v222, 0x80000000, v236
	s_delay_alu instid0(VALU_DEP_3) | instskip(SKIP_2) | instid1(VALU_DEP_2)
	v_cndmask_b32_e64 v238, v234, v220, s3
	v_cmp_gt_f64_e64 s3, 0, v[235:236]
	v_cndmask_b32_e32 v220, v216, v216, vcc_lo
	v_cndmask_b32_e64 v240, v236, v222, s3
	v_cndmask_b32_e64 v222, v218, v218, s2
	s_delay_alu instid0(VALU_DEP_2) | instskip(NEXT) | instid1(VALU_DEP_2)
	v_add_f64 v[237:238], v[237:238], v[239:240]
	v_add_f64 v[220:221], v[220:221], v[222:223]
	s_delay_alu instid0(VALU_DEP_1) | instskip(SKIP_4) | instid1(SALU_CYCLE_1)
	v_cmp_lt_f64_e32 vcc_lo, v[220:221], v[237:238]
	v_dual_cndmask_b32 v216, v216, v233 :: v_dual_cndmask_b32 v217, v217, v234
	v_dual_cndmask_b32 v219, v219, v236 :: v_dual_cndmask_b32 v218, v218, v235
	v_cndmask_b32_e64 v224, v224, s6, vcc_lo
	s_add_i32 s6, s6, 1
	s_cmp_lg_u32 s5, s6
	s_cbranch_scc1 .LBB106_988
.LBB106_989:
	s_set_inst_prefetch_distance 0x2
	s_waitcnt lgkmcnt(0)
	v_cmp_eq_f64_e32 vcc_lo, 0, v[216:217]
	v_cmp_eq_f64_e64 s2, 0, v[218:219]
	s_delay_alu instid0(VALU_DEP_1) | instskip(NEXT) | instid1(SALU_CYCLE_1)
	s_and_b32 s2, vcc_lo, s2
	s_and_saveexec_b32 s3, s2
	s_delay_alu instid0(SALU_CYCLE_1)
	s_xor_b32 s2, exec_lo, s3
; %bb.990:
	v_cmp_ne_u32_e32 vcc_lo, 0, v229
	v_cndmask_b32_e32 v229, 48, v229, vcc_lo
; %bb.991:
	s_and_not1_saveexec_b32 s3, s2
	s_cbranch_execz .LBB106_997
; %bb.992:
	v_cmp_gt_f64_e32 vcc_lo, 0, v[216:217]
	v_cmp_gt_f64_e64 s2, 0, v[218:219]
	v_xor_b32_e32 v220, 0x80000000, v217
	v_xor_b32_e32 v222, 0x80000000, v219
	s_delay_alu instid0(VALU_DEP_2) | instskip(NEXT) | instid1(VALU_DEP_2)
	v_cndmask_b32_e32 v221, v217, v220, vcc_lo
	v_cndmask_b32_e64 v223, v219, v222, s2
	v_cndmask_b32_e32 v220, v216, v216, vcc_lo
	v_cndmask_b32_e64 v222, v218, v218, s2
	s_mov_b32 s2, exec_lo
	s_delay_alu instid0(VALU_DEP_1)
	v_cmpx_ngt_f64_e32 v[220:221], v[222:223]
	s_xor_b32 s2, exec_lo, s2
	s_cbranch_execz .LBB106_994
; %bb.993:
	v_div_scale_f64 v[220:221], null, v[218:219], v[218:219], v[216:217]
	v_div_scale_f64 v[235:236], vcc_lo, v[216:217], v[218:219], v[216:217]
	s_delay_alu instid0(VALU_DEP_2) | instskip(SKIP_2) | instid1(VALU_DEP_1)
	v_rcp_f64_e32 v[222:223], v[220:221]
	s_waitcnt_depctr 0xfff
	v_fma_f64 v[233:234], -v[220:221], v[222:223], 1.0
	v_fma_f64 v[222:223], v[222:223], v[233:234], v[222:223]
	s_delay_alu instid0(VALU_DEP_1) | instskip(NEXT) | instid1(VALU_DEP_1)
	v_fma_f64 v[233:234], -v[220:221], v[222:223], 1.0
	v_fma_f64 v[222:223], v[222:223], v[233:234], v[222:223]
	s_delay_alu instid0(VALU_DEP_1) | instskip(NEXT) | instid1(VALU_DEP_1)
	v_mul_f64 v[233:234], v[235:236], v[222:223]
	v_fma_f64 v[220:221], -v[220:221], v[233:234], v[235:236]
	s_delay_alu instid0(VALU_DEP_1) | instskip(NEXT) | instid1(VALU_DEP_1)
	v_div_fmas_f64 v[220:221], v[220:221], v[222:223], v[233:234]
	v_div_fixup_f64 v[220:221], v[220:221], v[218:219], v[216:217]
	s_delay_alu instid0(VALU_DEP_1) | instskip(NEXT) | instid1(VALU_DEP_1)
	v_fma_f64 v[216:217], v[216:217], v[220:221], v[218:219]
	v_div_scale_f64 v[218:219], null, v[216:217], v[216:217], 1.0
	s_delay_alu instid0(VALU_DEP_1) | instskip(SKIP_2) | instid1(VALU_DEP_1)
	v_rcp_f64_e32 v[222:223], v[218:219]
	s_waitcnt_depctr 0xfff
	v_fma_f64 v[233:234], -v[218:219], v[222:223], 1.0
	v_fma_f64 v[222:223], v[222:223], v[233:234], v[222:223]
	s_delay_alu instid0(VALU_DEP_1) | instskip(NEXT) | instid1(VALU_DEP_1)
	v_fma_f64 v[233:234], -v[218:219], v[222:223], 1.0
	v_fma_f64 v[222:223], v[222:223], v[233:234], v[222:223]
	v_div_scale_f64 v[233:234], vcc_lo, 1.0, v[216:217], 1.0
	s_delay_alu instid0(VALU_DEP_1) | instskip(NEXT) | instid1(VALU_DEP_1)
	v_mul_f64 v[235:236], v[233:234], v[222:223]
	v_fma_f64 v[218:219], -v[218:219], v[235:236], v[233:234]
	s_delay_alu instid0(VALU_DEP_1) | instskip(NEXT) | instid1(VALU_DEP_1)
	v_div_fmas_f64 v[218:219], v[218:219], v[222:223], v[235:236]
	v_div_fixup_f64 v[218:219], v[218:219], v[216:217], 1.0
	s_delay_alu instid0(VALU_DEP_1)
	v_mul_f64 v[216:217], v[220:221], v[218:219]
	v_xor_b32_e32 v219, 0x80000000, v219
.LBB106_994:
	s_and_not1_saveexec_b32 s2, s2
	s_cbranch_execz .LBB106_996
; %bb.995:
	s_delay_alu instid0(VALU_DEP_1) | instskip(SKIP_1) | instid1(VALU_DEP_2)
	v_div_scale_f64 v[220:221], null, v[216:217], v[216:217], v[218:219]
	v_div_scale_f64 v[235:236], vcc_lo, v[218:219], v[216:217], v[218:219]
	v_rcp_f64_e32 v[222:223], v[220:221]
	s_waitcnt_depctr 0xfff
	v_fma_f64 v[233:234], -v[220:221], v[222:223], 1.0
	s_delay_alu instid0(VALU_DEP_1) | instskip(NEXT) | instid1(VALU_DEP_1)
	v_fma_f64 v[222:223], v[222:223], v[233:234], v[222:223]
	v_fma_f64 v[233:234], -v[220:221], v[222:223], 1.0
	s_delay_alu instid0(VALU_DEP_1) | instskip(NEXT) | instid1(VALU_DEP_1)
	v_fma_f64 v[222:223], v[222:223], v[233:234], v[222:223]
	v_mul_f64 v[233:234], v[235:236], v[222:223]
	s_delay_alu instid0(VALU_DEP_1) | instskip(NEXT) | instid1(VALU_DEP_1)
	v_fma_f64 v[220:221], -v[220:221], v[233:234], v[235:236]
	v_div_fmas_f64 v[220:221], v[220:221], v[222:223], v[233:234]
	s_delay_alu instid0(VALU_DEP_1) | instskip(NEXT) | instid1(VALU_DEP_1)
	v_div_fixup_f64 v[220:221], v[220:221], v[216:217], v[218:219]
	v_fma_f64 v[216:217], v[218:219], v[220:221], v[216:217]
	s_delay_alu instid0(VALU_DEP_1) | instskip(NEXT) | instid1(VALU_DEP_1)
	v_div_scale_f64 v[218:219], null, v[216:217], v[216:217], 1.0
	v_rcp_f64_e32 v[222:223], v[218:219]
	s_waitcnt_depctr 0xfff
	v_fma_f64 v[233:234], -v[218:219], v[222:223], 1.0
	s_delay_alu instid0(VALU_DEP_1) | instskip(NEXT) | instid1(VALU_DEP_1)
	v_fma_f64 v[222:223], v[222:223], v[233:234], v[222:223]
	v_fma_f64 v[233:234], -v[218:219], v[222:223], 1.0
	s_delay_alu instid0(VALU_DEP_1) | instskip(SKIP_1) | instid1(VALU_DEP_1)
	v_fma_f64 v[222:223], v[222:223], v[233:234], v[222:223]
	v_div_scale_f64 v[233:234], vcc_lo, 1.0, v[216:217], 1.0
	v_mul_f64 v[235:236], v[233:234], v[222:223]
	s_delay_alu instid0(VALU_DEP_1) | instskip(NEXT) | instid1(VALU_DEP_1)
	v_fma_f64 v[218:219], -v[218:219], v[235:236], v[233:234]
	v_div_fmas_f64 v[218:219], v[218:219], v[222:223], v[235:236]
	s_delay_alu instid0(VALU_DEP_1) | instskip(NEXT) | instid1(VALU_DEP_1)
	v_div_fixup_f64 v[216:217], v[218:219], v[216:217], 1.0
	v_mul_f64 v[218:219], v[220:221], -v[216:217]
.LBB106_996:
	s_or_b32 exec_lo, exec_lo, s2
.LBB106_997:
	s_delay_alu instid0(SALU_CYCLE_1) | instskip(NEXT) | instid1(SALU_CYCLE_1)
	s_or_b32 exec_lo, exec_lo, s3
	s_mov_b32 s2, exec_lo
	v_cmpx_ne_u32_e64 v232, v224
	s_xor_b32 s2, exec_lo, s2
	s_cbranch_execz .LBB106_1003
; %bb.998:
	s_mov_b32 s3, exec_lo
	v_cmpx_eq_u32_e32 47, v232
	s_cbranch_execz .LBB106_1002
; %bb.999:
	v_cmp_ne_u32_e32 vcc_lo, 47, v224
	s_xor_b32 s6, s4, -1
	s_delay_alu instid0(SALU_CYCLE_1) | instskip(NEXT) | instid1(SALU_CYCLE_1)
	s_and_b32 s7, s6, vcc_lo
	s_and_saveexec_b32 s6, s7
	s_cbranch_execz .LBB106_1001
; %bb.1000:
	v_ashrrev_i32_e32 v225, 31, v224
	s_delay_alu instid0(VALU_DEP_1) | instskip(NEXT) | instid1(VALU_DEP_1)
	v_lshlrev_b64 v[220:221], 2, v[224:225]
	v_add_co_u32 v220, vcc_lo, v214, v220
	s_delay_alu instid0(VALU_DEP_2)
	v_add_co_ci_u32_e32 v221, vcc_lo, v215, v221, vcc_lo
	s_clause 0x1
	flat_load_b32 v222, v[220:221]
	flat_load_b32 v223, v[214:215] offset:188
	s_waitcnt vmcnt(1) lgkmcnt(1)
	flat_store_b32 v[214:215], v222 offset:188
	s_waitcnt vmcnt(0) lgkmcnt(1)
	flat_store_b32 v[220:221], v223
.LBB106_1001:
	s_or_b32 exec_lo, exec_lo, s6
	v_mov_b32_e32 v232, v224
	v_mov_b32_e32 v231, v224
.LBB106_1002:
	s_or_b32 exec_lo, exec_lo, s3
.LBB106_1003:
	s_and_not1_saveexec_b32 s2, s2
	s_cbranch_execz .LBB106_1005
; %bb.1004:
	v_mov_b32_e32 v232, 47
	ds_store_2addr_b64 v226, v[20:21], v[22:23] offset0:96 offset1:97
	ds_store_2addr_b64 v226, v[16:17], v[18:19] offset0:98 offset1:99
	;; [unrolled: 1-line block ×6, first 2 shown]
.LBB106_1005:
	s_or_b32 exec_lo, exec_lo, s2
	s_delay_alu instid0(SALU_CYCLE_1)
	s_mov_b32 s2, exec_lo
	s_waitcnt lgkmcnt(0)
	s_waitcnt_vscnt null, 0x0
	s_barrier
	buffer_gl0_inv
	v_cmpx_lt_i32_e32 47, v232
	s_cbranch_execz .LBB106_1007
; %bb.1006:
	v_mul_f64 v[220:221], v[216:217], v[26:27]
	v_mul_f64 v[26:27], v[218:219], v[26:27]
	s_delay_alu instid0(VALU_DEP_2) | instskip(NEXT) | instid1(VALU_DEP_2)
	v_fma_f64 v[220:221], v[218:219], v[24:25], v[220:221]
	v_fma_f64 v[24:25], v[216:217], v[24:25], -v[26:27]
	ds_load_2addr_b64 v[216:219], v226 offset0:96 offset1:97
	s_waitcnt lgkmcnt(0)
	v_mul_f64 v[26:27], v[218:219], v[220:221]
	s_delay_alu instid0(VALU_DEP_1) | instskip(SKIP_1) | instid1(VALU_DEP_2)
	v_fma_f64 v[26:27], v[216:217], v[24:25], -v[26:27]
	v_mul_f64 v[216:217], v[216:217], v[220:221]
	v_add_f64 v[20:21], v[20:21], -v[26:27]
	s_delay_alu instid0(VALU_DEP_2) | instskip(NEXT) | instid1(VALU_DEP_1)
	v_fma_f64 v[216:217], v[218:219], v[24:25], v[216:217]
	v_add_f64 v[22:23], v[22:23], -v[216:217]
	ds_load_2addr_b64 v[216:219], v226 offset0:98 offset1:99
	s_waitcnt lgkmcnt(0)
	v_mul_f64 v[26:27], v[218:219], v[220:221]
	s_delay_alu instid0(VALU_DEP_1) | instskip(SKIP_1) | instid1(VALU_DEP_2)
	v_fma_f64 v[26:27], v[216:217], v[24:25], -v[26:27]
	v_mul_f64 v[216:217], v[216:217], v[220:221]
	v_add_f64 v[16:17], v[16:17], -v[26:27]
	s_delay_alu instid0(VALU_DEP_2) | instskip(NEXT) | instid1(VALU_DEP_1)
	v_fma_f64 v[216:217], v[218:219], v[24:25], v[216:217]
	v_add_f64 v[18:19], v[18:19], -v[216:217]
	;; [unrolled: 10-line block ×5, first 2 shown]
	ds_load_2addr_b64 v[216:219], v226 offset0:106 offset1:107
	s_waitcnt lgkmcnt(0)
	v_mul_f64 v[26:27], v[218:219], v[220:221]
	s_delay_alu instid0(VALU_DEP_1) | instskip(SKIP_1) | instid1(VALU_DEP_2)
	v_fma_f64 v[26:27], v[216:217], v[24:25], -v[26:27]
	v_mul_f64 v[216:217], v[216:217], v[220:221]
	v_add_f64 v[0:1], v[0:1], -v[26:27]
	s_delay_alu instid0(VALU_DEP_2) | instskip(SKIP_1) | instid1(VALU_DEP_2)
	v_fma_f64 v[216:217], v[218:219], v[24:25], v[216:217]
	v_dual_mov_b32 v26, v220 :: v_dual_mov_b32 v27, v221
	v_add_f64 v[2:3], v[2:3], -v[216:217]
.LBB106_1007:
	s_or_b32 exec_lo, exec_lo, s2
	v_lshl_add_u32 v216, v232, 4, v226
	s_barrier
	buffer_gl0_inv
	v_mov_b32_e32 v224, 48
	ds_store_2addr_b64 v216, v[20:21], v[22:23] offset1:1
	s_waitcnt lgkmcnt(0)
	s_barrier
	buffer_gl0_inv
	ds_load_2addr_b64 v[216:219], v226 offset0:96 offset1:97
	s_cmp_lt_i32 s5, 50
	s_cbranch_scc1 .LBB106_1010
; %bb.1008:
	v_add3_u32 v225, v230, 0, 0x310
	v_mov_b32_e32 v224, 48
	s_mov_b32 s6, 49
	s_set_inst_prefetch_distance 0x1
	.p2align	6
.LBB106_1009:                           ; =>This Inner Loop Header: Depth=1
	ds_load_2addr_b64 v[233:236], v225 offset1:1
	s_waitcnt lgkmcnt(1)
	v_cmp_gt_f64_e32 vcc_lo, 0, v[216:217]
	v_xor_b32_e32 v220, 0x80000000, v217
	v_cmp_gt_f64_e64 s2, 0, v[218:219]
	v_xor_b32_e32 v222, 0x80000000, v219
	v_add_nc_u32_e32 v225, 16, v225
	s_waitcnt lgkmcnt(0)
	v_cmp_gt_f64_e64 s3, 0, v[233:234]
	v_mov_b32_e32 v237, v233
	v_mov_b32_e32 v239, v235
	v_cndmask_b32_e32 v221, v217, v220, vcc_lo
	v_xor_b32_e32 v220, 0x80000000, v234
	v_cndmask_b32_e64 v223, v219, v222, s2
	v_xor_b32_e32 v222, 0x80000000, v236
	s_delay_alu instid0(VALU_DEP_3) | instskip(SKIP_2) | instid1(VALU_DEP_2)
	v_cndmask_b32_e64 v238, v234, v220, s3
	v_cmp_gt_f64_e64 s3, 0, v[235:236]
	v_cndmask_b32_e32 v220, v216, v216, vcc_lo
	v_cndmask_b32_e64 v240, v236, v222, s3
	v_cndmask_b32_e64 v222, v218, v218, s2
	s_delay_alu instid0(VALU_DEP_2) | instskip(NEXT) | instid1(VALU_DEP_2)
	v_add_f64 v[237:238], v[237:238], v[239:240]
	v_add_f64 v[220:221], v[220:221], v[222:223]
	s_delay_alu instid0(VALU_DEP_1) | instskip(SKIP_4) | instid1(SALU_CYCLE_1)
	v_cmp_lt_f64_e32 vcc_lo, v[220:221], v[237:238]
	v_dual_cndmask_b32 v216, v216, v233 :: v_dual_cndmask_b32 v217, v217, v234
	v_dual_cndmask_b32 v219, v219, v236 :: v_dual_cndmask_b32 v218, v218, v235
	v_cndmask_b32_e64 v224, v224, s6, vcc_lo
	s_add_i32 s6, s6, 1
	s_cmp_lg_u32 s5, s6
	s_cbranch_scc1 .LBB106_1009
.LBB106_1010:
	s_set_inst_prefetch_distance 0x2
	s_waitcnt lgkmcnt(0)
	v_cmp_eq_f64_e32 vcc_lo, 0, v[216:217]
	v_cmp_eq_f64_e64 s2, 0, v[218:219]
	s_delay_alu instid0(VALU_DEP_1) | instskip(NEXT) | instid1(SALU_CYCLE_1)
	s_and_b32 s2, vcc_lo, s2
	s_and_saveexec_b32 s3, s2
	s_delay_alu instid0(SALU_CYCLE_1)
	s_xor_b32 s2, exec_lo, s3
; %bb.1011:
	v_cmp_ne_u32_e32 vcc_lo, 0, v229
	v_cndmask_b32_e32 v229, 49, v229, vcc_lo
; %bb.1012:
	s_and_not1_saveexec_b32 s3, s2
	s_cbranch_execz .LBB106_1018
; %bb.1013:
	v_cmp_gt_f64_e32 vcc_lo, 0, v[216:217]
	v_cmp_gt_f64_e64 s2, 0, v[218:219]
	v_xor_b32_e32 v220, 0x80000000, v217
	v_xor_b32_e32 v222, 0x80000000, v219
	s_delay_alu instid0(VALU_DEP_2) | instskip(NEXT) | instid1(VALU_DEP_2)
	v_cndmask_b32_e32 v221, v217, v220, vcc_lo
	v_cndmask_b32_e64 v223, v219, v222, s2
	v_cndmask_b32_e32 v220, v216, v216, vcc_lo
	v_cndmask_b32_e64 v222, v218, v218, s2
	s_mov_b32 s2, exec_lo
	s_delay_alu instid0(VALU_DEP_1)
	v_cmpx_ngt_f64_e32 v[220:221], v[222:223]
	s_xor_b32 s2, exec_lo, s2
	s_cbranch_execz .LBB106_1015
; %bb.1014:
	v_div_scale_f64 v[220:221], null, v[218:219], v[218:219], v[216:217]
	v_div_scale_f64 v[235:236], vcc_lo, v[216:217], v[218:219], v[216:217]
	s_delay_alu instid0(VALU_DEP_2) | instskip(SKIP_2) | instid1(VALU_DEP_1)
	v_rcp_f64_e32 v[222:223], v[220:221]
	s_waitcnt_depctr 0xfff
	v_fma_f64 v[233:234], -v[220:221], v[222:223], 1.0
	v_fma_f64 v[222:223], v[222:223], v[233:234], v[222:223]
	s_delay_alu instid0(VALU_DEP_1) | instskip(NEXT) | instid1(VALU_DEP_1)
	v_fma_f64 v[233:234], -v[220:221], v[222:223], 1.0
	v_fma_f64 v[222:223], v[222:223], v[233:234], v[222:223]
	s_delay_alu instid0(VALU_DEP_1) | instskip(NEXT) | instid1(VALU_DEP_1)
	v_mul_f64 v[233:234], v[235:236], v[222:223]
	v_fma_f64 v[220:221], -v[220:221], v[233:234], v[235:236]
	s_delay_alu instid0(VALU_DEP_1) | instskip(NEXT) | instid1(VALU_DEP_1)
	v_div_fmas_f64 v[220:221], v[220:221], v[222:223], v[233:234]
	v_div_fixup_f64 v[220:221], v[220:221], v[218:219], v[216:217]
	s_delay_alu instid0(VALU_DEP_1) | instskip(NEXT) | instid1(VALU_DEP_1)
	v_fma_f64 v[216:217], v[216:217], v[220:221], v[218:219]
	v_div_scale_f64 v[218:219], null, v[216:217], v[216:217], 1.0
	s_delay_alu instid0(VALU_DEP_1) | instskip(SKIP_2) | instid1(VALU_DEP_1)
	v_rcp_f64_e32 v[222:223], v[218:219]
	s_waitcnt_depctr 0xfff
	v_fma_f64 v[233:234], -v[218:219], v[222:223], 1.0
	v_fma_f64 v[222:223], v[222:223], v[233:234], v[222:223]
	s_delay_alu instid0(VALU_DEP_1) | instskip(NEXT) | instid1(VALU_DEP_1)
	v_fma_f64 v[233:234], -v[218:219], v[222:223], 1.0
	v_fma_f64 v[222:223], v[222:223], v[233:234], v[222:223]
	v_div_scale_f64 v[233:234], vcc_lo, 1.0, v[216:217], 1.0
	s_delay_alu instid0(VALU_DEP_1) | instskip(NEXT) | instid1(VALU_DEP_1)
	v_mul_f64 v[235:236], v[233:234], v[222:223]
	v_fma_f64 v[218:219], -v[218:219], v[235:236], v[233:234]
	s_delay_alu instid0(VALU_DEP_1) | instskip(NEXT) | instid1(VALU_DEP_1)
	v_div_fmas_f64 v[218:219], v[218:219], v[222:223], v[235:236]
	v_div_fixup_f64 v[218:219], v[218:219], v[216:217], 1.0
	s_delay_alu instid0(VALU_DEP_1)
	v_mul_f64 v[216:217], v[220:221], v[218:219]
	v_xor_b32_e32 v219, 0x80000000, v219
.LBB106_1015:
	s_and_not1_saveexec_b32 s2, s2
	s_cbranch_execz .LBB106_1017
; %bb.1016:
	s_delay_alu instid0(VALU_DEP_1) | instskip(SKIP_1) | instid1(VALU_DEP_2)
	v_div_scale_f64 v[220:221], null, v[216:217], v[216:217], v[218:219]
	v_div_scale_f64 v[235:236], vcc_lo, v[218:219], v[216:217], v[218:219]
	v_rcp_f64_e32 v[222:223], v[220:221]
	s_waitcnt_depctr 0xfff
	v_fma_f64 v[233:234], -v[220:221], v[222:223], 1.0
	s_delay_alu instid0(VALU_DEP_1) | instskip(NEXT) | instid1(VALU_DEP_1)
	v_fma_f64 v[222:223], v[222:223], v[233:234], v[222:223]
	v_fma_f64 v[233:234], -v[220:221], v[222:223], 1.0
	s_delay_alu instid0(VALU_DEP_1) | instskip(NEXT) | instid1(VALU_DEP_1)
	v_fma_f64 v[222:223], v[222:223], v[233:234], v[222:223]
	v_mul_f64 v[233:234], v[235:236], v[222:223]
	s_delay_alu instid0(VALU_DEP_1) | instskip(NEXT) | instid1(VALU_DEP_1)
	v_fma_f64 v[220:221], -v[220:221], v[233:234], v[235:236]
	v_div_fmas_f64 v[220:221], v[220:221], v[222:223], v[233:234]
	s_delay_alu instid0(VALU_DEP_1) | instskip(NEXT) | instid1(VALU_DEP_1)
	v_div_fixup_f64 v[220:221], v[220:221], v[216:217], v[218:219]
	v_fma_f64 v[216:217], v[218:219], v[220:221], v[216:217]
	s_delay_alu instid0(VALU_DEP_1) | instskip(NEXT) | instid1(VALU_DEP_1)
	v_div_scale_f64 v[218:219], null, v[216:217], v[216:217], 1.0
	v_rcp_f64_e32 v[222:223], v[218:219]
	s_waitcnt_depctr 0xfff
	v_fma_f64 v[233:234], -v[218:219], v[222:223], 1.0
	s_delay_alu instid0(VALU_DEP_1) | instskip(NEXT) | instid1(VALU_DEP_1)
	v_fma_f64 v[222:223], v[222:223], v[233:234], v[222:223]
	v_fma_f64 v[233:234], -v[218:219], v[222:223], 1.0
	s_delay_alu instid0(VALU_DEP_1) | instskip(SKIP_1) | instid1(VALU_DEP_1)
	v_fma_f64 v[222:223], v[222:223], v[233:234], v[222:223]
	v_div_scale_f64 v[233:234], vcc_lo, 1.0, v[216:217], 1.0
	v_mul_f64 v[235:236], v[233:234], v[222:223]
	s_delay_alu instid0(VALU_DEP_1) | instskip(NEXT) | instid1(VALU_DEP_1)
	v_fma_f64 v[218:219], -v[218:219], v[235:236], v[233:234]
	v_div_fmas_f64 v[218:219], v[218:219], v[222:223], v[235:236]
	s_delay_alu instid0(VALU_DEP_1) | instskip(NEXT) | instid1(VALU_DEP_1)
	v_div_fixup_f64 v[216:217], v[218:219], v[216:217], 1.0
	v_mul_f64 v[218:219], v[220:221], -v[216:217]
.LBB106_1017:
	s_or_b32 exec_lo, exec_lo, s2
.LBB106_1018:
	s_delay_alu instid0(SALU_CYCLE_1) | instskip(NEXT) | instid1(SALU_CYCLE_1)
	s_or_b32 exec_lo, exec_lo, s3
	s_mov_b32 s2, exec_lo
	v_cmpx_ne_u32_e64 v232, v224
	s_xor_b32 s2, exec_lo, s2
	s_cbranch_execz .LBB106_1024
; %bb.1019:
	s_mov_b32 s3, exec_lo
	v_cmpx_eq_u32_e32 48, v232
	s_cbranch_execz .LBB106_1023
; %bb.1020:
	v_cmp_ne_u32_e32 vcc_lo, 48, v224
	s_xor_b32 s6, s4, -1
	s_delay_alu instid0(SALU_CYCLE_1) | instskip(NEXT) | instid1(SALU_CYCLE_1)
	s_and_b32 s7, s6, vcc_lo
	s_and_saveexec_b32 s6, s7
	s_cbranch_execz .LBB106_1022
; %bb.1021:
	v_ashrrev_i32_e32 v225, 31, v224
	s_delay_alu instid0(VALU_DEP_1) | instskip(NEXT) | instid1(VALU_DEP_1)
	v_lshlrev_b64 v[220:221], 2, v[224:225]
	v_add_co_u32 v220, vcc_lo, v214, v220
	s_delay_alu instid0(VALU_DEP_2)
	v_add_co_ci_u32_e32 v221, vcc_lo, v215, v221, vcc_lo
	s_clause 0x1
	flat_load_b32 v222, v[220:221]
	flat_load_b32 v223, v[214:215] offset:192
	s_waitcnt vmcnt(1) lgkmcnt(1)
	flat_store_b32 v[214:215], v222 offset:192
	s_waitcnt vmcnt(0) lgkmcnt(1)
	flat_store_b32 v[220:221], v223
.LBB106_1022:
	s_or_b32 exec_lo, exec_lo, s6
	v_mov_b32_e32 v232, v224
	v_mov_b32_e32 v231, v224
.LBB106_1023:
	s_or_b32 exec_lo, exec_lo, s3
.LBB106_1024:
	s_and_not1_saveexec_b32 s2, s2
	s_cbranch_execz .LBB106_1026
; %bb.1025:
	v_mov_b32_e32 v232, 48
	ds_store_2addr_b64 v226, v[16:17], v[18:19] offset0:98 offset1:99
	ds_store_2addr_b64 v226, v[12:13], v[14:15] offset0:100 offset1:101
	;; [unrolled: 1-line block ×5, first 2 shown]
.LBB106_1026:
	s_or_b32 exec_lo, exec_lo, s2
	s_delay_alu instid0(SALU_CYCLE_1)
	s_mov_b32 s2, exec_lo
	s_waitcnt lgkmcnt(0)
	s_waitcnt_vscnt null, 0x0
	s_barrier
	buffer_gl0_inv
	v_cmpx_lt_i32_e32 48, v232
	s_cbranch_execz .LBB106_1028
; %bb.1027:
	v_mul_f64 v[220:221], v[216:217], v[22:23]
	v_mul_f64 v[22:23], v[218:219], v[22:23]
	s_delay_alu instid0(VALU_DEP_2) | instskip(NEXT) | instid1(VALU_DEP_2)
	v_fma_f64 v[220:221], v[218:219], v[20:21], v[220:221]
	v_fma_f64 v[20:21], v[216:217], v[20:21], -v[22:23]
	ds_load_2addr_b64 v[216:219], v226 offset0:98 offset1:99
	s_waitcnt lgkmcnt(0)
	v_mul_f64 v[22:23], v[218:219], v[220:221]
	s_delay_alu instid0(VALU_DEP_1) | instskip(SKIP_1) | instid1(VALU_DEP_2)
	v_fma_f64 v[22:23], v[216:217], v[20:21], -v[22:23]
	v_mul_f64 v[216:217], v[216:217], v[220:221]
	v_add_f64 v[16:17], v[16:17], -v[22:23]
	s_delay_alu instid0(VALU_DEP_2) | instskip(NEXT) | instid1(VALU_DEP_1)
	v_fma_f64 v[216:217], v[218:219], v[20:21], v[216:217]
	v_add_f64 v[18:19], v[18:19], -v[216:217]
	ds_load_2addr_b64 v[216:219], v226 offset0:100 offset1:101
	s_waitcnt lgkmcnt(0)
	v_mul_f64 v[22:23], v[218:219], v[220:221]
	s_delay_alu instid0(VALU_DEP_1) | instskip(SKIP_1) | instid1(VALU_DEP_2)
	v_fma_f64 v[22:23], v[216:217], v[20:21], -v[22:23]
	v_mul_f64 v[216:217], v[216:217], v[220:221]
	v_add_f64 v[12:13], v[12:13], -v[22:23]
	s_delay_alu instid0(VALU_DEP_2) | instskip(NEXT) | instid1(VALU_DEP_1)
	v_fma_f64 v[216:217], v[218:219], v[20:21], v[216:217]
	v_add_f64 v[14:15], v[14:15], -v[216:217]
	;; [unrolled: 10-line block ×4, first 2 shown]
	ds_load_2addr_b64 v[216:219], v226 offset0:106 offset1:107
	s_waitcnt lgkmcnt(0)
	v_mul_f64 v[22:23], v[218:219], v[220:221]
	s_delay_alu instid0(VALU_DEP_1) | instskip(SKIP_1) | instid1(VALU_DEP_2)
	v_fma_f64 v[22:23], v[216:217], v[20:21], -v[22:23]
	v_mul_f64 v[216:217], v[216:217], v[220:221]
	v_add_f64 v[0:1], v[0:1], -v[22:23]
	s_delay_alu instid0(VALU_DEP_2) | instskip(SKIP_1) | instid1(VALU_DEP_2)
	v_fma_f64 v[216:217], v[218:219], v[20:21], v[216:217]
	v_dual_mov_b32 v22, v220 :: v_dual_mov_b32 v23, v221
	v_add_f64 v[2:3], v[2:3], -v[216:217]
.LBB106_1028:
	s_or_b32 exec_lo, exec_lo, s2
	v_lshl_add_u32 v216, v232, 4, v226
	s_barrier
	buffer_gl0_inv
	v_mov_b32_e32 v224, 49
	ds_store_2addr_b64 v216, v[16:17], v[18:19] offset1:1
	s_waitcnt lgkmcnt(0)
	s_barrier
	buffer_gl0_inv
	ds_load_2addr_b64 v[216:219], v226 offset0:98 offset1:99
	s_cmp_lt_i32 s5, 51
	s_cbranch_scc1 .LBB106_1031
; %bb.1029:
	v_add3_u32 v225, v230, 0, 0x320
	v_mov_b32_e32 v224, 49
	s_mov_b32 s6, 50
	s_set_inst_prefetch_distance 0x1
	.p2align	6
.LBB106_1030:                           ; =>This Inner Loop Header: Depth=1
	ds_load_2addr_b64 v[233:236], v225 offset1:1
	s_waitcnt lgkmcnt(1)
	v_cmp_gt_f64_e32 vcc_lo, 0, v[216:217]
	v_xor_b32_e32 v220, 0x80000000, v217
	v_cmp_gt_f64_e64 s2, 0, v[218:219]
	v_xor_b32_e32 v222, 0x80000000, v219
	v_add_nc_u32_e32 v225, 16, v225
	s_waitcnt lgkmcnt(0)
	v_cmp_gt_f64_e64 s3, 0, v[233:234]
	v_mov_b32_e32 v237, v233
	v_mov_b32_e32 v239, v235
	v_cndmask_b32_e32 v221, v217, v220, vcc_lo
	v_xor_b32_e32 v220, 0x80000000, v234
	v_cndmask_b32_e64 v223, v219, v222, s2
	v_xor_b32_e32 v222, 0x80000000, v236
	s_delay_alu instid0(VALU_DEP_3) | instskip(SKIP_2) | instid1(VALU_DEP_2)
	v_cndmask_b32_e64 v238, v234, v220, s3
	v_cmp_gt_f64_e64 s3, 0, v[235:236]
	v_cndmask_b32_e32 v220, v216, v216, vcc_lo
	v_cndmask_b32_e64 v240, v236, v222, s3
	v_cndmask_b32_e64 v222, v218, v218, s2
	s_delay_alu instid0(VALU_DEP_2) | instskip(NEXT) | instid1(VALU_DEP_2)
	v_add_f64 v[237:238], v[237:238], v[239:240]
	v_add_f64 v[220:221], v[220:221], v[222:223]
	s_delay_alu instid0(VALU_DEP_1) | instskip(SKIP_4) | instid1(SALU_CYCLE_1)
	v_cmp_lt_f64_e32 vcc_lo, v[220:221], v[237:238]
	v_dual_cndmask_b32 v216, v216, v233 :: v_dual_cndmask_b32 v217, v217, v234
	v_dual_cndmask_b32 v219, v219, v236 :: v_dual_cndmask_b32 v218, v218, v235
	v_cndmask_b32_e64 v224, v224, s6, vcc_lo
	s_add_i32 s6, s6, 1
	s_cmp_lg_u32 s5, s6
	s_cbranch_scc1 .LBB106_1030
.LBB106_1031:
	s_set_inst_prefetch_distance 0x2
	s_waitcnt lgkmcnt(0)
	v_cmp_eq_f64_e32 vcc_lo, 0, v[216:217]
	v_cmp_eq_f64_e64 s2, 0, v[218:219]
	s_delay_alu instid0(VALU_DEP_1) | instskip(NEXT) | instid1(SALU_CYCLE_1)
	s_and_b32 s2, vcc_lo, s2
	s_and_saveexec_b32 s3, s2
	s_delay_alu instid0(SALU_CYCLE_1)
	s_xor_b32 s2, exec_lo, s3
; %bb.1032:
	v_cmp_ne_u32_e32 vcc_lo, 0, v229
	v_cndmask_b32_e32 v229, 50, v229, vcc_lo
; %bb.1033:
	s_and_not1_saveexec_b32 s3, s2
	s_cbranch_execz .LBB106_1039
; %bb.1034:
	v_cmp_gt_f64_e32 vcc_lo, 0, v[216:217]
	v_cmp_gt_f64_e64 s2, 0, v[218:219]
	v_xor_b32_e32 v220, 0x80000000, v217
	v_xor_b32_e32 v222, 0x80000000, v219
	s_delay_alu instid0(VALU_DEP_2) | instskip(NEXT) | instid1(VALU_DEP_2)
	v_cndmask_b32_e32 v221, v217, v220, vcc_lo
	v_cndmask_b32_e64 v223, v219, v222, s2
	v_cndmask_b32_e32 v220, v216, v216, vcc_lo
	v_cndmask_b32_e64 v222, v218, v218, s2
	s_mov_b32 s2, exec_lo
	s_delay_alu instid0(VALU_DEP_1)
	v_cmpx_ngt_f64_e32 v[220:221], v[222:223]
	s_xor_b32 s2, exec_lo, s2
	s_cbranch_execz .LBB106_1036
; %bb.1035:
	v_div_scale_f64 v[220:221], null, v[218:219], v[218:219], v[216:217]
	v_div_scale_f64 v[235:236], vcc_lo, v[216:217], v[218:219], v[216:217]
	s_delay_alu instid0(VALU_DEP_2) | instskip(SKIP_2) | instid1(VALU_DEP_1)
	v_rcp_f64_e32 v[222:223], v[220:221]
	s_waitcnt_depctr 0xfff
	v_fma_f64 v[233:234], -v[220:221], v[222:223], 1.0
	v_fma_f64 v[222:223], v[222:223], v[233:234], v[222:223]
	s_delay_alu instid0(VALU_DEP_1) | instskip(NEXT) | instid1(VALU_DEP_1)
	v_fma_f64 v[233:234], -v[220:221], v[222:223], 1.0
	v_fma_f64 v[222:223], v[222:223], v[233:234], v[222:223]
	s_delay_alu instid0(VALU_DEP_1) | instskip(NEXT) | instid1(VALU_DEP_1)
	v_mul_f64 v[233:234], v[235:236], v[222:223]
	v_fma_f64 v[220:221], -v[220:221], v[233:234], v[235:236]
	s_delay_alu instid0(VALU_DEP_1) | instskip(NEXT) | instid1(VALU_DEP_1)
	v_div_fmas_f64 v[220:221], v[220:221], v[222:223], v[233:234]
	v_div_fixup_f64 v[220:221], v[220:221], v[218:219], v[216:217]
	s_delay_alu instid0(VALU_DEP_1) | instskip(NEXT) | instid1(VALU_DEP_1)
	v_fma_f64 v[216:217], v[216:217], v[220:221], v[218:219]
	v_div_scale_f64 v[218:219], null, v[216:217], v[216:217], 1.0
	s_delay_alu instid0(VALU_DEP_1) | instskip(SKIP_2) | instid1(VALU_DEP_1)
	v_rcp_f64_e32 v[222:223], v[218:219]
	s_waitcnt_depctr 0xfff
	v_fma_f64 v[233:234], -v[218:219], v[222:223], 1.0
	v_fma_f64 v[222:223], v[222:223], v[233:234], v[222:223]
	s_delay_alu instid0(VALU_DEP_1) | instskip(NEXT) | instid1(VALU_DEP_1)
	v_fma_f64 v[233:234], -v[218:219], v[222:223], 1.0
	v_fma_f64 v[222:223], v[222:223], v[233:234], v[222:223]
	v_div_scale_f64 v[233:234], vcc_lo, 1.0, v[216:217], 1.0
	s_delay_alu instid0(VALU_DEP_1) | instskip(NEXT) | instid1(VALU_DEP_1)
	v_mul_f64 v[235:236], v[233:234], v[222:223]
	v_fma_f64 v[218:219], -v[218:219], v[235:236], v[233:234]
	s_delay_alu instid0(VALU_DEP_1) | instskip(NEXT) | instid1(VALU_DEP_1)
	v_div_fmas_f64 v[218:219], v[218:219], v[222:223], v[235:236]
	v_div_fixup_f64 v[218:219], v[218:219], v[216:217], 1.0
	s_delay_alu instid0(VALU_DEP_1)
	v_mul_f64 v[216:217], v[220:221], v[218:219]
	v_xor_b32_e32 v219, 0x80000000, v219
.LBB106_1036:
	s_and_not1_saveexec_b32 s2, s2
	s_cbranch_execz .LBB106_1038
; %bb.1037:
	s_delay_alu instid0(VALU_DEP_1) | instskip(SKIP_1) | instid1(VALU_DEP_2)
	v_div_scale_f64 v[220:221], null, v[216:217], v[216:217], v[218:219]
	v_div_scale_f64 v[235:236], vcc_lo, v[218:219], v[216:217], v[218:219]
	v_rcp_f64_e32 v[222:223], v[220:221]
	s_waitcnt_depctr 0xfff
	v_fma_f64 v[233:234], -v[220:221], v[222:223], 1.0
	s_delay_alu instid0(VALU_DEP_1) | instskip(NEXT) | instid1(VALU_DEP_1)
	v_fma_f64 v[222:223], v[222:223], v[233:234], v[222:223]
	v_fma_f64 v[233:234], -v[220:221], v[222:223], 1.0
	s_delay_alu instid0(VALU_DEP_1) | instskip(NEXT) | instid1(VALU_DEP_1)
	v_fma_f64 v[222:223], v[222:223], v[233:234], v[222:223]
	v_mul_f64 v[233:234], v[235:236], v[222:223]
	s_delay_alu instid0(VALU_DEP_1) | instskip(NEXT) | instid1(VALU_DEP_1)
	v_fma_f64 v[220:221], -v[220:221], v[233:234], v[235:236]
	v_div_fmas_f64 v[220:221], v[220:221], v[222:223], v[233:234]
	s_delay_alu instid0(VALU_DEP_1) | instskip(NEXT) | instid1(VALU_DEP_1)
	v_div_fixup_f64 v[220:221], v[220:221], v[216:217], v[218:219]
	v_fma_f64 v[216:217], v[218:219], v[220:221], v[216:217]
	s_delay_alu instid0(VALU_DEP_1) | instskip(NEXT) | instid1(VALU_DEP_1)
	v_div_scale_f64 v[218:219], null, v[216:217], v[216:217], 1.0
	v_rcp_f64_e32 v[222:223], v[218:219]
	s_waitcnt_depctr 0xfff
	v_fma_f64 v[233:234], -v[218:219], v[222:223], 1.0
	s_delay_alu instid0(VALU_DEP_1) | instskip(NEXT) | instid1(VALU_DEP_1)
	v_fma_f64 v[222:223], v[222:223], v[233:234], v[222:223]
	v_fma_f64 v[233:234], -v[218:219], v[222:223], 1.0
	s_delay_alu instid0(VALU_DEP_1) | instskip(SKIP_1) | instid1(VALU_DEP_1)
	v_fma_f64 v[222:223], v[222:223], v[233:234], v[222:223]
	v_div_scale_f64 v[233:234], vcc_lo, 1.0, v[216:217], 1.0
	v_mul_f64 v[235:236], v[233:234], v[222:223]
	s_delay_alu instid0(VALU_DEP_1) | instskip(NEXT) | instid1(VALU_DEP_1)
	v_fma_f64 v[218:219], -v[218:219], v[235:236], v[233:234]
	v_div_fmas_f64 v[218:219], v[218:219], v[222:223], v[235:236]
	s_delay_alu instid0(VALU_DEP_1) | instskip(NEXT) | instid1(VALU_DEP_1)
	v_div_fixup_f64 v[216:217], v[218:219], v[216:217], 1.0
	v_mul_f64 v[218:219], v[220:221], -v[216:217]
.LBB106_1038:
	s_or_b32 exec_lo, exec_lo, s2
.LBB106_1039:
	s_delay_alu instid0(SALU_CYCLE_1) | instskip(NEXT) | instid1(SALU_CYCLE_1)
	s_or_b32 exec_lo, exec_lo, s3
	s_mov_b32 s2, exec_lo
	v_cmpx_ne_u32_e64 v232, v224
	s_xor_b32 s2, exec_lo, s2
	s_cbranch_execz .LBB106_1045
; %bb.1040:
	s_mov_b32 s3, exec_lo
	v_cmpx_eq_u32_e32 49, v232
	s_cbranch_execz .LBB106_1044
; %bb.1041:
	v_cmp_ne_u32_e32 vcc_lo, 49, v224
	s_xor_b32 s6, s4, -1
	s_delay_alu instid0(SALU_CYCLE_1) | instskip(NEXT) | instid1(SALU_CYCLE_1)
	s_and_b32 s7, s6, vcc_lo
	s_and_saveexec_b32 s6, s7
	s_cbranch_execz .LBB106_1043
; %bb.1042:
	v_ashrrev_i32_e32 v225, 31, v224
	s_delay_alu instid0(VALU_DEP_1) | instskip(NEXT) | instid1(VALU_DEP_1)
	v_lshlrev_b64 v[220:221], 2, v[224:225]
	v_add_co_u32 v220, vcc_lo, v214, v220
	s_delay_alu instid0(VALU_DEP_2)
	v_add_co_ci_u32_e32 v221, vcc_lo, v215, v221, vcc_lo
	s_clause 0x1
	flat_load_b32 v222, v[220:221]
	flat_load_b32 v223, v[214:215] offset:196
	s_waitcnt vmcnt(1) lgkmcnt(1)
	flat_store_b32 v[214:215], v222 offset:196
	s_waitcnt vmcnt(0) lgkmcnt(1)
	flat_store_b32 v[220:221], v223
.LBB106_1043:
	s_or_b32 exec_lo, exec_lo, s6
	v_mov_b32_e32 v232, v224
	v_mov_b32_e32 v231, v224
.LBB106_1044:
	s_or_b32 exec_lo, exec_lo, s3
.LBB106_1045:
	s_and_not1_saveexec_b32 s2, s2
	s_cbranch_execz .LBB106_1047
; %bb.1046:
	v_mov_b32_e32 v232, 49
	ds_store_2addr_b64 v226, v[12:13], v[14:15] offset0:100 offset1:101
	ds_store_2addr_b64 v226, v[251:252], v[253:254] offset0:102 offset1:103
	;; [unrolled: 1-line block ×4, first 2 shown]
.LBB106_1047:
	s_or_b32 exec_lo, exec_lo, s2
	s_delay_alu instid0(SALU_CYCLE_1)
	s_mov_b32 s2, exec_lo
	s_waitcnt lgkmcnt(0)
	s_waitcnt_vscnt null, 0x0
	s_barrier
	buffer_gl0_inv
	v_cmpx_lt_i32_e32 49, v232
	s_cbranch_execz .LBB106_1049
; %bb.1048:
	v_mul_f64 v[220:221], v[216:217], v[18:19]
	v_mul_f64 v[18:19], v[218:219], v[18:19]
	s_delay_alu instid0(VALU_DEP_2) | instskip(NEXT) | instid1(VALU_DEP_2)
	v_fma_f64 v[220:221], v[218:219], v[16:17], v[220:221]
	v_fma_f64 v[16:17], v[216:217], v[16:17], -v[18:19]
	ds_load_2addr_b64 v[216:219], v226 offset0:100 offset1:101
	s_waitcnt lgkmcnt(0)
	v_mul_f64 v[18:19], v[218:219], v[220:221]
	s_delay_alu instid0(VALU_DEP_1) | instskip(SKIP_1) | instid1(VALU_DEP_2)
	v_fma_f64 v[18:19], v[216:217], v[16:17], -v[18:19]
	v_mul_f64 v[216:217], v[216:217], v[220:221]
	v_add_f64 v[12:13], v[12:13], -v[18:19]
	s_delay_alu instid0(VALU_DEP_2) | instskip(NEXT) | instid1(VALU_DEP_1)
	v_fma_f64 v[216:217], v[218:219], v[16:17], v[216:217]
	v_add_f64 v[14:15], v[14:15], -v[216:217]
	ds_load_2addr_b64 v[216:219], v226 offset0:102 offset1:103
	s_waitcnt lgkmcnt(0)
	v_mul_f64 v[18:19], v[218:219], v[220:221]
	s_delay_alu instid0(VALU_DEP_1) | instskip(SKIP_1) | instid1(VALU_DEP_2)
	v_fma_f64 v[18:19], v[216:217], v[16:17], -v[18:19]
	v_mul_f64 v[216:217], v[216:217], v[220:221]
	v_add_f64 v[251:252], v[251:252], -v[18:19]
	s_delay_alu instid0(VALU_DEP_2) | instskip(NEXT) | instid1(VALU_DEP_1)
	v_fma_f64 v[216:217], v[218:219], v[16:17], v[216:217]
	v_add_f64 v[253:254], v[253:254], -v[216:217]
	;; [unrolled: 10-line block ×3, first 2 shown]
	ds_load_2addr_b64 v[216:219], v226 offset0:106 offset1:107
	s_waitcnt lgkmcnt(0)
	v_mul_f64 v[18:19], v[218:219], v[220:221]
	s_delay_alu instid0(VALU_DEP_1) | instskip(SKIP_1) | instid1(VALU_DEP_2)
	v_fma_f64 v[18:19], v[216:217], v[16:17], -v[18:19]
	v_mul_f64 v[216:217], v[216:217], v[220:221]
	v_add_f64 v[0:1], v[0:1], -v[18:19]
	s_delay_alu instid0(VALU_DEP_2) | instskip(SKIP_1) | instid1(VALU_DEP_2)
	v_fma_f64 v[216:217], v[218:219], v[16:17], v[216:217]
	v_dual_mov_b32 v18, v220 :: v_dual_mov_b32 v19, v221
	v_add_f64 v[2:3], v[2:3], -v[216:217]
.LBB106_1049:
	s_or_b32 exec_lo, exec_lo, s2
	v_lshl_add_u32 v216, v232, 4, v226
	s_barrier
	buffer_gl0_inv
	v_mov_b32_e32 v224, 50
	ds_store_2addr_b64 v216, v[12:13], v[14:15] offset1:1
	s_waitcnt lgkmcnt(0)
	s_barrier
	buffer_gl0_inv
	ds_load_2addr_b64 v[216:219], v226 offset0:100 offset1:101
	s_cmp_lt_i32 s5, 52
	s_cbranch_scc1 .LBB106_1052
; %bb.1050:
	v_add3_u32 v225, v230, 0, 0x330
	v_mov_b32_e32 v224, 50
	s_mov_b32 s6, 51
	s_set_inst_prefetch_distance 0x1
	.p2align	6
.LBB106_1051:                           ; =>This Inner Loop Header: Depth=1
	ds_load_2addr_b64 v[233:236], v225 offset1:1
	s_waitcnt lgkmcnt(1)
	v_cmp_gt_f64_e32 vcc_lo, 0, v[216:217]
	v_xor_b32_e32 v220, 0x80000000, v217
	v_cmp_gt_f64_e64 s2, 0, v[218:219]
	v_xor_b32_e32 v222, 0x80000000, v219
	v_add_nc_u32_e32 v225, 16, v225
	s_waitcnt lgkmcnt(0)
	v_cmp_gt_f64_e64 s3, 0, v[233:234]
	v_mov_b32_e32 v237, v233
	v_mov_b32_e32 v239, v235
	v_cndmask_b32_e32 v221, v217, v220, vcc_lo
	v_xor_b32_e32 v220, 0x80000000, v234
	v_cndmask_b32_e64 v223, v219, v222, s2
	v_xor_b32_e32 v222, 0x80000000, v236
	s_delay_alu instid0(VALU_DEP_3) | instskip(SKIP_2) | instid1(VALU_DEP_2)
	v_cndmask_b32_e64 v238, v234, v220, s3
	v_cmp_gt_f64_e64 s3, 0, v[235:236]
	v_cndmask_b32_e32 v220, v216, v216, vcc_lo
	v_cndmask_b32_e64 v240, v236, v222, s3
	v_cndmask_b32_e64 v222, v218, v218, s2
	s_delay_alu instid0(VALU_DEP_2) | instskip(NEXT) | instid1(VALU_DEP_2)
	v_add_f64 v[237:238], v[237:238], v[239:240]
	v_add_f64 v[220:221], v[220:221], v[222:223]
	s_delay_alu instid0(VALU_DEP_1) | instskip(SKIP_4) | instid1(SALU_CYCLE_1)
	v_cmp_lt_f64_e32 vcc_lo, v[220:221], v[237:238]
	v_dual_cndmask_b32 v216, v216, v233 :: v_dual_cndmask_b32 v217, v217, v234
	v_dual_cndmask_b32 v219, v219, v236 :: v_dual_cndmask_b32 v218, v218, v235
	v_cndmask_b32_e64 v224, v224, s6, vcc_lo
	s_add_i32 s6, s6, 1
	s_cmp_lg_u32 s5, s6
	s_cbranch_scc1 .LBB106_1051
.LBB106_1052:
	s_set_inst_prefetch_distance 0x2
	s_waitcnt lgkmcnt(0)
	v_cmp_eq_f64_e32 vcc_lo, 0, v[216:217]
	v_cmp_eq_f64_e64 s2, 0, v[218:219]
	s_delay_alu instid0(VALU_DEP_1) | instskip(NEXT) | instid1(SALU_CYCLE_1)
	s_and_b32 s2, vcc_lo, s2
	s_and_saveexec_b32 s3, s2
	s_delay_alu instid0(SALU_CYCLE_1)
	s_xor_b32 s2, exec_lo, s3
; %bb.1053:
	v_cmp_ne_u32_e32 vcc_lo, 0, v229
	v_cndmask_b32_e32 v229, 51, v229, vcc_lo
; %bb.1054:
	s_and_not1_saveexec_b32 s3, s2
	s_cbranch_execz .LBB106_1060
; %bb.1055:
	v_cmp_gt_f64_e32 vcc_lo, 0, v[216:217]
	v_cmp_gt_f64_e64 s2, 0, v[218:219]
	v_xor_b32_e32 v220, 0x80000000, v217
	v_xor_b32_e32 v222, 0x80000000, v219
	s_delay_alu instid0(VALU_DEP_2) | instskip(NEXT) | instid1(VALU_DEP_2)
	v_cndmask_b32_e32 v221, v217, v220, vcc_lo
	v_cndmask_b32_e64 v223, v219, v222, s2
	v_cndmask_b32_e32 v220, v216, v216, vcc_lo
	v_cndmask_b32_e64 v222, v218, v218, s2
	s_mov_b32 s2, exec_lo
	s_delay_alu instid0(VALU_DEP_1)
	v_cmpx_ngt_f64_e32 v[220:221], v[222:223]
	s_xor_b32 s2, exec_lo, s2
	s_cbranch_execz .LBB106_1057
; %bb.1056:
	v_div_scale_f64 v[220:221], null, v[218:219], v[218:219], v[216:217]
	v_div_scale_f64 v[235:236], vcc_lo, v[216:217], v[218:219], v[216:217]
	s_delay_alu instid0(VALU_DEP_2) | instskip(SKIP_2) | instid1(VALU_DEP_1)
	v_rcp_f64_e32 v[222:223], v[220:221]
	s_waitcnt_depctr 0xfff
	v_fma_f64 v[233:234], -v[220:221], v[222:223], 1.0
	v_fma_f64 v[222:223], v[222:223], v[233:234], v[222:223]
	s_delay_alu instid0(VALU_DEP_1) | instskip(NEXT) | instid1(VALU_DEP_1)
	v_fma_f64 v[233:234], -v[220:221], v[222:223], 1.0
	v_fma_f64 v[222:223], v[222:223], v[233:234], v[222:223]
	s_delay_alu instid0(VALU_DEP_1) | instskip(NEXT) | instid1(VALU_DEP_1)
	v_mul_f64 v[233:234], v[235:236], v[222:223]
	v_fma_f64 v[220:221], -v[220:221], v[233:234], v[235:236]
	s_delay_alu instid0(VALU_DEP_1) | instskip(NEXT) | instid1(VALU_DEP_1)
	v_div_fmas_f64 v[220:221], v[220:221], v[222:223], v[233:234]
	v_div_fixup_f64 v[220:221], v[220:221], v[218:219], v[216:217]
	s_delay_alu instid0(VALU_DEP_1) | instskip(NEXT) | instid1(VALU_DEP_1)
	v_fma_f64 v[216:217], v[216:217], v[220:221], v[218:219]
	v_div_scale_f64 v[218:219], null, v[216:217], v[216:217], 1.0
	s_delay_alu instid0(VALU_DEP_1) | instskip(SKIP_2) | instid1(VALU_DEP_1)
	v_rcp_f64_e32 v[222:223], v[218:219]
	s_waitcnt_depctr 0xfff
	v_fma_f64 v[233:234], -v[218:219], v[222:223], 1.0
	v_fma_f64 v[222:223], v[222:223], v[233:234], v[222:223]
	s_delay_alu instid0(VALU_DEP_1) | instskip(NEXT) | instid1(VALU_DEP_1)
	v_fma_f64 v[233:234], -v[218:219], v[222:223], 1.0
	v_fma_f64 v[222:223], v[222:223], v[233:234], v[222:223]
	v_div_scale_f64 v[233:234], vcc_lo, 1.0, v[216:217], 1.0
	s_delay_alu instid0(VALU_DEP_1) | instskip(NEXT) | instid1(VALU_DEP_1)
	v_mul_f64 v[235:236], v[233:234], v[222:223]
	v_fma_f64 v[218:219], -v[218:219], v[235:236], v[233:234]
	s_delay_alu instid0(VALU_DEP_1) | instskip(NEXT) | instid1(VALU_DEP_1)
	v_div_fmas_f64 v[218:219], v[218:219], v[222:223], v[235:236]
	v_div_fixup_f64 v[218:219], v[218:219], v[216:217], 1.0
	s_delay_alu instid0(VALU_DEP_1)
	v_mul_f64 v[216:217], v[220:221], v[218:219]
	v_xor_b32_e32 v219, 0x80000000, v219
.LBB106_1057:
	s_and_not1_saveexec_b32 s2, s2
	s_cbranch_execz .LBB106_1059
; %bb.1058:
	s_delay_alu instid0(VALU_DEP_1) | instskip(SKIP_1) | instid1(VALU_DEP_2)
	v_div_scale_f64 v[220:221], null, v[216:217], v[216:217], v[218:219]
	v_div_scale_f64 v[235:236], vcc_lo, v[218:219], v[216:217], v[218:219]
	v_rcp_f64_e32 v[222:223], v[220:221]
	s_waitcnt_depctr 0xfff
	v_fma_f64 v[233:234], -v[220:221], v[222:223], 1.0
	s_delay_alu instid0(VALU_DEP_1) | instskip(NEXT) | instid1(VALU_DEP_1)
	v_fma_f64 v[222:223], v[222:223], v[233:234], v[222:223]
	v_fma_f64 v[233:234], -v[220:221], v[222:223], 1.0
	s_delay_alu instid0(VALU_DEP_1) | instskip(NEXT) | instid1(VALU_DEP_1)
	v_fma_f64 v[222:223], v[222:223], v[233:234], v[222:223]
	v_mul_f64 v[233:234], v[235:236], v[222:223]
	s_delay_alu instid0(VALU_DEP_1) | instskip(NEXT) | instid1(VALU_DEP_1)
	v_fma_f64 v[220:221], -v[220:221], v[233:234], v[235:236]
	v_div_fmas_f64 v[220:221], v[220:221], v[222:223], v[233:234]
	s_delay_alu instid0(VALU_DEP_1) | instskip(NEXT) | instid1(VALU_DEP_1)
	v_div_fixup_f64 v[220:221], v[220:221], v[216:217], v[218:219]
	v_fma_f64 v[216:217], v[218:219], v[220:221], v[216:217]
	s_delay_alu instid0(VALU_DEP_1) | instskip(NEXT) | instid1(VALU_DEP_1)
	v_div_scale_f64 v[218:219], null, v[216:217], v[216:217], 1.0
	v_rcp_f64_e32 v[222:223], v[218:219]
	s_waitcnt_depctr 0xfff
	v_fma_f64 v[233:234], -v[218:219], v[222:223], 1.0
	s_delay_alu instid0(VALU_DEP_1) | instskip(NEXT) | instid1(VALU_DEP_1)
	v_fma_f64 v[222:223], v[222:223], v[233:234], v[222:223]
	v_fma_f64 v[233:234], -v[218:219], v[222:223], 1.0
	s_delay_alu instid0(VALU_DEP_1) | instskip(SKIP_1) | instid1(VALU_DEP_1)
	v_fma_f64 v[222:223], v[222:223], v[233:234], v[222:223]
	v_div_scale_f64 v[233:234], vcc_lo, 1.0, v[216:217], 1.0
	v_mul_f64 v[235:236], v[233:234], v[222:223]
	s_delay_alu instid0(VALU_DEP_1) | instskip(NEXT) | instid1(VALU_DEP_1)
	v_fma_f64 v[218:219], -v[218:219], v[235:236], v[233:234]
	v_div_fmas_f64 v[218:219], v[218:219], v[222:223], v[235:236]
	s_delay_alu instid0(VALU_DEP_1) | instskip(NEXT) | instid1(VALU_DEP_1)
	v_div_fixup_f64 v[216:217], v[218:219], v[216:217], 1.0
	v_mul_f64 v[218:219], v[220:221], -v[216:217]
.LBB106_1059:
	s_or_b32 exec_lo, exec_lo, s2
.LBB106_1060:
	s_delay_alu instid0(SALU_CYCLE_1) | instskip(NEXT) | instid1(SALU_CYCLE_1)
	s_or_b32 exec_lo, exec_lo, s3
	s_mov_b32 s2, exec_lo
	v_cmpx_ne_u32_e64 v232, v224
	s_xor_b32 s2, exec_lo, s2
	s_cbranch_execz .LBB106_1066
; %bb.1061:
	s_mov_b32 s3, exec_lo
	v_cmpx_eq_u32_e32 50, v232
	s_cbranch_execz .LBB106_1065
; %bb.1062:
	v_cmp_ne_u32_e32 vcc_lo, 50, v224
	s_xor_b32 s6, s4, -1
	s_delay_alu instid0(SALU_CYCLE_1) | instskip(NEXT) | instid1(SALU_CYCLE_1)
	s_and_b32 s7, s6, vcc_lo
	s_and_saveexec_b32 s6, s7
	s_cbranch_execz .LBB106_1064
; %bb.1063:
	v_ashrrev_i32_e32 v225, 31, v224
	s_delay_alu instid0(VALU_DEP_1) | instskip(NEXT) | instid1(VALU_DEP_1)
	v_lshlrev_b64 v[220:221], 2, v[224:225]
	v_add_co_u32 v220, vcc_lo, v214, v220
	s_delay_alu instid0(VALU_DEP_2)
	v_add_co_ci_u32_e32 v221, vcc_lo, v215, v221, vcc_lo
	s_clause 0x1
	flat_load_b32 v222, v[220:221]
	flat_load_b32 v223, v[214:215] offset:200
	s_waitcnt vmcnt(1) lgkmcnt(1)
	flat_store_b32 v[214:215], v222 offset:200
	s_waitcnt vmcnt(0) lgkmcnt(1)
	flat_store_b32 v[220:221], v223
.LBB106_1064:
	s_or_b32 exec_lo, exec_lo, s6
	v_mov_b32_e32 v232, v224
	v_mov_b32_e32 v231, v224
.LBB106_1065:
	s_or_b32 exec_lo, exec_lo, s3
.LBB106_1066:
	s_and_not1_saveexec_b32 s2, s2
	s_cbranch_execz .LBB106_1068
; %bb.1067:
	v_mov_b32_e32 v232, 50
	ds_store_2addr_b64 v226, v[251:252], v[253:254] offset0:102 offset1:103
	ds_store_2addr_b64 v226, v[247:248], v[249:250] offset0:104 offset1:105
	;; [unrolled: 1-line block ×3, first 2 shown]
.LBB106_1068:
	s_or_b32 exec_lo, exec_lo, s2
	s_delay_alu instid0(SALU_CYCLE_1)
	s_mov_b32 s2, exec_lo
	s_waitcnt lgkmcnt(0)
	s_waitcnt_vscnt null, 0x0
	s_barrier
	buffer_gl0_inv
	v_cmpx_lt_i32_e32 50, v232
	s_cbranch_execz .LBB106_1070
; %bb.1069:
	v_mul_f64 v[220:221], v[216:217], v[14:15]
	v_mul_f64 v[14:15], v[218:219], v[14:15]
	ds_load_2addr_b64 v[233:236], v226 offset0:102 offset1:103
	ds_load_2addr_b64 v[237:240], v226 offset0:104 offset1:105
	;; [unrolled: 1-line block ×3, first 2 shown]
	v_fma_f64 v[218:219], v[218:219], v[12:13], v[220:221]
	v_fma_f64 v[12:13], v[216:217], v[12:13], -v[14:15]
	s_waitcnt lgkmcnt(2)
	s_delay_alu instid0(VALU_DEP_2)
	v_mul_f64 v[14:15], v[235:236], v[218:219]
	v_mul_f64 v[216:217], v[233:234], v[218:219]
	s_waitcnt lgkmcnt(1)
	v_mul_f64 v[220:221], v[239:240], v[218:219]
	v_mul_f64 v[222:223], v[237:238], v[218:219]
	s_waitcnt lgkmcnt(0)
	v_mul_f64 v[224:225], v[243:244], v[218:219]
	v_mul_f64 v[245:246], v[241:242], v[218:219]
	v_fma_f64 v[14:15], v[233:234], v[12:13], -v[14:15]
	v_fma_f64 v[216:217], v[235:236], v[12:13], v[216:217]
	v_fma_f64 v[220:221], v[237:238], v[12:13], -v[220:221]
	v_fma_f64 v[222:223], v[239:240], v[12:13], v[222:223]
	;; [unrolled: 2-line block ×3, first 2 shown]
	v_add_f64 v[251:252], v[251:252], -v[14:15]
	v_add_f64 v[253:254], v[253:254], -v[216:217]
	v_add_f64 v[247:248], v[247:248], -v[220:221]
	v_add_f64 v[249:250], v[249:250], -v[222:223]
	v_add_f64 v[0:1], v[0:1], -v[224:225]
	v_add_f64 v[2:3], v[2:3], -v[233:234]
	v_dual_mov_b32 v14, v218 :: v_dual_mov_b32 v15, v219
.LBB106_1070:
	s_or_b32 exec_lo, exec_lo, s2
	v_lshl_add_u32 v216, v232, 4, v226
	s_barrier
	buffer_gl0_inv
	v_mov_b32_e32 v224, 51
	ds_store_2addr_b64 v216, v[251:252], v[253:254] offset1:1
	s_waitcnt lgkmcnt(0)
	s_barrier
	buffer_gl0_inv
	ds_load_2addr_b64 v[216:219], v226 offset0:102 offset1:103
	s_cmp_lt_i32 s5, 53
	s_cbranch_scc1 .LBB106_1073
; %bb.1071:
	v_add3_u32 v225, v230, 0, 0x340
	v_mov_b32_e32 v224, 51
	s_mov_b32 s6, 52
	s_set_inst_prefetch_distance 0x1
	.p2align	6
.LBB106_1072:                           ; =>This Inner Loop Header: Depth=1
	ds_load_2addr_b64 v[233:236], v225 offset1:1
	s_waitcnt lgkmcnt(1)
	v_cmp_gt_f64_e32 vcc_lo, 0, v[216:217]
	v_xor_b32_e32 v220, 0x80000000, v217
	v_cmp_gt_f64_e64 s2, 0, v[218:219]
	v_xor_b32_e32 v222, 0x80000000, v219
	v_add_nc_u32_e32 v225, 16, v225
	s_waitcnt lgkmcnt(0)
	v_cmp_gt_f64_e64 s3, 0, v[233:234]
	v_mov_b32_e32 v237, v233
	v_mov_b32_e32 v239, v235
	v_cndmask_b32_e32 v221, v217, v220, vcc_lo
	v_xor_b32_e32 v220, 0x80000000, v234
	v_cndmask_b32_e64 v223, v219, v222, s2
	v_xor_b32_e32 v222, 0x80000000, v236
	s_delay_alu instid0(VALU_DEP_3) | instskip(SKIP_2) | instid1(VALU_DEP_2)
	v_cndmask_b32_e64 v238, v234, v220, s3
	v_cmp_gt_f64_e64 s3, 0, v[235:236]
	v_cndmask_b32_e32 v220, v216, v216, vcc_lo
	v_cndmask_b32_e64 v240, v236, v222, s3
	v_cndmask_b32_e64 v222, v218, v218, s2
	s_delay_alu instid0(VALU_DEP_2) | instskip(NEXT) | instid1(VALU_DEP_2)
	v_add_f64 v[237:238], v[237:238], v[239:240]
	v_add_f64 v[220:221], v[220:221], v[222:223]
	s_delay_alu instid0(VALU_DEP_1) | instskip(SKIP_4) | instid1(SALU_CYCLE_1)
	v_cmp_lt_f64_e32 vcc_lo, v[220:221], v[237:238]
	v_dual_cndmask_b32 v216, v216, v233 :: v_dual_cndmask_b32 v217, v217, v234
	v_dual_cndmask_b32 v219, v219, v236 :: v_dual_cndmask_b32 v218, v218, v235
	v_cndmask_b32_e64 v224, v224, s6, vcc_lo
	s_add_i32 s6, s6, 1
	s_cmp_lg_u32 s5, s6
	s_cbranch_scc1 .LBB106_1072
.LBB106_1073:
	s_set_inst_prefetch_distance 0x2
	s_waitcnt lgkmcnt(0)
	v_cmp_eq_f64_e32 vcc_lo, 0, v[216:217]
	v_cmp_eq_f64_e64 s2, 0, v[218:219]
	s_delay_alu instid0(VALU_DEP_1) | instskip(NEXT) | instid1(SALU_CYCLE_1)
	s_and_b32 s2, vcc_lo, s2
	s_and_saveexec_b32 s3, s2
	s_delay_alu instid0(SALU_CYCLE_1)
	s_xor_b32 s2, exec_lo, s3
; %bb.1074:
	v_cmp_ne_u32_e32 vcc_lo, 0, v229
	v_cndmask_b32_e32 v229, 52, v229, vcc_lo
; %bb.1075:
	s_and_not1_saveexec_b32 s3, s2
	s_cbranch_execz .LBB106_1081
; %bb.1076:
	v_cmp_gt_f64_e32 vcc_lo, 0, v[216:217]
	v_cmp_gt_f64_e64 s2, 0, v[218:219]
	v_xor_b32_e32 v220, 0x80000000, v217
	v_xor_b32_e32 v222, 0x80000000, v219
	s_delay_alu instid0(VALU_DEP_2) | instskip(NEXT) | instid1(VALU_DEP_2)
	v_cndmask_b32_e32 v221, v217, v220, vcc_lo
	v_cndmask_b32_e64 v223, v219, v222, s2
	v_cndmask_b32_e32 v220, v216, v216, vcc_lo
	v_cndmask_b32_e64 v222, v218, v218, s2
	s_mov_b32 s2, exec_lo
	s_delay_alu instid0(VALU_DEP_1)
	v_cmpx_ngt_f64_e32 v[220:221], v[222:223]
	s_xor_b32 s2, exec_lo, s2
	s_cbranch_execz .LBB106_1078
; %bb.1077:
	v_div_scale_f64 v[220:221], null, v[218:219], v[218:219], v[216:217]
	v_div_scale_f64 v[235:236], vcc_lo, v[216:217], v[218:219], v[216:217]
	s_delay_alu instid0(VALU_DEP_2) | instskip(SKIP_2) | instid1(VALU_DEP_1)
	v_rcp_f64_e32 v[222:223], v[220:221]
	s_waitcnt_depctr 0xfff
	v_fma_f64 v[233:234], -v[220:221], v[222:223], 1.0
	v_fma_f64 v[222:223], v[222:223], v[233:234], v[222:223]
	s_delay_alu instid0(VALU_DEP_1) | instskip(NEXT) | instid1(VALU_DEP_1)
	v_fma_f64 v[233:234], -v[220:221], v[222:223], 1.0
	v_fma_f64 v[222:223], v[222:223], v[233:234], v[222:223]
	s_delay_alu instid0(VALU_DEP_1) | instskip(NEXT) | instid1(VALU_DEP_1)
	v_mul_f64 v[233:234], v[235:236], v[222:223]
	v_fma_f64 v[220:221], -v[220:221], v[233:234], v[235:236]
	s_delay_alu instid0(VALU_DEP_1) | instskip(NEXT) | instid1(VALU_DEP_1)
	v_div_fmas_f64 v[220:221], v[220:221], v[222:223], v[233:234]
	v_div_fixup_f64 v[220:221], v[220:221], v[218:219], v[216:217]
	s_delay_alu instid0(VALU_DEP_1) | instskip(NEXT) | instid1(VALU_DEP_1)
	v_fma_f64 v[216:217], v[216:217], v[220:221], v[218:219]
	v_div_scale_f64 v[218:219], null, v[216:217], v[216:217], 1.0
	s_delay_alu instid0(VALU_DEP_1) | instskip(SKIP_2) | instid1(VALU_DEP_1)
	v_rcp_f64_e32 v[222:223], v[218:219]
	s_waitcnt_depctr 0xfff
	v_fma_f64 v[233:234], -v[218:219], v[222:223], 1.0
	v_fma_f64 v[222:223], v[222:223], v[233:234], v[222:223]
	s_delay_alu instid0(VALU_DEP_1) | instskip(NEXT) | instid1(VALU_DEP_1)
	v_fma_f64 v[233:234], -v[218:219], v[222:223], 1.0
	v_fma_f64 v[222:223], v[222:223], v[233:234], v[222:223]
	v_div_scale_f64 v[233:234], vcc_lo, 1.0, v[216:217], 1.0
	s_delay_alu instid0(VALU_DEP_1) | instskip(NEXT) | instid1(VALU_DEP_1)
	v_mul_f64 v[235:236], v[233:234], v[222:223]
	v_fma_f64 v[218:219], -v[218:219], v[235:236], v[233:234]
	s_delay_alu instid0(VALU_DEP_1) | instskip(NEXT) | instid1(VALU_DEP_1)
	v_div_fmas_f64 v[218:219], v[218:219], v[222:223], v[235:236]
	v_div_fixup_f64 v[218:219], v[218:219], v[216:217], 1.0
	s_delay_alu instid0(VALU_DEP_1)
	v_mul_f64 v[216:217], v[220:221], v[218:219]
	v_xor_b32_e32 v219, 0x80000000, v219
.LBB106_1078:
	s_and_not1_saveexec_b32 s2, s2
	s_cbranch_execz .LBB106_1080
; %bb.1079:
	s_delay_alu instid0(VALU_DEP_1) | instskip(SKIP_1) | instid1(VALU_DEP_2)
	v_div_scale_f64 v[220:221], null, v[216:217], v[216:217], v[218:219]
	v_div_scale_f64 v[235:236], vcc_lo, v[218:219], v[216:217], v[218:219]
	v_rcp_f64_e32 v[222:223], v[220:221]
	s_waitcnt_depctr 0xfff
	v_fma_f64 v[233:234], -v[220:221], v[222:223], 1.0
	s_delay_alu instid0(VALU_DEP_1) | instskip(NEXT) | instid1(VALU_DEP_1)
	v_fma_f64 v[222:223], v[222:223], v[233:234], v[222:223]
	v_fma_f64 v[233:234], -v[220:221], v[222:223], 1.0
	s_delay_alu instid0(VALU_DEP_1) | instskip(NEXT) | instid1(VALU_DEP_1)
	v_fma_f64 v[222:223], v[222:223], v[233:234], v[222:223]
	v_mul_f64 v[233:234], v[235:236], v[222:223]
	s_delay_alu instid0(VALU_DEP_1) | instskip(NEXT) | instid1(VALU_DEP_1)
	v_fma_f64 v[220:221], -v[220:221], v[233:234], v[235:236]
	v_div_fmas_f64 v[220:221], v[220:221], v[222:223], v[233:234]
	s_delay_alu instid0(VALU_DEP_1) | instskip(NEXT) | instid1(VALU_DEP_1)
	v_div_fixup_f64 v[220:221], v[220:221], v[216:217], v[218:219]
	v_fma_f64 v[216:217], v[218:219], v[220:221], v[216:217]
	s_delay_alu instid0(VALU_DEP_1) | instskip(NEXT) | instid1(VALU_DEP_1)
	v_div_scale_f64 v[218:219], null, v[216:217], v[216:217], 1.0
	v_rcp_f64_e32 v[222:223], v[218:219]
	s_waitcnt_depctr 0xfff
	v_fma_f64 v[233:234], -v[218:219], v[222:223], 1.0
	s_delay_alu instid0(VALU_DEP_1) | instskip(NEXT) | instid1(VALU_DEP_1)
	v_fma_f64 v[222:223], v[222:223], v[233:234], v[222:223]
	v_fma_f64 v[233:234], -v[218:219], v[222:223], 1.0
	s_delay_alu instid0(VALU_DEP_1) | instskip(SKIP_1) | instid1(VALU_DEP_1)
	v_fma_f64 v[222:223], v[222:223], v[233:234], v[222:223]
	v_div_scale_f64 v[233:234], vcc_lo, 1.0, v[216:217], 1.0
	v_mul_f64 v[235:236], v[233:234], v[222:223]
	s_delay_alu instid0(VALU_DEP_1) | instskip(NEXT) | instid1(VALU_DEP_1)
	v_fma_f64 v[218:219], -v[218:219], v[235:236], v[233:234]
	v_div_fmas_f64 v[218:219], v[218:219], v[222:223], v[235:236]
	s_delay_alu instid0(VALU_DEP_1) | instskip(NEXT) | instid1(VALU_DEP_1)
	v_div_fixup_f64 v[216:217], v[218:219], v[216:217], 1.0
	v_mul_f64 v[218:219], v[220:221], -v[216:217]
.LBB106_1080:
	s_or_b32 exec_lo, exec_lo, s2
.LBB106_1081:
	s_delay_alu instid0(SALU_CYCLE_1) | instskip(NEXT) | instid1(SALU_CYCLE_1)
	s_or_b32 exec_lo, exec_lo, s3
	s_mov_b32 s2, exec_lo
	v_cmpx_ne_u32_e64 v232, v224
	s_xor_b32 s2, exec_lo, s2
	s_cbranch_execz .LBB106_1087
; %bb.1082:
	s_mov_b32 s3, exec_lo
	v_cmpx_eq_u32_e32 51, v232
	s_cbranch_execz .LBB106_1086
; %bb.1083:
	v_cmp_ne_u32_e32 vcc_lo, 51, v224
	s_xor_b32 s6, s4, -1
	s_delay_alu instid0(SALU_CYCLE_1) | instskip(NEXT) | instid1(SALU_CYCLE_1)
	s_and_b32 s7, s6, vcc_lo
	s_and_saveexec_b32 s6, s7
	s_cbranch_execz .LBB106_1085
; %bb.1084:
	v_ashrrev_i32_e32 v225, 31, v224
	s_delay_alu instid0(VALU_DEP_1) | instskip(NEXT) | instid1(VALU_DEP_1)
	v_lshlrev_b64 v[220:221], 2, v[224:225]
	v_add_co_u32 v220, vcc_lo, v214, v220
	s_delay_alu instid0(VALU_DEP_2)
	v_add_co_ci_u32_e32 v221, vcc_lo, v215, v221, vcc_lo
	s_clause 0x1
	flat_load_b32 v222, v[220:221]
	flat_load_b32 v223, v[214:215] offset:204
	s_waitcnt vmcnt(1) lgkmcnt(1)
	flat_store_b32 v[214:215], v222 offset:204
	s_waitcnt vmcnt(0) lgkmcnt(1)
	flat_store_b32 v[220:221], v223
.LBB106_1085:
	s_or_b32 exec_lo, exec_lo, s6
	v_mov_b32_e32 v232, v224
	v_mov_b32_e32 v231, v224
.LBB106_1086:
	s_or_b32 exec_lo, exec_lo, s3
.LBB106_1087:
	s_and_not1_saveexec_b32 s2, s2
	s_cbranch_execz .LBB106_1089
; %bb.1088:
	v_mov_b32_e32 v232, 51
	ds_store_2addr_b64 v226, v[247:248], v[249:250] offset0:104 offset1:105
	ds_store_2addr_b64 v226, v[0:1], v[2:3] offset0:106 offset1:107
.LBB106_1089:
	s_or_b32 exec_lo, exec_lo, s2
	s_delay_alu instid0(SALU_CYCLE_1)
	s_mov_b32 s2, exec_lo
	s_waitcnt lgkmcnt(0)
	s_waitcnt_vscnt null, 0x0
	s_barrier
	buffer_gl0_inv
	v_cmpx_lt_i32_e32 51, v232
	s_cbranch_execz .LBB106_1091
; %bb.1090:
	v_mul_f64 v[220:221], v[216:217], v[253:254]
	v_mul_f64 v[10:11], v[218:219], v[253:254]
	ds_load_2addr_b64 v[233:236], v226 offset0:104 offset1:105
	ds_load_2addr_b64 v[237:240], v226 offset0:106 offset1:107
	v_fma_f64 v[218:219], v[218:219], v[251:252], v[220:221]
	v_fma_f64 v[251:252], v[216:217], v[251:252], -v[10:11]
	s_waitcnt lgkmcnt(1)
	s_delay_alu instid0(VALU_DEP_2)
	v_mul_f64 v[10:11], v[235:236], v[218:219]
	v_mul_f64 v[216:217], v[233:234], v[218:219]
	s_waitcnt lgkmcnt(0)
	v_mul_f64 v[220:221], v[239:240], v[218:219]
	v_mul_f64 v[222:223], v[237:238], v[218:219]
	v_dual_mov_b32 v254, v219 :: v_dual_mov_b32 v253, v218
	v_fma_f64 v[10:11], v[233:234], v[251:252], -v[10:11]
	v_fma_f64 v[216:217], v[235:236], v[251:252], v[216:217]
	v_fma_f64 v[220:221], v[237:238], v[251:252], -v[220:221]
	v_fma_f64 v[222:223], v[239:240], v[251:252], v[222:223]
	s_delay_alu instid0(VALU_DEP_4) | instskip(NEXT) | instid1(VALU_DEP_4)
	v_add_f64 v[247:248], v[247:248], -v[10:11]
	v_add_f64 v[249:250], v[249:250], -v[216:217]
	s_delay_alu instid0(VALU_DEP_4) | instskip(NEXT) | instid1(VALU_DEP_4)
	v_add_f64 v[0:1], v[0:1], -v[220:221]
	v_add_f64 v[2:3], v[2:3], -v[222:223]
.LBB106_1091:
	s_or_b32 exec_lo, exec_lo, s2
	v_lshl_add_u32 v216, v232, 4, v226
	s_barrier
	buffer_gl0_inv
	v_mov_b32_e32 v224, 52
	ds_store_2addr_b64 v216, v[247:248], v[249:250] offset1:1
	s_waitcnt lgkmcnt(0)
	s_barrier
	buffer_gl0_inv
	ds_load_2addr_b64 v[216:219], v226 offset0:104 offset1:105
	s_cmp_lt_i32 s5, 54
	s_cbranch_scc1 .LBB106_1094
; %bb.1092:
	v_add3_u32 v225, v230, 0, 0x350
	v_mov_b32_e32 v224, 52
	s_mov_b32 s6, 53
	s_set_inst_prefetch_distance 0x1
	.p2align	6
.LBB106_1093:                           ; =>This Inner Loop Header: Depth=1
	ds_load_2addr_b64 v[233:236], v225 offset1:1
	s_waitcnt lgkmcnt(1)
	v_cmp_gt_f64_e32 vcc_lo, 0, v[216:217]
	v_xor_b32_e32 v220, 0x80000000, v217
	v_cmp_gt_f64_e64 s2, 0, v[218:219]
	v_xor_b32_e32 v222, 0x80000000, v219
	v_add_nc_u32_e32 v225, 16, v225
	s_waitcnt lgkmcnt(0)
	v_cmp_gt_f64_e64 s3, 0, v[233:234]
	v_mov_b32_e32 v237, v233
	v_mov_b32_e32 v239, v235
	v_cndmask_b32_e32 v221, v217, v220, vcc_lo
	v_xor_b32_e32 v220, 0x80000000, v234
	v_cndmask_b32_e64 v223, v219, v222, s2
	v_xor_b32_e32 v222, 0x80000000, v236
	s_delay_alu instid0(VALU_DEP_3) | instskip(SKIP_2) | instid1(VALU_DEP_2)
	v_cndmask_b32_e64 v238, v234, v220, s3
	v_cmp_gt_f64_e64 s3, 0, v[235:236]
	v_cndmask_b32_e32 v220, v216, v216, vcc_lo
	v_cndmask_b32_e64 v240, v236, v222, s3
	v_cndmask_b32_e64 v222, v218, v218, s2
	s_delay_alu instid0(VALU_DEP_2) | instskip(NEXT) | instid1(VALU_DEP_2)
	v_add_f64 v[237:238], v[237:238], v[239:240]
	v_add_f64 v[220:221], v[220:221], v[222:223]
	s_delay_alu instid0(VALU_DEP_1) | instskip(SKIP_4) | instid1(SALU_CYCLE_1)
	v_cmp_lt_f64_e32 vcc_lo, v[220:221], v[237:238]
	v_dual_cndmask_b32 v216, v216, v233 :: v_dual_cndmask_b32 v217, v217, v234
	v_dual_cndmask_b32 v219, v219, v236 :: v_dual_cndmask_b32 v218, v218, v235
	v_cndmask_b32_e64 v224, v224, s6, vcc_lo
	s_add_i32 s6, s6, 1
	s_cmp_lg_u32 s5, s6
	s_cbranch_scc1 .LBB106_1093
.LBB106_1094:
	s_set_inst_prefetch_distance 0x2
	s_waitcnt lgkmcnt(0)
	v_cmp_eq_f64_e32 vcc_lo, 0, v[216:217]
	v_cmp_eq_f64_e64 s2, 0, v[218:219]
	s_delay_alu instid0(VALU_DEP_1) | instskip(NEXT) | instid1(SALU_CYCLE_1)
	s_and_b32 s2, vcc_lo, s2
	s_and_saveexec_b32 s3, s2
	s_delay_alu instid0(SALU_CYCLE_1)
	s_xor_b32 s2, exec_lo, s3
; %bb.1095:
	v_cmp_ne_u32_e32 vcc_lo, 0, v229
	v_cndmask_b32_e32 v229, 53, v229, vcc_lo
; %bb.1096:
	s_and_not1_saveexec_b32 s3, s2
	s_cbranch_execz .LBB106_1102
; %bb.1097:
	v_cmp_gt_f64_e32 vcc_lo, 0, v[216:217]
	v_cmp_gt_f64_e64 s2, 0, v[218:219]
	v_xor_b32_e32 v220, 0x80000000, v217
	v_xor_b32_e32 v222, 0x80000000, v219
	s_delay_alu instid0(VALU_DEP_2) | instskip(NEXT) | instid1(VALU_DEP_2)
	v_cndmask_b32_e32 v221, v217, v220, vcc_lo
	v_cndmask_b32_e64 v223, v219, v222, s2
	v_cndmask_b32_e32 v220, v216, v216, vcc_lo
	v_cndmask_b32_e64 v222, v218, v218, s2
	s_mov_b32 s2, exec_lo
	s_delay_alu instid0(VALU_DEP_1)
	v_cmpx_ngt_f64_e32 v[220:221], v[222:223]
	s_xor_b32 s2, exec_lo, s2
	s_cbranch_execz .LBB106_1099
; %bb.1098:
	v_div_scale_f64 v[220:221], null, v[218:219], v[218:219], v[216:217]
	v_div_scale_f64 v[235:236], vcc_lo, v[216:217], v[218:219], v[216:217]
	s_delay_alu instid0(VALU_DEP_2) | instskip(SKIP_2) | instid1(VALU_DEP_1)
	v_rcp_f64_e32 v[222:223], v[220:221]
	s_waitcnt_depctr 0xfff
	v_fma_f64 v[233:234], -v[220:221], v[222:223], 1.0
	v_fma_f64 v[222:223], v[222:223], v[233:234], v[222:223]
	s_delay_alu instid0(VALU_DEP_1) | instskip(NEXT) | instid1(VALU_DEP_1)
	v_fma_f64 v[233:234], -v[220:221], v[222:223], 1.0
	v_fma_f64 v[222:223], v[222:223], v[233:234], v[222:223]
	s_delay_alu instid0(VALU_DEP_1) | instskip(NEXT) | instid1(VALU_DEP_1)
	v_mul_f64 v[233:234], v[235:236], v[222:223]
	v_fma_f64 v[220:221], -v[220:221], v[233:234], v[235:236]
	s_delay_alu instid0(VALU_DEP_1) | instskip(NEXT) | instid1(VALU_DEP_1)
	v_div_fmas_f64 v[220:221], v[220:221], v[222:223], v[233:234]
	v_div_fixup_f64 v[220:221], v[220:221], v[218:219], v[216:217]
	s_delay_alu instid0(VALU_DEP_1) | instskip(NEXT) | instid1(VALU_DEP_1)
	v_fma_f64 v[216:217], v[216:217], v[220:221], v[218:219]
	v_div_scale_f64 v[218:219], null, v[216:217], v[216:217], 1.0
	s_delay_alu instid0(VALU_DEP_1) | instskip(SKIP_2) | instid1(VALU_DEP_1)
	v_rcp_f64_e32 v[222:223], v[218:219]
	s_waitcnt_depctr 0xfff
	v_fma_f64 v[233:234], -v[218:219], v[222:223], 1.0
	v_fma_f64 v[222:223], v[222:223], v[233:234], v[222:223]
	s_delay_alu instid0(VALU_DEP_1) | instskip(NEXT) | instid1(VALU_DEP_1)
	v_fma_f64 v[233:234], -v[218:219], v[222:223], 1.0
	v_fma_f64 v[222:223], v[222:223], v[233:234], v[222:223]
	v_div_scale_f64 v[233:234], vcc_lo, 1.0, v[216:217], 1.0
	s_delay_alu instid0(VALU_DEP_1) | instskip(NEXT) | instid1(VALU_DEP_1)
	v_mul_f64 v[235:236], v[233:234], v[222:223]
	v_fma_f64 v[218:219], -v[218:219], v[235:236], v[233:234]
	s_delay_alu instid0(VALU_DEP_1) | instskip(NEXT) | instid1(VALU_DEP_1)
	v_div_fmas_f64 v[218:219], v[218:219], v[222:223], v[235:236]
	v_div_fixup_f64 v[218:219], v[218:219], v[216:217], 1.0
	s_delay_alu instid0(VALU_DEP_1)
	v_mul_f64 v[216:217], v[220:221], v[218:219]
	v_xor_b32_e32 v219, 0x80000000, v219
.LBB106_1099:
	s_and_not1_saveexec_b32 s2, s2
	s_cbranch_execz .LBB106_1101
; %bb.1100:
	s_delay_alu instid0(VALU_DEP_1) | instskip(SKIP_1) | instid1(VALU_DEP_2)
	v_div_scale_f64 v[220:221], null, v[216:217], v[216:217], v[218:219]
	v_div_scale_f64 v[235:236], vcc_lo, v[218:219], v[216:217], v[218:219]
	v_rcp_f64_e32 v[222:223], v[220:221]
	s_waitcnt_depctr 0xfff
	v_fma_f64 v[233:234], -v[220:221], v[222:223], 1.0
	s_delay_alu instid0(VALU_DEP_1) | instskip(NEXT) | instid1(VALU_DEP_1)
	v_fma_f64 v[222:223], v[222:223], v[233:234], v[222:223]
	v_fma_f64 v[233:234], -v[220:221], v[222:223], 1.0
	s_delay_alu instid0(VALU_DEP_1) | instskip(NEXT) | instid1(VALU_DEP_1)
	v_fma_f64 v[222:223], v[222:223], v[233:234], v[222:223]
	v_mul_f64 v[233:234], v[235:236], v[222:223]
	s_delay_alu instid0(VALU_DEP_1) | instskip(NEXT) | instid1(VALU_DEP_1)
	v_fma_f64 v[220:221], -v[220:221], v[233:234], v[235:236]
	v_div_fmas_f64 v[220:221], v[220:221], v[222:223], v[233:234]
	s_delay_alu instid0(VALU_DEP_1) | instskip(NEXT) | instid1(VALU_DEP_1)
	v_div_fixup_f64 v[220:221], v[220:221], v[216:217], v[218:219]
	v_fma_f64 v[216:217], v[218:219], v[220:221], v[216:217]
	s_delay_alu instid0(VALU_DEP_1) | instskip(NEXT) | instid1(VALU_DEP_1)
	v_div_scale_f64 v[218:219], null, v[216:217], v[216:217], 1.0
	v_rcp_f64_e32 v[222:223], v[218:219]
	s_waitcnt_depctr 0xfff
	v_fma_f64 v[233:234], -v[218:219], v[222:223], 1.0
	s_delay_alu instid0(VALU_DEP_1) | instskip(NEXT) | instid1(VALU_DEP_1)
	v_fma_f64 v[222:223], v[222:223], v[233:234], v[222:223]
	v_fma_f64 v[233:234], -v[218:219], v[222:223], 1.0
	s_delay_alu instid0(VALU_DEP_1) | instskip(SKIP_1) | instid1(VALU_DEP_1)
	v_fma_f64 v[222:223], v[222:223], v[233:234], v[222:223]
	v_div_scale_f64 v[233:234], vcc_lo, 1.0, v[216:217], 1.0
	v_mul_f64 v[235:236], v[233:234], v[222:223]
	s_delay_alu instid0(VALU_DEP_1) | instskip(NEXT) | instid1(VALU_DEP_1)
	v_fma_f64 v[218:219], -v[218:219], v[235:236], v[233:234]
	v_div_fmas_f64 v[218:219], v[218:219], v[222:223], v[235:236]
	s_delay_alu instid0(VALU_DEP_1) | instskip(NEXT) | instid1(VALU_DEP_1)
	v_div_fixup_f64 v[216:217], v[218:219], v[216:217], 1.0
	v_mul_f64 v[218:219], v[220:221], -v[216:217]
.LBB106_1101:
	s_or_b32 exec_lo, exec_lo, s2
.LBB106_1102:
	s_delay_alu instid0(SALU_CYCLE_1) | instskip(NEXT) | instid1(SALU_CYCLE_1)
	s_or_b32 exec_lo, exec_lo, s3
	s_mov_b32 s2, exec_lo
	v_cmpx_ne_u32_e64 v232, v224
	s_xor_b32 s2, exec_lo, s2
	s_cbranch_execz .LBB106_1108
; %bb.1103:
	s_mov_b32 s3, exec_lo
	v_cmpx_eq_u32_e32 52, v232
	s_cbranch_execz .LBB106_1107
; %bb.1104:
	v_cmp_ne_u32_e32 vcc_lo, 52, v224
	s_xor_b32 s6, s4, -1
	s_delay_alu instid0(SALU_CYCLE_1) | instskip(NEXT) | instid1(SALU_CYCLE_1)
	s_and_b32 s7, s6, vcc_lo
	s_and_saveexec_b32 s6, s7
	s_cbranch_execz .LBB106_1106
; %bb.1105:
	v_ashrrev_i32_e32 v225, 31, v224
	s_delay_alu instid0(VALU_DEP_1) | instskip(NEXT) | instid1(VALU_DEP_1)
	v_lshlrev_b64 v[220:221], 2, v[224:225]
	v_add_co_u32 v220, vcc_lo, v214, v220
	s_delay_alu instid0(VALU_DEP_2)
	v_add_co_ci_u32_e32 v221, vcc_lo, v215, v221, vcc_lo
	s_clause 0x1
	flat_load_b32 v222, v[220:221]
	flat_load_b32 v223, v[214:215] offset:208
	s_waitcnt vmcnt(1) lgkmcnt(1)
	flat_store_b32 v[214:215], v222 offset:208
	s_waitcnt vmcnt(0) lgkmcnt(1)
	flat_store_b32 v[220:221], v223
.LBB106_1106:
	s_or_b32 exec_lo, exec_lo, s6
	v_mov_b32_e32 v232, v224
	v_mov_b32_e32 v231, v224
.LBB106_1107:
	s_or_b32 exec_lo, exec_lo, s3
.LBB106_1108:
	s_and_not1_saveexec_b32 s2, s2
	s_cbranch_execz .LBB106_1110
; %bb.1109:
	v_mov_b32_e32 v232, 52
	ds_store_2addr_b64 v226, v[0:1], v[2:3] offset0:106 offset1:107
.LBB106_1110:
	s_or_b32 exec_lo, exec_lo, s2
	s_delay_alu instid0(SALU_CYCLE_1)
	s_mov_b32 s2, exec_lo
	s_waitcnt lgkmcnt(0)
	s_waitcnt_vscnt null, 0x0
	s_barrier
	buffer_gl0_inv
	v_cmpx_lt_i32_e32 52, v232
	s_cbranch_execz .LBB106_1112
; %bb.1111:
	v_mul_f64 v[220:221], v[216:217], v[249:250]
	v_mul_f64 v[6:7], v[218:219], v[249:250]
	ds_load_2addr_b64 v[233:236], v226 offset0:106 offset1:107
	v_fma_f64 v[218:219], v[218:219], v[247:248], v[220:221]
	v_fma_f64 v[247:248], v[216:217], v[247:248], -v[6:7]
	s_waitcnt lgkmcnt(0)
	s_delay_alu instid0(VALU_DEP_2) | instskip(SKIP_2) | instid1(VALU_DEP_3)
	v_mul_f64 v[6:7], v[235:236], v[218:219]
	v_mul_f64 v[216:217], v[233:234], v[218:219]
	v_dual_mov_b32 v250, v219 :: v_dual_mov_b32 v249, v218
	v_fma_f64 v[6:7], v[233:234], v[247:248], -v[6:7]
	s_delay_alu instid0(VALU_DEP_3) | instskip(NEXT) | instid1(VALU_DEP_2)
	v_fma_f64 v[216:217], v[235:236], v[247:248], v[216:217]
	v_add_f64 v[0:1], v[0:1], -v[6:7]
	s_delay_alu instid0(VALU_DEP_2)
	v_add_f64 v[2:3], v[2:3], -v[216:217]
.LBB106_1112:
	s_or_b32 exec_lo, exec_lo, s2
	v_lshl_add_u32 v216, v232, 4, v226
	s_barrier
	buffer_gl0_inv
	v_mov_b32_e32 v224, 53
	ds_store_2addr_b64 v216, v[0:1], v[2:3] offset1:1
	s_waitcnt lgkmcnt(0)
	s_barrier
	buffer_gl0_inv
	ds_load_2addr_b64 v[216:219], v226 offset0:106 offset1:107
	s_cmp_lt_i32 s5, 55
	s_cbranch_scc1 .LBB106_1115
; %bb.1113:
	v_add3_u32 v225, v230, 0, 0x360
	v_mov_b32_e32 v224, 53
	s_mov_b32 s6, 54
	s_set_inst_prefetch_distance 0x1
	.p2align	6
.LBB106_1114:                           ; =>This Inner Loop Header: Depth=1
	ds_load_2addr_b64 v[233:236], v225 offset1:1
	s_waitcnt lgkmcnt(1)
	v_cmp_gt_f64_e32 vcc_lo, 0, v[216:217]
	v_xor_b32_e32 v220, 0x80000000, v217
	v_cmp_gt_f64_e64 s2, 0, v[218:219]
	v_xor_b32_e32 v222, 0x80000000, v219
	v_add_nc_u32_e32 v225, 16, v225
	s_waitcnt lgkmcnt(0)
	v_cmp_gt_f64_e64 s3, 0, v[233:234]
	v_mov_b32_e32 v237, v233
	v_mov_b32_e32 v239, v235
	v_cndmask_b32_e32 v221, v217, v220, vcc_lo
	v_xor_b32_e32 v220, 0x80000000, v234
	v_cndmask_b32_e64 v223, v219, v222, s2
	v_xor_b32_e32 v222, 0x80000000, v236
	s_delay_alu instid0(VALU_DEP_3) | instskip(SKIP_2) | instid1(VALU_DEP_2)
	v_cndmask_b32_e64 v238, v234, v220, s3
	v_cmp_gt_f64_e64 s3, 0, v[235:236]
	v_cndmask_b32_e32 v220, v216, v216, vcc_lo
	v_cndmask_b32_e64 v240, v236, v222, s3
	v_cndmask_b32_e64 v222, v218, v218, s2
	s_delay_alu instid0(VALU_DEP_2) | instskip(NEXT) | instid1(VALU_DEP_2)
	v_add_f64 v[237:238], v[237:238], v[239:240]
	v_add_f64 v[220:221], v[220:221], v[222:223]
	s_delay_alu instid0(VALU_DEP_1) | instskip(SKIP_4) | instid1(SALU_CYCLE_1)
	v_cmp_lt_f64_e32 vcc_lo, v[220:221], v[237:238]
	v_dual_cndmask_b32 v216, v216, v233 :: v_dual_cndmask_b32 v217, v217, v234
	v_dual_cndmask_b32 v219, v219, v236 :: v_dual_cndmask_b32 v218, v218, v235
	v_cndmask_b32_e64 v224, v224, s6, vcc_lo
	s_add_i32 s6, s6, 1
	s_cmp_lg_u32 s5, s6
	s_cbranch_scc1 .LBB106_1114
.LBB106_1115:
	s_set_inst_prefetch_distance 0x2
	s_waitcnt lgkmcnt(0)
	v_cmp_eq_f64_e32 vcc_lo, 0, v[216:217]
	v_cmp_eq_f64_e64 s2, 0, v[218:219]
	s_delay_alu instid0(VALU_DEP_1) | instskip(NEXT) | instid1(SALU_CYCLE_1)
	s_and_b32 s2, vcc_lo, s2
	s_and_saveexec_b32 s3, s2
	s_delay_alu instid0(SALU_CYCLE_1)
	s_xor_b32 s2, exec_lo, s3
; %bb.1116:
	v_cmp_ne_u32_e32 vcc_lo, 0, v229
	v_cndmask_b32_e32 v229, 54, v229, vcc_lo
; %bb.1117:
	s_and_not1_saveexec_b32 s3, s2
	s_cbranch_execz .LBB106_1123
; %bb.1118:
	v_cmp_gt_f64_e32 vcc_lo, 0, v[216:217]
	v_cmp_gt_f64_e64 s2, 0, v[218:219]
	v_xor_b32_e32 v220, 0x80000000, v217
	v_xor_b32_e32 v222, 0x80000000, v219
	s_delay_alu instid0(VALU_DEP_2) | instskip(NEXT) | instid1(VALU_DEP_2)
	v_cndmask_b32_e32 v221, v217, v220, vcc_lo
	v_cndmask_b32_e64 v223, v219, v222, s2
	v_cndmask_b32_e32 v220, v216, v216, vcc_lo
	v_cndmask_b32_e64 v222, v218, v218, s2
	s_mov_b32 s2, exec_lo
	s_delay_alu instid0(VALU_DEP_1)
	v_cmpx_ngt_f64_e32 v[220:221], v[222:223]
	s_xor_b32 s2, exec_lo, s2
	s_cbranch_execz .LBB106_1120
; %bb.1119:
	v_div_scale_f64 v[220:221], null, v[218:219], v[218:219], v[216:217]
	v_div_scale_f64 v[233:234], vcc_lo, v[216:217], v[218:219], v[216:217]
	s_delay_alu instid0(VALU_DEP_2) | instskip(SKIP_2) | instid1(VALU_DEP_1)
	v_rcp_f64_e32 v[222:223], v[220:221]
	s_waitcnt_depctr 0xfff
	v_fma_f64 v[225:226], -v[220:221], v[222:223], 1.0
	v_fma_f64 v[222:223], v[222:223], v[225:226], v[222:223]
	s_delay_alu instid0(VALU_DEP_1) | instskip(NEXT) | instid1(VALU_DEP_1)
	v_fma_f64 v[225:226], -v[220:221], v[222:223], 1.0
	v_fma_f64 v[222:223], v[222:223], v[225:226], v[222:223]
	s_delay_alu instid0(VALU_DEP_1) | instskip(NEXT) | instid1(VALU_DEP_1)
	v_mul_f64 v[225:226], v[233:234], v[222:223]
	v_fma_f64 v[220:221], -v[220:221], v[225:226], v[233:234]
	s_delay_alu instid0(VALU_DEP_1) | instskip(NEXT) | instid1(VALU_DEP_1)
	v_div_fmas_f64 v[220:221], v[220:221], v[222:223], v[225:226]
	v_div_fixup_f64 v[220:221], v[220:221], v[218:219], v[216:217]
	s_delay_alu instid0(VALU_DEP_1) | instskip(NEXT) | instid1(VALU_DEP_1)
	v_fma_f64 v[216:217], v[216:217], v[220:221], v[218:219]
	v_div_scale_f64 v[218:219], null, v[216:217], v[216:217], 1.0
	s_delay_alu instid0(VALU_DEP_1) | instskip(SKIP_2) | instid1(VALU_DEP_1)
	v_rcp_f64_e32 v[222:223], v[218:219]
	s_waitcnt_depctr 0xfff
	v_fma_f64 v[225:226], -v[218:219], v[222:223], 1.0
	v_fma_f64 v[222:223], v[222:223], v[225:226], v[222:223]
	s_delay_alu instid0(VALU_DEP_1) | instskip(NEXT) | instid1(VALU_DEP_1)
	v_fma_f64 v[225:226], -v[218:219], v[222:223], 1.0
	v_fma_f64 v[222:223], v[222:223], v[225:226], v[222:223]
	v_div_scale_f64 v[225:226], vcc_lo, 1.0, v[216:217], 1.0
	s_delay_alu instid0(VALU_DEP_1) | instskip(NEXT) | instid1(VALU_DEP_1)
	v_mul_f64 v[233:234], v[225:226], v[222:223]
	v_fma_f64 v[218:219], -v[218:219], v[233:234], v[225:226]
	s_delay_alu instid0(VALU_DEP_1) | instskip(NEXT) | instid1(VALU_DEP_1)
	v_div_fmas_f64 v[218:219], v[218:219], v[222:223], v[233:234]
	v_div_fixup_f64 v[218:219], v[218:219], v[216:217], 1.0
	s_delay_alu instid0(VALU_DEP_1)
	v_mul_f64 v[216:217], v[220:221], v[218:219]
	v_xor_b32_e32 v219, 0x80000000, v219
.LBB106_1120:
	s_and_not1_saveexec_b32 s2, s2
	s_cbranch_execz .LBB106_1122
; %bb.1121:
	s_delay_alu instid0(VALU_DEP_1) | instskip(SKIP_1) | instid1(VALU_DEP_2)
	v_div_scale_f64 v[220:221], null, v[216:217], v[216:217], v[218:219]
	v_div_scale_f64 v[233:234], vcc_lo, v[218:219], v[216:217], v[218:219]
	v_rcp_f64_e32 v[222:223], v[220:221]
	s_waitcnt_depctr 0xfff
	v_fma_f64 v[225:226], -v[220:221], v[222:223], 1.0
	s_delay_alu instid0(VALU_DEP_1) | instskip(NEXT) | instid1(VALU_DEP_1)
	v_fma_f64 v[222:223], v[222:223], v[225:226], v[222:223]
	v_fma_f64 v[225:226], -v[220:221], v[222:223], 1.0
	s_delay_alu instid0(VALU_DEP_1) | instskip(NEXT) | instid1(VALU_DEP_1)
	v_fma_f64 v[222:223], v[222:223], v[225:226], v[222:223]
	v_mul_f64 v[225:226], v[233:234], v[222:223]
	s_delay_alu instid0(VALU_DEP_1) | instskip(NEXT) | instid1(VALU_DEP_1)
	v_fma_f64 v[220:221], -v[220:221], v[225:226], v[233:234]
	v_div_fmas_f64 v[220:221], v[220:221], v[222:223], v[225:226]
	s_delay_alu instid0(VALU_DEP_1) | instskip(NEXT) | instid1(VALU_DEP_1)
	v_div_fixup_f64 v[220:221], v[220:221], v[216:217], v[218:219]
	v_fma_f64 v[216:217], v[218:219], v[220:221], v[216:217]
	s_delay_alu instid0(VALU_DEP_1) | instskip(NEXT) | instid1(VALU_DEP_1)
	v_div_scale_f64 v[218:219], null, v[216:217], v[216:217], 1.0
	v_rcp_f64_e32 v[222:223], v[218:219]
	s_waitcnt_depctr 0xfff
	v_fma_f64 v[225:226], -v[218:219], v[222:223], 1.0
	s_delay_alu instid0(VALU_DEP_1) | instskip(NEXT) | instid1(VALU_DEP_1)
	v_fma_f64 v[222:223], v[222:223], v[225:226], v[222:223]
	v_fma_f64 v[225:226], -v[218:219], v[222:223], 1.0
	s_delay_alu instid0(VALU_DEP_1) | instskip(SKIP_1) | instid1(VALU_DEP_1)
	v_fma_f64 v[222:223], v[222:223], v[225:226], v[222:223]
	v_div_scale_f64 v[225:226], vcc_lo, 1.0, v[216:217], 1.0
	v_mul_f64 v[233:234], v[225:226], v[222:223]
	s_delay_alu instid0(VALU_DEP_1) | instskip(NEXT) | instid1(VALU_DEP_1)
	v_fma_f64 v[218:219], -v[218:219], v[233:234], v[225:226]
	v_div_fmas_f64 v[218:219], v[218:219], v[222:223], v[233:234]
	s_delay_alu instid0(VALU_DEP_1) | instskip(NEXT) | instid1(VALU_DEP_1)
	v_div_fixup_f64 v[216:217], v[218:219], v[216:217], 1.0
	v_mul_f64 v[218:219], v[220:221], -v[216:217]
.LBB106_1122:
	s_or_b32 exec_lo, exec_lo, s2
.LBB106_1123:
	s_delay_alu instid0(SALU_CYCLE_1)
	s_or_b32 exec_lo, exec_lo, s3
	v_mov_b32_e32 v225, 53
	s_mov_b32 s2, exec_lo
	v_cmpx_ne_u32_e64 v232, v224
	s_cbranch_execz .LBB106_1129
; %bb.1124:
	s_mov_b32 s3, exec_lo
	v_cmpx_eq_u32_e32 53, v232
	s_cbranch_execz .LBB106_1128
; %bb.1125:
	v_cmp_ne_u32_e32 vcc_lo, 53, v224
	s_xor_b32 s4, s4, -1
	s_delay_alu instid0(SALU_CYCLE_1) | instskip(NEXT) | instid1(SALU_CYCLE_1)
	s_and_b32 s5, s4, vcc_lo
	s_and_saveexec_b32 s4, s5
	s_cbranch_execz .LBB106_1127
; %bb.1126:
	v_ashrrev_i32_e32 v225, 31, v224
	s_delay_alu instid0(VALU_DEP_1) | instskip(NEXT) | instid1(VALU_DEP_1)
	v_lshlrev_b64 v[220:221], 2, v[224:225]
	v_add_co_u32 v220, vcc_lo, v214, v220
	s_delay_alu instid0(VALU_DEP_2)
	v_add_co_ci_u32_e32 v221, vcc_lo, v215, v221, vcc_lo
	s_clause 0x1
	flat_load_b32 v222, v[220:221]
	flat_load_b32 v223, v[214:215] offset:212
	s_waitcnt vmcnt(1) lgkmcnt(1)
	flat_store_b32 v[214:215], v222 offset:212
	s_waitcnt vmcnt(0) lgkmcnt(1)
	flat_store_b32 v[220:221], v223
.LBB106_1127:
	s_or_b32 exec_lo, exec_lo, s4
	v_mov_b32_e32 v232, v224
	v_mov_b32_e32 v231, v224
.LBB106_1128:
	s_or_b32 exec_lo, exec_lo, s3
	s_delay_alu instid0(VALU_DEP_2)
	v_mov_b32_e32 v225, v232
.LBB106_1129:
	s_or_b32 exec_lo, exec_lo, s2
	s_delay_alu instid0(SALU_CYCLE_1)
	s_mov_b32 s2, exec_lo
	s_waitcnt lgkmcnt(0)
	s_waitcnt_vscnt null, 0x0
	s_barrier
	buffer_gl0_inv
	v_cmpx_lt_i32_e32 53, v225
; %bb.1130:
	v_mul_f64 v[220:221], v[218:219], v[2:3]
	v_mul_f64 v[2:3], v[216:217], v[2:3]
	s_delay_alu instid0(VALU_DEP_2) | instskip(NEXT) | instid1(VALU_DEP_2)
	v_fma_f64 v[216:217], v[216:217], v[0:1], -v[220:221]
	v_fma_f64 v[2:3], v[218:219], v[0:1], v[2:3]
	s_delay_alu instid0(VALU_DEP_2)
	v_dual_mov_b32 v0, v216 :: v_dual_mov_b32 v1, v217
; %bb.1131:
	s_or_b32 exec_lo, exec_lo, s2
	s_load_b256 s[0:7], s[0:1], 0x28
	v_ashrrev_i32_e32 v226, 31, v225
	s_mov_b32 s9, exec_lo
	s_waitcnt lgkmcnt(0)
	s_barrier
	buffer_gl0_inv
	v_cmpx_gt_i32_e32 54, v225
	s_cbranch_execz .LBB106_1133
; %bb.1132:
	v_mul_lo_u32 v218, v5, s4
	v_mul_lo_u32 v219, v4, s5
	v_mad_u64_u32 v[216:217], null, v4, s4, 0
	s_lshl_b64 s[2:3], s[2:3], 2
	s_delay_alu instid0(SALU_CYCLE_1) | instskip(SKIP_1) | instid1(VALU_DEP_1)
	s_add_u32 s0, s2, s0
	s_addc_u32 s1, s3, s1
	v_add3_u32 v217, v217, v219, v218
	v_lshlrev_b64 v[218:219], 2, v[225:226]
	s_delay_alu instid0(VALU_DEP_2) | instskip(NEXT) | instid1(VALU_DEP_1)
	v_lshlrev_b64 v[216:217], 2, v[216:217]
	v_add_co_u32 v216, vcc_lo, s0, v216
	s_delay_alu instid0(VALU_DEP_2) | instskip(NEXT) | instid1(VALU_DEP_2)
	v_add_co_ci_u32_e32 v217, vcc_lo, s1, v217, vcc_lo
	v_add_co_u32 v216, vcc_lo, v216, v218
	s_delay_alu instid0(VALU_DEP_2)
	v_add_co_ci_u32_e32 v217, vcc_lo, v217, v219, vcc_lo
	v_add3_u32 v218, v231, s13, 1
	global_store_b32 v[216:217], v218, off
.LBB106_1133:
	s_or_b32 exec_lo, exec_lo, s9
	s_delay_alu instid0(SALU_CYCLE_1)
	s_mov_b32 s1, exec_lo
	v_cmpx_eq_u32_e32 0, v225
	s_cbranch_execz .LBB106_1136
; %bb.1134:
	v_lshlrev_b64 v[216:217], 2, v[4:5]
	v_cmp_lt_i32_e64 s0, 0, v229
	s_delay_alu instid0(VALU_DEP_2) | instskip(NEXT) | instid1(VALU_DEP_3)
	v_add_co_u32 v216, vcc_lo, s6, v216
	v_add_co_ci_u32_e32 v217, vcc_lo, s7, v217, vcc_lo
	global_load_b32 v218, v[216:217], off
	s_waitcnt vmcnt(0)
	v_cmp_eq_u32_e32 vcc_lo, 0, v218
	s_and_b32 s0, vcc_lo, s0
	s_delay_alu instid0(SALU_CYCLE_1)
	s_and_b32 exec_lo, exec_lo, s0
	s_cbranch_execz .LBB106_1136
; %bb.1135:
	v_add_nc_u32_e32 v218, s13, v229
	global_store_b32 v[216:217], v218, off
.LBB106_1136:
	s_or_b32 exec_lo, exec_lo, s1
	scratch_load_b128 v[4:7], off, off      ; 16-byte Folded Reload
	v_lshlrev_b64 v[218:219], 4, v[225:226]
	v_add3_u32 v216, s8, s8, v225
	s_delay_alu instid0(VALU_DEP_1) | instskip(NEXT) | instid1(VALU_DEP_3)
	v_add_nc_u32_e32 v220, s8, v216
	v_add_co_u32 v218, vcc_lo, v227, v218
	s_delay_alu instid0(VALU_DEP_4) | instskip(SKIP_1) | instid1(VALU_DEP_3)
	v_add_co_ci_u32_e32 v219, vcc_lo, v228, v219, vcc_lo
	v_ashrrev_i32_e32 v217, 31, v216
	v_add_co_u32 v222, vcc_lo, v218, s10
	s_delay_alu instid0(VALU_DEP_3) | instskip(SKIP_1) | instid1(VALU_DEP_4)
	v_add_co_ci_u32_e32 v223, vcc_lo, s11, v219, vcc_lo
	v_ashrrev_i32_e32 v221, 31, v220
	v_lshlrev_b64 v[216:217], 4, v[216:217]
	s_delay_alu instid0(VALU_DEP_2)
	v_lshlrev_b64 v[212:213], 4, v[220:221]
	s_waitcnt vmcnt(0)
	s_clause 0x1
	global_store_b128 v[218:219], v[4:7], off
	global_store_b128 v[222:223], v[208:211], off
	v_add_nc_u32_e32 v208, s8, v220
	v_add_co_u32 v210, vcc_lo, v227, v216
	v_add_co_ci_u32_e32 v211, vcc_lo, v228, v217, vcc_lo
	s_delay_alu instid0(VALU_DEP_3) | instskip(SKIP_3) | instid1(VALU_DEP_4)
	v_add_nc_u32_e32 v214, s8, v208
	v_ashrrev_i32_e32 v209, 31, v208
	v_add_co_u32 v212, vcc_lo, v227, v212
	v_add_co_ci_u32_e32 v213, vcc_lo, v228, v213, vcc_lo
	v_add_nc_u32_e32 v216, s8, v214
	v_ashrrev_i32_e32 v215, 31, v214
	v_lshlrev_b64 v[208:209], 4, v[208:209]
	s_clause 0x1
	global_store_b128 v[210:211], v[204:207], off
	global_store_b128 v[212:213], v[200:203], off
	v_ashrrev_i32_e32 v217, 31, v216
	v_lshlrev_b64 v[200:201], 4, v[214:215]
	v_add_nc_u32_e32 v206, s8, v216
	v_add_co_u32 v202, vcc_lo, v227, v208
	s_delay_alu instid0(VALU_DEP_4) | instskip(SKIP_3) | instid1(VALU_DEP_4)
	v_lshlrev_b64 v[204:205], 4, v[216:217]
	v_add_co_ci_u32_e32 v203, vcc_lo, v228, v209, vcc_lo
	v_add_co_u32 v200, vcc_lo, v227, v200
	v_add_co_ci_u32_e32 v201, vcc_lo, v228, v201, vcc_lo
	v_add_co_u32 v204, vcc_lo, v227, v204
	v_add_nc_u32_e32 v208, s8, v206
	v_add_co_ci_u32_e32 v205, vcc_lo, v228, v205, vcc_lo
	v_ashrrev_i32_e32 v207, 31, v206
	global_store_b128 v[202:203], v[196:199], off
	v_ashrrev_i32_e32 v209, 31, v208
	s_clause 0x1
	global_store_b128 v[200:201], v[192:195], off
	global_store_b128 v[204:205], v[188:191], off
	v_add_nc_u32_e32 v190, s8, v208
	v_lshlrev_b64 v[196:197], 4, v[206:207]
	v_lshlrev_b64 v[188:189], 4, v[208:209]
	s_delay_alu instid0(VALU_DEP_3) | instskip(SKIP_1) | instid1(VALU_DEP_4)
	v_add_nc_u32_e32 v194, s8, v190
	v_ashrrev_i32_e32 v191, 31, v190
	v_add_co_u32 v192, vcc_lo, v227, v196
	v_add_co_ci_u32_e32 v193, vcc_lo, v228, v197, vcc_lo
	s_delay_alu instid0(VALU_DEP_4)
	v_add_nc_u32_e32 v196, s8, v194
	v_add_co_u32 v188, vcc_lo, v227, v188
	v_ashrrev_i32_e32 v195, 31, v194
	v_add_co_ci_u32_e32 v189, vcc_lo, v228, v189, vcc_lo
	v_lshlrev_b64 v[190:191], 4, v[190:191]
	v_ashrrev_i32_e32 v197, 31, v196
	s_clause 0x1
	global_store_b128 v[192:193], v[184:187], off
	global_store_b128 v[188:189], v[180:183], off
	v_lshlrev_b64 v[180:181], 4, v[194:195]
	v_add_nc_u32_e32 v186, s8, v196
	v_add_co_u32 v182, vcc_lo, v227, v190
	v_lshlrev_b64 v[184:185], 4, v[196:197]
	v_add_co_ci_u32_e32 v183, vcc_lo, v228, v191, vcc_lo
	v_add_co_u32 v180, vcc_lo, v227, v180
	v_add_co_ci_u32_e32 v181, vcc_lo, v228, v181, vcc_lo
	s_delay_alu instid0(VALU_DEP_4)
	v_add_co_u32 v184, vcc_lo, v227, v184
	v_add_nc_u32_e32 v188, s8, v186
	v_add_co_ci_u32_e32 v185, vcc_lo, v228, v185, vcc_lo
	v_ashrrev_i32_e32 v187, 31, v186
	global_store_b128 v[182:183], v[176:179], off
	v_ashrrev_i32_e32 v189, 31, v188
	s_clause 0x1
	global_store_b128 v[180:181], v[172:175], off
	global_store_b128 v[184:185], v[168:171], off
	v_add_nc_u32_e32 v170, s8, v188
	v_lshlrev_b64 v[176:177], 4, v[186:187]
	v_lshlrev_b64 v[168:169], 4, v[188:189]
	s_delay_alu instid0(VALU_DEP_3) | instskip(SKIP_1) | instid1(VALU_DEP_4)
	v_add_nc_u32_e32 v174, s8, v170
	v_ashrrev_i32_e32 v171, 31, v170
	v_add_co_u32 v172, vcc_lo, v227, v176
	v_add_co_ci_u32_e32 v173, vcc_lo, v228, v177, vcc_lo
	s_delay_alu instid0(VALU_DEP_4)
	v_add_nc_u32_e32 v176, s8, v174
	v_add_co_u32 v168, vcc_lo, v227, v168
	v_ashrrev_i32_e32 v175, 31, v174
	v_add_co_ci_u32_e32 v169, vcc_lo, v228, v169, vcc_lo
	v_lshlrev_b64 v[170:171], 4, v[170:171]
	v_ashrrev_i32_e32 v177, 31, v176
	s_clause 0x1
	global_store_b128 v[172:173], v[164:167], off
	global_store_b128 v[168:169], v[160:163], off
	v_lshlrev_b64 v[160:161], 4, v[174:175]
	v_add_nc_u32_e32 v166, s8, v176
	v_add_co_u32 v162, vcc_lo, v227, v170
	v_lshlrev_b64 v[164:165], 4, v[176:177]
	v_add_co_ci_u32_e32 v163, vcc_lo, v228, v171, vcc_lo
	v_add_co_u32 v160, vcc_lo, v227, v160
	v_add_co_ci_u32_e32 v161, vcc_lo, v228, v161, vcc_lo
	s_delay_alu instid0(VALU_DEP_4)
	;; [unrolled: 35-line block ×7, first 2 shown]
	v_add_co_u32 v64, vcc_lo, v227, v64
	v_add_nc_u32_e32 v68, s8, v66
	v_add_co_ci_u32_e32 v65, vcc_lo, v228, v65, vcc_lo
	v_ashrrev_i32_e32 v67, 31, v66
	global_store_b128 v[62:63], v[56:59], off
	v_ashrrev_i32_e32 v69, 31, v68
	s_clause 0x1
	global_store_b128 v[60:61], v[52:55], off
	global_store_b128 v[64:65], v[48:51], off
	v_add_nc_u32_e32 v50, s8, v68
	v_lshlrev_b64 v[56:57], 4, v[66:67]
	v_lshlrev_b64 v[48:49], 4, v[68:69]
	s_delay_alu instid0(VALU_DEP_3) | instskip(SKIP_1) | instid1(VALU_DEP_4)
	v_add_nc_u32_e32 v54, s8, v50
	v_ashrrev_i32_e32 v51, 31, v50
	v_add_co_u32 v52, vcc_lo, v227, v56
	v_add_co_ci_u32_e32 v53, vcc_lo, v228, v57, vcc_lo
	s_delay_alu instid0(VALU_DEP_4)
	v_add_nc_u32_e32 v56, s8, v54
	v_add_co_u32 v48, vcc_lo, v227, v48
	v_ashrrev_i32_e32 v55, 31, v54
	v_add_co_ci_u32_e32 v49, vcc_lo, v228, v49, vcc_lo
	v_lshlrev_b64 v[50:51], 4, v[50:51]
	v_ashrrev_i32_e32 v57, 31, v56
	s_clause 0x1
	global_store_b128 v[52:53], v[44:47], off
	global_store_b128 v[48:49], v[40:43], off
	v_lshlrev_b64 v[40:41], 4, v[54:55]
	v_add_nc_u32_e32 v46, s8, v56
	v_add_co_u32 v42, vcc_lo, v227, v50
	v_lshlrev_b64 v[44:45], 4, v[56:57]
	v_add_co_ci_u32_e32 v43, vcc_lo, v228, v51, vcc_lo
	v_add_co_u32 v40, vcc_lo, v227, v40
	v_add_nc_u32_e32 v48, s8, v46
	v_add_co_ci_u32_e32 v41, vcc_lo, v228, v41, vcc_lo
	v_ashrrev_i32_e32 v47, 31, v46
	v_add_co_u32 v44, vcc_lo, v227, v44
	v_add_co_ci_u32_e32 v45, vcc_lo, v228, v45, vcc_lo
	v_ashrrev_i32_e32 v49, 31, v48
	global_store_b128 v[42:43], v[36:39], off
	v_lshlrev_b64 v[36:37], 4, v[46:47]
	s_clause 0x1
	global_store_b128 v[40:41], v[32:35], off
	global_store_b128 v[44:45], v[28:31], off
	v_add_nc_u32_e32 v30, s8, v48
	v_lshlrev_b64 v[28:29], 4, v[48:49]
	v_add_co_u32 v32, vcc_lo, v227, v36
	s_delay_alu instid0(VALU_DEP_3) | instskip(SKIP_1) | instid1(VALU_DEP_4)
	v_add_nc_u32_e32 v34, s8, v30
	v_add_co_ci_u32_e32 v33, vcc_lo, v228, v37, vcc_lo
	v_add_co_u32 v28, vcc_lo, v227, v28
	v_add_co_ci_u32_e32 v29, vcc_lo, v228, v29, vcc_lo
	s_delay_alu instid0(VALU_DEP_4)
	v_add_nc_u32_e32 v36, s8, v34
	v_ashrrev_i32_e32 v31, 31, v30
	s_clause 0x1
	global_store_b128 v[32:33], v[24:27], off
	global_store_b128 v[28:29], v[20:23], off
	v_ashrrev_i32_e32 v35, 31, v34
	v_add_nc_u32_e32 v22, s8, v36
	v_lshlrev_b64 v[24:25], 4, v[30:31]
	v_ashrrev_i32_e32 v37, 31, v36
	s_delay_alu instid0(VALU_DEP_4) | instskip(NEXT) | instid1(VALU_DEP_4)
	v_lshlrev_b64 v[20:21], 4, v[34:35]
	v_add_nc_u32_e32 v28, s8, v22
	v_ashrrev_i32_e32 v23, 31, v22
	v_add_co_u32 v24, vcc_lo, v227, v24
	v_lshlrev_b64 v[26:27], 4, v[36:37]
	s_delay_alu instid0(VALU_DEP_4)
	v_ashrrev_i32_e32 v29, 31, v28
	v_add_co_ci_u32_e32 v25, vcc_lo, v228, v25, vcc_lo
	v_add_co_u32 v20, vcc_lo, v227, v20
	v_lshlrev_b64 v[22:23], 4, v[22:23]
	v_add_co_ci_u32_e32 v21, vcc_lo, v228, v21, vcc_lo
	v_add_co_u32 v26, vcc_lo, v227, v26
	v_lshlrev_b64 v[28:29], 4, v[28:29]
	v_add_co_ci_u32_e32 v27, vcc_lo, v228, v27, vcc_lo
	v_add_co_u32 v22, vcc_lo, v227, v22
	v_add_co_ci_u32_e32 v23, vcc_lo, v228, v23, vcc_lo
	s_delay_alu instid0(VALU_DEP_4)
	v_add_co_u32 v28, vcc_lo, v227, v28
	v_add_co_ci_u32_e32 v29, vcc_lo, v228, v29, vcc_lo
	s_clause 0x4
	global_store_b128 v[24:25], v[16:19], off
	global_store_b128 v[20:21], v[12:15], off
	;; [unrolled: 1-line block ×5, first 2 shown]
.LBB106_1137:
	s_nop 0
	s_sendmsg sendmsg(MSG_DEALLOC_VGPRS)
	s_endpgm
	.section	.rodata,"a",@progbits
	.p2align	6, 0x0
	.amdhsa_kernel _ZN9rocsolver6v33100L18getf2_small_kernelILi54E19rocblas_complex_numIdEiiPKPS3_EEvT1_T3_lS7_lPS7_llPT2_S7_S7_S9_l
		.amdhsa_group_segment_fixed_size 0
		.amdhsa_private_segment_fixed_size 20
		.amdhsa_kernarg_size 352
		.amdhsa_user_sgpr_count 14
		.amdhsa_user_sgpr_dispatch_ptr 0
		.amdhsa_user_sgpr_queue_ptr 0
		.amdhsa_user_sgpr_kernarg_segment_ptr 1
		.amdhsa_user_sgpr_dispatch_id 0
		.amdhsa_user_sgpr_private_segment_size 0
		.amdhsa_wavefront_size32 1
		.amdhsa_uses_dynamic_stack 0
		.amdhsa_enable_private_segment 1
		.amdhsa_system_sgpr_workgroup_id_x 1
		.amdhsa_system_sgpr_workgroup_id_y 1
		.amdhsa_system_sgpr_workgroup_id_z 0
		.amdhsa_system_sgpr_workgroup_info 0
		.amdhsa_system_vgpr_workitem_id 1
		.amdhsa_next_free_vgpr 256
		.amdhsa_next_free_sgpr 18
		.amdhsa_reserve_vcc 1
		.amdhsa_float_round_mode_32 0
		.amdhsa_float_round_mode_16_64 0
		.amdhsa_float_denorm_mode_32 3
		.amdhsa_float_denorm_mode_16_64 3
		.amdhsa_dx10_clamp 1
		.amdhsa_ieee_mode 1
		.amdhsa_fp16_overflow 0
		.amdhsa_workgroup_processor_mode 1
		.amdhsa_memory_ordered 1
		.amdhsa_forward_progress 0
		.amdhsa_shared_vgpr_count 0
		.amdhsa_exception_fp_ieee_invalid_op 0
		.amdhsa_exception_fp_denorm_src 0
		.amdhsa_exception_fp_ieee_div_zero 0
		.amdhsa_exception_fp_ieee_overflow 0
		.amdhsa_exception_fp_ieee_underflow 0
		.amdhsa_exception_fp_ieee_inexact 0
		.amdhsa_exception_int_div_zero 0
	.end_amdhsa_kernel
	.section	.text._ZN9rocsolver6v33100L18getf2_small_kernelILi54E19rocblas_complex_numIdEiiPKPS3_EEvT1_T3_lS7_lPS7_llPT2_S7_S7_S9_l,"axG",@progbits,_ZN9rocsolver6v33100L18getf2_small_kernelILi54E19rocblas_complex_numIdEiiPKPS3_EEvT1_T3_lS7_lPS7_llPT2_S7_S7_S9_l,comdat
.Lfunc_end106:
	.size	_ZN9rocsolver6v33100L18getf2_small_kernelILi54E19rocblas_complex_numIdEiiPKPS3_EEvT1_T3_lS7_lPS7_llPT2_S7_S7_S9_l, .Lfunc_end106-_ZN9rocsolver6v33100L18getf2_small_kernelILi54E19rocblas_complex_numIdEiiPKPS3_EEvT1_T3_lS7_lPS7_llPT2_S7_S7_S9_l
                                        ; -- End function
	.section	.AMDGPU.csdata,"",@progbits
; Kernel info:
; codeLenInByte = 176048
; NumSgprs: 20
; NumVgprs: 256
; ScratchSize: 20
; MemoryBound: 0
; FloatMode: 240
; IeeeMode: 1
; LDSByteSize: 0 bytes/workgroup (compile time only)
; SGPRBlocks: 2
; VGPRBlocks: 31
; NumSGPRsForWavesPerEU: 20
; NumVGPRsForWavesPerEU: 256
; Occupancy: 5
; WaveLimiterHint : 1
; COMPUTE_PGM_RSRC2:SCRATCH_EN: 1
; COMPUTE_PGM_RSRC2:USER_SGPR: 14
; COMPUTE_PGM_RSRC2:TRAP_HANDLER: 0
; COMPUTE_PGM_RSRC2:TGID_X_EN: 1
; COMPUTE_PGM_RSRC2:TGID_Y_EN: 1
; COMPUTE_PGM_RSRC2:TGID_Z_EN: 0
; COMPUTE_PGM_RSRC2:TIDIG_COMP_CNT: 1
	.section	.text._ZN9rocsolver6v33100L23getf2_npvt_small_kernelILi54E19rocblas_complex_numIdEiiPKPS3_EEvT1_T3_lS7_lPT2_S7_S7_,"axG",@progbits,_ZN9rocsolver6v33100L23getf2_npvt_small_kernelILi54E19rocblas_complex_numIdEiiPKPS3_EEvT1_T3_lS7_lPT2_S7_S7_,comdat
	.globl	_ZN9rocsolver6v33100L23getf2_npvt_small_kernelILi54E19rocblas_complex_numIdEiiPKPS3_EEvT1_T3_lS7_lPT2_S7_S7_ ; -- Begin function _ZN9rocsolver6v33100L23getf2_npvt_small_kernelILi54E19rocblas_complex_numIdEiiPKPS3_EEvT1_T3_lS7_lPT2_S7_S7_
	.p2align	8
	.type	_ZN9rocsolver6v33100L23getf2_npvt_small_kernelILi54E19rocblas_complex_numIdEiiPKPS3_EEvT1_T3_lS7_lPT2_S7_S7_,@function
_ZN9rocsolver6v33100L23getf2_npvt_small_kernelILi54E19rocblas_complex_numIdEiiPKPS3_EEvT1_T3_lS7_lPT2_S7_S7_: ; @_ZN9rocsolver6v33100L23getf2_npvt_small_kernelILi54E19rocblas_complex_numIdEiiPKPS3_EEvT1_T3_lS7_lPT2_S7_S7_
; %bb.0:
	s_clause 0x1
	s_load_b32 s2, s[0:1], 0x44
	s_load_b64 s[10:11], s[0:1], 0x30
	v_bfe_u32 v1, v0, 10, 10
	s_waitcnt lgkmcnt(0)
	s_lshr_b32 s8, s2, 16
	s_mov_b32 s2, exec_lo
	s_delay_alu instid0(VALU_DEP_1) | instskip(NEXT) | instid1(VALU_DEP_1)
	v_mad_u64_u32 v[2:3], null, s15, s8, v[1:2]
	v_cmpx_gt_i32_e64 s10, v2
	s_cbranch_execnz .LBB107_1
; %bb.492:
	s_getpc_b64 s[16:17]
.Lpost_getpc15:
	s_add_u32 s16, s16, (.LBB107_491-.Lpost_getpc15)&4294967295
	s_addc_u32 s17, s17, (.LBB107_491-.Lpost_getpc15)>>32
	s_setpc_b64 s[16:17]
.LBB107_1:
	s_clause 0x1
	s_load_b128 s[4:7], s[0:1], 0x8
	s_load_b32 s2, s[0:1], 0x18
	v_ashrrev_i32_e32 v3, 31, v2
	v_and_b32_e32 v215, 0x3ff, v0
	s_mulk_i32 s8, 0x360
	v_mad_u32_u24 v214, 0x360, v1, 0
	scratch_store_b64 off, v[2:3], off offset:1184 ; 8-byte Folded Spill
	v_lshlrev_b64 v[2:3], 3, v[2:3]
	s_waitcnt lgkmcnt(0)
	s_delay_alu instid0(VALU_DEP_1) | instskip(NEXT) | instid1(VALU_DEP_2)
	v_add_co_u32 v2, vcc_lo, s4, v2
	v_add_co_ci_u32_e32 v3, vcc_lo, s5, v3, vcc_lo
	v_add3_u32 v4, s2, s2, v215
	s_lshl_b64 s[4:5], s[6:7], 4
	s_ashr_i32 s3, s2, 31
	global_load_b64 v[2:3], v[2:3], off
	v_add_nc_u32_e32 v8, s2, v4
	v_ashrrev_i32_e32 v5, 31, v4
	s_delay_alu instid0(VALU_DEP_2) | instskip(SKIP_1) | instid1(VALU_DEP_3)
	v_add_nc_u32_e32 v13, s2, v8
	v_ashrrev_i32_e32 v9, 31, v8
	v_lshlrev_b64 v[6:7], 4, v[4:5]
	s_delay_alu instid0(VALU_DEP_3) | instskip(SKIP_1) | instid1(VALU_DEP_4)
	v_add_nc_u32_e32 v10, s2, v13
	v_ashrrev_i32_e32 v14, 31, v13
	v_lshlrev_b64 v[8:9], 4, v[8:9]
	s_delay_alu instid0(VALU_DEP_3) | instskip(SKIP_1) | instid1(VALU_DEP_4)
	v_add_nc_u32_e32 v12, s2, v10
	v_ashrrev_i32_e32 v11, 31, v10
	v_lshlrev_b64 v[4:5], 4, v[13:14]
	s_delay_alu instid0(VALU_DEP_3) | instskip(SKIP_1) | instid1(VALU_DEP_4)
	v_add_nc_u32_e32 v16, s2, v12
	v_ashrrev_i32_e32 v13, 31, v12
	v_lshlrev_b64 v[10:11], 4, v[10:11]
	s_delay_alu instid0(VALU_DEP_3) | instskip(SKIP_1) | instid1(VALU_DEP_4)
	v_add_nc_u32_e32 v21, s2, v16
	v_ashrrev_i32_e32 v17, 31, v16
	v_lshlrev_b64 v[14:15], 4, v[12:13]
	s_delay_alu instid0(VALU_DEP_3) | instskip(SKIP_1) | instid1(VALU_DEP_4)
	v_add_nc_u32_e32 v18, s2, v21
	v_ashrrev_i32_e32 v22, 31, v21
	v_lshlrev_b64 v[16:17], 4, v[16:17]
	s_delay_alu instid0(VALU_DEP_3) | instskip(SKIP_1) | instid1(VALU_DEP_4)
	v_add_nc_u32_e32 v20, s2, v18
	v_ashrrev_i32_e32 v19, 31, v18
	v_lshlrev_b64 v[12:13], 4, v[21:22]
	s_delay_alu instid0(VALU_DEP_3) | instskip(SKIP_1) | instid1(VALU_DEP_4)
	v_add_nc_u32_e32 v24, s2, v20
	v_ashrrev_i32_e32 v21, 31, v20
	v_lshlrev_b64 v[18:19], 4, v[18:19]
	s_delay_alu instid0(VALU_DEP_3) | instskip(SKIP_1) | instid1(VALU_DEP_4)
	v_add_nc_u32_e32 v29, s2, v24
	v_ashrrev_i32_e32 v25, 31, v24
	v_lshlrev_b64 v[22:23], 4, v[20:21]
	s_delay_alu instid0(VALU_DEP_3) | instskip(SKIP_1) | instid1(VALU_DEP_4)
	v_add_nc_u32_e32 v26, s2, v29
	v_ashrrev_i32_e32 v30, 31, v29
	v_lshlrev_b64 v[24:25], 4, v[24:25]
	s_delay_alu instid0(VALU_DEP_3) | instskip(SKIP_1) | instid1(VALU_DEP_4)
	v_add_nc_u32_e32 v28, s2, v26
	v_ashrrev_i32_e32 v27, 31, v26
	v_lshlrev_b64 v[20:21], 4, v[29:30]
	s_delay_alu instid0(VALU_DEP_3) | instskip(SKIP_1) | instid1(VALU_DEP_4)
	v_add_nc_u32_e32 v32, s2, v28
	v_ashrrev_i32_e32 v29, 31, v28
	v_lshlrev_b64 v[26:27], 4, v[26:27]
	s_delay_alu instid0(VALU_DEP_3) | instskip(NEXT) | instid1(VALU_DEP_3)
	v_add_nc_u32_e32 v39, s2, v32
	v_lshlrev_b64 v[30:31], 4, v[28:29]
	v_ashrrev_i32_e32 v33, 31, v32
	s_delay_alu instid0(VALU_DEP_3) | instskip(SKIP_1) | instid1(VALU_DEP_3)
	v_add_nc_u32_e32 v34, s2, v39
	v_ashrrev_i32_e32 v40, 31, v39
	v_lshlrev_b64 v[32:33], 4, v[32:33]
	s_delay_alu instid0(VALU_DEP_3) | instskip(NEXT) | instid1(VALU_DEP_3)
	v_add_nc_u32_e32 v38, s2, v34
	v_lshlrev_b64 v[28:29], 4, v[39:40]
	v_ashrrev_i32_e32 v35, 31, v34
	s_delay_alu instid0(VALU_DEP_3) | instskip(SKIP_1) | instid1(VALU_DEP_3)
	v_add_nc_u32_e32 v36, s2, v38
	v_ashrrev_i32_e32 v39, 31, v38
	v_lshlrev_b64 v[34:35], 4, v[34:35]
	s_delay_alu instid0(VALU_DEP_3) | instskip(SKIP_1) | instid1(VALU_DEP_4)
	v_add_nc_u32_e32 v47, s2, v36
	v_ashrrev_i32_e32 v37, 31, v36
	v_lshlrev_b64 v[38:39], 4, v[38:39]
	s_delay_alu instid0(VALU_DEP_3) | instskip(SKIP_1) | instid1(VALU_DEP_4)
	v_add_nc_u32_e32 v42, s2, v47
	v_ashrrev_i32_e32 v48, 31, v47
	v_lshlrev_b64 v[40:41], 4, v[36:37]
	s_delay_alu instid0(VALU_DEP_3) | instskip(NEXT) | instid1(VALU_DEP_3)
	v_add_nc_u32_e32 v46, s2, v42
	v_lshlrev_b64 v[36:37], 4, v[47:48]
	v_ashrrev_i32_e32 v43, 31, v42
	s_delay_alu instid0(VALU_DEP_3) | instskip(SKIP_1) | instid1(VALU_DEP_3)
	v_add_nc_u32_e32 v44, s2, v46
	v_ashrrev_i32_e32 v47, 31, v46
	v_lshlrev_b64 v[42:43], 4, v[42:43]
	s_delay_alu instid0(VALU_DEP_3) | instskip(SKIP_1) | instid1(VALU_DEP_4)
	v_add_nc_u32_e32 v50, s2, v44
	v_ashrrev_i32_e32 v45, 31, v44
	v_lshlrev_b64 v[46:47], 4, v[46:47]
	s_delay_alu instid0(VALU_DEP_3) | instskip(SKIP_1) | instid1(VALU_DEP_4)
	;; [unrolled: 4-line block ×3, first 2 shown]
	v_add_nc_u32_e32 v54, s2, v52
	v_ashrrev_i32_e32 v53, 31, v52
	v_lshlrev_b64 v[44:45], 4, v[50:51]
	s_delay_alu instid0(VALU_DEP_3) | instskip(NEXT) | instid1(VALU_DEP_3)
	v_add_nc_u32_e32 v56, s2, v54
	v_lshlrev_b64 v[50:51], 4, v[52:53]
	v_ashrrev_i32_e32 v55, 31, v54
	s_delay_alu instid0(VALU_DEP_3) | instskip(SKIP_1) | instid1(VALU_DEP_3)
	v_add_nc_u32_e32 v58, s2, v56
	v_ashrrev_i32_e32 v57, 31, v56
	v_lshlrev_b64 v[54:55], 4, v[54:55]
	s_delay_alu instid0(VALU_DEP_3) | instskip(SKIP_1) | instid1(VALU_DEP_4)
	v_add_nc_u32_e32 v60, s2, v58
	v_ashrrev_i32_e32 v59, 31, v58
	v_lshlrev_b64 v[56:57], 4, v[56:57]
	s_delay_alu instid0(VALU_DEP_3) | instskip(SKIP_1) | instid1(VALU_DEP_4)
	v_add_nc_u32_e32 v62, s2, v60
	v_ashrrev_i32_e32 v61, 31, v60
	v_lshlrev_b64 v[52:53], 4, v[58:59]
	s_delay_alu instid0(VALU_DEP_3) | instskip(NEXT) | instid1(VALU_DEP_3)
	v_add_nc_u32_e32 v64, s2, v62
	v_lshlrev_b64 v[58:59], 4, v[60:61]
	v_ashrrev_i32_e32 v63, 31, v62
	s_delay_alu instid0(VALU_DEP_3) | instskip(SKIP_1) | instid1(VALU_DEP_3)
	v_add_nc_u32_e32 v66, s2, v64
	v_ashrrev_i32_e32 v65, 31, v64
	v_lshlrev_b64 v[62:63], 4, v[62:63]
	s_delay_alu instid0(VALU_DEP_3) | instskip(SKIP_1) | instid1(VALU_DEP_4)
	v_add_nc_u32_e32 v68, s2, v66
	v_ashrrev_i32_e32 v67, 31, v66
	v_lshlrev_b64 v[64:65], 4, v[64:65]
	s_delay_alu instid0(VALU_DEP_3) | instskip(NEXT) | instid1(VALU_DEP_3)
	v_add_nc_u32_e32 v70, s2, v68
	v_lshlrev_b64 v[60:61], 4, v[66:67]
	v_ashrrev_i32_e32 v69, 31, v68
	s_delay_alu instid0(VALU_DEP_3) | instskip(SKIP_1) | instid1(VALU_DEP_3)
	v_add_nc_u32_e32 v72, s2, v70
	v_ashrrev_i32_e32 v71, 31, v70
	v_lshlrev_b64 v[68:69], 4, v[68:69]
	s_delay_alu instid0(VALU_DEP_3) | instskip(SKIP_1) | instid1(VALU_DEP_4)
	v_add_nc_u32_e32 v74, s2, v72
	v_ashrrev_i32_e32 v73, 31, v72
	v_lshlrev_b64 v[70:71], 4, v[70:71]
	s_delay_alu instid0(VALU_DEP_3) | instskip(SKIP_1) | instid1(VALU_DEP_4)
	;; [unrolled: 4-line block ×16, first 2 shown]
	v_ashrrev_i32_e32 v101, 31, v100
	v_add_nc_u32_e32 v102, s2, v100
	v_lshlrev_b64 v[98:99], 4, v[98:99]
	s_delay_alu instid0(VALU_DEP_2) | instskip(SKIP_4) | instid1(VALU_DEP_3)
	v_ashrrev_i32_e32 v103, 31, v102
	s_waitcnt vmcnt(0)
	v_add_co_u32 v0, vcc_lo, v2, s4
	v_add_co_ci_u32_e32 v104, vcc_lo, s5, v3, vcc_lo
	v_lshlrev_b64 v[2:3], 4, v[100:101]
	v_add_co_u32 v151, vcc_lo, v0, v6
	s_delay_alu instid0(VALU_DEP_3)
	v_add_co_ci_u32_e32 v152, vcc_lo, v104, v7, vcc_lo
	v_add_co_u32 v149, vcc_lo, v0, v8
	v_add_co_ci_u32_e32 v150, vcc_lo, v104, v9, vcc_lo
	v_add_co_u32 v147, vcc_lo, v0, v4
	;; [unrolled: 2-line block ×44, first 2 shown]
	v_add_co_ci_u32_e32 v15, vcc_lo, v104, v93, vcc_lo
	v_add_nc_u32_e32 v4, s2, v102
	v_add_co_u32 v10, vcc_lo, v0, v94
	v_add_co_ci_u32_e32 v11, vcc_lo, v104, v95, vcc_lo
	v_add_co_u32 v205, vcc_lo, v0, v96
	s_delay_alu instid0(VALU_DEP_4)
	v_add_nc_u32_e32 v8, s2, v4
	v_add_co_ci_u32_e32 v206, vcc_lo, v104, v97, vcc_lo
	v_add_co_u32 v12, vcc_lo, v0, v98
	v_ashrrev_i32_e32 v5, 31, v4
	v_add_co_ci_u32_e32 v13, vcc_lo, v104, v99, vcc_lo
	v_lshlrev_b64 v[6:7], 4, v[102:103]
	v_add_co_u32 v211, vcc_lo, v0, v2
	v_ashrrev_i32_e32 v9, 31, v8
	v_add_co_ci_u32_e32 v212, vcc_lo, v104, v3, vcc_lo
	v_lshlrev_b64 v[2:3], 4, v[4:5]
	v_add_co_u32 v209, vcc_lo, v0, v6
	s_delay_alu instid0(VALU_DEP_4) | instskip(SKIP_1) | instid1(VALU_DEP_4)
	v_lshlrev_b64 v[4:5], 4, v[8:9]
	v_add_co_ci_u32_e32 v210, vcc_lo, v104, v7, vcc_lo
	v_add_co_u32 v6, vcc_lo, v0, v2
	v_lshlrev_b32_e32 v2, 4, v215
	v_add_co_ci_u32_e32 v7, vcc_lo, v104, v3, vcc_lo
	v_add_co_u32 v207, vcc_lo, v0, v4
	v_add_co_ci_u32_e32 v208, vcc_lo, v104, v5, vcc_lo
	s_delay_alu instid0(VALU_DEP_4)
	v_add_co_u32 v2, vcc_lo, v0, v2
	v_add_co_ci_u32_e32 v3, vcc_lo, 0, v104, vcc_lo
	v_lshlrev_b32_e32 v0, 4, v1
	s_lshl_b64 s[2:3], s[2:3], 4
	s_delay_alu instid0(VALU_DEP_3) | instid1(SALU_CYCLE_1)
	v_add_co_u32 v4, vcc_lo, v2, s2
	s_delay_alu instid0(VALU_DEP_3) | instskip(NEXT) | instid1(VALU_DEP_3)
	v_add_co_ci_u32_e32 v5, vcc_lo, s3, v3, vcc_lo
	v_add3_u32 v204, 0, s8, v0
	scratch_store_b64 off, v[2:3], off offset:456 ; 8-byte Folded Spill
	global_load_b128 v[0:3], v[2:3], off
	v_cmp_ne_u32_e64 s3, 0, v215
	v_cmp_eq_u32_e64 s2, 0, v215
	s_waitcnt vmcnt(0)
	s_clause 0x1
	scratch_store_b128 off, v[0:3], off offset:32
	scratch_store_b64 off, v[4:5], off offset:464
	global_load_b128 v[0:3], v[4:5], off
	s_waitcnt vmcnt(0)
	s_clause 0x1
	scratch_store_b128 off, v[0:3], off offset:16
	scratch_store_b64 off, v[151:152], off offset:448
	global_load_b128 v[0:3], v[151:152], off
	s_waitcnt vmcnt(0)
	s_clause 0x1
	scratch_store_b128 off, v[0:3], off
	scratch_store_b64 off, v[149:150], off offset:440
	global_load_b128 v[200:203], v[149:150], off
	s_clause 0x1
	scratch_store_b64 off, v[147:148], off offset:432
	scratch_store_b64 off, v[205:206], off offset:936
	s_clause 0x1
	global_load_b128 v[196:199], v[147:148], off
	global_load_b128 v[192:195], v[145:146], off
	s_clause 0x3
	scratch_store_b64 off, v[145:146], off offset:424
	scratch_store_b64 off, v[143:144], off offset:416
	scratch_store_b64 off, v[141:142], off offset:408
	scratch_store_b64 off, v[139:140], off offset:400
	s_clause 0x3
	global_load_b128 v[188:191], v[143:144], off
	global_load_b128 v[184:187], v[141:142], off
	global_load_b128 v[180:183], v[139:140], off
	global_load_b128 v[176:179], v[137:138], off
	s_clause 0x3
	scratch_store_b64 off, v[137:138], off offset:392
	scratch_store_b64 off, v[135:136], off offset:384
	scratch_store_b64 off, v[133:134], off offset:376
	scratch_store_b64 off, v[131:132], off offset:368
	s_clause 0x3
	global_load_b128 v[172:175], v[135:136], off
	global_load_b128 v[168:171], v[133:134], off
	global_load_b128 v[164:167], v[131:132], off
	global_load_b128 v[160:163], v[129:130], off
	s_clause 0x3
	scratch_store_b64 off, v[129:130], off offset:360
	scratch_store_b64 off, v[127:128], off offset:352
	scratch_store_b64 off, v[125:126], off offset:344
	scratch_store_b64 off, v[123:124], off offset:336
	s_clause 0x1
	global_load_b128 v[156:159], v[127:128], off
	global_load_b128 v[152:155], v[125:126], off
	s_clause 0x3
	scratch_store_b64 off, v[121:122], off offset:328
	scratch_store_b64 off, v[119:120], off offset:320
	;; [unrolled: 1-line block ×4, first 2 shown]
	s_clause 0x4
	global_load_b128 v[144:147], v[121:122], off
	global_load_b128 v[140:143], v[119:120], off
	;; [unrolled: 1-line block ×5, first 2 shown]
	s_clause 0x3
	scratch_store_b64 off, v[113:114], off offset:296
	scratch_store_b64 off, v[111:112], off offset:288
	;; [unrolled: 1-line block ×4, first 2 shown]
	global_load_b128 v[116:119], v[107:108], off
	s_clause 0x7
	scratch_store_b64 off, v[105:106], off offset:264
	scratch_store_b64 off, v[100:101], off offset:256
	scratch_store_b64 off, v[54:55], off offset:248
	scratch_store_b64 off, v[50:51], off offset:240
	scratch_store_b64 off, v[48:49], off offset:232
	scratch_store_b64 off, v[46:47], off offset:224
	scratch_store_b64 off, v[44:45], off offset:216
	scratch_store_b64 off, v[42:43], off offset:208
	s_clause 0x4
	global_load_b128 v[96:99], v[48:49], off
	global_load_b128 v[92:95], v[46:47], off
	;; [unrolled: 1-line block ×5, first 2 shown]
	s_clause 0x3
	scratch_store_b64 off, v[40:41], off offset:200
	scratch_store_b64 off, v[38:39], off offset:192
	;; [unrolled: 1-line block ×4, first 2 shown]
	s_clause 0x3
	global_load_b128 v[76:79], v[38:39], off
	global_load_b128 v[72:75], v[36:37], off
	;; [unrolled: 1-line block ×4, first 2 shown]
	s_clause 0x3
	scratch_store_b64 off, v[32:33], off offset:168
	scratch_store_b64 off, v[30:31], off offset:160
	;; [unrolled: 1-line block ×4, first 2 shown]
	s_clause 0x1
	global_load_b128 v[60:63], v[30:31], off
	global_load_b128 v[56:59], v[28:29], off
	s_clause 0x3
	scratch_store_b64 off, v[24:25], off offset:136
	scratch_store_b64 off, v[22:23], off offset:128
	;; [unrolled: 1-line block ×4, first 2 shown]
	s_clause 0x3
	global_load_b128 v[44:47], v[22:23], off
	global_load_b128 v[40:43], v[20:21], off
	;; [unrolled: 1-line block ×4, first 2 shown]
	s_clause 0x1
	scratch_store_b64 off, v[16:17], off offset:88
	scratch_store_b64 off, v[209:210], off offset:96
	s_clause 0x1
	global_load_b128 v[28:31], v[14:15], off
	global_load_b128 v[16:19], v[12:13], off
	s_clause 0x3
	scratch_store_b64 off, v[10:11], off offset:48
	scratch_store_b64 off, v[12:13], off offset:56
	;; [unrolled: 1-line block ×4, first 2 shown]
	s_clause 0xb
	global_load_b128 v[20:23], v[205:206], off
	global_load_b128 v[148:151], v[123:124], off
	;; [unrolled: 1-line block ×12, first 2 shown]
	scratch_store_b64 off, v[6:7], off offset:80 ; 8-byte Folded Spill
	s_clause 0x2
	global_load_b128 v[4:7], v[6:7], off
	global_load_b128 v[8:11], v[209:210], off
	;; [unrolled: 1-line block ×3, first 2 shown]
	scratch_store_b64 off, v[211:212], off offset:104 ; 8-byte Folded Spill
	s_and_saveexec_b32 s5, s2
	s_cbranch_execz .LBB107_8
; %bb.2:
	scratch_load_b128 v[207:210], off, off offset:32 ; 16-byte Folded Reload
	s_waitcnt vmcnt(0)
	ds_store_2addr_b64 v204, v[207:208], v[209:210] offset1:1
	scratch_load_b128 v[207:210], off, off offset:16 ; 16-byte Folded Reload
	s_waitcnt vmcnt(0)
	ds_store_2addr_b64 v214, v[207:208], v[209:210] offset0:2 offset1:3
	scratch_load_b128 v[207:210], off, off  ; 16-byte Folded Reload
	s_waitcnt vmcnt(0)
	ds_store_2addr_b64 v214, v[207:208], v[209:210] offset0:4 offset1:5
	ds_store_2addr_b64 v214, v[200:201], v[202:203] offset0:6 offset1:7
	;; [unrolled: 1-line block ×52, first 2 shown]
	ds_load_2addr_b64 v[216:219], v204 offset1:1
	s_waitcnt lgkmcnt(0)
	v_cmp_neq_f64_e32 vcc_lo, 0, v[216:217]
	v_cmp_neq_f64_e64 s4, 0, v[218:219]
	s_delay_alu instid0(VALU_DEP_1) | instskip(NEXT) | instid1(SALU_CYCLE_1)
	s_or_b32 s4, vcc_lo, s4
	s_and_b32 exec_lo, exec_lo, s4
	s_cbranch_execz .LBB107_8
; %bb.3:
	v_cmp_gt_f64_e32 vcc_lo, 0, v[216:217]
	v_xor_b32_e32 v208, 0x80000000, v217
	s_delay_alu instid0(VALU_DEP_1) | instskip(SKIP_3) | instid1(VALU_DEP_1)
	v_cndmask_b32_e32 v213, v217, v208, vcc_lo
	v_cndmask_b32_e32 v212, v216, v216, vcc_lo
	v_cmp_gt_f64_e32 vcc_lo, 0, v[218:219]
	v_xor_b32_e32 v208, 0x80000000, v219
	v_dual_cndmask_b32 v220, v218, v218 :: v_dual_cndmask_b32 v221, v219, v208
	s_delay_alu instid0(VALU_DEP_1) | instskip(SKIP_1) | instid1(SALU_CYCLE_1)
	v_cmp_ngt_f64_e32 vcc_lo, v[212:213], v[220:221]
                                        ; implicit-def: $vgpr212_vgpr213
	s_and_saveexec_b32 s4, vcc_lo
	s_xor_b32 s4, exec_lo, s4
                                        ; implicit-def: $vgpr220_vgpr221_vgpr222_vgpr223
	s_cbranch_execz .LBB107_5
; %bb.4:
	v_div_scale_f64 v[212:213], null, v[218:219], v[218:219], v[216:217]
	v_div_scale_f64 v[224:225], vcc_lo, v[216:217], v[218:219], v[216:217]
	s_delay_alu instid0(VALU_DEP_2) | instskip(SKIP_2) | instid1(VALU_DEP_1)
	v_rcp_f64_e32 v[220:221], v[212:213]
	s_waitcnt_depctr 0xfff
	v_fma_f64 v[222:223], -v[212:213], v[220:221], 1.0
	v_fma_f64 v[220:221], v[220:221], v[222:223], v[220:221]
	s_delay_alu instid0(VALU_DEP_1) | instskip(NEXT) | instid1(VALU_DEP_1)
	v_fma_f64 v[222:223], -v[212:213], v[220:221], 1.0
	v_fma_f64 v[220:221], v[220:221], v[222:223], v[220:221]
	s_delay_alu instid0(VALU_DEP_1) | instskip(NEXT) | instid1(VALU_DEP_1)
	v_mul_f64 v[222:223], v[224:225], v[220:221]
	v_fma_f64 v[212:213], -v[212:213], v[222:223], v[224:225]
	s_delay_alu instid0(VALU_DEP_1) | instskip(NEXT) | instid1(VALU_DEP_1)
	v_div_fmas_f64 v[212:213], v[212:213], v[220:221], v[222:223]
	v_div_fixup_f64 v[212:213], v[212:213], v[218:219], v[216:217]
	s_delay_alu instid0(VALU_DEP_1) | instskip(NEXT) | instid1(VALU_DEP_1)
	v_fma_f64 v[216:217], v[216:217], v[212:213], v[218:219]
	v_div_scale_f64 v[218:219], null, v[216:217], v[216:217], 1.0
	s_delay_alu instid0(VALU_DEP_1) | instskip(SKIP_2) | instid1(VALU_DEP_1)
	v_rcp_f64_e32 v[220:221], v[218:219]
	s_waitcnt_depctr 0xfff
	v_fma_f64 v[222:223], -v[218:219], v[220:221], 1.0
	v_fma_f64 v[220:221], v[220:221], v[222:223], v[220:221]
	s_delay_alu instid0(VALU_DEP_1) | instskip(NEXT) | instid1(VALU_DEP_1)
	v_fma_f64 v[222:223], -v[218:219], v[220:221], 1.0
	v_fma_f64 v[220:221], v[220:221], v[222:223], v[220:221]
	v_div_scale_f64 v[222:223], vcc_lo, 1.0, v[216:217], 1.0
	s_delay_alu instid0(VALU_DEP_1) | instskip(NEXT) | instid1(VALU_DEP_1)
	v_mul_f64 v[224:225], v[222:223], v[220:221]
	v_fma_f64 v[218:219], -v[218:219], v[224:225], v[222:223]
	s_delay_alu instid0(VALU_DEP_1) | instskip(NEXT) | instid1(VALU_DEP_1)
	v_div_fmas_f64 v[218:219], v[218:219], v[220:221], v[224:225]
	v_div_fixup_f64 v[222:223], v[218:219], v[216:217], 1.0
                                        ; implicit-def: $vgpr216_vgpr217
	s_delay_alu instid0(VALU_DEP_1)
	v_mul_f64 v[212:213], v[212:213], v[222:223]
	v_xor_b32_e32 v223, 0x80000000, v223
.LBB107_5:
	s_and_not1_saveexec_b32 s4, s4
	s_cbranch_execz .LBB107_7
; %bb.6:
	v_div_scale_f64 v[212:213], null, v[216:217], v[216:217], v[218:219]
	v_div_scale_f64 v[224:225], vcc_lo, v[218:219], v[216:217], v[218:219]
	s_delay_alu instid0(VALU_DEP_2) | instskip(SKIP_2) | instid1(VALU_DEP_1)
	v_rcp_f64_e32 v[220:221], v[212:213]
	s_waitcnt_depctr 0xfff
	v_fma_f64 v[222:223], -v[212:213], v[220:221], 1.0
	v_fma_f64 v[220:221], v[220:221], v[222:223], v[220:221]
	s_delay_alu instid0(VALU_DEP_1) | instskip(NEXT) | instid1(VALU_DEP_1)
	v_fma_f64 v[222:223], -v[212:213], v[220:221], 1.0
	v_fma_f64 v[220:221], v[220:221], v[222:223], v[220:221]
	s_delay_alu instid0(VALU_DEP_1) | instskip(NEXT) | instid1(VALU_DEP_1)
	v_mul_f64 v[222:223], v[224:225], v[220:221]
	v_fma_f64 v[212:213], -v[212:213], v[222:223], v[224:225]
	s_delay_alu instid0(VALU_DEP_1) | instskip(NEXT) | instid1(VALU_DEP_1)
	v_div_fmas_f64 v[212:213], v[212:213], v[220:221], v[222:223]
	v_div_fixup_f64 v[220:221], v[212:213], v[216:217], v[218:219]
	s_delay_alu instid0(VALU_DEP_1) | instskip(NEXT) | instid1(VALU_DEP_1)
	v_fma_f64 v[212:213], v[218:219], v[220:221], v[216:217]
	v_div_scale_f64 v[216:217], null, v[212:213], v[212:213], 1.0
	s_delay_alu instid0(VALU_DEP_1) | instskip(SKIP_2) | instid1(VALU_DEP_1)
	v_rcp_f64_e32 v[218:219], v[216:217]
	s_waitcnt_depctr 0xfff
	v_fma_f64 v[222:223], -v[216:217], v[218:219], 1.0
	v_fma_f64 v[218:219], v[218:219], v[222:223], v[218:219]
	s_delay_alu instid0(VALU_DEP_1) | instskip(NEXT) | instid1(VALU_DEP_1)
	v_fma_f64 v[222:223], -v[216:217], v[218:219], 1.0
	v_fma_f64 v[218:219], v[218:219], v[222:223], v[218:219]
	v_div_scale_f64 v[222:223], vcc_lo, 1.0, v[212:213], 1.0
	s_delay_alu instid0(VALU_DEP_1) | instskip(NEXT) | instid1(VALU_DEP_1)
	v_mul_f64 v[224:225], v[222:223], v[218:219]
	v_fma_f64 v[216:217], -v[216:217], v[224:225], v[222:223]
	s_delay_alu instid0(VALU_DEP_1) | instskip(NEXT) | instid1(VALU_DEP_1)
	v_div_fmas_f64 v[216:217], v[216:217], v[218:219], v[224:225]
	v_div_fixup_f64 v[212:213], v[216:217], v[212:213], 1.0
	s_delay_alu instid0(VALU_DEP_1)
	v_mul_f64 v[222:223], v[220:221], -v[212:213]
.LBB107_7:
	s_or_b32 exec_lo, exec_lo, s4
	ds_store_2addr_b64 v204, v[212:213], v[222:223] offset1:1
.LBB107_8:
	s_or_b32 exec_lo, exec_lo, s5
	s_waitcnt vmcnt(0) lgkmcnt(0)
	s_waitcnt_vscnt null, 0x0
	s_barrier
	buffer_gl0_inv
	ds_load_2addr_b64 v[207:210], v204 offset1:1
	s_waitcnt lgkmcnt(0)
	scratch_store_b128 off, v[207:210], off offset:472 ; 16-byte Folded Spill
	s_and_saveexec_b32 s4, s3
	s_cbranch_execz .LBB107_10
; %bb.9:
	s_clause 0x1
	scratch_load_b128 v[220:223], off, off offset:32
	scratch_load_b128 v[207:210], off, off offset:472
	s_waitcnt vmcnt(0)
	v_mul_f64 v[212:213], v[209:210], v[222:223]
	s_delay_alu instid0(VALU_DEP_1) | instskip(SKIP_1) | instid1(VALU_DEP_1)
	v_fma_f64 v[216:217], v[207:208], v[220:221], -v[212:213]
	v_mul_f64 v[212:213], v[207:208], v[222:223]
	v_fma_f64 v[222:223], v[209:210], v[220:221], v[212:213]
	scratch_load_b128 v[207:210], off, off offset:16 ; 16-byte Folded Reload
	ds_load_2addr_b64 v[218:221], v214 offset0:2 offset1:3
	s_waitcnt lgkmcnt(0)
	v_mul_f64 v[212:213], v[220:221], v[222:223]
	s_delay_alu instid0(VALU_DEP_1) | instskip(SKIP_1) | instid1(VALU_DEP_1)
	v_fma_f64 v[212:213], v[218:219], v[216:217], -v[212:213]
	v_mul_f64 v[218:219], v[218:219], v[222:223]
	v_fma_f64 v[218:219], v[220:221], v[216:217], v[218:219]
	s_waitcnt vmcnt(0)
	s_delay_alu instid0(VALU_DEP_3) | instskip(NEXT) | instid1(VALU_DEP_2)
	v_add_f64 v[207:208], v[207:208], -v[212:213]
	v_add_f64 v[209:210], v[209:210], -v[218:219]
	ds_load_2addr_b64 v[218:221], v214 offset0:4 offset1:5
	s_waitcnt lgkmcnt(0)
	v_mul_f64 v[212:213], v[220:221], v[222:223]
	scratch_store_b128 off, v[207:210], off offset:16 ; 16-byte Folded Spill
	scratch_load_b128 v[207:210], off, off  ; 16-byte Folded Reload
	v_fma_f64 v[212:213], v[218:219], v[216:217], -v[212:213]
	v_mul_f64 v[218:219], v[218:219], v[222:223]
	s_delay_alu instid0(VALU_DEP_1) | instskip(SKIP_1) | instid1(VALU_DEP_1)
	v_fma_f64 v[218:219], v[220:221], v[216:217], v[218:219]
	s_waitcnt vmcnt(0)
	v_add_f64 v[209:210], v[209:210], -v[218:219]
	ds_load_2addr_b64 v[218:221], v214 offset0:6 offset1:7
	v_add_f64 v[207:208], v[207:208], -v[212:213]
	s_waitcnt lgkmcnt(0)
	v_mul_f64 v[212:213], v[220:221], v[222:223]
	s_delay_alu instid0(VALU_DEP_1) | instskip(SKIP_1) | instid1(VALU_DEP_2)
	v_fma_f64 v[212:213], v[218:219], v[216:217], -v[212:213]
	v_mul_f64 v[218:219], v[218:219], v[222:223]
	v_add_f64 v[200:201], v[200:201], -v[212:213]
	s_delay_alu instid0(VALU_DEP_2) | instskip(NEXT) | instid1(VALU_DEP_1)
	v_fma_f64 v[218:219], v[220:221], v[216:217], v[218:219]
	v_add_f64 v[202:203], v[202:203], -v[218:219]
	ds_load_2addr_b64 v[218:221], v214 offset0:8 offset1:9
	s_waitcnt lgkmcnt(0)
	v_mul_f64 v[212:213], v[220:221], v[222:223]
	s_delay_alu instid0(VALU_DEP_1) | instskip(SKIP_1) | instid1(VALU_DEP_2)
	v_fma_f64 v[212:213], v[218:219], v[216:217], -v[212:213]
	v_mul_f64 v[218:219], v[218:219], v[222:223]
	v_add_f64 v[196:197], v[196:197], -v[212:213]
	s_delay_alu instid0(VALU_DEP_2) | instskip(NEXT) | instid1(VALU_DEP_1)
	v_fma_f64 v[218:219], v[220:221], v[216:217], v[218:219]
	v_add_f64 v[198:199], v[198:199], -v[218:219]
	ds_load_2addr_b64 v[218:221], v214 offset0:10 offset1:11
	;; [unrolled: 10-line block ×50, first 2 shown]
	s_waitcnt lgkmcnt(0)
	v_mul_f64 v[212:213], v[220:221], v[222:223]
	s_delay_alu instid0(VALU_DEP_1) | instskip(SKIP_1) | instid1(VALU_DEP_2)
	v_fma_f64 v[212:213], v[218:219], v[216:217], -v[212:213]
	v_mul_f64 v[218:219], v[218:219], v[222:223]
	v_add_f64 v[0:1], v[0:1], -v[212:213]
	s_delay_alu instid0(VALU_DEP_2)
	v_fma_f64 v[218:219], v[220:221], v[216:217], v[218:219]
	v_dual_mov_b32 v221, v217 :: v_dual_mov_b32 v220, v216
	s_clause 0x1
	scratch_store_b128 off, v[207:210], off
	scratch_store_b128 off, v[220:223], off offset:32
	v_add_f64 v[2:3], v[2:3], -v[218:219]
.LBB107_10:
	s_or_b32 exec_lo, exec_lo, s4
	s_delay_alu instid0(SALU_CYCLE_1)
	s_mov_b32 s4, exec_lo
	s_waitcnt_vscnt null, 0x0
	s_barrier
	buffer_gl0_inv
	v_cmpx_eq_u32_e32 1, v215
	s_cbranch_execz .LBB107_17
; %bb.11:
	scratch_load_b128 v[207:210], off, off offset:16 ; 16-byte Folded Reload
	s_waitcnt vmcnt(0)
	ds_store_2addr_b64 v204, v[207:208], v[209:210] offset1:1
	scratch_load_b128 v[207:210], off, off  ; 16-byte Folded Reload
	s_waitcnt vmcnt(0)
	ds_store_2addr_b64 v214, v[207:208], v[209:210] offset0:4 offset1:5
	ds_store_2addr_b64 v214, v[200:201], v[202:203] offset0:6 offset1:7
	;; [unrolled: 1-line block ×52, first 2 shown]
	ds_load_2addr_b64 v[216:219], v204 offset1:1
	s_waitcnt lgkmcnt(0)
	v_cmp_neq_f64_e32 vcc_lo, 0, v[216:217]
	v_cmp_neq_f64_e64 s3, 0, v[218:219]
	s_delay_alu instid0(VALU_DEP_1) | instskip(NEXT) | instid1(SALU_CYCLE_1)
	s_or_b32 s3, vcc_lo, s3
	s_and_b32 exec_lo, exec_lo, s3
	s_cbranch_execz .LBB107_17
; %bb.12:
	v_cmp_gt_f64_e32 vcc_lo, 0, v[216:217]
	v_xor_b32_e32 v208, 0x80000000, v217
	s_delay_alu instid0(VALU_DEP_1) | instskip(SKIP_3) | instid1(VALU_DEP_1)
	v_cndmask_b32_e32 v213, v217, v208, vcc_lo
	v_cndmask_b32_e32 v212, v216, v216, vcc_lo
	v_cmp_gt_f64_e32 vcc_lo, 0, v[218:219]
	v_xor_b32_e32 v208, 0x80000000, v219
	v_dual_cndmask_b32 v220, v218, v218 :: v_dual_cndmask_b32 v221, v219, v208
	s_delay_alu instid0(VALU_DEP_1) | instskip(SKIP_1) | instid1(SALU_CYCLE_1)
	v_cmp_ngt_f64_e32 vcc_lo, v[212:213], v[220:221]
                                        ; implicit-def: $vgpr212_vgpr213
	s_and_saveexec_b32 s3, vcc_lo
	s_xor_b32 s3, exec_lo, s3
                                        ; implicit-def: $vgpr220_vgpr221_vgpr222_vgpr223
	s_cbranch_execz .LBB107_14
; %bb.13:
	v_div_scale_f64 v[212:213], null, v[218:219], v[218:219], v[216:217]
	v_div_scale_f64 v[224:225], vcc_lo, v[216:217], v[218:219], v[216:217]
	s_delay_alu instid0(VALU_DEP_2) | instskip(SKIP_2) | instid1(VALU_DEP_1)
	v_rcp_f64_e32 v[220:221], v[212:213]
	s_waitcnt_depctr 0xfff
	v_fma_f64 v[222:223], -v[212:213], v[220:221], 1.0
	v_fma_f64 v[220:221], v[220:221], v[222:223], v[220:221]
	s_delay_alu instid0(VALU_DEP_1) | instskip(NEXT) | instid1(VALU_DEP_1)
	v_fma_f64 v[222:223], -v[212:213], v[220:221], 1.0
	v_fma_f64 v[220:221], v[220:221], v[222:223], v[220:221]
	s_delay_alu instid0(VALU_DEP_1) | instskip(NEXT) | instid1(VALU_DEP_1)
	v_mul_f64 v[222:223], v[224:225], v[220:221]
	v_fma_f64 v[212:213], -v[212:213], v[222:223], v[224:225]
	s_delay_alu instid0(VALU_DEP_1) | instskip(NEXT) | instid1(VALU_DEP_1)
	v_div_fmas_f64 v[212:213], v[212:213], v[220:221], v[222:223]
	v_div_fixup_f64 v[212:213], v[212:213], v[218:219], v[216:217]
	s_delay_alu instid0(VALU_DEP_1) | instskip(NEXT) | instid1(VALU_DEP_1)
	v_fma_f64 v[216:217], v[216:217], v[212:213], v[218:219]
	v_div_scale_f64 v[218:219], null, v[216:217], v[216:217], 1.0
	s_delay_alu instid0(VALU_DEP_1) | instskip(SKIP_2) | instid1(VALU_DEP_1)
	v_rcp_f64_e32 v[220:221], v[218:219]
	s_waitcnt_depctr 0xfff
	v_fma_f64 v[222:223], -v[218:219], v[220:221], 1.0
	v_fma_f64 v[220:221], v[220:221], v[222:223], v[220:221]
	s_delay_alu instid0(VALU_DEP_1) | instskip(NEXT) | instid1(VALU_DEP_1)
	v_fma_f64 v[222:223], -v[218:219], v[220:221], 1.0
	v_fma_f64 v[220:221], v[220:221], v[222:223], v[220:221]
	v_div_scale_f64 v[222:223], vcc_lo, 1.0, v[216:217], 1.0
	s_delay_alu instid0(VALU_DEP_1) | instskip(NEXT) | instid1(VALU_DEP_1)
	v_mul_f64 v[224:225], v[222:223], v[220:221]
	v_fma_f64 v[218:219], -v[218:219], v[224:225], v[222:223]
	s_delay_alu instid0(VALU_DEP_1) | instskip(NEXT) | instid1(VALU_DEP_1)
	v_div_fmas_f64 v[218:219], v[218:219], v[220:221], v[224:225]
	v_div_fixup_f64 v[222:223], v[218:219], v[216:217], 1.0
                                        ; implicit-def: $vgpr216_vgpr217
	s_delay_alu instid0(VALU_DEP_1)
	v_mul_f64 v[212:213], v[212:213], v[222:223]
	v_xor_b32_e32 v223, 0x80000000, v223
.LBB107_14:
	s_and_not1_saveexec_b32 s3, s3
	s_cbranch_execz .LBB107_16
; %bb.15:
	v_div_scale_f64 v[212:213], null, v[216:217], v[216:217], v[218:219]
	v_div_scale_f64 v[224:225], vcc_lo, v[218:219], v[216:217], v[218:219]
	s_delay_alu instid0(VALU_DEP_2) | instskip(SKIP_2) | instid1(VALU_DEP_1)
	v_rcp_f64_e32 v[220:221], v[212:213]
	s_waitcnt_depctr 0xfff
	v_fma_f64 v[222:223], -v[212:213], v[220:221], 1.0
	v_fma_f64 v[220:221], v[220:221], v[222:223], v[220:221]
	s_delay_alu instid0(VALU_DEP_1) | instskip(NEXT) | instid1(VALU_DEP_1)
	v_fma_f64 v[222:223], -v[212:213], v[220:221], 1.0
	v_fma_f64 v[220:221], v[220:221], v[222:223], v[220:221]
	s_delay_alu instid0(VALU_DEP_1) | instskip(NEXT) | instid1(VALU_DEP_1)
	v_mul_f64 v[222:223], v[224:225], v[220:221]
	v_fma_f64 v[212:213], -v[212:213], v[222:223], v[224:225]
	s_delay_alu instid0(VALU_DEP_1) | instskip(NEXT) | instid1(VALU_DEP_1)
	v_div_fmas_f64 v[212:213], v[212:213], v[220:221], v[222:223]
	v_div_fixup_f64 v[220:221], v[212:213], v[216:217], v[218:219]
	s_delay_alu instid0(VALU_DEP_1) | instskip(NEXT) | instid1(VALU_DEP_1)
	v_fma_f64 v[212:213], v[218:219], v[220:221], v[216:217]
	v_div_scale_f64 v[216:217], null, v[212:213], v[212:213], 1.0
	s_delay_alu instid0(VALU_DEP_1) | instskip(SKIP_2) | instid1(VALU_DEP_1)
	v_rcp_f64_e32 v[218:219], v[216:217]
	s_waitcnt_depctr 0xfff
	v_fma_f64 v[222:223], -v[216:217], v[218:219], 1.0
	v_fma_f64 v[218:219], v[218:219], v[222:223], v[218:219]
	s_delay_alu instid0(VALU_DEP_1) | instskip(NEXT) | instid1(VALU_DEP_1)
	v_fma_f64 v[222:223], -v[216:217], v[218:219], 1.0
	v_fma_f64 v[218:219], v[218:219], v[222:223], v[218:219]
	v_div_scale_f64 v[222:223], vcc_lo, 1.0, v[212:213], 1.0
	s_delay_alu instid0(VALU_DEP_1) | instskip(NEXT) | instid1(VALU_DEP_1)
	v_mul_f64 v[224:225], v[222:223], v[218:219]
	v_fma_f64 v[216:217], -v[216:217], v[224:225], v[222:223]
	s_delay_alu instid0(VALU_DEP_1) | instskip(NEXT) | instid1(VALU_DEP_1)
	v_div_fmas_f64 v[216:217], v[216:217], v[218:219], v[224:225]
	v_div_fixup_f64 v[212:213], v[216:217], v[212:213], 1.0
	s_delay_alu instid0(VALU_DEP_1)
	v_mul_f64 v[222:223], v[220:221], -v[212:213]
.LBB107_16:
	s_or_b32 exec_lo, exec_lo, s3
	ds_store_2addr_b64 v204, v[212:213], v[222:223] offset1:1
.LBB107_17:
	s_or_b32 exec_lo, exec_lo, s4
	s_waitcnt lgkmcnt(0)
	s_barrier
	buffer_gl0_inv
	ds_load_2addr_b64 v[207:210], v204 offset1:1
	s_mov_b32 s3, exec_lo
	s_waitcnt lgkmcnt(0)
	scratch_store_b128 off, v[207:210], off offset:488 ; 16-byte Folded Spill
	v_cmpx_lt_u32_e32 1, v215
	s_cbranch_execz .LBB107_19
; %bb.18:
	s_clause 0x1
	scratch_load_b128 v[208:211], off, off offset:16
	scratch_load_b128 v[218:221], off, off offset:488
	s_waitcnt vmcnt(0)
	v_mul_f64 v[212:213], v[220:221], v[210:211]
	v_mul_f64 v[210:211], v[218:219], v[210:211]
	s_delay_alu instid0(VALU_DEP_2) | instskip(NEXT) | instid1(VALU_DEP_2)
	v_fma_f64 v[216:217], v[218:219], v[208:209], -v[212:213]
	v_fma_f64 v[210:211], v[220:221], v[208:209], v[210:211]
	ds_load_2addr_b64 v[218:221], v214 offset0:4 offset1:5
	s_waitcnt lgkmcnt(0)
	v_mul_f64 v[208:209], v[220:221], v[210:211]
	v_mul_f64 v[212:213], v[218:219], v[210:211]
	s_delay_alu instid0(VALU_DEP_2) | instskip(NEXT) | instid1(VALU_DEP_2)
	v_fma_f64 v[208:209], v[218:219], v[216:217], -v[208:209]
	v_fma_f64 v[212:213], v[220:221], v[216:217], v[212:213]
	scratch_load_b128 v[218:221], off, off  ; 16-byte Folded Reload
	s_waitcnt vmcnt(0)
	v_add_f64 v[218:219], v[218:219], -v[208:209]
	v_add_f64 v[220:221], v[220:221], -v[212:213]
	scratch_store_b128 off, v[218:221], off ; 16-byte Folded Spill
	ds_load_2addr_b64 v[218:221], v214 offset0:6 offset1:7
	s_waitcnt lgkmcnt(0)
	v_mul_f64 v[208:209], v[220:221], v[210:211]
	v_mul_f64 v[212:213], v[218:219], v[210:211]
	s_delay_alu instid0(VALU_DEP_2) | instskip(NEXT) | instid1(VALU_DEP_2)
	v_fma_f64 v[208:209], v[218:219], v[216:217], -v[208:209]
	v_fma_f64 v[212:213], v[220:221], v[216:217], v[212:213]
	ds_load_2addr_b64 v[218:221], v214 offset0:8 offset1:9
	v_add_f64 v[200:201], v[200:201], -v[208:209]
	v_add_f64 v[202:203], v[202:203], -v[212:213]
	s_waitcnt lgkmcnt(0)
	v_mul_f64 v[208:209], v[220:221], v[210:211]
	v_mul_f64 v[212:213], v[218:219], v[210:211]
	s_delay_alu instid0(VALU_DEP_2) | instskip(NEXT) | instid1(VALU_DEP_2)
	v_fma_f64 v[208:209], v[218:219], v[216:217], -v[208:209]
	v_fma_f64 v[212:213], v[220:221], v[216:217], v[212:213]
	ds_load_2addr_b64 v[218:221], v214 offset0:10 offset1:11
	v_add_f64 v[196:197], v[196:197], -v[208:209]
	v_add_f64 v[198:199], v[198:199], -v[212:213]
	;; [unrolled: 9-line block ×50, first 2 shown]
	s_waitcnt lgkmcnt(0)
	v_mul_f64 v[208:209], v[220:221], v[210:211]
	v_mul_f64 v[212:213], v[218:219], v[210:211]
	s_delay_alu instid0(VALU_DEP_2) | instskip(NEXT) | instid1(VALU_DEP_2)
	v_fma_f64 v[208:209], v[218:219], v[216:217], -v[208:209]
	v_fma_f64 v[212:213], v[220:221], v[216:217], v[212:213]
	s_delay_alu instid0(VALU_DEP_2) | instskip(NEXT) | instid1(VALU_DEP_2)
	v_add_f64 v[0:1], v[0:1], -v[208:209]
	v_add_f64 v[2:3], v[2:3], -v[212:213]
	v_dual_mov_b32 v208, v216 :: v_dual_mov_b32 v209, v217
	scratch_store_b128 off, v[208:211], off offset:16 ; 16-byte Folded Spill
.LBB107_19:
	s_or_b32 exec_lo, exec_lo, s3
	s_delay_alu instid0(SALU_CYCLE_1)
	s_mov_b32 s4, exec_lo
	s_waitcnt_vscnt null, 0x0
	s_barrier
	buffer_gl0_inv
	v_cmpx_eq_u32_e32 2, v215
	s_cbranch_execz .LBB107_26
; %bb.20:
	scratch_load_b128 v[207:210], off, off  ; 16-byte Folded Reload
	s_waitcnt vmcnt(0)
	ds_store_2addr_b64 v204, v[207:208], v[209:210] offset1:1
	ds_store_2addr_b64 v214, v[200:201], v[202:203] offset0:6 offset1:7
	ds_store_2addr_b64 v214, v[196:197], v[198:199] offset0:8 offset1:9
	;; [unrolled: 1-line block ×51, first 2 shown]
	ds_load_2addr_b64 v[216:219], v204 offset1:1
	s_waitcnt lgkmcnt(0)
	v_cmp_neq_f64_e32 vcc_lo, 0, v[216:217]
	v_cmp_neq_f64_e64 s3, 0, v[218:219]
	s_delay_alu instid0(VALU_DEP_1) | instskip(NEXT) | instid1(SALU_CYCLE_1)
	s_or_b32 s3, vcc_lo, s3
	s_and_b32 exec_lo, exec_lo, s3
	s_cbranch_execz .LBB107_26
; %bb.21:
	v_cmp_gt_f64_e32 vcc_lo, 0, v[216:217]
	v_xor_b32_e32 v208, 0x80000000, v217
	s_delay_alu instid0(VALU_DEP_1) | instskip(SKIP_3) | instid1(VALU_DEP_1)
	v_cndmask_b32_e32 v213, v217, v208, vcc_lo
	v_cndmask_b32_e32 v212, v216, v216, vcc_lo
	v_cmp_gt_f64_e32 vcc_lo, 0, v[218:219]
	v_xor_b32_e32 v208, 0x80000000, v219
	v_dual_cndmask_b32 v220, v218, v218 :: v_dual_cndmask_b32 v221, v219, v208
	s_delay_alu instid0(VALU_DEP_1) | instskip(SKIP_1) | instid1(SALU_CYCLE_1)
	v_cmp_ngt_f64_e32 vcc_lo, v[212:213], v[220:221]
                                        ; implicit-def: $vgpr212_vgpr213
	s_and_saveexec_b32 s3, vcc_lo
	s_xor_b32 s3, exec_lo, s3
                                        ; implicit-def: $vgpr220_vgpr221_vgpr222_vgpr223
	s_cbranch_execz .LBB107_23
; %bb.22:
	v_div_scale_f64 v[212:213], null, v[218:219], v[218:219], v[216:217]
	v_div_scale_f64 v[224:225], vcc_lo, v[216:217], v[218:219], v[216:217]
	s_delay_alu instid0(VALU_DEP_2) | instskip(SKIP_2) | instid1(VALU_DEP_1)
	v_rcp_f64_e32 v[220:221], v[212:213]
	s_waitcnt_depctr 0xfff
	v_fma_f64 v[222:223], -v[212:213], v[220:221], 1.0
	v_fma_f64 v[220:221], v[220:221], v[222:223], v[220:221]
	s_delay_alu instid0(VALU_DEP_1) | instskip(NEXT) | instid1(VALU_DEP_1)
	v_fma_f64 v[222:223], -v[212:213], v[220:221], 1.0
	v_fma_f64 v[220:221], v[220:221], v[222:223], v[220:221]
	s_delay_alu instid0(VALU_DEP_1) | instskip(NEXT) | instid1(VALU_DEP_1)
	v_mul_f64 v[222:223], v[224:225], v[220:221]
	v_fma_f64 v[212:213], -v[212:213], v[222:223], v[224:225]
	s_delay_alu instid0(VALU_DEP_1) | instskip(NEXT) | instid1(VALU_DEP_1)
	v_div_fmas_f64 v[212:213], v[212:213], v[220:221], v[222:223]
	v_div_fixup_f64 v[212:213], v[212:213], v[218:219], v[216:217]
	s_delay_alu instid0(VALU_DEP_1) | instskip(NEXT) | instid1(VALU_DEP_1)
	v_fma_f64 v[216:217], v[216:217], v[212:213], v[218:219]
	v_div_scale_f64 v[218:219], null, v[216:217], v[216:217], 1.0
	s_delay_alu instid0(VALU_DEP_1) | instskip(SKIP_2) | instid1(VALU_DEP_1)
	v_rcp_f64_e32 v[220:221], v[218:219]
	s_waitcnt_depctr 0xfff
	v_fma_f64 v[222:223], -v[218:219], v[220:221], 1.0
	v_fma_f64 v[220:221], v[220:221], v[222:223], v[220:221]
	s_delay_alu instid0(VALU_DEP_1) | instskip(NEXT) | instid1(VALU_DEP_1)
	v_fma_f64 v[222:223], -v[218:219], v[220:221], 1.0
	v_fma_f64 v[220:221], v[220:221], v[222:223], v[220:221]
	v_div_scale_f64 v[222:223], vcc_lo, 1.0, v[216:217], 1.0
	s_delay_alu instid0(VALU_DEP_1) | instskip(NEXT) | instid1(VALU_DEP_1)
	v_mul_f64 v[224:225], v[222:223], v[220:221]
	v_fma_f64 v[218:219], -v[218:219], v[224:225], v[222:223]
	s_delay_alu instid0(VALU_DEP_1) | instskip(NEXT) | instid1(VALU_DEP_1)
	v_div_fmas_f64 v[218:219], v[218:219], v[220:221], v[224:225]
	v_div_fixup_f64 v[222:223], v[218:219], v[216:217], 1.0
                                        ; implicit-def: $vgpr216_vgpr217
	s_delay_alu instid0(VALU_DEP_1)
	v_mul_f64 v[212:213], v[212:213], v[222:223]
	v_xor_b32_e32 v223, 0x80000000, v223
.LBB107_23:
	s_and_not1_saveexec_b32 s3, s3
	s_cbranch_execz .LBB107_25
; %bb.24:
	v_div_scale_f64 v[212:213], null, v[216:217], v[216:217], v[218:219]
	v_div_scale_f64 v[224:225], vcc_lo, v[218:219], v[216:217], v[218:219]
	s_delay_alu instid0(VALU_DEP_2) | instskip(SKIP_2) | instid1(VALU_DEP_1)
	v_rcp_f64_e32 v[220:221], v[212:213]
	s_waitcnt_depctr 0xfff
	v_fma_f64 v[222:223], -v[212:213], v[220:221], 1.0
	v_fma_f64 v[220:221], v[220:221], v[222:223], v[220:221]
	s_delay_alu instid0(VALU_DEP_1) | instskip(NEXT) | instid1(VALU_DEP_1)
	v_fma_f64 v[222:223], -v[212:213], v[220:221], 1.0
	v_fma_f64 v[220:221], v[220:221], v[222:223], v[220:221]
	s_delay_alu instid0(VALU_DEP_1) | instskip(NEXT) | instid1(VALU_DEP_1)
	v_mul_f64 v[222:223], v[224:225], v[220:221]
	v_fma_f64 v[212:213], -v[212:213], v[222:223], v[224:225]
	s_delay_alu instid0(VALU_DEP_1) | instskip(NEXT) | instid1(VALU_DEP_1)
	v_div_fmas_f64 v[212:213], v[212:213], v[220:221], v[222:223]
	v_div_fixup_f64 v[220:221], v[212:213], v[216:217], v[218:219]
	s_delay_alu instid0(VALU_DEP_1) | instskip(NEXT) | instid1(VALU_DEP_1)
	v_fma_f64 v[212:213], v[218:219], v[220:221], v[216:217]
	v_div_scale_f64 v[216:217], null, v[212:213], v[212:213], 1.0
	s_delay_alu instid0(VALU_DEP_1) | instskip(SKIP_2) | instid1(VALU_DEP_1)
	v_rcp_f64_e32 v[218:219], v[216:217]
	s_waitcnt_depctr 0xfff
	v_fma_f64 v[222:223], -v[216:217], v[218:219], 1.0
	v_fma_f64 v[218:219], v[218:219], v[222:223], v[218:219]
	s_delay_alu instid0(VALU_DEP_1) | instskip(NEXT) | instid1(VALU_DEP_1)
	v_fma_f64 v[222:223], -v[216:217], v[218:219], 1.0
	v_fma_f64 v[218:219], v[218:219], v[222:223], v[218:219]
	v_div_scale_f64 v[222:223], vcc_lo, 1.0, v[212:213], 1.0
	s_delay_alu instid0(VALU_DEP_1) | instskip(NEXT) | instid1(VALU_DEP_1)
	v_mul_f64 v[224:225], v[222:223], v[218:219]
	v_fma_f64 v[216:217], -v[216:217], v[224:225], v[222:223]
	s_delay_alu instid0(VALU_DEP_1) | instskip(NEXT) | instid1(VALU_DEP_1)
	v_div_fmas_f64 v[216:217], v[216:217], v[218:219], v[224:225]
	v_div_fixup_f64 v[212:213], v[216:217], v[212:213], 1.0
	s_delay_alu instid0(VALU_DEP_1)
	v_mul_f64 v[222:223], v[220:221], -v[212:213]
.LBB107_25:
	s_or_b32 exec_lo, exec_lo, s3
	ds_store_2addr_b64 v204, v[212:213], v[222:223] offset1:1
.LBB107_26:
	s_or_b32 exec_lo, exec_lo, s4
	s_waitcnt lgkmcnt(0)
	s_barrier
	buffer_gl0_inv
	ds_load_2addr_b64 v[207:210], v204 offset1:1
	s_mov_b32 s3, exec_lo
	s_waitcnt lgkmcnt(0)
	scratch_store_b128 off, v[207:210], off offset:504 ; 16-byte Folded Spill
	v_cmpx_lt_u32_e32 2, v215
	s_cbranch_execz .LBB107_28
; %bb.27:
	s_clause 0x1
	scratch_load_b128 v[220:223], off, off
	scratch_load_b128 v[224:227], off, off offset:504
	s_waitcnt vmcnt(0)
	v_mul_f64 v[206:207], v[224:225], v[222:223]
	v_mul_f64 v[212:213], v[226:227], v[222:223]
	s_delay_alu instid0(VALU_DEP_2) | instskip(NEXT) | instid1(VALU_DEP_2)
	v_fma_f64 v[222:223], v[226:227], v[220:221], v[206:207]
	v_fma_f64 v[216:217], v[224:225], v[220:221], -v[212:213]
	ds_load_2addr_b64 v[218:221], v214 offset0:6 offset1:7
	v_mov_b32_e32 v206, v204
	s_waitcnt lgkmcnt(0)
	v_mul_f64 v[204:205], v[220:221], v[222:223]
	v_mul_f64 v[212:213], v[218:219], v[222:223]
	s_delay_alu instid0(VALU_DEP_2) | instskip(NEXT) | instid1(VALU_DEP_2)
	v_fma_f64 v[204:205], v[218:219], v[216:217], -v[204:205]
	v_fma_f64 v[212:213], v[220:221], v[216:217], v[212:213]
	ds_load_2addr_b64 v[218:221], v214 offset0:8 offset1:9
	v_add_f64 v[200:201], v[200:201], -v[204:205]
	v_add_f64 v[202:203], v[202:203], -v[212:213]
	s_waitcnt lgkmcnt(0)
	v_mul_f64 v[204:205], v[220:221], v[222:223]
	v_mul_f64 v[212:213], v[218:219], v[222:223]
	s_delay_alu instid0(VALU_DEP_2) | instskip(NEXT) | instid1(VALU_DEP_2)
	v_fma_f64 v[204:205], v[218:219], v[216:217], -v[204:205]
	v_fma_f64 v[212:213], v[220:221], v[216:217], v[212:213]
	ds_load_2addr_b64 v[218:221], v214 offset0:10 offset1:11
	v_add_f64 v[196:197], v[196:197], -v[204:205]
	v_add_f64 v[198:199], v[198:199], -v[212:213]
	;; [unrolled: 9-line block ×50, first 2 shown]
	s_waitcnt lgkmcnt(0)
	v_mul_f64 v[204:205], v[220:221], v[222:223]
	v_mul_f64 v[212:213], v[218:219], v[222:223]
	s_delay_alu instid0(VALU_DEP_2) | instskip(NEXT) | instid1(VALU_DEP_2)
	v_fma_f64 v[204:205], v[218:219], v[216:217], -v[204:205]
	v_fma_f64 v[212:213], v[220:221], v[216:217], v[212:213]
	v_dual_mov_b32 v221, v217 :: v_dual_mov_b32 v220, v216
	scratch_store_b128 off, v[220:223], off ; 16-byte Folded Spill
	v_add_f64 v[0:1], v[0:1], -v[204:205]
	v_add_f64 v[2:3], v[2:3], -v[212:213]
	v_mov_b32_e32 v204, v206
.LBB107_28:
	s_or_b32 exec_lo, exec_lo, s3
	s_delay_alu instid0(SALU_CYCLE_1)
	s_mov_b32 s4, exec_lo
	s_waitcnt_vscnt null, 0x0
	s_barrier
	buffer_gl0_inv
	v_cmpx_eq_u32_e32 3, v215
	s_cbranch_execz .LBB107_35
; %bb.29:
	ds_store_2addr_b64 v204, v[200:201], v[202:203] offset1:1
	ds_store_2addr_b64 v214, v[196:197], v[198:199] offset0:8 offset1:9
	ds_store_2addr_b64 v214, v[192:193], v[194:195] offset0:10 offset1:11
	;; [unrolled: 1-line block ×50, first 2 shown]
	ds_load_2addr_b64 v[216:219], v204 offset1:1
	s_waitcnt lgkmcnt(0)
	v_cmp_neq_f64_e32 vcc_lo, 0, v[216:217]
	v_cmp_neq_f64_e64 s3, 0, v[218:219]
	s_delay_alu instid0(VALU_DEP_1) | instskip(NEXT) | instid1(SALU_CYCLE_1)
	s_or_b32 s3, vcc_lo, s3
	s_and_b32 exec_lo, exec_lo, s3
	s_cbranch_execz .LBB107_35
; %bb.30:
	v_cmp_gt_f64_e32 vcc_lo, 0, v[216:217]
	v_xor_b32_e32 v208, 0x80000000, v217
	s_delay_alu instid0(VALU_DEP_1) | instskip(SKIP_3) | instid1(VALU_DEP_1)
	v_cndmask_b32_e32 v213, v217, v208, vcc_lo
	v_cndmask_b32_e32 v212, v216, v216, vcc_lo
	v_cmp_gt_f64_e32 vcc_lo, 0, v[218:219]
	v_xor_b32_e32 v208, 0x80000000, v219
	v_dual_cndmask_b32 v220, v218, v218 :: v_dual_cndmask_b32 v221, v219, v208
	s_delay_alu instid0(VALU_DEP_1) | instskip(SKIP_1) | instid1(SALU_CYCLE_1)
	v_cmp_ngt_f64_e32 vcc_lo, v[212:213], v[220:221]
                                        ; implicit-def: $vgpr212_vgpr213
	s_and_saveexec_b32 s3, vcc_lo
	s_xor_b32 s3, exec_lo, s3
                                        ; implicit-def: $vgpr220_vgpr221_vgpr222_vgpr223
	s_cbranch_execz .LBB107_32
; %bb.31:
	v_div_scale_f64 v[212:213], null, v[218:219], v[218:219], v[216:217]
	v_div_scale_f64 v[224:225], vcc_lo, v[216:217], v[218:219], v[216:217]
	s_delay_alu instid0(VALU_DEP_2) | instskip(SKIP_2) | instid1(VALU_DEP_1)
	v_rcp_f64_e32 v[220:221], v[212:213]
	s_waitcnt_depctr 0xfff
	v_fma_f64 v[222:223], -v[212:213], v[220:221], 1.0
	v_fma_f64 v[220:221], v[220:221], v[222:223], v[220:221]
	s_delay_alu instid0(VALU_DEP_1) | instskip(NEXT) | instid1(VALU_DEP_1)
	v_fma_f64 v[222:223], -v[212:213], v[220:221], 1.0
	v_fma_f64 v[220:221], v[220:221], v[222:223], v[220:221]
	s_delay_alu instid0(VALU_DEP_1) | instskip(NEXT) | instid1(VALU_DEP_1)
	v_mul_f64 v[222:223], v[224:225], v[220:221]
	v_fma_f64 v[212:213], -v[212:213], v[222:223], v[224:225]
	s_delay_alu instid0(VALU_DEP_1) | instskip(NEXT) | instid1(VALU_DEP_1)
	v_div_fmas_f64 v[212:213], v[212:213], v[220:221], v[222:223]
	v_div_fixup_f64 v[212:213], v[212:213], v[218:219], v[216:217]
	s_delay_alu instid0(VALU_DEP_1) | instskip(NEXT) | instid1(VALU_DEP_1)
	v_fma_f64 v[216:217], v[216:217], v[212:213], v[218:219]
	v_div_scale_f64 v[218:219], null, v[216:217], v[216:217], 1.0
	s_delay_alu instid0(VALU_DEP_1) | instskip(SKIP_2) | instid1(VALU_DEP_1)
	v_rcp_f64_e32 v[220:221], v[218:219]
	s_waitcnt_depctr 0xfff
	v_fma_f64 v[222:223], -v[218:219], v[220:221], 1.0
	v_fma_f64 v[220:221], v[220:221], v[222:223], v[220:221]
	s_delay_alu instid0(VALU_DEP_1) | instskip(NEXT) | instid1(VALU_DEP_1)
	v_fma_f64 v[222:223], -v[218:219], v[220:221], 1.0
	v_fma_f64 v[220:221], v[220:221], v[222:223], v[220:221]
	v_div_scale_f64 v[222:223], vcc_lo, 1.0, v[216:217], 1.0
	s_delay_alu instid0(VALU_DEP_1) | instskip(NEXT) | instid1(VALU_DEP_1)
	v_mul_f64 v[224:225], v[222:223], v[220:221]
	v_fma_f64 v[218:219], -v[218:219], v[224:225], v[222:223]
	s_delay_alu instid0(VALU_DEP_1) | instskip(NEXT) | instid1(VALU_DEP_1)
	v_div_fmas_f64 v[218:219], v[218:219], v[220:221], v[224:225]
	v_div_fixup_f64 v[222:223], v[218:219], v[216:217], 1.0
                                        ; implicit-def: $vgpr216_vgpr217
	s_delay_alu instid0(VALU_DEP_1)
	v_mul_f64 v[212:213], v[212:213], v[222:223]
	v_xor_b32_e32 v223, 0x80000000, v223
.LBB107_32:
	s_and_not1_saveexec_b32 s3, s3
	s_cbranch_execz .LBB107_34
; %bb.33:
	v_div_scale_f64 v[212:213], null, v[216:217], v[216:217], v[218:219]
	v_div_scale_f64 v[224:225], vcc_lo, v[218:219], v[216:217], v[218:219]
	s_delay_alu instid0(VALU_DEP_2) | instskip(SKIP_2) | instid1(VALU_DEP_1)
	v_rcp_f64_e32 v[220:221], v[212:213]
	s_waitcnt_depctr 0xfff
	v_fma_f64 v[222:223], -v[212:213], v[220:221], 1.0
	v_fma_f64 v[220:221], v[220:221], v[222:223], v[220:221]
	s_delay_alu instid0(VALU_DEP_1) | instskip(NEXT) | instid1(VALU_DEP_1)
	v_fma_f64 v[222:223], -v[212:213], v[220:221], 1.0
	v_fma_f64 v[220:221], v[220:221], v[222:223], v[220:221]
	s_delay_alu instid0(VALU_DEP_1) | instskip(NEXT) | instid1(VALU_DEP_1)
	v_mul_f64 v[222:223], v[224:225], v[220:221]
	v_fma_f64 v[212:213], -v[212:213], v[222:223], v[224:225]
	s_delay_alu instid0(VALU_DEP_1) | instskip(NEXT) | instid1(VALU_DEP_1)
	v_div_fmas_f64 v[212:213], v[212:213], v[220:221], v[222:223]
	v_div_fixup_f64 v[220:221], v[212:213], v[216:217], v[218:219]
	s_delay_alu instid0(VALU_DEP_1) | instskip(NEXT) | instid1(VALU_DEP_1)
	v_fma_f64 v[212:213], v[218:219], v[220:221], v[216:217]
	v_div_scale_f64 v[216:217], null, v[212:213], v[212:213], 1.0
	s_delay_alu instid0(VALU_DEP_1) | instskip(SKIP_2) | instid1(VALU_DEP_1)
	v_rcp_f64_e32 v[218:219], v[216:217]
	s_waitcnt_depctr 0xfff
	v_fma_f64 v[222:223], -v[216:217], v[218:219], 1.0
	v_fma_f64 v[218:219], v[218:219], v[222:223], v[218:219]
	s_delay_alu instid0(VALU_DEP_1) | instskip(NEXT) | instid1(VALU_DEP_1)
	v_fma_f64 v[222:223], -v[216:217], v[218:219], 1.0
	v_fma_f64 v[218:219], v[218:219], v[222:223], v[218:219]
	v_div_scale_f64 v[222:223], vcc_lo, 1.0, v[212:213], 1.0
	s_delay_alu instid0(VALU_DEP_1) | instskip(NEXT) | instid1(VALU_DEP_1)
	v_mul_f64 v[224:225], v[222:223], v[218:219]
	v_fma_f64 v[216:217], -v[216:217], v[224:225], v[222:223]
	s_delay_alu instid0(VALU_DEP_1) | instskip(NEXT) | instid1(VALU_DEP_1)
	v_div_fmas_f64 v[216:217], v[216:217], v[218:219], v[224:225]
	v_div_fixup_f64 v[212:213], v[216:217], v[212:213], 1.0
	s_delay_alu instid0(VALU_DEP_1)
	v_mul_f64 v[222:223], v[220:221], -v[212:213]
.LBB107_34:
	s_or_b32 exec_lo, exec_lo, s3
	ds_store_2addr_b64 v204, v[212:213], v[222:223] offset1:1
.LBB107_35:
	s_or_b32 exec_lo, exec_lo, s4
	s_waitcnt lgkmcnt(0)
	s_barrier
	buffer_gl0_inv
	ds_load_2addr_b64 v[207:210], v204 offset1:1
	s_mov_b32 s3, exec_lo
	s_waitcnt lgkmcnt(0)
	scratch_store_b128 off, v[207:210], off offset:520 ; 16-byte Folded Spill
	v_cmpx_lt_u32_e32 3, v215
	s_cbranch_execz .LBB107_37
; %bb.36:
	scratch_load_b128 v[207:210], off, off offset:520 ; 16-byte Folded Reload
	ds_load_2addr_b64 v[218:221], v214 offset0:8 offset1:9
	s_waitcnt vmcnt(0)
	v_mul_f64 v[212:213], v[209:210], v[202:203]
	v_mul_f64 v[202:203], v[207:208], v[202:203]
	s_delay_alu instid0(VALU_DEP_2) | instskip(NEXT) | instid1(VALU_DEP_2)
	v_fma_f64 v[216:217], v[207:208], v[200:201], -v[212:213]
	v_fma_f64 v[202:203], v[209:210], v[200:201], v[202:203]
	s_waitcnt lgkmcnt(0)
	s_delay_alu instid0(VALU_DEP_1) | instskip(SKIP_1) | instid1(VALU_DEP_2)
	v_mul_f64 v[200:201], v[220:221], v[202:203]
	v_mul_f64 v[212:213], v[218:219], v[202:203]
	v_fma_f64 v[200:201], v[218:219], v[216:217], -v[200:201]
	s_delay_alu instid0(VALU_DEP_2)
	v_fma_f64 v[212:213], v[220:221], v[216:217], v[212:213]
	ds_load_2addr_b64 v[218:221], v214 offset0:10 offset1:11
	v_add_f64 v[196:197], v[196:197], -v[200:201]
	v_add_f64 v[198:199], v[198:199], -v[212:213]
	s_waitcnt lgkmcnt(0)
	v_mul_f64 v[200:201], v[220:221], v[202:203]
	v_mul_f64 v[212:213], v[218:219], v[202:203]
	s_delay_alu instid0(VALU_DEP_2) | instskip(NEXT) | instid1(VALU_DEP_2)
	v_fma_f64 v[200:201], v[218:219], v[216:217], -v[200:201]
	v_fma_f64 v[212:213], v[220:221], v[216:217], v[212:213]
	ds_load_2addr_b64 v[218:221], v214 offset0:12 offset1:13
	v_add_f64 v[192:193], v[192:193], -v[200:201]
	v_add_f64 v[194:195], v[194:195], -v[212:213]
	s_waitcnt lgkmcnt(0)
	v_mul_f64 v[200:201], v[220:221], v[202:203]
	v_mul_f64 v[212:213], v[218:219], v[202:203]
	s_delay_alu instid0(VALU_DEP_2) | instskip(NEXT) | instid1(VALU_DEP_2)
	v_fma_f64 v[200:201], v[218:219], v[216:217], -v[200:201]
	;; [unrolled: 9-line block ×49, first 2 shown]
	v_fma_f64 v[212:213], v[220:221], v[216:217], v[212:213]
	s_delay_alu instid0(VALU_DEP_2) | instskip(NEXT) | instid1(VALU_DEP_2)
	v_add_f64 v[0:1], v[0:1], -v[200:201]
	v_add_f64 v[2:3], v[2:3], -v[212:213]
	v_dual_mov_b32 v200, v216 :: v_dual_mov_b32 v201, v217
.LBB107_37:
	s_or_b32 exec_lo, exec_lo, s3
	s_delay_alu instid0(SALU_CYCLE_1)
	s_mov_b32 s4, exec_lo
	s_waitcnt_vscnt null, 0x0
	s_barrier
	buffer_gl0_inv
	v_cmpx_eq_u32_e32 4, v215
	s_cbranch_execz .LBB107_44
; %bb.38:
	ds_store_2addr_b64 v204, v[196:197], v[198:199] offset1:1
	ds_store_2addr_b64 v214, v[192:193], v[194:195] offset0:10 offset1:11
	ds_store_2addr_b64 v214, v[188:189], v[190:191] offset0:12 offset1:13
	;; [unrolled: 1-line block ×49, first 2 shown]
	ds_load_2addr_b64 v[216:219], v204 offset1:1
	s_waitcnt lgkmcnt(0)
	v_cmp_neq_f64_e32 vcc_lo, 0, v[216:217]
	v_cmp_neq_f64_e64 s3, 0, v[218:219]
	s_delay_alu instid0(VALU_DEP_1) | instskip(NEXT) | instid1(SALU_CYCLE_1)
	s_or_b32 s3, vcc_lo, s3
	s_and_b32 exec_lo, exec_lo, s3
	s_cbranch_execz .LBB107_44
; %bb.39:
	v_cmp_gt_f64_e32 vcc_lo, 0, v[216:217]
	v_xor_b32_e32 v208, 0x80000000, v217
	s_delay_alu instid0(VALU_DEP_1) | instskip(SKIP_3) | instid1(VALU_DEP_1)
	v_cndmask_b32_e32 v213, v217, v208, vcc_lo
	v_cndmask_b32_e32 v212, v216, v216, vcc_lo
	v_cmp_gt_f64_e32 vcc_lo, 0, v[218:219]
	v_xor_b32_e32 v208, 0x80000000, v219
	v_dual_cndmask_b32 v220, v218, v218 :: v_dual_cndmask_b32 v221, v219, v208
	s_delay_alu instid0(VALU_DEP_1) | instskip(SKIP_1) | instid1(SALU_CYCLE_1)
	v_cmp_ngt_f64_e32 vcc_lo, v[212:213], v[220:221]
                                        ; implicit-def: $vgpr212_vgpr213
	s_and_saveexec_b32 s3, vcc_lo
	s_xor_b32 s3, exec_lo, s3
                                        ; implicit-def: $vgpr220_vgpr221_vgpr222_vgpr223
	s_cbranch_execz .LBB107_41
; %bb.40:
	v_div_scale_f64 v[212:213], null, v[218:219], v[218:219], v[216:217]
	v_div_scale_f64 v[224:225], vcc_lo, v[216:217], v[218:219], v[216:217]
	s_delay_alu instid0(VALU_DEP_2) | instskip(SKIP_2) | instid1(VALU_DEP_1)
	v_rcp_f64_e32 v[220:221], v[212:213]
	s_waitcnt_depctr 0xfff
	v_fma_f64 v[222:223], -v[212:213], v[220:221], 1.0
	v_fma_f64 v[220:221], v[220:221], v[222:223], v[220:221]
	s_delay_alu instid0(VALU_DEP_1) | instskip(NEXT) | instid1(VALU_DEP_1)
	v_fma_f64 v[222:223], -v[212:213], v[220:221], 1.0
	v_fma_f64 v[220:221], v[220:221], v[222:223], v[220:221]
	s_delay_alu instid0(VALU_DEP_1) | instskip(NEXT) | instid1(VALU_DEP_1)
	v_mul_f64 v[222:223], v[224:225], v[220:221]
	v_fma_f64 v[212:213], -v[212:213], v[222:223], v[224:225]
	s_delay_alu instid0(VALU_DEP_1) | instskip(NEXT) | instid1(VALU_DEP_1)
	v_div_fmas_f64 v[212:213], v[212:213], v[220:221], v[222:223]
	v_div_fixup_f64 v[212:213], v[212:213], v[218:219], v[216:217]
	s_delay_alu instid0(VALU_DEP_1) | instskip(NEXT) | instid1(VALU_DEP_1)
	v_fma_f64 v[216:217], v[216:217], v[212:213], v[218:219]
	v_div_scale_f64 v[218:219], null, v[216:217], v[216:217], 1.0
	s_delay_alu instid0(VALU_DEP_1) | instskip(SKIP_2) | instid1(VALU_DEP_1)
	v_rcp_f64_e32 v[220:221], v[218:219]
	s_waitcnt_depctr 0xfff
	v_fma_f64 v[222:223], -v[218:219], v[220:221], 1.0
	v_fma_f64 v[220:221], v[220:221], v[222:223], v[220:221]
	s_delay_alu instid0(VALU_DEP_1) | instskip(NEXT) | instid1(VALU_DEP_1)
	v_fma_f64 v[222:223], -v[218:219], v[220:221], 1.0
	v_fma_f64 v[220:221], v[220:221], v[222:223], v[220:221]
	v_div_scale_f64 v[222:223], vcc_lo, 1.0, v[216:217], 1.0
	s_delay_alu instid0(VALU_DEP_1) | instskip(NEXT) | instid1(VALU_DEP_1)
	v_mul_f64 v[224:225], v[222:223], v[220:221]
	v_fma_f64 v[218:219], -v[218:219], v[224:225], v[222:223]
	s_delay_alu instid0(VALU_DEP_1) | instskip(NEXT) | instid1(VALU_DEP_1)
	v_div_fmas_f64 v[218:219], v[218:219], v[220:221], v[224:225]
	v_div_fixup_f64 v[222:223], v[218:219], v[216:217], 1.0
                                        ; implicit-def: $vgpr216_vgpr217
	s_delay_alu instid0(VALU_DEP_1)
	v_mul_f64 v[212:213], v[212:213], v[222:223]
	v_xor_b32_e32 v223, 0x80000000, v223
.LBB107_41:
	s_and_not1_saveexec_b32 s3, s3
	s_cbranch_execz .LBB107_43
; %bb.42:
	v_div_scale_f64 v[212:213], null, v[216:217], v[216:217], v[218:219]
	v_div_scale_f64 v[224:225], vcc_lo, v[218:219], v[216:217], v[218:219]
	s_delay_alu instid0(VALU_DEP_2) | instskip(SKIP_2) | instid1(VALU_DEP_1)
	v_rcp_f64_e32 v[220:221], v[212:213]
	s_waitcnt_depctr 0xfff
	v_fma_f64 v[222:223], -v[212:213], v[220:221], 1.0
	v_fma_f64 v[220:221], v[220:221], v[222:223], v[220:221]
	s_delay_alu instid0(VALU_DEP_1) | instskip(NEXT) | instid1(VALU_DEP_1)
	v_fma_f64 v[222:223], -v[212:213], v[220:221], 1.0
	v_fma_f64 v[220:221], v[220:221], v[222:223], v[220:221]
	s_delay_alu instid0(VALU_DEP_1) | instskip(NEXT) | instid1(VALU_DEP_1)
	v_mul_f64 v[222:223], v[224:225], v[220:221]
	v_fma_f64 v[212:213], -v[212:213], v[222:223], v[224:225]
	s_delay_alu instid0(VALU_DEP_1) | instskip(NEXT) | instid1(VALU_DEP_1)
	v_div_fmas_f64 v[212:213], v[212:213], v[220:221], v[222:223]
	v_div_fixup_f64 v[220:221], v[212:213], v[216:217], v[218:219]
	s_delay_alu instid0(VALU_DEP_1) | instskip(NEXT) | instid1(VALU_DEP_1)
	v_fma_f64 v[212:213], v[218:219], v[220:221], v[216:217]
	v_div_scale_f64 v[216:217], null, v[212:213], v[212:213], 1.0
	s_delay_alu instid0(VALU_DEP_1) | instskip(SKIP_2) | instid1(VALU_DEP_1)
	v_rcp_f64_e32 v[218:219], v[216:217]
	s_waitcnt_depctr 0xfff
	v_fma_f64 v[222:223], -v[216:217], v[218:219], 1.0
	v_fma_f64 v[218:219], v[218:219], v[222:223], v[218:219]
	s_delay_alu instid0(VALU_DEP_1) | instskip(NEXT) | instid1(VALU_DEP_1)
	v_fma_f64 v[222:223], -v[216:217], v[218:219], 1.0
	v_fma_f64 v[218:219], v[218:219], v[222:223], v[218:219]
	v_div_scale_f64 v[222:223], vcc_lo, 1.0, v[212:213], 1.0
	s_delay_alu instid0(VALU_DEP_1) | instskip(NEXT) | instid1(VALU_DEP_1)
	v_mul_f64 v[224:225], v[222:223], v[218:219]
	v_fma_f64 v[216:217], -v[216:217], v[224:225], v[222:223]
	s_delay_alu instid0(VALU_DEP_1) | instskip(NEXT) | instid1(VALU_DEP_1)
	v_div_fmas_f64 v[216:217], v[216:217], v[218:219], v[224:225]
	v_div_fixup_f64 v[212:213], v[216:217], v[212:213], 1.0
	s_delay_alu instid0(VALU_DEP_1)
	v_mul_f64 v[222:223], v[220:221], -v[212:213]
.LBB107_43:
	s_or_b32 exec_lo, exec_lo, s3
	ds_store_2addr_b64 v204, v[212:213], v[222:223] offset1:1
.LBB107_44:
	s_or_b32 exec_lo, exec_lo, s4
	s_waitcnt lgkmcnt(0)
	s_barrier
	buffer_gl0_inv
	ds_load_2addr_b64 v[207:210], v204 offset1:1
	s_mov_b32 s3, exec_lo
	s_waitcnt lgkmcnt(0)
	scratch_store_b128 off, v[207:210], off offset:536 ; 16-byte Folded Spill
	v_cmpx_lt_u32_e32 4, v215
	s_cbranch_execz .LBB107_46
; %bb.45:
	scratch_load_b128 v[207:210], off, off offset:536 ; 16-byte Folded Reload
	ds_load_2addr_b64 v[218:221], v214 offset0:10 offset1:11
	s_waitcnt vmcnt(0)
	v_mul_f64 v[212:213], v[209:210], v[198:199]
	v_mul_f64 v[198:199], v[207:208], v[198:199]
	s_delay_alu instid0(VALU_DEP_2) | instskip(NEXT) | instid1(VALU_DEP_2)
	v_fma_f64 v[216:217], v[207:208], v[196:197], -v[212:213]
	v_fma_f64 v[198:199], v[209:210], v[196:197], v[198:199]
	s_waitcnt lgkmcnt(0)
	s_delay_alu instid0(VALU_DEP_1) | instskip(SKIP_1) | instid1(VALU_DEP_2)
	v_mul_f64 v[196:197], v[220:221], v[198:199]
	v_mul_f64 v[212:213], v[218:219], v[198:199]
	v_fma_f64 v[196:197], v[218:219], v[216:217], -v[196:197]
	s_delay_alu instid0(VALU_DEP_2)
	v_fma_f64 v[212:213], v[220:221], v[216:217], v[212:213]
	ds_load_2addr_b64 v[218:221], v214 offset0:12 offset1:13
	v_add_f64 v[192:193], v[192:193], -v[196:197]
	v_add_f64 v[194:195], v[194:195], -v[212:213]
	s_waitcnt lgkmcnt(0)
	v_mul_f64 v[196:197], v[220:221], v[198:199]
	v_mul_f64 v[212:213], v[218:219], v[198:199]
	s_delay_alu instid0(VALU_DEP_2) | instskip(NEXT) | instid1(VALU_DEP_2)
	v_fma_f64 v[196:197], v[218:219], v[216:217], -v[196:197]
	v_fma_f64 v[212:213], v[220:221], v[216:217], v[212:213]
	ds_load_2addr_b64 v[218:221], v214 offset0:14 offset1:15
	v_add_f64 v[188:189], v[188:189], -v[196:197]
	v_add_f64 v[190:191], v[190:191], -v[212:213]
	s_waitcnt lgkmcnt(0)
	v_mul_f64 v[196:197], v[220:221], v[198:199]
	v_mul_f64 v[212:213], v[218:219], v[198:199]
	s_delay_alu instid0(VALU_DEP_2) | instskip(NEXT) | instid1(VALU_DEP_2)
	v_fma_f64 v[196:197], v[218:219], v[216:217], -v[196:197]
	;; [unrolled: 9-line block ×48, first 2 shown]
	v_fma_f64 v[212:213], v[220:221], v[216:217], v[212:213]
	s_delay_alu instid0(VALU_DEP_2) | instskip(NEXT) | instid1(VALU_DEP_2)
	v_add_f64 v[0:1], v[0:1], -v[196:197]
	v_add_f64 v[2:3], v[2:3], -v[212:213]
	v_dual_mov_b32 v196, v216 :: v_dual_mov_b32 v197, v217
.LBB107_46:
	s_or_b32 exec_lo, exec_lo, s3
	s_delay_alu instid0(SALU_CYCLE_1)
	s_mov_b32 s4, exec_lo
	s_waitcnt_vscnt null, 0x0
	s_barrier
	buffer_gl0_inv
	v_cmpx_eq_u32_e32 5, v215
	s_cbranch_execz .LBB107_53
; %bb.47:
	ds_store_2addr_b64 v204, v[192:193], v[194:195] offset1:1
	ds_store_2addr_b64 v214, v[188:189], v[190:191] offset0:12 offset1:13
	ds_store_2addr_b64 v214, v[184:185], v[186:187] offset0:14 offset1:15
	;; [unrolled: 1-line block ×48, first 2 shown]
	ds_load_2addr_b64 v[216:219], v204 offset1:1
	s_waitcnt lgkmcnt(0)
	v_cmp_neq_f64_e32 vcc_lo, 0, v[216:217]
	v_cmp_neq_f64_e64 s3, 0, v[218:219]
	s_delay_alu instid0(VALU_DEP_1) | instskip(NEXT) | instid1(SALU_CYCLE_1)
	s_or_b32 s3, vcc_lo, s3
	s_and_b32 exec_lo, exec_lo, s3
	s_cbranch_execz .LBB107_53
; %bb.48:
	v_cmp_gt_f64_e32 vcc_lo, 0, v[216:217]
	v_xor_b32_e32 v208, 0x80000000, v217
	s_delay_alu instid0(VALU_DEP_1) | instskip(SKIP_3) | instid1(VALU_DEP_1)
	v_cndmask_b32_e32 v213, v217, v208, vcc_lo
	v_cndmask_b32_e32 v212, v216, v216, vcc_lo
	v_cmp_gt_f64_e32 vcc_lo, 0, v[218:219]
	v_xor_b32_e32 v208, 0x80000000, v219
	v_dual_cndmask_b32 v220, v218, v218 :: v_dual_cndmask_b32 v221, v219, v208
	s_delay_alu instid0(VALU_DEP_1) | instskip(SKIP_1) | instid1(SALU_CYCLE_1)
	v_cmp_ngt_f64_e32 vcc_lo, v[212:213], v[220:221]
                                        ; implicit-def: $vgpr212_vgpr213
	s_and_saveexec_b32 s3, vcc_lo
	s_xor_b32 s3, exec_lo, s3
                                        ; implicit-def: $vgpr220_vgpr221_vgpr222_vgpr223
	s_cbranch_execz .LBB107_50
; %bb.49:
	v_div_scale_f64 v[212:213], null, v[218:219], v[218:219], v[216:217]
	v_div_scale_f64 v[224:225], vcc_lo, v[216:217], v[218:219], v[216:217]
	s_delay_alu instid0(VALU_DEP_2) | instskip(SKIP_2) | instid1(VALU_DEP_1)
	v_rcp_f64_e32 v[220:221], v[212:213]
	s_waitcnt_depctr 0xfff
	v_fma_f64 v[222:223], -v[212:213], v[220:221], 1.0
	v_fma_f64 v[220:221], v[220:221], v[222:223], v[220:221]
	s_delay_alu instid0(VALU_DEP_1) | instskip(NEXT) | instid1(VALU_DEP_1)
	v_fma_f64 v[222:223], -v[212:213], v[220:221], 1.0
	v_fma_f64 v[220:221], v[220:221], v[222:223], v[220:221]
	s_delay_alu instid0(VALU_DEP_1) | instskip(NEXT) | instid1(VALU_DEP_1)
	v_mul_f64 v[222:223], v[224:225], v[220:221]
	v_fma_f64 v[212:213], -v[212:213], v[222:223], v[224:225]
	s_delay_alu instid0(VALU_DEP_1) | instskip(NEXT) | instid1(VALU_DEP_1)
	v_div_fmas_f64 v[212:213], v[212:213], v[220:221], v[222:223]
	v_div_fixup_f64 v[212:213], v[212:213], v[218:219], v[216:217]
	s_delay_alu instid0(VALU_DEP_1) | instskip(NEXT) | instid1(VALU_DEP_1)
	v_fma_f64 v[216:217], v[216:217], v[212:213], v[218:219]
	v_div_scale_f64 v[218:219], null, v[216:217], v[216:217], 1.0
	s_delay_alu instid0(VALU_DEP_1) | instskip(SKIP_2) | instid1(VALU_DEP_1)
	v_rcp_f64_e32 v[220:221], v[218:219]
	s_waitcnt_depctr 0xfff
	v_fma_f64 v[222:223], -v[218:219], v[220:221], 1.0
	v_fma_f64 v[220:221], v[220:221], v[222:223], v[220:221]
	s_delay_alu instid0(VALU_DEP_1) | instskip(NEXT) | instid1(VALU_DEP_1)
	v_fma_f64 v[222:223], -v[218:219], v[220:221], 1.0
	v_fma_f64 v[220:221], v[220:221], v[222:223], v[220:221]
	v_div_scale_f64 v[222:223], vcc_lo, 1.0, v[216:217], 1.0
	s_delay_alu instid0(VALU_DEP_1) | instskip(NEXT) | instid1(VALU_DEP_1)
	v_mul_f64 v[224:225], v[222:223], v[220:221]
	v_fma_f64 v[218:219], -v[218:219], v[224:225], v[222:223]
	s_delay_alu instid0(VALU_DEP_1) | instskip(NEXT) | instid1(VALU_DEP_1)
	v_div_fmas_f64 v[218:219], v[218:219], v[220:221], v[224:225]
	v_div_fixup_f64 v[222:223], v[218:219], v[216:217], 1.0
                                        ; implicit-def: $vgpr216_vgpr217
	s_delay_alu instid0(VALU_DEP_1)
	v_mul_f64 v[212:213], v[212:213], v[222:223]
	v_xor_b32_e32 v223, 0x80000000, v223
.LBB107_50:
	s_and_not1_saveexec_b32 s3, s3
	s_cbranch_execz .LBB107_52
; %bb.51:
	v_div_scale_f64 v[212:213], null, v[216:217], v[216:217], v[218:219]
	v_div_scale_f64 v[224:225], vcc_lo, v[218:219], v[216:217], v[218:219]
	s_delay_alu instid0(VALU_DEP_2) | instskip(SKIP_2) | instid1(VALU_DEP_1)
	v_rcp_f64_e32 v[220:221], v[212:213]
	s_waitcnt_depctr 0xfff
	v_fma_f64 v[222:223], -v[212:213], v[220:221], 1.0
	v_fma_f64 v[220:221], v[220:221], v[222:223], v[220:221]
	s_delay_alu instid0(VALU_DEP_1) | instskip(NEXT) | instid1(VALU_DEP_1)
	v_fma_f64 v[222:223], -v[212:213], v[220:221], 1.0
	v_fma_f64 v[220:221], v[220:221], v[222:223], v[220:221]
	s_delay_alu instid0(VALU_DEP_1) | instskip(NEXT) | instid1(VALU_DEP_1)
	v_mul_f64 v[222:223], v[224:225], v[220:221]
	v_fma_f64 v[212:213], -v[212:213], v[222:223], v[224:225]
	s_delay_alu instid0(VALU_DEP_1) | instskip(NEXT) | instid1(VALU_DEP_1)
	v_div_fmas_f64 v[212:213], v[212:213], v[220:221], v[222:223]
	v_div_fixup_f64 v[220:221], v[212:213], v[216:217], v[218:219]
	s_delay_alu instid0(VALU_DEP_1) | instskip(NEXT) | instid1(VALU_DEP_1)
	v_fma_f64 v[212:213], v[218:219], v[220:221], v[216:217]
	v_div_scale_f64 v[216:217], null, v[212:213], v[212:213], 1.0
	s_delay_alu instid0(VALU_DEP_1) | instskip(SKIP_2) | instid1(VALU_DEP_1)
	v_rcp_f64_e32 v[218:219], v[216:217]
	s_waitcnt_depctr 0xfff
	v_fma_f64 v[222:223], -v[216:217], v[218:219], 1.0
	v_fma_f64 v[218:219], v[218:219], v[222:223], v[218:219]
	s_delay_alu instid0(VALU_DEP_1) | instskip(NEXT) | instid1(VALU_DEP_1)
	v_fma_f64 v[222:223], -v[216:217], v[218:219], 1.0
	v_fma_f64 v[218:219], v[218:219], v[222:223], v[218:219]
	v_div_scale_f64 v[222:223], vcc_lo, 1.0, v[212:213], 1.0
	s_delay_alu instid0(VALU_DEP_1) | instskip(NEXT) | instid1(VALU_DEP_1)
	v_mul_f64 v[224:225], v[222:223], v[218:219]
	v_fma_f64 v[216:217], -v[216:217], v[224:225], v[222:223]
	s_delay_alu instid0(VALU_DEP_1) | instskip(NEXT) | instid1(VALU_DEP_1)
	v_div_fmas_f64 v[216:217], v[216:217], v[218:219], v[224:225]
	v_div_fixup_f64 v[212:213], v[216:217], v[212:213], 1.0
	s_delay_alu instid0(VALU_DEP_1)
	v_mul_f64 v[222:223], v[220:221], -v[212:213]
.LBB107_52:
	s_or_b32 exec_lo, exec_lo, s3
	ds_store_2addr_b64 v204, v[212:213], v[222:223] offset1:1
.LBB107_53:
	s_or_b32 exec_lo, exec_lo, s4
	s_waitcnt lgkmcnt(0)
	s_barrier
	buffer_gl0_inv
	ds_load_2addr_b64 v[207:210], v204 offset1:1
	s_mov_b32 s3, exec_lo
	s_waitcnt lgkmcnt(0)
	scratch_store_b128 off, v[207:210], off offset:552 ; 16-byte Folded Spill
	v_cmpx_lt_u32_e32 5, v215
	s_cbranch_execz .LBB107_55
; %bb.54:
	scratch_load_b128 v[207:210], off, off offset:552 ; 16-byte Folded Reload
	ds_load_2addr_b64 v[218:221], v214 offset0:12 offset1:13
	s_waitcnt vmcnt(0)
	v_mul_f64 v[212:213], v[209:210], v[194:195]
	v_mul_f64 v[194:195], v[207:208], v[194:195]
	s_delay_alu instid0(VALU_DEP_2) | instskip(NEXT) | instid1(VALU_DEP_2)
	v_fma_f64 v[216:217], v[207:208], v[192:193], -v[212:213]
	v_fma_f64 v[194:195], v[209:210], v[192:193], v[194:195]
	s_waitcnt lgkmcnt(0)
	s_delay_alu instid0(VALU_DEP_1) | instskip(SKIP_1) | instid1(VALU_DEP_2)
	v_mul_f64 v[192:193], v[220:221], v[194:195]
	v_mul_f64 v[212:213], v[218:219], v[194:195]
	v_fma_f64 v[192:193], v[218:219], v[216:217], -v[192:193]
	s_delay_alu instid0(VALU_DEP_2)
	v_fma_f64 v[212:213], v[220:221], v[216:217], v[212:213]
	ds_load_2addr_b64 v[218:221], v214 offset0:14 offset1:15
	v_add_f64 v[188:189], v[188:189], -v[192:193]
	v_add_f64 v[190:191], v[190:191], -v[212:213]
	s_waitcnt lgkmcnt(0)
	v_mul_f64 v[192:193], v[220:221], v[194:195]
	v_mul_f64 v[212:213], v[218:219], v[194:195]
	s_delay_alu instid0(VALU_DEP_2) | instskip(NEXT) | instid1(VALU_DEP_2)
	v_fma_f64 v[192:193], v[218:219], v[216:217], -v[192:193]
	v_fma_f64 v[212:213], v[220:221], v[216:217], v[212:213]
	ds_load_2addr_b64 v[218:221], v214 offset0:16 offset1:17
	v_add_f64 v[184:185], v[184:185], -v[192:193]
	v_add_f64 v[186:187], v[186:187], -v[212:213]
	s_waitcnt lgkmcnt(0)
	v_mul_f64 v[192:193], v[220:221], v[194:195]
	v_mul_f64 v[212:213], v[218:219], v[194:195]
	s_delay_alu instid0(VALU_DEP_2) | instskip(NEXT) | instid1(VALU_DEP_2)
	v_fma_f64 v[192:193], v[218:219], v[216:217], -v[192:193]
	v_fma_f64 v[212:213], v[220:221], v[216:217], v[212:213]
	ds_load_2addr_b64 v[218:221], v214 offset0:18 offset1:19
	v_add_f64 v[180:181], v[180:181], -v[192:193]
	v_add_f64 v[182:183], v[182:183], -v[212:213]
	s_waitcnt lgkmcnt(0)
	v_mul_f64 v[192:193], v[220:221], v[194:195]
	v_mul_f64 v[212:213], v[218:219], v[194:195]
	s_delay_alu instid0(VALU_DEP_2) | instskip(NEXT) | instid1(VALU_DEP_2)
	v_fma_f64 v[192:193], v[218:219], v[216:217], -v[192:193]
	v_fma_f64 v[212:213], v[220:221], v[216:217], v[212:213]
	ds_load_2addr_b64 v[218:221], v214 offset0:20 offset1:21
	v_add_f64 v[176:177], v[176:177], -v[192:193]
	v_add_f64 v[178:179], v[178:179], -v[212:213]
	s_waitcnt lgkmcnt(0)
	v_mul_f64 v[192:193], v[220:221], v[194:195]
	v_mul_f64 v[212:213], v[218:219], v[194:195]
	s_delay_alu instid0(VALU_DEP_2) | instskip(NEXT) | instid1(VALU_DEP_2)
	v_fma_f64 v[192:193], v[218:219], v[216:217], -v[192:193]
	v_fma_f64 v[212:213], v[220:221], v[216:217], v[212:213]
	ds_load_2addr_b64 v[218:221], v214 offset0:22 offset1:23
	v_add_f64 v[172:173], v[172:173], -v[192:193]
	v_add_f64 v[174:175], v[174:175], -v[212:213]
	s_waitcnt lgkmcnt(0)
	v_mul_f64 v[192:193], v[220:221], v[194:195]
	v_mul_f64 v[212:213], v[218:219], v[194:195]
	s_delay_alu instid0(VALU_DEP_2) | instskip(NEXT) | instid1(VALU_DEP_2)
	v_fma_f64 v[192:193], v[218:219], v[216:217], -v[192:193]
	v_fma_f64 v[212:213], v[220:221], v[216:217], v[212:213]
	ds_load_2addr_b64 v[218:221], v214 offset0:24 offset1:25
	v_add_f64 v[168:169], v[168:169], -v[192:193]
	v_add_f64 v[170:171], v[170:171], -v[212:213]
	s_waitcnt lgkmcnt(0)
	v_mul_f64 v[192:193], v[220:221], v[194:195]
	v_mul_f64 v[212:213], v[218:219], v[194:195]
	s_delay_alu instid0(VALU_DEP_2) | instskip(NEXT) | instid1(VALU_DEP_2)
	v_fma_f64 v[192:193], v[218:219], v[216:217], -v[192:193]
	v_fma_f64 v[212:213], v[220:221], v[216:217], v[212:213]
	ds_load_2addr_b64 v[218:221], v214 offset0:26 offset1:27
	v_add_f64 v[164:165], v[164:165], -v[192:193]
	v_add_f64 v[166:167], v[166:167], -v[212:213]
	s_waitcnt lgkmcnt(0)
	v_mul_f64 v[192:193], v[220:221], v[194:195]
	v_mul_f64 v[212:213], v[218:219], v[194:195]
	s_delay_alu instid0(VALU_DEP_2) | instskip(NEXT) | instid1(VALU_DEP_2)
	v_fma_f64 v[192:193], v[218:219], v[216:217], -v[192:193]
	v_fma_f64 v[212:213], v[220:221], v[216:217], v[212:213]
	ds_load_2addr_b64 v[218:221], v214 offset0:28 offset1:29
	v_add_f64 v[160:161], v[160:161], -v[192:193]
	v_add_f64 v[162:163], v[162:163], -v[212:213]
	s_waitcnt lgkmcnt(0)
	v_mul_f64 v[192:193], v[220:221], v[194:195]
	v_mul_f64 v[212:213], v[218:219], v[194:195]
	s_delay_alu instid0(VALU_DEP_2) | instskip(NEXT) | instid1(VALU_DEP_2)
	v_fma_f64 v[192:193], v[218:219], v[216:217], -v[192:193]
	v_fma_f64 v[212:213], v[220:221], v[216:217], v[212:213]
	ds_load_2addr_b64 v[218:221], v214 offset0:30 offset1:31
	v_add_f64 v[156:157], v[156:157], -v[192:193]
	v_add_f64 v[158:159], v[158:159], -v[212:213]
	s_waitcnt lgkmcnt(0)
	v_mul_f64 v[192:193], v[220:221], v[194:195]
	v_mul_f64 v[212:213], v[218:219], v[194:195]
	s_delay_alu instid0(VALU_DEP_2) | instskip(NEXT) | instid1(VALU_DEP_2)
	v_fma_f64 v[192:193], v[218:219], v[216:217], -v[192:193]
	v_fma_f64 v[212:213], v[220:221], v[216:217], v[212:213]
	ds_load_2addr_b64 v[218:221], v214 offset0:32 offset1:33
	v_add_f64 v[152:153], v[152:153], -v[192:193]
	v_add_f64 v[154:155], v[154:155], -v[212:213]
	s_waitcnt lgkmcnt(0)
	v_mul_f64 v[192:193], v[220:221], v[194:195]
	v_mul_f64 v[212:213], v[218:219], v[194:195]
	s_delay_alu instid0(VALU_DEP_2) | instskip(NEXT) | instid1(VALU_DEP_2)
	v_fma_f64 v[192:193], v[218:219], v[216:217], -v[192:193]
	v_fma_f64 v[212:213], v[220:221], v[216:217], v[212:213]
	ds_load_2addr_b64 v[218:221], v214 offset0:34 offset1:35
	v_add_f64 v[148:149], v[148:149], -v[192:193]
	v_add_f64 v[150:151], v[150:151], -v[212:213]
	s_waitcnt lgkmcnt(0)
	v_mul_f64 v[192:193], v[220:221], v[194:195]
	v_mul_f64 v[212:213], v[218:219], v[194:195]
	s_delay_alu instid0(VALU_DEP_2) | instskip(NEXT) | instid1(VALU_DEP_2)
	v_fma_f64 v[192:193], v[218:219], v[216:217], -v[192:193]
	v_fma_f64 v[212:213], v[220:221], v[216:217], v[212:213]
	ds_load_2addr_b64 v[218:221], v214 offset0:36 offset1:37
	v_add_f64 v[144:145], v[144:145], -v[192:193]
	v_add_f64 v[146:147], v[146:147], -v[212:213]
	s_waitcnt lgkmcnt(0)
	v_mul_f64 v[192:193], v[220:221], v[194:195]
	v_mul_f64 v[212:213], v[218:219], v[194:195]
	s_delay_alu instid0(VALU_DEP_2) | instskip(NEXT) | instid1(VALU_DEP_2)
	v_fma_f64 v[192:193], v[218:219], v[216:217], -v[192:193]
	v_fma_f64 v[212:213], v[220:221], v[216:217], v[212:213]
	ds_load_2addr_b64 v[218:221], v214 offset0:38 offset1:39
	v_add_f64 v[140:141], v[140:141], -v[192:193]
	v_add_f64 v[142:143], v[142:143], -v[212:213]
	s_waitcnt lgkmcnt(0)
	v_mul_f64 v[192:193], v[220:221], v[194:195]
	v_mul_f64 v[212:213], v[218:219], v[194:195]
	s_delay_alu instid0(VALU_DEP_2) | instskip(NEXT) | instid1(VALU_DEP_2)
	v_fma_f64 v[192:193], v[218:219], v[216:217], -v[192:193]
	v_fma_f64 v[212:213], v[220:221], v[216:217], v[212:213]
	ds_load_2addr_b64 v[218:221], v214 offset0:40 offset1:41
	v_add_f64 v[136:137], v[136:137], -v[192:193]
	v_add_f64 v[138:139], v[138:139], -v[212:213]
	s_waitcnt lgkmcnt(0)
	v_mul_f64 v[192:193], v[220:221], v[194:195]
	v_mul_f64 v[212:213], v[218:219], v[194:195]
	s_delay_alu instid0(VALU_DEP_2) | instskip(NEXT) | instid1(VALU_DEP_2)
	v_fma_f64 v[192:193], v[218:219], v[216:217], -v[192:193]
	v_fma_f64 v[212:213], v[220:221], v[216:217], v[212:213]
	ds_load_2addr_b64 v[218:221], v214 offset0:42 offset1:43
	v_add_f64 v[132:133], v[132:133], -v[192:193]
	v_add_f64 v[134:135], v[134:135], -v[212:213]
	s_waitcnt lgkmcnt(0)
	v_mul_f64 v[192:193], v[220:221], v[194:195]
	v_mul_f64 v[212:213], v[218:219], v[194:195]
	s_delay_alu instid0(VALU_DEP_2) | instskip(NEXT) | instid1(VALU_DEP_2)
	v_fma_f64 v[192:193], v[218:219], v[216:217], -v[192:193]
	v_fma_f64 v[212:213], v[220:221], v[216:217], v[212:213]
	ds_load_2addr_b64 v[218:221], v214 offset0:44 offset1:45
	v_add_f64 v[128:129], v[128:129], -v[192:193]
	v_add_f64 v[130:131], v[130:131], -v[212:213]
	s_waitcnt lgkmcnt(0)
	v_mul_f64 v[192:193], v[220:221], v[194:195]
	v_mul_f64 v[212:213], v[218:219], v[194:195]
	s_delay_alu instid0(VALU_DEP_2) | instskip(NEXT) | instid1(VALU_DEP_2)
	v_fma_f64 v[192:193], v[218:219], v[216:217], -v[192:193]
	v_fma_f64 v[212:213], v[220:221], v[216:217], v[212:213]
	ds_load_2addr_b64 v[218:221], v214 offset0:46 offset1:47
	v_add_f64 v[124:125], v[124:125], -v[192:193]
	v_add_f64 v[126:127], v[126:127], -v[212:213]
	s_waitcnt lgkmcnt(0)
	v_mul_f64 v[192:193], v[220:221], v[194:195]
	v_mul_f64 v[212:213], v[218:219], v[194:195]
	s_delay_alu instid0(VALU_DEP_2) | instskip(NEXT) | instid1(VALU_DEP_2)
	v_fma_f64 v[192:193], v[218:219], v[216:217], -v[192:193]
	v_fma_f64 v[212:213], v[220:221], v[216:217], v[212:213]
	ds_load_2addr_b64 v[218:221], v214 offset0:48 offset1:49
	v_add_f64 v[120:121], v[120:121], -v[192:193]
	v_add_f64 v[122:123], v[122:123], -v[212:213]
	s_waitcnt lgkmcnt(0)
	v_mul_f64 v[192:193], v[220:221], v[194:195]
	v_mul_f64 v[212:213], v[218:219], v[194:195]
	s_delay_alu instid0(VALU_DEP_2) | instskip(NEXT) | instid1(VALU_DEP_2)
	v_fma_f64 v[192:193], v[218:219], v[216:217], -v[192:193]
	v_fma_f64 v[212:213], v[220:221], v[216:217], v[212:213]
	ds_load_2addr_b64 v[218:221], v214 offset0:50 offset1:51
	v_add_f64 v[116:117], v[116:117], -v[192:193]
	v_add_f64 v[118:119], v[118:119], -v[212:213]
	s_waitcnt lgkmcnt(0)
	v_mul_f64 v[192:193], v[220:221], v[194:195]
	v_mul_f64 v[212:213], v[218:219], v[194:195]
	s_delay_alu instid0(VALU_DEP_2) | instskip(NEXT) | instid1(VALU_DEP_2)
	v_fma_f64 v[192:193], v[218:219], v[216:217], -v[192:193]
	v_fma_f64 v[212:213], v[220:221], v[216:217], v[212:213]
	ds_load_2addr_b64 v[218:221], v214 offset0:52 offset1:53
	v_add_f64 v[112:113], v[112:113], -v[192:193]
	v_add_f64 v[114:115], v[114:115], -v[212:213]
	s_waitcnt lgkmcnt(0)
	v_mul_f64 v[192:193], v[220:221], v[194:195]
	v_mul_f64 v[212:213], v[218:219], v[194:195]
	s_delay_alu instid0(VALU_DEP_2) | instskip(NEXT) | instid1(VALU_DEP_2)
	v_fma_f64 v[192:193], v[218:219], v[216:217], -v[192:193]
	v_fma_f64 v[212:213], v[220:221], v[216:217], v[212:213]
	ds_load_2addr_b64 v[218:221], v214 offset0:54 offset1:55
	v_add_f64 v[108:109], v[108:109], -v[192:193]
	v_add_f64 v[110:111], v[110:111], -v[212:213]
	s_waitcnt lgkmcnt(0)
	v_mul_f64 v[192:193], v[220:221], v[194:195]
	v_mul_f64 v[212:213], v[218:219], v[194:195]
	s_delay_alu instid0(VALU_DEP_2) | instskip(NEXT) | instid1(VALU_DEP_2)
	v_fma_f64 v[192:193], v[218:219], v[216:217], -v[192:193]
	v_fma_f64 v[212:213], v[220:221], v[216:217], v[212:213]
	ds_load_2addr_b64 v[218:221], v214 offset0:56 offset1:57
	v_add_f64 v[104:105], v[104:105], -v[192:193]
	v_add_f64 v[106:107], v[106:107], -v[212:213]
	s_waitcnt lgkmcnt(0)
	v_mul_f64 v[192:193], v[220:221], v[194:195]
	v_mul_f64 v[212:213], v[218:219], v[194:195]
	s_delay_alu instid0(VALU_DEP_2) | instskip(NEXT) | instid1(VALU_DEP_2)
	v_fma_f64 v[192:193], v[218:219], v[216:217], -v[192:193]
	v_fma_f64 v[212:213], v[220:221], v[216:217], v[212:213]
	ds_load_2addr_b64 v[218:221], v214 offset0:58 offset1:59
	v_add_f64 v[100:101], v[100:101], -v[192:193]
	v_add_f64 v[102:103], v[102:103], -v[212:213]
	s_waitcnt lgkmcnt(0)
	v_mul_f64 v[192:193], v[220:221], v[194:195]
	v_mul_f64 v[212:213], v[218:219], v[194:195]
	s_delay_alu instid0(VALU_DEP_2) | instskip(NEXT) | instid1(VALU_DEP_2)
	v_fma_f64 v[192:193], v[218:219], v[216:217], -v[192:193]
	v_fma_f64 v[212:213], v[220:221], v[216:217], v[212:213]
	ds_load_2addr_b64 v[218:221], v214 offset0:60 offset1:61
	v_add_f64 v[96:97], v[96:97], -v[192:193]
	v_add_f64 v[98:99], v[98:99], -v[212:213]
	s_waitcnt lgkmcnt(0)
	v_mul_f64 v[192:193], v[220:221], v[194:195]
	v_mul_f64 v[212:213], v[218:219], v[194:195]
	s_delay_alu instid0(VALU_DEP_2) | instskip(NEXT) | instid1(VALU_DEP_2)
	v_fma_f64 v[192:193], v[218:219], v[216:217], -v[192:193]
	v_fma_f64 v[212:213], v[220:221], v[216:217], v[212:213]
	ds_load_2addr_b64 v[218:221], v214 offset0:62 offset1:63
	v_add_f64 v[92:93], v[92:93], -v[192:193]
	v_add_f64 v[94:95], v[94:95], -v[212:213]
	s_waitcnt lgkmcnt(0)
	v_mul_f64 v[192:193], v[220:221], v[194:195]
	v_mul_f64 v[212:213], v[218:219], v[194:195]
	s_delay_alu instid0(VALU_DEP_2) | instskip(NEXT) | instid1(VALU_DEP_2)
	v_fma_f64 v[192:193], v[218:219], v[216:217], -v[192:193]
	v_fma_f64 v[212:213], v[220:221], v[216:217], v[212:213]
	ds_load_2addr_b64 v[218:221], v214 offset0:64 offset1:65
	v_add_f64 v[88:89], v[88:89], -v[192:193]
	v_add_f64 v[90:91], v[90:91], -v[212:213]
	s_waitcnt lgkmcnt(0)
	v_mul_f64 v[192:193], v[220:221], v[194:195]
	v_mul_f64 v[212:213], v[218:219], v[194:195]
	s_delay_alu instid0(VALU_DEP_2) | instskip(NEXT) | instid1(VALU_DEP_2)
	v_fma_f64 v[192:193], v[218:219], v[216:217], -v[192:193]
	v_fma_f64 v[212:213], v[220:221], v[216:217], v[212:213]
	ds_load_2addr_b64 v[218:221], v214 offset0:66 offset1:67
	v_add_f64 v[84:85], v[84:85], -v[192:193]
	v_add_f64 v[86:87], v[86:87], -v[212:213]
	s_waitcnt lgkmcnt(0)
	v_mul_f64 v[192:193], v[220:221], v[194:195]
	v_mul_f64 v[212:213], v[218:219], v[194:195]
	s_delay_alu instid0(VALU_DEP_2) | instskip(NEXT) | instid1(VALU_DEP_2)
	v_fma_f64 v[192:193], v[218:219], v[216:217], -v[192:193]
	v_fma_f64 v[212:213], v[220:221], v[216:217], v[212:213]
	ds_load_2addr_b64 v[218:221], v214 offset0:68 offset1:69
	v_add_f64 v[80:81], v[80:81], -v[192:193]
	v_add_f64 v[82:83], v[82:83], -v[212:213]
	s_waitcnt lgkmcnt(0)
	v_mul_f64 v[192:193], v[220:221], v[194:195]
	v_mul_f64 v[212:213], v[218:219], v[194:195]
	s_delay_alu instid0(VALU_DEP_2) | instskip(NEXT) | instid1(VALU_DEP_2)
	v_fma_f64 v[192:193], v[218:219], v[216:217], -v[192:193]
	v_fma_f64 v[212:213], v[220:221], v[216:217], v[212:213]
	ds_load_2addr_b64 v[218:221], v214 offset0:70 offset1:71
	v_add_f64 v[76:77], v[76:77], -v[192:193]
	v_add_f64 v[78:79], v[78:79], -v[212:213]
	s_waitcnt lgkmcnt(0)
	v_mul_f64 v[192:193], v[220:221], v[194:195]
	v_mul_f64 v[212:213], v[218:219], v[194:195]
	s_delay_alu instid0(VALU_DEP_2) | instskip(NEXT) | instid1(VALU_DEP_2)
	v_fma_f64 v[192:193], v[218:219], v[216:217], -v[192:193]
	v_fma_f64 v[212:213], v[220:221], v[216:217], v[212:213]
	ds_load_2addr_b64 v[218:221], v214 offset0:72 offset1:73
	v_add_f64 v[72:73], v[72:73], -v[192:193]
	v_add_f64 v[74:75], v[74:75], -v[212:213]
	s_waitcnt lgkmcnt(0)
	v_mul_f64 v[192:193], v[220:221], v[194:195]
	v_mul_f64 v[212:213], v[218:219], v[194:195]
	s_delay_alu instid0(VALU_DEP_2) | instskip(NEXT) | instid1(VALU_DEP_2)
	v_fma_f64 v[192:193], v[218:219], v[216:217], -v[192:193]
	v_fma_f64 v[212:213], v[220:221], v[216:217], v[212:213]
	ds_load_2addr_b64 v[218:221], v214 offset0:74 offset1:75
	v_add_f64 v[68:69], v[68:69], -v[192:193]
	v_add_f64 v[70:71], v[70:71], -v[212:213]
	s_waitcnt lgkmcnt(0)
	v_mul_f64 v[192:193], v[220:221], v[194:195]
	v_mul_f64 v[212:213], v[218:219], v[194:195]
	s_delay_alu instid0(VALU_DEP_2) | instskip(NEXT) | instid1(VALU_DEP_2)
	v_fma_f64 v[192:193], v[218:219], v[216:217], -v[192:193]
	v_fma_f64 v[212:213], v[220:221], v[216:217], v[212:213]
	ds_load_2addr_b64 v[218:221], v214 offset0:76 offset1:77
	v_add_f64 v[64:65], v[64:65], -v[192:193]
	v_add_f64 v[66:67], v[66:67], -v[212:213]
	s_waitcnt lgkmcnt(0)
	v_mul_f64 v[192:193], v[220:221], v[194:195]
	v_mul_f64 v[212:213], v[218:219], v[194:195]
	s_delay_alu instid0(VALU_DEP_2) | instskip(NEXT) | instid1(VALU_DEP_2)
	v_fma_f64 v[192:193], v[218:219], v[216:217], -v[192:193]
	v_fma_f64 v[212:213], v[220:221], v[216:217], v[212:213]
	ds_load_2addr_b64 v[218:221], v214 offset0:78 offset1:79
	v_add_f64 v[60:61], v[60:61], -v[192:193]
	v_add_f64 v[62:63], v[62:63], -v[212:213]
	s_waitcnt lgkmcnt(0)
	v_mul_f64 v[192:193], v[220:221], v[194:195]
	v_mul_f64 v[212:213], v[218:219], v[194:195]
	s_delay_alu instid0(VALU_DEP_2) | instskip(NEXT) | instid1(VALU_DEP_2)
	v_fma_f64 v[192:193], v[218:219], v[216:217], -v[192:193]
	v_fma_f64 v[212:213], v[220:221], v[216:217], v[212:213]
	ds_load_2addr_b64 v[218:221], v214 offset0:80 offset1:81
	v_add_f64 v[56:57], v[56:57], -v[192:193]
	v_add_f64 v[58:59], v[58:59], -v[212:213]
	s_waitcnt lgkmcnt(0)
	v_mul_f64 v[192:193], v[220:221], v[194:195]
	v_mul_f64 v[212:213], v[218:219], v[194:195]
	s_delay_alu instid0(VALU_DEP_2) | instskip(NEXT) | instid1(VALU_DEP_2)
	v_fma_f64 v[192:193], v[218:219], v[216:217], -v[192:193]
	v_fma_f64 v[212:213], v[220:221], v[216:217], v[212:213]
	ds_load_2addr_b64 v[218:221], v214 offset0:82 offset1:83
	v_add_f64 v[52:53], v[52:53], -v[192:193]
	v_add_f64 v[54:55], v[54:55], -v[212:213]
	s_waitcnt lgkmcnt(0)
	v_mul_f64 v[192:193], v[220:221], v[194:195]
	v_mul_f64 v[212:213], v[218:219], v[194:195]
	s_delay_alu instid0(VALU_DEP_2) | instskip(NEXT) | instid1(VALU_DEP_2)
	v_fma_f64 v[192:193], v[218:219], v[216:217], -v[192:193]
	v_fma_f64 v[212:213], v[220:221], v[216:217], v[212:213]
	ds_load_2addr_b64 v[218:221], v214 offset0:84 offset1:85
	v_add_f64 v[48:49], v[48:49], -v[192:193]
	v_add_f64 v[50:51], v[50:51], -v[212:213]
	s_waitcnt lgkmcnt(0)
	v_mul_f64 v[192:193], v[220:221], v[194:195]
	v_mul_f64 v[212:213], v[218:219], v[194:195]
	s_delay_alu instid0(VALU_DEP_2) | instskip(NEXT) | instid1(VALU_DEP_2)
	v_fma_f64 v[192:193], v[218:219], v[216:217], -v[192:193]
	v_fma_f64 v[212:213], v[220:221], v[216:217], v[212:213]
	ds_load_2addr_b64 v[218:221], v214 offset0:86 offset1:87
	v_add_f64 v[44:45], v[44:45], -v[192:193]
	v_add_f64 v[46:47], v[46:47], -v[212:213]
	s_waitcnt lgkmcnt(0)
	v_mul_f64 v[192:193], v[220:221], v[194:195]
	v_mul_f64 v[212:213], v[218:219], v[194:195]
	s_delay_alu instid0(VALU_DEP_2) | instskip(NEXT) | instid1(VALU_DEP_2)
	v_fma_f64 v[192:193], v[218:219], v[216:217], -v[192:193]
	v_fma_f64 v[212:213], v[220:221], v[216:217], v[212:213]
	ds_load_2addr_b64 v[218:221], v214 offset0:88 offset1:89
	v_add_f64 v[40:41], v[40:41], -v[192:193]
	v_add_f64 v[42:43], v[42:43], -v[212:213]
	s_waitcnt lgkmcnt(0)
	v_mul_f64 v[192:193], v[220:221], v[194:195]
	v_mul_f64 v[212:213], v[218:219], v[194:195]
	s_delay_alu instid0(VALU_DEP_2) | instskip(NEXT) | instid1(VALU_DEP_2)
	v_fma_f64 v[192:193], v[218:219], v[216:217], -v[192:193]
	v_fma_f64 v[212:213], v[220:221], v[216:217], v[212:213]
	ds_load_2addr_b64 v[218:221], v214 offset0:90 offset1:91
	v_add_f64 v[36:37], v[36:37], -v[192:193]
	v_add_f64 v[38:39], v[38:39], -v[212:213]
	s_waitcnt lgkmcnt(0)
	v_mul_f64 v[192:193], v[220:221], v[194:195]
	v_mul_f64 v[212:213], v[218:219], v[194:195]
	s_delay_alu instid0(VALU_DEP_2) | instskip(NEXT) | instid1(VALU_DEP_2)
	v_fma_f64 v[192:193], v[218:219], v[216:217], -v[192:193]
	v_fma_f64 v[212:213], v[220:221], v[216:217], v[212:213]
	ds_load_2addr_b64 v[218:221], v214 offset0:92 offset1:93
	v_add_f64 v[32:33], v[32:33], -v[192:193]
	v_add_f64 v[34:35], v[34:35], -v[212:213]
	s_waitcnt lgkmcnt(0)
	v_mul_f64 v[192:193], v[220:221], v[194:195]
	v_mul_f64 v[212:213], v[218:219], v[194:195]
	s_delay_alu instid0(VALU_DEP_2) | instskip(NEXT) | instid1(VALU_DEP_2)
	v_fma_f64 v[192:193], v[218:219], v[216:217], -v[192:193]
	v_fma_f64 v[212:213], v[220:221], v[216:217], v[212:213]
	ds_load_2addr_b64 v[218:221], v214 offset0:94 offset1:95
	v_add_f64 v[28:29], v[28:29], -v[192:193]
	v_add_f64 v[30:31], v[30:31], -v[212:213]
	s_waitcnt lgkmcnt(0)
	v_mul_f64 v[192:193], v[220:221], v[194:195]
	v_mul_f64 v[212:213], v[218:219], v[194:195]
	s_delay_alu instid0(VALU_DEP_2) | instskip(NEXT) | instid1(VALU_DEP_2)
	v_fma_f64 v[192:193], v[218:219], v[216:217], -v[192:193]
	v_fma_f64 v[212:213], v[220:221], v[216:217], v[212:213]
	ds_load_2addr_b64 v[218:221], v214 offset0:96 offset1:97
	v_add_f64 v[24:25], v[24:25], -v[192:193]
	v_add_f64 v[26:27], v[26:27], -v[212:213]
	s_waitcnt lgkmcnt(0)
	v_mul_f64 v[192:193], v[220:221], v[194:195]
	v_mul_f64 v[212:213], v[218:219], v[194:195]
	s_delay_alu instid0(VALU_DEP_2) | instskip(NEXT) | instid1(VALU_DEP_2)
	v_fma_f64 v[192:193], v[218:219], v[216:217], -v[192:193]
	v_fma_f64 v[212:213], v[220:221], v[216:217], v[212:213]
	ds_load_2addr_b64 v[218:221], v214 offset0:98 offset1:99
	v_add_f64 v[20:21], v[20:21], -v[192:193]
	v_add_f64 v[22:23], v[22:23], -v[212:213]
	s_waitcnt lgkmcnt(0)
	v_mul_f64 v[192:193], v[220:221], v[194:195]
	v_mul_f64 v[212:213], v[218:219], v[194:195]
	s_delay_alu instid0(VALU_DEP_2) | instskip(NEXT) | instid1(VALU_DEP_2)
	v_fma_f64 v[192:193], v[218:219], v[216:217], -v[192:193]
	v_fma_f64 v[212:213], v[220:221], v[216:217], v[212:213]
	ds_load_2addr_b64 v[218:221], v214 offset0:100 offset1:101
	v_add_f64 v[16:17], v[16:17], -v[192:193]
	v_add_f64 v[18:19], v[18:19], -v[212:213]
	s_waitcnt lgkmcnt(0)
	v_mul_f64 v[192:193], v[220:221], v[194:195]
	v_mul_f64 v[212:213], v[218:219], v[194:195]
	s_delay_alu instid0(VALU_DEP_2) | instskip(NEXT) | instid1(VALU_DEP_2)
	v_fma_f64 v[192:193], v[218:219], v[216:217], -v[192:193]
	v_fma_f64 v[212:213], v[220:221], v[216:217], v[212:213]
	ds_load_2addr_b64 v[218:221], v214 offset0:102 offset1:103
	v_add_f64 v[12:13], v[12:13], -v[192:193]
	v_add_f64 v[14:15], v[14:15], -v[212:213]
	s_waitcnt lgkmcnt(0)
	v_mul_f64 v[192:193], v[220:221], v[194:195]
	v_mul_f64 v[212:213], v[218:219], v[194:195]
	s_delay_alu instid0(VALU_DEP_2) | instskip(NEXT) | instid1(VALU_DEP_2)
	v_fma_f64 v[192:193], v[218:219], v[216:217], -v[192:193]
	v_fma_f64 v[212:213], v[220:221], v[216:217], v[212:213]
	ds_load_2addr_b64 v[218:221], v214 offset0:104 offset1:105
	v_add_f64 v[8:9], v[8:9], -v[192:193]
	v_add_f64 v[10:11], v[10:11], -v[212:213]
	s_waitcnt lgkmcnt(0)
	v_mul_f64 v[192:193], v[220:221], v[194:195]
	v_mul_f64 v[212:213], v[218:219], v[194:195]
	s_delay_alu instid0(VALU_DEP_2) | instskip(NEXT) | instid1(VALU_DEP_2)
	v_fma_f64 v[192:193], v[218:219], v[216:217], -v[192:193]
	v_fma_f64 v[212:213], v[220:221], v[216:217], v[212:213]
	ds_load_2addr_b64 v[218:221], v214 offset0:106 offset1:107
	v_add_f64 v[4:5], v[4:5], -v[192:193]
	v_add_f64 v[6:7], v[6:7], -v[212:213]
	s_waitcnt lgkmcnt(0)
	v_mul_f64 v[192:193], v[220:221], v[194:195]
	v_mul_f64 v[212:213], v[218:219], v[194:195]
	s_delay_alu instid0(VALU_DEP_2) | instskip(NEXT) | instid1(VALU_DEP_2)
	v_fma_f64 v[192:193], v[218:219], v[216:217], -v[192:193]
	v_fma_f64 v[212:213], v[220:221], v[216:217], v[212:213]
	s_delay_alu instid0(VALU_DEP_2) | instskip(NEXT) | instid1(VALU_DEP_2)
	v_add_f64 v[0:1], v[0:1], -v[192:193]
	v_add_f64 v[2:3], v[2:3], -v[212:213]
	v_dual_mov_b32 v192, v216 :: v_dual_mov_b32 v193, v217
.LBB107_55:
	s_or_b32 exec_lo, exec_lo, s3
	s_delay_alu instid0(SALU_CYCLE_1)
	s_mov_b32 s4, exec_lo
	s_waitcnt_vscnt null, 0x0
	s_barrier
	buffer_gl0_inv
	v_cmpx_eq_u32_e32 6, v215
	s_cbranch_execz .LBB107_62
; %bb.56:
	ds_store_2addr_b64 v204, v[188:189], v[190:191] offset1:1
	ds_store_2addr_b64 v214, v[184:185], v[186:187] offset0:14 offset1:15
	ds_store_2addr_b64 v214, v[180:181], v[182:183] offset0:16 offset1:17
	;; [unrolled: 1-line block ×47, first 2 shown]
	ds_load_2addr_b64 v[216:219], v204 offset1:1
	s_waitcnt lgkmcnt(0)
	v_cmp_neq_f64_e32 vcc_lo, 0, v[216:217]
	v_cmp_neq_f64_e64 s3, 0, v[218:219]
	s_delay_alu instid0(VALU_DEP_1) | instskip(NEXT) | instid1(SALU_CYCLE_1)
	s_or_b32 s3, vcc_lo, s3
	s_and_b32 exec_lo, exec_lo, s3
	s_cbranch_execz .LBB107_62
; %bb.57:
	v_cmp_gt_f64_e32 vcc_lo, 0, v[216:217]
	v_xor_b32_e32 v208, 0x80000000, v217
	s_delay_alu instid0(VALU_DEP_1) | instskip(SKIP_3) | instid1(VALU_DEP_1)
	v_cndmask_b32_e32 v213, v217, v208, vcc_lo
	v_cndmask_b32_e32 v212, v216, v216, vcc_lo
	v_cmp_gt_f64_e32 vcc_lo, 0, v[218:219]
	v_xor_b32_e32 v208, 0x80000000, v219
	v_dual_cndmask_b32 v220, v218, v218 :: v_dual_cndmask_b32 v221, v219, v208
	s_delay_alu instid0(VALU_DEP_1) | instskip(SKIP_1) | instid1(SALU_CYCLE_1)
	v_cmp_ngt_f64_e32 vcc_lo, v[212:213], v[220:221]
                                        ; implicit-def: $vgpr212_vgpr213
	s_and_saveexec_b32 s3, vcc_lo
	s_xor_b32 s3, exec_lo, s3
                                        ; implicit-def: $vgpr220_vgpr221_vgpr222_vgpr223
	s_cbranch_execz .LBB107_59
; %bb.58:
	v_div_scale_f64 v[212:213], null, v[218:219], v[218:219], v[216:217]
	v_div_scale_f64 v[224:225], vcc_lo, v[216:217], v[218:219], v[216:217]
	s_delay_alu instid0(VALU_DEP_2) | instskip(SKIP_2) | instid1(VALU_DEP_1)
	v_rcp_f64_e32 v[220:221], v[212:213]
	s_waitcnt_depctr 0xfff
	v_fma_f64 v[222:223], -v[212:213], v[220:221], 1.0
	v_fma_f64 v[220:221], v[220:221], v[222:223], v[220:221]
	s_delay_alu instid0(VALU_DEP_1) | instskip(NEXT) | instid1(VALU_DEP_1)
	v_fma_f64 v[222:223], -v[212:213], v[220:221], 1.0
	v_fma_f64 v[220:221], v[220:221], v[222:223], v[220:221]
	s_delay_alu instid0(VALU_DEP_1) | instskip(NEXT) | instid1(VALU_DEP_1)
	v_mul_f64 v[222:223], v[224:225], v[220:221]
	v_fma_f64 v[212:213], -v[212:213], v[222:223], v[224:225]
	s_delay_alu instid0(VALU_DEP_1) | instskip(NEXT) | instid1(VALU_DEP_1)
	v_div_fmas_f64 v[212:213], v[212:213], v[220:221], v[222:223]
	v_div_fixup_f64 v[212:213], v[212:213], v[218:219], v[216:217]
	s_delay_alu instid0(VALU_DEP_1) | instskip(NEXT) | instid1(VALU_DEP_1)
	v_fma_f64 v[216:217], v[216:217], v[212:213], v[218:219]
	v_div_scale_f64 v[218:219], null, v[216:217], v[216:217], 1.0
	s_delay_alu instid0(VALU_DEP_1) | instskip(SKIP_2) | instid1(VALU_DEP_1)
	v_rcp_f64_e32 v[220:221], v[218:219]
	s_waitcnt_depctr 0xfff
	v_fma_f64 v[222:223], -v[218:219], v[220:221], 1.0
	v_fma_f64 v[220:221], v[220:221], v[222:223], v[220:221]
	s_delay_alu instid0(VALU_DEP_1) | instskip(NEXT) | instid1(VALU_DEP_1)
	v_fma_f64 v[222:223], -v[218:219], v[220:221], 1.0
	v_fma_f64 v[220:221], v[220:221], v[222:223], v[220:221]
	v_div_scale_f64 v[222:223], vcc_lo, 1.0, v[216:217], 1.0
	s_delay_alu instid0(VALU_DEP_1) | instskip(NEXT) | instid1(VALU_DEP_1)
	v_mul_f64 v[224:225], v[222:223], v[220:221]
	v_fma_f64 v[218:219], -v[218:219], v[224:225], v[222:223]
	s_delay_alu instid0(VALU_DEP_1) | instskip(NEXT) | instid1(VALU_DEP_1)
	v_div_fmas_f64 v[218:219], v[218:219], v[220:221], v[224:225]
	v_div_fixup_f64 v[222:223], v[218:219], v[216:217], 1.0
                                        ; implicit-def: $vgpr216_vgpr217
	s_delay_alu instid0(VALU_DEP_1)
	v_mul_f64 v[212:213], v[212:213], v[222:223]
	v_xor_b32_e32 v223, 0x80000000, v223
.LBB107_59:
	s_and_not1_saveexec_b32 s3, s3
	s_cbranch_execz .LBB107_61
; %bb.60:
	v_div_scale_f64 v[212:213], null, v[216:217], v[216:217], v[218:219]
	v_div_scale_f64 v[224:225], vcc_lo, v[218:219], v[216:217], v[218:219]
	s_delay_alu instid0(VALU_DEP_2) | instskip(SKIP_2) | instid1(VALU_DEP_1)
	v_rcp_f64_e32 v[220:221], v[212:213]
	s_waitcnt_depctr 0xfff
	v_fma_f64 v[222:223], -v[212:213], v[220:221], 1.0
	v_fma_f64 v[220:221], v[220:221], v[222:223], v[220:221]
	s_delay_alu instid0(VALU_DEP_1) | instskip(NEXT) | instid1(VALU_DEP_1)
	v_fma_f64 v[222:223], -v[212:213], v[220:221], 1.0
	v_fma_f64 v[220:221], v[220:221], v[222:223], v[220:221]
	s_delay_alu instid0(VALU_DEP_1) | instskip(NEXT) | instid1(VALU_DEP_1)
	v_mul_f64 v[222:223], v[224:225], v[220:221]
	v_fma_f64 v[212:213], -v[212:213], v[222:223], v[224:225]
	s_delay_alu instid0(VALU_DEP_1) | instskip(NEXT) | instid1(VALU_DEP_1)
	v_div_fmas_f64 v[212:213], v[212:213], v[220:221], v[222:223]
	v_div_fixup_f64 v[220:221], v[212:213], v[216:217], v[218:219]
	s_delay_alu instid0(VALU_DEP_1) | instskip(NEXT) | instid1(VALU_DEP_1)
	v_fma_f64 v[212:213], v[218:219], v[220:221], v[216:217]
	v_div_scale_f64 v[216:217], null, v[212:213], v[212:213], 1.0
	s_delay_alu instid0(VALU_DEP_1) | instskip(SKIP_2) | instid1(VALU_DEP_1)
	v_rcp_f64_e32 v[218:219], v[216:217]
	s_waitcnt_depctr 0xfff
	v_fma_f64 v[222:223], -v[216:217], v[218:219], 1.0
	v_fma_f64 v[218:219], v[218:219], v[222:223], v[218:219]
	s_delay_alu instid0(VALU_DEP_1) | instskip(NEXT) | instid1(VALU_DEP_1)
	v_fma_f64 v[222:223], -v[216:217], v[218:219], 1.0
	v_fma_f64 v[218:219], v[218:219], v[222:223], v[218:219]
	v_div_scale_f64 v[222:223], vcc_lo, 1.0, v[212:213], 1.0
	s_delay_alu instid0(VALU_DEP_1) | instskip(NEXT) | instid1(VALU_DEP_1)
	v_mul_f64 v[224:225], v[222:223], v[218:219]
	v_fma_f64 v[216:217], -v[216:217], v[224:225], v[222:223]
	s_delay_alu instid0(VALU_DEP_1) | instskip(NEXT) | instid1(VALU_DEP_1)
	v_div_fmas_f64 v[216:217], v[216:217], v[218:219], v[224:225]
	v_div_fixup_f64 v[212:213], v[216:217], v[212:213], 1.0
	s_delay_alu instid0(VALU_DEP_1)
	v_mul_f64 v[222:223], v[220:221], -v[212:213]
.LBB107_61:
	s_or_b32 exec_lo, exec_lo, s3
	ds_store_2addr_b64 v204, v[212:213], v[222:223] offset1:1
.LBB107_62:
	s_or_b32 exec_lo, exec_lo, s4
	s_waitcnt lgkmcnt(0)
	s_barrier
	buffer_gl0_inv
	ds_load_2addr_b64 v[207:210], v204 offset1:1
	s_mov_b32 s3, exec_lo
	s_waitcnt lgkmcnt(0)
	scratch_store_b128 off, v[207:210], off offset:568 ; 16-byte Folded Spill
	v_cmpx_lt_u32_e32 6, v215
	s_cbranch_execz .LBB107_64
; %bb.63:
	scratch_load_b128 v[207:210], off, off offset:568 ; 16-byte Folded Reload
	ds_load_2addr_b64 v[218:221], v214 offset0:14 offset1:15
	s_waitcnt vmcnt(0)
	v_mul_f64 v[212:213], v[209:210], v[190:191]
	v_mul_f64 v[190:191], v[207:208], v[190:191]
	s_delay_alu instid0(VALU_DEP_2) | instskip(NEXT) | instid1(VALU_DEP_2)
	v_fma_f64 v[216:217], v[207:208], v[188:189], -v[212:213]
	v_fma_f64 v[190:191], v[209:210], v[188:189], v[190:191]
	s_waitcnt lgkmcnt(0)
	s_delay_alu instid0(VALU_DEP_1) | instskip(SKIP_1) | instid1(VALU_DEP_2)
	v_mul_f64 v[188:189], v[220:221], v[190:191]
	v_mul_f64 v[212:213], v[218:219], v[190:191]
	v_fma_f64 v[188:189], v[218:219], v[216:217], -v[188:189]
	s_delay_alu instid0(VALU_DEP_2)
	v_fma_f64 v[212:213], v[220:221], v[216:217], v[212:213]
	ds_load_2addr_b64 v[218:221], v214 offset0:16 offset1:17
	v_add_f64 v[184:185], v[184:185], -v[188:189]
	v_add_f64 v[186:187], v[186:187], -v[212:213]
	s_waitcnt lgkmcnt(0)
	v_mul_f64 v[188:189], v[220:221], v[190:191]
	v_mul_f64 v[212:213], v[218:219], v[190:191]
	s_delay_alu instid0(VALU_DEP_2) | instskip(NEXT) | instid1(VALU_DEP_2)
	v_fma_f64 v[188:189], v[218:219], v[216:217], -v[188:189]
	v_fma_f64 v[212:213], v[220:221], v[216:217], v[212:213]
	ds_load_2addr_b64 v[218:221], v214 offset0:18 offset1:19
	v_add_f64 v[180:181], v[180:181], -v[188:189]
	v_add_f64 v[182:183], v[182:183], -v[212:213]
	s_waitcnt lgkmcnt(0)
	v_mul_f64 v[188:189], v[220:221], v[190:191]
	v_mul_f64 v[212:213], v[218:219], v[190:191]
	s_delay_alu instid0(VALU_DEP_2) | instskip(NEXT) | instid1(VALU_DEP_2)
	v_fma_f64 v[188:189], v[218:219], v[216:217], -v[188:189]
	;; [unrolled: 9-line block ×46, first 2 shown]
	v_fma_f64 v[212:213], v[220:221], v[216:217], v[212:213]
	s_delay_alu instid0(VALU_DEP_2) | instskip(NEXT) | instid1(VALU_DEP_2)
	v_add_f64 v[0:1], v[0:1], -v[188:189]
	v_add_f64 v[2:3], v[2:3], -v[212:213]
	v_dual_mov_b32 v188, v216 :: v_dual_mov_b32 v189, v217
.LBB107_64:
	s_or_b32 exec_lo, exec_lo, s3
	s_delay_alu instid0(SALU_CYCLE_1)
	s_mov_b32 s4, exec_lo
	s_waitcnt_vscnt null, 0x0
	s_barrier
	buffer_gl0_inv
	v_cmpx_eq_u32_e32 7, v215
	s_cbranch_execz .LBB107_71
; %bb.65:
	ds_store_2addr_b64 v204, v[184:185], v[186:187] offset1:1
	ds_store_2addr_b64 v214, v[180:181], v[182:183] offset0:16 offset1:17
	ds_store_2addr_b64 v214, v[176:177], v[178:179] offset0:18 offset1:19
	;; [unrolled: 1-line block ×46, first 2 shown]
	ds_load_2addr_b64 v[216:219], v204 offset1:1
	s_waitcnt lgkmcnt(0)
	v_cmp_neq_f64_e32 vcc_lo, 0, v[216:217]
	v_cmp_neq_f64_e64 s3, 0, v[218:219]
	s_delay_alu instid0(VALU_DEP_1) | instskip(NEXT) | instid1(SALU_CYCLE_1)
	s_or_b32 s3, vcc_lo, s3
	s_and_b32 exec_lo, exec_lo, s3
	s_cbranch_execz .LBB107_71
; %bb.66:
	v_cmp_gt_f64_e32 vcc_lo, 0, v[216:217]
	v_xor_b32_e32 v208, 0x80000000, v217
	s_delay_alu instid0(VALU_DEP_1) | instskip(SKIP_3) | instid1(VALU_DEP_1)
	v_cndmask_b32_e32 v213, v217, v208, vcc_lo
	v_cndmask_b32_e32 v212, v216, v216, vcc_lo
	v_cmp_gt_f64_e32 vcc_lo, 0, v[218:219]
	v_xor_b32_e32 v208, 0x80000000, v219
	v_dual_cndmask_b32 v220, v218, v218 :: v_dual_cndmask_b32 v221, v219, v208
	s_delay_alu instid0(VALU_DEP_1) | instskip(SKIP_1) | instid1(SALU_CYCLE_1)
	v_cmp_ngt_f64_e32 vcc_lo, v[212:213], v[220:221]
                                        ; implicit-def: $vgpr212_vgpr213
	s_and_saveexec_b32 s3, vcc_lo
	s_xor_b32 s3, exec_lo, s3
                                        ; implicit-def: $vgpr220_vgpr221_vgpr222_vgpr223
	s_cbranch_execz .LBB107_68
; %bb.67:
	v_div_scale_f64 v[212:213], null, v[218:219], v[218:219], v[216:217]
	v_div_scale_f64 v[224:225], vcc_lo, v[216:217], v[218:219], v[216:217]
	s_delay_alu instid0(VALU_DEP_2) | instskip(SKIP_2) | instid1(VALU_DEP_1)
	v_rcp_f64_e32 v[220:221], v[212:213]
	s_waitcnt_depctr 0xfff
	v_fma_f64 v[222:223], -v[212:213], v[220:221], 1.0
	v_fma_f64 v[220:221], v[220:221], v[222:223], v[220:221]
	s_delay_alu instid0(VALU_DEP_1) | instskip(NEXT) | instid1(VALU_DEP_1)
	v_fma_f64 v[222:223], -v[212:213], v[220:221], 1.0
	v_fma_f64 v[220:221], v[220:221], v[222:223], v[220:221]
	s_delay_alu instid0(VALU_DEP_1) | instskip(NEXT) | instid1(VALU_DEP_1)
	v_mul_f64 v[222:223], v[224:225], v[220:221]
	v_fma_f64 v[212:213], -v[212:213], v[222:223], v[224:225]
	s_delay_alu instid0(VALU_DEP_1) | instskip(NEXT) | instid1(VALU_DEP_1)
	v_div_fmas_f64 v[212:213], v[212:213], v[220:221], v[222:223]
	v_div_fixup_f64 v[212:213], v[212:213], v[218:219], v[216:217]
	s_delay_alu instid0(VALU_DEP_1) | instskip(NEXT) | instid1(VALU_DEP_1)
	v_fma_f64 v[216:217], v[216:217], v[212:213], v[218:219]
	v_div_scale_f64 v[218:219], null, v[216:217], v[216:217], 1.0
	s_delay_alu instid0(VALU_DEP_1) | instskip(SKIP_2) | instid1(VALU_DEP_1)
	v_rcp_f64_e32 v[220:221], v[218:219]
	s_waitcnt_depctr 0xfff
	v_fma_f64 v[222:223], -v[218:219], v[220:221], 1.0
	v_fma_f64 v[220:221], v[220:221], v[222:223], v[220:221]
	s_delay_alu instid0(VALU_DEP_1) | instskip(NEXT) | instid1(VALU_DEP_1)
	v_fma_f64 v[222:223], -v[218:219], v[220:221], 1.0
	v_fma_f64 v[220:221], v[220:221], v[222:223], v[220:221]
	v_div_scale_f64 v[222:223], vcc_lo, 1.0, v[216:217], 1.0
	s_delay_alu instid0(VALU_DEP_1) | instskip(NEXT) | instid1(VALU_DEP_1)
	v_mul_f64 v[224:225], v[222:223], v[220:221]
	v_fma_f64 v[218:219], -v[218:219], v[224:225], v[222:223]
	s_delay_alu instid0(VALU_DEP_1) | instskip(NEXT) | instid1(VALU_DEP_1)
	v_div_fmas_f64 v[218:219], v[218:219], v[220:221], v[224:225]
	v_div_fixup_f64 v[222:223], v[218:219], v[216:217], 1.0
                                        ; implicit-def: $vgpr216_vgpr217
	s_delay_alu instid0(VALU_DEP_1)
	v_mul_f64 v[212:213], v[212:213], v[222:223]
	v_xor_b32_e32 v223, 0x80000000, v223
.LBB107_68:
	s_and_not1_saveexec_b32 s3, s3
	s_cbranch_execz .LBB107_70
; %bb.69:
	v_div_scale_f64 v[212:213], null, v[216:217], v[216:217], v[218:219]
	v_div_scale_f64 v[224:225], vcc_lo, v[218:219], v[216:217], v[218:219]
	s_delay_alu instid0(VALU_DEP_2) | instskip(SKIP_2) | instid1(VALU_DEP_1)
	v_rcp_f64_e32 v[220:221], v[212:213]
	s_waitcnt_depctr 0xfff
	v_fma_f64 v[222:223], -v[212:213], v[220:221], 1.0
	v_fma_f64 v[220:221], v[220:221], v[222:223], v[220:221]
	s_delay_alu instid0(VALU_DEP_1) | instskip(NEXT) | instid1(VALU_DEP_1)
	v_fma_f64 v[222:223], -v[212:213], v[220:221], 1.0
	v_fma_f64 v[220:221], v[220:221], v[222:223], v[220:221]
	s_delay_alu instid0(VALU_DEP_1) | instskip(NEXT) | instid1(VALU_DEP_1)
	v_mul_f64 v[222:223], v[224:225], v[220:221]
	v_fma_f64 v[212:213], -v[212:213], v[222:223], v[224:225]
	s_delay_alu instid0(VALU_DEP_1) | instskip(NEXT) | instid1(VALU_DEP_1)
	v_div_fmas_f64 v[212:213], v[212:213], v[220:221], v[222:223]
	v_div_fixup_f64 v[220:221], v[212:213], v[216:217], v[218:219]
	s_delay_alu instid0(VALU_DEP_1) | instskip(NEXT) | instid1(VALU_DEP_1)
	v_fma_f64 v[212:213], v[218:219], v[220:221], v[216:217]
	v_div_scale_f64 v[216:217], null, v[212:213], v[212:213], 1.0
	s_delay_alu instid0(VALU_DEP_1) | instskip(SKIP_2) | instid1(VALU_DEP_1)
	v_rcp_f64_e32 v[218:219], v[216:217]
	s_waitcnt_depctr 0xfff
	v_fma_f64 v[222:223], -v[216:217], v[218:219], 1.0
	v_fma_f64 v[218:219], v[218:219], v[222:223], v[218:219]
	s_delay_alu instid0(VALU_DEP_1) | instskip(NEXT) | instid1(VALU_DEP_1)
	v_fma_f64 v[222:223], -v[216:217], v[218:219], 1.0
	v_fma_f64 v[218:219], v[218:219], v[222:223], v[218:219]
	v_div_scale_f64 v[222:223], vcc_lo, 1.0, v[212:213], 1.0
	s_delay_alu instid0(VALU_DEP_1) | instskip(NEXT) | instid1(VALU_DEP_1)
	v_mul_f64 v[224:225], v[222:223], v[218:219]
	v_fma_f64 v[216:217], -v[216:217], v[224:225], v[222:223]
	s_delay_alu instid0(VALU_DEP_1) | instskip(NEXT) | instid1(VALU_DEP_1)
	v_div_fmas_f64 v[216:217], v[216:217], v[218:219], v[224:225]
	v_div_fixup_f64 v[212:213], v[216:217], v[212:213], 1.0
	s_delay_alu instid0(VALU_DEP_1)
	v_mul_f64 v[222:223], v[220:221], -v[212:213]
.LBB107_70:
	s_or_b32 exec_lo, exec_lo, s3
	ds_store_2addr_b64 v204, v[212:213], v[222:223] offset1:1
.LBB107_71:
	s_or_b32 exec_lo, exec_lo, s4
	s_waitcnt lgkmcnt(0)
	s_barrier
	buffer_gl0_inv
	ds_load_2addr_b64 v[207:210], v204 offset1:1
	s_mov_b32 s3, exec_lo
	s_waitcnt lgkmcnt(0)
	scratch_store_b128 off, v[207:210], off offset:584 ; 16-byte Folded Spill
	v_cmpx_lt_u32_e32 7, v215
	s_cbranch_execz .LBB107_73
; %bb.72:
	scratch_load_b128 v[207:210], off, off offset:584 ; 16-byte Folded Reload
	ds_load_2addr_b64 v[218:221], v214 offset0:16 offset1:17
	s_waitcnt vmcnt(0)
	v_mul_f64 v[212:213], v[209:210], v[186:187]
	v_mul_f64 v[186:187], v[207:208], v[186:187]
	s_delay_alu instid0(VALU_DEP_2) | instskip(NEXT) | instid1(VALU_DEP_2)
	v_fma_f64 v[216:217], v[207:208], v[184:185], -v[212:213]
	v_fma_f64 v[186:187], v[209:210], v[184:185], v[186:187]
	s_waitcnt lgkmcnt(0)
	s_delay_alu instid0(VALU_DEP_1) | instskip(SKIP_1) | instid1(VALU_DEP_2)
	v_mul_f64 v[184:185], v[220:221], v[186:187]
	v_mul_f64 v[212:213], v[218:219], v[186:187]
	v_fma_f64 v[184:185], v[218:219], v[216:217], -v[184:185]
	s_delay_alu instid0(VALU_DEP_2)
	v_fma_f64 v[212:213], v[220:221], v[216:217], v[212:213]
	ds_load_2addr_b64 v[218:221], v214 offset0:18 offset1:19
	v_add_f64 v[180:181], v[180:181], -v[184:185]
	v_add_f64 v[182:183], v[182:183], -v[212:213]
	s_waitcnt lgkmcnt(0)
	v_mul_f64 v[184:185], v[220:221], v[186:187]
	v_mul_f64 v[212:213], v[218:219], v[186:187]
	s_delay_alu instid0(VALU_DEP_2) | instskip(NEXT) | instid1(VALU_DEP_2)
	v_fma_f64 v[184:185], v[218:219], v[216:217], -v[184:185]
	v_fma_f64 v[212:213], v[220:221], v[216:217], v[212:213]
	ds_load_2addr_b64 v[218:221], v214 offset0:20 offset1:21
	v_add_f64 v[176:177], v[176:177], -v[184:185]
	v_add_f64 v[178:179], v[178:179], -v[212:213]
	s_waitcnt lgkmcnt(0)
	v_mul_f64 v[184:185], v[220:221], v[186:187]
	v_mul_f64 v[212:213], v[218:219], v[186:187]
	s_delay_alu instid0(VALU_DEP_2) | instskip(NEXT) | instid1(VALU_DEP_2)
	v_fma_f64 v[184:185], v[218:219], v[216:217], -v[184:185]
	;; [unrolled: 9-line block ×45, first 2 shown]
	v_fma_f64 v[212:213], v[220:221], v[216:217], v[212:213]
	s_delay_alu instid0(VALU_DEP_2) | instskip(NEXT) | instid1(VALU_DEP_2)
	v_add_f64 v[0:1], v[0:1], -v[184:185]
	v_add_f64 v[2:3], v[2:3], -v[212:213]
	v_dual_mov_b32 v184, v216 :: v_dual_mov_b32 v185, v217
.LBB107_73:
	s_or_b32 exec_lo, exec_lo, s3
	s_delay_alu instid0(SALU_CYCLE_1)
	s_mov_b32 s4, exec_lo
	s_waitcnt_vscnt null, 0x0
	s_barrier
	buffer_gl0_inv
	v_cmpx_eq_u32_e32 8, v215
	s_cbranch_execz .LBB107_80
; %bb.74:
	ds_store_2addr_b64 v204, v[180:181], v[182:183] offset1:1
	ds_store_2addr_b64 v214, v[176:177], v[178:179] offset0:18 offset1:19
	ds_store_2addr_b64 v214, v[172:173], v[174:175] offset0:20 offset1:21
	;; [unrolled: 1-line block ×45, first 2 shown]
	ds_load_2addr_b64 v[216:219], v204 offset1:1
	s_waitcnt lgkmcnt(0)
	v_cmp_neq_f64_e32 vcc_lo, 0, v[216:217]
	v_cmp_neq_f64_e64 s3, 0, v[218:219]
	s_delay_alu instid0(VALU_DEP_1) | instskip(NEXT) | instid1(SALU_CYCLE_1)
	s_or_b32 s3, vcc_lo, s3
	s_and_b32 exec_lo, exec_lo, s3
	s_cbranch_execz .LBB107_80
; %bb.75:
	v_cmp_gt_f64_e32 vcc_lo, 0, v[216:217]
	v_xor_b32_e32 v208, 0x80000000, v217
	s_delay_alu instid0(VALU_DEP_1) | instskip(SKIP_3) | instid1(VALU_DEP_1)
	v_cndmask_b32_e32 v213, v217, v208, vcc_lo
	v_cndmask_b32_e32 v212, v216, v216, vcc_lo
	v_cmp_gt_f64_e32 vcc_lo, 0, v[218:219]
	v_xor_b32_e32 v208, 0x80000000, v219
	v_dual_cndmask_b32 v220, v218, v218 :: v_dual_cndmask_b32 v221, v219, v208
	s_delay_alu instid0(VALU_DEP_1) | instskip(SKIP_1) | instid1(SALU_CYCLE_1)
	v_cmp_ngt_f64_e32 vcc_lo, v[212:213], v[220:221]
                                        ; implicit-def: $vgpr212_vgpr213
	s_and_saveexec_b32 s3, vcc_lo
	s_xor_b32 s3, exec_lo, s3
                                        ; implicit-def: $vgpr220_vgpr221_vgpr222_vgpr223
	s_cbranch_execz .LBB107_77
; %bb.76:
	v_div_scale_f64 v[212:213], null, v[218:219], v[218:219], v[216:217]
	v_div_scale_f64 v[224:225], vcc_lo, v[216:217], v[218:219], v[216:217]
	s_delay_alu instid0(VALU_DEP_2) | instskip(SKIP_2) | instid1(VALU_DEP_1)
	v_rcp_f64_e32 v[220:221], v[212:213]
	s_waitcnt_depctr 0xfff
	v_fma_f64 v[222:223], -v[212:213], v[220:221], 1.0
	v_fma_f64 v[220:221], v[220:221], v[222:223], v[220:221]
	s_delay_alu instid0(VALU_DEP_1) | instskip(NEXT) | instid1(VALU_DEP_1)
	v_fma_f64 v[222:223], -v[212:213], v[220:221], 1.0
	v_fma_f64 v[220:221], v[220:221], v[222:223], v[220:221]
	s_delay_alu instid0(VALU_DEP_1) | instskip(NEXT) | instid1(VALU_DEP_1)
	v_mul_f64 v[222:223], v[224:225], v[220:221]
	v_fma_f64 v[212:213], -v[212:213], v[222:223], v[224:225]
	s_delay_alu instid0(VALU_DEP_1) | instskip(NEXT) | instid1(VALU_DEP_1)
	v_div_fmas_f64 v[212:213], v[212:213], v[220:221], v[222:223]
	v_div_fixup_f64 v[212:213], v[212:213], v[218:219], v[216:217]
	s_delay_alu instid0(VALU_DEP_1) | instskip(NEXT) | instid1(VALU_DEP_1)
	v_fma_f64 v[216:217], v[216:217], v[212:213], v[218:219]
	v_div_scale_f64 v[218:219], null, v[216:217], v[216:217], 1.0
	s_delay_alu instid0(VALU_DEP_1) | instskip(SKIP_2) | instid1(VALU_DEP_1)
	v_rcp_f64_e32 v[220:221], v[218:219]
	s_waitcnt_depctr 0xfff
	v_fma_f64 v[222:223], -v[218:219], v[220:221], 1.0
	v_fma_f64 v[220:221], v[220:221], v[222:223], v[220:221]
	s_delay_alu instid0(VALU_DEP_1) | instskip(NEXT) | instid1(VALU_DEP_1)
	v_fma_f64 v[222:223], -v[218:219], v[220:221], 1.0
	v_fma_f64 v[220:221], v[220:221], v[222:223], v[220:221]
	v_div_scale_f64 v[222:223], vcc_lo, 1.0, v[216:217], 1.0
	s_delay_alu instid0(VALU_DEP_1) | instskip(NEXT) | instid1(VALU_DEP_1)
	v_mul_f64 v[224:225], v[222:223], v[220:221]
	v_fma_f64 v[218:219], -v[218:219], v[224:225], v[222:223]
	s_delay_alu instid0(VALU_DEP_1) | instskip(NEXT) | instid1(VALU_DEP_1)
	v_div_fmas_f64 v[218:219], v[218:219], v[220:221], v[224:225]
	v_div_fixup_f64 v[222:223], v[218:219], v[216:217], 1.0
                                        ; implicit-def: $vgpr216_vgpr217
	s_delay_alu instid0(VALU_DEP_1)
	v_mul_f64 v[212:213], v[212:213], v[222:223]
	v_xor_b32_e32 v223, 0x80000000, v223
.LBB107_77:
	s_and_not1_saveexec_b32 s3, s3
	s_cbranch_execz .LBB107_79
; %bb.78:
	v_div_scale_f64 v[212:213], null, v[216:217], v[216:217], v[218:219]
	v_div_scale_f64 v[224:225], vcc_lo, v[218:219], v[216:217], v[218:219]
	s_delay_alu instid0(VALU_DEP_2) | instskip(SKIP_2) | instid1(VALU_DEP_1)
	v_rcp_f64_e32 v[220:221], v[212:213]
	s_waitcnt_depctr 0xfff
	v_fma_f64 v[222:223], -v[212:213], v[220:221], 1.0
	v_fma_f64 v[220:221], v[220:221], v[222:223], v[220:221]
	s_delay_alu instid0(VALU_DEP_1) | instskip(NEXT) | instid1(VALU_DEP_1)
	v_fma_f64 v[222:223], -v[212:213], v[220:221], 1.0
	v_fma_f64 v[220:221], v[220:221], v[222:223], v[220:221]
	s_delay_alu instid0(VALU_DEP_1) | instskip(NEXT) | instid1(VALU_DEP_1)
	v_mul_f64 v[222:223], v[224:225], v[220:221]
	v_fma_f64 v[212:213], -v[212:213], v[222:223], v[224:225]
	s_delay_alu instid0(VALU_DEP_1) | instskip(NEXT) | instid1(VALU_DEP_1)
	v_div_fmas_f64 v[212:213], v[212:213], v[220:221], v[222:223]
	v_div_fixup_f64 v[220:221], v[212:213], v[216:217], v[218:219]
	s_delay_alu instid0(VALU_DEP_1) | instskip(NEXT) | instid1(VALU_DEP_1)
	v_fma_f64 v[212:213], v[218:219], v[220:221], v[216:217]
	v_div_scale_f64 v[216:217], null, v[212:213], v[212:213], 1.0
	s_delay_alu instid0(VALU_DEP_1) | instskip(SKIP_2) | instid1(VALU_DEP_1)
	v_rcp_f64_e32 v[218:219], v[216:217]
	s_waitcnt_depctr 0xfff
	v_fma_f64 v[222:223], -v[216:217], v[218:219], 1.0
	v_fma_f64 v[218:219], v[218:219], v[222:223], v[218:219]
	s_delay_alu instid0(VALU_DEP_1) | instskip(NEXT) | instid1(VALU_DEP_1)
	v_fma_f64 v[222:223], -v[216:217], v[218:219], 1.0
	v_fma_f64 v[218:219], v[218:219], v[222:223], v[218:219]
	v_div_scale_f64 v[222:223], vcc_lo, 1.0, v[212:213], 1.0
	s_delay_alu instid0(VALU_DEP_1) | instskip(NEXT) | instid1(VALU_DEP_1)
	v_mul_f64 v[224:225], v[222:223], v[218:219]
	v_fma_f64 v[216:217], -v[216:217], v[224:225], v[222:223]
	s_delay_alu instid0(VALU_DEP_1) | instskip(NEXT) | instid1(VALU_DEP_1)
	v_div_fmas_f64 v[216:217], v[216:217], v[218:219], v[224:225]
	v_div_fixup_f64 v[212:213], v[216:217], v[212:213], 1.0
	s_delay_alu instid0(VALU_DEP_1)
	v_mul_f64 v[222:223], v[220:221], -v[212:213]
.LBB107_79:
	s_or_b32 exec_lo, exec_lo, s3
	ds_store_2addr_b64 v204, v[212:213], v[222:223] offset1:1
.LBB107_80:
	s_or_b32 exec_lo, exec_lo, s4
	s_waitcnt lgkmcnt(0)
	s_barrier
	buffer_gl0_inv
	ds_load_2addr_b64 v[207:210], v204 offset1:1
	s_mov_b32 s3, exec_lo
	s_waitcnt lgkmcnt(0)
	scratch_store_b128 off, v[207:210], off offset:600 ; 16-byte Folded Spill
	v_cmpx_lt_u32_e32 8, v215
	s_cbranch_execz .LBB107_82
; %bb.81:
	scratch_load_b128 v[207:210], off, off offset:600 ; 16-byte Folded Reload
	ds_load_2addr_b64 v[218:221], v214 offset0:18 offset1:19
	s_waitcnt vmcnt(0)
	v_mul_f64 v[212:213], v[209:210], v[182:183]
	v_mul_f64 v[182:183], v[207:208], v[182:183]
	s_delay_alu instid0(VALU_DEP_2) | instskip(NEXT) | instid1(VALU_DEP_2)
	v_fma_f64 v[216:217], v[207:208], v[180:181], -v[212:213]
	v_fma_f64 v[182:183], v[209:210], v[180:181], v[182:183]
	s_waitcnt lgkmcnt(0)
	s_delay_alu instid0(VALU_DEP_1) | instskip(SKIP_1) | instid1(VALU_DEP_2)
	v_mul_f64 v[180:181], v[220:221], v[182:183]
	v_mul_f64 v[212:213], v[218:219], v[182:183]
	v_fma_f64 v[180:181], v[218:219], v[216:217], -v[180:181]
	s_delay_alu instid0(VALU_DEP_2)
	v_fma_f64 v[212:213], v[220:221], v[216:217], v[212:213]
	ds_load_2addr_b64 v[218:221], v214 offset0:20 offset1:21
	v_add_f64 v[176:177], v[176:177], -v[180:181]
	v_add_f64 v[178:179], v[178:179], -v[212:213]
	s_waitcnt lgkmcnt(0)
	v_mul_f64 v[180:181], v[220:221], v[182:183]
	v_mul_f64 v[212:213], v[218:219], v[182:183]
	s_delay_alu instid0(VALU_DEP_2) | instskip(NEXT) | instid1(VALU_DEP_2)
	v_fma_f64 v[180:181], v[218:219], v[216:217], -v[180:181]
	v_fma_f64 v[212:213], v[220:221], v[216:217], v[212:213]
	ds_load_2addr_b64 v[218:221], v214 offset0:22 offset1:23
	v_add_f64 v[172:173], v[172:173], -v[180:181]
	v_add_f64 v[174:175], v[174:175], -v[212:213]
	s_waitcnt lgkmcnt(0)
	v_mul_f64 v[180:181], v[220:221], v[182:183]
	v_mul_f64 v[212:213], v[218:219], v[182:183]
	s_delay_alu instid0(VALU_DEP_2) | instskip(NEXT) | instid1(VALU_DEP_2)
	v_fma_f64 v[180:181], v[218:219], v[216:217], -v[180:181]
	;; [unrolled: 9-line block ×44, first 2 shown]
	v_fma_f64 v[212:213], v[220:221], v[216:217], v[212:213]
	s_delay_alu instid0(VALU_DEP_2) | instskip(NEXT) | instid1(VALU_DEP_2)
	v_add_f64 v[0:1], v[0:1], -v[180:181]
	v_add_f64 v[2:3], v[2:3], -v[212:213]
	v_dual_mov_b32 v180, v216 :: v_dual_mov_b32 v181, v217
.LBB107_82:
	s_or_b32 exec_lo, exec_lo, s3
	s_delay_alu instid0(SALU_CYCLE_1)
	s_mov_b32 s4, exec_lo
	s_waitcnt_vscnt null, 0x0
	s_barrier
	buffer_gl0_inv
	v_cmpx_eq_u32_e32 9, v215
	s_cbranch_execz .LBB107_89
; %bb.83:
	ds_store_2addr_b64 v204, v[176:177], v[178:179] offset1:1
	ds_store_2addr_b64 v214, v[172:173], v[174:175] offset0:20 offset1:21
	ds_store_2addr_b64 v214, v[168:169], v[170:171] offset0:22 offset1:23
	;; [unrolled: 1-line block ×44, first 2 shown]
	ds_load_2addr_b64 v[216:219], v204 offset1:1
	s_waitcnt lgkmcnt(0)
	v_cmp_neq_f64_e32 vcc_lo, 0, v[216:217]
	v_cmp_neq_f64_e64 s3, 0, v[218:219]
	s_delay_alu instid0(VALU_DEP_1) | instskip(NEXT) | instid1(SALU_CYCLE_1)
	s_or_b32 s3, vcc_lo, s3
	s_and_b32 exec_lo, exec_lo, s3
	s_cbranch_execz .LBB107_89
; %bb.84:
	v_cmp_gt_f64_e32 vcc_lo, 0, v[216:217]
	v_xor_b32_e32 v208, 0x80000000, v217
	s_delay_alu instid0(VALU_DEP_1) | instskip(SKIP_3) | instid1(VALU_DEP_1)
	v_cndmask_b32_e32 v213, v217, v208, vcc_lo
	v_cndmask_b32_e32 v212, v216, v216, vcc_lo
	v_cmp_gt_f64_e32 vcc_lo, 0, v[218:219]
	v_xor_b32_e32 v208, 0x80000000, v219
	v_dual_cndmask_b32 v220, v218, v218 :: v_dual_cndmask_b32 v221, v219, v208
	s_delay_alu instid0(VALU_DEP_1) | instskip(SKIP_1) | instid1(SALU_CYCLE_1)
	v_cmp_ngt_f64_e32 vcc_lo, v[212:213], v[220:221]
                                        ; implicit-def: $vgpr212_vgpr213
	s_and_saveexec_b32 s3, vcc_lo
	s_xor_b32 s3, exec_lo, s3
                                        ; implicit-def: $vgpr220_vgpr221_vgpr222_vgpr223
	s_cbranch_execz .LBB107_86
; %bb.85:
	v_div_scale_f64 v[212:213], null, v[218:219], v[218:219], v[216:217]
	v_div_scale_f64 v[224:225], vcc_lo, v[216:217], v[218:219], v[216:217]
	s_delay_alu instid0(VALU_DEP_2) | instskip(SKIP_2) | instid1(VALU_DEP_1)
	v_rcp_f64_e32 v[220:221], v[212:213]
	s_waitcnt_depctr 0xfff
	v_fma_f64 v[222:223], -v[212:213], v[220:221], 1.0
	v_fma_f64 v[220:221], v[220:221], v[222:223], v[220:221]
	s_delay_alu instid0(VALU_DEP_1) | instskip(NEXT) | instid1(VALU_DEP_1)
	v_fma_f64 v[222:223], -v[212:213], v[220:221], 1.0
	v_fma_f64 v[220:221], v[220:221], v[222:223], v[220:221]
	s_delay_alu instid0(VALU_DEP_1) | instskip(NEXT) | instid1(VALU_DEP_1)
	v_mul_f64 v[222:223], v[224:225], v[220:221]
	v_fma_f64 v[212:213], -v[212:213], v[222:223], v[224:225]
	s_delay_alu instid0(VALU_DEP_1) | instskip(NEXT) | instid1(VALU_DEP_1)
	v_div_fmas_f64 v[212:213], v[212:213], v[220:221], v[222:223]
	v_div_fixup_f64 v[212:213], v[212:213], v[218:219], v[216:217]
	s_delay_alu instid0(VALU_DEP_1) | instskip(NEXT) | instid1(VALU_DEP_1)
	v_fma_f64 v[216:217], v[216:217], v[212:213], v[218:219]
	v_div_scale_f64 v[218:219], null, v[216:217], v[216:217], 1.0
	s_delay_alu instid0(VALU_DEP_1) | instskip(SKIP_2) | instid1(VALU_DEP_1)
	v_rcp_f64_e32 v[220:221], v[218:219]
	s_waitcnt_depctr 0xfff
	v_fma_f64 v[222:223], -v[218:219], v[220:221], 1.0
	v_fma_f64 v[220:221], v[220:221], v[222:223], v[220:221]
	s_delay_alu instid0(VALU_DEP_1) | instskip(NEXT) | instid1(VALU_DEP_1)
	v_fma_f64 v[222:223], -v[218:219], v[220:221], 1.0
	v_fma_f64 v[220:221], v[220:221], v[222:223], v[220:221]
	v_div_scale_f64 v[222:223], vcc_lo, 1.0, v[216:217], 1.0
	s_delay_alu instid0(VALU_DEP_1) | instskip(NEXT) | instid1(VALU_DEP_1)
	v_mul_f64 v[224:225], v[222:223], v[220:221]
	v_fma_f64 v[218:219], -v[218:219], v[224:225], v[222:223]
	s_delay_alu instid0(VALU_DEP_1) | instskip(NEXT) | instid1(VALU_DEP_1)
	v_div_fmas_f64 v[218:219], v[218:219], v[220:221], v[224:225]
	v_div_fixup_f64 v[222:223], v[218:219], v[216:217], 1.0
                                        ; implicit-def: $vgpr216_vgpr217
	s_delay_alu instid0(VALU_DEP_1)
	v_mul_f64 v[212:213], v[212:213], v[222:223]
	v_xor_b32_e32 v223, 0x80000000, v223
.LBB107_86:
	s_and_not1_saveexec_b32 s3, s3
	s_cbranch_execz .LBB107_88
; %bb.87:
	v_div_scale_f64 v[212:213], null, v[216:217], v[216:217], v[218:219]
	v_div_scale_f64 v[224:225], vcc_lo, v[218:219], v[216:217], v[218:219]
	s_delay_alu instid0(VALU_DEP_2) | instskip(SKIP_2) | instid1(VALU_DEP_1)
	v_rcp_f64_e32 v[220:221], v[212:213]
	s_waitcnt_depctr 0xfff
	v_fma_f64 v[222:223], -v[212:213], v[220:221], 1.0
	v_fma_f64 v[220:221], v[220:221], v[222:223], v[220:221]
	s_delay_alu instid0(VALU_DEP_1) | instskip(NEXT) | instid1(VALU_DEP_1)
	v_fma_f64 v[222:223], -v[212:213], v[220:221], 1.0
	v_fma_f64 v[220:221], v[220:221], v[222:223], v[220:221]
	s_delay_alu instid0(VALU_DEP_1) | instskip(NEXT) | instid1(VALU_DEP_1)
	v_mul_f64 v[222:223], v[224:225], v[220:221]
	v_fma_f64 v[212:213], -v[212:213], v[222:223], v[224:225]
	s_delay_alu instid0(VALU_DEP_1) | instskip(NEXT) | instid1(VALU_DEP_1)
	v_div_fmas_f64 v[212:213], v[212:213], v[220:221], v[222:223]
	v_div_fixup_f64 v[220:221], v[212:213], v[216:217], v[218:219]
	s_delay_alu instid0(VALU_DEP_1) | instskip(NEXT) | instid1(VALU_DEP_1)
	v_fma_f64 v[212:213], v[218:219], v[220:221], v[216:217]
	v_div_scale_f64 v[216:217], null, v[212:213], v[212:213], 1.0
	s_delay_alu instid0(VALU_DEP_1) | instskip(SKIP_2) | instid1(VALU_DEP_1)
	v_rcp_f64_e32 v[218:219], v[216:217]
	s_waitcnt_depctr 0xfff
	v_fma_f64 v[222:223], -v[216:217], v[218:219], 1.0
	v_fma_f64 v[218:219], v[218:219], v[222:223], v[218:219]
	s_delay_alu instid0(VALU_DEP_1) | instskip(NEXT) | instid1(VALU_DEP_1)
	v_fma_f64 v[222:223], -v[216:217], v[218:219], 1.0
	v_fma_f64 v[218:219], v[218:219], v[222:223], v[218:219]
	v_div_scale_f64 v[222:223], vcc_lo, 1.0, v[212:213], 1.0
	s_delay_alu instid0(VALU_DEP_1) | instskip(NEXT) | instid1(VALU_DEP_1)
	v_mul_f64 v[224:225], v[222:223], v[218:219]
	v_fma_f64 v[216:217], -v[216:217], v[224:225], v[222:223]
	s_delay_alu instid0(VALU_DEP_1) | instskip(NEXT) | instid1(VALU_DEP_1)
	v_div_fmas_f64 v[216:217], v[216:217], v[218:219], v[224:225]
	v_div_fixup_f64 v[212:213], v[216:217], v[212:213], 1.0
	s_delay_alu instid0(VALU_DEP_1)
	v_mul_f64 v[222:223], v[220:221], -v[212:213]
.LBB107_88:
	s_or_b32 exec_lo, exec_lo, s3
	ds_store_2addr_b64 v204, v[212:213], v[222:223] offset1:1
.LBB107_89:
	s_or_b32 exec_lo, exec_lo, s4
	s_waitcnt lgkmcnt(0)
	s_barrier
	buffer_gl0_inv
	ds_load_2addr_b64 v[207:210], v204 offset1:1
	s_mov_b32 s3, exec_lo
	s_waitcnt lgkmcnt(0)
	scratch_store_b128 off, v[207:210], off offset:616 ; 16-byte Folded Spill
	v_cmpx_lt_u32_e32 9, v215
	s_cbranch_execz .LBB107_91
; %bb.90:
	scratch_load_b128 v[207:210], off, off offset:616 ; 16-byte Folded Reload
	ds_load_2addr_b64 v[218:221], v214 offset0:20 offset1:21
	s_waitcnt vmcnt(0)
	v_mul_f64 v[212:213], v[209:210], v[178:179]
	v_mul_f64 v[178:179], v[207:208], v[178:179]
	s_delay_alu instid0(VALU_DEP_2) | instskip(NEXT) | instid1(VALU_DEP_2)
	v_fma_f64 v[216:217], v[207:208], v[176:177], -v[212:213]
	v_fma_f64 v[178:179], v[209:210], v[176:177], v[178:179]
	s_waitcnt lgkmcnt(0)
	s_delay_alu instid0(VALU_DEP_1) | instskip(SKIP_1) | instid1(VALU_DEP_2)
	v_mul_f64 v[176:177], v[220:221], v[178:179]
	v_mul_f64 v[212:213], v[218:219], v[178:179]
	v_fma_f64 v[176:177], v[218:219], v[216:217], -v[176:177]
	s_delay_alu instid0(VALU_DEP_2)
	v_fma_f64 v[212:213], v[220:221], v[216:217], v[212:213]
	ds_load_2addr_b64 v[218:221], v214 offset0:22 offset1:23
	v_add_f64 v[172:173], v[172:173], -v[176:177]
	v_add_f64 v[174:175], v[174:175], -v[212:213]
	s_waitcnt lgkmcnt(0)
	v_mul_f64 v[176:177], v[220:221], v[178:179]
	v_mul_f64 v[212:213], v[218:219], v[178:179]
	s_delay_alu instid0(VALU_DEP_2) | instskip(NEXT) | instid1(VALU_DEP_2)
	v_fma_f64 v[176:177], v[218:219], v[216:217], -v[176:177]
	v_fma_f64 v[212:213], v[220:221], v[216:217], v[212:213]
	ds_load_2addr_b64 v[218:221], v214 offset0:24 offset1:25
	v_add_f64 v[168:169], v[168:169], -v[176:177]
	v_add_f64 v[170:171], v[170:171], -v[212:213]
	s_waitcnt lgkmcnt(0)
	v_mul_f64 v[176:177], v[220:221], v[178:179]
	v_mul_f64 v[212:213], v[218:219], v[178:179]
	s_delay_alu instid0(VALU_DEP_2) | instskip(NEXT) | instid1(VALU_DEP_2)
	v_fma_f64 v[176:177], v[218:219], v[216:217], -v[176:177]
	;; [unrolled: 9-line block ×43, first 2 shown]
	v_fma_f64 v[212:213], v[220:221], v[216:217], v[212:213]
	s_delay_alu instid0(VALU_DEP_2) | instskip(NEXT) | instid1(VALU_DEP_2)
	v_add_f64 v[0:1], v[0:1], -v[176:177]
	v_add_f64 v[2:3], v[2:3], -v[212:213]
	v_dual_mov_b32 v176, v216 :: v_dual_mov_b32 v177, v217
.LBB107_91:
	s_or_b32 exec_lo, exec_lo, s3
	s_delay_alu instid0(SALU_CYCLE_1)
	s_mov_b32 s4, exec_lo
	s_waitcnt_vscnt null, 0x0
	s_barrier
	buffer_gl0_inv
	v_cmpx_eq_u32_e32 10, v215
	s_cbranch_execz .LBB107_98
; %bb.92:
	ds_store_2addr_b64 v204, v[172:173], v[174:175] offset1:1
	ds_store_2addr_b64 v214, v[168:169], v[170:171] offset0:22 offset1:23
	ds_store_2addr_b64 v214, v[164:165], v[166:167] offset0:24 offset1:25
	;; [unrolled: 1-line block ×43, first 2 shown]
	ds_load_2addr_b64 v[216:219], v204 offset1:1
	s_waitcnt lgkmcnt(0)
	v_cmp_neq_f64_e32 vcc_lo, 0, v[216:217]
	v_cmp_neq_f64_e64 s3, 0, v[218:219]
	s_delay_alu instid0(VALU_DEP_1) | instskip(NEXT) | instid1(SALU_CYCLE_1)
	s_or_b32 s3, vcc_lo, s3
	s_and_b32 exec_lo, exec_lo, s3
	s_cbranch_execz .LBB107_98
; %bb.93:
	v_cmp_gt_f64_e32 vcc_lo, 0, v[216:217]
	v_xor_b32_e32 v208, 0x80000000, v217
	s_delay_alu instid0(VALU_DEP_1) | instskip(SKIP_3) | instid1(VALU_DEP_1)
	v_cndmask_b32_e32 v213, v217, v208, vcc_lo
	v_cndmask_b32_e32 v212, v216, v216, vcc_lo
	v_cmp_gt_f64_e32 vcc_lo, 0, v[218:219]
	v_xor_b32_e32 v208, 0x80000000, v219
	v_dual_cndmask_b32 v220, v218, v218 :: v_dual_cndmask_b32 v221, v219, v208
	s_delay_alu instid0(VALU_DEP_1) | instskip(SKIP_1) | instid1(SALU_CYCLE_1)
	v_cmp_ngt_f64_e32 vcc_lo, v[212:213], v[220:221]
                                        ; implicit-def: $vgpr212_vgpr213
	s_and_saveexec_b32 s3, vcc_lo
	s_xor_b32 s3, exec_lo, s3
                                        ; implicit-def: $vgpr220_vgpr221_vgpr222_vgpr223
	s_cbranch_execz .LBB107_95
; %bb.94:
	v_div_scale_f64 v[212:213], null, v[218:219], v[218:219], v[216:217]
	v_div_scale_f64 v[224:225], vcc_lo, v[216:217], v[218:219], v[216:217]
	s_delay_alu instid0(VALU_DEP_2) | instskip(SKIP_2) | instid1(VALU_DEP_1)
	v_rcp_f64_e32 v[220:221], v[212:213]
	s_waitcnt_depctr 0xfff
	v_fma_f64 v[222:223], -v[212:213], v[220:221], 1.0
	v_fma_f64 v[220:221], v[220:221], v[222:223], v[220:221]
	s_delay_alu instid0(VALU_DEP_1) | instskip(NEXT) | instid1(VALU_DEP_1)
	v_fma_f64 v[222:223], -v[212:213], v[220:221], 1.0
	v_fma_f64 v[220:221], v[220:221], v[222:223], v[220:221]
	s_delay_alu instid0(VALU_DEP_1) | instskip(NEXT) | instid1(VALU_DEP_1)
	v_mul_f64 v[222:223], v[224:225], v[220:221]
	v_fma_f64 v[212:213], -v[212:213], v[222:223], v[224:225]
	s_delay_alu instid0(VALU_DEP_1) | instskip(NEXT) | instid1(VALU_DEP_1)
	v_div_fmas_f64 v[212:213], v[212:213], v[220:221], v[222:223]
	v_div_fixup_f64 v[212:213], v[212:213], v[218:219], v[216:217]
	s_delay_alu instid0(VALU_DEP_1) | instskip(NEXT) | instid1(VALU_DEP_1)
	v_fma_f64 v[216:217], v[216:217], v[212:213], v[218:219]
	v_div_scale_f64 v[218:219], null, v[216:217], v[216:217], 1.0
	s_delay_alu instid0(VALU_DEP_1) | instskip(SKIP_2) | instid1(VALU_DEP_1)
	v_rcp_f64_e32 v[220:221], v[218:219]
	s_waitcnt_depctr 0xfff
	v_fma_f64 v[222:223], -v[218:219], v[220:221], 1.0
	v_fma_f64 v[220:221], v[220:221], v[222:223], v[220:221]
	s_delay_alu instid0(VALU_DEP_1) | instskip(NEXT) | instid1(VALU_DEP_1)
	v_fma_f64 v[222:223], -v[218:219], v[220:221], 1.0
	v_fma_f64 v[220:221], v[220:221], v[222:223], v[220:221]
	v_div_scale_f64 v[222:223], vcc_lo, 1.0, v[216:217], 1.0
	s_delay_alu instid0(VALU_DEP_1) | instskip(NEXT) | instid1(VALU_DEP_1)
	v_mul_f64 v[224:225], v[222:223], v[220:221]
	v_fma_f64 v[218:219], -v[218:219], v[224:225], v[222:223]
	s_delay_alu instid0(VALU_DEP_1) | instskip(NEXT) | instid1(VALU_DEP_1)
	v_div_fmas_f64 v[218:219], v[218:219], v[220:221], v[224:225]
	v_div_fixup_f64 v[222:223], v[218:219], v[216:217], 1.0
                                        ; implicit-def: $vgpr216_vgpr217
	s_delay_alu instid0(VALU_DEP_1)
	v_mul_f64 v[212:213], v[212:213], v[222:223]
	v_xor_b32_e32 v223, 0x80000000, v223
.LBB107_95:
	s_and_not1_saveexec_b32 s3, s3
	s_cbranch_execz .LBB107_97
; %bb.96:
	v_div_scale_f64 v[212:213], null, v[216:217], v[216:217], v[218:219]
	v_div_scale_f64 v[224:225], vcc_lo, v[218:219], v[216:217], v[218:219]
	s_delay_alu instid0(VALU_DEP_2) | instskip(SKIP_2) | instid1(VALU_DEP_1)
	v_rcp_f64_e32 v[220:221], v[212:213]
	s_waitcnt_depctr 0xfff
	v_fma_f64 v[222:223], -v[212:213], v[220:221], 1.0
	v_fma_f64 v[220:221], v[220:221], v[222:223], v[220:221]
	s_delay_alu instid0(VALU_DEP_1) | instskip(NEXT) | instid1(VALU_DEP_1)
	v_fma_f64 v[222:223], -v[212:213], v[220:221], 1.0
	v_fma_f64 v[220:221], v[220:221], v[222:223], v[220:221]
	s_delay_alu instid0(VALU_DEP_1) | instskip(NEXT) | instid1(VALU_DEP_1)
	v_mul_f64 v[222:223], v[224:225], v[220:221]
	v_fma_f64 v[212:213], -v[212:213], v[222:223], v[224:225]
	s_delay_alu instid0(VALU_DEP_1) | instskip(NEXT) | instid1(VALU_DEP_1)
	v_div_fmas_f64 v[212:213], v[212:213], v[220:221], v[222:223]
	v_div_fixup_f64 v[220:221], v[212:213], v[216:217], v[218:219]
	s_delay_alu instid0(VALU_DEP_1) | instskip(NEXT) | instid1(VALU_DEP_1)
	v_fma_f64 v[212:213], v[218:219], v[220:221], v[216:217]
	v_div_scale_f64 v[216:217], null, v[212:213], v[212:213], 1.0
	s_delay_alu instid0(VALU_DEP_1) | instskip(SKIP_2) | instid1(VALU_DEP_1)
	v_rcp_f64_e32 v[218:219], v[216:217]
	s_waitcnt_depctr 0xfff
	v_fma_f64 v[222:223], -v[216:217], v[218:219], 1.0
	v_fma_f64 v[218:219], v[218:219], v[222:223], v[218:219]
	s_delay_alu instid0(VALU_DEP_1) | instskip(NEXT) | instid1(VALU_DEP_1)
	v_fma_f64 v[222:223], -v[216:217], v[218:219], 1.0
	v_fma_f64 v[218:219], v[218:219], v[222:223], v[218:219]
	v_div_scale_f64 v[222:223], vcc_lo, 1.0, v[212:213], 1.0
	s_delay_alu instid0(VALU_DEP_1) | instskip(NEXT) | instid1(VALU_DEP_1)
	v_mul_f64 v[224:225], v[222:223], v[218:219]
	v_fma_f64 v[216:217], -v[216:217], v[224:225], v[222:223]
	s_delay_alu instid0(VALU_DEP_1) | instskip(NEXT) | instid1(VALU_DEP_1)
	v_div_fmas_f64 v[216:217], v[216:217], v[218:219], v[224:225]
	v_div_fixup_f64 v[212:213], v[216:217], v[212:213], 1.0
	s_delay_alu instid0(VALU_DEP_1)
	v_mul_f64 v[222:223], v[220:221], -v[212:213]
.LBB107_97:
	s_or_b32 exec_lo, exec_lo, s3
	ds_store_2addr_b64 v204, v[212:213], v[222:223] offset1:1
.LBB107_98:
	s_or_b32 exec_lo, exec_lo, s4
	s_waitcnt lgkmcnt(0)
	s_barrier
	buffer_gl0_inv
	ds_load_2addr_b64 v[207:210], v204 offset1:1
	s_mov_b32 s3, exec_lo
	s_waitcnt lgkmcnt(0)
	scratch_store_b128 off, v[207:210], off offset:632 ; 16-byte Folded Spill
	v_cmpx_lt_u32_e32 10, v215
	s_cbranch_execz .LBB107_100
; %bb.99:
	scratch_load_b128 v[207:210], off, off offset:632 ; 16-byte Folded Reload
	ds_load_2addr_b64 v[218:221], v214 offset0:22 offset1:23
	s_waitcnt vmcnt(0)
	v_mul_f64 v[212:213], v[209:210], v[174:175]
	v_mul_f64 v[174:175], v[207:208], v[174:175]
	s_delay_alu instid0(VALU_DEP_2) | instskip(NEXT) | instid1(VALU_DEP_2)
	v_fma_f64 v[216:217], v[207:208], v[172:173], -v[212:213]
	v_fma_f64 v[174:175], v[209:210], v[172:173], v[174:175]
	s_waitcnt lgkmcnt(0)
	s_delay_alu instid0(VALU_DEP_1) | instskip(SKIP_1) | instid1(VALU_DEP_2)
	v_mul_f64 v[172:173], v[220:221], v[174:175]
	v_mul_f64 v[212:213], v[218:219], v[174:175]
	v_fma_f64 v[172:173], v[218:219], v[216:217], -v[172:173]
	s_delay_alu instid0(VALU_DEP_2)
	v_fma_f64 v[212:213], v[220:221], v[216:217], v[212:213]
	ds_load_2addr_b64 v[218:221], v214 offset0:24 offset1:25
	v_add_f64 v[168:169], v[168:169], -v[172:173]
	v_add_f64 v[170:171], v[170:171], -v[212:213]
	s_waitcnt lgkmcnt(0)
	v_mul_f64 v[172:173], v[220:221], v[174:175]
	v_mul_f64 v[212:213], v[218:219], v[174:175]
	s_delay_alu instid0(VALU_DEP_2) | instskip(NEXT) | instid1(VALU_DEP_2)
	v_fma_f64 v[172:173], v[218:219], v[216:217], -v[172:173]
	v_fma_f64 v[212:213], v[220:221], v[216:217], v[212:213]
	ds_load_2addr_b64 v[218:221], v214 offset0:26 offset1:27
	v_add_f64 v[164:165], v[164:165], -v[172:173]
	v_add_f64 v[166:167], v[166:167], -v[212:213]
	s_waitcnt lgkmcnt(0)
	v_mul_f64 v[172:173], v[220:221], v[174:175]
	v_mul_f64 v[212:213], v[218:219], v[174:175]
	s_delay_alu instid0(VALU_DEP_2) | instskip(NEXT) | instid1(VALU_DEP_2)
	v_fma_f64 v[172:173], v[218:219], v[216:217], -v[172:173]
	;; [unrolled: 9-line block ×42, first 2 shown]
	v_fma_f64 v[212:213], v[220:221], v[216:217], v[212:213]
	s_delay_alu instid0(VALU_DEP_2) | instskip(NEXT) | instid1(VALU_DEP_2)
	v_add_f64 v[0:1], v[0:1], -v[172:173]
	v_add_f64 v[2:3], v[2:3], -v[212:213]
	v_dual_mov_b32 v172, v216 :: v_dual_mov_b32 v173, v217
.LBB107_100:
	s_or_b32 exec_lo, exec_lo, s3
	s_delay_alu instid0(SALU_CYCLE_1)
	s_mov_b32 s4, exec_lo
	s_waitcnt_vscnt null, 0x0
	s_barrier
	buffer_gl0_inv
	v_cmpx_eq_u32_e32 11, v215
	s_cbranch_execz .LBB107_107
; %bb.101:
	ds_store_2addr_b64 v204, v[168:169], v[170:171] offset1:1
	ds_store_2addr_b64 v214, v[164:165], v[166:167] offset0:24 offset1:25
	ds_store_2addr_b64 v214, v[160:161], v[162:163] offset0:26 offset1:27
	;; [unrolled: 1-line block ×42, first 2 shown]
	ds_load_2addr_b64 v[216:219], v204 offset1:1
	s_waitcnt lgkmcnt(0)
	v_cmp_neq_f64_e32 vcc_lo, 0, v[216:217]
	v_cmp_neq_f64_e64 s3, 0, v[218:219]
	s_delay_alu instid0(VALU_DEP_1) | instskip(NEXT) | instid1(SALU_CYCLE_1)
	s_or_b32 s3, vcc_lo, s3
	s_and_b32 exec_lo, exec_lo, s3
	s_cbranch_execz .LBB107_107
; %bb.102:
	v_cmp_gt_f64_e32 vcc_lo, 0, v[216:217]
	v_xor_b32_e32 v208, 0x80000000, v217
	s_delay_alu instid0(VALU_DEP_1) | instskip(SKIP_3) | instid1(VALU_DEP_1)
	v_cndmask_b32_e32 v213, v217, v208, vcc_lo
	v_cndmask_b32_e32 v212, v216, v216, vcc_lo
	v_cmp_gt_f64_e32 vcc_lo, 0, v[218:219]
	v_xor_b32_e32 v208, 0x80000000, v219
	v_dual_cndmask_b32 v220, v218, v218 :: v_dual_cndmask_b32 v221, v219, v208
	s_delay_alu instid0(VALU_DEP_1) | instskip(SKIP_1) | instid1(SALU_CYCLE_1)
	v_cmp_ngt_f64_e32 vcc_lo, v[212:213], v[220:221]
                                        ; implicit-def: $vgpr212_vgpr213
	s_and_saveexec_b32 s3, vcc_lo
	s_xor_b32 s3, exec_lo, s3
                                        ; implicit-def: $vgpr220_vgpr221_vgpr222_vgpr223
	s_cbranch_execz .LBB107_104
; %bb.103:
	v_div_scale_f64 v[212:213], null, v[218:219], v[218:219], v[216:217]
	v_div_scale_f64 v[224:225], vcc_lo, v[216:217], v[218:219], v[216:217]
	s_delay_alu instid0(VALU_DEP_2) | instskip(SKIP_2) | instid1(VALU_DEP_1)
	v_rcp_f64_e32 v[220:221], v[212:213]
	s_waitcnt_depctr 0xfff
	v_fma_f64 v[222:223], -v[212:213], v[220:221], 1.0
	v_fma_f64 v[220:221], v[220:221], v[222:223], v[220:221]
	s_delay_alu instid0(VALU_DEP_1) | instskip(NEXT) | instid1(VALU_DEP_1)
	v_fma_f64 v[222:223], -v[212:213], v[220:221], 1.0
	v_fma_f64 v[220:221], v[220:221], v[222:223], v[220:221]
	s_delay_alu instid0(VALU_DEP_1) | instskip(NEXT) | instid1(VALU_DEP_1)
	v_mul_f64 v[222:223], v[224:225], v[220:221]
	v_fma_f64 v[212:213], -v[212:213], v[222:223], v[224:225]
	s_delay_alu instid0(VALU_DEP_1) | instskip(NEXT) | instid1(VALU_DEP_1)
	v_div_fmas_f64 v[212:213], v[212:213], v[220:221], v[222:223]
	v_div_fixup_f64 v[212:213], v[212:213], v[218:219], v[216:217]
	s_delay_alu instid0(VALU_DEP_1) | instskip(NEXT) | instid1(VALU_DEP_1)
	v_fma_f64 v[216:217], v[216:217], v[212:213], v[218:219]
	v_div_scale_f64 v[218:219], null, v[216:217], v[216:217], 1.0
	s_delay_alu instid0(VALU_DEP_1) | instskip(SKIP_2) | instid1(VALU_DEP_1)
	v_rcp_f64_e32 v[220:221], v[218:219]
	s_waitcnt_depctr 0xfff
	v_fma_f64 v[222:223], -v[218:219], v[220:221], 1.0
	v_fma_f64 v[220:221], v[220:221], v[222:223], v[220:221]
	s_delay_alu instid0(VALU_DEP_1) | instskip(NEXT) | instid1(VALU_DEP_1)
	v_fma_f64 v[222:223], -v[218:219], v[220:221], 1.0
	v_fma_f64 v[220:221], v[220:221], v[222:223], v[220:221]
	v_div_scale_f64 v[222:223], vcc_lo, 1.0, v[216:217], 1.0
	s_delay_alu instid0(VALU_DEP_1) | instskip(NEXT) | instid1(VALU_DEP_1)
	v_mul_f64 v[224:225], v[222:223], v[220:221]
	v_fma_f64 v[218:219], -v[218:219], v[224:225], v[222:223]
	s_delay_alu instid0(VALU_DEP_1) | instskip(NEXT) | instid1(VALU_DEP_1)
	v_div_fmas_f64 v[218:219], v[218:219], v[220:221], v[224:225]
	v_div_fixup_f64 v[222:223], v[218:219], v[216:217], 1.0
                                        ; implicit-def: $vgpr216_vgpr217
	s_delay_alu instid0(VALU_DEP_1)
	v_mul_f64 v[212:213], v[212:213], v[222:223]
	v_xor_b32_e32 v223, 0x80000000, v223
.LBB107_104:
	s_and_not1_saveexec_b32 s3, s3
	s_cbranch_execz .LBB107_106
; %bb.105:
	v_div_scale_f64 v[212:213], null, v[216:217], v[216:217], v[218:219]
	v_div_scale_f64 v[224:225], vcc_lo, v[218:219], v[216:217], v[218:219]
	s_delay_alu instid0(VALU_DEP_2) | instskip(SKIP_2) | instid1(VALU_DEP_1)
	v_rcp_f64_e32 v[220:221], v[212:213]
	s_waitcnt_depctr 0xfff
	v_fma_f64 v[222:223], -v[212:213], v[220:221], 1.0
	v_fma_f64 v[220:221], v[220:221], v[222:223], v[220:221]
	s_delay_alu instid0(VALU_DEP_1) | instskip(NEXT) | instid1(VALU_DEP_1)
	v_fma_f64 v[222:223], -v[212:213], v[220:221], 1.0
	v_fma_f64 v[220:221], v[220:221], v[222:223], v[220:221]
	s_delay_alu instid0(VALU_DEP_1) | instskip(NEXT) | instid1(VALU_DEP_1)
	v_mul_f64 v[222:223], v[224:225], v[220:221]
	v_fma_f64 v[212:213], -v[212:213], v[222:223], v[224:225]
	s_delay_alu instid0(VALU_DEP_1) | instskip(NEXT) | instid1(VALU_DEP_1)
	v_div_fmas_f64 v[212:213], v[212:213], v[220:221], v[222:223]
	v_div_fixup_f64 v[220:221], v[212:213], v[216:217], v[218:219]
	s_delay_alu instid0(VALU_DEP_1) | instskip(NEXT) | instid1(VALU_DEP_1)
	v_fma_f64 v[212:213], v[218:219], v[220:221], v[216:217]
	v_div_scale_f64 v[216:217], null, v[212:213], v[212:213], 1.0
	s_delay_alu instid0(VALU_DEP_1) | instskip(SKIP_2) | instid1(VALU_DEP_1)
	v_rcp_f64_e32 v[218:219], v[216:217]
	s_waitcnt_depctr 0xfff
	v_fma_f64 v[222:223], -v[216:217], v[218:219], 1.0
	v_fma_f64 v[218:219], v[218:219], v[222:223], v[218:219]
	s_delay_alu instid0(VALU_DEP_1) | instskip(NEXT) | instid1(VALU_DEP_1)
	v_fma_f64 v[222:223], -v[216:217], v[218:219], 1.0
	v_fma_f64 v[218:219], v[218:219], v[222:223], v[218:219]
	v_div_scale_f64 v[222:223], vcc_lo, 1.0, v[212:213], 1.0
	s_delay_alu instid0(VALU_DEP_1) | instskip(NEXT) | instid1(VALU_DEP_1)
	v_mul_f64 v[224:225], v[222:223], v[218:219]
	v_fma_f64 v[216:217], -v[216:217], v[224:225], v[222:223]
	s_delay_alu instid0(VALU_DEP_1) | instskip(NEXT) | instid1(VALU_DEP_1)
	v_div_fmas_f64 v[216:217], v[216:217], v[218:219], v[224:225]
	v_div_fixup_f64 v[212:213], v[216:217], v[212:213], 1.0
	s_delay_alu instid0(VALU_DEP_1)
	v_mul_f64 v[222:223], v[220:221], -v[212:213]
.LBB107_106:
	s_or_b32 exec_lo, exec_lo, s3
	ds_store_2addr_b64 v204, v[212:213], v[222:223] offset1:1
.LBB107_107:
	s_or_b32 exec_lo, exec_lo, s4
	s_waitcnt lgkmcnt(0)
	s_barrier
	buffer_gl0_inv
	ds_load_2addr_b64 v[207:210], v204 offset1:1
	s_mov_b32 s3, exec_lo
	s_waitcnt lgkmcnt(0)
	scratch_store_b128 off, v[207:210], off offset:648 ; 16-byte Folded Spill
	v_cmpx_lt_u32_e32 11, v215
	s_cbranch_execz .LBB107_109
; %bb.108:
	scratch_load_b128 v[207:210], off, off offset:648 ; 16-byte Folded Reload
	ds_load_2addr_b64 v[218:221], v214 offset0:24 offset1:25
	s_waitcnt vmcnt(0)
	v_mul_f64 v[212:213], v[209:210], v[170:171]
	v_mul_f64 v[170:171], v[207:208], v[170:171]
	s_delay_alu instid0(VALU_DEP_2) | instskip(NEXT) | instid1(VALU_DEP_2)
	v_fma_f64 v[216:217], v[207:208], v[168:169], -v[212:213]
	v_fma_f64 v[170:171], v[209:210], v[168:169], v[170:171]
	s_waitcnt lgkmcnt(0)
	s_delay_alu instid0(VALU_DEP_1) | instskip(SKIP_1) | instid1(VALU_DEP_2)
	v_mul_f64 v[168:169], v[220:221], v[170:171]
	v_mul_f64 v[212:213], v[218:219], v[170:171]
	v_fma_f64 v[168:169], v[218:219], v[216:217], -v[168:169]
	s_delay_alu instid0(VALU_DEP_2)
	v_fma_f64 v[212:213], v[220:221], v[216:217], v[212:213]
	ds_load_2addr_b64 v[218:221], v214 offset0:26 offset1:27
	v_add_f64 v[164:165], v[164:165], -v[168:169]
	v_add_f64 v[166:167], v[166:167], -v[212:213]
	s_waitcnt lgkmcnt(0)
	v_mul_f64 v[168:169], v[220:221], v[170:171]
	v_mul_f64 v[212:213], v[218:219], v[170:171]
	s_delay_alu instid0(VALU_DEP_2) | instskip(NEXT) | instid1(VALU_DEP_2)
	v_fma_f64 v[168:169], v[218:219], v[216:217], -v[168:169]
	v_fma_f64 v[212:213], v[220:221], v[216:217], v[212:213]
	ds_load_2addr_b64 v[218:221], v214 offset0:28 offset1:29
	v_add_f64 v[160:161], v[160:161], -v[168:169]
	v_add_f64 v[162:163], v[162:163], -v[212:213]
	s_waitcnt lgkmcnt(0)
	v_mul_f64 v[168:169], v[220:221], v[170:171]
	v_mul_f64 v[212:213], v[218:219], v[170:171]
	s_delay_alu instid0(VALU_DEP_2) | instskip(NEXT) | instid1(VALU_DEP_2)
	v_fma_f64 v[168:169], v[218:219], v[216:217], -v[168:169]
	;; [unrolled: 9-line block ×41, first 2 shown]
	v_fma_f64 v[212:213], v[220:221], v[216:217], v[212:213]
	s_delay_alu instid0(VALU_DEP_2) | instskip(NEXT) | instid1(VALU_DEP_2)
	v_add_f64 v[0:1], v[0:1], -v[168:169]
	v_add_f64 v[2:3], v[2:3], -v[212:213]
	v_dual_mov_b32 v168, v216 :: v_dual_mov_b32 v169, v217
.LBB107_109:
	s_or_b32 exec_lo, exec_lo, s3
	s_delay_alu instid0(SALU_CYCLE_1)
	s_mov_b32 s4, exec_lo
	s_waitcnt_vscnt null, 0x0
	s_barrier
	buffer_gl0_inv
	v_cmpx_eq_u32_e32 12, v215
	s_cbranch_execz .LBB107_116
; %bb.110:
	ds_store_2addr_b64 v204, v[164:165], v[166:167] offset1:1
	ds_store_2addr_b64 v214, v[160:161], v[162:163] offset0:26 offset1:27
	ds_store_2addr_b64 v214, v[156:157], v[158:159] offset0:28 offset1:29
	;; [unrolled: 1-line block ×41, first 2 shown]
	ds_load_2addr_b64 v[216:219], v204 offset1:1
	s_waitcnt lgkmcnt(0)
	v_cmp_neq_f64_e32 vcc_lo, 0, v[216:217]
	v_cmp_neq_f64_e64 s3, 0, v[218:219]
	s_delay_alu instid0(VALU_DEP_1) | instskip(NEXT) | instid1(SALU_CYCLE_1)
	s_or_b32 s3, vcc_lo, s3
	s_and_b32 exec_lo, exec_lo, s3
	s_cbranch_execz .LBB107_116
; %bb.111:
	v_cmp_gt_f64_e32 vcc_lo, 0, v[216:217]
	v_xor_b32_e32 v208, 0x80000000, v217
	s_delay_alu instid0(VALU_DEP_1) | instskip(SKIP_3) | instid1(VALU_DEP_1)
	v_cndmask_b32_e32 v213, v217, v208, vcc_lo
	v_cndmask_b32_e32 v212, v216, v216, vcc_lo
	v_cmp_gt_f64_e32 vcc_lo, 0, v[218:219]
	v_xor_b32_e32 v208, 0x80000000, v219
	v_dual_cndmask_b32 v220, v218, v218 :: v_dual_cndmask_b32 v221, v219, v208
	s_delay_alu instid0(VALU_DEP_1) | instskip(SKIP_1) | instid1(SALU_CYCLE_1)
	v_cmp_ngt_f64_e32 vcc_lo, v[212:213], v[220:221]
                                        ; implicit-def: $vgpr212_vgpr213
	s_and_saveexec_b32 s3, vcc_lo
	s_xor_b32 s3, exec_lo, s3
                                        ; implicit-def: $vgpr220_vgpr221_vgpr222_vgpr223
	s_cbranch_execz .LBB107_113
; %bb.112:
	v_div_scale_f64 v[212:213], null, v[218:219], v[218:219], v[216:217]
	v_div_scale_f64 v[224:225], vcc_lo, v[216:217], v[218:219], v[216:217]
	s_delay_alu instid0(VALU_DEP_2) | instskip(SKIP_2) | instid1(VALU_DEP_1)
	v_rcp_f64_e32 v[220:221], v[212:213]
	s_waitcnt_depctr 0xfff
	v_fma_f64 v[222:223], -v[212:213], v[220:221], 1.0
	v_fma_f64 v[220:221], v[220:221], v[222:223], v[220:221]
	s_delay_alu instid0(VALU_DEP_1) | instskip(NEXT) | instid1(VALU_DEP_1)
	v_fma_f64 v[222:223], -v[212:213], v[220:221], 1.0
	v_fma_f64 v[220:221], v[220:221], v[222:223], v[220:221]
	s_delay_alu instid0(VALU_DEP_1) | instskip(NEXT) | instid1(VALU_DEP_1)
	v_mul_f64 v[222:223], v[224:225], v[220:221]
	v_fma_f64 v[212:213], -v[212:213], v[222:223], v[224:225]
	s_delay_alu instid0(VALU_DEP_1) | instskip(NEXT) | instid1(VALU_DEP_1)
	v_div_fmas_f64 v[212:213], v[212:213], v[220:221], v[222:223]
	v_div_fixup_f64 v[212:213], v[212:213], v[218:219], v[216:217]
	s_delay_alu instid0(VALU_DEP_1) | instskip(NEXT) | instid1(VALU_DEP_1)
	v_fma_f64 v[216:217], v[216:217], v[212:213], v[218:219]
	v_div_scale_f64 v[218:219], null, v[216:217], v[216:217], 1.0
	s_delay_alu instid0(VALU_DEP_1) | instskip(SKIP_2) | instid1(VALU_DEP_1)
	v_rcp_f64_e32 v[220:221], v[218:219]
	s_waitcnt_depctr 0xfff
	v_fma_f64 v[222:223], -v[218:219], v[220:221], 1.0
	v_fma_f64 v[220:221], v[220:221], v[222:223], v[220:221]
	s_delay_alu instid0(VALU_DEP_1) | instskip(NEXT) | instid1(VALU_DEP_1)
	v_fma_f64 v[222:223], -v[218:219], v[220:221], 1.0
	v_fma_f64 v[220:221], v[220:221], v[222:223], v[220:221]
	v_div_scale_f64 v[222:223], vcc_lo, 1.0, v[216:217], 1.0
	s_delay_alu instid0(VALU_DEP_1) | instskip(NEXT) | instid1(VALU_DEP_1)
	v_mul_f64 v[224:225], v[222:223], v[220:221]
	v_fma_f64 v[218:219], -v[218:219], v[224:225], v[222:223]
	s_delay_alu instid0(VALU_DEP_1) | instskip(NEXT) | instid1(VALU_DEP_1)
	v_div_fmas_f64 v[218:219], v[218:219], v[220:221], v[224:225]
	v_div_fixup_f64 v[222:223], v[218:219], v[216:217], 1.0
                                        ; implicit-def: $vgpr216_vgpr217
	s_delay_alu instid0(VALU_DEP_1)
	v_mul_f64 v[212:213], v[212:213], v[222:223]
	v_xor_b32_e32 v223, 0x80000000, v223
.LBB107_113:
	s_and_not1_saveexec_b32 s3, s3
	s_cbranch_execz .LBB107_115
; %bb.114:
	v_div_scale_f64 v[212:213], null, v[216:217], v[216:217], v[218:219]
	v_div_scale_f64 v[224:225], vcc_lo, v[218:219], v[216:217], v[218:219]
	s_delay_alu instid0(VALU_DEP_2) | instskip(SKIP_2) | instid1(VALU_DEP_1)
	v_rcp_f64_e32 v[220:221], v[212:213]
	s_waitcnt_depctr 0xfff
	v_fma_f64 v[222:223], -v[212:213], v[220:221], 1.0
	v_fma_f64 v[220:221], v[220:221], v[222:223], v[220:221]
	s_delay_alu instid0(VALU_DEP_1) | instskip(NEXT) | instid1(VALU_DEP_1)
	v_fma_f64 v[222:223], -v[212:213], v[220:221], 1.0
	v_fma_f64 v[220:221], v[220:221], v[222:223], v[220:221]
	s_delay_alu instid0(VALU_DEP_1) | instskip(NEXT) | instid1(VALU_DEP_1)
	v_mul_f64 v[222:223], v[224:225], v[220:221]
	v_fma_f64 v[212:213], -v[212:213], v[222:223], v[224:225]
	s_delay_alu instid0(VALU_DEP_1) | instskip(NEXT) | instid1(VALU_DEP_1)
	v_div_fmas_f64 v[212:213], v[212:213], v[220:221], v[222:223]
	v_div_fixup_f64 v[220:221], v[212:213], v[216:217], v[218:219]
	s_delay_alu instid0(VALU_DEP_1) | instskip(NEXT) | instid1(VALU_DEP_1)
	v_fma_f64 v[212:213], v[218:219], v[220:221], v[216:217]
	v_div_scale_f64 v[216:217], null, v[212:213], v[212:213], 1.0
	s_delay_alu instid0(VALU_DEP_1) | instskip(SKIP_2) | instid1(VALU_DEP_1)
	v_rcp_f64_e32 v[218:219], v[216:217]
	s_waitcnt_depctr 0xfff
	v_fma_f64 v[222:223], -v[216:217], v[218:219], 1.0
	v_fma_f64 v[218:219], v[218:219], v[222:223], v[218:219]
	s_delay_alu instid0(VALU_DEP_1) | instskip(NEXT) | instid1(VALU_DEP_1)
	v_fma_f64 v[222:223], -v[216:217], v[218:219], 1.0
	v_fma_f64 v[218:219], v[218:219], v[222:223], v[218:219]
	v_div_scale_f64 v[222:223], vcc_lo, 1.0, v[212:213], 1.0
	s_delay_alu instid0(VALU_DEP_1) | instskip(NEXT) | instid1(VALU_DEP_1)
	v_mul_f64 v[224:225], v[222:223], v[218:219]
	v_fma_f64 v[216:217], -v[216:217], v[224:225], v[222:223]
	s_delay_alu instid0(VALU_DEP_1) | instskip(NEXT) | instid1(VALU_DEP_1)
	v_div_fmas_f64 v[216:217], v[216:217], v[218:219], v[224:225]
	v_div_fixup_f64 v[212:213], v[216:217], v[212:213], 1.0
	s_delay_alu instid0(VALU_DEP_1)
	v_mul_f64 v[222:223], v[220:221], -v[212:213]
.LBB107_115:
	s_or_b32 exec_lo, exec_lo, s3
	ds_store_2addr_b64 v204, v[212:213], v[222:223] offset1:1
.LBB107_116:
	s_or_b32 exec_lo, exec_lo, s4
	s_waitcnt lgkmcnt(0)
	s_barrier
	buffer_gl0_inv
	ds_load_2addr_b64 v[207:210], v204 offset1:1
	s_mov_b32 s3, exec_lo
	s_waitcnt lgkmcnt(0)
	scratch_store_b128 off, v[207:210], off offset:664 ; 16-byte Folded Spill
	v_cmpx_lt_u32_e32 12, v215
	s_cbranch_execz .LBB107_118
; %bb.117:
	scratch_load_b128 v[207:210], off, off offset:664 ; 16-byte Folded Reload
	ds_load_2addr_b64 v[218:221], v214 offset0:26 offset1:27
	s_waitcnt vmcnt(0)
	v_mul_f64 v[212:213], v[209:210], v[166:167]
	v_mul_f64 v[166:167], v[207:208], v[166:167]
	s_delay_alu instid0(VALU_DEP_2) | instskip(NEXT) | instid1(VALU_DEP_2)
	v_fma_f64 v[216:217], v[207:208], v[164:165], -v[212:213]
	v_fma_f64 v[166:167], v[209:210], v[164:165], v[166:167]
	s_waitcnt lgkmcnt(0)
	s_delay_alu instid0(VALU_DEP_1) | instskip(SKIP_1) | instid1(VALU_DEP_2)
	v_mul_f64 v[164:165], v[220:221], v[166:167]
	v_mul_f64 v[212:213], v[218:219], v[166:167]
	v_fma_f64 v[164:165], v[218:219], v[216:217], -v[164:165]
	s_delay_alu instid0(VALU_DEP_2)
	v_fma_f64 v[212:213], v[220:221], v[216:217], v[212:213]
	ds_load_2addr_b64 v[218:221], v214 offset0:28 offset1:29
	v_add_f64 v[160:161], v[160:161], -v[164:165]
	v_add_f64 v[162:163], v[162:163], -v[212:213]
	s_waitcnt lgkmcnt(0)
	v_mul_f64 v[164:165], v[220:221], v[166:167]
	v_mul_f64 v[212:213], v[218:219], v[166:167]
	s_delay_alu instid0(VALU_DEP_2) | instskip(NEXT) | instid1(VALU_DEP_2)
	v_fma_f64 v[164:165], v[218:219], v[216:217], -v[164:165]
	v_fma_f64 v[212:213], v[220:221], v[216:217], v[212:213]
	ds_load_2addr_b64 v[218:221], v214 offset0:30 offset1:31
	v_add_f64 v[156:157], v[156:157], -v[164:165]
	v_add_f64 v[158:159], v[158:159], -v[212:213]
	s_waitcnt lgkmcnt(0)
	v_mul_f64 v[164:165], v[220:221], v[166:167]
	v_mul_f64 v[212:213], v[218:219], v[166:167]
	s_delay_alu instid0(VALU_DEP_2) | instskip(NEXT) | instid1(VALU_DEP_2)
	v_fma_f64 v[164:165], v[218:219], v[216:217], -v[164:165]
	;; [unrolled: 9-line block ×40, first 2 shown]
	v_fma_f64 v[212:213], v[220:221], v[216:217], v[212:213]
	s_delay_alu instid0(VALU_DEP_2) | instskip(NEXT) | instid1(VALU_DEP_2)
	v_add_f64 v[0:1], v[0:1], -v[164:165]
	v_add_f64 v[2:3], v[2:3], -v[212:213]
	v_dual_mov_b32 v164, v216 :: v_dual_mov_b32 v165, v217
.LBB107_118:
	s_or_b32 exec_lo, exec_lo, s3
	s_delay_alu instid0(SALU_CYCLE_1)
	s_mov_b32 s4, exec_lo
	s_waitcnt_vscnt null, 0x0
	s_barrier
	buffer_gl0_inv
	v_cmpx_eq_u32_e32 13, v215
	s_cbranch_execz .LBB107_125
; %bb.119:
	ds_store_2addr_b64 v204, v[160:161], v[162:163] offset1:1
	ds_store_2addr_b64 v214, v[156:157], v[158:159] offset0:28 offset1:29
	ds_store_2addr_b64 v214, v[152:153], v[154:155] offset0:30 offset1:31
	;; [unrolled: 1-line block ×40, first 2 shown]
	ds_load_2addr_b64 v[216:219], v204 offset1:1
	s_waitcnt lgkmcnt(0)
	v_cmp_neq_f64_e32 vcc_lo, 0, v[216:217]
	v_cmp_neq_f64_e64 s3, 0, v[218:219]
	s_delay_alu instid0(VALU_DEP_1) | instskip(NEXT) | instid1(SALU_CYCLE_1)
	s_or_b32 s3, vcc_lo, s3
	s_and_b32 exec_lo, exec_lo, s3
	s_cbranch_execz .LBB107_125
; %bb.120:
	v_cmp_gt_f64_e32 vcc_lo, 0, v[216:217]
	v_xor_b32_e32 v208, 0x80000000, v217
	s_delay_alu instid0(VALU_DEP_1) | instskip(SKIP_3) | instid1(VALU_DEP_1)
	v_cndmask_b32_e32 v213, v217, v208, vcc_lo
	v_cndmask_b32_e32 v212, v216, v216, vcc_lo
	v_cmp_gt_f64_e32 vcc_lo, 0, v[218:219]
	v_xor_b32_e32 v208, 0x80000000, v219
	v_dual_cndmask_b32 v220, v218, v218 :: v_dual_cndmask_b32 v221, v219, v208
	s_delay_alu instid0(VALU_DEP_1) | instskip(SKIP_1) | instid1(SALU_CYCLE_1)
	v_cmp_ngt_f64_e32 vcc_lo, v[212:213], v[220:221]
                                        ; implicit-def: $vgpr212_vgpr213
	s_and_saveexec_b32 s3, vcc_lo
	s_xor_b32 s3, exec_lo, s3
                                        ; implicit-def: $vgpr220_vgpr221_vgpr222_vgpr223
	s_cbranch_execz .LBB107_122
; %bb.121:
	v_div_scale_f64 v[212:213], null, v[218:219], v[218:219], v[216:217]
	v_div_scale_f64 v[224:225], vcc_lo, v[216:217], v[218:219], v[216:217]
	s_delay_alu instid0(VALU_DEP_2) | instskip(SKIP_2) | instid1(VALU_DEP_1)
	v_rcp_f64_e32 v[220:221], v[212:213]
	s_waitcnt_depctr 0xfff
	v_fma_f64 v[222:223], -v[212:213], v[220:221], 1.0
	v_fma_f64 v[220:221], v[220:221], v[222:223], v[220:221]
	s_delay_alu instid0(VALU_DEP_1) | instskip(NEXT) | instid1(VALU_DEP_1)
	v_fma_f64 v[222:223], -v[212:213], v[220:221], 1.0
	v_fma_f64 v[220:221], v[220:221], v[222:223], v[220:221]
	s_delay_alu instid0(VALU_DEP_1) | instskip(NEXT) | instid1(VALU_DEP_1)
	v_mul_f64 v[222:223], v[224:225], v[220:221]
	v_fma_f64 v[212:213], -v[212:213], v[222:223], v[224:225]
	s_delay_alu instid0(VALU_DEP_1) | instskip(NEXT) | instid1(VALU_DEP_1)
	v_div_fmas_f64 v[212:213], v[212:213], v[220:221], v[222:223]
	v_div_fixup_f64 v[212:213], v[212:213], v[218:219], v[216:217]
	s_delay_alu instid0(VALU_DEP_1) | instskip(NEXT) | instid1(VALU_DEP_1)
	v_fma_f64 v[216:217], v[216:217], v[212:213], v[218:219]
	v_div_scale_f64 v[218:219], null, v[216:217], v[216:217], 1.0
	s_delay_alu instid0(VALU_DEP_1) | instskip(SKIP_2) | instid1(VALU_DEP_1)
	v_rcp_f64_e32 v[220:221], v[218:219]
	s_waitcnt_depctr 0xfff
	v_fma_f64 v[222:223], -v[218:219], v[220:221], 1.0
	v_fma_f64 v[220:221], v[220:221], v[222:223], v[220:221]
	s_delay_alu instid0(VALU_DEP_1) | instskip(NEXT) | instid1(VALU_DEP_1)
	v_fma_f64 v[222:223], -v[218:219], v[220:221], 1.0
	v_fma_f64 v[220:221], v[220:221], v[222:223], v[220:221]
	v_div_scale_f64 v[222:223], vcc_lo, 1.0, v[216:217], 1.0
	s_delay_alu instid0(VALU_DEP_1) | instskip(NEXT) | instid1(VALU_DEP_1)
	v_mul_f64 v[224:225], v[222:223], v[220:221]
	v_fma_f64 v[218:219], -v[218:219], v[224:225], v[222:223]
	s_delay_alu instid0(VALU_DEP_1) | instskip(NEXT) | instid1(VALU_DEP_1)
	v_div_fmas_f64 v[218:219], v[218:219], v[220:221], v[224:225]
	v_div_fixup_f64 v[222:223], v[218:219], v[216:217], 1.0
                                        ; implicit-def: $vgpr216_vgpr217
	s_delay_alu instid0(VALU_DEP_1)
	v_mul_f64 v[212:213], v[212:213], v[222:223]
	v_xor_b32_e32 v223, 0x80000000, v223
.LBB107_122:
	s_and_not1_saveexec_b32 s3, s3
	s_cbranch_execz .LBB107_124
; %bb.123:
	v_div_scale_f64 v[212:213], null, v[216:217], v[216:217], v[218:219]
	v_div_scale_f64 v[224:225], vcc_lo, v[218:219], v[216:217], v[218:219]
	s_delay_alu instid0(VALU_DEP_2) | instskip(SKIP_2) | instid1(VALU_DEP_1)
	v_rcp_f64_e32 v[220:221], v[212:213]
	s_waitcnt_depctr 0xfff
	v_fma_f64 v[222:223], -v[212:213], v[220:221], 1.0
	v_fma_f64 v[220:221], v[220:221], v[222:223], v[220:221]
	s_delay_alu instid0(VALU_DEP_1) | instskip(NEXT) | instid1(VALU_DEP_1)
	v_fma_f64 v[222:223], -v[212:213], v[220:221], 1.0
	v_fma_f64 v[220:221], v[220:221], v[222:223], v[220:221]
	s_delay_alu instid0(VALU_DEP_1) | instskip(NEXT) | instid1(VALU_DEP_1)
	v_mul_f64 v[222:223], v[224:225], v[220:221]
	v_fma_f64 v[212:213], -v[212:213], v[222:223], v[224:225]
	s_delay_alu instid0(VALU_DEP_1) | instskip(NEXT) | instid1(VALU_DEP_1)
	v_div_fmas_f64 v[212:213], v[212:213], v[220:221], v[222:223]
	v_div_fixup_f64 v[220:221], v[212:213], v[216:217], v[218:219]
	s_delay_alu instid0(VALU_DEP_1) | instskip(NEXT) | instid1(VALU_DEP_1)
	v_fma_f64 v[212:213], v[218:219], v[220:221], v[216:217]
	v_div_scale_f64 v[216:217], null, v[212:213], v[212:213], 1.0
	s_delay_alu instid0(VALU_DEP_1) | instskip(SKIP_2) | instid1(VALU_DEP_1)
	v_rcp_f64_e32 v[218:219], v[216:217]
	s_waitcnt_depctr 0xfff
	v_fma_f64 v[222:223], -v[216:217], v[218:219], 1.0
	v_fma_f64 v[218:219], v[218:219], v[222:223], v[218:219]
	s_delay_alu instid0(VALU_DEP_1) | instskip(NEXT) | instid1(VALU_DEP_1)
	v_fma_f64 v[222:223], -v[216:217], v[218:219], 1.0
	v_fma_f64 v[218:219], v[218:219], v[222:223], v[218:219]
	v_div_scale_f64 v[222:223], vcc_lo, 1.0, v[212:213], 1.0
	s_delay_alu instid0(VALU_DEP_1) | instskip(NEXT) | instid1(VALU_DEP_1)
	v_mul_f64 v[224:225], v[222:223], v[218:219]
	v_fma_f64 v[216:217], -v[216:217], v[224:225], v[222:223]
	s_delay_alu instid0(VALU_DEP_1) | instskip(NEXT) | instid1(VALU_DEP_1)
	v_div_fmas_f64 v[216:217], v[216:217], v[218:219], v[224:225]
	v_div_fixup_f64 v[212:213], v[216:217], v[212:213], 1.0
	s_delay_alu instid0(VALU_DEP_1)
	v_mul_f64 v[222:223], v[220:221], -v[212:213]
.LBB107_124:
	s_or_b32 exec_lo, exec_lo, s3
	ds_store_2addr_b64 v204, v[212:213], v[222:223] offset1:1
.LBB107_125:
	s_or_b32 exec_lo, exec_lo, s4
	s_waitcnt lgkmcnt(0)
	s_barrier
	buffer_gl0_inv
	ds_load_2addr_b64 v[207:210], v204 offset1:1
	s_mov_b32 s3, exec_lo
	s_waitcnt lgkmcnt(0)
	scratch_store_b128 off, v[207:210], off offset:680 ; 16-byte Folded Spill
	v_cmpx_lt_u32_e32 13, v215
	s_cbranch_execz .LBB107_127
; %bb.126:
	scratch_load_b128 v[207:210], off, off offset:680 ; 16-byte Folded Reload
	ds_load_2addr_b64 v[218:221], v214 offset0:28 offset1:29
	s_waitcnt vmcnt(0)
	v_mul_f64 v[212:213], v[209:210], v[162:163]
	v_mul_f64 v[162:163], v[207:208], v[162:163]
	s_delay_alu instid0(VALU_DEP_2) | instskip(NEXT) | instid1(VALU_DEP_2)
	v_fma_f64 v[216:217], v[207:208], v[160:161], -v[212:213]
	v_fma_f64 v[162:163], v[209:210], v[160:161], v[162:163]
	s_waitcnt lgkmcnt(0)
	s_delay_alu instid0(VALU_DEP_1) | instskip(SKIP_1) | instid1(VALU_DEP_2)
	v_mul_f64 v[160:161], v[220:221], v[162:163]
	v_mul_f64 v[212:213], v[218:219], v[162:163]
	v_fma_f64 v[160:161], v[218:219], v[216:217], -v[160:161]
	s_delay_alu instid0(VALU_DEP_2)
	v_fma_f64 v[212:213], v[220:221], v[216:217], v[212:213]
	ds_load_2addr_b64 v[218:221], v214 offset0:30 offset1:31
	v_add_f64 v[156:157], v[156:157], -v[160:161]
	v_add_f64 v[158:159], v[158:159], -v[212:213]
	s_waitcnt lgkmcnt(0)
	v_mul_f64 v[160:161], v[220:221], v[162:163]
	v_mul_f64 v[212:213], v[218:219], v[162:163]
	s_delay_alu instid0(VALU_DEP_2) | instskip(NEXT) | instid1(VALU_DEP_2)
	v_fma_f64 v[160:161], v[218:219], v[216:217], -v[160:161]
	v_fma_f64 v[212:213], v[220:221], v[216:217], v[212:213]
	ds_load_2addr_b64 v[218:221], v214 offset0:32 offset1:33
	v_add_f64 v[152:153], v[152:153], -v[160:161]
	v_add_f64 v[154:155], v[154:155], -v[212:213]
	s_waitcnt lgkmcnt(0)
	v_mul_f64 v[160:161], v[220:221], v[162:163]
	v_mul_f64 v[212:213], v[218:219], v[162:163]
	s_delay_alu instid0(VALU_DEP_2) | instskip(NEXT) | instid1(VALU_DEP_2)
	v_fma_f64 v[160:161], v[218:219], v[216:217], -v[160:161]
	v_fma_f64 v[212:213], v[220:221], v[216:217], v[212:213]
	ds_load_2addr_b64 v[218:221], v214 offset0:34 offset1:35
	v_add_f64 v[148:149], v[148:149], -v[160:161]
	v_add_f64 v[150:151], v[150:151], -v[212:213]
	s_waitcnt lgkmcnt(0)
	v_mul_f64 v[160:161], v[220:221], v[162:163]
	v_mul_f64 v[212:213], v[218:219], v[162:163]
	s_delay_alu instid0(VALU_DEP_2) | instskip(NEXT) | instid1(VALU_DEP_2)
	v_fma_f64 v[160:161], v[218:219], v[216:217], -v[160:161]
	v_fma_f64 v[212:213], v[220:221], v[216:217], v[212:213]
	ds_load_2addr_b64 v[218:221], v214 offset0:36 offset1:37
	v_add_f64 v[144:145], v[144:145], -v[160:161]
	v_add_f64 v[146:147], v[146:147], -v[212:213]
	s_waitcnt lgkmcnt(0)
	v_mul_f64 v[160:161], v[220:221], v[162:163]
	v_mul_f64 v[212:213], v[218:219], v[162:163]
	s_delay_alu instid0(VALU_DEP_2) | instskip(NEXT) | instid1(VALU_DEP_2)
	v_fma_f64 v[160:161], v[218:219], v[216:217], -v[160:161]
	v_fma_f64 v[212:213], v[220:221], v[216:217], v[212:213]
	ds_load_2addr_b64 v[218:221], v214 offset0:38 offset1:39
	v_add_f64 v[140:141], v[140:141], -v[160:161]
	v_add_f64 v[142:143], v[142:143], -v[212:213]
	s_waitcnt lgkmcnt(0)
	v_mul_f64 v[160:161], v[220:221], v[162:163]
	v_mul_f64 v[212:213], v[218:219], v[162:163]
	s_delay_alu instid0(VALU_DEP_2) | instskip(NEXT) | instid1(VALU_DEP_2)
	v_fma_f64 v[160:161], v[218:219], v[216:217], -v[160:161]
	v_fma_f64 v[212:213], v[220:221], v[216:217], v[212:213]
	ds_load_2addr_b64 v[218:221], v214 offset0:40 offset1:41
	v_add_f64 v[136:137], v[136:137], -v[160:161]
	v_add_f64 v[138:139], v[138:139], -v[212:213]
	s_waitcnt lgkmcnt(0)
	v_mul_f64 v[160:161], v[220:221], v[162:163]
	v_mul_f64 v[212:213], v[218:219], v[162:163]
	s_delay_alu instid0(VALU_DEP_2) | instskip(NEXT) | instid1(VALU_DEP_2)
	v_fma_f64 v[160:161], v[218:219], v[216:217], -v[160:161]
	v_fma_f64 v[212:213], v[220:221], v[216:217], v[212:213]
	ds_load_2addr_b64 v[218:221], v214 offset0:42 offset1:43
	v_add_f64 v[132:133], v[132:133], -v[160:161]
	v_add_f64 v[134:135], v[134:135], -v[212:213]
	s_waitcnt lgkmcnt(0)
	v_mul_f64 v[160:161], v[220:221], v[162:163]
	v_mul_f64 v[212:213], v[218:219], v[162:163]
	s_delay_alu instid0(VALU_DEP_2) | instskip(NEXT) | instid1(VALU_DEP_2)
	v_fma_f64 v[160:161], v[218:219], v[216:217], -v[160:161]
	v_fma_f64 v[212:213], v[220:221], v[216:217], v[212:213]
	ds_load_2addr_b64 v[218:221], v214 offset0:44 offset1:45
	v_add_f64 v[128:129], v[128:129], -v[160:161]
	v_add_f64 v[130:131], v[130:131], -v[212:213]
	s_waitcnt lgkmcnt(0)
	v_mul_f64 v[160:161], v[220:221], v[162:163]
	v_mul_f64 v[212:213], v[218:219], v[162:163]
	s_delay_alu instid0(VALU_DEP_2) | instskip(NEXT) | instid1(VALU_DEP_2)
	v_fma_f64 v[160:161], v[218:219], v[216:217], -v[160:161]
	v_fma_f64 v[212:213], v[220:221], v[216:217], v[212:213]
	ds_load_2addr_b64 v[218:221], v214 offset0:46 offset1:47
	v_add_f64 v[124:125], v[124:125], -v[160:161]
	v_add_f64 v[126:127], v[126:127], -v[212:213]
	s_waitcnt lgkmcnt(0)
	v_mul_f64 v[160:161], v[220:221], v[162:163]
	v_mul_f64 v[212:213], v[218:219], v[162:163]
	s_delay_alu instid0(VALU_DEP_2) | instskip(NEXT) | instid1(VALU_DEP_2)
	v_fma_f64 v[160:161], v[218:219], v[216:217], -v[160:161]
	v_fma_f64 v[212:213], v[220:221], v[216:217], v[212:213]
	ds_load_2addr_b64 v[218:221], v214 offset0:48 offset1:49
	v_add_f64 v[120:121], v[120:121], -v[160:161]
	v_add_f64 v[122:123], v[122:123], -v[212:213]
	s_waitcnt lgkmcnt(0)
	v_mul_f64 v[160:161], v[220:221], v[162:163]
	v_mul_f64 v[212:213], v[218:219], v[162:163]
	s_delay_alu instid0(VALU_DEP_2) | instskip(NEXT) | instid1(VALU_DEP_2)
	v_fma_f64 v[160:161], v[218:219], v[216:217], -v[160:161]
	v_fma_f64 v[212:213], v[220:221], v[216:217], v[212:213]
	ds_load_2addr_b64 v[218:221], v214 offset0:50 offset1:51
	v_add_f64 v[116:117], v[116:117], -v[160:161]
	v_add_f64 v[118:119], v[118:119], -v[212:213]
	s_waitcnt lgkmcnt(0)
	v_mul_f64 v[160:161], v[220:221], v[162:163]
	v_mul_f64 v[212:213], v[218:219], v[162:163]
	s_delay_alu instid0(VALU_DEP_2) | instskip(NEXT) | instid1(VALU_DEP_2)
	v_fma_f64 v[160:161], v[218:219], v[216:217], -v[160:161]
	v_fma_f64 v[212:213], v[220:221], v[216:217], v[212:213]
	ds_load_2addr_b64 v[218:221], v214 offset0:52 offset1:53
	v_add_f64 v[112:113], v[112:113], -v[160:161]
	v_add_f64 v[114:115], v[114:115], -v[212:213]
	s_waitcnt lgkmcnt(0)
	v_mul_f64 v[160:161], v[220:221], v[162:163]
	v_mul_f64 v[212:213], v[218:219], v[162:163]
	s_delay_alu instid0(VALU_DEP_2) | instskip(NEXT) | instid1(VALU_DEP_2)
	v_fma_f64 v[160:161], v[218:219], v[216:217], -v[160:161]
	v_fma_f64 v[212:213], v[220:221], v[216:217], v[212:213]
	ds_load_2addr_b64 v[218:221], v214 offset0:54 offset1:55
	v_add_f64 v[108:109], v[108:109], -v[160:161]
	v_add_f64 v[110:111], v[110:111], -v[212:213]
	s_waitcnt lgkmcnt(0)
	v_mul_f64 v[160:161], v[220:221], v[162:163]
	v_mul_f64 v[212:213], v[218:219], v[162:163]
	s_delay_alu instid0(VALU_DEP_2) | instskip(NEXT) | instid1(VALU_DEP_2)
	v_fma_f64 v[160:161], v[218:219], v[216:217], -v[160:161]
	v_fma_f64 v[212:213], v[220:221], v[216:217], v[212:213]
	ds_load_2addr_b64 v[218:221], v214 offset0:56 offset1:57
	v_add_f64 v[104:105], v[104:105], -v[160:161]
	v_add_f64 v[106:107], v[106:107], -v[212:213]
	s_waitcnt lgkmcnt(0)
	v_mul_f64 v[160:161], v[220:221], v[162:163]
	v_mul_f64 v[212:213], v[218:219], v[162:163]
	s_delay_alu instid0(VALU_DEP_2) | instskip(NEXT) | instid1(VALU_DEP_2)
	v_fma_f64 v[160:161], v[218:219], v[216:217], -v[160:161]
	v_fma_f64 v[212:213], v[220:221], v[216:217], v[212:213]
	ds_load_2addr_b64 v[218:221], v214 offset0:58 offset1:59
	v_add_f64 v[100:101], v[100:101], -v[160:161]
	v_add_f64 v[102:103], v[102:103], -v[212:213]
	s_waitcnt lgkmcnt(0)
	v_mul_f64 v[160:161], v[220:221], v[162:163]
	v_mul_f64 v[212:213], v[218:219], v[162:163]
	s_delay_alu instid0(VALU_DEP_2) | instskip(NEXT) | instid1(VALU_DEP_2)
	v_fma_f64 v[160:161], v[218:219], v[216:217], -v[160:161]
	v_fma_f64 v[212:213], v[220:221], v[216:217], v[212:213]
	ds_load_2addr_b64 v[218:221], v214 offset0:60 offset1:61
	v_add_f64 v[96:97], v[96:97], -v[160:161]
	v_add_f64 v[98:99], v[98:99], -v[212:213]
	s_waitcnt lgkmcnt(0)
	v_mul_f64 v[160:161], v[220:221], v[162:163]
	v_mul_f64 v[212:213], v[218:219], v[162:163]
	s_delay_alu instid0(VALU_DEP_2) | instskip(NEXT) | instid1(VALU_DEP_2)
	v_fma_f64 v[160:161], v[218:219], v[216:217], -v[160:161]
	v_fma_f64 v[212:213], v[220:221], v[216:217], v[212:213]
	ds_load_2addr_b64 v[218:221], v214 offset0:62 offset1:63
	v_add_f64 v[92:93], v[92:93], -v[160:161]
	v_add_f64 v[94:95], v[94:95], -v[212:213]
	s_waitcnt lgkmcnt(0)
	v_mul_f64 v[160:161], v[220:221], v[162:163]
	v_mul_f64 v[212:213], v[218:219], v[162:163]
	s_delay_alu instid0(VALU_DEP_2) | instskip(NEXT) | instid1(VALU_DEP_2)
	v_fma_f64 v[160:161], v[218:219], v[216:217], -v[160:161]
	v_fma_f64 v[212:213], v[220:221], v[216:217], v[212:213]
	ds_load_2addr_b64 v[218:221], v214 offset0:64 offset1:65
	v_add_f64 v[88:89], v[88:89], -v[160:161]
	v_add_f64 v[90:91], v[90:91], -v[212:213]
	s_waitcnt lgkmcnt(0)
	v_mul_f64 v[160:161], v[220:221], v[162:163]
	v_mul_f64 v[212:213], v[218:219], v[162:163]
	s_delay_alu instid0(VALU_DEP_2) | instskip(NEXT) | instid1(VALU_DEP_2)
	v_fma_f64 v[160:161], v[218:219], v[216:217], -v[160:161]
	v_fma_f64 v[212:213], v[220:221], v[216:217], v[212:213]
	ds_load_2addr_b64 v[218:221], v214 offset0:66 offset1:67
	v_add_f64 v[84:85], v[84:85], -v[160:161]
	v_add_f64 v[86:87], v[86:87], -v[212:213]
	s_waitcnt lgkmcnt(0)
	v_mul_f64 v[160:161], v[220:221], v[162:163]
	v_mul_f64 v[212:213], v[218:219], v[162:163]
	s_delay_alu instid0(VALU_DEP_2) | instskip(NEXT) | instid1(VALU_DEP_2)
	v_fma_f64 v[160:161], v[218:219], v[216:217], -v[160:161]
	v_fma_f64 v[212:213], v[220:221], v[216:217], v[212:213]
	ds_load_2addr_b64 v[218:221], v214 offset0:68 offset1:69
	v_add_f64 v[80:81], v[80:81], -v[160:161]
	v_add_f64 v[82:83], v[82:83], -v[212:213]
	s_waitcnt lgkmcnt(0)
	v_mul_f64 v[160:161], v[220:221], v[162:163]
	v_mul_f64 v[212:213], v[218:219], v[162:163]
	s_delay_alu instid0(VALU_DEP_2) | instskip(NEXT) | instid1(VALU_DEP_2)
	v_fma_f64 v[160:161], v[218:219], v[216:217], -v[160:161]
	v_fma_f64 v[212:213], v[220:221], v[216:217], v[212:213]
	ds_load_2addr_b64 v[218:221], v214 offset0:70 offset1:71
	v_add_f64 v[76:77], v[76:77], -v[160:161]
	v_add_f64 v[78:79], v[78:79], -v[212:213]
	s_waitcnt lgkmcnt(0)
	v_mul_f64 v[160:161], v[220:221], v[162:163]
	v_mul_f64 v[212:213], v[218:219], v[162:163]
	s_delay_alu instid0(VALU_DEP_2) | instskip(NEXT) | instid1(VALU_DEP_2)
	v_fma_f64 v[160:161], v[218:219], v[216:217], -v[160:161]
	v_fma_f64 v[212:213], v[220:221], v[216:217], v[212:213]
	ds_load_2addr_b64 v[218:221], v214 offset0:72 offset1:73
	v_add_f64 v[72:73], v[72:73], -v[160:161]
	v_add_f64 v[74:75], v[74:75], -v[212:213]
	s_waitcnt lgkmcnt(0)
	v_mul_f64 v[160:161], v[220:221], v[162:163]
	v_mul_f64 v[212:213], v[218:219], v[162:163]
	s_delay_alu instid0(VALU_DEP_2) | instskip(NEXT) | instid1(VALU_DEP_2)
	v_fma_f64 v[160:161], v[218:219], v[216:217], -v[160:161]
	v_fma_f64 v[212:213], v[220:221], v[216:217], v[212:213]
	ds_load_2addr_b64 v[218:221], v214 offset0:74 offset1:75
	v_add_f64 v[68:69], v[68:69], -v[160:161]
	v_add_f64 v[70:71], v[70:71], -v[212:213]
	s_waitcnt lgkmcnt(0)
	v_mul_f64 v[160:161], v[220:221], v[162:163]
	v_mul_f64 v[212:213], v[218:219], v[162:163]
	s_delay_alu instid0(VALU_DEP_2) | instskip(NEXT) | instid1(VALU_DEP_2)
	v_fma_f64 v[160:161], v[218:219], v[216:217], -v[160:161]
	v_fma_f64 v[212:213], v[220:221], v[216:217], v[212:213]
	ds_load_2addr_b64 v[218:221], v214 offset0:76 offset1:77
	v_add_f64 v[64:65], v[64:65], -v[160:161]
	v_add_f64 v[66:67], v[66:67], -v[212:213]
	s_waitcnt lgkmcnt(0)
	v_mul_f64 v[160:161], v[220:221], v[162:163]
	v_mul_f64 v[212:213], v[218:219], v[162:163]
	s_delay_alu instid0(VALU_DEP_2) | instskip(NEXT) | instid1(VALU_DEP_2)
	v_fma_f64 v[160:161], v[218:219], v[216:217], -v[160:161]
	v_fma_f64 v[212:213], v[220:221], v[216:217], v[212:213]
	ds_load_2addr_b64 v[218:221], v214 offset0:78 offset1:79
	v_add_f64 v[60:61], v[60:61], -v[160:161]
	v_add_f64 v[62:63], v[62:63], -v[212:213]
	s_waitcnt lgkmcnt(0)
	v_mul_f64 v[160:161], v[220:221], v[162:163]
	v_mul_f64 v[212:213], v[218:219], v[162:163]
	s_delay_alu instid0(VALU_DEP_2) | instskip(NEXT) | instid1(VALU_DEP_2)
	v_fma_f64 v[160:161], v[218:219], v[216:217], -v[160:161]
	v_fma_f64 v[212:213], v[220:221], v[216:217], v[212:213]
	ds_load_2addr_b64 v[218:221], v214 offset0:80 offset1:81
	v_add_f64 v[56:57], v[56:57], -v[160:161]
	v_add_f64 v[58:59], v[58:59], -v[212:213]
	s_waitcnt lgkmcnt(0)
	v_mul_f64 v[160:161], v[220:221], v[162:163]
	v_mul_f64 v[212:213], v[218:219], v[162:163]
	s_delay_alu instid0(VALU_DEP_2) | instskip(NEXT) | instid1(VALU_DEP_2)
	v_fma_f64 v[160:161], v[218:219], v[216:217], -v[160:161]
	v_fma_f64 v[212:213], v[220:221], v[216:217], v[212:213]
	ds_load_2addr_b64 v[218:221], v214 offset0:82 offset1:83
	v_add_f64 v[52:53], v[52:53], -v[160:161]
	v_add_f64 v[54:55], v[54:55], -v[212:213]
	s_waitcnt lgkmcnt(0)
	v_mul_f64 v[160:161], v[220:221], v[162:163]
	v_mul_f64 v[212:213], v[218:219], v[162:163]
	s_delay_alu instid0(VALU_DEP_2) | instskip(NEXT) | instid1(VALU_DEP_2)
	v_fma_f64 v[160:161], v[218:219], v[216:217], -v[160:161]
	v_fma_f64 v[212:213], v[220:221], v[216:217], v[212:213]
	ds_load_2addr_b64 v[218:221], v214 offset0:84 offset1:85
	v_add_f64 v[48:49], v[48:49], -v[160:161]
	v_add_f64 v[50:51], v[50:51], -v[212:213]
	s_waitcnt lgkmcnt(0)
	v_mul_f64 v[160:161], v[220:221], v[162:163]
	v_mul_f64 v[212:213], v[218:219], v[162:163]
	s_delay_alu instid0(VALU_DEP_2) | instskip(NEXT) | instid1(VALU_DEP_2)
	v_fma_f64 v[160:161], v[218:219], v[216:217], -v[160:161]
	v_fma_f64 v[212:213], v[220:221], v[216:217], v[212:213]
	ds_load_2addr_b64 v[218:221], v214 offset0:86 offset1:87
	v_add_f64 v[44:45], v[44:45], -v[160:161]
	v_add_f64 v[46:47], v[46:47], -v[212:213]
	s_waitcnt lgkmcnt(0)
	v_mul_f64 v[160:161], v[220:221], v[162:163]
	v_mul_f64 v[212:213], v[218:219], v[162:163]
	s_delay_alu instid0(VALU_DEP_2) | instskip(NEXT) | instid1(VALU_DEP_2)
	v_fma_f64 v[160:161], v[218:219], v[216:217], -v[160:161]
	v_fma_f64 v[212:213], v[220:221], v[216:217], v[212:213]
	ds_load_2addr_b64 v[218:221], v214 offset0:88 offset1:89
	v_add_f64 v[40:41], v[40:41], -v[160:161]
	v_add_f64 v[42:43], v[42:43], -v[212:213]
	s_waitcnt lgkmcnt(0)
	v_mul_f64 v[160:161], v[220:221], v[162:163]
	v_mul_f64 v[212:213], v[218:219], v[162:163]
	s_delay_alu instid0(VALU_DEP_2) | instskip(NEXT) | instid1(VALU_DEP_2)
	v_fma_f64 v[160:161], v[218:219], v[216:217], -v[160:161]
	v_fma_f64 v[212:213], v[220:221], v[216:217], v[212:213]
	ds_load_2addr_b64 v[218:221], v214 offset0:90 offset1:91
	v_add_f64 v[36:37], v[36:37], -v[160:161]
	v_add_f64 v[38:39], v[38:39], -v[212:213]
	s_waitcnt lgkmcnt(0)
	v_mul_f64 v[160:161], v[220:221], v[162:163]
	v_mul_f64 v[212:213], v[218:219], v[162:163]
	s_delay_alu instid0(VALU_DEP_2) | instskip(NEXT) | instid1(VALU_DEP_2)
	v_fma_f64 v[160:161], v[218:219], v[216:217], -v[160:161]
	v_fma_f64 v[212:213], v[220:221], v[216:217], v[212:213]
	ds_load_2addr_b64 v[218:221], v214 offset0:92 offset1:93
	v_add_f64 v[32:33], v[32:33], -v[160:161]
	v_add_f64 v[34:35], v[34:35], -v[212:213]
	s_waitcnt lgkmcnt(0)
	v_mul_f64 v[160:161], v[220:221], v[162:163]
	v_mul_f64 v[212:213], v[218:219], v[162:163]
	s_delay_alu instid0(VALU_DEP_2) | instskip(NEXT) | instid1(VALU_DEP_2)
	v_fma_f64 v[160:161], v[218:219], v[216:217], -v[160:161]
	v_fma_f64 v[212:213], v[220:221], v[216:217], v[212:213]
	ds_load_2addr_b64 v[218:221], v214 offset0:94 offset1:95
	v_add_f64 v[28:29], v[28:29], -v[160:161]
	v_add_f64 v[30:31], v[30:31], -v[212:213]
	s_waitcnt lgkmcnt(0)
	v_mul_f64 v[160:161], v[220:221], v[162:163]
	v_mul_f64 v[212:213], v[218:219], v[162:163]
	s_delay_alu instid0(VALU_DEP_2) | instskip(NEXT) | instid1(VALU_DEP_2)
	v_fma_f64 v[160:161], v[218:219], v[216:217], -v[160:161]
	v_fma_f64 v[212:213], v[220:221], v[216:217], v[212:213]
	ds_load_2addr_b64 v[218:221], v214 offset0:96 offset1:97
	v_add_f64 v[24:25], v[24:25], -v[160:161]
	v_add_f64 v[26:27], v[26:27], -v[212:213]
	s_waitcnt lgkmcnt(0)
	v_mul_f64 v[160:161], v[220:221], v[162:163]
	v_mul_f64 v[212:213], v[218:219], v[162:163]
	s_delay_alu instid0(VALU_DEP_2) | instskip(NEXT) | instid1(VALU_DEP_2)
	v_fma_f64 v[160:161], v[218:219], v[216:217], -v[160:161]
	v_fma_f64 v[212:213], v[220:221], v[216:217], v[212:213]
	ds_load_2addr_b64 v[218:221], v214 offset0:98 offset1:99
	v_add_f64 v[20:21], v[20:21], -v[160:161]
	v_add_f64 v[22:23], v[22:23], -v[212:213]
	s_waitcnt lgkmcnt(0)
	v_mul_f64 v[160:161], v[220:221], v[162:163]
	v_mul_f64 v[212:213], v[218:219], v[162:163]
	s_delay_alu instid0(VALU_DEP_2) | instskip(NEXT) | instid1(VALU_DEP_2)
	v_fma_f64 v[160:161], v[218:219], v[216:217], -v[160:161]
	v_fma_f64 v[212:213], v[220:221], v[216:217], v[212:213]
	ds_load_2addr_b64 v[218:221], v214 offset0:100 offset1:101
	v_add_f64 v[16:17], v[16:17], -v[160:161]
	v_add_f64 v[18:19], v[18:19], -v[212:213]
	s_waitcnt lgkmcnt(0)
	v_mul_f64 v[160:161], v[220:221], v[162:163]
	v_mul_f64 v[212:213], v[218:219], v[162:163]
	s_delay_alu instid0(VALU_DEP_2) | instskip(NEXT) | instid1(VALU_DEP_2)
	v_fma_f64 v[160:161], v[218:219], v[216:217], -v[160:161]
	v_fma_f64 v[212:213], v[220:221], v[216:217], v[212:213]
	ds_load_2addr_b64 v[218:221], v214 offset0:102 offset1:103
	v_add_f64 v[12:13], v[12:13], -v[160:161]
	v_add_f64 v[14:15], v[14:15], -v[212:213]
	s_waitcnt lgkmcnt(0)
	v_mul_f64 v[160:161], v[220:221], v[162:163]
	v_mul_f64 v[212:213], v[218:219], v[162:163]
	s_delay_alu instid0(VALU_DEP_2) | instskip(NEXT) | instid1(VALU_DEP_2)
	v_fma_f64 v[160:161], v[218:219], v[216:217], -v[160:161]
	v_fma_f64 v[212:213], v[220:221], v[216:217], v[212:213]
	ds_load_2addr_b64 v[218:221], v214 offset0:104 offset1:105
	v_add_f64 v[8:9], v[8:9], -v[160:161]
	v_add_f64 v[10:11], v[10:11], -v[212:213]
	s_waitcnt lgkmcnt(0)
	v_mul_f64 v[160:161], v[220:221], v[162:163]
	v_mul_f64 v[212:213], v[218:219], v[162:163]
	s_delay_alu instid0(VALU_DEP_2) | instskip(NEXT) | instid1(VALU_DEP_2)
	v_fma_f64 v[160:161], v[218:219], v[216:217], -v[160:161]
	v_fma_f64 v[212:213], v[220:221], v[216:217], v[212:213]
	ds_load_2addr_b64 v[218:221], v214 offset0:106 offset1:107
	v_add_f64 v[4:5], v[4:5], -v[160:161]
	v_add_f64 v[6:7], v[6:7], -v[212:213]
	s_waitcnt lgkmcnt(0)
	v_mul_f64 v[160:161], v[220:221], v[162:163]
	v_mul_f64 v[212:213], v[218:219], v[162:163]
	s_delay_alu instid0(VALU_DEP_2) | instskip(NEXT) | instid1(VALU_DEP_2)
	v_fma_f64 v[160:161], v[218:219], v[216:217], -v[160:161]
	v_fma_f64 v[212:213], v[220:221], v[216:217], v[212:213]
	s_delay_alu instid0(VALU_DEP_2) | instskip(NEXT) | instid1(VALU_DEP_2)
	v_add_f64 v[0:1], v[0:1], -v[160:161]
	v_add_f64 v[2:3], v[2:3], -v[212:213]
	v_dual_mov_b32 v160, v216 :: v_dual_mov_b32 v161, v217
.LBB107_127:
	s_or_b32 exec_lo, exec_lo, s3
	s_delay_alu instid0(SALU_CYCLE_1)
	s_mov_b32 s4, exec_lo
	s_waitcnt_vscnt null, 0x0
	s_barrier
	buffer_gl0_inv
	v_cmpx_eq_u32_e32 14, v215
	s_cbranch_execz .LBB107_134
; %bb.128:
	ds_store_2addr_b64 v204, v[156:157], v[158:159] offset1:1
	ds_store_2addr_b64 v214, v[152:153], v[154:155] offset0:30 offset1:31
	ds_store_2addr_b64 v214, v[148:149], v[150:151] offset0:32 offset1:33
	;; [unrolled: 1-line block ×39, first 2 shown]
	ds_load_2addr_b64 v[216:219], v204 offset1:1
	s_waitcnt lgkmcnt(0)
	v_cmp_neq_f64_e32 vcc_lo, 0, v[216:217]
	v_cmp_neq_f64_e64 s3, 0, v[218:219]
	s_delay_alu instid0(VALU_DEP_1) | instskip(NEXT) | instid1(SALU_CYCLE_1)
	s_or_b32 s3, vcc_lo, s3
	s_and_b32 exec_lo, exec_lo, s3
	s_cbranch_execz .LBB107_134
; %bb.129:
	v_cmp_gt_f64_e32 vcc_lo, 0, v[216:217]
	v_xor_b32_e32 v208, 0x80000000, v217
	s_delay_alu instid0(VALU_DEP_1) | instskip(SKIP_3) | instid1(VALU_DEP_1)
	v_cndmask_b32_e32 v213, v217, v208, vcc_lo
	v_cndmask_b32_e32 v212, v216, v216, vcc_lo
	v_cmp_gt_f64_e32 vcc_lo, 0, v[218:219]
	v_xor_b32_e32 v208, 0x80000000, v219
	v_dual_cndmask_b32 v220, v218, v218 :: v_dual_cndmask_b32 v221, v219, v208
	s_delay_alu instid0(VALU_DEP_1) | instskip(SKIP_1) | instid1(SALU_CYCLE_1)
	v_cmp_ngt_f64_e32 vcc_lo, v[212:213], v[220:221]
                                        ; implicit-def: $vgpr212_vgpr213
	s_and_saveexec_b32 s3, vcc_lo
	s_xor_b32 s3, exec_lo, s3
                                        ; implicit-def: $vgpr220_vgpr221_vgpr222_vgpr223
	s_cbranch_execz .LBB107_131
; %bb.130:
	v_div_scale_f64 v[212:213], null, v[218:219], v[218:219], v[216:217]
	v_div_scale_f64 v[224:225], vcc_lo, v[216:217], v[218:219], v[216:217]
	s_delay_alu instid0(VALU_DEP_2) | instskip(SKIP_2) | instid1(VALU_DEP_1)
	v_rcp_f64_e32 v[220:221], v[212:213]
	s_waitcnt_depctr 0xfff
	v_fma_f64 v[222:223], -v[212:213], v[220:221], 1.0
	v_fma_f64 v[220:221], v[220:221], v[222:223], v[220:221]
	s_delay_alu instid0(VALU_DEP_1) | instskip(NEXT) | instid1(VALU_DEP_1)
	v_fma_f64 v[222:223], -v[212:213], v[220:221], 1.0
	v_fma_f64 v[220:221], v[220:221], v[222:223], v[220:221]
	s_delay_alu instid0(VALU_DEP_1) | instskip(NEXT) | instid1(VALU_DEP_1)
	v_mul_f64 v[222:223], v[224:225], v[220:221]
	v_fma_f64 v[212:213], -v[212:213], v[222:223], v[224:225]
	s_delay_alu instid0(VALU_DEP_1) | instskip(NEXT) | instid1(VALU_DEP_1)
	v_div_fmas_f64 v[212:213], v[212:213], v[220:221], v[222:223]
	v_div_fixup_f64 v[212:213], v[212:213], v[218:219], v[216:217]
	s_delay_alu instid0(VALU_DEP_1) | instskip(NEXT) | instid1(VALU_DEP_1)
	v_fma_f64 v[216:217], v[216:217], v[212:213], v[218:219]
	v_div_scale_f64 v[218:219], null, v[216:217], v[216:217], 1.0
	s_delay_alu instid0(VALU_DEP_1) | instskip(SKIP_2) | instid1(VALU_DEP_1)
	v_rcp_f64_e32 v[220:221], v[218:219]
	s_waitcnt_depctr 0xfff
	v_fma_f64 v[222:223], -v[218:219], v[220:221], 1.0
	v_fma_f64 v[220:221], v[220:221], v[222:223], v[220:221]
	s_delay_alu instid0(VALU_DEP_1) | instskip(NEXT) | instid1(VALU_DEP_1)
	v_fma_f64 v[222:223], -v[218:219], v[220:221], 1.0
	v_fma_f64 v[220:221], v[220:221], v[222:223], v[220:221]
	v_div_scale_f64 v[222:223], vcc_lo, 1.0, v[216:217], 1.0
	s_delay_alu instid0(VALU_DEP_1) | instskip(NEXT) | instid1(VALU_DEP_1)
	v_mul_f64 v[224:225], v[222:223], v[220:221]
	v_fma_f64 v[218:219], -v[218:219], v[224:225], v[222:223]
	s_delay_alu instid0(VALU_DEP_1) | instskip(NEXT) | instid1(VALU_DEP_1)
	v_div_fmas_f64 v[218:219], v[218:219], v[220:221], v[224:225]
	v_div_fixup_f64 v[222:223], v[218:219], v[216:217], 1.0
                                        ; implicit-def: $vgpr216_vgpr217
	s_delay_alu instid0(VALU_DEP_1)
	v_mul_f64 v[212:213], v[212:213], v[222:223]
	v_xor_b32_e32 v223, 0x80000000, v223
.LBB107_131:
	s_and_not1_saveexec_b32 s3, s3
	s_cbranch_execz .LBB107_133
; %bb.132:
	v_div_scale_f64 v[212:213], null, v[216:217], v[216:217], v[218:219]
	v_div_scale_f64 v[224:225], vcc_lo, v[218:219], v[216:217], v[218:219]
	s_delay_alu instid0(VALU_DEP_2) | instskip(SKIP_2) | instid1(VALU_DEP_1)
	v_rcp_f64_e32 v[220:221], v[212:213]
	s_waitcnt_depctr 0xfff
	v_fma_f64 v[222:223], -v[212:213], v[220:221], 1.0
	v_fma_f64 v[220:221], v[220:221], v[222:223], v[220:221]
	s_delay_alu instid0(VALU_DEP_1) | instskip(NEXT) | instid1(VALU_DEP_1)
	v_fma_f64 v[222:223], -v[212:213], v[220:221], 1.0
	v_fma_f64 v[220:221], v[220:221], v[222:223], v[220:221]
	s_delay_alu instid0(VALU_DEP_1) | instskip(NEXT) | instid1(VALU_DEP_1)
	v_mul_f64 v[222:223], v[224:225], v[220:221]
	v_fma_f64 v[212:213], -v[212:213], v[222:223], v[224:225]
	s_delay_alu instid0(VALU_DEP_1) | instskip(NEXT) | instid1(VALU_DEP_1)
	v_div_fmas_f64 v[212:213], v[212:213], v[220:221], v[222:223]
	v_div_fixup_f64 v[220:221], v[212:213], v[216:217], v[218:219]
	s_delay_alu instid0(VALU_DEP_1) | instskip(NEXT) | instid1(VALU_DEP_1)
	v_fma_f64 v[212:213], v[218:219], v[220:221], v[216:217]
	v_div_scale_f64 v[216:217], null, v[212:213], v[212:213], 1.0
	s_delay_alu instid0(VALU_DEP_1) | instskip(SKIP_2) | instid1(VALU_DEP_1)
	v_rcp_f64_e32 v[218:219], v[216:217]
	s_waitcnt_depctr 0xfff
	v_fma_f64 v[222:223], -v[216:217], v[218:219], 1.0
	v_fma_f64 v[218:219], v[218:219], v[222:223], v[218:219]
	s_delay_alu instid0(VALU_DEP_1) | instskip(NEXT) | instid1(VALU_DEP_1)
	v_fma_f64 v[222:223], -v[216:217], v[218:219], 1.0
	v_fma_f64 v[218:219], v[218:219], v[222:223], v[218:219]
	v_div_scale_f64 v[222:223], vcc_lo, 1.0, v[212:213], 1.0
	s_delay_alu instid0(VALU_DEP_1) | instskip(NEXT) | instid1(VALU_DEP_1)
	v_mul_f64 v[224:225], v[222:223], v[218:219]
	v_fma_f64 v[216:217], -v[216:217], v[224:225], v[222:223]
	s_delay_alu instid0(VALU_DEP_1) | instskip(NEXT) | instid1(VALU_DEP_1)
	v_div_fmas_f64 v[216:217], v[216:217], v[218:219], v[224:225]
	v_div_fixup_f64 v[212:213], v[216:217], v[212:213], 1.0
	s_delay_alu instid0(VALU_DEP_1)
	v_mul_f64 v[222:223], v[220:221], -v[212:213]
.LBB107_133:
	s_or_b32 exec_lo, exec_lo, s3
	ds_store_2addr_b64 v204, v[212:213], v[222:223] offset1:1
.LBB107_134:
	s_or_b32 exec_lo, exec_lo, s4
	s_waitcnt lgkmcnt(0)
	s_barrier
	buffer_gl0_inv
	ds_load_2addr_b64 v[207:210], v204 offset1:1
	s_mov_b32 s3, exec_lo
	s_waitcnt lgkmcnt(0)
	scratch_store_b128 off, v[207:210], off offset:696 ; 16-byte Folded Spill
	v_cmpx_lt_u32_e32 14, v215
	s_cbranch_execz .LBB107_136
; %bb.135:
	scratch_load_b128 v[207:210], off, off offset:696 ; 16-byte Folded Reload
	ds_load_2addr_b64 v[218:221], v214 offset0:30 offset1:31
	s_waitcnt vmcnt(0)
	v_mul_f64 v[212:213], v[209:210], v[158:159]
	v_mul_f64 v[158:159], v[207:208], v[158:159]
	s_delay_alu instid0(VALU_DEP_2) | instskip(NEXT) | instid1(VALU_DEP_2)
	v_fma_f64 v[216:217], v[207:208], v[156:157], -v[212:213]
	v_fma_f64 v[158:159], v[209:210], v[156:157], v[158:159]
	s_waitcnt lgkmcnt(0)
	s_delay_alu instid0(VALU_DEP_1) | instskip(SKIP_1) | instid1(VALU_DEP_2)
	v_mul_f64 v[156:157], v[220:221], v[158:159]
	v_mul_f64 v[212:213], v[218:219], v[158:159]
	v_fma_f64 v[156:157], v[218:219], v[216:217], -v[156:157]
	s_delay_alu instid0(VALU_DEP_2)
	v_fma_f64 v[212:213], v[220:221], v[216:217], v[212:213]
	ds_load_2addr_b64 v[218:221], v214 offset0:32 offset1:33
	v_add_f64 v[152:153], v[152:153], -v[156:157]
	v_add_f64 v[154:155], v[154:155], -v[212:213]
	s_waitcnt lgkmcnt(0)
	v_mul_f64 v[156:157], v[220:221], v[158:159]
	v_mul_f64 v[212:213], v[218:219], v[158:159]
	s_delay_alu instid0(VALU_DEP_2) | instskip(NEXT) | instid1(VALU_DEP_2)
	v_fma_f64 v[156:157], v[218:219], v[216:217], -v[156:157]
	v_fma_f64 v[212:213], v[220:221], v[216:217], v[212:213]
	ds_load_2addr_b64 v[218:221], v214 offset0:34 offset1:35
	v_add_f64 v[148:149], v[148:149], -v[156:157]
	v_add_f64 v[150:151], v[150:151], -v[212:213]
	s_waitcnt lgkmcnt(0)
	v_mul_f64 v[156:157], v[220:221], v[158:159]
	v_mul_f64 v[212:213], v[218:219], v[158:159]
	s_delay_alu instid0(VALU_DEP_2) | instskip(NEXT) | instid1(VALU_DEP_2)
	v_fma_f64 v[156:157], v[218:219], v[216:217], -v[156:157]
	;; [unrolled: 9-line block ×38, first 2 shown]
	v_fma_f64 v[212:213], v[220:221], v[216:217], v[212:213]
	s_delay_alu instid0(VALU_DEP_2) | instskip(NEXT) | instid1(VALU_DEP_2)
	v_add_f64 v[0:1], v[0:1], -v[156:157]
	v_add_f64 v[2:3], v[2:3], -v[212:213]
	v_dual_mov_b32 v156, v216 :: v_dual_mov_b32 v157, v217
.LBB107_136:
	s_or_b32 exec_lo, exec_lo, s3
	s_delay_alu instid0(SALU_CYCLE_1)
	s_mov_b32 s4, exec_lo
	s_waitcnt_vscnt null, 0x0
	s_barrier
	buffer_gl0_inv
	v_cmpx_eq_u32_e32 15, v215
	s_cbranch_execz .LBB107_143
; %bb.137:
	ds_store_2addr_b64 v204, v[152:153], v[154:155] offset1:1
	ds_store_2addr_b64 v214, v[148:149], v[150:151] offset0:32 offset1:33
	ds_store_2addr_b64 v214, v[144:145], v[146:147] offset0:34 offset1:35
	;; [unrolled: 1-line block ×38, first 2 shown]
	ds_load_2addr_b64 v[216:219], v204 offset1:1
	s_waitcnt lgkmcnt(0)
	v_cmp_neq_f64_e32 vcc_lo, 0, v[216:217]
	v_cmp_neq_f64_e64 s3, 0, v[218:219]
	s_delay_alu instid0(VALU_DEP_1) | instskip(NEXT) | instid1(SALU_CYCLE_1)
	s_or_b32 s3, vcc_lo, s3
	s_and_b32 exec_lo, exec_lo, s3
	s_cbranch_execz .LBB107_143
; %bb.138:
	v_cmp_gt_f64_e32 vcc_lo, 0, v[216:217]
	v_xor_b32_e32 v208, 0x80000000, v217
	s_delay_alu instid0(VALU_DEP_1) | instskip(SKIP_3) | instid1(VALU_DEP_1)
	v_cndmask_b32_e32 v213, v217, v208, vcc_lo
	v_cndmask_b32_e32 v212, v216, v216, vcc_lo
	v_cmp_gt_f64_e32 vcc_lo, 0, v[218:219]
	v_xor_b32_e32 v208, 0x80000000, v219
	v_dual_cndmask_b32 v220, v218, v218 :: v_dual_cndmask_b32 v221, v219, v208
	s_delay_alu instid0(VALU_DEP_1) | instskip(SKIP_1) | instid1(SALU_CYCLE_1)
	v_cmp_ngt_f64_e32 vcc_lo, v[212:213], v[220:221]
                                        ; implicit-def: $vgpr212_vgpr213
	s_and_saveexec_b32 s3, vcc_lo
	s_xor_b32 s3, exec_lo, s3
                                        ; implicit-def: $vgpr220_vgpr221_vgpr222_vgpr223
	s_cbranch_execz .LBB107_140
; %bb.139:
	v_div_scale_f64 v[212:213], null, v[218:219], v[218:219], v[216:217]
	v_div_scale_f64 v[224:225], vcc_lo, v[216:217], v[218:219], v[216:217]
	s_delay_alu instid0(VALU_DEP_2) | instskip(SKIP_2) | instid1(VALU_DEP_1)
	v_rcp_f64_e32 v[220:221], v[212:213]
	s_waitcnt_depctr 0xfff
	v_fma_f64 v[222:223], -v[212:213], v[220:221], 1.0
	v_fma_f64 v[220:221], v[220:221], v[222:223], v[220:221]
	s_delay_alu instid0(VALU_DEP_1) | instskip(NEXT) | instid1(VALU_DEP_1)
	v_fma_f64 v[222:223], -v[212:213], v[220:221], 1.0
	v_fma_f64 v[220:221], v[220:221], v[222:223], v[220:221]
	s_delay_alu instid0(VALU_DEP_1) | instskip(NEXT) | instid1(VALU_DEP_1)
	v_mul_f64 v[222:223], v[224:225], v[220:221]
	v_fma_f64 v[212:213], -v[212:213], v[222:223], v[224:225]
	s_delay_alu instid0(VALU_DEP_1) | instskip(NEXT) | instid1(VALU_DEP_1)
	v_div_fmas_f64 v[212:213], v[212:213], v[220:221], v[222:223]
	v_div_fixup_f64 v[212:213], v[212:213], v[218:219], v[216:217]
	s_delay_alu instid0(VALU_DEP_1) | instskip(NEXT) | instid1(VALU_DEP_1)
	v_fma_f64 v[216:217], v[216:217], v[212:213], v[218:219]
	v_div_scale_f64 v[218:219], null, v[216:217], v[216:217], 1.0
	s_delay_alu instid0(VALU_DEP_1) | instskip(SKIP_2) | instid1(VALU_DEP_1)
	v_rcp_f64_e32 v[220:221], v[218:219]
	s_waitcnt_depctr 0xfff
	v_fma_f64 v[222:223], -v[218:219], v[220:221], 1.0
	v_fma_f64 v[220:221], v[220:221], v[222:223], v[220:221]
	s_delay_alu instid0(VALU_DEP_1) | instskip(NEXT) | instid1(VALU_DEP_1)
	v_fma_f64 v[222:223], -v[218:219], v[220:221], 1.0
	v_fma_f64 v[220:221], v[220:221], v[222:223], v[220:221]
	v_div_scale_f64 v[222:223], vcc_lo, 1.0, v[216:217], 1.0
	s_delay_alu instid0(VALU_DEP_1) | instskip(NEXT) | instid1(VALU_DEP_1)
	v_mul_f64 v[224:225], v[222:223], v[220:221]
	v_fma_f64 v[218:219], -v[218:219], v[224:225], v[222:223]
	s_delay_alu instid0(VALU_DEP_1) | instskip(NEXT) | instid1(VALU_DEP_1)
	v_div_fmas_f64 v[218:219], v[218:219], v[220:221], v[224:225]
	v_div_fixup_f64 v[222:223], v[218:219], v[216:217], 1.0
                                        ; implicit-def: $vgpr216_vgpr217
	s_delay_alu instid0(VALU_DEP_1)
	v_mul_f64 v[212:213], v[212:213], v[222:223]
	v_xor_b32_e32 v223, 0x80000000, v223
.LBB107_140:
	s_and_not1_saveexec_b32 s3, s3
	s_cbranch_execz .LBB107_142
; %bb.141:
	v_div_scale_f64 v[212:213], null, v[216:217], v[216:217], v[218:219]
	v_div_scale_f64 v[224:225], vcc_lo, v[218:219], v[216:217], v[218:219]
	s_delay_alu instid0(VALU_DEP_2) | instskip(SKIP_2) | instid1(VALU_DEP_1)
	v_rcp_f64_e32 v[220:221], v[212:213]
	s_waitcnt_depctr 0xfff
	v_fma_f64 v[222:223], -v[212:213], v[220:221], 1.0
	v_fma_f64 v[220:221], v[220:221], v[222:223], v[220:221]
	s_delay_alu instid0(VALU_DEP_1) | instskip(NEXT) | instid1(VALU_DEP_1)
	v_fma_f64 v[222:223], -v[212:213], v[220:221], 1.0
	v_fma_f64 v[220:221], v[220:221], v[222:223], v[220:221]
	s_delay_alu instid0(VALU_DEP_1) | instskip(NEXT) | instid1(VALU_DEP_1)
	v_mul_f64 v[222:223], v[224:225], v[220:221]
	v_fma_f64 v[212:213], -v[212:213], v[222:223], v[224:225]
	s_delay_alu instid0(VALU_DEP_1) | instskip(NEXT) | instid1(VALU_DEP_1)
	v_div_fmas_f64 v[212:213], v[212:213], v[220:221], v[222:223]
	v_div_fixup_f64 v[220:221], v[212:213], v[216:217], v[218:219]
	s_delay_alu instid0(VALU_DEP_1) | instskip(NEXT) | instid1(VALU_DEP_1)
	v_fma_f64 v[212:213], v[218:219], v[220:221], v[216:217]
	v_div_scale_f64 v[216:217], null, v[212:213], v[212:213], 1.0
	s_delay_alu instid0(VALU_DEP_1) | instskip(SKIP_2) | instid1(VALU_DEP_1)
	v_rcp_f64_e32 v[218:219], v[216:217]
	s_waitcnt_depctr 0xfff
	v_fma_f64 v[222:223], -v[216:217], v[218:219], 1.0
	v_fma_f64 v[218:219], v[218:219], v[222:223], v[218:219]
	s_delay_alu instid0(VALU_DEP_1) | instskip(NEXT) | instid1(VALU_DEP_1)
	v_fma_f64 v[222:223], -v[216:217], v[218:219], 1.0
	v_fma_f64 v[218:219], v[218:219], v[222:223], v[218:219]
	v_div_scale_f64 v[222:223], vcc_lo, 1.0, v[212:213], 1.0
	s_delay_alu instid0(VALU_DEP_1) | instskip(NEXT) | instid1(VALU_DEP_1)
	v_mul_f64 v[224:225], v[222:223], v[218:219]
	v_fma_f64 v[216:217], -v[216:217], v[224:225], v[222:223]
	s_delay_alu instid0(VALU_DEP_1) | instskip(NEXT) | instid1(VALU_DEP_1)
	v_div_fmas_f64 v[216:217], v[216:217], v[218:219], v[224:225]
	v_div_fixup_f64 v[212:213], v[216:217], v[212:213], 1.0
	s_delay_alu instid0(VALU_DEP_1)
	v_mul_f64 v[222:223], v[220:221], -v[212:213]
.LBB107_142:
	s_or_b32 exec_lo, exec_lo, s3
	ds_store_2addr_b64 v204, v[212:213], v[222:223] offset1:1
.LBB107_143:
	s_or_b32 exec_lo, exec_lo, s4
	s_waitcnt lgkmcnt(0)
	s_barrier
	buffer_gl0_inv
	ds_load_2addr_b64 v[207:210], v204 offset1:1
	s_mov_b32 s3, exec_lo
	s_waitcnt lgkmcnt(0)
	scratch_store_b128 off, v[207:210], off offset:712 ; 16-byte Folded Spill
	v_cmpx_lt_u32_e32 15, v215
	s_cbranch_execz .LBB107_145
; %bb.144:
	scratch_load_b128 v[207:210], off, off offset:712 ; 16-byte Folded Reload
	ds_load_2addr_b64 v[218:221], v214 offset0:32 offset1:33
	s_waitcnt vmcnt(0)
	v_mul_f64 v[212:213], v[209:210], v[154:155]
	v_mul_f64 v[154:155], v[207:208], v[154:155]
	s_delay_alu instid0(VALU_DEP_2) | instskip(NEXT) | instid1(VALU_DEP_2)
	v_fma_f64 v[216:217], v[207:208], v[152:153], -v[212:213]
	v_fma_f64 v[154:155], v[209:210], v[152:153], v[154:155]
	s_waitcnt lgkmcnt(0)
	s_delay_alu instid0(VALU_DEP_1) | instskip(SKIP_1) | instid1(VALU_DEP_2)
	v_mul_f64 v[152:153], v[220:221], v[154:155]
	v_mul_f64 v[212:213], v[218:219], v[154:155]
	v_fma_f64 v[152:153], v[218:219], v[216:217], -v[152:153]
	s_delay_alu instid0(VALU_DEP_2)
	v_fma_f64 v[212:213], v[220:221], v[216:217], v[212:213]
	ds_load_2addr_b64 v[218:221], v214 offset0:34 offset1:35
	v_add_f64 v[148:149], v[148:149], -v[152:153]
	v_add_f64 v[150:151], v[150:151], -v[212:213]
	s_waitcnt lgkmcnt(0)
	v_mul_f64 v[152:153], v[220:221], v[154:155]
	v_mul_f64 v[212:213], v[218:219], v[154:155]
	s_delay_alu instid0(VALU_DEP_2) | instskip(NEXT) | instid1(VALU_DEP_2)
	v_fma_f64 v[152:153], v[218:219], v[216:217], -v[152:153]
	v_fma_f64 v[212:213], v[220:221], v[216:217], v[212:213]
	ds_load_2addr_b64 v[218:221], v214 offset0:36 offset1:37
	v_add_f64 v[144:145], v[144:145], -v[152:153]
	v_add_f64 v[146:147], v[146:147], -v[212:213]
	s_waitcnt lgkmcnt(0)
	v_mul_f64 v[152:153], v[220:221], v[154:155]
	v_mul_f64 v[212:213], v[218:219], v[154:155]
	s_delay_alu instid0(VALU_DEP_2) | instskip(NEXT) | instid1(VALU_DEP_2)
	v_fma_f64 v[152:153], v[218:219], v[216:217], -v[152:153]
	;; [unrolled: 9-line block ×37, first 2 shown]
	v_fma_f64 v[212:213], v[220:221], v[216:217], v[212:213]
	s_delay_alu instid0(VALU_DEP_2) | instskip(NEXT) | instid1(VALU_DEP_2)
	v_add_f64 v[0:1], v[0:1], -v[152:153]
	v_add_f64 v[2:3], v[2:3], -v[212:213]
	v_dual_mov_b32 v152, v216 :: v_dual_mov_b32 v153, v217
.LBB107_145:
	s_or_b32 exec_lo, exec_lo, s3
	s_delay_alu instid0(SALU_CYCLE_1)
	s_mov_b32 s4, exec_lo
	s_waitcnt_vscnt null, 0x0
	s_barrier
	buffer_gl0_inv
	v_cmpx_eq_u32_e32 16, v215
	s_cbranch_execz .LBB107_152
; %bb.146:
	ds_store_2addr_b64 v204, v[148:149], v[150:151] offset1:1
	ds_store_2addr_b64 v214, v[144:145], v[146:147] offset0:34 offset1:35
	ds_store_2addr_b64 v214, v[140:141], v[142:143] offset0:36 offset1:37
	;; [unrolled: 1-line block ×37, first 2 shown]
	ds_load_2addr_b64 v[216:219], v204 offset1:1
	s_waitcnt lgkmcnt(0)
	v_cmp_neq_f64_e32 vcc_lo, 0, v[216:217]
	v_cmp_neq_f64_e64 s3, 0, v[218:219]
	s_delay_alu instid0(VALU_DEP_1) | instskip(NEXT) | instid1(SALU_CYCLE_1)
	s_or_b32 s3, vcc_lo, s3
	s_and_b32 exec_lo, exec_lo, s3
	s_cbranch_execz .LBB107_152
; %bb.147:
	v_cmp_gt_f64_e32 vcc_lo, 0, v[216:217]
	v_xor_b32_e32 v208, 0x80000000, v217
	s_delay_alu instid0(VALU_DEP_1) | instskip(SKIP_3) | instid1(VALU_DEP_1)
	v_cndmask_b32_e32 v213, v217, v208, vcc_lo
	v_cndmask_b32_e32 v212, v216, v216, vcc_lo
	v_cmp_gt_f64_e32 vcc_lo, 0, v[218:219]
	v_xor_b32_e32 v208, 0x80000000, v219
	v_dual_cndmask_b32 v220, v218, v218 :: v_dual_cndmask_b32 v221, v219, v208
	s_delay_alu instid0(VALU_DEP_1) | instskip(SKIP_1) | instid1(SALU_CYCLE_1)
	v_cmp_ngt_f64_e32 vcc_lo, v[212:213], v[220:221]
                                        ; implicit-def: $vgpr212_vgpr213
	s_and_saveexec_b32 s3, vcc_lo
	s_xor_b32 s3, exec_lo, s3
                                        ; implicit-def: $vgpr220_vgpr221_vgpr222_vgpr223
	s_cbranch_execz .LBB107_149
; %bb.148:
	v_div_scale_f64 v[212:213], null, v[218:219], v[218:219], v[216:217]
	v_div_scale_f64 v[224:225], vcc_lo, v[216:217], v[218:219], v[216:217]
	s_delay_alu instid0(VALU_DEP_2) | instskip(SKIP_2) | instid1(VALU_DEP_1)
	v_rcp_f64_e32 v[220:221], v[212:213]
	s_waitcnt_depctr 0xfff
	v_fma_f64 v[222:223], -v[212:213], v[220:221], 1.0
	v_fma_f64 v[220:221], v[220:221], v[222:223], v[220:221]
	s_delay_alu instid0(VALU_DEP_1) | instskip(NEXT) | instid1(VALU_DEP_1)
	v_fma_f64 v[222:223], -v[212:213], v[220:221], 1.0
	v_fma_f64 v[220:221], v[220:221], v[222:223], v[220:221]
	s_delay_alu instid0(VALU_DEP_1) | instskip(NEXT) | instid1(VALU_DEP_1)
	v_mul_f64 v[222:223], v[224:225], v[220:221]
	v_fma_f64 v[212:213], -v[212:213], v[222:223], v[224:225]
	s_delay_alu instid0(VALU_DEP_1) | instskip(NEXT) | instid1(VALU_DEP_1)
	v_div_fmas_f64 v[212:213], v[212:213], v[220:221], v[222:223]
	v_div_fixup_f64 v[212:213], v[212:213], v[218:219], v[216:217]
	s_delay_alu instid0(VALU_DEP_1) | instskip(NEXT) | instid1(VALU_DEP_1)
	v_fma_f64 v[216:217], v[216:217], v[212:213], v[218:219]
	v_div_scale_f64 v[218:219], null, v[216:217], v[216:217], 1.0
	s_delay_alu instid0(VALU_DEP_1) | instskip(SKIP_2) | instid1(VALU_DEP_1)
	v_rcp_f64_e32 v[220:221], v[218:219]
	s_waitcnt_depctr 0xfff
	v_fma_f64 v[222:223], -v[218:219], v[220:221], 1.0
	v_fma_f64 v[220:221], v[220:221], v[222:223], v[220:221]
	s_delay_alu instid0(VALU_DEP_1) | instskip(NEXT) | instid1(VALU_DEP_1)
	v_fma_f64 v[222:223], -v[218:219], v[220:221], 1.0
	v_fma_f64 v[220:221], v[220:221], v[222:223], v[220:221]
	v_div_scale_f64 v[222:223], vcc_lo, 1.0, v[216:217], 1.0
	s_delay_alu instid0(VALU_DEP_1) | instskip(NEXT) | instid1(VALU_DEP_1)
	v_mul_f64 v[224:225], v[222:223], v[220:221]
	v_fma_f64 v[218:219], -v[218:219], v[224:225], v[222:223]
	s_delay_alu instid0(VALU_DEP_1) | instskip(NEXT) | instid1(VALU_DEP_1)
	v_div_fmas_f64 v[218:219], v[218:219], v[220:221], v[224:225]
	v_div_fixup_f64 v[222:223], v[218:219], v[216:217], 1.0
                                        ; implicit-def: $vgpr216_vgpr217
	s_delay_alu instid0(VALU_DEP_1)
	v_mul_f64 v[212:213], v[212:213], v[222:223]
	v_xor_b32_e32 v223, 0x80000000, v223
.LBB107_149:
	s_and_not1_saveexec_b32 s3, s3
	s_cbranch_execz .LBB107_151
; %bb.150:
	v_div_scale_f64 v[212:213], null, v[216:217], v[216:217], v[218:219]
	v_div_scale_f64 v[224:225], vcc_lo, v[218:219], v[216:217], v[218:219]
	s_delay_alu instid0(VALU_DEP_2) | instskip(SKIP_2) | instid1(VALU_DEP_1)
	v_rcp_f64_e32 v[220:221], v[212:213]
	s_waitcnt_depctr 0xfff
	v_fma_f64 v[222:223], -v[212:213], v[220:221], 1.0
	v_fma_f64 v[220:221], v[220:221], v[222:223], v[220:221]
	s_delay_alu instid0(VALU_DEP_1) | instskip(NEXT) | instid1(VALU_DEP_1)
	v_fma_f64 v[222:223], -v[212:213], v[220:221], 1.0
	v_fma_f64 v[220:221], v[220:221], v[222:223], v[220:221]
	s_delay_alu instid0(VALU_DEP_1) | instskip(NEXT) | instid1(VALU_DEP_1)
	v_mul_f64 v[222:223], v[224:225], v[220:221]
	v_fma_f64 v[212:213], -v[212:213], v[222:223], v[224:225]
	s_delay_alu instid0(VALU_DEP_1) | instskip(NEXT) | instid1(VALU_DEP_1)
	v_div_fmas_f64 v[212:213], v[212:213], v[220:221], v[222:223]
	v_div_fixup_f64 v[220:221], v[212:213], v[216:217], v[218:219]
	s_delay_alu instid0(VALU_DEP_1) | instskip(NEXT) | instid1(VALU_DEP_1)
	v_fma_f64 v[212:213], v[218:219], v[220:221], v[216:217]
	v_div_scale_f64 v[216:217], null, v[212:213], v[212:213], 1.0
	s_delay_alu instid0(VALU_DEP_1) | instskip(SKIP_2) | instid1(VALU_DEP_1)
	v_rcp_f64_e32 v[218:219], v[216:217]
	s_waitcnt_depctr 0xfff
	v_fma_f64 v[222:223], -v[216:217], v[218:219], 1.0
	v_fma_f64 v[218:219], v[218:219], v[222:223], v[218:219]
	s_delay_alu instid0(VALU_DEP_1) | instskip(NEXT) | instid1(VALU_DEP_1)
	v_fma_f64 v[222:223], -v[216:217], v[218:219], 1.0
	v_fma_f64 v[218:219], v[218:219], v[222:223], v[218:219]
	v_div_scale_f64 v[222:223], vcc_lo, 1.0, v[212:213], 1.0
	s_delay_alu instid0(VALU_DEP_1) | instskip(NEXT) | instid1(VALU_DEP_1)
	v_mul_f64 v[224:225], v[222:223], v[218:219]
	v_fma_f64 v[216:217], -v[216:217], v[224:225], v[222:223]
	s_delay_alu instid0(VALU_DEP_1) | instskip(NEXT) | instid1(VALU_DEP_1)
	v_div_fmas_f64 v[216:217], v[216:217], v[218:219], v[224:225]
	v_div_fixup_f64 v[212:213], v[216:217], v[212:213], 1.0
	s_delay_alu instid0(VALU_DEP_1)
	v_mul_f64 v[222:223], v[220:221], -v[212:213]
.LBB107_151:
	s_or_b32 exec_lo, exec_lo, s3
	ds_store_2addr_b64 v204, v[212:213], v[222:223] offset1:1
.LBB107_152:
	s_or_b32 exec_lo, exec_lo, s4
	s_waitcnt lgkmcnt(0)
	s_barrier
	buffer_gl0_inv
	ds_load_2addr_b64 v[207:210], v204 offset1:1
	s_mov_b32 s3, exec_lo
	s_waitcnt lgkmcnt(0)
	scratch_store_b128 off, v[207:210], off offset:728 ; 16-byte Folded Spill
	v_cmpx_lt_u32_e32 16, v215
	s_cbranch_execz .LBB107_154
; %bb.153:
	scratch_load_b128 v[207:210], off, off offset:728 ; 16-byte Folded Reload
	ds_load_2addr_b64 v[218:221], v214 offset0:34 offset1:35
	s_waitcnt vmcnt(0)
	v_mul_f64 v[212:213], v[209:210], v[150:151]
	v_mul_f64 v[150:151], v[207:208], v[150:151]
	s_delay_alu instid0(VALU_DEP_2) | instskip(NEXT) | instid1(VALU_DEP_2)
	v_fma_f64 v[216:217], v[207:208], v[148:149], -v[212:213]
	v_fma_f64 v[150:151], v[209:210], v[148:149], v[150:151]
	s_waitcnt lgkmcnt(0)
	s_delay_alu instid0(VALU_DEP_1) | instskip(SKIP_1) | instid1(VALU_DEP_2)
	v_mul_f64 v[148:149], v[220:221], v[150:151]
	v_mul_f64 v[212:213], v[218:219], v[150:151]
	v_fma_f64 v[148:149], v[218:219], v[216:217], -v[148:149]
	s_delay_alu instid0(VALU_DEP_2)
	v_fma_f64 v[212:213], v[220:221], v[216:217], v[212:213]
	ds_load_2addr_b64 v[218:221], v214 offset0:36 offset1:37
	v_add_f64 v[144:145], v[144:145], -v[148:149]
	v_add_f64 v[146:147], v[146:147], -v[212:213]
	s_waitcnt lgkmcnt(0)
	v_mul_f64 v[148:149], v[220:221], v[150:151]
	v_mul_f64 v[212:213], v[218:219], v[150:151]
	s_delay_alu instid0(VALU_DEP_2) | instskip(NEXT) | instid1(VALU_DEP_2)
	v_fma_f64 v[148:149], v[218:219], v[216:217], -v[148:149]
	v_fma_f64 v[212:213], v[220:221], v[216:217], v[212:213]
	ds_load_2addr_b64 v[218:221], v214 offset0:38 offset1:39
	v_add_f64 v[140:141], v[140:141], -v[148:149]
	v_add_f64 v[142:143], v[142:143], -v[212:213]
	s_waitcnt lgkmcnt(0)
	v_mul_f64 v[148:149], v[220:221], v[150:151]
	v_mul_f64 v[212:213], v[218:219], v[150:151]
	s_delay_alu instid0(VALU_DEP_2) | instskip(NEXT) | instid1(VALU_DEP_2)
	v_fma_f64 v[148:149], v[218:219], v[216:217], -v[148:149]
	v_fma_f64 v[212:213], v[220:221], v[216:217], v[212:213]
	ds_load_2addr_b64 v[218:221], v214 offset0:40 offset1:41
	v_add_f64 v[136:137], v[136:137], -v[148:149]
	v_add_f64 v[138:139], v[138:139], -v[212:213]
	s_waitcnt lgkmcnt(0)
	v_mul_f64 v[148:149], v[220:221], v[150:151]
	v_mul_f64 v[212:213], v[218:219], v[150:151]
	s_delay_alu instid0(VALU_DEP_2) | instskip(NEXT) | instid1(VALU_DEP_2)
	v_fma_f64 v[148:149], v[218:219], v[216:217], -v[148:149]
	v_fma_f64 v[212:213], v[220:221], v[216:217], v[212:213]
	ds_load_2addr_b64 v[218:221], v214 offset0:42 offset1:43
	v_add_f64 v[132:133], v[132:133], -v[148:149]
	v_add_f64 v[134:135], v[134:135], -v[212:213]
	s_waitcnt lgkmcnt(0)
	v_mul_f64 v[148:149], v[220:221], v[150:151]
	v_mul_f64 v[212:213], v[218:219], v[150:151]
	s_delay_alu instid0(VALU_DEP_2) | instskip(NEXT) | instid1(VALU_DEP_2)
	v_fma_f64 v[148:149], v[218:219], v[216:217], -v[148:149]
	v_fma_f64 v[212:213], v[220:221], v[216:217], v[212:213]
	ds_load_2addr_b64 v[218:221], v214 offset0:44 offset1:45
	v_add_f64 v[128:129], v[128:129], -v[148:149]
	v_add_f64 v[130:131], v[130:131], -v[212:213]
	s_waitcnt lgkmcnt(0)
	v_mul_f64 v[148:149], v[220:221], v[150:151]
	v_mul_f64 v[212:213], v[218:219], v[150:151]
	s_delay_alu instid0(VALU_DEP_2) | instskip(NEXT) | instid1(VALU_DEP_2)
	v_fma_f64 v[148:149], v[218:219], v[216:217], -v[148:149]
	v_fma_f64 v[212:213], v[220:221], v[216:217], v[212:213]
	ds_load_2addr_b64 v[218:221], v214 offset0:46 offset1:47
	v_add_f64 v[124:125], v[124:125], -v[148:149]
	v_add_f64 v[126:127], v[126:127], -v[212:213]
	s_waitcnt lgkmcnt(0)
	v_mul_f64 v[148:149], v[220:221], v[150:151]
	v_mul_f64 v[212:213], v[218:219], v[150:151]
	s_delay_alu instid0(VALU_DEP_2) | instskip(NEXT) | instid1(VALU_DEP_2)
	v_fma_f64 v[148:149], v[218:219], v[216:217], -v[148:149]
	v_fma_f64 v[212:213], v[220:221], v[216:217], v[212:213]
	ds_load_2addr_b64 v[218:221], v214 offset0:48 offset1:49
	v_add_f64 v[120:121], v[120:121], -v[148:149]
	v_add_f64 v[122:123], v[122:123], -v[212:213]
	s_waitcnt lgkmcnt(0)
	v_mul_f64 v[148:149], v[220:221], v[150:151]
	v_mul_f64 v[212:213], v[218:219], v[150:151]
	s_delay_alu instid0(VALU_DEP_2) | instskip(NEXT) | instid1(VALU_DEP_2)
	v_fma_f64 v[148:149], v[218:219], v[216:217], -v[148:149]
	v_fma_f64 v[212:213], v[220:221], v[216:217], v[212:213]
	ds_load_2addr_b64 v[218:221], v214 offset0:50 offset1:51
	v_add_f64 v[116:117], v[116:117], -v[148:149]
	v_add_f64 v[118:119], v[118:119], -v[212:213]
	s_waitcnt lgkmcnt(0)
	v_mul_f64 v[148:149], v[220:221], v[150:151]
	v_mul_f64 v[212:213], v[218:219], v[150:151]
	s_delay_alu instid0(VALU_DEP_2) | instskip(NEXT) | instid1(VALU_DEP_2)
	v_fma_f64 v[148:149], v[218:219], v[216:217], -v[148:149]
	v_fma_f64 v[212:213], v[220:221], v[216:217], v[212:213]
	ds_load_2addr_b64 v[218:221], v214 offset0:52 offset1:53
	v_add_f64 v[112:113], v[112:113], -v[148:149]
	v_add_f64 v[114:115], v[114:115], -v[212:213]
	s_waitcnt lgkmcnt(0)
	v_mul_f64 v[148:149], v[220:221], v[150:151]
	v_mul_f64 v[212:213], v[218:219], v[150:151]
	s_delay_alu instid0(VALU_DEP_2) | instskip(NEXT) | instid1(VALU_DEP_2)
	v_fma_f64 v[148:149], v[218:219], v[216:217], -v[148:149]
	v_fma_f64 v[212:213], v[220:221], v[216:217], v[212:213]
	ds_load_2addr_b64 v[218:221], v214 offset0:54 offset1:55
	v_add_f64 v[108:109], v[108:109], -v[148:149]
	v_add_f64 v[110:111], v[110:111], -v[212:213]
	s_waitcnt lgkmcnt(0)
	v_mul_f64 v[148:149], v[220:221], v[150:151]
	v_mul_f64 v[212:213], v[218:219], v[150:151]
	s_delay_alu instid0(VALU_DEP_2) | instskip(NEXT) | instid1(VALU_DEP_2)
	v_fma_f64 v[148:149], v[218:219], v[216:217], -v[148:149]
	v_fma_f64 v[212:213], v[220:221], v[216:217], v[212:213]
	ds_load_2addr_b64 v[218:221], v214 offset0:56 offset1:57
	v_add_f64 v[104:105], v[104:105], -v[148:149]
	v_add_f64 v[106:107], v[106:107], -v[212:213]
	s_waitcnt lgkmcnt(0)
	v_mul_f64 v[148:149], v[220:221], v[150:151]
	v_mul_f64 v[212:213], v[218:219], v[150:151]
	s_delay_alu instid0(VALU_DEP_2) | instskip(NEXT) | instid1(VALU_DEP_2)
	v_fma_f64 v[148:149], v[218:219], v[216:217], -v[148:149]
	v_fma_f64 v[212:213], v[220:221], v[216:217], v[212:213]
	ds_load_2addr_b64 v[218:221], v214 offset0:58 offset1:59
	v_add_f64 v[100:101], v[100:101], -v[148:149]
	v_add_f64 v[102:103], v[102:103], -v[212:213]
	s_waitcnt lgkmcnt(0)
	v_mul_f64 v[148:149], v[220:221], v[150:151]
	v_mul_f64 v[212:213], v[218:219], v[150:151]
	s_delay_alu instid0(VALU_DEP_2) | instskip(NEXT) | instid1(VALU_DEP_2)
	v_fma_f64 v[148:149], v[218:219], v[216:217], -v[148:149]
	v_fma_f64 v[212:213], v[220:221], v[216:217], v[212:213]
	ds_load_2addr_b64 v[218:221], v214 offset0:60 offset1:61
	v_add_f64 v[96:97], v[96:97], -v[148:149]
	v_add_f64 v[98:99], v[98:99], -v[212:213]
	s_waitcnt lgkmcnt(0)
	v_mul_f64 v[148:149], v[220:221], v[150:151]
	v_mul_f64 v[212:213], v[218:219], v[150:151]
	s_delay_alu instid0(VALU_DEP_2) | instskip(NEXT) | instid1(VALU_DEP_2)
	v_fma_f64 v[148:149], v[218:219], v[216:217], -v[148:149]
	v_fma_f64 v[212:213], v[220:221], v[216:217], v[212:213]
	ds_load_2addr_b64 v[218:221], v214 offset0:62 offset1:63
	v_add_f64 v[92:93], v[92:93], -v[148:149]
	v_add_f64 v[94:95], v[94:95], -v[212:213]
	s_waitcnt lgkmcnt(0)
	v_mul_f64 v[148:149], v[220:221], v[150:151]
	v_mul_f64 v[212:213], v[218:219], v[150:151]
	s_delay_alu instid0(VALU_DEP_2) | instskip(NEXT) | instid1(VALU_DEP_2)
	v_fma_f64 v[148:149], v[218:219], v[216:217], -v[148:149]
	v_fma_f64 v[212:213], v[220:221], v[216:217], v[212:213]
	ds_load_2addr_b64 v[218:221], v214 offset0:64 offset1:65
	v_add_f64 v[88:89], v[88:89], -v[148:149]
	v_add_f64 v[90:91], v[90:91], -v[212:213]
	s_waitcnt lgkmcnt(0)
	v_mul_f64 v[148:149], v[220:221], v[150:151]
	v_mul_f64 v[212:213], v[218:219], v[150:151]
	s_delay_alu instid0(VALU_DEP_2) | instskip(NEXT) | instid1(VALU_DEP_2)
	v_fma_f64 v[148:149], v[218:219], v[216:217], -v[148:149]
	v_fma_f64 v[212:213], v[220:221], v[216:217], v[212:213]
	ds_load_2addr_b64 v[218:221], v214 offset0:66 offset1:67
	v_add_f64 v[84:85], v[84:85], -v[148:149]
	v_add_f64 v[86:87], v[86:87], -v[212:213]
	s_waitcnt lgkmcnt(0)
	v_mul_f64 v[148:149], v[220:221], v[150:151]
	v_mul_f64 v[212:213], v[218:219], v[150:151]
	s_delay_alu instid0(VALU_DEP_2) | instskip(NEXT) | instid1(VALU_DEP_2)
	v_fma_f64 v[148:149], v[218:219], v[216:217], -v[148:149]
	v_fma_f64 v[212:213], v[220:221], v[216:217], v[212:213]
	ds_load_2addr_b64 v[218:221], v214 offset0:68 offset1:69
	v_add_f64 v[80:81], v[80:81], -v[148:149]
	v_add_f64 v[82:83], v[82:83], -v[212:213]
	s_waitcnt lgkmcnt(0)
	v_mul_f64 v[148:149], v[220:221], v[150:151]
	v_mul_f64 v[212:213], v[218:219], v[150:151]
	s_delay_alu instid0(VALU_DEP_2) | instskip(NEXT) | instid1(VALU_DEP_2)
	v_fma_f64 v[148:149], v[218:219], v[216:217], -v[148:149]
	v_fma_f64 v[212:213], v[220:221], v[216:217], v[212:213]
	ds_load_2addr_b64 v[218:221], v214 offset0:70 offset1:71
	v_add_f64 v[76:77], v[76:77], -v[148:149]
	v_add_f64 v[78:79], v[78:79], -v[212:213]
	s_waitcnt lgkmcnt(0)
	v_mul_f64 v[148:149], v[220:221], v[150:151]
	v_mul_f64 v[212:213], v[218:219], v[150:151]
	s_delay_alu instid0(VALU_DEP_2) | instskip(NEXT) | instid1(VALU_DEP_2)
	v_fma_f64 v[148:149], v[218:219], v[216:217], -v[148:149]
	v_fma_f64 v[212:213], v[220:221], v[216:217], v[212:213]
	ds_load_2addr_b64 v[218:221], v214 offset0:72 offset1:73
	v_add_f64 v[72:73], v[72:73], -v[148:149]
	v_add_f64 v[74:75], v[74:75], -v[212:213]
	s_waitcnt lgkmcnt(0)
	v_mul_f64 v[148:149], v[220:221], v[150:151]
	v_mul_f64 v[212:213], v[218:219], v[150:151]
	s_delay_alu instid0(VALU_DEP_2) | instskip(NEXT) | instid1(VALU_DEP_2)
	v_fma_f64 v[148:149], v[218:219], v[216:217], -v[148:149]
	v_fma_f64 v[212:213], v[220:221], v[216:217], v[212:213]
	ds_load_2addr_b64 v[218:221], v214 offset0:74 offset1:75
	v_add_f64 v[68:69], v[68:69], -v[148:149]
	v_add_f64 v[70:71], v[70:71], -v[212:213]
	s_waitcnt lgkmcnt(0)
	v_mul_f64 v[148:149], v[220:221], v[150:151]
	v_mul_f64 v[212:213], v[218:219], v[150:151]
	s_delay_alu instid0(VALU_DEP_2) | instskip(NEXT) | instid1(VALU_DEP_2)
	v_fma_f64 v[148:149], v[218:219], v[216:217], -v[148:149]
	v_fma_f64 v[212:213], v[220:221], v[216:217], v[212:213]
	ds_load_2addr_b64 v[218:221], v214 offset0:76 offset1:77
	v_add_f64 v[64:65], v[64:65], -v[148:149]
	v_add_f64 v[66:67], v[66:67], -v[212:213]
	s_waitcnt lgkmcnt(0)
	v_mul_f64 v[148:149], v[220:221], v[150:151]
	v_mul_f64 v[212:213], v[218:219], v[150:151]
	s_delay_alu instid0(VALU_DEP_2) | instskip(NEXT) | instid1(VALU_DEP_2)
	v_fma_f64 v[148:149], v[218:219], v[216:217], -v[148:149]
	v_fma_f64 v[212:213], v[220:221], v[216:217], v[212:213]
	ds_load_2addr_b64 v[218:221], v214 offset0:78 offset1:79
	v_add_f64 v[60:61], v[60:61], -v[148:149]
	v_add_f64 v[62:63], v[62:63], -v[212:213]
	s_waitcnt lgkmcnt(0)
	v_mul_f64 v[148:149], v[220:221], v[150:151]
	v_mul_f64 v[212:213], v[218:219], v[150:151]
	s_delay_alu instid0(VALU_DEP_2) | instskip(NEXT) | instid1(VALU_DEP_2)
	v_fma_f64 v[148:149], v[218:219], v[216:217], -v[148:149]
	v_fma_f64 v[212:213], v[220:221], v[216:217], v[212:213]
	ds_load_2addr_b64 v[218:221], v214 offset0:80 offset1:81
	v_add_f64 v[56:57], v[56:57], -v[148:149]
	v_add_f64 v[58:59], v[58:59], -v[212:213]
	s_waitcnt lgkmcnt(0)
	v_mul_f64 v[148:149], v[220:221], v[150:151]
	v_mul_f64 v[212:213], v[218:219], v[150:151]
	s_delay_alu instid0(VALU_DEP_2) | instskip(NEXT) | instid1(VALU_DEP_2)
	v_fma_f64 v[148:149], v[218:219], v[216:217], -v[148:149]
	v_fma_f64 v[212:213], v[220:221], v[216:217], v[212:213]
	ds_load_2addr_b64 v[218:221], v214 offset0:82 offset1:83
	v_add_f64 v[52:53], v[52:53], -v[148:149]
	v_add_f64 v[54:55], v[54:55], -v[212:213]
	s_waitcnt lgkmcnt(0)
	v_mul_f64 v[148:149], v[220:221], v[150:151]
	v_mul_f64 v[212:213], v[218:219], v[150:151]
	s_delay_alu instid0(VALU_DEP_2) | instskip(NEXT) | instid1(VALU_DEP_2)
	v_fma_f64 v[148:149], v[218:219], v[216:217], -v[148:149]
	v_fma_f64 v[212:213], v[220:221], v[216:217], v[212:213]
	ds_load_2addr_b64 v[218:221], v214 offset0:84 offset1:85
	v_add_f64 v[48:49], v[48:49], -v[148:149]
	v_add_f64 v[50:51], v[50:51], -v[212:213]
	s_waitcnt lgkmcnt(0)
	v_mul_f64 v[148:149], v[220:221], v[150:151]
	v_mul_f64 v[212:213], v[218:219], v[150:151]
	s_delay_alu instid0(VALU_DEP_2) | instskip(NEXT) | instid1(VALU_DEP_2)
	v_fma_f64 v[148:149], v[218:219], v[216:217], -v[148:149]
	v_fma_f64 v[212:213], v[220:221], v[216:217], v[212:213]
	ds_load_2addr_b64 v[218:221], v214 offset0:86 offset1:87
	v_add_f64 v[44:45], v[44:45], -v[148:149]
	v_add_f64 v[46:47], v[46:47], -v[212:213]
	s_waitcnt lgkmcnt(0)
	v_mul_f64 v[148:149], v[220:221], v[150:151]
	v_mul_f64 v[212:213], v[218:219], v[150:151]
	s_delay_alu instid0(VALU_DEP_2) | instskip(NEXT) | instid1(VALU_DEP_2)
	v_fma_f64 v[148:149], v[218:219], v[216:217], -v[148:149]
	v_fma_f64 v[212:213], v[220:221], v[216:217], v[212:213]
	ds_load_2addr_b64 v[218:221], v214 offset0:88 offset1:89
	v_add_f64 v[40:41], v[40:41], -v[148:149]
	v_add_f64 v[42:43], v[42:43], -v[212:213]
	s_waitcnt lgkmcnt(0)
	v_mul_f64 v[148:149], v[220:221], v[150:151]
	v_mul_f64 v[212:213], v[218:219], v[150:151]
	s_delay_alu instid0(VALU_DEP_2) | instskip(NEXT) | instid1(VALU_DEP_2)
	v_fma_f64 v[148:149], v[218:219], v[216:217], -v[148:149]
	v_fma_f64 v[212:213], v[220:221], v[216:217], v[212:213]
	ds_load_2addr_b64 v[218:221], v214 offset0:90 offset1:91
	v_add_f64 v[36:37], v[36:37], -v[148:149]
	v_add_f64 v[38:39], v[38:39], -v[212:213]
	s_waitcnt lgkmcnt(0)
	v_mul_f64 v[148:149], v[220:221], v[150:151]
	v_mul_f64 v[212:213], v[218:219], v[150:151]
	s_delay_alu instid0(VALU_DEP_2) | instskip(NEXT) | instid1(VALU_DEP_2)
	v_fma_f64 v[148:149], v[218:219], v[216:217], -v[148:149]
	v_fma_f64 v[212:213], v[220:221], v[216:217], v[212:213]
	ds_load_2addr_b64 v[218:221], v214 offset0:92 offset1:93
	v_add_f64 v[32:33], v[32:33], -v[148:149]
	v_add_f64 v[34:35], v[34:35], -v[212:213]
	s_waitcnt lgkmcnt(0)
	v_mul_f64 v[148:149], v[220:221], v[150:151]
	v_mul_f64 v[212:213], v[218:219], v[150:151]
	s_delay_alu instid0(VALU_DEP_2) | instskip(NEXT) | instid1(VALU_DEP_2)
	v_fma_f64 v[148:149], v[218:219], v[216:217], -v[148:149]
	v_fma_f64 v[212:213], v[220:221], v[216:217], v[212:213]
	ds_load_2addr_b64 v[218:221], v214 offset0:94 offset1:95
	v_add_f64 v[28:29], v[28:29], -v[148:149]
	v_add_f64 v[30:31], v[30:31], -v[212:213]
	s_waitcnt lgkmcnt(0)
	v_mul_f64 v[148:149], v[220:221], v[150:151]
	v_mul_f64 v[212:213], v[218:219], v[150:151]
	s_delay_alu instid0(VALU_DEP_2) | instskip(NEXT) | instid1(VALU_DEP_2)
	v_fma_f64 v[148:149], v[218:219], v[216:217], -v[148:149]
	v_fma_f64 v[212:213], v[220:221], v[216:217], v[212:213]
	ds_load_2addr_b64 v[218:221], v214 offset0:96 offset1:97
	v_add_f64 v[24:25], v[24:25], -v[148:149]
	v_add_f64 v[26:27], v[26:27], -v[212:213]
	s_waitcnt lgkmcnt(0)
	v_mul_f64 v[148:149], v[220:221], v[150:151]
	v_mul_f64 v[212:213], v[218:219], v[150:151]
	s_delay_alu instid0(VALU_DEP_2) | instskip(NEXT) | instid1(VALU_DEP_2)
	v_fma_f64 v[148:149], v[218:219], v[216:217], -v[148:149]
	v_fma_f64 v[212:213], v[220:221], v[216:217], v[212:213]
	ds_load_2addr_b64 v[218:221], v214 offset0:98 offset1:99
	v_add_f64 v[20:21], v[20:21], -v[148:149]
	v_add_f64 v[22:23], v[22:23], -v[212:213]
	s_waitcnt lgkmcnt(0)
	v_mul_f64 v[148:149], v[220:221], v[150:151]
	v_mul_f64 v[212:213], v[218:219], v[150:151]
	s_delay_alu instid0(VALU_DEP_2) | instskip(NEXT) | instid1(VALU_DEP_2)
	v_fma_f64 v[148:149], v[218:219], v[216:217], -v[148:149]
	v_fma_f64 v[212:213], v[220:221], v[216:217], v[212:213]
	ds_load_2addr_b64 v[218:221], v214 offset0:100 offset1:101
	v_add_f64 v[16:17], v[16:17], -v[148:149]
	v_add_f64 v[18:19], v[18:19], -v[212:213]
	s_waitcnt lgkmcnt(0)
	v_mul_f64 v[148:149], v[220:221], v[150:151]
	v_mul_f64 v[212:213], v[218:219], v[150:151]
	s_delay_alu instid0(VALU_DEP_2) | instskip(NEXT) | instid1(VALU_DEP_2)
	v_fma_f64 v[148:149], v[218:219], v[216:217], -v[148:149]
	v_fma_f64 v[212:213], v[220:221], v[216:217], v[212:213]
	ds_load_2addr_b64 v[218:221], v214 offset0:102 offset1:103
	v_add_f64 v[12:13], v[12:13], -v[148:149]
	v_add_f64 v[14:15], v[14:15], -v[212:213]
	s_waitcnt lgkmcnt(0)
	v_mul_f64 v[148:149], v[220:221], v[150:151]
	v_mul_f64 v[212:213], v[218:219], v[150:151]
	s_delay_alu instid0(VALU_DEP_2) | instskip(NEXT) | instid1(VALU_DEP_2)
	v_fma_f64 v[148:149], v[218:219], v[216:217], -v[148:149]
	v_fma_f64 v[212:213], v[220:221], v[216:217], v[212:213]
	ds_load_2addr_b64 v[218:221], v214 offset0:104 offset1:105
	v_add_f64 v[8:9], v[8:9], -v[148:149]
	v_add_f64 v[10:11], v[10:11], -v[212:213]
	s_waitcnt lgkmcnt(0)
	v_mul_f64 v[148:149], v[220:221], v[150:151]
	v_mul_f64 v[212:213], v[218:219], v[150:151]
	s_delay_alu instid0(VALU_DEP_2) | instskip(NEXT) | instid1(VALU_DEP_2)
	v_fma_f64 v[148:149], v[218:219], v[216:217], -v[148:149]
	v_fma_f64 v[212:213], v[220:221], v[216:217], v[212:213]
	ds_load_2addr_b64 v[218:221], v214 offset0:106 offset1:107
	v_add_f64 v[4:5], v[4:5], -v[148:149]
	v_add_f64 v[6:7], v[6:7], -v[212:213]
	s_waitcnt lgkmcnt(0)
	v_mul_f64 v[148:149], v[220:221], v[150:151]
	v_mul_f64 v[212:213], v[218:219], v[150:151]
	s_delay_alu instid0(VALU_DEP_2) | instskip(NEXT) | instid1(VALU_DEP_2)
	v_fma_f64 v[148:149], v[218:219], v[216:217], -v[148:149]
	v_fma_f64 v[212:213], v[220:221], v[216:217], v[212:213]
	s_delay_alu instid0(VALU_DEP_2) | instskip(NEXT) | instid1(VALU_DEP_2)
	v_add_f64 v[0:1], v[0:1], -v[148:149]
	v_add_f64 v[2:3], v[2:3], -v[212:213]
	v_dual_mov_b32 v148, v216 :: v_dual_mov_b32 v149, v217
.LBB107_154:
	s_or_b32 exec_lo, exec_lo, s3
	s_delay_alu instid0(SALU_CYCLE_1)
	s_mov_b32 s4, exec_lo
	s_waitcnt_vscnt null, 0x0
	s_barrier
	buffer_gl0_inv
	v_cmpx_eq_u32_e32 17, v215
	s_cbranch_execz .LBB107_161
; %bb.155:
	ds_store_2addr_b64 v204, v[144:145], v[146:147] offset1:1
	ds_store_2addr_b64 v214, v[140:141], v[142:143] offset0:36 offset1:37
	ds_store_2addr_b64 v214, v[136:137], v[138:139] offset0:38 offset1:39
	;; [unrolled: 1-line block ×36, first 2 shown]
	ds_load_2addr_b64 v[216:219], v204 offset1:1
	s_waitcnt lgkmcnt(0)
	v_cmp_neq_f64_e32 vcc_lo, 0, v[216:217]
	v_cmp_neq_f64_e64 s3, 0, v[218:219]
	s_delay_alu instid0(VALU_DEP_1) | instskip(NEXT) | instid1(SALU_CYCLE_1)
	s_or_b32 s3, vcc_lo, s3
	s_and_b32 exec_lo, exec_lo, s3
	s_cbranch_execz .LBB107_161
; %bb.156:
	v_cmp_gt_f64_e32 vcc_lo, 0, v[216:217]
	v_xor_b32_e32 v208, 0x80000000, v217
	s_delay_alu instid0(VALU_DEP_1) | instskip(SKIP_3) | instid1(VALU_DEP_1)
	v_cndmask_b32_e32 v213, v217, v208, vcc_lo
	v_cndmask_b32_e32 v212, v216, v216, vcc_lo
	v_cmp_gt_f64_e32 vcc_lo, 0, v[218:219]
	v_xor_b32_e32 v208, 0x80000000, v219
	v_dual_cndmask_b32 v220, v218, v218 :: v_dual_cndmask_b32 v221, v219, v208
	s_delay_alu instid0(VALU_DEP_1) | instskip(SKIP_1) | instid1(SALU_CYCLE_1)
	v_cmp_ngt_f64_e32 vcc_lo, v[212:213], v[220:221]
                                        ; implicit-def: $vgpr212_vgpr213
	s_and_saveexec_b32 s3, vcc_lo
	s_xor_b32 s3, exec_lo, s3
                                        ; implicit-def: $vgpr220_vgpr221_vgpr222_vgpr223
	s_cbranch_execz .LBB107_158
; %bb.157:
	v_div_scale_f64 v[212:213], null, v[218:219], v[218:219], v[216:217]
	v_div_scale_f64 v[224:225], vcc_lo, v[216:217], v[218:219], v[216:217]
	s_delay_alu instid0(VALU_DEP_2) | instskip(SKIP_2) | instid1(VALU_DEP_1)
	v_rcp_f64_e32 v[220:221], v[212:213]
	s_waitcnt_depctr 0xfff
	v_fma_f64 v[222:223], -v[212:213], v[220:221], 1.0
	v_fma_f64 v[220:221], v[220:221], v[222:223], v[220:221]
	s_delay_alu instid0(VALU_DEP_1) | instskip(NEXT) | instid1(VALU_DEP_1)
	v_fma_f64 v[222:223], -v[212:213], v[220:221], 1.0
	v_fma_f64 v[220:221], v[220:221], v[222:223], v[220:221]
	s_delay_alu instid0(VALU_DEP_1) | instskip(NEXT) | instid1(VALU_DEP_1)
	v_mul_f64 v[222:223], v[224:225], v[220:221]
	v_fma_f64 v[212:213], -v[212:213], v[222:223], v[224:225]
	s_delay_alu instid0(VALU_DEP_1) | instskip(NEXT) | instid1(VALU_DEP_1)
	v_div_fmas_f64 v[212:213], v[212:213], v[220:221], v[222:223]
	v_div_fixup_f64 v[212:213], v[212:213], v[218:219], v[216:217]
	s_delay_alu instid0(VALU_DEP_1) | instskip(NEXT) | instid1(VALU_DEP_1)
	v_fma_f64 v[216:217], v[216:217], v[212:213], v[218:219]
	v_div_scale_f64 v[218:219], null, v[216:217], v[216:217], 1.0
	s_delay_alu instid0(VALU_DEP_1) | instskip(SKIP_2) | instid1(VALU_DEP_1)
	v_rcp_f64_e32 v[220:221], v[218:219]
	s_waitcnt_depctr 0xfff
	v_fma_f64 v[222:223], -v[218:219], v[220:221], 1.0
	v_fma_f64 v[220:221], v[220:221], v[222:223], v[220:221]
	s_delay_alu instid0(VALU_DEP_1) | instskip(NEXT) | instid1(VALU_DEP_1)
	v_fma_f64 v[222:223], -v[218:219], v[220:221], 1.0
	v_fma_f64 v[220:221], v[220:221], v[222:223], v[220:221]
	v_div_scale_f64 v[222:223], vcc_lo, 1.0, v[216:217], 1.0
	s_delay_alu instid0(VALU_DEP_1) | instskip(NEXT) | instid1(VALU_DEP_1)
	v_mul_f64 v[224:225], v[222:223], v[220:221]
	v_fma_f64 v[218:219], -v[218:219], v[224:225], v[222:223]
	s_delay_alu instid0(VALU_DEP_1) | instskip(NEXT) | instid1(VALU_DEP_1)
	v_div_fmas_f64 v[218:219], v[218:219], v[220:221], v[224:225]
	v_div_fixup_f64 v[222:223], v[218:219], v[216:217], 1.0
                                        ; implicit-def: $vgpr216_vgpr217
	s_delay_alu instid0(VALU_DEP_1)
	v_mul_f64 v[212:213], v[212:213], v[222:223]
	v_xor_b32_e32 v223, 0x80000000, v223
.LBB107_158:
	s_and_not1_saveexec_b32 s3, s3
	s_cbranch_execz .LBB107_160
; %bb.159:
	v_div_scale_f64 v[212:213], null, v[216:217], v[216:217], v[218:219]
	v_div_scale_f64 v[224:225], vcc_lo, v[218:219], v[216:217], v[218:219]
	s_delay_alu instid0(VALU_DEP_2) | instskip(SKIP_2) | instid1(VALU_DEP_1)
	v_rcp_f64_e32 v[220:221], v[212:213]
	s_waitcnt_depctr 0xfff
	v_fma_f64 v[222:223], -v[212:213], v[220:221], 1.0
	v_fma_f64 v[220:221], v[220:221], v[222:223], v[220:221]
	s_delay_alu instid0(VALU_DEP_1) | instskip(NEXT) | instid1(VALU_DEP_1)
	v_fma_f64 v[222:223], -v[212:213], v[220:221], 1.0
	v_fma_f64 v[220:221], v[220:221], v[222:223], v[220:221]
	s_delay_alu instid0(VALU_DEP_1) | instskip(NEXT) | instid1(VALU_DEP_1)
	v_mul_f64 v[222:223], v[224:225], v[220:221]
	v_fma_f64 v[212:213], -v[212:213], v[222:223], v[224:225]
	s_delay_alu instid0(VALU_DEP_1) | instskip(NEXT) | instid1(VALU_DEP_1)
	v_div_fmas_f64 v[212:213], v[212:213], v[220:221], v[222:223]
	v_div_fixup_f64 v[220:221], v[212:213], v[216:217], v[218:219]
	s_delay_alu instid0(VALU_DEP_1) | instskip(NEXT) | instid1(VALU_DEP_1)
	v_fma_f64 v[212:213], v[218:219], v[220:221], v[216:217]
	v_div_scale_f64 v[216:217], null, v[212:213], v[212:213], 1.0
	s_delay_alu instid0(VALU_DEP_1) | instskip(SKIP_2) | instid1(VALU_DEP_1)
	v_rcp_f64_e32 v[218:219], v[216:217]
	s_waitcnt_depctr 0xfff
	v_fma_f64 v[222:223], -v[216:217], v[218:219], 1.0
	v_fma_f64 v[218:219], v[218:219], v[222:223], v[218:219]
	s_delay_alu instid0(VALU_DEP_1) | instskip(NEXT) | instid1(VALU_DEP_1)
	v_fma_f64 v[222:223], -v[216:217], v[218:219], 1.0
	v_fma_f64 v[218:219], v[218:219], v[222:223], v[218:219]
	v_div_scale_f64 v[222:223], vcc_lo, 1.0, v[212:213], 1.0
	s_delay_alu instid0(VALU_DEP_1) | instskip(NEXT) | instid1(VALU_DEP_1)
	v_mul_f64 v[224:225], v[222:223], v[218:219]
	v_fma_f64 v[216:217], -v[216:217], v[224:225], v[222:223]
	s_delay_alu instid0(VALU_DEP_1) | instskip(NEXT) | instid1(VALU_DEP_1)
	v_div_fmas_f64 v[216:217], v[216:217], v[218:219], v[224:225]
	v_div_fixup_f64 v[212:213], v[216:217], v[212:213], 1.0
	s_delay_alu instid0(VALU_DEP_1)
	v_mul_f64 v[222:223], v[220:221], -v[212:213]
.LBB107_160:
	s_or_b32 exec_lo, exec_lo, s3
	ds_store_2addr_b64 v204, v[212:213], v[222:223] offset1:1
.LBB107_161:
	s_or_b32 exec_lo, exec_lo, s4
	s_waitcnt lgkmcnt(0)
	s_barrier
	buffer_gl0_inv
	ds_load_2addr_b64 v[207:210], v204 offset1:1
	s_mov_b32 s3, exec_lo
	s_waitcnt lgkmcnt(0)
	scratch_store_b128 off, v[207:210], off offset:744 ; 16-byte Folded Spill
	v_cmpx_lt_u32_e32 17, v215
	s_cbranch_execz .LBB107_163
; %bb.162:
	scratch_load_b128 v[207:210], off, off offset:744 ; 16-byte Folded Reload
	ds_load_2addr_b64 v[218:221], v214 offset0:36 offset1:37
	s_waitcnt vmcnt(0)
	v_mul_f64 v[212:213], v[209:210], v[146:147]
	v_mul_f64 v[146:147], v[207:208], v[146:147]
	s_delay_alu instid0(VALU_DEP_2) | instskip(NEXT) | instid1(VALU_DEP_2)
	v_fma_f64 v[216:217], v[207:208], v[144:145], -v[212:213]
	v_fma_f64 v[146:147], v[209:210], v[144:145], v[146:147]
	s_waitcnt lgkmcnt(0)
	s_delay_alu instid0(VALU_DEP_1) | instskip(SKIP_1) | instid1(VALU_DEP_2)
	v_mul_f64 v[144:145], v[220:221], v[146:147]
	v_mul_f64 v[212:213], v[218:219], v[146:147]
	v_fma_f64 v[144:145], v[218:219], v[216:217], -v[144:145]
	s_delay_alu instid0(VALU_DEP_2)
	v_fma_f64 v[212:213], v[220:221], v[216:217], v[212:213]
	ds_load_2addr_b64 v[218:221], v214 offset0:38 offset1:39
	v_add_f64 v[140:141], v[140:141], -v[144:145]
	v_add_f64 v[142:143], v[142:143], -v[212:213]
	s_waitcnt lgkmcnt(0)
	v_mul_f64 v[144:145], v[220:221], v[146:147]
	v_mul_f64 v[212:213], v[218:219], v[146:147]
	s_delay_alu instid0(VALU_DEP_2) | instskip(NEXT) | instid1(VALU_DEP_2)
	v_fma_f64 v[144:145], v[218:219], v[216:217], -v[144:145]
	v_fma_f64 v[212:213], v[220:221], v[216:217], v[212:213]
	ds_load_2addr_b64 v[218:221], v214 offset0:40 offset1:41
	v_add_f64 v[136:137], v[136:137], -v[144:145]
	v_add_f64 v[138:139], v[138:139], -v[212:213]
	s_waitcnt lgkmcnt(0)
	v_mul_f64 v[144:145], v[220:221], v[146:147]
	v_mul_f64 v[212:213], v[218:219], v[146:147]
	s_delay_alu instid0(VALU_DEP_2) | instskip(NEXT) | instid1(VALU_DEP_2)
	v_fma_f64 v[144:145], v[218:219], v[216:217], -v[144:145]
	v_fma_f64 v[212:213], v[220:221], v[216:217], v[212:213]
	ds_load_2addr_b64 v[218:221], v214 offset0:42 offset1:43
	v_add_f64 v[132:133], v[132:133], -v[144:145]
	v_add_f64 v[134:135], v[134:135], -v[212:213]
	s_waitcnt lgkmcnt(0)
	v_mul_f64 v[144:145], v[220:221], v[146:147]
	v_mul_f64 v[212:213], v[218:219], v[146:147]
	s_delay_alu instid0(VALU_DEP_2) | instskip(NEXT) | instid1(VALU_DEP_2)
	v_fma_f64 v[144:145], v[218:219], v[216:217], -v[144:145]
	v_fma_f64 v[212:213], v[220:221], v[216:217], v[212:213]
	ds_load_2addr_b64 v[218:221], v214 offset0:44 offset1:45
	v_add_f64 v[128:129], v[128:129], -v[144:145]
	v_add_f64 v[130:131], v[130:131], -v[212:213]
	s_waitcnt lgkmcnt(0)
	v_mul_f64 v[144:145], v[220:221], v[146:147]
	v_mul_f64 v[212:213], v[218:219], v[146:147]
	s_delay_alu instid0(VALU_DEP_2) | instskip(NEXT) | instid1(VALU_DEP_2)
	v_fma_f64 v[144:145], v[218:219], v[216:217], -v[144:145]
	v_fma_f64 v[212:213], v[220:221], v[216:217], v[212:213]
	ds_load_2addr_b64 v[218:221], v214 offset0:46 offset1:47
	v_add_f64 v[124:125], v[124:125], -v[144:145]
	v_add_f64 v[126:127], v[126:127], -v[212:213]
	s_waitcnt lgkmcnt(0)
	v_mul_f64 v[144:145], v[220:221], v[146:147]
	v_mul_f64 v[212:213], v[218:219], v[146:147]
	s_delay_alu instid0(VALU_DEP_2) | instskip(NEXT) | instid1(VALU_DEP_2)
	v_fma_f64 v[144:145], v[218:219], v[216:217], -v[144:145]
	v_fma_f64 v[212:213], v[220:221], v[216:217], v[212:213]
	ds_load_2addr_b64 v[218:221], v214 offset0:48 offset1:49
	v_add_f64 v[120:121], v[120:121], -v[144:145]
	v_add_f64 v[122:123], v[122:123], -v[212:213]
	s_waitcnt lgkmcnt(0)
	v_mul_f64 v[144:145], v[220:221], v[146:147]
	v_mul_f64 v[212:213], v[218:219], v[146:147]
	s_delay_alu instid0(VALU_DEP_2) | instskip(NEXT) | instid1(VALU_DEP_2)
	v_fma_f64 v[144:145], v[218:219], v[216:217], -v[144:145]
	v_fma_f64 v[212:213], v[220:221], v[216:217], v[212:213]
	ds_load_2addr_b64 v[218:221], v214 offset0:50 offset1:51
	v_add_f64 v[116:117], v[116:117], -v[144:145]
	v_add_f64 v[118:119], v[118:119], -v[212:213]
	s_waitcnt lgkmcnt(0)
	v_mul_f64 v[144:145], v[220:221], v[146:147]
	v_mul_f64 v[212:213], v[218:219], v[146:147]
	s_delay_alu instid0(VALU_DEP_2) | instskip(NEXT) | instid1(VALU_DEP_2)
	v_fma_f64 v[144:145], v[218:219], v[216:217], -v[144:145]
	v_fma_f64 v[212:213], v[220:221], v[216:217], v[212:213]
	ds_load_2addr_b64 v[218:221], v214 offset0:52 offset1:53
	v_add_f64 v[112:113], v[112:113], -v[144:145]
	v_add_f64 v[114:115], v[114:115], -v[212:213]
	s_waitcnt lgkmcnt(0)
	v_mul_f64 v[144:145], v[220:221], v[146:147]
	v_mul_f64 v[212:213], v[218:219], v[146:147]
	s_delay_alu instid0(VALU_DEP_2) | instskip(NEXT) | instid1(VALU_DEP_2)
	v_fma_f64 v[144:145], v[218:219], v[216:217], -v[144:145]
	v_fma_f64 v[212:213], v[220:221], v[216:217], v[212:213]
	ds_load_2addr_b64 v[218:221], v214 offset0:54 offset1:55
	v_add_f64 v[108:109], v[108:109], -v[144:145]
	v_add_f64 v[110:111], v[110:111], -v[212:213]
	s_waitcnt lgkmcnt(0)
	v_mul_f64 v[144:145], v[220:221], v[146:147]
	v_mul_f64 v[212:213], v[218:219], v[146:147]
	s_delay_alu instid0(VALU_DEP_2) | instskip(NEXT) | instid1(VALU_DEP_2)
	v_fma_f64 v[144:145], v[218:219], v[216:217], -v[144:145]
	v_fma_f64 v[212:213], v[220:221], v[216:217], v[212:213]
	ds_load_2addr_b64 v[218:221], v214 offset0:56 offset1:57
	v_add_f64 v[104:105], v[104:105], -v[144:145]
	v_add_f64 v[106:107], v[106:107], -v[212:213]
	s_waitcnt lgkmcnt(0)
	v_mul_f64 v[144:145], v[220:221], v[146:147]
	v_mul_f64 v[212:213], v[218:219], v[146:147]
	s_delay_alu instid0(VALU_DEP_2) | instskip(NEXT) | instid1(VALU_DEP_2)
	v_fma_f64 v[144:145], v[218:219], v[216:217], -v[144:145]
	v_fma_f64 v[212:213], v[220:221], v[216:217], v[212:213]
	ds_load_2addr_b64 v[218:221], v214 offset0:58 offset1:59
	v_add_f64 v[100:101], v[100:101], -v[144:145]
	v_add_f64 v[102:103], v[102:103], -v[212:213]
	s_waitcnt lgkmcnt(0)
	v_mul_f64 v[144:145], v[220:221], v[146:147]
	v_mul_f64 v[212:213], v[218:219], v[146:147]
	s_delay_alu instid0(VALU_DEP_2) | instskip(NEXT) | instid1(VALU_DEP_2)
	v_fma_f64 v[144:145], v[218:219], v[216:217], -v[144:145]
	v_fma_f64 v[212:213], v[220:221], v[216:217], v[212:213]
	ds_load_2addr_b64 v[218:221], v214 offset0:60 offset1:61
	v_add_f64 v[96:97], v[96:97], -v[144:145]
	v_add_f64 v[98:99], v[98:99], -v[212:213]
	s_waitcnt lgkmcnt(0)
	v_mul_f64 v[144:145], v[220:221], v[146:147]
	v_mul_f64 v[212:213], v[218:219], v[146:147]
	s_delay_alu instid0(VALU_DEP_2) | instskip(NEXT) | instid1(VALU_DEP_2)
	v_fma_f64 v[144:145], v[218:219], v[216:217], -v[144:145]
	v_fma_f64 v[212:213], v[220:221], v[216:217], v[212:213]
	ds_load_2addr_b64 v[218:221], v214 offset0:62 offset1:63
	v_add_f64 v[92:93], v[92:93], -v[144:145]
	v_add_f64 v[94:95], v[94:95], -v[212:213]
	s_waitcnt lgkmcnt(0)
	v_mul_f64 v[144:145], v[220:221], v[146:147]
	v_mul_f64 v[212:213], v[218:219], v[146:147]
	s_delay_alu instid0(VALU_DEP_2) | instskip(NEXT) | instid1(VALU_DEP_2)
	v_fma_f64 v[144:145], v[218:219], v[216:217], -v[144:145]
	v_fma_f64 v[212:213], v[220:221], v[216:217], v[212:213]
	ds_load_2addr_b64 v[218:221], v214 offset0:64 offset1:65
	v_add_f64 v[88:89], v[88:89], -v[144:145]
	v_add_f64 v[90:91], v[90:91], -v[212:213]
	s_waitcnt lgkmcnt(0)
	v_mul_f64 v[144:145], v[220:221], v[146:147]
	v_mul_f64 v[212:213], v[218:219], v[146:147]
	s_delay_alu instid0(VALU_DEP_2) | instskip(NEXT) | instid1(VALU_DEP_2)
	v_fma_f64 v[144:145], v[218:219], v[216:217], -v[144:145]
	v_fma_f64 v[212:213], v[220:221], v[216:217], v[212:213]
	ds_load_2addr_b64 v[218:221], v214 offset0:66 offset1:67
	v_add_f64 v[84:85], v[84:85], -v[144:145]
	v_add_f64 v[86:87], v[86:87], -v[212:213]
	s_waitcnt lgkmcnt(0)
	v_mul_f64 v[144:145], v[220:221], v[146:147]
	v_mul_f64 v[212:213], v[218:219], v[146:147]
	s_delay_alu instid0(VALU_DEP_2) | instskip(NEXT) | instid1(VALU_DEP_2)
	v_fma_f64 v[144:145], v[218:219], v[216:217], -v[144:145]
	v_fma_f64 v[212:213], v[220:221], v[216:217], v[212:213]
	ds_load_2addr_b64 v[218:221], v214 offset0:68 offset1:69
	v_add_f64 v[80:81], v[80:81], -v[144:145]
	v_add_f64 v[82:83], v[82:83], -v[212:213]
	s_waitcnt lgkmcnt(0)
	v_mul_f64 v[144:145], v[220:221], v[146:147]
	v_mul_f64 v[212:213], v[218:219], v[146:147]
	s_delay_alu instid0(VALU_DEP_2) | instskip(NEXT) | instid1(VALU_DEP_2)
	v_fma_f64 v[144:145], v[218:219], v[216:217], -v[144:145]
	v_fma_f64 v[212:213], v[220:221], v[216:217], v[212:213]
	ds_load_2addr_b64 v[218:221], v214 offset0:70 offset1:71
	v_add_f64 v[76:77], v[76:77], -v[144:145]
	v_add_f64 v[78:79], v[78:79], -v[212:213]
	s_waitcnt lgkmcnt(0)
	v_mul_f64 v[144:145], v[220:221], v[146:147]
	v_mul_f64 v[212:213], v[218:219], v[146:147]
	s_delay_alu instid0(VALU_DEP_2) | instskip(NEXT) | instid1(VALU_DEP_2)
	v_fma_f64 v[144:145], v[218:219], v[216:217], -v[144:145]
	v_fma_f64 v[212:213], v[220:221], v[216:217], v[212:213]
	ds_load_2addr_b64 v[218:221], v214 offset0:72 offset1:73
	v_add_f64 v[72:73], v[72:73], -v[144:145]
	v_add_f64 v[74:75], v[74:75], -v[212:213]
	s_waitcnt lgkmcnt(0)
	v_mul_f64 v[144:145], v[220:221], v[146:147]
	v_mul_f64 v[212:213], v[218:219], v[146:147]
	s_delay_alu instid0(VALU_DEP_2) | instskip(NEXT) | instid1(VALU_DEP_2)
	v_fma_f64 v[144:145], v[218:219], v[216:217], -v[144:145]
	v_fma_f64 v[212:213], v[220:221], v[216:217], v[212:213]
	ds_load_2addr_b64 v[218:221], v214 offset0:74 offset1:75
	v_add_f64 v[68:69], v[68:69], -v[144:145]
	v_add_f64 v[70:71], v[70:71], -v[212:213]
	s_waitcnt lgkmcnt(0)
	v_mul_f64 v[144:145], v[220:221], v[146:147]
	v_mul_f64 v[212:213], v[218:219], v[146:147]
	s_delay_alu instid0(VALU_DEP_2) | instskip(NEXT) | instid1(VALU_DEP_2)
	v_fma_f64 v[144:145], v[218:219], v[216:217], -v[144:145]
	v_fma_f64 v[212:213], v[220:221], v[216:217], v[212:213]
	ds_load_2addr_b64 v[218:221], v214 offset0:76 offset1:77
	v_add_f64 v[64:65], v[64:65], -v[144:145]
	v_add_f64 v[66:67], v[66:67], -v[212:213]
	s_waitcnt lgkmcnt(0)
	v_mul_f64 v[144:145], v[220:221], v[146:147]
	v_mul_f64 v[212:213], v[218:219], v[146:147]
	s_delay_alu instid0(VALU_DEP_2) | instskip(NEXT) | instid1(VALU_DEP_2)
	v_fma_f64 v[144:145], v[218:219], v[216:217], -v[144:145]
	v_fma_f64 v[212:213], v[220:221], v[216:217], v[212:213]
	ds_load_2addr_b64 v[218:221], v214 offset0:78 offset1:79
	v_add_f64 v[60:61], v[60:61], -v[144:145]
	v_add_f64 v[62:63], v[62:63], -v[212:213]
	s_waitcnt lgkmcnt(0)
	v_mul_f64 v[144:145], v[220:221], v[146:147]
	v_mul_f64 v[212:213], v[218:219], v[146:147]
	s_delay_alu instid0(VALU_DEP_2) | instskip(NEXT) | instid1(VALU_DEP_2)
	v_fma_f64 v[144:145], v[218:219], v[216:217], -v[144:145]
	v_fma_f64 v[212:213], v[220:221], v[216:217], v[212:213]
	ds_load_2addr_b64 v[218:221], v214 offset0:80 offset1:81
	v_add_f64 v[56:57], v[56:57], -v[144:145]
	v_add_f64 v[58:59], v[58:59], -v[212:213]
	s_waitcnt lgkmcnt(0)
	v_mul_f64 v[144:145], v[220:221], v[146:147]
	v_mul_f64 v[212:213], v[218:219], v[146:147]
	s_delay_alu instid0(VALU_DEP_2) | instskip(NEXT) | instid1(VALU_DEP_2)
	v_fma_f64 v[144:145], v[218:219], v[216:217], -v[144:145]
	v_fma_f64 v[212:213], v[220:221], v[216:217], v[212:213]
	ds_load_2addr_b64 v[218:221], v214 offset0:82 offset1:83
	v_add_f64 v[52:53], v[52:53], -v[144:145]
	v_add_f64 v[54:55], v[54:55], -v[212:213]
	s_waitcnt lgkmcnt(0)
	v_mul_f64 v[144:145], v[220:221], v[146:147]
	v_mul_f64 v[212:213], v[218:219], v[146:147]
	s_delay_alu instid0(VALU_DEP_2) | instskip(NEXT) | instid1(VALU_DEP_2)
	v_fma_f64 v[144:145], v[218:219], v[216:217], -v[144:145]
	v_fma_f64 v[212:213], v[220:221], v[216:217], v[212:213]
	ds_load_2addr_b64 v[218:221], v214 offset0:84 offset1:85
	v_add_f64 v[48:49], v[48:49], -v[144:145]
	v_add_f64 v[50:51], v[50:51], -v[212:213]
	s_waitcnt lgkmcnt(0)
	v_mul_f64 v[144:145], v[220:221], v[146:147]
	v_mul_f64 v[212:213], v[218:219], v[146:147]
	s_delay_alu instid0(VALU_DEP_2) | instskip(NEXT) | instid1(VALU_DEP_2)
	v_fma_f64 v[144:145], v[218:219], v[216:217], -v[144:145]
	v_fma_f64 v[212:213], v[220:221], v[216:217], v[212:213]
	ds_load_2addr_b64 v[218:221], v214 offset0:86 offset1:87
	v_add_f64 v[44:45], v[44:45], -v[144:145]
	v_add_f64 v[46:47], v[46:47], -v[212:213]
	s_waitcnt lgkmcnt(0)
	v_mul_f64 v[144:145], v[220:221], v[146:147]
	v_mul_f64 v[212:213], v[218:219], v[146:147]
	s_delay_alu instid0(VALU_DEP_2) | instskip(NEXT) | instid1(VALU_DEP_2)
	v_fma_f64 v[144:145], v[218:219], v[216:217], -v[144:145]
	v_fma_f64 v[212:213], v[220:221], v[216:217], v[212:213]
	ds_load_2addr_b64 v[218:221], v214 offset0:88 offset1:89
	v_add_f64 v[40:41], v[40:41], -v[144:145]
	v_add_f64 v[42:43], v[42:43], -v[212:213]
	s_waitcnt lgkmcnt(0)
	v_mul_f64 v[144:145], v[220:221], v[146:147]
	v_mul_f64 v[212:213], v[218:219], v[146:147]
	s_delay_alu instid0(VALU_DEP_2) | instskip(NEXT) | instid1(VALU_DEP_2)
	v_fma_f64 v[144:145], v[218:219], v[216:217], -v[144:145]
	v_fma_f64 v[212:213], v[220:221], v[216:217], v[212:213]
	ds_load_2addr_b64 v[218:221], v214 offset0:90 offset1:91
	v_add_f64 v[36:37], v[36:37], -v[144:145]
	v_add_f64 v[38:39], v[38:39], -v[212:213]
	s_waitcnt lgkmcnt(0)
	v_mul_f64 v[144:145], v[220:221], v[146:147]
	v_mul_f64 v[212:213], v[218:219], v[146:147]
	s_delay_alu instid0(VALU_DEP_2) | instskip(NEXT) | instid1(VALU_DEP_2)
	v_fma_f64 v[144:145], v[218:219], v[216:217], -v[144:145]
	v_fma_f64 v[212:213], v[220:221], v[216:217], v[212:213]
	ds_load_2addr_b64 v[218:221], v214 offset0:92 offset1:93
	v_add_f64 v[32:33], v[32:33], -v[144:145]
	v_add_f64 v[34:35], v[34:35], -v[212:213]
	s_waitcnt lgkmcnt(0)
	v_mul_f64 v[144:145], v[220:221], v[146:147]
	v_mul_f64 v[212:213], v[218:219], v[146:147]
	s_delay_alu instid0(VALU_DEP_2) | instskip(NEXT) | instid1(VALU_DEP_2)
	v_fma_f64 v[144:145], v[218:219], v[216:217], -v[144:145]
	v_fma_f64 v[212:213], v[220:221], v[216:217], v[212:213]
	ds_load_2addr_b64 v[218:221], v214 offset0:94 offset1:95
	v_add_f64 v[28:29], v[28:29], -v[144:145]
	v_add_f64 v[30:31], v[30:31], -v[212:213]
	s_waitcnt lgkmcnt(0)
	v_mul_f64 v[144:145], v[220:221], v[146:147]
	v_mul_f64 v[212:213], v[218:219], v[146:147]
	s_delay_alu instid0(VALU_DEP_2) | instskip(NEXT) | instid1(VALU_DEP_2)
	v_fma_f64 v[144:145], v[218:219], v[216:217], -v[144:145]
	v_fma_f64 v[212:213], v[220:221], v[216:217], v[212:213]
	ds_load_2addr_b64 v[218:221], v214 offset0:96 offset1:97
	v_add_f64 v[24:25], v[24:25], -v[144:145]
	v_add_f64 v[26:27], v[26:27], -v[212:213]
	s_waitcnt lgkmcnt(0)
	v_mul_f64 v[144:145], v[220:221], v[146:147]
	v_mul_f64 v[212:213], v[218:219], v[146:147]
	s_delay_alu instid0(VALU_DEP_2) | instskip(NEXT) | instid1(VALU_DEP_2)
	v_fma_f64 v[144:145], v[218:219], v[216:217], -v[144:145]
	v_fma_f64 v[212:213], v[220:221], v[216:217], v[212:213]
	ds_load_2addr_b64 v[218:221], v214 offset0:98 offset1:99
	v_add_f64 v[20:21], v[20:21], -v[144:145]
	v_add_f64 v[22:23], v[22:23], -v[212:213]
	s_waitcnt lgkmcnt(0)
	v_mul_f64 v[144:145], v[220:221], v[146:147]
	v_mul_f64 v[212:213], v[218:219], v[146:147]
	s_delay_alu instid0(VALU_DEP_2) | instskip(NEXT) | instid1(VALU_DEP_2)
	v_fma_f64 v[144:145], v[218:219], v[216:217], -v[144:145]
	v_fma_f64 v[212:213], v[220:221], v[216:217], v[212:213]
	ds_load_2addr_b64 v[218:221], v214 offset0:100 offset1:101
	v_add_f64 v[16:17], v[16:17], -v[144:145]
	v_add_f64 v[18:19], v[18:19], -v[212:213]
	s_waitcnt lgkmcnt(0)
	v_mul_f64 v[144:145], v[220:221], v[146:147]
	v_mul_f64 v[212:213], v[218:219], v[146:147]
	s_delay_alu instid0(VALU_DEP_2) | instskip(NEXT) | instid1(VALU_DEP_2)
	v_fma_f64 v[144:145], v[218:219], v[216:217], -v[144:145]
	v_fma_f64 v[212:213], v[220:221], v[216:217], v[212:213]
	ds_load_2addr_b64 v[218:221], v214 offset0:102 offset1:103
	v_add_f64 v[12:13], v[12:13], -v[144:145]
	v_add_f64 v[14:15], v[14:15], -v[212:213]
	s_waitcnt lgkmcnt(0)
	v_mul_f64 v[144:145], v[220:221], v[146:147]
	v_mul_f64 v[212:213], v[218:219], v[146:147]
	s_delay_alu instid0(VALU_DEP_2) | instskip(NEXT) | instid1(VALU_DEP_2)
	v_fma_f64 v[144:145], v[218:219], v[216:217], -v[144:145]
	v_fma_f64 v[212:213], v[220:221], v[216:217], v[212:213]
	ds_load_2addr_b64 v[218:221], v214 offset0:104 offset1:105
	v_add_f64 v[8:9], v[8:9], -v[144:145]
	v_add_f64 v[10:11], v[10:11], -v[212:213]
	s_waitcnt lgkmcnt(0)
	v_mul_f64 v[144:145], v[220:221], v[146:147]
	v_mul_f64 v[212:213], v[218:219], v[146:147]
	s_delay_alu instid0(VALU_DEP_2) | instskip(NEXT) | instid1(VALU_DEP_2)
	v_fma_f64 v[144:145], v[218:219], v[216:217], -v[144:145]
	v_fma_f64 v[212:213], v[220:221], v[216:217], v[212:213]
	ds_load_2addr_b64 v[218:221], v214 offset0:106 offset1:107
	v_add_f64 v[4:5], v[4:5], -v[144:145]
	v_add_f64 v[6:7], v[6:7], -v[212:213]
	s_waitcnt lgkmcnt(0)
	v_mul_f64 v[144:145], v[220:221], v[146:147]
	v_mul_f64 v[212:213], v[218:219], v[146:147]
	s_delay_alu instid0(VALU_DEP_2) | instskip(NEXT) | instid1(VALU_DEP_2)
	v_fma_f64 v[144:145], v[218:219], v[216:217], -v[144:145]
	v_fma_f64 v[212:213], v[220:221], v[216:217], v[212:213]
	s_delay_alu instid0(VALU_DEP_2) | instskip(NEXT) | instid1(VALU_DEP_2)
	v_add_f64 v[0:1], v[0:1], -v[144:145]
	v_add_f64 v[2:3], v[2:3], -v[212:213]
	v_dual_mov_b32 v144, v216 :: v_dual_mov_b32 v145, v217
.LBB107_163:
	s_or_b32 exec_lo, exec_lo, s3
	s_delay_alu instid0(SALU_CYCLE_1)
	s_mov_b32 s4, exec_lo
	s_waitcnt_vscnt null, 0x0
	s_barrier
	buffer_gl0_inv
	v_cmpx_eq_u32_e32 18, v215
	s_cbranch_execz .LBB107_170
; %bb.164:
	ds_store_2addr_b64 v204, v[140:141], v[142:143] offset1:1
	ds_store_2addr_b64 v214, v[136:137], v[138:139] offset0:38 offset1:39
	ds_store_2addr_b64 v214, v[132:133], v[134:135] offset0:40 offset1:41
	;; [unrolled: 1-line block ×35, first 2 shown]
	ds_load_2addr_b64 v[216:219], v204 offset1:1
	s_waitcnt lgkmcnt(0)
	v_cmp_neq_f64_e32 vcc_lo, 0, v[216:217]
	v_cmp_neq_f64_e64 s3, 0, v[218:219]
	s_delay_alu instid0(VALU_DEP_1) | instskip(NEXT) | instid1(SALU_CYCLE_1)
	s_or_b32 s3, vcc_lo, s3
	s_and_b32 exec_lo, exec_lo, s3
	s_cbranch_execz .LBB107_170
; %bb.165:
	v_cmp_gt_f64_e32 vcc_lo, 0, v[216:217]
	v_xor_b32_e32 v208, 0x80000000, v217
	s_delay_alu instid0(VALU_DEP_1) | instskip(SKIP_3) | instid1(VALU_DEP_1)
	v_cndmask_b32_e32 v213, v217, v208, vcc_lo
	v_cndmask_b32_e32 v212, v216, v216, vcc_lo
	v_cmp_gt_f64_e32 vcc_lo, 0, v[218:219]
	v_xor_b32_e32 v208, 0x80000000, v219
	v_dual_cndmask_b32 v220, v218, v218 :: v_dual_cndmask_b32 v221, v219, v208
	s_delay_alu instid0(VALU_DEP_1) | instskip(SKIP_1) | instid1(SALU_CYCLE_1)
	v_cmp_ngt_f64_e32 vcc_lo, v[212:213], v[220:221]
                                        ; implicit-def: $vgpr212_vgpr213
	s_and_saveexec_b32 s3, vcc_lo
	s_xor_b32 s3, exec_lo, s3
                                        ; implicit-def: $vgpr220_vgpr221_vgpr222_vgpr223
	s_cbranch_execz .LBB107_167
; %bb.166:
	v_div_scale_f64 v[212:213], null, v[218:219], v[218:219], v[216:217]
	v_div_scale_f64 v[224:225], vcc_lo, v[216:217], v[218:219], v[216:217]
	s_delay_alu instid0(VALU_DEP_2) | instskip(SKIP_2) | instid1(VALU_DEP_1)
	v_rcp_f64_e32 v[220:221], v[212:213]
	s_waitcnt_depctr 0xfff
	v_fma_f64 v[222:223], -v[212:213], v[220:221], 1.0
	v_fma_f64 v[220:221], v[220:221], v[222:223], v[220:221]
	s_delay_alu instid0(VALU_DEP_1) | instskip(NEXT) | instid1(VALU_DEP_1)
	v_fma_f64 v[222:223], -v[212:213], v[220:221], 1.0
	v_fma_f64 v[220:221], v[220:221], v[222:223], v[220:221]
	s_delay_alu instid0(VALU_DEP_1) | instskip(NEXT) | instid1(VALU_DEP_1)
	v_mul_f64 v[222:223], v[224:225], v[220:221]
	v_fma_f64 v[212:213], -v[212:213], v[222:223], v[224:225]
	s_delay_alu instid0(VALU_DEP_1) | instskip(NEXT) | instid1(VALU_DEP_1)
	v_div_fmas_f64 v[212:213], v[212:213], v[220:221], v[222:223]
	v_div_fixup_f64 v[212:213], v[212:213], v[218:219], v[216:217]
	s_delay_alu instid0(VALU_DEP_1) | instskip(NEXT) | instid1(VALU_DEP_1)
	v_fma_f64 v[216:217], v[216:217], v[212:213], v[218:219]
	v_div_scale_f64 v[218:219], null, v[216:217], v[216:217], 1.0
	s_delay_alu instid0(VALU_DEP_1) | instskip(SKIP_2) | instid1(VALU_DEP_1)
	v_rcp_f64_e32 v[220:221], v[218:219]
	s_waitcnt_depctr 0xfff
	v_fma_f64 v[222:223], -v[218:219], v[220:221], 1.0
	v_fma_f64 v[220:221], v[220:221], v[222:223], v[220:221]
	s_delay_alu instid0(VALU_DEP_1) | instskip(NEXT) | instid1(VALU_DEP_1)
	v_fma_f64 v[222:223], -v[218:219], v[220:221], 1.0
	v_fma_f64 v[220:221], v[220:221], v[222:223], v[220:221]
	v_div_scale_f64 v[222:223], vcc_lo, 1.0, v[216:217], 1.0
	s_delay_alu instid0(VALU_DEP_1) | instskip(NEXT) | instid1(VALU_DEP_1)
	v_mul_f64 v[224:225], v[222:223], v[220:221]
	v_fma_f64 v[218:219], -v[218:219], v[224:225], v[222:223]
	s_delay_alu instid0(VALU_DEP_1) | instskip(NEXT) | instid1(VALU_DEP_1)
	v_div_fmas_f64 v[218:219], v[218:219], v[220:221], v[224:225]
	v_div_fixup_f64 v[222:223], v[218:219], v[216:217], 1.0
                                        ; implicit-def: $vgpr216_vgpr217
	s_delay_alu instid0(VALU_DEP_1)
	v_mul_f64 v[212:213], v[212:213], v[222:223]
	v_xor_b32_e32 v223, 0x80000000, v223
.LBB107_167:
	s_and_not1_saveexec_b32 s3, s3
	s_cbranch_execz .LBB107_169
; %bb.168:
	v_div_scale_f64 v[212:213], null, v[216:217], v[216:217], v[218:219]
	v_div_scale_f64 v[224:225], vcc_lo, v[218:219], v[216:217], v[218:219]
	s_delay_alu instid0(VALU_DEP_2) | instskip(SKIP_2) | instid1(VALU_DEP_1)
	v_rcp_f64_e32 v[220:221], v[212:213]
	s_waitcnt_depctr 0xfff
	v_fma_f64 v[222:223], -v[212:213], v[220:221], 1.0
	v_fma_f64 v[220:221], v[220:221], v[222:223], v[220:221]
	s_delay_alu instid0(VALU_DEP_1) | instskip(NEXT) | instid1(VALU_DEP_1)
	v_fma_f64 v[222:223], -v[212:213], v[220:221], 1.0
	v_fma_f64 v[220:221], v[220:221], v[222:223], v[220:221]
	s_delay_alu instid0(VALU_DEP_1) | instskip(NEXT) | instid1(VALU_DEP_1)
	v_mul_f64 v[222:223], v[224:225], v[220:221]
	v_fma_f64 v[212:213], -v[212:213], v[222:223], v[224:225]
	s_delay_alu instid0(VALU_DEP_1) | instskip(NEXT) | instid1(VALU_DEP_1)
	v_div_fmas_f64 v[212:213], v[212:213], v[220:221], v[222:223]
	v_div_fixup_f64 v[220:221], v[212:213], v[216:217], v[218:219]
	s_delay_alu instid0(VALU_DEP_1) | instskip(NEXT) | instid1(VALU_DEP_1)
	v_fma_f64 v[212:213], v[218:219], v[220:221], v[216:217]
	v_div_scale_f64 v[216:217], null, v[212:213], v[212:213], 1.0
	s_delay_alu instid0(VALU_DEP_1) | instskip(SKIP_2) | instid1(VALU_DEP_1)
	v_rcp_f64_e32 v[218:219], v[216:217]
	s_waitcnt_depctr 0xfff
	v_fma_f64 v[222:223], -v[216:217], v[218:219], 1.0
	v_fma_f64 v[218:219], v[218:219], v[222:223], v[218:219]
	s_delay_alu instid0(VALU_DEP_1) | instskip(NEXT) | instid1(VALU_DEP_1)
	v_fma_f64 v[222:223], -v[216:217], v[218:219], 1.0
	v_fma_f64 v[218:219], v[218:219], v[222:223], v[218:219]
	v_div_scale_f64 v[222:223], vcc_lo, 1.0, v[212:213], 1.0
	s_delay_alu instid0(VALU_DEP_1) | instskip(NEXT) | instid1(VALU_DEP_1)
	v_mul_f64 v[224:225], v[222:223], v[218:219]
	v_fma_f64 v[216:217], -v[216:217], v[224:225], v[222:223]
	s_delay_alu instid0(VALU_DEP_1) | instskip(NEXT) | instid1(VALU_DEP_1)
	v_div_fmas_f64 v[216:217], v[216:217], v[218:219], v[224:225]
	v_div_fixup_f64 v[212:213], v[216:217], v[212:213], 1.0
	s_delay_alu instid0(VALU_DEP_1)
	v_mul_f64 v[222:223], v[220:221], -v[212:213]
.LBB107_169:
	s_or_b32 exec_lo, exec_lo, s3
	ds_store_2addr_b64 v204, v[212:213], v[222:223] offset1:1
.LBB107_170:
	s_or_b32 exec_lo, exec_lo, s4
	s_waitcnt lgkmcnt(0)
	s_barrier
	buffer_gl0_inv
	ds_load_2addr_b64 v[207:210], v204 offset1:1
	s_mov_b32 s3, exec_lo
	s_waitcnt lgkmcnt(0)
	scratch_store_b128 off, v[207:210], off offset:760 ; 16-byte Folded Spill
	v_cmpx_lt_u32_e32 18, v215
	s_cbranch_execz .LBB107_172
; %bb.171:
	scratch_load_b128 v[207:210], off, off offset:760 ; 16-byte Folded Reload
	ds_load_2addr_b64 v[218:221], v214 offset0:38 offset1:39
	s_waitcnt vmcnt(0)
	v_mul_f64 v[212:213], v[209:210], v[142:143]
	v_mul_f64 v[142:143], v[207:208], v[142:143]
	s_delay_alu instid0(VALU_DEP_2) | instskip(NEXT) | instid1(VALU_DEP_2)
	v_fma_f64 v[216:217], v[207:208], v[140:141], -v[212:213]
	v_fma_f64 v[142:143], v[209:210], v[140:141], v[142:143]
	s_waitcnt lgkmcnt(0)
	s_delay_alu instid0(VALU_DEP_1) | instskip(SKIP_1) | instid1(VALU_DEP_2)
	v_mul_f64 v[140:141], v[220:221], v[142:143]
	v_mul_f64 v[212:213], v[218:219], v[142:143]
	v_fma_f64 v[140:141], v[218:219], v[216:217], -v[140:141]
	s_delay_alu instid0(VALU_DEP_2)
	v_fma_f64 v[212:213], v[220:221], v[216:217], v[212:213]
	ds_load_2addr_b64 v[218:221], v214 offset0:40 offset1:41
	v_add_f64 v[136:137], v[136:137], -v[140:141]
	v_add_f64 v[138:139], v[138:139], -v[212:213]
	s_waitcnt lgkmcnt(0)
	v_mul_f64 v[140:141], v[220:221], v[142:143]
	v_mul_f64 v[212:213], v[218:219], v[142:143]
	s_delay_alu instid0(VALU_DEP_2) | instskip(NEXT) | instid1(VALU_DEP_2)
	v_fma_f64 v[140:141], v[218:219], v[216:217], -v[140:141]
	v_fma_f64 v[212:213], v[220:221], v[216:217], v[212:213]
	ds_load_2addr_b64 v[218:221], v214 offset0:42 offset1:43
	v_add_f64 v[132:133], v[132:133], -v[140:141]
	v_add_f64 v[134:135], v[134:135], -v[212:213]
	s_waitcnt lgkmcnt(0)
	v_mul_f64 v[140:141], v[220:221], v[142:143]
	v_mul_f64 v[212:213], v[218:219], v[142:143]
	s_delay_alu instid0(VALU_DEP_2) | instskip(NEXT) | instid1(VALU_DEP_2)
	v_fma_f64 v[140:141], v[218:219], v[216:217], -v[140:141]
	;; [unrolled: 9-line block ×34, first 2 shown]
	v_fma_f64 v[212:213], v[220:221], v[216:217], v[212:213]
	s_delay_alu instid0(VALU_DEP_2) | instskip(NEXT) | instid1(VALU_DEP_2)
	v_add_f64 v[0:1], v[0:1], -v[140:141]
	v_add_f64 v[2:3], v[2:3], -v[212:213]
	v_dual_mov_b32 v140, v216 :: v_dual_mov_b32 v141, v217
.LBB107_172:
	s_or_b32 exec_lo, exec_lo, s3
	s_delay_alu instid0(SALU_CYCLE_1)
	s_mov_b32 s4, exec_lo
	s_waitcnt_vscnt null, 0x0
	s_barrier
	buffer_gl0_inv
	v_cmpx_eq_u32_e32 19, v215
	s_cbranch_execz .LBB107_179
; %bb.173:
	ds_store_2addr_b64 v204, v[136:137], v[138:139] offset1:1
	ds_store_2addr_b64 v214, v[132:133], v[134:135] offset0:40 offset1:41
	ds_store_2addr_b64 v214, v[128:129], v[130:131] offset0:42 offset1:43
	;; [unrolled: 1-line block ×34, first 2 shown]
	ds_load_2addr_b64 v[216:219], v204 offset1:1
	s_waitcnt lgkmcnt(0)
	v_cmp_neq_f64_e32 vcc_lo, 0, v[216:217]
	v_cmp_neq_f64_e64 s3, 0, v[218:219]
	s_delay_alu instid0(VALU_DEP_1) | instskip(NEXT) | instid1(SALU_CYCLE_1)
	s_or_b32 s3, vcc_lo, s3
	s_and_b32 exec_lo, exec_lo, s3
	s_cbranch_execz .LBB107_179
; %bb.174:
	v_cmp_gt_f64_e32 vcc_lo, 0, v[216:217]
	v_xor_b32_e32 v208, 0x80000000, v217
	s_delay_alu instid0(VALU_DEP_1) | instskip(SKIP_3) | instid1(VALU_DEP_1)
	v_cndmask_b32_e32 v213, v217, v208, vcc_lo
	v_cndmask_b32_e32 v212, v216, v216, vcc_lo
	v_cmp_gt_f64_e32 vcc_lo, 0, v[218:219]
	v_xor_b32_e32 v208, 0x80000000, v219
	v_dual_cndmask_b32 v220, v218, v218 :: v_dual_cndmask_b32 v221, v219, v208
	s_delay_alu instid0(VALU_DEP_1) | instskip(SKIP_1) | instid1(SALU_CYCLE_1)
	v_cmp_ngt_f64_e32 vcc_lo, v[212:213], v[220:221]
                                        ; implicit-def: $vgpr212_vgpr213
	s_and_saveexec_b32 s3, vcc_lo
	s_xor_b32 s3, exec_lo, s3
                                        ; implicit-def: $vgpr220_vgpr221_vgpr222_vgpr223
	s_cbranch_execz .LBB107_176
; %bb.175:
	v_div_scale_f64 v[212:213], null, v[218:219], v[218:219], v[216:217]
	v_div_scale_f64 v[224:225], vcc_lo, v[216:217], v[218:219], v[216:217]
	s_delay_alu instid0(VALU_DEP_2) | instskip(SKIP_2) | instid1(VALU_DEP_1)
	v_rcp_f64_e32 v[220:221], v[212:213]
	s_waitcnt_depctr 0xfff
	v_fma_f64 v[222:223], -v[212:213], v[220:221], 1.0
	v_fma_f64 v[220:221], v[220:221], v[222:223], v[220:221]
	s_delay_alu instid0(VALU_DEP_1) | instskip(NEXT) | instid1(VALU_DEP_1)
	v_fma_f64 v[222:223], -v[212:213], v[220:221], 1.0
	v_fma_f64 v[220:221], v[220:221], v[222:223], v[220:221]
	s_delay_alu instid0(VALU_DEP_1) | instskip(NEXT) | instid1(VALU_DEP_1)
	v_mul_f64 v[222:223], v[224:225], v[220:221]
	v_fma_f64 v[212:213], -v[212:213], v[222:223], v[224:225]
	s_delay_alu instid0(VALU_DEP_1) | instskip(NEXT) | instid1(VALU_DEP_1)
	v_div_fmas_f64 v[212:213], v[212:213], v[220:221], v[222:223]
	v_div_fixup_f64 v[212:213], v[212:213], v[218:219], v[216:217]
	s_delay_alu instid0(VALU_DEP_1) | instskip(NEXT) | instid1(VALU_DEP_1)
	v_fma_f64 v[216:217], v[216:217], v[212:213], v[218:219]
	v_div_scale_f64 v[218:219], null, v[216:217], v[216:217], 1.0
	s_delay_alu instid0(VALU_DEP_1) | instskip(SKIP_2) | instid1(VALU_DEP_1)
	v_rcp_f64_e32 v[220:221], v[218:219]
	s_waitcnt_depctr 0xfff
	v_fma_f64 v[222:223], -v[218:219], v[220:221], 1.0
	v_fma_f64 v[220:221], v[220:221], v[222:223], v[220:221]
	s_delay_alu instid0(VALU_DEP_1) | instskip(NEXT) | instid1(VALU_DEP_1)
	v_fma_f64 v[222:223], -v[218:219], v[220:221], 1.0
	v_fma_f64 v[220:221], v[220:221], v[222:223], v[220:221]
	v_div_scale_f64 v[222:223], vcc_lo, 1.0, v[216:217], 1.0
	s_delay_alu instid0(VALU_DEP_1) | instskip(NEXT) | instid1(VALU_DEP_1)
	v_mul_f64 v[224:225], v[222:223], v[220:221]
	v_fma_f64 v[218:219], -v[218:219], v[224:225], v[222:223]
	s_delay_alu instid0(VALU_DEP_1) | instskip(NEXT) | instid1(VALU_DEP_1)
	v_div_fmas_f64 v[218:219], v[218:219], v[220:221], v[224:225]
	v_div_fixup_f64 v[222:223], v[218:219], v[216:217], 1.0
                                        ; implicit-def: $vgpr216_vgpr217
	s_delay_alu instid0(VALU_DEP_1)
	v_mul_f64 v[212:213], v[212:213], v[222:223]
	v_xor_b32_e32 v223, 0x80000000, v223
.LBB107_176:
	s_and_not1_saveexec_b32 s3, s3
	s_cbranch_execz .LBB107_178
; %bb.177:
	v_div_scale_f64 v[212:213], null, v[216:217], v[216:217], v[218:219]
	v_div_scale_f64 v[224:225], vcc_lo, v[218:219], v[216:217], v[218:219]
	s_delay_alu instid0(VALU_DEP_2) | instskip(SKIP_2) | instid1(VALU_DEP_1)
	v_rcp_f64_e32 v[220:221], v[212:213]
	s_waitcnt_depctr 0xfff
	v_fma_f64 v[222:223], -v[212:213], v[220:221], 1.0
	v_fma_f64 v[220:221], v[220:221], v[222:223], v[220:221]
	s_delay_alu instid0(VALU_DEP_1) | instskip(NEXT) | instid1(VALU_DEP_1)
	v_fma_f64 v[222:223], -v[212:213], v[220:221], 1.0
	v_fma_f64 v[220:221], v[220:221], v[222:223], v[220:221]
	s_delay_alu instid0(VALU_DEP_1) | instskip(NEXT) | instid1(VALU_DEP_1)
	v_mul_f64 v[222:223], v[224:225], v[220:221]
	v_fma_f64 v[212:213], -v[212:213], v[222:223], v[224:225]
	s_delay_alu instid0(VALU_DEP_1) | instskip(NEXT) | instid1(VALU_DEP_1)
	v_div_fmas_f64 v[212:213], v[212:213], v[220:221], v[222:223]
	v_div_fixup_f64 v[220:221], v[212:213], v[216:217], v[218:219]
	s_delay_alu instid0(VALU_DEP_1) | instskip(NEXT) | instid1(VALU_DEP_1)
	v_fma_f64 v[212:213], v[218:219], v[220:221], v[216:217]
	v_div_scale_f64 v[216:217], null, v[212:213], v[212:213], 1.0
	s_delay_alu instid0(VALU_DEP_1) | instskip(SKIP_2) | instid1(VALU_DEP_1)
	v_rcp_f64_e32 v[218:219], v[216:217]
	s_waitcnt_depctr 0xfff
	v_fma_f64 v[222:223], -v[216:217], v[218:219], 1.0
	v_fma_f64 v[218:219], v[218:219], v[222:223], v[218:219]
	s_delay_alu instid0(VALU_DEP_1) | instskip(NEXT) | instid1(VALU_DEP_1)
	v_fma_f64 v[222:223], -v[216:217], v[218:219], 1.0
	v_fma_f64 v[218:219], v[218:219], v[222:223], v[218:219]
	v_div_scale_f64 v[222:223], vcc_lo, 1.0, v[212:213], 1.0
	s_delay_alu instid0(VALU_DEP_1) | instskip(NEXT) | instid1(VALU_DEP_1)
	v_mul_f64 v[224:225], v[222:223], v[218:219]
	v_fma_f64 v[216:217], -v[216:217], v[224:225], v[222:223]
	s_delay_alu instid0(VALU_DEP_1) | instskip(NEXT) | instid1(VALU_DEP_1)
	v_div_fmas_f64 v[216:217], v[216:217], v[218:219], v[224:225]
	v_div_fixup_f64 v[212:213], v[216:217], v[212:213], 1.0
	s_delay_alu instid0(VALU_DEP_1)
	v_mul_f64 v[222:223], v[220:221], -v[212:213]
.LBB107_178:
	s_or_b32 exec_lo, exec_lo, s3
	ds_store_2addr_b64 v204, v[212:213], v[222:223] offset1:1
.LBB107_179:
	s_or_b32 exec_lo, exec_lo, s4
	s_waitcnt lgkmcnt(0)
	s_barrier
	buffer_gl0_inv
	ds_load_2addr_b64 v[207:210], v204 offset1:1
	s_mov_b32 s3, exec_lo
	s_waitcnt lgkmcnt(0)
	scratch_store_b128 off, v[207:210], off offset:776 ; 16-byte Folded Spill
	v_cmpx_lt_u32_e32 19, v215
	s_cbranch_execz .LBB107_181
; %bb.180:
	scratch_load_b128 v[207:210], off, off offset:776 ; 16-byte Folded Reload
	ds_load_2addr_b64 v[218:221], v214 offset0:40 offset1:41
	s_waitcnt vmcnt(0)
	v_mul_f64 v[212:213], v[209:210], v[138:139]
	v_mul_f64 v[138:139], v[207:208], v[138:139]
	s_delay_alu instid0(VALU_DEP_2) | instskip(NEXT) | instid1(VALU_DEP_2)
	v_fma_f64 v[216:217], v[207:208], v[136:137], -v[212:213]
	v_fma_f64 v[138:139], v[209:210], v[136:137], v[138:139]
	s_waitcnt lgkmcnt(0)
	s_delay_alu instid0(VALU_DEP_1) | instskip(SKIP_1) | instid1(VALU_DEP_2)
	v_mul_f64 v[136:137], v[220:221], v[138:139]
	v_mul_f64 v[212:213], v[218:219], v[138:139]
	v_fma_f64 v[136:137], v[218:219], v[216:217], -v[136:137]
	s_delay_alu instid0(VALU_DEP_2)
	v_fma_f64 v[212:213], v[220:221], v[216:217], v[212:213]
	ds_load_2addr_b64 v[218:221], v214 offset0:42 offset1:43
	v_add_f64 v[132:133], v[132:133], -v[136:137]
	v_add_f64 v[134:135], v[134:135], -v[212:213]
	s_waitcnt lgkmcnt(0)
	v_mul_f64 v[136:137], v[220:221], v[138:139]
	v_mul_f64 v[212:213], v[218:219], v[138:139]
	s_delay_alu instid0(VALU_DEP_2) | instskip(NEXT) | instid1(VALU_DEP_2)
	v_fma_f64 v[136:137], v[218:219], v[216:217], -v[136:137]
	v_fma_f64 v[212:213], v[220:221], v[216:217], v[212:213]
	ds_load_2addr_b64 v[218:221], v214 offset0:44 offset1:45
	v_add_f64 v[128:129], v[128:129], -v[136:137]
	v_add_f64 v[130:131], v[130:131], -v[212:213]
	s_waitcnt lgkmcnt(0)
	v_mul_f64 v[136:137], v[220:221], v[138:139]
	v_mul_f64 v[212:213], v[218:219], v[138:139]
	s_delay_alu instid0(VALU_DEP_2) | instskip(NEXT) | instid1(VALU_DEP_2)
	v_fma_f64 v[136:137], v[218:219], v[216:217], -v[136:137]
	;; [unrolled: 9-line block ×33, first 2 shown]
	v_fma_f64 v[212:213], v[220:221], v[216:217], v[212:213]
	s_delay_alu instid0(VALU_DEP_2) | instskip(NEXT) | instid1(VALU_DEP_2)
	v_add_f64 v[0:1], v[0:1], -v[136:137]
	v_add_f64 v[2:3], v[2:3], -v[212:213]
	v_dual_mov_b32 v136, v216 :: v_dual_mov_b32 v137, v217
.LBB107_181:
	s_or_b32 exec_lo, exec_lo, s3
	s_delay_alu instid0(SALU_CYCLE_1)
	s_mov_b32 s4, exec_lo
	s_waitcnt_vscnt null, 0x0
	s_barrier
	buffer_gl0_inv
	v_cmpx_eq_u32_e32 20, v215
	s_cbranch_execz .LBB107_188
; %bb.182:
	ds_store_2addr_b64 v204, v[132:133], v[134:135] offset1:1
	ds_store_2addr_b64 v214, v[128:129], v[130:131] offset0:42 offset1:43
	ds_store_2addr_b64 v214, v[124:125], v[126:127] offset0:44 offset1:45
	;; [unrolled: 1-line block ×33, first 2 shown]
	ds_load_2addr_b64 v[216:219], v204 offset1:1
	s_waitcnt lgkmcnt(0)
	v_cmp_neq_f64_e32 vcc_lo, 0, v[216:217]
	v_cmp_neq_f64_e64 s3, 0, v[218:219]
	s_delay_alu instid0(VALU_DEP_1) | instskip(NEXT) | instid1(SALU_CYCLE_1)
	s_or_b32 s3, vcc_lo, s3
	s_and_b32 exec_lo, exec_lo, s3
	s_cbranch_execz .LBB107_188
; %bb.183:
	v_cmp_gt_f64_e32 vcc_lo, 0, v[216:217]
	v_xor_b32_e32 v208, 0x80000000, v217
	s_delay_alu instid0(VALU_DEP_1) | instskip(SKIP_3) | instid1(VALU_DEP_1)
	v_cndmask_b32_e32 v213, v217, v208, vcc_lo
	v_cndmask_b32_e32 v212, v216, v216, vcc_lo
	v_cmp_gt_f64_e32 vcc_lo, 0, v[218:219]
	v_xor_b32_e32 v208, 0x80000000, v219
	v_dual_cndmask_b32 v220, v218, v218 :: v_dual_cndmask_b32 v221, v219, v208
	s_delay_alu instid0(VALU_DEP_1) | instskip(SKIP_1) | instid1(SALU_CYCLE_1)
	v_cmp_ngt_f64_e32 vcc_lo, v[212:213], v[220:221]
                                        ; implicit-def: $vgpr212_vgpr213
	s_and_saveexec_b32 s3, vcc_lo
	s_xor_b32 s3, exec_lo, s3
                                        ; implicit-def: $vgpr220_vgpr221_vgpr222_vgpr223
	s_cbranch_execz .LBB107_185
; %bb.184:
	v_div_scale_f64 v[212:213], null, v[218:219], v[218:219], v[216:217]
	v_div_scale_f64 v[224:225], vcc_lo, v[216:217], v[218:219], v[216:217]
	s_delay_alu instid0(VALU_DEP_2) | instskip(SKIP_2) | instid1(VALU_DEP_1)
	v_rcp_f64_e32 v[220:221], v[212:213]
	s_waitcnt_depctr 0xfff
	v_fma_f64 v[222:223], -v[212:213], v[220:221], 1.0
	v_fma_f64 v[220:221], v[220:221], v[222:223], v[220:221]
	s_delay_alu instid0(VALU_DEP_1) | instskip(NEXT) | instid1(VALU_DEP_1)
	v_fma_f64 v[222:223], -v[212:213], v[220:221], 1.0
	v_fma_f64 v[220:221], v[220:221], v[222:223], v[220:221]
	s_delay_alu instid0(VALU_DEP_1) | instskip(NEXT) | instid1(VALU_DEP_1)
	v_mul_f64 v[222:223], v[224:225], v[220:221]
	v_fma_f64 v[212:213], -v[212:213], v[222:223], v[224:225]
	s_delay_alu instid0(VALU_DEP_1) | instskip(NEXT) | instid1(VALU_DEP_1)
	v_div_fmas_f64 v[212:213], v[212:213], v[220:221], v[222:223]
	v_div_fixup_f64 v[212:213], v[212:213], v[218:219], v[216:217]
	s_delay_alu instid0(VALU_DEP_1) | instskip(NEXT) | instid1(VALU_DEP_1)
	v_fma_f64 v[216:217], v[216:217], v[212:213], v[218:219]
	v_div_scale_f64 v[218:219], null, v[216:217], v[216:217], 1.0
	s_delay_alu instid0(VALU_DEP_1) | instskip(SKIP_2) | instid1(VALU_DEP_1)
	v_rcp_f64_e32 v[220:221], v[218:219]
	s_waitcnt_depctr 0xfff
	v_fma_f64 v[222:223], -v[218:219], v[220:221], 1.0
	v_fma_f64 v[220:221], v[220:221], v[222:223], v[220:221]
	s_delay_alu instid0(VALU_DEP_1) | instskip(NEXT) | instid1(VALU_DEP_1)
	v_fma_f64 v[222:223], -v[218:219], v[220:221], 1.0
	v_fma_f64 v[220:221], v[220:221], v[222:223], v[220:221]
	v_div_scale_f64 v[222:223], vcc_lo, 1.0, v[216:217], 1.0
	s_delay_alu instid0(VALU_DEP_1) | instskip(NEXT) | instid1(VALU_DEP_1)
	v_mul_f64 v[224:225], v[222:223], v[220:221]
	v_fma_f64 v[218:219], -v[218:219], v[224:225], v[222:223]
	s_delay_alu instid0(VALU_DEP_1) | instskip(NEXT) | instid1(VALU_DEP_1)
	v_div_fmas_f64 v[218:219], v[218:219], v[220:221], v[224:225]
	v_div_fixup_f64 v[222:223], v[218:219], v[216:217], 1.0
                                        ; implicit-def: $vgpr216_vgpr217
	s_delay_alu instid0(VALU_DEP_1)
	v_mul_f64 v[212:213], v[212:213], v[222:223]
	v_xor_b32_e32 v223, 0x80000000, v223
.LBB107_185:
	s_and_not1_saveexec_b32 s3, s3
	s_cbranch_execz .LBB107_187
; %bb.186:
	v_div_scale_f64 v[212:213], null, v[216:217], v[216:217], v[218:219]
	v_div_scale_f64 v[224:225], vcc_lo, v[218:219], v[216:217], v[218:219]
	s_delay_alu instid0(VALU_DEP_2) | instskip(SKIP_2) | instid1(VALU_DEP_1)
	v_rcp_f64_e32 v[220:221], v[212:213]
	s_waitcnt_depctr 0xfff
	v_fma_f64 v[222:223], -v[212:213], v[220:221], 1.0
	v_fma_f64 v[220:221], v[220:221], v[222:223], v[220:221]
	s_delay_alu instid0(VALU_DEP_1) | instskip(NEXT) | instid1(VALU_DEP_1)
	v_fma_f64 v[222:223], -v[212:213], v[220:221], 1.0
	v_fma_f64 v[220:221], v[220:221], v[222:223], v[220:221]
	s_delay_alu instid0(VALU_DEP_1) | instskip(NEXT) | instid1(VALU_DEP_1)
	v_mul_f64 v[222:223], v[224:225], v[220:221]
	v_fma_f64 v[212:213], -v[212:213], v[222:223], v[224:225]
	s_delay_alu instid0(VALU_DEP_1) | instskip(NEXT) | instid1(VALU_DEP_1)
	v_div_fmas_f64 v[212:213], v[212:213], v[220:221], v[222:223]
	v_div_fixup_f64 v[220:221], v[212:213], v[216:217], v[218:219]
	s_delay_alu instid0(VALU_DEP_1) | instskip(NEXT) | instid1(VALU_DEP_1)
	v_fma_f64 v[212:213], v[218:219], v[220:221], v[216:217]
	v_div_scale_f64 v[216:217], null, v[212:213], v[212:213], 1.0
	s_delay_alu instid0(VALU_DEP_1) | instskip(SKIP_2) | instid1(VALU_DEP_1)
	v_rcp_f64_e32 v[218:219], v[216:217]
	s_waitcnt_depctr 0xfff
	v_fma_f64 v[222:223], -v[216:217], v[218:219], 1.0
	v_fma_f64 v[218:219], v[218:219], v[222:223], v[218:219]
	s_delay_alu instid0(VALU_DEP_1) | instskip(NEXT) | instid1(VALU_DEP_1)
	v_fma_f64 v[222:223], -v[216:217], v[218:219], 1.0
	v_fma_f64 v[218:219], v[218:219], v[222:223], v[218:219]
	v_div_scale_f64 v[222:223], vcc_lo, 1.0, v[212:213], 1.0
	s_delay_alu instid0(VALU_DEP_1) | instskip(NEXT) | instid1(VALU_DEP_1)
	v_mul_f64 v[224:225], v[222:223], v[218:219]
	v_fma_f64 v[216:217], -v[216:217], v[224:225], v[222:223]
	s_delay_alu instid0(VALU_DEP_1) | instskip(NEXT) | instid1(VALU_DEP_1)
	v_div_fmas_f64 v[216:217], v[216:217], v[218:219], v[224:225]
	v_div_fixup_f64 v[212:213], v[216:217], v[212:213], 1.0
	s_delay_alu instid0(VALU_DEP_1)
	v_mul_f64 v[222:223], v[220:221], -v[212:213]
.LBB107_187:
	s_or_b32 exec_lo, exec_lo, s3
	ds_store_2addr_b64 v204, v[212:213], v[222:223] offset1:1
.LBB107_188:
	s_or_b32 exec_lo, exec_lo, s4
	s_waitcnt lgkmcnt(0)
	s_barrier
	buffer_gl0_inv
	ds_load_2addr_b64 v[207:210], v204 offset1:1
	s_mov_b32 s3, exec_lo
	s_waitcnt lgkmcnt(0)
	scratch_store_b128 off, v[207:210], off offset:792 ; 16-byte Folded Spill
	v_cmpx_lt_u32_e32 20, v215
	s_cbranch_execz .LBB107_190
; %bb.189:
	scratch_load_b128 v[207:210], off, off offset:792 ; 16-byte Folded Reload
	ds_load_2addr_b64 v[218:221], v214 offset0:42 offset1:43
	s_waitcnt vmcnt(0)
	v_mul_f64 v[212:213], v[209:210], v[134:135]
	v_mul_f64 v[134:135], v[207:208], v[134:135]
	s_delay_alu instid0(VALU_DEP_2) | instskip(NEXT) | instid1(VALU_DEP_2)
	v_fma_f64 v[216:217], v[207:208], v[132:133], -v[212:213]
	v_fma_f64 v[134:135], v[209:210], v[132:133], v[134:135]
	s_waitcnt lgkmcnt(0)
	s_delay_alu instid0(VALU_DEP_1) | instskip(SKIP_1) | instid1(VALU_DEP_2)
	v_mul_f64 v[132:133], v[220:221], v[134:135]
	v_mul_f64 v[212:213], v[218:219], v[134:135]
	v_fma_f64 v[132:133], v[218:219], v[216:217], -v[132:133]
	s_delay_alu instid0(VALU_DEP_2)
	v_fma_f64 v[212:213], v[220:221], v[216:217], v[212:213]
	ds_load_2addr_b64 v[218:221], v214 offset0:44 offset1:45
	v_add_f64 v[128:129], v[128:129], -v[132:133]
	v_add_f64 v[130:131], v[130:131], -v[212:213]
	s_waitcnt lgkmcnt(0)
	v_mul_f64 v[132:133], v[220:221], v[134:135]
	v_mul_f64 v[212:213], v[218:219], v[134:135]
	s_delay_alu instid0(VALU_DEP_2) | instskip(NEXT) | instid1(VALU_DEP_2)
	v_fma_f64 v[132:133], v[218:219], v[216:217], -v[132:133]
	v_fma_f64 v[212:213], v[220:221], v[216:217], v[212:213]
	ds_load_2addr_b64 v[218:221], v214 offset0:46 offset1:47
	v_add_f64 v[124:125], v[124:125], -v[132:133]
	v_add_f64 v[126:127], v[126:127], -v[212:213]
	s_waitcnt lgkmcnt(0)
	v_mul_f64 v[132:133], v[220:221], v[134:135]
	v_mul_f64 v[212:213], v[218:219], v[134:135]
	s_delay_alu instid0(VALU_DEP_2) | instskip(NEXT) | instid1(VALU_DEP_2)
	v_fma_f64 v[132:133], v[218:219], v[216:217], -v[132:133]
	;; [unrolled: 9-line block ×32, first 2 shown]
	v_fma_f64 v[212:213], v[220:221], v[216:217], v[212:213]
	s_delay_alu instid0(VALU_DEP_2) | instskip(NEXT) | instid1(VALU_DEP_2)
	v_add_f64 v[0:1], v[0:1], -v[132:133]
	v_add_f64 v[2:3], v[2:3], -v[212:213]
	v_dual_mov_b32 v132, v216 :: v_dual_mov_b32 v133, v217
.LBB107_190:
	s_or_b32 exec_lo, exec_lo, s3
	s_delay_alu instid0(SALU_CYCLE_1)
	s_mov_b32 s4, exec_lo
	s_waitcnt_vscnt null, 0x0
	s_barrier
	buffer_gl0_inv
	v_cmpx_eq_u32_e32 21, v215
	s_cbranch_execz .LBB107_197
; %bb.191:
	ds_store_2addr_b64 v204, v[128:129], v[130:131] offset1:1
	ds_store_2addr_b64 v214, v[124:125], v[126:127] offset0:44 offset1:45
	ds_store_2addr_b64 v214, v[120:121], v[122:123] offset0:46 offset1:47
	;; [unrolled: 1-line block ×32, first 2 shown]
	ds_load_2addr_b64 v[216:219], v204 offset1:1
	s_waitcnt lgkmcnt(0)
	v_cmp_neq_f64_e32 vcc_lo, 0, v[216:217]
	v_cmp_neq_f64_e64 s3, 0, v[218:219]
	s_delay_alu instid0(VALU_DEP_1) | instskip(NEXT) | instid1(SALU_CYCLE_1)
	s_or_b32 s3, vcc_lo, s3
	s_and_b32 exec_lo, exec_lo, s3
	s_cbranch_execz .LBB107_197
; %bb.192:
	v_cmp_gt_f64_e32 vcc_lo, 0, v[216:217]
	v_xor_b32_e32 v208, 0x80000000, v217
	s_delay_alu instid0(VALU_DEP_1) | instskip(SKIP_3) | instid1(VALU_DEP_1)
	v_cndmask_b32_e32 v213, v217, v208, vcc_lo
	v_cndmask_b32_e32 v212, v216, v216, vcc_lo
	v_cmp_gt_f64_e32 vcc_lo, 0, v[218:219]
	v_xor_b32_e32 v208, 0x80000000, v219
	v_dual_cndmask_b32 v220, v218, v218 :: v_dual_cndmask_b32 v221, v219, v208
	s_delay_alu instid0(VALU_DEP_1) | instskip(SKIP_1) | instid1(SALU_CYCLE_1)
	v_cmp_ngt_f64_e32 vcc_lo, v[212:213], v[220:221]
                                        ; implicit-def: $vgpr212_vgpr213
	s_and_saveexec_b32 s3, vcc_lo
	s_xor_b32 s3, exec_lo, s3
                                        ; implicit-def: $vgpr220_vgpr221_vgpr222_vgpr223
	s_cbranch_execz .LBB107_194
; %bb.193:
	v_div_scale_f64 v[212:213], null, v[218:219], v[218:219], v[216:217]
	v_div_scale_f64 v[224:225], vcc_lo, v[216:217], v[218:219], v[216:217]
	s_delay_alu instid0(VALU_DEP_2) | instskip(SKIP_2) | instid1(VALU_DEP_1)
	v_rcp_f64_e32 v[220:221], v[212:213]
	s_waitcnt_depctr 0xfff
	v_fma_f64 v[222:223], -v[212:213], v[220:221], 1.0
	v_fma_f64 v[220:221], v[220:221], v[222:223], v[220:221]
	s_delay_alu instid0(VALU_DEP_1) | instskip(NEXT) | instid1(VALU_DEP_1)
	v_fma_f64 v[222:223], -v[212:213], v[220:221], 1.0
	v_fma_f64 v[220:221], v[220:221], v[222:223], v[220:221]
	s_delay_alu instid0(VALU_DEP_1) | instskip(NEXT) | instid1(VALU_DEP_1)
	v_mul_f64 v[222:223], v[224:225], v[220:221]
	v_fma_f64 v[212:213], -v[212:213], v[222:223], v[224:225]
	s_delay_alu instid0(VALU_DEP_1) | instskip(NEXT) | instid1(VALU_DEP_1)
	v_div_fmas_f64 v[212:213], v[212:213], v[220:221], v[222:223]
	v_div_fixup_f64 v[212:213], v[212:213], v[218:219], v[216:217]
	s_delay_alu instid0(VALU_DEP_1) | instskip(NEXT) | instid1(VALU_DEP_1)
	v_fma_f64 v[216:217], v[216:217], v[212:213], v[218:219]
	v_div_scale_f64 v[218:219], null, v[216:217], v[216:217], 1.0
	s_delay_alu instid0(VALU_DEP_1) | instskip(SKIP_2) | instid1(VALU_DEP_1)
	v_rcp_f64_e32 v[220:221], v[218:219]
	s_waitcnt_depctr 0xfff
	v_fma_f64 v[222:223], -v[218:219], v[220:221], 1.0
	v_fma_f64 v[220:221], v[220:221], v[222:223], v[220:221]
	s_delay_alu instid0(VALU_DEP_1) | instskip(NEXT) | instid1(VALU_DEP_1)
	v_fma_f64 v[222:223], -v[218:219], v[220:221], 1.0
	v_fma_f64 v[220:221], v[220:221], v[222:223], v[220:221]
	v_div_scale_f64 v[222:223], vcc_lo, 1.0, v[216:217], 1.0
	s_delay_alu instid0(VALU_DEP_1) | instskip(NEXT) | instid1(VALU_DEP_1)
	v_mul_f64 v[224:225], v[222:223], v[220:221]
	v_fma_f64 v[218:219], -v[218:219], v[224:225], v[222:223]
	s_delay_alu instid0(VALU_DEP_1) | instskip(NEXT) | instid1(VALU_DEP_1)
	v_div_fmas_f64 v[218:219], v[218:219], v[220:221], v[224:225]
	v_div_fixup_f64 v[222:223], v[218:219], v[216:217], 1.0
                                        ; implicit-def: $vgpr216_vgpr217
	s_delay_alu instid0(VALU_DEP_1)
	v_mul_f64 v[212:213], v[212:213], v[222:223]
	v_xor_b32_e32 v223, 0x80000000, v223
.LBB107_194:
	s_and_not1_saveexec_b32 s3, s3
	s_cbranch_execz .LBB107_196
; %bb.195:
	v_div_scale_f64 v[212:213], null, v[216:217], v[216:217], v[218:219]
	v_div_scale_f64 v[224:225], vcc_lo, v[218:219], v[216:217], v[218:219]
	s_delay_alu instid0(VALU_DEP_2) | instskip(SKIP_2) | instid1(VALU_DEP_1)
	v_rcp_f64_e32 v[220:221], v[212:213]
	s_waitcnt_depctr 0xfff
	v_fma_f64 v[222:223], -v[212:213], v[220:221], 1.0
	v_fma_f64 v[220:221], v[220:221], v[222:223], v[220:221]
	s_delay_alu instid0(VALU_DEP_1) | instskip(NEXT) | instid1(VALU_DEP_1)
	v_fma_f64 v[222:223], -v[212:213], v[220:221], 1.0
	v_fma_f64 v[220:221], v[220:221], v[222:223], v[220:221]
	s_delay_alu instid0(VALU_DEP_1) | instskip(NEXT) | instid1(VALU_DEP_1)
	v_mul_f64 v[222:223], v[224:225], v[220:221]
	v_fma_f64 v[212:213], -v[212:213], v[222:223], v[224:225]
	s_delay_alu instid0(VALU_DEP_1) | instskip(NEXT) | instid1(VALU_DEP_1)
	v_div_fmas_f64 v[212:213], v[212:213], v[220:221], v[222:223]
	v_div_fixup_f64 v[220:221], v[212:213], v[216:217], v[218:219]
	s_delay_alu instid0(VALU_DEP_1) | instskip(NEXT) | instid1(VALU_DEP_1)
	v_fma_f64 v[212:213], v[218:219], v[220:221], v[216:217]
	v_div_scale_f64 v[216:217], null, v[212:213], v[212:213], 1.0
	s_delay_alu instid0(VALU_DEP_1) | instskip(SKIP_2) | instid1(VALU_DEP_1)
	v_rcp_f64_e32 v[218:219], v[216:217]
	s_waitcnt_depctr 0xfff
	v_fma_f64 v[222:223], -v[216:217], v[218:219], 1.0
	v_fma_f64 v[218:219], v[218:219], v[222:223], v[218:219]
	s_delay_alu instid0(VALU_DEP_1) | instskip(NEXT) | instid1(VALU_DEP_1)
	v_fma_f64 v[222:223], -v[216:217], v[218:219], 1.0
	v_fma_f64 v[218:219], v[218:219], v[222:223], v[218:219]
	v_div_scale_f64 v[222:223], vcc_lo, 1.0, v[212:213], 1.0
	s_delay_alu instid0(VALU_DEP_1) | instskip(NEXT) | instid1(VALU_DEP_1)
	v_mul_f64 v[224:225], v[222:223], v[218:219]
	v_fma_f64 v[216:217], -v[216:217], v[224:225], v[222:223]
	s_delay_alu instid0(VALU_DEP_1) | instskip(NEXT) | instid1(VALU_DEP_1)
	v_div_fmas_f64 v[216:217], v[216:217], v[218:219], v[224:225]
	v_div_fixup_f64 v[212:213], v[216:217], v[212:213], 1.0
	s_delay_alu instid0(VALU_DEP_1)
	v_mul_f64 v[222:223], v[220:221], -v[212:213]
.LBB107_196:
	s_or_b32 exec_lo, exec_lo, s3
	ds_store_2addr_b64 v204, v[212:213], v[222:223] offset1:1
.LBB107_197:
	s_or_b32 exec_lo, exec_lo, s4
	s_waitcnt lgkmcnt(0)
	s_barrier
	buffer_gl0_inv
	ds_load_2addr_b64 v[207:210], v204 offset1:1
	s_mov_b32 s3, exec_lo
	s_waitcnt lgkmcnt(0)
	scratch_store_b128 off, v[207:210], off offset:808 ; 16-byte Folded Spill
	v_cmpx_lt_u32_e32 21, v215
	s_cbranch_execz .LBB107_199
; %bb.198:
	scratch_load_b128 v[207:210], off, off offset:808 ; 16-byte Folded Reload
	ds_load_2addr_b64 v[218:221], v214 offset0:44 offset1:45
	s_waitcnt vmcnt(0)
	v_mul_f64 v[212:213], v[209:210], v[130:131]
	v_mul_f64 v[130:131], v[207:208], v[130:131]
	s_delay_alu instid0(VALU_DEP_2) | instskip(NEXT) | instid1(VALU_DEP_2)
	v_fma_f64 v[216:217], v[207:208], v[128:129], -v[212:213]
	v_fma_f64 v[130:131], v[209:210], v[128:129], v[130:131]
	s_waitcnt lgkmcnt(0)
	s_delay_alu instid0(VALU_DEP_1) | instskip(SKIP_1) | instid1(VALU_DEP_2)
	v_mul_f64 v[128:129], v[220:221], v[130:131]
	v_mul_f64 v[212:213], v[218:219], v[130:131]
	v_fma_f64 v[128:129], v[218:219], v[216:217], -v[128:129]
	s_delay_alu instid0(VALU_DEP_2)
	v_fma_f64 v[212:213], v[220:221], v[216:217], v[212:213]
	ds_load_2addr_b64 v[218:221], v214 offset0:46 offset1:47
	v_add_f64 v[124:125], v[124:125], -v[128:129]
	v_add_f64 v[126:127], v[126:127], -v[212:213]
	s_waitcnt lgkmcnt(0)
	v_mul_f64 v[128:129], v[220:221], v[130:131]
	v_mul_f64 v[212:213], v[218:219], v[130:131]
	s_delay_alu instid0(VALU_DEP_2) | instskip(NEXT) | instid1(VALU_DEP_2)
	v_fma_f64 v[128:129], v[218:219], v[216:217], -v[128:129]
	v_fma_f64 v[212:213], v[220:221], v[216:217], v[212:213]
	ds_load_2addr_b64 v[218:221], v214 offset0:48 offset1:49
	v_add_f64 v[120:121], v[120:121], -v[128:129]
	v_add_f64 v[122:123], v[122:123], -v[212:213]
	s_waitcnt lgkmcnt(0)
	v_mul_f64 v[128:129], v[220:221], v[130:131]
	v_mul_f64 v[212:213], v[218:219], v[130:131]
	s_delay_alu instid0(VALU_DEP_2) | instskip(NEXT) | instid1(VALU_DEP_2)
	v_fma_f64 v[128:129], v[218:219], v[216:217], -v[128:129]
	;; [unrolled: 9-line block ×31, first 2 shown]
	v_fma_f64 v[212:213], v[220:221], v[216:217], v[212:213]
	s_delay_alu instid0(VALU_DEP_2) | instskip(NEXT) | instid1(VALU_DEP_2)
	v_add_f64 v[0:1], v[0:1], -v[128:129]
	v_add_f64 v[2:3], v[2:3], -v[212:213]
	v_dual_mov_b32 v128, v216 :: v_dual_mov_b32 v129, v217
.LBB107_199:
	s_or_b32 exec_lo, exec_lo, s3
	s_delay_alu instid0(SALU_CYCLE_1)
	s_mov_b32 s4, exec_lo
	s_waitcnt_vscnt null, 0x0
	s_barrier
	buffer_gl0_inv
	v_cmpx_eq_u32_e32 22, v215
	s_cbranch_execz .LBB107_206
; %bb.200:
	ds_store_2addr_b64 v204, v[124:125], v[126:127] offset1:1
	ds_store_2addr_b64 v214, v[120:121], v[122:123] offset0:46 offset1:47
	ds_store_2addr_b64 v214, v[116:117], v[118:119] offset0:48 offset1:49
	;; [unrolled: 1-line block ×31, first 2 shown]
	ds_load_2addr_b64 v[216:219], v204 offset1:1
	s_waitcnt lgkmcnt(0)
	v_cmp_neq_f64_e32 vcc_lo, 0, v[216:217]
	v_cmp_neq_f64_e64 s3, 0, v[218:219]
	s_delay_alu instid0(VALU_DEP_1) | instskip(NEXT) | instid1(SALU_CYCLE_1)
	s_or_b32 s3, vcc_lo, s3
	s_and_b32 exec_lo, exec_lo, s3
	s_cbranch_execz .LBB107_206
; %bb.201:
	v_cmp_gt_f64_e32 vcc_lo, 0, v[216:217]
	v_xor_b32_e32 v208, 0x80000000, v217
	s_delay_alu instid0(VALU_DEP_1) | instskip(SKIP_3) | instid1(VALU_DEP_1)
	v_cndmask_b32_e32 v213, v217, v208, vcc_lo
	v_cndmask_b32_e32 v212, v216, v216, vcc_lo
	v_cmp_gt_f64_e32 vcc_lo, 0, v[218:219]
	v_xor_b32_e32 v208, 0x80000000, v219
	v_dual_cndmask_b32 v220, v218, v218 :: v_dual_cndmask_b32 v221, v219, v208
	s_delay_alu instid0(VALU_DEP_1) | instskip(SKIP_1) | instid1(SALU_CYCLE_1)
	v_cmp_ngt_f64_e32 vcc_lo, v[212:213], v[220:221]
                                        ; implicit-def: $vgpr212_vgpr213
	s_and_saveexec_b32 s3, vcc_lo
	s_xor_b32 s3, exec_lo, s3
                                        ; implicit-def: $vgpr220_vgpr221_vgpr222_vgpr223
	s_cbranch_execz .LBB107_203
; %bb.202:
	v_div_scale_f64 v[212:213], null, v[218:219], v[218:219], v[216:217]
	v_div_scale_f64 v[224:225], vcc_lo, v[216:217], v[218:219], v[216:217]
	s_delay_alu instid0(VALU_DEP_2) | instskip(SKIP_2) | instid1(VALU_DEP_1)
	v_rcp_f64_e32 v[220:221], v[212:213]
	s_waitcnt_depctr 0xfff
	v_fma_f64 v[222:223], -v[212:213], v[220:221], 1.0
	v_fma_f64 v[220:221], v[220:221], v[222:223], v[220:221]
	s_delay_alu instid0(VALU_DEP_1) | instskip(NEXT) | instid1(VALU_DEP_1)
	v_fma_f64 v[222:223], -v[212:213], v[220:221], 1.0
	v_fma_f64 v[220:221], v[220:221], v[222:223], v[220:221]
	s_delay_alu instid0(VALU_DEP_1) | instskip(NEXT) | instid1(VALU_DEP_1)
	v_mul_f64 v[222:223], v[224:225], v[220:221]
	v_fma_f64 v[212:213], -v[212:213], v[222:223], v[224:225]
	s_delay_alu instid0(VALU_DEP_1) | instskip(NEXT) | instid1(VALU_DEP_1)
	v_div_fmas_f64 v[212:213], v[212:213], v[220:221], v[222:223]
	v_div_fixup_f64 v[212:213], v[212:213], v[218:219], v[216:217]
	s_delay_alu instid0(VALU_DEP_1) | instskip(NEXT) | instid1(VALU_DEP_1)
	v_fma_f64 v[216:217], v[216:217], v[212:213], v[218:219]
	v_div_scale_f64 v[218:219], null, v[216:217], v[216:217], 1.0
	s_delay_alu instid0(VALU_DEP_1) | instskip(SKIP_2) | instid1(VALU_DEP_1)
	v_rcp_f64_e32 v[220:221], v[218:219]
	s_waitcnt_depctr 0xfff
	v_fma_f64 v[222:223], -v[218:219], v[220:221], 1.0
	v_fma_f64 v[220:221], v[220:221], v[222:223], v[220:221]
	s_delay_alu instid0(VALU_DEP_1) | instskip(NEXT) | instid1(VALU_DEP_1)
	v_fma_f64 v[222:223], -v[218:219], v[220:221], 1.0
	v_fma_f64 v[220:221], v[220:221], v[222:223], v[220:221]
	v_div_scale_f64 v[222:223], vcc_lo, 1.0, v[216:217], 1.0
	s_delay_alu instid0(VALU_DEP_1) | instskip(NEXT) | instid1(VALU_DEP_1)
	v_mul_f64 v[224:225], v[222:223], v[220:221]
	v_fma_f64 v[218:219], -v[218:219], v[224:225], v[222:223]
	s_delay_alu instid0(VALU_DEP_1) | instskip(NEXT) | instid1(VALU_DEP_1)
	v_div_fmas_f64 v[218:219], v[218:219], v[220:221], v[224:225]
	v_div_fixup_f64 v[222:223], v[218:219], v[216:217], 1.0
                                        ; implicit-def: $vgpr216_vgpr217
	s_delay_alu instid0(VALU_DEP_1)
	v_mul_f64 v[212:213], v[212:213], v[222:223]
	v_xor_b32_e32 v223, 0x80000000, v223
.LBB107_203:
	s_and_not1_saveexec_b32 s3, s3
	s_cbranch_execz .LBB107_205
; %bb.204:
	v_div_scale_f64 v[212:213], null, v[216:217], v[216:217], v[218:219]
	v_div_scale_f64 v[224:225], vcc_lo, v[218:219], v[216:217], v[218:219]
	s_delay_alu instid0(VALU_DEP_2) | instskip(SKIP_2) | instid1(VALU_DEP_1)
	v_rcp_f64_e32 v[220:221], v[212:213]
	s_waitcnt_depctr 0xfff
	v_fma_f64 v[222:223], -v[212:213], v[220:221], 1.0
	v_fma_f64 v[220:221], v[220:221], v[222:223], v[220:221]
	s_delay_alu instid0(VALU_DEP_1) | instskip(NEXT) | instid1(VALU_DEP_1)
	v_fma_f64 v[222:223], -v[212:213], v[220:221], 1.0
	v_fma_f64 v[220:221], v[220:221], v[222:223], v[220:221]
	s_delay_alu instid0(VALU_DEP_1) | instskip(NEXT) | instid1(VALU_DEP_1)
	v_mul_f64 v[222:223], v[224:225], v[220:221]
	v_fma_f64 v[212:213], -v[212:213], v[222:223], v[224:225]
	s_delay_alu instid0(VALU_DEP_1) | instskip(NEXT) | instid1(VALU_DEP_1)
	v_div_fmas_f64 v[212:213], v[212:213], v[220:221], v[222:223]
	v_div_fixup_f64 v[220:221], v[212:213], v[216:217], v[218:219]
	s_delay_alu instid0(VALU_DEP_1) | instskip(NEXT) | instid1(VALU_DEP_1)
	v_fma_f64 v[212:213], v[218:219], v[220:221], v[216:217]
	v_div_scale_f64 v[216:217], null, v[212:213], v[212:213], 1.0
	s_delay_alu instid0(VALU_DEP_1) | instskip(SKIP_2) | instid1(VALU_DEP_1)
	v_rcp_f64_e32 v[218:219], v[216:217]
	s_waitcnt_depctr 0xfff
	v_fma_f64 v[222:223], -v[216:217], v[218:219], 1.0
	v_fma_f64 v[218:219], v[218:219], v[222:223], v[218:219]
	s_delay_alu instid0(VALU_DEP_1) | instskip(NEXT) | instid1(VALU_DEP_1)
	v_fma_f64 v[222:223], -v[216:217], v[218:219], 1.0
	v_fma_f64 v[218:219], v[218:219], v[222:223], v[218:219]
	v_div_scale_f64 v[222:223], vcc_lo, 1.0, v[212:213], 1.0
	s_delay_alu instid0(VALU_DEP_1) | instskip(NEXT) | instid1(VALU_DEP_1)
	v_mul_f64 v[224:225], v[222:223], v[218:219]
	v_fma_f64 v[216:217], -v[216:217], v[224:225], v[222:223]
	s_delay_alu instid0(VALU_DEP_1) | instskip(NEXT) | instid1(VALU_DEP_1)
	v_div_fmas_f64 v[216:217], v[216:217], v[218:219], v[224:225]
	v_div_fixup_f64 v[212:213], v[216:217], v[212:213], 1.0
	s_delay_alu instid0(VALU_DEP_1)
	v_mul_f64 v[222:223], v[220:221], -v[212:213]
.LBB107_205:
	s_or_b32 exec_lo, exec_lo, s3
	ds_store_2addr_b64 v204, v[212:213], v[222:223] offset1:1
.LBB107_206:
	s_or_b32 exec_lo, exec_lo, s4
	s_waitcnt lgkmcnt(0)
	s_barrier
	buffer_gl0_inv
	ds_load_2addr_b64 v[207:210], v204 offset1:1
	s_mov_b32 s3, exec_lo
	s_waitcnt lgkmcnt(0)
	scratch_store_b128 off, v[207:210], off offset:824 ; 16-byte Folded Spill
	v_cmpx_lt_u32_e32 22, v215
	s_cbranch_execz .LBB107_208
; %bb.207:
	scratch_load_b128 v[207:210], off, off offset:824 ; 16-byte Folded Reload
	ds_load_2addr_b64 v[218:221], v214 offset0:46 offset1:47
	s_waitcnt vmcnt(0)
	v_mul_f64 v[212:213], v[209:210], v[126:127]
	v_mul_f64 v[126:127], v[207:208], v[126:127]
	s_delay_alu instid0(VALU_DEP_2) | instskip(NEXT) | instid1(VALU_DEP_2)
	v_fma_f64 v[216:217], v[207:208], v[124:125], -v[212:213]
	v_fma_f64 v[126:127], v[209:210], v[124:125], v[126:127]
	s_waitcnt lgkmcnt(0)
	s_delay_alu instid0(VALU_DEP_1) | instskip(SKIP_1) | instid1(VALU_DEP_2)
	v_mul_f64 v[124:125], v[220:221], v[126:127]
	v_mul_f64 v[212:213], v[218:219], v[126:127]
	v_fma_f64 v[124:125], v[218:219], v[216:217], -v[124:125]
	s_delay_alu instid0(VALU_DEP_2)
	v_fma_f64 v[212:213], v[220:221], v[216:217], v[212:213]
	ds_load_2addr_b64 v[218:221], v214 offset0:48 offset1:49
	v_add_f64 v[120:121], v[120:121], -v[124:125]
	v_add_f64 v[122:123], v[122:123], -v[212:213]
	s_waitcnt lgkmcnt(0)
	v_mul_f64 v[124:125], v[220:221], v[126:127]
	v_mul_f64 v[212:213], v[218:219], v[126:127]
	s_delay_alu instid0(VALU_DEP_2) | instskip(NEXT) | instid1(VALU_DEP_2)
	v_fma_f64 v[124:125], v[218:219], v[216:217], -v[124:125]
	v_fma_f64 v[212:213], v[220:221], v[216:217], v[212:213]
	ds_load_2addr_b64 v[218:221], v214 offset0:50 offset1:51
	v_add_f64 v[116:117], v[116:117], -v[124:125]
	v_add_f64 v[118:119], v[118:119], -v[212:213]
	s_waitcnt lgkmcnt(0)
	v_mul_f64 v[124:125], v[220:221], v[126:127]
	v_mul_f64 v[212:213], v[218:219], v[126:127]
	s_delay_alu instid0(VALU_DEP_2) | instskip(NEXT) | instid1(VALU_DEP_2)
	v_fma_f64 v[124:125], v[218:219], v[216:217], -v[124:125]
	;; [unrolled: 9-line block ×30, first 2 shown]
	v_fma_f64 v[212:213], v[220:221], v[216:217], v[212:213]
	s_delay_alu instid0(VALU_DEP_2) | instskip(NEXT) | instid1(VALU_DEP_2)
	v_add_f64 v[0:1], v[0:1], -v[124:125]
	v_add_f64 v[2:3], v[2:3], -v[212:213]
	v_dual_mov_b32 v124, v216 :: v_dual_mov_b32 v125, v217
.LBB107_208:
	s_or_b32 exec_lo, exec_lo, s3
	s_delay_alu instid0(SALU_CYCLE_1)
	s_mov_b32 s4, exec_lo
	s_waitcnt_vscnt null, 0x0
	s_barrier
	buffer_gl0_inv
	v_cmpx_eq_u32_e32 23, v215
	s_cbranch_execz .LBB107_215
; %bb.209:
	ds_store_2addr_b64 v204, v[120:121], v[122:123] offset1:1
	ds_store_2addr_b64 v214, v[116:117], v[118:119] offset0:48 offset1:49
	ds_store_2addr_b64 v214, v[112:113], v[114:115] offset0:50 offset1:51
	;; [unrolled: 1-line block ×30, first 2 shown]
	ds_load_2addr_b64 v[216:219], v204 offset1:1
	s_waitcnt lgkmcnt(0)
	v_cmp_neq_f64_e32 vcc_lo, 0, v[216:217]
	v_cmp_neq_f64_e64 s3, 0, v[218:219]
	s_delay_alu instid0(VALU_DEP_1) | instskip(NEXT) | instid1(SALU_CYCLE_1)
	s_or_b32 s3, vcc_lo, s3
	s_and_b32 exec_lo, exec_lo, s3
	s_cbranch_execz .LBB107_215
; %bb.210:
	v_cmp_gt_f64_e32 vcc_lo, 0, v[216:217]
	v_xor_b32_e32 v208, 0x80000000, v217
	s_delay_alu instid0(VALU_DEP_1) | instskip(SKIP_3) | instid1(VALU_DEP_1)
	v_cndmask_b32_e32 v213, v217, v208, vcc_lo
	v_cndmask_b32_e32 v212, v216, v216, vcc_lo
	v_cmp_gt_f64_e32 vcc_lo, 0, v[218:219]
	v_xor_b32_e32 v208, 0x80000000, v219
	v_dual_cndmask_b32 v220, v218, v218 :: v_dual_cndmask_b32 v221, v219, v208
	s_delay_alu instid0(VALU_DEP_1) | instskip(SKIP_1) | instid1(SALU_CYCLE_1)
	v_cmp_ngt_f64_e32 vcc_lo, v[212:213], v[220:221]
                                        ; implicit-def: $vgpr212_vgpr213
	s_and_saveexec_b32 s3, vcc_lo
	s_xor_b32 s3, exec_lo, s3
                                        ; implicit-def: $vgpr220_vgpr221_vgpr222_vgpr223
	s_cbranch_execz .LBB107_212
; %bb.211:
	v_div_scale_f64 v[212:213], null, v[218:219], v[218:219], v[216:217]
	v_div_scale_f64 v[224:225], vcc_lo, v[216:217], v[218:219], v[216:217]
	s_delay_alu instid0(VALU_DEP_2) | instskip(SKIP_2) | instid1(VALU_DEP_1)
	v_rcp_f64_e32 v[220:221], v[212:213]
	s_waitcnt_depctr 0xfff
	v_fma_f64 v[222:223], -v[212:213], v[220:221], 1.0
	v_fma_f64 v[220:221], v[220:221], v[222:223], v[220:221]
	s_delay_alu instid0(VALU_DEP_1) | instskip(NEXT) | instid1(VALU_DEP_1)
	v_fma_f64 v[222:223], -v[212:213], v[220:221], 1.0
	v_fma_f64 v[220:221], v[220:221], v[222:223], v[220:221]
	s_delay_alu instid0(VALU_DEP_1) | instskip(NEXT) | instid1(VALU_DEP_1)
	v_mul_f64 v[222:223], v[224:225], v[220:221]
	v_fma_f64 v[212:213], -v[212:213], v[222:223], v[224:225]
	s_delay_alu instid0(VALU_DEP_1) | instskip(NEXT) | instid1(VALU_DEP_1)
	v_div_fmas_f64 v[212:213], v[212:213], v[220:221], v[222:223]
	v_div_fixup_f64 v[212:213], v[212:213], v[218:219], v[216:217]
	s_delay_alu instid0(VALU_DEP_1) | instskip(NEXT) | instid1(VALU_DEP_1)
	v_fma_f64 v[216:217], v[216:217], v[212:213], v[218:219]
	v_div_scale_f64 v[218:219], null, v[216:217], v[216:217], 1.0
	s_delay_alu instid0(VALU_DEP_1) | instskip(SKIP_2) | instid1(VALU_DEP_1)
	v_rcp_f64_e32 v[220:221], v[218:219]
	s_waitcnt_depctr 0xfff
	v_fma_f64 v[222:223], -v[218:219], v[220:221], 1.0
	v_fma_f64 v[220:221], v[220:221], v[222:223], v[220:221]
	s_delay_alu instid0(VALU_DEP_1) | instskip(NEXT) | instid1(VALU_DEP_1)
	v_fma_f64 v[222:223], -v[218:219], v[220:221], 1.0
	v_fma_f64 v[220:221], v[220:221], v[222:223], v[220:221]
	v_div_scale_f64 v[222:223], vcc_lo, 1.0, v[216:217], 1.0
	s_delay_alu instid0(VALU_DEP_1) | instskip(NEXT) | instid1(VALU_DEP_1)
	v_mul_f64 v[224:225], v[222:223], v[220:221]
	v_fma_f64 v[218:219], -v[218:219], v[224:225], v[222:223]
	s_delay_alu instid0(VALU_DEP_1) | instskip(NEXT) | instid1(VALU_DEP_1)
	v_div_fmas_f64 v[218:219], v[218:219], v[220:221], v[224:225]
	v_div_fixup_f64 v[222:223], v[218:219], v[216:217], 1.0
                                        ; implicit-def: $vgpr216_vgpr217
	s_delay_alu instid0(VALU_DEP_1)
	v_mul_f64 v[212:213], v[212:213], v[222:223]
	v_xor_b32_e32 v223, 0x80000000, v223
.LBB107_212:
	s_and_not1_saveexec_b32 s3, s3
	s_cbranch_execz .LBB107_214
; %bb.213:
	v_div_scale_f64 v[212:213], null, v[216:217], v[216:217], v[218:219]
	v_div_scale_f64 v[224:225], vcc_lo, v[218:219], v[216:217], v[218:219]
	s_delay_alu instid0(VALU_DEP_2) | instskip(SKIP_2) | instid1(VALU_DEP_1)
	v_rcp_f64_e32 v[220:221], v[212:213]
	s_waitcnt_depctr 0xfff
	v_fma_f64 v[222:223], -v[212:213], v[220:221], 1.0
	v_fma_f64 v[220:221], v[220:221], v[222:223], v[220:221]
	s_delay_alu instid0(VALU_DEP_1) | instskip(NEXT) | instid1(VALU_DEP_1)
	v_fma_f64 v[222:223], -v[212:213], v[220:221], 1.0
	v_fma_f64 v[220:221], v[220:221], v[222:223], v[220:221]
	s_delay_alu instid0(VALU_DEP_1) | instskip(NEXT) | instid1(VALU_DEP_1)
	v_mul_f64 v[222:223], v[224:225], v[220:221]
	v_fma_f64 v[212:213], -v[212:213], v[222:223], v[224:225]
	s_delay_alu instid0(VALU_DEP_1) | instskip(NEXT) | instid1(VALU_DEP_1)
	v_div_fmas_f64 v[212:213], v[212:213], v[220:221], v[222:223]
	v_div_fixup_f64 v[220:221], v[212:213], v[216:217], v[218:219]
	s_delay_alu instid0(VALU_DEP_1) | instskip(NEXT) | instid1(VALU_DEP_1)
	v_fma_f64 v[212:213], v[218:219], v[220:221], v[216:217]
	v_div_scale_f64 v[216:217], null, v[212:213], v[212:213], 1.0
	s_delay_alu instid0(VALU_DEP_1) | instskip(SKIP_2) | instid1(VALU_DEP_1)
	v_rcp_f64_e32 v[218:219], v[216:217]
	s_waitcnt_depctr 0xfff
	v_fma_f64 v[222:223], -v[216:217], v[218:219], 1.0
	v_fma_f64 v[218:219], v[218:219], v[222:223], v[218:219]
	s_delay_alu instid0(VALU_DEP_1) | instskip(NEXT) | instid1(VALU_DEP_1)
	v_fma_f64 v[222:223], -v[216:217], v[218:219], 1.0
	v_fma_f64 v[218:219], v[218:219], v[222:223], v[218:219]
	v_div_scale_f64 v[222:223], vcc_lo, 1.0, v[212:213], 1.0
	s_delay_alu instid0(VALU_DEP_1) | instskip(NEXT) | instid1(VALU_DEP_1)
	v_mul_f64 v[224:225], v[222:223], v[218:219]
	v_fma_f64 v[216:217], -v[216:217], v[224:225], v[222:223]
	s_delay_alu instid0(VALU_DEP_1) | instskip(NEXT) | instid1(VALU_DEP_1)
	v_div_fmas_f64 v[216:217], v[216:217], v[218:219], v[224:225]
	v_div_fixup_f64 v[212:213], v[216:217], v[212:213], 1.0
	s_delay_alu instid0(VALU_DEP_1)
	v_mul_f64 v[222:223], v[220:221], -v[212:213]
.LBB107_214:
	s_or_b32 exec_lo, exec_lo, s3
	ds_store_2addr_b64 v204, v[212:213], v[222:223] offset1:1
.LBB107_215:
	s_or_b32 exec_lo, exec_lo, s4
	s_waitcnt lgkmcnt(0)
	s_barrier
	buffer_gl0_inv
	ds_load_2addr_b64 v[207:210], v204 offset1:1
	s_mov_b32 s3, exec_lo
	s_waitcnt lgkmcnt(0)
	scratch_store_b128 off, v[207:210], off offset:840 ; 16-byte Folded Spill
	v_cmpx_lt_u32_e32 23, v215
	s_cbranch_execz .LBB107_217
; %bb.216:
	scratch_load_b128 v[207:210], off, off offset:840 ; 16-byte Folded Reload
	ds_load_2addr_b64 v[218:221], v214 offset0:48 offset1:49
	s_waitcnt vmcnt(0)
	v_mul_f64 v[212:213], v[209:210], v[122:123]
	v_mul_f64 v[122:123], v[207:208], v[122:123]
	s_delay_alu instid0(VALU_DEP_2) | instskip(NEXT) | instid1(VALU_DEP_2)
	v_fma_f64 v[216:217], v[207:208], v[120:121], -v[212:213]
	v_fma_f64 v[122:123], v[209:210], v[120:121], v[122:123]
	s_waitcnt lgkmcnt(0)
	s_delay_alu instid0(VALU_DEP_1) | instskip(SKIP_1) | instid1(VALU_DEP_2)
	v_mul_f64 v[120:121], v[220:221], v[122:123]
	v_mul_f64 v[212:213], v[218:219], v[122:123]
	v_fma_f64 v[120:121], v[218:219], v[216:217], -v[120:121]
	s_delay_alu instid0(VALU_DEP_2)
	v_fma_f64 v[212:213], v[220:221], v[216:217], v[212:213]
	ds_load_2addr_b64 v[218:221], v214 offset0:50 offset1:51
	v_add_f64 v[116:117], v[116:117], -v[120:121]
	v_add_f64 v[118:119], v[118:119], -v[212:213]
	s_waitcnt lgkmcnt(0)
	v_mul_f64 v[120:121], v[220:221], v[122:123]
	v_mul_f64 v[212:213], v[218:219], v[122:123]
	s_delay_alu instid0(VALU_DEP_2) | instskip(NEXT) | instid1(VALU_DEP_2)
	v_fma_f64 v[120:121], v[218:219], v[216:217], -v[120:121]
	v_fma_f64 v[212:213], v[220:221], v[216:217], v[212:213]
	ds_load_2addr_b64 v[218:221], v214 offset0:52 offset1:53
	v_add_f64 v[112:113], v[112:113], -v[120:121]
	v_add_f64 v[114:115], v[114:115], -v[212:213]
	s_waitcnt lgkmcnt(0)
	v_mul_f64 v[120:121], v[220:221], v[122:123]
	v_mul_f64 v[212:213], v[218:219], v[122:123]
	s_delay_alu instid0(VALU_DEP_2) | instskip(NEXT) | instid1(VALU_DEP_2)
	v_fma_f64 v[120:121], v[218:219], v[216:217], -v[120:121]
	;; [unrolled: 9-line block ×29, first 2 shown]
	v_fma_f64 v[212:213], v[220:221], v[216:217], v[212:213]
	s_delay_alu instid0(VALU_DEP_2) | instskip(NEXT) | instid1(VALU_DEP_2)
	v_add_f64 v[0:1], v[0:1], -v[120:121]
	v_add_f64 v[2:3], v[2:3], -v[212:213]
	v_dual_mov_b32 v120, v216 :: v_dual_mov_b32 v121, v217
.LBB107_217:
	s_or_b32 exec_lo, exec_lo, s3
	s_delay_alu instid0(SALU_CYCLE_1)
	s_mov_b32 s4, exec_lo
	s_waitcnt_vscnt null, 0x0
	s_barrier
	buffer_gl0_inv
	v_cmpx_eq_u32_e32 24, v215
	s_cbranch_execz .LBB107_224
; %bb.218:
	ds_store_2addr_b64 v204, v[116:117], v[118:119] offset1:1
	ds_store_2addr_b64 v214, v[112:113], v[114:115] offset0:50 offset1:51
	ds_store_2addr_b64 v214, v[108:109], v[110:111] offset0:52 offset1:53
	;; [unrolled: 1-line block ×29, first 2 shown]
	ds_load_2addr_b64 v[216:219], v204 offset1:1
	s_waitcnt lgkmcnt(0)
	v_cmp_neq_f64_e32 vcc_lo, 0, v[216:217]
	v_cmp_neq_f64_e64 s3, 0, v[218:219]
	s_delay_alu instid0(VALU_DEP_1) | instskip(NEXT) | instid1(SALU_CYCLE_1)
	s_or_b32 s3, vcc_lo, s3
	s_and_b32 exec_lo, exec_lo, s3
	s_cbranch_execz .LBB107_224
; %bb.219:
	v_cmp_gt_f64_e32 vcc_lo, 0, v[216:217]
	v_xor_b32_e32 v208, 0x80000000, v217
	s_delay_alu instid0(VALU_DEP_1) | instskip(SKIP_3) | instid1(VALU_DEP_1)
	v_cndmask_b32_e32 v213, v217, v208, vcc_lo
	v_cndmask_b32_e32 v212, v216, v216, vcc_lo
	v_cmp_gt_f64_e32 vcc_lo, 0, v[218:219]
	v_xor_b32_e32 v208, 0x80000000, v219
	v_dual_cndmask_b32 v220, v218, v218 :: v_dual_cndmask_b32 v221, v219, v208
	s_delay_alu instid0(VALU_DEP_1) | instskip(SKIP_1) | instid1(SALU_CYCLE_1)
	v_cmp_ngt_f64_e32 vcc_lo, v[212:213], v[220:221]
                                        ; implicit-def: $vgpr212_vgpr213
	s_and_saveexec_b32 s3, vcc_lo
	s_xor_b32 s3, exec_lo, s3
                                        ; implicit-def: $vgpr220_vgpr221_vgpr222_vgpr223
	s_cbranch_execz .LBB107_221
; %bb.220:
	v_div_scale_f64 v[212:213], null, v[218:219], v[218:219], v[216:217]
	v_div_scale_f64 v[224:225], vcc_lo, v[216:217], v[218:219], v[216:217]
	s_delay_alu instid0(VALU_DEP_2) | instskip(SKIP_2) | instid1(VALU_DEP_1)
	v_rcp_f64_e32 v[220:221], v[212:213]
	s_waitcnt_depctr 0xfff
	v_fma_f64 v[222:223], -v[212:213], v[220:221], 1.0
	v_fma_f64 v[220:221], v[220:221], v[222:223], v[220:221]
	s_delay_alu instid0(VALU_DEP_1) | instskip(NEXT) | instid1(VALU_DEP_1)
	v_fma_f64 v[222:223], -v[212:213], v[220:221], 1.0
	v_fma_f64 v[220:221], v[220:221], v[222:223], v[220:221]
	s_delay_alu instid0(VALU_DEP_1) | instskip(NEXT) | instid1(VALU_DEP_1)
	v_mul_f64 v[222:223], v[224:225], v[220:221]
	v_fma_f64 v[212:213], -v[212:213], v[222:223], v[224:225]
	s_delay_alu instid0(VALU_DEP_1) | instskip(NEXT) | instid1(VALU_DEP_1)
	v_div_fmas_f64 v[212:213], v[212:213], v[220:221], v[222:223]
	v_div_fixup_f64 v[212:213], v[212:213], v[218:219], v[216:217]
	s_delay_alu instid0(VALU_DEP_1) | instskip(NEXT) | instid1(VALU_DEP_1)
	v_fma_f64 v[216:217], v[216:217], v[212:213], v[218:219]
	v_div_scale_f64 v[218:219], null, v[216:217], v[216:217], 1.0
	s_delay_alu instid0(VALU_DEP_1) | instskip(SKIP_2) | instid1(VALU_DEP_1)
	v_rcp_f64_e32 v[220:221], v[218:219]
	s_waitcnt_depctr 0xfff
	v_fma_f64 v[222:223], -v[218:219], v[220:221], 1.0
	v_fma_f64 v[220:221], v[220:221], v[222:223], v[220:221]
	s_delay_alu instid0(VALU_DEP_1) | instskip(NEXT) | instid1(VALU_DEP_1)
	v_fma_f64 v[222:223], -v[218:219], v[220:221], 1.0
	v_fma_f64 v[220:221], v[220:221], v[222:223], v[220:221]
	v_div_scale_f64 v[222:223], vcc_lo, 1.0, v[216:217], 1.0
	s_delay_alu instid0(VALU_DEP_1) | instskip(NEXT) | instid1(VALU_DEP_1)
	v_mul_f64 v[224:225], v[222:223], v[220:221]
	v_fma_f64 v[218:219], -v[218:219], v[224:225], v[222:223]
	s_delay_alu instid0(VALU_DEP_1) | instskip(NEXT) | instid1(VALU_DEP_1)
	v_div_fmas_f64 v[218:219], v[218:219], v[220:221], v[224:225]
	v_div_fixup_f64 v[222:223], v[218:219], v[216:217], 1.0
                                        ; implicit-def: $vgpr216_vgpr217
	s_delay_alu instid0(VALU_DEP_1)
	v_mul_f64 v[212:213], v[212:213], v[222:223]
	v_xor_b32_e32 v223, 0x80000000, v223
.LBB107_221:
	s_and_not1_saveexec_b32 s3, s3
	s_cbranch_execz .LBB107_223
; %bb.222:
	v_div_scale_f64 v[212:213], null, v[216:217], v[216:217], v[218:219]
	v_div_scale_f64 v[224:225], vcc_lo, v[218:219], v[216:217], v[218:219]
	s_delay_alu instid0(VALU_DEP_2) | instskip(SKIP_2) | instid1(VALU_DEP_1)
	v_rcp_f64_e32 v[220:221], v[212:213]
	s_waitcnt_depctr 0xfff
	v_fma_f64 v[222:223], -v[212:213], v[220:221], 1.0
	v_fma_f64 v[220:221], v[220:221], v[222:223], v[220:221]
	s_delay_alu instid0(VALU_DEP_1) | instskip(NEXT) | instid1(VALU_DEP_1)
	v_fma_f64 v[222:223], -v[212:213], v[220:221], 1.0
	v_fma_f64 v[220:221], v[220:221], v[222:223], v[220:221]
	s_delay_alu instid0(VALU_DEP_1) | instskip(NEXT) | instid1(VALU_DEP_1)
	v_mul_f64 v[222:223], v[224:225], v[220:221]
	v_fma_f64 v[212:213], -v[212:213], v[222:223], v[224:225]
	s_delay_alu instid0(VALU_DEP_1) | instskip(NEXT) | instid1(VALU_DEP_1)
	v_div_fmas_f64 v[212:213], v[212:213], v[220:221], v[222:223]
	v_div_fixup_f64 v[220:221], v[212:213], v[216:217], v[218:219]
	s_delay_alu instid0(VALU_DEP_1) | instskip(NEXT) | instid1(VALU_DEP_1)
	v_fma_f64 v[212:213], v[218:219], v[220:221], v[216:217]
	v_div_scale_f64 v[216:217], null, v[212:213], v[212:213], 1.0
	s_delay_alu instid0(VALU_DEP_1) | instskip(SKIP_2) | instid1(VALU_DEP_1)
	v_rcp_f64_e32 v[218:219], v[216:217]
	s_waitcnt_depctr 0xfff
	v_fma_f64 v[222:223], -v[216:217], v[218:219], 1.0
	v_fma_f64 v[218:219], v[218:219], v[222:223], v[218:219]
	s_delay_alu instid0(VALU_DEP_1) | instskip(NEXT) | instid1(VALU_DEP_1)
	v_fma_f64 v[222:223], -v[216:217], v[218:219], 1.0
	v_fma_f64 v[218:219], v[218:219], v[222:223], v[218:219]
	v_div_scale_f64 v[222:223], vcc_lo, 1.0, v[212:213], 1.0
	s_delay_alu instid0(VALU_DEP_1) | instskip(NEXT) | instid1(VALU_DEP_1)
	v_mul_f64 v[224:225], v[222:223], v[218:219]
	v_fma_f64 v[216:217], -v[216:217], v[224:225], v[222:223]
	s_delay_alu instid0(VALU_DEP_1) | instskip(NEXT) | instid1(VALU_DEP_1)
	v_div_fmas_f64 v[216:217], v[216:217], v[218:219], v[224:225]
	v_div_fixup_f64 v[212:213], v[216:217], v[212:213], 1.0
	s_delay_alu instid0(VALU_DEP_1)
	v_mul_f64 v[222:223], v[220:221], -v[212:213]
.LBB107_223:
	s_or_b32 exec_lo, exec_lo, s3
	ds_store_2addr_b64 v204, v[212:213], v[222:223] offset1:1
.LBB107_224:
	s_or_b32 exec_lo, exec_lo, s4
	s_waitcnt lgkmcnt(0)
	s_barrier
	buffer_gl0_inv
	ds_load_2addr_b64 v[207:210], v204 offset1:1
	s_mov_b32 s3, exec_lo
	s_waitcnt lgkmcnt(0)
	scratch_store_b128 off, v[207:210], off offset:856 ; 16-byte Folded Spill
	v_cmpx_lt_u32_e32 24, v215
	s_cbranch_execz .LBB107_226
; %bb.225:
	scratch_load_b128 v[207:210], off, off offset:856 ; 16-byte Folded Reload
	ds_load_2addr_b64 v[218:221], v214 offset0:50 offset1:51
	s_waitcnt vmcnt(0)
	v_mul_f64 v[212:213], v[209:210], v[118:119]
	v_mul_f64 v[118:119], v[207:208], v[118:119]
	s_delay_alu instid0(VALU_DEP_2) | instskip(NEXT) | instid1(VALU_DEP_2)
	v_fma_f64 v[216:217], v[207:208], v[116:117], -v[212:213]
	v_fma_f64 v[118:119], v[209:210], v[116:117], v[118:119]
	s_waitcnt lgkmcnt(0)
	s_delay_alu instid0(VALU_DEP_1) | instskip(SKIP_1) | instid1(VALU_DEP_2)
	v_mul_f64 v[116:117], v[220:221], v[118:119]
	v_mul_f64 v[212:213], v[218:219], v[118:119]
	v_fma_f64 v[116:117], v[218:219], v[216:217], -v[116:117]
	s_delay_alu instid0(VALU_DEP_2)
	v_fma_f64 v[212:213], v[220:221], v[216:217], v[212:213]
	ds_load_2addr_b64 v[218:221], v214 offset0:52 offset1:53
	v_add_f64 v[112:113], v[112:113], -v[116:117]
	v_add_f64 v[114:115], v[114:115], -v[212:213]
	s_waitcnt lgkmcnt(0)
	v_mul_f64 v[116:117], v[220:221], v[118:119]
	v_mul_f64 v[212:213], v[218:219], v[118:119]
	s_delay_alu instid0(VALU_DEP_2) | instskip(NEXT) | instid1(VALU_DEP_2)
	v_fma_f64 v[116:117], v[218:219], v[216:217], -v[116:117]
	v_fma_f64 v[212:213], v[220:221], v[216:217], v[212:213]
	ds_load_2addr_b64 v[218:221], v214 offset0:54 offset1:55
	v_add_f64 v[108:109], v[108:109], -v[116:117]
	v_add_f64 v[110:111], v[110:111], -v[212:213]
	s_waitcnt lgkmcnt(0)
	v_mul_f64 v[116:117], v[220:221], v[118:119]
	v_mul_f64 v[212:213], v[218:219], v[118:119]
	s_delay_alu instid0(VALU_DEP_2) | instskip(NEXT) | instid1(VALU_DEP_2)
	v_fma_f64 v[116:117], v[218:219], v[216:217], -v[116:117]
	;; [unrolled: 9-line block ×28, first 2 shown]
	v_fma_f64 v[212:213], v[220:221], v[216:217], v[212:213]
	s_delay_alu instid0(VALU_DEP_2) | instskip(NEXT) | instid1(VALU_DEP_2)
	v_add_f64 v[0:1], v[0:1], -v[116:117]
	v_add_f64 v[2:3], v[2:3], -v[212:213]
	v_dual_mov_b32 v116, v216 :: v_dual_mov_b32 v117, v217
.LBB107_226:
	s_or_b32 exec_lo, exec_lo, s3
	s_delay_alu instid0(SALU_CYCLE_1)
	s_mov_b32 s4, exec_lo
	s_waitcnt_vscnt null, 0x0
	s_barrier
	buffer_gl0_inv
	v_cmpx_eq_u32_e32 25, v215
	s_cbranch_execz .LBB107_233
; %bb.227:
	ds_store_2addr_b64 v204, v[112:113], v[114:115] offset1:1
	ds_store_2addr_b64 v214, v[108:109], v[110:111] offset0:52 offset1:53
	ds_store_2addr_b64 v214, v[104:105], v[106:107] offset0:54 offset1:55
	ds_store_2addr_b64 v214, v[100:101], v[102:103] offset0:56 offset1:57
	ds_store_2addr_b64 v214, v[96:97], v[98:99] offset0:58 offset1:59
	ds_store_2addr_b64 v214, v[92:93], v[94:95] offset0:60 offset1:61
	ds_store_2addr_b64 v214, v[88:89], v[90:91] offset0:62 offset1:63
	ds_store_2addr_b64 v214, v[84:85], v[86:87] offset0:64 offset1:65
	ds_store_2addr_b64 v214, v[80:81], v[82:83] offset0:66 offset1:67
	ds_store_2addr_b64 v214, v[76:77], v[78:79] offset0:68 offset1:69
	ds_store_2addr_b64 v214, v[72:73], v[74:75] offset0:70 offset1:71
	ds_store_2addr_b64 v214, v[68:69], v[70:71] offset0:72 offset1:73
	ds_store_2addr_b64 v214, v[64:65], v[66:67] offset0:74 offset1:75
	ds_store_2addr_b64 v214, v[60:61], v[62:63] offset0:76 offset1:77
	ds_store_2addr_b64 v214, v[56:57], v[58:59] offset0:78 offset1:79
	ds_store_2addr_b64 v214, v[52:53], v[54:55] offset0:80 offset1:81
	ds_store_2addr_b64 v214, v[48:49], v[50:51] offset0:82 offset1:83
	ds_store_2addr_b64 v214, v[44:45], v[46:47] offset0:84 offset1:85
	ds_store_2addr_b64 v214, v[40:41], v[42:43] offset0:86 offset1:87
	ds_store_2addr_b64 v214, v[36:37], v[38:39] offset0:88 offset1:89
	ds_store_2addr_b64 v214, v[32:33], v[34:35] offset0:90 offset1:91
	ds_store_2addr_b64 v214, v[28:29], v[30:31] offset0:92 offset1:93
	ds_store_2addr_b64 v214, v[24:25], v[26:27] offset0:94 offset1:95
	ds_store_2addr_b64 v214, v[20:21], v[22:23] offset0:96 offset1:97
	ds_store_2addr_b64 v214, v[16:17], v[18:19] offset0:98 offset1:99
	ds_store_2addr_b64 v214, v[12:13], v[14:15] offset0:100 offset1:101
	ds_store_2addr_b64 v214, v[8:9], v[10:11] offset0:102 offset1:103
	ds_store_2addr_b64 v214, v[4:5], v[6:7] offset0:104 offset1:105
	ds_store_2addr_b64 v214, v[0:1], v[2:3] offset0:106 offset1:107
	ds_load_2addr_b64 v[216:219], v204 offset1:1
	s_waitcnt lgkmcnt(0)
	v_cmp_neq_f64_e32 vcc_lo, 0, v[216:217]
	v_cmp_neq_f64_e64 s3, 0, v[218:219]
	s_delay_alu instid0(VALU_DEP_1) | instskip(NEXT) | instid1(SALU_CYCLE_1)
	s_or_b32 s3, vcc_lo, s3
	s_and_b32 exec_lo, exec_lo, s3
	s_cbranch_execz .LBB107_233
; %bb.228:
	v_cmp_gt_f64_e32 vcc_lo, 0, v[216:217]
	v_xor_b32_e32 v208, 0x80000000, v217
	s_delay_alu instid0(VALU_DEP_1) | instskip(SKIP_3) | instid1(VALU_DEP_1)
	v_cndmask_b32_e32 v213, v217, v208, vcc_lo
	v_cndmask_b32_e32 v212, v216, v216, vcc_lo
	v_cmp_gt_f64_e32 vcc_lo, 0, v[218:219]
	v_xor_b32_e32 v208, 0x80000000, v219
	v_dual_cndmask_b32 v220, v218, v218 :: v_dual_cndmask_b32 v221, v219, v208
	s_delay_alu instid0(VALU_DEP_1) | instskip(SKIP_1) | instid1(SALU_CYCLE_1)
	v_cmp_ngt_f64_e32 vcc_lo, v[212:213], v[220:221]
                                        ; implicit-def: $vgpr212_vgpr213
	s_and_saveexec_b32 s3, vcc_lo
	s_xor_b32 s3, exec_lo, s3
                                        ; implicit-def: $vgpr220_vgpr221_vgpr222_vgpr223
	s_cbranch_execz .LBB107_230
; %bb.229:
	v_div_scale_f64 v[212:213], null, v[218:219], v[218:219], v[216:217]
	v_div_scale_f64 v[224:225], vcc_lo, v[216:217], v[218:219], v[216:217]
	s_delay_alu instid0(VALU_DEP_2) | instskip(SKIP_2) | instid1(VALU_DEP_1)
	v_rcp_f64_e32 v[220:221], v[212:213]
	s_waitcnt_depctr 0xfff
	v_fma_f64 v[222:223], -v[212:213], v[220:221], 1.0
	v_fma_f64 v[220:221], v[220:221], v[222:223], v[220:221]
	s_delay_alu instid0(VALU_DEP_1) | instskip(NEXT) | instid1(VALU_DEP_1)
	v_fma_f64 v[222:223], -v[212:213], v[220:221], 1.0
	v_fma_f64 v[220:221], v[220:221], v[222:223], v[220:221]
	s_delay_alu instid0(VALU_DEP_1) | instskip(NEXT) | instid1(VALU_DEP_1)
	v_mul_f64 v[222:223], v[224:225], v[220:221]
	v_fma_f64 v[212:213], -v[212:213], v[222:223], v[224:225]
	s_delay_alu instid0(VALU_DEP_1) | instskip(NEXT) | instid1(VALU_DEP_1)
	v_div_fmas_f64 v[212:213], v[212:213], v[220:221], v[222:223]
	v_div_fixup_f64 v[212:213], v[212:213], v[218:219], v[216:217]
	s_delay_alu instid0(VALU_DEP_1) | instskip(NEXT) | instid1(VALU_DEP_1)
	v_fma_f64 v[216:217], v[216:217], v[212:213], v[218:219]
	v_div_scale_f64 v[218:219], null, v[216:217], v[216:217], 1.0
	s_delay_alu instid0(VALU_DEP_1) | instskip(SKIP_2) | instid1(VALU_DEP_1)
	v_rcp_f64_e32 v[220:221], v[218:219]
	s_waitcnt_depctr 0xfff
	v_fma_f64 v[222:223], -v[218:219], v[220:221], 1.0
	v_fma_f64 v[220:221], v[220:221], v[222:223], v[220:221]
	s_delay_alu instid0(VALU_DEP_1) | instskip(NEXT) | instid1(VALU_DEP_1)
	v_fma_f64 v[222:223], -v[218:219], v[220:221], 1.0
	v_fma_f64 v[220:221], v[220:221], v[222:223], v[220:221]
	v_div_scale_f64 v[222:223], vcc_lo, 1.0, v[216:217], 1.0
	s_delay_alu instid0(VALU_DEP_1) | instskip(NEXT) | instid1(VALU_DEP_1)
	v_mul_f64 v[224:225], v[222:223], v[220:221]
	v_fma_f64 v[218:219], -v[218:219], v[224:225], v[222:223]
	s_delay_alu instid0(VALU_DEP_1) | instskip(NEXT) | instid1(VALU_DEP_1)
	v_div_fmas_f64 v[218:219], v[218:219], v[220:221], v[224:225]
	v_div_fixup_f64 v[222:223], v[218:219], v[216:217], 1.0
                                        ; implicit-def: $vgpr216_vgpr217
	s_delay_alu instid0(VALU_DEP_1)
	v_mul_f64 v[212:213], v[212:213], v[222:223]
	v_xor_b32_e32 v223, 0x80000000, v223
.LBB107_230:
	s_and_not1_saveexec_b32 s3, s3
	s_cbranch_execz .LBB107_232
; %bb.231:
	v_div_scale_f64 v[212:213], null, v[216:217], v[216:217], v[218:219]
	v_div_scale_f64 v[224:225], vcc_lo, v[218:219], v[216:217], v[218:219]
	s_delay_alu instid0(VALU_DEP_2) | instskip(SKIP_2) | instid1(VALU_DEP_1)
	v_rcp_f64_e32 v[220:221], v[212:213]
	s_waitcnt_depctr 0xfff
	v_fma_f64 v[222:223], -v[212:213], v[220:221], 1.0
	v_fma_f64 v[220:221], v[220:221], v[222:223], v[220:221]
	s_delay_alu instid0(VALU_DEP_1) | instskip(NEXT) | instid1(VALU_DEP_1)
	v_fma_f64 v[222:223], -v[212:213], v[220:221], 1.0
	v_fma_f64 v[220:221], v[220:221], v[222:223], v[220:221]
	s_delay_alu instid0(VALU_DEP_1) | instskip(NEXT) | instid1(VALU_DEP_1)
	v_mul_f64 v[222:223], v[224:225], v[220:221]
	v_fma_f64 v[212:213], -v[212:213], v[222:223], v[224:225]
	s_delay_alu instid0(VALU_DEP_1) | instskip(NEXT) | instid1(VALU_DEP_1)
	v_div_fmas_f64 v[212:213], v[212:213], v[220:221], v[222:223]
	v_div_fixup_f64 v[220:221], v[212:213], v[216:217], v[218:219]
	s_delay_alu instid0(VALU_DEP_1) | instskip(NEXT) | instid1(VALU_DEP_1)
	v_fma_f64 v[212:213], v[218:219], v[220:221], v[216:217]
	v_div_scale_f64 v[216:217], null, v[212:213], v[212:213], 1.0
	s_delay_alu instid0(VALU_DEP_1) | instskip(SKIP_2) | instid1(VALU_DEP_1)
	v_rcp_f64_e32 v[218:219], v[216:217]
	s_waitcnt_depctr 0xfff
	v_fma_f64 v[222:223], -v[216:217], v[218:219], 1.0
	v_fma_f64 v[218:219], v[218:219], v[222:223], v[218:219]
	s_delay_alu instid0(VALU_DEP_1) | instskip(NEXT) | instid1(VALU_DEP_1)
	v_fma_f64 v[222:223], -v[216:217], v[218:219], 1.0
	v_fma_f64 v[218:219], v[218:219], v[222:223], v[218:219]
	v_div_scale_f64 v[222:223], vcc_lo, 1.0, v[212:213], 1.0
	s_delay_alu instid0(VALU_DEP_1) | instskip(NEXT) | instid1(VALU_DEP_1)
	v_mul_f64 v[224:225], v[222:223], v[218:219]
	v_fma_f64 v[216:217], -v[216:217], v[224:225], v[222:223]
	s_delay_alu instid0(VALU_DEP_1) | instskip(NEXT) | instid1(VALU_DEP_1)
	v_div_fmas_f64 v[216:217], v[216:217], v[218:219], v[224:225]
	v_div_fixup_f64 v[212:213], v[216:217], v[212:213], 1.0
	s_delay_alu instid0(VALU_DEP_1)
	v_mul_f64 v[222:223], v[220:221], -v[212:213]
.LBB107_232:
	s_or_b32 exec_lo, exec_lo, s3
	ds_store_2addr_b64 v204, v[212:213], v[222:223] offset1:1
.LBB107_233:
	s_or_b32 exec_lo, exec_lo, s4
	s_waitcnt lgkmcnt(0)
	s_barrier
	buffer_gl0_inv
	ds_load_2addr_b64 v[207:210], v204 offset1:1
	s_mov_b32 s3, exec_lo
	s_waitcnt lgkmcnt(0)
	scratch_store_b128 off, v[207:210], off offset:872 ; 16-byte Folded Spill
	v_cmpx_lt_u32_e32 25, v215
	s_cbranch_execz .LBB107_235
; %bb.234:
	scratch_load_b128 v[207:210], off, off offset:872 ; 16-byte Folded Reload
	ds_load_2addr_b64 v[218:221], v214 offset0:52 offset1:53
	s_waitcnt vmcnt(0)
	v_mul_f64 v[212:213], v[209:210], v[114:115]
	v_mul_f64 v[114:115], v[207:208], v[114:115]
	s_delay_alu instid0(VALU_DEP_2) | instskip(NEXT) | instid1(VALU_DEP_2)
	v_fma_f64 v[216:217], v[207:208], v[112:113], -v[212:213]
	v_fma_f64 v[114:115], v[209:210], v[112:113], v[114:115]
	s_waitcnt lgkmcnt(0)
	s_delay_alu instid0(VALU_DEP_1) | instskip(SKIP_1) | instid1(VALU_DEP_2)
	v_mul_f64 v[112:113], v[220:221], v[114:115]
	v_mul_f64 v[212:213], v[218:219], v[114:115]
	v_fma_f64 v[112:113], v[218:219], v[216:217], -v[112:113]
	s_delay_alu instid0(VALU_DEP_2)
	v_fma_f64 v[212:213], v[220:221], v[216:217], v[212:213]
	ds_load_2addr_b64 v[218:221], v214 offset0:54 offset1:55
	v_add_f64 v[108:109], v[108:109], -v[112:113]
	v_add_f64 v[110:111], v[110:111], -v[212:213]
	s_waitcnt lgkmcnt(0)
	v_mul_f64 v[112:113], v[220:221], v[114:115]
	v_mul_f64 v[212:213], v[218:219], v[114:115]
	s_delay_alu instid0(VALU_DEP_2) | instskip(NEXT) | instid1(VALU_DEP_2)
	v_fma_f64 v[112:113], v[218:219], v[216:217], -v[112:113]
	v_fma_f64 v[212:213], v[220:221], v[216:217], v[212:213]
	ds_load_2addr_b64 v[218:221], v214 offset0:56 offset1:57
	v_add_f64 v[104:105], v[104:105], -v[112:113]
	v_add_f64 v[106:107], v[106:107], -v[212:213]
	s_waitcnt lgkmcnt(0)
	v_mul_f64 v[112:113], v[220:221], v[114:115]
	v_mul_f64 v[212:213], v[218:219], v[114:115]
	s_delay_alu instid0(VALU_DEP_2) | instskip(NEXT) | instid1(VALU_DEP_2)
	v_fma_f64 v[112:113], v[218:219], v[216:217], -v[112:113]
	;; [unrolled: 9-line block ×27, first 2 shown]
	v_fma_f64 v[212:213], v[220:221], v[216:217], v[212:213]
	s_delay_alu instid0(VALU_DEP_2) | instskip(NEXT) | instid1(VALU_DEP_2)
	v_add_f64 v[0:1], v[0:1], -v[112:113]
	v_add_f64 v[2:3], v[2:3], -v[212:213]
	v_dual_mov_b32 v112, v216 :: v_dual_mov_b32 v113, v217
.LBB107_235:
	s_or_b32 exec_lo, exec_lo, s3
	s_delay_alu instid0(SALU_CYCLE_1)
	s_mov_b32 s4, exec_lo
	s_waitcnt_vscnt null, 0x0
	s_barrier
	buffer_gl0_inv
	v_cmpx_eq_u32_e32 26, v215
	s_cbranch_execz .LBB107_242
; %bb.236:
	ds_store_2addr_b64 v204, v[108:109], v[110:111] offset1:1
	ds_store_2addr_b64 v214, v[104:105], v[106:107] offset0:54 offset1:55
	ds_store_2addr_b64 v214, v[100:101], v[102:103] offset0:56 offset1:57
	;; [unrolled: 1-line block ×27, first 2 shown]
	ds_load_2addr_b64 v[216:219], v204 offset1:1
	s_waitcnt lgkmcnt(0)
	v_cmp_neq_f64_e32 vcc_lo, 0, v[216:217]
	v_cmp_neq_f64_e64 s3, 0, v[218:219]
	s_delay_alu instid0(VALU_DEP_1) | instskip(NEXT) | instid1(SALU_CYCLE_1)
	s_or_b32 s3, vcc_lo, s3
	s_and_b32 exec_lo, exec_lo, s3
	s_cbranch_execz .LBB107_242
; %bb.237:
	v_cmp_gt_f64_e32 vcc_lo, 0, v[216:217]
	v_xor_b32_e32 v208, 0x80000000, v217
	s_delay_alu instid0(VALU_DEP_1) | instskip(SKIP_3) | instid1(VALU_DEP_1)
	v_cndmask_b32_e32 v213, v217, v208, vcc_lo
	v_cndmask_b32_e32 v212, v216, v216, vcc_lo
	v_cmp_gt_f64_e32 vcc_lo, 0, v[218:219]
	v_xor_b32_e32 v208, 0x80000000, v219
	v_dual_cndmask_b32 v220, v218, v218 :: v_dual_cndmask_b32 v221, v219, v208
	s_delay_alu instid0(VALU_DEP_1) | instskip(SKIP_1) | instid1(SALU_CYCLE_1)
	v_cmp_ngt_f64_e32 vcc_lo, v[212:213], v[220:221]
                                        ; implicit-def: $vgpr212_vgpr213
	s_and_saveexec_b32 s3, vcc_lo
	s_xor_b32 s3, exec_lo, s3
                                        ; implicit-def: $vgpr220_vgpr221_vgpr222_vgpr223
	s_cbranch_execz .LBB107_239
; %bb.238:
	v_div_scale_f64 v[212:213], null, v[218:219], v[218:219], v[216:217]
	v_div_scale_f64 v[224:225], vcc_lo, v[216:217], v[218:219], v[216:217]
	s_delay_alu instid0(VALU_DEP_2) | instskip(SKIP_2) | instid1(VALU_DEP_1)
	v_rcp_f64_e32 v[220:221], v[212:213]
	s_waitcnt_depctr 0xfff
	v_fma_f64 v[222:223], -v[212:213], v[220:221], 1.0
	v_fma_f64 v[220:221], v[220:221], v[222:223], v[220:221]
	s_delay_alu instid0(VALU_DEP_1) | instskip(NEXT) | instid1(VALU_DEP_1)
	v_fma_f64 v[222:223], -v[212:213], v[220:221], 1.0
	v_fma_f64 v[220:221], v[220:221], v[222:223], v[220:221]
	s_delay_alu instid0(VALU_DEP_1) | instskip(NEXT) | instid1(VALU_DEP_1)
	v_mul_f64 v[222:223], v[224:225], v[220:221]
	v_fma_f64 v[212:213], -v[212:213], v[222:223], v[224:225]
	s_delay_alu instid0(VALU_DEP_1) | instskip(NEXT) | instid1(VALU_DEP_1)
	v_div_fmas_f64 v[212:213], v[212:213], v[220:221], v[222:223]
	v_div_fixup_f64 v[212:213], v[212:213], v[218:219], v[216:217]
	s_delay_alu instid0(VALU_DEP_1) | instskip(NEXT) | instid1(VALU_DEP_1)
	v_fma_f64 v[216:217], v[216:217], v[212:213], v[218:219]
	v_div_scale_f64 v[218:219], null, v[216:217], v[216:217], 1.0
	s_delay_alu instid0(VALU_DEP_1) | instskip(SKIP_2) | instid1(VALU_DEP_1)
	v_rcp_f64_e32 v[220:221], v[218:219]
	s_waitcnt_depctr 0xfff
	v_fma_f64 v[222:223], -v[218:219], v[220:221], 1.0
	v_fma_f64 v[220:221], v[220:221], v[222:223], v[220:221]
	s_delay_alu instid0(VALU_DEP_1) | instskip(NEXT) | instid1(VALU_DEP_1)
	v_fma_f64 v[222:223], -v[218:219], v[220:221], 1.0
	v_fma_f64 v[220:221], v[220:221], v[222:223], v[220:221]
	v_div_scale_f64 v[222:223], vcc_lo, 1.0, v[216:217], 1.0
	s_delay_alu instid0(VALU_DEP_1) | instskip(NEXT) | instid1(VALU_DEP_1)
	v_mul_f64 v[224:225], v[222:223], v[220:221]
	v_fma_f64 v[218:219], -v[218:219], v[224:225], v[222:223]
	s_delay_alu instid0(VALU_DEP_1) | instskip(NEXT) | instid1(VALU_DEP_1)
	v_div_fmas_f64 v[218:219], v[218:219], v[220:221], v[224:225]
	v_div_fixup_f64 v[222:223], v[218:219], v[216:217], 1.0
                                        ; implicit-def: $vgpr216_vgpr217
	s_delay_alu instid0(VALU_DEP_1)
	v_mul_f64 v[212:213], v[212:213], v[222:223]
	v_xor_b32_e32 v223, 0x80000000, v223
.LBB107_239:
	s_and_not1_saveexec_b32 s3, s3
	s_cbranch_execz .LBB107_241
; %bb.240:
	v_div_scale_f64 v[212:213], null, v[216:217], v[216:217], v[218:219]
	v_div_scale_f64 v[224:225], vcc_lo, v[218:219], v[216:217], v[218:219]
	s_delay_alu instid0(VALU_DEP_2) | instskip(SKIP_2) | instid1(VALU_DEP_1)
	v_rcp_f64_e32 v[220:221], v[212:213]
	s_waitcnt_depctr 0xfff
	v_fma_f64 v[222:223], -v[212:213], v[220:221], 1.0
	v_fma_f64 v[220:221], v[220:221], v[222:223], v[220:221]
	s_delay_alu instid0(VALU_DEP_1) | instskip(NEXT) | instid1(VALU_DEP_1)
	v_fma_f64 v[222:223], -v[212:213], v[220:221], 1.0
	v_fma_f64 v[220:221], v[220:221], v[222:223], v[220:221]
	s_delay_alu instid0(VALU_DEP_1) | instskip(NEXT) | instid1(VALU_DEP_1)
	v_mul_f64 v[222:223], v[224:225], v[220:221]
	v_fma_f64 v[212:213], -v[212:213], v[222:223], v[224:225]
	s_delay_alu instid0(VALU_DEP_1) | instskip(NEXT) | instid1(VALU_DEP_1)
	v_div_fmas_f64 v[212:213], v[212:213], v[220:221], v[222:223]
	v_div_fixup_f64 v[220:221], v[212:213], v[216:217], v[218:219]
	s_delay_alu instid0(VALU_DEP_1) | instskip(NEXT) | instid1(VALU_DEP_1)
	v_fma_f64 v[212:213], v[218:219], v[220:221], v[216:217]
	v_div_scale_f64 v[216:217], null, v[212:213], v[212:213], 1.0
	s_delay_alu instid0(VALU_DEP_1) | instskip(SKIP_2) | instid1(VALU_DEP_1)
	v_rcp_f64_e32 v[218:219], v[216:217]
	s_waitcnt_depctr 0xfff
	v_fma_f64 v[222:223], -v[216:217], v[218:219], 1.0
	v_fma_f64 v[218:219], v[218:219], v[222:223], v[218:219]
	s_delay_alu instid0(VALU_DEP_1) | instskip(NEXT) | instid1(VALU_DEP_1)
	v_fma_f64 v[222:223], -v[216:217], v[218:219], 1.0
	v_fma_f64 v[218:219], v[218:219], v[222:223], v[218:219]
	v_div_scale_f64 v[222:223], vcc_lo, 1.0, v[212:213], 1.0
	s_delay_alu instid0(VALU_DEP_1) | instskip(NEXT) | instid1(VALU_DEP_1)
	v_mul_f64 v[224:225], v[222:223], v[218:219]
	v_fma_f64 v[216:217], -v[216:217], v[224:225], v[222:223]
	s_delay_alu instid0(VALU_DEP_1) | instskip(NEXT) | instid1(VALU_DEP_1)
	v_div_fmas_f64 v[216:217], v[216:217], v[218:219], v[224:225]
	v_div_fixup_f64 v[212:213], v[216:217], v[212:213], 1.0
	s_delay_alu instid0(VALU_DEP_1)
	v_mul_f64 v[222:223], v[220:221], -v[212:213]
.LBB107_241:
	s_or_b32 exec_lo, exec_lo, s3
	ds_store_2addr_b64 v204, v[212:213], v[222:223] offset1:1
.LBB107_242:
	s_or_b32 exec_lo, exec_lo, s4
	s_waitcnt lgkmcnt(0)
	s_barrier
	buffer_gl0_inv
	ds_load_2addr_b64 v[207:210], v204 offset1:1
	s_mov_b32 s3, exec_lo
	s_waitcnt lgkmcnt(0)
	scratch_store_b128 off, v[207:210], off offset:888 ; 16-byte Folded Spill
	v_cmpx_lt_u32_e32 26, v215
	s_cbranch_execz .LBB107_244
; %bb.243:
	scratch_load_b128 v[207:210], off, off offset:888 ; 16-byte Folded Reload
	ds_load_2addr_b64 v[218:221], v214 offset0:54 offset1:55
	s_waitcnt vmcnt(0)
	v_mul_f64 v[212:213], v[209:210], v[110:111]
	v_mul_f64 v[110:111], v[207:208], v[110:111]
	s_delay_alu instid0(VALU_DEP_2) | instskip(NEXT) | instid1(VALU_DEP_2)
	v_fma_f64 v[216:217], v[207:208], v[108:109], -v[212:213]
	v_fma_f64 v[110:111], v[209:210], v[108:109], v[110:111]
	s_waitcnt lgkmcnt(0)
	s_delay_alu instid0(VALU_DEP_1) | instskip(SKIP_1) | instid1(VALU_DEP_2)
	v_mul_f64 v[108:109], v[220:221], v[110:111]
	v_mul_f64 v[212:213], v[218:219], v[110:111]
	v_fma_f64 v[108:109], v[218:219], v[216:217], -v[108:109]
	s_delay_alu instid0(VALU_DEP_2)
	v_fma_f64 v[212:213], v[220:221], v[216:217], v[212:213]
	ds_load_2addr_b64 v[218:221], v214 offset0:56 offset1:57
	v_add_f64 v[104:105], v[104:105], -v[108:109]
	v_add_f64 v[106:107], v[106:107], -v[212:213]
	s_waitcnt lgkmcnt(0)
	v_mul_f64 v[108:109], v[220:221], v[110:111]
	v_mul_f64 v[212:213], v[218:219], v[110:111]
	s_delay_alu instid0(VALU_DEP_2) | instskip(NEXT) | instid1(VALU_DEP_2)
	v_fma_f64 v[108:109], v[218:219], v[216:217], -v[108:109]
	v_fma_f64 v[212:213], v[220:221], v[216:217], v[212:213]
	ds_load_2addr_b64 v[218:221], v214 offset0:58 offset1:59
	v_add_f64 v[100:101], v[100:101], -v[108:109]
	v_add_f64 v[102:103], v[102:103], -v[212:213]
	s_waitcnt lgkmcnt(0)
	v_mul_f64 v[108:109], v[220:221], v[110:111]
	v_mul_f64 v[212:213], v[218:219], v[110:111]
	s_delay_alu instid0(VALU_DEP_2) | instskip(NEXT) | instid1(VALU_DEP_2)
	v_fma_f64 v[108:109], v[218:219], v[216:217], -v[108:109]
	v_fma_f64 v[212:213], v[220:221], v[216:217], v[212:213]
	ds_load_2addr_b64 v[218:221], v214 offset0:60 offset1:61
	v_add_f64 v[96:97], v[96:97], -v[108:109]
	v_add_f64 v[98:99], v[98:99], -v[212:213]
	s_waitcnt lgkmcnt(0)
	v_mul_f64 v[108:109], v[220:221], v[110:111]
	v_mul_f64 v[212:213], v[218:219], v[110:111]
	s_delay_alu instid0(VALU_DEP_2) | instskip(NEXT) | instid1(VALU_DEP_2)
	v_fma_f64 v[108:109], v[218:219], v[216:217], -v[108:109]
	v_fma_f64 v[212:213], v[220:221], v[216:217], v[212:213]
	ds_load_2addr_b64 v[218:221], v214 offset0:62 offset1:63
	v_add_f64 v[92:93], v[92:93], -v[108:109]
	v_add_f64 v[94:95], v[94:95], -v[212:213]
	s_waitcnt lgkmcnt(0)
	v_mul_f64 v[108:109], v[220:221], v[110:111]
	v_mul_f64 v[212:213], v[218:219], v[110:111]
	s_delay_alu instid0(VALU_DEP_2) | instskip(NEXT) | instid1(VALU_DEP_2)
	v_fma_f64 v[108:109], v[218:219], v[216:217], -v[108:109]
	v_fma_f64 v[212:213], v[220:221], v[216:217], v[212:213]
	ds_load_2addr_b64 v[218:221], v214 offset0:64 offset1:65
	v_add_f64 v[88:89], v[88:89], -v[108:109]
	v_add_f64 v[90:91], v[90:91], -v[212:213]
	s_waitcnt lgkmcnt(0)
	v_mul_f64 v[108:109], v[220:221], v[110:111]
	v_mul_f64 v[212:213], v[218:219], v[110:111]
	s_delay_alu instid0(VALU_DEP_2) | instskip(NEXT) | instid1(VALU_DEP_2)
	v_fma_f64 v[108:109], v[218:219], v[216:217], -v[108:109]
	v_fma_f64 v[212:213], v[220:221], v[216:217], v[212:213]
	ds_load_2addr_b64 v[218:221], v214 offset0:66 offset1:67
	v_add_f64 v[84:85], v[84:85], -v[108:109]
	v_add_f64 v[86:87], v[86:87], -v[212:213]
	s_waitcnt lgkmcnt(0)
	v_mul_f64 v[108:109], v[220:221], v[110:111]
	v_mul_f64 v[212:213], v[218:219], v[110:111]
	s_delay_alu instid0(VALU_DEP_2) | instskip(NEXT) | instid1(VALU_DEP_2)
	v_fma_f64 v[108:109], v[218:219], v[216:217], -v[108:109]
	v_fma_f64 v[212:213], v[220:221], v[216:217], v[212:213]
	ds_load_2addr_b64 v[218:221], v214 offset0:68 offset1:69
	v_add_f64 v[80:81], v[80:81], -v[108:109]
	v_add_f64 v[82:83], v[82:83], -v[212:213]
	s_waitcnt lgkmcnt(0)
	v_mul_f64 v[108:109], v[220:221], v[110:111]
	v_mul_f64 v[212:213], v[218:219], v[110:111]
	s_delay_alu instid0(VALU_DEP_2) | instskip(NEXT) | instid1(VALU_DEP_2)
	v_fma_f64 v[108:109], v[218:219], v[216:217], -v[108:109]
	v_fma_f64 v[212:213], v[220:221], v[216:217], v[212:213]
	ds_load_2addr_b64 v[218:221], v214 offset0:70 offset1:71
	v_add_f64 v[76:77], v[76:77], -v[108:109]
	v_add_f64 v[78:79], v[78:79], -v[212:213]
	s_waitcnt lgkmcnt(0)
	v_mul_f64 v[108:109], v[220:221], v[110:111]
	v_mul_f64 v[212:213], v[218:219], v[110:111]
	s_delay_alu instid0(VALU_DEP_2) | instskip(NEXT) | instid1(VALU_DEP_2)
	v_fma_f64 v[108:109], v[218:219], v[216:217], -v[108:109]
	v_fma_f64 v[212:213], v[220:221], v[216:217], v[212:213]
	ds_load_2addr_b64 v[218:221], v214 offset0:72 offset1:73
	v_add_f64 v[72:73], v[72:73], -v[108:109]
	v_add_f64 v[74:75], v[74:75], -v[212:213]
	s_waitcnt lgkmcnt(0)
	v_mul_f64 v[108:109], v[220:221], v[110:111]
	v_mul_f64 v[212:213], v[218:219], v[110:111]
	s_delay_alu instid0(VALU_DEP_2) | instskip(NEXT) | instid1(VALU_DEP_2)
	v_fma_f64 v[108:109], v[218:219], v[216:217], -v[108:109]
	v_fma_f64 v[212:213], v[220:221], v[216:217], v[212:213]
	ds_load_2addr_b64 v[218:221], v214 offset0:74 offset1:75
	v_add_f64 v[68:69], v[68:69], -v[108:109]
	v_add_f64 v[70:71], v[70:71], -v[212:213]
	s_waitcnt lgkmcnt(0)
	v_mul_f64 v[108:109], v[220:221], v[110:111]
	v_mul_f64 v[212:213], v[218:219], v[110:111]
	s_delay_alu instid0(VALU_DEP_2) | instskip(NEXT) | instid1(VALU_DEP_2)
	v_fma_f64 v[108:109], v[218:219], v[216:217], -v[108:109]
	v_fma_f64 v[212:213], v[220:221], v[216:217], v[212:213]
	ds_load_2addr_b64 v[218:221], v214 offset0:76 offset1:77
	v_add_f64 v[64:65], v[64:65], -v[108:109]
	v_add_f64 v[66:67], v[66:67], -v[212:213]
	s_waitcnt lgkmcnt(0)
	v_mul_f64 v[108:109], v[220:221], v[110:111]
	v_mul_f64 v[212:213], v[218:219], v[110:111]
	s_delay_alu instid0(VALU_DEP_2) | instskip(NEXT) | instid1(VALU_DEP_2)
	v_fma_f64 v[108:109], v[218:219], v[216:217], -v[108:109]
	v_fma_f64 v[212:213], v[220:221], v[216:217], v[212:213]
	ds_load_2addr_b64 v[218:221], v214 offset0:78 offset1:79
	v_add_f64 v[60:61], v[60:61], -v[108:109]
	v_add_f64 v[62:63], v[62:63], -v[212:213]
	s_waitcnt lgkmcnt(0)
	v_mul_f64 v[108:109], v[220:221], v[110:111]
	v_mul_f64 v[212:213], v[218:219], v[110:111]
	s_delay_alu instid0(VALU_DEP_2) | instskip(NEXT) | instid1(VALU_DEP_2)
	v_fma_f64 v[108:109], v[218:219], v[216:217], -v[108:109]
	v_fma_f64 v[212:213], v[220:221], v[216:217], v[212:213]
	ds_load_2addr_b64 v[218:221], v214 offset0:80 offset1:81
	v_add_f64 v[56:57], v[56:57], -v[108:109]
	v_add_f64 v[58:59], v[58:59], -v[212:213]
	s_waitcnt lgkmcnt(0)
	v_mul_f64 v[108:109], v[220:221], v[110:111]
	v_mul_f64 v[212:213], v[218:219], v[110:111]
	s_delay_alu instid0(VALU_DEP_2) | instskip(NEXT) | instid1(VALU_DEP_2)
	v_fma_f64 v[108:109], v[218:219], v[216:217], -v[108:109]
	v_fma_f64 v[212:213], v[220:221], v[216:217], v[212:213]
	ds_load_2addr_b64 v[218:221], v214 offset0:82 offset1:83
	v_add_f64 v[52:53], v[52:53], -v[108:109]
	v_add_f64 v[54:55], v[54:55], -v[212:213]
	s_waitcnt lgkmcnt(0)
	v_mul_f64 v[108:109], v[220:221], v[110:111]
	v_mul_f64 v[212:213], v[218:219], v[110:111]
	s_delay_alu instid0(VALU_DEP_2) | instskip(NEXT) | instid1(VALU_DEP_2)
	v_fma_f64 v[108:109], v[218:219], v[216:217], -v[108:109]
	v_fma_f64 v[212:213], v[220:221], v[216:217], v[212:213]
	ds_load_2addr_b64 v[218:221], v214 offset0:84 offset1:85
	v_add_f64 v[48:49], v[48:49], -v[108:109]
	v_add_f64 v[50:51], v[50:51], -v[212:213]
	s_waitcnt lgkmcnt(0)
	v_mul_f64 v[108:109], v[220:221], v[110:111]
	v_mul_f64 v[212:213], v[218:219], v[110:111]
	s_delay_alu instid0(VALU_DEP_2) | instskip(NEXT) | instid1(VALU_DEP_2)
	v_fma_f64 v[108:109], v[218:219], v[216:217], -v[108:109]
	v_fma_f64 v[212:213], v[220:221], v[216:217], v[212:213]
	ds_load_2addr_b64 v[218:221], v214 offset0:86 offset1:87
	v_add_f64 v[44:45], v[44:45], -v[108:109]
	v_add_f64 v[46:47], v[46:47], -v[212:213]
	s_waitcnt lgkmcnt(0)
	v_mul_f64 v[108:109], v[220:221], v[110:111]
	v_mul_f64 v[212:213], v[218:219], v[110:111]
	s_delay_alu instid0(VALU_DEP_2) | instskip(NEXT) | instid1(VALU_DEP_2)
	v_fma_f64 v[108:109], v[218:219], v[216:217], -v[108:109]
	v_fma_f64 v[212:213], v[220:221], v[216:217], v[212:213]
	ds_load_2addr_b64 v[218:221], v214 offset0:88 offset1:89
	v_add_f64 v[40:41], v[40:41], -v[108:109]
	v_add_f64 v[42:43], v[42:43], -v[212:213]
	s_waitcnt lgkmcnt(0)
	v_mul_f64 v[108:109], v[220:221], v[110:111]
	v_mul_f64 v[212:213], v[218:219], v[110:111]
	s_delay_alu instid0(VALU_DEP_2) | instskip(NEXT) | instid1(VALU_DEP_2)
	v_fma_f64 v[108:109], v[218:219], v[216:217], -v[108:109]
	v_fma_f64 v[212:213], v[220:221], v[216:217], v[212:213]
	ds_load_2addr_b64 v[218:221], v214 offset0:90 offset1:91
	v_add_f64 v[36:37], v[36:37], -v[108:109]
	v_add_f64 v[38:39], v[38:39], -v[212:213]
	s_waitcnt lgkmcnt(0)
	v_mul_f64 v[108:109], v[220:221], v[110:111]
	v_mul_f64 v[212:213], v[218:219], v[110:111]
	s_delay_alu instid0(VALU_DEP_2) | instskip(NEXT) | instid1(VALU_DEP_2)
	v_fma_f64 v[108:109], v[218:219], v[216:217], -v[108:109]
	v_fma_f64 v[212:213], v[220:221], v[216:217], v[212:213]
	ds_load_2addr_b64 v[218:221], v214 offset0:92 offset1:93
	v_add_f64 v[32:33], v[32:33], -v[108:109]
	v_add_f64 v[34:35], v[34:35], -v[212:213]
	s_waitcnt lgkmcnt(0)
	v_mul_f64 v[108:109], v[220:221], v[110:111]
	v_mul_f64 v[212:213], v[218:219], v[110:111]
	s_delay_alu instid0(VALU_DEP_2) | instskip(NEXT) | instid1(VALU_DEP_2)
	v_fma_f64 v[108:109], v[218:219], v[216:217], -v[108:109]
	v_fma_f64 v[212:213], v[220:221], v[216:217], v[212:213]
	ds_load_2addr_b64 v[218:221], v214 offset0:94 offset1:95
	v_add_f64 v[28:29], v[28:29], -v[108:109]
	v_add_f64 v[30:31], v[30:31], -v[212:213]
	s_waitcnt lgkmcnt(0)
	v_mul_f64 v[108:109], v[220:221], v[110:111]
	v_mul_f64 v[212:213], v[218:219], v[110:111]
	s_delay_alu instid0(VALU_DEP_2) | instskip(NEXT) | instid1(VALU_DEP_2)
	v_fma_f64 v[108:109], v[218:219], v[216:217], -v[108:109]
	v_fma_f64 v[212:213], v[220:221], v[216:217], v[212:213]
	ds_load_2addr_b64 v[218:221], v214 offset0:96 offset1:97
	v_add_f64 v[24:25], v[24:25], -v[108:109]
	v_add_f64 v[26:27], v[26:27], -v[212:213]
	s_waitcnt lgkmcnt(0)
	v_mul_f64 v[108:109], v[220:221], v[110:111]
	v_mul_f64 v[212:213], v[218:219], v[110:111]
	s_delay_alu instid0(VALU_DEP_2) | instskip(NEXT) | instid1(VALU_DEP_2)
	v_fma_f64 v[108:109], v[218:219], v[216:217], -v[108:109]
	v_fma_f64 v[212:213], v[220:221], v[216:217], v[212:213]
	ds_load_2addr_b64 v[218:221], v214 offset0:98 offset1:99
	v_add_f64 v[20:21], v[20:21], -v[108:109]
	v_add_f64 v[22:23], v[22:23], -v[212:213]
	s_waitcnt lgkmcnt(0)
	v_mul_f64 v[108:109], v[220:221], v[110:111]
	v_mul_f64 v[212:213], v[218:219], v[110:111]
	s_delay_alu instid0(VALU_DEP_2) | instskip(NEXT) | instid1(VALU_DEP_2)
	v_fma_f64 v[108:109], v[218:219], v[216:217], -v[108:109]
	v_fma_f64 v[212:213], v[220:221], v[216:217], v[212:213]
	ds_load_2addr_b64 v[218:221], v214 offset0:100 offset1:101
	v_add_f64 v[16:17], v[16:17], -v[108:109]
	v_add_f64 v[18:19], v[18:19], -v[212:213]
	s_waitcnt lgkmcnt(0)
	v_mul_f64 v[108:109], v[220:221], v[110:111]
	v_mul_f64 v[212:213], v[218:219], v[110:111]
	s_delay_alu instid0(VALU_DEP_2) | instskip(NEXT) | instid1(VALU_DEP_2)
	v_fma_f64 v[108:109], v[218:219], v[216:217], -v[108:109]
	v_fma_f64 v[212:213], v[220:221], v[216:217], v[212:213]
	ds_load_2addr_b64 v[218:221], v214 offset0:102 offset1:103
	v_add_f64 v[12:13], v[12:13], -v[108:109]
	v_add_f64 v[14:15], v[14:15], -v[212:213]
	s_waitcnt lgkmcnt(0)
	v_mul_f64 v[108:109], v[220:221], v[110:111]
	v_mul_f64 v[212:213], v[218:219], v[110:111]
	s_delay_alu instid0(VALU_DEP_2) | instskip(NEXT) | instid1(VALU_DEP_2)
	v_fma_f64 v[108:109], v[218:219], v[216:217], -v[108:109]
	v_fma_f64 v[212:213], v[220:221], v[216:217], v[212:213]
	ds_load_2addr_b64 v[218:221], v214 offset0:104 offset1:105
	v_add_f64 v[8:9], v[8:9], -v[108:109]
	v_add_f64 v[10:11], v[10:11], -v[212:213]
	s_waitcnt lgkmcnt(0)
	v_mul_f64 v[108:109], v[220:221], v[110:111]
	v_mul_f64 v[212:213], v[218:219], v[110:111]
	s_delay_alu instid0(VALU_DEP_2) | instskip(NEXT) | instid1(VALU_DEP_2)
	v_fma_f64 v[108:109], v[218:219], v[216:217], -v[108:109]
	v_fma_f64 v[212:213], v[220:221], v[216:217], v[212:213]
	ds_load_2addr_b64 v[218:221], v214 offset0:106 offset1:107
	v_add_f64 v[4:5], v[4:5], -v[108:109]
	v_add_f64 v[6:7], v[6:7], -v[212:213]
	s_waitcnt lgkmcnt(0)
	v_mul_f64 v[108:109], v[220:221], v[110:111]
	v_mul_f64 v[212:213], v[218:219], v[110:111]
	s_delay_alu instid0(VALU_DEP_2) | instskip(NEXT) | instid1(VALU_DEP_2)
	v_fma_f64 v[108:109], v[218:219], v[216:217], -v[108:109]
	v_fma_f64 v[212:213], v[220:221], v[216:217], v[212:213]
	s_delay_alu instid0(VALU_DEP_2) | instskip(NEXT) | instid1(VALU_DEP_2)
	v_add_f64 v[0:1], v[0:1], -v[108:109]
	v_add_f64 v[2:3], v[2:3], -v[212:213]
	v_dual_mov_b32 v108, v216 :: v_dual_mov_b32 v109, v217
.LBB107_244:
	s_or_b32 exec_lo, exec_lo, s3
	s_delay_alu instid0(SALU_CYCLE_1)
	s_mov_b32 s4, exec_lo
	s_waitcnt_vscnt null, 0x0
	s_barrier
	buffer_gl0_inv
	v_cmpx_eq_u32_e32 27, v215
	s_cbranch_execz .LBB107_251
; %bb.245:
	ds_store_2addr_b64 v204, v[104:105], v[106:107] offset1:1
	ds_store_2addr_b64 v214, v[100:101], v[102:103] offset0:56 offset1:57
	ds_store_2addr_b64 v214, v[96:97], v[98:99] offset0:58 offset1:59
	;; [unrolled: 1-line block ×26, first 2 shown]
	ds_load_2addr_b64 v[216:219], v204 offset1:1
	s_waitcnt lgkmcnt(0)
	v_cmp_neq_f64_e32 vcc_lo, 0, v[216:217]
	v_cmp_neq_f64_e64 s3, 0, v[218:219]
	s_delay_alu instid0(VALU_DEP_1) | instskip(NEXT) | instid1(SALU_CYCLE_1)
	s_or_b32 s3, vcc_lo, s3
	s_and_b32 exec_lo, exec_lo, s3
	s_cbranch_execz .LBB107_251
; %bb.246:
	v_cmp_gt_f64_e32 vcc_lo, 0, v[216:217]
	v_xor_b32_e32 v208, 0x80000000, v217
	s_delay_alu instid0(VALU_DEP_1) | instskip(SKIP_3) | instid1(VALU_DEP_1)
	v_cndmask_b32_e32 v213, v217, v208, vcc_lo
	v_cndmask_b32_e32 v212, v216, v216, vcc_lo
	v_cmp_gt_f64_e32 vcc_lo, 0, v[218:219]
	v_xor_b32_e32 v208, 0x80000000, v219
	v_dual_cndmask_b32 v220, v218, v218 :: v_dual_cndmask_b32 v221, v219, v208
	s_delay_alu instid0(VALU_DEP_1) | instskip(SKIP_1) | instid1(SALU_CYCLE_1)
	v_cmp_ngt_f64_e32 vcc_lo, v[212:213], v[220:221]
                                        ; implicit-def: $vgpr212_vgpr213
	s_and_saveexec_b32 s3, vcc_lo
	s_xor_b32 s3, exec_lo, s3
                                        ; implicit-def: $vgpr220_vgpr221_vgpr222_vgpr223
	s_cbranch_execz .LBB107_248
; %bb.247:
	v_div_scale_f64 v[212:213], null, v[218:219], v[218:219], v[216:217]
	v_div_scale_f64 v[224:225], vcc_lo, v[216:217], v[218:219], v[216:217]
	s_delay_alu instid0(VALU_DEP_2) | instskip(SKIP_2) | instid1(VALU_DEP_1)
	v_rcp_f64_e32 v[220:221], v[212:213]
	s_waitcnt_depctr 0xfff
	v_fma_f64 v[222:223], -v[212:213], v[220:221], 1.0
	v_fma_f64 v[220:221], v[220:221], v[222:223], v[220:221]
	s_delay_alu instid0(VALU_DEP_1) | instskip(NEXT) | instid1(VALU_DEP_1)
	v_fma_f64 v[222:223], -v[212:213], v[220:221], 1.0
	v_fma_f64 v[220:221], v[220:221], v[222:223], v[220:221]
	s_delay_alu instid0(VALU_DEP_1) | instskip(NEXT) | instid1(VALU_DEP_1)
	v_mul_f64 v[222:223], v[224:225], v[220:221]
	v_fma_f64 v[212:213], -v[212:213], v[222:223], v[224:225]
	s_delay_alu instid0(VALU_DEP_1) | instskip(NEXT) | instid1(VALU_DEP_1)
	v_div_fmas_f64 v[212:213], v[212:213], v[220:221], v[222:223]
	v_div_fixup_f64 v[212:213], v[212:213], v[218:219], v[216:217]
	s_delay_alu instid0(VALU_DEP_1) | instskip(NEXT) | instid1(VALU_DEP_1)
	v_fma_f64 v[216:217], v[216:217], v[212:213], v[218:219]
	v_div_scale_f64 v[218:219], null, v[216:217], v[216:217], 1.0
	s_delay_alu instid0(VALU_DEP_1) | instskip(SKIP_2) | instid1(VALU_DEP_1)
	v_rcp_f64_e32 v[220:221], v[218:219]
	s_waitcnt_depctr 0xfff
	v_fma_f64 v[222:223], -v[218:219], v[220:221], 1.0
	v_fma_f64 v[220:221], v[220:221], v[222:223], v[220:221]
	s_delay_alu instid0(VALU_DEP_1) | instskip(NEXT) | instid1(VALU_DEP_1)
	v_fma_f64 v[222:223], -v[218:219], v[220:221], 1.0
	v_fma_f64 v[220:221], v[220:221], v[222:223], v[220:221]
	v_div_scale_f64 v[222:223], vcc_lo, 1.0, v[216:217], 1.0
	s_delay_alu instid0(VALU_DEP_1) | instskip(NEXT) | instid1(VALU_DEP_1)
	v_mul_f64 v[224:225], v[222:223], v[220:221]
	v_fma_f64 v[218:219], -v[218:219], v[224:225], v[222:223]
	s_delay_alu instid0(VALU_DEP_1) | instskip(NEXT) | instid1(VALU_DEP_1)
	v_div_fmas_f64 v[218:219], v[218:219], v[220:221], v[224:225]
	v_div_fixup_f64 v[222:223], v[218:219], v[216:217], 1.0
                                        ; implicit-def: $vgpr216_vgpr217
	s_delay_alu instid0(VALU_DEP_1)
	v_mul_f64 v[212:213], v[212:213], v[222:223]
	v_xor_b32_e32 v223, 0x80000000, v223
.LBB107_248:
	s_and_not1_saveexec_b32 s3, s3
	s_cbranch_execz .LBB107_250
; %bb.249:
	v_div_scale_f64 v[212:213], null, v[216:217], v[216:217], v[218:219]
	v_div_scale_f64 v[224:225], vcc_lo, v[218:219], v[216:217], v[218:219]
	s_delay_alu instid0(VALU_DEP_2) | instskip(SKIP_2) | instid1(VALU_DEP_1)
	v_rcp_f64_e32 v[220:221], v[212:213]
	s_waitcnt_depctr 0xfff
	v_fma_f64 v[222:223], -v[212:213], v[220:221], 1.0
	v_fma_f64 v[220:221], v[220:221], v[222:223], v[220:221]
	s_delay_alu instid0(VALU_DEP_1) | instskip(NEXT) | instid1(VALU_DEP_1)
	v_fma_f64 v[222:223], -v[212:213], v[220:221], 1.0
	v_fma_f64 v[220:221], v[220:221], v[222:223], v[220:221]
	s_delay_alu instid0(VALU_DEP_1) | instskip(NEXT) | instid1(VALU_DEP_1)
	v_mul_f64 v[222:223], v[224:225], v[220:221]
	v_fma_f64 v[212:213], -v[212:213], v[222:223], v[224:225]
	s_delay_alu instid0(VALU_DEP_1) | instskip(NEXT) | instid1(VALU_DEP_1)
	v_div_fmas_f64 v[212:213], v[212:213], v[220:221], v[222:223]
	v_div_fixup_f64 v[220:221], v[212:213], v[216:217], v[218:219]
	s_delay_alu instid0(VALU_DEP_1) | instskip(NEXT) | instid1(VALU_DEP_1)
	v_fma_f64 v[212:213], v[218:219], v[220:221], v[216:217]
	v_div_scale_f64 v[216:217], null, v[212:213], v[212:213], 1.0
	s_delay_alu instid0(VALU_DEP_1) | instskip(SKIP_2) | instid1(VALU_DEP_1)
	v_rcp_f64_e32 v[218:219], v[216:217]
	s_waitcnt_depctr 0xfff
	v_fma_f64 v[222:223], -v[216:217], v[218:219], 1.0
	v_fma_f64 v[218:219], v[218:219], v[222:223], v[218:219]
	s_delay_alu instid0(VALU_DEP_1) | instskip(NEXT) | instid1(VALU_DEP_1)
	v_fma_f64 v[222:223], -v[216:217], v[218:219], 1.0
	v_fma_f64 v[218:219], v[218:219], v[222:223], v[218:219]
	v_div_scale_f64 v[222:223], vcc_lo, 1.0, v[212:213], 1.0
	s_delay_alu instid0(VALU_DEP_1) | instskip(NEXT) | instid1(VALU_DEP_1)
	v_mul_f64 v[224:225], v[222:223], v[218:219]
	v_fma_f64 v[216:217], -v[216:217], v[224:225], v[222:223]
	s_delay_alu instid0(VALU_DEP_1) | instskip(NEXT) | instid1(VALU_DEP_1)
	v_div_fmas_f64 v[216:217], v[216:217], v[218:219], v[224:225]
	v_div_fixup_f64 v[212:213], v[216:217], v[212:213], 1.0
	s_delay_alu instid0(VALU_DEP_1)
	v_mul_f64 v[222:223], v[220:221], -v[212:213]
.LBB107_250:
	s_or_b32 exec_lo, exec_lo, s3
	ds_store_2addr_b64 v204, v[212:213], v[222:223] offset1:1
.LBB107_251:
	s_or_b32 exec_lo, exec_lo, s4
	s_waitcnt lgkmcnt(0)
	s_barrier
	buffer_gl0_inv
	ds_load_2addr_b64 v[207:210], v204 offset1:1
	s_mov_b32 s3, exec_lo
	s_waitcnt lgkmcnt(0)
	scratch_store_b128 off, v[207:210], off offset:904 ; 16-byte Folded Spill
	v_cmpx_lt_u32_e32 27, v215
	s_cbranch_execz .LBB107_253
; %bb.252:
	scratch_load_b128 v[207:210], off, off offset:904 ; 16-byte Folded Reload
	ds_load_2addr_b64 v[218:221], v214 offset0:56 offset1:57
	s_waitcnt vmcnt(0)
	v_mul_f64 v[212:213], v[209:210], v[106:107]
	v_mul_f64 v[106:107], v[207:208], v[106:107]
	s_delay_alu instid0(VALU_DEP_2) | instskip(NEXT) | instid1(VALU_DEP_2)
	v_fma_f64 v[216:217], v[207:208], v[104:105], -v[212:213]
	v_fma_f64 v[106:107], v[209:210], v[104:105], v[106:107]
	s_waitcnt lgkmcnt(0)
	s_delay_alu instid0(VALU_DEP_1) | instskip(SKIP_1) | instid1(VALU_DEP_2)
	v_mul_f64 v[104:105], v[220:221], v[106:107]
	v_mul_f64 v[212:213], v[218:219], v[106:107]
	v_fma_f64 v[104:105], v[218:219], v[216:217], -v[104:105]
	s_delay_alu instid0(VALU_DEP_2)
	v_fma_f64 v[212:213], v[220:221], v[216:217], v[212:213]
	ds_load_2addr_b64 v[218:221], v214 offset0:58 offset1:59
	v_add_f64 v[100:101], v[100:101], -v[104:105]
	v_add_f64 v[102:103], v[102:103], -v[212:213]
	s_waitcnt lgkmcnt(0)
	v_mul_f64 v[104:105], v[220:221], v[106:107]
	v_mul_f64 v[212:213], v[218:219], v[106:107]
	s_delay_alu instid0(VALU_DEP_2) | instskip(NEXT) | instid1(VALU_DEP_2)
	v_fma_f64 v[104:105], v[218:219], v[216:217], -v[104:105]
	v_fma_f64 v[212:213], v[220:221], v[216:217], v[212:213]
	ds_load_2addr_b64 v[218:221], v214 offset0:60 offset1:61
	v_add_f64 v[96:97], v[96:97], -v[104:105]
	v_add_f64 v[98:99], v[98:99], -v[212:213]
	s_waitcnt lgkmcnt(0)
	v_mul_f64 v[104:105], v[220:221], v[106:107]
	v_mul_f64 v[212:213], v[218:219], v[106:107]
	s_delay_alu instid0(VALU_DEP_2) | instskip(NEXT) | instid1(VALU_DEP_2)
	v_fma_f64 v[104:105], v[218:219], v[216:217], -v[104:105]
	;; [unrolled: 9-line block ×25, first 2 shown]
	v_fma_f64 v[212:213], v[220:221], v[216:217], v[212:213]
	s_delay_alu instid0(VALU_DEP_2) | instskip(NEXT) | instid1(VALU_DEP_2)
	v_add_f64 v[0:1], v[0:1], -v[104:105]
	v_add_f64 v[2:3], v[2:3], -v[212:213]
	v_dual_mov_b32 v104, v216 :: v_dual_mov_b32 v105, v217
.LBB107_253:
	s_or_b32 exec_lo, exec_lo, s3
	s_delay_alu instid0(SALU_CYCLE_1)
	s_mov_b32 s4, exec_lo
	s_waitcnt_vscnt null, 0x0
	s_barrier
	buffer_gl0_inv
	v_cmpx_eq_u32_e32 28, v215
	s_cbranch_execz .LBB107_260
; %bb.254:
	ds_store_2addr_b64 v204, v[100:101], v[102:103] offset1:1
	ds_store_2addr_b64 v214, v[96:97], v[98:99] offset0:58 offset1:59
	ds_store_2addr_b64 v214, v[92:93], v[94:95] offset0:60 offset1:61
	;; [unrolled: 1-line block ×25, first 2 shown]
	ds_load_2addr_b64 v[216:219], v204 offset1:1
	s_waitcnt lgkmcnt(0)
	v_cmp_neq_f64_e32 vcc_lo, 0, v[216:217]
	v_cmp_neq_f64_e64 s3, 0, v[218:219]
	s_delay_alu instid0(VALU_DEP_1) | instskip(NEXT) | instid1(SALU_CYCLE_1)
	s_or_b32 s3, vcc_lo, s3
	s_and_b32 exec_lo, exec_lo, s3
	s_cbranch_execz .LBB107_260
; %bb.255:
	v_cmp_gt_f64_e32 vcc_lo, 0, v[216:217]
	v_xor_b32_e32 v208, 0x80000000, v217
	s_delay_alu instid0(VALU_DEP_1) | instskip(SKIP_3) | instid1(VALU_DEP_1)
	v_cndmask_b32_e32 v213, v217, v208, vcc_lo
	v_cndmask_b32_e32 v212, v216, v216, vcc_lo
	v_cmp_gt_f64_e32 vcc_lo, 0, v[218:219]
	v_xor_b32_e32 v208, 0x80000000, v219
	v_dual_cndmask_b32 v220, v218, v218 :: v_dual_cndmask_b32 v221, v219, v208
	s_delay_alu instid0(VALU_DEP_1) | instskip(SKIP_1) | instid1(SALU_CYCLE_1)
	v_cmp_ngt_f64_e32 vcc_lo, v[212:213], v[220:221]
                                        ; implicit-def: $vgpr212_vgpr213
	s_and_saveexec_b32 s3, vcc_lo
	s_xor_b32 s3, exec_lo, s3
                                        ; implicit-def: $vgpr220_vgpr221_vgpr222_vgpr223
	s_cbranch_execz .LBB107_257
; %bb.256:
	v_div_scale_f64 v[212:213], null, v[218:219], v[218:219], v[216:217]
	v_div_scale_f64 v[224:225], vcc_lo, v[216:217], v[218:219], v[216:217]
	s_delay_alu instid0(VALU_DEP_2) | instskip(SKIP_2) | instid1(VALU_DEP_1)
	v_rcp_f64_e32 v[220:221], v[212:213]
	s_waitcnt_depctr 0xfff
	v_fma_f64 v[222:223], -v[212:213], v[220:221], 1.0
	v_fma_f64 v[220:221], v[220:221], v[222:223], v[220:221]
	s_delay_alu instid0(VALU_DEP_1) | instskip(NEXT) | instid1(VALU_DEP_1)
	v_fma_f64 v[222:223], -v[212:213], v[220:221], 1.0
	v_fma_f64 v[220:221], v[220:221], v[222:223], v[220:221]
	s_delay_alu instid0(VALU_DEP_1) | instskip(NEXT) | instid1(VALU_DEP_1)
	v_mul_f64 v[222:223], v[224:225], v[220:221]
	v_fma_f64 v[212:213], -v[212:213], v[222:223], v[224:225]
	s_delay_alu instid0(VALU_DEP_1) | instskip(NEXT) | instid1(VALU_DEP_1)
	v_div_fmas_f64 v[212:213], v[212:213], v[220:221], v[222:223]
	v_div_fixup_f64 v[212:213], v[212:213], v[218:219], v[216:217]
	s_delay_alu instid0(VALU_DEP_1) | instskip(NEXT) | instid1(VALU_DEP_1)
	v_fma_f64 v[216:217], v[216:217], v[212:213], v[218:219]
	v_div_scale_f64 v[218:219], null, v[216:217], v[216:217], 1.0
	s_delay_alu instid0(VALU_DEP_1) | instskip(SKIP_2) | instid1(VALU_DEP_1)
	v_rcp_f64_e32 v[220:221], v[218:219]
	s_waitcnt_depctr 0xfff
	v_fma_f64 v[222:223], -v[218:219], v[220:221], 1.0
	v_fma_f64 v[220:221], v[220:221], v[222:223], v[220:221]
	s_delay_alu instid0(VALU_DEP_1) | instskip(NEXT) | instid1(VALU_DEP_1)
	v_fma_f64 v[222:223], -v[218:219], v[220:221], 1.0
	v_fma_f64 v[220:221], v[220:221], v[222:223], v[220:221]
	v_div_scale_f64 v[222:223], vcc_lo, 1.0, v[216:217], 1.0
	s_delay_alu instid0(VALU_DEP_1) | instskip(NEXT) | instid1(VALU_DEP_1)
	v_mul_f64 v[224:225], v[222:223], v[220:221]
	v_fma_f64 v[218:219], -v[218:219], v[224:225], v[222:223]
	s_delay_alu instid0(VALU_DEP_1) | instskip(NEXT) | instid1(VALU_DEP_1)
	v_div_fmas_f64 v[218:219], v[218:219], v[220:221], v[224:225]
	v_div_fixup_f64 v[222:223], v[218:219], v[216:217], 1.0
                                        ; implicit-def: $vgpr216_vgpr217
	s_delay_alu instid0(VALU_DEP_1)
	v_mul_f64 v[212:213], v[212:213], v[222:223]
	v_xor_b32_e32 v223, 0x80000000, v223
.LBB107_257:
	s_and_not1_saveexec_b32 s3, s3
	s_cbranch_execz .LBB107_259
; %bb.258:
	v_div_scale_f64 v[212:213], null, v[216:217], v[216:217], v[218:219]
	v_div_scale_f64 v[224:225], vcc_lo, v[218:219], v[216:217], v[218:219]
	s_delay_alu instid0(VALU_DEP_2) | instskip(SKIP_2) | instid1(VALU_DEP_1)
	v_rcp_f64_e32 v[220:221], v[212:213]
	s_waitcnt_depctr 0xfff
	v_fma_f64 v[222:223], -v[212:213], v[220:221], 1.0
	v_fma_f64 v[220:221], v[220:221], v[222:223], v[220:221]
	s_delay_alu instid0(VALU_DEP_1) | instskip(NEXT) | instid1(VALU_DEP_1)
	v_fma_f64 v[222:223], -v[212:213], v[220:221], 1.0
	v_fma_f64 v[220:221], v[220:221], v[222:223], v[220:221]
	s_delay_alu instid0(VALU_DEP_1) | instskip(NEXT) | instid1(VALU_DEP_1)
	v_mul_f64 v[222:223], v[224:225], v[220:221]
	v_fma_f64 v[212:213], -v[212:213], v[222:223], v[224:225]
	s_delay_alu instid0(VALU_DEP_1) | instskip(NEXT) | instid1(VALU_DEP_1)
	v_div_fmas_f64 v[212:213], v[212:213], v[220:221], v[222:223]
	v_div_fixup_f64 v[220:221], v[212:213], v[216:217], v[218:219]
	s_delay_alu instid0(VALU_DEP_1) | instskip(NEXT) | instid1(VALU_DEP_1)
	v_fma_f64 v[212:213], v[218:219], v[220:221], v[216:217]
	v_div_scale_f64 v[216:217], null, v[212:213], v[212:213], 1.0
	s_delay_alu instid0(VALU_DEP_1) | instskip(SKIP_2) | instid1(VALU_DEP_1)
	v_rcp_f64_e32 v[218:219], v[216:217]
	s_waitcnt_depctr 0xfff
	v_fma_f64 v[222:223], -v[216:217], v[218:219], 1.0
	v_fma_f64 v[218:219], v[218:219], v[222:223], v[218:219]
	s_delay_alu instid0(VALU_DEP_1) | instskip(NEXT) | instid1(VALU_DEP_1)
	v_fma_f64 v[222:223], -v[216:217], v[218:219], 1.0
	v_fma_f64 v[218:219], v[218:219], v[222:223], v[218:219]
	v_div_scale_f64 v[222:223], vcc_lo, 1.0, v[212:213], 1.0
	s_delay_alu instid0(VALU_DEP_1) | instskip(NEXT) | instid1(VALU_DEP_1)
	v_mul_f64 v[224:225], v[222:223], v[218:219]
	v_fma_f64 v[216:217], -v[216:217], v[224:225], v[222:223]
	s_delay_alu instid0(VALU_DEP_1) | instskip(NEXT) | instid1(VALU_DEP_1)
	v_div_fmas_f64 v[216:217], v[216:217], v[218:219], v[224:225]
	v_div_fixup_f64 v[212:213], v[216:217], v[212:213], 1.0
	s_delay_alu instid0(VALU_DEP_1)
	v_mul_f64 v[222:223], v[220:221], -v[212:213]
.LBB107_259:
	s_or_b32 exec_lo, exec_lo, s3
	ds_store_2addr_b64 v204, v[212:213], v[222:223] offset1:1
.LBB107_260:
	s_or_b32 exec_lo, exec_lo, s4
	s_waitcnt lgkmcnt(0)
	s_barrier
	buffer_gl0_inv
	ds_load_2addr_b64 v[207:210], v204 offset1:1
	s_mov_b32 s3, exec_lo
	s_waitcnt lgkmcnt(0)
	scratch_store_b128 off, v[207:210], off offset:920 ; 16-byte Folded Spill
	v_cmpx_lt_u32_e32 28, v215
	s_cbranch_execz .LBB107_262
; %bb.261:
	scratch_load_b128 v[207:210], off, off offset:920 ; 16-byte Folded Reload
	ds_load_2addr_b64 v[218:221], v214 offset0:58 offset1:59
	s_waitcnt vmcnt(0)
	v_mul_f64 v[212:213], v[209:210], v[102:103]
	v_mul_f64 v[102:103], v[207:208], v[102:103]
	s_delay_alu instid0(VALU_DEP_2) | instskip(NEXT) | instid1(VALU_DEP_2)
	v_fma_f64 v[216:217], v[207:208], v[100:101], -v[212:213]
	v_fma_f64 v[102:103], v[209:210], v[100:101], v[102:103]
	s_waitcnt lgkmcnt(0)
	s_delay_alu instid0(VALU_DEP_1) | instskip(SKIP_1) | instid1(VALU_DEP_2)
	v_mul_f64 v[100:101], v[220:221], v[102:103]
	v_mul_f64 v[212:213], v[218:219], v[102:103]
	v_fma_f64 v[100:101], v[218:219], v[216:217], -v[100:101]
	s_delay_alu instid0(VALU_DEP_2)
	v_fma_f64 v[212:213], v[220:221], v[216:217], v[212:213]
	ds_load_2addr_b64 v[218:221], v214 offset0:60 offset1:61
	v_add_f64 v[96:97], v[96:97], -v[100:101]
	v_add_f64 v[98:99], v[98:99], -v[212:213]
	s_waitcnt lgkmcnt(0)
	v_mul_f64 v[100:101], v[220:221], v[102:103]
	v_mul_f64 v[212:213], v[218:219], v[102:103]
	s_delay_alu instid0(VALU_DEP_2) | instskip(NEXT) | instid1(VALU_DEP_2)
	v_fma_f64 v[100:101], v[218:219], v[216:217], -v[100:101]
	v_fma_f64 v[212:213], v[220:221], v[216:217], v[212:213]
	ds_load_2addr_b64 v[218:221], v214 offset0:62 offset1:63
	v_add_f64 v[92:93], v[92:93], -v[100:101]
	v_add_f64 v[94:95], v[94:95], -v[212:213]
	s_waitcnt lgkmcnt(0)
	v_mul_f64 v[100:101], v[220:221], v[102:103]
	v_mul_f64 v[212:213], v[218:219], v[102:103]
	s_delay_alu instid0(VALU_DEP_2) | instskip(NEXT) | instid1(VALU_DEP_2)
	v_fma_f64 v[100:101], v[218:219], v[216:217], -v[100:101]
	;; [unrolled: 9-line block ×24, first 2 shown]
	v_fma_f64 v[212:213], v[220:221], v[216:217], v[212:213]
	s_delay_alu instid0(VALU_DEP_2) | instskip(NEXT) | instid1(VALU_DEP_2)
	v_add_f64 v[0:1], v[0:1], -v[100:101]
	v_add_f64 v[2:3], v[2:3], -v[212:213]
	v_dual_mov_b32 v100, v216 :: v_dual_mov_b32 v101, v217
.LBB107_262:
	s_or_b32 exec_lo, exec_lo, s3
	s_delay_alu instid0(SALU_CYCLE_1)
	s_mov_b32 s4, exec_lo
	s_waitcnt_vscnt null, 0x0
	s_barrier
	buffer_gl0_inv
	v_cmpx_eq_u32_e32 29, v215
	s_cbranch_execz .LBB107_269
; %bb.263:
	ds_store_2addr_b64 v204, v[96:97], v[98:99] offset1:1
	ds_store_2addr_b64 v214, v[92:93], v[94:95] offset0:60 offset1:61
	ds_store_2addr_b64 v214, v[88:89], v[90:91] offset0:62 offset1:63
	;; [unrolled: 1-line block ×24, first 2 shown]
	ds_load_2addr_b64 v[216:219], v204 offset1:1
	s_waitcnt lgkmcnt(0)
	v_cmp_neq_f64_e32 vcc_lo, 0, v[216:217]
	v_cmp_neq_f64_e64 s3, 0, v[218:219]
	s_delay_alu instid0(VALU_DEP_1) | instskip(NEXT) | instid1(SALU_CYCLE_1)
	s_or_b32 s3, vcc_lo, s3
	s_and_b32 exec_lo, exec_lo, s3
	s_cbranch_execz .LBB107_269
; %bb.264:
	v_cmp_gt_f64_e32 vcc_lo, 0, v[216:217]
	v_xor_b32_e32 v208, 0x80000000, v217
	s_delay_alu instid0(VALU_DEP_1) | instskip(SKIP_3) | instid1(VALU_DEP_1)
	v_cndmask_b32_e32 v213, v217, v208, vcc_lo
	v_cndmask_b32_e32 v212, v216, v216, vcc_lo
	v_cmp_gt_f64_e32 vcc_lo, 0, v[218:219]
	v_xor_b32_e32 v208, 0x80000000, v219
	v_dual_cndmask_b32 v220, v218, v218 :: v_dual_cndmask_b32 v221, v219, v208
	s_delay_alu instid0(VALU_DEP_1) | instskip(SKIP_1) | instid1(SALU_CYCLE_1)
	v_cmp_ngt_f64_e32 vcc_lo, v[212:213], v[220:221]
                                        ; implicit-def: $vgpr212_vgpr213
	s_and_saveexec_b32 s3, vcc_lo
	s_xor_b32 s3, exec_lo, s3
                                        ; implicit-def: $vgpr220_vgpr221_vgpr222_vgpr223
	s_cbranch_execz .LBB107_266
; %bb.265:
	v_div_scale_f64 v[212:213], null, v[218:219], v[218:219], v[216:217]
	v_div_scale_f64 v[224:225], vcc_lo, v[216:217], v[218:219], v[216:217]
	s_delay_alu instid0(VALU_DEP_2) | instskip(SKIP_2) | instid1(VALU_DEP_1)
	v_rcp_f64_e32 v[220:221], v[212:213]
	s_waitcnt_depctr 0xfff
	v_fma_f64 v[222:223], -v[212:213], v[220:221], 1.0
	v_fma_f64 v[220:221], v[220:221], v[222:223], v[220:221]
	s_delay_alu instid0(VALU_DEP_1) | instskip(NEXT) | instid1(VALU_DEP_1)
	v_fma_f64 v[222:223], -v[212:213], v[220:221], 1.0
	v_fma_f64 v[220:221], v[220:221], v[222:223], v[220:221]
	s_delay_alu instid0(VALU_DEP_1) | instskip(NEXT) | instid1(VALU_DEP_1)
	v_mul_f64 v[222:223], v[224:225], v[220:221]
	v_fma_f64 v[212:213], -v[212:213], v[222:223], v[224:225]
	s_delay_alu instid0(VALU_DEP_1) | instskip(NEXT) | instid1(VALU_DEP_1)
	v_div_fmas_f64 v[212:213], v[212:213], v[220:221], v[222:223]
	v_div_fixup_f64 v[212:213], v[212:213], v[218:219], v[216:217]
	s_delay_alu instid0(VALU_DEP_1) | instskip(NEXT) | instid1(VALU_DEP_1)
	v_fma_f64 v[216:217], v[216:217], v[212:213], v[218:219]
	v_div_scale_f64 v[218:219], null, v[216:217], v[216:217], 1.0
	s_delay_alu instid0(VALU_DEP_1) | instskip(SKIP_2) | instid1(VALU_DEP_1)
	v_rcp_f64_e32 v[220:221], v[218:219]
	s_waitcnt_depctr 0xfff
	v_fma_f64 v[222:223], -v[218:219], v[220:221], 1.0
	v_fma_f64 v[220:221], v[220:221], v[222:223], v[220:221]
	s_delay_alu instid0(VALU_DEP_1) | instskip(NEXT) | instid1(VALU_DEP_1)
	v_fma_f64 v[222:223], -v[218:219], v[220:221], 1.0
	v_fma_f64 v[220:221], v[220:221], v[222:223], v[220:221]
	v_div_scale_f64 v[222:223], vcc_lo, 1.0, v[216:217], 1.0
	s_delay_alu instid0(VALU_DEP_1) | instskip(NEXT) | instid1(VALU_DEP_1)
	v_mul_f64 v[224:225], v[222:223], v[220:221]
	v_fma_f64 v[218:219], -v[218:219], v[224:225], v[222:223]
	s_delay_alu instid0(VALU_DEP_1) | instskip(NEXT) | instid1(VALU_DEP_1)
	v_div_fmas_f64 v[218:219], v[218:219], v[220:221], v[224:225]
	v_div_fixup_f64 v[222:223], v[218:219], v[216:217], 1.0
                                        ; implicit-def: $vgpr216_vgpr217
	s_delay_alu instid0(VALU_DEP_1)
	v_mul_f64 v[212:213], v[212:213], v[222:223]
	v_xor_b32_e32 v223, 0x80000000, v223
.LBB107_266:
	s_and_not1_saveexec_b32 s3, s3
	s_cbranch_execz .LBB107_268
; %bb.267:
	v_div_scale_f64 v[212:213], null, v[216:217], v[216:217], v[218:219]
	v_div_scale_f64 v[224:225], vcc_lo, v[218:219], v[216:217], v[218:219]
	s_delay_alu instid0(VALU_DEP_2) | instskip(SKIP_2) | instid1(VALU_DEP_1)
	v_rcp_f64_e32 v[220:221], v[212:213]
	s_waitcnt_depctr 0xfff
	v_fma_f64 v[222:223], -v[212:213], v[220:221], 1.0
	v_fma_f64 v[220:221], v[220:221], v[222:223], v[220:221]
	s_delay_alu instid0(VALU_DEP_1) | instskip(NEXT) | instid1(VALU_DEP_1)
	v_fma_f64 v[222:223], -v[212:213], v[220:221], 1.0
	v_fma_f64 v[220:221], v[220:221], v[222:223], v[220:221]
	s_delay_alu instid0(VALU_DEP_1) | instskip(NEXT) | instid1(VALU_DEP_1)
	v_mul_f64 v[222:223], v[224:225], v[220:221]
	v_fma_f64 v[212:213], -v[212:213], v[222:223], v[224:225]
	s_delay_alu instid0(VALU_DEP_1) | instskip(NEXT) | instid1(VALU_DEP_1)
	v_div_fmas_f64 v[212:213], v[212:213], v[220:221], v[222:223]
	v_div_fixup_f64 v[220:221], v[212:213], v[216:217], v[218:219]
	s_delay_alu instid0(VALU_DEP_1) | instskip(NEXT) | instid1(VALU_DEP_1)
	v_fma_f64 v[212:213], v[218:219], v[220:221], v[216:217]
	v_div_scale_f64 v[216:217], null, v[212:213], v[212:213], 1.0
	s_delay_alu instid0(VALU_DEP_1) | instskip(SKIP_2) | instid1(VALU_DEP_1)
	v_rcp_f64_e32 v[218:219], v[216:217]
	s_waitcnt_depctr 0xfff
	v_fma_f64 v[222:223], -v[216:217], v[218:219], 1.0
	v_fma_f64 v[218:219], v[218:219], v[222:223], v[218:219]
	s_delay_alu instid0(VALU_DEP_1) | instskip(NEXT) | instid1(VALU_DEP_1)
	v_fma_f64 v[222:223], -v[216:217], v[218:219], 1.0
	v_fma_f64 v[218:219], v[218:219], v[222:223], v[218:219]
	v_div_scale_f64 v[222:223], vcc_lo, 1.0, v[212:213], 1.0
	s_delay_alu instid0(VALU_DEP_1) | instskip(NEXT) | instid1(VALU_DEP_1)
	v_mul_f64 v[224:225], v[222:223], v[218:219]
	v_fma_f64 v[216:217], -v[216:217], v[224:225], v[222:223]
	s_delay_alu instid0(VALU_DEP_1) | instskip(NEXT) | instid1(VALU_DEP_1)
	v_div_fmas_f64 v[216:217], v[216:217], v[218:219], v[224:225]
	v_div_fixup_f64 v[212:213], v[216:217], v[212:213], 1.0
	s_delay_alu instid0(VALU_DEP_1)
	v_mul_f64 v[222:223], v[220:221], -v[212:213]
.LBB107_268:
	s_or_b32 exec_lo, exec_lo, s3
	ds_store_2addr_b64 v204, v[212:213], v[222:223] offset1:1
.LBB107_269:
	s_or_b32 exec_lo, exec_lo, s4
	s_waitcnt lgkmcnt(0)
	s_barrier
	buffer_gl0_inv
	ds_load_2addr_b64 v[205:208], v204 offset1:1
	s_mov_b32 s3, exec_lo
	s_waitcnt lgkmcnt(0)
	scratch_store_b128 off, v[205:208], off offset:944 ; 16-byte Folded Spill
	v_cmpx_lt_u32_e32 29, v215
	s_cbranch_execz .LBB107_271
; %bb.270:
	scratch_load_b128 v[205:208], off, off offset:944 ; 16-byte Folded Reload
	ds_load_2addr_b64 v[218:221], v214 offset0:60 offset1:61
	s_waitcnt vmcnt(0)
	v_mul_f64 v[212:213], v[207:208], v[98:99]
	v_mul_f64 v[98:99], v[205:206], v[98:99]
	s_delay_alu instid0(VALU_DEP_2) | instskip(NEXT) | instid1(VALU_DEP_2)
	v_fma_f64 v[216:217], v[205:206], v[96:97], -v[212:213]
	v_fma_f64 v[98:99], v[207:208], v[96:97], v[98:99]
	s_waitcnt lgkmcnt(0)
	s_delay_alu instid0(VALU_DEP_1) | instskip(SKIP_1) | instid1(VALU_DEP_2)
	v_mul_f64 v[96:97], v[220:221], v[98:99]
	v_mul_f64 v[212:213], v[218:219], v[98:99]
	v_fma_f64 v[96:97], v[218:219], v[216:217], -v[96:97]
	s_delay_alu instid0(VALU_DEP_2)
	v_fma_f64 v[212:213], v[220:221], v[216:217], v[212:213]
	ds_load_2addr_b64 v[218:221], v214 offset0:62 offset1:63
	v_add_f64 v[92:93], v[92:93], -v[96:97]
	v_add_f64 v[94:95], v[94:95], -v[212:213]
	s_waitcnt lgkmcnt(0)
	v_mul_f64 v[96:97], v[220:221], v[98:99]
	v_mul_f64 v[212:213], v[218:219], v[98:99]
	s_delay_alu instid0(VALU_DEP_2) | instskip(NEXT) | instid1(VALU_DEP_2)
	v_fma_f64 v[96:97], v[218:219], v[216:217], -v[96:97]
	v_fma_f64 v[212:213], v[220:221], v[216:217], v[212:213]
	ds_load_2addr_b64 v[218:221], v214 offset0:64 offset1:65
	v_add_f64 v[88:89], v[88:89], -v[96:97]
	v_add_f64 v[90:91], v[90:91], -v[212:213]
	s_waitcnt lgkmcnt(0)
	v_mul_f64 v[96:97], v[220:221], v[98:99]
	v_mul_f64 v[212:213], v[218:219], v[98:99]
	s_delay_alu instid0(VALU_DEP_2) | instskip(NEXT) | instid1(VALU_DEP_2)
	v_fma_f64 v[96:97], v[218:219], v[216:217], -v[96:97]
	;; [unrolled: 9-line block ×23, first 2 shown]
	v_fma_f64 v[212:213], v[220:221], v[216:217], v[212:213]
	s_delay_alu instid0(VALU_DEP_2) | instskip(NEXT) | instid1(VALU_DEP_2)
	v_add_f64 v[0:1], v[0:1], -v[96:97]
	v_add_f64 v[2:3], v[2:3], -v[212:213]
	v_dual_mov_b32 v96, v216 :: v_dual_mov_b32 v97, v217
.LBB107_271:
	s_or_b32 exec_lo, exec_lo, s3
	s_delay_alu instid0(SALU_CYCLE_1)
	s_mov_b32 s4, exec_lo
	s_waitcnt_vscnt null, 0x0
	s_barrier
	buffer_gl0_inv
	v_cmpx_eq_u32_e32 30, v215
	s_cbranch_execz .LBB107_278
; %bb.272:
	ds_store_2addr_b64 v204, v[92:93], v[94:95] offset1:1
	ds_store_2addr_b64 v214, v[88:89], v[90:91] offset0:62 offset1:63
	ds_store_2addr_b64 v214, v[84:85], v[86:87] offset0:64 offset1:65
	;; [unrolled: 1-line block ×23, first 2 shown]
	ds_load_2addr_b64 v[216:219], v204 offset1:1
	s_waitcnt lgkmcnt(0)
	v_cmp_neq_f64_e32 vcc_lo, 0, v[216:217]
	v_cmp_neq_f64_e64 s3, 0, v[218:219]
	s_delay_alu instid0(VALU_DEP_1) | instskip(NEXT) | instid1(SALU_CYCLE_1)
	s_or_b32 s3, vcc_lo, s3
	s_and_b32 exec_lo, exec_lo, s3
	s_cbranch_execz .LBB107_278
; %bb.273:
	v_cmp_gt_f64_e32 vcc_lo, 0, v[216:217]
	v_xor_b32_e32 v208, 0x80000000, v217
	s_delay_alu instid0(VALU_DEP_1) | instskip(SKIP_3) | instid1(VALU_DEP_1)
	v_cndmask_b32_e32 v213, v217, v208, vcc_lo
	v_cndmask_b32_e32 v212, v216, v216, vcc_lo
	v_cmp_gt_f64_e32 vcc_lo, 0, v[218:219]
	v_xor_b32_e32 v208, 0x80000000, v219
	v_dual_cndmask_b32 v220, v218, v218 :: v_dual_cndmask_b32 v221, v219, v208
	s_delay_alu instid0(VALU_DEP_1) | instskip(SKIP_1) | instid1(SALU_CYCLE_1)
	v_cmp_ngt_f64_e32 vcc_lo, v[212:213], v[220:221]
                                        ; implicit-def: $vgpr212_vgpr213
	s_and_saveexec_b32 s3, vcc_lo
	s_xor_b32 s3, exec_lo, s3
                                        ; implicit-def: $vgpr220_vgpr221_vgpr222_vgpr223
	s_cbranch_execz .LBB107_275
; %bb.274:
	v_div_scale_f64 v[212:213], null, v[218:219], v[218:219], v[216:217]
	v_div_scale_f64 v[224:225], vcc_lo, v[216:217], v[218:219], v[216:217]
	s_delay_alu instid0(VALU_DEP_2) | instskip(SKIP_2) | instid1(VALU_DEP_1)
	v_rcp_f64_e32 v[220:221], v[212:213]
	s_waitcnt_depctr 0xfff
	v_fma_f64 v[222:223], -v[212:213], v[220:221], 1.0
	v_fma_f64 v[220:221], v[220:221], v[222:223], v[220:221]
	s_delay_alu instid0(VALU_DEP_1) | instskip(NEXT) | instid1(VALU_DEP_1)
	v_fma_f64 v[222:223], -v[212:213], v[220:221], 1.0
	v_fma_f64 v[220:221], v[220:221], v[222:223], v[220:221]
	s_delay_alu instid0(VALU_DEP_1) | instskip(NEXT) | instid1(VALU_DEP_1)
	v_mul_f64 v[222:223], v[224:225], v[220:221]
	v_fma_f64 v[212:213], -v[212:213], v[222:223], v[224:225]
	s_delay_alu instid0(VALU_DEP_1) | instskip(NEXT) | instid1(VALU_DEP_1)
	v_div_fmas_f64 v[212:213], v[212:213], v[220:221], v[222:223]
	v_div_fixup_f64 v[212:213], v[212:213], v[218:219], v[216:217]
	s_delay_alu instid0(VALU_DEP_1) | instskip(NEXT) | instid1(VALU_DEP_1)
	v_fma_f64 v[216:217], v[216:217], v[212:213], v[218:219]
	v_div_scale_f64 v[218:219], null, v[216:217], v[216:217], 1.0
	s_delay_alu instid0(VALU_DEP_1) | instskip(SKIP_2) | instid1(VALU_DEP_1)
	v_rcp_f64_e32 v[220:221], v[218:219]
	s_waitcnt_depctr 0xfff
	v_fma_f64 v[222:223], -v[218:219], v[220:221], 1.0
	v_fma_f64 v[220:221], v[220:221], v[222:223], v[220:221]
	s_delay_alu instid0(VALU_DEP_1) | instskip(NEXT) | instid1(VALU_DEP_1)
	v_fma_f64 v[222:223], -v[218:219], v[220:221], 1.0
	v_fma_f64 v[220:221], v[220:221], v[222:223], v[220:221]
	v_div_scale_f64 v[222:223], vcc_lo, 1.0, v[216:217], 1.0
	s_delay_alu instid0(VALU_DEP_1) | instskip(NEXT) | instid1(VALU_DEP_1)
	v_mul_f64 v[224:225], v[222:223], v[220:221]
	v_fma_f64 v[218:219], -v[218:219], v[224:225], v[222:223]
	s_delay_alu instid0(VALU_DEP_1) | instskip(NEXT) | instid1(VALU_DEP_1)
	v_div_fmas_f64 v[218:219], v[218:219], v[220:221], v[224:225]
	v_div_fixup_f64 v[222:223], v[218:219], v[216:217], 1.0
                                        ; implicit-def: $vgpr216_vgpr217
	s_delay_alu instid0(VALU_DEP_1)
	v_mul_f64 v[212:213], v[212:213], v[222:223]
	v_xor_b32_e32 v223, 0x80000000, v223
.LBB107_275:
	s_and_not1_saveexec_b32 s3, s3
	s_cbranch_execz .LBB107_277
; %bb.276:
	v_div_scale_f64 v[212:213], null, v[216:217], v[216:217], v[218:219]
	v_div_scale_f64 v[224:225], vcc_lo, v[218:219], v[216:217], v[218:219]
	s_delay_alu instid0(VALU_DEP_2) | instskip(SKIP_2) | instid1(VALU_DEP_1)
	v_rcp_f64_e32 v[220:221], v[212:213]
	s_waitcnt_depctr 0xfff
	v_fma_f64 v[222:223], -v[212:213], v[220:221], 1.0
	v_fma_f64 v[220:221], v[220:221], v[222:223], v[220:221]
	s_delay_alu instid0(VALU_DEP_1) | instskip(NEXT) | instid1(VALU_DEP_1)
	v_fma_f64 v[222:223], -v[212:213], v[220:221], 1.0
	v_fma_f64 v[220:221], v[220:221], v[222:223], v[220:221]
	s_delay_alu instid0(VALU_DEP_1) | instskip(NEXT) | instid1(VALU_DEP_1)
	v_mul_f64 v[222:223], v[224:225], v[220:221]
	v_fma_f64 v[212:213], -v[212:213], v[222:223], v[224:225]
	s_delay_alu instid0(VALU_DEP_1) | instskip(NEXT) | instid1(VALU_DEP_1)
	v_div_fmas_f64 v[212:213], v[212:213], v[220:221], v[222:223]
	v_div_fixup_f64 v[220:221], v[212:213], v[216:217], v[218:219]
	s_delay_alu instid0(VALU_DEP_1) | instskip(NEXT) | instid1(VALU_DEP_1)
	v_fma_f64 v[212:213], v[218:219], v[220:221], v[216:217]
	v_div_scale_f64 v[216:217], null, v[212:213], v[212:213], 1.0
	s_delay_alu instid0(VALU_DEP_1) | instskip(SKIP_2) | instid1(VALU_DEP_1)
	v_rcp_f64_e32 v[218:219], v[216:217]
	s_waitcnt_depctr 0xfff
	v_fma_f64 v[222:223], -v[216:217], v[218:219], 1.0
	v_fma_f64 v[218:219], v[218:219], v[222:223], v[218:219]
	s_delay_alu instid0(VALU_DEP_1) | instskip(NEXT) | instid1(VALU_DEP_1)
	v_fma_f64 v[222:223], -v[216:217], v[218:219], 1.0
	v_fma_f64 v[218:219], v[218:219], v[222:223], v[218:219]
	v_div_scale_f64 v[222:223], vcc_lo, 1.0, v[212:213], 1.0
	s_delay_alu instid0(VALU_DEP_1) | instskip(NEXT) | instid1(VALU_DEP_1)
	v_mul_f64 v[224:225], v[222:223], v[218:219]
	v_fma_f64 v[216:217], -v[216:217], v[224:225], v[222:223]
	s_delay_alu instid0(VALU_DEP_1) | instskip(NEXT) | instid1(VALU_DEP_1)
	v_div_fmas_f64 v[216:217], v[216:217], v[218:219], v[224:225]
	v_div_fixup_f64 v[212:213], v[216:217], v[212:213], 1.0
	s_delay_alu instid0(VALU_DEP_1)
	v_mul_f64 v[222:223], v[220:221], -v[212:213]
.LBB107_277:
	s_or_b32 exec_lo, exec_lo, s3
	ds_store_2addr_b64 v204, v[212:213], v[222:223] offset1:1
.LBB107_278:
	s_or_b32 exec_lo, exec_lo, s4
	s_waitcnt lgkmcnt(0)
	s_barrier
	buffer_gl0_inv
	ds_load_2addr_b64 v[205:208], v204 offset1:1
	s_mov_b32 s3, exec_lo
	s_waitcnt lgkmcnt(0)
	scratch_store_b128 off, v[205:208], off offset:960 ; 16-byte Folded Spill
	v_cmpx_lt_u32_e32 30, v215
	s_cbranch_execz .LBB107_280
; %bb.279:
	scratch_load_b128 v[205:208], off, off offset:960 ; 16-byte Folded Reload
	ds_load_2addr_b64 v[218:221], v214 offset0:62 offset1:63
	s_waitcnt vmcnt(0)
	v_mul_f64 v[212:213], v[207:208], v[94:95]
	v_mul_f64 v[94:95], v[205:206], v[94:95]
	s_delay_alu instid0(VALU_DEP_2) | instskip(NEXT) | instid1(VALU_DEP_2)
	v_fma_f64 v[216:217], v[205:206], v[92:93], -v[212:213]
	v_fma_f64 v[94:95], v[207:208], v[92:93], v[94:95]
	s_waitcnt lgkmcnt(0)
	s_delay_alu instid0(VALU_DEP_1) | instskip(SKIP_1) | instid1(VALU_DEP_2)
	v_mul_f64 v[92:93], v[220:221], v[94:95]
	v_mul_f64 v[212:213], v[218:219], v[94:95]
	v_fma_f64 v[92:93], v[218:219], v[216:217], -v[92:93]
	s_delay_alu instid0(VALU_DEP_2)
	v_fma_f64 v[212:213], v[220:221], v[216:217], v[212:213]
	ds_load_2addr_b64 v[218:221], v214 offset0:64 offset1:65
	v_add_f64 v[88:89], v[88:89], -v[92:93]
	v_add_f64 v[90:91], v[90:91], -v[212:213]
	s_waitcnt lgkmcnt(0)
	v_mul_f64 v[92:93], v[220:221], v[94:95]
	v_mul_f64 v[212:213], v[218:219], v[94:95]
	s_delay_alu instid0(VALU_DEP_2) | instskip(NEXT) | instid1(VALU_DEP_2)
	v_fma_f64 v[92:93], v[218:219], v[216:217], -v[92:93]
	v_fma_f64 v[212:213], v[220:221], v[216:217], v[212:213]
	ds_load_2addr_b64 v[218:221], v214 offset0:66 offset1:67
	v_add_f64 v[84:85], v[84:85], -v[92:93]
	v_add_f64 v[86:87], v[86:87], -v[212:213]
	s_waitcnt lgkmcnt(0)
	v_mul_f64 v[92:93], v[220:221], v[94:95]
	v_mul_f64 v[212:213], v[218:219], v[94:95]
	s_delay_alu instid0(VALU_DEP_2) | instskip(NEXT) | instid1(VALU_DEP_2)
	v_fma_f64 v[92:93], v[218:219], v[216:217], -v[92:93]
	;; [unrolled: 9-line block ×22, first 2 shown]
	v_fma_f64 v[212:213], v[220:221], v[216:217], v[212:213]
	s_delay_alu instid0(VALU_DEP_2) | instskip(NEXT) | instid1(VALU_DEP_2)
	v_add_f64 v[0:1], v[0:1], -v[92:93]
	v_add_f64 v[2:3], v[2:3], -v[212:213]
	v_dual_mov_b32 v92, v216 :: v_dual_mov_b32 v93, v217
.LBB107_280:
	s_or_b32 exec_lo, exec_lo, s3
	s_delay_alu instid0(SALU_CYCLE_1)
	s_mov_b32 s4, exec_lo
	s_waitcnt_vscnt null, 0x0
	s_barrier
	buffer_gl0_inv
	v_cmpx_eq_u32_e32 31, v215
	s_cbranch_execz .LBB107_287
; %bb.281:
	ds_store_2addr_b64 v204, v[88:89], v[90:91] offset1:1
	ds_store_2addr_b64 v214, v[84:85], v[86:87] offset0:64 offset1:65
	ds_store_2addr_b64 v214, v[80:81], v[82:83] offset0:66 offset1:67
	;; [unrolled: 1-line block ×22, first 2 shown]
	ds_load_2addr_b64 v[216:219], v204 offset1:1
	s_waitcnt lgkmcnt(0)
	v_cmp_neq_f64_e32 vcc_lo, 0, v[216:217]
	v_cmp_neq_f64_e64 s3, 0, v[218:219]
	s_delay_alu instid0(VALU_DEP_1) | instskip(NEXT) | instid1(SALU_CYCLE_1)
	s_or_b32 s3, vcc_lo, s3
	s_and_b32 exec_lo, exec_lo, s3
	s_cbranch_execz .LBB107_287
; %bb.282:
	v_cmp_gt_f64_e32 vcc_lo, 0, v[216:217]
	v_xor_b32_e32 v208, 0x80000000, v217
	s_delay_alu instid0(VALU_DEP_1) | instskip(SKIP_3) | instid1(VALU_DEP_1)
	v_cndmask_b32_e32 v213, v217, v208, vcc_lo
	v_cndmask_b32_e32 v212, v216, v216, vcc_lo
	v_cmp_gt_f64_e32 vcc_lo, 0, v[218:219]
	v_xor_b32_e32 v208, 0x80000000, v219
	v_dual_cndmask_b32 v220, v218, v218 :: v_dual_cndmask_b32 v221, v219, v208
	s_delay_alu instid0(VALU_DEP_1) | instskip(SKIP_1) | instid1(SALU_CYCLE_1)
	v_cmp_ngt_f64_e32 vcc_lo, v[212:213], v[220:221]
                                        ; implicit-def: $vgpr212_vgpr213
	s_and_saveexec_b32 s3, vcc_lo
	s_xor_b32 s3, exec_lo, s3
                                        ; implicit-def: $vgpr220_vgpr221_vgpr222_vgpr223
	s_cbranch_execz .LBB107_284
; %bb.283:
	v_div_scale_f64 v[212:213], null, v[218:219], v[218:219], v[216:217]
	v_div_scale_f64 v[224:225], vcc_lo, v[216:217], v[218:219], v[216:217]
	s_delay_alu instid0(VALU_DEP_2) | instskip(SKIP_2) | instid1(VALU_DEP_1)
	v_rcp_f64_e32 v[220:221], v[212:213]
	s_waitcnt_depctr 0xfff
	v_fma_f64 v[222:223], -v[212:213], v[220:221], 1.0
	v_fma_f64 v[220:221], v[220:221], v[222:223], v[220:221]
	s_delay_alu instid0(VALU_DEP_1) | instskip(NEXT) | instid1(VALU_DEP_1)
	v_fma_f64 v[222:223], -v[212:213], v[220:221], 1.0
	v_fma_f64 v[220:221], v[220:221], v[222:223], v[220:221]
	s_delay_alu instid0(VALU_DEP_1) | instskip(NEXT) | instid1(VALU_DEP_1)
	v_mul_f64 v[222:223], v[224:225], v[220:221]
	v_fma_f64 v[212:213], -v[212:213], v[222:223], v[224:225]
	s_delay_alu instid0(VALU_DEP_1) | instskip(NEXT) | instid1(VALU_DEP_1)
	v_div_fmas_f64 v[212:213], v[212:213], v[220:221], v[222:223]
	v_div_fixup_f64 v[212:213], v[212:213], v[218:219], v[216:217]
	s_delay_alu instid0(VALU_DEP_1) | instskip(NEXT) | instid1(VALU_DEP_1)
	v_fma_f64 v[216:217], v[216:217], v[212:213], v[218:219]
	v_div_scale_f64 v[218:219], null, v[216:217], v[216:217], 1.0
	s_delay_alu instid0(VALU_DEP_1) | instskip(SKIP_2) | instid1(VALU_DEP_1)
	v_rcp_f64_e32 v[220:221], v[218:219]
	s_waitcnt_depctr 0xfff
	v_fma_f64 v[222:223], -v[218:219], v[220:221], 1.0
	v_fma_f64 v[220:221], v[220:221], v[222:223], v[220:221]
	s_delay_alu instid0(VALU_DEP_1) | instskip(NEXT) | instid1(VALU_DEP_1)
	v_fma_f64 v[222:223], -v[218:219], v[220:221], 1.0
	v_fma_f64 v[220:221], v[220:221], v[222:223], v[220:221]
	v_div_scale_f64 v[222:223], vcc_lo, 1.0, v[216:217], 1.0
	s_delay_alu instid0(VALU_DEP_1) | instskip(NEXT) | instid1(VALU_DEP_1)
	v_mul_f64 v[224:225], v[222:223], v[220:221]
	v_fma_f64 v[218:219], -v[218:219], v[224:225], v[222:223]
	s_delay_alu instid0(VALU_DEP_1) | instskip(NEXT) | instid1(VALU_DEP_1)
	v_div_fmas_f64 v[218:219], v[218:219], v[220:221], v[224:225]
	v_div_fixup_f64 v[222:223], v[218:219], v[216:217], 1.0
                                        ; implicit-def: $vgpr216_vgpr217
	s_delay_alu instid0(VALU_DEP_1)
	v_mul_f64 v[212:213], v[212:213], v[222:223]
	v_xor_b32_e32 v223, 0x80000000, v223
.LBB107_284:
	s_and_not1_saveexec_b32 s3, s3
	s_cbranch_execz .LBB107_286
; %bb.285:
	v_div_scale_f64 v[212:213], null, v[216:217], v[216:217], v[218:219]
	v_div_scale_f64 v[224:225], vcc_lo, v[218:219], v[216:217], v[218:219]
	s_delay_alu instid0(VALU_DEP_2) | instskip(SKIP_2) | instid1(VALU_DEP_1)
	v_rcp_f64_e32 v[220:221], v[212:213]
	s_waitcnt_depctr 0xfff
	v_fma_f64 v[222:223], -v[212:213], v[220:221], 1.0
	v_fma_f64 v[220:221], v[220:221], v[222:223], v[220:221]
	s_delay_alu instid0(VALU_DEP_1) | instskip(NEXT) | instid1(VALU_DEP_1)
	v_fma_f64 v[222:223], -v[212:213], v[220:221], 1.0
	v_fma_f64 v[220:221], v[220:221], v[222:223], v[220:221]
	s_delay_alu instid0(VALU_DEP_1) | instskip(NEXT) | instid1(VALU_DEP_1)
	v_mul_f64 v[222:223], v[224:225], v[220:221]
	v_fma_f64 v[212:213], -v[212:213], v[222:223], v[224:225]
	s_delay_alu instid0(VALU_DEP_1) | instskip(NEXT) | instid1(VALU_DEP_1)
	v_div_fmas_f64 v[212:213], v[212:213], v[220:221], v[222:223]
	v_div_fixup_f64 v[220:221], v[212:213], v[216:217], v[218:219]
	s_delay_alu instid0(VALU_DEP_1) | instskip(NEXT) | instid1(VALU_DEP_1)
	v_fma_f64 v[212:213], v[218:219], v[220:221], v[216:217]
	v_div_scale_f64 v[216:217], null, v[212:213], v[212:213], 1.0
	s_delay_alu instid0(VALU_DEP_1) | instskip(SKIP_2) | instid1(VALU_DEP_1)
	v_rcp_f64_e32 v[218:219], v[216:217]
	s_waitcnt_depctr 0xfff
	v_fma_f64 v[222:223], -v[216:217], v[218:219], 1.0
	v_fma_f64 v[218:219], v[218:219], v[222:223], v[218:219]
	s_delay_alu instid0(VALU_DEP_1) | instskip(NEXT) | instid1(VALU_DEP_1)
	v_fma_f64 v[222:223], -v[216:217], v[218:219], 1.0
	v_fma_f64 v[218:219], v[218:219], v[222:223], v[218:219]
	v_div_scale_f64 v[222:223], vcc_lo, 1.0, v[212:213], 1.0
	s_delay_alu instid0(VALU_DEP_1) | instskip(NEXT) | instid1(VALU_DEP_1)
	v_mul_f64 v[224:225], v[222:223], v[218:219]
	v_fma_f64 v[216:217], -v[216:217], v[224:225], v[222:223]
	s_delay_alu instid0(VALU_DEP_1) | instskip(NEXT) | instid1(VALU_DEP_1)
	v_div_fmas_f64 v[216:217], v[216:217], v[218:219], v[224:225]
	v_div_fixup_f64 v[212:213], v[216:217], v[212:213], 1.0
	s_delay_alu instid0(VALU_DEP_1)
	v_mul_f64 v[222:223], v[220:221], -v[212:213]
.LBB107_286:
	s_or_b32 exec_lo, exec_lo, s3
	ds_store_2addr_b64 v204, v[212:213], v[222:223] offset1:1
.LBB107_287:
	s_or_b32 exec_lo, exec_lo, s4
	s_waitcnt lgkmcnt(0)
	s_barrier
	buffer_gl0_inv
	ds_load_2addr_b64 v[205:208], v204 offset1:1
	s_mov_b32 s3, exec_lo
	s_waitcnt lgkmcnt(0)
	scratch_store_b128 off, v[205:208], off offset:976 ; 16-byte Folded Spill
	v_cmpx_lt_u32_e32 31, v215
	s_cbranch_execz .LBB107_289
; %bb.288:
	scratch_load_b128 v[205:208], off, off offset:976 ; 16-byte Folded Reload
	ds_load_2addr_b64 v[218:221], v214 offset0:64 offset1:65
	s_waitcnt vmcnt(0)
	v_mul_f64 v[212:213], v[207:208], v[90:91]
	v_mul_f64 v[90:91], v[205:206], v[90:91]
	s_delay_alu instid0(VALU_DEP_2) | instskip(NEXT) | instid1(VALU_DEP_2)
	v_fma_f64 v[216:217], v[205:206], v[88:89], -v[212:213]
	v_fma_f64 v[90:91], v[207:208], v[88:89], v[90:91]
	s_waitcnt lgkmcnt(0)
	s_delay_alu instid0(VALU_DEP_1) | instskip(SKIP_1) | instid1(VALU_DEP_2)
	v_mul_f64 v[88:89], v[220:221], v[90:91]
	v_mul_f64 v[212:213], v[218:219], v[90:91]
	v_fma_f64 v[88:89], v[218:219], v[216:217], -v[88:89]
	s_delay_alu instid0(VALU_DEP_2)
	v_fma_f64 v[212:213], v[220:221], v[216:217], v[212:213]
	ds_load_2addr_b64 v[218:221], v214 offset0:66 offset1:67
	v_add_f64 v[84:85], v[84:85], -v[88:89]
	v_add_f64 v[86:87], v[86:87], -v[212:213]
	s_waitcnt lgkmcnt(0)
	v_mul_f64 v[88:89], v[220:221], v[90:91]
	v_mul_f64 v[212:213], v[218:219], v[90:91]
	s_delay_alu instid0(VALU_DEP_2) | instskip(NEXT) | instid1(VALU_DEP_2)
	v_fma_f64 v[88:89], v[218:219], v[216:217], -v[88:89]
	v_fma_f64 v[212:213], v[220:221], v[216:217], v[212:213]
	ds_load_2addr_b64 v[218:221], v214 offset0:68 offset1:69
	v_add_f64 v[80:81], v[80:81], -v[88:89]
	v_add_f64 v[82:83], v[82:83], -v[212:213]
	s_waitcnt lgkmcnt(0)
	v_mul_f64 v[88:89], v[220:221], v[90:91]
	v_mul_f64 v[212:213], v[218:219], v[90:91]
	s_delay_alu instid0(VALU_DEP_2) | instskip(NEXT) | instid1(VALU_DEP_2)
	v_fma_f64 v[88:89], v[218:219], v[216:217], -v[88:89]
	;; [unrolled: 9-line block ×21, first 2 shown]
	v_fma_f64 v[212:213], v[220:221], v[216:217], v[212:213]
	s_delay_alu instid0(VALU_DEP_2) | instskip(NEXT) | instid1(VALU_DEP_2)
	v_add_f64 v[0:1], v[0:1], -v[88:89]
	v_add_f64 v[2:3], v[2:3], -v[212:213]
	v_dual_mov_b32 v88, v216 :: v_dual_mov_b32 v89, v217
.LBB107_289:
	s_or_b32 exec_lo, exec_lo, s3
	s_delay_alu instid0(SALU_CYCLE_1)
	s_mov_b32 s4, exec_lo
	s_waitcnt_vscnt null, 0x0
	s_barrier
	buffer_gl0_inv
	v_cmpx_eq_u32_e32 32, v215
	s_cbranch_execz .LBB107_296
; %bb.290:
	ds_store_2addr_b64 v204, v[84:85], v[86:87] offset1:1
	ds_store_2addr_b64 v214, v[80:81], v[82:83] offset0:66 offset1:67
	ds_store_2addr_b64 v214, v[76:77], v[78:79] offset0:68 offset1:69
	;; [unrolled: 1-line block ×21, first 2 shown]
	ds_load_2addr_b64 v[216:219], v204 offset1:1
	s_waitcnt lgkmcnt(0)
	v_cmp_neq_f64_e32 vcc_lo, 0, v[216:217]
	v_cmp_neq_f64_e64 s3, 0, v[218:219]
	s_delay_alu instid0(VALU_DEP_1) | instskip(NEXT) | instid1(SALU_CYCLE_1)
	s_or_b32 s3, vcc_lo, s3
	s_and_b32 exec_lo, exec_lo, s3
	s_cbranch_execz .LBB107_296
; %bb.291:
	v_cmp_gt_f64_e32 vcc_lo, 0, v[216:217]
	v_xor_b32_e32 v208, 0x80000000, v217
	s_delay_alu instid0(VALU_DEP_1) | instskip(SKIP_3) | instid1(VALU_DEP_1)
	v_cndmask_b32_e32 v213, v217, v208, vcc_lo
	v_cndmask_b32_e32 v212, v216, v216, vcc_lo
	v_cmp_gt_f64_e32 vcc_lo, 0, v[218:219]
	v_xor_b32_e32 v208, 0x80000000, v219
	v_dual_cndmask_b32 v220, v218, v218 :: v_dual_cndmask_b32 v221, v219, v208
	s_delay_alu instid0(VALU_DEP_1) | instskip(SKIP_1) | instid1(SALU_CYCLE_1)
	v_cmp_ngt_f64_e32 vcc_lo, v[212:213], v[220:221]
                                        ; implicit-def: $vgpr212_vgpr213
	s_and_saveexec_b32 s3, vcc_lo
	s_xor_b32 s3, exec_lo, s3
                                        ; implicit-def: $vgpr220_vgpr221_vgpr222_vgpr223
	s_cbranch_execz .LBB107_293
; %bb.292:
	v_div_scale_f64 v[212:213], null, v[218:219], v[218:219], v[216:217]
	v_div_scale_f64 v[224:225], vcc_lo, v[216:217], v[218:219], v[216:217]
	s_delay_alu instid0(VALU_DEP_2) | instskip(SKIP_2) | instid1(VALU_DEP_1)
	v_rcp_f64_e32 v[220:221], v[212:213]
	s_waitcnt_depctr 0xfff
	v_fma_f64 v[222:223], -v[212:213], v[220:221], 1.0
	v_fma_f64 v[220:221], v[220:221], v[222:223], v[220:221]
	s_delay_alu instid0(VALU_DEP_1) | instskip(NEXT) | instid1(VALU_DEP_1)
	v_fma_f64 v[222:223], -v[212:213], v[220:221], 1.0
	v_fma_f64 v[220:221], v[220:221], v[222:223], v[220:221]
	s_delay_alu instid0(VALU_DEP_1) | instskip(NEXT) | instid1(VALU_DEP_1)
	v_mul_f64 v[222:223], v[224:225], v[220:221]
	v_fma_f64 v[212:213], -v[212:213], v[222:223], v[224:225]
	s_delay_alu instid0(VALU_DEP_1) | instskip(NEXT) | instid1(VALU_DEP_1)
	v_div_fmas_f64 v[212:213], v[212:213], v[220:221], v[222:223]
	v_div_fixup_f64 v[212:213], v[212:213], v[218:219], v[216:217]
	s_delay_alu instid0(VALU_DEP_1) | instskip(NEXT) | instid1(VALU_DEP_1)
	v_fma_f64 v[216:217], v[216:217], v[212:213], v[218:219]
	v_div_scale_f64 v[218:219], null, v[216:217], v[216:217], 1.0
	s_delay_alu instid0(VALU_DEP_1) | instskip(SKIP_2) | instid1(VALU_DEP_1)
	v_rcp_f64_e32 v[220:221], v[218:219]
	s_waitcnt_depctr 0xfff
	v_fma_f64 v[222:223], -v[218:219], v[220:221], 1.0
	v_fma_f64 v[220:221], v[220:221], v[222:223], v[220:221]
	s_delay_alu instid0(VALU_DEP_1) | instskip(NEXT) | instid1(VALU_DEP_1)
	v_fma_f64 v[222:223], -v[218:219], v[220:221], 1.0
	v_fma_f64 v[220:221], v[220:221], v[222:223], v[220:221]
	v_div_scale_f64 v[222:223], vcc_lo, 1.0, v[216:217], 1.0
	s_delay_alu instid0(VALU_DEP_1) | instskip(NEXT) | instid1(VALU_DEP_1)
	v_mul_f64 v[224:225], v[222:223], v[220:221]
	v_fma_f64 v[218:219], -v[218:219], v[224:225], v[222:223]
	s_delay_alu instid0(VALU_DEP_1) | instskip(NEXT) | instid1(VALU_DEP_1)
	v_div_fmas_f64 v[218:219], v[218:219], v[220:221], v[224:225]
	v_div_fixup_f64 v[222:223], v[218:219], v[216:217], 1.0
                                        ; implicit-def: $vgpr216_vgpr217
	s_delay_alu instid0(VALU_DEP_1)
	v_mul_f64 v[212:213], v[212:213], v[222:223]
	v_xor_b32_e32 v223, 0x80000000, v223
.LBB107_293:
	s_and_not1_saveexec_b32 s3, s3
	s_cbranch_execz .LBB107_295
; %bb.294:
	v_div_scale_f64 v[212:213], null, v[216:217], v[216:217], v[218:219]
	v_div_scale_f64 v[224:225], vcc_lo, v[218:219], v[216:217], v[218:219]
	s_delay_alu instid0(VALU_DEP_2) | instskip(SKIP_2) | instid1(VALU_DEP_1)
	v_rcp_f64_e32 v[220:221], v[212:213]
	s_waitcnt_depctr 0xfff
	v_fma_f64 v[222:223], -v[212:213], v[220:221], 1.0
	v_fma_f64 v[220:221], v[220:221], v[222:223], v[220:221]
	s_delay_alu instid0(VALU_DEP_1) | instskip(NEXT) | instid1(VALU_DEP_1)
	v_fma_f64 v[222:223], -v[212:213], v[220:221], 1.0
	v_fma_f64 v[220:221], v[220:221], v[222:223], v[220:221]
	s_delay_alu instid0(VALU_DEP_1) | instskip(NEXT) | instid1(VALU_DEP_1)
	v_mul_f64 v[222:223], v[224:225], v[220:221]
	v_fma_f64 v[212:213], -v[212:213], v[222:223], v[224:225]
	s_delay_alu instid0(VALU_DEP_1) | instskip(NEXT) | instid1(VALU_DEP_1)
	v_div_fmas_f64 v[212:213], v[212:213], v[220:221], v[222:223]
	v_div_fixup_f64 v[220:221], v[212:213], v[216:217], v[218:219]
	s_delay_alu instid0(VALU_DEP_1) | instskip(NEXT) | instid1(VALU_DEP_1)
	v_fma_f64 v[212:213], v[218:219], v[220:221], v[216:217]
	v_div_scale_f64 v[216:217], null, v[212:213], v[212:213], 1.0
	s_delay_alu instid0(VALU_DEP_1) | instskip(SKIP_2) | instid1(VALU_DEP_1)
	v_rcp_f64_e32 v[218:219], v[216:217]
	s_waitcnt_depctr 0xfff
	v_fma_f64 v[222:223], -v[216:217], v[218:219], 1.0
	v_fma_f64 v[218:219], v[218:219], v[222:223], v[218:219]
	s_delay_alu instid0(VALU_DEP_1) | instskip(NEXT) | instid1(VALU_DEP_1)
	v_fma_f64 v[222:223], -v[216:217], v[218:219], 1.0
	v_fma_f64 v[218:219], v[218:219], v[222:223], v[218:219]
	v_div_scale_f64 v[222:223], vcc_lo, 1.0, v[212:213], 1.0
	s_delay_alu instid0(VALU_DEP_1) | instskip(NEXT) | instid1(VALU_DEP_1)
	v_mul_f64 v[224:225], v[222:223], v[218:219]
	v_fma_f64 v[216:217], -v[216:217], v[224:225], v[222:223]
	s_delay_alu instid0(VALU_DEP_1) | instskip(NEXT) | instid1(VALU_DEP_1)
	v_div_fmas_f64 v[216:217], v[216:217], v[218:219], v[224:225]
	v_div_fixup_f64 v[212:213], v[216:217], v[212:213], 1.0
	s_delay_alu instid0(VALU_DEP_1)
	v_mul_f64 v[222:223], v[220:221], -v[212:213]
.LBB107_295:
	s_or_b32 exec_lo, exec_lo, s3
	ds_store_2addr_b64 v204, v[212:213], v[222:223] offset1:1
.LBB107_296:
	s_or_b32 exec_lo, exec_lo, s4
	s_waitcnt lgkmcnt(0)
	s_barrier
	buffer_gl0_inv
	ds_load_2addr_b64 v[205:208], v204 offset1:1
	s_mov_b32 s3, exec_lo
	s_waitcnt lgkmcnt(0)
	scratch_store_b128 off, v[205:208], off offset:992 ; 16-byte Folded Spill
	v_cmpx_lt_u32_e32 32, v215
	s_cbranch_execz .LBB107_298
; %bb.297:
	scratch_load_b128 v[205:208], off, off offset:992 ; 16-byte Folded Reload
	ds_load_2addr_b64 v[218:221], v214 offset0:66 offset1:67
	s_waitcnt vmcnt(0)
	v_mul_f64 v[212:213], v[207:208], v[86:87]
	v_mul_f64 v[86:87], v[205:206], v[86:87]
	s_delay_alu instid0(VALU_DEP_2) | instskip(NEXT) | instid1(VALU_DEP_2)
	v_fma_f64 v[216:217], v[205:206], v[84:85], -v[212:213]
	v_fma_f64 v[86:87], v[207:208], v[84:85], v[86:87]
	s_waitcnt lgkmcnt(0)
	s_delay_alu instid0(VALU_DEP_1) | instskip(SKIP_1) | instid1(VALU_DEP_2)
	v_mul_f64 v[84:85], v[220:221], v[86:87]
	v_mul_f64 v[212:213], v[218:219], v[86:87]
	v_fma_f64 v[84:85], v[218:219], v[216:217], -v[84:85]
	s_delay_alu instid0(VALU_DEP_2)
	v_fma_f64 v[212:213], v[220:221], v[216:217], v[212:213]
	ds_load_2addr_b64 v[218:221], v214 offset0:68 offset1:69
	v_add_f64 v[80:81], v[80:81], -v[84:85]
	v_add_f64 v[82:83], v[82:83], -v[212:213]
	s_waitcnt lgkmcnt(0)
	v_mul_f64 v[84:85], v[220:221], v[86:87]
	v_mul_f64 v[212:213], v[218:219], v[86:87]
	s_delay_alu instid0(VALU_DEP_2) | instskip(NEXT) | instid1(VALU_DEP_2)
	v_fma_f64 v[84:85], v[218:219], v[216:217], -v[84:85]
	v_fma_f64 v[212:213], v[220:221], v[216:217], v[212:213]
	ds_load_2addr_b64 v[218:221], v214 offset0:70 offset1:71
	v_add_f64 v[76:77], v[76:77], -v[84:85]
	v_add_f64 v[78:79], v[78:79], -v[212:213]
	s_waitcnt lgkmcnt(0)
	v_mul_f64 v[84:85], v[220:221], v[86:87]
	v_mul_f64 v[212:213], v[218:219], v[86:87]
	s_delay_alu instid0(VALU_DEP_2) | instskip(NEXT) | instid1(VALU_DEP_2)
	v_fma_f64 v[84:85], v[218:219], v[216:217], -v[84:85]
	;; [unrolled: 9-line block ×20, first 2 shown]
	v_fma_f64 v[212:213], v[220:221], v[216:217], v[212:213]
	s_delay_alu instid0(VALU_DEP_2) | instskip(NEXT) | instid1(VALU_DEP_2)
	v_add_f64 v[0:1], v[0:1], -v[84:85]
	v_add_f64 v[2:3], v[2:3], -v[212:213]
	v_dual_mov_b32 v84, v216 :: v_dual_mov_b32 v85, v217
.LBB107_298:
	s_or_b32 exec_lo, exec_lo, s3
	s_delay_alu instid0(SALU_CYCLE_1)
	s_mov_b32 s4, exec_lo
	s_waitcnt_vscnt null, 0x0
	s_barrier
	buffer_gl0_inv
	v_cmpx_eq_u32_e32 33, v215
	s_cbranch_execz .LBB107_305
; %bb.299:
	ds_store_2addr_b64 v204, v[80:81], v[82:83] offset1:1
	ds_store_2addr_b64 v214, v[76:77], v[78:79] offset0:68 offset1:69
	ds_store_2addr_b64 v214, v[72:73], v[74:75] offset0:70 offset1:71
	;; [unrolled: 1-line block ×20, first 2 shown]
	ds_load_2addr_b64 v[216:219], v204 offset1:1
	s_waitcnt lgkmcnt(0)
	v_cmp_neq_f64_e32 vcc_lo, 0, v[216:217]
	v_cmp_neq_f64_e64 s3, 0, v[218:219]
	s_delay_alu instid0(VALU_DEP_1) | instskip(NEXT) | instid1(SALU_CYCLE_1)
	s_or_b32 s3, vcc_lo, s3
	s_and_b32 exec_lo, exec_lo, s3
	s_cbranch_execz .LBB107_305
; %bb.300:
	v_cmp_gt_f64_e32 vcc_lo, 0, v[216:217]
	v_xor_b32_e32 v208, 0x80000000, v217
	s_delay_alu instid0(VALU_DEP_1) | instskip(SKIP_3) | instid1(VALU_DEP_1)
	v_cndmask_b32_e32 v213, v217, v208, vcc_lo
	v_cndmask_b32_e32 v212, v216, v216, vcc_lo
	v_cmp_gt_f64_e32 vcc_lo, 0, v[218:219]
	v_xor_b32_e32 v208, 0x80000000, v219
	v_dual_cndmask_b32 v220, v218, v218 :: v_dual_cndmask_b32 v221, v219, v208
	s_delay_alu instid0(VALU_DEP_1) | instskip(SKIP_1) | instid1(SALU_CYCLE_1)
	v_cmp_ngt_f64_e32 vcc_lo, v[212:213], v[220:221]
                                        ; implicit-def: $vgpr212_vgpr213
	s_and_saveexec_b32 s3, vcc_lo
	s_xor_b32 s3, exec_lo, s3
                                        ; implicit-def: $vgpr220_vgpr221_vgpr222_vgpr223
	s_cbranch_execz .LBB107_302
; %bb.301:
	v_div_scale_f64 v[212:213], null, v[218:219], v[218:219], v[216:217]
	v_div_scale_f64 v[224:225], vcc_lo, v[216:217], v[218:219], v[216:217]
	s_delay_alu instid0(VALU_DEP_2) | instskip(SKIP_2) | instid1(VALU_DEP_1)
	v_rcp_f64_e32 v[220:221], v[212:213]
	s_waitcnt_depctr 0xfff
	v_fma_f64 v[222:223], -v[212:213], v[220:221], 1.0
	v_fma_f64 v[220:221], v[220:221], v[222:223], v[220:221]
	s_delay_alu instid0(VALU_DEP_1) | instskip(NEXT) | instid1(VALU_DEP_1)
	v_fma_f64 v[222:223], -v[212:213], v[220:221], 1.0
	v_fma_f64 v[220:221], v[220:221], v[222:223], v[220:221]
	s_delay_alu instid0(VALU_DEP_1) | instskip(NEXT) | instid1(VALU_DEP_1)
	v_mul_f64 v[222:223], v[224:225], v[220:221]
	v_fma_f64 v[212:213], -v[212:213], v[222:223], v[224:225]
	s_delay_alu instid0(VALU_DEP_1) | instskip(NEXT) | instid1(VALU_DEP_1)
	v_div_fmas_f64 v[212:213], v[212:213], v[220:221], v[222:223]
	v_div_fixup_f64 v[212:213], v[212:213], v[218:219], v[216:217]
	s_delay_alu instid0(VALU_DEP_1) | instskip(NEXT) | instid1(VALU_DEP_1)
	v_fma_f64 v[216:217], v[216:217], v[212:213], v[218:219]
	v_div_scale_f64 v[218:219], null, v[216:217], v[216:217], 1.0
	s_delay_alu instid0(VALU_DEP_1) | instskip(SKIP_2) | instid1(VALU_DEP_1)
	v_rcp_f64_e32 v[220:221], v[218:219]
	s_waitcnt_depctr 0xfff
	v_fma_f64 v[222:223], -v[218:219], v[220:221], 1.0
	v_fma_f64 v[220:221], v[220:221], v[222:223], v[220:221]
	s_delay_alu instid0(VALU_DEP_1) | instskip(NEXT) | instid1(VALU_DEP_1)
	v_fma_f64 v[222:223], -v[218:219], v[220:221], 1.0
	v_fma_f64 v[220:221], v[220:221], v[222:223], v[220:221]
	v_div_scale_f64 v[222:223], vcc_lo, 1.0, v[216:217], 1.0
	s_delay_alu instid0(VALU_DEP_1) | instskip(NEXT) | instid1(VALU_DEP_1)
	v_mul_f64 v[224:225], v[222:223], v[220:221]
	v_fma_f64 v[218:219], -v[218:219], v[224:225], v[222:223]
	s_delay_alu instid0(VALU_DEP_1) | instskip(NEXT) | instid1(VALU_DEP_1)
	v_div_fmas_f64 v[218:219], v[218:219], v[220:221], v[224:225]
	v_div_fixup_f64 v[222:223], v[218:219], v[216:217], 1.0
                                        ; implicit-def: $vgpr216_vgpr217
	s_delay_alu instid0(VALU_DEP_1)
	v_mul_f64 v[212:213], v[212:213], v[222:223]
	v_xor_b32_e32 v223, 0x80000000, v223
.LBB107_302:
	s_and_not1_saveexec_b32 s3, s3
	s_cbranch_execz .LBB107_304
; %bb.303:
	v_div_scale_f64 v[212:213], null, v[216:217], v[216:217], v[218:219]
	v_div_scale_f64 v[224:225], vcc_lo, v[218:219], v[216:217], v[218:219]
	s_delay_alu instid0(VALU_DEP_2) | instskip(SKIP_2) | instid1(VALU_DEP_1)
	v_rcp_f64_e32 v[220:221], v[212:213]
	s_waitcnt_depctr 0xfff
	v_fma_f64 v[222:223], -v[212:213], v[220:221], 1.0
	v_fma_f64 v[220:221], v[220:221], v[222:223], v[220:221]
	s_delay_alu instid0(VALU_DEP_1) | instskip(NEXT) | instid1(VALU_DEP_1)
	v_fma_f64 v[222:223], -v[212:213], v[220:221], 1.0
	v_fma_f64 v[220:221], v[220:221], v[222:223], v[220:221]
	s_delay_alu instid0(VALU_DEP_1) | instskip(NEXT) | instid1(VALU_DEP_1)
	v_mul_f64 v[222:223], v[224:225], v[220:221]
	v_fma_f64 v[212:213], -v[212:213], v[222:223], v[224:225]
	s_delay_alu instid0(VALU_DEP_1) | instskip(NEXT) | instid1(VALU_DEP_1)
	v_div_fmas_f64 v[212:213], v[212:213], v[220:221], v[222:223]
	v_div_fixup_f64 v[220:221], v[212:213], v[216:217], v[218:219]
	s_delay_alu instid0(VALU_DEP_1) | instskip(NEXT) | instid1(VALU_DEP_1)
	v_fma_f64 v[212:213], v[218:219], v[220:221], v[216:217]
	v_div_scale_f64 v[216:217], null, v[212:213], v[212:213], 1.0
	s_delay_alu instid0(VALU_DEP_1) | instskip(SKIP_2) | instid1(VALU_DEP_1)
	v_rcp_f64_e32 v[218:219], v[216:217]
	s_waitcnt_depctr 0xfff
	v_fma_f64 v[222:223], -v[216:217], v[218:219], 1.0
	v_fma_f64 v[218:219], v[218:219], v[222:223], v[218:219]
	s_delay_alu instid0(VALU_DEP_1) | instskip(NEXT) | instid1(VALU_DEP_1)
	v_fma_f64 v[222:223], -v[216:217], v[218:219], 1.0
	v_fma_f64 v[218:219], v[218:219], v[222:223], v[218:219]
	v_div_scale_f64 v[222:223], vcc_lo, 1.0, v[212:213], 1.0
	s_delay_alu instid0(VALU_DEP_1) | instskip(NEXT) | instid1(VALU_DEP_1)
	v_mul_f64 v[224:225], v[222:223], v[218:219]
	v_fma_f64 v[216:217], -v[216:217], v[224:225], v[222:223]
	s_delay_alu instid0(VALU_DEP_1) | instskip(NEXT) | instid1(VALU_DEP_1)
	v_div_fmas_f64 v[216:217], v[216:217], v[218:219], v[224:225]
	v_div_fixup_f64 v[212:213], v[216:217], v[212:213], 1.0
	s_delay_alu instid0(VALU_DEP_1)
	v_mul_f64 v[222:223], v[220:221], -v[212:213]
.LBB107_304:
	s_or_b32 exec_lo, exec_lo, s3
	ds_store_2addr_b64 v204, v[212:213], v[222:223] offset1:1
.LBB107_305:
	s_or_b32 exec_lo, exec_lo, s4
	s_waitcnt lgkmcnt(0)
	s_barrier
	buffer_gl0_inv
	ds_load_2addr_b64 v[205:208], v204 offset1:1
	s_mov_b32 s3, exec_lo
	s_waitcnt lgkmcnt(0)
	scratch_store_b128 off, v[205:208], off offset:1008 ; 16-byte Folded Spill
	v_cmpx_lt_u32_e32 33, v215
	s_cbranch_execz .LBB107_307
; %bb.306:
	scratch_load_b128 v[205:208], off, off offset:1008 ; 16-byte Folded Reload
	ds_load_2addr_b64 v[218:221], v214 offset0:68 offset1:69
	s_waitcnt vmcnt(0)
	v_mul_f64 v[212:213], v[207:208], v[82:83]
	v_mul_f64 v[82:83], v[205:206], v[82:83]
	s_delay_alu instid0(VALU_DEP_2) | instskip(NEXT) | instid1(VALU_DEP_2)
	v_fma_f64 v[216:217], v[205:206], v[80:81], -v[212:213]
	v_fma_f64 v[82:83], v[207:208], v[80:81], v[82:83]
	s_waitcnt lgkmcnt(0)
	s_delay_alu instid0(VALU_DEP_1) | instskip(SKIP_1) | instid1(VALU_DEP_2)
	v_mul_f64 v[80:81], v[220:221], v[82:83]
	v_mul_f64 v[212:213], v[218:219], v[82:83]
	v_fma_f64 v[80:81], v[218:219], v[216:217], -v[80:81]
	s_delay_alu instid0(VALU_DEP_2)
	v_fma_f64 v[212:213], v[220:221], v[216:217], v[212:213]
	ds_load_2addr_b64 v[218:221], v214 offset0:70 offset1:71
	v_add_f64 v[76:77], v[76:77], -v[80:81]
	v_add_f64 v[78:79], v[78:79], -v[212:213]
	s_waitcnt lgkmcnt(0)
	v_mul_f64 v[80:81], v[220:221], v[82:83]
	v_mul_f64 v[212:213], v[218:219], v[82:83]
	s_delay_alu instid0(VALU_DEP_2) | instskip(NEXT) | instid1(VALU_DEP_2)
	v_fma_f64 v[80:81], v[218:219], v[216:217], -v[80:81]
	v_fma_f64 v[212:213], v[220:221], v[216:217], v[212:213]
	ds_load_2addr_b64 v[218:221], v214 offset0:72 offset1:73
	v_add_f64 v[72:73], v[72:73], -v[80:81]
	v_add_f64 v[74:75], v[74:75], -v[212:213]
	s_waitcnt lgkmcnt(0)
	v_mul_f64 v[80:81], v[220:221], v[82:83]
	v_mul_f64 v[212:213], v[218:219], v[82:83]
	s_delay_alu instid0(VALU_DEP_2) | instskip(NEXT) | instid1(VALU_DEP_2)
	v_fma_f64 v[80:81], v[218:219], v[216:217], -v[80:81]
	;; [unrolled: 9-line block ×19, first 2 shown]
	v_fma_f64 v[212:213], v[220:221], v[216:217], v[212:213]
	s_delay_alu instid0(VALU_DEP_2) | instskip(NEXT) | instid1(VALU_DEP_2)
	v_add_f64 v[0:1], v[0:1], -v[80:81]
	v_add_f64 v[2:3], v[2:3], -v[212:213]
	v_dual_mov_b32 v80, v216 :: v_dual_mov_b32 v81, v217
.LBB107_307:
	s_or_b32 exec_lo, exec_lo, s3
	s_delay_alu instid0(SALU_CYCLE_1)
	s_mov_b32 s4, exec_lo
	s_waitcnt_vscnt null, 0x0
	s_barrier
	buffer_gl0_inv
	v_cmpx_eq_u32_e32 34, v215
	s_cbranch_execz .LBB107_314
; %bb.308:
	ds_store_2addr_b64 v204, v[76:77], v[78:79] offset1:1
	ds_store_2addr_b64 v214, v[72:73], v[74:75] offset0:70 offset1:71
	ds_store_2addr_b64 v214, v[68:69], v[70:71] offset0:72 offset1:73
	ds_store_2addr_b64 v214, v[64:65], v[66:67] offset0:74 offset1:75
	ds_store_2addr_b64 v214, v[60:61], v[62:63] offset0:76 offset1:77
	ds_store_2addr_b64 v214, v[56:57], v[58:59] offset0:78 offset1:79
	ds_store_2addr_b64 v214, v[52:53], v[54:55] offset0:80 offset1:81
	ds_store_2addr_b64 v214, v[48:49], v[50:51] offset0:82 offset1:83
	ds_store_2addr_b64 v214, v[44:45], v[46:47] offset0:84 offset1:85
	ds_store_2addr_b64 v214, v[40:41], v[42:43] offset0:86 offset1:87
	ds_store_2addr_b64 v214, v[36:37], v[38:39] offset0:88 offset1:89
	ds_store_2addr_b64 v214, v[32:33], v[34:35] offset0:90 offset1:91
	ds_store_2addr_b64 v214, v[28:29], v[30:31] offset0:92 offset1:93
	ds_store_2addr_b64 v214, v[24:25], v[26:27] offset0:94 offset1:95
	ds_store_2addr_b64 v214, v[20:21], v[22:23] offset0:96 offset1:97
	ds_store_2addr_b64 v214, v[16:17], v[18:19] offset0:98 offset1:99
	ds_store_2addr_b64 v214, v[12:13], v[14:15] offset0:100 offset1:101
	ds_store_2addr_b64 v214, v[8:9], v[10:11] offset0:102 offset1:103
	ds_store_2addr_b64 v214, v[4:5], v[6:7] offset0:104 offset1:105
	ds_store_2addr_b64 v214, v[0:1], v[2:3] offset0:106 offset1:107
	ds_load_2addr_b64 v[216:219], v204 offset1:1
	s_waitcnt lgkmcnt(0)
	v_cmp_neq_f64_e32 vcc_lo, 0, v[216:217]
	v_cmp_neq_f64_e64 s3, 0, v[218:219]
	s_delay_alu instid0(VALU_DEP_1) | instskip(NEXT) | instid1(SALU_CYCLE_1)
	s_or_b32 s3, vcc_lo, s3
	s_and_b32 exec_lo, exec_lo, s3
	s_cbranch_execz .LBB107_314
; %bb.309:
	v_cmp_gt_f64_e32 vcc_lo, 0, v[216:217]
	v_xor_b32_e32 v208, 0x80000000, v217
	s_delay_alu instid0(VALU_DEP_1) | instskip(SKIP_3) | instid1(VALU_DEP_1)
	v_cndmask_b32_e32 v213, v217, v208, vcc_lo
	v_cndmask_b32_e32 v212, v216, v216, vcc_lo
	v_cmp_gt_f64_e32 vcc_lo, 0, v[218:219]
	v_xor_b32_e32 v208, 0x80000000, v219
	v_dual_cndmask_b32 v220, v218, v218 :: v_dual_cndmask_b32 v221, v219, v208
	s_delay_alu instid0(VALU_DEP_1) | instskip(SKIP_1) | instid1(SALU_CYCLE_1)
	v_cmp_ngt_f64_e32 vcc_lo, v[212:213], v[220:221]
                                        ; implicit-def: $vgpr212_vgpr213
	s_and_saveexec_b32 s3, vcc_lo
	s_xor_b32 s3, exec_lo, s3
                                        ; implicit-def: $vgpr220_vgpr221_vgpr222_vgpr223
	s_cbranch_execz .LBB107_311
; %bb.310:
	v_div_scale_f64 v[212:213], null, v[218:219], v[218:219], v[216:217]
	v_div_scale_f64 v[224:225], vcc_lo, v[216:217], v[218:219], v[216:217]
	s_delay_alu instid0(VALU_DEP_2) | instskip(SKIP_2) | instid1(VALU_DEP_1)
	v_rcp_f64_e32 v[220:221], v[212:213]
	s_waitcnt_depctr 0xfff
	v_fma_f64 v[222:223], -v[212:213], v[220:221], 1.0
	v_fma_f64 v[220:221], v[220:221], v[222:223], v[220:221]
	s_delay_alu instid0(VALU_DEP_1) | instskip(NEXT) | instid1(VALU_DEP_1)
	v_fma_f64 v[222:223], -v[212:213], v[220:221], 1.0
	v_fma_f64 v[220:221], v[220:221], v[222:223], v[220:221]
	s_delay_alu instid0(VALU_DEP_1) | instskip(NEXT) | instid1(VALU_DEP_1)
	v_mul_f64 v[222:223], v[224:225], v[220:221]
	v_fma_f64 v[212:213], -v[212:213], v[222:223], v[224:225]
	s_delay_alu instid0(VALU_DEP_1) | instskip(NEXT) | instid1(VALU_DEP_1)
	v_div_fmas_f64 v[212:213], v[212:213], v[220:221], v[222:223]
	v_div_fixup_f64 v[212:213], v[212:213], v[218:219], v[216:217]
	s_delay_alu instid0(VALU_DEP_1) | instskip(NEXT) | instid1(VALU_DEP_1)
	v_fma_f64 v[216:217], v[216:217], v[212:213], v[218:219]
	v_div_scale_f64 v[218:219], null, v[216:217], v[216:217], 1.0
	s_delay_alu instid0(VALU_DEP_1) | instskip(SKIP_2) | instid1(VALU_DEP_1)
	v_rcp_f64_e32 v[220:221], v[218:219]
	s_waitcnt_depctr 0xfff
	v_fma_f64 v[222:223], -v[218:219], v[220:221], 1.0
	v_fma_f64 v[220:221], v[220:221], v[222:223], v[220:221]
	s_delay_alu instid0(VALU_DEP_1) | instskip(NEXT) | instid1(VALU_DEP_1)
	v_fma_f64 v[222:223], -v[218:219], v[220:221], 1.0
	v_fma_f64 v[220:221], v[220:221], v[222:223], v[220:221]
	v_div_scale_f64 v[222:223], vcc_lo, 1.0, v[216:217], 1.0
	s_delay_alu instid0(VALU_DEP_1) | instskip(NEXT) | instid1(VALU_DEP_1)
	v_mul_f64 v[224:225], v[222:223], v[220:221]
	v_fma_f64 v[218:219], -v[218:219], v[224:225], v[222:223]
	s_delay_alu instid0(VALU_DEP_1) | instskip(NEXT) | instid1(VALU_DEP_1)
	v_div_fmas_f64 v[218:219], v[218:219], v[220:221], v[224:225]
	v_div_fixup_f64 v[222:223], v[218:219], v[216:217], 1.0
                                        ; implicit-def: $vgpr216_vgpr217
	s_delay_alu instid0(VALU_DEP_1)
	v_mul_f64 v[212:213], v[212:213], v[222:223]
	v_xor_b32_e32 v223, 0x80000000, v223
.LBB107_311:
	s_and_not1_saveexec_b32 s3, s3
	s_cbranch_execz .LBB107_313
; %bb.312:
	v_div_scale_f64 v[212:213], null, v[216:217], v[216:217], v[218:219]
	v_div_scale_f64 v[224:225], vcc_lo, v[218:219], v[216:217], v[218:219]
	s_delay_alu instid0(VALU_DEP_2) | instskip(SKIP_2) | instid1(VALU_DEP_1)
	v_rcp_f64_e32 v[220:221], v[212:213]
	s_waitcnt_depctr 0xfff
	v_fma_f64 v[222:223], -v[212:213], v[220:221], 1.0
	v_fma_f64 v[220:221], v[220:221], v[222:223], v[220:221]
	s_delay_alu instid0(VALU_DEP_1) | instskip(NEXT) | instid1(VALU_DEP_1)
	v_fma_f64 v[222:223], -v[212:213], v[220:221], 1.0
	v_fma_f64 v[220:221], v[220:221], v[222:223], v[220:221]
	s_delay_alu instid0(VALU_DEP_1) | instskip(NEXT) | instid1(VALU_DEP_1)
	v_mul_f64 v[222:223], v[224:225], v[220:221]
	v_fma_f64 v[212:213], -v[212:213], v[222:223], v[224:225]
	s_delay_alu instid0(VALU_DEP_1) | instskip(NEXT) | instid1(VALU_DEP_1)
	v_div_fmas_f64 v[212:213], v[212:213], v[220:221], v[222:223]
	v_div_fixup_f64 v[220:221], v[212:213], v[216:217], v[218:219]
	s_delay_alu instid0(VALU_DEP_1) | instskip(NEXT) | instid1(VALU_DEP_1)
	v_fma_f64 v[212:213], v[218:219], v[220:221], v[216:217]
	v_div_scale_f64 v[216:217], null, v[212:213], v[212:213], 1.0
	s_delay_alu instid0(VALU_DEP_1) | instskip(SKIP_2) | instid1(VALU_DEP_1)
	v_rcp_f64_e32 v[218:219], v[216:217]
	s_waitcnt_depctr 0xfff
	v_fma_f64 v[222:223], -v[216:217], v[218:219], 1.0
	v_fma_f64 v[218:219], v[218:219], v[222:223], v[218:219]
	s_delay_alu instid0(VALU_DEP_1) | instskip(NEXT) | instid1(VALU_DEP_1)
	v_fma_f64 v[222:223], -v[216:217], v[218:219], 1.0
	v_fma_f64 v[218:219], v[218:219], v[222:223], v[218:219]
	v_div_scale_f64 v[222:223], vcc_lo, 1.0, v[212:213], 1.0
	s_delay_alu instid0(VALU_DEP_1) | instskip(NEXT) | instid1(VALU_DEP_1)
	v_mul_f64 v[224:225], v[222:223], v[218:219]
	v_fma_f64 v[216:217], -v[216:217], v[224:225], v[222:223]
	s_delay_alu instid0(VALU_DEP_1) | instskip(NEXT) | instid1(VALU_DEP_1)
	v_div_fmas_f64 v[216:217], v[216:217], v[218:219], v[224:225]
	v_div_fixup_f64 v[212:213], v[216:217], v[212:213], 1.0
	s_delay_alu instid0(VALU_DEP_1)
	v_mul_f64 v[222:223], v[220:221], -v[212:213]
.LBB107_313:
	s_or_b32 exec_lo, exec_lo, s3
	ds_store_2addr_b64 v204, v[212:213], v[222:223] offset1:1
.LBB107_314:
	s_or_b32 exec_lo, exec_lo, s4
	s_waitcnt lgkmcnt(0)
	s_barrier
	buffer_gl0_inv
	ds_load_2addr_b64 v[205:208], v204 offset1:1
	s_mov_b32 s3, exec_lo
	s_waitcnt lgkmcnt(0)
	scratch_store_b128 off, v[205:208], off offset:1024 ; 16-byte Folded Spill
	v_cmpx_lt_u32_e32 34, v215
	s_cbranch_execz .LBB107_316
; %bb.315:
	scratch_load_b128 v[205:208], off, off offset:1024 ; 16-byte Folded Reload
	ds_load_2addr_b64 v[218:221], v214 offset0:70 offset1:71
	s_waitcnt vmcnt(0)
	v_mul_f64 v[212:213], v[207:208], v[78:79]
	v_mul_f64 v[78:79], v[205:206], v[78:79]
	s_delay_alu instid0(VALU_DEP_2) | instskip(NEXT) | instid1(VALU_DEP_2)
	v_fma_f64 v[216:217], v[205:206], v[76:77], -v[212:213]
	v_fma_f64 v[78:79], v[207:208], v[76:77], v[78:79]
	s_waitcnt lgkmcnt(0)
	s_delay_alu instid0(VALU_DEP_1) | instskip(SKIP_1) | instid1(VALU_DEP_2)
	v_mul_f64 v[76:77], v[220:221], v[78:79]
	v_mul_f64 v[212:213], v[218:219], v[78:79]
	v_fma_f64 v[76:77], v[218:219], v[216:217], -v[76:77]
	s_delay_alu instid0(VALU_DEP_2)
	v_fma_f64 v[212:213], v[220:221], v[216:217], v[212:213]
	ds_load_2addr_b64 v[218:221], v214 offset0:72 offset1:73
	v_add_f64 v[72:73], v[72:73], -v[76:77]
	v_add_f64 v[74:75], v[74:75], -v[212:213]
	s_waitcnt lgkmcnt(0)
	v_mul_f64 v[76:77], v[220:221], v[78:79]
	v_mul_f64 v[212:213], v[218:219], v[78:79]
	s_delay_alu instid0(VALU_DEP_2) | instskip(NEXT) | instid1(VALU_DEP_2)
	v_fma_f64 v[76:77], v[218:219], v[216:217], -v[76:77]
	v_fma_f64 v[212:213], v[220:221], v[216:217], v[212:213]
	ds_load_2addr_b64 v[218:221], v214 offset0:74 offset1:75
	v_add_f64 v[68:69], v[68:69], -v[76:77]
	v_add_f64 v[70:71], v[70:71], -v[212:213]
	s_waitcnt lgkmcnt(0)
	v_mul_f64 v[76:77], v[220:221], v[78:79]
	v_mul_f64 v[212:213], v[218:219], v[78:79]
	s_delay_alu instid0(VALU_DEP_2) | instskip(NEXT) | instid1(VALU_DEP_2)
	v_fma_f64 v[76:77], v[218:219], v[216:217], -v[76:77]
	;; [unrolled: 9-line block ×18, first 2 shown]
	v_fma_f64 v[212:213], v[220:221], v[216:217], v[212:213]
	s_delay_alu instid0(VALU_DEP_2) | instskip(NEXT) | instid1(VALU_DEP_2)
	v_add_f64 v[0:1], v[0:1], -v[76:77]
	v_add_f64 v[2:3], v[2:3], -v[212:213]
	v_dual_mov_b32 v76, v216 :: v_dual_mov_b32 v77, v217
.LBB107_316:
	s_or_b32 exec_lo, exec_lo, s3
	s_delay_alu instid0(SALU_CYCLE_1)
	s_mov_b32 s4, exec_lo
	s_waitcnt_vscnt null, 0x0
	s_barrier
	buffer_gl0_inv
	v_cmpx_eq_u32_e32 35, v215
	s_cbranch_execz .LBB107_323
; %bb.317:
	ds_store_2addr_b64 v204, v[72:73], v[74:75] offset1:1
	ds_store_2addr_b64 v214, v[68:69], v[70:71] offset0:72 offset1:73
	ds_store_2addr_b64 v214, v[64:65], v[66:67] offset0:74 offset1:75
	ds_store_2addr_b64 v214, v[60:61], v[62:63] offset0:76 offset1:77
	ds_store_2addr_b64 v214, v[56:57], v[58:59] offset0:78 offset1:79
	ds_store_2addr_b64 v214, v[52:53], v[54:55] offset0:80 offset1:81
	ds_store_2addr_b64 v214, v[48:49], v[50:51] offset0:82 offset1:83
	ds_store_2addr_b64 v214, v[44:45], v[46:47] offset0:84 offset1:85
	ds_store_2addr_b64 v214, v[40:41], v[42:43] offset0:86 offset1:87
	ds_store_2addr_b64 v214, v[36:37], v[38:39] offset0:88 offset1:89
	ds_store_2addr_b64 v214, v[32:33], v[34:35] offset0:90 offset1:91
	ds_store_2addr_b64 v214, v[28:29], v[30:31] offset0:92 offset1:93
	ds_store_2addr_b64 v214, v[24:25], v[26:27] offset0:94 offset1:95
	ds_store_2addr_b64 v214, v[20:21], v[22:23] offset0:96 offset1:97
	ds_store_2addr_b64 v214, v[16:17], v[18:19] offset0:98 offset1:99
	ds_store_2addr_b64 v214, v[12:13], v[14:15] offset0:100 offset1:101
	ds_store_2addr_b64 v214, v[8:9], v[10:11] offset0:102 offset1:103
	ds_store_2addr_b64 v214, v[4:5], v[6:7] offset0:104 offset1:105
	ds_store_2addr_b64 v214, v[0:1], v[2:3] offset0:106 offset1:107
	ds_load_2addr_b64 v[216:219], v204 offset1:1
	s_waitcnt lgkmcnt(0)
	v_cmp_neq_f64_e32 vcc_lo, 0, v[216:217]
	v_cmp_neq_f64_e64 s3, 0, v[218:219]
	s_delay_alu instid0(VALU_DEP_1) | instskip(NEXT) | instid1(SALU_CYCLE_1)
	s_or_b32 s3, vcc_lo, s3
	s_and_b32 exec_lo, exec_lo, s3
	s_cbranch_execz .LBB107_323
; %bb.318:
	v_cmp_gt_f64_e32 vcc_lo, 0, v[216:217]
	v_xor_b32_e32 v208, 0x80000000, v217
	s_delay_alu instid0(VALU_DEP_1) | instskip(SKIP_3) | instid1(VALU_DEP_1)
	v_cndmask_b32_e32 v213, v217, v208, vcc_lo
	v_cndmask_b32_e32 v212, v216, v216, vcc_lo
	v_cmp_gt_f64_e32 vcc_lo, 0, v[218:219]
	v_xor_b32_e32 v208, 0x80000000, v219
	v_dual_cndmask_b32 v220, v218, v218 :: v_dual_cndmask_b32 v221, v219, v208
	s_delay_alu instid0(VALU_DEP_1) | instskip(SKIP_1) | instid1(SALU_CYCLE_1)
	v_cmp_ngt_f64_e32 vcc_lo, v[212:213], v[220:221]
                                        ; implicit-def: $vgpr212_vgpr213
	s_and_saveexec_b32 s3, vcc_lo
	s_xor_b32 s3, exec_lo, s3
                                        ; implicit-def: $vgpr220_vgpr221_vgpr222_vgpr223
	s_cbranch_execz .LBB107_320
; %bb.319:
	v_div_scale_f64 v[212:213], null, v[218:219], v[218:219], v[216:217]
	v_div_scale_f64 v[224:225], vcc_lo, v[216:217], v[218:219], v[216:217]
	s_delay_alu instid0(VALU_DEP_2) | instskip(SKIP_2) | instid1(VALU_DEP_1)
	v_rcp_f64_e32 v[220:221], v[212:213]
	s_waitcnt_depctr 0xfff
	v_fma_f64 v[222:223], -v[212:213], v[220:221], 1.0
	v_fma_f64 v[220:221], v[220:221], v[222:223], v[220:221]
	s_delay_alu instid0(VALU_DEP_1) | instskip(NEXT) | instid1(VALU_DEP_1)
	v_fma_f64 v[222:223], -v[212:213], v[220:221], 1.0
	v_fma_f64 v[220:221], v[220:221], v[222:223], v[220:221]
	s_delay_alu instid0(VALU_DEP_1) | instskip(NEXT) | instid1(VALU_DEP_1)
	v_mul_f64 v[222:223], v[224:225], v[220:221]
	v_fma_f64 v[212:213], -v[212:213], v[222:223], v[224:225]
	s_delay_alu instid0(VALU_DEP_1) | instskip(NEXT) | instid1(VALU_DEP_1)
	v_div_fmas_f64 v[212:213], v[212:213], v[220:221], v[222:223]
	v_div_fixup_f64 v[212:213], v[212:213], v[218:219], v[216:217]
	s_delay_alu instid0(VALU_DEP_1) | instskip(NEXT) | instid1(VALU_DEP_1)
	v_fma_f64 v[216:217], v[216:217], v[212:213], v[218:219]
	v_div_scale_f64 v[218:219], null, v[216:217], v[216:217], 1.0
	s_delay_alu instid0(VALU_DEP_1) | instskip(SKIP_2) | instid1(VALU_DEP_1)
	v_rcp_f64_e32 v[220:221], v[218:219]
	s_waitcnt_depctr 0xfff
	v_fma_f64 v[222:223], -v[218:219], v[220:221], 1.0
	v_fma_f64 v[220:221], v[220:221], v[222:223], v[220:221]
	s_delay_alu instid0(VALU_DEP_1) | instskip(NEXT) | instid1(VALU_DEP_1)
	v_fma_f64 v[222:223], -v[218:219], v[220:221], 1.0
	v_fma_f64 v[220:221], v[220:221], v[222:223], v[220:221]
	v_div_scale_f64 v[222:223], vcc_lo, 1.0, v[216:217], 1.0
	s_delay_alu instid0(VALU_DEP_1) | instskip(NEXT) | instid1(VALU_DEP_1)
	v_mul_f64 v[224:225], v[222:223], v[220:221]
	v_fma_f64 v[218:219], -v[218:219], v[224:225], v[222:223]
	s_delay_alu instid0(VALU_DEP_1) | instskip(NEXT) | instid1(VALU_DEP_1)
	v_div_fmas_f64 v[218:219], v[218:219], v[220:221], v[224:225]
	v_div_fixup_f64 v[222:223], v[218:219], v[216:217], 1.0
                                        ; implicit-def: $vgpr216_vgpr217
	s_delay_alu instid0(VALU_DEP_1)
	v_mul_f64 v[212:213], v[212:213], v[222:223]
	v_xor_b32_e32 v223, 0x80000000, v223
.LBB107_320:
	s_and_not1_saveexec_b32 s3, s3
	s_cbranch_execz .LBB107_322
; %bb.321:
	v_div_scale_f64 v[212:213], null, v[216:217], v[216:217], v[218:219]
	v_div_scale_f64 v[224:225], vcc_lo, v[218:219], v[216:217], v[218:219]
	s_delay_alu instid0(VALU_DEP_2) | instskip(SKIP_2) | instid1(VALU_DEP_1)
	v_rcp_f64_e32 v[220:221], v[212:213]
	s_waitcnt_depctr 0xfff
	v_fma_f64 v[222:223], -v[212:213], v[220:221], 1.0
	v_fma_f64 v[220:221], v[220:221], v[222:223], v[220:221]
	s_delay_alu instid0(VALU_DEP_1) | instskip(NEXT) | instid1(VALU_DEP_1)
	v_fma_f64 v[222:223], -v[212:213], v[220:221], 1.0
	v_fma_f64 v[220:221], v[220:221], v[222:223], v[220:221]
	s_delay_alu instid0(VALU_DEP_1) | instskip(NEXT) | instid1(VALU_DEP_1)
	v_mul_f64 v[222:223], v[224:225], v[220:221]
	v_fma_f64 v[212:213], -v[212:213], v[222:223], v[224:225]
	s_delay_alu instid0(VALU_DEP_1) | instskip(NEXT) | instid1(VALU_DEP_1)
	v_div_fmas_f64 v[212:213], v[212:213], v[220:221], v[222:223]
	v_div_fixup_f64 v[220:221], v[212:213], v[216:217], v[218:219]
	s_delay_alu instid0(VALU_DEP_1) | instskip(NEXT) | instid1(VALU_DEP_1)
	v_fma_f64 v[212:213], v[218:219], v[220:221], v[216:217]
	v_div_scale_f64 v[216:217], null, v[212:213], v[212:213], 1.0
	s_delay_alu instid0(VALU_DEP_1) | instskip(SKIP_2) | instid1(VALU_DEP_1)
	v_rcp_f64_e32 v[218:219], v[216:217]
	s_waitcnt_depctr 0xfff
	v_fma_f64 v[222:223], -v[216:217], v[218:219], 1.0
	v_fma_f64 v[218:219], v[218:219], v[222:223], v[218:219]
	s_delay_alu instid0(VALU_DEP_1) | instskip(NEXT) | instid1(VALU_DEP_1)
	v_fma_f64 v[222:223], -v[216:217], v[218:219], 1.0
	v_fma_f64 v[218:219], v[218:219], v[222:223], v[218:219]
	v_div_scale_f64 v[222:223], vcc_lo, 1.0, v[212:213], 1.0
	s_delay_alu instid0(VALU_DEP_1) | instskip(NEXT) | instid1(VALU_DEP_1)
	v_mul_f64 v[224:225], v[222:223], v[218:219]
	v_fma_f64 v[216:217], -v[216:217], v[224:225], v[222:223]
	s_delay_alu instid0(VALU_DEP_1) | instskip(NEXT) | instid1(VALU_DEP_1)
	v_div_fmas_f64 v[216:217], v[216:217], v[218:219], v[224:225]
	v_div_fixup_f64 v[212:213], v[216:217], v[212:213], 1.0
	s_delay_alu instid0(VALU_DEP_1)
	v_mul_f64 v[222:223], v[220:221], -v[212:213]
.LBB107_322:
	s_or_b32 exec_lo, exec_lo, s3
	ds_store_2addr_b64 v204, v[212:213], v[222:223] offset1:1
.LBB107_323:
	s_or_b32 exec_lo, exec_lo, s4
	s_waitcnt lgkmcnt(0)
	s_barrier
	buffer_gl0_inv
	ds_load_2addr_b64 v[205:208], v204 offset1:1
	s_mov_b32 s3, exec_lo
	s_waitcnt lgkmcnt(0)
	scratch_store_b128 off, v[205:208], off offset:1040 ; 16-byte Folded Spill
	v_cmpx_lt_u32_e32 35, v215
	s_cbranch_execz .LBB107_325
; %bb.324:
	scratch_load_b128 v[205:208], off, off offset:1040 ; 16-byte Folded Reload
	ds_load_2addr_b64 v[218:221], v214 offset0:72 offset1:73
	s_waitcnt vmcnt(0)
	v_mul_f64 v[212:213], v[207:208], v[74:75]
	v_mul_f64 v[74:75], v[205:206], v[74:75]
	s_delay_alu instid0(VALU_DEP_2) | instskip(NEXT) | instid1(VALU_DEP_2)
	v_fma_f64 v[216:217], v[205:206], v[72:73], -v[212:213]
	v_fma_f64 v[74:75], v[207:208], v[72:73], v[74:75]
	s_waitcnt lgkmcnt(0)
	s_delay_alu instid0(VALU_DEP_1) | instskip(SKIP_1) | instid1(VALU_DEP_2)
	v_mul_f64 v[72:73], v[220:221], v[74:75]
	v_mul_f64 v[212:213], v[218:219], v[74:75]
	v_fma_f64 v[72:73], v[218:219], v[216:217], -v[72:73]
	s_delay_alu instid0(VALU_DEP_2)
	v_fma_f64 v[212:213], v[220:221], v[216:217], v[212:213]
	ds_load_2addr_b64 v[218:221], v214 offset0:74 offset1:75
	v_add_f64 v[68:69], v[68:69], -v[72:73]
	v_add_f64 v[70:71], v[70:71], -v[212:213]
	s_waitcnt lgkmcnt(0)
	v_mul_f64 v[72:73], v[220:221], v[74:75]
	v_mul_f64 v[212:213], v[218:219], v[74:75]
	s_delay_alu instid0(VALU_DEP_2) | instskip(NEXT) | instid1(VALU_DEP_2)
	v_fma_f64 v[72:73], v[218:219], v[216:217], -v[72:73]
	v_fma_f64 v[212:213], v[220:221], v[216:217], v[212:213]
	ds_load_2addr_b64 v[218:221], v214 offset0:76 offset1:77
	v_add_f64 v[64:65], v[64:65], -v[72:73]
	v_add_f64 v[66:67], v[66:67], -v[212:213]
	s_waitcnt lgkmcnt(0)
	v_mul_f64 v[72:73], v[220:221], v[74:75]
	v_mul_f64 v[212:213], v[218:219], v[74:75]
	s_delay_alu instid0(VALU_DEP_2) | instskip(NEXT) | instid1(VALU_DEP_2)
	v_fma_f64 v[72:73], v[218:219], v[216:217], -v[72:73]
	;; [unrolled: 9-line block ×17, first 2 shown]
	v_fma_f64 v[212:213], v[220:221], v[216:217], v[212:213]
	s_delay_alu instid0(VALU_DEP_2) | instskip(NEXT) | instid1(VALU_DEP_2)
	v_add_f64 v[0:1], v[0:1], -v[72:73]
	v_add_f64 v[2:3], v[2:3], -v[212:213]
	v_dual_mov_b32 v72, v216 :: v_dual_mov_b32 v73, v217
.LBB107_325:
	s_or_b32 exec_lo, exec_lo, s3
	s_delay_alu instid0(SALU_CYCLE_1)
	s_mov_b32 s4, exec_lo
	s_waitcnt_vscnt null, 0x0
	s_barrier
	buffer_gl0_inv
	v_cmpx_eq_u32_e32 36, v215
	s_cbranch_execz .LBB107_332
; %bb.326:
	ds_store_2addr_b64 v204, v[68:69], v[70:71] offset1:1
	ds_store_2addr_b64 v214, v[64:65], v[66:67] offset0:74 offset1:75
	ds_store_2addr_b64 v214, v[60:61], v[62:63] offset0:76 offset1:77
	;; [unrolled: 1-line block ×17, first 2 shown]
	ds_load_2addr_b64 v[216:219], v204 offset1:1
	s_waitcnt lgkmcnt(0)
	v_cmp_neq_f64_e32 vcc_lo, 0, v[216:217]
	v_cmp_neq_f64_e64 s3, 0, v[218:219]
	s_delay_alu instid0(VALU_DEP_1) | instskip(NEXT) | instid1(SALU_CYCLE_1)
	s_or_b32 s3, vcc_lo, s3
	s_and_b32 exec_lo, exec_lo, s3
	s_cbranch_execz .LBB107_332
; %bb.327:
	v_cmp_gt_f64_e32 vcc_lo, 0, v[216:217]
	v_xor_b32_e32 v208, 0x80000000, v217
	s_delay_alu instid0(VALU_DEP_1) | instskip(SKIP_3) | instid1(VALU_DEP_1)
	v_cndmask_b32_e32 v213, v217, v208, vcc_lo
	v_cndmask_b32_e32 v212, v216, v216, vcc_lo
	v_cmp_gt_f64_e32 vcc_lo, 0, v[218:219]
	v_xor_b32_e32 v208, 0x80000000, v219
	v_dual_cndmask_b32 v220, v218, v218 :: v_dual_cndmask_b32 v221, v219, v208
	s_delay_alu instid0(VALU_DEP_1) | instskip(SKIP_1) | instid1(SALU_CYCLE_1)
	v_cmp_ngt_f64_e32 vcc_lo, v[212:213], v[220:221]
                                        ; implicit-def: $vgpr212_vgpr213
	s_and_saveexec_b32 s3, vcc_lo
	s_xor_b32 s3, exec_lo, s3
                                        ; implicit-def: $vgpr220_vgpr221_vgpr222_vgpr223
	s_cbranch_execz .LBB107_329
; %bb.328:
	v_div_scale_f64 v[212:213], null, v[218:219], v[218:219], v[216:217]
	v_div_scale_f64 v[224:225], vcc_lo, v[216:217], v[218:219], v[216:217]
	s_delay_alu instid0(VALU_DEP_2) | instskip(SKIP_2) | instid1(VALU_DEP_1)
	v_rcp_f64_e32 v[220:221], v[212:213]
	s_waitcnt_depctr 0xfff
	v_fma_f64 v[222:223], -v[212:213], v[220:221], 1.0
	v_fma_f64 v[220:221], v[220:221], v[222:223], v[220:221]
	s_delay_alu instid0(VALU_DEP_1) | instskip(NEXT) | instid1(VALU_DEP_1)
	v_fma_f64 v[222:223], -v[212:213], v[220:221], 1.0
	v_fma_f64 v[220:221], v[220:221], v[222:223], v[220:221]
	s_delay_alu instid0(VALU_DEP_1) | instskip(NEXT) | instid1(VALU_DEP_1)
	v_mul_f64 v[222:223], v[224:225], v[220:221]
	v_fma_f64 v[212:213], -v[212:213], v[222:223], v[224:225]
	s_delay_alu instid0(VALU_DEP_1) | instskip(NEXT) | instid1(VALU_DEP_1)
	v_div_fmas_f64 v[212:213], v[212:213], v[220:221], v[222:223]
	v_div_fixup_f64 v[212:213], v[212:213], v[218:219], v[216:217]
	s_delay_alu instid0(VALU_DEP_1) | instskip(NEXT) | instid1(VALU_DEP_1)
	v_fma_f64 v[216:217], v[216:217], v[212:213], v[218:219]
	v_div_scale_f64 v[218:219], null, v[216:217], v[216:217], 1.0
	s_delay_alu instid0(VALU_DEP_1) | instskip(SKIP_2) | instid1(VALU_DEP_1)
	v_rcp_f64_e32 v[220:221], v[218:219]
	s_waitcnt_depctr 0xfff
	v_fma_f64 v[222:223], -v[218:219], v[220:221], 1.0
	v_fma_f64 v[220:221], v[220:221], v[222:223], v[220:221]
	s_delay_alu instid0(VALU_DEP_1) | instskip(NEXT) | instid1(VALU_DEP_1)
	v_fma_f64 v[222:223], -v[218:219], v[220:221], 1.0
	v_fma_f64 v[220:221], v[220:221], v[222:223], v[220:221]
	v_div_scale_f64 v[222:223], vcc_lo, 1.0, v[216:217], 1.0
	s_delay_alu instid0(VALU_DEP_1) | instskip(NEXT) | instid1(VALU_DEP_1)
	v_mul_f64 v[224:225], v[222:223], v[220:221]
	v_fma_f64 v[218:219], -v[218:219], v[224:225], v[222:223]
	s_delay_alu instid0(VALU_DEP_1) | instskip(NEXT) | instid1(VALU_DEP_1)
	v_div_fmas_f64 v[218:219], v[218:219], v[220:221], v[224:225]
	v_div_fixup_f64 v[222:223], v[218:219], v[216:217], 1.0
                                        ; implicit-def: $vgpr216_vgpr217
	s_delay_alu instid0(VALU_DEP_1)
	v_mul_f64 v[212:213], v[212:213], v[222:223]
	v_xor_b32_e32 v223, 0x80000000, v223
.LBB107_329:
	s_and_not1_saveexec_b32 s3, s3
	s_cbranch_execz .LBB107_331
; %bb.330:
	v_div_scale_f64 v[212:213], null, v[216:217], v[216:217], v[218:219]
	v_div_scale_f64 v[224:225], vcc_lo, v[218:219], v[216:217], v[218:219]
	s_delay_alu instid0(VALU_DEP_2) | instskip(SKIP_2) | instid1(VALU_DEP_1)
	v_rcp_f64_e32 v[220:221], v[212:213]
	s_waitcnt_depctr 0xfff
	v_fma_f64 v[222:223], -v[212:213], v[220:221], 1.0
	v_fma_f64 v[220:221], v[220:221], v[222:223], v[220:221]
	s_delay_alu instid0(VALU_DEP_1) | instskip(NEXT) | instid1(VALU_DEP_1)
	v_fma_f64 v[222:223], -v[212:213], v[220:221], 1.0
	v_fma_f64 v[220:221], v[220:221], v[222:223], v[220:221]
	s_delay_alu instid0(VALU_DEP_1) | instskip(NEXT) | instid1(VALU_DEP_1)
	v_mul_f64 v[222:223], v[224:225], v[220:221]
	v_fma_f64 v[212:213], -v[212:213], v[222:223], v[224:225]
	s_delay_alu instid0(VALU_DEP_1) | instskip(NEXT) | instid1(VALU_DEP_1)
	v_div_fmas_f64 v[212:213], v[212:213], v[220:221], v[222:223]
	v_div_fixup_f64 v[220:221], v[212:213], v[216:217], v[218:219]
	s_delay_alu instid0(VALU_DEP_1) | instskip(NEXT) | instid1(VALU_DEP_1)
	v_fma_f64 v[212:213], v[218:219], v[220:221], v[216:217]
	v_div_scale_f64 v[216:217], null, v[212:213], v[212:213], 1.0
	s_delay_alu instid0(VALU_DEP_1) | instskip(SKIP_2) | instid1(VALU_DEP_1)
	v_rcp_f64_e32 v[218:219], v[216:217]
	s_waitcnt_depctr 0xfff
	v_fma_f64 v[222:223], -v[216:217], v[218:219], 1.0
	v_fma_f64 v[218:219], v[218:219], v[222:223], v[218:219]
	s_delay_alu instid0(VALU_DEP_1) | instskip(NEXT) | instid1(VALU_DEP_1)
	v_fma_f64 v[222:223], -v[216:217], v[218:219], 1.0
	v_fma_f64 v[218:219], v[218:219], v[222:223], v[218:219]
	v_div_scale_f64 v[222:223], vcc_lo, 1.0, v[212:213], 1.0
	s_delay_alu instid0(VALU_DEP_1) | instskip(NEXT) | instid1(VALU_DEP_1)
	v_mul_f64 v[224:225], v[222:223], v[218:219]
	v_fma_f64 v[216:217], -v[216:217], v[224:225], v[222:223]
	s_delay_alu instid0(VALU_DEP_1) | instskip(NEXT) | instid1(VALU_DEP_1)
	v_div_fmas_f64 v[216:217], v[216:217], v[218:219], v[224:225]
	v_div_fixup_f64 v[212:213], v[216:217], v[212:213], 1.0
	s_delay_alu instid0(VALU_DEP_1)
	v_mul_f64 v[222:223], v[220:221], -v[212:213]
.LBB107_331:
	s_or_b32 exec_lo, exec_lo, s3
	ds_store_2addr_b64 v204, v[212:213], v[222:223] offset1:1
.LBB107_332:
	s_or_b32 exec_lo, exec_lo, s4
	s_waitcnt lgkmcnt(0)
	s_barrier
	buffer_gl0_inv
	ds_load_2addr_b64 v[205:208], v204 offset1:1
	s_mov_b32 s3, exec_lo
	s_waitcnt lgkmcnt(0)
	scratch_store_b128 off, v[205:208], off offset:1056 ; 16-byte Folded Spill
	v_cmpx_lt_u32_e32 36, v215
	s_cbranch_execz .LBB107_334
; %bb.333:
	scratch_load_b128 v[205:208], off, off offset:1056 ; 16-byte Folded Reload
	ds_load_2addr_b64 v[218:221], v214 offset0:74 offset1:75
	s_waitcnt vmcnt(0)
	v_mul_f64 v[212:213], v[207:208], v[70:71]
	v_mul_f64 v[70:71], v[205:206], v[70:71]
	s_delay_alu instid0(VALU_DEP_2) | instskip(NEXT) | instid1(VALU_DEP_2)
	v_fma_f64 v[216:217], v[205:206], v[68:69], -v[212:213]
	v_fma_f64 v[70:71], v[207:208], v[68:69], v[70:71]
	s_waitcnt lgkmcnt(0)
	s_delay_alu instid0(VALU_DEP_1) | instskip(SKIP_1) | instid1(VALU_DEP_2)
	v_mul_f64 v[68:69], v[220:221], v[70:71]
	v_mul_f64 v[212:213], v[218:219], v[70:71]
	v_fma_f64 v[68:69], v[218:219], v[216:217], -v[68:69]
	s_delay_alu instid0(VALU_DEP_2)
	v_fma_f64 v[212:213], v[220:221], v[216:217], v[212:213]
	ds_load_2addr_b64 v[218:221], v214 offset0:76 offset1:77
	v_add_f64 v[64:65], v[64:65], -v[68:69]
	v_add_f64 v[66:67], v[66:67], -v[212:213]
	s_waitcnt lgkmcnt(0)
	v_mul_f64 v[68:69], v[220:221], v[70:71]
	v_mul_f64 v[212:213], v[218:219], v[70:71]
	s_delay_alu instid0(VALU_DEP_2) | instskip(NEXT) | instid1(VALU_DEP_2)
	v_fma_f64 v[68:69], v[218:219], v[216:217], -v[68:69]
	v_fma_f64 v[212:213], v[220:221], v[216:217], v[212:213]
	ds_load_2addr_b64 v[218:221], v214 offset0:78 offset1:79
	v_add_f64 v[60:61], v[60:61], -v[68:69]
	v_add_f64 v[62:63], v[62:63], -v[212:213]
	s_waitcnt lgkmcnt(0)
	v_mul_f64 v[68:69], v[220:221], v[70:71]
	v_mul_f64 v[212:213], v[218:219], v[70:71]
	s_delay_alu instid0(VALU_DEP_2) | instskip(NEXT) | instid1(VALU_DEP_2)
	v_fma_f64 v[68:69], v[218:219], v[216:217], -v[68:69]
	;; [unrolled: 9-line block ×16, first 2 shown]
	v_fma_f64 v[212:213], v[220:221], v[216:217], v[212:213]
	s_delay_alu instid0(VALU_DEP_2) | instskip(NEXT) | instid1(VALU_DEP_2)
	v_add_f64 v[0:1], v[0:1], -v[68:69]
	v_add_f64 v[2:3], v[2:3], -v[212:213]
	v_dual_mov_b32 v68, v216 :: v_dual_mov_b32 v69, v217
.LBB107_334:
	s_or_b32 exec_lo, exec_lo, s3
	s_delay_alu instid0(SALU_CYCLE_1)
	s_mov_b32 s4, exec_lo
	s_waitcnt_vscnt null, 0x0
	s_barrier
	buffer_gl0_inv
	v_cmpx_eq_u32_e32 37, v215
	s_cbranch_execz .LBB107_341
; %bb.335:
	ds_store_2addr_b64 v204, v[64:65], v[66:67] offset1:1
	ds_store_2addr_b64 v214, v[60:61], v[62:63] offset0:76 offset1:77
	ds_store_2addr_b64 v214, v[56:57], v[58:59] offset0:78 offset1:79
	;; [unrolled: 1-line block ×16, first 2 shown]
	ds_load_2addr_b64 v[216:219], v204 offset1:1
	s_waitcnt lgkmcnt(0)
	v_cmp_neq_f64_e32 vcc_lo, 0, v[216:217]
	v_cmp_neq_f64_e64 s3, 0, v[218:219]
	s_delay_alu instid0(VALU_DEP_1) | instskip(NEXT) | instid1(SALU_CYCLE_1)
	s_or_b32 s3, vcc_lo, s3
	s_and_b32 exec_lo, exec_lo, s3
	s_cbranch_execz .LBB107_341
; %bb.336:
	v_cmp_gt_f64_e32 vcc_lo, 0, v[216:217]
	v_xor_b32_e32 v208, 0x80000000, v217
	s_delay_alu instid0(VALU_DEP_1) | instskip(SKIP_3) | instid1(VALU_DEP_1)
	v_cndmask_b32_e32 v213, v217, v208, vcc_lo
	v_cndmask_b32_e32 v212, v216, v216, vcc_lo
	v_cmp_gt_f64_e32 vcc_lo, 0, v[218:219]
	v_xor_b32_e32 v208, 0x80000000, v219
	v_dual_cndmask_b32 v220, v218, v218 :: v_dual_cndmask_b32 v221, v219, v208
	s_delay_alu instid0(VALU_DEP_1) | instskip(SKIP_1) | instid1(SALU_CYCLE_1)
	v_cmp_ngt_f64_e32 vcc_lo, v[212:213], v[220:221]
                                        ; implicit-def: $vgpr212_vgpr213
	s_and_saveexec_b32 s3, vcc_lo
	s_xor_b32 s3, exec_lo, s3
                                        ; implicit-def: $vgpr220_vgpr221_vgpr222_vgpr223
	s_cbranch_execz .LBB107_338
; %bb.337:
	v_div_scale_f64 v[212:213], null, v[218:219], v[218:219], v[216:217]
	v_div_scale_f64 v[224:225], vcc_lo, v[216:217], v[218:219], v[216:217]
	s_delay_alu instid0(VALU_DEP_2) | instskip(SKIP_2) | instid1(VALU_DEP_1)
	v_rcp_f64_e32 v[220:221], v[212:213]
	s_waitcnt_depctr 0xfff
	v_fma_f64 v[222:223], -v[212:213], v[220:221], 1.0
	v_fma_f64 v[220:221], v[220:221], v[222:223], v[220:221]
	s_delay_alu instid0(VALU_DEP_1) | instskip(NEXT) | instid1(VALU_DEP_1)
	v_fma_f64 v[222:223], -v[212:213], v[220:221], 1.0
	v_fma_f64 v[220:221], v[220:221], v[222:223], v[220:221]
	s_delay_alu instid0(VALU_DEP_1) | instskip(NEXT) | instid1(VALU_DEP_1)
	v_mul_f64 v[222:223], v[224:225], v[220:221]
	v_fma_f64 v[212:213], -v[212:213], v[222:223], v[224:225]
	s_delay_alu instid0(VALU_DEP_1) | instskip(NEXT) | instid1(VALU_DEP_1)
	v_div_fmas_f64 v[212:213], v[212:213], v[220:221], v[222:223]
	v_div_fixup_f64 v[212:213], v[212:213], v[218:219], v[216:217]
	s_delay_alu instid0(VALU_DEP_1) | instskip(NEXT) | instid1(VALU_DEP_1)
	v_fma_f64 v[216:217], v[216:217], v[212:213], v[218:219]
	v_div_scale_f64 v[218:219], null, v[216:217], v[216:217], 1.0
	s_delay_alu instid0(VALU_DEP_1) | instskip(SKIP_2) | instid1(VALU_DEP_1)
	v_rcp_f64_e32 v[220:221], v[218:219]
	s_waitcnt_depctr 0xfff
	v_fma_f64 v[222:223], -v[218:219], v[220:221], 1.0
	v_fma_f64 v[220:221], v[220:221], v[222:223], v[220:221]
	s_delay_alu instid0(VALU_DEP_1) | instskip(NEXT) | instid1(VALU_DEP_1)
	v_fma_f64 v[222:223], -v[218:219], v[220:221], 1.0
	v_fma_f64 v[220:221], v[220:221], v[222:223], v[220:221]
	v_div_scale_f64 v[222:223], vcc_lo, 1.0, v[216:217], 1.0
	s_delay_alu instid0(VALU_DEP_1) | instskip(NEXT) | instid1(VALU_DEP_1)
	v_mul_f64 v[224:225], v[222:223], v[220:221]
	v_fma_f64 v[218:219], -v[218:219], v[224:225], v[222:223]
	s_delay_alu instid0(VALU_DEP_1) | instskip(NEXT) | instid1(VALU_DEP_1)
	v_div_fmas_f64 v[218:219], v[218:219], v[220:221], v[224:225]
	v_div_fixup_f64 v[222:223], v[218:219], v[216:217], 1.0
                                        ; implicit-def: $vgpr216_vgpr217
	s_delay_alu instid0(VALU_DEP_1)
	v_mul_f64 v[212:213], v[212:213], v[222:223]
	v_xor_b32_e32 v223, 0x80000000, v223
.LBB107_338:
	s_and_not1_saveexec_b32 s3, s3
	s_cbranch_execz .LBB107_340
; %bb.339:
	v_div_scale_f64 v[212:213], null, v[216:217], v[216:217], v[218:219]
	v_div_scale_f64 v[224:225], vcc_lo, v[218:219], v[216:217], v[218:219]
	s_delay_alu instid0(VALU_DEP_2) | instskip(SKIP_2) | instid1(VALU_DEP_1)
	v_rcp_f64_e32 v[220:221], v[212:213]
	s_waitcnt_depctr 0xfff
	v_fma_f64 v[222:223], -v[212:213], v[220:221], 1.0
	v_fma_f64 v[220:221], v[220:221], v[222:223], v[220:221]
	s_delay_alu instid0(VALU_DEP_1) | instskip(NEXT) | instid1(VALU_DEP_1)
	v_fma_f64 v[222:223], -v[212:213], v[220:221], 1.0
	v_fma_f64 v[220:221], v[220:221], v[222:223], v[220:221]
	s_delay_alu instid0(VALU_DEP_1) | instskip(NEXT) | instid1(VALU_DEP_1)
	v_mul_f64 v[222:223], v[224:225], v[220:221]
	v_fma_f64 v[212:213], -v[212:213], v[222:223], v[224:225]
	s_delay_alu instid0(VALU_DEP_1) | instskip(NEXT) | instid1(VALU_DEP_1)
	v_div_fmas_f64 v[212:213], v[212:213], v[220:221], v[222:223]
	v_div_fixup_f64 v[220:221], v[212:213], v[216:217], v[218:219]
	s_delay_alu instid0(VALU_DEP_1) | instskip(NEXT) | instid1(VALU_DEP_1)
	v_fma_f64 v[212:213], v[218:219], v[220:221], v[216:217]
	v_div_scale_f64 v[216:217], null, v[212:213], v[212:213], 1.0
	s_delay_alu instid0(VALU_DEP_1) | instskip(SKIP_2) | instid1(VALU_DEP_1)
	v_rcp_f64_e32 v[218:219], v[216:217]
	s_waitcnt_depctr 0xfff
	v_fma_f64 v[222:223], -v[216:217], v[218:219], 1.0
	v_fma_f64 v[218:219], v[218:219], v[222:223], v[218:219]
	s_delay_alu instid0(VALU_DEP_1) | instskip(NEXT) | instid1(VALU_DEP_1)
	v_fma_f64 v[222:223], -v[216:217], v[218:219], 1.0
	v_fma_f64 v[218:219], v[218:219], v[222:223], v[218:219]
	v_div_scale_f64 v[222:223], vcc_lo, 1.0, v[212:213], 1.0
	s_delay_alu instid0(VALU_DEP_1) | instskip(NEXT) | instid1(VALU_DEP_1)
	v_mul_f64 v[224:225], v[222:223], v[218:219]
	v_fma_f64 v[216:217], -v[216:217], v[224:225], v[222:223]
	s_delay_alu instid0(VALU_DEP_1) | instskip(NEXT) | instid1(VALU_DEP_1)
	v_div_fmas_f64 v[216:217], v[216:217], v[218:219], v[224:225]
	v_div_fixup_f64 v[212:213], v[216:217], v[212:213], 1.0
	s_delay_alu instid0(VALU_DEP_1)
	v_mul_f64 v[222:223], v[220:221], -v[212:213]
.LBB107_340:
	s_or_b32 exec_lo, exec_lo, s3
	ds_store_2addr_b64 v204, v[212:213], v[222:223] offset1:1
.LBB107_341:
	s_or_b32 exec_lo, exec_lo, s4
	s_waitcnt lgkmcnt(0)
	s_barrier
	buffer_gl0_inv
	ds_load_2addr_b64 v[205:208], v204 offset1:1
	s_mov_b32 s3, exec_lo
	s_waitcnt lgkmcnt(0)
	scratch_store_b128 off, v[205:208], off offset:1072 ; 16-byte Folded Spill
	v_cmpx_lt_u32_e32 37, v215
	s_cbranch_execz .LBB107_343
; %bb.342:
	scratch_load_b128 v[205:208], off, off offset:1072 ; 16-byte Folded Reload
	ds_load_2addr_b64 v[218:221], v214 offset0:76 offset1:77
	s_waitcnt vmcnt(0)
	v_mul_f64 v[212:213], v[205:206], v[66:67]
	v_mul_f64 v[66:67], v[207:208], v[66:67]
	s_delay_alu instid0(VALU_DEP_2) | instskip(NEXT) | instid1(VALU_DEP_2)
	v_fma_f64 v[216:217], v[207:208], v[64:65], v[212:213]
	v_fma_f64 v[64:65], v[205:206], v[64:65], -v[66:67]
	s_waitcnt lgkmcnt(0)
	s_delay_alu instid0(VALU_DEP_2) | instskip(SKIP_1) | instid1(VALU_DEP_2)
	v_mul_f64 v[66:67], v[220:221], v[216:217]
	v_mul_f64 v[212:213], v[218:219], v[216:217]
	v_fma_f64 v[66:67], v[218:219], v[64:65], -v[66:67]
	s_delay_alu instid0(VALU_DEP_2)
	v_fma_f64 v[212:213], v[220:221], v[64:65], v[212:213]
	ds_load_2addr_b64 v[218:221], v214 offset0:78 offset1:79
	v_add_f64 v[60:61], v[60:61], -v[66:67]
	v_add_f64 v[62:63], v[62:63], -v[212:213]
	s_waitcnt lgkmcnt(0)
	v_mul_f64 v[66:67], v[220:221], v[216:217]
	v_mul_f64 v[212:213], v[218:219], v[216:217]
	s_delay_alu instid0(VALU_DEP_2) | instskip(NEXT) | instid1(VALU_DEP_2)
	v_fma_f64 v[66:67], v[218:219], v[64:65], -v[66:67]
	v_fma_f64 v[212:213], v[220:221], v[64:65], v[212:213]
	ds_load_2addr_b64 v[218:221], v214 offset0:80 offset1:81
	v_add_f64 v[56:57], v[56:57], -v[66:67]
	v_add_f64 v[58:59], v[58:59], -v[212:213]
	s_waitcnt lgkmcnt(0)
	v_mul_f64 v[66:67], v[220:221], v[216:217]
	v_mul_f64 v[212:213], v[218:219], v[216:217]
	s_delay_alu instid0(VALU_DEP_2) | instskip(NEXT) | instid1(VALU_DEP_2)
	v_fma_f64 v[66:67], v[218:219], v[64:65], -v[66:67]
	;; [unrolled: 9-line block ×15, first 2 shown]
	v_fma_f64 v[212:213], v[220:221], v[64:65], v[212:213]
	s_delay_alu instid0(VALU_DEP_2) | instskip(NEXT) | instid1(VALU_DEP_2)
	v_add_f64 v[0:1], v[0:1], -v[66:67]
	v_add_f64 v[2:3], v[2:3], -v[212:213]
	v_dual_mov_b32 v66, v216 :: v_dual_mov_b32 v67, v217
.LBB107_343:
	s_or_b32 exec_lo, exec_lo, s3
	s_delay_alu instid0(SALU_CYCLE_1)
	s_mov_b32 s4, exec_lo
	s_waitcnt_vscnt null, 0x0
	s_barrier
	buffer_gl0_inv
	v_cmpx_eq_u32_e32 38, v215
	s_cbranch_execz .LBB107_350
; %bb.344:
	ds_store_2addr_b64 v204, v[60:61], v[62:63] offset1:1
	ds_store_2addr_b64 v214, v[56:57], v[58:59] offset0:78 offset1:79
	ds_store_2addr_b64 v214, v[52:53], v[54:55] offset0:80 offset1:81
	;; [unrolled: 1-line block ×15, first 2 shown]
	ds_load_2addr_b64 v[216:219], v204 offset1:1
	s_waitcnt lgkmcnt(0)
	v_cmp_neq_f64_e32 vcc_lo, 0, v[216:217]
	v_cmp_neq_f64_e64 s3, 0, v[218:219]
	s_delay_alu instid0(VALU_DEP_1) | instskip(NEXT) | instid1(SALU_CYCLE_1)
	s_or_b32 s3, vcc_lo, s3
	s_and_b32 exec_lo, exec_lo, s3
	s_cbranch_execz .LBB107_350
; %bb.345:
	v_cmp_gt_f64_e32 vcc_lo, 0, v[216:217]
	v_xor_b32_e32 v208, 0x80000000, v217
	s_delay_alu instid0(VALU_DEP_1) | instskip(SKIP_3) | instid1(VALU_DEP_1)
	v_cndmask_b32_e32 v213, v217, v208, vcc_lo
	v_cndmask_b32_e32 v212, v216, v216, vcc_lo
	v_cmp_gt_f64_e32 vcc_lo, 0, v[218:219]
	v_xor_b32_e32 v208, 0x80000000, v219
	v_dual_cndmask_b32 v220, v218, v218 :: v_dual_cndmask_b32 v221, v219, v208
	s_delay_alu instid0(VALU_DEP_1) | instskip(SKIP_1) | instid1(SALU_CYCLE_1)
	v_cmp_ngt_f64_e32 vcc_lo, v[212:213], v[220:221]
                                        ; implicit-def: $vgpr212_vgpr213
	s_and_saveexec_b32 s3, vcc_lo
	s_xor_b32 s3, exec_lo, s3
                                        ; implicit-def: $vgpr220_vgpr221_vgpr222_vgpr223
	s_cbranch_execz .LBB107_347
; %bb.346:
	v_div_scale_f64 v[212:213], null, v[218:219], v[218:219], v[216:217]
	v_div_scale_f64 v[224:225], vcc_lo, v[216:217], v[218:219], v[216:217]
	s_delay_alu instid0(VALU_DEP_2) | instskip(SKIP_2) | instid1(VALU_DEP_1)
	v_rcp_f64_e32 v[220:221], v[212:213]
	s_waitcnt_depctr 0xfff
	v_fma_f64 v[222:223], -v[212:213], v[220:221], 1.0
	v_fma_f64 v[220:221], v[220:221], v[222:223], v[220:221]
	s_delay_alu instid0(VALU_DEP_1) | instskip(NEXT) | instid1(VALU_DEP_1)
	v_fma_f64 v[222:223], -v[212:213], v[220:221], 1.0
	v_fma_f64 v[220:221], v[220:221], v[222:223], v[220:221]
	s_delay_alu instid0(VALU_DEP_1) | instskip(NEXT) | instid1(VALU_DEP_1)
	v_mul_f64 v[222:223], v[224:225], v[220:221]
	v_fma_f64 v[212:213], -v[212:213], v[222:223], v[224:225]
	s_delay_alu instid0(VALU_DEP_1) | instskip(NEXT) | instid1(VALU_DEP_1)
	v_div_fmas_f64 v[212:213], v[212:213], v[220:221], v[222:223]
	v_div_fixup_f64 v[212:213], v[212:213], v[218:219], v[216:217]
	s_delay_alu instid0(VALU_DEP_1) | instskip(NEXT) | instid1(VALU_DEP_1)
	v_fma_f64 v[216:217], v[216:217], v[212:213], v[218:219]
	v_div_scale_f64 v[218:219], null, v[216:217], v[216:217], 1.0
	s_delay_alu instid0(VALU_DEP_1) | instskip(SKIP_2) | instid1(VALU_DEP_1)
	v_rcp_f64_e32 v[220:221], v[218:219]
	s_waitcnt_depctr 0xfff
	v_fma_f64 v[222:223], -v[218:219], v[220:221], 1.0
	v_fma_f64 v[220:221], v[220:221], v[222:223], v[220:221]
	s_delay_alu instid0(VALU_DEP_1) | instskip(NEXT) | instid1(VALU_DEP_1)
	v_fma_f64 v[222:223], -v[218:219], v[220:221], 1.0
	v_fma_f64 v[220:221], v[220:221], v[222:223], v[220:221]
	v_div_scale_f64 v[222:223], vcc_lo, 1.0, v[216:217], 1.0
	s_delay_alu instid0(VALU_DEP_1) | instskip(NEXT) | instid1(VALU_DEP_1)
	v_mul_f64 v[224:225], v[222:223], v[220:221]
	v_fma_f64 v[218:219], -v[218:219], v[224:225], v[222:223]
	s_delay_alu instid0(VALU_DEP_1) | instskip(NEXT) | instid1(VALU_DEP_1)
	v_div_fmas_f64 v[218:219], v[218:219], v[220:221], v[224:225]
	v_div_fixup_f64 v[222:223], v[218:219], v[216:217], 1.0
                                        ; implicit-def: $vgpr216_vgpr217
	s_delay_alu instid0(VALU_DEP_1)
	v_mul_f64 v[212:213], v[212:213], v[222:223]
	v_xor_b32_e32 v223, 0x80000000, v223
.LBB107_347:
	s_and_not1_saveexec_b32 s3, s3
	s_cbranch_execz .LBB107_349
; %bb.348:
	v_div_scale_f64 v[212:213], null, v[216:217], v[216:217], v[218:219]
	v_div_scale_f64 v[224:225], vcc_lo, v[218:219], v[216:217], v[218:219]
	s_delay_alu instid0(VALU_DEP_2) | instskip(SKIP_2) | instid1(VALU_DEP_1)
	v_rcp_f64_e32 v[220:221], v[212:213]
	s_waitcnt_depctr 0xfff
	v_fma_f64 v[222:223], -v[212:213], v[220:221], 1.0
	v_fma_f64 v[220:221], v[220:221], v[222:223], v[220:221]
	s_delay_alu instid0(VALU_DEP_1) | instskip(NEXT) | instid1(VALU_DEP_1)
	v_fma_f64 v[222:223], -v[212:213], v[220:221], 1.0
	v_fma_f64 v[220:221], v[220:221], v[222:223], v[220:221]
	s_delay_alu instid0(VALU_DEP_1) | instskip(NEXT) | instid1(VALU_DEP_1)
	v_mul_f64 v[222:223], v[224:225], v[220:221]
	v_fma_f64 v[212:213], -v[212:213], v[222:223], v[224:225]
	s_delay_alu instid0(VALU_DEP_1) | instskip(NEXT) | instid1(VALU_DEP_1)
	v_div_fmas_f64 v[212:213], v[212:213], v[220:221], v[222:223]
	v_div_fixup_f64 v[220:221], v[212:213], v[216:217], v[218:219]
	s_delay_alu instid0(VALU_DEP_1) | instskip(NEXT) | instid1(VALU_DEP_1)
	v_fma_f64 v[212:213], v[218:219], v[220:221], v[216:217]
	v_div_scale_f64 v[216:217], null, v[212:213], v[212:213], 1.0
	s_delay_alu instid0(VALU_DEP_1) | instskip(SKIP_2) | instid1(VALU_DEP_1)
	v_rcp_f64_e32 v[218:219], v[216:217]
	s_waitcnt_depctr 0xfff
	v_fma_f64 v[222:223], -v[216:217], v[218:219], 1.0
	v_fma_f64 v[218:219], v[218:219], v[222:223], v[218:219]
	s_delay_alu instid0(VALU_DEP_1) | instskip(NEXT) | instid1(VALU_DEP_1)
	v_fma_f64 v[222:223], -v[216:217], v[218:219], 1.0
	v_fma_f64 v[218:219], v[218:219], v[222:223], v[218:219]
	v_div_scale_f64 v[222:223], vcc_lo, 1.0, v[212:213], 1.0
	s_delay_alu instid0(VALU_DEP_1) | instskip(NEXT) | instid1(VALU_DEP_1)
	v_mul_f64 v[224:225], v[222:223], v[218:219]
	v_fma_f64 v[216:217], -v[216:217], v[224:225], v[222:223]
	s_delay_alu instid0(VALU_DEP_1) | instskip(NEXT) | instid1(VALU_DEP_1)
	v_div_fmas_f64 v[216:217], v[216:217], v[218:219], v[224:225]
	v_div_fixup_f64 v[212:213], v[216:217], v[212:213], 1.0
	s_delay_alu instid0(VALU_DEP_1)
	v_mul_f64 v[222:223], v[220:221], -v[212:213]
.LBB107_349:
	s_or_b32 exec_lo, exec_lo, s3
	ds_store_2addr_b64 v204, v[212:213], v[222:223] offset1:1
.LBB107_350:
	s_or_b32 exec_lo, exec_lo, s4
	s_waitcnt lgkmcnt(0)
	s_barrier
	buffer_gl0_inv
	ds_load_2addr_b64 v[205:208], v204 offset1:1
	s_mov_b32 s3, exec_lo
	s_waitcnt lgkmcnt(0)
	scratch_store_b128 off, v[205:208], off offset:1088 ; 16-byte Folded Spill
	v_cmpx_lt_u32_e32 38, v215
	s_cbranch_execz .LBB107_352
; %bb.351:
	scratch_load_b128 v[205:208], off, off offset:1088 ; 16-byte Folded Reload
	ds_load_2addr_b64 v[218:221], v214 offset0:78 offset1:79
	s_waitcnt vmcnt(0)
	v_mul_f64 v[212:213], v[205:206], v[62:63]
	v_mul_f64 v[62:63], v[207:208], v[62:63]
	s_delay_alu instid0(VALU_DEP_2) | instskip(NEXT) | instid1(VALU_DEP_2)
	v_fma_f64 v[216:217], v[207:208], v[60:61], v[212:213]
	v_fma_f64 v[60:61], v[205:206], v[60:61], -v[62:63]
	s_waitcnt lgkmcnt(0)
	s_delay_alu instid0(VALU_DEP_2) | instskip(SKIP_1) | instid1(VALU_DEP_2)
	v_mul_f64 v[62:63], v[220:221], v[216:217]
	v_mul_f64 v[212:213], v[218:219], v[216:217]
	v_fma_f64 v[62:63], v[218:219], v[60:61], -v[62:63]
	s_delay_alu instid0(VALU_DEP_2)
	v_fma_f64 v[212:213], v[220:221], v[60:61], v[212:213]
	ds_load_2addr_b64 v[218:221], v214 offset0:80 offset1:81
	v_add_f64 v[56:57], v[56:57], -v[62:63]
	v_add_f64 v[58:59], v[58:59], -v[212:213]
	s_waitcnt lgkmcnt(0)
	v_mul_f64 v[62:63], v[220:221], v[216:217]
	v_mul_f64 v[212:213], v[218:219], v[216:217]
	s_delay_alu instid0(VALU_DEP_2) | instskip(NEXT) | instid1(VALU_DEP_2)
	v_fma_f64 v[62:63], v[218:219], v[60:61], -v[62:63]
	v_fma_f64 v[212:213], v[220:221], v[60:61], v[212:213]
	ds_load_2addr_b64 v[218:221], v214 offset0:82 offset1:83
	v_add_f64 v[52:53], v[52:53], -v[62:63]
	v_add_f64 v[54:55], v[54:55], -v[212:213]
	s_waitcnt lgkmcnt(0)
	v_mul_f64 v[62:63], v[220:221], v[216:217]
	v_mul_f64 v[212:213], v[218:219], v[216:217]
	s_delay_alu instid0(VALU_DEP_2) | instskip(NEXT) | instid1(VALU_DEP_2)
	v_fma_f64 v[62:63], v[218:219], v[60:61], -v[62:63]
	;; [unrolled: 9-line block ×14, first 2 shown]
	v_fma_f64 v[212:213], v[220:221], v[60:61], v[212:213]
	s_delay_alu instid0(VALU_DEP_2) | instskip(NEXT) | instid1(VALU_DEP_2)
	v_add_f64 v[0:1], v[0:1], -v[62:63]
	v_add_f64 v[2:3], v[2:3], -v[212:213]
	v_dual_mov_b32 v62, v216 :: v_dual_mov_b32 v63, v217
.LBB107_352:
	s_or_b32 exec_lo, exec_lo, s3
	s_delay_alu instid0(SALU_CYCLE_1)
	s_mov_b32 s4, exec_lo
	s_waitcnt_vscnt null, 0x0
	s_barrier
	buffer_gl0_inv
	v_cmpx_eq_u32_e32 39, v215
	s_cbranch_execz .LBB107_359
; %bb.353:
	ds_store_2addr_b64 v204, v[56:57], v[58:59] offset1:1
	ds_store_2addr_b64 v214, v[52:53], v[54:55] offset0:80 offset1:81
	ds_store_2addr_b64 v214, v[48:49], v[50:51] offset0:82 offset1:83
	;; [unrolled: 1-line block ×14, first 2 shown]
	ds_load_2addr_b64 v[216:219], v204 offset1:1
	s_waitcnt lgkmcnt(0)
	v_cmp_neq_f64_e32 vcc_lo, 0, v[216:217]
	v_cmp_neq_f64_e64 s3, 0, v[218:219]
	s_delay_alu instid0(VALU_DEP_1) | instskip(NEXT) | instid1(SALU_CYCLE_1)
	s_or_b32 s3, vcc_lo, s3
	s_and_b32 exec_lo, exec_lo, s3
	s_cbranch_execz .LBB107_359
; %bb.354:
	v_cmp_gt_f64_e32 vcc_lo, 0, v[216:217]
	v_xor_b32_e32 v208, 0x80000000, v217
	s_delay_alu instid0(VALU_DEP_1) | instskip(SKIP_3) | instid1(VALU_DEP_1)
	v_cndmask_b32_e32 v213, v217, v208, vcc_lo
	v_cndmask_b32_e32 v212, v216, v216, vcc_lo
	v_cmp_gt_f64_e32 vcc_lo, 0, v[218:219]
	v_xor_b32_e32 v208, 0x80000000, v219
	v_dual_cndmask_b32 v220, v218, v218 :: v_dual_cndmask_b32 v221, v219, v208
	s_delay_alu instid0(VALU_DEP_1) | instskip(SKIP_1) | instid1(SALU_CYCLE_1)
	v_cmp_ngt_f64_e32 vcc_lo, v[212:213], v[220:221]
                                        ; implicit-def: $vgpr212_vgpr213
	s_and_saveexec_b32 s3, vcc_lo
	s_xor_b32 s3, exec_lo, s3
                                        ; implicit-def: $vgpr220_vgpr221_vgpr222_vgpr223
	s_cbranch_execz .LBB107_356
; %bb.355:
	v_div_scale_f64 v[212:213], null, v[218:219], v[218:219], v[216:217]
	v_div_scale_f64 v[224:225], vcc_lo, v[216:217], v[218:219], v[216:217]
	s_delay_alu instid0(VALU_DEP_2) | instskip(SKIP_2) | instid1(VALU_DEP_1)
	v_rcp_f64_e32 v[220:221], v[212:213]
	s_waitcnt_depctr 0xfff
	v_fma_f64 v[222:223], -v[212:213], v[220:221], 1.0
	v_fma_f64 v[220:221], v[220:221], v[222:223], v[220:221]
	s_delay_alu instid0(VALU_DEP_1) | instskip(NEXT) | instid1(VALU_DEP_1)
	v_fma_f64 v[222:223], -v[212:213], v[220:221], 1.0
	v_fma_f64 v[220:221], v[220:221], v[222:223], v[220:221]
	s_delay_alu instid0(VALU_DEP_1) | instskip(NEXT) | instid1(VALU_DEP_1)
	v_mul_f64 v[222:223], v[224:225], v[220:221]
	v_fma_f64 v[212:213], -v[212:213], v[222:223], v[224:225]
	s_delay_alu instid0(VALU_DEP_1) | instskip(NEXT) | instid1(VALU_DEP_1)
	v_div_fmas_f64 v[212:213], v[212:213], v[220:221], v[222:223]
	v_div_fixup_f64 v[212:213], v[212:213], v[218:219], v[216:217]
	s_delay_alu instid0(VALU_DEP_1) | instskip(NEXT) | instid1(VALU_DEP_1)
	v_fma_f64 v[216:217], v[216:217], v[212:213], v[218:219]
	v_div_scale_f64 v[218:219], null, v[216:217], v[216:217], 1.0
	s_delay_alu instid0(VALU_DEP_1) | instskip(SKIP_2) | instid1(VALU_DEP_1)
	v_rcp_f64_e32 v[220:221], v[218:219]
	s_waitcnt_depctr 0xfff
	v_fma_f64 v[222:223], -v[218:219], v[220:221], 1.0
	v_fma_f64 v[220:221], v[220:221], v[222:223], v[220:221]
	s_delay_alu instid0(VALU_DEP_1) | instskip(NEXT) | instid1(VALU_DEP_1)
	v_fma_f64 v[222:223], -v[218:219], v[220:221], 1.0
	v_fma_f64 v[220:221], v[220:221], v[222:223], v[220:221]
	v_div_scale_f64 v[222:223], vcc_lo, 1.0, v[216:217], 1.0
	s_delay_alu instid0(VALU_DEP_1) | instskip(NEXT) | instid1(VALU_DEP_1)
	v_mul_f64 v[224:225], v[222:223], v[220:221]
	v_fma_f64 v[218:219], -v[218:219], v[224:225], v[222:223]
	s_delay_alu instid0(VALU_DEP_1) | instskip(NEXT) | instid1(VALU_DEP_1)
	v_div_fmas_f64 v[218:219], v[218:219], v[220:221], v[224:225]
	v_div_fixup_f64 v[222:223], v[218:219], v[216:217], 1.0
                                        ; implicit-def: $vgpr216_vgpr217
	s_delay_alu instid0(VALU_DEP_1)
	v_mul_f64 v[212:213], v[212:213], v[222:223]
	v_xor_b32_e32 v223, 0x80000000, v223
.LBB107_356:
	s_and_not1_saveexec_b32 s3, s3
	s_cbranch_execz .LBB107_358
; %bb.357:
	v_div_scale_f64 v[212:213], null, v[216:217], v[216:217], v[218:219]
	v_div_scale_f64 v[224:225], vcc_lo, v[218:219], v[216:217], v[218:219]
	s_delay_alu instid0(VALU_DEP_2) | instskip(SKIP_2) | instid1(VALU_DEP_1)
	v_rcp_f64_e32 v[220:221], v[212:213]
	s_waitcnt_depctr 0xfff
	v_fma_f64 v[222:223], -v[212:213], v[220:221], 1.0
	v_fma_f64 v[220:221], v[220:221], v[222:223], v[220:221]
	s_delay_alu instid0(VALU_DEP_1) | instskip(NEXT) | instid1(VALU_DEP_1)
	v_fma_f64 v[222:223], -v[212:213], v[220:221], 1.0
	v_fma_f64 v[220:221], v[220:221], v[222:223], v[220:221]
	s_delay_alu instid0(VALU_DEP_1) | instskip(NEXT) | instid1(VALU_DEP_1)
	v_mul_f64 v[222:223], v[224:225], v[220:221]
	v_fma_f64 v[212:213], -v[212:213], v[222:223], v[224:225]
	s_delay_alu instid0(VALU_DEP_1) | instskip(NEXT) | instid1(VALU_DEP_1)
	v_div_fmas_f64 v[212:213], v[212:213], v[220:221], v[222:223]
	v_div_fixup_f64 v[220:221], v[212:213], v[216:217], v[218:219]
	s_delay_alu instid0(VALU_DEP_1) | instskip(NEXT) | instid1(VALU_DEP_1)
	v_fma_f64 v[212:213], v[218:219], v[220:221], v[216:217]
	v_div_scale_f64 v[216:217], null, v[212:213], v[212:213], 1.0
	s_delay_alu instid0(VALU_DEP_1) | instskip(SKIP_2) | instid1(VALU_DEP_1)
	v_rcp_f64_e32 v[218:219], v[216:217]
	s_waitcnt_depctr 0xfff
	v_fma_f64 v[222:223], -v[216:217], v[218:219], 1.0
	v_fma_f64 v[218:219], v[218:219], v[222:223], v[218:219]
	s_delay_alu instid0(VALU_DEP_1) | instskip(NEXT) | instid1(VALU_DEP_1)
	v_fma_f64 v[222:223], -v[216:217], v[218:219], 1.0
	v_fma_f64 v[218:219], v[218:219], v[222:223], v[218:219]
	v_div_scale_f64 v[222:223], vcc_lo, 1.0, v[212:213], 1.0
	s_delay_alu instid0(VALU_DEP_1) | instskip(NEXT) | instid1(VALU_DEP_1)
	v_mul_f64 v[224:225], v[222:223], v[218:219]
	v_fma_f64 v[216:217], -v[216:217], v[224:225], v[222:223]
	s_delay_alu instid0(VALU_DEP_1) | instskip(NEXT) | instid1(VALU_DEP_1)
	v_div_fmas_f64 v[216:217], v[216:217], v[218:219], v[224:225]
	v_div_fixup_f64 v[212:213], v[216:217], v[212:213], 1.0
	s_delay_alu instid0(VALU_DEP_1)
	v_mul_f64 v[222:223], v[220:221], -v[212:213]
.LBB107_358:
	s_or_b32 exec_lo, exec_lo, s3
	ds_store_2addr_b64 v204, v[212:213], v[222:223] offset1:1
.LBB107_359:
	s_or_b32 exec_lo, exec_lo, s4
	s_waitcnt lgkmcnt(0)
	s_barrier
	buffer_gl0_inv
	ds_load_2addr_b64 v[205:208], v204 offset1:1
	s_mov_b32 s3, exec_lo
	s_waitcnt lgkmcnt(0)
	scratch_store_b128 off, v[205:208], off offset:1104 ; 16-byte Folded Spill
	v_cmpx_lt_u32_e32 39, v215
	s_cbranch_execz .LBB107_361
; %bb.360:
	scratch_load_b128 v[205:208], off, off offset:1104 ; 16-byte Folded Reload
	ds_load_2addr_b64 v[218:221], v214 offset0:80 offset1:81
	s_waitcnt vmcnt(0)
	v_mul_f64 v[212:213], v[205:206], v[58:59]
	v_mul_f64 v[58:59], v[207:208], v[58:59]
	s_delay_alu instid0(VALU_DEP_2) | instskip(NEXT) | instid1(VALU_DEP_2)
	v_fma_f64 v[216:217], v[207:208], v[56:57], v[212:213]
	v_fma_f64 v[56:57], v[205:206], v[56:57], -v[58:59]
	s_waitcnt lgkmcnt(0)
	s_delay_alu instid0(VALU_DEP_2) | instskip(SKIP_1) | instid1(VALU_DEP_2)
	v_mul_f64 v[58:59], v[220:221], v[216:217]
	v_mul_f64 v[212:213], v[218:219], v[216:217]
	v_fma_f64 v[58:59], v[218:219], v[56:57], -v[58:59]
	s_delay_alu instid0(VALU_DEP_2)
	v_fma_f64 v[212:213], v[220:221], v[56:57], v[212:213]
	ds_load_2addr_b64 v[218:221], v214 offset0:82 offset1:83
	v_add_f64 v[52:53], v[52:53], -v[58:59]
	v_add_f64 v[54:55], v[54:55], -v[212:213]
	s_waitcnt lgkmcnt(0)
	v_mul_f64 v[58:59], v[220:221], v[216:217]
	v_mul_f64 v[212:213], v[218:219], v[216:217]
	s_delay_alu instid0(VALU_DEP_2) | instskip(NEXT) | instid1(VALU_DEP_2)
	v_fma_f64 v[58:59], v[218:219], v[56:57], -v[58:59]
	v_fma_f64 v[212:213], v[220:221], v[56:57], v[212:213]
	ds_load_2addr_b64 v[218:221], v214 offset0:84 offset1:85
	v_add_f64 v[48:49], v[48:49], -v[58:59]
	v_add_f64 v[50:51], v[50:51], -v[212:213]
	s_waitcnt lgkmcnt(0)
	v_mul_f64 v[58:59], v[220:221], v[216:217]
	v_mul_f64 v[212:213], v[218:219], v[216:217]
	s_delay_alu instid0(VALU_DEP_2) | instskip(NEXT) | instid1(VALU_DEP_2)
	v_fma_f64 v[58:59], v[218:219], v[56:57], -v[58:59]
	;; [unrolled: 9-line block ×13, first 2 shown]
	v_fma_f64 v[212:213], v[220:221], v[56:57], v[212:213]
	s_delay_alu instid0(VALU_DEP_2) | instskip(NEXT) | instid1(VALU_DEP_2)
	v_add_f64 v[0:1], v[0:1], -v[58:59]
	v_add_f64 v[2:3], v[2:3], -v[212:213]
	v_dual_mov_b32 v58, v216 :: v_dual_mov_b32 v59, v217
.LBB107_361:
	s_or_b32 exec_lo, exec_lo, s3
	s_delay_alu instid0(SALU_CYCLE_1)
	s_mov_b32 s4, exec_lo
	s_waitcnt_vscnt null, 0x0
	s_barrier
	buffer_gl0_inv
	v_cmpx_eq_u32_e32 40, v215
	s_cbranch_execz .LBB107_368
; %bb.362:
	ds_store_2addr_b64 v204, v[52:53], v[54:55] offset1:1
	ds_store_2addr_b64 v214, v[48:49], v[50:51] offset0:82 offset1:83
	ds_store_2addr_b64 v214, v[44:45], v[46:47] offset0:84 offset1:85
	ds_store_2addr_b64 v214, v[40:41], v[42:43] offset0:86 offset1:87
	ds_store_2addr_b64 v214, v[36:37], v[38:39] offset0:88 offset1:89
	ds_store_2addr_b64 v214, v[32:33], v[34:35] offset0:90 offset1:91
	ds_store_2addr_b64 v214, v[28:29], v[30:31] offset0:92 offset1:93
	ds_store_2addr_b64 v214, v[24:25], v[26:27] offset0:94 offset1:95
	ds_store_2addr_b64 v214, v[20:21], v[22:23] offset0:96 offset1:97
	ds_store_2addr_b64 v214, v[16:17], v[18:19] offset0:98 offset1:99
	ds_store_2addr_b64 v214, v[12:13], v[14:15] offset0:100 offset1:101
	ds_store_2addr_b64 v214, v[8:9], v[10:11] offset0:102 offset1:103
	ds_store_2addr_b64 v214, v[4:5], v[6:7] offset0:104 offset1:105
	ds_store_2addr_b64 v214, v[0:1], v[2:3] offset0:106 offset1:107
	ds_load_2addr_b64 v[216:219], v204 offset1:1
	s_waitcnt lgkmcnt(0)
	v_cmp_neq_f64_e32 vcc_lo, 0, v[216:217]
	v_cmp_neq_f64_e64 s3, 0, v[218:219]
	s_delay_alu instid0(VALU_DEP_1) | instskip(NEXT) | instid1(SALU_CYCLE_1)
	s_or_b32 s3, vcc_lo, s3
	s_and_b32 exec_lo, exec_lo, s3
	s_cbranch_execz .LBB107_368
; %bb.363:
	v_cmp_gt_f64_e32 vcc_lo, 0, v[216:217]
	v_xor_b32_e32 v208, 0x80000000, v217
	s_delay_alu instid0(VALU_DEP_1) | instskip(SKIP_3) | instid1(VALU_DEP_1)
	v_cndmask_b32_e32 v213, v217, v208, vcc_lo
	v_cndmask_b32_e32 v212, v216, v216, vcc_lo
	v_cmp_gt_f64_e32 vcc_lo, 0, v[218:219]
	v_xor_b32_e32 v208, 0x80000000, v219
	v_dual_cndmask_b32 v220, v218, v218 :: v_dual_cndmask_b32 v221, v219, v208
	s_delay_alu instid0(VALU_DEP_1) | instskip(SKIP_1) | instid1(SALU_CYCLE_1)
	v_cmp_ngt_f64_e32 vcc_lo, v[212:213], v[220:221]
                                        ; implicit-def: $vgpr212_vgpr213
	s_and_saveexec_b32 s3, vcc_lo
	s_xor_b32 s3, exec_lo, s3
                                        ; implicit-def: $vgpr220_vgpr221_vgpr222_vgpr223
	s_cbranch_execz .LBB107_365
; %bb.364:
	v_div_scale_f64 v[212:213], null, v[218:219], v[218:219], v[216:217]
	v_div_scale_f64 v[224:225], vcc_lo, v[216:217], v[218:219], v[216:217]
	s_delay_alu instid0(VALU_DEP_2) | instskip(SKIP_2) | instid1(VALU_DEP_1)
	v_rcp_f64_e32 v[220:221], v[212:213]
	s_waitcnt_depctr 0xfff
	v_fma_f64 v[222:223], -v[212:213], v[220:221], 1.0
	v_fma_f64 v[220:221], v[220:221], v[222:223], v[220:221]
	s_delay_alu instid0(VALU_DEP_1) | instskip(NEXT) | instid1(VALU_DEP_1)
	v_fma_f64 v[222:223], -v[212:213], v[220:221], 1.0
	v_fma_f64 v[220:221], v[220:221], v[222:223], v[220:221]
	s_delay_alu instid0(VALU_DEP_1) | instskip(NEXT) | instid1(VALU_DEP_1)
	v_mul_f64 v[222:223], v[224:225], v[220:221]
	v_fma_f64 v[212:213], -v[212:213], v[222:223], v[224:225]
	s_delay_alu instid0(VALU_DEP_1) | instskip(NEXT) | instid1(VALU_DEP_1)
	v_div_fmas_f64 v[212:213], v[212:213], v[220:221], v[222:223]
	v_div_fixup_f64 v[212:213], v[212:213], v[218:219], v[216:217]
	s_delay_alu instid0(VALU_DEP_1) | instskip(NEXT) | instid1(VALU_DEP_1)
	v_fma_f64 v[216:217], v[216:217], v[212:213], v[218:219]
	v_div_scale_f64 v[218:219], null, v[216:217], v[216:217], 1.0
	s_delay_alu instid0(VALU_DEP_1) | instskip(SKIP_2) | instid1(VALU_DEP_1)
	v_rcp_f64_e32 v[220:221], v[218:219]
	s_waitcnt_depctr 0xfff
	v_fma_f64 v[222:223], -v[218:219], v[220:221], 1.0
	v_fma_f64 v[220:221], v[220:221], v[222:223], v[220:221]
	s_delay_alu instid0(VALU_DEP_1) | instskip(NEXT) | instid1(VALU_DEP_1)
	v_fma_f64 v[222:223], -v[218:219], v[220:221], 1.0
	v_fma_f64 v[220:221], v[220:221], v[222:223], v[220:221]
	v_div_scale_f64 v[222:223], vcc_lo, 1.0, v[216:217], 1.0
	s_delay_alu instid0(VALU_DEP_1) | instskip(NEXT) | instid1(VALU_DEP_1)
	v_mul_f64 v[224:225], v[222:223], v[220:221]
	v_fma_f64 v[218:219], -v[218:219], v[224:225], v[222:223]
	s_delay_alu instid0(VALU_DEP_1) | instskip(NEXT) | instid1(VALU_DEP_1)
	v_div_fmas_f64 v[218:219], v[218:219], v[220:221], v[224:225]
	v_div_fixup_f64 v[222:223], v[218:219], v[216:217], 1.0
                                        ; implicit-def: $vgpr216_vgpr217
	s_delay_alu instid0(VALU_DEP_1)
	v_mul_f64 v[212:213], v[212:213], v[222:223]
	v_xor_b32_e32 v223, 0x80000000, v223
.LBB107_365:
	s_and_not1_saveexec_b32 s3, s3
	s_cbranch_execz .LBB107_367
; %bb.366:
	v_div_scale_f64 v[212:213], null, v[216:217], v[216:217], v[218:219]
	v_div_scale_f64 v[224:225], vcc_lo, v[218:219], v[216:217], v[218:219]
	s_delay_alu instid0(VALU_DEP_2) | instskip(SKIP_2) | instid1(VALU_DEP_1)
	v_rcp_f64_e32 v[220:221], v[212:213]
	s_waitcnt_depctr 0xfff
	v_fma_f64 v[222:223], -v[212:213], v[220:221], 1.0
	v_fma_f64 v[220:221], v[220:221], v[222:223], v[220:221]
	s_delay_alu instid0(VALU_DEP_1) | instskip(NEXT) | instid1(VALU_DEP_1)
	v_fma_f64 v[222:223], -v[212:213], v[220:221], 1.0
	v_fma_f64 v[220:221], v[220:221], v[222:223], v[220:221]
	s_delay_alu instid0(VALU_DEP_1) | instskip(NEXT) | instid1(VALU_DEP_1)
	v_mul_f64 v[222:223], v[224:225], v[220:221]
	v_fma_f64 v[212:213], -v[212:213], v[222:223], v[224:225]
	s_delay_alu instid0(VALU_DEP_1) | instskip(NEXT) | instid1(VALU_DEP_1)
	v_div_fmas_f64 v[212:213], v[212:213], v[220:221], v[222:223]
	v_div_fixup_f64 v[220:221], v[212:213], v[216:217], v[218:219]
	s_delay_alu instid0(VALU_DEP_1) | instskip(NEXT) | instid1(VALU_DEP_1)
	v_fma_f64 v[212:213], v[218:219], v[220:221], v[216:217]
	v_div_scale_f64 v[216:217], null, v[212:213], v[212:213], 1.0
	s_delay_alu instid0(VALU_DEP_1) | instskip(SKIP_2) | instid1(VALU_DEP_1)
	v_rcp_f64_e32 v[218:219], v[216:217]
	s_waitcnt_depctr 0xfff
	v_fma_f64 v[222:223], -v[216:217], v[218:219], 1.0
	v_fma_f64 v[218:219], v[218:219], v[222:223], v[218:219]
	s_delay_alu instid0(VALU_DEP_1) | instskip(NEXT) | instid1(VALU_DEP_1)
	v_fma_f64 v[222:223], -v[216:217], v[218:219], 1.0
	v_fma_f64 v[218:219], v[218:219], v[222:223], v[218:219]
	v_div_scale_f64 v[222:223], vcc_lo, 1.0, v[212:213], 1.0
	s_delay_alu instid0(VALU_DEP_1) | instskip(NEXT) | instid1(VALU_DEP_1)
	v_mul_f64 v[224:225], v[222:223], v[218:219]
	v_fma_f64 v[216:217], -v[216:217], v[224:225], v[222:223]
	s_delay_alu instid0(VALU_DEP_1) | instskip(NEXT) | instid1(VALU_DEP_1)
	v_div_fmas_f64 v[216:217], v[216:217], v[218:219], v[224:225]
	v_div_fixup_f64 v[212:213], v[216:217], v[212:213], 1.0
	s_delay_alu instid0(VALU_DEP_1)
	v_mul_f64 v[222:223], v[220:221], -v[212:213]
.LBB107_367:
	s_or_b32 exec_lo, exec_lo, s3
	ds_store_2addr_b64 v204, v[212:213], v[222:223] offset1:1
.LBB107_368:
	s_or_b32 exec_lo, exec_lo, s4
	s_waitcnt lgkmcnt(0)
	s_barrier
	buffer_gl0_inv
	ds_load_2addr_b64 v[205:208], v204 offset1:1
	s_mov_b32 s3, exec_lo
	s_waitcnt lgkmcnt(0)
	scratch_store_b128 off, v[205:208], off offset:1120 ; 16-byte Folded Spill
	v_cmpx_lt_u32_e32 40, v215
	s_cbranch_execz .LBB107_370
; %bb.369:
	scratch_load_b128 v[205:208], off, off offset:1120 ; 16-byte Folded Reload
	ds_load_2addr_b64 v[218:221], v214 offset0:82 offset1:83
	s_waitcnt vmcnt(0)
	v_mul_f64 v[212:213], v[205:206], v[54:55]
	v_mul_f64 v[54:55], v[207:208], v[54:55]
	s_delay_alu instid0(VALU_DEP_2) | instskip(NEXT) | instid1(VALU_DEP_2)
	v_fma_f64 v[216:217], v[207:208], v[52:53], v[212:213]
	v_fma_f64 v[52:53], v[205:206], v[52:53], -v[54:55]
	s_waitcnt lgkmcnt(0)
	s_delay_alu instid0(VALU_DEP_2) | instskip(SKIP_1) | instid1(VALU_DEP_2)
	v_mul_f64 v[54:55], v[220:221], v[216:217]
	v_mul_f64 v[212:213], v[218:219], v[216:217]
	v_fma_f64 v[54:55], v[218:219], v[52:53], -v[54:55]
	s_delay_alu instid0(VALU_DEP_2)
	v_fma_f64 v[212:213], v[220:221], v[52:53], v[212:213]
	ds_load_2addr_b64 v[218:221], v214 offset0:84 offset1:85
	v_add_f64 v[48:49], v[48:49], -v[54:55]
	v_add_f64 v[50:51], v[50:51], -v[212:213]
	s_waitcnt lgkmcnt(0)
	v_mul_f64 v[54:55], v[220:221], v[216:217]
	v_mul_f64 v[212:213], v[218:219], v[216:217]
	s_delay_alu instid0(VALU_DEP_2) | instskip(NEXT) | instid1(VALU_DEP_2)
	v_fma_f64 v[54:55], v[218:219], v[52:53], -v[54:55]
	v_fma_f64 v[212:213], v[220:221], v[52:53], v[212:213]
	ds_load_2addr_b64 v[218:221], v214 offset0:86 offset1:87
	v_add_f64 v[44:45], v[44:45], -v[54:55]
	v_add_f64 v[46:47], v[46:47], -v[212:213]
	s_waitcnt lgkmcnt(0)
	v_mul_f64 v[54:55], v[220:221], v[216:217]
	v_mul_f64 v[212:213], v[218:219], v[216:217]
	s_delay_alu instid0(VALU_DEP_2) | instskip(NEXT) | instid1(VALU_DEP_2)
	v_fma_f64 v[54:55], v[218:219], v[52:53], -v[54:55]
	;; [unrolled: 9-line block ×12, first 2 shown]
	v_fma_f64 v[212:213], v[220:221], v[52:53], v[212:213]
	s_delay_alu instid0(VALU_DEP_2) | instskip(NEXT) | instid1(VALU_DEP_2)
	v_add_f64 v[0:1], v[0:1], -v[54:55]
	v_add_f64 v[2:3], v[2:3], -v[212:213]
	v_dual_mov_b32 v54, v216 :: v_dual_mov_b32 v55, v217
.LBB107_370:
	s_or_b32 exec_lo, exec_lo, s3
	s_delay_alu instid0(SALU_CYCLE_1)
	s_mov_b32 s4, exec_lo
	s_waitcnt_vscnt null, 0x0
	s_barrier
	buffer_gl0_inv
	v_cmpx_eq_u32_e32 41, v215
	s_cbranch_execz .LBB107_377
; %bb.371:
	ds_store_2addr_b64 v204, v[48:49], v[50:51] offset1:1
	ds_store_2addr_b64 v214, v[44:45], v[46:47] offset0:84 offset1:85
	ds_store_2addr_b64 v214, v[40:41], v[42:43] offset0:86 offset1:87
	;; [unrolled: 1-line block ×12, first 2 shown]
	ds_load_2addr_b64 v[216:219], v204 offset1:1
	s_waitcnt lgkmcnt(0)
	v_cmp_neq_f64_e32 vcc_lo, 0, v[216:217]
	v_cmp_neq_f64_e64 s3, 0, v[218:219]
	s_delay_alu instid0(VALU_DEP_1) | instskip(NEXT) | instid1(SALU_CYCLE_1)
	s_or_b32 s3, vcc_lo, s3
	s_and_b32 exec_lo, exec_lo, s3
	s_cbranch_execz .LBB107_377
; %bb.372:
	v_cmp_gt_f64_e32 vcc_lo, 0, v[216:217]
	v_xor_b32_e32 v208, 0x80000000, v217
	s_delay_alu instid0(VALU_DEP_1) | instskip(SKIP_3) | instid1(VALU_DEP_1)
	v_cndmask_b32_e32 v213, v217, v208, vcc_lo
	v_cndmask_b32_e32 v212, v216, v216, vcc_lo
	v_cmp_gt_f64_e32 vcc_lo, 0, v[218:219]
	v_xor_b32_e32 v208, 0x80000000, v219
	v_dual_cndmask_b32 v220, v218, v218 :: v_dual_cndmask_b32 v221, v219, v208
	s_delay_alu instid0(VALU_DEP_1) | instskip(SKIP_1) | instid1(SALU_CYCLE_1)
	v_cmp_ngt_f64_e32 vcc_lo, v[212:213], v[220:221]
                                        ; implicit-def: $vgpr212_vgpr213
	s_and_saveexec_b32 s3, vcc_lo
	s_xor_b32 s3, exec_lo, s3
                                        ; implicit-def: $vgpr220_vgpr221_vgpr222_vgpr223
	s_cbranch_execz .LBB107_374
; %bb.373:
	v_div_scale_f64 v[212:213], null, v[218:219], v[218:219], v[216:217]
	v_div_scale_f64 v[224:225], vcc_lo, v[216:217], v[218:219], v[216:217]
	s_delay_alu instid0(VALU_DEP_2) | instskip(SKIP_2) | instid1(VALU_DEP_1)
	v_rcp_f64_e32 v[220:221], v[212:213]
	s_waitcnt_depctr 0xfff
	v_fma_f64 v[222:223], -v[212:213], v[220:221], 1.0
	v_fma_f64 v[220:221], v[220:221], v[222:223], v[220:221]
	s_delay_alu instid0(VALU_DEP_1) | instskip(NEXT) | instid1(VALU_DEP_1)
	v_fma_f64 v[222:223], -v[212:213], v[220:221], 1.0
	v_fma_f64 v[220:221], v[220:221], v[222:223], v[220:221]
	s_delay_alu instid0(VALU_DEP_1) | instskip(NEXT) | instid1(VALU_DEP_1)
	v_mul_f64 v[222:223], v[224:225], v[220:221]
	v_fma_f64 v[212:213], -v[212:213], v[222:223], v[224:225]
	s_delay_alu instid0(VALU_DEP_1) | instskip(NEXT) | instid1(VALU_DEP_1)
	v_div_fmas_f64 v[212:213], v[212:213], v[220:221], v[222:223]
	v_div_fixup_f64 v[212:213], v[212:213], v[218:219], v[216:217]
	s_delay_alu instid0(VALU_DEP_1) | instskip(NEXT) | instid1(VALU_DEP_1)
	v_fma_f64 v[216:217], v[216:217], v[212:213], v[218:219]
	v_div_scale_f64 v[218:219], null, v[216:217], v[216:217], 1.0
	s_delay_alu instid0(VALU_DEP_1) | instskip(SKIP_2) | instid1(VALU_DEP_1)
	v_rcp_f64_e32 v[220:221], v[218:219]
	s_waitcnt_depctr 0xfff
	v_fma_f64 v[222:223], -v[218:219], v[220:221], 1.0
	v_fma_f64 v[220:221], v[220:221], v[222:223], v[220:221]
	s_delay_alu instid0(VALU_DEP_1) | instskip(NEXT) | instid1(VALU_DEP_1)
	v_fma_f64 v[222:223], -v[218:219], v[220:221], 1.0
	v_fma_f64 v[220:221], v[220:221], v[222:223], v[220:221]
	v_div_scale_f64 v[222:223], vcc_lo, 1.0, v[216:217], 1.0
	s_delay_alu instid0(VALU_DEP_1) | instskip(NEXT) | instid1(VALU_DEP_1)
	v_mul_f64 v[224:225], v[222:223], v[220:221]
	v_fma_f64 v[218:219], -v[218:219], v[224:225], v[222:223]
	s_delay_alu instid0(VALU_DEP_1) | instskip(NEXT) | instid1(VALU_DEP_1)
	v_div_fmas_f64 v[218:219], v[218:219], v[220:221], v[224:225]
	v_div_fixup_f64 v[222:223], v[218:219], v[216:217], 1.0
                                        ; implicit-def: $vgpr216_vgpr217
	s_delay_alu instid0(VALU_DEP_1)
	v_mul_f64 v[212:213], v[212:213], v[222:223]
	v_xor_b32_e32 v223, 0x80000000, v223
.LBB107_374:
	s_and_not1_saveexec_b32 s3, s3
	s_cbranch_execz .LBB107_376
; %bb.375:
	v_div_scale_f64 v[212:213], null, v[216:217], v[216:217], v[218:219]
	v_div_scale_f64 v[224:225], vcc_lo, v[218:219], v[216:217], v[218:219]
	s_delay_alu instid0(VALU_DEP_2) | instskip(SKIP_2) | instid1(VALU_DEP_1)
	v_rcp_f64_e32 v[220:221], v[212:213]
	s_waitcnt_depctr 0xfff
	v_fma_f64 v[222:223], -v[212:213], v[220:221], 1.0
	v_fma_f64 v[220:221], v[220:221], v[222:223], v[220:221]
	s_delay_alu instid0(VALU_DEP_1) | instskip(NEXT) | instid1(VALU_DEP_1)
	v_fma_f64 v[222:223], -v[212:213], v[220:221], 1.0
	v_fma_f64 v[220:221], v[220:221], v[222:223], v[220:221]
	s_delay_alu instid0(VALU_DEP_1) | instskip(NEXT) | instid1(VALU_DEP_1)
	v_mul_f64 v[222:223], v[224:225], v[220:221]
	v_fma_f64 v[212:213], -v[212:213], v[222:223], v[224:225]
	s_delay_alu instid0(VALU_DEP_1) | instskip(NEXT) | instid1(VALU_DEP_1)
	v_div_fmas_f64 v[212:213], v[212:213], v[220:221], v[222:223]
	v_div_fixup_f64 v[220:221], v[212:213], v[216:217], v[218:219]
	s_delay_alu instid0(VALU_DEP_1) | instskip(NEXT) | instid1(VALU_DEP_1)
	v_fma_f64 v[212:213], v[218:219], v[220:221], v[216:217]
	v_div_scale_f64 v[216:217], null, v[212:213], v[212:213], 1.0
	s_delay_alu instid0(VALU_DEP_1) | instskip(SKIP_2) | instid1(VALU_DEP_1)
	v_rcp_f64_e32 v[218:219], v[216:217]
	s_waitcnt_depctr 0xfff
	v_fma_f64 v[222:223], -v[216:217], v[218:219], 1.0
	v_fma_f64 v[218:219], v[218:219], v[222:223], v[218:219]
	s_delay_alu instid0(VALU_DEP_1) | instskip(NEXT) | instid1(VALU_DEP_1)
	v_fma_f64 v[222:223], -v[216:217], v[218:219], 1.0
	v_fma_f64 v[218:219], v[218:219], v[222:223], v[218:219]
	v_div_scale_f64 v[222:223], vcc_lo, 1.0, v[212:213], 1.0
	s_delay_alu instid0(VALU_DEP_1) | instskip(NEXT) | instid1(VALU_DEP_1)
	v_mul_f64 v[224:225], v[222:223], v[218:219]
	v_fma_f64 v[216:217], -v[216:217], v[224:225], v[222:223]
	s_delay_alu instid0(VALU_DEP_1) | instskip(NEXT) | instid1(VALU_DEP_1)
	v_div_fmas_f64 v[216:217], v[216:217], v[218:219], v[224:225]
	v_div_fixup_f64 v[212:213], v[216:217], v[212:213], 1.0
	s_delay_alu instid0(VALU_DEP_1)
	v_mul_f64 v[222:223], v[220:221], -v[212:213]
.LBB107_376:
	s_or_b32 exec_lo, exec_lo, s3
	ds_store_2addr_b64 v204, v[212:213], v[222:223] offset1:1
.LBB107_377:
	s_or_b32 exec_lo, exec_lo, s4
	s_waitcnt lgkmcnt(0)
	s_barrier
	buffer_gl0_inv
	ds_load_2addr_b64 v[205:208], v204 offset1:1
	s_mov_b32 s3, exec_lo
	s_waitcnt lgkmcnt(0)
	scratch_store_b128 off, v[205:208], off offset:1136 ; 16-byte Folded Spill
	v_cmpx_lt_u32_e32 41, v215
	s_cbranch_execz .LBB107_379
; %bb.378:
	scratch_load_b128 v[205:208], off, off offset:1136 ; 16-byte Folded Reload
	ds_load_2addr_b64 v[218:221], v214 offset0:84 offset1:85
	s_waitcnt vmcnt(0)
	v_mul_f64 v[212:213], v[205:206], v[50:51]
	v_mul_f64 v[50:51], v[207:208], v[50:51]
	s_delay_alu instid0(VALU_DEP_2) | instskip(NEXT) | instid1(VALU_DEP_2)
	v_fma_f64 v[216:217], v[207:208], v[48:49], v[212:213]
	v_fma_f64 v[48:49], v[205:206], v[48:49], -v[50:51]
	s_waitcnt lgkmcnt(0)
	s_delay_alu instid0(VALU_DEP_2) | instskip(SKIP_1) | instid1(VALU_DEP_2)
	v_mul_f64 v[50:51], v[220:221], v[216:217]
	v_mul_f64 v[212:213], v[218:219], v[216:217]
	v_fma_f64 v[50:51], v[218:219], v[48:49], -v[50:51]
	s_delay_alu instid0(VALU_DEP_2)
	v_fma_f64 v[212:213], v[220:221], v[48:49], v[212:213]
	ds_load_2addr_b64 v[218:221], v214 offset0:86 offset1:87
	v_add_f64 v[44:45], v[44:45], -v[50:51]
	v_add_f64 v[46:47], v[46:47], -v[212:213]
	s_waitcnt lgkmcnt(0)
	v_mul_f64 v[50:51], v[220:221], v[216:217]
	v_mul_f64 v[212:213], v[218:219], v[216:217]
	s_delay_alu instid0(VALU_DEP_2) | instskip(NEXT) | instid1(VALU_DEP_2)
	v_fma_f64 v[50:51], v[218:219], v[48:49], -v[50:51]
	v_fma_f64 v[212:213], v[220:221], v[48:49], v[212:213]
	ds_load_2addr_b64 v[218:221], v214 offset0:88 offset1:89
	v_add_f64 v[40:41], v[40:41], -v[50:51]
	v_add_f64 v[42:43], v[42:43], -v[212:213]
	s_waitcnt lgkmcnt(0)
	v_mul_f64 v[50:51], v[220:221], v[216:217]
	v_mul_f64 v[212:213], v[218:219], v[216:217]
	s_delay_alu instid0(VALU_DEP_2) | instskip(NEXT) | instid1(VALU_DEP_2)
	v_fma_f64 v[50:51], v[218:219], v[48:49], -v[50:51]
	;; [unrolled: 9-line block ×11, first 2 shown]
	v_fma_f64 v[212:213], v[220:221], v[48:49], v[212:213]
	s_delay_alu instid0(VALU_DEP_2) | instskip(NEXT) | instid1(VALU_DEP_2)
	v_add_f64 v[0:1], v[0:1], -v[50:51]
	v_add_f64 v[2:3], v[2:3], -v[212:213]
	v_dual_mov_b32 v50, v216 :: v_dual_mov_b32 v51, v217
.LBB107_379:
	s_or_b32 exec_lo, exec_lo, s3
	s_delay_alu instid0(SALU_CYCLE_1)
	s_mov_b32 s4, exec_lo
	s_waitcnt_vscnt null, 0x0
	s_barrier
	buffer_gl0_inv
	v_cmpx_eq_u32_e32 42, v215
	s_cbranch_execz .LBB107_386
; %bb.380:
	ds_store_2addr_b64 v204, v[44:45], v[46:47] offset1:1
	ds_store_2addr_b64 v214, v[40:41], v[42:43] offset0:86 offset1:87
	ds_store_2addr_b64 v214, v[36:37], v[38:39] offset0:88 offset1:89
	;; [unrolled: 1-line block ×11, first 2 shown]
	ds_load_2addr_b64 v[216:219], v204 offset1:1
	s_waitcnt lgkmcnt(0)
	v_cmp_neq_f64_e32 vcc_lo, 0, v[216:217]
	v_cmp_neq_f64_e64 s3, 0, v[218:219]
	s_delay_alu instid0(VALU_DEP_1) | instskip(NEXT) | instid1(SALU_CYCLE_1)
	s_or_b32 s3, vcc_lo, s3
	s_and_b32 exec_lo, exec_lo, s3
	s_cbranch_execz .LBB107_386
; %bb.381:
	v_cmp_gt_f64_e32 vcc_lo, 0, v[216:217]
	v_xor_b32_e32 v208, 0x80000000, v217
	s_delay_alu instid0(VALU_DEP_1) | instskip(SKIP_3) | instid1(VALU_DEP_1)
	v_cndmask_b32_e32 v213, v217, v208, vcc_lo
	v_cndmask_b32_e32 v212, v216, v216, vcc_lo
	v_cmp_gt_f64_e32 vcc_lo, 0, v[218:219]
	v_xor_b32_e32 v208, 0x80000000, v219
	v_dual_cndmask_b32 v220, v218, v218 :: v_dual_cndmask_b32 v221, v219, v208
	s_delay_alu instid0(VALU_DEP_1) | instskip(SKIP_1) | instid1(SALU_CYCLE_1)
	v_cmp_ngt_f64_e32 vcc_lo, v[212:213], v[220:221]
                                        ; implicit-def: $vgpr212_vgpr213
	s_and_saveexec_b32 s3, vcc_lo
	s_xor_b32 s3, exec_lo, s3
                                        ; implicit-def: $vgpr220_vgpr221_vgpr222_vgpr223
	s_cbranch_execz .LBB107_383
; %bb.382:
	v_div_scale_f64 v[212:213], null, v[218:219], v[218:219], v[216:217]
	v_div_scale_f64 v[224:225], vcc_lo, v[216:217], v[218:219], v[216:217]
	s_delay_alu instid0(VALU_DEP_2) | instskip(SKIP_2) | instid1(VALU_DEP_1)
	v_rcp_f64_e32 v[220:221], v[212:213]
	s_waitcnt_depctr 0xfff
	v_fma_f64 v[222:223], -v[212:213], v[220:221], 1.0
	v_fma_f64 v[220:221], v[220:221], v[222:223], v[220:221]
	s_delay_alu instid0(VALU_DEP_1) | instskip(NEXT) | instid1(VALU_DEP_1)
	v_fma_f64 v[222:223], -v[212:213], v[220:221], 1.0
	v_fma_f64 v[220:221], v[220:221], v[222:223], v[220:221]
	s_delay_alu instid0(VALU_DEP_1) | instskip(NEXT) | instid1(VALU_DEP_1)
	v_mul_f64 v[222:223], v[224:225], v[220:221]
	v_fma_f64 v[212:213], -v[212:213], v[222:223], v[224:225]
	s_delay_alu instid0(VALU_DEP_1) | instskip(NEXT) | instid1(VALU_DEP_1)
	v_div_fmas_f64 v[212:213], v[212:213], v[220:221], v[222:223]
	v_div_fixup_f64 v[212:213], v[212:213], v[218:219], v[216:217]
	s_delay_alu instid0(VALU_DEP_1) | instskip(NEXT) | instid1(VALU_DEP_1)
	v_fma_f64 v[216:217], v[216:217], v[212:213], v[218:219]
	v_div_scale_f64 v[218:219], null, v[216:217], v[216:217], 1.0
	s_delay_alu instid0(VALU_DEP_1) | instskip(SKIP_2) | instid1(VALU_DEP_1)
	v_rcp_f64_e32 v[220:221], v[218:219]
	s_waitcnt_depctr 0xfff
	v_fma_f64 v[222:223], -v[218:219], v[220:221], 1.0
	v_fma_f64 v[220:221], v[220:221], v[222:223], v[220:221]
	s_delay_alu instid0(VALU_DEP_1) | instskip(NEXT) | instid1(VALU_DEP_1)
	v_fma_f64 v[222:223], -v[218:219], v[220:221], 1.0
	v_fma_f64 v[220:221], v[220:221], v[222:223], v[220:221]
	v_div_scale_f64 v[222:223], vcc_lo, 1.0, v[216:217], 1.0
	s_delay_alu instid0(VALU_DEP_1) | instskip(NEXT) | instid1(VALU_DEP_1)
	v_mul_f64 v[224:225], v[222:223], v[220:221]
	v_fma_f64 v[218:219], -v[218:219], v[224:225], v[222:223]
	s_delay_alu instid0(VALU_DEP_1) | instskip(NEXT) | instid1(VALU_DEP_1)
	v_div_fmas_f64 v[218:219], v[218:219], v[220:221], v[224:225]
	v_div_fixup_f64 v[222:223], v[218:219], v[216:217], 1.0
                                        ; implicit-def: $vgpr216_vgpr217
	s_delay_alu instid0(VALU_DEP_1)
	v_mul_f64 v[212:213], v[212:213], v[222:223]
	v_xor_b32_e32 v223, 0x80000000, v223
.LBB107_383:
	s_and_not1_saveexec_b32 s3, s3
	s_cbranch_execz .LBB107_385
; %bb.384:
	v_div_scale_f64 v[212:213], null, v[216:217], v[216:217], v[218:219]
	v_div_scale_f64 v[224:225], vcc_lo, v[218:219], v[216:217], v[218:219]
	s_delay_alu instid0(VALU_DEP_2) | instskip(SKIP_2) | instid1(VALU_DEP_1)
	v_rcp_f64_e32 v[220:221], v[212:213]
	s_waitcnt_depctr 0xfff
	v_fma_f64 v[222:223], -v[212:213], v[220:221], 1.0
	v_fma_f64 v[220:221], v[220:221], v[222:223], v[220:221]
	s_delay_alu instid0(VALU_DEP_1) | instskip(NEXT) | instid1(VALU_DEP_1)
	v_fma_f64 v[222:223], -v[212:213], v[220:221], 1.0
	v_fma_f64 v[220:221], v[220:221], v[222:223], v[220:221]
	s_delay_alu instid0(VALU_DEP_1) | instskip(NEXT) | instid1(VALU_DEP_1)
	v_mul_f64 v[222:223], v[224:225], v[220:221]
	v_fma_f64 v[212:213], -v[212:213], v[222:223], v[224:225]
	s_delay_alu instid0(VALU_DEP_1) | instskip(NEXT) | instid1(VALU_DEP_1)
	v_div_fmas_f64 v[212:213], v[212:213], v[220:221], v[222:223]
	v_div_fixup_f64 v[220:221], v[212:213], v[216:217], v[218:219]
	s_delay_alu instid0(VALU_DEP_1) | instskip(NEXT) | instid1(VALU_DEP_1)
	v_fma_f64 v[212:213], v[218:219], v[220:221], v[216:217]
	v_div_scale_f64 v[216:217], null, v[212:213], v[212:213], 1.0
	s_delay_alu instid0(VALU_DEP_1) | instskip(SKIP_2) | instid1(VALU_DEP_1)
	v_rcp_f64_e32 v[218:219], v[216:217]
	s_waitcnt_depctr 0xfff
	v_fma_f64 v[222:223], -v[216:217], v[218:219], 1.0
	v_fma_f64 v[218:219], v[218:219], v[222:223], v[218:219]
	s_delay_alu instid0(VALU_DEP_1) | instskip(NEXT) | instid1(VALU_DEP_1)
	v_fma_f64 v[222:223], -v[216:217], v[218:219], 1.0
	v_fma_f64 v[218:219], v[218:219], v[222:223], v[218:219]
	v_div_scale_f64 v[222:223], vcc_lo, 1.0, v[212:213], 1.0
	s_delay_alu instid0(VALU_DEP_1) | instskip(NEXT) | instid1(VALU_DEP_1)
	v_mul_f64 v[224:225], v[222:223], v[218:219]
	v_fma_f64 v[216:217], -v[216:217], v[224:225], v[222:223]
	s_delay_alu instid0(VALU_DEP_1) | instskip(NEXT) | instid1(VALU_DEP_1)
	v_div_fmas_f64 v[216:217], v[216:217], v[218:219], v[224:225]
	v_div_fixup_f64 v[212:213], v[216:217], v[212:213], 1.0
	s_delay_alu instid0(VALU_DEP_1)
	v_mul_f64 v[222:223], v[220:221], -v[212:213]
.LBB107_385:
	s_or_b32 exec_lo, exec_lo, s3
	ds_store_2addr_b64 v204, v[212:213], v[222:223] offset1:1
.LBB107_386:
	s_or_b32 exec_lo, exec_lo, s4
	s_waitcnt lgkmcnt(0)
	s_barrier
	buffer_gl0_inv
	ds_load_2addr_b64 v[205:208], v204 offset1:1
	s_mov_b32 s3, exec_lo
	s_waitcnt lgkmcnt(0)
	scratch_store_b128 off, v[205:208], off offset:1152 ; 16-byte Folded Spill
	v_cmpx_lt_u32_e32 42, v215
	s_cbranch_execz .LBB107_388
; %bb.387:
	scratch_load_b128 v[205:208], off, off offset:1152 ; 16-byte Folded Reload
	ds_load_2addr_b64 v[218:221], v214 offset0:86 offset1:87
	s_waitcnt vmcnt(0)
	v_mul_f64 v[212:213], v[205:206], v[46:47]
	v_mul_f64 v[46:47], v[207:208], v[46:47]
	s_delay_alu instid0(VALU_DEP_2) | instskip(NEXT) | instid1(VALU_DEP_2)
	v_fma_f64 v[216:217], v[207:208], v[44:45], v[212:213]
	v_fma_f64 v[44:45], v[205:206], v[44:45], -v[46:47]
	s_waitcnt lgkmcnt(0)
	s_delay_alu instid0(VALU_DEP_2) | instskip(SKIP_1) | instid1(VALU_DEP_2)
	v_mul_f64 v[46:47], v[220:221], v[216:217]
	v_mul_f64 v[212:213], v[218:219], v[216:217]
	v_fma_f64 v[46:47], v[218:219], v[44:45], -v[46:47]
	s_delay_alu instid0(VALU_DEP_2)
	v_fma_f64 v[212:213], v[220:221], v[44:45], v[212:213]
	ds_load_2addr_b64 v[218:221], v214 offset0:88 offset1:89
	v_add_f64 v[40:41], v[40:41], -v[46:47]
	v_add_f64 v[42:43], v[42:43], -v[212:213]
	s_waitcnt lgkmcnt(0)
	v_mul_f64 v[46:47], v[220:221], v[216:217]
	v_mul_f64 v[212:213], v[218:219], v[216:217]
	s_delay_alu instid0(VALU_DEP_2) | instskip(NEXT) | instid1(VALU_DEP_2)
	v_fma_f64 v[46:47], v[218:219], v[44:45], -v[46:47]
	v_fma_f64 v[212:213], v[220:221], v[44:45], v[212:213]
	ds_load_2addr_b64 v[218:221], v214 offset0:90 offset1:91
	v_add_f64 v[36:37], v[36:37], -v[46:47]
	v_add_f64 v[38:39], v[38:39], -v[212:213]
	s_waitcnt lgkmcnt(0)
	v_mul_f64 v[46:47], v[220:221], v[216:217]
	v_mul_f64 v[212:213], v[218:219], v[216:217]
	s_delay_alu instid0(VALU_DEP_2) | instskip(NEXT) | instid1(VALU_DEP_2)
	v_fma_f64 v[46:47], v[218:219], v[44:45], -v[46:47]
	;; [unrolled: 9-line block ×10, first 2 shown]
	v_fma_f64 v[212:213], v[220:221], v[44:45], v[212:213]
	s_delay_alu instid0(VALU_DEP_2) | instskip(NEXT) | instid1(VALU_DEP_2)
	v_add_f64 v[0:1], v[0:1], -v[46:47]
	v_add_f64 v[2:3], v[2:3], -v[212:213]
	v_dual_mov_b32 v46, v216 :: v_dual_mov_b32 v47, v217
.LBB107_388:
	s_or_b32 exec_lo, exec_lo, s3
	s_delay_alu instid0(SALU_CYCLE_1)
	s_mov_b32 s4, exec_lo
	s_waitcnt_vscnt null, 0x0
	s_barrier
	buffer_gl0_inv
	v_cmpx_eq_u32_e32 43, v215
	s_cbranch_execz .LBB107_395
; %bb.389:
	ds_store_2addr_b64 v204, v[40:41], v[42:43] offset1:1
	ds_store_2addr_b64 v214, v[36:37], v[38:39] offset0:88 offset1:89
	ds_store_2addr_b64 v214, v[32:33], v[34:35] offset0:90 offset1:91
	;; [unrolled: 1-line block ×10, first 2 shown]
	ds_load_2addr_b64 v[216:219], v204 offset1:1
	s_waitcnt lgkmcnt(0)
	v_cmp_neq_f64_e32 vcc_lo, 0, v[216:217]
	v_cmp_neq_f64_e64 s3, 0, v[218:219]
	s_delay_alu instid0(VALU_DEP_1) | instskip(NEXT) | instid1(SALU_CYCLE_1)
	s_or_b32 s3, vcc_lo, s3
	s_and_b32 exec_lo, exec_lo, s3
	s_cbranch_execz .LBB107_395
; %bb.390:
	v_cmp_gt_f64_e32 vcc_lo, 0, v[216:217]
	v_xor_b32_e32 v208, 0x80000000, v217
	s_delay_alu instid0(VALU_DEP_1) | instskip(SKIP_3) | instid1(VALU_DEP_1)
	v_cndmask_b32_e32 v213, v217, v208, vcc_lo
	v_cndmask_b32_e32 v212, v216, v216, vcc_lo
	v_cmp_gt_f64_e32 vcc_lo, 0, v[218:219]
	v_xor_b32_e32 v208, 0x80000000, v219
	v_dual_cndmask_b32 v220, v218, v218 :: v_dual_cndmask_b32 v221, v219, v208
	s_delay_alu instid0(VALU_DEP_1) | instskip(SKIP_1) | instid1(SALU_CYCLE_1)
	v_cmp_ngt_f64_e32 vcc_lo, v[212:213], v[220:221]
                                        ; implicit-def: $vgpr212_vgpr213
	s_and_saveexec_b32 s3, vcc_lo
	s_xor_b32 s3, exec_lo, s3
                                        ; implicit-def: $vgpr220_vgpr221_vgpr222_vgpr223
	s_cbranch_execz .LBB107_392
; %bb.391:
	v_div_scale_f64 v[212:213], null, v[218:219], v[218:219], v[216:217]
	v_div_scale_f64 v[224:225], vcc_lo, v[216:217], v[218:219], v[216:217]
	s_delay_alu instid0(VALU_DEP_2) | instskip(SKIP_2) | instid1(VALU_DEP_1)
	v_rcp_f64_e32 v[220:221], v[212:213]
	s_waitcnt_depctr 0xfff
	v_fma_f64 v[222:223], -v[212:213], v[220:221], 1.0
	v_fma_f64 v[220:221], v[220:221], v[222:223], v[220:221]
	s_delay_alu instid0(VALU_DEP_1) | instskip(NEXT) | instid1(VALU_DEP_1)
	v_fma_f64 v[222:223], -v[212:213], v[220:221], 1.0
	v_fma_f64 v[220:221], v[220:221], v[222:223], v[220:221]
	s_delay_alu instid0(VALU_DEP_1) | instskip(NEXT) | instid1(VALU_DEP_1)
	v_mul_f64 v[222:223], v[224:225], v[220:221]
	v_fma_f64 v[212:213], -v[212:213], v[222:223], v[224:225]
	s_delay_alu instid0(VALU_DEP_1) | instskip(NEXT) | instid1(VALU_DEP_1)
	v_div_fmas_f64 v[212:213], v[212:213], v[220:221], v[222:223]
	v_div_fixup_f64 v[212:213], v[212:213], v[218:219], v[216:217]
	s_delay_alu instid0(VALU_DEP_1) | instskip(NEXT) | instid1(VALU_DEP_1)
	v_fma_f64 v[216:217], v[216:217], v[212:213], v[218:219]
	v_div_scale_f64 v[218:219], null, v[216:217], v[216:217], 1.0
	s_delay_alu instid0(VALU_DEP_1) | instskip(SKIP_2) | instid1(VALU_DEP_1)
	v_rcp_f64_e32 v[220:221], v[218:219]
	s_waitcnt_depctr 0xfff
	v_fma_f64 v[222:223], -v[218:219], v[220:221], 1.0
	v_fma_f64 v[220:221], v[220:221], v[222:223], v[220:221]
	s_delay_alu instid0(VALU_DEP_1) | instskip(NEXT) | instid1(VALU_DEP_1)
	v_fma_f64 v[222:223], -v[218:219], v[220:221], 1.0
	v_fma_f64 v[220:221], v[220:221], v[222:223], v[220:221]
	v_div_scale_f64 v[222:223], vcc_lo, 1.0, v[216:217], 1.0
	s_delay_alu instid0(VALU_DEP_1) | instskip(NEXT) | instid1(VALU_DEP_1)
	v_mul_f64 v[224:225], v[222:223], v[220:221]
	v_fma_f64 v[218:219], -v[218:219], v[224:225], v[222:223]
	s_delay_alu instid0(VALU_DEP_1) | instskip(NEXT) | instid1(VALU_DEP_1)
	v_div_fmas_f64 v[218:219], v[218:219], v[220:221], v[224:225]
	v_div_fixup_f64 v[222:223], v[218:219], v[216:217], 1.0
                                        ; implicit-def: $vgpr216_vgpr217
	s_delay_alu instid0(VALU_DEP_1)
	v_mul_f64 v[212:213], v[212:213], v[222:223]
	v_xor_b32_e32 v223, 0x80000000, v223
.LBB107_392:
	s_and_not1_saveexec_b32 s3, s3
	s_cbranch_execz .LBB107_394
; %bb.393:
	v_div_scale_f64 v[212:213], null, v[216:217], v[216:217], v[218:219]
	v_div_scale_f64 v[224:225], vcc_lo, v[218:219], v[216:217], v[218:219]
	s_delay_alu instid0(VALU_DEP_2) | instskip(SKIP_2) | instid1(VALU_DEP_1)
	v_rcp_f64_e32 v[220:221], v[212:213]
	s_waitcnt_depctr 0xfff
	v_fma_f64 v[222:223], -v[212:213], v[220:221], 1.0
	v_fma_f64 v[220:221], v[220:221], v[222:223], v[220:221]
	s_delay_alu instid0(VALU_DEP_1) | instskip(NEXT) | instid1(VALU_DEP_1)
	v_fma_f64 v[222:223], -v[212:213], v[220:221], 1.0
	v_fma_f64 v[220:221], v[220:221], v[222:223], v[220:221]
	s_delay_alu instid0(VALU_DEP_1) | instskip(NEXT) | instid1(VALU_DEP_1)
	v_mul_f64 v[222:223], v[224:225], v[220:221]
	v_fma_f64 v[212:213], -v[212:213], v[222:223], v[224:225]
	s_delay_alu instid0(VALU_DEP_1) | instskip(NEXT) | instid1(VALU_DEP_1)
	v_div_fmas_f64 v[212:213], v[212:213], v[220:221], v[222:223]
	v_div_fixup_f64 v[220:221], v[212:213], v[216:217], v[218:219]
	s_delay_alu instid0(VALU_DEP_1) | instskip(NEXT) | instid1(VALU_DEP_1)
	v_fma_f64 v[212:213], v[218:219], v[220:221], v[216:217]
	v_div_scale_f64 v[216:217], null, v[212:213], v[212:213], 1.0
	s_delay_alu instid0(VALU_DEP_1) | instskip(SKIP_2) | instid1(VALU_DEP_1)
	v_rcp_f64_e32 v[218:219], v[216:217]
	s_waitcnt_depctr 0xfff
	v_fma_f64 v[222:223], -v[216:217], v[218:219], 1.0
	v_fma_f64 v[218:219], v[218:219], v[222:223], v[218:219]
	s_delay_alu instid0(VALU_DEP_1) | instskip(NEXT) | instid1(VALU_DEP_1)
	v_fma_f64 v[222:223], -v[216:217], v[218:219], 1.0
	v_fma_f64 v[218:219], v[218:219], v[222:223], v[218:219]
	v_div_scale_f64 v[222:223], vcc_lo, 1.0, v[212:213], 1.0
	s_delay_alu instid0(VALU_DEP_1) | instskip(NEXT) | instid1(VALU_DEP_1)
	v_mul_f64 v[224:225], v[222:223], v[218:219]
	v_fma_f64 v[216:217], -v[216:217], v[224:225], v[222:223]
	s_delay_alu instid0(VALU_DEP_1) | instskip(NEXT) | instid1(VALU_DEP_1)
	v_div_fmas_f64 v[216:217], v[216:217], v[218:219], v[224:225]
	v_div_fixup_f64 v[212:213], v[216:217], v[212:213], 1.0
	s_delay_alu instid0(VALU_DEP_1)
	v_mul_f64 v[222:223], v[220:221], -v[212:213]
.LBB107_394:
	s_or_b32 exec_lo, exec_lo, s3
	ds_store_2addr_b64 v204, v[212:213], v[222:223] offset1:1
.LBB107_395:
	s_or_b32 exec_lo, exec_lo, s4
	s_waitcnt lgkmcnt(0)
	s_barrier
	buffer_gl0_inv
	ds_load_2addr_b64 v[205:208], v204 offset1:1
	s_mov_b32 s3, exec_lo
	s_waitcnt lgkmcnt(0)
	scratch_store_b128 off, v[205:208], off offset:1168 ; 16-byte Folded Spill
	v_cmpx_lt_u32_e32 43, v215
	s_cbranch_execz .LBB107_397
; %bb.396:
	scratch_load_b128 v[205:208], off, off offset:1168 ; 16-byte Folded Reload
	ds_load_2addr_b64 v[216:219], v214 offset0:88 offset1:89
	s_waitcnt vmcnt(0)
	v_mul_f64 v[212:213], v[205:206], v[42:43]
	v_mul_f64 v[42:43], v[207:208], v[42:43]
	s_delay_alu instid0(VALU_DEP_2) | instskip(NEXT) | instid1(VALU_DEP_2)
	v_fma_f64 v[212:213], v[207:208], v[40:41], v[212:213]
	v_fma_f64 v[40:41], v[205:206], v[40:41], -v[42:43]
	s_waitcnt lgkmcnt(0)
	s_delay_alu instid0(VALU_DEP_2) | instskip(NEXT) | instid1(VALU_DEP_1)
	v_mul_f64 v[42:43], v[218:219], v[212:213]
	v_fma_f64 v[42:43], v[216:217], v[40:41], -v[42:43]
	v_mul_f64 v[216:217], v[216:217], v[212:213]
	s_delay_alu instid0(VALU_DEP_2) | instskip(NEXT) | instid1(VALU_DEP_2)
	v_add_f64 v[36:37], v[36:37], -v[42:43]
	v_fma_f64 v[216:217], v[218:219], v[40:41], v[216:217]
	s_delay_alu instid0(VALU_DEP_1) | instskip(SKIP_3) | instid1(VALU_DEP_1)
	v_add_f64 v[38:39], v[38:39], -v[216:217]
	ds_load_2addr_b64 v[216:219], v214 offset0:90 offset1:91
	s_waitcnt lgkmcnt(0)
	v_mul_f64 v[42:43], v[218:219], v[212:213]
	v_fma_f64 v[42:43], v[216:217], v[40:41], -v[42:43]
	v_mul_f64 v[216:217], v[216:217], v[212:213]
	s_delay_alu instid0(VALU_DEP_2) | instskip(NEXT) | instid1(VALU_DEP_2)
	v_add_f64 v[32:33], v[32:33], -v[42:43]
	v_fma_f64 v[216:217], v[218:219], v[40:41], v[216:217]
	s_delay_alu instid0(VALU_DEP_1) | instskip(SKIP_3) | instid1(VALU_DEP_1)
	v_add_f64 v[34:35], v[34:35], -v[216:217]
	ds_load_2addr_b64 v[216:219], v214 offset0:92 offset1:93
	s_waitcnt lgkmcnt(0)
	;; [unrolled: 10-line block ×9, first 2 shown]
	v_mul_f64 v[42:43], v[218:219], v[212:213]
	v_fma_f64 v[42:43], v[216:217], v[40:41], -v[42:43]
	v_mul_f64 v[216:217], v[216:217], v[212:213]
	s_delay_alu instid0(VALU_DEP_2) | instskip(NEXT) | instid1(VALU_DEP_2)
	v_add_f64 v[0:1], v[0:1], -v[42:43]
	v_fma_f64 v[216:217], v[218:219], v[40:41], v[216:217]
	v_dual_mov_b32 v42, v212 :: v_dual_mov_b32 v43, v213
	s_delay_alu instid0(VALU_DEP_2)
	v_add_f64 v[2:3], v[2:3], -v[216:217]
.LBB107_397:
	s_or_b32 exec_lo, exec_lo, s3
	s_delay_alu instid0(SALU_CYCLE_1)
	s_mov_b32 s4, exec_lo
	s_waitcnt_vscnt null, 0x0
	s_barrier
	buffer_gl0_inv
	v_cmpx_eq_u32_e32 44, v215
	s_cbranch_execz .LBB107_404
; %bb.398:
	ds_store_2addr_b64 v204, v[36:37], v[38:39] offset1:1
	ds_store_2addr_b64 v214, v[32:33], v[34:35] offset0:90 offset1:91
	ds_store_2addr_b64 v214, v[28:29], v[30:31] offset0:92 offset1:93
	;; [unrolled: 1-line block ×9, first 2 shown]
	ds_load_2addr_b64 v[216:219], v204 offset1:1
	s_waitcnt lgkmcnt(0)
	v_cmp_neq_f64_e32 vcc_lo, 0, v[216:217]
	v_cmp_neq_f64_e64 s3, 0, v[218:219]
	s_delay_alu instid0(VALU_DEP_1) | instskip(NEXT) | instid1(SALU_CYCLE_1)
	s_or_b32 s3, vcc_lo, s3
	s_and_b32 exec_lo, exec_lo, s3
	s_cbranch_execz .LBB107_404
; %bb.399:
	v_cmp_gt_f64_e32 vcc_lo, 0, v[216:217]
	v_xor_b32_e32 v208, 0x80000000, v217
	s_delay_alu instid0(VALU_DEP_1) | instskip(SKIP_3) | instid1(VALU_DEP_1)
	v_cndmask_b32_e32 v213, v217, v208, vcc_lo
	v_cndmask_b32_e32 v212, v216, v216, vcc_lo
	v_cmp_gt_f64_e32 vcc_lo, 0, v[218:219]
	v_xor_b32_e32 v208, 0x80000000, v219
	v_dual_cndmask_b32 v220, v218, v218 :: v_dual_cndmask_b32 v221, v219, v208
	s_delay_alu instid0(VALU_DEP_1) | instskip(SKIP_1) | instid1(SALU_CYCLE_1)
	v_cmp_ngt_f64_e32 vcc_lo, v[212:213], v[220:221]
                                        ; implicit-def: $vgpr212_vgpr213
	s_and_saveexec_b32 s3, vcc_lo
	s_xor_b32 s3, exec_lo, s3
                                        ; implicit-def: $vgpr220_vgpr221_vgpr222_vgpr223
	s_cbranch_execz .LBB107_401
; %bb.400:
	v_div_scale_f64 v[212:213], null, v[218:219], v[218:219], v[216:217]
	v_div_scale_f64 v[224:225], vcc_lo, v[216:217], v[218:219], v[216:217]
	s_delay_alu instid0(VALU_DEP_2) | instskip(SKIP_2) | instid1(VALU_DEP_1)
	v_rcp_f64_e32 v[220:221], v[212:213]
	s_waitcnt_depctr 0xfff
	v_fma_f64 v[222:223], -v[212:213], v[220:221], 1.0
	v_fma_f64 v[220:221], v[220:221], v[222:223], v[220:221]
	s_delay_alu instid0(VALU_DEP_1) | instskip(NEXT) | instid1(VALU_DEP_1)
	v_fma_f64 v[222:223], -v[212:213], v[220:221], 1.0
	v_fma_f64 v[220:221], v[220:221], v[222:223], v[220:221]
	s_delay_alu instid0(VALU_DEP_1) | instskip(NEXT) | instid1(VALU_DEP_1)
	v_mul_f64 v[222:223], v[224:225], v[220:221]
	v_fma_f64 v[212:213], -v[212:213], v[222:223], v[224:225]
	s_delay_alu instid0(VALU_DEP_1) | instskip(NEXT) | instid1(VALU_DEP_1)
	v_div_fmas_f64 v[212:213], v[212:213], v[220:221], v[222:223]
	v_div_fixup_f64 v[212:213], v[212:213], v[218:219], v[216:217]
	s_delay_alu instid0(VALU_DEP_1) | instskip(NEXT) | instid1(VALU_DEP_1)
	v_fma_f64 v[216:217], v[216:217], v[212:213], v[218:219]
	v_div_scale_f64 v[218:219], null, v[216:217], v[216:217], 1.0
	s_delay_alu instid0(VALU_DEP_1) | instskip(SKIP_2) | instid1(VALU_DEP_1)
	v_rcp_f64_e32 v[220:221], v[218:219]
	s_waitcnt_depctr 0xfff
	v_fma_f64 v[222:223], -v[218:219], v[220:221], 1.0
	v_fma_f64 v[220:221], v[220:221], v[222:223], v[220:221]
	s_delay_alu instid0(VALU_DEP_1) | instskip(NEXT) | instid1(VALU_DEP_1)
	v_fma_f64 v[222:223], -v[218:219], v[220:221], 1.0
	v_fma_f64 v[220:221], v[220:221], v[222:223], v[220:221]
	v_div_scale_f64 v[222:223], vcc_lo, 1.0, v[216:217], 1.0
	s_delay_alu instid0(VALU_DEP_1) | instskip(NEXT) | instid1(VALU_DEP_1)
	v_mul_f64 v[224:225], v[222:223], v[220:221]
	v_fma_f64 v[218:219], -v[218:219], v[224:225], v[222:223]
	s_delay_alu instid0(VALU_DEP_1) | instskip(NEXT) | instid1(VALU_DEP_1)
	v_div_fmas_f64 v[218:219], v[218:219], v[220:221], v[224:225]
	v_div_fixup_f64 v[222:223], v[218:219], v[216:217], 1.0
                                        ; implicit-def: $vgpr216_vgpr217
	s_delay_alu instid0(VALU_DEP_1)
	v_mul_f64 v[212:213], v[212:213], v[222:223]
	v_xor_b32_e32 v223, 0x80000000, v223
.LBB107_401:
	s_and_not1_saveexec_b32 s3, s3
	s_cbranch_execz .LBB107_403
; %bb.402:
	v_div_scale_f64 v[212:213], null, v[216:217], v[216:217], v[218:219]
	v_div_scale_f64 v[224:225], vcc_lo, v[218:219], v[216:217], v[218:219]
	s_delay_alu instid0(VALU_DEP_2) | instskip(SKIP_2) | instid1(VALU_DEP_1)
	v_rcp_f64_e32 v[220:221], v[212:213]
	s_waitcnt_depctr 0xfff
	v_fma_f64 v[222:223], -v[212:213], v[220:221], 1.0
	v_fma_f64 v[220:221], v[220:221], v[222:223], v[220:221]
	s_delay_alu instid0(VALU_DEP_1) | instskip(NEXT) | instid1(VALU_DEP_1)
	v_fma_f64 v[222:223], -v[212:213], v[220:221], 1.0
	v_fma_f64 v[220:221], v[220:221], v[222:223], v[220:221]
	s_delay_alu instid0(VALU_DEP_1) | instskip(NEXT) | instid1(VALU_DEP_1)
	v_mul_f64 v[222:223], v[224:225], v[220:221]
	v_fma_f64 v[212:213], -v[212:213], v[222:223], v[224:225]
	s_delay_alu instid0(VALU_DEP_1) | instskip(NEXT) | instid1(VALU_DEP_1)
	v_div_fmas_f64 v[212:213], v[212:213], v[220:221], v[222:223]
	v_div_fixup_f64 v[220:221], v[212:213], v[216:217], v[218:219]
	s_delay_alu instid0(VALU_DEP_1) | instskip(NEXT) | instid1(VALU_DEP_1)
	v_fma_f64 v[212:213], v[218:219], v[220:221], v[216:217]
	v_div_scale_f64 v[216:217], null, v[212:213], v[212:213], 1.0
	s_delay_alu instid0(VALU_DEP_1) | instskip(SKIP_2) | instid1(VALU_DEP_1)
	v_rcp_f64_e32 v[218:219], v[216:217]
	s_waitcnt_depctr 0xfff
	v_fma_f64 v[222:223], -v[216:217], v[218:219], 1.0
	v_fma_f64 v[218:219], v[218:219], v[222:223], v[218:219]
	s_delay_alu instid0(VALU_DEP_1) | instskip(NEXT) | instid1(VALU_DEP_1)
	v_fma_f64 v[222:223], -v[216:217], v[218:219], 1.0
	v_fma_f64 v[218:219], v[218:219], v[222:223], v[218:219]
	v_div_scale_f64 v[222:223], vcc_lo, 1.0, v[212:213], 1.0
	s_delay_alu instid0(VALU_DEP_1) | instskip(NEXT) | instid1(VALU_DEP_1)
	v_mul_f64 v[224:225], v[222:223], v[218:219]
	v_fma_f64 v[216:217], -v[216:217], v[224:225], v[222:223]
	s_delay_alu instid0(VALU_DEP_1) | instskip(NEXT) | instid1(VALU_DEP_1)
	v_div_fmas_f64 v[216:217], v[216:217], v[218:219], v[224:225]
	v_div_fixup_f64 v[212:213], v[216:217], v[212:213], 1.0
	s_delay_alu instid0(VALU_DEP_1)
	v_mul_f64 v[222:223], v[220:221], -v[212:213]
.LBB107_403:
	s_or_b32 exec_lo, exec_lo, s3
	ds_store_2addr_b64 v204, v[212:213], v[222:223] offset1:1
.LBB107_404:
	s_or_b32 exec_lo, exec_lo, s4
	s_waitcnt lgkmcnt(0)
	s_barrier
	buffer_gl0_inv
	ds_load_2addr_b64 v[232:235], v204 offset1:1
	s_mov_b32 s3, exec_lo
	v_cmpx_lt_u32_e32 44, v215
	s_cbranch_execz .LBB107_406
; %bb.405:
	s_waitcnt lgkmcnt(0)
	v_mul_f64 v[212:213], v[232:233], v[38:39]
	v_mul_f64 v[38:39], v[234:235], v[38:39]
	ds_load_2addr_b64 v[216:219], v214 offset0:90 offset1:91
	v_fma_f64 v[212:213], v[234:235], v[36:37], v[212:213]
	v_fma_f64 v[36:37], v[232:233], v[36:37], -v[38:39]
	s_waitcnt lgkmcnt(0)
	s_delay_alu instid0(VALU_DEP_2) | instskip(NEXT) | instid1(VALU_DEP_1)
	v_mul_f64 v[38:39], v[218:219], v[212:213]
	v_fma_f64 v[38:39], v[216:217], v[36:37], -v[38:39]
	v_mul_f64 v[216:217], v[216:217], v[212:213]
	s_delay_alu instid0(VALU_DEP_2) | instskip(NEXT) | instid1(VALU_DEP_2)
	v_add_f64 v[32:33], v[32:33], -v[38:39]
	v_fma_f64 v[216:217], v[218:219], v[36:37], v[216:217]
	s_delay_alu instid0(VALU_DEP_1) | instskip(SKIP_3) | instid1(VALU_DEP_1)
	v_add_f64 v[34:35], v[34:35], -v[216:217]
	ds_load_2addr_b64 v[216:219], v214 offset0:92 offset1:93
	s_waitcnt lgkmcnt(0)
	v_mul_f64 v[38:39], v[218:219], v[212:213]
	v_fma_f64 v[38:39], v[216:217], v[36:37], -v[38:39]
	v_mul_f64 v[216:217], v[216:217], v[212:213]
	s_delay_alu instid0(VALU_DEP_2) | instskip(NEXT) | instid1(VALU_DEP_2)
	v_add_f64 v[28:29], v[28:29], -v[38:39]
	v_fma_f64 v[216:217], v[218:219], v[36:37], v[216:217]
	s_delay_alu instid0(VALU_DEP_1) | instskip(SKIP_3) | instid1(VALU_DEP_1)
	v_add_f64 v[30:31], v[30:31], -v[216:217]
	ds_load_2addr_b64 v[216:219], v214 offset0:94 offset1:95
	s_waitcnt lgkmcnt(0)
	;; [unrolled: 10-line block ×8, first 2 shown]
	v_mul_f64 v[38:39], v[218:219], v[212:213]
	v_fma_f64 v[38:39], v[216:217], v[36:37], -v[38:39]
	v_mul_f64 v[216:217], v[216:217], v[212:213]
	s_delay_alu instid0(VALU_DEP_2) | instskip(NEXT) | instid1(VALU_DEP_2)
	v_add_f64 v[0:1], v[0:1], -v[38:39]
	v_fma_f64 v[216:217], v[218:219], v[36:37], v[216:217]
	v_dual_mov_b32 v38, v212 :: v_dual_mov_b32 v39, v213
	s_delay_alu instid0(VALU_DEP_2)
	v_add_f64 v[2:3], v[2:3], -v[216:217]
.LBB107_406:
	s_or_b32 exec_lo, exec_lo, s3
	s_delay_alu instid0(SALU_CYCLE_1)
	s_mov_b32 s4, exec_lo
	s_waitcnt lgkmcnt(0)
	s_barrier
	buffer_gl0_inv
	v_cmpx_eq_u32_e32 45, v215
	s_cbranch_execz .LBB107_413
; %bb.407:
	ds_store_2addr_b64 v204, v[32:33], v[34:35] offset1:1
	ds_store_2addr_b64 v214, v[28:29], v[30:31] offset0:92 offset1:93
	ds_store_2addr_b64 v214, v[24:25], v[26:27] offset0:94 offset1:95
	ds_store_2addr_b64 v214, v[20:21], v[22:23] offset0:96 offset1:97
	ds_store_2addr_b64 v214, v[16:17], v[18:19] offset0:98 offset1:99
	ds_store_2addr_b64 v214, v[12:13], v[14:15] offset0:100 offset1:101
	ds_store_2addr_b64 v214, v[8:9], v[10:11] offset0:102 offset1:103
	ds_store_2addr_b64 v214, v[4:5], v[6:7] offset0:104 offset1:105
	ds_store_2addr_b64 v214, v[0:1], v[2:3] offset0:106 offset1:107
	ds_load_2addr_b64 v[216:219], v204 offset1:1
	s_waitcnt lgkmcnt(0)
	v_cmp_neq_f64_e32 vcc_lo, 0, v[216:217]
	v_cmp_neq_f64_e64 s3, 0, v[218:219]
	s_delay_alu instid0(VALU_DEP_1) | instskip(NEXT) | instid1(SALU_CYCLE_1)
	s_or_b32 s3, vcc_lo, s3
	s_and_b32 exec_lo, exec_lo, s3
	s_cbranch_execz .LBB107_413
; %bb.408:
	v_cmp_gt_f64_e32 vcc_lo, 0, v[216:217]
	v_xor_b32_e32 v208, 0x80000000, v217
	s_delay_alu instid0(VALU_DEP_1) | instskip(SKIP_3) | instid1(VALU_DEP_1)
	v_cndmask_b32_e32 v213, v217, v208, vcc_lo
	v_cndmask_b32_e32 v212, v216, v216, vcc_lo
	v_cmp_gt_f64_e32 vcc_lo, 0, v[218:219]
	v_xor_b32_e32 v208, 0x80000000, v219
	v_dual_cndmask_b32 v220, v218, v218 :: v_dual_cndmask_b32 v221, v219, v208
	s_delay_alu instid0(VALU_DEP_1) | instskip(SKIP_1) | instid1(SALU_CYCLE_1)
	v_cmp_ngt_f64_e32 vcc_lo, v[212:213], v[220:221]
                                        ; implicit-def: $vgpr212_vgpr213
	s_and_saveexec_b32 s3, vcc_lo
	s_xor_b32 s3, exec_lo, s3
                                        ; implicit-def: $vgpr220_vgpr221_vgpr222_vgpr223
	s_cbranch_execz .LBB107_410
; %bb.409:
	v_div_scale_f64 v[212:213], null, v[218:219], v[218:219], v[216:217]
	v_div_scale_f64 v[224:225], vcc_lo, v[216:217], v[218:219], v[216:217]
	s_delay_alu instid0(VALU_DEP_2) | instskip(SKIP_2) | instid1(VALU_DEP_1)
	v_rcp_f64_e32 v[220:221], v[212:213]
	s_waitcnt_depctr 0xfff
	v_fma_f64 v[222:223], -v[212:213], v[220:221], 1.0
	v_fma_f64 v[220:221], v[220:221], v[222:223], v[220:221]
	s_delay_alu instid0(VALU_DEP_1) | instskip(NEXT) | instid1(VALU_DEP_1)
	v_fma_f64 v[222:223], -v[212:213], v[220:221], 1.0
	v_fma_f64 v[220:221], v[220:221], v[222:223], v[220:221]
	s_delay_alu instid0(VALU_DEP_1) | instskip(NEXT) | instid1(VALU_DEP_1)
	v_mul_f64 v[222:223], v[224:225], v[220:221]
	v_fma_f64 v[212:213], -v[212:213], v[222:223], v[224:225]
	s_delay_alu instid0(VALU_DEP_1) | instskip(NEXT) | instid1(VALU_DEP_1)
	v_div_fmas_f64 v[212:213], v[212:213], v[220:221], v[222:223]
	v_div_fixup_f64 v[212:213], v[212:213], v[218:219], v[216:217]
	s_delay_alu instid0(VALU_DEP_1) | instskip(NEXT) | instid1(VALU_DEP_1)
	v_fma_f64 v[216:217], v[216:217], v[212:213], v[218:219]
	v_div_scale_f64 v[218:219], null, v[216:217], v[216:217], 1.0
	s_delay_alu instid0(VALU_DEP_1) | instskip(SKIP_2) | instid1(VALU_DEP_1)
	v_rcp_f64_e32 v[220:221], v[218:219]
	s_waitcnt_depctr 0xfff
	v_fma_f64 v[222:223], -v[218:219], v[220:221], 1.0
	v_fma_f64 v[220:221], v[220:221], v[222:223], v[220:221]
	s_delay_alu instid0(VALU_DEP_1) | instskip(NEXT) | instid1(VALU_DEP_1)
	v_fma_f64 v[222:223], -v[218:219], v[220:221], 1.0
	v_fma_f64 v[220:221], v[220:221], v[222:223], v[220:221]
	v_div_scale_f64 v[222:223], vcc_lo, 1.0, v[216:217], 1.0
	s_delay_alu instid0(VALU_DEP_1) | instskip(NEXT) | instid1(VALU_DEP_1)
	v_mul_f64 v[224:225], v[222:223], v[220:221]
	v_fma_f64 v[218:219], -v[218:219], v[224:225], v[222:223]
	s_delay_alu instid0(VALU_DEP_1) | instskip(NEXT) | instid1(VALU_DEP_1)
	v_div_fmas_f64 v[218:219], v[218:219], v[220:221], v[224:225]
	v_div_fixup_f64 v[222:223], v[218:219], v[216:217], 1.0
                                        ; implicit-def: $vgpr216_vgpr217
	s_delay_alu instid0(VALU_DEP_1)
	v_mul_f64 v[212:213], v[212:213], v[222:223]
	v_xor_b32_e32 v223, 0x80000000, v223
.LBB107_410:
	s_and_not1_saveexec_b32 s3, s3
	s_cbranch_execz .LBB107_412
; %bb.411:
	v_div_scale_f64 v[212:213], null, v[216:217], v[216:217], v[218:219]
	v_div_scale_f64 v[224:225], vcc_lo, v[218:219], v[216:217], v[218:219]
	s_delay_alu instid0(VALU_DEP_2) | instskip(SKIP_2) | instid1(VALU_DEP_1)
	v_rcp_f64_e32 v[220:221], v[212:213]
	s_waitcnt_depctr 0xfff
	v_fma_f64 v[222:223], -v[212:213], v[220:221], 1.0
	v_fma_f64 v[220:221], v[220:221], v[222:223], v[220:221]
	s_delay_alu instid0(VALU_DEP_1) | instskip(NEXT) | instid1(VALU_DEP_1)
	v_fma_f64 v[222:223], -v[212:213], v[220:221], 1.0
	v_fma_f64 v[220:221], v[220:221], v[222:223], v[220:221]
	s_delay_alu instid0(VALU_DEP_1) | instskip(NEXT) | instid1(VALU_DEP_1)
	v_mul_f64 v[222:223], v[224:225], v[220:221]
	v_fma_f64 v[212:213], -v[212:213], v[222:223], v[224:225]
	s_delay_alu instid0(VALU_DEP_1) | instskip(NEXT) | instid1(VALU_DEP_1)
	v_div_fmas_f64 v[212:213], v[212:213], v[220:221], v[222:223]
	v_div_fixup_f64 v[220:221], v[212:213], v[216:217], v[218:219]
	s_delay_alu instid0(VALU_DEP_1) | instskip(NEXT) | instid1(VALU_DEP_1)
	v_fma_f64 v[212:213], v[218:219], v[220:221], v[216:217]
	v_div_scale_f64 v[216:217], null, v[212:213], v[212:213], 1.0
	s_delay_alu instid0(VALU_DEP_1) | instskip(SKIP_2) | instid1(VALU_DEP_1)
	v_rcp_f64_e32 v[218:219], v[216:217]
	s_waitcnt_depctr 0xfff
	v_fma_f64 v[222:223], -v[216:217], v[218:219], 1.0
	v_fma_f64 v[218:219], v[218:219], v[222:223], v[218:219]
	s_delay_alu instid0(VALU_DEP_1) | instskip(NEXT) | instid1(VALU_DEP_1)
	v_fma_f64 v[222:223], -v[216:217], v[218:219], 1.0
	v_fma_f64 v[218:219], v[218:219], v[222:223], v[218:219]
	v_div_scale_f64 v[222:223], vcc_lo, 1.0, v[212:213], 1.0
	s_delay_alu instid0(VALU_DEP_1) | instskip(NEXT) | instid1(VALU_DEP_1)
	v_mul_f64 v[224:225], v[222:223], v[218:219]
	v_fma_f64 v[216:217], -v[216:217], v[224:225], v[222:223]
	s_delay_alu instid0(VALU_DEP_1) | instskip(NEXT) | instid1(VALU_DEP_1)
	v_div_fmas_f64 v[216:217], v[216:217], v[218:219], v[224:225]
	v_div_fixup_f64 v[212:213], v[216:217], v[212:213], 1.0
	s_delay_alu instid0(VALU_DEP_1)
	v_mul_f64 v[222:223], v[220:221], -v[212:213]
.LBB107_412:
	s_or_b32 exec_lo, exec_lo, s3
	ds_store_2addr_b64 v204, v[212:213], v[222:223] offset1:1
.LBB107_413:
	s_or_b32 exec_lo, exec_lo, s4
	s_waitcnt lgkmcnt(0)
	s_barrier
	buffer_gl0_inv
	ds_load_2addr_b64 v[236:239], v204 offset1:1
	s_mov_b32 s3, exec_lo
	v_cmpx_lt_u32_e32 45, v215
	s_cbranch_execz .LBB107_415
; %bb.414:
	s_waitcnt lgkmcnt(0)
	v_mul_f64 v[212:213], v[236:237], v[34:35]
	v_mul_f64 v[34:35], v[238:239], v[34:35]
	ds_load_2addr_b64 v[216:219], v214 offset0:92 offset1:93
	v_fma_f64 v[212:213], v[238:239], v[32:33], v[212:213]
	v_fma_f64 v[32:33], v[236:237], v[32:33], -v[34:35]
	s_waitcnt lgkmcnt(0)
	s_delay_alu instid0(VALU_DEP_2) | instskip(NEXT) | instid1(VALU_DEP_1)
	v_mul_f64 v[34:35], v[218:219], v[212:213]
	v_fma_f64 v[34:35], v[216:217], v[32:33], -v[34:35]
	v_mul_f64 v[216:217], v[216:217], v[212:213]
	s_delay_alu instid0(VALU_DEP_2) | instskip(NEXT) | instid1(VALU_DEP_2)
	v_add_f64 v[28:29], v[28:29], -v[34:35]
	v_fma_f64 v[216:217], v[218:219], v[32:33], v[216:217]
	s_delay_alu instid0(VALU_DEP_1) | instskip(SKIP_3) | instid1(VALU_DEP_1)
	v_add_f64 v[30:31], v[30:31], -v[216:217]
	ds_load_2addr_b64 v[216:219], v214 offset0:94 offset1:95
	s_waitcnt lgkmcnt(0)
	v_mul_f64 v[34:35], v[218:219], v[212:213]
	v_fma_f64 v[34:35], v[216:217], v[32:33], -v[34:35]
	v_mul_f64 v[216:217], v[216:217], v[212:213]
	s_delay_alu instid0(VALU_DEP_2) | instskip(NEXT) | instid1(VALU_DEP_2)
	v_add_f64 v[24:25], v[24:25], -v[34:35]
	v_fma_f64 v[216:217], v[218:219], v[32:33], v[216:217]
	s_delay_alu instid0(VALU_DEP_1) | instskip(SKIP_3) | instid1(VALU_DEP_1)
	v_add_f64 v[26:27], v[26:27], -v[216:217]
	ds_load_2addr_b64 v[216:219], v214 offset0:96 offset1:97
	s_waitcnt lgkmcnt(0)
	;; [unrolled: 10-line block ×7, first 2 shown]
	v_mul_f64 v[34:35], v[218:219], v[212:213]
	v_fma_f64 v[34:35], v[216:217], v[32:33], -v[34:35]
	v_mul_f64 v[216:217], v[216:217], v[212:213]
	s_delay_alu instid0(VALU_DEP_2) | instskip(NEXT) | instid1(VALU_DEP_2)
	v_add_f64 v[0:1], v[0:1], -v[34:35]
	v_fma_f64 v[216:217], v[218:219], v[32:33], v[216:217]
	v_dual_mov_b32 v34, v212 :: v_dual_mov_b32 v35, v213
	s_delay_alu instid0(VALU_DEP_2)
	v_add_f64 v[2:3], v[2:3], -v[216:217]
.LBB107_415:
	s_or_b32 exec_lo, exec_lo, s3
	s_delay_alu instid0(SALU_CYCLE_1)
	s_mov_b32 s4, exec_lo
	s_waitcnt lgkmcnt(0)
	s_barrier
	buffer_gl0_inv
	v_cmpx_eq_u32_e32 46, v215
	s_cbranch_execz .LBB107_422
; %bb.416:
	ds_store_2addr_b64 v204, v[28:29], v[30:31] offset1:1
	ds_store_2addr_b64 v214, v[24:25], v[26:27] offset0:94 offset1:95
	ds_store_2addr_b64 v214, v[20:21], v[22:23] offset0:96 offset1:97
	;; [unrolled: 1-line block ×7, first 2 shown]
	ds_load_2addr_b64 v[216:219], v204 offset1:1
	s_waitcnt lgkmcnt(0)
	v_cmp_neq_f64_e32 vcc_lo, 0, v[216:217]
	v_cmp_neq_f64_e64 s3, 0, v[218:219]
	s_delay_alu instid0(VALU_DEP_1) | instskip(NEXT) | instid1(SALU_CYCLE_1)
	s_or_b32 s3, vcc_lo, s3
	s_and_b32 exec_lo, exec_lo, s3
	s_cbranch_execz .LBB107_422
; %bb.417:
	v_cmp_gt_f64_e32 vcc_lo, 0, v[216:217]
	v_xor_b32_e32 v208, 0x80000000, v217
	s_delay_alu instid0(VALU_DEP_1) | instskip(SKIP_3) | instid1(VALU_DEP_1)
	v_cndmask_b32_e32 v213, v217, v208, vcc_lo
	v_cndmask_b32_e32 v212, v216, v216, vcc_lo
	v_cmp_gt_f64_e32 vcc_lo, 0, v[218:219]
	v_xor_b32_e32 v208, 0x80000000, v219
	v_dual_cndmask_b32 v220, v218, v218 :: v_dual_cndmask_b32 v221, v219, v208
	s_delay_alu instid0(VALU_DEP_1) | instskip(SKIP_1) | instid1(SALU_CYCLE_1)
	v_cmp_ngt_f64_e32 vcc_lo, v[212:213], v[220:221]
                                        ; implicit-def: $vgpr212_vgpr213
	s_and_saveexec_b32 s3, vcc_lo
	s_xor_b32 s3, exec_lo, s3
                                        ; implicit-def: $vgpr220_vgpr221_vgpr222_vgpr223
	s_cbranch_execz .LBB107_419
; %bb.418:
	v_div_scale_f64 v[212:213], null, v[218:219], v[218:219], v[216:217]
	v_div_scale_f64 v[224:225], vcc_lo, v[216:217], v[218:219], v[216:217]
	s_delay_alu instid0(VALU_DEP_2) | instskip(SKIP_2) | instid1(VALU_DEP_1)
	v_rcp_f64_e32 v[220:221], v[212:213]
	s_waitcnt_depctr 0xfff
	v_fma_f64 v[222:223], -v[212:213], v[220:221], 1.0
	v_fma_f64 v[220:221], v[220:221], v[222:223], v[220:221]
	s_delay_alu instid0(VALU_DEP_1) | instskip(NEXT) | instid1(VALU_DEP_1)
	v_fma_f64 v[222:223], -v[212:213], v[220:221], 1.0
	v_fma_f64 v[220:221], v[220:221], v[222:223], v[220:221]
	s_delay_alu instid0(VALU_DEP_1) | instskip(NEXT) | instid1(VALU_DEP_1)
	v_mul_f64 v[222:223], v[224:225], v[220:221]
	v_fma_f64 v[212:213], -v[212:213], v[222:223], v[224:225]
	s_delay_alu instid0(VALU_DEP_1) | instskip(NEXT) | instid1(VALU_DEP_1)
	v_div_fmas_f64 v[212:213], v[212:213], v[220:221], v[222:223]
	v_div_fixup_f64 v[212:213], v[212:213], v[218:219], v[216:217]
	s_delay_alu instid0(VALU_DEP_1) | instskip(NEXT) | instid1(VALU_DEP_1)
	v_fma_f64 v[216:217], v[216:217], v[212:213], v[218:219]
	v_div_scale_f64 v[218:219], null, v[216:217], v[216:217], 1.0
	s_delay_alu instid0(VALU_DEP_1) | instskip(SKIP_2) | instid1(VALU_DEP_1)
	v_rcp_f64_e32 v[220:221], v[218:219]
	s_waitcnt_depctr 0xfff
	v_fma_f64 v[222:223], -v[218:219], v[220:221], 1.0
	v_fma_f64 v[220:221], v[220:221], v[222:223], v[220:221]
	s_delay_alu instid0(VALU_DEP_1) | instskip(NEXT) | instid1(VALU_DEP_1)
	v_fma_f64 v[222:223], -v[218:219], v[220:221], 1.0
	v_fma_f64 v[220:221], v[220:221], v[222:223], v[220:221]
	v_div_scale_f64 v[222:223], vcc_lo, 1.0, v[216:217], 1.0
	s_delay_alu instid0(VALU_DEP_1) | instskip(NEXT) | instid1(VALU_DEP_1)
	v_mul_f64 v[224:225], v[222:223], v[220:221]
	v_fma_f64 v[218:219], -v[218:219], v[224:225], v[222:223]
	s_delay_alu instid0(VALU_DEP_1) | instskip(NEXT) | instid1(VALU_DEP_1)
	v_div_fmas_f64 v[218:219], v[218:219], v[220:221], v[224:225]
	v_div_fixup_f64 v[222:223], v[218:219], v[216:217], 1.0
                                        ; implicit-def: $vgpr216_vgpr217
	s_delay_alu instid0(VALU_DEP_1)
	v_mul_f64 v[212:213], v[212:213], v[222:223]
	v_xor_b32_e32 v223, 0x80000000, v223
.LBB107_419:
	s_and_not1_saveexec_b32 s3, s3
	s_cbranch_execz .LBB107_421
; %bb.420:
	v_div_scale_f64 v[212:213], null, v[216:217], v[216:217], v[218:219]
	v_div_scale_f64 v[224:225], vcc_lo, v[218:219], v[216:217], v[218:219]
	s_delay_alu instid0(VALU_DEP_2) | instskip(SKIP_2) | instid1(VALU_DEP_1)
	v_rcp_f64_e32 v[220:221], v[212:213]
	s_waitcnt_depctr 0xfff
	v_fma_f64 v[222:223], -v[212:213], v[220:221], 1.0
	v_fma_f64 v[220:221], v[220:221], v[222:223], v[220:221]
	s_delay_alu instid0(VALU_DEP_1) | instskip(NEXT) | instid1(VALU_DEP_1)
	v_fma_f64 v[222:223], -v[212:213], v[220:221], 1.0
	v_fma_f64 v[220:221], v[220:221], v[222:223], v[220:221]
	s_delay_alu instid0(VALU_DEP_1) | instskip(NEXT) | instid1(VALU_DEP_1)
	v_mul_f64 v[222:223], v[224:225], v[220:221]
	v_fma_f64 v[212:213], -v[212:213], v[222:223], v[224:225]
	s_delay_alu instid0(VALU_DEP_1) | instskip(NEXT) | instid1(VALU_DEP_1)
	v_div_fmas_f64 v[212:213], v[212:213], v[220:221], v[222:223]
	v_div_fixup_f64 v[220:221], v[212:213], v[216:217], v[218:219]
	s_delay_alu instid0(VALU_DEP_1) | instskip(NEXT) | instid1(VALU_DEP_1)
	v_fma_f64 v[212:213], v[218:219], v[220:221], v[216:217]
	v_div_scale_f64 v[216:217], null, v[212:213], v[212:213], 1.0
	s_delay_alu instid0(VALU_DEP_1) | instskip(SKIP_2) | instid1(VALU_DEP_1)
	v_rcp_f64_e32 v[218:219], v[216:217]
	s_waitcnt_depctr 0xfff
	v_fma_f64 v[222:223], -v[216:217], v[218:219], 1.0
	v_fma_f64 v[218:219], v[218:219], v[222:223], v[218:219]
	s_delay_alu instid0(VALU_DEP_1) | instskip(NEXT) | instid1(VALU_DEP_1)
	v_fma_f64 v[222:223], -v[216:217], v[218:219], 1.0
	v_fma_f64 v[218:219], v[218:219], v[222:223], v[218:219]
	v_div_scale_f64 v[222:223], vcc_lo, 1.0, v[212:213], 1.0
	s_delay_alu instid0(VALU_DEP_1) | instskip(NEXT) | instid1(VALU_DEP_1)
	v_mul_f64 v[224:225], v[222:223], v[218:219]
	v_fma_f64 v[216:217], -v[216:217], v[224:225], v[222:223]
	s_delay_alu instid0(VALU_DEP_1) | instskip(NEXT) | instid1(VALU_DEP_1)
	v_div_fmas_f64 v[216:217], v[216:217], v[218:219], v[224:225]
	v_div_fixup_f64 v[212:213], v[216:217], v[212:213], 1.0
	s_delay_alu instid0(VALU_DEP_1)
	v_mul_f64 v[222:223], v[220:221], -v[212:213]
.LBB107_421:
	s_or_b32 exec_lo, exec_lo, s3
	ds_store_2addr_b64 v204, v[212:213], v[222:223] offset1:1
.LBB107_422:
	s_or_b32 exec_lo, exec_lo, s4
	s_waitcnt lgkmcnt(0)
	s_barrier
	buffer_gl0_inv
	ds_load_2addr_b64 v[240:243], v204 offset1:1
	s_mov_b32 s3, exec_lo
	v_cmpx_lt_u32_e32 46, v215
	s_cbranch_execz .LBB107_424
; %bb.423:
	s_waitcnt lgkmcnt(0)
	v_mul_f64 v[212:213], v[240:241], v[30:31]
	v_mul_f64 v[30:31], v[242:243], v[30:31]
	ds_load_2addr_b64 v[216:219], v214 offset0:94 offset1:95
	v_fma_f64 v[212:213], v[242:243], v[28:29], v[212:213]
	v_fma_f64 v[28:29], v[240:241], v[28:29], -v[30:31]
	s_waitcnt lgkmcnt(0)
	s_delay_alu instid0(VALU_DEP_2) | instskip(NEXT) | instid1(VALU_DEP_1)
	v_mul_f64 v[30:31], v[218:219], v[212:213]
	v_fma_f64 v[30:31], v[216:217], v[28:29], -v[30:31]
	v_mul_f64 v[216:217], v[216:217], v[212:213]
	s_delay_alu instid0(VALU_DEP_2) | instskip(NEXT) | instid1(VALU_DEP_2)
	v_add_f64 v[24:25], v[24:25], -v[30:31]
	v_fma_f64 v[216:217], v[218:219], v[28:29], v[216:217]
	s_delay_alu instid0(VALU_DEP_1) | instskip(SKIP_3) | instid1(VALU_DEP_1)
	v_add_f64 v[26:27], v[26:27], -v[216:217]
	ds_load_2addr_b64 v[216:219], v214 offset0:96 offset1:97
	s_waitcnt lgkmcnt(0)
	v_mul_f64 v[30:31], v[218:219], v[212:213]
	v_fma_f64 v[30:31], v[216:217], v[28:29], -v[30:31]
	v_mul_f64 v[216:217], v[216:217], v[212:213]
	s_delay_alu instid0(VALU_DEP_2) | instskip(NEXT) | instid1(VALU_DEP_2)
	v_add_f64 v[20:21], v[20:21], -v[30:31]
	v_fma_f64 v[216:217], v[218:219], v[28:29], v[216:217]
	s_delay_alu instid0(VALU_DEP_1) | instskip(SKIP_3) | instid1(VALU_DEP_1)
	v_add_f64 v[22:23], v[22:23], -v[216:217]
	ds_load_2addr_b64 v[216:219], v214 offset0:98 offset1:99
	s_waitcnt lgkmcnt(0)
	;; [unrolled: 10-line block ×6, first 2 shown]
	v_mul_f64 v[30:31], v[218:219], v[212:213]
	v_fma_f64 v[30:31], v[216:217], v[28:29], -v[30:31]
	v_mul_f64 v[216:217], v[216:217], v[212:213]
	s_delay_alu instid0(VALU_DEP_2) | instskip(NEXT) | instid1(VALU_DEP_2)
	v_add_f64 v[0:1], v[0:1], -v[30:31]
	v_fma_f64 v[216:217], v[218:219], v[28:29], v[216:217]
	v_dual_mov_b32 v30, v212 :: v_dual_mov_b32 v31, v213
	s_delay_alu instid0(VALU_DEP_2)
	v_add_f64 v[2:3], v[2:3], -v[216:217]
.LBB107_424:
	s_or_b32 exec_lo, exec_lo, s3
	s_delay_alu instid0(SALU_CYCLE_1)
	s_mov_b32 s4, exec_lo
	s_waitcnt lgkmcnt(0)
	s_barrier
	buffer_gl0_inv
	v_cmpx_eq_u32_e32 47, v215
	s_cbranch_execz .LBB107_431
; %bb.425:
	ds_store_2addr_b64 v204, v[24:25], v[26:27] offset1:1
	ds_store_2addr_b64 v214, v[20:21], v[22:23] offset0:96 offset1:97
	ds_store_2addr_b64 v214, v[16:17], v[18:19] offset0:98 offset1:99
	;; [unrolled: 1-line block ×6, first 2 shown]
	ds_load_2addr_b64 v[216:219], v204 offset1:1
	s_waitcnt lgkmcnt(0)
	v_cmp_neq_f64_e32 vcc_lo, 0, v[216:217]
	v_cmp_neq_f64_e64 s3, 0, v[218:219]
	s_delay_alu instid0(VALU_DEP_1) | instskip(NEXT) | instid1(SALU_CYCLE_1)
	s_or_b32 s3, vcc_lo, s3
	s_and_b32 exec_lo, exec_lo, s3
	s_cbranch_execz .LBB107_431
; %bb.426:
	v_cmp_gt_f64_e32 vcc_lo, 0, v[216:217]
	v_xor_b32_e32 v208, 0x80000000, v217
	s_delay_alu instid0(VALU_DEP_1) | instskip(SKIP_3) | instid1(VALU_DEP_1)
	v_cndmask_b32_e32 v213, v217, v208, vcc_lo
	v_cndmask_b32_e32 v212, v216, v216, vcc_lo
	v_cmp_gt_f64_e32 vcc_lo, 0, v[218:219]
	v_xor_b32_e32 v208, 0x80000000, v219
	v_dual_cndmask_b32 v220, v218, v218 :: v_dual_cndmask_b32 v221, v219, v208
	s_delay_alu instid0(VALU_DEP_1) | instskip(SKIP_1) | instid1(SALU_CYCLE_1)
	v_cmp_ngt_f64_e32 vcc_lo, v[212:213], v[220:221]
                                        ; implicit-def: $vgpr212_vgpr213
	s_and_saveexec_b32 s3, vcc_lo
	s_xor_b32 s3, exec_lo, s3
                                        ; implicit-def: $vgpr220_vgpr221_vgpr222_vgpr223
	s_cbranch_execz .LBB107_428
; %bb.427:
	v_div_scale_f64 v[212:213], null, v[218:219], v[218:219], v[216:217]
	v_div_scale_f64 v[224:225], vcc_lo, v[216:217], v[218:219], v[216:217]
	s_delay_alu instid0(VALU_DEP_2) | instskip(SKIP_2) | instid1(VALU_DEP_1)
	v_rcp_f64_e32 v[220:221], v[212:213]
	s_waitcnt_depctr 0xfff
	v_fma_f64 v[222:223], -v[212:213], v[220:221], 1.0
	v_fma_f64 v[220:221], v[220:221], v[222:223], v[220:221]
	s_delay_alu instid0(VALU_DEP_1) | instskip(NEXT) | instid1(VALU_DEP_1)
	v_fma_f64 v[222:223], -v[212:213], v[220:221], 1.0
	v_fma_f64 v[220:221], v[220:221], v[222:223], v[220:221]
	s_delay_alu instid0(VALU_DEP_1) | instskip(NEXT) | instid1(VALU_DEP_1)
	v_mul_f64 v[222:223], v[224:225], v[220:221]
	v_fma_f64 v[212:213], -v[212:213], v[222:223], v[224:225]
	s_delay_alu instid0(VALU_DEP_1) | instskip(NEXT) | instid1(VALU_DEP_1)
	v_div_fmas_f64 v[212:213], v[212:213], v[220:221], v[222:223]
	v_div_fixup_f64 v[212:213], v[212:213], v[218:219], v[216:217]
	s_delay_alu instid0(VALU_DEP_1) | instskip(NEXT) | instid1(VALU_DEP_1)
	v_fma_f64 v[216:217], v[216:217], v[212:213], v[218:219]
	v_div_scale_f64 v[218:219], null, v[216:217], v[216:217], 1.0
	s_delay_alu instid0(VALU_DEP_1) | instskip(SKIP_2) | instid1(VALU_DEP_1)
	v_rcp_f64_e32 v[220:221], v[218:219]
	s_waitcnt_depctr 0xfff
	v_fma_f64 v[222:223], -v[218:219], v[220:221], 1.0
	v_fma_f64 v[220:221], v[220:221], v[222:223], v[220:221]
	s_delay_alu instid0(VALU_DEP_1) | instskip(NEXT) | instid1(VALU_DEP_1)
	v_fma_f64 v[222:223], -v[218:219], v[220:221], 1.0
	v_fma_f64 v[220:221], v[220:221], v[222:223], v[220:221]
	v_div_scale_f64 v[222:223], vcc_lo, 1.0, v[216:217], 1.0
	s_delay_alu instid0(VALU_DEP_1) | instskip(NEXT) | instid1(VALU_DEP_1)
	v_mul_f64 v[224:225], v[222:223], v[220:221]
	v_fma_f64 v[218:219], -v[218:219], v[224:225], v[222:223]
	s_delay_alu instid0(VALU_DEP_1) | instskip(NEXT) | instid1(VALU_DEP_1)
	v_div_fmas_f64 v[218:219], v[218:219], v[220:221], v[224:225]
	v_div_fixup_f64 v[222:223], v[218:219], v[216:217], 1.0
                                        ; implicit-def: $vgpr216_vgpr217
	s_delay_alu instid0(VALU_DEP_1)
	v_mul_f64 v[212:213], v[212:213], v[222:223]
	v_xor_b32_e32 v223, 0x80000000, v223
.LBB107_428:
	s_and_not1_saveexec_b32 s3, s3
	s_cbranch_execz .LBB107_430
; %bb.429:
	v_div_scale_f64 v[212:213], null, v[216:217], v[216:217], v[218:219]
	v_div_scale_f64 v[224:225], vcc_lo, v[218:219], v[216:217], v[218:219]
	s_delay_alu instid0(VALU_DEP_2) | instskip(SKIP_2) | instid1(VALU_DEP_1)
	v_rcp_f64_e32 v[220:221], v[212:213]
	s_waitcnt_depctr 0xfff
	v_fma_f64 v[222:223], -v[212:213], v[220:221], 1.0
	v_fma_f64 v[220:221], v[220:221], v[222:223], v[220:221]
	s_delay_alu instid0(VALU_DEP_1) | instskip(NEXT) | instid1(VALU_DEP_1)
	v_fma_f64 v[222:223], -v[212:213], v[220:221], 1.0
	v_fma_f64 v[220:221], v[220:221], v[222:223], v[220:221]
	s_delay_alu instid0(VALU_DEP_1) | instskip(NEXT) | instid1(VALU_DEP_1)
	v_mul_f64 v[222:223], v[224:225], v[220:221]
	v_fma_f64 v[212:213], -v[212:213], v[222:223], v[224:225]
	s_delay_alu instid0(VALU_DEP_1) | instskip(NEXT) | instid1(VALU_DEP_1)
	v_div_fmas_f64 v[212:213], v[212:213], v[220:221], v[222:223]
	v_div_fixup_f64 v[220:221], v[212:213], v[216:217], v[218:219]
	s_delay_alu instid0(VALU_DEP_1) | instskip(NEXT) | instid1(VALU_DEP_1)
	v_fma_f64 v[212:213], v[218:219], v[220:221], v[216:217]
	v_div_scale_f64 v[216:217], null, v[212:213], v[212:213], 1.0
	s_delay_alu instid0(VALU_DEP_1) | instskip(SKIP_2) | instid1(VALU_DEP_1)
	v_rcp_f64_e32 v[218:219], v[216:217]
	s_waitcnt_depctr 0xfff
	v_fma_f64 v[222:223], -v[216:217], v[218:219], 1.0
	v_fma_f64 v[218:219], v[218:219], v[222:223], v[218:219]
	s_delay_alu instid0(VALU_DEP_1) | instskip(NEXT) | instid1(VALU_DEP_1)
	v_fma_f64 v[222:223], -v[216:217], v[218:219], 1.0
	v_fma_f64 v[218:219], v[218:219], v[222:223], v[218:219]
	v_div_scale_f64 v[222:223], vcc_lo, 1.0, v[212:213], 1.0
	s_delay_alu instid0(VALU_DEP_1) | instskip(NEXT) | instid1(VALU_DEP_1)
	v_mul_f64 v[224:225], v[222:223], v[218:219]
	v_fma_f64 v[216:217], -v[216:217], v[224:225], v[222:223]
	s_delay_alu instid0(VALU_DEP_1) | instskip(NEXT) | instid1(VALU_DEP_1)
	v_div_fmas_f64 v[216:217], v[216:217], v[218:219], v[224:225]
	v_div_fixup_f64 v[212:213], v[216:217], v[212:213], 1.0
	s_delay_alu instid0(VALU_DEP_1)
	v_mul_f64 v[222:223], v[220:221], -v[212:213]
.LBB107_430:
	s_or_b32 exec_lo, exec_lo, s3
	ds_store_2addr_b64 v204, v[212:213], v[222:223] offset1:1
.LBB107_431:
	s_or_b32 exec_lo, exec_lo, s4
	s_waitcnt lgkmcnt(0)
	s_barrier
	buffer_gl0_inv
	ds_load_2addr_b64 v[244:247], v204 offset1:1
	s_mov_b32 s3, exec_lo
	v_cmpx_lt_u32_e32 47, v215
	s_cbranch_execz .LBB107_433
; %bb.432:
	s_waitcnt lgkmcnt(0)
	v_mul_f64 v[212:213], v[244:245], v[26:27]
	v_mul_f64 v[26:27], v[246:247], v[26:27]
	ds_load_2addr_b64 v[216:219], v214 offset0:96 offset1:97
	v_fma_f64 v[212:213], v[246:247], v[24:25], v[212:213]
	v_fma_f64 v[24:25], v[244:245], v[24:25], -v[26:27]
	s_waitcnt lgkmcnt(0)
	s_delay_alu instid0(VALU_DEP_2) | instskip(NEXT) | instid1(VALU_DEP_1)
	v_mul_f64 v[26:27], v[218:219], v[212:213]
	v_fma_f64 v[26:27], v[216:217], v[24:25], -v[26:27]
	v_mul_f64 v[216:217], v[216:217], v[212:213]
	s_delay_alu instid0(VALU_DEP_2) | instskip(NEXT) | instid1(VALU_DEP_2)
	v_add_f64 v[20:21], v[20:21], -v[26:27]
	v_fma_f64 v[216:217], v[218:219], v[24:25], v[216:217]
	s_delay_alu instid0(VALU_DEP_1) | instskip(SKIP_3) | instid1(VALU_DEP_1)
	v_add_f64 v[22:23], v[22:23], -v[216:217]
	ds_load_2addr_b64 v[216:219], v214 offset0:98 offset1:99
	s_waitcnt lgkmcnt(0)
	v_mul_f64 v[26:27], v[218:219], v[212:213]
	v_fma_f64 v[26:27], v[216:217], v[24:25], -v[26:27]
	v_mul_f64 v[216:217], v[216:217], v[212:213]
	s_delay_alu instid0(VALU_DEP_2) | instskip(NEXT) | instid1(VALU_DEP_2)
	v_add_f64 v[16:17], v[16:17], -v[26:27]
	v_fma_f64 v[216:217], v[218:219], v[24:25], v[216:217]
	s_delay_alu instid0(VALU_DEP_1) | instskip(SKIP_3) | instid1(VALU_DEP_1)
	v_add_f64 v[18:19], v[18:19], -v[216:217]
	ds_load_2addr_b64 v[216:219], v214 offset0:100 offset1:101
	s_waitcnt lgkmcnt(0)
	;; [unrolled: 10-line block ×5, first 2 shown]
	v_mul_f64 v[26:27], v[218:219], v[212:213]
	v_fma_f64 v[26:27], v[216:217], v[24:25], -v[26:27]
	v_mul_f64 v[216:217], v[216:217], v[212:213]
	s_delay_alu instid0(VALU_DEP_2) | instskip(NEXT) | instid1(VALU_DEP_2)
	v_add_f64 v[0:1], v[0:1], -v[26:27]
	v_fma_f64 v[216:217], v[218:219], v[24:25], v[216:217]
	v_dual_mov_b32 v26, v212 :: v_dual_mov_b32 v27, v213
	s_delay_alu instid0(VALU_DEP_2)
	v_add_f64 v[2:3], v[2:3], -v[216:217]
.LBB107_433:
	s_or_b32 exec_lo, exec_lo, s3
	s_delay_alu instid0(SALU_CYCLE_1)
	s_mov_b32 s4, exec_lo
	s_waitcnt lgkmcnt(0)
	s_barrier
	buffer_gl0_inv
	v_cmpx_eq_u32_e32 48, v215
	s_cbranch_execz .LBB107_440
; %bb.434:
	ds_store_2addr_b64 v204, v[20:21], v[22:23] offset1:1
	ds_store_2addr_b64 v214, v[16:17], v[18:19] offset0:98 offset1:99
	ds_store_2addr_b64 v214, v[12:13], v[14:15] offset0:100 offset1:101
	;; [unrolled: 1-line block ×5, first 2 shown]
	ds_load_2addr_b64 v[216:219], v204 offset1:1
	s_waitcnt lgkmcnt(0)
	v_cmp_neq_f64_e32 vcc_lo, 0, v[216:217]
	v_cmp_neq_f64_e64 s3, 0, v[218:219]
	s_delay_alu instid0(VALU_DEP_1) | instskip(NEXT) | instid1(SALU_CYCLE_1)
	s_or_b32 s3, vcc_lo, s3
	s_and_b32 exec_lo, exec_lo, s3
	s_cbranch_execz .LBB107_440
; %bb.435:
	v_cmp_gt_f64_e32 vcc_lo, 0, v[216:217]
	v_xor_b32_e32 v208, 0x80000000, v217
	s_delay_alu instid0(VALU_DEP_1) | instskip(SKIP_3) | instid1(VALU_DEP_1)
	v_cndmask_b32_e32 v213, v217, v208, vcc_lo
	v_cndmask_b32_e32 v212, v216, v216, vcc_lo
	v_cmp_gt_f64_e32 vcc_lo, 0, v[218:219]
	v_xor_b32_e32 v208, 0x80000000, v219
	v_dual_cndmask_b32 v220, v218, v218 :: v_dual_cndmask_b32 v221, v219, v208
	s_delay_alu instid0(VALU_DEP_1) | instskip(SKIP_1) | instid1(SALU_CYCLE_1)
	v_cmp_ngt_f64_e32 vcc_lo, v[212:213], v[220:221]
                                        ; implicit-def: $vgpr212_vgpr213
	s_and_saveexec_b32 s3, vcc_lo
	s_xor_b32 s3, exec_lo, s3
                                        ; implicit-def: $vgpr220_vgpr221_vgpr222_vgpr223
	s_cbranch_execz .LBB107_437
; %bb.436:
	v_div_scale_f64 v[212:213], null, v[218:219], v[218:219], v[216:217]
	v_div_scale_f64 v[224:225], vcc_lo, v[216:217], v[218:219], v[216:217]
	s_delay_alu instid0(VALU_DEP_2) | instskip(SKIP_2) | instid1(VALU_DEP_1)
	v_rcp_f64_e32 v[220:221], v[212:213]
	s_waitcnt_depctr 0xfff
	v_fma_f64 v[222:223], -v[212:213], v[220:221], 1.0
	v_fma_f64 v[220:221], v[220:221], v[222:223], v[220:221]
	s_delay_alu instid0(VALU_DEP_1) | instskip(NEXT) | instid1(VALU_DEP_1)
	v_fma_f64 v[222:223], -v[212:213], v[220:221], 1.0
	v_fma_f64 v[220:221], v[220:221], v[222:223], v[220:221]
	s_delay_alu instid0(VALU_DEP_1) | instskip(NEXT) | instid1(VALU_DEP_1)
	v_mul_f64 v[222:223], v[224:225], v[220:221]
	v_fma_f64 v[212:213], -v[212:213], v[222:223], v[224:225]
	s_delay_alu instid0(VALU_DEP_1) | instskip(NEXT) | instid1(VALU_DEP_1)
	v_div_fmas_f64 v[212:213], v[212:213], v[220:221], v[222:223]
	v_div_fixup_f64 v[212:213], v[212:213], v[218:219], v[216:217]
	s_delay_alu instid0(VALU_DEP_1) | instskip(NEXT) | instid1(VALU_DEP_1)
	v_fma_f64 v[216:217], v[216:217], v[212:213], v[218:219]
	v_div_scale_f64 v[218:219], null, v[216:217], v[216:217], 1.0
	s_delay_alu instid0(VALU_DEP_1) | instskip(SKIP_2) | instid1(VALU_DEP_1)
	v_rcp_f64_e32 v[220:221], v[218:219]
	s_waitcnt_depctr 0xfff
	v_fma_f64 v[222:223], -v[218:219], v[220:221], 1.0
	v_fma_f64 v[220:221], v[220:221], v[222:223], v[220:221]
	s_delay_alu instid0(VALU_DEP_1) | instskip(NEXT) | instid1(VALU_DEP_1)
	v_fma_f64 v[222:223], -v[218:219], v[220:221], 1.0
	v_fma_f64 v[220:221], v[220:221], v[222:223], v[220:221]
	v_div_scale_f64 v[222:223], vcc_lo, 1.0, v[216:217], 1.0
	s_delay_alu instid0(VALU_DEP_1) | instskip(NEXT) | instid1(VALU_DEP_1)
	v_mul_f64 v[224:225], v[222:223], v[220:221]
	v_fma_f64 v[218:219], -v[218:219], v[224:225], v[222:223]
	s_delay_alu instid0(VALU_DEP_1) | instskip(NEXT) | instid1(VALU_DEP_1)
	v_div_fmas_f64 v[218:219], v[218:219], v[220:221], v[224:225]
	v_div_fixup_f64 v[222:223], v[218:219], v[216:217], 1.0
                                        ; implicit-def: $vgpr216_vgpr217
	s_delay_alu instid0(VALU_DEP_1)
	v_mul_f64 v[212:213], v[212:213], v[222:223]
	v_xor_b32_e32 v223, 0x80000000, v223
.LBB107_437:
	s_and_not1_saveexec_b32 s3, s3
	s_cbranch_execz .LBB107_439
; %bb.438:
	v_div_scale_f64 v[212:213], null, v[216:217], v[216:217], v[218:219]
	v_div_scale_f64 v[224:225], vcc_lo, v[218:219], v[216:217], v[218:219]
	s_delay_alu instid0(VALU_DEP_2) | instskip(SKIP_2) | instid1(VALU_DEP_1)
	v_rcp_f64_e32 v[220:221], v[212:213]
	s_waitcnt_depctr 0xfff
	v_fma_f64 v[222:223], -v[212:213], v[220:221], 1.0
	v_fma_f64 v[220:221], v[220:221], v[222:223], v[220:221]
	s_delay_alu instid0(VALU_DEP_1) | instskip(NEXT) | instid1(VALU_DEP_1)
	v_fma_f64 v[222:223], -v[212:213], v[220:221], 1.0
	v_fma_f64 v[220:221], v[220:221], v[222:223], v[220:221]
	s_delay_alu instid0(VALU_DEP_1) | instskip(NEXT) | instid1(VALU_DEP_1)
	v_mul_f64 v[222:223], v[224:225], v[220:221]
	v_fma_f64 v[212:213], -v[212:213], v[222:223], v[224:225]
	s_delay_alu instid0(VALU_DEP_1) | instskip(NEXT) | instid1(VALU_DEP_1)
	v_div_fmas_f64 v[212:213], v[212:213], v[220:221], v[222:223]
	v_div_fixup_f64 v[220:221], v[212:213], v[216:217], v[218:219]
	s_delay_alu instid0(VALU_DEP_1) | instskip(NEXT) | instid1(VALU_DEP_1)
	v_fma_f64 v[212:213], v[218:219], v[220:221], v[216:217]
	v_div_scale_f64 v[216:217], null, v[212:213], v[212:213], 1.0
	s_delay_alu instid0(VALU_DEP_1) | instskip(SKIP_2) | instid1(VALU_DEP_1)
	v_rcp_f64_e32 v[218:219], v[216:217]
	s_waitcnt_depctr 0xfff
	v_fma_f64 v[222:223], -v[216:217], v[218:219], 1.0
	v_fma_f64 v[218:219], v[218:219], v[222:223], v[218:219]
	s_delay_alu instid0(VALU_DEP_1) | instskip(NEXT) | instid1(VALU_DEP_1)
	v_fma_f64 v[222:223], -v[216:217], v[218:219], 1.0
	v_fma_f64 v[218:219], v[218:219], v[222:223], v[218:219]
	v_div_scale_f64 v[222:223], vcc_lo, 1.0, v[212:213], 1.0
	s_delay_alu instid0(VALU_DEP_1) | instskip(NEXT) | instid1(VALU_DEP_1)
	v_mul_f64 v[224:225], v[222:223], v[218:219]
	v_fma_f64 v[216:217], -v[216:217], v[224:225], v[222:223]
	s_delay_alu instid0(VALU_DEP_1) | instskip(NEXT) | instid1(VALU_DEP_1)
	v_div_fmas_f64 v[216:217], v[216:217], v[218:219], v[224:225]
	v_div_fixup_f64 v[212:213], v[216:217], v[212:213], 1.0
	s_delay_alu instid0(VALU_DEP_1)
	v_mul_f64 v[222:223], v[220:221], -v[212:213]
.LBB107_439:
	s_or_b32 exec_lo, exec_lo, s3
	ds_store_2addr_b64 v204, v[212:213], v[222:223] offset1:1
.LBB107_440:
	s_or_b32 exec_lo, exec_lo, s4
	s_waitcnt lgkmcnt(0)
	s_barrier
	buffer_gl0_inv
	ds_load_2addr_b64 v[248:251], v204 offset1:1
	s_mov_b32 s3, exec_lo
	v_cmpx_lt_u32_e32 48, v215
	s_cbranch_execz .LBB107_442
; %bb.441:
	s_waitcnt lgkmcnt(0)
	v_mul_f64 v[212:213], v[248:249], v[22:23]
	v_mul_f64 v[22:23], v[250:251], v[22:23]
	ds_load_2addr_b64 v[216:219], v214 offset0:98 offset1:99
	v_fma_f64 v[212:213], v[250:251], v[20:21], v[212:213]
	v_fma_f64 v[20:21], v[248:249], v[20:21], -v[22:23]
	s_waitcnt lgkmcnt(0)
	s_delay_alu instid0(VALU_DEP_2) | instskip(NEXT) | instid1(VALU_DEP_1)
	v_mul_f64 v[22:23], v[218:219], v[212:213]
	v_fma_f64 v[22:23], v[216:217], v[20:21], -v[22:23]
	v_mul_f64 v[216:217], v[216:217], v[212:213]
	s_delay_alu instid0(VALU_DEP_2) | instskip(NEXT) | instid1(VALU_DEP_2)
	v_add_f64 v[16:17], v[16:17], -v[22:23]
	v_fma_f64 v[216:217], v[218:219], v[20:21], v[216:217]
	s_delay_alu instid0(VALU_DEP_1) | instskip(SKIP_3) | instid1(VALU_DEP_1)
	v_add_f64 v[18:19], v[18:19], -v[216:217]
	ds_load_2addr_b64 v[216:219], v214 offset0:100 offset1:101
	s_waitcnt lgkmcnt(0)
	v_mul_f64 v[22:23], v[218:219], v[212:213]
	v_fma_f64 v[22:23], v[216:217], v[20:21], -v[22:23]
	v_mul_f64 v[216:217], v[216:217], v[212:213]
	s_delay_alu instid0(VALU_DEP_2) | instskip(NEXT) | instid1(VALU_DEP_2)
	v_add_f64 v[12:13], v[12:13], -v[22:23]
	v_fma_f64 v[216:217], v[218:219], v[20:21], v[216:217]
	s_delay_alu instid0(VALU_DEP_1) | instskip(SKIP_3) | instid1(VALU_DEP_1)
	v_add_f64 v[14:15], v[14:15], -v[216:217]
	ds_load_2addr_b64 v[216:219], v214 offset0:102 offset1:103
	s_waitcnt lgkmcnt(0)
	;; [unrolled: 10-line block ×4, first 2 shown]
	v_mul_f64 v[22:23], v[218:219], v[212:213]
	v_fma_f64 v[22:23], v[216:217], v[20:21], -v[22:23]
	v_mul_f64 v[216:217], v[216:217], v[212:213]
	s_delay_alu instid0(VALU_DEP_2) | instskip(NEXT) | instid1(VALU_DEP_2)
	v_add_f64 v[0:1], v[0:1], -v[22:23]
	v_fma_f64 v[216:217], v[218:219], v[20:21], v[216:217]
	v_dual_mov_b32 v22, v212 :: v_dual_mov_b32 v23, v213
	s_delay_alu instid0(VALU_DEP_2)
	v_add_f64 v[2:3], v[2:3], -v[216:217]
.LBB107_442:
	s_or_b32 exec_lo, exec_lo, s3
	s_delay_alu instid0(SALU_CYCLE_1)
	s_mov_b32 s4, exec_lo
	s_waitcnt lgkmcnt(0)
	s_barrier
	buffer_gl0_inv
	v_cmpx_eq_u32_e32 49, v215
	s_cbranch_execz .LBB107_449
; %bb.443:
	ds_store_2addr_b64 v204, v[16:17], v[18:19] offset1:1
	ds_store_2addr_b64 v214, v[12:13], v[14:15] offset0:100 offset1:101
	ds_store_2addr_b64 v214, v[8:9], v[10:11] offset0:102 offset1:103
	;; [unrolled: 1-line block ×4, first 2 shown]
	ds_load_2addr_b64 v[216:219], v204 offset1:1
	s_waitcnt lgkmcnt(0)
	v_cmp_neq_f64_e32 vcc_lo, 0, v[216:217]
	v_cmp_neq_f64_e64 s3, 0, v[218:219]
	s_delay_alu instid0(VALU_DEP_1) | instskip(NEXT) | instid1(SALU_CYCLE_1)
	s_or_b32 s3, vcc_lo, s3
	s_and_b32 exec_lo, exec_lo, s3
	s_cbranch_execz .LBB107_449
; %bb.444:
	v_cmp_gt_f64_e32 vcc_lo, 0, v[216:217]
	v_xor_b32_e32 v208, 0x80000000, v217
	s_delay_alu instid0(VALU_DEP_1) | instskip(SKIP_3) | instid1(VALU_DEP_1)
	v_cndmask_b32_e32 v213, v217, v208, vcc_lo
	v_cndmask_b32_e32 v212, v216, v216, vcc_lo
	v_cmp_gt_f64_e32 vcc_lo, 0, v[218:219]
	v_xor_b32_e32 v208, 0x80000000, v219
	v_dual_cndmask_b32 v220, v218, v218 :: v_dual_cndmask_b32 v221, v219, v208
	s_delay_alu instid0(VALU_DEP_1) | instskip(SKIP_1) | instid1(SALU_CYCLE_1)
	v_cmp_ngt_f64_e32 vcc_lo, v[212:213], v[220:221]
                                        ; implicit-def: $vgpr212_vgpr213
	s_and_saveexec_b32 s3, vcc_lo
	s_xor_b32 s3, exec_lo, s3
                                        ; implicit-def: $vgpr220_vgpr221_vgpr222_vgpr223
	s_cbranch_execz .LBB107_446
; %bb.445:
	v_div_scale_f64 v[212:213], null, v[218:219], v[218:219], v[216:217]
	v_div_scale_f64 v[224:225], vcc_lo, v[216:217], v[218:219], v[216:217]
	s_delay_alu instid0(VALU_DEP_2) | instskip(SKIP_2) | instid1(VALU_DEP_1)
	v_rcp_f64_e32 v[220:221], v[212:213]
	s_waitcnt_depctr 0xfff
	v_fma_f64 v[222:223], -v[212:213], v[220:221], 1.0
	v_fma_f64 v[220:221], v[220:221], v[222:223], v[220:221]
	s_delay_alu instid0(VALU_DEP_1) | instskip(NEXT) | instid1(VALU_DEP_1)
	v_fma_f64 v[222:223], -v[212:213], v[220:221], 1.0
	v_fma_f64 v[220:221], v[220:221], v[222:223], v[220:221]
	s_delay_alu instid0(VALU_DEP_1) | instskip(NEXT) | instid1(VALU_DEP_1)
	v_mul_f64 v[222:223], v[224:225], v[220:221]
	v_fma_f64 v[212:213], -v[212:213], v[222:223], v[224:225]
	s_delay_alu instid0(VALU_DEP_1) | instskip(NEXT) | instid1(VALU_DEP_1)
	v_div_fmas_f64 v[212:213], v[212:213], v[220:221], v[222:223]
	v_div_fixup_f64 v[212:213], v[212:213], v[218:219], v[216:217]
	s_delay_alu instid0(VALU_DEP_1) | instskip(NEXT) | instid1(VALU_DEP_1)
	v_fma_f64 v[216:217], v[216:217], v[212:213], v[218:219]
	v_div_scale_f64 v[218:219], null, v[216:217], v[216:217], 1.0
	s_delay_alu instid0(VALU_DEP_1) | instskip(SKIP_2) | instid1(VALU_DEP_1)
	v_rcp_f64_e32 v[220:221], v[218:219]
	s_waitcnt_depctr 0xfff
	v_fma_f64 v[222:223], -v[218:219], v[220:221], 1.0
	v_fma_f64 v[220:221], v[220:221], v[222:223], v[220:221]
	s_delay_alu instid0(VALU_DEP_1) | instskip(NEXT) | instid1(VALU_DEP_1)
	v_fma_f64 v[222:223], -v[218:219], v[220:221], 1.0
	v_fma_f64 v[220:221], v[220:221], v[222:223], v[220:221]
	v_div_scale_f64 v[222:223], vcc_lo, 1.0, v[216:217], 1.0
	s_delay_alu instid0(VALU_DEP_1) | instskip(NEXT) | instid1(VALU_DEP_1)
	v_mul_f64 v[224:225], v[222:223], v[220:221]
	v_fma_f64 v[218:219], -v[218:219], v[224:225], v[222:223]
	s_delay_alu instid0(VALU_DEP_1) | instskip(NEXT) | instid1(VALU_DEP_1)
	v_div_fmas_f64 v[218:219], v[218:219], v[220:221], v[224:225]
	v_div_fixup_f64 v[222:223], v[218:219], v[216:217], 1.0
                                        ; implicit-def: $vgpr216_vgpr217
	s_delay_alu instid0(VALU_DEP_1)
	v_mul_f64 v[212:213], v[212:213], v[222:223]
	v_xor_b32_e32 v223, 0x80000000, v223
.LBB107_446:
	s_and_not1_saveexec_b32 s3, s3
	s_cbranch_execz .LBB107_448
; %bb.447:
	v_div_scale_f64 v[212:213], null, v[216:217], v[216:217], v[218:219]
	v_div_scale_f64 v[224:225], vcc_lo, v[218:219], v[216:217], v[218:219]
	s_delay_alu instid0(VALU_DEP_2) | instskip(SKIP_2) | instid1(VALU_DEP_1)
	v_rcp_f64_e32 v[220:221], v[212:213]
	s_waitcnt_depctr 0xfff
	v_fma_f64 v[222:223], -v[212:213], v[220:221], 1.0
	v_fma_f64 v[220:221], v[220:221], v[222:223], v[220:221]
	s_delay_alu instid0(VALU_DEP_1) | instskip(NEXT) | instid1(VALU_DEP_1)
	v_fma_f64 v[222:223], -v[212:213], v[220:221], 1.0
	v_fma_f64 v[220:221], v[220:221], v[222:223], v[220:221]
	s_delay_alu instid0(VALU_DEP_1) | instskip(NEXT) | instid1(VALU_DEP_1)
	v_mul_f64 v[222:223], v[224:225], v[220:221]
	v_fma_f64 v[212:213], -v[212:213], v[222:223], v[224:225]
	s_delay_alu instid0(VALU_DEP_1) | instskip(NEXT) | instid1(VALU_DEP_1)
	v_div_fmas_f64 v[212:213], v[212:213], v[220:221], v[222:223]
	v_div_fixup_f64 v[220:221], v[212:213], v[216:217], v[218:219]
	s_delay_alu instid0(VALU_DEP_1) | instskip(NEXT) | instid1(VALU_DEP_1)
	v_fma_f64 v[212:213], v[218:219], v[220:221], v[216:217]
	v_div_scale_f64 v[216:217], null, v[212:213], v[212:213], 1.0
	s_delay_alu instid0(VALU_DEP_1) | instskip(SKIP_2) | instid1(VALU_DEP_1)
	v_rcp_f64_e32 v[218:219], v[216:217]
	s_waitcnt_depctr 0xfff
	v_fma_f64 v[222:223], -v[216:217], v[218:219], 1.0
	v_fma_f64 v[218:219], v[218:219], v[222:223], v[218:219]
	s_delay_alu instid0(VALU_DEP_1) | instskip(NEXT) | instid1(VALU_DEP_1)
	v_fma_f64 v[222:223], -v[216:217], v[218:219], 1.0
	v_fma_f64 v[218:219], v[218:219], v[222:223], v[218:219]
	v_div_scale_f64 v[222:223], vcc_lo, 1.0, v[212:213], 1.0
	s_delay_alu instid0(VALU_DEP_1) | instskip(NEXT) | instid1(VALU_DEP_1)
	v_mul_f64 v[224:225], v[222:223], v[218:219]
	v_fma_f64 v[216:217], -v[216:217], v[224:225], v[222:223]
	s_delay_alu instid0(VALU_DEP_1) | instskip(NEXT) | instid1(VALU_DEP_1)
	v_div_fmas_f64 v[216:217], v[216:217], v[218:219], v[224:225]
	v_div_fixup_f64 v[212:213], v[216:217], v[212:213], 1.0
	s_delay_alu instid0(VALU_DEP_1)
	v_mul_f64 v[222:223], v[220:221], -v[212:213]
.LBB107_448:
	s_or_b32 exec_lo, exec_lo, s3
	ds_store_2addr_b64 v204, v[212:213], v[222:223] offset1:1
.LBB107_449:
	s_or_b32 exec_lo, exec_lo, s4
	s_waitcnt lgkmcnt(0)
	s_barrier
	buffer_gl0_inv
	ds_load_2addr_b64 v[252:255], v204 offset1:1
	s_mov_b32 s3, exec_lo
	v_cmpx_lt_u32_e32 49, v215
	s_cbranch_execz .LBB107_451
; %bb.450:
	s_waitcnt lgkmcnt(0)
	v_mul_f64 v[212:213], v[252:253], v[18:19]
	v_mul_f64 v[18:19], v[254:255], v[18:19]
	ds_load_2addr_b64 v[216:219], v214 offset0:100 offset1:101
	v_fma_f64 v[212:213], v[254:255], v[16:17], v[212:213]
	v_fma_f64 v[16:17], v[252:253], v[16:17], -v[18:19]
	s_waitcnt lgkmcnt(0)
	s_delay_alu instid0(VALU_DEP_2) | instskip(NEXT) | instid1(VALU_DEP_1)
	v_mul_f64 v[18:19], v[218:219], v[212:213]
	v_fma_f64 v[18:19], v[216:217], v[16:17], -v[18:19]
	v_mul_f64 v[216:217], v[216:217], v[212:213]
	s_delay_alu instid0(VALU_DEP_2) | instskip(NEXT) | instid1(VALU_DEP_2)
	v_add_f64 v[12:13], v[12:13], -v[18:19]
	v_fma_f64 v[216:217], v[218:219], v[16:17], v[216:217]
	s_delay_alu instid0(VALU_DEP_1) | instskip(SKIP_3) | instid1(VALU_DEP_1)
	v_add_f64 v[14:15], v[14:15], -v[216:217]
	ds_load_2addr_b64 v[216:219], v214 offset0:102 offset1:103
	s_waitcnt lgkmcnt(0)
	v_mul_f64 v[18:19], v[218:219], v[212:213]
	v_fma_f64 v[18:19], v[216:217], v[16:17], -v[18:19]
	v_mul_f64 v[216:217], v[216:217], v[212:213]
	s_delay_alu instid0(VALU_DEP_2) | instskip(NEXT) | instid1(VALU_DEP_2)
	v_add_f64 v[8:9], v[8:9], -v[18:19]
	v_fma_f64 v[216:217], v[218:219], v[16:17], v[216:217]
	s_delay_alu instid0(VALU_DEP_1) | instskip(SKIP_3) | instid1(VALU_DEP_1)
	v_add_f64 v[10:11], v[10:11], -v[216:217]
	ds_load_2addr_b64 v[216:219], v214 offset0:104 offset1:105
	s_waitcnt lgkmcnt(0)
	;; [unrolled: 10-line block ×3, first 2 shown]
	v_mul_f64 v[18:19], v[218:219], v[212:213]
	v_fma_f64 v[18:19], v[216:217], v[16:17], -v[18:19]
	v_mul_f64 v[216:217], v[216:217], v[212:213]
	s_delay_alu instid0(VALU_DEP_2) | instskip(NEXT) | instid1(VALU_DEP_2)
	v_add_f64 v[0:1], v[0:1], -v[18:19]
	v_fma_f64 v[216:217], v[218:219], v[16:17], v[216:217]
	v_dual_mov_b32 v18, v212 :: v_dual_mov_b32 v19, v213
	s_delay_alu instid0(VALU_DEP_2)
	v_add_f64 v[2:3], v[2:3], -v[216:217]
.LBB107_451:
	s_or_b32 exec_lo, exec_lo, s3
	s_delay_alu instid0(SALU_CYCLE_1)
	s_mov_b32 s4, exec_lo
	s_waitcnt lgkmcnt(0)
	s_barrier
	buffer_gl0_inv
	v_cmpx_eq_u32_e32 50, v215
	s_cbranch_execz .LBB107_458
; %bb.452:
	ds_store_2addr_b64 v204, v[12:13], v[14:15] offset1:1
	ds_store_2addr_b64 v214, v[8:9], v[10:11] offset0:102 offset1:103
	ds_store_2addr_b64 v214, v[4:5], v[6:7] offset0:104 offset1:105
	;; [unrolled: 1-line block ×3, first 2 shown]
	ds_load_2addr_b64 v[216:219], v204 offset1:1
	s_waitcnt lgkmcnt(0)
	v_cmp_neq_f64_e32 vcc_lo, 0, v[216:217]
	v_cmp_neq_f64_e64 s3, 0, v[218:219]
	s_delay_alu instid0(VALU_DEP_1) | instskip(NEXT) | instid1(SALU_CYCLE_1)
	s_or_b32 s3, vcc_lo, s3
	s_and_b32 exec_lo, exec_lo, s3
	s_cbranch_execz .LBB107_458
; %bb.453:
	v_cmp_gt_f64_e32 vcc_lo, 0, v[216:217]
	v_xor_b32_e32 v208, 0x80000000, v217
	s_delay_alu instid0(VALU_DEP_1) | instskip(SKIP_3) | instid1(VALU_DEP_1)
	v_cndmask_b32_e32 v213, v217, v208, vcc_lo
	v_cndmask_b32_e32 v212, v216, v216, vcc_lo
	v_cmp_gt_f64_e32 vcc_lo, 0, v[218:219]
	v_xor_b32_e32 v208, 0x80000000, v219
	v_dual_cndmask_b32 v220, v218, v218 :: v_dual_cndmask_b32 v221, v219, v208
	s_delay_alu instid0(VALU_DEP_1) | instskip(SKIP_1) | instid1(SALU_CYCLE_1)
	v_cmp_ngt_f64_e32 vcc_lo, v[212:213], v[220:221]
                                        ; implicit-def: $vgpr212_vgpr213
	s_and_saveexec_b32 s3, vcc_lo
	s_xor_b32 s3, exec_lo, s3
                                        ; implicit-def: $vgpr220_vgpr221_vgpr222_vgpr223
	s_cbranch_execz .LBB107_455
; %bb.454:
	v_div_scale_f64 v[212:213], null, v[218:219], v[218:219], v[216:217]
	v_div_scale_f64 v[224:225], vcc_lo, v[216:217], v[218:219], v[216:217]
	s_delay_alu instid0(VALU_DEP_2) | instskip(SKIP_2) | instid1(VALU_DEP_1)
	v_rcp_f64_e32 v[220:221], v[212:213]
	s_waitcnt_depctr 0xfff
	v_fma_f64 v[222:223], -v[212:213], v[220:221], 1.0
	v_fma_f64 v[220:221], v[220:221], v[222:223], v[220:221]
	s_delay_alu instid0(VALU_DEP_1) | instskip(NEXT) | instid1(VALU_DEP_1)
	v_fma_f64 v[222:223], -v[212:213], v[220:221], 1.0
	v_fma_f64 v[220:221], v[220:221], v[222:223], v[220:221]
	s_delay_alu instid0(VALU_DEP_1) | instskip(NEXT) | instid1(VALU_DEP_1)
	v_mul_f64 v[222:223], v[224:225], v[220:221]
	v_fma_f64 v[212:213], -v[212:213], v[222:223], v[224:225]
	s_delay_alu instid0(VALU_DEP_1) | instskip(NEXT) | instid1(VALU_DEP_1)
	v_div_fmas_f64 v[212:213], v[212:213], v[220:221], v[222:223]
	v_div_fixup_f64 v[212:213], v[212:213], v[218:219], v[216:217]
	s_delay_alu instid0(VALU_DEP_1) | instskip(NEXT) | instid1(VALU_DEP_1)
	v_fma_f64 v[216:217], v[216:217], v[212:213], v[218:219]
	v_div_scale_f64 v[218:219], null, v[216:217], v[216:217], 1.0
	s_delay_alu instid0(VALU_DEP_1) | instskip(SKIP_2) | instid1(VALU_DEP_1)
	v_rcp_f64_e32 v[220:221], v[218:219]
	s_waitcnt_depctr 0xfff
	v_fma_f64 v[222:223], -v[218:219], v[220:221], 1.0
	v_fma_f64 v[220:221], v[220:221], v[222:223], v[220:221]
	s_delay_alu instid0(VALU_DEP_1) | instskip(NEXT) | instid1(VALU_DEP_1)
	v_fma_f64 v[222:223], -v[218:219], v[220:221], 1.0
	v_fma_f64 v[220:221], v[220:221], v[222:223], v[220:221]
	v_div_scale_f64 v[222:223], vcc_lo, 1.0, v[216:217], 1.0
	s_delay_alu instid0(VALU_DEP_1) | instskip(NEXT) | instid1(VALU_DEP_1)
	v_mul_f64 v[224:225], v[222:223], v[220:221]
	v_fma_f64 v[218:219], -v[218:219], v[224:225], v[222:223]
	s_delay_alu instid0(VALU_DEP_1) | instskip(NEXT) | instid1(VALU_DEP_1)
	v_div_fmas_f64 v[218:219], v[218:219], v[220:221], v[224:225]
	v_div_fixup_f64 v[222:223], v[218:219], v[216:217], 1.0
                                        ; implicit-def: $vgpr216_vgpr217
	s_delay_alu instid0(VALU_DEP_1)
	v_mul_f64 v[212:213], v[212:213], v[222:223]
	v_xor_b32_e32 v223, 0x80000000, v223
.LBB107_455:
	s_and_not1_saveexec_b32 s3, s3
	s_cbranch_execz .LBB107_457
; %bb.456:
	v_div_scale_f64 v[212:213], null, v[216:217], v[216:217], v[218:219]
	v_div_scale_f64 v[224:225], vcc_lo, v[218:219], v[216:217], v[218:219]
	s_delay_alu instid0(VALU_DEP_2) | instskip(SKIP_2) | instid1(VALU_DEP_1)
	v_rcp_f64_e32 v[220:221], v[212:213]
	s_waitcnt_depctr 0xfff
	v_fma_f64 v[222:223], -v[212:213], v[220:221], 1.0
	v_fma_f64 v[220:221], v[220:221], v[222:223], v[220:221]
	s_delay_alu instid0(VALU_DEP_1) | instskip(NEXT) | instid1(VALU_DEP_1)
	v_fma_f64 v[222:223], -v[212:213], v[220:221], 1.0
	v_fma_f64 v[220:221], v[220:221], v[222:223], v[220:221]
	s_delay_alu instid0(VALU_DEP_1) | instskip(NEXT) | instid1(VALU_DEP_1)
	v_mul_f64 v[222:223], v[224:225], v[220:221]
	v_fma_f64 v[212:213], -v[212:213], v[222:223], v[224:225]
	s_delay_alu instid0(VALU_DEP_1) | instskip(NEXT) | instid1(VALU_DEP_1)
	v_div_fmas_f64 v[212:213], v[212:213], v[220:221], v[222:223]
	v_div_fixup_f64 v[220:221], v[212:213], v[216:217], v[218:219]
	s_delay_alu instid0(VALU_DEP_1) | instskip(NEXT) | instid1(VALU_DEP_1)
	v_fma_f64 v[212:213], v[218:219], v[220:221], v[216:217]
	v_div_scale_f64 v[216:217], null, v[212:213], v[212:213], 1.0
	s_delay_alu instid0(VALU_DEP_1) | instskip(SKIP_2) | instid1(VALU_DEP_1)
	v_rcp_f64_e32 v[218:219], v[216:217]
	s_waitcnt_depctr 0xfff
	v_fma_f64 v[222:223], -v[216:217], v[218:219], 1.0
	v_fma_f64 v[218:219], v[218:219], v[222:223], v[218:219]
	s_delay_alu instid0(VALU_DEP_1) | instskip(NEXT) | instid1(VALU_DEP_1)
	v_fma_f64 v[222:223], -v[216:217], v[218:219], 1.0
	v_fma_f64 v[218:219], v[218:219], v[222:223], v[218:219]
	v_div_scale_f64 v[222:223], vcc_lo, 1.0, v[212:213], 1.0
	s_delay_alu instid0(VALU_DEP_1) | instskip(NEXT) | instid1(VALU_DEP_1)
	v_mul_f64 v[224:225], v[222:223], v[218:219]
	v_fma_f64 v[216:217], -v[216:217], v[224:225], v[222:223]
	s_delay_alu instid0(VALU_DEP_1) | instskip(NEXT) | instid1(VALU_DEP_1)
	v_div_fmas_f64 v[216:217], v[216:217], v[218:219], v[224:225]
	v_div_fixup_f64 v[212:213], v[216:217], v[212:213], 1.0
	s_delay_alu instid0(VALU_DEP_1)
	v_mul_f64 v[222:223], v[220:221], -v[212:213]
.LBB107_457:
	s_or_b32 exec_lo, exec_lo, s3
	ds_store_2addr_b64 v204, v[212:213], v[222:223] offset1:1
.LBB107_458:
	s_or_b32 exec_lo, exec_lo, s4
	s_waitcnt lgkmcnt(0)
	s_barrier
	buffer_gl0_inv
	ds_load_2addr_b64 v[216:219], v204 offset1:1
	s_mov_b32 s3, exec_lo
	v_cmpx_lt_u32_e32 50, v215
	s_cbranch_execz .LBB107_460
; %bb.459:
	s_waitcnt lgkmcnt(0)
	v_mul_f64 v[212:213], v[216:217], v[14:15]
	v_mul_f64 v[14:15], v[218:219], v[14:15]
	ds_load_2addr_b64 v[220:223], v214 offset0:102 offset1:103
	v_fma_f64 v[212:213], v[218:219], v[12:13], v[212:213]
	v_fma_f64 v[12:13], v[216:217], v[12:13], -v[14:15]
	s_waitcnt lgkmcnt(0)
	s_delay_alu instid0(VALU_DEP_2) | instskip(NEXT) | instid1(VALU_DEP_1)
	v_mul_f64 v[14:15], v[222:223], v[212:213]
	v_fma_f64 v[14:15], v[220:221], v[12:13], -v[14:15]
	v_mul_f64 v[220:221], v[220:221], v[212:213]
	s_delay_alu instid0(VALU_DEP_2) | instskip(NEXT) | instid1(VALU_DEP_2)
	v_add_f64 v[8:9], v[8:9], -v[14:15]
	v_fma_f64 v[220:221], v[222:223], v[12:13], v[220:221]
	s_delay_alu instid0(VALU_DEP_1) | instskip(SKIP_3) | instid1(VALU_DEP_1)
	v_add_f64 v[10:11], v[10:11], -v[220:221]
	ds_load_2addr_b64 v[220:223], v214 offset0:104 offset1:105
	s_waitcnt lgkmcnt(0)
	v_mul_f64 v[14:15], v[222:223], v[212:213]
	v_fma_f64 v[14:15], v[220:221], v[12:13], -v[14:15]
	v_mul_f64 v[220:221], v[220:221], v[212:213]
	s_delay_alu instid0(VALU_DEP_2) | instskip(NEXT) | instid1(VALU_DEP_2)
	v_add_f64 v[4:5], v[4:5], -v[14:15]
	v_fma_f64 v[220:221], v[222:223], v[12:13], v[220:221]
	s_delay_alu instid0(VALU_DEP_1) | instskip(SKIP_3) | instid1(VALU_DEP_1)
	v_add_f64 v[6:7], v[6:7], -v[220:221]
	ds_load_2addr_b64 v[220:223], v214 offset0:106 offset1:107
	s_waitcnt lgkmcnt(0)
	v_mul_f64 v[14:15], v[222:223], v[212:213]
	v_fma_f64 v[14:15], v[220:221], v[12:13], -v[14:15]
	v_mul_f64 v[220:221], v[220:221], v[212:213]
	s_delay_alu instid0(VALU_DEP_2) | instskip(NEXT) | instid1(VALU_DEP_2)
	v_add_f64 v[0:1], v[0:1], -v[14:15]
	v_fma_f64 v[220:221], v[222:223], v[12:13], v[220:221]
	v_dual_mov_b32 v14, v212 :: v_dual_mov_b32 v15, v213
	s_delay_alu instid0(VALU_DEP_2)
	v_add_f64 v[2:3], v[2:3], -v[220:221]
.LBB107_460:
	s_or_b32 exec_lo, exec_lo, s3
	s_delay_alu instid0(SALU_CYCLE_1)
	s_mov_b32 s4, exec_lo
	s_waitcnt lgkmcnt(0)
	s_barrier
	buffer_gl0_inv
	v_cmpx_eq_u32_e32 51, v215
	s_cbranch_execz .LBB107_467
; %bb.461:
	ds_store_2addr_b64 v204, v[8:9], v[10:11] offset1:1
	ds_store_2addr_b64 v214, v[4:5], v[6:7] offset0:104 offset1:105
	ds_store_2addr_b64 v214, v[0:1], v[2:3] offset0:106 offset1:107
	ds_load_2addr_b64 v[220:223], v204 offset1:1
	s_waitcnt lgkmcnt(0)
	v_cmp_neq_f64_e32 vcc_lo, 0, v[220:221]
	v_cmp_neq_f64_e64 s3, 0, v[222:223]
	s_delay_alu instid0(VALU_DEP_1) | instskip(NEXT) | instid1(SALU_CYCLE_1)
	s_or_b32 s3, vcc_lo, s3
	s_and_b32 exec_lo, exec_lo, s3
	s_cbranch_execz .LBB107_467
; %bb.462:
	v_cmp_gt_f64_e32 vcc_lo, 0, v[220:221]
	v_xor_b32_e32 v208, 0x80000000, v221
	s_delay_alu instid0(VALU_DEP_1) | instskip(SKIP_3) | instid1(VALU_DEP_1)
	v_cndmask_b32_e32 v213, v221, v208, vcc_lo
	v_cndmask_b32_e32 v212, v220, v220, vcc_lo
	v_cmp_gt_f64_e32 vcc_lo, 0, v[222:223]
	v_xor_b32_e32 v208, 0x80000000, v223
	v_dual_cndmask_b32 v224, v222, v222 :: v_dual_cndmask_b32 v225, v223, v208
	s_delay_alu instid0(VALU_DEP_1) | instskip(SKIP_1) | instid1(SALU_CYCLE_1)
	v_cmp_ngt_f64_e32 vcc_lo, v[212:213], v[224:225]
                                        ; implicit-def: $vgpr212_vgpr213
	s_and_saveexec_b32 s3, vcc_lo
	s_xor_b32 s3, exec_lo, s3
                                        ; implicit-def: $vgpr224_vgpr225_vgpr226_vgpr227
	s_cbranch_execz .LBB107_464
; %bb.463:
	v_div_scale_f64 v[212:213], null, v[222:223], v[222:223], v[220:221]
	v_div_scale_f64 v[228:229], vcc_lo, v[220:221], v[222:223], v[220:221]
	s_delay_alu instid0(VALU_DEP_2) | instskip(SKIP_2) | instid1(VALU_DEP_1)
	v_rcp_f64_e32 v[224:225], v[212:213]
	s_waitcnt_depctr 0xfff
	v_fma_f64 v[226:227], -v[212:213], v[224:225], 1.0
	v_fma_f64 v[224:225], v[224:225], v[226:227], v[224:225]
	s_delay_alu instid0(VALU_DEP_1) | instskip(NEXT) | instid1(VALU_DEP_1)
	v_fma_f64 v[226:227], -v[212:213], v[224:225], 1.0
	v_fma_f64 v[224:225], v[224:225], v[226:227], v[224:225]
	s_delay_alu instid0(VALU_DEP_1) | instskip(NEXT) | instid1(VALU_DEP_1)
	v_mul_f64 v[226:227], v[228:229], v[224:225]
	v_fma_f64 v[212:213], -v[212:213], v[226:227], v[228:229]
	s_delay_alu instid0(VALU_DEP_1) | instskip(NEXT) | instid1(VALU_DEP_1)
	v_div_fmas_f64 v[212:213], v[212:213], v[224:225], v[226:227]
	v_div_fixup_f64 v[212:213], v[212:213], v[222:223], v[220:221]
	s_delay_alu instid0(VALU_DEP_1) | instskip(NEXT) | instid1(VALU_DEP_1)
	v_fma_f64 v[220:221], v[220:221], v[212:213], v[222:223]
	v_div_scale_f64 v[222:223], null, v[220:221], v[220:221], 1.0
	s_delay_alu instid0(VALU_DEP_1) | instskip(SKIP_2) | instid1(VALU_DEP_1)
	v_rcp_f64_e32 v[224:225], v[222:223]
	s_waitcnt_depctr 0xfff
	v_fma_f64 v[226:227], -v[222:223], v[224:225], 1.0
	v_fma_f64 v[224:225], v[224:225], v[226:227], v[224:225]
	s_delay_alu instid0(VALU_DEP_1) | instskip(NEXT) | instid1(VALU_DEP_1)
	v_fma_f64 v[226:227], -v[222:223], v[224:225], 1.0
	v_fma_f64 v[224:225], v[224:225], v[226:227], v[224:225]
	v_div_scale_f64 v[226:227], vcc_lo, 1.0, v[220:221], 1.0
	s_delay_alu instid0(VALU_DEP_1) | instskip(NEXT) | instid1(VALU_DEP_1)
	v_mul_f64 v[228:229], v[226:227], v[224:225]
	v_fma_f64 v[222:223], -v[222:223], v[228:229], v[226:227]
	s_delay_alu instid0(VALU_DEP_1) | instskip(NEXT) | instid1(VALU_DEP_1)
	v_div_fmas_f64 v[222:223], v[222:223], v[224:225], v[228:229]
	v_div_fixup_f64 v[226:227], v[222:223], v[220:221], 1.0
                                        ; implicit-def: $vgpr220_vgpr221
	s_delay_alu instid0(VALU_DEP_1)
	v_mul_f64 v[212:213], v[212:213], v[226:227]
	v_xor_b32_e32 v227, 0x80000000, v227
.LBB107_464:
	s_and_not1_saveexec_b32 s3, s3
	s_cbranch_execz .LBB107_466
; %bb.465:
	v_div_scale_f64 v[212:213], null, v[220:221], v[220:221], v[222:223]
	v_div_scale_f64 v[228:229], vcc_lo, v[222:223], v[220:221], v[222:223]
	s_delay_alu instid0(VALU_DEP_2) | instskip(SKIP_2) | instid1(VALU_DEP_1)
	v_rcp_f64_e32 v[224:225], v[212:213]
	s_waitcnt_depctr 0xfff
	v_fma_f64 v[226:227], -v[212:213], v[224:225], 1.0
	v_fma_f64 v[224:225], v[224:225], v[226:227], v[224:225]
	s_delay_alu instid0(VALU_DEP_1) | instskip(NEXT) | instid1(VALU_DEP_1)
	v_fma_f64 v[226:227], -v[212:213], v[224:225], 1.0
	v_fma_f64 v[224:225], v[224:225], v[226:227], v[224:225]
	s_delay_alu instid0(VALU_DEP_1) | instskip(NEXT) | instid1(VALU_DEP_1)
	v_mul_f64 v[226:227], v[228:229], v[224:225]
	v_fma_f64 v[212:213], -v[212:213], v[226:227], v[228:229]
	s_delay_alu instid0(VALU_DEP_1) | instskip(NEXT) | instid1(VALU_DEP_1)
	v_div_fmas_f64 v[212:213], v[212:213], v[224:225], v[226:227]
	v_div_fixup_f64 v[224:225], v[212:213], v[220:221], v[222:223]
	s_delay_alu instid0(VALU_DEP_1) | instskip(NEXT) | instid1(VALU_DEP_1)
	v_fma_f64 v[212:213], v[222:223], v[224:225], v[220:221]
	v_div_scale_f64 v[220:221], null, v[212:213], v[212:213], 1.0
	s_delay_alu instid0(VALU_DEP_1) | instskip(SKIP_2) | instid1(VALU_DEP_1)
	v_rcp_f64_e32 v[222:223], v[220:221]
	s_waitcnt_depctr 0xfff
	v_fma_f64 v[226:227], -v[220:221], v[222:223], 1.0
	v_fma_f64 v[222:223], v[222:223], v[226:227], v[222:223]
	s_delay_alu instid0(VALU_DEP_1) | instskip(NEXT) | instid1(VALU_DEP_1)
	v_fma_f64 v[226:227], -v[220:221], v[222:223], 1.0
	v_fma_f64 v[222:223], v[222:223], v[226:227], v[222:223]
	v_div_scale_f64 v[226:227], vcc_lo, 1.0, v[212:213], 1.0
	s_delay_alu instid0(VALU_DEP_1) | instskip(NEXT) | instid1(VALU_DEP_1)
	v_mul_f64 v[228:229], v[226:227], v[222:223]
	v_fma_f64 v[220:221], -v[220:221], v[228:229], v[226:227]
	s_delay_alu instid0(VALU_DEP_1) | instskip(NEXT) | instid1(VALU_DEP_1)
	v_div_fmas_f64 v[220:221], v[220:221], v[222:223], v[228:229]
	v_div_fixup_f64 v[212:213], v[220:221], v[212:213], 1.0
	s_delay_alu instid0(VALU_DEP_1)
	v_mul_f64 v[226:227], v[224:225], -v[212:213]
.LBB107_466:
	s_or_b32 exec_lo, exec_lo, s3
	ds_store_2addr_b64 v204, v[212:213], v[226:227] offset1:1
.LBB107_467:
	s_or_b32 exec_lo, exec_lo, s4
	s_waitcnt lgkmcnt(0)
	s_barrier
	buffer_gl0_inv
	ds_load_2addr_b64 v[220:223], v204 offset1:1
	s_mov_b32 s3, exec_lo
	v_cmpx_lt_u32_e32 51, v215
	s_cbranch_execz .LBB107_469
; %bb.468:
	s_waitcnt lgkmcnt(0)
	v_mul_f64 v[212:213], v[220:221], v[10:11]
	v_mul_f64 v[10:11], v[222:223], v[10:11]
	ds_load_2addr_b64 v[224:227], v214 offset0:104 offset1:105
	v_fma_f64 v[212:213], v[222:223], v[8:9], v[212:213]
	v_fma_f64 v[8:9], v[220:221], v[8:9], -v[10:11]
	s_waitcnt lgkmcnt(0)
	s_delay_alu instid0(VALU_DEP_2) | instskip(NEXT) | instid1(VALU_DEP_1)
	v_mul_f64 v[10:11], v[226:227], v[212:213]
	v_fma_f64 v[10:11], v[224:225], v[8:9], -v[10:11]
	v_mul_f64 v[224:225], v[224:225], v[212:213]
	s_delay_alu instid0(VALU_DEP_2) | instskip(NEXT) | instid1(VALU_DEP_2)
	v_add_f64 v[4:5], v[4:5], -v[10:11]
	v_fma_f64 v[224:225], v[226:227], v[8:9], v[224:225]
	s_delay_alu instid0(VALU_DEP_1) | instskip(SKIP_3) | instid1(VALU_DEP_1)
	v_add_f64 v[6:7], v[6:7], -v[224:225]
	ds_load_2addr_b64 v[224:227], v214 offset0:106 offset1:107
	s_waitcnt lgkmcnt(0)
	v_mul_f64 v[10:11], v[226:227], v[212:213]
	v_fma_f64 v[10:11], v[224:225], v[8:9], -v[10:11]
	v_mul_f64 v[224:225], v[224:225], v[212:213]
	s_delay_alu instid0(VALU_DEP_2) | instskip(NEXT) | instid1(VALU_DEP_2)
	v_add_f64 v[0:1], v[0:1], -v[10:11]
	v_fma_f64 v[224:225], v[226:227], v[8:9], v[224:225]
	v_dual_mov_b32 v10, v212 :: v_dual_mov_b32 v11, v213
	s_delay_alu instid0(VALU_DEP_2)
	v_add_f64 v[2:3], v[2:3], -v[224:225]
.LBB107_469:
	s_or_b32 exec_lo, exec_lo, s3
	s_delay_alu instid0(SALU_CYCLE_1)
	s_mov_b32 s4, exec_lo
	s_waitcnt lgkmcnt(0)
	s_barrier
	buffer_gl0_inv
	v_cmpx_eq_u32_e32 52, v215
	s_cbranch_execz .LBB107_476
; %bb.470:
	ds_store_2addr_b64 v204, v[4:5], v[6:7] offset1:1
	ds_store_2addr_b64 v214, v[0:1], v[2:3] offset0:106 offset1:107
	ds_load_2addr_b64 v[224:227], v204 offset1:1
	s_waitcnt lgkmcnt(0)
	v_cmp_neq_f64_e32 vcc_lo, 0, v[224:225]
	v_cmp_neq_f64_e64 s3, 0, v[226:227]
	s_delay_alu instid0(VALU_DEP_1) | instskip(NEXT) | instid1(SALU_CYCLE_1)
	s_or_b32 s3, vcc_lo, s3
	s_and_b32 exec_lo, exec_lo, s3
	s_cbranch_execz .LBB107_476
; %bb.471:
	v_cmp_gt_f64_e32 vcc_lo, 0, v[224:225]
	v_xor_b32_e32 v208, 0x80000000, v225
	s_delay_alu instid0(VALU_DEP_1) | instskip(SKIP_3) | instid1(VALU_DEP_1)
	v_cndmask_b32_e32 v213, v225, v208, vcc_lo
	v_cndmask_b32_e32 v212, v224, v224, vcc_lo
	v_cmp_gt_f64_e32 vcc_lo, 0, v[226:227]
	v_xor_b32_e32 v208, 0x80000000, v227
	v_dual_cndmask_b32 v228, v226, v226 :: v_dual_cndmask_b32 v229, v227, v208
	s_delay_alu instid0(VALU_DEP_1) | instskip(SKIP_1) | instid1(SALU_CYCLE_1)
	v_cmp_ngt_f64_e32 vcc_lo, v[212:213], v[228:229]
                                        ; implicit-def: $vgpr212_vgpr213
	s_and_saveexec_b32 s3, vcc_lo
	s_xor_b32 s3, exec_lo, s3
                                        ; implicit-def: $vgpr228_vgpr229_vgpr230_vgpr231
	s_cbranch_execz .LBB107_473
; %bb.472:
	v_div_scale_f64 v[212:213], null, v[226:227], v[226:227], v[224:225]
	v_div_scale_f64 v[208:209], vcc_lo, v[224:225], v[226:227], v[224:225]
	s_delay_alu instid0(VALU_DEP_2) | instskip(SKIP_2) | instid1(VALU_DEP_1)
	v_rcp_f64_e32 v[228:229], v[212:213]
	s_waitcnt_depctr 0xfff
	v_fma_f64 v[230:231], -v[212:213], v[228:229], 1.0
	v_fma_f64 v[228:229], v[228:229], v[230:231], v[228:229]
	s_delay_alu instid0(VALU_DEP_1) | instskip(NEXT) | instid1(VALU_DEP_1)
	v_fma_f64 v[230:231], -v[212:213], v[228:229], 1.0
	v_fma_f64 v[210:211], v[228:229], v[230:231], v[228:229]
	s_delay_alu instid0(VALU_DEP_1) | instskip(NEXT) | instid1(VALU_DEP_1)
	v_mul_f64 v[228:229], v[208:209], v[210:211]
	v_fma_f64 v[208:209], -v[212:213], v[228:229], v[208:209]
	s_delay_alu instid0(VALU_DEP_1) | instskip(NEXT) | instid1(VALU_DEP_1)
	v_div_fmas_f64 v[208:209], v[208:209], v[210:211], v[228:229]
	v_div_fixup_f64 v[208:209], v[208:209], v[226:227], v[224:225]
	s_delay_alu instid0(VALU_DEP_1) | instskip(NEXT) | instid1(VALU_DEP_1)
	v_fma_f64 v[210:211], v[224:225], v[208:209], v[226:227]
	v_div_scale_f64 v[212:213], null, v[210:211], v[210:211], 1.0
	s_delay_alu instid0(VALU_DEP_1) | instskip(SKIP_2) | instid1(VALU_DEP_1)
	v_rcp_f64_e32 v[224:225], v[212:213]
	s_waitcnt_depctr 0xfff
	v_fma_f64 v[226:227], -v[212:213], v[224:225], 1.0
	v_fma_f64 v[224:225], v[224:225], v[226:227], v[224:225]
	s_delay_alu instid0(VALU_DEP_1) | instskip(NEXT) | instid1(VALU_DEP_1)
	v_fma_f64 v[226:227], -v[212:213], v[224:225], 1.0
	v_fma_f64 v[224:225], v[224:225], v[226:227], v[224:225]
	v_div_scale_f64 v[226:227], vcc_lo, 1.0, v[210:211], 1.0
	s_delay_alu instid0(VALU_DEP_1) | instskip(NEXT) | instid1(VALU_DEP_1)
	v_mul_f64 v[228:229], v[226:227], v[224:225]
	v_fma_f64 v[212:213], -v[212:213], v[228:229], v[226:227]
	s_delay_alu instid0(VALU_DEP_1) | instskip(NEXT) | instid1(VALU_DEP_1)
	v_div_fmas_f64 v[212:213], v[212:213], v[224:225], v[228:229]
                                        ; implicit-def: $vgpr224_vgpr225
	v_div_fixup_f64 v[230:231], v[212:213], v[210:211], 1.0
	s_delay_alu instid0(VALU_DEP_1)
	v_mul_f64 v[212:213], v[208:209], v[230:231]
	v_xor_b32_e32 v231, 0x80000000, v231
.LBB107_473:
	s_and_not1_saveexec_b32 s3, s3
	s_cbranch_execz .LBB107_475
; %bb.474:
	v_div_scale_f64 v[208:209], null, v[224:225], v[224:225], v[226:227]
	v_div_scale_f64 v[228:229], vcc_lo, v[226:227], v[224:225], v[226:227]
	s_delay_alu instid0(VALU_DEP_2) | instskip(SKIP_2) | instid1(VALU_DEP_1)
	v_rcp_f64_e32 v[210:211], v[208:209]
	s_waitcnt_depctr 0xfff
	v_fma_f64 v[212:213], -v[208:209], v[210:211], 1.0
	v_fma_f64 v[210:211], v[210:211], v[212:213], v[210:211]
	s_delay_alu instid0(VALU_DEP_1) | instskip(NEXT) | instid1(VALU_DEP_1)
	v_fma_f64 v[212:213], -v[208:209], v[210:211], 1.0
	v_fma_f64 v[210:211], v[210:211], v[212:213], v[210:211]
	s_delay_alu instid0(VALU_DEP_1) | instskip(NEXT) | instid1(VALU_DEP_1)
	v_mul_f64 v[212:213], v[228:229], v[210:211]
	v_fma_f64 v[208:209], -v[208:209], v[212:213], v[228:229]
	s_delay_alu instid0(VALU_DEP_1) | instskip(NEXT) | instid1(VALU_DEP_1)
	v_div_fmas_f64 v[208:209], v[208:209], v[210:211], v[212:213]
	v_div_fixup_f64 v[208:209], v[208:209], v[224:225], v[226:227]
	s_delay_alu instid0(VALU_DEP_1) | instskip(NEXT) | instid1(VALU_DEP_1)
	v_fma_f64 v[210:211], v[226:227], v[208:209], v[224:225]
	v_div_scale_f64 v[212:213], null, v[210:211], v[210:211], 1.0
	s_delay_alu instid0(VALU_DEP_1) | instskip(SKIP_2) | instid1(VALU_DEP_1)
	v_rcp_f64_e32 v[224:225], v[212:213]
	s_waitcnt_depctr 0xfff
	v_fma_f64 v[226:227], -v[212:213], v[224:225], 1.0
	v_fma_f64 v[224:225], v[224:225], v[226:227], v[224:225]
	s_delay_alu instid0(VALU_DEP_1) | instskip(NEXT) | instid1(VALU_DEP_1)
	v_fma_f64 v[226:227], -v[212:213], v[224:225], 1.0
	v_fma_f64 v[224:225], v[224:225], v[226:227], v[224:225]
	v_div_scale_f64 v[226:227], vcc_lo, 1.0, v[210:211], 1.0
	s_delay_alu instid0(VALU_DEP_1) | instskip(NEXT) | instid1(VALU_DEP_1)
	v_mul_f64 v[228:229], v[226:227], v[224:225]
	v_fma_f64 v[212:213], -v[212:213], v[228:229], v[226:227]
	s_delay_alu instid0(VALU_DEP_1) | instskip(NEXT) | instid1(VALU_DEP_1)
	v_div_fmas_f64 v[212:213], v[212:213], v[224:225], v[228:229]
	v_div_fixup_f64 v[212:213], v[212:213], v[210:211], 1.0
	s_delay_alu instid0(VALU_DEP_1)
	v_mul_f64 v[230:231], v[208:209], -v[212:213]
.LBB107_475:
	s_or_b32 exec_lo, exec_lo, s3
	ds_store_2addr_b64 v204, v[212:213], v[230:231] offset1:1
.LBB107_476:
	s_or_b32 exec_lo, exec_lo, s4
	s_waitcnt lgkmcnt(0)
	s_barrier
	buffer_gl0_inv
	ds_load_2addr_b64 v[224:227], v204 offset1:1
	s_mov_b32 s3, exec_lo
	v_cmpx_lt_u32_e32 52, v215
	s_cbranch_execz .LBB107_478
; %bb.477:
	s_waitcnt lgkmcnt(0)
	v_mul_f64 v[208:209], v[224:225], v[6:7]
	v_mul_f64 v[6:7], v[226:227], v[6:7]
	ds_load_2addr_b64 v[228:231], v214 offset0:106 offset1:107
	v_fma_f64 v[208:209], v[226:227], v[4:5], v[208:209]
	v_fma_f64 v[4:5], v[224:225], v[4:5], -v[6:7]
	s_waitcnt lgkmcnt(0)
	s_delay_alu instid0(VALU_DEP_2) | instskip(SKIP_1) | instid1(VALU_DEP_2)
	v_mul_f64 v[6:7], v[230:231], v[208:209]
	v_mul_f64 v[210:211], v[228:229], v[208:209]
	v_fma_f64 v[6:7], v[228:229], v[4:5], -v[6:7]
	s_delay_alu instid0(VALU_DEP_2) | instskip(NEXT) | instid1(VALU_DEP_2)
	v_fma_f64 v[210:211], v[230:231], v[4:5], v[210:211]
	v_add_f64 v[0:1], v[0:1], -v[6:7]
	s_delay_alu instid0(VALU_DEP_2)
	v_add_f64 v[2:3], v[2:3], -v[210:211]
	v_dual_mov_b32 v6, v208 :: v_dual_mov_b32 v7, v209
.LBB107_478:
	s_or_b32 exec_lo, exec_lo, s3
	s_delay_alu instid0(SALU_CYCLE_1)
	s_mov_b32 s4, exec_lo
	s_waitcnt lgkmcnt(0)
	s_barrier
	buffer_gl0_inv
	v_cmpx_eq_u32_e32 53, v215
	s_cbranch_execz .LBB107_485
; %bb.479:
	v_cmp_neq_f64_e32 vcc_lo, 0, v[0:1]
	v_cmp_neq_f64_e64 s3, 0, v[2:3]
	ds_store_2addr_b64 v204, v[0:1], v[2:3] offset1:1
	s_or_b32 s3, vcc_lo, s3
	s_delay_alu instid0(SALU_CYCLE_1)
	s_and_b32 exec_lo, exec_lo, s3
	s_cbranch_execz .LBB107_485
; %bb.480:
	v_cmp_gt_f64_e32 vcc_lo, 0, v[0:1]
	v_xor_b32_e32 v208, 0x80000000, v1
	v_xor_b32_e32 v210, 0x80000000, v3
	s_mov_b32 s3, exec_lo
                                        ; implicit-def: $vgpr212_vgpr213
	s_delay_alu instid0(VALU_DEP_2) | instskip(SKIP_4) | instid1(VALU_DEP_1)
	v_cndmask_b32_e32 v209, v1, v208, vcc_lo
	v_cndmask_b32_e32 v208, v0, v0, vcc_lo
	v_cmp_gt_f64_e32 vcc_lo, 0, v[2:3]
	v_cndmask_b32_e32 v211, v3, v210, vcc_lo
	v_cndmask_b32_e32 v210, v2, v2, vcc_lo
	v_cmpx_ngt_f64_e32 v[208:209], v[210:211]
	s_xor_b32 s3, exec_lo, s3
                                        ; implicit-def: $vgpr228_vgpr229_vgpr230_vgpr231
	s_cbranch_execz .LBB107_482
; %bb.481:
	v_div_scale_f64 v[208:209], null, v[2:3], v[2:3], v[0:1]
	v_div_scale_f64 v[228:229], vcc_lo, v[0:1], v[2:3], v[0:1]
	v_dual_mov_b32 v207, v204 :: v_dual_mov_b32 v204, v215
	s_delay_alu instid0(VALU_DEP_3) | instskip(SKIP_2) | instid1(VALU_DEP_1)
	v_rcp_f64_e32 v[210:211], v[208:209]
	s_waitcnt_depctr 0xfff
	v_fma_f64 v[212:213], -v[208:209], v[210:211], 1.0
	v_fma_f64 v[210:211], v[210:211], v[212:213], v[210:211]
	s_delay_alu instid0(VALU_DEP_1) | instskip(NEXT) | instid1(VALU_DEP_1)
	v_fma_f64 v[212:213], -v[208:209], v[210:211], 1.0
	v_fma_f64 v[210:211], v[210:211], v[212:213], v[210:211]
	s_delay_alu instid0(VALU_DEP_1) | instskip(NEXT) | instid1(VALU_DEP_1)
	v_mul_f64 v[212:213], v[228:229], v[210:211]
	v_fma_f64 v[208:209], -v[208:209], v[212:213], v[228:229]
	s_delay_alu instid0(VALU_DEP_1) | instskip(NEXT) | instid1(VALU_DEP_1)
	v_div_fmas_f64 v[208:209], v[208:209], v[210:211], v[212:213]
	v_div_fixup_f64 v[208:209], v[208:209], v[2:3], v[0:1]
	s_delay_alu instid0(VALU_DEP_1) | instskip(NEXT) | instid1(VALU_DEP_1)
	v_fma_f64 v[210:211], v[0:1], v[208:209], v[2:3]
	v_div_scale_f64 v[212:213], null, v[210:211], v[210:211], 1.0
	s_delay_alu instid0(VALU_DEP_1) | instskip(SKIP_2) | instid1(VALU_DEP_1)
	v_rcp_f64_e32 v[228:229], v[212:213]
	s_waitcnt_depctr 0xfff
	v_fma_f64 v[230:231], -v[212:213], v[228:229], 1.0
	v_fma_f64 v[228:229], v[228:229], v[230:231], v[228:229]
	s_delay_alu instid0(VALU_DEP_1) | instskip(NEXT) | instid1(VALU_DEP_1)
	v_fma_f64 v[230:231], -v[212:213], v[228:229], 1.0
	v_fma_f64 v[228:229], v[228:229], v[230:231], v[228:229]
	v_div_scale_f64 v[230:231], vcc_lo, 1.0, v[210:211], 1.0
	s_delay_alu instid0(VALU_DEP_1) | instskip(NEXT) | instid1(VALU_DEP_1)
	v_mul_f64 v[214:215], v[230:231], v[228:229]
	v_fma_f64 v[212:213], -v[212:213], v[214:215], v[230:231]
	s_delay_alu instid0(VALU_DEP_1) | instskip(SKIP_1) | instid1(VALU_DEP_2)
	v_div_fmas_f64 v[212:213], v[212:213], v[228:229], v[214:215]
	v_dual_mov_b32 v215, v204 :: v_dual_mov_b32 v204, v207
	v_div_fixup_f64 v[230:231], v[212:213], v[210:211], 1.0
	s_delay_alu instid0(VALU_DEP_1)
	v_mul_f64 v[212:213], v[208:209], v[230:231]
	v_xor_b32_e32 v231, 0x80000000, v231
.LBB107_482:
	s_and_not1_saveexec_b32 s3, s3
	s_cbranch_execz .LBB107_484
; %bb.483:
	v_div_scale_f64 v[208:209], null, v[0:1], v[0:1], v[2:3]
	v_dual_mov_b32 v207, v204 :: v_dual_mov_b32 v204, v215
	v_div_scale_f64 v[214:215], vcc_lo, v[2:3], v[0:1], v[2:3]
	s_delay_alu instid0(VALU_DEP_3) | instskip(SKIP_2) | instid1(VALU_DEP_1)
	v_rcp_f64_e32 v[210:211], v[208:209]
	s_waitcnt_depctr 0xfff
	v_fma_f64 v[212:213], -v[208:209], v[210:211], 1.0
	v_fma_f64 v[210:211], v[210:211], v[212:213], v[210:211]
	s_delay_alu instid0(VALU_DEP_1) | instskip(NEXT) | instid1(VALU_DEP_1)
	v_fma_f64 v[212:213], -v[208:209], v[210:211], 1.0
	v_fma_f64 v[210:211], v[210:211], v[212:213], v[210:211]
	s_delay_alu instid0(VALU_DEP_1) | instskip(NEXT) | instid1(VALU_DEP_1)
	v_mul_f64 v[212:213], v[214:215], v[210:211]
	v_fma_f64 v[208:209], -v[208:209], v[212:213], v[214:215]
	s_delay_alu instid0(VALU_DEP_1) | instskip(NEXT) | instid1(VALU_DEP_1)
	v_div_fmas_f64 v[208:209], v[208:209], v[210:211], v[212:213]
	v_div_fixup_f64 v[208:209], v[208:209], v[0:1], v[2:3]
	s_delay_alu instid0(VALU_DEP_1) | instskip(NEXT) | instid1(VALU_DEP_1)
	v_fma_f64 v[210:211], v[2:3], v[208:209], v[0:1]
	v_div_scale_f64 v[212:213], null, v[210:211], v[210:211], 1.0
	s_delay_alu instid0(VALU_DEP_1) | instskip(SKIP_2) | instid1(VALU_DEP_1)
	v_rcp_f64_e32 v[214:215], v[212:213]
	s_waitcnt_depctr 0xfff
	v_fma_f64 v[228:229], -v[212:213], v[214:215], 1.0
	v_fma_f64 v[214:215], v[214:215], v[228:229], v[214:215]
	s_delay_alu instid0(VALU_DEP_1) | instskip(NEXT) | instid1(VALU_DEP_1)
	v_fma_f64 v[228:229], -v[212:213], v[214:215], 1.0
	v_fma_f64 v[214:215], v[214:215], v[228:229], v[214:215]
	v_div_scale_f64 v[228:229], vcc_lo, 1.0, v[210:211], 1.0
	s_delay_alu instid0(VALU_DEP_1) | instskip(NEXT) | instid1(VALU_DEP_1)
	v_mul_f64 v[230:231], v[228:229], v[214:215]
	v_fma_f64 v[212:213], -v[212:213], v[230:231], v[228:229]
	s_delay_alu instid0(VALU_DEP_1) | instskip(SKIP_1) | instid1(VALU_DEP_2)
	v_div_fmas_f64 v[212:213], v[212:213], v[214:215], v[230:231]
	v_dual_mov_b32 v215, v204 :: v_dual_mov_b32 v204, v207
	v_div_fixup_f64 v[212:213], v[212:213], v[210:211], 1.0
	s_delay_alu instid0(VALU_DEP_1)
	v_mul_f64 v[230:231], v[208:209], -v[212:213]
.LBB107_484:
	s_or_b32 exec_lo, exec_lo, s3
	ds_store_2addr_b64 v204, v[212:213], v[230:231] offset1:1
.LBB107_485:
	s_or_b32 exec_lo, exec_lo, s4
	s_waitcnt lgkmcnt(0)
	s_barrier
	buffer_gl0_inv
	ds_load_2addr_b64 v[228:231], v204 offset1:1
	s_mov_b32 s3, exec_lo
	v_cmpx_lt_u32_e32 53, v215
	s_cbranch_execz .LBB107_487
; %bb.486:
	s_waitcnt lgkmcnt(0)
	v_mul_f64 v[208:209], v[230:231], v[2:3]
	v_mul_f64 v[2:3], v[228:229], v[2:3]
	s_delay_alu instid0(VALU_DEP_2) | instskip(NEXT) | instid1(VALU_DEP_2)
	v_fma_f64 v[208:209], v[228:229], v[0:1], -v[208:209]
	v_fma_f64 v[2:3], v[230:231], v[0:1], v[2:3]
	s_delay_alu instid0(VALU_DEP_2)
	v_dual_mov_b32 v0, v208 :: v_dual_mov_b32 v1, v209
.LBB107_487:
	s_or_b32 exec_lo, exec_lo, s3
	s_waitcnt lgkmcnt(0)
	s_barrier
	buffer_gl0_inv
	s_and_saveexec_b32 s14, s2
	s_cbranch_execz .LBB107_490
; %bb.488:
	scratch_load_b128 v[207:210], off, off offset:472 ; 16-byte Folded Reload
	s_load_b64 s[12:13], s[0:1], 0x28
	s_waitcnt vmcnt(0)
	v_cmp_eq_f64_e32 vcc_lo, 0, v[207:208]
	v_cmp_eq_f64_e64 s2, 0, v[209:210]
	scratch_load_b128 v[207:210], off, off offset:488 ; 16-byte Folded Reload
	s_and_b32 s2, vcc_lo, s2
	s_waitcnt vmcnt(0)
	v_cmp_neq_f64_e64 s3, 0, v[207:208]
	v_cmp_neq_f64_e64 s4, 0, v[209:210]
	scratch_load_b128 v[207:210], off, off offset:504 ; 16-byte Folded Reload
	s_or_b32 s3, s3, s4
	s_delay_alu instid0(SALU_CYCLE_1)
	s_or_b32 vcc_lo, s3, s2
	s_waitcnt vmcnt(0)
	v_cmp_eq_f64_e64 s5, 0, v[207:208]
	v_cmp_eq_f64_e64 s6, 0, v[209:210]
	scratch_load_b128 v[207:210], off, off offset:520 ; 16-byte Folded Reload
	s_and_b32 s4, s5, s6
	s_waitcnt vmcnt(0)
	v_cmp_eq_f64_e64 s7, 0, v[207:208]
	v_cmp_eq_f64_e64 s8, 0, v[209:210]
	scratch_load_b128 v[207:210], off, off offset:536 ; 16-byte Folded Reload
	s_and_b32 s6, s7, s8
	s_waitcnt vmcnt(0)
	v_cmp_eq_f64_e64 s10, 0, v[209:210]
	scratch_load_b128 v[209:212], off, off offset:552 ; 16-byte Folded Reload
	v_cmp_eq_f64_e64 s9, 0, v[207:208]
	scratch_load_b128 v[204:207], off, off offset:920 ; 16-byte Folded Reload
	v_cndmask_b32_e64 v208, 0, 1, s2
	s_delay_alu instid0(VALU_DEP_1) | instskip(NEXT) | instid1(VALU_DEP_1)
	v_cndmask_b32_e32 v208, 2, v208, vcc_lo
	v_cmp_eq_u32_e64 s3, 0, v208
	s_delay_alu instid0(VALU_DEP_1) | instskip(NEXT) | instid1(SALU_CYCLE_1)
	s_and_b32 s3, s4, s3
	v_cndmask_b32_e64 v208, v208, 3, s3
	s_delay_alu instid0(VALU_DEP_1) | instskip(NEXT) | instid1(VALU_DEP_1)
	v_cmp_eq_u32_e64 s5, 0, v208
	s_and_b32 s5, s6, s5
	s_delay_alu instid0(SALU_CYCLE_1) | instskip(NEXT) | instid1(VALU_DEP_1)
	v_cndmask_b32_e64 v208, v208, 4, s5
	v_cmp_eq_u32_e64 s7, 0, v208
	s_and_b32 s8, s9, s10
	s_delay_alu instid0(VALU_DEP_1) | instid1(SALU_CYCLE_1)
	s_and_b32 s7, s8, s7
	s_delay_alu instid0(SALU_CYCLE_1) | instskip(NEXT) | instid1(VALU_DEP_1)
	v_cndmask_b32_e64 v208, v208, 5, s7
	v_cmp_eq_u32_e64 s9, 0, v208
	s_waitcnt vmcnt(1)
	v_cmp_eq_f64_e32 vcc_lo, 0, v[209:210]
	v_cmp_eq_f64_e64 s2, 0, v[211:212]
	scratch_load_b128 v[209:212], off, off offset:568 ; 16-byte Folded Reload
	s_and_b32 s2, vcc_lo, s2
	s_delay_alu instid0(SALU_CYCLE_1) | instskip(NEXT) | instid1(SALU_CYCLE_1)
	s_and_b32 s2, s2, s9
	v_cndmask_b32_e64 v208, v208, 6, s2
	s_delay_alu instid0(VALU_DEP_1)
	v_cmp_eq_u32_e64 s9, 0, v208
	s_waitcnt vmcnt(0)
	v_cmp_eq_f64_e64 s3, 0, v[209:210]
	v_cmp_eq_f64_e64 s4, 0, v[211:212]
	scratch_load_b128 v[209:212], off, off offset:584 ; 16-byte Folded Reload
	s_and_b32 s3, s3, s4
	s_delay_alu instid0(SALU_CYCLE_1) | instskip(NEXT) | instid1(SALU_CYCLE_1)
	s_and_b32 s3, s3, s9
	v_cndmask_b32_e64 v208, v208, 7, s3
	s_delay_alu instid0(VALU_DEP_1)
	v_cmp_eq_u32_e64 s9, 0, v208
	s_waitcnt vmcnt(0)
	v_cmp_eq_f64_e64 s5, 0, v[209:210]
	v_cmp_eq_f64_e64 s6, 0, v[211:212]
	scratch_load_b128 v[209:212], off, off offset:600 ; 16-byte Folded Reload
	s_and_b32 s5, s5, s6
	s_delay_alu instid0(SALU_CYCLE_1) | instskip(NEXT) | instid1(SALU_CYCLE_1)
	s_and_b32 s5, s5, s9
	v_cndmask_b32_e64 v208, v208, 8, s5
	s_delay_alu instid0(VALU_DEP_1)
	v_cmp_eq_u32_e64 s9, 0, v208
	s_waitcnt vmcnt(0)
	v_cmp_eq_f64_e64 s7, 0, v[209:210]
	v_cmp_eq_f64_e64 s8, 0, v[211:212]
	scratch_load_b128 v[209:212], off, off offset:616 ; 16-byte Folded Reload
	s_and_b32 s7, s7, s8
	s_delay_alu instid0(SALU_CYCLE_1) | instskip(NEXT) | instid1(SALU_CYCLE_1)
	s_and_b32 s7, s7, s9
	v_cndmask_b32_e64 v208, v208, 9, s7
	s_delay_alu instid0(VALU_DEP_1)
	v_cmp_eq_u32_e64 s9, 0, v208
	s_waitcnt vmcnt(0)
	v_cmp_eq_f64_e32 vcc_lo, 0, v[209:210]
	v_cmp_eq_f64_e64 s2, 0, v[211:212]
	scratch_load_b128 v[209:212], off, off offset:632 ; 16-byte Folded Reload
	s_and_b32 s2, vcc_lo, s2
	s_delay_alu instid0(SALU_CYCLE_1) | instskip(NEXT) | instid1(SALU_CYCLE_1)
	s_and_b32 s2, s2, s9
	v_cndmask_b32_e64 v208, v208, 10, s2
	s_delay_alu instid0(VALU_DEP_1)
	v_cmp_eq_u32_e64 s9, 0, v208
	s_waitcnt vmcnt(0)
	v_cmp_eq_f64_e64 s3, 0, v[209:210]
	v_cmp_eq_f64_e64 s4, 0, v[211:212]
	scratch_load_b128 v[209:212], off, off offset:648 ; 16-byte Folded Reload
	s_and_b32 s3, s3, s4
	s_delay_alu instid0(SALU_CYCLE_1) | instskip(NEXT) | instid1(SALU_CYCLE_1)
	s_and_b32 s3, s3, s9
	v_cndmask_b32_e64 v208, v208, 11, s3
	s_delay_alu instid0(VALU_DEP_1)
	v_cmp_eq_u32_e64 s9, 0, v208
	s_waitcnt vmcnt(0)
	v_cmp_eq_f64_e64 s5, 0, v[209:210]
	v_cmp_eq_f64_e64 s6, 0, v[211:212]
	scratch_load_b128 v[209:212], off, off offset:664 ; 16-byte Folded Reload
	s_and_b32 s5, s5, s6
	s_delay_alu instid0(SALU_CYCLE_1) | instskip(NEXT) | instid1(SALU_CYCLE_1)
	s_and_b32 s5, s5, s9
	v_cndmask_b32_e64 v208, v208, 12, s5
	s_delay_alu instid0(VALU_DEP_1)
	v_cmp_eq_u32_e64 s9, 0, v208
	s_waitcnt vmcnt(0)
	v_cmp_eq_f64_e64 s7, 0, v[209:210]
	v_cmp_eq_f64_e64 s8, 0, v[211:212]
	scratch_load_b128 v[209:212], off, off offset:680 ; 16-byte Folded Reload
	s_and_b32 s7, s7, s8
	s_delay_alu instid0(SALU_CYCLE_1) | instskip(NEXT) | instid1(SALU_CYCLE_1)
	s_and_b32 s7, s7, s9
	v_cndmask_b32_e64 v208, v208, 13, s7
	s_delay_alu instid0(VALU_DEP_1)
	;; [unrolled: 40-line block ×4, first 2 shown]
	v_cmp_eq_u32_e64 s8, 0, v208
	s_waitcnt vmcnt(0)
	v_cmp_eq_f64_e32 vcc_lo, 0, v[209:210]
	v_cmp_eq_f64_e64 s2, 0, v[211:212]
	scratch_load_b128 v[209:212], off, off offset:824 ; 16-byte Folded Reload
	s_and_b32 s2, vcc_lo, s2
	s_delay_alu instid0(SALU_CYCLE_1) | instskip(NEXT) | instid1(SALU_CYCLE_1)
	s_and_b32 s2, s2, s8
	v_cndmask_b32_e64 v208, v208, 22, s2
	s_delay_alu instid0(VALU_DEP_1)
	v_cmp_eq_u32_e64 s8, 0, v208
	s_waitcnt vmcnt(0)
	v_cmp_eq_f64_e64 s3, 0, v[209:210]
	v_cmp_eq_f64_e64 s4, 0, v[211:212]
	scratch_load_b128 v[209:212], off, off offset:840 ; 16-byte Folded Reload
	s_and_b32 s3, s3, s4
	s_delay_alu instid0(SALU_CYCLE_1) | instskip(NEXT) | instid1(SALU_CYCLE_1)
	s_and_b32 s0, s3, s8
	v_cndmask_b32_e64 v208, v208, 23, s0
	s_delay_alu instid0(VALU_DEP_1)
	v_cmp_eq_u32_e64 s3, 0, v208
	s_waitcnt vmcnt(0)
	v_cmp_eq_f64_e64 s5, 0, v[209:210]
	v_cmp_eq_f64_e64 s6, 0, v[211:212]
	scratch_load_b128 v[209:212], off, off offset:856 ; 16-byte Folded Reload
	s_and_b32 s4, s5, s6
	s_delay_alu instid0(SALU_CYCLE_1)
	s_and_b32 s3, s4, s3
	s_waitcnt vmcnt(0)
	v_cmp_eq_f64_e64 s10, 0, v[209:210]
	v_cmp_eq_f64_e64 s7, 0, v[211:212]
	scratch_load_b128 v[209:212], off, off offset:872 ; 16-byte Folded Reload
	s_and_b32 s7, s10, s7
	s_waitcnt vmcnt(0)
	v_cmp_eq_f64_e32 vcc_lo, 0, v[209:210]
	v_cmp_eq_f64_e64 s2, 0, v[211:212]
	scratch_load_b128 v[209:212], off, off offset:888 ; 16-byte Folded Reload
	s_and_b32 s2, vcc_lo, s2
	s_waitcnt vmcnt(0)
	v_cmp_eq_f64_e64 s0, 0, v[209:210]
	v_cndmask_b32_e64 v210, v208, 24, s3
	scratch_load_b64 v[208:209], off, off offset:1184 ; 8-byte Folded Reload
	v_cmp_eq_f64_e64 s1, 0, v[211:212]
	scratch_load_b128 v[211:214], off, off offset:904 ; 16-byte Folded Reload
	v_cmp_eq_u32_e64 s5, 0, v210
	s_delay_alu instid0(VALU_DEP_1)
	s_and_b32 s5, s7, s5
	s_and_b32 s0, s0, s1
	s_waitcnt vmcnt(1)
	v_lshlrev_b64 v[208:209], 2, v[208:209]
	s_waitcnt vmcnt(0)
	v_cmp_eq_f64_e64 s3, 0, v[211:212]
	v_cmp_eq_f64_e64 s4, 0, v[213:214]
	s_waitcnt lgkmcnt(0)
	s_delay_alu instid0(VALU_DEP_3) | instskip(NEXT) | instid1(VALU_DEP_1)
	v_add_co_u32 v212, s6, s12, v208
	v_add_co_ci_u32_e64 v213, s6, s13, v209, s6
	v_cndmask_b32_e64 v208, v210, 25, s5
	v_cmp_eq_f64_e64 s5, 0, v[204:205]
	v_cmp_eq_f64_e64 s6, 0, v[206:207]
	scratch_load_b128 v[204:207], off, off offset:944 ; 16-byte Folded Reload
	global_load_b32 v209, v[212:213], off
	v_cmp_eq_u32_e64 s7, 0, v208
	s_delay_alu instid0(VALU_DEP_1) | instskip(NEXT) | instid1(SALU_CYCLE_1)
	s_and_b32 s2, s2, s7
	v_cndmask_b32_e64 v208, v208, 26, s2
	s_delay_alu instid0(VALU_DEP_1) | instskip(NEXT) | instid1(VALU_DEP_1)
	v_cmp_eq_u32_e64 s7, 0, v208
	s_and_b32 s0, s0, s7
	s_delay_alu instid0(SALU_CYCLE_1) | instskip(NEXT) | instid1(VALU_DEP_1)
	v_cndmask_b32_e64 v208, v208, 27, s0
	v_cmp_eq_u32_e64 s7, 0, v208
	s_and_b32 s3, s3, s4
	s_delay_alu instid0(VALU_DEP_1) | instid1(SALU_CYCLE_1)
	s_and_b32 s3, s3, s7
	s_delay_alu instid0(SALU_CYCLE_1) | instskip(SKIP_1) | instid1(VALU_DEP_1)
	v_cndmask_b32_e64 v208, v208, 28, s3
	s_and_b32 s5, s5, s6
	v_cmp_eq_u32_e64 s7, 0, v208
	s_delay_alu instid0(VALU_DEP_1) | instskip(NEXT) | instid1(SALU_CYCLE_1)
	s_and_b32 s5, s5, s7
	v_cndmask_b32_e64 v208, v208, 29, s5
	s_delay_alu instid0(VALU_DEP_1)
	v_cmp_eq_u32_e64 s7, 0, v208
	s_waitcnt vmcnt(1)
	v_cmp_eq_f64_e32 vcc_lo, 0, v[204:205]
	v_cmp_eq_f64_e64 s2, 0, v[206:207]
	scratch_load_b128 v[204:207], off, off offset:960 ; 16-byte Folded Reload
	s_and_b32 s2, vcc_lo, s2
	s_delay_alu instid0(SALU_CYCLE_1) | instskip(NEXT) | instid1(SALU_CYCLE_1)
	s_and_b32 s2, s2, s7
	v_cndmask_b32_e64 v208, v208, 30, s2
	s_delay_alu instid0(VALU_DEP_1)
	v_cmp_eq_u32_e64 s7, 0, v208
	s_waitcnt vmcnt(0)
	v_cmp_eq_f64_e64 s0, 0, v[204:205]
	v_cmp_eq_f64_e64 s1, 0, v[206:207]
	scratch_load_b128 v[204:207], off, off offset:976 ; 16-byte Folded Reload
	s_and_b32 s0, s0, s1
	s_delay_alu instid0(SALU_CYCLE_1) | instskip(NEXT) | instid1(SALU_CYCLE_1)
	s_and_b32 s0, s0, s7
	v_cndmask_b32_e64 v208, v208, 31, s0
	s_delay_alu instid0(VALU_DEP_1)
	v_cmp_eq_u32_e64 s7, 0, v208
	s_waitcnt vmcnt(0)
	v_cmp_eq_f64_e64 s3, 0, v[204:205]
	v_cmp_eq_f64_e64 s4, 0, v[206:207]
	scratch_load_b128 v[204:207], off, off offset:992 ; 16-byte Folded Reload
	s_and_b32 s3, s3, s4
	;; [unrolled: 10-line block ×3, first 2 shown]
	s_delay_alu instid0(SALU_CYCLE_1) | instskip(NEXT) | instid1(SALU_CYCLE_1)
	s_and_b32 s5, s5, s7
	v_cndmask_b32_e64 v208, v208, 33, s5
	s_delay_alu instid0(VALU_DEP_1)
	v_cmp_eq_u32_e64 s7, 0, v208
	s_waitcnt vmcnt(0)
	v_cmp_eq_f64_e32 vcc_lo, 0, v[204:205]
	v_cmp_eq_f64_e64 s2, 0, v[206:207]
	scratch_load_b128 v[204:207], off, off offset:1024 ; 16-byte Folded Reload
	s_and_b32 s2, vcc_lo, s2
	s_delay_alu instid0(SALU_CYCLE_1) | instskip(NEXT) | instid1(SALU_CYCLE_1)
	s_and_b32 s2, s2, s7
	v_cndmask_b32_e64 v208, v208, 34, s2
	s_delay_alu instid0(VALU_DEP_1)
	v_cmp_eq_u32_e64 s7, 0, v208
	s_waitcnt vmcnt(0)
	v_cmp_eq_f64_e64 s0, 0, v[204:205]
	v_cmp_eq_f64_e64 s1, 0, v[206:207]
	scratch_load_b128 v[204:207], off, off offset:1040 ; 16-byte Folded Reload
	s_and_b32 s0, s0, s1
	s_delay_alu instid0(SALU_CYCLE_1) | instskip(NEXT) | instid1(SALU_CYCLE_1)
	s_and_b32 s0, s0, s7
	v_cndmask_b32_e64 v208, v208, 35, s0
	s_delay_alu instid0(VALU_DEP_1)
	v_cmp_eq_u32_e64 s7, 0, v208
	s_waitcnt vmcnt(0)
	v_cmp_eq_f64_e64 s3, 0, v[204:205]
	v_cmp_eq_f64_e64 s4, 0, v[206:207]
	scratch_load_b128 v[204:207], off, off offset:1056 ; 16-byte Folded Reload
	s_and_b32 s3, s3, s4
	;; [unrolled: 10-line block ×3, first 2 shown]
	s_delay_alu instid0(SALU_CYCLE_1) | instskip(NEXT) | instid1(SALU_CYCLE_1)
	s_and_b32 s5, s5, s7
	v_cndmask_b32_e64 v208, v208, 37, s5
	s_delay_alu instid0(VALU_DEP_1)
	v_cmp_eq_u32_e64 s7, 0, v208
	s_waitcnt vmcnt(0)
	v_cmp_eq_f64_e32 vcc_lo, 0, v[204:205]
	v_cmp_eq_f64_e64 s2, 0, v[206:207]
	scratch_load_b128 v[204:207], off, off offset:1088 ; 16-byte Folded Reload
	s_and_b32 s2, vcc_lo, s2
	s_delay_alu instid0(SALU_CYCLE_1) | instskip(NEXT) | instid1(SALU_CYCLE_1)
	s_and_b32 s2, s2, s7
	v_cndmask_b32_e64 v208, v208, 38, s2
	s_delay_alu instid0(VALU_DEP_1)
	v_cmp_eq_u32_e64 s7, 0, v208
	s_waitcnt vmcnt(0)
	v_cmp_eq_f64_e64 s0, 0, v[204:205]
	v_cmp_eq_f64_e64 s1, 0, v[206:207]
	scratch_load_b128 v[204:207], off, off offset:1104 ; 16-byte Folded Reload
	s_and_b32 s0, s0, s1
	s_delay_alu instid0(SALU_CYCLE_1) | instskip(NEXT) | instid1(SALU_CYCLE_1)
	s_and_b32 s0, s0, s7
	v_cndmask_b32_e64 v208, v208, 39, s0
	s_delay_alu instid0(VALU_DEP_1)
	v_cmp_eq_u32_e64 s7, 0, v208
	s_waitcnt vmcnt(0)
	v_cmp_eq_f64_e64 s3, 0, v[204:205]
	v_cmp_eq_f64_e64 s4, 0, v[206:207]
	scratch_load_b128 v[204:207], off, off offset:1120 ; 16-byte Folded Reload
	s_and_b32 s3, s3, s4
	;; [unrolled: 10-line block ×3, first 2 shown]
	v_cmp_eq_f64_e64 s6, 0, v[234:235]
	s_and_b32 s5, s5, s7
	s_delay_alu instid0(SALU_CYCLE_1) | instskip(SKIP_1) | instid1(VALU_DEP_2)
	v_cndmask_b32_e64 v208, v208, 41, s5
	v_cmp_eq_f64_e64 s5, 0, v[232:233]
	v_cmp_eq_u32_e64 s7, 0, v208
	s_delay_alu instid0(VALU_DEP_2)
	s_and_b32 s5, s5, s6
	v_cmp_eq_f64_e64 s6, 0, v[250:251]
	s_waitcnt vmcnt(0)
	v_cmp_eq_f64_e32 vcc_lo, 0, v[204:205]
	v_cmp_eq_f64_e64 s2, 0, v[206:207]
	scratch_load_b128 v[204:207], off, off offset:1152 ; 16-byte Folded Reload
	s_and_b32 s2, vcc_lo, s2
	v_cmp_eq_f64_e32 vcc_lo, 0, v[236:237]
	s_and_b32 s2, s2, s7
	s_delay_alu instid0(SALU_CYCLE_1) | instskip(SKIP_1) | instid1(VALU_DEP_2)
	v_cndmask_b32_e64 v208, v208, 42, s2
	v_cmp_eq_f64_e64 s2, 0, v[238:239]
	v_cmp_eq_u32_e64 s7, 0, v208
	s_delay_alu instid0(VALU_DEP_2)
	s_and_b32 s2, vcc_lo, s2
	v_cmp_eq_f64_e32 vcc_lo, 0, v[252:253]
	s_waitcnt vmcnt(0)
	v_cmp_eq_f64_e64 s0, 0, v[204:205]
	v_cmp_eq_f64_e64 s1, 0, v[206:207]
	scratch_load_b128 v[204:207], off, off offset:1168 ; 16-byte Folded Reload
	s_and_b32 s0, s0, s1
	v_cmp_eq_f64_e64 s1, 0, v[242:243]
	s_and_b32 s0, s0, s7
	s_delay_alu instid0(SALU_CYCLE_1) | instskip(SKIP_1) | instid1(VALU_DEP_2)
	v_cndmask_b32_e64 v208, v208, 43, s0
	v_cmp_eq_f64_e64 s0, 0, v[240:241]
	v_cmp_eq_u32_e64 s7, 0, v208
	s_delay_alu instid0(VALU_DEP_2) | instskip(SKIP_4) | instid1(VALU_DEP_1)
	s_and_b32 s0, s0, s1
	v_cmp_eq_f64_e64 s1, 0, v[218:219]
	s_waitcnt vmcnt(0)
	v_cmp_eq_f64_e64 s3, 0, v[204:205]
	v_cmp_eq_f64_e64 s4, 0, v[206:207]
	s_and_b32 s3, s3, s4
	v_cmp_eq_f64_e64 s4, 0, v[246:247]
	s_and_b32 s3, s3, s7
	s_delay_alu instid0(SALU_CYCLE_1) | instskip(SKIP_1) | instid1(VALU_DEP_2)
	v_cndmask_b32_e64 v208, v208, 44, s3
	v_cmp_eq_f64_e64 s3, 0, v[244:245]
	v_cmp_eq_u32_e64 s7, 0, v208
	s_delay_alu instid0(VALU_DEP_1) | instskip(NEXT) | instid1(SALU_CYCLE_1)
	s_and_b32 s5, s5, s7
	v_cndmask_b32_e64 v208, v208, 45, s5
	v_cmp_eq_f64_e64 s5, 0, v[248:249]
	s_delay_alu instid0(VALU_DEP_2) | instskip(NEXT) | instid1(VALU_DEP_1)
	v_cmp_eq_u32_e64 s7, 0, v208
	s_and_b32 s2, s2, s7
	s_delay_alu instid0(SALU_CYCLE_1) | instskip(SKIP_1) | instid1(VALU_DEP_2)
	v_cndmask_b32_e64 v208, v208, 46, s2
	v_cmp_eq_f64_e64 s2, 0, v[254:255]
	v_cmp_eq_u32_e64 s7, 0, v208
	s_delay_alu instid0(VALU_DEP_1) | instskip(NEXT) | instid1(SALU_CYCLE_1)
	s_and_b32 s0, s0, s7
	v_cndmask_b32_e64 v208, v208, 47, s0
	v_cmp_eq_f64_e64 s0, 0, v[216:217]
	s_and_b32 s3, s3, s4
	v_cmp_eq_f64_e64 s4, 0, v[222:223]
	s_delay_alu instid0(VALU_DEP_3) | instskip(NEXT) | instid1(VALU_DEP_1)
	v_cmp_eq_u32_e64 s7, 0, v208
	s_and_b32 s3, s3, s7
	s_delay_alu instid0(SALU_CYCLE_1) | instskip(SKIP_3) | instid1(VALU_DEP_3)
	v_cndmask_b32_e64 v208, v208, 48, s3
	v_cmp_eq_f64_e64 s3, 0, v[220:221]
	s_and_b32 s5, s5, s6
	v_cmp_eq_f64_e64 s6, 0, v[226:227]
	v_cmp_eq_u32_e64 s7, 0, v208
	s_delay_alu instid0(VALU_DEP_1) | instskip(NEXT) | instid1(SALU_CYCLE_1)
	s_and_b32 s5, s5, s7
	v_cndmask_b32_e64 v208, v208, 49, s5
	v_cmp_eq_f64_e64 s5, 0, v[224:225]
	s_and_b32 s2, vcc_lo, s2
	v_cmp_eq_f64_e32 vcc_lo, 0, v[228:229]
	s_delay_alu instid0(VALU_DEP_3) | instskip(NEXT) | instid1(VALU_DEP_1)
	v_cmp_eq_u32_e64 s7, 0, v208
	s_and_b32 s2, s2, s7
	s_delay_alu instid0(SALU_CYCLE_1) | instskip(SKIP_2) | instid1(VALU_DEP_2)
	v_cndmask_b32_e64 v208, v208, 50, s2
	v_cmp_eq_f64_e64 s2, 0, v[230:231]
	s_and_b32 s0, s0, s1
	v_cmp_eq_u32_e64 s7, 0, v208
	s_delay_alu instid0(VALU_DEP_1) | instskip(NEXT) | instid1(SALU_CYCLE_1)
	s_and_b32 s0, s0, s7
	v_cndmask_b32_e64 v208, v208, 51, s0
	s_and_b32 s1, s3, s4
	s_delay_alu instid0(VALU_DEP_1) | instskip(NEXT) | instid1(VALU_DEP_1)
	v_cmp_eq_u32_e64 s0, 0, v208
	s_and_b32 s0, s1, s0
	s_delay_alu instid0(SALU_CYCLE_1) | instskip(SKIP_1) | instid1(VALU_DEP_1)
	v_cndmask_b32_e64 v208, v208, 52, s0
	s_and_b32 s1, s5, s6
	v_cmp_eq_u32_e64 s0, 0, v208
	s_delay_alu instid0(VALU_DEP_1) | instskip(NEXT) | instid1(SALU_CYCLE_1)
	s_and_b32 s0, s1, s0
	v_cndmask_b32_e64 v208, v208, 53, s0
	s_and_b32 s1, vcc_lo, s2
	v_cmp_eq_u32_e32 vcc_lo, 0, v209
	s_delay_alu instid0(VALU_DEP_2) | instskip(NEXT) | instid1(VALU_DEP_1)
	v_cmp_eq_u32_e64 s0, 0, v208
	s_and_b32 s0, s1, s0
	s_delay_alu instid0(SALU_CYCLE_1) | instskip(NEXT) | instid1(VALU_DEP_1)
	v_cndmask_b32_e64 v214, v208, 54, s0
	v_cmp_ne_u32_e64 s0, 0, v214
	s_delay_alu instid0(VALU_DEP_1) | instskip(NEXT) | instid1(SALU_CYCLE_1)
	s_and_b32 s0, vcc_lo, s0
	s_and_b32 exec_lo, exec_lo, s0
	s_cbranch_execz .LBB107_490
; %bb.489:
	v_add_nc_u32_e32 v208, s11, v214
	global_store_b32 v[212:213], v208, off
.LBB107_490:
	s_or_b32 exec_lo, exec_lo, s14
	s_clause 0x1
	scratch_load_b64 v[207:208], off, off offset:456
	scratch_load_b128 v[209:212], off, off offset:32
	s_waitcnt vmcnt(0)
	global_store_b128 v[207:208], v[209:212], off
	s_clause 0x1
	scratch_load_b64 v[207:208], off, off offset:464
	scratch_load_b128 v[209:212], off, off offset:16
	s_waitcnt vmcnt(0)
	global_store_b128 v[207:208], v[209:212], off
	s_clause 0x1
	scratch_load_b64 v[207:208], off, off offset:448
	scratch_load_b128 v[209:212], off, off
	s_waitcnt vmcnt(0)
	global_store_b128 v[207:208], v[209:212], off
	scratch_load_b64 v[207:208], off, off offset:440 ; 8-byte Folded Reload
	s_waitcnt vmcnt(0)
	global_store_b128 v[207:208], v[200:203], off
	scratch_load_b64 v[200:201], off, off offset:432 ; 8-byte Folded Reload
	;; [unrolled: 3-line block ×51, first 2 shown]
	s_waitcnt vmcnt(0)
	global_store_b128 v[4:5], v[0:3], off
.LBB107_491:
	s_nop 0
	s_sendmsg sendmsg(MSG_DEALLOC_VGPRS)
	s_endpgm
	.section	.rodata,"a",@progbits
	.p2align	6, 0x0
	.amdhsa_kernel _ZN9rocsolver6v33100L23getf2_npvt_small_kernelILi54E19rocblas_complex_numIdEiiPKPS3_EEvT1_T3_lS7_lPT2_S7_S7_
		.amdhsa_group_segment_fixed_size 0
		.amdhsa_private_segment_fixed_size 1196
		.amdhsa_kernarg_size 312
		.amdhsa_user_sgpr_count 14
		.amdhsa_user_sgpr_dispatch_ptr 0
		.amdhsa_user_sgpr_queue_ptr 0
		.amdhsa_user_sgpr_kernarg_segment_ptr 1
		.amdhsa_user_sgpr_dispatch_id 0
		.amdhsa_user_sgpr_private_segment_size 0
		.amdhsa_wavefront_size32 1
		.amdhsa_uses_dynamic_stack 0
		.amdhsa_enable_private_segment 1
		.amdhsa_system_sgpr_workgroup_id_x 1
		.amdhsa_system_sgpr_workgroup_id_y 1
		.amdhsa_system_sgpr_workgroup_id_z 0
		.amdhsa_system_sgpr_workgroup_info 0
		.amdhsa_system_vgpr_workitem_id 1
		.amdhsa_next_free_vgpr 256
		.amdhsa_next_free_sgpr 18
		.amdhsa_reserve_vcc 1
		.amdhsa_float_round_mode_32 0
		.amdhsa_float_round_mode_16_64 0
		.amdhsa_float_denorm_mode_32 3
		.amdhsa_float_denorm_mode_16_64 3
		.amdhsa_dx10_clamp 1
		.amdhsa_ieee_mode 1
		.amdhsa_fp16_overflow 0
		.amdhsa_workgroup_processor_mode 1
		.amdhsa_memory_ordered 1
		.amdhsa_forward_progress 0
		.amdhsa_shared_vgpr_count 0
		.amdhsa_exception_fp_ieee_invalid_op 0
		.amdhsa_exception_fp_denorm_src 0
		.amdhsa_exception_fp_ieee_div_zero 0
		.amdhsa_exception_fp_ieee_overflow 0
		.amdhsa_exception_fp_ieee_underflow 0
		.amdhsa_exception_fp_ieee_inexact 0
		.amdhsa_exception_int_div_zero 0
	.end_amdhsa_kernel
	.section	.text._ZN9rocsolver6v33100L23getf2_npvt_small_kernelILi54E19rocblas_complex_numIdEiiPKPS3_EEvT1_T3_lS7_lPT2_S7_S7_,"axG",@progbits,_ZN9rocsolver6v33100L23getf2_npvt_small_kernelILi54E19rocblas_complex_numIdEiiPKPS3_EEvT1_T3_lS7_lPT2_S7_S7_,comdat
.Lfunc_end107:
	.size	_ZN9rocsolver6v33100L23getf2_npvt_small_kernelILi54E19rocblas_complex_numIdEiiPKPS3_EEvT1_T3_lS7_lPT2_S7_S7_, .Lfunc_end107-_ZN9rocsolver6v33100L23getf2_npvt_small_kernelILi54E19rocblas_complex_numIdEiiPKPS3_EEvT1_T3_lS7_lPT2_S7_S7_
                                        ; -- End function
	.section	.AMDGPU.csdata,"",@progbits
; Kernel info:
; codeLenInByte = 151376
; NumSgprs: 20
; NumVgprs: 256
; ScratchSize: 1196
; MemoryBound: 1
; FloatMode: 240
; IeeeMode: 1
; LDSByteSize: 0 bytes/workgroup (compile time only)
; SGPRBlocks: 2
; VGPRBlocks: 31
; NumSGPRsForWavesPerEU: 20
; NumVGPRsForWavesPerEU: 256
; Occupancy: 5
; WaveLimiterHint : 1
; COMPUTE_PGM_RSRC2:SCRATCH_EN: 1
; COMPUTE_PGM_RSRC2:USER_SGPR: 14
; COMPUTE_PGM_RSRC2:TRAP_HANDLER: 0
; COMPUTE_PGM_RSRC2:TGID_X_EN: 1
; COMPUTE_PGM_RSRC2:TGID_Y_EN: 1
; COMPUTE_PGM_RSRC2:TGID_Z_EN: 0
; COMPUTE_PGM_RSRC2:TIDIG_COMP_CNT: 1
	.section	.text._ZN9rocsolver6v33100L18getf2_small_kernelILi55E19rocblas_complex_numIdEiiPKPS3_EEvT1_T3_lS7_lPS7_llPT2_S7_S7_S9_l,"axG",@progbits,_ZN9rocsolver6v33100L18getf2_small_kernelILi55E19rocblas_complex_numIdEiiPKPS3_EEvT1_T3_lS7_lPS7_llPT2_S7_S7_S9_l,comdat
	.globl	_ZN9rocsolver6v33100L18getf2_small_kernelILi55E19rocblas_complex_numIdEiiPKPS3_EEvT1_T3_lS7_lPS7_llPT2_S7_S7_S9_l ; -- Begin function _ZN9rocsolver6v33100L18getf2_small_kernelILi55E19rocblas_complex_numIdEiiPKPS3_EEvT1_T3_lS7_lPS7_llPT2_S7_S7_S9_l
	.p2align	8
	.type	_ZN9rocsolver6v33100L18getf2_small_kernelILi55E19rocblas_complex_numIdEiiPKPS3_EEvT1_T3_lS7_lPS7_llPT2_S7_S7_S9_l,@function
_ZN9rocsolver6v33100L18getf2_small_kernelILi55E19rocblas_complex_numIdEiiPKPS3_EEvT1_T3_lS7_lPS7_llPT2_S7_S7_S9_l: ; @_ZN9rocsolver6v33100L18getf2_small_kernelILi55E19rocblas_complex_numIdEiiPKPS3_EEvT1_T3_lS7_lPS7_llPT2_S7_S7_S9_l
; %bb.0:
	s_clause 0x1
	s_load_b32 s2, s[0:1], 0x6c
	s_load_b64 s[12:13], s[0:1], 0x48
	v_bfe_u32 v220, v0, 10, 10
	s_waitcnt lgkmcnt(0)
	s_lshr_b32 s2, s2, 16
	s_delay_alu instid0(VALU_DEP_1) | instid1(SALU_CYCLE_1)
	v_mad_u64_u32 v[216:217], null, s15, s2, v[220:221]
	s_mov_b32 s2, exec_lo
	s_delay_alu instid0(VALU_DEP_1)
	v_cmpx_gt_i32_e64 s12, v216
	s_cbranch_execnz .LBB108_1
; %bb.1160:
	s_getpc_b64 s[16:17]
.Lpost_getpc16:
	s_add_u32 s16, s16, (.LBB108_1159-.Lpost_getpc16)&4294967295
	s_addc_u32 s17, s17, (.LBB108_1159-.Lpost_getpc16)>>32
	s_setpc_b64 s[16:17]
.LBB108_1:
	s_clause 0x1
	s_load_b128 s[4:7], s[0:1], 0x8
	s_load_b128 s[8:11], s[0:1], 0x50
	v_ashrrev_i32_e32 v217, 31, v216
	v_mov_b32_e32 v231, 0
	v_mov_b32_e32 v232, 0
	s_delay_alu instid0(VALU_DEP_3) | instskip(SKIP_1) | instid1(VALU_DEP_1)
	v_lshlrev_b64 v[1:2], 3, v[216:217]
	s_waitcnt lgkmcnt(0)
	v_add_co_u32 v1, vcc_lo, s4, v1
	s_delay_alu instid0(VALU_DEP_2)
	v_add_co_ci_u32_e32 v2, vcc_lo, s5, v2, vcc_lo
	s_cmp_eq_u64 s[8:9], 0
	s_cselect_b32 s4, -1, 0
	global_load_b64 v[1:2], v[1:2], off
	s_and_b32 vcc_lo, exec_lo, s4
	s_cbranch_vccnz .LBB108_3
; %bb.2:
	v_mul_lo_u32 v5, v217, s10
	v_mul_lo_u32 v6, v216, s11
	v_mad_u64_u32 v[3:4], null, v216, s10, 0
	s_delay_alu instid0(VALU_DEP_1) | instskip(NEXT) | instid1(VALU_DEP_1)
	v_add3_u32 v4, v4, v6, v5
	v_lshlrev_b64 v[3:4], 2, v[3:4]
	s_delay_alu instid0(VALU_DEP_1) | instskip(NEXT) | instid1(VALU_DEP_2)
	v_add_co_u32 v231, vcc_lo, s8, v3
	v_add_co_ci_u32_e32 v232, vcc_lo, s9, v4, vcc_lo
.LBB108_3:
	s_clause 0x1
	s_load_b32 s8, s[0:1], 0x18
	s_load_b32 s5, s[0:1], 0x0
	v_and_b32_e32 v79, 0x3ff, v0
	s_lshl_b64 s[2:3], s[6:7], 4
	s_waitcnt vmcnt(0)
	v_add_co_u32 v80, vcc_lo, v1, s2
	v_add_co_ci_u32_e32 v235, vcc_lo, s3, v2, vcc_lo
	v_lshlrev_b32_e32 v210, 4, v79
	s_clause 0x1
	scratch_store_b64 off, v[216:217], off
	scratch_store_b32 off, v80, off offset:40
	v_mov_b32_e32 v227, v79
	s_waitcnt lgkmcnt(0)
	v_add3_u32 v3, s8, s8, v79
	s_ashr_i32 s9, s8, 31
	s_max_i32 s2, s5, 55
	s_lshl_b64 s[10:11], s[8:9], 4
	s_cmp_lt_i32 s5, 2
	v_add_nc_u32_e32 v5, s8, v3
	v_ashrrev_i32_e32 v4, 31, v3
	s_delay_alu instid0(VALU_DEP_2) | instskip(NEXT) | instid1(VALU_DEP_2)
	v_add_nc_u32_e32 v0, s8, v5
	v_lshlrev_b64 v[3:4], 4, v[3:4]
	v_ashrrev_i32_e32 v6, 31, v5
	s_delay_alu instid0(VALU_DEP_3) | instskip(SKIP_1) | instid1(VALU_DEP_4)
	v_add_nc_u32_e32 v2, s8, v0
	v_ashrrev_i32_e32 v1, 31, v0
	v_add_co_u32 v7, vcc_lo, v80, v3
	v_add_co_ci_u32_e32 v8, vcc_lo, v235, v4, vcc_lo
	s_delay_alu instid0(VALU_DEP_4) | instskip(SKIP_3) | instid1(VALU_DEP_4)
	v_add_nc_u32_e32 v4, s8, v2
	v_lshlrev_b64 v[5:6], 4, v[5:6]
	v_ashrrev_i32_e32 v3, 31, v2
	v_lshlrev_b64 v[0:1], 4, v[0:1]
	v_add_nc_u32_e32 v11, s8, v4
	s_delay_alu instid0(VALU_DEP_4) | instskip(SKIP_1) | instid1(VALU_DEP_3)
	v_add_co_u32 v9, vcc_lo, v80, v5
	v_ashrrev_i32_e32 v5, 31, v4
	v_add_nc_u32_e32 v13, s8, v11
	v_lshlrev_b64 v[2:3], 4, v[2:3]
	v_ashrrev_i32_e32 v12, 31, v11
	v_add_co_ci_u32_e32 v10, vcc_lo, v235, v6, vcc_lo
	s_delay_alu instid0(VALU_DEP_4) | instskip(SKIP_3) | instid1(VALU_DEP_4)
	v_add_nc_u32_e32 v15, s8, v13
	v_add_co_u32 v0, vcc_lo, v80, v0
	v_lshlrev_b64 v[4:5], 4, v[4:5]
	v_ashrrev_i32_e32 v14, 31, v13
	v_add_nc_u32_e32 v17, s8, v15
	v_add_co_ci_u32_e32 v1, vcc_lo, v235, v1, vcc_lo
	v_add_co_u32 v2, vcc_lo, v80, v2
	s_delay_alu instid0(VALU_DEP_3) | instskip(SKIP_3) | instid1(VALU_DEP_4)
	v_add_nc_u32_e32 v19, s8, v17
	v_lshlrev_b64 v[11:12], 4, v[11:12]
	v_ashrrev_i32_e32 v16, 31, v15
	v_add_co_ci_u32_e32 v3, vcc_lo, v235, v3, vcc_lo
	v_add_nc_u32_e32 v21, s8, v19
	v_add_co_u32 v4, vcc_lo, v80, v4
	v_lshlrev_b64 v[13:14], 4, v[13:14]
	v_ashrrev_i32_e32 v18, 31, v17
	s_delay_alu instid0(VALU_DEP_4) | instskip(SKIP_2) | instid1(VALU_DEP_3)
	v_add_nc_u32_e32 v23, s8, v21
	v_add_co_ci_u32_e32 v5, vcc_lo, v235, v5, vcc_lo
	v_add_co_u32 v11, vcc_lo, v80, v11
	v_add_nc_u32_e32 v25, s8, v23
	v_lshlrev_b64 v[15:16], 4, v[15:16]
	v_ashrrev_i32_e32 v20, 31, v19
	v_add_co_ci_u32_e32 v12, vcc_lo, v235, v12, vcc_lo
	s_delay_alu instid0(VALU_DEP_4) | instskip(SKIP_3) | instid1(VALU_DEP_4)
	v_add_nc_u32_e32 v27, s8, v25
	v_add_co_u32 v13, vcc_lo, v80, v13
	v_lshlrev_b64 v[17:18], 4, v[17:18]
	v_ashrrev_i32_e32 v22, 31, v21
	v_add_nc_u32_e32 v29, s8, v27
	v_add_co_ci_u32_e32 v14, vcc_lo, v235, v14, vcc_lo
	v_add_co_u32 v15, vcc_lo, v80, v15
	s_delay_alu instid0(VALU_DEP_3) | instskip(SKIP_3) | instid1(VALU_DEP_4)
	v_add_nc_u32_e32 v31, s8, v29
	v_lshlrev_b64 v[19:20], 4, v[19:20]
	v_ashrrev_i32_e32 v24, 31, v23
	v_add_co_ci_u32_e32 v16, vcc_lo, v235, v16, vcc_lo
	v_add_nc_u32_e32 v33, s8, v31
	v_add_co_u32 v17, vcc_lo, v80, v17
	v_lshlrev_b64 v[21:22], 4, v[21:22]
	v_ashrrev_i32_e32 v26, 31, v25
	s_delay_alu instid0(VALU_DEP_4) | instskip(SKIP_2) | instid1(VALU_DEP_3)
	v_add_nc_u32_e32 v35, s8, v33
	v_add_co_ci_u32_e32 v18, vcc_lo, v235, v18, vcc_lo
	v_add_co_u32 v19, vcc_lo, v80, v19
	;; [unrolled: 25-line block ×3, first 2 shown]
	v_add_nc_u32_e32 v49, s8, v47
	v_lshlrev_b64 v[31:32], 4, v[31:32]
	v_ashrrev_i32_e32 v36, 31, v35
	v_add_co_ci_u32_e32 v28, vcc_lo, v235, v28, vcc_lo
	s_delay_alu instid0(VALU_DEP_4) | instskip(SKIP_3) | instid1(VALU_DEP_4)
	v_add_nc_u32_e32 v51, s8, v49
	v_add_co_u32 v29, vcc_lo, v80, v29
	v_lshlrev_b64 v[33:34], 4, v[33:34]
	v_ashrrev_i32_e32 v38, 31, v37
	v_add_nc_u32_e32 v53, s8, v51
	v_add_co_ci_u32_e32 v30, vcc_lo, v235, v30, vcc_lo
	v_add_co_u32 v31, vcc_lo, v80, v31
	v_lshlrev_b64 v[35:36], 4, v[35:36]
	v_ashrrev_i32_e32 v40, 31, v39
	v_add_co_ci_u32_e32 v32, vcc_lo, v235, v32, vcc_lo
	v_add_nc_u32_e32 v55, s8, v53
	v_add_co_u32 v33, vcc_lo, v80, v33
	v_lshlrev_b64 v[37:38], 4, v[37:38]
	v_ashrrev_i32_e32 v42, 31, v41
	v_add_co_ci_u32_e32 v34, vcc_lo, v235, v34, vcc_lo
	v_add_co_u32 v35, vcc_lo, v80, v35
	v_lshlrev_b64 v[39:40], 4, v[39:40]
	v_ashrrev_i32_e32 v44, 31, v43
	v_add_nc_u32_e32 v57, s8, v55
	v_add_co_ci_u32_e32 v36, vcc_lo, v235, v36, vcc_lo
	v_add_co_u32 v37, vcc_lo, v80, v37
	v_lshlrev_b64 v[41:42], 4, v[41:42]
	v_ashrrev_i32_e32 v46, 31, v45
	v_add_co_ci_u32_e32 v38, vcc_lo, v235, v38, vcc_lo
	v_add_co_u32 v39, vcc_lo, v80, v39
	v_lshlrev_b64 v[43:44], 4, v[43:44]
	v_add_nc_u32_e32 v59, s8, v57
	v_ashrrev_i32_e32 v48, 31, v47
	v_add_co_ci_u32_e32 v40, vcc_lo, v235, v40, vcc_lo
	v_add_co_u32 v41, vcc_lo, v80, v41
	v_lshlrev_b64 v[45:46], 4, v[45:46]
	v_ashrrev_i32_e32 v50, 31, v49
	v_add_co_ci_u32_e32 v42, vcc_lo, v235, v42, vcc_lo
	v_add_nc_u32_e32 v61, s8, v59
	v_add_co_u32 v43, vcc_lo, v80, v43
	v_lshlrev_b64 v[47:48], 4, v[47:48]
	v_ashrrev_i32_e32 v52, 31, v51
	v_add_co_ci_u32_e32 v44, vcc_lo, v235, v44, vcc_lo
	v_add_co_u32 v45, vcc_lo, v80, v45
	v_lshlrev_b64 v[49:50], 4, v[49:50]
	v_ashrrev_i32_e32 v54, 31, v53
	v_add_nc_u32_e32 v63, s8, v61
	v_add_co_ci_u32_e32 v46, vcc_lo, v235, v46, vcc_lo
	v_add_co_u32 v47, vcc_lo, v80, v47
	v_lshlrev_b64 v[51:52], 4, v[51:52]
	v_ashrrev_i32_e32 v56, 31, v55
	v_add_co_ci_u32_e32 v48, vcc_lo, v235, v48, vcc_lo
	v_add_co_u32 v49, vcc_lo, v80, v49
	v_lshlrev_b64 v[53:54], 4, v[53:54]
	v_add_nc_u32_e32 v65, s8, v63
	v_ashrrev_i32_e32 v58, 31, v57
	v_add_co_ci_u32_e32 v50, vcc_lo, v235, v50, vcc_lo
	v_add_co_u32 v51, vcc_lo, v80, v51
	v_lshlrev_b64 v[55:56], 4, v[55:56]
	v_ashrrev_i32_e32 v60, 31, v59
	v_add_co_ci_u32_e32 v52, vcc_lo, v235, v52, vcc_lo
	v_add_nc_u32_e32 v67, s8, v65
	v_add_co_u32 v53, vcc_lo, v80, v53
	v_lshlrev_b64 v[57:58], 4, v[57:58]
	v_ashrrev_i32_e32 v62, 31, v61
	v_add_co_ci_u32_e32 v54, vcc_lo, v235, v54, vcc_lo
	v_add_co_u32 v55, vcc_lo, v80, v55
	v_lshlrev_b64 v[59:60], 4, v[59:60]
	v_ashrrev_i32_e32 v64, 31, v63
	v_add_nc_u32_e32 v69, s8, v67
	v_add_co_ci_u32_e32 v56, vcc_lo, v235, v56, vcc_lo
	v_add_co_u32 v57, vcc_lo, v80, v57
	v_lshlrev_b64 v[61:62], 4, v[61:62]
	v_ashrrev_i32_e32 v66, 31, v65
	v_add_co_ci_u32_e32 v58, vcc_lo, v235, v58, vcc_lo
	v_add_co_u32 v59, vcc_lo, v80, v59
	v_lshlrev_b64 v[63:64], 4, v[63:64]
	v_add_nc_u32_e32 v71, s8, v69
	v_ashrrev_i32_e32 v68, 31, v67
	v_add_co_ci_u32_e32 v60, vcc_lo, v235, v60, vcc_lo
	v_add_co_u32 v61, vcc_lo, v80, v61
	v_lshlrev_b64 v[65:66], 4, v[65:66]
	v_ashrrev_i32_e32 v70, 31, v69
	v_add_co_ci_u32_e32 v62, vcc_lo, v235, v62, vcc_lo
	v_add_nc_u32_e32 v73, s8, v71
	v_add_co_u32 v63, vcc_lo, v80, v63
	v_lshlrev_b64 v[67:68], 4, v[67:68]
	v_ashrrev_i32_e32 v72, 31, v71
	v_add_co_ci_u32_e32 v64, vcc_lo, v235, v64, vcc_lo
	v_add_co_u32 v65, vcc_lo, v80, v65
	v_lshlrev_b64 v[69:70], 4, v[69:70]
	v_add_nc_u32_e32 v75, s8, v73
	v_add_co_ci_u32_e32 v66, vcc_lo, v235, v66, vcc_lo
	v_add_co_u32 v67, vcc_lo, v80, v67
	v_lshlrev_b64 v[71:72], 4, v[71:72]
	v_ashrrev_i32_e32 v74, 31, v73
	v_add_co_ci_u32_e32 v68, vcc_lo, v235, v68, vcc_lo
	v_add_co_u32 v69, vcc_lo, v80, v69
	v_ashrrev_i32_e32 v76, 31, v75
	v_add_nc_u32_e32 v77, s8, v75
	v_add_co_ci_u32_e32 v70, vcc_lo, v235, v70, vcc_lo
	v_lshlrev_b64 v[73:74], 4, v[73:74]
	v_add_co_u32 v221, vcc_lo, v80, v71
	v_add_co_ci_u32_e32 v222, vcc_lo, v235, v72, vcc_lo
	v_lshlrev_b64 v[71:72], 4, v[75:76]
	v_ashrrev_i32_e32 v78, 31, v77
	v_add_nc_u32_e32 v75, s8, v77
	v_add_co_u32 v228, vcc_lo, v80, v73
	v_add_co_ci_u32_e32 v229, vcc_lo, v235, v74, vcc_lo
	s_delay_alu instid0(VALU_DEP_4) | instskip(NEXT) | instid1(VALU_DEP_4)
	v_lshlrev_b64 v[73:74], 4, v[77:78]
	v_ashrrev_i32_e32 v76, 31, v75
	v_add_nc_u32_e32 v77, s8, v75
	v_add_co_u32 v233, vcc_lo, v80, v71
	v_add_co_ci_u32_e32 v234, vcc_lo, v235, v72, vcc_lo
	s_delay_alu instid0(VALU_DEP_4) | instskip(NEXT) | instid1(VALU_DEP_4)
	;; [unrolled: 6-line block ×12, first 2 shown]
	v_lshlrev_b64 v[71:72], 4, v[75:76]
	v_add_nc_u32_e32 v75, s8, v77
	v_ashrrev_i32_e32 v78, 31, v77
	v_add_co_u32 v223, vcc_lo, v80, v73
	v_add_co_ci_u32_e32 v224, vcc_lo, v235, v74, vcc_lo
	s_delay_alu instid0(VALU_DEP_4) | instskip(NEXT) | instid1(VALU_DEP_4)
	v_ashrrev_i32_e32 v76, 31, v75
	v_lshlrev_b64 v[73:74], 4, v[77:78]
	v_add_co_u32 v225, vcc_lo, v80, v71
	v_add_co_ci_u32_e32 v226, vcc_lo, v235, v72, vcc_lo
	s_delay_alu instid0(VALU_DEP_4) | instskip(SKIP_3) | instid1(VALU_DEP_4)
	v_lshlrev_b64 v[71:72], 4, v[75:76]
	v_add_nc_u32_e32 v75, s8, v75
	v_add_co_u32 v212, vcc_lo, v80, v73
	v_add_co_ci_u32_e32 v213, vcc_lo, v235, v74, vcc_lo
	v_add_co_u32 v214, vcc_lo, v80, v71
	s_delay_alu instid0(VALU_DEP_4) | instskip(SKIP_3) | instid1(VALU_DEP_4)
	v_ashrrev_i32_e32 v76, 31, v75
	v_add_co_ci_u32_e32 v215, vcc_lo, v235, v72, vcc_lo
	v_add_co_u32 v73, vcc_lo, v80, v210
	v_add_co_ci_u32_e32 v74, vcc_lo, 0, v235, vcc_lo
	v_lshlrev_b64 v[71:72], 4, v[75:76]
	s_delay_alu instid0(VALU_DEP_3) | instskip(NEXT) | instid1(VALU_DEP_3)
	v_add_co_u32 v75, vcc_lo, v73, s10
	v_add_co_ci_u32_e32 v76, vcc_lo, s11, v74, vcc_lo
	s_delay_alu instid0(VALU_DEP_3) | instskip(NEXT) | instid1(VALU_DEP_4)
	v_add_co_u32 v208, vcc_lo, v80, v71
	v_add_co_ci_u32_e32 v209, vcc_lo, v235, v72, vcc_lo
	s_clause 0x1
	global_load_b128 v[216:219], v[73:74], off
	global_load_b128 v[71:74], v[75:76], off
	s_waitcnt vmcnt(0)
	scratch_store_b128 off, v[71:74], off offset:8 ; 16-byte Folded Spill
	global_load_b128 v[71:74], v[7:8], off
	s_waitcnt vmcnt(0)
	scratch_store_b128 off, v[71:74], off offset:24 ; 16-byte Folded Spill
	s_clause 0x1f
	global_load_b128 v[204:207], v[9:10], off
	global_load_b128 v[200:203], v[0:1], off
	;; [unrolled: 1-line block ×32, first 2 shown]
	s_clause 0xd
	global_load_b128 v[76:79], v[67:68], off
	global_load_b128 v[72:75], v[69:70], off
	;; [unrolled: 1-line block ×14, first 2 shown]
	v_mov_b32_e32 v228, 0
	s_clause 0x5
	global_load_b128 v[20:23], v[254:255], off
	global_load_b128 v[16:19], v[223:224], off
	;; [unrolled: 1-line block ×6, first 2 shown]
	v_mul_lo_u32 v208, s2, v220
	v_dual_mov_b32 v252, v219 :: v_dual_mov_b32 v251, v218
	v_dual_mov_b32 v250, v217 :: v_dual_mov_b32 v249, v216
	s_delay_alu instid0(VALU_DEP_3) | instskip(SKIP_1) | instid1(VALU_DEP_2)
	v_lshl_add_u32 v230, v208, 4, 0
	v_lshlrev_b32_e32 v234, 4, v208
	v_add_nc_u32_e32 v209, v230, v210
	ds_store_2addr_b64 v209, v[249:250], v[251:252] offset1:1
	s_waitcnt vmcnt(0) lgkmcnt(0)
	s_waitcnt_vscnt null, 0x0
	s_barrier
	buffer_gl0_inv
	ds_load_2addr_b64 v[220:223], v230 offset1:1
	s_cbranch_scc1 .LBB108_6
; %bb.4:
	v_add3_u32 v229, v234, 0, 16
	v_mov_b32_e32 v228, 0
	s_mov_b32 s6, 1
	s_set_inst_prefetch_distance 0x1
	.p2align	6
.LBB108_5:                              ; =>This Inner Loop Header: Depth=1
	ds_load_2addr_b64 v[236:239], v229 offset1:1
	s_waitcnt lgkmcnt(1)
	v_cmp_gt_f64_e32 vcc_lo, 0, v[220:221]
	v_xor_b32_e32 v208, 0x80000000, v221
	v_cmp_gt_f64_e64 s2, 0, v[222:223]
	v_xor_b32_e32 v210, 0x80000000, v223
	v_add_nc_u32_e32 v229, 16, v229
	s_waitcnt lgkmcnt(0)
	v_cmp_gt_f64_e64 s3, 0, v[236:237]
	v_mov_b32_e32 v212, v236
	v_dual_mov_b32 v214, v238 :: v_dual_cndmask_b32 v209, v221, v208
	v_xor_b32_e32 v208, 0x80000000, v237
	v_cndmask_b32_e64 v211, v223, v210, s2
	v_xor_b32_e32 v210, 0x80000000, v239
	s_delay_alu instid0(VALU_DEP_3) | instskip(SKIP_2) | instid1(VALU_DEP_2)
	v_cndmask_b32_e64 v213, v237, v208, s3
	v_cmp_gt_f64_e64 s3, 0, v[238:239]
	v_cndmask_b32_e32 v208, v220, v220, vcc_lo
	v_cndmask_b32_e64 v215, v239, v210, s3
	v_cndmask_b32_e64 v210, v222, v222, s2
	s_delay_alu instid0(VALU_DEP_2) | instskip(NEXT) | instid1(VALU_DEP_2)
	v_add_f64 v[212:213], v[212:213], v[214:215]
	v_add_f64 v[208:209], v[208:209], v[210:211]
	s_delay_alu instid0(VALU_DEP_1)
	v_cmp_lt_f64_e32 vcc_lo, v[208:209], v[212:213]
	v_cndmask_b32_e32 v223, v223, v239, vcc_lo
	v_dual_cndmask_b32 v221, v221, v237 :: v_dual_cndmask_b32 v220, v220, v236
	v_cndmask_b32_e32 v222, v222, v238, vcc_lo
	v_cndmask_b32_e64 v228, v228, s6, vcc_lo
	s_add_i32 s6, s6, 1
	s_delay_alu instid0(SALU_CYCLE_1)
	s_cmp_eq_u32 s5, s6
	s_cbranch_scc0 .LBB108_5
.LBB108_6:
	s_set_inst_prefetch_distance 0x2
	s_clause 0x2
	scratch_load_b64 v[224:225], off, off
	scratch_load_b128 v[245:248], off, off offset:8
	scratch_load_b128 v[241:244], off, off offset:24
	s_waitcnt lgkmcnt(0)
	v_cmp_neq_f64_e32 vcc_lo, 0, v[220:221]
	v_cmp_neq_f64_e64 s2, 0, v[222:223]
	v_mov_b32_e32 v233, 1
	v_mov_b32_e32 v237, 1
	s_delay_alu instid0(VALU_DEP_3) | instskip(NEXT) | instid1(SALU_CYCLE_1)
	s_or_b32 s2, vcc_lo, s2
	s_and_saveexec_b32 s3, s2
	s_cbranch_execz .LBB108_12
; %bb.7:
	v_cmp_gt_f64_e32 vcc_lo, 0, v[220:221]
	v_cmp_gt_f64_e64 s2, 0, v[222:223]
	v_xor_b32_e32 v208, 0x80000000, v221
	v_xor_b32_e32 v210, 0x80000000, v223
                                        ; implicit-def: $sgpr6
                                        ; implicit-def: $sgpr7
	s_delay_alu instid0(VALU_DEP_2) | instskip(NEXT) | instid1(VALU_DEP_2)
	v_cndmask_b32_e32 v209, v221, v208, vcc_lo
	v_cndmask_b32_e64 v211, v223, v210, s2
	v_cndmask_b32_e32 v208, v220, v220, vcc_lo
	v_cndmask_b32_e64 v210, v222, v222, s2
	s_mov_b32 s2, exec_lo
	s_delay_alu instid0(VALU_DEP_1)
	v_cmpx_ngt_f64_e32 v[208:209], v[210:211]
	s_xor_b32 s2, exec_lo, s2
	s_cbranch_execz .LBB108_9
; %bb.8:
	v_div_scale_f64 v[208:209], null, v[222:223], v[222:223], v[220:221]
	v_div_scale_f64 v[214:215], vcc_lo, v[220:221], v[222:223], v[220:221]
	s_mov_b32 s7, 2
	s_mov_b32 s6, 0
	s_delay_alu instid0(VALU_DEP_2) | instskip(SKIP_2) | instid1(VALU_DEP_1)
	v_rcp_f64_e32 v[210:211], v[208:209]
	s_waitcnt_depctr 0xfff
	v_fma_f64 v[212:213], -v[208:209], v[210:211], 1.0
	v_fma_f64 v[210:211], v[210:211], v[212:213], v[210:211]
	s_delay_alu instid0(VALU_DEP_1) | instskip(NEXT) | instid1(VALU_DEP_1)
	v_fma_f64 v[212:213], -v[208:209], v[210:211], 1.0
	v_fma_f64 v[210:211], v[210:211], v[212:213], v[210:211]
	s_delay_alu instid0(VALU_DEP_1) | instskip(NEXT) | instid1(VALU_DEP_1)
	v_mul_f64 v[212:213], v[214:215], v[210:211]
	v_fma_f64 v[208:209], -v[208:209], v[212:213], v[214:215]
	s_delay_alu instid0(VALU_DEP_1) | instskip(NEXT) | instid1(VALU_DEP_1)
	v_div_fmas_f64 v[208:209], v[208:209], v[210:211], v[212:213]
	v_div_fixup_f64 v[208:209], v[208:209], v[222:223], v[220:221]
	s_delay_alu instid0(VALU_DEP_1) | instskip(NEXT) | instid1(VALU_DEP_1)
	v_fma_f64 v[210:211], v[220:221], v[208:209], v[222:223]
	v_div_scale_f64 v[212:213], null, v[210:211], v[210:211], 1.0
	s_delay_alu instid0(VALU_DEP_1) | instskip(SKIP_2) | instid1(VALU_DEP_1)
	v_rcp_f64_e32 v[214:215], v[212:213]
	s_waitcnt_depctr 0xfff
	v_fma_f64 v[220:221], -v[212:213], v[214:215], 1.0
	v_fma_f64 v[214:215], v[214:215], v[220:221], v[214:215]
	s_delay_alu instid0(VALU_DEP_1) | instskip(NEXT) | instid1(VALU_DEP_1)
	v_fma_f64 v[220:221], -v[212:213], v[214:215], 1.0
	v_fma_f64 v[214:215], v[214:215], v[220:221], v[214:215]
	v_div_scale_f64 v[220:221], vcc_lo, 1.0, v[210:211], 1.0
	s_delay_alu instid0(VALU_DEP_1) | instskip(NEXT) | instid1(VALU_DEP_1)
	v_mul_f64 v[222:223], v[220:221], v[214:215]
	v_fma_f64 v[212:213], -v[212:213], v[222:223], v[220:221]
	s_delay_alu instid0(VALU_DEP_1) | instskip(NEXT) | instid1(VALU_DEP_1)
	v_div_fmas_f64 v[212:213], v[212:213], v[214:215], v[222:223]
	v_div_fixup_f64 v[222:223], v[212:213], v[210:211], 1.0
	s_delay_alu instid0(VALU_DEP_1)
	v_mul_f64 v[220:221], v[208:209], v[222:223]
	v_xor_b32_e32 v223, 0x80000000, v223
.LBB108_9:
	s_or_saveexec_b32 s2, s2
	v_mov_b32_e32 v237, s6
	v_mov_b32_e32 v233, s7
	s_xor_b32 exec_lo, exec_lo, s2
	s_cbranch_execz .LBB108_11
; %bb.10:
	s_delay_alu instid0(VALU_DEP_4) | instskip(SKIP_3) | instid1(VALU_DEP_4)
	v_div_scale_f64 v[208:209], null, v[220:221], v[220:221], v[222:223]
	v_div_scale_f64 v[214:215], vcc_lo, v[222:223], v[220:221], v[222:223]
	v_mov_b32_e32 v237, 0
	v_mov_b32_e32 v233, 2
	v_rcp_f64_e32 v[210:211], v[208:209]
	s_waitcnt_depctr 0xfff
	v_fma_f64 v[212:213], -v[208:209], v[210:211], 1.0
	s_delay_alu instid0(VALU_DEP_1) | instskip(NEXT) | instid1(VALU_DEP_1)
	v_fma_f64 v[210:211], v[210:211], v[212:213], v[210:211]
	v_fma_f64 v[212:213], -v[208:209], v[210:211], 1.0
	s_delay_alu instid0(VALU_DEP_1) | instskip(NEXT) | instid1(VALU_DEP_1)
	v_fma_f64 v[210:211], v[210:211], v[212:213], v[210:211]
	v_mul_f64 v[212:213], v[214:215], v[210:211]
	s_delay_alu instid0(VALU_DEP_1) | instskip(NEXT) | instid1(VALU_DEP_1)
	v_fma_f64 v[208:209], -v[208:209], v[212:213], v[214:215]
	v_div_fmas_f64 v[208:209], v[208:209], v[210:211], v[212:213]
	s_delay_alu instid0(VALU_DEP_1) | instskip(NEXT) | instid1(VALU_DEP_1)
	v_div_fixup_f64 v[208:209], v[208:209], v[220:221], v[222:223]
	v_fma_f64 v[210:211], v[222:223], v[208:209], v[220:221]
	s_delay_alu instid0(VALU_DEP_1) | instskip(NEXT) | instid1(VALU_DEP_1)
	v_div_scale_f64 v[212:213], null, v[210:211], v[210:211], 1.0
	v_rcp_f64_e32 v[214:215], v[212:213]
	s_waitcnt_depctr 0xfff
	v_fma_f64 v[220:221], -v[212:213], v[214:215], 1.0
	s_delay_alu instid0(VALU_DEP_1) | instskip(NEXT) | instid1(VALU_DEP_1)
	v_fma_f64 v[214:215], v[214:215], v[220:221], v[214:215]
	v_fma_f64 v[220:221], -v[212:213], v[214:215], 1.0
	s_delay_alu instid0(VALU_DEP_1) | instskip(SKIP_1) | instid1(VALU_DEP_1)
	v_fma_f64 v[214:215], v[214:215], v[220:221], v[214:215]
	v_div_scale_f64 v[220:221], vcc_lo, 1.0, v[210:211], 1.0
	v_mul_f64 v[222:223], v[220:221], v[214:215]
	s_delay_alu instid0(VALU_DEP_1) | instskip(NEXT) | instid1(VALU_DEP_1)
	v_fma_f64 v[212:213], -v[212:213], v[222:223], v[220:221]
	v_div_fmas_f64 v[212:213], v[212:213], v[214:215], v[222:223]
	s_delay_alu instid0(VALU_DEP_1) | instskip(NEXT) | instid1(VALU_DEP_1)
	v_div_fixup_f64 v[220:221], v[212:213], v[210:211], 1.0
	v_mul_f64 v[222:223], v[208:209], -v[220:221]
.LBB108_11:
	s_or_b32 exec_lo, exec_lo, s2
.LBB108_12:
	s_delay_alu instid0(SALU_CYCLE_1) | instskip(NEXT) | instid1(SALU_CYCLE_1)
	s_or_b32 exec_lo, exec_lo, s3
	s_mov_b32 s2, exec_lo
	v_cmpx_ne_u32_e64 v227, v228
	s_xor_b32 s2, exec_lo, s2
	s_cbranch_execz .LBB108_18
; %bb.13:
	s_mov_b32 s3, exec_lo
	v_cmpx_eq_u32_e32 0, v227
	s_cbranch_execz .LBB108_17
; %bb.14:
	v_cmp_ne_u32_e32 vcc_lo, 0, v228
	s_xor_b32 s6, s4, -1
	s_delay_alu instid0(SALU_CYCLE_1) | instskip(NEXT) | instid1(SALU_CYCLE_1)
	s_and_b32 s7, s6, vcc_lo
	s_and_saveexec_b32 s6, s7
	s_cbranch_execz .LBB108_16
; %bb.15:
	v_ashrrev_i32_e32 v229, 31, v228
	s_delay_alu instid0(VALU_DEP_1) | instskip(NEXT) | instid1(VALU_DEP_1)
	v_lshlrev_b64 v[208:209], 2, v[228:229]
	v_add_co_u32 v208, vcc_lo, v231, v208
	s_delay_alu instid0(VALU_DEP_2)
	v_add_co_ci_u32_e32 v209, vcc_lo, v232, v209, vcc_lo
	s_clause 0x1
	flat_load_b32 v210, v[208:209]
	flat_load_b32 v211, v[231:232]
	s_waitcnt vmcnt(1) lgkmcnt(1)
	flat_store_b32 v[231:232], v210
	s_waitcnt vmcnt(0) lgkmcnt(1)
	flat_store_b32 v[208:209], v211
.LBB108_16:
	s_or_b32 exec_lo, exec_lo, s6
	v_mov_b32_e32 v227, v228
.LBB108_17:
	s_or_b32 exec_lo, exec_lo, s3
.LBB108_18:
	s_or_saveexec_b32 s2, s2
	s_delay_alu instid0(VALU_DEP_1)
	v_mov_b32_e32 v236, v227
	s_xor_b32 exec_lo, exec_lo, s2
	s_cbranch_execz .LBB108_20
; %bb.19:
	v_mov_b32_e32 v236, 0
	s_waitcnt vmcnt(1)
	ds_store_2addr_b64 v230, v[245:246], v[247:248] offset0:2 offset1:3
	s_waitcnt vmcnt(0)
	ds_store_2addr_b64 v230, v[241:242], v[243:244] offset0:4 offset1:5
	ds_store_2addr_b64 v230, v[204:205], v[206:207] offset0:6 offset1:7
	;; [unrolled: 1-line block ×53, first 2 shown]
.LBB108_20:
	s_or_b32 exec_lo, exec_lo, s2
	s_delay_alu instid0(SALU_CYCLE_1)
	s_mov_b32 s2, exec_lo
	s_waitcnt vmcnt(0) lgkmcnt(0)
	s_waitcnt_vscnt null, 0x0
	s_barrier
	buffer_gl0_inv
	v_cmpx_lt_i32_e32 0, v236
	s_cbranch_execz .LBB108_22
; %bb.21:
	v_mul_f64 v[208:209], v[222:223], v[251:252]
	s_delay_alu instid0(VALU_DEP_1) | instskip(SKIP_1) | instid1(VALU_DEP_1)
	v_fma_f64 v[228:229], v[220:221], v[249:250], -v[208:209]
	v_mul_f64 v[208:209], v[220:221], v[251:252]
	v_fma_f64 v[251:252], v[222:223], v[249:250], v[208:209]
	ds_load_2addr_b64 v[220:223], v230 offset0:2 offset1:3
	v_dual_mov_b32 v250, v229 :: v_dual_mov_b32 v249, v228
	s_waitcnt lgkmcnt(0)
	v_mul_f64 v[208:209], v[222:223], v[251:252]
	v_mul_f64 v[210:211], v[220:221], v[251:252]
	s_delay_alu instid0(VALU_DEP_2) | instskip(NEXT) | instid1(VALU_DEP_2)
	v_fma_f64 v[208:209], v[220:221], v[228:229], -v[208:209]
	v_fma_f64 v[210:211], v[222:223], v[228:229], v[210:211]
	ds_load_2addr_b64 v[220:223], v230 offset0:4 offset1:5
	v_add_f64 v[245:246], v[245:246], -v[208:209]
	v_add_f64 v[247:248], v[247:248], -v[210:211]
	s_waitcnt lgkmcnt(0)
	v_mul_f64 v[208:209], v[222:223], v[251:252]
	v_mul_f64 v[210:211], v[220:221], v[251:252]
	s_delay_alu instid0(VALU_DEP_2) | instskip(NEXT) | instid1(VALU_DEP_2)
	v_fma_f64 v[208:209], v[220:221], v[228:229], -v[208:209]
	v_fma_f64 v[210:211], v[222:223], v[228:229], v[210:211]
	ds_load_2addr_b64 v[220:223], v230 offset0:6 offset1:7
	v_add_f64 v[241:242], v[241:242], -v[208:209]
	v_add_f64 v[243:244], v[243:244], -v[210:211]
	;; [unrolled: 9-line block ×53, first 2 shown]
	s_waitcnt lgkmcnt(0)
	v_mul_f64 v[208:209], v[222:223], v[251:252]
	v_mul_f64 v[210:211], v[220:221], v[251:252]
	s_delay_alu instid0(VALU_DEP_2) | instskip(NEXT) | instid1(VALU_DEP_2)
	v_fma_f64 v[208:209], v[220:221], v[228:229], -v[208:209]
	v_fma_f64 v[210:211], v[222:223], v[228:229], v[210:211]
	s_delay_alu instid0(VALU_DEP_2) | instskip(NEXT) | instid1(VALU_DEP_2)
	v_add_f64 v[0:1], v[0:1], -v[208:209]
	v_add_f64 v[2:3], v[2:3], -v[210:211]
.LBB108_22:
	s_or_b32 exec_lo, exec_lo, s2
	v_lshl_add_u32 v208, v236, 4, v230
	s_barrier
	buffer_gl0_inv
	v_mov_b32_e32 v228, 1
	ds_store_2addr_b64 v208, v[245:246], v[247:248] offset1:1
	s_waitcnt lgkmcnt(0)
	s_barrier
	buffer_gl0_inv
	ds_load_2addr_b64 v[220:223], v230 offset0:2 offset1:3
	s_cmp_lt_i32 s5, 3
	s_cbranch_scc1 .LBB108_26
; %bb.23:
	v_dual_mov_b32 v216, v241 :: v_dual_mov_b32 v217, v242
	v_dual_mov_b32 v218, v243 :: v_dual_mov_b32 v219, v244
	v_add3_u32 v229, v234, 0, 32
	v_mov_b32_e32 v228, 1
	s_mov_b32 s6, 2
	s_set_inst_prefetch_distance 0x1
	.p2align	6
.LBB108_24:                             ; =>This Inner Loop Header: Depth=1
	ds_load_2addr_b64 v[238:241], v229 offset1:1
	s_waitcnt lgkmcnt(1)
	v_cmp_gt_f64_e32 vcc_lo, 0, v[220:221]
	v_xor_b32_e32 v208, 0x80000000, v221
	v_cmp_gt_f64_e64 s2, 0, v[222:223]
	v_xor_b32_e32 v210, 0x80000000, v223
	v_add_nc_u32_e32 v229, 16, v229
	s_waitcnt lgkmcnt(0)
	v_cmp_gt_f64_e64 s3, 0, v[238:239]
	v_mov_b32_e32 v212, v238
	v_dual_mov_b32 v214, v240 :: v_dual_cndmask_b32 v209, v221, v208
	v_xor_b32_e32 v208, 0x80000000, v239
	v_cndmask_b32_e64 v211, v223, v210, s2
	v_xor_b32_e32 v210, 0x80000000, v241
	s_delay_alu instid0(VALU_DEP_3) | instskip(SKIP_2) | instid1(VALU_DEP_2)
	v_cndmask_b32_e64 v213, v239, v208, s3
	v_cmp_gt_f64_e64 s3, 0, v[240:241]
	v_cndmask_b32_e32 v208, v220, v220, vcc_lo
	v_cndmask_b32_e64 v215, v241, v210, s3
	v_cndmask_b32_e64 v210, v222, v222, s2
	s_delay_alu instid0(VALU_DEP_2) | instskip(NEXT) | instid1(VALU_DEP_2)
	v_add_f64 v[212:213], v[212:213], v[214:215]
	v_add_f64 v[208:209], v[208:209], v[210:211]
	s_delay_alu instid0(VALU_DEP_1)
	v_cmp_lt_f64_e32 vcc_lo, v[208:209], v[212:213]
	v_cndmask_b32_e32 v223, v223, v241, vcc_lo
	v_dual_cndmask_b32 v221, v221, v239 :: v_dual_cndmask_b32 v220, v220, v238
	v_cndmask_b32_e32 v222, v222, v240, vcc_lo
	v_cndmask_b32_e64 v228, v228, s6, vcc_lo
	s_add_i32 s6, s6, 1
	s_delay_alu instid0(SALU_CYCLE_1)
	s_cmp_lg_u32 s5, s6
	s_cbranch_scc1 .LBB108_24
; %bb.25:
	s_set_inst_prefetch_distance 0x2
	v_dual_mov_b32 v244, v219 :: v_dual_mov_b32 v243, v218
	v_dual_mov_b32 v242, v217 :: v_dual_mov_b32 v241, v216
.LBB108_26:
	s_waitcnt lgkmcnt(0)
	v_cmp_neq_f64_e32 vcc_lo, 0, v[220:221]
	v_cmp_neq_f64_e64 s2, 0, v[222:223]
	s_delay_alu instid0(VALU_DEP_1) | instskip(NEXT) | instid1(SALU_CYCLE_1)
	s_or_b32 s2, vcc_lo, s2
	s_and_saveexec_b32 s3, s2
	s_cbranch_execz .LBB108_32
; %bb.27:
	v_cmp_gt_f64_e32 vcc_lo, 0, v[220:221]
	v_cmp_gt_f64_e64 s2, 0, v[222:223]
	v_xor_b32_e32 v208, 0x80000000, v221
	v_xor_b32_e32 v210, 0x80000000, v223
	s_delay_alu instid0(VALU_DEP_2) | instskip(NEXT) | instid1(VALU_DEP_2)
	v_cndmask_b32_e32 v209, v221, v208, vcc_lo
	v_cndmask_b32_e64 v211, v223, v210, s2
	v_cndmask_b32_e32 v208, v220, v220, vcc_lo
	v_cndmask_b32_e64 v210, v222, v222, s2
	s_mov_b32 s2, exec_lo
	s_delay_alu instid0(VALU_DEP_1)
	v_cmpx_ngt_f64_e32 v[208:209], v[210:211]
	s_xor_b32 s2, exec_lo, s2
	s_cbranch_execz .LBB108_29
; %bb.28:
	v_div_scale_f64 v[208:209], null, v[222:223], v[222:223], v[220:221]
	v_div_scale_f64 v[214:215], vcc_lo, v[220:221], v[222:223], v[220:221]
	s_delay_alu instid0(VALU_DEP_2) | instskip(SKIP_2) | instid1(VALU_DEP_1)
	v_rcp_f64_e32 v[210:211], v[208:209]
	s_waitcnt_depctr 0xfff
	v_fma_f64 v[212:213], -v[208:209], v[210:211], 1.0
	v_fma_f64 v[210:211], v[210:211], v[212:213], v[210:211]
	s_delay_alu instid0(VALU_DEP_1) | instskip(NEXT) | instid1(VALU_DEP_1)
	v_fma_f64 v[212:213], -v[208:209], v[210:211], 1.0
	v_fma_f64 v[210:211], v[210:211], v[212:213], v[210:211]
	s_delay_alu instid0(VALU_DEP_1) | instskip(NEXT) | instid1(VALU_DEP_1)
	v_mul_f64 v[212:213], v[214:215], v[210:211]
	v_fma_f64 v[208:209], -v[208:209], v[212:213], v[214:215]
	s_delay_alu instid0(VALU_DEP_1) | instskip(NEXT) | instid1(VALU_DEP_1)
	v_div_fmas_f64 v[208:209], v[208:209], v[210:211], v[212:213]
	v_div_fixup_f64 v[208:209], v[208:209], v[222:223], v[220:221]
	s_delay_alu instid0(VALU_DEP_1) | instskip(NEXT) | instid1(VALU_DEP_1)
	v_fma_f64 v[210:211], v[220:221], v[208:209], v[222:223]
	v_div_scale_f64 v[212:213], null, v[210:211], v[210:211], 1.0
	s_delay_alu instid0(VALU_DEP_1) | instskip(SKIP_2) | instid1(VALU_DEP_1)
	v_rcp_f64_e32 v[214:215], v[212:213]
	s_waitcnt_depctr 0xfff
	v_fma_f64 v[220:221], -v[212:213], v[214:215], 1.0
	v_fma_f64 v[214:215], v[214:215], v[220:221], v[214:215]
	s_delay_alu instid0(VALU_DEP_1) | instskip(NEXT) | instid1(VALU_DEP_1)
	v_fma_f64 v[220:221], -v[212:213], v[214:215], 1.0
	v_fma_f64 v[214:215], v[214:215], v[220:221], v[214:215]
	v_div_scale_f64 v[220:221], vcc_lo, 1.0, v[210:211], 1.0
	s_delay_alu instid0(VALU_DEP_1) | instskip(NEXT) | instid1(VALU_DEP_1)
	v_mul_f64 v[222:223], v[220:221], v[214:215]
	v_fma_f64 v[212:213], -v[212:213], v[222:223], v[220:221]
	s_delay_alu instid0(VALU_DEP_1) | instskip(NEXT) | instid1(VALU_DEP_1)
	v_div_fmas_f64 v[212:213], v[212:213], v[214:215], v[222:223]
	v_div_fixup_f64 v[222:223], v[212:213], v[210:211], 1.0
	s_delay_alu instid0(VALU_DEP_1)
	v_mul_f64 v[220:221], v[208:209], v[222:223]
	v_xor_b32_e32 v223, 0x80000000, v223
.LBB108_29:
	s_and_not1_saveexec_b32 s2, s2
	s_cbranch_execz .LBB108_31
; %bb.30:
	s_delay_alu instid0(VALU_DEP_1) | instskip(SKIP_1) | instid1(VALU_DEP_2)
	v_div_scale_f64 v[208:209], null, v[220:221], v[220:221], v[222:223]
	v_div_scale_f64 v[214:215], vcc_lo, v[222:223], v[220:221], v[222:223]
	v_rcp_f64_e32 v[210:211], v[208:209]
	s_waitcnt_depctr 0xfff
	v_fma_f64 v[212:213], -v[208:209], v[210:211], 1.0
	s_delay_alu instid0(VALU_DEP_1) | instskip(NEXT) | instid1(VALU_DEP_1)
	v_fma_f64 v[210:211], v[210:211], v[212:213], v[210:211]
	v_fma_f64 v[212:213], -v[208:209], v[210:211], 1.0
	s_delay_alu instid0(VALU_DEP_1) | instskip(NEXT) | instid1(VALU_DEP_1)
	v_fma_f64 v[210:211], v[210:211], v[212:213], v[210:211]
	v_mul_f64 v[212:213], v[214:215], v[210:211]
	s_delay_alu instid0(VALU_DEP_1) | instskip(NEXT) | instid1(VALU_DEP_1)
	v_fma_f64 v[208:209], -v[208:209], v[212:213], v[214:215]
	v_div_fmas_f64 v[208:209], v[208:209], v[210:211], v[212:213]
	s_delay_alu instid0(VALU_DEP_1) | instskip(NEXT) | instid1(VALU_DEP_1)
	v_div_fixup_f64 v[208:209], v[208:209], v[220:221], v[222:223]
	v_fma_f64 v[210:211], v[222:223], v[208:209], v[220:221]
	s_delay_alu instid0(VALU_DEP_1) | instskip(NEXT) | instid1(VALU_DEP_1)
	v_div_scale_f64 v[212:213], null, v[210:211], v[210:211], 1.0
	v_rcp_f64_e32 v[214:215], v[212:213]
	s_waitcnt_depctr 0xfff
	v_fma_f64 v[220:221], -v[212:213], v[214:215], 1.0
	s_delay_alu instid0(VALU_DEP_1) | instskip(NEXT) | instid1(VALU_DEP_1)
	v_fma_f64 v[214:215], v[214:215], v[220:221], v[214:215]
	v_fma_f64 v[220:221], -v[212:213], v[214:215], 1.0
	s_delay_alu instid0(VALU_DEP_1) | instskip(SKIP_1) | instid1(VALU_DEP_1)
	v_fma_f64 v[214:215], v[214:215], v[220:221], v[214:215]
	v_div_scale_f64 v[220:221], vcc_lo, 1.0, v[210:211], 1.0
	v_mul_f64 v[222:223], v[220:221], v[214:215]
	s_delay_alu instid0(VALU_DEP_1) | instskip(NEXT) | instid1(VALU_DEP_1)
	v_fma_f64 v[212:213], -v[212:213], v[222:223], v[220:221]
	v_div_fmas_f64 v[212:213], v[212:213], v[214:215], v[222:223]
	s_delay_alu instid0(VALU_DEP_1) | instskip(NEXT) | instid1(VALU_DEP_1)
	v_div_fixup_f64 v[220:221], v[212:213], v[210:211], 1.0
	v_mul_f64 v[222:223], v[208:209], -v[220:221]
.LBB108_31:
	s_or_b32 exec_lo, exec_lo, s2
	v_mov_b32_e32 v233, v237
.LBB108_32:
	s_or_b32 exec_lo, exec_lo, s3
	s_delay_alu instid0(SALU_CYCLE_1)
	s_mov_b32 s2, exec_lo
	v_cmpx_ne_u32_e64 v236, v228
	s_xor_b32 s2, exec_lo, s2
	s_cbranch_execz .LBB108_38
; %bb.33:
	s_mov_b32 s3, exec_lo
	v_cmpx_eq_u32_e32 1, v236
	s_cbranch_execz .LBB108_37
; %bb.34:
	v_cmp_ne_u32_e32 vcc_lo, 1, v228
	s_xor_b32 s6, s4, -1
	s_delay_alu instid0(SALU_CYCLE_1) | instskip(NEXT) | instid1(SALU_CYCLE_1)
	s_and_b32 s7, s6, vcc_lo
	s_and_saveexec_b32 s6, s7
	s_cbranch_execz .LBB108_36
; %bb.35:
	v_ashrrev_i32_e32 v229, 31, v228
	s_delay_alu instid0(VALU_DEP_1) | instskip(NEXT) | instid1(VALU_DEP_1)
	v_lshlrev_b64 v[208:209], 2, v[228:229]
	v_add_co_u32 v208, vcc_lo, v231, v208
	s_delay_alu instid0(VALU_DEP_2)
	v_add_co_ci_u32_e32 v209, vcc_lo, v232, v209, vcc_lo
	s_clause 0x1
	flat_load_b32 v210, v[208:209]
	flat_load_b32 v211, v[231:232] offset:4
	s_waitcnt vmcnt(1) lgkmcnt(1)
	flat_store_b32 v[231:232], v210 offset:4
	s_waitcnt vmcnt(0) lgkmcnt(1)
	flat_store_b32 v[208:209], v211
.LBB108_36:
	s_or_b32 exec_lo, exec_lo, s6
	v_mov_b32_e32 v236, v228
	v_mov_b32_e32 v227, v228
.LBB108_37:
	s_or_b32 exec_lo, exec_lo, s3
.LBB108_38:
	s_and_not1_saveexec_b32 s2, s2
	s_cbranch_execz .LBB108_40
; %bb.39:
	v_mov_b32_e32 v236, 1
	ds_store_2addr_b64 v230, v[241:242], v[243:244] offset0:4 offset1:5
	ds_store_2addr_b64 v230, v[204:205], v[206:207] offset0:6 offset1:7
	;; [unrolled: 1-line block ×53, first 2 shown]
.LBB108_40:
	s_or_b32 exec_lo, exec_lo, s2
	s_delay_alu instid0(SALU_CYCLE_1)
	s_mov_b32 s2, exec_lo
	s_waitcnt lgkmcnt(0)
	s_waitcnt_vscnt null, 0x0
	s_barrier
	buffer_gl0_inv
	v_cmpx_lt_i32_e32 1, v236
	s_cbranch_execz .LBB108_42
; %bb.41:
	v_mul_f64 v[208:209], v[222:223], v[247:248]
	s_delay_alu instid0(VALU_DEP_1) | instskip(SKIP_1) | instid1(VALU_DEP_1)
	v_fma_f64 v[228:229], v[220:221], v[245:246], -v[208:209]
	v_mul_f64 v[208:209], v[220:221], v[247:248]
	v_fma_f64 v[247:248], v[222:223], v[245:246], v[208:209]
	ds_load_2addr_b64 v[220:223], v230 offset0:4 offset1:5
	v_dual_mov_b32 v246, v229 :: v_dual_mov_b32 v245, v228
	s_waitcnt lgkmcnt(0)
	v_mul_f64 v[208:209], v[222:223], v[247:248]
	v_mul_f64 v[210:211], v[220:221], v[247:248]
	s_delay_alu instid0(VALU_DEP_2) | instskip(NEXT) | instid1(VALU_DEP_2)
	v_fma_f64 v[208:209], v[220:221], v[228:229], -v[208:209]
	v_fma_f64 v[210:211], v[222:223], v[228:229], v[210:211]
	ds_load_2addr_b64 v[220:223], v230 offset0:6 offset1:7
	v_add_f64 v[241:242], v[241:242], -v[208:209]
	v_add_f64 v[243:244], v[243:244], -v[210:211]
	s_waitcnt lgkmcnt(0)
	v_mul_f64 v[208:209], v[222:223], v[247:248]
	v_mul_f64 v[210:211], v[220:221], v[247:248]
	s_delay_alu instid0(VALU_DEP_2) | instskip(NEXT) | instid1(VALU_DEP_2)
	v_fma_f64 v[208:209], v[220:221], v[228:229], -v[208:209]
	v_fma_f64 v[210:211], v[222:223], v[228:229], v[210:211]
	ds_load_2addr_b64 v[220:223], v230 offset0:8 offset1:9
	v_add_f64 v[204:205], v[204:205], -v[208:209]
	v_add_f64 v[206:207], v[206:207], -v[210:211]
	;; [unrolled: 9-line block ×52, first 2 shown]
	s_waitcnt lgkmcnt(0)
	v_mul_f64 v[208:209], v[222:223], v[247:248]
	v_mul_f64 v[210:211], v[220:221], v[247:248]
	s_delay_alu instid0(VALU_DEP_2) | instskip(NEXT) | instid1(VALU_DEP_2)
	v_fma_f64 v[208:209], v[220:221], v[228:229], -v[208:209]
	v_fma_f64 v[210:211], v[222:223], v[228:229], v[210:211]
	s_delay_alu instid0(VALU_DEP_2) | instskip(NEXT) | instid1(VALU_DEP_2)
	v_add_f64 v[0:1], v[0:1], -v[208:209]
	v_add_f64 v[2:3], v[2:3], -v[210:211]
.LBB108_42:
	s_or_b32 exec_lo, exec_lo, s2
	v_lshl_add_u32 v208, v236, 4, v230
	s_barrier
	buffer_gl0_inv
	v_mov_b32_e32 v228, 2
	ds_store_2addr_b64 v208, v[241:242], v[243:244] offset1:1
	s_waitcnt lgkmcnt(0)
	s_barrier
	buffer_gl0_inv
	ds_load_2addr_b64 v[220:223], v230 offset0:4 offset1:5
	s_cmp_lt_i32 s5, 4
	s_cbranch_scc1 .LBB108_45
; %bb.43:
	v_add3_u32 v229, v234, 0, 48
	v_mov_b32_e32 v228, 2
	s_mov_b32 s6, 3
	s_set_inst_prefetch_distance 0x1
	.p2align	6
.LBB108_44:                             ; =>This Inner Loop Header: Depth=1
	ds_load_2addr_b64 v[237:240], v229 offset1:1
	s_waitcnt lgkmcnt(1)
	v_cmp_gt_f64_e32 vcc_lo, 0, v[220:221]
	v_xor_b32_e32 v208, 0x80000000, v221
	v_cmp_gt_f64_e64 s2, 0, v[222:223]
	v_xor_b32_e32 v210, 0x80000000, v223
	v_add_nc_u32_e32 v229, 16, v229
	s_waitcnt lgkmcnt(0)
	v_cmp_gt_f64_e64 s3, 0, v[237:238]
	v_mov_b32_e32 v212, v237
	v_dual_mov_b32 v214, v239 :: v_dual_cndmask_b32 v209, v221, v208
	v_xor_b32_e32 v208, 0x80000000, v238
	v_cndmask_b32_e64 v211, v223, v210, s2
	v_xor_b32_e32 v210, 0x80000000, v240
	s_delay_alu instid0(VALU_DEP_3) | instskip(SKIP_2) | instid1(VALU_DEP_2)
	v_cndmask_b32_e64 v213, v238, v208, s3
	v_cmp_gt_f64_e64 s3, 0, v[239:240]
	v_cndmask_b32_e32 v208, v220, v220, vcc_lo
	v_cndmask_b32_e64 v215, v240, v210, s3
	v_cndmask_b32_e64 v210, v222, v222, s2
	s_delay_alu instid0(VALU_DEP_2) | instskip(NEXT) | instid1(VALU_DEP_2)
	v_add_f64 v[212:213], v[212:213], v[214:215]
	v_add_f64 v[208:209], v[208:209], v[210:211]
	s_delay_alu instid0(VALU_DEP_1) | instskip(SKIP_4) | instid1(SALU_CYCLE_1)
	v_cmp_lt_f64_e32 vcc_lo, v[208:209], v[212:213]
	v_dual_cndmask_b32 v221, v221, v238 :: v_dual_cndmask_b32 v220, v220, v237
	v_dual_cndmask_b32 v223, v223, v240 :: v_dual_cndmask_b32 v222, v222, v239
	v_cndmask_b32_e64 v228, v228, s6, vcc_lo
	s_add_i32 s6, s6, 1
	s_cmp_lg_u32 s5, s6
	s_cbranch_scc1 .LBB108_44
.LBB108_45:
	s_set_inst_prefetch_distance 0x2
	s_waitcnt lgkmcnt(0)
	v_cmp_eq_f64_e32 vcc_lo, 0, v[220:221]
	v_cmp_eq_f64_e64 s2, 0, v[222:223]
	s_delay_alu instid0(VALU_DEP_1) | instskip(NEXT) | instid1(SALU_CYCLE_1)
	s_and_b32 s2, vcc_lo, s2
	s_and_saveexec_b32 s3, s2
	s_delay_alu instid0(SALU_CYCLE_1)
	s_xor_b32 s2, exec_lo, s3
; %bb.46:
	v_cmp_ne_u32_e32 vcc_lo, 0, v233
	v_cndmask_b32_e32 v233, 3, v233, vcc_lo
; %bb.47:
	s_and_not1_saveexec_b32 s3, s2
	s_cbranch_execz .LBB108_53
; %bb.48:
	v_cmp_gt_f64_e32 vcc_lo, 0, v[220:221]
	v_cmp_gt_f64_e64 s2, 0, v[222:223]
	v_xor_b32_e32 v208, 0x80000000, v221
	v_xor_b32_e32 v210, 0x80000000, v223
	s_delay_alu instid0(VALU_DEP_2) | instskip(NEXT) | instid1(VALU_DEP_2)
	v_cndmask_b32_e32 v209, v221, v208, vcc_lo
	v_cndmask_b32_e64 v211, v223, v210, s2
	v_cndmask_b32_e32 v208, v220, v220, vcc_lo
	v_cndmask_b32_e64 v210, v222, v222, s2
	s_mov_b32 s2, exec_lo
	s_delay_alu instid0(VALU_DEP_1)
	v_cmpx_ngt_f64_e32 v[208:209], v[210:211]
	s_xor_b32 s2, exec_lo, s2
	s_cbranch_execz .LBB108_50
; %bb.49:
	v_div_scale_f64 v[208:209], null, v[222:223], v[222:223], v[220:221]
	v_div_scale_f64 v[214:215], vcc_lo, v[220:221], v[222:223], v[220:221]
	s_delay_alu instid0(VALU_DEP_2) | instskip(SKIP_2) | instid1(VALU_DEP_1)
	v_rcp_f64_e32 v[210:211], v[208:209]
	s_waitcnt_depctr 0xfff
	v_fma_f64 v[212:213], -v[208:209], v[210:211], 1.0
	v_fma_f64 v[210:211], v[210:211], v[212:213], v[210:211]
	s_delay_alu instid0(VALU_DEP_1) | instskip(NEXT) | instid1(VALU_DEP_1)
	v_fma_f64 v[212:213], -v[208:209], v[210:211], 1.0
	v_fma_f64 v[210:211], v[210:211], v[212:213], v[210:211]
	s_delay_alu instid0(VALU_DEP_1) | instskip(NEXT) | instid1(VALU_DEP_1)
	v_mul_f64 v[212:213], v[214:215], v[210:211]
	v_fma_f64 v[208:209], -v[208:209], v[212:213], v[214:215]
	s_delay_alu instid0(VALU_DEP_1) | instskip(NEXT) | instid1(VALU_DEP_1)
	v_div_fmas_f64 v[208:209], v[208:209], v[210:211], v[212:213]
	v_div_fixup_f64 v[208:209], v[208:209], v[222:223], v[220:221]
	s_delay_alu instid0(VALU_DEP_1) | instskip(NEXT) | instid1(VALU_DEP_1)
	v_fma_f64 v[210:211], v[220:221], v[208:209], v[222:223]
	v_div_scale_f64 v[212:213], null, v[210:211], v[210:211], 1.0
	s_delay_alu instid0(VALU_DEP_1) | instskip(SKIP_2) | instid1(VALU_DEP_1)
	v_rcp_f64_e32 v[214:215], v[212:213]
	s_waitcnt_depctr 0xfff
	v_fma_f64 v[220:221], -v[212:213], v[214:215], 1.0
	v_fma_f64 v[214:215], v[214:215], v[220:221], v[214:215]
	s_delay_alu instid0(VALU_DEP_1) | instskip(NEXT) | instid1(VALU_DEP_1)
	v_fma_f64 v[220:221], -v[212:213], v[214:215], 1.0
	v_fma_f64 v[214:215], v[214:215], v[220:221], v[214:215]
	v_div_scale_f64 v[220:221], vcc_lo, 1.0, v[210:211], 1.0
	s_delay_alu instid0(VALU_DEP_1) | instskip(NEXT) | instid1(VALU_DEP_1)
	v_mul_f64 v[222:223], v[220:221], v[214:215]
	v_fma_f64 v[212:213], -v[212:213], v[222:223], v[220:221]
	s_delay_alu instid0(VALU_DEP_1) | instskip(NEXT) | instid1(VALU_DEP_1)
	v_div_fmas_f64 v[212:213], v[212:213], v[214:215], v[222:223]
	v_div_fixup_f64 v[222:223], v[212:213], v[210:211], 1.0
	s_delay_alu instid0(VALU_DEP_1)
	v_mul_f64 v[220:221], v[208:209], v[222:223]
	v_xor_b32_e32 v223, 0x80000000, v223
.LBB108_50:
	s_and_not1_saveexec_b32 s2, s2
	s_cbranch_execz .LBB108_52
; %bb.51:
	s_delay_alu instid0(VALU_DEP_1) | instskip(SKIP_1) | instid1(VALU_DEP_2)
	v_div_scale_f64 v[208:209], null, v[220:221], v[220:221], v[222:223]
	v_div_scale_f64 v[214:215], vcc_lo, v[222:223], v[220:221], v[222:223]
	v_rcp_f64_e32 v[210:211], v[208:209]
	s_waitcnt_depctr 0xfff
	v_fma_f64 v[212:213], -v[208:209], v[210:211], 1.0
	s_delay_alu instid0(VALU_DEP_1) | instskip(NEXT) | instid1(VALU_DEP_1)
	v_fma_f64 v[210:211], v[210:211], v[212:213], v[210:211]
	v_fma_f64 v[212:213], -v[208:209], v[210:211], 1.0
	s_delay_alu instid0(VALU_DEP_1) | instskip(NEXT) | instid1(VALU_DEP_1)
	v_fma_f64 v[210:211], v[210:211], v[212:213], v[210:211]
	v_mul_f64 v[212:213], v[214:215], v[210:211]
	s_delay_alu instid0(VALU_DEP_1) | instskip(NEXT) | instid1(VALU_DEP_1)
	v_fma_f64 v[208:209], -v[208:209], v[212:213], v[214:215]
	v_div_fmas_f64 v[208:209], v[208:209], v[210:211], v[212:213]
	s_delay_alu instid0(VALU_DEP_1) | instskip(NEXT) | instid1(VALU_DEP_1)
	v_div_fixup_f64 v[208:209], v[208:209], v[220:221], v[222:223]
	v_fma_f64 v[210:211], v[222:223], v[208:209], v[220:221]
	s_delay_alu instid0(VALU_DEP_1) | instskip(NEXT) | instid1(VALU_DEP_1)
	v_div_scale_f64 v[212:213], null, v[210:211], v[210:211], 1.0
	v_rcp_f64_e32 v[214:215], v[212:213]
	s_waitcnt_depctr 0xfff
	v_fma_f64 v[220:221], -v[212:213], v[214:215], 1.0
	s_delay_alu instid0(VALU_DEP_1) | instskip(NEXT) | instid1(VALU_DEP_1)
	v_fma_f64 v[214:215], v[214:215], v[220:221], v[214:215]
	v_fma_f64 v[220:221], -v[212:213], v[214:215], 1.0
	s_delay_alu instid0(VALU_DEP_1) | instskip(SKIP_1) | instid1(VALU_DEP_1)
	v_fma_f64 v[214:215], v[214:215], v[220:221], v[214:215]
	v_div_scale_f64 v[220:221], vcc_lo, 1.0, v[210:211], 1.0
	v_mul_f64 v[222:223], v[220:221], v[214:215]
	s_delay_alu instid0(VALU_DEP_1) | instskip(NEXT) | instid1(VALU_DEP_1)
	v_fma_f64 v[212:213], -v[212:213], v[222:223], v[220:221]
	v_div_fmas_f64 v[212:213], v[212:213], v[214:215], v[222:223]
	s_delay_alu instid0(VALU_DEP_1) | instskip(NEXT) | instid1(VALU_DEP_1)
	v_div_fixup_f64 v[220:221], v[212:213], v[210:211], 1.0
	v_mul_f64 v[222:223], v[208:209], -v[220:221]
.LBB108_52:
	s_or_b32 exec_lo, exec_lo, s2
.LBB108_53:
	s_delay_alu instid0(SALU_CYCLE_1) | instskip(NEXT) | instid1(SALU_CYCLE_1)
	s_or_b32 exec_lo, exec_lo, s3
	s_mov_b32 s2, exec_lo
	v_cmpx_ne_u32_e64 v236, v228
	s_xor_b32 s2, exec_lo, s2
	s_cbranch_execz .LBB108_59
; %bb.54:
	s_mov_b32 s3, exec_lo
	v_cmpx_eq_u32_e32 2, v236
	s_cbranch_execz .LBB108_58
; %bb.55:
	v_cmp_ne_u32_e32 vcc_lo, 2, v228
	s_xor_b32 s6, s4, -1
	s_delay_alu instid0(SALU_CYCLE_1) | instskip(NEXT) | instid1(SALU_CYCLE_1)
	s_and_b32 s7, s6, vcc_lo
	s_and_saveexec_b32 s6, s7
	s_cbranch_execz .LBB108_57
; %bb.56:
	v_ashrrev_i32_e32 v229, 31, v228
	s_delay_alu instid0(VALU_DEP_1) | instskip(NEXT) | instid1(VALU_DEP_1)
	v_lshlrev_b64 v[208:209], 2, v[228:229]
	v_add_co_u32 v208, vcc_lo, v231, v208
	s_delay_alu instid0(VALU_DEP_2)
	v_add_co_ci_u32_e32 v209, vcc_lo, v232, v209, vcc_lo
	s_clause 0x1
	flat_load_b32 v210, v[208:209]
	flat_load_b32 v211, v[231:232] offset:8
	s_waitcnt vmcnt(1) lgkmcnt(1)
	flat_store_b32 v[231:232], v210 offset:8
	s_waitcnt vmcnt(0) lgkmcnt(1)
	flat_store_b32 v[208:209], v211
.LBB108_57:
	s_or_b32 exec_lo, exec_lo, s6
	v_mov_b32_e32 v236, v228
	v_mov_b32_e32 v227, v228
.LBB108_58:
	s_or_b32 exec_lo, exec_lo, s3
.LBB108_59:
	s_and_not1_saveexec_b32 s2, s2
	s_cbranch_execz .LBB108_61
; %bb.60:
	v_mov_b32_e32 v236, 2
	ds_store_2addr_b64 v230, v[204:205], v[206:207] offset0:6 offset1:7
	ds_store_2addr_b64 v230, v[200:201], v[202:203] offset0:8 offset1:9
	;; [unrolled: 1-line block ×52, first 2 shown]
.LBB108_61:
	s_or_b32 exec_lo, exec_lo, s2
	s_delay_alu instid0(SALU_CYCLE_1)
	s_mov_b32 s2, exec_lo
	s_waitcnt lgkmcnt(0)
	s_waitcnt_vscnt null, 0x0
	s_barrier
	buffer_gl0_inv
	v_cmpx_lt_i32_e32 2, v236
	s_cbranch_execz .LBB108_63
; %bb.62:
	v_mul_f64 v[208:209], v[222:223], v[243:244]
	s_delay_alu instid0(VALU_DEP_1) | instskip(SKIP_1) | instid1(VALU_DEP_1)
	v_fma_f64 v[228:229], v[220:221], v[241:242], -v[208:209]
	v_mul_f64 v[208:209], v[220:221], v[243:244]
	v_fma_f64 v[243:244], v[222:223], v[241:242], v[208:209]
	ds_load_2addr_b64 v[220:223], v230 offset0:6 offset1:7
	v_dual_mov_b32 v242, v229 :: v_dual_mov_b32 v241, v228
	s_waitcnt lgkmcnt(0)
	v_mul_f64 v[208:209], v[222:223], v[243:244]
	v_mul_f64 v[210:211], v[220:221], v[243:244]
	s_delay_alu instid0(VALU_DEP_2) | instskip(NEXT) | instid1(VALU_DEP_2)
	v_fma_f64 v[208:209], v[220:221], v[228:229], -v[208:209]
	v_fma_f64 v[210:211], v[222:223], v[228:229], v[210:211]
	ds_load_2addr_b64 v[220:223], v230 offset0:8 offset1:9
	v_add_f64 v[204:205], v[204:205], -v[208:209]
	v_add_f64 v[206:207], v[206:207], -v[210:211]
	s_waitcnt lgkmcnt(0)
	v_mul_f64 v[208:209], v[222:223], v[243:244]
	v_mul_f64 v[210:211], v[220:221], v[243:244]
	s_delay_alu instid0(VALU_DEP_2) | instskip(NEXT) | instid1(VALU_DEP_2)
	v_fma_f64 v[208:209], v[220:221], v[228:229], -v[208:209]
	v_fma_f64 v[210:211], v[222:223], v[228:229], v[210:211]
	ds_load_2addr_b64 v[220:223], v230 offset0:10 offset1:11
	v_add_f64 v[200:201], v[200:201], -v[208:209]
	v_add_f64 v[202:203], v[202:203], -v[210:211]
	;; [unrolled: 9-line block ×51, first 2 shown]
	s_waitcnt lgkmcnt(0)
	v_mul_f64 v[208:209], v[222:223], v[243:244]
	v_mul_f64 v[210:211], v[220:221], v[243:244]
	s_delay_alu instid0(VALU_DEP_2) | instskip(NEXT) | instid1(VALU_DEP_2)
	v_fma_f64 v[208:209], v[220:221], v[228:229], -v[208:209]
	v_fma_f64 v[210:211], v[222:223], v[228:229], v[210:211]
	s_delay_alu instid0(VALU_DEP_2) | instskip(NEXT) | instid1(VALU_DEP_2)
	v_add_f64 v[0:1], v[0:1], -v[208:209]
	v_add_f64 v[2:3], v[2:3], -v[210:211]
.LBB108_63:
	s_or_b32 exec_lo, exec_lo, s2
	v_lshl_add_u32 v208, v236, 4, v230
	s_barrier
	buffer_gl0_inv
	v_mov_b32_e32 v228, 3
	ds_store_2addr_b64 v208, v[204:205], v[206:207] offset1:1
	s_waitcnt lgkmcnt(0)
	s_barrier
	buffer_gl0_inv
	ds_load_2addr_b64 v[220:223], v230 offset0:6 offset1:7
	s_cmp_lt_i32 s5, 5
	s_mov_b32 s6, 4
	s_cbranch_scc1 .LBB108_66
; %bb.64:
	v_add3_u32 v229, v234, 0, 64
	v_mov_b32_e32 v228, 3
	s_set_inst_prefetch_distance 0x1
	.p2align	6
.LBB108_65:                             ; =>This Inner Loop Header: Depth=1
	ds_load_2addr_b64 v[237:240], v229 offset1:1
	s_waitcnt lgkmcnt(1)
	v_cmp_gt_f64_e32 vcc_lo, 0, v[220:221]
	v_xor_b32_e32 v208, 0x80000000, v221
	v_cmp_gt_f64_e64 s2, 0, v[222:223]
	v_xor_b32_e32 v210, 0x80000000, v223
	v_add_nc_u32_e32 v229, 16, v229
	s_waitcnt lgkmcnt(0)
	v_cmp_gt_f64_e64 s3, 0, v[237:238]
	v_mov_b32_e32 v212, v237
	v_dual_mov_b32 v214, v239 :: v_dual_cndmask_b32 v209, v221, v208
	v_xor_b32_e32 v208, 0x80000000, v238
	v_cndmask_b32_e64 v211, v223, v210, s2
	v_xor_b32_e32 v210, 0x80000000, v240
	s_delay_alu instid0(VALU_DEP_3) | instskip(SKIP_2) | instid1(VALU_DEP_2)
	v_cndmask_b32_e64 v213, v238, v208, s3
	v_cmp_gt_f64_e64 s3, 0, v[239:240]
	v_cndmask_b32_e32 v208, v220, v220, vcc_lo
	v_cndmask_b32_e64 v215, v240, v210, s3
	v_cndmask_b32_e64 v210, v222, v222, s2
	s_delay_alu instid0(VALU_DEP_2) | instskip(NEXT) | instid1(VALU_DEP_2)
	v_add_f64 v[212:213], v[212:213], v[214:215]
	v_add_f64 v[208:209], v[208:209], v[210:211]
	s_delay_alu instid0(VALU_DEP_1) | instskip(SKIP_4) | instid1(SALU_CYCLE_1)
	v_cmp_lt_f64_e32 vcc_lo, v[208:209], v[212:213]
	v_dual_cndmask_b32 v221, v221, v238 :: v_dual_cndmask_b32 v220, v220, v237
	v_dual_cndmask_b32 v223, v223, v240 :: v_dual_cndmask_b32 v222, v222, v239
	v_cndmask_b32_e64 v228, v228, s6, vcc_lo
	s_add_i32 s6, s6, 1
	s_cmp_lg_u32 s5, s6
	s_cbranch_scc1 .LBB108_65
.LBB108_66:
	s_set_inst_prefetch_distance 0x2
	s_waitcnt lgkmcnt(0)
	v_cmp_eq_f64_e32 vcc_lo, 0, v[220:221]
	v_cmp_eq_f64_e64 s2, 0, v[222:223]
	s_delay_alu instid0(VALU_DEP_1) | instskip(NEXT) | instid1(SALU_CYCLE_1)
	s_and_b32 s2, vcc_lo, s2
	s_and_saveexec_b32 s3, s2
	s_delay_alu instid0(SALU_CYCLE_1)
	s_xor_b32 s2, exec_lo, s3
; %bb.67:
	v_cmp_ne_u32_e32 vcc_lo, 0, v233
	v_cndmask_b32_e32 v233, 4, v233, vcc_lo
; %bb.68:
	s_and_not1_saveexec_b32 s3, s2
	s_cbranch_execz .LBB108_74
; %bb.69:
	v_cmp_gt_f64_e32 vcc_lo, 0, v[220:221]
	v_cmp_gt_f64_e64 s2, 0, v[222:223]
	v_xor_b32_e32 v208, 0x80000000, v221
	v_xor_b32_e32 v210, 0x80000000, v223
	s_delay_alu instid0(VALU_DEP_2) | instskip(NEXT) | instid1(VALU_DEP_2)
	v_cndmask_b32_e32 v209, v221, v208, vcc_lo
	v_cndmask_b32_e64 v211, v223, v210, s2
	v_cndmask_b32_e32 v208, v220, v220, vcc_lo
	v_cndmask_b32_e64 v210, v222, v222, s2
	s_mov_b32 s2, exec_lo
	s_delay_alu instid0(VALU_DEP_1)
	v_cmpx_ngt_f64_e32 v[208:209], v[210:211]
	s_xor_b32 s2, exec_lo, s2
	s_cbranch_execz .LBB108_71
; %bb.70:
	v_div_scale_f64 v[208:209], null, v[222:223], v[222:223], v[220:221]
	v_div_scale_f64 v[214:215], vcc_lo, v[220:221], v[222:223], v[220:221]
	s_delay_alu instid0(VALU_DEP_2) | instskip(SKIP_2) | instid1(VALU_DEP_1)
	v_rcp_f64_e32 v[210:211], v[208:209]
	s_waitcnt_depctr 0xfff
	v_fma_f64 v[212:213], -v[208:209], v[210:211], 1.0
	v_fma_f64 v[210:211], v[210:211], v[212:213], v[210:211]
	s_delay_alu instid0(VALU_DEP_1) | instskip(NEXT) | instid1(VALU_DEP_1)
	v_fma_f64 v[212:213], -v[208:209], v[210:211], 1.0
	v_fma_f64 v[210:211], v[210:211], v[212:213], v[210:211]
	s_delay_alu instid0(VALU_DEP_1) | instskip(NEXT) | instid1(VALU_DEP_1)
	v_mul_f64 v[212:213], v[214:215], v[210:211]
	v_fma_f64 v[208:209], -v[208:209], v[212:213], v[214:215]
	s_delay_alu instid0(VALU_DEP_1) | instskip(NEXT) | instid1(VALU_DEP_1)
	v_div_fmas_f64 v[208:209], v[208:209], v[210:211], v[212:213]
	v_div_fixup_f64 v[208:209], v[208:209], v[222:223], v[220:221]
	s_delay_alu instid0(VALU_DEP_1) | instskip(NEXT) | instid1(VALU_DEP_1)
	v_fma_f64 v[210:211], v[220:221], v[208:209], v[222:223]
	v_div_scale_f64 v[212:213], null, v[210:211], v[210:211], 1.0
	s_delay_alu instid0(VALU_DEP_1) | instskip(SKIP_2) | instid1(VALU_DEP_1)
	v_rcp_f64_e32 v[214:215], v[212:213]
	s_waitcnt_depctr 0xfff
	v_fma_f64 v[220:221], -v[212:213], v[214:215], 1.0
	v_fma_f64 v[214:215], v[214:215], v[220:221], v[214:215]
	s_delay_alu instid0(VALU_DEP_1) | instskip(NEXT) | instid1(VALU_DEP_1)
	v_fma_f64 v[220:221], -v[212:213], v[214:215], 1.0
	v_fma_f64 v[214:215], v[214:215], v[220:221], v[214:215]
	v_div_scale_f64 v[220:221], vcc_lo, 1.0, v[210:211], 1.0
	s_delay_alu instid0(VALU_DEP_1) | instskip(NEXT) | instid1(VALU_DEP_1)
	v_mul_f64 v[222:223], v[220:221], v[214:215]
	v_fma_f64 v[212:213], -v[212:213], v[222:223], v[220:221]
	s_delay_alu instid0(VALU_DEP_1) | instskip(NEXT) | instid1(VALU_DEP_1)
	v_div_fmas_f64 v[212:213], v[212:213], v[214:215], v[222:223]
	v_div_fixup_f64 v[222:223], v[212:213], v[210:211], 1.0
	s_delay_alu instid0(VALU_DEP_1)
	v_mul_f64 v[220:221], v[208:209], v[222:223]
	v_xor_b32_e32 v223, 0x80000000, v223
.LBB108_71:
	s_and_not1_saveexec_b32 s2, s2
	s_cbranch_execz .LBB108_73
; %bb.72:
	s_delay_alu instid0(VALU_DEP_1) | instskip(SKIP_1) | instid1(VALU_DEP_2)
	v_div_scale_f64 v[208:209], null, v[220:221], v[220:221], v[222:223]
	v_div_scale_f64 v[214:215], vcc_lo, v[222:223], v[220:221], v[222:223]
	v_rcp_f64_e32 v[210:211], v[208:209]
	s_waitcnt_depctr 0xfff
	v_fma_f64 v[212:213], -v[208:209], v[210:211], 1.0
	s_delay_alu instid0(VALU_DEP_1) | instskip(NEXT) | instid1(VALU_DEP_1)
	v_fma_f64 v[210:211], v[210:211], v[212:213], v[210:211]
	v_fma_f64 v[212:213], -v[208:209], v[210:211], 1.0
	s_delay_alu instid0(VALU_DEP_1) | instskip(NEXT) | instid1(VALU_DEP_1)
	v_fma_f64 v[210:211], v[210:211], v[212:213], v[210:211]
	v_mul_f64 v[212:213], v[214:215], v[210:211]
	s_delay_alu instid0(VALU_DEP_1) | instskip(NEXT) | instid1(VALU_DEP_1)
	v_fma_f64 v[208:209], -v[208:209], v[212:213], v[214:215]
	v_div_fmas_f64 v[208:209], v[208:209], v[210:211], v[212:213]
	s_delay_alu instid0(VALU_DEP_1) | instskip(NEXT) | instid1(VALU_DEP_1)
	v_div_fixup_f64 v[208:209], v[208:209], v[220:221], v[222:223]
	v_fma_f64 v[210:211], v[222:223], v[208:209], v[220:221]
	s_delay_alu instid0(VALU_DEP_1) | instskip(NEXT) | instid1(VALU_DEP_1)
	v_div_scale_f64 v[212:213], null, v[210:211], v[210:211], 1.0
	v_rcp_f64_e32 v[214:215], v[212:213]
	s_waitcnt_depctr 0xfff
	v_fma_f64 v[220:221], -v[212:213], v[214:215], 1.0
	s_delay_alu instid0(VALU_DEP_1) | instskip(NEXT) | instid1(VALU_DEP_1)
	v_fma_f64 v[214:215], v[214:215], v[220:221], v[214:215]
	v_fma_f64 v[220:221], -v[212:213], v[214:215], 1.0
	s_delay_alu instid0(VALU_DEP_1) | instskip(SKIP_1) | instid1(VALU_DEP_1)
	v_fma_f64 v[214:215], v[214:215], v[220:221], v[214:215]
	v_div_scale_f64 v[220:221], vcc_lo, 1.0, v[210:211], 1.0
	v_mul_f64 v[222:223], v[220:221], v[214:215]
	s_delay_alu instid0(VALU_DEP_1) | instskip(NEXT) | instid1(VALU_DEP_1)
	v_fma_f64 v[212:213], -v[212:213], v[222:223], v[220:221]
	v_div_fmas_f64 v[212:213], v[212:213], v[214:215], v[222:223]
	s_delay_alu instid0(VALU_DEP_1) | instskip(NEXT) | instid1(VALU_DEP_1)
	v_div_fixup_f64 v[220:221], v[212:213], v[210:211], 1.0
	v_mul_f64 v[222:223], v[208:209], -v[220:221]
.LBB108_73:
	s_or_b32 exec_lo, exec_lo, s2
.LBB108_74:
	s_delay_alu instid0(SALU_CYCLE_1) | instskip(NEXT) | instid1(SALU_CYCLE_1)
	s_or_b32 exec_lo, exec_lo, s3
	s_mov_b32 s2, exec_lo
	v_cmpx_ne_u32_e64 v236, v228
	s_xor_b32 s2, exec_lo, s2
	s_cbranch_execz .LBB108_80
; %bb.75:
	s_mov_b32 s3, exec_lo
	v_cmpx_eq_u32_e32 3, v236
	s_cbranch_execz .LBB108_79
; %bb.76:
	v_cmp_ne_u32_e32 vcc_lo, 3, v228
	s_xor_b32 s6, s4, -1
	s_delay_alu instid0(SALU_CYCLE_1) | instskip(NEXT) | instid1(SALU_CYCLE_1)
	s_and_b32 s7, s6, vcc_lo
	s_and_saveexec_b32 s6, s7
	s_cbranch_execz .LBB108_78
; %bb.77:
	v_ashrrev_i32_e32 v229, 31, v228
	s_delay_alu instid0(VALU_DEP_1) | instskip(NEXT) | instid1(VALU_DEP_1)
	v_lshlrev_b64 v[208:209], 2, v[228:229]
	v_add_co_u32 v208, vcc_lo, v231, v208
	s_delay_alu instid0(VALU_DEP_2)
	v_add_co_ci_u32_e32 v209, vcc_lo, v232, v209, vcc_lo
	s_clause 0x1
	flat_load_b32 v210, v[208:209]
	flat_load_b32 v211, v[231:232] offset:12
	s_waitcnt vmcnt(1) lgkmcnt(1)
	flat_store_b32 v[231:232], v210 offset:12
	s_waitcnt vmcnt(0) lgkmcnt(1)
	flat_store_b32 v[208:209], v211
.LBB108_78:
	s_or_b32 exec_lo, exec_lo, s6
	v_mov_b32_e32 v236, v228
	v_mov_b32_e32 v227, v228
.LBB108_79:
	s_or_b32 exec_lo, exec_lo, s3
.LBB108_80:
	s_and_not1_saveexec_b32 s2, s2
	s_cbranch_execz .LBB108_82
; %bb.81:
	v_mov_b32_e32 v236, 3
	ds_store_2addr_b64 v230, v[200:201], v[202:203] offset0:8 offset1:9
	ds_store_2addr_b64 v230, v[196:197], v[198:199] offset0:10 offset1:11
	;; [unrolled: 1-line block ×51, first 2 shown]
.LBB108_82:
	s_or_b32 exec_lo, exec_lo, s2
	s_delay_alu instid0(SALU_CYCLE_1)
	s_mov_b32 s2, exec_lo
	s_waitcnt lgkmcnt(0)
	s_waitcnt_vscnt null, 0x0
	s_barrier
	buffer_gl0_inv
	v_cmpx_lt_i32_e32 3, v236
	s_cbranch_execz .LBB108_84
; %bb.83:
	v_mul_f64 v[208:209], v[222:223], v[206:207]
	v_mul_f64 v[206:207], v[220:221], v[206:207]
	s_delay_alu instid0(VALU_DEP_2) | instskip(NEXT) | instid1(VALU_DEP_2)
	v_fma_f64 v[228:229], v[220:221], v[204:205], -v[208:209]
	v_fma_f64 v[206:207], v[222:223], v[204:205], v[206:207]
	ds_load_2addr_b64 v[220:223], v230 offset0:8 offset1:9
	s_waitcnt lgkmcnt(0)
	v_mul_f64 v[204:205], v[222:223], v[206:207]
	v_mul_f64 v[208:209], v[220:221], v[206:207]
	s_delay_alu instid0(VALU_DEP_2) | instskip(NEXT) | instid1(VALU_DEP_2)
	v_fma_f64 v[204:205], v[220:221], v[228:229], -v[204:205]
	v_fma_f64 v[208:209], v[222:223], v[228:229], v[208:209]
	ds_load_2addr_b64 v[220:223], v230 offset0:10 offset1:11
	v_add_f64 v[200:201], v[200:201], -v[204:205]
	v_add_f64 v[202:203], v[202:203], -v[208:209]
	s_waitcnt lgkmcnt(0)
	v_mul_f64 v[204:205], v[222:223], v[206:207]
	v_mul_f64 v[208:209], v[220:221], v[206:207]
	s_delay_alu instid0(VALU_DEP_2) | instskip(NEXT) | instid1(VALU_DEP_2)
	v_fma_f64 v[204:205], v[220:221], v[228:229], -v[204:205]
	v_fma_f64 v[208:209], v[222:223], v[228:229], v[208:209]
	ds_load_2addr_b64 v[220:223], v230 offset0:12 offset1:13
	v_add_f64 v[196:197], v[196:197], -v[204:205]
	v_add_f64 v[198:199], v[198:199], -v[208:209]
	s_waitcnt lgkmcnt(0)
	v_mul_f64 v[204:205], v[222:223], v[206:207]
	v_mul_f64 v[208:209], v[220:221], v[206:207]
	s_delay_alu instid0(VALU_DEP_2) | instskip(NEXT) | instid1(VALU_DEP_2)
	v_fma_f64 v[204:205], v[220:221], v[228:229], -v[204:205]
	v_fma_f64 v[208:209], v[222:223], v[228:229], v[208:209]
	ds_load_2addr_b64 v[220:223], v230 offset0:14 offset1:15
	v_add_f64 v[192:193], v[192:193], -v[204:205]
	v_add_f64 v[194:195], v[194:195], -v[208:209]
	s_waitcnt lgkmcnt(0)
	v_mul_f64 v[204:205], v[222:223], v[206:207]
	v_mul_f64 v[208:209], v[220:221], v[206:207]
	s_delay_alu instid0(VALU_DEP_2) | instskip(NEXT) | instid1(VALU_DEP_2)
	v_fma_f64 v[204:205], v[220:221], v[228:229], -v[204:205]
	v_fma_f64 v[208:209], v[222:223], v[228:229], v[208:209]
	ds_load_2addr_b64 v[220:223], v230 offset0:16 offset1:17
	v_add_f64 v[188:189], v[188:189], -v[204:205]
	v_add_f64 v[190:191], v[190:191], -v[208:209]
	s_waitcnt lgkmcnt(0)
	v_mul_f64 v[204:205], v[222:223], v[206:207]
	v_mul_f64 v[208:209], v[220:221], v[206:207]
	s_delay_alu instid0(VALU_DEP_2) | instskip(NEXT) | instid1(VALU_DEP_2)
	v_fma_f64 v[204:205], v[220:221], v[228:229], -v[204:205]
	v_fma_f64 v[208:209], v[222:223], v[228:229], v[208:209]
	ds_load_2addr_b64 v[220:223], v230 offset0:18 offset1:19
	v_add_f64 v[184:185], v[184:185], -v[204:205]
	v_add_f64 v[186:187], v[186:187], -v[208:209]
	s_waitcnt lgkmcnt(0)
	v_mul_f64 v[204:205], v[222:223], v[206:207]
	v_mul_f64 v[208:209], v[220:221], v[206:207]
	s_delay_alu instid0(VALU_DEP_2) | instskip(NEXT) | instid1(VALU_DEP_2)
	v_fma_f64 v[204:205], v[220:221], v[228:229], -v[204:205]
	v_fma_f64 v[208:209], v[222:223], v[228:229], v[208:209]
	ds_load_2addr_b64 v[220:223], v230 offset0:20 offset1:21
	v_add_f64 v[180:181], v[180:181], -v[204:205]
	v_add_f64 v[182:183], v[182:183], -v[208:209]
	s_waitcnt lgkmcnt(0)
	v_mul_f64 v[204:205], v[222:223], v[206:207]
	v_mul_f64 v[208:209], v[220:221], v[206:207]
	s_delay_alu instid0(VALU_DEP_2) | instskip(NEXT) | instid1(VALU_DEP_2)
	v_fma_f64 v[204:205], v[220:221], v[228:229], -v[204:205]
	v_fma_f64 v[208:209], v[222:223], v[228:229], v[208:209]
	ds_load_2addr_b64 v[220:223], v230 offset0:22 offset1:23
	v_add_f64 v[176:177], v[176:177], -v[204:205]
	v_add_f64 v[178:179], v[178:179], -v[208:209]
	s_waitcnt lgkmcnt(0)
	v_mul_f64 v[204:205], v[222:223], v[206:207]
	v_mul_f64 v[208:209], v[220:221], v[206:207]
	s_delay_alu instid0(VALU_DEP_2) | instskip(NEXT) | instid1(VALU_DEP_2)
	v_fma_f64 v[204:205], v[220:221], v[228:229], -v[204:205]
	v_fma_f64 v[208:209], v[222:223], v[228:229], v[208:209]
	ds_load_2addr_b64 v[220:223], v230 offset0:24 offset1:25
	v_add_f64 v[172:173], v[172:173], -v[204:205]
	v_add_f64 v[174:175], v[174:175], -v[208:209]
	s_waitcnt lgkmcnt(0)
	v_mul_f64 v[204:205], v[222:223], v[206:207]
	v_mul_f64 v[208:209], v[220:221], v[206:207]
	s_delay_alu instid0(VALU_DEP_2) | instskip(NEXT) | instid1(VALU_DEP_2)
	v_fma_f64 v[204:205], v[220:221], v[228:229], -v[204:205]
	v_fma_f64 v[208:209], v[222:223], v[228:229], v[208:209]
	ds_load_2addr_b64 v[220:223], v230 offset0:26 offset1:27
	v_add_f64 v[168:169], v[168:169], -v[204:205]
	v_add_f64 v[170:171], v[170:171], -v[208:209]
	s_waitcnt lgkmcnt(0)
	v_mul_f64 v[204:205], v[222:223], v[206:207]
	v_mul_f64 v[208:209], v[220:221], v[206:207]
	s_delay_alu instid0(VALU_DEP_2) | instskip(NEXT) | instid1(VALU_DEP_2)
	v_fma_f64 v[204:205], v[220:221], v[228:229], -v[204:205]
	v_fma_f64 v[208:209], v[222:223], v[228:229], v[208:209]
	ds_load_2addr_b64 v[220:223], v230 offset0:28 offset1:29
	v_add_f64 v[164:165], v[164:165], -v[204:205]
	v_add_f64 v[166:167], v[166:167], -v[208:209]
	s_waitcnt lgkmcnt(0)
	v_mul_f64 v[204:205], v[222:223], v[206:207]
	v_mul_f64 v[208:209], v[220:221], v[206:207]
	s_delay_alu instid0(VALU_DEP_2) | instskip(NEXT) | instid1(VALU_DEP_2)
	v_fma_f64 v[204:205], v[220:221], v[228:229], -v[204:205]
	v_fma_f64 v[208:209], v[222:223], v[228:229], v[208:209]
	ds_load_2addr_b64 v[220:223], v230 offset0:30 offset1:31
	v_add_f64 v[160:161], v[160:161], -v[204:205]
	v_add_f64 v[162:163], v[162:163], -v[208:209]
	s_waitcnt lgkmcnt(0)
	v_mul_f64 v[204:205], v[222:223], v[206:207]
	v_mul_f64 v[208:209], v[220:221], v[206:207]
	s_delay_alu instid0(VALU_DEP_2) | instskip(NEXT) | instid1(VALU_DEP_2)
	v_fma_f64 v[204:205], v[220:221], v[228:229], -v[204:205]
	v_fma_f64 v[208:209], v[222:223], v[228:229], v[208:209]
	ds_load_2addr_b64 v[220:223], v230 offset0:32 offset1:33
	v_add_f64 v[156:157], v[156:157], -v[204:205]
	v_add_f64 v[158:159], v[158:159], -v[208:209]
	s_waitcnt lgkmcnt(0)
	v_mul_f64 v[204:205], v[222:223], v[206:207]
	v_mul_f64 v[208:209], v[220:221], v[206:207]
	s_delay_alu instid0(VALU_DEP_2) | instskip(NEXT) | instid1(VALU_DEP_2)
	v_fma_f64 v[204:205], v[220:221], v[228:229], -v[204:205]
	v_fma_f64 v[208:209], v[222:223], v[228:229], v[208:209]
	ds_load_2addr_b64 v[220:223], v230 offset0:34 offset1:35
	v_add_f64 v[152:153], v[152:153], -v[204:205]
	v_add_f64 v[154:155], v[154:155], -v[208:209]
	s_waitcnt lgkmcnt(0)
	v_mul_f64 v[204:205], v[222:223], v[206:207]
	v_mul_f64 v[208:209], v[220:221], v[206:207]
	s_delay_alu instid0(VALU_DEP_2) | instskip(NEXT) | instid1(VALU_DEP_2)
	v_fma_f64 v[204:205], v[220:221], v[228:229], -v[204:205]
	v_fma_f64 v[208:209], v[222:223], v[228:229], v[208:209]
	ds_load_2addr_b64 v[220:223], v230 offset0:36 offset1:37
	v_add_f64 v[148:149], v[148:149], -v[204:205]
	v_add_f64 v[150:151], v[150:151], -v[208:209]
	s_waitcnt lgkmcnt(0)
	v_mul_f64 v[204:205], v[222:223], v[206:207]
	v_mul_f64 v[208:209], v[220:221], v[206:207]
	s_delay_alu instid0(VALU_DEP_2) | instskip(NEXT) | instid1(VALU_DEP_2)
	v_fma_f64 v[204:205], v[220:221], v[228:229], -v[204:205]
	v_fma_f64 v[208:209], v[222:223], v[228:229], v[208:209]
	ds_load_2addr_b64 v[220:223], v230 offset0:38 offset1:39
	v_add_f64 v[144:145], v[144:145], -v[204:205]
	v_add_f64 v[146:147], v[146:147], -v[208:209]
	s_waitcnt lgkmcnt(0)
	v_mul_f64 v[204:205], v[222:223], v[206:207]
	v_mul_f64 v[208:209], v[220:221], v[206:207]
	s_delay_alu instid0(VALU_DEP_2) | instskip(NEXT) | instid1(VALU_DEP_2)
	v_fma_f64 v[204:205], v[220:221], v[228:229], -v[204:205]
	v_fma_f64 v[208:209], v[222:223], v[228:229], v[208:209]
	ds_load_2addr_b64 v[220:223], v230 offset0:40 offset1:41
	v_add_f64 v[140:141], v[140:141], -v[204:205]
	v_add_f64 v[142:143], v[142:143], -v[208:209]
	s_waitcnt lgkmcnt(0)
	v_mul_f64 v[204:205], v[222:223], v[206:207]
	v_mul_f64 v[208:209], v[220:221], v[206:207]
	s_delay_alu instid0(VALU_DEP_2) | instskip(NEXT) | instid1(VALU_DEP_2)
	v_fma_f64 v[204:205], v[220:221], v[228:229], -v[204:205]
	v_fma_f64 v[208:209], v[222:223], v[228:229], v[208:209]
	ds_load_2addr_b64 v[220:223], v230 offset0:42 offset1:43
	v_add_f64 v[136:137], v[136:137], -v[204:205]
	v_add_f64 v[138:139], v[138:139], -v[208:209]
	s_waitcnt lgkmcnt(0)
	v_mul_f64 v[204:205], v[222:223], v[206:207]
	v_mul_f64 v[208:209], v[220:221], v[206:207]
	s_delay_alu instid0(VALU_DEP_2) | instskip(NEXT) | instid1(VALU_DEP_2)
	v_fma_f64 v[204:205], v[220:221], v[228:229], -v[204:205]
	v_fma_f64 v[208:209], v[222:223], v[228:229], v[208:209]
	ds_load_2addr_b64 v[220:223], v230 offset0:44 offset1:45
	v_add_f64 v[132:133], v[132:133], -v[204:205]
	v_add_f64 v[134:135], v[134:135], -v[208:209]
	s_waitcnt lgkmcnt(0)
	v_mul_f64 v[204:205], v[222:223], v[206:207]
	v_mul_f64 v[208:209], v[220:221], v[206:207]
	s_delay_alu instid0(VALU_DEP_2) | instskip(NEXT) | instid1(VALU_DEP_2)
	v_fma_f64 v[204:205], v[220:221], v[228:229], -v[204:205]
	v_fma_f64 v[208:209], v[222:223], v[228:229], v[208:209]
	ds_load_2addr_b64 v[220:223], v230 offset0:46 offset1:47
	v_add_f64 v[128:129], v[128:129], -v[204:205]
	v_add_f64 v[130:131], v[130:131], -v[208:209]
	s_waitcnt lgkmcnt(0)
	v_mul_f64 v[204:205], v[222:223], v[206:207]
	v_mul_f64 v[208:209], v[220:221], v[206:207]
	s_delay_alu instid0(VALU_DEP_2) | instskip(NEXT) | instid1(VALU_DEP_2)
	v_fma_f64 v[204:205], v[220:221], v[228:229], -v[204:205]
	v_fma_f64 v[208:209], v[222:223], v[228:229], v[208:209]
	ds_load_2addr_b64 v[220:223], v230 offset0:48 offset1:49
	v_add_f64 v[124:125], v[124:125], -v[204:205]
	v_add_f64 v[126:127], v[126:127], -v[208:209]
	s_waitcnt lgkmcnt(0)
	v_mul_f64 v[204:205], v[222:223], v[206:207]
	v_mul_f64 v[208:209], v[220:221], v[206:207]
	s_delay_alu instid0(VALU_DEP_2) | instskip(NEXT) | instid1(VALU_DEP_2)
	v_fma_f64 v[204:205], v[220:221], v[228:229], -v[204:205]
	v_fma_f64 v[208:209], v[222:223], v[228:229], v[208:209]
	ds_load_2addr_b64 v[220:223], v230 offset0:50 offset1:51
	v_add_f64 v[120:121], v[120:121], -v[204:205]
	v_add_f64 v[122:123], v[122:123], -v[208:209]
	s_waitcnt lgkmcnt(0)
	v_mul_f64 v[204:205], v[222:223], v[206:207]
	v_mul_f64 v[208:209], v[220:221], v[206:207]
	s_delay_alu instid0(VALU_DEP_2) | instskip(NEXT) | instid1(VALU_DEP_2)
	v_fma_f64 v[204:205], v[220:221], v[228:229], -v[204:205]
	v_fma_f64 v[208:209], v[222:223], v[228:229], v[208:209]
	ds_load_2addr_b64 v[220:223], v230 offset0:52 offset1:53
	v_add_f64 v[116:117], v[116:117], -v[204:205]
	v_add_f64 v[118:119], v[118:119], -v[208:209]
	s_waitcnt lgkmcnt(0)
	v_mul_f64 v[204:205], v[222:223], v[206:207]
	v_mul_f64 v[208:209], v[220:221], v[206:207]
	s_delay_alu instid0(VALU_DEP_2) | instskip(NEXT) | instid1(VALU_DEP_2)
	v_fma_f64 v[204:205], v[220:221], v[228:229], -v[204:205]
	v_fma_f64 v[208:209], v[222:223], v[228:229], v[208:209]
	ds_load_2addr_b64 v[220:223], v230 offset0:54 offset1:55
	v_add_f64 v[112:113], v[112:113], -v[204:205]
	v_add_f64 v[114:115], v[114:115], -v[208:209]
	s_waitcnt lgkmcnt(0)
	v_mul_f64 v[204:205], v[222:223], v[206:207]
	v_mul_f64 v[208:209], v[220:221], v[206:207]
	s_delay_alu instid0(VALU_DEP_2) | instskip(NEXT) | instid1(VALU_DEP_2)
	v_fma_f64 v[204:205], v[220:221], v[228:229], -v[204:205]
	v_fma_f64 v[208:209], v[222:223], v[228:229], v[208:209]
	ds_load_2addr_b64 v[220:223], v230 offset0:56 offset1:57
	v_add_f64 v[108:109], v[108:109], -v[204:205]
	v_add_f64 v[110:111], v[110:111], -v[208:209]
	s_waitcnt lgkmcnt(0)
	v_mul_f64 v[204:205], v[222:223], v[206:207]
	v_mul_f64 v[208:209], v[220:221], v[206:207]
	s_delay_alu instid0(VALU_DEP_2) | instskip(NEXT) | instid1(VALU_DEP_2)
	v_fma_f64 v[204:205], v[220:221], v[228:229], -v[204:205]
	v_fma_f64 v[208:209], v[222:223], v[228:229], v[208:209]
	ds_load_2addr_b64 v[220:223], v230 offset0:58 offset1:59
	v_add_f64 v[104:105], v[104:105], -v[204:205]
	v_add_f64 v[106:107], v[106:107], -v[208:209]
	s_waitcnt lgkmcnt(0)
	v_mul_f64 v[204:205], v[222:223], v[206:207]
	v_mul_f64 v[208:209], v[220:221], v[206:207]
	s_delay_alu instid0(VALU_DEP_2) | instskip(NEXT) | instid1(VALU_DEP_2)
	v_fma_f64 v[204:205], v[220:221], v[228:229], -v[204:205]
	v_fma_f64 v[208:209], v[222:223], v[228:229], v[208:209]
	ds_load_2addr_b64 v[220:223], v230 offset0:60 offset1:61
	v_add_f64 v[100:101], v[100:101], -v[204:205]
	v_add_f64 v[102:103], v[102:103], -v[208:209]
	s_waitcnt lgkmcnt(0)
	v_mul_f64 v[204:205], v[222:223], v[206:207]
	v_mul_f64 v[208:209], v[220:221], v[206:207]
	s_delay_alu instid0(VALU_DEP_2) | instskip(NEXT) | instid1(VALU_DEP_2)
	v_fma_f64 v[204:205], v[220:221], v[228:229], -v[204:205]
	v_fma_f64 v[208:209], v[222:223], v[228:229], v[208:209]
	ds_load_2addr_b64 v[220:223], v230 offset0:62 offset1:63
	v_add_f64 v[96:97], v[96:97], -v[204:205]
	v_add_f64 v[98:99], v[98:99], -v[208:209]
	s_waitcnt lgkmcnt(0)
	v_mul_f64 v[204:205], v[222:223], v[206:207]
	v_mul_f64 v[208:209], v[220:221], v[206:207]
	s_delay_alu instid0(VALU_DEP_2) | instskip(NEXT) | instid1(VALU_DEP_2)
	v_fma_f64 v[204:205], v[220:221], v[228:229], -v[204:205]
	v_fma_f64 v[208:209], v[222:223], v[228:229], v[208:209]
	ds_load_2addr_b64 v[220:223], v230 offset0:64 offset1:65
	v_add_f64 v[92:93], v[92:93], -v[204:205]
	v_add_f64 v[94:95], v[94:95], -v[208:209]
	s_waitcnt lgkmcnt(0)
	v_mul_f64 v[204:205], v[222:223], v[206:207]
	v_mul_f64 v[208:209], v[220:221], v[206:207]
	s_delay_alu instid0(VALU_DEP_2) | instskip(NEXT) | instid1(VALU_DEP_2)
	v_fma_f64 v[204:205], v[220:221], v[228:229], -v[204:205]
	v_fma_f64 v[208:209], v[222:223], v[228:229], v[208:209]
	ds_load_2addr_b64 v[220:223], v230 offset0:66 offset1:67
	v_add_f64 v[88:89], v[88:89], -v[204:205]
	v_add_f64 v[90:91], v[90:91], -v[208:209]
	s_waitcnt lgkmcnt(0)
	v_mul_f64 v[204:205], v[222:223], v[206:207]
	v_mul_f64 v[208:209], v[220:221], v[206:207]
	s_delay_alu instid0(VALU_DEP_2) | instskip(NEXT) | instid1(VALU_DEP_2)
	v_fma_f64 v[204:205], v[220:221], v[228:229], -v[204:205]
	v_fma_f64 v[208:209], v[222:223], v[228:229], v[208:209]
	ds_load_2addr_b64 v[220:223], v230 offset0:68 offset1:69
	v_add_f64 v[84:85], v[84:85], -v[204:205]
	v_add_f64 v[86:87], v[86:87], -v[208:209]
	s_waitcnt lgkmcnt(0)
	v_mul_f64 v[204:205], v[222:223], v[206:207]
	v_mul_f64 v[208:209], v[220:221], v[206:207]
	s_delay_alu instid0(VALU_DEP_2) | instskip(NEXT) | instid1(VALU_DEP_2)
	v_fma_f64 v[204:205], v[220:221], v[228:229], -v[204:205]
	v_fma_f64 v[208:209], v[222:223], v[228:229], v[208:209]
	ds_load_2addr_b64 v[220:223], v230 offset0:70 offset1:71
	v_add_f64 v[80:81], v[80:81], -v[204:205]
	v_add_f64 v[82:83], v[82:83], -v[208:209]
	s_waitcnt lgkmcnt(0)
	v_mul_f64 v[204:205], v[222:223], v[206:207]
	v_mul_f64 v[208:209], v[220:221], v[206:207]
	s_delay_alu instid0(VALU_DEP_2) | instskip(NEXT) | instid1(VALU_DEP_2)
	v_fma_f64 v[204:205], v[220:221], v[228:229], -v[204:205]
	v_fma_f64 v[208:209], v[222:223], v[228:229], v[208:209]
	ds_load_2addr_b64 v[220:223], v230 offset0:72 offset1:73
	v_add_f64 v[76:77], v[76:77], -v[204:205]
	v_add_f64 v[78:79], v[78:79], -v[208:209]
	s_waitcnt lgkmcnt(0)
	v_mul_f64 v[204:205], v[222:223], v[206:207]
	v_mul_f64 v[208:209], v[220:221], v[206:207]
	s_delay_alu instid0(VALU_DEP_2) | instskip(NEXT) | instid1(VALU_DEP_2)
	v_fma_f64 v[204:205], v[220:221], v[228:229], -v[204:205]
	v_fma_f64 v[208:209], v[222:223], v[228:229], v[208:209]
	ds_load_2addr_b64 v[220:223], v230 offset0:74 offset1:75
	v_add_f64 v[72:73], v[72:73], -v[204:205]
	v_add_f64 v[74:75], v[74:75], -v[208:209]
	s_waitcnt lgkmcnt(0)
	v_mul_f64 v[204:205], v[222:223], v[206:207]
	v_mul_f64 v[208:209], v[220:221], v[206:207]
	s_delay_alu instid0(VALU_DEP_2) | instskip(NEXT) | instid1(VALU_DEP_2)
	v_fma_f64 v[204:205], v[220:221], v[228:229], -v[204:205]
	v_fma_f64 v[208:209], v[222:223], v[228:229], v[208:209]
	ds_load_2addr_b64 v[220:223], v230 offset0:76 offset1:77
	v_add_f64 v[68:69], v[68:69], -v[204:205]
	v_add_f64 v[70:71], v[70:71], -v[208:209]
	s_waitcnt lgkmcnt(0)
	v_mul_f64 v[204:205], v[222:223], v[206:207]
	v_mul_f64 v[208:209], v[220:221], v[206:207]
	s_delay_alu instid0(VALU_DEP_2) | instskip(NEXT) | instid1(VALU_DEP_2)
	v_fma_f64 v[204:205], v[220:221], v[228:229], -v[204:205]
	v_fma_f64 v[208:209], v[222:223], v[228:229], v[208:209]
	ds_load_2addr_b64 v[220:223], v230 offset0:78 offset1:79
	v_add_f64 v[64:65], v[64:65], -v[204:205]
	v_add_f64 v[66:67], v[66:67], -v[208:209]
	s_waitcnt lgkmcnt(0)
	v_mul_f64 v[204:205], v[222:223], v[206:207]
	v_mul_f64 v[208:209], v[220:221], v[206:207]
	s_delay_alu instid0(VALU_DEP_2) | instskip(NEXT) | instid1(VALU_DEP_2)
	v_fma_f64 v[204:205], v[220:221], v[228:229], -v[204:205]
	v_fma_f64 v[208:209], v[222:223], v[228:229], v[208:209]
	ds_load_2addr_b64 v[220:223], v230 offset0:80 offset1:81
	v_add_f64 v[60:61], v[60:61], -v[204:205]
	v_add_f64 v[62:63], v[62:63], -v[208:209]
	s_waitcnt lgkmcnt(0)
	v_mul_f64 v[204:205], v[222:223], v[206:207]
	v_mul_f64 v[208:209], v[220:221], v[206:207]
	s_delay_alu instid0(VALU_DEP_2) | instskip(NEXT) | instid1(VALU_DEP_2)
	v_fma_f64 v[204:205], v[220:221], v[228:229], -v[204:205]
	v_fma_f64 v[208:209], v[222:223], v[228:229], v[208:209]
	ds_load_2addr_b64 v[220:223], v230 offset0:82 offset1:83
	v_add_f64 v[56:57], v[56:57], -v[204:205]
	v_add_f64 v[58:59], v[58:59], -v[208:209]
	s_waitcnt lgkmcnt(0)
	v_mul_f64 v[204:205], v[222:223], v[206:207]
	v_mul_f64 v[208:209], v[220:221], v[206:207]
	s_delay_alu instid0(VALU_DEP_2) | instskip(NEXT) | instid1(VALU_DEP_2)
	v_fma_f64 v[204:205], v[220:221], v[228:229], -v[204:205]
	v_fma_f64 v[208:209], v[222:223], v[228:229], v[208:209]
	ds_load_2addr_b64 v[220:223], v230 offset0:84 offset1:85
	v_add_f64 v[52:53], v[52:53], -v[204:205]
	v_add_f64 v[54:55], v[54:55], -v[208:209]
	s_waitcnt lgkmcnt(0)
	v_mul_f64 v[204:205], v[222:223], v[206:207]
	v_mul_f64 v[208:209], v[220:221], v[206:207]
	s_delay_alu instid0(VALU_DEP_2) | instskip(NEXT) | instid1(VALU_DEP_2)
	v_fma_f64 v[204:205], v[220:221], v[228:229], -v[204:205]
	v_fma_f64 v[208:209], v[222:223], v[228:229], v[208:209]
	ds_load_2addr_b64 v[220:223], v230 offset0:86 offset1:87
	v_add_f64 v[48:49], v[48:49], -v[204:205]
	v_add_f64 v[50:51], v[50:51], -v[208:209]
	s_waitcnt lgkmcnt(0)
	v_mul_f64 v[204:205], v[222:223], v[206:207]
	v_mul_f64 v[208:209], v[220:221], v[206:207]
	s_delay_alu instid0(VALU_DEP_2) | instskip(NEXT) | instid1(VALU_DEP_2)
	v_fma_f64 v[204:205], v[220:221], v[228:229], -v[204:205]
	v_fma_f64 v[208:209], v[222:223], v[228:229], v[208:209]
	ds_load_2addr_b64 v[220:223], v230 offset0:88 offset1:89
	v_add_f64 v[44:45], v[44:45], -v[204:205]
	v_add_f64 v[46:47], v[46:47], -v[208:209]
	s_waitcnt lgkmcnt(0)
	v_mul_f64 v[204:205], v[222:223], v[206:207]
	v_mul_f64 v[208:209], v[220:221], v[206:207]
	s_delay_alu instid0(VALU_DEP_2) | instskip(NEXT) | instid1(VALU_DEP_2)
	v_fma_f64 v[204:205], v[220:221], v[228:229], -v[204:205]
	v_fma_f64 v[208:209], v[222:223], v[228:229], v[208:209]
	ds_load_2addr_b64 v[220:223], v230 offset0:90 offset1:91
	v_add_f64 v[40:41], v[40:41], -v[204:205]
	v_add_f64 v[42:43], v[42:43], -v[208:209]
	s_waitcnt lgkmcnt(0)
	v_mul_f64 v[204:205], v[222:223], v[206:207]
	v_mul_f64 v[208:209], v[220:221], v[206:207]
	s_delay_alu instid0(VALU_DEP_2) | instskip(NEXT) | instid1(VALU_DEP_2)
	v_fma_f64 v[204:205], v[220:221], v[228:229], -v[204:205]
	v_fma_f64 v[208:209], v[222:223], v[228:229], v[208:209]
	ds_load_2addr_b64 v[220:223], v230 offset0:92 offset1:93
	v_add_f64 v[36:37], v[36:37], -v[204:205]
	v_add_f64 v[38:39], v[38:39], -v[208:209]
	s_waitcnt lgkmcnt(0)
	v_mul_f64 v[204:205], v[222:223], v[206:207]
	v_mul_f64 v[208:209], v[220:221], v[206:207]
	s_delay_alu instid0(VALU_DEP_2) | instskip(NEXT) | instid1(VALU_DEP_2)
	v_fma_f64 v[204:205], v[220:221], v[228:229], -v[204:205]
	v_fma_f64 v[208:209], v[222:223], v[228:229], v[208:209]
	ds_load_2addr_b64 v[220:223], v230 offset0:94 offset1:95
	v_add_f64 v[32:33], v[32:33], -v[204:205]
	v_add_f64 v[34:35], v[34:35], -v[208:209]
	s_waitcnt lgkmcnt(0)
	v_mul_f64 v[204:205], v[222:223], v[206:207]
	v_mul_f64 v[208:209], v[220:221], v[206:207]
	s_delay_alu instid0(VALU_DEP_2) | instskip(NEXT) | instid1(VALU_DEP_2)
	v_fma_f64 v[204:205], v[220:221], v[228:229], -v[204:205]
	v_fma_f64 v[208:209], v[222:223], v[228:229], v[208:209]
	ds_load_2addr_b64 v[220:223], v230 offset0:96 offset1:97
	v_add_f64 v[28:29], v[28:29], -v[204:205]
	v_add_f64 v[30:31], v[30:31], -v[208:209]
	s_waitcnt lgkmcnt(0)
	v_mul_f64 v[204:205], v[222:223], v[206:207]
	v_mul_f64 v[208:209], v[220:221], v[206:207]
	s_delay_alu instid0(VALU_DEP_2) | instskip(NEXT) | instid1(VALU_DEP_2)
	v_fma_f64 v[204:205], v[220:221], v[228:229], -v[204:205]
	v_fma_f64 v[208:209], v[222:223], v[228:229], v[208:209]
	ds_load_2addr_b64 v[220:223], v230 offset0:98 offset1:99
	v_add_f64 v[24:25], v[24:25], -v[204:205]
	v_add_f64 v[26:27], v[26:27], -v[208:209]
	s_waitcnt lgkmcnt(0)
	v_mul_f64 v[204:205], v[222:223], v[206:207]
	v_mul_f64 v[208:209], v[220:221], v[206:207]
	s_delay_alu instid0(VALU_DEP_2) | instskip(NEXT) | instid1(VALU_DEP_2)
	v_fma_f64 v[204:205], v[220:221], v[228:229], -v[204:205]
	v_fma_f64 v[208:209], v[222:223], v[228:229], v[208:209]
	ds_load_2addr_b64 v[220:223], v230 offset0:100 offset1:101
	v_add_f64 v[20:21], v[20:21], -v[204:205]
	v_add_f64 v[22:23], v[22:23], -v[208:209]
	s_waitcnt lgkmcnt(0)
	v_mul_f64 v[204:205], v[222:223], v[206:207]
	v_mul_f64 v[208:209], v[220:221], v[206:207]
	s_delay_alu instid0(VALU_DEP_2) | instskip(NEXT) | instid1(VALU_DEP_2)
	v_fma_f64 v[204:205], v[220:221], v[228:229], -v[204:205]
	v_fma_f64 v[208:209], v[222:223], v[228:229], v[208:209]
	ds_load_2addr_b64 v[220:223], v230 offset0:102 offset1:103
	v_add_f64 v[16:17], v[16:17], -v[204:205]
	v_add_f64 v[18:19], v[18:19], -v[208:209]
	s_waitcnt lgkmcnt(0)
	v_mul_f64 v[204:205], v[222:223], v[206:207]
	v_mul_f64 v[208:209], v[220:221], v[206:207]
	s_delay_alu instid0(VALU_DEP_2) | instskip(NEXT) | instid1(VALU_DEP_2)
	v_fma_f64 v[204:205], v[220:221], v[228:229], -v[204:205]
	v_fma_f64 v[208:209], v[222:223], v[228:229], v[208:209]
	ds_load_2addr_b64 v[220:223], v230 offset0:104 offset1:105
	v_add_f64 v[12:13], v[12:13], -v[204:205]
	v_add_f64 v[14:15], v[14:15], -v[208:209]
	s_waitcnt lgkmcnt(0)
	v_mul_f64 v[204:205], v[222:223], v[206:207]
	v_mul_f64 v[208:209], v[220:221], v[206:207]
	s_delay_alu instid0(VALU_DEP_2) | instskip(NEXT) | instid1(VALU_DEP_2)
	v_fma_f64 v[204:205], v[220:221], v[228:229], -v[204:205]
	v_fma_f64 v[208:209], v[222:223], v[228:229], v[208:209]
	ds_load_2addr_b64 v[220:223], v230 offset0:106 offset1:107
	v_add_f64 v[8:9], v[8:9], -v[204:205]
	v_add_f64 v[10:11], v[10:11], -v[208:209]
	s_waitcnt lgkmcnt(0)
	v_mul_f64 v[204:205], v[222:223], v[206:207]
	v_mul_f64 v[208:209], v[220:221], v[206:207]
	s_delay_alu instid0(VALU_DEP_2) | instskip(NEXT) | instid1(VALU_DEP_2)
	v_fma_f64 v[204:205], v[220:221], v[228:229], -v[204:205]
	v_fma_f64 v[208:209], v[222:223], v[228:229], v[208:209]
	ds_load_2addr_b64 v[220:223], v230 offset0:108 offset1:109
	v_add_f64 v[4:5], v[4:5], -v[204:205]
	v_add_f64 v[6:7], v[6:7], -v[208:209]
	s_waitcnt lgkmcnt(0)
	v_mul_f64 v[204:205], v[222:223], v[206:207]
	v_mul_f64 v[208:209], v[220:221], v[206:207]
	s_delay_alu instid0(VALU_DEP_2) | instskip(NEXT) | instid1(VALU_DEP_2)
	v_fma_f64 v[204:205], v[220:221], v[228:229], -v[204:205]
	v_fma_f64 v[208:209], v[222:223], v[228:229], v[208:209]
	s_delay_alu instid0(VALU_DEP_2) | instskip(NEXT) | instid1(VALU_DEP_2)
	v_add_f64 v[0:1], v[0:1], -v[204:205]
	v_add_f64 v[2:3], v[2:3], -v[208:209]
	v_dual_mov_b32 v204, v228 :: v_dual_mov_b32 v205, v229
.LBB108_84:
	s_or_b32 exec_lo, exec_lo, s2
	v_lshl_add_u32 v208, v236, 4, v230
	s_barrier
	buffer_gl0_inv
	v_mov_b32_e32 v228, 4
	ds_store_2addr_b64 v208, v[200:201], v[202:203] offset1:1
	s_waitcnt lgkmcnt(0)
	s_barrier
	buffer_gl0_inv
	ds_load_2addr_b64 v[220:223], v230 offset0:8 offset1:9
	s_cmp_lt_i32 s5, 6
	s_cbranch_scc1 .LBB108_87
; %bb.85:
	v_add3_u32 v229, v234, 0, 0x50
	v_mov_b32_e32 v228, 4
	s_mov_b32 s6, 5
	s_set_inst_prefetch_distance 0x1
	.p2align	6
.LBB108_86:                             ; =>This Inner Loop Header: Depth=1
	ds_load_2addr_b64 v[237:240], v229 offset1:1
	s_waitcnt lgkmcnt(1)
	v_cmp_gt_f64_e32 vcc_lo, 0, v[220:221]
	v_xor_b32_e32 v208, 0x80000000, v221
	v_cmp_gt_f64_e64 s2, 0, v[222:223]
	v_xor_b32_e32 v210, 0x80000000, v223
	v_add_nc_u32_e32 v229, 16, v229
	s_waitcnt lgkmcnt(0)
	v_cmp_gt_f64_e64 s3, 0, v[237:238]
	v_mov_b32_e32 v212, v237
	v_dual_mov_b32 v214, v239 :: v_dual_cndmask_b32 v209, v221, v208
	v_xor_b32_e32 v208, 0x80000000, v238
	v_cndmask_b32_e64 v211, v223, v210, s2
	v_xor_b32_e32 v210, 0x80000000, v240
	s_delay_alu instid0(VALU_DEP_3) | instskip(SKIP_2) | instid1(VALU_DEP_2)
	v_cndmask_b32_e64 v213, v238, v208, s3
	v_cmp_gt_f64_e64 s3, 0, v[239:240]
	v_cndmask_b32_e32 v208, v220, v220, vcc_lo
	v_cndmask_b32_e64 v215, v240, v210, s3
	v_cndmask_b32_e64 v210, v222, v222, s2
	s_delay_alu instid0(VALU_DEP_2) | instskip(NEXT) | instid1(VALU_DEP_2)
	v_add_f64 v[212:213], v[212:213], v[214:215]
	v_add_f64 v[208:209], v[208:209], v[210:211]
	s_delay_alu instid0(VALU_DEP_1) | instskip(SKIP_4) | instid1(SALU_CYCLE_1)
	v_cmp_lt_f64_e32 vcc_lo, v[208:209], v[212:213]
	v_dual_cndmask_b32 v221, v221, v238 :: v_dual_cndmask_b32 v220, v220, v237
	v_dual_cndmask_b32 v223, v223, v240 :: v_dual_cndmask_b32 v222, v222, v239
	v_cndmask_b32_e64 v228, v228, s6, vcc_lo
	s_add_i32 s6, s6, 1
	s_cmp_lg_u32 s5, s6
	s_cbranch_scc1 .LBB108_86
.LBB108_87:
	s_set_inst_prefetch_distance 0x2
	s_waitcnt lgkmcnt(0)
	v_cmp_eq_f64_e32 vcc_lo, 0, v[220:221]
	v_cmp_eq_f64_e64 s2, 0, v[222:223]
	s_delay_alu instid0(VALU_DEP_1) | instskip(NEXT) | instid1(SALU_CYCLE_1)
	s_and_b32 s2, vcc_lo, s2
	s_and_saveexec_b32 s3, s2
	s_delay_alu instid0(SALU_CYCLE_1)
	s_xor_b32 s2, exec_lo, s3
; %bb.88:
	v_cmp_ne_u32_e32 vcc_lo, 0, v233
	v_cndmask_b32_e32 v233, 5, v233, vcc_lo
; %bb.89:
	s_and_not1_saveexec_b32 s3, s2
	s_cbranch_execz .LBB108_95
; %bb.90:
	v_cmp_gt_f64_e32 vcc_lo, 0, v[220:221]
	v_cmp_gt_f64_e64 s2, 0, v[222:223]
	v_xor_b32_e32 v208, 0x80000000, v221
	v_xor_b32_e32 v210, 0x80000000, v223
	s_delay_alu instid0(VALU_DEP_2) | instskip(NEXT) | instid1(VALU_DEP_2)
	v_cndmask_b32_e32 v209, v221, v208, vcc_lo
	v_cndmask_b32_e64 v211, v223, v210, s2
	v_cndmask_b32_e32 v208, v220, v220, vcc_lo
	v_cndmask_b32_e64 v210, v222, v222, s2
	s_mov_b32 s2, exec_lo
	s_delay_alu instid0(VALU_DEP_1)
	v_cmpx_ngt_f64_e32 v[208:209], v[210:211]
	s_xor_b32 s2, exec_lo, s2
	s_cbranch_execz .LBB108_92
; %bb.91:
	v_div_scale_f64 v[208:209], null, v[222:223], v[222:223], v[220:221]
	v_div_scale_f64 v[214:215], vcc_lo, v[220:221], v[222:223], v[220:221]
	s_delay_alu instid0(VALU_DEP_2) | instskip(SKIP_2) | instid1(VALU_DEP_1)
	v_rcp_f64_e32 v[210:211], v[208:209]
	s_waitcnt_depctr 0xfff
	v_fma_f64 v[212:213], -v[208:209], v[210:211], 1.0
	v_fma_f64 v[210:211], v[210:211], v[212:213], v[210:211]
	s_delay_alu instid0(VALU_DEP_1) | instskip(NEXT) | instid1(VALU_DEP_1)
	v_fma_f64 v[212:213], -v[208:209], v[210:211], 1.0
	v_fma_f64 v[210:211], v[210:211], v[212:213], v[210:211]
	s_delay_alu instid0(VALU_DEP_1) | instskip(NEXT) | instid1(VALU_DEP_1)
	v_mul_f64 v[212:213], v[214:215], v[210:211]
	v_fma_f64 v[208:209], -v[208:209], v[212:213], v[214:215]
	s_delay_alu instid0(VALU_DEP_1) | instskip(NEXT) | instid1(VALU_DEP_1)
	v_div_fmas_f64 v[208:209], v[208:209], v[210:211], v[212:213]
	v_div_fixup_f64 v[208:209], v[208:209], v[222:223], v[220:221]
	s_delay_alu instid0(VALU_DEP_1) | instskip(NEXT) | instid1(VALU_DEP_1)
	v_fma_f64 v[210:211], v[220:221], v[208:209], v[222:223]
	v_div_scale_f64 v[212:213], null, v[210:211], v[210:211], 1.0
	s_delay_alu instid0(VALU_DEP_1) | instskip(SKIP_2) | instid1(VALU_DEP_1)
	v_rcp_f64_e32 v[214:215], v[212:213]
	s_waitcnt_depctr 0xfff
	v_fma_f64 v[220:221], -v[212:213], v[214:215], 1.0
	v_fma_f64 v[214:215], v[214:215], v[220:221], v[214:215]
	s_delay_alu instid0(VALU_DEP_1) | instskip(NEXT) | instid1(VALU_DEP_1)
	v_fma_f64 v[220:221], -v[212:213], v[214:215], 1.0
	v_fma_f64 v[214:215], v[214:215], v[220:221], v[214:215]
	v_div_scale_f64 v[220:221], vcc_lo, 1.0, v[210:211], 1.0
	s_delay_alu instid0(VALU_DEP_1) | instskip(NEXT) | instid1(VALU_DEP_1)
	v_mul_f64 v[222:223], v[220:221], v[214:215]
	v_fma_f64 v[212:213], -v[212:213], v[222:223], v[220:221]
	s_delay_alu instid0(VALU_DEP_1) | instskip(NEXT) | instid1(VALU_DEP_1)
	v_div_fmas_f64 v[212:213], v[212:213], v[214:215], v[222:223]
	v_div_fixup_f64 v[222:223], v[212:213], v[210:211], 1.0
	s_delay_alu instid0(VALU_DEP_1)
	v_mul_f64 v[220:221], v[208:209], v[222:223]
	v_xor_b32_e32 v223, 0x80000000, v223
.LBB108_92:
	s_and_not1_saveexec_b32 s2, s2
	s_cbranch_execz .LBB108_94
; %bb.93:
	s_delay_alu instid0(VALU_DEP_1) | instskip(SKIP_1) | instid1(VALU_DEP_2)
	v_div_scale_f64 v[208:209], null, v[220:221], v[220:221], v[222:223]
	v_div_scale_f64 v[214:215], vcc_lo, v[222:223], v[220:221], v[222:223]
	v_rcp_f64_e32 v[210:211], v[208:209]
	s_waitcnt_depctr 0xfff
	v_fma_f64 v[212:213], -v[208:209], v[210:211], 1.0
	s_delay_alu instid0(VALU_DEP_1) | instskip(NEXT) | instid1(VALU_DEP_1)
	v_fma_f64 v[210:211], v[210:211], v[212:213], v[210:211]
	v_fma_f64 v[212:213], -v[208:209], v[210:211], 1.0
	s_delay_alu instid0(VALU_DEP_1) | instskip(NEXT) | instid1(VALU_DEP_1)
	v_fma_f64 v[210:211], v[210:211], v[212:213], v[210:211]
	v_mul_f64 v[212:213], v[214:215], v[210:211]
	s_delay_alu instid0(VALU_DEP_1) | instskip(NEXT) | instid1(VALU_DEP_1)
	v_fma_f64 v[208:209], -v[208:209], v[212:213], v[214:215]
	v_div_fmas_f64 v[208:209], v[208:209], v[210:211], v[212:213]
	s_delay_alu instid0(VALU_DEP_1) | instskip(NEXT) | instid1(VALU_DEP_1)
	v_div_fixup_f64 v[208:209], v[208:209], v[220:221], v[222:223]
	v_fma_f64 v[210:211], v[222:223], v[208:209], v[220:221]
	s_delay_alu instid0(VALU_DEP_1) | instskip(NEXT) | instid1(VALU_DEP_1)
	v_div_scale_f64 v[212:213], null, v[210:211], v[210:211], 1.0
	v_rcp_f64_e32 v[214:215], v[212:213]
	s_waitcnt_depctr 0xfff
	v_fma_f64 v[220:221], -v[212:213], v[214:215], 1.0
	s_delay_alu instid0(VALU_DEP_1) | instskip(NEXT) | instid1(VALU_DEP_1)
	v_fma_f64 v[214:215], v[214:215], v[220:221], v[214:215]
	v_fma_f64 v[220:221], -v[212:213], v[214:215], 1.0
	s_delay_alu instid0(VALU_DEP_1) | instskip(SKIP_1) | instid1(VALU_DEP_1)
	v_fma_f64 v[214:215], v[214:215], v[220:221], v[214:215]
	v_div_scale_f64 v[220:221], vcc_lo, 1.0, v[210:211], 1.0
	v_mul_f64 v[222:223], v[220:221], v[214:215]
	s_delay_alu instid0(VALU_DEP_1) | instskip(NEXT) | instid1(VALU_DEP_1)
	v_fma_f64 v[212:213], -v[212:213], v[222:223], v[220:221]
	v_div_fmas_f64 v[212:213], v[212:213], v[214:215], v[222:223]
	s_delay_alu instid0(VALU_DEP_1) | instskip(NEXT) | instid1(VALU_DEP_1)
	v_div_fixup_f64 v[220:221], v[212:213], v[210:211], 1.0
	v_mul_f64 v[222:223], v[208:209], -v[220:221]
.LBB108_94:
	s_or_b32 exec_lo, exec_lo, s2
.LBB108_95:
	s_delay_alu instid0(SALU_CYCLE_1) | instskip(NEXT) | instid1(SALU_CYCLE_1)
	s_or_b32 exec_lo, exec_lo, s3
	s_mov_b32 s2, exec_lo
	v_cmpx_ne_u32_e64 v236, v228
	s_xor_b32 s2, exec_lo, s2
	s_cbranch_execz .LBB108_101
; %bb.96:
	s_mov_b32 s3, exec_lo
	v_cmpx_eq_u32_e32 4, v236
	s_cbranch_execz .LBB108_100
; %bb.97:
	v_cmp_ne_u32_e32 vcc_lo, 4, v228
	s_xor_b32 s6, s4, -1
	s_delay_alu instid0(SALU_CYCLE_1) | instskip(NEXT) | instid1(SALU_CYCLE_1)
	s_and_b32 s7, s6, vcc_lo
	s_and_saveexec_b32 s6, s7
	s_cbranch_execz .LBB108_99
; %bb.98:
	v_ashrrev_i32_e32 v229, 31, v228
	s_delay_alu instid0(VALU_DEP_1) | instskip(NEXT) | instid1(VALU_DEP_1)
	v_lshlrev_b64 v[208:209], 2, v[228:229]
	v_add_co_u32 v208, vcc_lo, v231, v208
	s_delay_alu instid0(VALU_DEP_2)
	v_add_co_ci_u32_e32 v209, vcc_lo, v232, v209, vcc_lo
	s_clause 0x1
	flat_load_b32 v210, v[208:209]
	flat_load_b32 v211, v[231:232] offset:16
	s_waitcnt vmcnt(1) lgkmcnt(1)
	flat_store_b32 v[231:232], v210 offset:16
	s_waitcnt vmcnt(0) lgkmcnt(1)
	flat_store_b32 v[208:209], v211
.LBB108_99:
	s_or_b32 exec_lo, exec_lo, s6
	v_mov_b32_e32 v236, v228
	v_mov_b32_e32 v227, v228
.LBB108_100:
	s_or_b32 exec_lo, exec_lo, s3
.LBB108_101:
	s_and_not1_saveexec_b32 s2, s2
	s_cbranch_execz .LBB108_103
; %bb.102:
	v_mov_b32_e32 v236, 4
	ds_store_2addr_b64 v230, v[196:197], v[198:199] offset0:10 offset1:11
	ds_store_2addr_b64 v230, v[192:193], v[194:195] offset0:12 offset1:13
	;; [unrolled: 1-line block ×50, first 2 shown]
.LBB108_103:
	s_or_b32 exec_lo, exec_lo, s2
	s_delay_alu instid0(SALU_CYCLE_1)
	s_mov_b32 s2, exec_lo
	s_waitcnt lgkmcnt(0)
	s_waitcnt_vscnt null, 0x0
	s_barrier
	buffer_gl0_inv
	v_cmpx_lt_i32_e32 4, v236
	s_cbranch_execz .LBB108_105
; %bb.104:
	v_mul_f64 v[208:209], v[222:223], v[202:203]
	v_mul_f64 v[202:203], v[220:221], v[202:203]
	s_delay_alu instid0(VALU_DEP_2) | instskip(NEXT) | instid1(VALU_DEP_2)
	v_fma_f64 v[228:229], v[220:221], v[200:201], -v[208:209]
	v_fma_f64 v[202:203], v[222:223], v[200:201], v[202:203]
	ds_load_2addr_b64 v[220:223], v230 offset0:10 offset1:11
	s_waitcnt lgkmcnt(0)
	v_mul_f64 v[200:201], v[222:223], v[202:203]
	v_mul_f64 v[208:209], v[220:221], v[202:203]
	s_delay_alu instid0(VALU_DEP_2) | instskip(NEXT) | instid1(VALU_DEP_2)
	v_fma_f64 v[200:201], v[220:221], v[228:229], -v[200:201]
	v_fma_f64 v[208:209], v[222:223], v[228:229], v[208:209]
	ds_load_2addr_b64 v[220:223], v230 offset0:12 offset1:13
	v_add_f64 v[196:197], v[196:197], -v[200:201]
	v_add_f64 v[198:199], v[198:199], -v[208:209]
	s_waitcnt lgkmcnt(0)
	v_mul_f64 v[200:201], v[222:223], v[202:203]
	v_mul_f64 v[208:209], v[220:221], v[202:203]
	s_delay_alu instid0(VALU_DEP_2) | instskip(NEXT) | instid1(VALU_DEP_2)
	v_fma_f64 v[200:201], v[220:221], v[228:229], -v[200:201]
	v_fma_f64 v[208:209], v[222:223], v[228:229], v[208:209]
	ds_load_2addr_b64 v[220:223], v230 offset0:14 offset1:15
	v_add_f64 v[192:193], v[192:193], -v[200:201]
	v_add_f64 v[194:195], v[194:195], -v[208:209]
	;; [unrolled: 9-line block ×49, first 2 shown]
	s_waitcnt lgkmcnt(0)
	v_mul_f64 v[200:201], v[222:223], v[202:203]
	v_mul_f64 v[208:209], v[220:221], v[202:203]
	s_delay_alu instid0(VALU_DEP_2) | instskip(NEXT) | instid1(VALU_DEP_2)
	v_fma_f64 v[200:201], v[220:221], v[228:229], -v[200:201]
	v_fma_f64 v[208:209], v[222:223], v[228:229], v[208:209]
	s_delay_alu instid0(VALU_DEP_2) | instskip(NEXT) | instid1(VALU_DEP_2)
	v_add_f64 v[0:1], v[0:1], -v[200:201]
	v_add_f64 v[2:3], v[2:3], -v[208:209]
	v_dual_mov_b32 v200, v228 :: v_dual_mov_b32 v201, v229
.LBB108_105:
	s_or_b32 exec_lo, exec_lo, s2
	v_lshl_add_u32 v208, v236, 4, v230
	s_barrier
	buffer_gl0_inv
	v_mov_b32_e32 v228, 5
	ds_store_2addr_b64 v208, v[196:197], v[198:199] offset1:1
	s_waitcnt lgkmcnt(0)
	s_barrier
	buffer_gl0_inv
	ds_load_2addr_b64 v[220:223], v230 offset0:10 offset1:11
	s_cmp_lt_i32 s5, 7
	s_cbranch_scc1 .LBB108_108
; %bb.106:
	v_add3_u32 v229, v234, 0, 0x60
	v_mov_b32_e32 v228, 5
	s_mov_b32 s6, 6
	s_set_inst_prefetch_distance 0x1
	.p2align	6
.LBB108_107:                            ; =>This Inner Loop Header: Depth=1
	ds_load_2addr_b64 v[237:240], v229 offset1:1
	s_waitcnt lgkmcnt(1)
	v_cmp_gt_f64_e32 vcc_lo, 0, v[220:221]
	v_xor_b32_e32 v208, 0x80000000, v221
	v_cmp_gt_f64_e64 s2, 0, v[222:223]
	v_xor_b32_e32 v210, 0x80000000, v223
	v_add_nc_u32_e32 v229, 16, v229
	s_waitcnt lgkmcnt(0)
	v_cmp_gt_f64_e64 s3, 0, v[237:238]
	v_mov_b32_e32 v212, v237
	v_dual_mov_b32 v214, v239 :: v_dual_cndmask_b32 v209, v221, v208
	v_xor_b32_e32 v208, 0x80000000, v238
	v_cndmask_b32_e64 v211, v223, v210, s2
	v_xor_b32_e32 v210, 0x80000000, v240
	s_delay_alu instid0(VALU_DEP_3) | instskip(SKIP_2) | instid1(VALU_DEP_2)
	v_cndmask_b32_e64 v213, v238, v208, s3
	v_cmp_gt_f64_e64 s3, 0, v[239:240]
	v_cndmask_b32_e32 v208, v220, v220, vcc_lo
	v_cndmask_b32_e64 v215, v240, v210, s3
	v_cndmask_b32_e64 v210, v222, v222, s2
	s_delay_alu instid0(VALU_DEP_2) | instskip(NEXT) | instid1(VALU_DEP_2)
	v_add_f64 v[212:213], v[212:213], v[214:215]
	v_add_f64 v[208:209], v[208:209], v[210:211]
	s_delay_alu instid0(VALU_DEP_1) | instskip(SKIP_4) | instid1(SALU_CYCLE_1)
	v_cmp_lt_f64_e32 vcc_lo, v[208:209], v[212:213]
	v_dual_cndmask_b32 v221, v221, v238 :: v_dual_cndmask_b32 v220, v220, v237
	v_dual_cndmask_b32 v223, v223, v240 :: v_dual_cndmask_b32 v222, v222, v239
	v_cndmask_b32_e64 v228, v228, s6, vcc_lo
	s_add_i32 s6, s6, 1
	s_cmp_lg_u32 s5, s6
	s_cbranch_scc1 .LBB108_107
.LBB108_108:
	s_set_inst_prefetch_distance 0x2
	s_waitcnt lgkmcnt(0)
	v_cmp_eq_f64_e32 vcc_lo, 0, v[220:221]
	v_cmp_eq_f64_e64 s2, 0, v[222:223]
	s_delay_alu instid0(VALU_DEP_1) | instskip(NEXT) | instid1(SALU_CYCLE_1)
	s_and_b32 s2, vcc_lo, s2
	s_and_saveexec_b32 s3, s2
	s_delay_alu instid0(SALU_CYCLE_1)
	s_xor_b32 s2, exec_lo, s3
; %bb.109:
	v_cmp_ne_u32_e32 vcc_lo, 0, v233
	v_cndmask_b32_e32 v233, 6, v233, vcc_lo
; %bb.110:
	s_and_not1_saveexec_b32 s3, s2
	s_cbranch_execz .LBB108_116
; %bb.111:
	v_cmp_gt_f64_e32 vcc_lo, 0, v[220:221]
	v_cmp_gt_f64_e64 s2, 0, v[222:223]
	v_xor_b32_e32 v208, 0x80000000, v221
	v_xor_b32_e32 v210, 0x80000000, v223
	s_delay_alu instid0(VALU_DEP_2) | instskip(NEXT) | instid1(VALU_DEP_2)
	v_cndmask_b32_e32 v209, v221, v208, vcc_lo
	v_cndmask_b32_e64 v211, v223, v210, s2
	v_cndmask_b32_e32 v208, v220, v220, vcc_lo
	v_cndmask_b32_e64 v210, v222, v222, s2
	s_mov_b32 s2, exec_lo
	s_delay_alu instid0(VALU_DEP_1)
	v_cmpx_ngt_f64_e32 v[208:209], v[210:211]
	s_xor_b32 s2, exec_lo, s2
	s_cbranch_execz .LBB108_113
; %bb.112:
	v_div_scale_f64 v[208:209], null, v[222:223], v[222:223], v[220:221]
	v_div_scale_f64 v[214:215], vcc_lo, v[220:221], v[222:223], v[220:221]
	s_delay_alu instid0(VALU_DEP_2) | instskip(SKIP_2) | instid1(VALU_DEP_1)
	v_rcp_f64_e32 v[210:211], v[208:209]
	s_waitcnt_depctr 0xfff
	v_fma_f64 v[212:213], -v[208:209], v[210:211], 1.0
	v_fma_f64 v[210:211], v[210:211], v[212:213], v[210:211]
	s_delay_alu instid0(VALU_DEP_1) | instskip(NEXT) | instid1(VALU_DEP_1)
	v_fma_f64 v[212:213], -v[208:209], v[210:211], 1.0
	v_fma_f64 v[210:211], v[210:211], v[212:213], v[210:211]
	s_delay_alu instid0(VALU_DEP_1) | instskip(NEXT) | instid1(VALU_DEP_1)
	v_mul_f64 v[212:213], v[214:215], v[210:211]
	v_fma_f64 v[208:209], -v[208:209], v[212:213], v[214:215]
	s_delay_alu instid0(VALU_DEP_1) | instskip(NEXT) | instid1(VALU_DEP_1)
	v_div_fmas_f64 v[208:209], v[208:209], v[210:211], v[212:213]
	v_div_fixup_f64 v[208:209], v[208:209], v[222:223], v[220:221]
	s_delay_alu instid0(VALU_DEP_1) | instskip(NEXT) | instid1(VALU_DEP_1)
	v_fma_f64 v[210:211], v[220:221], v[208:209], v[222:223]
	v_div_scale_f64 v[212:213], null, v[210:211], v[210:211], 1.0
	s_delay_alu instid0(VALU_DEP_1) | instskip(SKIP_2) | instid1(VALU_DEP_1)
	v_rcp_f64_e32 v[214:215], v[212:213]
	s_waitcnt_depctr 0xfff
	v_fma_f64 v[220:221], -v[212:213], v[214:215], 1.0
	v_fma_f64 v[214:215], v[214:215], v[220:221], v[214:215]
	s_delay_alu instid0(VALU_DEP_1) | instskip(NEXT) | instid1(VALU_DEP_1)
	v_fma_f64 v[220:221], -v[212:213], v[214:215], 1.0
	v_fma_f64 v[214:215], v[214:215], v[220:221], v[214:215]
	v_div_scale_f64 v[220:221], vcc_lo, 1.0, v[210:211], 1.0
	s_delay_alu instid0(VALU_DEP_1) | instskip(NEXT) | instid1(VALU_DEP_1)
	v_mul_f64 v[222:223], v[220:221], v[214:215]
	v_fma_f64 v[212:213], -v[212:213], v[222:223], v[220:221]
	s_delay_alu instid0(VALU_DEP_1) | instskip(NEXT) | instid1(VALU_DEP_1)
	v_div_fmas_f64 v[212:213], v[212:213], v[214:215], v[222:223]
	v_div_fixup_f64 v[222:223], v[212:213], v[210:211], 1.0
	s_delay_alu instid0(VALU_DEP_1)
	v_mul_f64 v[220:221], v[208:209], v[222:223]
	v_xor_b32_e32 v223, 0x80000000, v223
.LBB108_113:
	s_and_not1_saveexec_b32 s2, s2
	s_cbranch_execz .LBB108_115
; %bb.114:
	s_delay_alu instid0(VALU_DEP_1) | instskip(SKIP_1) | instid1(VALU_DEP_2)
	v_div_scale_f64 v[208:209], null, v[220:221], v[220:221], v[222:223]
	v_div_scale_f64 v[214:215], vcc_lo, v[222:223], v[220:221], v[222:223]
	v_rcp_f64_e32 v[210:211], v[208:209]
	s_waitcnt_depctr 0xfff
	v_fma_f64 v[212:213], -v[208:209], v[210:211], 1.0
	s_delay_alu instid0(VALU_DEP_1) | instskip(NEXT) | instid1(VALU_DEP_1)
	v_fma_f64 v[210:211], v[210:211], v[212:213], v[210:211]
	v_fma_f64 v[212:213], -v[208:209], v[210:211], 1.0
	s_delay_alu instid0(VALU_DEP_1) | instskip(NEXT) | instid1(VALU_DEP_1)
	v_fma_f64 v[210:211], v[210:211], v[212:213], v[210:211]
	v_mul_f64 v[212:213], v[214:215], v[210:211]
	s_delay_alu instid0(VALU_DEP_1) | instskip(NEXT) | instid1(VALU_DEP_1)
	v_fma_f64 v[208:209], -v[208:209], v[212:213], v[214:215]
	v_div_fmas_f64 v[208:209], v[208:209], v[210:211], v[212:213]
	s_delay_alu instid0(VALU_DEP_1) | instskip(NEXT) | instid1(VALU_DEP_1)
	v_div_fixup_f64 v[208:209], v[208:209], v[220:221], v[222:223]
	v_fma_f64 v[210:211], v[222:223], v[208:209], v[220:221]
	s_delay_alu instid0(VALU_DEP_1) | instskip(NEXT) | instid1(VALU_DEP_1)
	v_div_scale_f64 v[212:213], null, v[210:211], v[210:211], 1.0
	v_rcp_f64_e32 v[214:215], v[212:213]
	s_waitcnt_depctr 0xfff
	v_fma_f64 v[220:221], -v[212:213], v[214:215], 1.0
	s_delay_alu instid0(VALU_DEP_1) | instskip(NEXT) | instid1(VALU_DEP_1)
	v_fma_f64 v[214:215], v[214:215], v[220:221], v[214:215]
	v_fma_f64 v[220:221], -v[212:213], v[214:215], 1.0
	s_delay_alu instid0(VALU_DEP_1) | instskip(SKIP_1) | instid1(VALU_DEP_1)
	v_fma_f64 v[214:215], v[214:215], v[220:221], v[214:215]
	v_div_scale_f64 v[220:221], vcc_lo, 1.0, v[210:211], 1.0
	v_mul_f64 v[222:223], v[220:221], v[214:215]
	s_delay_alu instid0(VALU_DEP_1) | instskip(NEXT) | instid1(VALU_DEP_1)
	v_fma_f64 v[212:213], -v[212:213], v[222:223], v[220:221]
	v_div_fmas_f64 v[212:213], v[212:213], v[214:215], v[222:223]
	s_delay_alu instid0(VALU_DEP_1) | instskip(NEXT) | instid1(VALU_DEP_1)
	v_div_fixup_f64 v[220:221], v[212:213], v[210:211], 1.0
	v_mul_f64 v[222:223], v[208:209], -v[220:221]
.LBB108_115:
	s_or_b32 exec_lo, exec_lo, s2
.LBB108_116:
	s_delay_alu instid0(SALU_CYCLE_1) | instskip(NEXT) | instid1(SALU_CYCLE_1)
	s_or_b32 exec_lo, exec_lo, s3
	s_mov_b32 s2, exec_lo
	v_cmpx_ne_u32_e64 v236, v228
	s_xor_b32 s2, exec_lo, s2
	s_cbranch_execz .LBB108_122
; %bb.117:
	s_mov_b32 s3, exec_lo
	v_cmpx_eq_u32_e32 5, v236
	s_cbranch_execz .LBB108_121
; %bb.118:
	v_cmp_ne_u32_e32 vcc_lo, 5, v228
	s_xor_b32 s6, s4, -1
	s_delay_alu instid0(SALU_CYCLE_1) | instskip(NEXT) | instid1(SALU_CYCLE_1)
	s_and_b32 s7, s6, vcc_lo
	s_and_saveexec_b32 s6, s7
	s_cbranch_execz .LBB108_120
; %bb.119:
	v_ashrrev_i32_e32 v229, 31, v228
	s_delay_alu instid0(VALU_DEP_1) | instskip(NEXT) | instid1(VALU_DEP_1)
	v_lshlrev_b64 v[208:209], 2, v[228:229]
	v_add_co_u32 v208, vcc_lo, v231, v208
	s_delay_alu instid0(VALU_DEP_2)
	v_add_co_ci_u32_e32 v209, vcc_lo, v232, v209, vcc_lo
	s_clause 0x1
	flat_load_b32 v210, v[208:209]
	flat_load_b32 v211, v[231:232] offset:20
	s_waitcnt vmcnt(1) lgkmcnt(1)
	flat_store_b32 v[231:232], v210 offset:20
	s_waitcnt vmcnt(0) lgkmcnt(1)
	flat_store_b32 v[208:209], v211
.LBB108_120:
	s_or_b32 exec_lo, exec_lo, s6
	v_mov_b32_e32 v236, v228
	v_mov_b32_e32 v227, v228
.LBB108_121:
	s_or_b32 exec_lo, exec_lo, s3
.LBB108_122:
	s_and_not1_saveexec_b32 s2, s2
	s_cbranch_execz .LBB108_124
; %bb.123:
	v_mov_b32_e32 v236, 5
	ds_store_2addr_b64 v230, v[192:193], v[194:195] offset0:12 offset1:13
	ds_store_2addr_b64 v230, v[188:189], v[190:191] offset0:14 offset1:15
	;; [unrolled: 1-line block ×49, first 2 shown]
.LBB108_124:
	s_or_b32 exec_lo, exec_lo, s2
	s_delay_alu instid0(SALU_CYCLE_1)
	s_mov_b32 s2, exec_lo
	s_waitcnt lgkmcnt(0)
	s_waitcnt_vscnt null, 0x0
	s_barrier
	buffer_gl0_inv
	v_cmpx_lt_i32_e32 5, v236
	s_cbranch_execz .LBB108_126
; %bb.125:
	v_mul_f64 v[208:209], v[222:223], v[198:199]
	v_mul_f64 v[198:199], v[220:221], v[198:199]
	s_delay_alu instid0(VALU_DEP_2) | instskip(NEXT) | instid1(VALU_DEP_2)
	v_fma_f64 v[228:229], v[220:221], v[196:197], -v[208:209]
	v_fma_f64 v[198:199], v[222:223], v[196:197], v[198:199]
	ds_load_2addr_b64 v[220:223], v230 offset0:12 offset1:13
	s_waitcnt lgkmcnt(0)
	v_mul_f64 v[196:197], v[222:223], v[198:199]
	v_mul_f64 v[208:209], v[220:221], v[198:199]
	s_delay_alu instid0(VALU_DEP_2) | instskip(NEXT) | instid1(VALU_DEP_2)
	v_fma_f64 v[196:197], v[220:221], v[228:229], -v[196:197]
	v_fma_f64 v[208:209], v[222:223], v[228:229], v[208:209]
	ds_load_2addr_b64 v[220:223], v230 offset0:14 offset1:15
	v_add_f64 v[192:193], v[192:193], -v[196:197]
	v_add_f64 v[194:195], v[194:195], -v[208:209]
	s_waitcnt lgkmcnt(0)
	v_mul_f64 v[196:197], v[222:223], v[198:199]
	v_mul_f64 v[208:209], v[220:221], v[198:199]
	s_delay_alu instid0(VALU_DEP_2) | instskip(NEXT) | instid1(VALU_DEP_2)
	v_fma_f64 v[196:197], v[220:221], v[228:229], -v[196:197]
	v_fma_f64 v[208:209], v[222:223], v[228:229], v[208:209]
	ds_load_2addr_b64 v[220:223], v230 offset0:16 offset1:17
	v_add_f64 v[188:189], v[188:189], -v[196:197]
	v_add_f64 v[190:191], v[190:191], -v[208:209]
	;; [unrolled: 9-line block ×48, first 2 shown]
	s_waitcnt lgkmcnt(0)
	v_mul_f64 v[196:197], v[222:223], v[198:199]
	v_mul_f64 v[208:209], v[220:221], v[198:199]
	s_delay_alu instid0(VALU_DEP_2) | instskip(NEXT) | instid1(VALU_DEP_2)
	v_fma_f64 v[196:197], v[220:221], v[228:229], -v[196:197]
	v_fma_f64 v[208:209], v[222:223], v[228:229], v[208:209]
	s_delay_alu instid0(VALU_DEP_2) | instskip(NEXT) | instid1(VALU_DEP_2)
	v_add_f64 v[0:1], v[0:1], -v[196:197]
	v_add_f64 v[2:3], v[2:3], -v[208:209]
	v_dual_mov_b32 v196, v228 :: v_dual_mov_b32 v197, v229
.LBB108_126:
	s_or_b32 exec_lo, exec_lo, s2
	v_lshl_add_u32 v208, v236, 4, v230
	s_barrier
	buffer_gl0_inv
	v_mov_b32_e32 v228, 6
	ds_store_2addr_b64 v208, v[192:193], v[194:195] offset1:1
	s_waitcnt lgkmcnt(0)
	s_barrier
	buffer_gl0_inv
	ds_load_2addr_b64 v[220:223], v230 offset0:12 offset1:13
	s_cmp_lt_i32 s5, 8
	s_cbranch_scc1 .LBB108_129
; %bb.127:
	v_add3_u32 v229, v234, 0, 0x70
	v_mov_b32_e32 v228, 6
	s_mov_b32 s6, 7
	s_set_inst_prefetch_distance 0x1
	.p2align	6
.LBB108_128:                            ; =>This Inner Loop Header: Depth=1
	ds_load_2addr_b64 v[237:240], v229 offset1:1
	s_waitcnt lgkmcnt(1)
	v_cmp_gt_f64_e32 vcc_lo, 0, v[220:221]
	v_xor_b32_e32 v208, 0x80000000, v221
	v_cmp_gt_f64_e64 s2, 0, v[222:223]
	v_xor_b32_e32 v210, 0x80000000, v223
	v_add_nc_u32_e32 v229, 16, v229
	s_waitcnt lgkmcnt(0)
	v_cmp_gt_f64_e64 s3, 0, v[237:238]
	v_mov_b32_e32 v212, v237
	v_dual_mov_b32 v214, v239 :: v_dual_cndmask_b32 v209, v221, v208
	v_xor_b32_e32 v208, 0x80000000, v238
	v_cndmask_b32_e64 v211, v223, v210, s2
	v_xor_b32_e32 v210, 0x80000000, v240
	s_delay_alu instid0(VALU_DEP_3) | instskip(SKIP_2) | instid1(VALU_DEP_2)
	v_cndmask_b32_e64 v213, v238, v208, s3
	v_cmp_gt_f64_e64 s3, 0, v[239:240]
	v_cndmask_b32_e32 v208, v220, v220, vcc_lo
	v_cndmask_b32_e64 v215, v240, v210, s3
	v_cndmask_b32_e64 v210, v222, v222, s2
	s_delay_alu instid0(VALU_DEP_2) | instskip(NEXT) | instid1(VALU_DEP_2)
	v_add_f64 v[212:213], v[212:213], v[214:215]
	v_add_f64 v[208:209], v[208:209], v[210:211]
	s_delay_alu instid0(VALU_DEP_1) | instskip(SKIP_4) | instid1(SALU_CYCLE_1)
	v_cmp_lt_f64_e32 vcc_lo, v[208:209], v[212:213]
	v_dual_cndmask_b32 v221, v221, v238 :: v_dual_cndmask_b32 v220, v220, v237
	v_dual_cndmask_b32 v223, v223, v240 :: v_dual_cndmask_b32 v222, v222, v239
	v_cndmask_b32_e64 v228, v228, s6, vcc_lo
	s_add_i32 s6, s6, 1
	s_cmp_lg_u32 s5, s6
	s_cbranch_scc1 .LBB108_128
.LBB108_129:
	s_set_inst_prefetch_distance 0x2
	s_waitcnt lgkmcnt(0)
	v_cmp_eq_f64_e32 vcc_lo, 0, v[220:221]
	v_cmp_eq_f64_e64 s2, 0, v[222:223]
	s_delay_alu instid0(VALU_DEP_1) | instskip(NEXT) | instid1(SALU_CYCLE_1)
	s_and_b32 s2, vcc_lo, s2
	s_and_saveexec_b32 s3, s2
	s_delay_alu instid0(SALU_CYCLE_1)
	s_xor_b32 s2, exec_lo, s3
; %bb.130:
	v_cmp_ne_u32_e32 vcc_lo, 0, v233
	v_cndmask_b32_e32 v233, 7, v233, vcc_lo
; %bb.131:
	s_and_not1_saveexec_b32 s3, s2
	s_cbranch_execz .LBB108_137
; %bb.132:
	v_cmp_gt_f64_e32 vcc_lo, 0, v[220:221]
	v_cmp_gt_f64_e64 s2, 0, v[222:223]
	v_xor_b32_e32 v208, 0x80000000, v221
	v_xor_b32_e32 v210, 0x80000000, v223
	s_delay_alu instid0(VALU_DEP_2) | instskip(NEXT) | instid1(VALU_DEP_2)
	v_cndmask_b32_e32 v209, v221, v208, vcc_lo
	v_cndmask_b32_e64 v211, v223, v210, s2
	v_cndmask_b32_e32 v208, v220, v220, vcc_lo
	v_cndmask_b32_e64 v210, v222, v222, s2
	s_mov_b32 s2, exec_lo
	s_delay_alu instid0(VALU_DEP_1)
	v_cmpx_ngt_f64_e32 v[208:209], v[210:211]
	s_xor_b32 s2, exec_lo, s2
	s_cbranch_execz .LBB108_134
; %bb.133:
	v_div_scale_f64 v[208:209], null, v[222:223], v[222:223], v[220:221]
	v_div_scale_f64 v[214:215], vcc_lo, v[220:221], v[222:223], v[220:221]
	s_delay_alu instid0(VALU_DEP_2) | instskip(SKIP_2) | instid1(VALU_DEP_1)
	v_rcp_f64_e32 v[210:211], v[208:209]
	s_waitcnt_depctr 0xfff
	v_fma_f64 v[212:213], -v[208:209], v[210:211], 1.0
	v_fma_f64 v[210:211], v[210:211], v[212:213], v[210:211]
	s_delay_alu instid0(VALU_DEP_1) | instskip(NEXT) | instid1(VALU_DEP_1)
	v_fma_f64 v[212:213], -v[208:209], v[210:211], 1.0
	v_fma_f64 v[210:211], v[210:211], v[212:213], v[210:211]
	s_delay_alu instid0(VALU_DEP_1) | instskip(NEXT) | instid1(VALU_DEP_1)
	v_mul_f64 v[212:213], v[214:215], v[210:211]
	v_fma_f64 v[208:209], -v[208:209], v[212:213], v[214:215]
	s_delay_alu instid0(VALU_DEP_1) | instskip(NEXT) | instid1(VALU_DEP_1)
	v_div_fmas_f64 v[208:209], v[208:209], v[210:211], v[212:213]
	v_div_fixup_f64 v[208:209], v[208:209], v[222:223], v[220:221]
	s_delay_alu instid0(VALU_DEP_1) | instskip(NEXT) | instid1(VALU_DEP_1)
	v_fma_f64 v[210:211], v[220:221], v[208:209], v[222:223]
	v_div_scale_f64 v[212:213], null, v[210:211], v[210:211], 1.0
	s_delay_alu instid0(VALU_DEP_1) | instskip(SKIP_2) | instid1(VALU_DEP_1)
	v_rcp_f64_e32 v[214:215], v[212:213]
	s_waitcnt_depctr 0xfff
	v_fma_f64 v[220:221], -v[212:213], v[214:215], 1.0
	v_fma_f64 v[214:215], v[214:215], v[220:221], v[214:215]
	s_delay_alu instid0(VALU_DEP_1) | instskip(NEXT) | instid1(VALU_DEP_1)
	v_fma_f64 v[220:221], -v[212:213], v[214:215], 1.0
	v_fma_f64 v[214:215], v[214:215], v[220:221], v[214:215]
	v_div_scale_f64 v[220:221], vcc_lo, 1.0, v[210:211], 1.0
	s_delay_alu instid0(VALU_DEP_1) | instskip(NEXT) | instid1(VALU_DEP_1)
	v_mul_f64 v[222:223], v[220:221], v[214:215]
	v_fma_f64 v[212:213], -v[212:213], v[222:223], v[220:221]
	s_delay_alu instid0(VALU_DEP_1) | instskip(NEXT) | instid1(VALU_DEP_1)
	v_div_fmas_f64 v[212:213], v[212:213], v[214:215], v[222:223]
	v_div_fixup_f64 v[222:223], v[212:213], v[210:211], 1.0
	s_delay_alu instid0(VALU_DEP_1)
	v_mul_f64 v[220:221], v[208:209], v[222:223]
	v_xor_b32_e32 v223, 0x80000000, v223
.LBB108_134:
	s_and_not1_saveexec_b32 s2, s2
	s_cbranch_execz .LBB108_136
; %bb.135:
	s_delay_alu instid0(VALU_DEP_1) | instskip(SKIP_1) | instid1(VALU_DEP_2)
	v_div_scale_f64 v[208:209], null, v[220:221], v[220:221], v[222:223]
	v_div_scale_f64 v[214:215], vcc_lo, v[222:223], v[220:221], v[222:223]
	v_rcp_f64_e32 v[210:211], v[208:209]
	s_waitcnt_depctr 0xfff
	v_fma_f64 v[212:213], -v[208:209], v[210:211], 1.0
	s_delay_alu instid0(VALU_DEP_1) | instskip(NEXT) | instid1(VALU_DEP_1)
	v_fma_f64 v[210:211], v[210:211], v[212:213], v[210:211]
	v_fma_f64 v[212:213], -v[208:209], v[210:211], 1.0
	s_delay_alu instid0(VALU_DEP_1) | instskip(NEXT) | instid1(VALU_DEP_1)
	v_fma_f64 v[210:211], v[210:211], v[212:213], v[210:211]
	v_mul_f64 v[212:213], v[214:215], v[210:211]
	s_delay_alu instid0(VALU_DEP_1) | instskip(NEXT) | instid1(VALU_DEP_1)
	v_fma_f64 v[208:209], -v[208:209], v[212:213], v[214:215]
	v_div_fmas_f64 v[208:209], v[208:209], v[210:211], v[212:213]
	s_delay_alu instid0(VALU_DEP_1) | instskip(NEXT) | instid1(VALU_DEP_1)
	v_div_fixup_f64 v[208:209], v[208:209], v[220:221], v[222:223]
	v_fma_f64 v[210:211], v[222:223], v[208:209], v[220:221]
	s_delay_alu instid0(VALU_DEP_1) | instskip(NEXT) | instid1(VALU_DEP_1)
	v_div_scale_f64 v[212:213], null, v[210:211], v[210:211], 1.0
	v_rcp_f64_e32 v[214:215], v[212:213]
	s_waitcnt_depctr 0xfff
	v_fma_f64 v[220:221], -v[212:213], v[214:215], 1.0
	s_delay_alu instid0(VALU_DEP_1) | instskip(NEXT) | instid1(VALU_DEP_1)
	v_fma_f64 v[214:215], v[214:215], v[220:221], v[214:215]
	v_fma_f64 v[220:221], -v[212:213], v[214:215], 1.0
	s_delay_alu instid0(VALU_DEP_1) | instskip(SKIP_1) | instid1(VALU_DEP_1)
	v_fma_f64 v[214:215], v[214:215], v[220:221], v[214:215]
	v_div_scale_f64 v[220:221], vcc_lo, 1.0, v[210:211], 1.0
	v_mul_f64 v[222:223], v[220:221], v[214:215]
	s_delay_alu instid0(VALU_DEP_1) | instskip(NEXT) | instid1(VALU_DEP_1)
	v_fma_f64 v[212:213], -v[212:213], v[222:223], v[220:221]
	v_div_fmas_f64 v[212:213], v[212:213], v[214:215], v[222:223]
	s_delay_alu instid0(VALU_DEP_1) | instskip(NEXT) | instid1(VALU_DEP_1)
	v_div_fixup_f64 v[220:221], v[212:213], v[210:211], 1.0
	v_mul_f64 v[222:223], v[208:209], -v[220:221]
.LBB108_136:
	s_or_b32 exec_lo, exec_lo, s2
.LBB108_137:
	s_delay_alu instid0(SALU_CYCLE_1) | instskip(NEXT) | instid1(SALU_CYCLE_1)
	s_or_b32 exec_lo, exec_lo, s3
	s_mov_b32 s2, exec_lo
	v_cmpx_ne_u32_e64 v236, v228
	s_xor_b32 s2, exec_lo, s2
	s_cbranch_execz .LBB108_143
; %bb.138:
	s_mov_b32 s3, exec_lo
	v_cmpx_eq_u32_e32 6, v236
	s_cbranch_execz .LBB108_142
; %bb.139:
	v_cmp_ne_u32_e32 vcc_lo, 6, v228
	s_xor_b32 s6, s4, -1
	s_delay_alu instid0(SALU_CYCLE_1) | instskip(NEXT) | instid1(SALU_CYCLE_1)
	s_and_b32 s7, s6, vcc_lo
	s_and_saveexec_b32 s6, s7
	s_cbranch_execz .LBB108_141
; %bb.140:
	v_ashrrev_i32_e32 v229, 31, v228
	s_delay_alu instid0(VALU_DEP_1) | instskip(NEXT) | instid1(VALU_DEP_1)
	v_lshlrev_b64 v[208:209], 2, v[228:229]
	v_add_co_u32 v208, vcc_lo, v231, v208
	s_delay_alu instid0(VALU_DEP_2)
	v_add_co_ci_u32_e32 v209, vcc_lo, v232, v209, vcc_lo
	s_clause 0x1
	flat_load_b32 v210, v[208:209]
	flat_load_b32 v211, v[231:232] offset:24
	s_waitcnt vmcnt(1) lgkmcnt(1)
	flat_store_b32 v[231:232], v210 offset:24
	s_waitcnt vmcnt(0) lgkmcnt(1)
	flat_store_b32 v[208:209], v211
.LBB108_141:
	s_or_b32 exec_lo, exec_lo, s6
	v_mov_b32_e32 v236, v228
	v_mov_b32_e32 v227, v228
.LBB108_142:
	s_or_b32 exec_lo, exec_lo, s3
.LBB108_143:
	s_and_not1_saveexec_b32 s2, s2
	s_cbranch_execz .LBB108_145
; %bb.144:
	v_mov_b32_e32 v236, 6
	ds_store_2addr_b64 v230, v[188:189], v[190:191] offset0:14 offset1:15
	ds_store_2addr_b64 v230, v[184:185], v[186:187] offset0:16 offset1:17
	;; [unrolled: 1-line block ×48, first 2 shown]
.LBB108_145:
	s_or_b32 exec_lo, exec_lo, s2
	s_delay_alu instid0(SALU_CYCLE_1)
	s_mov_b32 s2, exec_lo
	s_waitcnt lgkmcnt(0)
	s_waitcnt_vscnt null, 0x0
	s_barrier
	buffer_gl0_inv
	v_cmpx_lt_i32_e32 6, v236
	s_cbranch_execz .LBB108_147
; %bb.146:
	v_mul_f64 v[208:209], v[222:223], v[194:195]
	v_mul_f64 v[194:195], v[220:221], v[194:195]
	s_delay_alu instid0(VALU_DEP_2) | instskip(NEXT) | instid1(VALU_DEP_2)
	v_fma_f64 v[228:229], v[220:221], v[192:193], -v[208:209]
	v_fma_f64 v[194:195], v[222:223], v[192:193], v[194:195]
	ds_load_2addr_b64 v[220:223], v230 offset0:14 offset1:15
	s_waitcnt lgkmcnt(0)
	v_mul_f64 v[192:193], v[222:223], v[194:195]
	v_mul_f64 v[208:209], v[220:221], v[194:195]
	s_delay_alu instid0(VALU_DEP_2) | instskip(NEXT) | instid1(VALU_DEP_2)
	v_fma_f64 v[192:193], v[220:221], v[228:229], -v[192:193]
	v_fma_f64 v[208:209], v[222:223], v[228:229], v[208:209]
	ds_load_2addr_b64 v[220:223], v230 offset0:16 offset1:17
	v_add_f64 v[188:189], v[188:189], -v[192:193]
	v_add_f64 v[190:191], v[190:191], -v[208:209]
	s_waitcnt lgkmcnt(0)
	v_mul_f64 v[192:193], v[222:223], v[194:195]
	v_mul_f64 v[208:209], v[220:221], v[194:195]
	s_delay_alu instid0(VALU_DEP_2) | instskip(NEXT) | instid1(VALU_DEP_2)
	v_fma_f64 v[192:193], v[220:221], v[228:229], -v[192:193]
	v_fma_f64 v[208:209], v[222:223], v[228:229], v[208:209]
	ds_load_2addr_b64 v[220:223], v230 offset0:18 offset1:19
	v_add_f64 v[184:185], v[184:185], -v[192:193]
	v_add_f64 v[186:187], v[186:187], -v[208:209]
	;; [unrolled: 9-line block ×47, first 2 shown]
	s_waitcnt lgkmcnt(0)
	v_mul_f64 v[192:193], v[222:223], v[194:195]
	v_mul_f64 v[208:209], v[220:221], v[194:195]
	s_delay_alu instid0(VALU_DEP_2) | instskip(NEXT) | instid1(VALU_DEP_2)
	v_fma_f64 v[192:193], v[220:221], v[228:229], -v[192:193]
	v_fma_f64 v[208:209], v[222:223], v[228:229], v[208:209]
	s_delay_alu instid0(VALU_DEP_2) | instskip(NEXT) | instid1(VALU_DEP_2)
	v_add_f64 v[0:1], v[0:1], -v[192:193]
	v_add_f64 v[2:3], v[2:3], -v[208:209]
	v_dual_mov_b32 v192, v228 :: v_dual_mov_b32 v193, v229
.LBB108_147:
	s_or_b32 exec_lo, exec_lo, s2
	v_lshl_add_u32 v208, v236, 4, v230
	s_barrier
	buffer_gl0_inv
	v_mov_b32_e32 v228, 7
	ds_store_2addr_b64 v208, v[188:189], v[190:191] offset1:1
	s_waitcnt lgkmcnt(0)
	s_barrier
	buffer_gl0_inv
	ds_load_2addr_b64 v[220:223], v230 offset0:14 offset1:15
	s_cmp_lt_i32 s5, 9
	s_cbranch_scc1 .LBB108_150
; %bb.148:
	v_add3_u32 v229, v234, 0, 0x80
	v_mov_b32_e32 v228, 7
	s_mov_b32 s6, 8
	s_set_inst_prefetch_distance 0x1
	.p2align	6
.LBB108_149:                            ; =>This Inner Loop Header: Depth=1
	ds_load_2addr_b64 v[237:240], v229 offset1:1
	s_waitcnt lgkmcnt(1)
	v_cmp_gt_f64_e32 vcc_lo, 0, v[220:221]
	v_xor_b32_e32 v208, 0x80000000, v221
	v_cmp_gt_f64_e64 s2, 0, v[222:223]
	v_xor_b32_e32 v210, 0x80000000, v223
	v_add_nc_u32_e32 v229, 16, v229
	s_waitcnt lgkmcnt(0)
	v_cmp_gt_f64_e64 s3, 0, v[237:238]
	v_mov_b32_e32 v212, v237
	v_dual_mov_b32 v214, v239 :: v_dual_cndmask_b32 v209, v221, v208
	v_xor_b32_e32 v208, 0x80000000, v238
	v_cndmask_b32_e64 v211, v223, v210, s2
	v_xor_b32_e32 v210, 0x80000000, v240
	s_delay_alu instid0(VALU_DEP_3) | instskip(SKIP_2) | instid1(VALU_DEP_2)
	v_cndmask_b32_e64 v213, v238, v208, s3
	v_cmp_gt_f64_e64 s3, 0, v[239:240]
	v_cndmask_b32_e32 v208, v220, v220, vcc_lo
	v_cndmask_b32_e64 v215, v240, v210, s3
	v_cndmask_b32_e64 v210, v222, v222, s2
	s_delay_alu instid0(VALU_DEP_2) | instskip(NEXT) | instid1(VALU_DEP_2)
	v_add_f64 v[212:213], v[212:213], v[214:215]
	v_add_f64 v[208:209], v[208:209], v[210:211]
	s_delay_alu instid0(VALU_DEP_1) | instskip(SKIP_4) | instid1(SALU_CYCLE_1)
	v_cmp_lt_f64_e32 vcc_lo, v[208:209], v[212:213]
	v_dual_cndmask_b32 v221, v221, v238 :: v_dual_cndmask_b32 v220, v220, v237
	v_dual_cndmask_b32 v223, v223, v240 :: v_dual_cndmask_b32 v222, v222, v239
	v_cndmask_b32_e64 v228, v228, s6, vcc_lo
	s_add_i32 s6, s6, 1
	s_cmp_lg_u32 s5, s6
	s_cbranch_scc1 .LBB108_149
.LBB108_150:
	s_set_inst_prefetch_distance 0x2
	s_waitcnt lgkmcnt(0)
	v_cmp_eq_f64_e32 vcc_lo, 0, v[220:221]
	v_cmp_eq_f64_e64 s2, 0, v[222:223]
	s_delay_alu instid0(VALU_DEP_1) | instskip(NEXT) | instid1(SALU_CYCLE_1)
	s_and_b32 s2, vcc_lo, s2
	s_and_saveexec_b32 s3, s2
	s_delay_alu instid0(SALU_CYCLE_1)
	s_xor_b32 s2, exec_lo, s3
; %bb.151:
	v_cmp_ne_u32_e32 vcc_lo, 0, v233
	v_cndmask_b32_e32 v233, 8, v233, vcc_lo
; %bb.152:
	s_and_not1_saveexec_b32 s3, s2
	s_cbranch_execz .LBB108_158
; %bb.153:
	v_cmp_gt_f64_e32 vcc_lo, 0, v[220:221]
	v_cmp_gt_f64_e64 s2, 0, v[222:223]
	v_xor_b32_e32 v208, 0x80000000, v221
	v_xor_b32_e32 v210, 0x80000000, v223
	s_delay_alu instid0(VALU_DEP_2) | instskip(NEXT) | instid1(VALU_DEP_2)
	v_cndmask_b32_e32 v209, v221, v208, vcc_lo
	v_cndmask_b32_e64 v211, v223, v210, s2
	v_cndmask_b32_e32 v208, v220, v220, vcc_lo
	v_cndmask_b32_e64 v210, v222, v222, s2
	s_mov_b32 s2, exec_lo
	s_delay_alu instid0(VALU_DEP_1)
	v_cmpx_ngt_f64_e32 v[208:209], v[210:211]
	s_xor_b32 s2, exec_lo, s2
	s_cbranch_execz .LBB108_155
; %bb.154:
	v_div_scale_f64 v[208:209], null, v[222:223], v[222:223], v[220:221]
	v_div_scale_f64 v[214:215], vcc_lo, v[220:221], v[222:223], v[220:221]
	s_delay_alu instid0(VALU_DEP_2) | instskip(SKIP_2) | instid1(VALU_DEP_1)
	v_rcp_f64_e32 v[210:211], v[208:209]
	s_waitcnt_depctr 0xfff
	v_fma_f64 v[212:213], -v[208:209], v[210:211], 1.0
	v_fma_f64 v[210:211], v[210:211], v[212:213], v[210:211]
	s_delay_alu instid0(VALU_DEP_1) | instskip(NEXT) | instid1(VALU_DEP_1)
	v_fma_f64 v[212:213], -v[208:209], v[210:211], 1.0
	v_fma_f64 v[210:211], v[210:211], v[212:213], v[210:211]
	s_delay_alu instid0(VALU_DEP_1) | instskip(NEXT) | instid1(VALU_DEP_1)
	v_mul_f64 v[212:213], v[214:215], v[210:211]
	v_fma_f64 v[208:209], -v[208:209], v[212:213], v[214:215]
	s_delay_alu instid0(VALU_DEP_1) | instskip(NEXT) | instid1(VALU_DEP_1)
	v_div_fmas_f64 v[208:209], v[208:209], v[210:211], v[212:213]
	v_div_fixup_f64 v[208:209], v[208:209], v[222:223], v[220:221]
	s_delay_alu instid0(VALU_DEP_1) | instskip(NEXT) | instid1(VALU_DEP_1)
	v_fma_f64 v[210:211], v[220:221], v[208:209], v[222:223]
	v_div_scale_f64 v[212:213], null, v[210:211], v[210:211], 1.0
	s_delay_alu instid0(VALU_DEP_1) | instskip(SKIP_2) | instid1(VALU_DEP_1)
	v_rcp_f64_e32 v[214:215], v[212:213]
	s_waitcnt_depctr 0xfff
	v_fma_f64 v[220:221], -v[212:213], v[214:215], 1.0
	v_fma_f64 v[214:215], v[214:215], v[220:221], v[214:215]
	s_delay_alu instid0(VALU_DEP_1) | instskip(NEXT) | instid1(VALU_DEP_1)
	v_fma_f64 v[220:221], -v[212:213], v[214:215], 1.0
	v_fma_f64 v[214:215], v[214:215], v[220:221], v[214:215]
	v_div_scale_f64 v[220:221], vcc_lo, 1.0, v[210:211], 1.0
	s_delay_alu instid0(VALU_DEP_1) | instskip(NEXT) | instid1(VALU_DEP_1)
	v_mul_f64 v[222:223], v[220:221], v[214:215]
	v_fma_f64 v[212:213], -v[212:213], v[222:223], v[220:221]
	s_delay_alu instid0(VALU_DEP_1) | instskip(NEXT) | instid1(VALU_DEP_1)
	v_div_fmas_f64 v[212:213], v[212:213], v[214:215], v[222:223]
	v_div_fixup_f64 v[222:223], v[212:213], v[210:211], 1.0
	s_delay_alu instid0(VALU_DEP_1)
	v_mul_f64 v[220:221], v[208:209], v[222:223]
	v_xor_b32_e32 v223, 0x80000000, v223
.LBB108_155:
	s_and_not1_saveexec_b32 s2, s2
	s_cbranch_execz .LBB108_157
; %bb.156:
	s_delay_alu instid0(VALU_DEP_1) | instskip(SKIP_1) | instid1(VALU_DEP_2)
	v_div_scale_f64 v[208:209], null, v[220:221], v[220:221], v[222:223]
	v_div_scale_f64 v[214:215], vcc_lo, v[222:223], v[220:221], v[222:223]
	v_rcp_f64_e32 v[210:211], v[208:209]
	s_waitcnt_depctr 0xfff
	v_fma_f64 v[212:213], -v[208:209], v[210:211], 1.0
	s_delay_alu instid0(VALU_DEP_1) | instskip(NEXT) | instid1(VALU_DEP_1)
	v_fma_f64 v[210:211], v[210:211], v[212:213], v[210:211]
	v_fma_f64 v[212:213], -v[208:209], v[210:211], 1.0
	s_delay_alu instid0(VALU_DEP_1) | instskip(NEXT) | instid1(VALU_DEP_1)
	v_fma_f64 v[210:211], v[210:211], v[212:213], v[210:211]
	v_mul_f64 v[212:213], v[214:215], v[210:211]
	s_delay_alu instid0(VALU_DEP_1) | instskip(NEXT) | instid1(VALU_DEP_1)
	v_fma_f64 v[208:209], -v[208:209], v[212:213], v[214:215]
	v_div_fmas_f64 v[208:209], v[208:209], v[210:211], v[212:213]
	s_delay_alu instid0(VALU_DEP_1) | instskip(NEXT) | instid1(VALU_DEP_1)
	v_div_fixup_f64 v[208:209], v[208:209], v[220:221], v[222:223]
	v_fma_f64 v[210:211], v[222:223], v[208:209], v[220:221]
	s_delay_alu instid0(VALU_DEP_1) | instskip(NEXT) | instid1(VALU_DEP_1)
	v_div_scale_f64 v[212:213], null, v[210:211], v[210:211], 1.0
	v_rcp_f64_e32 v[214:215], v[212:213]
	s_waitcnt_depctr 0xfff
	v_fma_f64 v[220:221], -v[212:213], v[214:215], 1.0
	s_delay_alu instid0(VALU_DEP_1) | instskip(NEXT) | instid1(VALU_DEP_1)
	v_fma_f64 v[214:215], v[214:215], v[220:221], v[214:215]
	v_fma_f64 v[220:221], -v[212:213], v[214:215], 1.0
	s_delay_alu instid0(VALU_DEP_1) | instskip(SKIP_1) | instid1(VALU_DEP_1)
	v_fma_f64 v[214:215], v[214:215], v[220:221], v[214:215]
	v_div_scale_f64 v[220:221], vcc_lo, 1.0, v[210:211], 1.0
	v_mul_f64 v[222:223], v[220:221], v[214:215]
	s_delay_alu instid0(VALU_DEP_1) | instskip(NEXT) | instid1(VALU_DEP_1)
	v_fma_f64 v[212:213], -v[212:213], v[222:223], v[220:221]
	v_div_fmas_f64 v[212:213], v[212:213], v[214:215], v[222:223]
	s_delay_alu instid0(VALU_DEP_1) | instskip(NEXT) | instid1(VALU_DEP_1)
	v_div_fixup_f64 v[220:221], v[212:213], v[210:211], 1.0
	v_mul_f64 v[222:223], v[208:209], -v[220:221]
.LBB108_157:
	s_or_b32 exec_lo, exec_lo, s2
.LBB108_158:
	s_delay_alu instid0(SALU_CYCLE_1) | instskip(NEXT) | instid1(SALU_CYCLE_1)
	s_or_b32 exec_lo, exec_lo, s3
	s_mov_b32 s2, exec_lo
	v_cmpx_ne_u32_e64 v236, v228
	s_xor_b32 s2, exec_lo, s2
	s_cbranch_execz .LBB108_164
; %bb.159:
	s_mov_b32 s3, exec_lo
	v_cmpx_eq_u32_e32 7, v236
	s_cbranch_execz .LBB108_163
; %bb.160:
	v_cmp_ne_u32_e32 vcc_lo, 7, v228
	s_xor_b32 s6, s4, -1
	s_delay_alu instid0(SALU_CYCLE_1) | instskip(NEXT) | instid1(SALU_CYCLE_1)
	s_and_b32 s7, s6, vcc_lo
	s_and_saveexec_b32 s6, s7
	s_cbranch_execz .LBB108_162
; %bb.161:
	v_ashrrev_i32_e32 v229, 31, v228
	s_delay_alu instid0(VALU_DEP_1) | instskip(NEXT) | instid1(VALU_DEP_1)
	v_lshlrev_b64 v[208:209], 2, v[228:229]
	v_add_co_u32 v208, vcc_lo, v231, v208
	s_delay_alu instid0(VALU_DEP_2)
	v_add_co_ci_u32_e32 v209, vcc_lo, v232, v209, vcc_lo
	s_clause 0x1
	flat_load_b32 v210, v[208:209]
	flat_load_b32 v211, v[231:232] offset:28
	s_waitcnt vmcnt(1) lgkmcnt(1)
	flat_store_b32 v[231:232], v210 offset:28
	s_waitcnt vmcnt(0) lgkmcnt(1)
	flat_store_b32 v[208:209], v211
.LBB108_162:
	s_or_b32 exec_lo, exec_lo, s6
	v_mov_b32_e32 v236, v228
	v_mov_b32_e32 v227, v228
.LBB108_163:
	s_or_b32 exec_lo, exec_lo, s3
.LBB108_164:
	s_and_not1_saveexec_b32 s2, s2
	s_cbranch_execz .LBB108_166
; %bb.165:
	v_mov_b32_e32 v236, 7
	ds_store_2addr_b64 v230, v[184:185], v[186:187] offset0:16 offset1:17
	ds_store_2addr_b64 v230, v[180:181], v[182:183] offset0:18 offset1:19
	;; [unrolled: 1-line block ×47, first 2 shown]
.LBB108_166:
	s_or_b32 exec_lo, exec_lo, s2
	s_delay_alu instid0(SALU_CYCLE_1)
	s_mov_b32 s2, exec_lo
	s_waitcnt lgkmcnt(0)
	s_waitcnt_vscnt null, 0x0
	s_barrier
	buffer_gl0_inv
	v_cmpx_lt_i32_e32 7, v236
	s_cbranch_execz .LBB108_168
; %bb.167:
	v_mul_f64 v[208:209], v[222:223], v[190:191]
	v_mul_f64 v[190:191], v[220:221], v[190:191]
	s_delay_alu instid0(VALU_DEP_2) | instskip(NEXT) | instid1(VALU_DEP_2)
	v_fma_f64 v[228:229], v[220:221], v[188:189], -v[208:209]
	v_fma_f64 v[190:191], v[222:223], v[188:189], v[190:191]
	ds_load_2addr_b64 v[220:223], v230 offset0:16 offset1:17
	s_waitcnt lgkmcnt(0)
	v_mul_f64 v[188:189], v[222:223], v[190:191]
	v_mul_f64 v[208:209], v[220:221], v[190:191]
	s_delay_alu instid0(VALU_DEP_2) | instskip(NEXT) | instid1(VALU_DEP_2)
	v_fma_f64 v[188:189], v[220:221], v[228:229], -v[188:189]
	v_fma_f64 v[208:209], v[222:223], v[228:229], v[208:209]
	ds_load_2addr_b64 v[220:223], v230 offset0:18 offset1:19
	v_add_f64 v[184:185], v[184:185], -v[188:189]
	v_add_f64 v[186:187], v[186:187], -v[208:209]
	s_waitcnt lgkmcnt(0)
	v_mul_f64 v[188:189], v[222:223], v[190:191]
	v_mul_f64 v[208:209], v[220:221], v[190:191]
	s_delay_alu instid0(VALU_DEP_2) | instskip(NEXT) | instid1(VALU_DEP_2)
	v_fma_f64 v[188:189], v[220:221], v[228:229], -v[188:189]
	v_fma_f64 v[208:209], v[222:223], v[228:229], v[208:209]
	ds_load_2addr_b64 v[220:223], v230 offset0:20 offset1:21
	v_add_f64 v[180:181], v[180:181], -v[188:189]
	v_add_f64 v[182:183], v[182:183], -v[208:209]
	;; [unrolled: 9-line block ×46, first 2 shown]
	s_waitcnt lgkmcnt(0)
	v_mul_f64 v[188:189], v[222:223], v[190:191]
	v_mul_f64 v[208:209], v[220:221], v[190:191]
	s_delay_alu instid0(VALU_DEP_2) | instskip(NEXT) | instid1(VALU_DEP_2)
	v_fma_f64 v[188:189], v[220:221], v[228:229], -v[188:189]
	v_fma_f64 v[208:209], v[222:223], v[228:229], v[208:209]
	s_delay_alu instid0(VALU_DEP_2) | instskip(NEXT) | instid1(VALU_DEP_2)
	v_add_f64 v[0:1], v[0:1], -v[188:189]
	v_add_f64 v[2:3], v[2:3], -v[208:209]
	v_dual_mov_b32 v188, v228 :: v_dual_mov_b32 v189, v229
.LBB108_168:
	s_or_b32 exec_lo, exec_lo, s2
	v_lshl_add_u32 v208, v236, 4, v230
	s_barrier
	buffer_gl0_inv
	v_mov_b32_e32 v228, 8
	ds_store_2addr_b64 v208, v[184:185], v[186:187] offset1:1
	s_waitcnt lgkmcnt(0)
	s_barrier
	buffer_gl0_inv
	ds_load_2addr_b64 v[220:223], v230 offset0:16 offset1:17
	s_cmp_lt_i32 s5, 10
	s_cbranch_scc1 .LBB108_171
; %bb.169:
	v_add3_u32 v229, v234, 0, 0x90
	v_mov_b32_e32 v228, 8
	s_mov_b32 s6, 9
	s_set_inst_prefetch_distance 0x1
	.p2align	6
.LBB108_170:                            ; =>This Inner Loop Header: Depth=1
	ds_load_2addr_b64 v[237:240], v229 offset1:1
	s_waitcnt lgkmcnt(1)
	v_cmp_gt_f64_e32 vcc_lo, 0, v[220:221]
	v_xor_b32_e32 v208, 0x80000000, v221
	v_cmp_gt_f64_e64 s2, 0, v[222:223]
	v_xor_b32_e32 v210, 0x80000000, v223
	v_add_nc_u32_e32 v229, 16, v229
	s_waitcnt lgkmcnt(0)
	v_cmp_gt_f64_e64 s3, 0, v[237:238]
	v_mov_b32_e32 v212, v237
	v_dual_mov_b32 v214, v239 :: v_dual_cndmask_b32 v209, v221, v208
	v_xor_b32_e32 v208, 0x80000000, v238
	v_cndmask_b32_e64 v211, v223, v210, s2
	v_xor_b32_e32 v210, 0x80000000, v240
	s_delay_alu instid0(VALU_DEP_3) | instskip(SKIP_2) | instid1(VALU_DEP_2)
	v_cndmask_b32_e64 v213, v238, v208, s3
	v_cmp_gt_f64_e64 s3, 0, v[239:240]
	v_cndmask_b32_e32 v208, v220, v220, vcc_lo
	v_cndmask_b32_e64 v215, v240, v210, s3
	v_cndmask_b32_e64 v210, v222, v222, s2
	s_delay_alu instid0(VALU_DEP_2) | instskip(NEXT) | instid1(VALU_DEP_2)
	v_add_f64 v[212:213], v[212:213], v[214:215]
	v_add_f64 v[208:209], v[208:209], v[210:211]
	s_delay_alu instid0(VALU_DEP_1) | instskip(SKIP_4) | instid1(SALU_CYCLE_1)
	v_cmp_lt_f64_e32 vcc_lo, v[208:209], v[212:213]
	v_dual_cndmask_b32 v221, v221, v238 :: v_dual_cndmask_b32 v220, v220, v237
	v_dual_cndmask_b32 v223, v223, v240 :: v_dual_cndmask_b32 v222, v222, v239
	v_cndmask_b32_e64 v228, v228, s6, vcc_lo
	s_add_i32 s6, s6, 1
	s_cmp_lg_u32 s5, s6
	s_cbranch_scc1 .LBB108_170
.LBB108_171:
	s_set_inst_prefetch_distance 0x2
	s_waitcnt lgkmcnt(0)
	v_cmp_eq_f64_e32 vcc_lo, 0, v[220:221]
	v_cmp_eq_f64_e64 s2, 0, v[222:223]
	s_delay_alu instid0(VALU_DEP_1) | instskip(NEXT) | instid1(SALU_CYCLE_1)
	s_and_b32 s2, vcc_lo, s2
	s_and_saveexec_b32 s3, s2
	s_delay_alu instid0(SALU_CYCLE_1)
	s_xor_b32 s2, exec_lo, s3
; %bb.172:
	v_cmp_ne_u32_e32 vcc_lo, 0, v233
	v_cndmask_b32_e32 v233, 9, v233, vcc_lo
; %bb.173:
	s_and_not1_saveexec_b32 s3, s2
	s_cbranch_execz .LBB108_179
; %bb.174:
	v_cmp_gt_f64_e32 vcc_lo, 0, v[220:221]
	v_cmp_gt_f64_e64 s2, 0, v[222:223]
	v_xor_b32_e32 v208, 0x80000000, v221
	v_xor_b32_e32 v210, 0x80000000, v223
	s_delay_alu instid0(VALU_DEP_2) | instskip(NEXT) | instid1(VALU_DEP_2)
	v_cndmask_b32_e32 v209, v221, v208, vcc_lo
	v_cndmask_b32_e64 v211, v223, v210, s2
	v_cndmask_b32_e32 v208, v220, v220, vcc_lo
	v_cndmask_b32_e64 v210, v222, v222, s2
	s_mov_b32 s2, exec_lo
	s_delay_alu instid0(VALU_DEP_1)
	v_cmpx_ngt_f64_e32 v[208:209], v[210:211]
	s_xor_b32 s2, exec_lo, s2
	s_cbranch_execz .LBB108_176
; %bb.175:
	v_div_scale_f64 v[208:209], null, v[222:223], v[222:223], v[220:221]
	v_div_scale_f64 v[214:215], vcc_lo, v[220:221], v[222:223], v[220:221]
	s_delay_alu instid0(VALU_DEP_2) | instskip(SKIP_2) | instid1(VALU_DEP_1)
	v_rcp_f64_e32 v[210:211], v[208:209]
	s_waitcnt_depctr 0xfff
	v_fma_f64 v[212:213], -v[208:209], v[210:211], 1.0
	v_fma_f64 v[210:211], v[210:211], v[212:213], v[210:211]
	s_delay_alu instid0(VALU_DEP_1) | instskip(NEXT) | instid1(VALU_DEP_1)
	v_fma_f64 v[212:213], -v[208:209], v[210:211], 1.0
	v_fma_f64 v[210:211], v[210:211], v[212:213], v[210:211]
	s_delay_alu instid0(VALU_DEP_1) | instskip(NEXT) | instid1(VALU_DEP_1)
	v_mul_f64 v[212:213], v[214:215], v[210:211]
	v_fma_f64 v[208:209], -v[208:209], v[212:213], v[214:215]
	s_delay_alu instid0(VALU_DEP_1) | instskip(NEXT) | instid1(VALU_DEP_1)
	v_div_fmas_f64 v[208:209], v[208:209], v[210:211], v[212:213]
	v_div_fixup_f64 v[208:209], v[208:209], v[222:223], v[220:221]
	s_delay_alu instid0(VALU_DEP_1) | instskip(NEXT) | instid1(VALU_DEP_1)
	v_fma_f64 v[210:211], v[220:221], v[208:209], v[222:223]
	v_div_scale_f64 v[212:213], null, v[210:211], v[210:211], 1.0
	s_delay_alu instid0(VALU_DEP_1) | instskip(SKIP_2) | instid1(VALU_DEP_1)
	v_rcp_f64_e32 v[214:215], v[212:213]
	s_waitcnt_depctr 0xfff
	v_fma_f64 v[220:221], -v[212:213], v[214:215], 1.0
	v_fma_f64 v[214:215], v[214:215], v[220:221], v[214:215]
	s_delay_alu instid0(VALU_DEP_1) | instskip(NEXT) | instid1(VALU_DEP_1)
	v_fma_f64 v[220:221], -v[212:213], v[214:215], 1.0
	v_fma_f64 v[214:215], v[214:215], v[220:221], v[214:215]
	v_div_scale_f64 v[220:221], vcc_lo, 1.0, v[210:211], 1.0
	s_delay_alu instid0(VALU_DEP_1) | instskip(NEXT) | instid1(VALU_DEP_1)
	v_mul_f64 v[222:223], v[220:221], v[214:215]
	v_fma_f64 v[212:213], -v[212:213], v[222:223], v[220:221]
	s_delay_alu instid0(VALU_DEP_1) | instskip(NEXT) | instid1(VALU_DEP_1)
	v_div_fmas_f64 v[212:213], v[212:213], v[214:215], v[222:223]
	v_div_fixup_f64 v[222:223], v[212:213], v[210:211], 1.0
	s_delay_alu instid0(VALU_DEP_1)
	v_mul_f64 v[220:221], v[208:209], v[222:223]
	v_xor_b32_e32 v223, 0x80000000, v223
.LBB108_176:
	s_and_not1_saveexec_b32 s2, s2
	s_cbranch_execz .LBB108_178
; %bb.177:
	s_delay_alu instid0(VALU_DEP_1) | instskip(SKIP_1) | instid1(VALU_DEP_2)
	v_div_scale_f64 v[208:209], null, v[220:221], v[220:221], v[222:223]
	v_div_scale_f64 v[214:215], vcc_lo, v[222:223], v[220:221], v[222:223]
	v_rcp_f64_e32 v[210:211], v[208:209]
	s_waitcnt_depctr 0xfff
	v_fma_f64 v[212:213], -v[208:209], v[210:211], 1.0
	s_delay_alu instid0(VALU_DEP_1) | instskip(NEXT) | instid1(VALU_DEP_1)
	v_fma_f64 v[210:211], v[210:211], v[212:213], v[210:211]
	v_fma_f64 v[212:213], -v[208:209], v[210:211], 1.0
	s_delay_alu instid0(VALU_DEP_1) | instskip(NEXT) | instid1(VALU_DEP_1)
	v_fma_f64 v[210:211], v[210:211], v[212:213], v[210:211]
	v_mul_f64 v[212:213], v[214:215], v[210:211]
	s_delay_alu instid0(VALU_DEP_1) | instskip(NEXT) | instid1(VALU_DEP_1)
	v_fma_f64 v[208:209], -v[208:209], v[212:213], v[214:215]
	v_div_fmas_f64 v[208:209], v[208:209], v[210:211], v[212:213]
	s_delay_alu instid0(VALU_DEP_1) | instskip(NEXT) | instid1(VALU_DEP_1)
	v_div_fixup_f64 v[208:209], v[208:209], v[220:221], v[222:223]
	v_fma_f64 v[210:211], v[222:223], v[208:209], v[220:221]
	s_delay_alu instid0(VALU_DEP_1) | instskip(NEXT) | instid1(VALU_DEP_1)
	v_div_scale_f64 v[212:213], null, v[210:211], v[210:211], 1.0
	v_rcp_f64_e32 v[214:215], v[212:213]
	s_waitcnt_depctr 0xfff
	v_fma_f64 v[220:221], -v[212:213], v[214:215], 1.0
	s_delay_alu instid0(VALU_DEP_1) | instskip(NEXT) | instid1(VALU_DEP_1)
	v_fma_f64 v[214:215], v[214:215], v[220:221], v[214:215]
	v_fma_f64 v[220:221], -v[212:213], v[214:215], 1.0
	s_delay_alu instid0(VALU_DEP_1) | instskip(SKIP_1) | instid1(VALU_DEP_1)
	v_fma_f64 v[214:215], v[214:215], v[220:221], v[214:215]
	v_div_scale_f64 v[220:221], vcc_lo, 1.0, v[210:211], 1.0
	v_mul_f64 v[222:223], v[220:221], v[214:215]
	s_delay_alu instid0(VALU_DEP_1) | instskip(NEXT) | instid1(VALU_DEP_1)
	v_fma_f64 v[212:213], -v[212:213], v[222:223], v[220:221]
	v_div_fmas_f64 v[212:213], v[212:213], v[214:215], v[222:223]
	s_delay_alu instid0(VALU_DEP_1) | instskip(NEXT) | instid1(VALU_DEP_1)
	v_div_fixup_f64 v[220:221], v[212:213], v[210:211], 1.0
	v_mul_f64 v[222:223], v[208:209], -v[220:221]
.LBB108_178:
	s_or_b32 exec_lo, exec_lo, s2
.LBB108_179:
	s_delay_alu instid0(SALU_CYCLE_1) | instskip(NEXT) | instid1(SALU_CYCLE_1)
	s_or_b32 exec_lo, exec_lo, s3
	s_mov_b32 s2, exec_lo
	v_cmpx_ne_u32_e64 v236, v228
	s_xor_b32 s2, exec_lo, s2
	s_cbranch_execz .LBB108_185
; %bb.180:
	s_mov_b32 s3, exec_lo
	v_cmpx_eq_u32_e32 8, v236
	s_cbranch_execz .LBB108_184
; %bb.181:
	v_cmp_ne_u32_e32 vcc_lo, 8, v228
	s_xor_b32 s6, s4, -1
	s_delay_alu instid0(SALU_CYCLE_1) | instskip(NEXT) | instid1(SALU_CYCLE_1)
	s_and_b32 s7, s6, vcc_lo
	s_and_saveexec_b32 s6, s7
	s_cbranch_execz .LBB108_183
; %bb.182:
	v_ashrrev_i32_e32 v229, 31, v228
	s_delay_alu instid0(VALU_DEP_1) | instskip(NEXT) | instid1(VALU_DEP_1)
	v_lshlrev_b64 v[208:209], 2, v[228:229]
	v_add_co_u32 v208, vcc_lo, v231, v208
	s_delay_alu instid0(VALU_DEP_2)
	v_add_co_ci_u32_e32 v209, vcc_lo, v232, v209, vcc_lo
	s_clause 0x1
	flat_load_b32 v210, v[208:209]
	flat_load_b32 v211, v[231:232] offset:32
	s_waitcnt vmcnt(1) lgkmcnt(1)
	flat_store_b32 v[231:232], v210 offset:32
	s_waitcnt vmcnt(0) lgkmcnt(1)
	flat_store_b32 v[208:209], v211
.LBB108_183:
	s_or_b32 exec_lo, exec_lo, s6
	v_mov_b32_e32 v236, v228
	v_mov_b32_e32 v227, v228
.LBB108_184:
	s_or_b32 exec_lo, exec_lo, s3
.LBB108_185:
	s_and_not1_saveexec_b32 s2, s2
	s_cbranch_execz .LBB108_187
; %bb.186:
	v_mov_b32_e32 v236, 8
	ds_store_2addr_b64 v230, v[180:181], v[182:183] offset0:18 offset1:19
	ds_store_2addr_b64 v230, v[176:177], v[178:179] offset0:20 offset1:21
	;; [unrolled: 1-line block ×46, first 2 shown]
.LBB108_187:
	s_or_b32 exec_lo, exec_lo, s2
	s_delay_alu instid0(SALU_CYCLE_1)
	s_mov_b32 s2, exec_lo
	s_waitcnt lgkmcnt(0)
	s_waitcnt_vscnt null, 0x0
	s_barrier
	buffer_gl0_inv
	v_cmpx_lt_i32_e32 8, v236
	s_cbranch_execz .LBB108_189
; %bb.188:
	v_mul_f64 v[208:209], v[222:223], v[186:187]
	v_mul_f64 v[186:187], v[220:221], v[186:187]
	s_delay_alu instid0(VALU_DEP_2) | instskip(NEXT) | instid1(VALU_DEP_2)
	v_fma_f64 v[228:229], v[220:221], v[184:185], -v[208:209]
	v_fma_f64 v[186:187], v[222:223], v[184:185], v[186:187]
	ds_load_2addr_b64 v[220:223], v230 offset0:18 offset1:19
	s_waitcnt lgkmcnt(0)
	v_mul_f64 v[184:185], v[222:223], v[186:187]
	v_mul_f64 v[208:209], v[220:221], v[186:187]
	s_delay_alu instid0(VALU_DEP_2) | instskip(NEXT) | instid1(VALU_DEP_2)
	v_fma_f64 v[184:185], v[220:221], v[228:229], -v[184:185]
	v_fma_f64 v[208:209], v[222:223], v[228:229], v[208:209]
	ds_load_2addr_b64 v[220:223], v230 offset0:20 offset1:21
	v_add_f64 v[180:181], v[180:181], -v[184:185]
	v_add_f64 v[182:183], v[182:183], -v[208:209]
	s_waitcnt lgkmcnt(0)
	v_mul_f64 v[184:185], v[222:223], v[186:187]
	v_mul_f64 v[208:209], v[220:221], v[186:187]
	s_delay_alu instid0(VALU_DEP_2) | instskip(NEXT) | instid1(VALU_DEP_2)
	v_fma_f64 v[184:185], v[220:221], v[228:229], -v[184:185]
	v_fma_f64 v[208:209], v[222:223], v[228:229], v[208:209]
	ds_load_2addr_b64 v[220:223], v230 offset0:22 offset1:23
	v_add_f64 v[176:177], v[176:177], -v[184:185]
	v_add_f64 v[178:179], v[178:179], -v[208:209]
	;; [unrolled: 9-line block ×45, first 2 shown]
	s_waitcnt lgkmcnt(0)
	v_mul_f64 v[184:185], v[222:223], v[186:187]
	v_mul_f64 v[208:209], v[220:221], v[186:187]
	s_delay_alu instid0(VALU_DEP_2) | instskip(NEXT) | instid1(VALU_DEP_2)
	v_fma_f64 v[184:185], v[220:221], v[228:229], -v[184:185]
	v_fma_f64 v[208:209], v[222:223], v[228:229], v[208:209]
	s_delay_alu instid0(VALU_DEP_2) | instskip(NEXT) | instid1(VALU_DEP_2)
	v_add_f64 v[0:1], v[0:1], -v[184:185]
	v_add_f64 v[2:3], v[2:3], -v[208:209]
	v_dual_mov_b32 v184, v228 :: v_dual_mov_b32 v185, v229
.LBB108_189:
	s_or_b32 exec_lo, exec_lo, s2
	v_lshl_add_u32 v208, v236, 4, v230
	s_barrier
	buffer_gl0_inv
	v_mov_b32_e32 v228, 9
	ds_store_2addr_b64 v208, v[180:181], v[182:183] offset1:1
	s_waitcnt lgkmcnt(0)
	s_barrier
	buffer_gl0_inv
	ds_load_2addr_b64 v[220:223], v230 offset0:18 offset1:19
	s_cmp_lt_i32 s5, 11
	s_cbranch_scc1 .LBB108_192
; %bb.190:
	v_add3_u32 v229, v234, 0, 0xa0
	v_mov_b32_e32 v228, 9
	s_mov_b32 s6, 10
	s_set_inst_prefetch_distance 0x1
	.p2align	6
.LBB108_191:                            ; =>This Inner Loop Header: Depth=1
	ds_load_2addr_b64 v[237:240], v229 offset1:1
	s_waitcnt lgkmcnt(1)
	v_cmp_gt_f64_e32 vcc_lo, 0, v[220:221]
	v_xor_b32_e32 v208, 0x80000000, v221
	v_cmp_gt_f64_e64 s2, 0, v[222:223]
	v_xor_b32_e32 v210, 0x80000000, v223
	v_add_nc_u32_e32 v229, 16, v229
	s_waitcnt lgkmcnt(0)
	v_cmp_gt_f64_e64 s3, 0, v[237:238]
	v_mov_b32_e32 v212, v237
	v_dual_mov_b32 v214, v239 :: v_dual_cndmask_b32 v209, v221, v208
	v_xor_b32_e32 v208, 0x80000000, v238
	v_cndmask_b32_e64 v211, v223, v210, s2
	v_xor_b32_e32 v210, 0x80000000, v240
	s_delay_alu instid0(VALU_DEP_3) | instskip(SKIP_2) | instid1(VALU_DEP_2)
	v_cndmask_b32_e64 v213, v238, v208, s3
	v_cmp_gt_f64_e64 s3, 0, v[239:240]
	v_cndmask_b32_e32 v208, v220, v220, vcc_lo
	v_cndmask_b32_e64 v215, v240, v210, s3
	v_cndmask_b32_e64 v210, v222, v222, s2
	s_delay_alu instid0(VALU_DEP_2) | instskip(NEXT) | instid1(VALU_DEP_2)
	v_add_f64 v[212:213], v[212:213], v[214:215]
	v_add_f64 v[208:209], v[208:209], v[210:211]
	s_delay_alu instid0(VALU_DEP_1) | instskip(SKIP_4) | instid1(SALU_CYCLE_1)
	v_cmp_lt_f64_e32 vcc_lo, v[208:209], v[212:213]
	v_dual_cndmask_b32 v221, v221, v238 :: v_dual_cndmask_b32 v220, v220, v237
	v_dual_cndmask_b32 v223, v223, v240 :: v_dual_cndmask_b32 v222, v222, v239
	v_cndmask_b32_e64 v228, v228, s6, vcc_lo
	s_add_i32 s6, s6, 1
	s_cmp_lg_u32 s5, s6
	s_cbranch_scc1 .LBB108_191
.LBB108_192:
	s_set_inst_prefetch_distance 0x2
	s_waitcnt lgkmcnt(0)
	v_cmp_eq_f64_e32 vcc_lo, 0, v[220:221]
	v_cmp_eq_f64_e64 s2, 0, v[222:223]
	s_delay_alu instid0(VALU_DEP_1) | instskip(NEXT) | instid1(SALU_CYCLE_1)
	s_and_b32 s2, vcc_lo, s2
	s_and_saveexec_b32 s3, s2
	s_delay_alu instid0(SALU_CYCLE_1)
	s_xor_b32 s2, exec_lo, s3
; %bb.193:
	v_cmp_ne_u32_e32 vcc_lo, 0, v233
	v_cndmask_b32_e32 v233, 10, v233, vcc_lo
; %bb.194:
	s_and_not1_saveexec_b32 s3, s2
	s_cbranch_execz .LBB108_200
; %bb.195:
	v_cmp_gt_f64_e32 vcc_lo, 0, v[220:221]
	v_cmp_gt_f64_e64 s2, 0, v[222:223]
	v_xor_b32_e32 v208, 0x80000000, v221
	v_xor_b32_e32 v210, 0x80000000, v223
	s_delay_alu instid0(VALU_DEP_2) | instskip(NEXT) | instid1(VALU_DEP_2)
	v_cndmask_b32_e32 v209, v221, v208, vcc_lo
	v_cndmask_b32_e64 v211, v223, v210, s2
	v_cndmask_b32_e32 v208, v220, v220, vcc_lo
	v_cndmask_b32_e64 v210, v222, v222, s2
	s_mov_b32 s2, exec_lo
	s_delay_alu instid0(VALU_DEP_1)
	v_cmpx_ngt_f64_e32 v[208:209], v[210:211]
	s_xor_b32 s2, exec_lo, s2
	s_cbranch_execz .LBB108_197
; %bb.196:
	v_div_scale_f64 v[208:209], null, v[222:223], v[222:223], v[220:221]
	v_div_scale_f64 v[214:215], vcc_lo, v[220:221], v[222:223], v[220:221]
	s_delay_alu instid0(VALU_DEP_2) | instskip(SKIP_2) | instid1(VALU_DEP_1)
	v_rcp_f64_e32 v[210:211], v[208:209]
	s_waitcnt_depctr 0xfff
	v_fma_f64 v[212:213], -v[208:209], v[210:211], 1.0
	v_fma_f64 v[210:211], v[210:211], v[212:213], v[210:211]
	s_delay_alu instid0(VALU_DEP_1) | instskip(NEXT) | instid1(VALU_DEP_1)
	v_fma_f64 v[212:213], -v[208:209], v[210:211], 1.0
	v_fma_f64 v[210:211], v[210:211], v[212:213], v[210:211]
	s_delay_alu instid0(VALU_DEP_1) | instskip(NEXT) | instid1(VALU_DEP_1)
	v_mul_f64 v[212:213], v[214:215], v[210:211]
	v_fma_f64 v[208:209], -v[208:209], v[212:213], v[214:215]
	s_delay_alu instid0(VALU_DEP_1) | instskip(NEXT) | instid1(VALU_DEP_1)
	v_div_fmas_f64 v[208:209], v[208:209], v[210:211], v[212:213]
	v_div_fixup_f64 v[208:209], v[208:209], v[222:223], v[220:221]
	s_delay_alu instid0(VALU_DEP_1) | instskip(NEXT) | instid1(VALU_DEP_1)
	v_fma_f64 v[210:211], v[220:221], v[208:209], v[222:223]
	v_div_scale_f64 v[212:213], null, v[210:211], v[210:211], 1.0
	s_delay_alu instid0(VALU_DEP_1) | instskip(SKIP_2) | instid1(VALU_DEP_1)
	v_rcp_f64_e32 v[214:215], v[212:213]
	s_waitcnt_depctr 0xfff
	v_fma_f64 v[220:221], -v[212:213], v[214:215], 1.0
	v_fma_f64 v[214:215], v[214:215], v[220:221], v[214:215]
	s_delay_alu instid0(VALU_DEP_1) | instskip(NEXT) | instid1(VALU_DEP_1)
	v_fma_f64 v[220:221], -v[212:213], v[214:215], 1.0
	v_fma_f64 v[214:215], v[214:215], v[220:221], v[214:215]
	v_div_scale_f64 v[220:221], vcc_lo, 1.0, v[210:211], 1.0
	s_delay_alu instid0(VALU_DEP_1) | instskip(NEXT) | instid1(VALU_DEP_1)
	v_mul_f64 v[222:223], v[220:221], v[214:215]
	v_fma_f64 v[212:213], -v[212:213], v[222:223], v[220:221]
	s_delay_alu instid0(VALU_DEP_1) | instskip(NEXT) | instid1(VALU_DEP_1)
	v_div_fmas_f64 v[212:213], v[212:213], v[214:215], v[222:223]
	v_div_fixup_f64 v[222:223], v[212:213], v[210:211], 1.0
	s_delay_alu instid0(VALU_DEP_1)
	v_mul_f64 v[220:221], v[208:209], v[222:223]
	v_xor_b32_e32 v223, 0x80000000, v223
.LBB108_197:
	s_and_not1_saveexec_b32 s2, s2
	s_cbranch_execz .LBB108_199
; %bb.198:
	s_delay_alu instid0(VALU_DEP_1) | instskip(SKIP_1) | instid1(VALU_DEP_2)
	v_div_scale_f64 v[208:209], null, v[220:221], v[220:221], v[222:223]
	v_div_scale_f64 v[214:215], vcc_lo, v[222:223], v[220:221], v[222:223]
	v_rcp_f64_e32 v[210:211], v[208:209]
	s_waitcnt_depctr 0xfff
	v_fma_f64 v[212:213], -v[208:209], v[210:211], 1.0
	s_delay_alu instid0(VALU_DEP_1) | instskip(NEXT) | instid1(VALU_DEP_1)
	v_fma_f64 v[210:211], v[210:211], v[212:213], v[210:211]
	v_fma_f64 v[212:213], -v[208:209], v[210:211], 1.0
	s_delay_alu instid0(VALU_DEP_1) | instskip(NEXT) | instid1(VALU_DEP_1)
	v_fma_f64 v[210:211], v[210:211], v[212:213], v[210:211]
	v_mul_f64 v[212:213], v[214:215], v[210:211]
	s_delay_alu instid0(VALU_DEP_1) | instskip(NEXT) | instid1(VALU_DEP_1)
	v_fma_f64 v[208:209], -v[208:209], v[212:213], v[214:215]
	v_div_fmas_f64 v[208:209], v[208:209], v[210:211], v[212:213]
	s_delay_alu instid0(VALU_DEP_1) | instskip(NEXT) | instid1(VALU_DEP_1)
	v_div_fixup_f64 v[208:209], v[208:209], v[220:221], v[222:223]
	v_fma_f64 v[210:211], v[222:223], v[208:209], v[220:221]
	s_delay_alu instid0(VALU_DEP_1) | instskip(NEXT) | instid1(VALU_DEP_1)
	v_div_scale_f64 v[212:213], null, v[210:211], v[210:211], 1.0
	v_rcp_f64_e32 v[214:215], v[212:213]
	s_waitcnt_depctr 0xfff
	v_fma_f64 v[220:221], -v[212:213], v[214:215], 1.0
	s_delay_alu instid0(VALU_DEP_1) | instskip(NEXT) | instid1(VALU_DEP_1)
	v_fma_f64 v[214:215], v[214:215], v[220:221], v[214:215]
	v_fma_f64 v[220:221], -v[212:213], v[214:215], 1.0
	s_delay_alu instid0(VALU_DEP_1) | instskip(SKIP_1) | instid1(VALU_DEP_1)
	v_fma_f64 v[214:215], v[214:215], v[220:221], v[214:215]
	v_div_scale_f64 v[220:221], vcc_lo, 1.0, v[210:211], 1.0
	v_mul_f64 v[222:223], v[220:221], v[214:215]
	s_delay_alu instid0(VALU_DEP_1) | instskip(NEXT) | instid1(VALU_DEP_1)
	v_fma_f64 v[212:213], -v[212:213], v[222:223], v[220:221]
	v_div_fmas_f64 v[212:213], v[212:213], v[214:215], v[222:223]
	s_delay_alu instid0(VALU_DEP_1) | instskip(NEXT) | instid1(VALU_DEP_1)
	v_div_fixup_f64 v[220:221], v[212:213], v[210:211], 1.0
	v_mul_f64 v[222:223], v[208:209], -v[220:221]
.LBB108_199:
	s_or_b32 exec_lo, exec_lo, s2
.LBB108_200:
	s_delay_alu instid0(SALU_CYCLE_1) | instskip(NEXT) | instid1(SALU_CYCLE_1)
	s_or_b32 exec_lo, exec_lo, s3
	s_mov_b32 s2, exec_lo
	v_cmpx_ne_u32_e64 v236, v228
	s_xor_b32 s2, exec_lo, s2
	s_cbranch_execz .LBB108_206
; %bb.201:
	s_mov_b32 s3, exec_lo
	v_cmpx_eq_u32_e32 9, v236
	s_cbranch_execz .LBB108_205
; %bb.202:
	v_cmp_ne_u32_e32 vcc_lo, 9, v228
	s_xor_b32 s6, s4, -1
	s_delay_alu instid0(SALU_CYCLE_1) | instskip(NEXT) | instid1(SALU_CYCLE_1)
	s_and_b32 s7, s6, vcc_lo
	s_and_saveexec_b32 s6, s7
	s_cbranch_execz .LBB108_204
; %bb.203:
	v_ashrrev_i32_e32 v229, 31, v228
	s_delay_alu instid0(VALU_DEP_1) | instskip(NEXT) | instid1(VALU_DEP_1)
	v_lshlrev_b64 v[208:209], 2, v[228:229]
	v_add_co_u32 v208, vcc_lo, v231, v208
	s_delay_alu instid0(VALU_DEP_2)
	v_add_co_ci_u32_e32 v209, vcc_lo, v232, v209, vcc_lo
	s_clause 0x1
	flat_load_b32 v210, v[208:209]
	flat_load_b32 v211, v[231:232] offset:36
	s_waitcnt vmcnt(1) lgkmcnt(1)
	flat_store_b32 v[231:232], v210 offset:36
	s_waitcnt vmcnt(0) lgkmcnt(1)
	flat_store_b32 v[208:209], v211
.LBB108_204:
	s_or_b32 exec_lo, exec_lo, s6
	v_mov_b32_e32 v236, v228
	v_mov_b32_e32 v227, v228
.LBB108_205:
	s_or_b32 exec_lo, exec_lo, s3
.LBB108_206:
	s_and_not1_saveexec_b32 s2, s2
	s_cbranch_execz .LBB108_208
; %bb.207:
	v_mov_b32_e32 v236, 9
	ds_store_2addr_b64 v230, v[176:177], v[178:179] offset0:20 offset1:21
	ds_store_2addr_b64 v230, v[172:173], v[174:175] offset0:22 offset1:23
	ds_store_2addr_b64 v230, v[168:169], v[170:171] offset0:24 offset1:25
	ds_store_2addr_b64 v230, v[164:165], v[166:167] offset0:26 offset1:27
	ds_store_2addr_b64 v230, v[160:161], v[162:163] offset0:28 offset1:29
	ds_store_2addr_b64 v230, v[156:157], v[158:159] offset0:30 offset1:31
	ds_store_2addr_b64 v230, v[152:153], v[154:155] offset0:32 offset1:33
	ds_store_2addr_b64 v230, v[148:149], v[150:151] offset0:34 offset1:35
	ds_store_2addr_b64 v230, v[144:145], v[146:147] offset0:36 offset1:37
	ds_store_2addr_b64 v230, v[140:141], v[142:143] offset0:38 offset1:39
	ds_store_2addr_b64 v230, v[136:137], v[138:139] offset0:40 offset1:41
	ds_store_2addr_b64 v230, v[132:133], v[134:135] offset0:42 offset1:43
	ds_store_2addr_b64 v230, v[128:129], v[130:131] offset0:44 offset1:45
	ds_store_2addr_b64 v230, v[124:125], v[126:127] offset0:46 offset1:47
	ds_store_2addr_b64 v230, v[120:121], v[122:123] offset0:48 offset1:49
	ds_store_2addr_b64 v230, v[116:117], v[118:119] offset0:50 offset1:51
	ds_store_2addr_b64 v230, v[112:113], v[114:115] offset0:52 offset1:53
	ds_store_2addr_b64 v230, v[108:109], v[110:111] offset0:54 offset1:55
	ds_store_2addr_b64 v230, v[104:105], v[106:107] offset0:56 offset1:57
	ds_store_2addr_b64 v230, v[100:101], v[102:103] offset0:58 offset1:59
	ds_store_2addr_b64 v230, v[96:97], v[98:99] offset0:60 offset1:61
	ds_store_2addr_b64 v230, v[92:93], v[94:95] offset0:62 offset1:63
	ds_store_2addr_b64 v230, v[88:89], v[90:91] offset0:64 offset1:65
	ds_store_2addr_b64 v230, v[84:85], v[86:87] offset0:66 offset1:67
	ds_store_2addr_b64 v230, v[80:81], v[82:83] offset0:68 offset1:69
	ds_store_2addr_b64 v230, v[76:77], v[78:79] offset0:70 offset1:71
	ds_store_2addr_b64 v230, v[72:73], v[74:75] offset0:72 offset1:73
	ds_store_2addr_b64 v230, v[68:69], v[70:71] offset0:74 offset1:75
	ds_store_2addr_b64 v230, v[64:65], v[66:67] offset0:76 offset1:77
	ds_store_2addr_b64 v230, v[60:61], v[62:63] offset0:78 offset1:79
	ds_store_2addr_b64 v230, v[56:57], v[58:59] offset0:80 offset1:81
	ds_store_2addr_b64 v230, v[52:53], v[54:55] offset0:82 offset1:83
	ds_store_2addr_b64 v230, v[48:49], v[50:51] offset0:84 offset1:85
	ds_store_2addr_b64 v230, v[44:45], v[46:47] offset0:86 offset1:87
	ds_store_2addr_b64 v230, v[40:41], v[42:43] offset0:88 offset1:89
	ds_store_2addr_b64 v230, v[36:37], v[38:39] offset0:90 offset1:91
	ds_store_2addr_b64 v230, v[32:33], v[34:35] offset0:92 offset1:93
	ds_store_2addr_b64 v230, v[28:29], v[30:31] offset0:94 offset1:95
	ds_store_2addr_b64 v230, v[24:25], v[26:27] offset0:96 offset1:97
	ds_store_2addr_b64 v230, v[20:21], v[22:23] offset0:98 offset1:99
	ds_store_2addr_b64 v230, v[16:17], v[18:19] offset0:100 offset1:101
	ds_store_2addr_b64 v230, v[12:13], v[14:15] offset0:102 offset1:103
	ds_store_2addr_b64 v230, v[8:9], v[10:11] offset0:104 offset1:105
	ds_store_2addr_b64 v230, v[4:5], v[6:7] offset0:106 offset1:107
	ds_store_2addr_b64 v230, v[0:1], v[2:3] offset0:108 offset1:109
.LBB108_208:
	s_or_b32 exec_lo, exec_lo, s2
	s_delay_alu instid0(SALU_CYCLE_1)
	s_mov_b32 s2, exec_lo
	s_waitcnt lgkmcnt(0)
	s_waitcnt_vscnt null, 0x0
	s_barrier
	buffer_gl0_inv
	v_cmpx_lt_i32_e32 9, v236
	s_cbranch_execz .LBB108_210
; %bb.209:
	v_mul_f64 v[208:209], v[222:223], v[182:183]
	v_mul_f64 v[182:183], v[220:221], v[182:183]
	s_delay_alu instid0(VALU_DEP_2) | instskip(NEXT) | instid1(VALU_DEP_2)
	v_fma_f64 v[228:229], v[220:221], v[180:181], -v[208:209]
	v_fma_f64 v[182:183], v[222:223], v[180:181], v[182:183]
	ds_load_2addr_b64 v[220:223], v230 offset0:20 offset1:21
	s_waitcnt lgkmcnt(0)
	v_mul_f64 v[180:181], v[222:223], v[182:183]
	v_mul_f64 v[208:209], v[220:221], v[182:183]
	s_delay_alu instid0(VALU_DEP_2) | instskip(NEXT) | instid1(VALU_DEP_2)
	v_fma_f64 v[180:181], v[220:221], v[228:229], -v[180:181]
	v_fma_f64 v[208:209], v[222:223], v[228:229], v[208:209]
	ds_load_2addr_b64 v[220:223], v230 offset0:22 offset1:23
	v_add_f64 v[176:177], v[176:177], -v[180:181]
	v_add_f64 v[178:179], v[178:179], -v[208:209]
	s_waitcnt lgkmcnt(0)
	v_mul_f64 v[180:181], v[222:223], v[182:183]
	v_mul_f64 v[208:209], v[220:221], v[182:183]
	s_delay_alu instid0(VALU_DEP_2) | instskip(NEXT) | instid1(VALU_DEP_2)
	v_fma_f64 v[180:181], v[220:221], v[228:229], -v[180:181]
	v_fma_f64 v[208:209], v[222:223], v[228:229], v[208:209]
	ds_load_2addr_b64 v[220:223], v230 offset0:24 offset1:25
	v_add_f64 v[172:173], v[172:173], -v[180:181]
	v_add_f64 v[174:175], v[174:175], -v[208:209]
	;; [unrolled: 9-line block ×44, first 2 shown]
	s_waitcnt lgkmcnt(0)
	v_mul_f64 v[180:181], v[222:223], v[182:183]
	v_mul_f64 v[208:209], v[220:221], v[182:183]
	s_delay_alu instid0(VALU_DEP_2) | instskip(NEXT) | instid1(VALU_DEP_2)
	v_fma_f64 v[180:181], v[220:221], v[228:229], -v[180:181]
	v_fma_f64 v[208:209], v[222:223], v[228:229], v[208:209]
	s_delay_alu instid0(VALU_DEP_2) | instskip(NEXT) | instid1(VALU_DEP_2)
	v_add_f64 v[0:1], v[0:1], -v[180:181]
	v_add_f64 v[2:3], v[2:3], -v[208:209]
	v_dual_mov_b32 v180, v228 :: v_dual_mov_b32 v181, v229
.LBB108_210:
	s_or_b32 exec_lo, exec_lo, s2
	v_lshl_add_u32 v208, v236, 4, v230
	s_barrier
	buffer_gl0_inv
	v_mov_b32_e32 v228, 10
	ds_store_2addr_b64 v208, v[176:177], v[178:179] offset1:1
	s_waitcnt lgkmcnt(0)
	s_barrier
	buffer_gl0_inv
	ds_load_2addr_b64 v[220:223], v230 offset0:20 offset1:21
	s_cmp_lt_i32 s5, 12
	s_cbranch_scc1 .LBB108_213
; %bb.211:
	v_add3_u32 v229, v234, 0, 0xb0
	v_mov_b32_e32 v228, 10
	s_mov_b32 s6, 11
	s_set_inst_prefetch_distance 0x1
	.p2align	6
.LBB108_212:                            ; =>This Inner Loop Header: Depth=1
	ds_load_2addr_b64 v[237:240], v229 offset1:1
	s_waitcnt lgkmcnt(1)
	v_cmp_gt_f64_e32 vcc_lo, 0, v[220:221]
	v_xor_b32_e32 v208, 0x80000000, v221
	v_cmp_gt_f64_e64 s2, 0, v[222:223]
	v_xor_b32_e32 v210, 0x80000000, v223
	v_add_nc_u32_e32 v229, 16, v229
	s_waitcnt lgkmcnt(0)
	v_cmp_gt_f64_e64 s3, 0, v[237:238]
	v_mov_b32_e32 v212, v237
	v_dual_mov_b32 v214, v239 :: v_dual_cndmask_b32 v209, v221, v208
	v_xor_b32_e32 v208, 0x80000000, v238
	v_cndmask_b32_e64 v211, v223, v210, s2
	v_xor_b32_e32 v210, 0x80000000, v240
	s_delay_alu instid0(VALU_DEP_3) | instskip(SKIP_2) | instid1(VALU_DEP_2)
	v_cndmask_b32_e64 v213, v238, v208, s3
	v_cmp_gt_f64_e64 s3, 0, v[239:240]
	v_cndmask_b32_e32 v208, v220, v220, vcc_lo
	v_cndmask_b32_e64 v215, v240, v210, s3
	v_cndmask_b32_e64 v210, v222, v222, s2
	s_delay_alu instid0(VALU_DEP_2) | instskip(NEXT) | instid1(VALU_DEP_2)
	v_add_f64 v[212:213], v[212:213], v[214:215]
	v_add_f64 v[208:209], v[208:209], v[210:211]
	s_delay_alu instid0(VALU_DEP_1) | instskip(SKIP_4) | instid1(SALU_CYCLE_1)
	v_cmp_lt_f64_e32 vcc_lo, v[208:209], v[212:213]
	v_dual_cndmask_b32 v221, v221, v238 :: v_dual_cndmask_b32 v220, v220, v237
	v_dual_cndmask_b32 v223, v223, v240 :: v_dual_cndmask_b32 v222, v222, v239
	v_cndmask_b32_e64 v228, v228, s6, vcc_lo
	s_add_i32 s6, s6, 1
	s_cmp_lg_u32 s5, s6
	s_cbranch_scc1 .LBB108_212
.LBB108_213:
	s_set_inst_prefetch_distance 0x2
	s_waitcnt lgkmcnt(0)
	v_cmp_eq_f64_e32 vcc_lo, 0, v[220:221]
	v_cmp_eq_f64_e64 s2, 0, v[222:223]
	s_delay_alu instid0(VALU_DEP_1) | instskip(NEXT) | instid1(SALU_CYCLE_1)
	s_and_b32 s2, vcc_lo, s2
	s_and_saveexec_b32 s3, s2
	s_delay_alu instid0(SALU_CYCLE_1)
	s_xor_b32 s2, exec_lo, s3
; %bb.214:
	v_cmp_ne_u32_e32 vcc_lo, 0, v233
	v_cndmask_b32_e32 v233, 11, v233, vcc_lo
; %bb.215:
	s_and_not1_saveexec_b32 s3, s2
	s_cbranch_execz .LBB108_221
; %bb.216:
	v_cmp_gt_f64_e32 vcc_lo, 0, v[220:221]
	v_cmp_gt_f64_e64 s2, 0, v[222:223]
	v_xor_b32_e32 v208, 0x80000000, v221
	v_xor_b32_e32 v210, 0x80000000, v223
	s_delay_alu instid0(VALU_DEP_2) | instskip(NEXT) | instid1(VALU_DEP_2)
	v_cndmask_b32_e32 v209, v221, v208, vcc_lo
	v_cndmask_b32_e64 v211, v223, v210, s2
	v_cndmask_b32_e32 v208, v220, v220, vcc_lo
	v_cndmask_b32_e64 v210, v222, v222, s2
	s_mov_b32 s2, exec_lo
	s_delay_alu instid0(VALU_DEP_1)
	v_cmpx_ngt_f64_e32 v[208:209], v[210:211]
	s_xor_b32 s2, exec_lo, s2
	s_cbranch_execz .LBB108_218
; %bb.217:
	v_div_scale_f64 v[208:209], null, v[222:223], v[222:223], v[220:221]
	v_div_scale_f64 v[214:215], vcc_lo, v[220:221], v[222:223], v[220:221]
	s_delay_alu instid0(VALU_DEP_2) | instskip(SKIP_2) | instid1(VALU_DEP_1)
	v_rcp_f64_e32 v[210:211], v[208:209]
	s_waitcnt_depctr 0xfff
	v_fma_f64 v[212:213], -v[208:209], v[210:211], 1.0
	v_fma_f64 v[210:211], v[210:211], v[212:213], v[210:211]
	s_delay_alu instid0(VALU_DEP_1) | instskip(NEXT) | instid1(VALU_DEP_1)
	v_fma_f64 v[212:213], -v[208:209], v[210:211], 1.0
	v_fma_f64 v[210:211], v[210:211], v[212:213], v[210:211]
	s_delay_alu instid0(VALU_DEP_1) | instskip(NEXT) | instid1(VALU_DEP_1)
	v_mul_f64 v[212:213], v[214:215], v[210:211]
	v_fma_f64 v[208:209], -v[208:209], v[212:213], v[214:215]
	s_delay_alu instid0(VALU_DEP_1) | instskip(NEXT) | instid1(VALU_DEP_1)
	v_div_fmas_f64 v[208:209], v[208:209], v[210:211], v[212:213]
	v_div_fixup_f64 v[208:209], v[208:209], v[222:223], v[220:221]
	s_delay_alu instid0(VALU_DEP_1) | instskip(NEXT) | instid1(VALU_DEP_1)
	v_fma_f64 v[210:211], v[220:221], v[208:209], v[222:223]
	v_div_scale_f64 v[212:213], null, v[210:211], v[210:211], 1.0
	s_delay_alu instid0(VALU_DEP_1) | instskip(SKIP_2) | instid1(VALU_DEP_1)
	v_rcp_f64_e32 v[214:215], v[212:213]
	s_waitcnt_depctr 0xfff
	v_fma_f64 v[220:221], -v[212:213], v[214:215], 1.0
	v_fma_f64 v[214:215], v[214:215], v[220:221], v[214:215]
	s_delay_alu instid0(VALU_DEP_1) | instskip(NEXT) | instid1(VALU_DEP_1)
	v_fma_f64 v[220:221], -v[212:213], v[214:215], 1.0
	v_fma_f64 v[214:215], v[214:215], v[220:221], v[214:215]
	v_div_scale_f64 v[220:221], vcc_lo, 1.0, v[210:211], 1.0
	s_delay_alu instid0(VALU_DEP_1) | instskip(NEXT) | instid1(VALU_DEP_1)
	v_mul_f64 v[222:223], v[220:221], v[214:215]
	v_fma_f64 v[212:213], -v[212:213], v[222:223], v[220:221]
	s_delay_alu instid0(VALU_DEP_1) | instskip(NEXT) | instid1(VALU_DEP_1)
	v_div_fmas_f64 v[212:213], v[212:213], v[214:215], v[222:223]
	v_div_fixup_f64 v[222:223], v[212:213], v[210:211], 1.0
	s_delay_alu instid0(VALU_DEP_1)
	v_mul_f64 v[220:221], v[208:209], v[222:223]
	v_xor_b32_e32 v223, 0x80000000, v223
.LBB108_218:
	s_and_not1_saveexec_b32 s2, s2
	s_cbranch_execz .LBB108_220
; %bb.219:
	s_delay_alu instid0(VALU_DEP_1) | instskip(SKIP_1) | instid1(VALU_DEP_2)
	v_div_scale_f64 v[208:209], null, v[220:221], v[220:221], v[222:223]
	v_div_scale_f64 v[214:215], vcc_lo, v[222:223], v[220:221], v[222:223]
	v_rcp_f64_e32 v[210:211], v[208:209]
	s_waitcnt_depctr 0xfff
	v_fma_f64 v[212:213], -v[208:209], v[210:211], 1.0
	s_delay_alu instid0(VALU_DEP_1) | instskip(NEXT) | instid1(VALU_DEP_1)
	v_fma_f64 v[210:211], v[210:211], v[212:213], v[210:211]
	v_fma_f64 v[212:213], -v[208:209], v[210:211], 1.0
	s_delay_alu instid0(VALU_DEP_1) | instskip(NEXT) | instid1(VALU_DEP_1)
	v_fma_f64 v[210:211], v[210:211], v[212:213], v[210:211]
	v_mul_f64 v[212:213], v[214:215], v[210:211]
	s_delay_alu instid0(VALU_DEP_1) | instskip(NEXT) | instid1(VALU_DEP_1)
	v_fma_f64 v[208:209], -v[208:209], v[212:213], v[214:215]
	v_div_fmas_f64 v[208:209], v[208:209], v[210:211], v[212:213]
	s_delay_alu instid0(VALU_DEP_1) | instskip(NEXT) | instid1(VALU_DEP_1)
	v_div_fixup_f64 v[208:209], v[208:209], v[220:221], v[222:223]
	v_fma_f64 v[210:211], v[222:223], v[208:209], v[220:221]
	s_delay_alu instid0(VALU_DEP_1) | instskip(NEXT) | instid1(VALU_DEP_1)
	v_div_scale_f64 v[212:213], null, v[210:211], v[210:211], 1.0
	v_rcp_f64_e32 v[214:215], v[212:213]
	s_waitcnt_depctr 0xfff
	v_fma_f64 v[220:221], -v[212:213], v[214:215], 1.0
	s_delay_alu instid0(VALU_DEP_1) | instskip(NEXT) | instid1(VALU_DEP_1)
	v_fma_f64 v[214:215], v[214:215], v[220:221], v[214:215]
	v_fma_f64 v[220:221], -v[212:213], v[214:215], 1.0
	s_delay_alu instid0(VALU_DEP_1) | instskip(SKIP_1) | instid1(VALU_DEP_1)
	v_fma_f64 v[214:215], v[214:215], v[220:221], v[214:215]
	v_div_scale_f64 v[220:221], vcc_lo, 1.0, v[210:211], 1.0
	v_mul_f64 v[222:223], v[220:221], v[214:215]
	s_delay_alu instid0(VALU_DEP_1) | instskip(NEXT) | instid1(VALU_DEP_1)
	v_fma_f64 v[212:213], -v[212:213], v[222:223], v[220:221]
	v_div_fmas_f64 v[212:213], v[212:213], v[214:215], v[222:223]
	s_delay_alu instid0(VALU_DEP_1) | instskip(NEXT) | instid1(VALU_DEP_1)
	v_div_fixup_f64 v[220:221], v[212:213], v[210:211], 1.0
	v_mul_f64 v[222:223], v[208:209], -v[220:221]
.LBB108_220:
	s_or_b32 exec_lo, exec_lo, s2
.LBB108_221:
	s_delay_alu instid0(SALU_CYCLE_1) | instskip(NEXT) | instid1(SALU_CYCLE_1)
	s_or_b32 exec_lo, exec_lo, s3
	s_mov_b32 s2, exec_lo
	v_cmpx_ne_u32_e64 v236, v228
	s_xor_b32 s2, exec_lo, s2
	s_cbranch_execz .LBB108_227
; %bb.222:
	s_mov_b32 s3, exec_lo
	v_cmpx_eq_u32_e32 10, v236
	s_cbranch_execz .LBB108_226
; %bb.223:
	v_cmp_ne_u32_e32 vcc_lo, 10, v228
	s_xor_b32 s6, s4, -1
	s_delay_alu instid0(SALU_CYCLE_1) | instskip(NEXT) | instid1(SALU_CYCLE_1)
	s_and_b32 s7, s6, vcc_lo
	s_and_saveexec_b32 s6, s7
	s_cbranch_execz .LBB108_225
; %bb.224:
	v_ashrrev_i32_e32 v229, 31, v228
	s_delay_alu instid0(VALU_DEP_1) | instskip(NEXT) | instid1(VALU_DEP_1)
	v_lshlrev_b64 v[208:209], 2, v[228:229]
	v_add_co_u32 v208, vcc_lo, v231, v208
	s_delay_alu instid0(VALU_DEP_2)
	v_add_co_ci_u32_e32 v209, vcc_lo, v232, v209, vcc_lo
	s_clause 0x1
	flat_load_b32 v210, v[208:209]
	flat_load_b32 v211, v[231:232] offset:40
	s_waitcnt vmcnt(1) lgkmcnt(1)
	flat_store_b32 v[231:232], v210 offset:40
	s_waitcnt vmcnt(0) lgkmcnt(1)
	flat_store_b32 v[208:209], v211
.LBB108_225:
	s_or_b32 exec_lo, exec_lo, s6
	v_mov_b32_e32 v236, v228
	v_mov_b32_e32 v227, v228
.LBB108_226:
	s_or_b32 exec_lo, exec_lo, s3
.LBB108_227:
	s_and_not1_saveexec_b32 s2, s2
	s_cbranch_execz .LBB108_229
; %bb.228:
	v_mov_b32_e32 v236, 10
	ds_store_2addr_b64 v230, v[172:173], v[174:175] offset0:22 offset1:23
	ds_store_2addr_b64 v230, v[168:169], v[170:171] offset0:24 offset1:25
	;; [unrolled: 1-line block ×44, first 2 shown]
.LBB108_229:
	s_or_b32 exec_lo, exec_lo, s2
	s_delay_alu instid0(SALU_CYCLE_1)
	s_mov_b32 s2, exec_lo
	s_waitcnt lgkmcnt(0)
	s_waitcnt_vscnt null, 0x0
	s_barrier
	buffer_gl0_inv
	v_cmpx_lt_i32_e32 10, v236
	s_cbranch_execz .LBB108_231
; %bb.230:
	v_mul_f64 v[208:209], v[222:223], v[178:179]
	v_mul_f64 v[178:179], v[220:221], v[178:179]
	s_delay_alu instid0(VALU_DEP_2) | instskip(NEXT) | instid1(VALU_DEP_2)
	v_fma_f64 v[228:229], v[220:221], v[176:177], -v[208:209]
	v_fma_f64 v[178:179], v[222:223], v[176:177], v[178:179]
	ds_load_2addr_b64 v[220:223], v230 offset0:22 offset1:23
	s_waitcnt lgkmcnt(0)
	v_mul_f64 v[176:177], v[222:223], v[178:179]
	v_mul_f64 v[208:209], v[220:221], v[178:179]
	s_delay_alu instid0(VALU_DEP_2) | instskip(NEXT) | instid1(VALU_DEP_2)
	v_fma_f64 v[176:177], v[220:221], v[228:229], -v[176:177]
	v_fma_f64 v[208:209], v[222:223], v[228:229], v[208:209]
	ds_load_2addr_b64 v[220:223], v230 offset0:24 offset1:25
	v_add_f64 v[172:173], v[172:173], -v[176:177]
	v_add_f64 v[174:175], v[174:175], -v[208:209]
	s_waitcnt lgkmcnt(0)
	v_mul_f64 v[176:177], v[222:223], v[178:179]
	v_mul_f64 v[208:209], v[220:221], v[178:179]
	s_delay_alu instid0(VALU_DEP_2) | instskip(NEXT) | instid1(VALU_DEP_2)
	v_fma_f64 v[176:177], v[220:221], v[228:229], -v[176:177]
	v_fma_f64 v[208:209], v[222:223], v[228:229], v[208:209]
	ds_load_2addr_b64 v[220:223], v230 offset0:26 offset1:27
	v_add_f64 v[168:169], v[168:169], -v[176:177]
	v_add_f64 v[170:171], v[170:171], -v[208:209]
	;; [unrolled: 9-line block ×43, first 2 shown]
	s_waitcnt lgkmcnt(0)
	v_mul_f64 v[176:177], v[222:223], v[178:179]
	v_mul_f64 v[208:209], v[220:221], v[178:179]
	s_delay_alu instid0(VALU_DEP_2) | instskip(NEXT) | instid1(VALU_DEP_2)
	v_fma_f64 v[176:177], v[220:221], v[228:229], -v[176:177]
	v_fma_f64 v[208:209], v[222:223], v[228:229], v[208:209]
	s_delay_alu instid0(VALU_DEP_2) | instskip(NEXT) | instid1(VALU_DEP_2)
	v_add_f64 v[0:1], v[0:1], -v[176:177]
	v_add_f64 v[2:3], v[2:3], -v[208:209]
	v_dual_mov_b32 v176, v228 :: v_dual_mov_b32 v177, v229
.LBB108_231:
	s_or_b32 exec_lo, exec_lo, s2
	v_lshl_add_u32 v208, v236, 4, v230
	s_barrier
	buffer_gl0_inv
	v_mov_b32_e32 v228, 11
	ds_store_2addr_b64 v208, v[172:173], v[174:175] offset1:1
	s_waitcnt lgkmcnt(0)
	s_barrier
	buffer_gl0_inv
	ds_load_2addr_b64 v[220:223], v230 offset0:22 offset1:23
	s_cmp_lt_i32 s5, 13
	s_cbranch_scc1 .LBB108_234
; %bb.232:
	v_add3_u32 v229, v234, 0, 0xc0
	v_mov_b32_e32 v228, 11
	s_mov_b32 s6, 12
	s_set_inst_prefetch_distance 0x1
	.p2align	6
.LBB108_233:                            ; =>This Inner Loop Header: Depth=1
	ds_load_2addr_b64 v[237:240], v229 offset1:1
	s_waitcnt lgkmcnt(1)
	v_cmp_gt_f64_e32 vcc_lo, 0, v[220:221]
	v_xor_b32_e32 v208, 0x80000000, v221
	v_cmp_gt_f64_e64 s2, 0, v[222:223]
	v_xor_b32_e32 v210, 0x80000000, v223
	v_add_nc_u32_e32 v229, 16, v229
	s_waitcnt lgkmcnt(0)
	v_cmp_gt_f64_e64 s3, 0, v[237:238]
	v_mov_b32_e32 v212, v237
	v_dual_mov_b32 v214, v239 :: v_dual_cndmask_b32 v209, v221, v208
	v_xor_b32_e32 v208, 0x80000000, v238
	v_cndmask_b32_e64 v211, v223, v210, s2
	v_xor_b32_e32 v210, 0x80000000, v240
	s_delay_alu instid0(VALU_DEP_3) | instskip(SKIP_2) | instid1(VALU_DEP_2)
	v_cndmask_b32_e64 v213, v238, v208, s3
	v_cmp_gt_f64_e64 s3, 0, v[239:240]
	v_cndmask_b32_e32 v208, v220, v220, vcc_lo
	v_cndmask_b32_e64 v215, v240, v210, s3
	v_cndmask_b32_e64 v210, v222, v222, s2
	s_delay_alu instid0(VALU_DEP_2) | instskip(NEXT) | instid1(VALU_DEP_2)
	v_add_f64 v[212:213], v[212:213], v[214:215]
	v_add_f64 v[208:209], v[208:209], v[210:211]
	s_delay_alu instid0(VALU_DEP_1) | instskip(SKIP_4) | instid1(SALU_CYCLE_1)
	v_cmp_lt_f64_e32 vcc_lo, v[208:209], v[212:213]
	v_dual_cndmask_b32 v221, v221, v238 :: v_dual_cndmask_b32 v220, v220, v237
	v_dual_cndmask_b32 v223, v223, v240 :: v_dual_cndmask_b32 v222, v222, v239
	v_cndmask_b32_e64 v228, v228, s6, vcc_lo
	s_add_i32 s6, s6, 1
	s_cmp_lg_u32 s5, s6
	s_cbranch_scc1 .LBB108_233
.LBB108_234:
	s_set_inst_prefetch_distance 0x2
	s_waitcnt lgkmcnt(0)
	v_cmp_eq_f64_e32 vcc_lo, 0, v[220:221]
	v_cmp_eq_f64_e64 s2, 0, v[222:223]
	s_delay_alu instid0(VALU_DEP_1) | instskip(NEXT) | instid1(SALU_CYCLE_1)
	s_and_b32 s2, vcc_lo, s2
	s_and_saveexec_b32 s3, s2
	s_delay_alu instid0(SALU_CYCLE_1)
	s_xor_b32 s2, exec_lo, s3
; %bb.235:
	v_cmp_ne_u32_e32 vcc_lo, 0, v233
	v_cndmask_b32_e32 v233, 12, v233, vcc_lo
; %bb.236:
	s_and_not1_saveexec_b32 s3, s2
	s_cbranch_execz .LBB108_242
; %bb.237:
	v_cmp_gt_f64_e32 vcc_lo, 0, v[220:221]
	v_cmp_gt_f64_e64 s2, 0, v[222:223]
	v_xor_b32_e32 v208, 0x80000000, v221
	v_xor_b32_e32 v210, 0x80000000, v223
	s_delay_alu instid0(VALU_DEP_2) | instskip(NEXT) | instid1(VALU_DEP_2)
	v_cndmask_b32_e32 v209, v221, v208, vcc_lo
	v_cndmask_b32_e64 v211, v223, v210, s2
	v_cndmask_b32_e32 v208, v220, v220, vcc_lo
	v_cndmask_b32_e64 v210, v222, v222, s2
	s_mov_b32 s2, exec_lo
	s_delay_alu instid0(VALU_DEP_1)
	v_cmpx_ngt_f64_e32 v[208:209], v[210:211]
	s_xor_b32 s2, exec_lo, s2
	s_cbranch_execz .LBB108_239
; %bb.238:
	v_div_scale_f64 v[208:209], null, v[222:223], v[222:223], v[220:221]
	v_div_scale_f64 v[214:215], vcc_lo, v[220:221], v[222:223], v[220:221]
	s_delay_alu instid0(VALU_DEP_2) | instskip(SKIP_2) | instid1(VALU_DEP_1)
	v_rcp_f64_e32 v[210:211], v[208:209]
	s_waitcnt_depctr 0xfff
	v_fma_f64 v[212:213], -v[208:209], v[210:211], 1.0
	v_fma_f64 v[210:211], v[210:211], v[212:213], v[210:211]
	s_delay_alu instid0(VALU_DEP_1) | instskip(NEXT) | instid1(VALU_DEP_1)
	v_fma_f64 v[212:213], -v[208:209], v[210:211], 1.0
	v_fma_f64 v[210:211], v[210:211], v[212:213], v[210:211]
	s_delay_alu instid0(VALU_DEP_1) | instskip(NEXT) | instid1(VALU_DEP_1)
	v_mul_f64 v[212:213], v[214:215], v[210:211]
	v_fma_f64 v[208:209], -v[208:209], v[212:213], v[214:215]
	s_delay_alu instid0(VALU_DEP_1) | instskip(NEXT) | instid1(VALU_DEP_1)
	v_div_fmas_f64 v[208:209], v[208:209], v[210:211], v[212:213]
	v_div_fixup_f64 v[208:209], v[208:209], v[222:223], v[220:221]
	s_delay_alu instid0(VALU_DEP_1) | instskip(NEXT) | instid1(VALU_DEP_1)
	v_fma_f64 v[210:211], v[220:221], v[208:209], v[222:223]
	v_div_scale_f64 v[212:213], null, v[210:211], v[210:211], 1.0
	s_delay_alu instid0(VALU_DEP_1) | instskip(SKIP_2) | instid1(VALU_DEP_1)
	v_rcp_f64_e32 v[214:215], v[212:213]
	s_waitcnt_depctr 0xfff
	v_fma_f64 v[220:221], -v[212:213], v[214:215], 1.0
	v_fma_f64 v[214:215], v[214:215], v[220:221], v[214:215]
	s_delay_alu instid0(VALU_DEP_1) | instskip(NEXT) | instid1(VALU_DEP_1)
	v_fma_f64 v[220:221], -v[212:213], v[214:215], 1.0
	v_fma_f64 v[214:215], v[214:215], v[220:221], v[214:215]
	v_div_scale_f64 v[220:221], vcc_lo, 1.0, v[210:211], 1.0
	s_delay_alu instid0(VALU_DEP_1) | instskip(NEXT) | instid1(VALU_DEP_1)
	v_mul_f64 v[222:223], v[220:221], v[214:215]
	v_fma_f64 v[212:213], -v[212:213], v[222:223], v[220:221]
	s_delay_alu instid0(VALU_DEP_1) | instskip(NEXT) | instid1(VALU_DEP_1)
	v_div_fmas_f64 v[212:213], v[212:213], v[214:215], v[222:223]
	v_div_fixup_f64 v[222:223], v[212:213], v[210:211], 1.0
	s_delay_alu instid0(VALU_DEP_1)
	v_mul_f64 v[220:221], v[208:209], v[222:223]
	v_xor_b32_e32 v223, 0x80000000, v223
.LBB108_239:
	s_and_not1_saveexec_b32 s2, s2
	s_cbranch_execz .LBB108_241
; %bb.240:
	s_delay_alu instid0(VALU_DEP_1) | instskip(SKIP_1) | instid1(VALU_DEP_2)
	v_div_scale_f64 v[208:209], null, v[220:221], v[220:221], v[222:223]
	v_div_scale_f64 v[214:215], vcc_lo, v[222:223], v[220:221], v[222:223]
	v_rcp_f64_e32 v[210:211], v[208:209]
	s_waitcnt_depctr 0xfff
	v_fma_f64 v[212:213], -v[208:209], v[210:211], 1.0
	s_delay_alu instid0(VALU_DEP_1) | instskip(NEXT) | instid1(VALU_DEP_1)
	v_fma_f64 v[210:211], v[210:211], v[212:213], v[210:211]
	v_fma_f64 v[212:213], -v[208:209], v[210:211], 1.0
	s_delay_alu instid0(VALU_DEP_1) | instskip(NEXT) | instid1(VALU_DEP_1)
	v_fma_f64 v[210:211], v[210:211], v[212:213], v[210:211]
	v_mul_f64 v[212:213], v[214:215], v[210:211]
	s_delay_alu instid0(VALU_DEP_1) | instskip(NEXT) | instid1(VALU_DEP_1)
	v_fma_f64 v[208:209], -v[208:209], v[212:213], v[214:215]
	v_div_fmas_f64 v[208:209], v[208:209], v[210:211], v[212:213]
	s_delay_alu instid0(VALU_DEP_1) | instskip(NEXT) | instid1(VALU_DEP_1)
	v_div_fixup_f64 v[208:209], v[208:209], v[220:221], v[222:223]
	v_fma_f64 v[210:211], v[222:223], v[208:209], v[220:221]
	s_delay_alu instid0(VALU_DEP_1) | instskip(NEXT) | instid1(VALU_DEP_1)
	v_div_scale_f64 v[212:213], null, v[210:211], v[210:211], 1.0
	v_rcp_f64_e32 v[214:215], v[212:213]
	s_waitcnt_depctr 0xfff
	v_fma_f64 v[220:221], -v[212:213], v[214:215], 1.0
	s_delay_alu instid0(VALU_DEP_1) | instskip(NEXT) | instid1(VALU_DEP_1)
	v_fma_f64 v[214:215], v[214:215], v[220:221], v[214:215]
	v_fma_f64 v[220:221], -v[212:213], v[214:215], 1.0
	s_delay_alu instid0(VALU_DEP_1) | instskip(SKIP_1) | instid1(VALU_DEP_1)
	v_fma_f64 v[214:215], v[214:215], v[220:221], v[214:215]
	v_div_scale_f64 v[220:221], vcc_lo, 1.0, v[210:211], 1.0
	v_mul_f64 v[222:223], v[220:221], v[214:215]
	s_delay_alu instid0(VALU_DEP_1) | instskip(NEXT) | instid1(VALU_DEP_1)
	v_fma_f64 v[212:213], -v[212:213], v[222:223], v[220:221]
	v_div_fmas_f64 v[212:213], v[212:213], v[214:215], v[222:223]
	s_delay_alu instid0(VALU_DEP_1) | instskip(NEXT) | instid1(VALU_DEP_1)
	v_div_fixup_f64 v[220:221], v[212:213], v[210:211], 1.0
	v_mul_f64 v[222:223], v[208:209], -v[220:221]
.LBB108_241:
	s_or_b32 exec_lo, exec_lo, s2
.LBB108_242:
	s_delay_alu instid0(SALU_CYCLE_1) | instskip(NEXT) | instid1(SALU_CYCLE_1)
	s_or_b32 exec_lo, exec_lo, s3
	s_mov_b32 s2, exec_lo
	v_cmpx_ne_u32_e64 v236, v228
	s_xor_b32 s2, exec_lo, s2
	s_cbranch_execz .LBB108_248
; %bb.243:
	s_mov_b32 s3, exec_lo
	v_cmpx_eq_u32_e32 11, v236
	s_cbranch_execz .LBB108_247
; %bb.244:
	v_cmp_ne_u32_e32 vcc_lo, 11, v228
	s_xor_b32 s6, s4, -1
	s_delay_alu instid0(SALU_CYCLE_1) | instskip(NEXT) | instid1(SALU_CYCLE_1)
	s_and_b32 s7, s6, vcc_lo
	s_and_saveexec_b32 s6, s7
	s_cbranch_execz .LBB108_246
; %bb.245:
	v_ashrrev_i32_e32 v229, 31, v228
	s_delay_alu instid0(VALU_DEP_1) | instskip(NEXT) | instid1(VALU_DEP_1)
	v_lshlrev_b64 v[208:209], 2, v[228:229]
	v_add_co_u32 v208, vcc_lo, v231, v208
	s_delay_alu instid0(VALU_DEP_2)
	v_add_co_ci_u32_e32 v209, vcc_lo, v232, v209, vcc_lo
	s_clause 0x1
	flat_load_b32 v210, v[208:209]
	flat_load_b32 v211, v[231:232] offset:44
	s_waitcnt vmcnt(1) lgkmcnt(1)
	flat_store_b32 v[231:232], v210 offset:44
	s_waitcnt vmcnt(0) lgkmcnt(1)
	flat_store_b32 v[208:209], v211
.LBB108_246:
	s_or_b32 exec_lo, exec_lo, s6
	v_mov_b32_e32 v236, v228
	v_mov_b32_e32 v227, v228
.LBB108_247:
	s_or_b32 exec_lo, exec_lo, s3
.LBB108_248:
	s_and_not1_saveexec_b32 s2, s2
	s_cbranch_execz .LBB108_250
; %bb.249:
	v_mov_b32_e32 v236, 11
	ds_store_2addr_b64 v230, v[168:169], v[170:171] offset0:24 offset1:25
	ds_store_2addr_b64 v230, v[164:165], v[166:167] offset0:26 offset1:27
	;; [unrolled: 1-line block ×43, first 2 shown]
.LBB108_250:
	s_or_b32 exec_lo, exec_lo, s2
	s_delay_alu instid0(SALU_CYCLE_1)
	s_mov_b32 s2, exec_lo
	s_waitcnt lgkmcnt(0)
	s_waitcnt_vscnt null, 0x0
	s_barrier
	buffer_gl0_inv
	v_cmpx_lt_i32_e32 11, v236
	s_cbranch_execz .LBB108_252
; %bb.251:
	v_mul_f64 v[208:209], v[222:223], v[174:175]
	v_mul_f64 v[174:175], v[220:221], v[174:175]
	s_delay_alu instid0(VALU_DEP_2) | instskip(NEXT) | instid1(VALU_DEP_2)
	v_fma_f64 v[228:229], v[220:221], v[172:173], -v[208:209]
	v_fma_f64 v[174:175], v[222:223], v[172:173], v[174:175]
	ds_load_2addr_b64 v[220:223], v230 offset0:24 offset1:25
	s_waitcnt lgkmcnt(0)
	v_mul_f64 v[172:173], v[222:223], v[174:175]
	v_mul_f64 v[208:209], v[220:221], v[174:175]
	s_delay_alu instid0(VALU_DEP_2) | instskip(NEXT) | instid1(VALU_DEP_2)
	v_fma_f64 v[172:173], v[220:221], v[228:229], -v[172:173]
	v_fma_f64 v[208:209], v[222:223], v[228:229], v[208:209]
	ds_load_2addr_b64 v[220:223], v230 offset0:26 offset1:27
	v_add_f64 v[168:169], v[168:169], -v[172:173]
	v_add_f64 v[170:171], v[170:171], -v[208:209]
	s_waitcnt lgkmcnt(0)
	v_mul_f64 v[172:173], v[222:223], v[174:175]
	v_mul_f64 v[208:209], v[220:221], v[174:175]
	s_delay_alu instid0(VALU_DEP_2) | instskip(NEXT) | instid1(VALU_DEP_2)
	v_fma_f64 v[172:173], v[220:221], v[228:229], -v[172:173]
	v_fma_f64 v[208:209], v[222:223], v[228:229], v[208:209]
	ds_load_2addr_b64 v[220:223], v230 offset0:28 offset1:29
	v_add_f64 v[164:165], v[164:165], -v[172:173]
	v_add_f64 v[166:167], v[166:167], -v[208:209]
	;; [unrolled: 9-line block ×42, first 2 shown]
	s_waitcnt lgkmcnt(0)
	v_mul_f64 v[172:173], v[222:223], v[174:175]
	v_mul_f64 v[208:209], v[220:221], v[174:175]
	s_delay_alu instid0(VALU_DEP_2) | instskip(NEXT) | instid1(VALU_DEP_2)
	v_fma_f64 v[172:173], v[220:221], v[228:229], -v[172:173]
	v_fma_f64 v[208:209], v[222:223], v[228:229], v[208:209]
	s_delay_alu instid0(VALU_DEP_2) | instskip(NEXT) | instid1(VALU_DEP_2)
	v_add_f64 v[0:1], v[0:1], -v[172:173]
	v_add_f64 v[2:3], v[2:3], -v[208:209]
	v_dual_mov_b32 v172, v228 :: v_dual_mov_b32 v173, v229
.LBB108_252:
	s_or_b32 exec_lo, exec_lo, s2
	v_lshl_add_u32 v208, v236, 4, v230
	s_barrier
	buffer_gl0_inv
	v_mov_b32_e32 v228, 12
	ds_store_2addr_b64 v208, v[168:169], v[170:171] offset1:1
	s_waitcnt lgkmcnt(0)
	s_barrier
	buffer_gl0_inv
	ds_load_2addr_b64 v[220:223], v230 offset0:24 offset1:25
	s_cmp_lt_i32 s5, 14
	s_cbranch_scc1 .LBB108_255
; %bb.253:
	v_add3_u32 v229, v234, 0, 0xd0
	v_mov_b32_e32 v228, 12
	s_mov_b32 s6, 13
	s_set_inst_prefetch_distance 0x1
	.p2align	6
.LBB108_254:                            ; =>This Inner Loop Header: Depth=1
	ds_load_2addr_b64 v[237:240], v229 offset1:1
	s_waitcnt lgkmcnt(1)
	v_cmp_gt_f64_e32 vcc_lo, 0, v[220:221]
	v_xor_b32_e32 v208, 0x80000000, v221
	v_cmp_gt_f64_e64 s2, 0, v[222:223]
	v_xor_b32_e32 v210, 0x80000000, v223
	v_add_nc_u32_e32 v229, 16, v229
	s_waitcnt lgkmcnt(0)
	v_cmp_gt_f64_e64 s3, 0, v[237:238]
	v_mov_b32_e32 v212, v237
	v_dual_mov_b32 v214, v239 :: v_dual_cndmask_b32 v209, v221, v208
	v_xor_b32_e32 v208, 0x80000000, v238
	v_cndmask_b32_e64 v211, v223, v210, s2
	v_xor_b32_e32 v210, 0x80000000, v240
	s_delay_alu instid0(VALU_DEP_3) | instskip(SKIP_2) | instid1(VALU_DEP_2)
	v_cndmask_b32_e64 v213, v238, v208, s3
	v_cmp_gt_f64_e64 s3, 0, v[239:240]
	v_cndmask_b32_e32 v208, v220, v220, vcc_lo
	v_cndmask_b32_e64 v215, v240, v210, s3
	v_cndmask_b32_e64 v210, v222, v222, s2
	s_delay_alu instid0(VALU_DEP_2) | instskip(NEXT) | instid1(VALU_DEP_2)
	v_add_f64 v[212:213], v[212:213], v[214:215]
	v_add_f64 v[208:209], v[208:209], v[210:211]
	s_delay_alu instid0(VALU_DEP_1) | instskip(SKIP_4) | instid1(SALU_CYCLE_1)
	v_cmp_lt_f64_e32 vcc_lo, v[208:209], v[212:213]
	v_dual_cndmask_b32 v221, v221, v238 :: v_dual_cndmask_b32 v220, v220, v237
	v_dual_cndmask_b32 v223, v223, v240 :: v_dual_cndmask_b32 v222, v222, v239
	v_cndmask_b32_e64 v228, v228, s6, vcc_lo
	s_add_i32 s6, s6, 1
	s_cmp_lg_u32 s5, s6
	s_cbranch_scc1 .LBB108_254
.LBB108_255:
	s_set_inst_prefetch_distance 0x2
	s_waitcnt lgkmcnt(0)
	v_cmp_eq_f64_e32 vcc_lo, 0, v[220:221]
	v_cmp_eq_f64_e64 s2, 0, v[222:223]
	s_delay_alu instid0(VALU_DEP_1) | instskip(NEXT) | instid1(SALU_CYCLE_1)
	s_and_b32 s2, vcc_lo, s2
	s_and_saveexec_b32 s3, s2
	s_delay_alu instid0(SALU_CYCLE_1)
	s_xor_b32 s2, exec_lo, s3
; %bb.256:
	v_cmp_ne_u32_e32 vcc_lo, 0, v233
	v_cndmask_b32_e32 v233, 13, v233, vcc_lo
; %bb.257:
	s_and_not1_saveexec_b32 s3, s2
	s_cbranch_execz .LBB108_263
; %bb.258:
	v_cmp_gt_f64_e32 vcc_lo, 0, v[220:221]
	v_cmp_gt_f64_e64 s2, 0, v[222:223]
	v_xor_b32_e32 v208, 0x80000000, v221
	v_xor_b32_e32 v210, 0x80000000, v223
	s_delay_alu instid0(VALU_DEP_2) | instskip(NEXT) | instid1(VALU_DEP_2)
	v_cndmask_b32_e32 v209, v221, v208, vcc_lo
	v_cndmask_b32_e64 v211, v223, v210, s2
	v_cndmask_b32_e32 v208, v220, v220, vcc_lo
	v_cndmask_b32_e64 v210, v222, v222, s2
	s_mov_b32 s2, exec_lo
	s_delay_alu instid0(VALU_DEP_1)
	v_cmpx_ngt_f64_e32 v[208:209], v[210:211]
	s_xor_b32 s2, exec_lo, s2
	s_cbranch_execz .LBB108_260
; %bb.259:
	v_div_scale_f64 v[208:209], null, v[222:223], v[222:223], v[220:221]
	v_div_scale_f64 v[214:215], vcc_lo, v[220:221], v[222:223], v[220:221]
	s_delay_alu instid0(VALU_DEP_2) | instskip(SKIP_2) | instid1(VALU_DEP_1)
	v_rcp_f64_e32 v[210:211], v[208:209]
	s_waitcnt_depctr 0xfff
	v_fma_f64 v[212:213], -v[208:209], v[210:211], 1.0
	v_fma_f64 v[210:211], v[210:211], v[212:213], v[210:211]
	s_delay_alu instid0(VALU_DEP_1) | instskip(NEXT) | instid1(VALU_DEP_1)
	v_fma_f64 v[212:213], -v[208:209], v[210:211], 1.0
	v_fma_f64 v[210:211], v[210:211], v[212:213], v[210:211]
	s_delay_alu instid0(VALU_DEP_1) | instskip(NEXT) | instid1(VALU_DEP_1)
	v_mul_f64 v[212:213], v[214:215], v[210:211]
	v_fma_f64 v[208:209], -v[208:209], v[212:213], v[214:215]
	s_delay_alu instid0(VALU_DEP_1) | instskip(NEXT) | instid1(VALU_DEP_1)
	v_div_fmas_f64 v[208:209], v[208:209], v[210:211], v[212:213]
	v_div_fixup_f64 v[208:209], v[208:209], v[222:223], v[220:221]
	s_delay_alu instid0(VALU_DEP_1) | instskip(NEXT) | instid1(VALU_DEP_1)
	v_fma_f64 v[210:211], v[220:221], v[208:209], v[222:223]
	v_div_scale_f64 v[212:213], null, v[210:211], v[210:211], 1.0
	s_delay_alu instid0(VALU_DEP_1) | instskip(SKIP_2) | instid1(VALU_DEP_1)
	v_rcp_f64_e32 v[214:215], v[212:213]
	s_waitcnt_depctr 0xfff
	v_fma_f64 v[220:221], -v[212:213], v[214:215], 1.0
	v_fma_f64 v[214:215], v[214:215], v[220:221], v[214:215]
	s_delay_alu instid0(VALU_DEP_1) | instskip(NEXT) | instid1(VALU_DEP_1)
	v_fma_f64 v[220:221], -v[212:213], v[214:215], 1.0
	v_fma_f64 v[214:215], v[214:215], v[220:221], v[214:215]
	v_div_scale_f64 v[220:221], vcc_lo, 1.0, v[210:211], 1.0
	s_delay_alu instid0(VALU_DEP_1) | instskip(NEXT) | instid1(VALU_DEP_1)
	v_mul_f64 v[222:223], v[220:221], v[214:215]
	v_fma_f64 v[212:213], -v[212:213], v[222:223], v[220:221]
	s_delay_alu instid0(VALU_DEP_1) | instskip(NEXT) | instid1(VALU_DEP_1)
	v_div_fmas_f64 v[212:213], v[212:213], v[214:215], v[222:223]
	v_div_fixup_f64 v[222:223], v[212:213], v[210:211], 1.0
	s_delay_alu instid0(VALU_DEP_1)
	v_mul_f64 v[220:221], v[208:209], v[222:223]
	v_xor_b32_e32 v223, 0x80000000, v223
.LBB108_260:
	s_and_not1_saveexec_b32 s2, s2
	s_cbranch_execz .LBB108_262
; %bb.261:
	s_delay_alu instid0(VALU_DEP_1) | instskip(SKIP_1) | instid1(VALU_DEP_2)
	v_div_scale_f64 v[208:209], null, v[220:221], v[220:221], v[222:223]
	v_div_scale_f64 v[214:215], vcc_lo, v[222:223], v[220:221], v[222:223]
	v_rcp_f64_e32 v[210:211], v[208:209]
	s_waitcnt_depctr 0xfff
	v_fma_f64 v[212:213], -v[208:209], v[210:211], 1.0
	s_delay_alu instid0(VALU_DEP_1) | instskip(NEXT) | instid1(VALU_DEP_1)
	v_fma_f64 v[210:211], v[210:211], v[212:213], v[210:211]
	v_fma_f64 v[212:213], -v[208:209], v[210:211], 1.0
	s_delay_alu instid0(VALU_DEP_1) | instskip(NEXT) | instid1(VALU_DEP_1)
	v_fma_f64 v[210:211], v[210:211], v[212:213], v[210:211]
	v_mul_f64 v[212:213], v[214:215], v[210:211]
	s_delay_alu instid0(VALU_DEP_1) | instskip(NEXT) | instid1(VALU_DEP_1)
	v_fma_f64 v[208:209], -v[208:209], v[212:213], v[214:215]
	v_div_fmas_f64 v[208:209], v[208:209], v[210:211], v[212:213]
	s_delay_alu instid0(VALU_DEP_1) | instskip(NEXT) | instid1(VALU_DEP_1)
	v_div_fixup_f64 v[208:209], v[208:209], v[220:221], v[222:223]
	v_fma_f64 v[210:211], v[222:223], v[208:209], v[220:221]
	s_delay_alu instid0(VALU_DEP_1) | instskip(NEXT) | instid1(VALU_DEP_1)
	v_div_scale_f64 v[212:213], null, v[210:211], v[210:211], 1.0
	v_rcp_f64_e32 v[214:215], v[212:213]
	s_waitcnt_depctr 0xfff
	v_fma_f64 v[220:221], -v[212:213], v[214:215], 1.0
	s_delay_alu instid0(VALU_DEP_1) | instskip(NEXT) | instid1(VALU_DEP_1)
	v_fma_f64 v[214:215], v[214:215], v[220:221], v[214:215]
	v_fma_f64 v[220:221], -v[212:213], v[214:215], 1.0
	s_delay_alu instid0(VALU_DEP_1) | instskip(SKIP_1) | instid1(VALU_DEP_1)
	v_fma_f64 v[214:215], v[214:215], v[220:221], v[214:215]
	v_div_scale_f64 v[220:221], vcc_lo, 1.0, v[210:211], 1.0
	v_mul_f64 v[222:223], v[220:221], v[214:215]
	s_delay_alu instid0(VALU_DEP_1) | instskip(NEXT) | instid1(VALU_DEP_1)
	v_fma_f64 v[212:213], -v[212:213], v[222:223], v[220:221]
	v_div_fmas_f64 v[212:213], v[212:213], v[214:215], v[222:223]
	s_delay_alu instid0(VALU_DEP_1) | instskip(NEXT) | instid1(VALU_DEP_1)
	v_div_fixup_f64 v[220:221], v[212:213], v[210:211], 1.0
	v_mul_f64 v[222:223], v[208:209], -v[220:221]
.LBB108_262:
	s_or_b32 exec_lo, exec_lo, s2
.LBB108_263:
	s_delay_alu instid0(SALU_CYCLE_1) | instskip(NEXT) | instid1(SALU_CYCLE_1)
	s_or_b32 exec_lo, exec_lo, s3
	s_mov_b32 s2, exec_lo
	v_cmpx_ne_u32_e64 v236, v228
	s_xor_b32 s2, exec_lo, s2
	s_cbranch_execz .LBB108_269
; %bb.264:
	s_mov_b32 s3, exec_lo
	v_cmpx_eq_u32_e32 12, v236
	s_cbranch_execz .LBB108_268
; %bb.265:
	v_cmp_ne_u32_e32 vcc_lo, 12, v228
	s_xor_b32 s6, s4, -1
	s_delay_alu instid0(SALU_CYCLE_1) | instskip(NEXT) | instid1(SALU_CYCLE_1)
	s_and_b32 s7, s6, vcc_lo
	s_and_saveexec_b32 s6, s7
	s_cbranch_execz .LBB108_267
; %bb.266:
	v_ashrrev_i32_e32 v229, 31, v228
	s_delay_alu instid0(VALU_DEP_1) | instskip(NEXT) | instid1(VALU_DEP_1)
	v_lshlrev_b64 v[208:209], 2, v[228:229]
	v_add_co_u32 v208, vcc_lo, v231, v208
	s_delay_alu instid0(VALU_DEP_2)
	v_add_co_ci_u32_e32 v209, vcc_lo, v232, v209, vcc_lo
	s_clause 0x1
	flat_load_b32 v210, v[208:209]
	flat_load_b32 v211, v[231:232] offset:48
	s_waitcnt vmcnt(1) lgkmcnt(1)
	flat_store_b32 v[231:232], v210 offset:48
	s_waitcnt vmcnt(0) lgkmcnt(1)
	flat_store_b32 v[208:209], v211
.LBB108_267:
	s_or_b32 exec_lo, exec_lo, s6
	v_mov_b32_e32 v236, v228
	v_mov_b32_e32 v227, v228
.LBB108_268:
	s_or_b32 exec_lo, exec_lo, s3
.LBB108_269:
	s_and_not1_saveexec_b32 s2, s2
	s_cbranch_execz .LBB108_271
; %bb.270:
	v_mov_b32_e32 v236, 12
	ds_store_2addr_b64 v230, v[164:165], v[166:167] offset0:26 offset1:27
	ds_store_2addr_b64 v230, v[160:161], v[162:163] offset0:28 offset1:29
	;; [unrolled: 1-line block ×42, first 2 shown]
.LBB108_271:
	s_or_b32 exec_lo, exec_lo, s2
	s_delay_alu instid0(SALU_CYCLE_1)
	s_mov_b32 s2, exec_lo
	s_waitcnt lgkmcnt(0)
	s_waitcnt_vscnt null, 0x0
	s_barrier
	buffer_gl0_inv
	v_cmpx_lt_i32_e32 12, v236
	s_cbranch_execz .LBB108_273
; %bb.272:
	v_mul_f64 v[208:209], v[222:223], v[170:171]
	v_mul_f64 v[170:171], v[220:221], v[170:171]
	s_delay_alu instid0(VALU_DEP_2) | instskip(NEXT) | instid1(VALU_DEP_2)
	v_fma_f64 v[228:229], v[220:221], v[168:169], -v[208:209]
	v_fma_f64 v[170:171], v[222:223], v[168:169], v[170:171]
	ds_load_2addr_b64 v[220:223], v230 offset0:26 offset1:27
	s_waitcnt lgkmcnt(0)
	v_mul_f64 v[168:169], v[222:223], v[170:171]
	v_mul_f64 v[208:209], v[220:221], v[170:171]
	s_delay_alu instid0(VALU_DEP_2) | instskip(NEXT) | instid1(VALU_DEP_2)
	v_fma_f64 v[168:169], v[220:221], v[228:229], -v[168:169]
	v_fma_f64 v[208:209], v[222:223], v[228:229], v[208:209]
	ds_load_2addr_b64 v[220:223], v230 offset0:28 offset1:29
	v_add_f64 v[164:165], v[164:165], -v[168:169]
	v_add_f64 v[166:167], v[166:167], -v[208:209]
	s_waitcnt lgkmcnt(0)
	v_mul_f64 v[168:169], v[222:223], v[170:171]
	v_mul_f64 v[208:209], v[220:221], v[170:171]
	s_delay_alu instid0(VALU_DEP_2) | instskip(NEXT) | instid1(VALU_DEP_2)
	v_fma_f64 v[168:169], v[220:221], v[228:229], -v[168:169]
	v_fma_f64 v[208:209], v[222:223], v[228:229], v[208:209]
	ds_load_2addr_b64 v[220:223], v230 offset0:30 offset1:31
	v_add_f64 v[160:161], v[160:161], -v[168:169]
	v_add_f64 v[162:163], v[162:163], -v[208:209]
	;; [unrolled: 9-line block ×41, first 2 shown]
	s_waitcnt lgkmcnt(0)
	v_mul_f64 v[168:169], v[222:223], v[170:171]
	v_mul_f64 v[208:209], v[220:221], v[170:171]
	s_delay_alu instid0(VALU_DEP_2) | instskip(NEXT) | instid1(VALU_DEP_2)
	v_fma_f64 v[168:169], v[220:221], v[228:229], -v[168:169]
	v_fma_f64 v[208:209], v[222:223], v[228:229], v[208:209]
	s_delay_alu instid0(VALU_DEP_2) | instskip(NEXT) | instid1(VALU_DEP_2)
	v_add_f64 v[0:1], v[0:1], -v[168:169]
	v_add_f64 v[2:3], v[2:3], -v[208:209]
	v_dual_mov_b32 v168, v228 :: v_dual_mov_b32 v169, v229
.LBB108_273:
	s_or_b32 exec_lo, exec_lo, s2
	v_lshl_add_u32 v208, v236, 4, v230
	s_barrier
	buffer_gl0_inv
	v_mov_b32_e32 v228, 13
	ds_store_2addr_b64 v208, v[164:165], v[166:167] offset1:1
	s_waitcnt lgkmcnt(0)
	s_barrier
	buffer_gl0_inv
	ds_load_2addr_b64 v[220:223], v230 offset0:26 offset1:27
	s_cmp_lt_i32 s5, 15
	s_cbranch_scc1 .LBB108_276
; %bb.274:
	v_add3_u32 v229, v234, 0, 0xe0
	v_mov_b32_e32 v228, 13
	s_mov_b32 s6, 14
	s_set_inst_prefetch_distance 0x1
	.p2align	6
.LBB108_275:                            ; =>This Inner Loop Header: Depth=1
	ds_load_2addr_b64 v[237:240], v229 offset1:1
	s_waitcnt lgkmcnt(1)
	v_cmp_gt_f64_e32 vcc_lo, 0, v[220:221]
	v_xor_b32_e32 v208, 0x80000000, v221
	v_cmp_gt_f64_e64 s2, 0, v[222:223]
	v_xor_b32_e32 v210, 0x80000000, v223
	v_add_nc_u32_e32 v229, 16, v229
	s_waitcnt lgkmcnt(0)
	v_cmp_gt_f64_e64 s3, 0, v[237:238]
	v_mov_b32_e32 v212, v237
	v_dual_mov_b32 v214, v239 :: v_dual_cndmask_b32 v209, v221, v208
	v_xor_b32_e32 v208, 0x80000000, v238
	v_cndmask_b32_e64 v211, v223, v210, s2
	v_xor_b32_e32 v210, 0x80000000, v240
	s_delay_alu instid0(VALU_DEP_3) | instskip(SKIP_2) | instid1(VALU_DEP_2)
	v_cndmask_b32_e64 v213, v238, v208, s3
	v_cmp_gt_f64_e64 s3, 0, v[239:240]
	v_cndmask_b32_e32 v208, v220, v220, vcc_lo
	v_cndmask_b32_e64 v215, v240, v210, s3
	v_cndmask_b32_e64 v210, v222, v222, s2
	s_delay_alu instid0(VALU_DEP_2) | instskip(NEXT) | instid1(VALU_DEP_2)
	v_add_f64 v[212:213], v[212:213], v[214:215]
	v_add_f64 v[208:209], v[208:209], v[210:211]
	s_delay_alu instid0(VALU_DEP_1) | instskip(SKIP_4) | instid1(SALU_CYCLE_1)
	v_cmp_lt_f64_e32 vcc_lo, v[208:209], v[212:213]
	v_dual_cndmask_b32 v221, v221, v238 :: v_dual_cndmask_b32 v220, v220, v237
	v_dual_cndmask_b32 v223, v223, v240 :: v_dual_cndmask_b32 v222, v222, v239
	v_cndmask_b32_e64 v228, v228, s6, vcc_lo
	s_add_i32 s6, s6, 1
	s_cmp_lg_u32 s5, s6
	s_cbranch_scc1 .LBB108_275
.LBB108_276:
	s_set_inst_prefetch_distance 0x2
	s_waitcnt lgkmcnt(0)
	v_cmp_eq_f64_e32 vcc_lo, 0, v[220:221]
	v_cmp_eq_f64_e64 s2, 0, v[222:223]
	s_delay_alu instid0(VALU_DEP_1) | instskip(NEXT) | instid1(SALU_CYCLE_1)
	s_and_b32 s2, vcc_lo, s2
	s_and_saveexec_b32 s3, s2
	s_delay_alu instid0(SALU_CYCLE_1)
	s_xor_b32 s2, exec_lo, s3
; %bb.277:
	v_cmp_ne_u32_e32 vcc_lo, 0, v233
	v_cndmask_b32_e32 v233, 14, v233, vcc_lo
; %bb.278:
	s_and_not1_saveexec_b32 s3, s2
	s_cbranch_execz .LBB108_284
; %bb.279:
	v_cmp_gt_f64_e32 vcc_lo, 0, v[220:221]
	v_cmp_gt_f64_e64 s2, 0, v[222:223]
	v_xor_b32_e32 v208, 0x80000000, v221
	v_xor_b32_e32 v210, 0x80000000, v223
	s_delay_alu instid0(VALU_DEP_2) | instskip(NEXT) | instid1(VALU_DEP_2)
	v_cndmask_b32_e32 v209, v221, v208, vcc_lo
	v_cndmask_b32_e64 v211, v223, v210, s2
	v_cndmask_b32_e32 v208, v220, v220, vcc_lo
	v_cndmask_b32_e64 v210, v222, v222, s2
	s_mov_b32 s2, exec_lo
	s_delay_alu instid0(VALU_DEP_1)
	v_cmpx_ngt_f64_e32 v[208:209], v[210:211]
	s_xor_b32 s2, exec_lo, s2
	s_cbranch_execz .LBB108_281
; %bb.280:
	v_div_scale_f64 v[208:209], null, v[222:223], v[222:223], v[220:221]
	v_div_scale_f64 v[214:215], vcc_lo, v[220:221], v[222:223], v[220:221]
	s_delay_alu instid0(VALU_DEP_2) | instskip(SKIP_2) | instid1(VALU_DEP_1)
	v_rcp_f64_e32 v[210:211], v[208:209]
	s_waitcnt_depctr 0xfff
	v_fma_f64 v[212:213], -v[208:209], v[210:211], 1.0
	v_fma_f64 v[210:211], v[210:211], v[212:213], v[210:211]
	s_delay_alu instid0(VALU_DEP_1) | instskip(NEXT) | instid1(VALU_DEP_1)
	v_fma_f64 v[212:213], -v[208:209], v[210:211], 1.0
	v_fma_f64 v[210:211], v[210:211], v[212:213], v[210:211]
	s_delay_alu instid0(VALU_DEP_1) | instskip(NEXT) | instid1(VALU_DEP_1)
	v_mul_f64 v[212:213], v[214:215], v[210:211]
	v_fma_f64 v[208:209], -v[208:209], v[212:213], v[214:215]
	s_delay_alu instid0(VALU_DEP_1) | instskip(NEXT) | instid1(VALU_DEP_1)
	v_div_fmas_f64 v[208:209], v[208:209], v[210:211], v[212:213]
	v_div_fixup_f64 v[208:209], v[208:209], v[222:223], v[220:221]
	s_delay_alu instid0(VALU_DEP_1) | instskip(NEXT) | instid1(VALU_DEP_1)
	v_fma_f64 v[210:211], v[220:221], v[208:209], v[222:223]
	v_div_scale_f64 v[212:213], null, v[210:211], v[210:211], 1.0
	s_delay_alu instid0(VALU_DEP_1) | instskip(SKIP_2) | instid1(VALU_DEP_1)
	v_rcp_f64_e32 v[214:215], v[212:213]
	s_waitcnt_depctr 0xfff
	v_fma_f64 v[220:221], -v[212:213], v[214:215], 1.0
	v_fma_f64 v[214:215], v[214:215], v[220:221], v[214:215]
	s_delay_alu instid0(VALU_DEP_1) | instskip(NEXT) | instid1(VALU_DEP_1)
	v_fma_f64 v[220:221], -v[212:213], v[214:215], 1.0
	v_fma_f64 v[214:215], v[214:215], v[220:221], v[214:215]
	v_div_scale_f64 v[220:221], vcc_lo, 1.0, v[210:211], 1.0
	s_delay_alu instid0(VALU_DEP_1) | instskip(NEXT) | instid1(VALU_DEP_1)
	v_mul_f64 v[222:223], v[220:221], v[214:215]
	v_fma_f64 v[212:213], -v[212:213], v[222:223], v[220:221]
	s_delay_alu instid0(VALU_DEP_1) | instskip(NEXT) | instid1(VALU_DEP_1)
	v_div_fmas_f64 v[212:213], v[212:213], v[214:215], v[222:223]
	v_div_fixup_f64 v[222:223], v[212:213], v[210:211], 1.0
	s_delay_alu instid0(VALU_DEP_1)
	v_mul_f64 v[220:221], v[208:209], v[222:223]
	v_xor_b32_e32 v223, 0x80000000, v223
.LBB108_281:
	s_and_not1_saveexec_b32 s2, s2
	s_cbranch_execz .LBB108_283
; %bb.282:
	s_delay_alu instid0(VALU_DEP_1) | instskip(SKIP_1) | instid1(VALU_DEP_2)
	v_div_scale_f64 v[208:209], null, v[220:221], v[220:221], v[222:223]
	v_div_scale_f64 v[214:215], vcc_lo, v[222:223], v[220:221], v[222:223]
	v_rcp_f64_e32 v[210:211], v[208:209]
	s_waitcnt_depctr 0xfff
	v_fma_f64 v[212:213], -v[208:209], v[210:211], 1.0
	s_delay_alu instid0(VALU_DEP_1) | instskip(NEXT) | instid1(VALU_DEP_1)
	v_fma_f64 v[210:211], v[210:211], v[212:213], v[210:211]
	v_fma_f64 v[212:213], -v[208:209], v[210:211], 1.0
	s_delay_alu instid0(VALU_DEP_1) | instskip(NEXT) | instid1(VALU_DEP_1)
	v_fma_f64 v[210:211], v[210:211], v[212:213], v[210:211]
	v_mul_f64 v[212:213], v[214:215], v[210:211]
	s_delay_alu instid0(VALU_DEP_1) | instskip(NEXT) | instid1(VALU_DEP_1)
	v_fma_f64 v[208:209], -v[208:209], v[212:213], v[214:215]
	v_div_fmas_f64 v[208:209], v[208:209], v[210:211], v[212:213]
	s_delay_alu instid0(VALU_DEP_1) | instskip(NEXT) | instid1(VALU_DEP_1)
	v_div_fixup_f64 v[208:209], v[208:209], v[220:221], v[222:223]
	v_fma_f64 v[210:211], v[222:223], v[208:209], v[220:221]
	s_delay_alu instid0(VALU_DEP_1) | instskip(NEXT) | instid1(VALU_DEP_1)
	v_div_scale_f64 v[212:213], null, v[210:211], v[210:211], 1.0
	v_rcp_f64_e32 v[214:215], v[212:213]
	s_waitcnt_depctr 0xfff
	v_fma_f64 v[220:221], -v[212:213], v[214:215], 1.0
	s_delay_alu instid0(VALU_DEP_1) | instskip(NEXT) | instid1(VALU_DEP_1)
	v_fma_f64 v[214:215], v[214:215], v[220:221], v[214:215]
	v_fma_f64 v[220:221], -v[212:213], v[214:215], 1.0
	s_delay_alu instid0(VALU_DEP_1) | instskip(SKIP_1) | instid1(VALU_DEP_1)
	v_fma_f64 v[214:215], v[214:215], v[220:221], v[214:215]
	v_div_scale_f64 v[220:221], vcc_lo, 1.0, v[210:211], 1.0
	v_mul_f64 v[222:223], v[220:221], v[214:215]
	s_delay_alu instid0(VALU_DEP_1) | instskip(NEXT) | instid1(VALU_DEP_1)
	v_fma_f64 v[212:213], -v[212:213], v[222:223], v[220:221]
	v_div_fmas_f64 v[212:213], v[212:213], v[214:215], v[222:223]
	s_delay_alu instid0(VALU_DEP_1) | instskip(NEXT) | instid1(VALU_DEP_1)
	v_div_fixup_f64 v[220:221], v[212:213], v[210:211], 1.0
	v_mul_f64 v[222:223], v[208:209], -v[220:221]
.LBB108_283:
	s_or_b32 exec_lo, exec_lo, s2
.LBB108_284:
	s_delay_alu instid0(SALU_CYCLE_1) | instskip(NEXT) | instid1(SALU_CYCLE_1)
	s_or_b32 exec_lo, exec_lo, s3
	s_mov_b32 s2, exec_lo
	v_cmpx_ne_u32_e64 v236, v228
	s_xor_b32 s2, exec_lo, s2
	s_cbranch_execz .LBB108_290
; %bb.285:
	s_mov_b32 s3, exec_lo
	v_cmpx_eq_u32_e32 13, v236
	s_cbranch_execz .LBB108_289
; %bb.286:
	v_cmp_ne_u32_e32 vcc_lo, 13, v228
	s_xor_b32 s6, s4, -1
	s_delay_alu instid0(SALU_CYCLE_1) | instskip(NEXT) | instid1(SALU_CYCLE_1)
	s_and_b32 s7, s6, vcc_lo
	s_and_saveexec_b32 s6, s7
	s_cbranch_execz .LBB108_288
; %bb.287:
	v_ashrrev_i32_e32 v229, 31, v228
	s_delay_alu instid0(VALU_DEP_1) | instskip(NEXT) | instid1(VALU_DEP_1)
	v_lshlrev_b64 v[208:209], 2, v[228:229]
	v_add_co_u32 v208, vcc_lo, v231, v208
	s_delay_alu instid0(VALU_DEP_2)
	v_add_co_ci_u32_e32 v209, vcc_lo, v232, v209, vcc_lo
	s_clause 0x1
	flat_load_b32 v210, v[208:209]
	flat_load_b32 v211, v[231:232] offset:52
	s_waitcnt vmcnt(1) lgkmcnt(1)
	flat_store_b32 v[231:232], v210 offset:52
	s_waitcnt vmcnt(0) lgkmcnt(1)
	flat_store_b32 v[208:209], v211
.LBB108_288:
	s_or_b32 exec_lo, exec_lo, s6
	v_mov_b32_e32 v236, v228
	v_mov_b32_e32 v227, v228
.LBB108_289:
	s_or_b32 exec_lo, exec_lo, s3
.LBB108_290:
	s_and_not1_saveexec_b32 s2, s2
	s_cbranch_execz .LBB108_292
; %bb.291:
	v_mov_b32_e32 v236, 13
	ds_store_2addr_b64 v230, v[160:161], v[162:163] offset0:28 offset1:29
	ds_store_2addr_b64 v230, v[156:157], v[158:159] offset0:30 offset1:31
	ds_store_2addr_b64 v230, v[152:153], v[154:155] offset0:32 offset1:33
	ds_store_2addr_b64 v230, v[148:149], v[150:151] offset0:34 offset1:35
	ds_store_2addr_b64 v230, v[144:145], v[146:147] offset0:36 offset1:37
	ds_store_2addr_b64 v230, v[140:141], v[142:143] offset0:38 offset1:39
	ds_store_2addr_b64 v230, v[136:137], v[138:139] offset0:40 offset1:41
	ds_store_2addr_b64 v230, v[132:133], v[134:135] offset0:42 offset1:43
	ds_store_2addr_b64 v230, v[128:129], v[130:131] offset0:44 offset1:45
	ds_store_2addr_b64 v230, v[124:125], v[126:127] offset0:46 offset1:47
	ds_store_2addr_b64 v230, v[120:121], v[122:123] offset0:48 offset1:49
	ds_store_2addr_b64 v230, v[116:117], v[118:119] offset0:50 offset1:51
	ds_store_2addr_b64 v230, v[112:113], v[114:115] offset0:52 offset1:53
	ds_store_2addr_b64 v230, v[108:109], v[110:111] offset0:54 offset1:55
	ds_store_2addr_b64 v230, v[104:105], v[106:107] offset0:56 offset1:57
	ds_store_2addr_b64 v230, v[100:101], v[102:103] offset0:58 offset1:59
	ds_store_2addr_b64 v230, v[96:97], v[98:99] offset0:60 offset1:61
	ds_store_2addr_b64 v230, v[92:93], v[94:95] offset0:62 offset1:63
	ds_store_2addr_b64 v230, v[88:89], v[90:91] offset0:64 offset1:65
	ds_store_2addr_b64 v230, v[84:85], v[86:87] offset0:66 offset1:67
	ds_store_2addr_b64 v230, v[80:81], v[82:83] offset0:68 offset1:69
	ds_store_2addr_b64 v230, v[76:77], v[78:79] offset0:70 offset1:71
	ds_store_2addr_b64 v230, v[72:73], v[74:75] offset0:72 offset1:73
	ds_store_2addr_b64 v230, v[68:69], v[70:71] offset0:74 offset1:75
	ds_store_2addr_b64 v230, v[64:65], v[66:67] offset0:76 offset1:77
	ds_store_2addr_b64 v230, v[60:61], v[62:63] offset0:78 offset1:79
	ds_store_2addr_b64 v230, v[56:57], v[58:59] offset0:80 offset1:81
	ds_store_2addr_b64 v230, v[52:53], v[54:55] offset0:82 offset1:83
	ds_store_2addr_b64 v230, v[48:49], v[50:51] offset0:84 offset1:85
	ds_store_2addr_b64 v230, v[44:45], v[46:47] offset0:86 offset1:87
	ds_store_2addr_b64 v230, v[40:41], v[42:43] offset0:88 offset1:89
	ds_store_2addr_b64 v230, v[36:37], v[38:39] offset0:90 offset1:91
	ds_store_2addr_b64 v230, v[32:33], v[34:35] offset0:92 offset1:93
	ds_store_2addr_b64 v230, v[28:29], v[30:31] offset0:94 offset1:95
	ds_store_2addr_b64 v230, v[24:25], v[26:27] offset0:96 offset1:97
	ds_store_2addr_b64 v230, v[20:21], v[22:23] offset0:98 offset1:99
	ds_store_2addr_b64 v230, v[16:17], v[18:19] offset0:100 offset1:101
	ds_store_2addr_b64 v230, v[12:13], v[14:15] offset0:102 offset1:103
	ds_store_2addr_b64 v230, v[8:9], v[10:11] offset0:104 offset1:105
	ds_store_2addr_b64 v230, v[4:5], v[6:7] offset0:106 offset1:107
	ds_store_2addr_b64 v230, v[0:1], v[2:3] offset0:108 offset1:109
.LBB108_292:
	s_or_b32 exec_lo, exec_lo, s2
	s_delay_alu instid0(SALU_CYCLE_1)
	s_mov_b32 s2, exec_lo
	s_waitcnt lgkmcnt(0)
	s_waitcnt_vscnt null, 0x0
	s_barrier
	buffer_gl0_inv
	v_cmpx_lt_i32_e32 13, v236
	s_cbranch_execz .LBB108_294
; %bb.293:
	v_mul_f64 v[208:209], v[222:223], v[166:167]
	v_mul_f64 v[166:167], v[220:221], v[166:167]
	s_delay_alu instid0(VALU_DEP_2) | instskip(NEXT) | instid1(VALU_DEP_2)
	v_fma_f64 v[228:229], v[220:221], v[164:165], -v[208:209]
	v_fma_f64 v[166:167], v[222:223], v[164:165], v[166:167]
	ds_load_2addr_b64 v[220:223], v230 offset0:28 offset1:29
	s_waitcnt lgkmcnt(0)
	v_mul_f64 v[164:165], v[222:223], v[166:167]
	v_mul_f64 v[208:209], v[220:221], v[166:167]
	s_delay_alu instid0(VALU_DEP_2) | instskip(NEXT) | instid1(VALU_DEP_2)
	v_fma_f64 v[164:165], v[220:221], v[228:229], -v[164:165]
	v_fma_f64 v[208:209], v[222:223], v[228:229], v[208:209]
	ds_load_2addr_b64 v[220:223], v230 offset0:30 offset1:31
	v_add_f64 v[160:161], v[160:161], -v[164:165]
	v_add_f64 v[162:163], v[162:163], -v[208:209]
	s_waitcnt lgkmcnt(0)
	v_mul_f64 v[164:165], v[222:223], v[166:167]
	v_mul_f64 v[208:209], v[220:221], v[166:167]
	s_delay_alu instid0(VALU_DEP_2) | instskip(NEXT) | instid1(VALU_DEP_2)
	v_fma_f64 v[164:165], v[220:221], v[228:229], -v[164:165]
	v_fma_f64 v[208:209], v[222:223], v[228:229], v[208:209]
	ds_load_2addr_b64 v[220:223], v230 offset0:32 offset1:33
	v_add_f64 v[156:157], v[156:157], -v[164:165]
	v_add_f64 v[158:159], v[158:159], -v[208:209]
	;; [unrolled: 9-line block ×40, first 2 shown]
	s_waitcnt lgkmcnt(0)
	v_mul_f64 v[164:165], v[222:223], v[166:167]
	v_mul_f64 v[208:209], v[220:221], v[166:167]
	s_delay_alu instid0(VALU_DEP_2) | instskip(NEXT) | instid1(VALU_DEP_2)
	v_fma_f64 v[164:165], v[220:221], v[228:229], -v[164:165]
	v_fma_f64 v[208:209], v[222:223], v[228:229], v[208:209]
	s_delay_alu instid0(VALU_DEP_2) | instskip(NEXT) | instid1(VALU_DEP_2)
	v_add_f64 v[0:1], v[0:1], -v[164:165]
	v_add_f64 v[2:3], v[2:3], -v[208:209]
	v_dual_mov_b32 v164, v228 :: v_dual_mov_b32 v165, v229
.LBB108_294:
	s_or_b32 exec_lo, exec_lo, s2
	v_lshl_add_u32 v208, v236, 4, v230
	s_barrier
	buffer_gl0_inv
	v_mov_b32_e32 v228, 14
	ds_store_2addr_b64 v208, v[160:161], v[162:163] offset1:1
	s_waitcnt lgkmcnt(0)
	s_barrier
	buffer_gl0_inv
	ds_load_2addr_b64 v[220:223], v230 offset0:28 offset1:29
	s_cmp_lt_i32 s5, 16
	s_cbranch_scc1 .LBB108_297
; %bb.295:
	v_add3_u32 v229, v234, 0, 0xf0
	v_mov_b32_e32 v228, 14
	s_mov_b32 s6, 15
	s_set_inst_prefetch_distance 0x1
	.p2align	6
.LBB108_296:                            ; =>This Inner Loop Header: Depth=1
	ds_load_2addr_b64 v[237:240], v229 offset1:1
	s_waitcnt lgkmcnt(1)
	v_cmp_gt_f64_e32 vcc_lo, 0, v[220:221]
	v_xor_b32_e32 v208, 0x80000000, v221
	v_cmp_gt_f64_e64 s2, 0, v[222:223]
	v_xor_b32_e32 v210, 0x80000000, v223
	v_add_nc_u32_e32 v229, 16, v229
	s_waitcnt lgkmcnt(0)
	v_cmp_gt_f64_e64 s3, 0, v[237:238]
	v_mov_b32_e32 v212, v237
	v_dual_mov_b32 v214, v239 :: v_dual_cndmask_b32 v209, v221, v208
	v_xor_b32_e32 v208, 0x80000000, v238
	v_cndmask_b32_e64 v211, v223, v210, s2
	v_xor_b32_e32 v210, 0x80000000, v240
	s_delay_alu instid0(VALU_DEP_3) | instskip(SKIP_2) | instid1(VALU_DEP_2)
	v_cndmask_b32_e64 v213, v238, v208, s3
	v_cmp_gt_f64_e64 s3, 0, v[239:240]
	v_cndmask_b32_e32 v208, v220, v220, vcc_lo
	v_cndmask_b32_e64 v215, v240, v210, s3
	v_cndmask_b32_e64 v210, v222, v222, s2
	s_delay_alu instid0(VALU_DEP_2) | instskip(NEXT) | instid1(VALU_DEP_2)
	v_add_f64 v[212:213], v[212:213], v[214:215]
	v_add_f64 v[208:209], v[208:209], v[210:211]
	s_delay_alu instid0(VALU_DEP_1) | instskip(SKIP_4) | instid1(SALU_CYCLE_1)
	v_cmp_lt_f64_e32 vcc_lo, v[208:209], v[212:213]
	v_dual_cndmask_b32 v221, v221, v238 :: v_dual_cndmask_b32 v220, v220, v237
	v_dual_cndmask_b32 v223, v223, v240 :: v_dual_cndmask_b32 v222, v222, v239
	v_cndmask_b32_e64 v228, v228, s6, vcc_lo
	s_add_i32 s6, s6, 1
	s_cmp_lg_u32 s5, s6
	s_cbranch_scc1 .LBB108_296
.LBB108_297:
	s_set_inst_prefetch_distance 0x2
	s_waitcnt lgkmcnt(0)
	v_cmp_eq_f64_e32 vcc_lo, 0, v[220:221]
	v_cmp_eq_f64_e64 s2, 0, v[222:223]
	s_delay_alu instid0(VALU_DEP_1) | instskip(NEXT) | instid1(SALU_CYCLE_1)
	s_and_b32 s2, vcc_lo, s2
	s_and_saveexec_b32 s3, s2
	s_delay_alu instid0(SALU_CYCLE_1)
	s_xor_b32 s2, exec_lo, s3
; %bb.298:
	v_cmp_ne_u32_e32 vcc_lo, 0, v233
	v_cndmask_b32_e32 v233, 15, v233, vcc_lo
; %bb.299:
	s_and_not1_saveexec_b32 s3, s2
	s_cbranch_execz .LBB108_305
; %bb.300:
	v_cmp_gt_f64_e32 vcc_lo, 0, v[220:221]
	v_cmp_gt_f64_e64 s2, 0, v[222:223]
	v_xor_b32_e32 v208, 0x80000000, v221
	v_xor_b32_e32 v210, 0x80000000, v223
	s_delay_alu instid0(VALU_DEP_2) | instskip(NEXT) | instid1(VALU_DEP_2)
	v_cndmask_b32_e32 v209, v221, v208, vcc_lo
	v_cndmask_b32_e64 v211, v223, v210, s2
	v_cndmask_b32_e32 v208, v220, v220, vcc_lo
	v_cndmask_b32_e64 v210, v222, v222, s2
	s_mov_b32 s2, exec_lo
	s_delay_alu instid0(VALU_DEP_1)
	v_cmpx_ngt_f64_e32 v[208:209], v[210:211]
	s_xor_b32 s2, exec_lo, s2
	s_cbranch_execz .LBB108_302
; %bb.301:
	v_div_scale_f64 v[208:209], null, v[222:223], v[222:223], v[220:221]
	v_div_scale_f64 v[214:215], vcc_lo, v[220:221], v[222:223], v[220:221]
	s_delay_alu instid0(VALU_DEP_2) | instskip(SKIP_2) | instid1(VALU_DEP_1)
	v_rcp_f64_e32 v[210:211], v[208:209]
	s_waitcnt_depctr 0xfff
	v_fma_f64 v[212:213], -v[208:209], v[210:211], 1.0
	v_fma_f64 v[210:211], v[210:211], v[212:213], v[210:211]
	s_delay_alu instid0(VALU_DEP_1) | instskip(NEXT) | instid1(VALU_DEP_1)
	v_fma_f64 v[212:213], -v[208:209], v[210:211], 1.0
	v_fma_f64 v[210:211], v[210:211], v[212:213], v[210:211]
	s_delay_alu instid0(VALU_DEP_1) | instskip(NEXT) | instid1(VALU_DEP_1)
	v_mul_f64 v[212:213], v[214:215], v[210:211]
	v_fma_f64 v[208:209], -v[208:209], v[212:213], v[214:215]
	s_delay_alu instid0(VALU_DEP_1) | instskip(NEXT) | instid1(VALU_DEP_1)
	v_div_fmas_f64 v[208:209], v[208:209], v[210:211], v[212:213]
	v_div_fixup_f64 v[208:209], v[208:209], v[222:223], v[220:221]
	s_delay_alu instid0(VALU_DEP_1) | instskip(NEXT) | instid1(VALU_DEP_1)
	v_fma_f64 v[210:211], v[220:221], v[208:209], v[222:223]
	v_div_scale_f64 v[212:213], null, v[210:211], v[210:211], 1.0
	s_delay_alu instid0(VALU_DEP_1) | instskip(SKIP_2) | instid1(VALU_DEP_1)
	v_rcp_f64_e32 v[214:215], v[212:213]
	s_waitcnt_depctr 0xfff
	v_fma_f64 v[220:221], -v[212:213], v[214:215], 1.0
	v_fma_f64 v[214:215], v[214:215], v[220:221], v[214:215]
	s_delay_alu instid0(VALU_DEP_1) | instskip(NEXT) | instid1(VALU_DEP_1)
	v_fma_f64 v[220:221], -v[212:213], v[214:215], 1.0
	v_fma_f64 v[214:215], v[214:215], v[220:221], v[214:215]
	v_div_scale_f64 v[220:221], vcc_lo, 1.0, v[210:211], 1.0
	s_delay_alu instid0(VALU_DEP_1) | instskip(NEXT) | instid1(VALU_DEP_1)
	v_mul_f64 v[222:223], v[220:221], v[214:215]
	v_fma_f64 v[212:213], -v[212:213], v[222:223], v[220:221]
	s_delay_alu instid0(VALU_DEP_1) | instskip(NEXT) | instid1(VALU_DEP_1)
	v_div_fmas_f64 v[212:213], v[212:213], v[214:215], v[222:223]
	v_div_fixup_f64 v[222:223], v[212:213], v[210:211], 1.0
	s_delay_alu instid0(VALU_DEP_1)
	v_mul_f64 v[220:221], v[208:209], v[222:223]
	v_xor_b32_e32 v223, 0x80000000, v223
.LBB108_302:
	s_and_not1_saveexec_b32 s2, s2
	s_cbranch_execz .LBB108_304
; %bb.303:
	s_delay_alu instid0(VALU_DEP_1) | instskip(SKIP_1) | instid1(VALU_DEP_2)
	v_div_scale_f64 v[208:209], null, v[220:221], v[220:221], v[222:223]
	v_div_scale_f64 v[214:215], vcc_lo, v[222:223], v[220:221], v[222:223]
	v_rcp_f64_e32 v[210:211], v[208:209]
	s_waitcnt_depctr 0xfff
	v_fma_f64 v[212:213], -v[208:209], v[210:211], 1.0
	s_delay_alu instid0(VALU_DEP_1) | instskip(NEXT) | instid1(VALU_DEP_1)
	v_fma_f64 v[210:211], v[210:211], v[212:213], v[210:211]
	v_fma_f64 v[212:213], -v[208:209], v[210:211], 1.0
	s_delay_alu instid0(VALU_DEP_1) | instskip(NEXT) | instid1(VALU_DEP_1)
	v_fma_f64 v[210:211], v[210:211], v[212:213], v[210:211]
	v_mul_f64 v[212:213], v[214:215], v[210:211]
	s_delay_alu instid0(VALU_DEP_1) | instskip(NEXT) | instid1(VALU_DEP_1)
	v_fma_f64 v[208:209], -v[208:209], v[212:213], v[214:215]
	v_div_fmas_f64 v[208:209], v[208:209], v[210:211], v[212:213]
	s_delay_alu instid0(VALU_DEP_1) | instskip(NEXT) | instid1(VALU_DEP_1)
	v_div_fixup_f64 v[208:209], v[208:209], v[220:221], v[222:223]
	v_fma_f64 v[210:211], v[222:223], v[208:209], v[220:221]
	s_delay_alu instid0(VALU_DEP_1) | instskip(NEXT) | instid1(VALU_DEP_1)
	v_div_scale_f64 v[212:213], null, v[210:211], v[210:211], 1.0
	v_rcp_f64_e32 v[214:215], v[212:213]
	s_waitcnt_depctr 0xfff
	v_fma_f64 v[220:221], -v[212:213], v[214:215], 1.0
	s_delay_alu instid0(VALU_DEP_1) | instskip(NEXT) | instid1(VALU_DEP_1)
	v_fma_f64 v[214:215], v[214:215], v[220:221], v[214:215]
	v_fma_f64 v[220:221], -v[212:213], v[214:215], 1.0
	s_delay_alu instid0(VALU_DEP_1) | instskip(SKIP_1) | instid1(VALU_DEP_1)
	v_fma_f64 v[214:215], v[214:215], v[220:221], v[214:215]
	v_div_scale_f64 v[220:221], vcc_lo, 1.0, v[210:211], 1.0
	v_mul_f64 v[222:223], v[220:221], v[214:215]
	s_delay_alu instid0(VALU_DEP_1) | instskip(NEXT) | instid1(VALU_DEP_1)
	v_fma_f64 v[212:213], -v[212:213], v[222:223], v[220:221]
	v_div_fmas_f64 v[212:213], v[212:213], v[214:215], v[222:223]
	s_delay_alu instid0(VALU_DEP_1) | instskip(NEXT) | instid1(VALU_DEP_1)
	v_div_fixup_f64 v[220:221], v[212:213], v[210:211], 1.0
	v_mul_f64 v[222:223], v[208:209], -v[220:221]
.LBB108_304:
	s_or_b32 exec_lo, exec_lo, s2
.LBB108_305:
	s_delay_alu instid0(SALU_CYCLE_1) | instskip(NEXT) | instid1(SALU_CYCLE_1)
	s_or_b32 exec_lo, exec_lo, s3
	s_mov_b32 s2, exec_lo
	v_cmpx_ne_u32_e64 v236, v228
	s_xor_b32 s2, exec_lo, s2
	s_cbranch_execz .LBB108_311
; %bb.306:
	s_mov_b32 s3, exec_lo
	v_cmpx_eq_u32_e32 14, v236
	s_cbranch_execz .LBB108_310
; %bb.307:
	v_cmp_ne_u32_e32 vcc_lo, 14, v228
	s_xor_b32 s6, s4, -1
	s_delay_alu instid0(SALU_CYCLE_1) | instskip(NEXT) | instid1(SALU_CYCLE_1)
	s_and_b32 s7, s6, vcc_lo
	s_and_saveexec_b32 s6, s7
	s_cbranch_execz .LBB108_309
; %bb.308:
	v_ashrrev_i32_e32 v229, 31, v228
	s_delay_alu instid0(VALU_DEP_1) | instskip(NEXT) | instid1(VALU_DEP_1)
	v_lshlrev_b64 v[208:209], 2, v[228:229]
	v_add_co_u32 v208, vcc_lo, v231, v208
	s_delay_alu instid0(VALU_DEP_2)
	v_add_co_ci_u32_e32 v209, vcc_lo, v232, v209, vcc_lo
	s_clause 0x1
	flat_load_b32 v210, v[208:209]
	flat_load_b32 v211, v[231:232] offset:56
	s_waitcnt vmcnt(1) lgkmcnt(1)
	flat_store_b32 v[231:232], v210 offset:56
	s_waitcnt vmcnt(0) lgkmcnt(1)
	flat_store_b32 v[208:209], v211
.LBB108_309:
	s_or_b32 exec_lo, exec_lo, s6
	v_mov_b32_e32 v236, v228
	v_mov_b32_e32 v227, v228
.LBB108_310:
	s_or_b32 exec_lo, exec_lo, s3
.LBB108_311:
	s_and_not1_saveexec_b32 s2, s2
	s_cbranch_execz .LBB108_313
; %bb.312:
	v_mov_b32_e32 v236, 14
	ds_store_2addr_b64 v230, v[156:157], v[158:159] offset0:30 offset1:31
	ds_store_2addr_b64 v230, v[152:153], v[154:155] offset0:32 offset1:33
	;; [unrolled: 1-line block ×40, first 2 shown]
.LBB108_313:
	s_or_b32 exec_lo, exec_lo, s2
	s_delay_alu instid0(SALU_CYCLE_1)
	s_mov_b32 s2, exec_lo
	s_waitcnt lgkmcnt(0)
	s_waitcnt_vscnt null, 0x0
	s_barrier
	buffer_gl0_inv
	v_cmpx_lt_i32_e32 14, v236
	s_cbranch_execz .LBB108_315
; %bb.314:
	v_mul_f64 v[208:209], v[222:223], v[162:163]
	v_mul_f64 v[162:163], v[220:221], v[162:163]
	s_delay_alu instid0(VALU_DEP_2) | instskip(NEXT) | instid1(VALU_DEP_2)
	v_fma_f64 v[228:229], v[220:221], v[160:161], -v[208:209]
	v_fma_f64 v[162:163], v[222:223], v[160:161], v[162:163]
	ds_load_2addr_b64 v[220:223], v230 offset0:30 offset1:31
	s_waitcnt lgkmcnt(0)
	v_mul_f64 v[160:161], v[222:223], v[162:163]
	v_mul_f64 v[208:209], v[220:221], v[162:163]
	s_delay_alu instid0(VALU_DEP_2) | instskip(NEXT) | instid1(VALU_DEP_2)
	v_fma_f64 v[160:161], v[220:221], v[228:229], -v[160:161]
	v_fma_f64 v[208:209], v[222:223], v[228:229], v[208:209]
	ds_load_2addr_b64 v[220:223], v230 offset0:32 offset1:33
	v_add_f64 v[156:157], v[156:157], -v[160:161]
	v_add_f64 v[158:159], v[158:159], -v[208:209]
	s_waitcnt lgkmcnt(0)
	v_mul_f64 v[160:161], v[222:223], v[162:163]
	v_mul_f64 v[208:209], v[220:221], v[162:163]
	s_delay_alu instid0(VALU_DEP_2) | instskip(NEXT) | instid1(VALU_DEP_2)
	v_fma_f64 v[160:161], v[220:221], v[228:229], -v[160:161]
	v_fma_f64 v[208:209], v[222:223], v[228:229], v[208:209]
	ds_load_2addr_b64 v[220:223], v230 offset0:34 offset1:35
	v_add_f64 v[152:153], v[152:153], -v[160:161]
	v_add_f64 v[154:155], v[154:155], -v[208:209]
	;; [unrolled: 9-line block ×39, first 2 shown]
	s_waitcnt lgkmcnt(0)
	v_mul_f64 v[160:161], v[222:223], v[162:163]
	v_mul_f64 v[208:209], v[220:221], v[162:163]
	s_delay_alu instid0(VALU_DEP_2) | instskip(NEXT) | instid1(VALU_DEP_2)
	v_fma_f64 v[160:161], v[220:221], v[228:229], -v[160:161]
	v_fma_f64 v[208:209], v[222:223], v[228:229], v[208:209]
	s_delay_alu instid0(VALU_DEP_2) | instskip(NEXT) | instid1(VALU_DEP_2)
	v_add_f64 v[0:1], v[0:1], -v[160:161]
	v_add_f64 v[2:3], v[2:3], -v[208:209]
	v_dual_mov_b32 v160, v228 :: v_dual_mov_b32 v161, v229
.LBB108_315:
	s_or_b32 exec_lo, exec_lo, s2
	v_lshl_add_u32 v208, v236, 4, v230
	s_barrier
	buffer_gl0_inv
	v_mov_b32_e32 v228, 15
	ds_store_2addr_b64 v208, v[156:157], v[158:159] offset1:1
	s_waitcnt lgkmcnt(0)
	s_barrier
	buffer_gl0_inv
	ds_load_2addr_b64 v[220:223], v230 offset0:30 offset1:31
	s_cmp_lt_i32 s5, 17
	s_cbranch_scc1 .LBB108_318
; %bb.316:
	v_add3_u32 v229, v234, 0, 0x100
	v_mov_b32_e32 v228, 15
	s_mov_b32 s6, 16
	s_set_inst_prefetch_distance 0x1
	.p2align	6
.LBB108_317:                            ; =>This Inner Loop Header: Depth=1
	ds_load_2addr_b64 v[237:240], v229 offset1:1
	s_waitcnt lgkmcnt(1)
	v_cmp_gt_f64_e32 vcc_lo, 0, v[220:221]
	v_xor_b32_e32 v208, 0x80000000, v221
	v_cmp_gt_f64_e64 s2, 0, v[222:223]
	v_xor_b32_e32 v210, 0x80000000, v223
	v_add_nc_u32_e32 v229, 16, v229
	s_waitcnt lgkmcnt(0)
	v_cmp_gt_f64_e64 s3, 0, v[237:238]
	v_mov_b32_e32 v212, v237
	v_dual_mov_b32 v214, v239 :: v_dual_cndmask_b32 v209, v221, v208
	v_xor_b32_e32 v208, 0x80000000, v238
	v_cndmask_b32_e64 v211, v223, v210, s2
	v_xor_b32_e32 v210, 0x80000000, v240
	s_delay_alu instid0(VALU_DEP_3) | instskip(SKIP_2) | instid1(VALU_DEP_2)
	v_cndmask_b32_e64 v213, v238, v208, s3
	v_cmp_gt_f64_e64 s3, 0, v[239:240]
	v_cndmask_b32_e32 v208, v220, v220, vcc_lo
	v_cndmask_b32_e64 v215, v240, v210, s3
	v_cndmask_b32_e64 v210, v222, v222, s2
	s_delay_alu instid0(VALU_DEP_2) | instskip(NEXT) | instid1(VALU_DEP_2)
	v_add_f64 v[212:213], v[212:213], v[214:215]
	v_add_f64 v[208:209], v[208:209], v[210:211]
	s_delay_alu instid0(VALU_DEP_1) | instskip(SKIP_4) | instid1(SALU_CYCLE_1)
	v_cmp_lt_f64_e32 vcc_lo, v[208:209], v[212:213]
	v_dual_cndmask_b32 v221, v221, v238 :: v_dual_cndmask_b32 v220, v220, v237
	v_dual_cndmask_b32 v223, v223, v240 :: v_dual_cndmask_b32 v222, v222, v239
	v_cndmask_b32_e64 v228, v228, s6, vcc_lo
	s_add_i32 s6, s6, 1
	s_cmp_lg_u32 s5, s6
	s_cbranch_scc1 .LBB108_317
.LBB108_318:
	s_set_inst_prefetch_distance 0x2
	s_waitcnt lgkmcnt(0)
	v_cmp_eq_f64_e32 vcc_lo, 0, v[220:221]
	v_cmp_eq_f64_e64 s2, 0, v[222:223]
	s_delay_alu instid0(VALU_DEP_1) | instskip(NEXT) | instid1(SALU_CYCLE_1)
	s_and_b32 s2, vcc_lo, s2
	s_and_saveexec_b32 s3, s2
	s_delay_alu instid0(SALU_CYCLE_1)
	s_xor_b32 s2, exec_lo, s3
; %bb.319:
	v_cmp_ne_u32_e32 vcc_lo, 0, v233
	v_cndmask_b32_e32 v233, 16, v233, vcc_lo
; %bb.320:
	s_and_not1_saveexec_b32 s3, s2
	s_cbranch_execz .LBB108_326
; %bb.321:
	v_cmp_gt_f64_e32 vcc_lo, 0, v[220:221]
	v_cmp_gt_f64_e64 s2, 0, v[222:223]
	v_xor_b32_e32 v208, 0x80000000, v221
	v_xor_b32_e32 v210, 0x80000000, v223
	s_delay_alu instid0(VALU_DEP_2) | instskip(NEXT) | instid1(VALU_DEP_2)
	v_cndmask_b32_e32 v209, v221, v208, vcc_lo
	v_cndmask_b32_e64 v211, v223, v210, s2
	v_cndmask_b32_e32 v208, v220, v220, vcc_lo
	v_cndmask_b32_e64 v210, v222, v222, s2
	s_mov_b32 s2, exec_lo
	s_delay_alu instid0(VALU_DEP_1)
	v_cmpx_ngt_f64_e32 v[208:209], v[210:211]
	s_xor_b32 s2, exec_lo, s2
	s_cbranch_execz .LBB108_323
; %bb.322:
	v_div_scale_f64 v[208:209], null, v[222:223], v[222:223], v[220:221]
	v_div_scale_f64 v[214:215], vcc_lo, v[220:221], v[222:223], v[220:221]
	s_delay_alu instid0(VALU_DEP_2) | instskip(SKIP_2) | instid1(VALU_DEP_1)
	v_rcp_f64_e32 v[210:211], v[208:209]
	s_waitcnt_depctr 0xfff
	v_fma_f64 v[212:213], -v[208:209], v[210:211], 1.0
	v_fma_f64 v[210:211], v[210:211], v[212:213], v[210:211]
	s_delay_alu instid0(VALU_DEP_1) | instskip(NEXT) | instid1(VALU_DEP_1)
	v_fma_f64 v[212:213], -v[208:209], v[210:211], 1.0
	v_fma_f64 v[210:211], v[210:211], v[212:213], v[210:211]
	s_delay_alu instid0(VALU_DEP_1) | instskip(NEXT) | instid1(VALU_DEP_1)
	v_mul_f64 v[212:213], v[214:215], v[210:211]
	v_fma_f64 v[208:209], -v[208:209], v[212:213], v[214:215]
	s_delay_alu instid0(VALU_DEP_1) | instskip(NEXT) | instid1(VALU_DEP_1)
	v_div_fmas_f64 v[208:209], v[208:209], v[210:211], v[212:213]
	v_div_fixup_f64 v[208:209], v[208:209], v[222:223], v[220:221]
	s_delay_alu instid0(VALU_DEP_1) | instskip(NEXT) | instid1(VALU_DEP_1)
	v_fma_f64 v[210:211], v[220:221], v[208:209], v[222:223]
	v_div_scale_f64 v[212:213], null, v[210:211], v[210:211], 1.0
	s_delay_alu instid0(VALU_DEP_1) | instskip(SKIP_2) | instid1(VALU_DEP_1)
	v_rcp_f64_e32 v[214:215], v[212:213]
	s_waitcnt_depctr 0xfff
	v_fma_f64 v[220:221], -v[212:213], v[214:215], 1.0
	v_fma_f64 v[214:215], v[214:215], v[220:221], v[214:215]
	s_delay_alu instid0(VALU_DEP_1) | instskip(NEXT) | instid1(VALU_DEP_1)
	v_fma_f64 v[220:221], -v[212:213], v[214:215], 1.0
	v_fma_f64 v[214:215], v[214:215], v[220:221], v[214:215]
	v_div_scale_f64 v[220:221], vcc_lo, 1.0, v[210:211], 1.0
	s_delay_alu instid0(VALU_DEP_1) | instskip(NEXT) | instid1(VALU_DEP_1)
	v_mul_f64 v[222:223], v[220:221], v[214:215]
	v_fma_f64 v[212:213], -v[212:213], v[222:223], v[220:221]
	s_delay_alu instid0(VALU_DEP_1) | instskip(NEXT) | instid1(VALU_DEP_1)
	v_div_fmas_f64 v[212:213], v[212:213], v[214:215], v[222:223]
	v_div_fixup_f64 v[222:223], v[212:213], v[210:211], 1.0
	s_delay_alu instid0(VALU_DEP_1)
	v_mul_f64 v[220:221], v[208:209], v[222:223]
	v_xor_b32_e32 v223, 0x80000000, v223
.LBB108_323:
	s_and_not1_saveexec_b32 s2, s2
	s_cbranch_execz .LBB108_325
; %bb.324:
	s_delay_alu instid0(VALU_DEP_1) | instskip(SKIP_1) | instid1(VALU_DEP_2)
	v_div_scale_f64 v[208:209], null, v[220:221], v[220:221], v[222:223]
	v_div_scale_f64 v[214:215], vcc_lo, v[222:223], v[220:221], v[222:223]
	v_rcp_f64_e32 v[210:211], v[208:209]
	s_waitcnt_depctr 0xfff
	v_fma_f64 v[212:213], -v[208:209], v[210:211], 1.0
	s_delay_alu instid0(VALU_DEP_1) | instskip(NEXT) | instid1(VALU_DEP_1)
	v_fma_f64 v[210:211], v[210:211], v[212:213], v[210:211]
	v_fma_f64 v[212:213], -v[208:209], v[210:211], 1.0
	s_delay_alu instid0(VALU_DEP_1) | instskip(NEXT) | instid1(VALU_DEP_1)
	v_fma_f64 v[210:211], v[210:211], v[212:213], v[210:211]
	v_mul_f64 v[212:213], v[214:215], v[210:211]
	s_delay_alu instid0(VALU_DEP_1) | instskip(NEXT) | instid1(VALU_DEP_1)
	v_fma_f64 v[208:209], -v[208:209], v[212:213], v[214:215]
	v_div_fmas_f64 v[208:209], v[208:209], v[210:211], v[212:213]
	s_delay_alu instid0(VALU_DEP_1) | instskip(NEXT) | instid1(VALU_DEP_1)
	v_div_fixup_f64 v[208:209], v[208:209], v[220:221], v[222:223]
	v_fma_f64 v[210:211], v[222:223], v[208:209], v[220:221]
	s_delay_alu instid0(VALU_DEP_1) | instskip(NEXT) | instid1(VALU_DEP_1)
	v_div_scale_f64 v[212:213], null, v[210:211], v[210:211], 1.0
	v_rcp_f64_e32 v[214:215], v[212:213]
	s_waitcnt_depctr 0xfff
	v_fma_f64 v[220:221], -v[212:213], v[214:215], 1.0
	s_delay_alu instid0(VALU_DEP_1) | instskip(NEXT) | instid1(VALU_DEP_1)
	v_fma_f64 v[214:215], v[214:215], v[220:221], v[214:215]
	v_fma_f64 v[220:221], -v[212:213], v[214:215], 1.0
	s_delay_alu instid0(VALU_DEP_1) | instskip(SKIP_1) | instid1(VALU_DEP_1)
	v_fma_f64 v[214:215], v[214:215], v[220:221], v[214:215]
	v_div_scale_f64 v[220:221], vcc_lo, 1.0, v[210:211], 1.0
	v_mul_f64 v[222:223], v[220:221], v[214:215]
	s_delay_alu instid0(VALU_DEP_1) | instskip(NEXT) | instid1(VALU_DEP_1)
	v_fma_f64 v[212:213], -v[212:213], v[222:223], v[220:221]
	v_div_fmas_f64 v[212:213], v[212:213], v[214:215], v[222:223]
	s_delay_alu instid0(VALU_DEP_1) | instskip(NEXT) | instid1(VALU_DEP_1)
	v_div_fixup_f64 v[220:221], v[212:213], v[210:211], 1.0
	v_mul_f64 v[222:223], v[208:209], -v[220:221]
.LBB108_325:
	s_or_b32 exec_lo, exec_lo, s2
.LBB108_326:
	s_delay_alu instid0(SALU_CYCLE_1) | instskip(NEXT) | instid1(SALU_CYCLE_1)
	s_or_b32 exec_lo, exec_lo, s3
	s_mov_b32 s2, exec_lo
	v_cmpx_ne_u32_e64 v236, v228
	s_xor_b32 s2, exec_lo, s2
	s_cbranch_execz .LBB108_332
; %bb.327:
	s_mov_b32 s3, exec_lo
	v_cmpx_eq_u32_e32 15, v236
	s_cbranch_execz .LBB108_331
; %bb.328:
	v_cmp_ne_u32_e32 vcc_lo, 15, v228
	s_xor_b32 s6, s4, -1
	s_delay_alu instid0(SALU_CYCLE_1) | instskip(NEXT) | instid1(SALU_CYCLE_1)
	s_and_b32 s7, s6, vcc_lo
	s_and_saveexec_b32 s6, s7
	s_cbranch_execz .LBB108_330
; %bb.329:
	v_ashrrev_i32_e32 v229, 31, v228
	s_delay_alu instid0(VALU_DEP_1) | instskip(NEXT) | instid1(VALU_DEP_1)
	v_lshlrev_b64 v[208:209], 2, v[228:229]
	v_add_co_u32 v208, vcc_lo, v231, v208
	s_delay_alu instid0(VALU_DEP_2)
	v_add_co_ci_u32_e32 v209, vcc_lo, v232, v209, vcc_lo
	s_clause 0x1
	flat_load_b32 v210, v[208:209]
	flat_load_b32 v211, v[231:232] offset:60
	s_waitcnt vmcnt(1) lgkmcnt(1)
	flat_store_b32 v[231:232], v210 offset:60
	s_waitcnt vmcnt(0) lgkmcnt(1)
	flat_store_b32 v[208:209], v211
.LBB108_330:
	s_or_b32 exec_lo, exec_lo, s6
	v_mov_b32_e32 v236, v228
	v_mov_b32_e32 v227, v228
.LBB108_331:
	s_or_b32 exec_lo, exec_lo, s3
.LBB108_332:
	s_and_not1_saveexec_b32 s2, s2
	s_cbranch_execz .LBB108_334
; %bb.333:
	v_mov_b32_e32 v236, 15
	ds_store_2addr_b64 v230, v[152:153], v[154:155] offset0:32 offset1:33
	ds_store_2addr_b64 v230, v[148:149], v[150:151] offset0:34 offset1:35
	;; [unrolled: 1-line block ×39, first 2 shown]
.LBB108_334:
	s_or_b32 exec_lo, exec_lo, s2
	s_delay_alu instid0(SALU_CYCLE_1)
	s_mov_b32 s2, exec_lo
	s_waitcnt lgkmcnt(0)
	s_waitcnt_vscnt null, 0x0
	s_barrier
	buffer_gl0_inv
	v_cmpx_lt_i32_e32 15, v236
	s_cbranch_execz .LBB108_336
; %bb.335:
	v_mul_f64 v[208:209], v[222:223], v[158:159]
	v_mul_f64 v[158:159], v[220:221], v[158:159]
	s_delay_alu instid0(VALU_DEP_2) | instskip(NEXT) | instid1(VALU_DEP_2)
	v_fma_f64 v[228:229], v[220:221], v[156:157], -v[208:209]
	v_fma_f64 v[158:159], v[222:223], v[156:157], v[158:159]
	ds_load_2addr_b64 v[220:223], v230 offset0:32 offset1:33
	s_waitcnt lgkmcnt(0)
	v_mul_f64 v[156:157], v[222:223], v[158:159]
	v_mul_f64 v[208:209], v[220:221], v[158:159]
	s_delay_alu instid0(VALU_DEP_2) | instskip(NEXT) | instid1(VALU_DEP_2)
	v_fma_f64 v[156:157], v[220:221], v[228:229], -v[156:157]
	v_fma_f64 v[208:209], v[222:223], v[228:229], v[208:209]
	ds_load_2addr_b64 v[220:223], v230 offset0:34 offset1:35
	v_add_f64 v[152:153], v[152:153], -v[156:157]
	v_add_f64 v[154:155], v[154:155], -v[208:209]
	s_waitcnt lgkmcnt(0)
	v_mul_f64 v[156:157], v[222:223], v[158:159]
	v_mul_f64 v[208:209], v[220:221], v[158:159]
	s_delay_alu instid0(VALU_DEP_2) | instskip(NEXT) | instid1(VALU_DEP_2)
	v_fma_f64 v[156:157], v[220:221], v[228:229], -v[156:157]
	v_fma_f64 v[208:209], v[222:223], v[228:229], v[208:209]
	ds_load_2addr_b64 v[220:223], v230 offset0:36 offset1:37
	v_add_f64 v[148:149], v[148:149], -v[156:157]
	v_add_f64 v[150:151], v[150:151], -v[208:209]
	;; [unrolled: 9-line block ×38, first 2 shown]
	s_waitcnt lgkmcnt(0)
	v_mul_f64 v[156:157], v[222:223], v[158:159]
	v_mul_f64 v[208:209], v[220:221], v[158:159]
	s_delay_alu instid0(VALU_DEP_2) | instskip(NEXT) | instid1(VALU_DEP_2)
	v_fma_f64 v[156:157], v[220:221], v[228:229], -v[156:157]
	v_fma_f64 v[208:209], v[222:223], v[228:229], v[208:209]
	s_delay_alu instid0(VALU_DEP_2) | instskip(NEXT) | instid1(VALU_DEP_2)
	v_add_f64 v[0:1], v[0:1], -v[156:157]
	v_add_f64 v[2:3], v[2:3], -v[208:209]
	v_dual_mov_b32 v156, v228 :: v_dual_mov_b32 v157, v229
.LBB108_336:
	s_or_b32 exec_lo, exec_lo, s2
	v_lshl_add_u32 v208, v236, 4, v230
	s_barrier
	buffer_gl0_inv
	v_mov_b32_e32 v228, 16
	ds_store_2addr_b64 v208, v[152:153], v[154:155] offset1:1
	s_waitcnt lgkmcnt(0)
	s_barrier
	buffer_gl0_inv
	ds_load_2addr_b64 v[220:223], v230 offset0:32 offset1:33
	s_cmp_lt_i32 s5, 18
	s_cbranch_scc1 .LBB108_339
; %bb.337:
	v_add3_u32 v229, v234, 0, 0x110
	v_mov_b32_e32 v228, 16
	s_mov_b32 s6, 17
	s_set_inst_prefetch_distance 0x1
	.p2align	6
.LBB108_338:                            ; =>This Inner Loop Header: Depth=1
	ds_load_2addr_b64 v[237:240], v229 offset1:1
	s_waitcnt lgkmcnt(1)
	v_cmp_gt_f64_e32 vcc_lo, 0, v[220:221]
	v_xor_b32_e32 v208, 0x80000000, v221
	v_cmp_gt_f64_e64 s2, 0, v[222:223]
	v_xor_b32_e32 v210, 0x80000000, v223
	v_add_nc_u32_e32 v229, 16, v229
	s_waitcnt lgkmcnt(0)
	v_cmp_gt_f64_e64 s3, 0, v[237:238]
	v_mov_b32_e32 v212, v237
	v_dual_mov_b32 v214, v239 :: v_dual_cndmask_b32 v209, v221, v208
	v_xor_b32_e32 v208, 0x80000000, v238
	v_cndmask_b32_e64 v211, v223, v210, s2
	v_xor_b32_e32 v210, 0x80000000, v240
	s_delay_alu instid0(VALU_DEP_3) | instskip(SKIP_2) | instid1(VALU_DEP_2)
	v_cndmask_b32_e64 v213, v238, v208, s3
	v_cmp_gt_f64_e64 s3, 0, v[239:240]
	v_cndmask_b32_e32 v208, v220, v220, vcc_lo
	v_cndmask_b32_e64 v215, v240, v210, s3
	v_cndmask_b32_e64 v210, v222, v222, s2
	s_delay_alu instid0(VALU_DEP_2) | instskip(NEXT) | instid1(VALU_DEP_2)
	v_add_f64 v[212:213], v[212:213], v[214:215]
	v_add_f64 v[208:209], v[208:209], v[210:211]
	s_delay_alu instid0(VALU_DEP_1) | instskip(SKIP_4) | instid1(SALU_CYCLE_1)
	v_cmp_lt_f64_e32 vcc_lo, v[208:209], v[212:213]
	v_dual_cndmask_b32 v221, v221, v238 :: v_dual_cndmask_b32 v220, v220, v237
	v_dual_cndmask_b32 v223, v223, v240 :: v_dual_cndmask_b32 v222, v222, v239
	v_cndmask_b32_e64 v228, v228, s6, vcc_lo
	s_add_i32 s6, s6, 1
	s_cmp_lg_u32 s5, s6
	s_cbranch_scc1 .LBB108_338
.LBB108_339:
	s_set_inst_prefetch_distance 0x2
	s_waitcnt lgkmcnt(0)
	v_cmp_eq_f64_e32 vcc_lo, 0, v[220:221]
	v_cmp_eq_f64_e64 s2, 0, v[222:223]
	s_delay_alu instid0(VALU_DEP_1) | instskip(NEXT) | instid1(SALU_CYCLE_1)
	s_and_b32 s2, vcc_lo, s2
	s_and_saveexec_b32 s3, s2
	s_delay_alu instid0(SALU_CYCLE_1)
	s_xor_b32 s2, exec_lo, s3
; %bb.340:
	v_cmp_ne_u32_e32 vcc_lo, 0, v233
	v_cndmask_b32_e32 v233, 17, v233, vcc_lo
; %bb.341:
	s_and_not1_saveexec_b32 s3, s2
	s_cbranch_execz .LBB108_347
; %bb.342:
	v_cmp_gt_f64_e32 vcc_lo, 0, v[220:221]
	v_cmp_gt_f64_e64 s2, 0, v[222:223]
	v_xor_b32_e32 v208, 0x80000000, v221
	v_xor_b32_e32 v210, 0x80000000, v223
	s_delay_alu instid0(VALU_DEP_2) | instskip(NEXT) | instid1(VALU_DEP_2)
	v_cndmask_b32_e32 v209, v221, v208, vcc_lo
	v_cndmask_b32_e64 v211, v223, v210, s2
	v_cndmask_b32_e32 v208, v220, v220, vcc_lo
	v_cndmask_b32_e64 v210, v222, v222, s2
	s_mov_b32 s2, exec_lo
	s_delay_alu instid0(VALU_DEP_1)
	v_cmpx_ngt_f64_e32 v[208:209], v[210:211]
	s_xor_b32 s2, exec_lo, s2
	s_cbranch_execz .LBB108_344
; %bb.343:
	v_div_scale_f64 v[208:209], null, v[222:223], v[222:223], v[220:221]
	v_div_scale_f64 v[214:215], vcc_lo, v[220:221], v[222:223], v[220:221]
	s_delay_alu instid0(VALU_DEP_2) | instskip(SKIP_2) | instid1(VALU_DEP_1)
	v_rcp_f64_e32 v[210:211], v[208:209]
	s_waitcnt_depctr 0xfff
	v_fma_f64 v[212:213], -v[208:209], v[210:211], 1.0
	v_fma_f64 v[210:211], v[210:211], v[212:213], v[210:211]
	s_delay_alu instid0(VALU_DEP_1) | instskip(NEXT) | instid1(VALU_DEP_1)
	v_fma_f64 v[212:213], -v[208:209], v[210:211], 1.0
	v_fma_f64 v[210:211], v[210:211], v[212:213], v[210:211]
	s_delay_alu instid0(VALU_DEP_1) | instskip(NEXT) | instid1(VALU_DEP_1)
	v_mul_f64 v[212:213], v[214:215], v[210:211]
	v_fma_f64 v[208:209], -v[208:209], v[212:213], v[214:215]
	s_delay_alu instid0(VALU_DEP_1) | instskip(NEXT) | instid1(VALU_DEP_1)
	v_div_fmas_f64 v[208:209], v[208:209], v[210:211], v[212:213]
	v_div_fixup_f64 v[208:209], v[208:209], v[222:223], v[220:221]
	s_delay_alu instid0(VALU_DEP_1) | instskip(NEXT) | instid1(VALU_DEP_1)
	v_fma_f64 v[210:211], v[220:221], v[208:209], v[222:223]
	v_div_scale_f64 v[212:213], null, v[210:211], v[210:211], 1.0
	s_delay_alu instid0(VALU_DEP_1) | instskip(SKIP_2) | instid1(VALU_DEP_1)
	v_rcp_f64_e32 v[214:215], v[212:213]
	s_waitcnt_depctr 0xfff
	v_fma_f64 v[220:221], -v[212:213], v[214:215], 1.0
	v_fma_f64 v[214:215], v[214:215], v[220:221], v[214:215]
	s_delay_alu instid0(VALU_DEP_1) | instskip(NEXT) | instid1(VALU_DEP_1)
	v_fma_f64 v[220:221], -v[212:213], v[214:215], 1.0
	v_fma_f64 v[214:215], v[214:215], v[220:221], v[214:215]
	v_div_scale_f64 v[220:221], vcc_lo, 1.0, v[210:211], 1.0
	s_delay_alu instid0(VALU_DEP_1) | instskip(NEXT) | instid1(VALU_DEP_1)
	v_mul_f64 v[222:223], v[220:221], v[214:215]
	v_fma_f64 v[212:213], -v[212:213], v[222:223], v[220:221]
	s_delay_alu instid0(VALU_DEP_1) | instskip(NEXT) | instid1(VALU_DEP_1)
	v_div_fmas_f64 v[212:213], v[212:213], v[214:215], v[222:223]
	v_div_fixup_f64 v[222:223], v[212:213], v[210:211], 1.0
	s_delay_alu instid0(VALU_DEP_1)
	v_mul_f64 v[220:221], v[208:209], v[222:223]
	v_xor_b32_e32 v223, 0x80000000, v223
.LBB108_344:
	s_and_not1_saveexec_b32 s2, s2
	s_cbranch_execz .LBB108_346
; %bb.345:
	s_delay_alu instid0(VALU_DEP_1) | instskip(SKIP_1) | instid1(VALU_DEP_2)
	v_div_scale_f64 v[208:209], null, v[220:221], v[220:221], v[222:223]
	v_div_scale_f64 v[214:215], vcc_lo, v[222:223], v[220:221], v[222:223]
	v_rcp_f64_e32 v[210:211], v[208:209]
	s_waitcnt_depctr 0xfff
	v_fma_f64 v[212:213], -v[208:209], v[210:211], 1.0
	s_delay_alu instid0(VALU_DEP_1) | instskip(NEXT) | instid1(VALU_DEP_1)
	v_fma_f64 v[210:211], v[210:211], v[212:213], v[210:211]
	v_fma_f64 v[212:213], -v[208:209], v[210:211], 1.0
	s_delay_alu instid0(VALU_DEP_1) | instskip(NEXT) | instid1(VALU_DEP_1)
	v_fma_f64 v[210:211], v[210:211], v[212:213], v[210:211]
	v_mul_f64 v[212:213], v[214:215], v[210:211]
	s_delay_alu instid0(VALU_DEP_1) | instskip(NEXT) | instid1(VALU_DEP_1)
	v_fma_f64 v[208:209], -v[208:209], v[212:213], v[214:215]
	v_div_fmas_f64 v[208:209], v[208:209], v[210:211], v[212:213]
	s_delay_alu instid0(VALU_DEP_1) | instskip(NEXT) | instid1(VALU_DEP_1)
	v_div_fixup_f64 v[208:209], v[208:209], v[220:221], v[222:223]
	v_fma_f64 v[210:211], v[222:223], v[208:209], v[220:221]
	s_delay_alu instid0(VALU_DEP_1) | instskip(NEXT) | instid1(VALU_DEP_1)
	v_div_scale_f64 v[212:213], null, v[210:211], v[210:211], 1.0
	v_rcp_f64_e32 v[214:215], v[212:213]
	s_waitcnt_depctr 0xfff
	v_fma_f64 v[220:221], -v[212:213], v[214:215], 1.0
	s_delay_alu instid0(VALU_DEP_1) | instskip(NEXT) | instid1(VALU_DEP_1)
	v_fma_f64 v[214:215], v[214:215], v[220:221], v[214:215]
	v_fma_f64 v[220:221], -v[212:213], v[214:215], 1.0
	s_delay_alu instid0(VALU_DEP_1) | instskip(SKIP_1) | instid1(VALU_DEP_1)
	v_fma_f64 v[214:215], v[214:215], v[220:221], v[214:215]
	v_div_scale_f64 v[220:221], vcc_lo, 1.0, v[210:211], 1.0
	v_mul_f64 v[222:223], v[220:221], v[214:215]
	s_delay_alu instid0(VALU_DEP_1) | instskip(NEXT) | instid1(VALU_DEP_1)
	v_fma_f64 v[212:213], -v[212:213], v[222:223], v[220:221]
	v_div_fmas_f64 v[212:213], v[212:213], v[214:215], v[222:223]
	s_delay_alu instid0(VALU_DEP_1) | instskip(NEXT) | instid1(VALU_DEP_1)
	v_div_fixup_f64 v[220:221], v[212:213], v[210:211], 1.0
	v_mul_f64 v[222:223], v[208:209], -v[220:221]
.LBB108_346:
	s_or_b32 exec_lo, exec_lo, s2
.LBB108_347:
	s_delay_alu instid0(SALU_CYCLE_1) | instskip(NEXT) | instid1(SALU_CYCLE_1)
	s_or_b32 exec_lo, exec_lo, s3
	s_mov_b32 s2, exec_lo
	v_cmpx_ne_u32_e64 v236, v228
	s_xor_b32 s2, exec_lo, s2
	s_cbranch_execz .LBB108_353
; %bb.348:
	s_mov_b32 s3, exec_lo
	v_cmpx_eq_u32_e32 16, v236
	s_cbranch_execz .LBB108_352
; %bb.349:
	v_cmp_ne_u32_e32 vcc_lo, 16, v228
	s_xor_b32 s6, s4, -1
	s_delay_alu instid0(SALU_CYCLE_1) | instskip(NEXT) | instid1(SALU_CYCLE_1)
	s_and_b32 s7, s6, vcc_lo
	s_and_saveexec_b32 s6, s7
	s_cbranch_execz .LBB108_351
; %bb.350:
	v_ashrrev_i32_e32 v229, 31, v228
	s_delay_alu instid0(VALU_DEP_1) | instskip(NEXT) | instid1(VALU_DEP_1)
	v_lshlrev_b64 v[208:209], 2, v[228:229]
	v_add_co_u32 v208, vcc_lo, v231, v208
	s_delay_alu instid0(VALU_DEP_2)
	v_add_co_ci_u32_e32 v209, vcc_lo, v232, v209, vcc_lo
	s_clause 0x1
	flat_load_b32 v210, v[208:209]
	flat_load_b32 v211, v[231:232] offset:64
	s_waitcnt vmcnt(1) lgkmcnt(1)
	flat_store_b32 v[231:232], v210 offset:64
	s_waitcnt vmcnt(0) lgkmcnt(1)
	flat_store_b32 v[208:209], v211
.LBB108_351:
	s_or_b32 exec_lo, exec_lo, s6
	v_mov_b32_e32 v236, v228
	v_mov_b32_e32 v227, v228
.LBB108_352:
	s_or_b32 exec_lo, exec_lo, s3
.LBB108_353:
	s_and_not1_saveexec_b32 s2, s2
	s_cbranch_execz .LBB108_355
; %bb.354:
	v_mov_b32_e32 v236, 16
	ds_store_2addr_b64 v230, v[148:149], v[150:151] offset0:34 offset1:35
	ds_store_2addr_b64 v230, v[144:145], v[146:147] offset0:36 offset1:37
	;; [unrolled: 1-line block ×38, first 2 shown]
.LBB108_355:
	s_or_b32 exec_lo, exec_lo, s2
	s_delay_alu instid0(SALU_CYCLE_1)
	s_mov_b32 s2, exec_lo
	s_waitcnt lgkmcnt(0)
	s_waitcnt_vscnt null, 0x0
	s_barrier
	buffer_gl0_inv
	v_cmpx_lt_i32_e32 16, v236
	s_cbranch_execz .LBB108_357
; %bb.356:
	v_mul_f64 v[208:209], v[222:223], v[154:155]
	v_mul_f64 v[154:155], v[220:221], v[154:155]
	s_delay_alu instid0(VALU_DEP_2) | instskip(NEXT) | instid1(VALU_DEP_2)
	v_fma_f64 v[228:229], v[220:221], v[152:153], -v[208:209]
	v_fma_f64 v[154:155], v[222:223], v[152:153], v[154:155]
	ds_load_2addr_b64 v[220:223], v230 offset0:34 offset1:35
	s_waitcnt lgkmcnt(0)
	v_mul_f64 v[152:153], v[222:223], v[154:155]
	v_mul_f64 v[208:209], v[220:221], v[154:155]
	s_delay_alu instid0(VALU_DEP_2) | instskip(NEXT) | instid1(VALU_DEP_2)
	v_fma_f64 v[152:153], v[220:221], v[228:229], -v[152:153]
	v_fma_f64 v[208:209], v[222:223], v[228:229], v[208:209]
	ds_load_2addr_b64 v[220:223], v230 offset0:36 offset1:37
	v_add_f64 v[148:149], v[148:149], -v[152:153]
	v_add_f64 v[150:151], v[150:151], -v[208:209]
	s_waitcnt lgkmcnt(0)
	v_mul_f64 v[152:153], v[222:223], v[154:155]
	v_mul_f64 v[208:209], v[220:221], v[154:155]
	s_delay_alu instid0(VALU_DEP_2) | instskip(NEXT) | instid1(VALU_DEP_2)
	v_fma_f64 v[152:153], v[220:221], v[228:229], -v[152:153]
	v_fma_f64 v[208:209], v[222:223], v[228:229], v[208:209]
	ds_load_2addr_b64 v[220:223], v230 offset0:38 offset1:39
	v_add_f64 v[144:145], v[144:145], -v[152:153]
	v_add_f64 v[146:147], v[146:147], -v[208:209]
	;; [unrolled: 9-line block ×37, first 2 shown]
	s_waitcnt lgkmcnt(0)
	v_mul_f64 v[152:153], v[222:223], v[154:155]
	v_mul_f64 v[208:209], v[220:221], v[154:155]
	s_delay_alu instid0(VALU_DEP_2) | instskip(NEXT) | instid1(VALU_DEP_2)
	v_fma_f64 v[152:153], v[220:221], v[228:229], -v[152:153]
	v_fma_f64 v[208:209], v[222:223], v[228:229], v[208:209]
	s_delay_alu instid0(VALU_DEP_2) | instskip(NEXT) | instid1(VALU_DEP_2)
	v_add_f64 v[0:1], v[0:1], -v[152:153]
	v_add_f64 v[2:3], v[2:3], -v[208:209]
	v_dual_mov_b32 v152, v228 :: v_dual_mov_b32 v153, v229
.LBB108_357:
	s_or_b32 exec_lo, exec_lo, s2
	v_lshl_add_u32 v208, v236, 4, v230
	s_barrier
	buffer_gl0_inv
	v_mov_b32_e32 v228, 17
	ds_store_2addr_b64 v208, v[148:149], v[150:151] offset1:1
	s_waitcnt lgkmcnt(0)
	s_barrier
	buffer_gl0_inv
	ds_load_2addr_b64 v[220:223], v230 offset0:34 offset1:35
	s_cmp_lt_i32 s5, 19
	s_cbranch_scc1 .LBB108_360
; %bb.358:
	v_add3_u32 v229, v234, 0, 0x120
	v_mov_b32_e32 v228, 17
	s_mov_b32 s6, 18
	s_set_inst_prefetch_distance 0x1
	.p2align	6
.LBB108_359:                            ; =>This Inner Loop Header: Depth=1
	ds_load_2addr_b64 v[237:240], v229 offset1:1
	s_waitcnt lgkmcnt(1)
	v_cmp_gt_f64_e32 vcc_lo, 0, v[220:221]
	v_xor_b32_e32 v208, 0x80000000, v221
	v_cmp_gt_f64_e64 s2, 0, v[222:223]
	v_xor_b32_e32 v210, 0x80000000, v223
	v_add_nc_u32_e32 v229, 16, v229
	s_waitcnt lgkmcnt(0)
	v_cmp_gt_f64_e64 s3, 0, v[237:238]
	v_mov_b32_e32 v212, v237
	v_dual_mov_b32 v214, v239 :: v_dual_cndmask_b32 v209, v221, v208
	v_xor_b32_e32 v208, 0x80000000, v238
	v_cndmask_b32_e64 v211, v223, v210, s2
	v_xor_b32_e32 v210, 0x80000000, v240
	s_delay_alu instid0(VALU_DEP_3) | instskip(SKIP_2) | instid1(VALU_DEP_2)
	v_cndmask_b32_e64 v213, v238, v208, s3
	v_cmp_gt_f64_e64 s3, 0, v[239:240]
	v_cndmask_b32_e32 v208, v220, v220, vcc_lo
	v_cndmask_b32_e64 v215, v240, v210, s3
	v_cndmask_b32_e64 v210, v222, v222, s2
	s_delay_alu instid0(VALU_DEP_2) | instskip(NEXT) | instid1(VALU_DEP_2)
	v_add_f64 v[212:213], v[212:213], v[214:215]
	v_add_f64 v[208:209], v[208:209], v[210:211]
	s_delay_alu instid0(VALU_DEP_1) | instskip(SKIP_4) | instid1(SALU_CYCLE_1)
	v_cmp_lt_f64_e32 vcc_lo, v[208:209], v[212:213]
	v_dual_cndmask_b32 v221, v221, v238 :: v_dual_cndmask_b32 v220, v220, v237
	v_dual_cndmask_b32 v223, v223, v240 :: v_dual_cndmask_b32 v222, v222, v239
	v_cndmask_b32_e64 v228, v228, s6, vcc_lo
	s_add_i32 s6, s6, 1
	s_cmp_lg_u32 s5, s6
	s_cbranch_scc1 .LBB108_359
.LBB108_360:
	s_set_inst_prefetch_distance 0x2
	s_waitcnt lgkmcnt(0)
	v_cmp_eq_f64_e32 vcc_lo, 0, v[220:221]
	v_cmp_eq_f64_e64 s2, 0, v[222:223]
	s_delay_alu instid0(VALU_DEP_1) | instskip(NEXT) | instid1(SALU_CYCLE_1)
	s_and_b32 s2, vcc_lo, s2
	s_and_saveexec_b32 s3, s2
	s_delay_alu instid0(SALU_CYCLE_1)
	s_xor_b32 s2, exec_lo, s3
; %bb.361:
	v_cmp_ne_u32_e32 vcc_lo, 0, v233
	v_cndmask_b32_e32 v233, 18, v233, vcc_lo
; %bb.362:
	s_and_not1_saveexec_b32 s3, s2
	s_cbranch_execz .LBB108_368
; %bb.363:
	v_cmp_gt_f64_e32 vcc_lo, 0, v[220:221]
	v_cmp_gt_f64_e64 s2, 0, v[222:223]
	v_xor_b32_e32 v208, 0x80000000, v221
	v_xor_b32_e32 v210, 0x80000000, v223
	s_delay_alu instid0(VALU_DEP_2) | instskip(NEXT) | instid1(VALU_DEP_2)
	v_cndmask_b32_e32 v209, v221, v208, vcc_lo
	v_cndmask_b32_e64 v211, v223, v210, s2
	v_cndmask_b32_e32 v208, v220, v220, vcc_lo
	v_cndmask_b32_e64 v210, v222, v222, s2
	s_mov_b32 s2, exec_lo
	s_delay_alu instid0(VALU_DEP_1)
	v_cmpx_ngt_f64_e32 v[208:209], v[210:211]
	s_xor_b32 s2, exec_lo, s2
	s_cbranch_execz .LBB108_365
; %bb.364:
	v_div_scale_f64 v[208:209], null, v[222:223], v[222:223], v[220:221]
	v_div_scale_f64 v[214:215], vcc_lo, v[220:221], v[222:223], v[220:221]
	s_delay_alu instid0(VALU_DEP_2) | instskip(SKIP_2) | instid1(VALU_DEP_1)
	v_rcp_f64_e32 v[210:211], v[208:209]
	s_waitcnt_depctr 0xfff
	v_fma_f64 v[212:213], -v[208:209], v[210:211], 1.0
	v_fma_f64 v[210:211], v[210:211], v[212:213], v[210:211]
	s_delay_alu instid0(VALU_DEP_1) | instskip(NEXT) | instid1(VALU_DEP_1)
	v_fma_f64 v[212:213], -v[208:209], v[210:211], 1.0
	v_fma_f64 v[210:211], v[210:211], v[212:213], v[210:211]
	s_delay_alu instid0(VALU_DEP_1) | instskip(NEXT) | instid1(VALU_DEP_1)
	v_mul_f64 v[212:213], v[214:215], v[210:211]
	v_fma_f64 v[208:209], -v[208:209], v[212:213], v[214:215]
	s_delay_alu instid0(VALU_DEP_1) | instskip(NEXT) | instid1(VALU_DEP_1)
	v_div_fmas_f64 v[208:209], v[208:209], v[210:211], v[212:213]
	v_div_fixup_f64 v[208:209], v[208:209], v[222:223], v[220:221]
	s_delay_alu instid0(VALU_DEP_1) | instskip(NEXT) | instid1(VALU_DEP_1)
	v_fma_f64 v[210:211], v[220:221], v[208:209], v[222:223]
	v_div_scale_f64 v[212:213], null, v[210:211], v[210:211], 1.0
	s_delay_alu instid0(VALU_DEP_1) | instskip(SKIP_2) | instid1(VALU_DEP_1)
	v_rcp_f64_e32 v[214:215], v[212:213]
	s_waitcnt_depctr 0xfff
	v_fma_f64 v[220:221], -v[212:213], v[214:215], 1.0
	v_fma_f64 v[214:215], v[214:215], v[220:221], v[214:215]
	s_delay_alu instid0(VALU_DEP_1) | instskip(NEXT) | instid1(VALU_DEP_1)
	v_fma_f64 v[220:221], -v[212:213], v[214:215], 1.0
	v_fma_f64 v[214:215], v[214:215], v[220:221], v[214:215]
	v_div_scale_f64 v[220:221], vcc_lo, 1.0, v[210:211], 1.0
	s_delay_alu instid0(VALU_DEP_1) | instskip(NEXT) | instid1(VALU_DEP_1)
	v_mul_f64 v[222:223], v[220:221], v[214:215]
	v_fma_f64 v[212:213], -v[212:213], v[222:223], v[220:221]
	s_delay_alu instid0(VALU_DEP_1) | instskip(NEXT) | instid1(VALU_DEP_1)
	v_div_fmas_f64 v[212:213], v[212:213], v[214:215], v[222:223]
	v_div_fixup_f64 v[222:223], v[212:213], v[210:211], 1.0
	s_delay_alu instid0(VALU_DEP_1)
	v_mul_f64 v[220:221], v[208:209], v[222:223]
	v_xor_b32_e32 v223, 0x80000000, v223
.LBB108_365:
	s_and_not1_saveexec_b32 s2, s2
	s_cbranch_execz .LBB108_367
; %bb.366:
	s_delay_alu instid0(VALU_DEP_1) | instskip(SKIP_1) | instid1(VALU_DEP_2)
	v_div_scale_f64 v[208:209], null, v[220:221], v[220:221], v[222:223]
	v_div_scale_f64 v[214:215], vcc_lo, v[222:223], v[220:221], v[222:223]
	v_rcp_f64_e32 v[210:211], v[208:209]
	s_waitcnt_depctr 0xfff
	v_fma_f64 v[212:213], -v[208:209], v[210:211], 1.0
	s_delay_alu instid0(VALU_DEP_1) | instskip(NEXT) | instid1(VALU_DEP_1)
	v_fma_f64 v[210:211], v[210:211], v[212:213], v[210:211]
	v_fma_f64 v[212:213], -v[208:209], v[210:211], 1.0
	s_delay_alu instid0(VALU_DEP_1) | instskip(NEXT) | instid1(VALU_DEP_1)
	v_fma_f64 v[210:211], v[210:211], v[212:213], v[210:211]
	v_mul_f64 v[212:213], v[214:215], v[210:211]
	s_delay_alu instid0(VALU_DEP_1) | instskip(NEXT) | instid1(VALU_DEP_1)
	v_fma_f64 v[208:209], -v[208:209], v[212:213], v[214:215]
	v_div_fmas_f64 v[208:209], v[208:209], v[210:211], v[212:213]
	s_delay_alu instid0(VALU_DEP_1) | instskip(NEXT) | instid1(VALU_DEP_1)
	v_div_fixup_f64 v[208:209], v[208:209], v[220:221], v[222:223]
	v_fma_f64 v[210:211], v[222:223], v[208:209], v[220:221]
	s_delay_alu instid0(VALU_DEP_1) | instskip(NEXT) | instid1(VALU_DEP_1)
	v_div_scale_f64 v[212:213], null, v[210:211], v[210:211], 1.0
	v_rcp_f64_e32 v[214:215], v[212:213]
	s_waitcnt_depctr 0xfff
	v_fma_f64 v[220:221], -v[212:213], v[214:215], 1.0
	s_delay_alu instid0(VALU_DEP_1) | instskip(NEXT) | instid1(VALU_DEP_1)
	v_fma_f64 v[214:215], v[214:215], v[220:221], v[214:215]
	v_fma_f64 v[220:221], -v[212:213], v[214:215], 1.0
	s_delay_alu instid0(VALU_DEP_1) | instskip(SKIP_1) | instid1(VALU_DEP_1)
	v_fma_f64 v[214:215], v[214:215], v[220:221], v[214:215]
	v_div_scale_f64 v[220:221], vcc_lo, 1.0, v[210:211], 1.0
	v_mul_f64 v[222:223], v[220:221], v[214:215]
	s_delay_alu instid0(VALU_DEP_1) | instskip(NEXT) | instid1(VALU_DEP_1)
	v_fma_f64 v[212:213], -v[212:213], v[222:223], v[220:221]
	v_div_fmas_f64 v[212:213], v[212:213], v[214:215], v[222:223]
	s_delay_alu instid0(VALU_DEP_1) | instskip(NEXT) | instid1(VALU_DEP_1)
	v_div_fixup_f64 v[220:221], v[212:213], v[210:211], 1.0
	v_mul_f64 v[222:223], v[208:209], -v[220:221]
.LBB108_367:
	s_or_b32 exec_lo, exec_lo, s2
.LBB108_368:
	s_delay_alu instid0(SALU_CYCLE_1) | instskip(NEXT) | instid1(SALU_CYCLE_1)
	s_or_b32 exec_lo, exec_lo, s3
	s_mov_b32 s2, exec_lo
	v_cmpx_ne_u32_e64 v236, v228
	s_xor_b32 s2, exec_lo, s2
	s_cbranch_execz .LBB108_374
; %bb.369:
	s_mov_b32 s3, exec_lo
	v_cmpx_eq_u32_e32 17, v236
	s_cbranch_execz .LBB108_373
; %bb.370:
	v_cmp_ne_u32_e32 vcc_lo, 17, v228
	s_xor_b32 s6, s4, -1
	s_delay_alu instid0(SALU_CYCLE_1) | instskip(NEXT) | instid1(SALU_CYCLE_1)
	s_and_b32 s7, s6, vcc_lo
	s_and_saveexec_b32 s6, s7
	s_cbranch_execz .LBB108_372
; %bb.371:
	v_ashrrev_i32_e32 v229, 31, v228
	s_delay_alu instid0(VALU_DEP_1) | instskip(NEXT) | instid1(VALU_DEP_1)
	v_lshlrev_b64 v[208:209], 2, v[228:229]
	v_add_co_u32 v208, vcc_lo, v231, v208
	s_delay_alu instid0(VALU_DEP_2)
	v_add_co_ci_u32_e32 v209, vcc_lo, v232, v209, vcc_lo
	s_clause 0x1
	flat_load_b32 v210, v[208:209]
	flat_load_b32 v211, v[231:232] offset:68
	s_waitcnt vmcnt(1) lgkmcnt(1)
	flat_store_b32 v[231:232], v210 offset:68
	s_waitcnt vmcnt(0) lgkmcnt(1)
	flat_store_b32 v[208:209], v211
.LBB108_372:
	s_or_b32 exec_lo, exec_lo, s6
	v_mov_b32_e32 v236, v228
	v_mov_b32_e32 v227, v228
.LBB108_373:
	s_or_b32 exec_lo, exec_lo, s3
.LBB108_374:
	s_and_not1_saveexec_b32 s2, s2
	s_cbranch_execz .LBB108_376
; %bb.375:
	v_mov_b32_e32 v236, 17
	ds_store_2addr_b64 v230, v[144:145], v[146:147] offset0:36 offset1:37
	ds_store_2addr_b64 v230, v[140:141], v[142:143] offset0:38 offset1:39
	ds_store_2addr_b64 v230, v[136:137], v[138:139] offset0:40 offset1:41
	ds_store_2addr_b64 v230, v[132:133], v[134:135] offset0:42 offset1:43
	ds_store_2addr_b64 v230, v[128:129], v[130:131] offset0:44 offset1:45
	ds_store_2addr_b64 v230, v[124:125], v[126:127] offset0:46 offset1:47
	ds_store_2addr_b64 v230, v[120:121], v[122:123] offset0:48 offset1:49
	ds_store_2addr_b64 v230, v[116:117], v[118:119] offset0:50 offset1:51
	ds_store_2addr_b64 v230, v[112:113], v[114:115] offset0:52 offset1:53
	ds_store_2addr_b64 v230, v[108:109], v[110:111] offset0:54 offset1:55
	ds_store_2addr_b64 v230, v[104:105], v[106:107] offset0:56 offset1:57
	ds_store_2addr_b64 v230, v[100:101], v[102:103] offset0:58 offset1:59
	ds_store_2addr_b64 v230, v[96:97], v[98:99] offset0:60 offset1:61
	ds_store_2addr_b64 v230, v[92:93], v[94:95] offset0:62 offset1:63
	ds_store_2addr_b64 v230, v[88:89], v[90:91] offset0:64 offset1:65
	ds_store_2addr_b64 v230, v[84:85], v[86:87] offset0:66 offset1:67
	ds_store_2addr_b64 v230, v[80:81], v[82:83] offset0:68 offset1:69
	ds_store_2addr_b64 v230, v[76:77], v[78:79] offset0:70 offset1:71
	ds_store_2addr_b64 v230, v[72:73], v[74:75] offset0:72 offset1:73
	ds_store_2addr_b64 v230, v[68:69], v[70:71] offset0:74 offset1:75
	ds_store_2addr_b64 v230, v[64:65], v[66:67] offset0:76 offset1:77
	ds_store_2addr_b64 v230, v[60:61], v[62:63] offset0:78 offset1:79
	ds_store_2addr_b64 v230, v[56:57], v[58:59] offset0:80 offset1:81
	ds_store_2addr_b64 v230, v[52:53], v[54:55] offset0:82 offset1:83
	ds_store_2addr_b64 v230, v[48:49], v[50:51] offset0:84 offset1:85
	ds_store_2addr_b64 v230, v[44:45], v[46:47] offset0:86 offset1:87
	ds_store_2addr_b64 v230, v[40:41], v[42:43] offset0:88 offset1:89
	ds_store_2addr_b64 v230, v[36:37], v[38:39] offset0:90 offset1:91
	ds_store_2addr_b64 v230, v[32:33], v[34:35] offset0:92 offset1:93
	ds_store_2addr_b64 v230, v[28:29], v[30:31] offset0:94 offset1:95
	ds_store_2addr_b64 v230, v[24:25], v[26:27] offset0:96 offset1:97
	ds_store_2addr_b64 v230, v[20:21], v[22:23] offset0:98 offset1:99
	ds_store_2addr_b64 v230, v[16:17], v[18:19] offset0:100 offset1:101
	ds_store_2addr_b64 v230, v[12:13], v[14:15] offset0:102 offset1:103
	ds_store_2addr_b64 v230, v[8:9], v[10:11] offset0:104 offset1:105
	ds_store_2addr_b64 v230, v[4:5], v[6:7] offset0:106 offset1:107
	ds_store_2addr_b64 v230, v[0:1], v[2:3] offset0:108 offset1:109
.LBB108_376:
	s_or_b32 exec_lo, exec_lo, s2
	s_delay_alu instid0(SALU_CYCLE_1)
	s_mov_b32 s2, exec_lo
	s_waitcnt lgkmcnt(0)
	s_waitcnt_vscnt null, 0x0
	s_barrier
	buffer_gl0_inv
	v_cmpx_lt_i32_e32 17, v236
	s_cbranch_execz .LBB108_378
; %bb.377:
	v_mul_f64 v[208:209], v[222:223], v[150:151]
	v_mul_f64 v[150:151], v[220:221], v[150:151]
	s_delay_alu instid0(VALU_DEP_2) | instskip(NEXT) | instid1(VALU_DEP_2)
	v_fma_f64 v[228:229], v[220:221], v[148:149], -v[208:209]
	v_fma_f64 v[150:151], v[222:223], v[148:149], v[150:151]
	ds_load_2addr_b64 v[220:223], v230 offset0:36 offset1:37
	s_waitcnt lgkmcnt(0)
	v_mul_f64 v[148:149], v[222:223], v[150:151]
	v_mul_f64 v[208:209], v[220:221], v[150:151]
	s_delay_alu instid0(VALU_DEP_2) | instskip(NEXT) | instid1(VALU_DEP_2)
	v_fma_f64 v[148:149], v[220:221], v[228:229], -v[148:149]
	v_fma_f64 v[208:209], v[222:223], v[228:229], v[208:209]
	ds_load_2addr_b64 v[220:223], v230 offset0:38 offset1:39
	v_add_f64 v[144:145], v[144:145], -v[148:149]
	v_add_f64 v[146:147], v[146:147], -v[208:209]
	s_waitcnt lgkmcnt(0)
	v_mul_f64 v[148:149], v[222:223], v[150:151]
	v_mul_f64 v[208:209], v[220:221], v[150:151]
	s_delay_alu instid0(VALU_DEP_2) | instskip(NEXT) | instid1(VALU_DEP_2)
	v_fma_f64 v[148:149], v[220:221], v[228:229], -v[148:149]
	v_fma_f64 v[208:209], v[222:223], v[228:229], v[208:209]
	ds_load_2addr_b64 v[220:223], v230 offset0:40 offset1:41
	v_add_f64 v[140:141], v[140:141], -v[148:149]
	v_add_f64 v[142:143], v[142:143], -v[208:209]
	;; [unrolled: 9-line block ×36, first 2 shown]
	s_waitcnt lgkmcnt(0)
	v_mul_f64 v[148:149], v[222:223], v[150:151]
	v_mul_f64 v[208:209], v[220:221], v[150:151]
	s_delay_alu instid0(VALU_DEP_2) | instskip(NEXT) | instid1(VALU_DEP_2)
	v_fma_f64 v[148:149], v[220:221], v[228:229], -v[148:149]
	v_fma_f64 v[208:209], v[222:223], v[228:229], v[208:209]
	s_delay_alu instid0(VALU_DEP_2) | instskip(NEXT) | instid1(VALU_DEP_2)
	v_add_f64 v[0:1], v[0:1], -v[148:149]
	v_add_f64 v[2:3], v[2:3], -v[208:209]
	v_dual_mov_b32 v148, v228 :: v_dual_mov_b32 v149, v229
.LBB108_378:
	s_or_b32 exec_lo, exec_lo, s2
	v_lshl_add_u32 v208, v236, 4, v230
	s_barrier
	buffer_gl0_inv
	v_mov_b32_e32 v228, 18
	ds_store_2addr_b64 v208, v[144:145], v[146:147] offset1:1
	s_waitcnt lgkmcnt(0)
	s_barrier
	buffer_gl0_inv
	ds_load_2addr_b64 v[220:223], v230 offset0:36 offset1:37
	s_cmp_lt_i32 s5, 20
	s_cbranch_scc1 .LBB108_381
; %bb.379:
	v_add3_u32 v229, v234, 0, 0x130
	v_mov_b32_e32 v228, 18
	s_mov_b32 s6, 19
	s_set_inst_prefetch_distance 0x1
	.p2align	6
.LBB108_380:                            ; =>This Inner Loop Header: Depth=1
	ds_load_2addr_b64 v[237:240], v229 offset1:1
	s_waitcnt lgkmcnt(1)
	v_cmp_gt_f64_e32 vcc_lo, 0, v[220:221]
	v_xor_b32_e32 v208, 0x80000000, v221
	v_cmp_gt_f64_e64 s2, 0, v[222:223]
	v_xor_b32_e32 v210, 0x80000000, v223
	v_add_nc_u32_e32 v229, 16, v229
	s_waitcnt lgkmcnt(0)
	v_cmp_gt_f64_e64 s3, 0, v[237:238]
	v_mov_b32_e32 v212, v237
	v_dual_mov_b32 v214, v239 :: v_dual_cndmask_b32 v209, v221, v208
	v_xor_b32_e32 v208, 0x80000000, v238
	v_cndmask_b32_e64 v211, v223, v210, s2
	v_xor_b32_e32 v210, 0x80000000, v240
	s_delay_alu instid0(VALU_DEP_3) | instskip(SKIP_2) | instid1(VALU_DEP_2)
	v_cndmask_b32_e64 v213, v238, v208, s3
	v_cmp_gt_f64_e64 s3, 0, v[239:240]
	v_cndmask_b32_e32 v208, v220, v220, vcc_lo
	v_cndmask_b32_e64 v215, v240, v210, s3
	v_cndmask_b32_e64 v210, v222, v222, s2
	s_delay_alu instid0(VALU_DEP_2) | instskip(NEXT) | instid1(VALU_DEP_2)
	v_add_f64 v[212:213], v[212:213], v[214:215]
	v_add_f64 v[208:209], v[208:209], v[210:211]
	s_delay_alu instid0(VALU_DEP_1) | instskip(SKIP_4) | instid1(SALU_CYCLE_1)
	v_cmp_lt_f64_e32 vcc_lo, v[208:209], v[212:213]
	v_dual_cndmask_b32 v221, v221, v238 :: v_dual_cndmask_b32 v220, v220, v237
	v_dual_cndmask_b32 v223, v223, v240 :: v_dual_cndmask_b32 v222, v222, v239
	v_cndmask_b32_e64 v228, v228, s6, vcc_lo
	s_add_i32 s6, s6, 1
	s_cmp_lg_u32 s5, s6
	s_cbranch_scc1 .LBB108_380
.LBB108_381:
	s_set_inst_prefetch_distance 0x2
	s_waitcnt lgkmcnt(0)
	v_cmp_eq_f64_e32 vcc_lo, 0, v[220:221]
	v_cmp_eq_f64_e64 s2, 0, v[222:223]
	s_delay_alu instid0(VALU_DEP_1) | instskip(NEXT) | instid1(SALU_CYCLE_1)
	s_and_b32 s2, vcc_lo, s2
	s_and_saveexec_b32 s3, s2
	s_delay_alu instid0(SALU_CYCLE_1)
	s_xor_b32 s2, exec_lo, s3
; %bb.382:
	v_cmp_ne_u32_e32 vcc_lo, 0, v233
	v_cndmask_b32_e32 v233, 19, v233, vcc_lo
; %bb.383:
	s_and_not1_saveexec_b32 s3, s2
	s_cbranch_execz .LBB108_389
; %bb.384:
	v_cmp_gt_f64_e32 vcc_lo, 0, v[220:221]
	v_cmp_gt_f64_e64 s2, 0, v[222:223]
	v_xor_b32_e32 v208, 0x80000000, v221
	v_xor_b32_e32 v210, 0x80000000, v223
	s_delay_alu instid0(VALU_DEP_2) | instskip(NEXT) | instid1(VALU_DEP_2)
	v_cndmask_b32_e32 v209, v221, v208, vcc_lo
	v_cndmask_b32_e64 v211, v223, v210, s2
	v_cndmask_b32_e32 v208, v220, v220, vcc_lo
	v_cndmask_b32_e64 v210, v222, v222, s2
	s_mov_b32 s2, exec_lo
	s_delay_alu instid0(VALU_DEP_1)
	v_cmpx_ngt_f64_e32 v[208:209], v[210:211]
	s_xor_b32 s2, exec_lo, s2
	s_cbranch_execz .LBB108_386
; %bb.385:
	v_div_scale_f64 v[208:209], null, v[222:223], v[222:223], v[220:221]
	v_div_scale_f64 v[214:215], vcc_lo, v[220:221], v[222:223], v[220:221]
	s_delay_alu instid0(VALU_DEP_2) | instskip(SKIP_2) | instid1(VALU_DEP_1)
	v_rcp_f64_e32 v[210:211], v[208:209]
	s_waitcnt_depctr 0xfff
	v_fma_f64 v[212:213], -v[208:209], v[210:211], 1.0
	v_fma_f64 v[210:211], v[210:211], v[212:213], v[210:211]
	s_delay_alu instid0(VALU_DEP_1) | instskip(NEXT) | instid1(VALU_DEP_1)
	v_fma_f64 v[212:213], -v[208:209], v[210:211], 1.0
	v_fma_f64 v[210:211], v[210:211], v[212:213], v[210:211]
	s_delay_alu instid0(VALU_DEP_1) | instskip(NEXT) | instid1(VALU_DEP_1)
	v_mul_f64 v[212:213], v[214:215], v[210:211]
	v_fma_f64 v[208:209], -v[208:209], v[212:213], v[214:215]
	s_delay_alu instid0(VALU_DEP_1) | instskip(NEXT) | instid1(VALU_DEP_1)
	v_div_fmas_f64 v[208:209], v[208:209], v[210:211], v[212:213]
	v_div_fixup_f64 v[208:209], v[208:209], v[222:223], v[220:221]
	s_delay_alu instid0(VALU_DEP_1) | instskip(NEXT) | instid1(VALU_DEP_1)
	v_fma_f64 v[210:211], v[220:221], v[208:209], v[222:223]
	v_div_scale_f64 v[212:213], null, v[210:211], v[210:211], 1.0
	s_delay_alu instid0(VALU_DEP_1) | instskip(SKIP_2) | instid1(VALU_DEP_1)
	v_rcp_f64_e32 v[214:215], v[212:213]
	s_waitcnt_depctr 0xfff
	v_fma_f64 v[220:221], -v[212:213], v[214:215], 1.0
	v_fma_f64 v[214:215], v[214:215], v[220:221], v[214:215]
	s_delay_alu instid0(VALU_DEP_1) | instskip(NEXT) | instid1(VALU_DEP_1)
	v_fma_f64 v[220:221], -v[212:213], v[214:215], 1.0
	v_fma_f64 v[214:215], v[214:215], v[220:221], v[214:215]
	v_div_scale_f64 v[220:221], vcc_lo, 1.0, v[210:211], 1.0
	s_delay_alu instid0(VALU_DEP_1) | instskip(NEXT) | instid1(VALU_DEP_1)
	v_mul_f64 v[222:223], v[220:221], v[214:215]
	v_fma_f64 v[212:213], -v[212:213], v[222:223], v[220:221]
	s_delay_alu instid0(VALU_DEP_1) | instskip(NEXT) | instid1(VALU_DEP_1)
	v_div_fmas_f64 v[212:213], v[212:213], v[214:215], v[222:223]
	v_div_fixup_f64 v[222:223], v[212:213], v[210:211], 1.0
	s_delay_alu instid0(VALU_DEP_1)
	v_mul_f64 v[220:221], v[208:209], v[222:223]
	v_xor_b32_e32 v223, 0x80000000, v223
.LBB108_386:
	s_and_not1_saveexec_b32 s2, s2
	s_cbranch_execz .LBB108_388
; %bb.387:
	s_delay_alu instid0(VALU_DEP_1) | instskip(SKIP_1) | instid1(VALU_DEP_2)
	v_div_scale_f64 v[208:209], null, v[220:221], v[220:221], v[222:223]
	v_div_scale_f64 v[214:215], vcc_lo, v[222:223], v[220:221], v[222:223]
	v_rcp_f64_e32 v[210:211], v[208:209]
	s_waitcnt_depctr 0xfff
	v_fma_f64 v[212:213], -v[208:209], v[210:211], 1.0
	s_delay_alu instid0(VALU_DEP_1) | instskip(NEXT) | instid1(VALU_DEP_1)
	v_fma_f64 v[210:211], v[210:211], v[212:213], v[210:211]
	v_fma_f64 v[212:213], -v[208:209], v[210:211], 1.0
	s_delay_alu instid0(VALU_DEP_1) | instskip(NEXT) | instid1(VALU_DEP_1)
	v_fma_f64 v[210:211], v[210:211], v[212:213], v[210:211]
	v_mul_f64 v[212:213], v[214:215], v[210:211]
	s_delay_alu instid0(VALU_DEP_1) | instskip(NEXT) | instid1(VALU_DEP_1)
	v_fma_f64 v[208:209], -v[208:209], v[212:213], v[214:215]
	v_div_fmas_f64 v[208:209], v[208:209], v[210:211], v[212:213]
	s_delay_alu instid0(VALU_DEP_1) | instskip(NEXT) | instid1(VALU_DEP_1)
	v_div_fixup_f64 v[208:209], v[208:209], v[220:221], v[222:223]
	v_fma_f64 v[210:211], v[222:223], v[208:209], v[220:221]
	s_delay_alu instid0(VALU_DEP_1) | instskip(NEXT) | instid1(VALU_DEP_1)
	v_div_scale_f64 v[212:213], null, v[210:211], v[210:211], 1.0
	v_rcp_f64_e32 v[214:215], v[212:213]
	s_waitcnt_depctr 0xfff
	v_fma_f64 v[220:221], -v[212:213], v[214:215], 1.0
	s_delay_alu instid0(VALU_DEP_1) | instskip(NEXT) | instid1(VALU_DEP_1)
	v_fma_f64 v[214:215], v[214:215], v[220:221], v[214:215]
	v_fma_f64 v[220:221], -v[212:213], v[214:215], 1.0
	s_delay_alu instid0(VALU_DEP_1) | instskip(SKIP_1) | instid1(VALU_DEP_1)
	v_fma_f64 v[214:215], v[214:215], v[220:221], v[214:215]
	v_div_scale_f64 v[220:221], vcc_lo, 1.0, v[210:211], 1.0
	v_mul_f64 v[222:223], v[220:221], v[214:215]
	s_delay_alu instid0(VALU_DEP_1) | instskip(NEXT) | instid1(VALU_DEP_1)
	v_fma_f64 v[212:213], -v[212:213], v[222:223], v[220:221]
	v_div_fmas_f64 v[212:213], v[212:213], v[214:215], v[222:223]
	s_delay_alu instid0(VALU_DEP_1) | instskip(NEXT) | instid1(VALU_DEP_1)
	v_div_fixup_f64 v[220:221], v[212:213], v[210:211], 1.0
	v_mul_f64 v[222:223], v[208:209], -v[220:221]
.LBB108_388:
	s_or_b32 exec_lo, exec_lo, s2
.LBB108_389:
	s_delay_alu instid0(SALU_CYCLE_1) | instskip(NEXT) | instid1(SALU_CYCLE_1)
	s_or_b32 exec_lo, exec_lo, s3
	s_mov_b32 s2, exec_lo
	v_cmpx_ne_u32_e64 v236, v228
	s_xor_b32 s2, exec_lo, s2
	s_cbranch_execz .LBB108_395
; %bb.390:
	s_mov_b32 s3, exec_lo
	v_cmpx_eq_u32_e32 18, v236
	s_cbranch_execz .LBB108_394
; %bb.391:
	v_cmp_ne_u32_e32 vcc_lo, 18, v228
	s_xor_b32 s6, s4, -1
	s_delay_alu instid0(SALU_CYCLE_1) | instskip(NEXT) | instid1(SALU_CYCLE_1)
	s_and_b32 s7, s6, vcc_lo
	s_and_saveexec_b32 s6, s7
	s_cbranch_execz .LBB108_393
; %bb.392:
	v_ashrrev_i32_e32 v229, 31, v228
	s_delay_alu instid0(VALU_DEP_1) | instskip(NEXT) | instid1(VALU_DEP_1)
	v_lshlrev_b64 v[208:209], 2, v[228:229]
	v_add_co_u32 v208, vcc_lo, v231, v208
	s_delay_alu instid0(VALU_DEP_2)
	v_add_co_ci_u32_e32 v209, vcc_lo, v232, v209, vcc_lo
	s_clause 0x1
	flat_load_b32 v210, v[208:209]
	flat_load_b32 v211, v[231:232] offset:72
	s_waitcnt vmcnt(1) lgkmcnt(1)
	flat_store_b32 v[231:232], v210 offset:72
	s_waitcnt vmcnt(0) lgkmcnt(1)
	flat_store_b32 v[208:209], v211
.LBB108_393:
	s_or_b32 exec_lo, exec_lo, s6
	v_mov_b32_e32 v236, v228
	v_mov_b32_e32 v227, v228
.LBB108_394:
	s_or_b32 exec_lo, exec_lo, s3
.LBB108_395:
	s_and_not1_saveexec_b32 s2, s2
	s_cbranch_execz .LBB108_397
; %bb.396:
	v_mov_b32_e32 v236, 18
	ds_store_2addr_b64 v230, v[140:141], v[142:143] offset0:38 offset1:39
	ds_store_2addr_b64 v230, v[136:137], v[138:139] offset0:40 offset1:41
	;; [unrolled: 1-line block ×36, first 2 shown]
.LBB108_397:
	s_or_b32 exec_lo, exec_lo, s2
	s_delay_alu instid0(SALU_CYCLE_1)
	s_mov_b32 s2, exec_lo
	s_waitcnt lgkmcnt(0)
	s_waitcnt_vscnt null, 0x0
	s_barrier
	buffer_gl0_inv
	v_cmpx_lt_i32_e32 18, v236
	s_cbranch_execz .LBB108_399
; %bb.398:
	v_mul_f64 v[208:209], v[222:223], v[146:147]
	v_mul_f64 v[146:147], v[220:221], v[146:147]
	s_delay_alu instid0(VALU_DEP_2) | instskip(NEXT) | instid1(VALU_DEP_2)
	v_fma_f64 v[228:229], v[220:221], v[144:145], -v[208:209]
	v_fma_f64 v[146:147], v[222:223], v[144:145], v[146:147]
	ds_load_2addr_b64 v[220:223], v230 offset0:38 offset1:39
	s_waitcnt lgkmcnt(0)
	v_mul_f64 v[144:145], v[222:223], v[146:147]
	v_mul_f64 v[208:209], v[220:221], v[146:147]
	s_delay_alu instid0(VALU_DEP_2) | instskip(NEXT) | instid1(VALU_DEP_2)
	v_fma_f64 v[144:145], v[220:221], v[228:229], -v[144:145]
	v_fma_f64 v[208:209], v[222:223], v[228:229], v[208:209]
	ds_load_2addr_b64 v[220:223], v230 offset0:40 offset1:41
	v_add_f64 v[140:141], v[140:141], -v[144:145]
	v_add_f64 v[142:143], v[142:143], -v[208:209]
	s_waitcnt lgkmcnt(0)
	v_mul_f64 v[144:145], v[222:223], v[146:147]
	v_mul_f64 v[208:209], v[220:221], v[146:147]
	s_delay_alu instid0(VALU_DEP_2) | instskip(NEXT) | instid1(VALU_DEP_2)
	v_fma_f64 v[144:145], v[220:221], v[228:229], -v[144:145]
	v_fma_f64 v[208:209], v[222:223], v[228:229], v[208:209]
	ds_load_2addr_b64 v[220:223], v230 offset0:42 offset1:43
	v_add_f64 v[136:137], v[136:137], -v[144:145]
	v_add_f64 v[138:139], v[138:139], -v[208:209]
	s_waitcnt lgkmcnt(0)
	v_mul_f64 v[144:145], v[222:223], v[146:147]
	v_mul_f64 v[208:209], v[220:221], v[146:147]
	s_delay_alu instid0(VALU_DEP_2) | instskip(NEXT) | instid1(VALU_DEP_2)
	v_fma_f64 v[144:145], v[220:221], v[228:229], -v[144:145]
	v_fma_f64 v[208:209], v[222:223], v[228:229], v[208:209]
	ds_load_2addr_b64 v[220:223], v230 offset0:44 offset1:45
	v_add_f64 v[132:133], v[132:133], -v[144:145]
	v_add_f64 v[134:135], v[134:135], -v[208:209]
	s_waitcnt lgkmcnt(0)
	v_mul_f64 v[144:145], v[222:223], v[146:147]
	v_mul_f64 v[208:209], v[220:221], v[146:147]
	s_delay_alu instid0(VALU_DEP_2) | instskip(NEXT) | instid1(VALU_DEP_2)
	v_fma_f64 v[144:145], v[220:221], v[228:229], -v[144:145]
	v_fma_f64 v[208:209], v[222:223], v[228:229], v[208:209]
	ds_load_2addr_b64 v[220:223], v230 offset0:46 offset1:47
	v_add_f64 v[128:129], v[128:129], -v[144:145]
	v_add_f64 v[130:131], v[130:131], -v[208:209]
	s_waitcnt lgkmcnt(0)
	v_mul_f64 v[144:145], v[222:223], v[146:147]
	v_mul_f64 v[208:209], v[220:221], v[146:147]
	s_delay_alu instid0(VALU_DEP_2) | instskip(NEXT) | instid1(VALU_DEP_2)
	v_fma_f64 v[144:145], v[220:221], v[228:229], -v[144:145]
	v_fma_f64 v[208:209], v[222:223], v[228:229], v[208:209]
	ds_load_2addr_b64 v[220:223], v230 offset0:48 offset1:49
	v_add_f64 v[124:125], v[124:125], -v[144:145]
	v_add_f64 v[126:127], v[126:127], -v[208:209]
	s_waitcnt lgkmcnt(0)
	v_mul_f64 v[144:145], v[222:223], v[146:147]
	v_mul_f64 v[208:209], v[220:221], v[146:147]
	s_delay_alu instid0(VALU_DEP_2) | instskip(NEXT) | instid1(VALU_DEP_2)
	v_fma_f64 v[144:145], v[220:221], v[228:229], -v[144:145]
	v_fma_f64 v[208:209], v[222:223], v[228:229], v[208:209]
	ds_load_2addr_b64 v[220:223], v230 offset0:50 offset1:51
	v_add_f64 v[120:121], v[120:121], -v[144:145]
	v_add_f64 v[122:123], v[122:123], -v[208:209]
	s_waitcnt lgkmcnt(0)
	v_mul_f64 v[144:145], v[222:223], v[146:147]
	v_mul_f64 v[208:209], v[220:221], v[146:147]
	s_delay_alu instid0(VALU_DEP_2) | instskip(NEXT) | instid1(VALU_DEP_2)
	v_fma_f64 v[144:145], v[220:221], v[228:229], -v[144:145]
	v_fma_f64 v[208:209], v[222:223], v[228:229], v[208:209]
	ds_load_2addr_b64 v[220:223], v230 offset0:52 offset1:53
	v_add_f64 v[116:117], v[116:117], -v[144:145]
	v_add_f64 v[118:119], v[118:119], -v[208:209]
	s_waitcnt lgkmcnt(0)
	v_mul_f64 v[144:145], v[222:223], v[146:147]
	v_mul_f64 v[208:209], v[220:221], v[146:147]
	s_delay_alu instid0(VALU_DEP_2) | instskip(NEXT) | instid1(VALU_DEP_2)
	v_fma_f64 v[144:145], v[220:221], v[228:229], -v[144:145]
	v_fma_f64 v[208:209], v[222:223], v[228:229], v[208:209]
	ds_load_2addr_b64 v[220:223], v230 offset0:54 offset1:55
	v_add_f64 v[112:113], v[112:113], -v[144:145]
	v_add_f64 v[114:115], v[114:115], -v[208:209]
	s_waitcnt lgkmcnt(0)
	v_mul_f64 v[144:145], v[222:223], v[146:147]
	v_mul_f64 v[208:209], v[220:221], v[146:147]
	s_delay_alu instid0(VALU_DEP_2) | instskip(NEXT) | instid1(VALU_DEP_2)
	v_fma_f64 v[144:145], v[220:221], v[228:229], -v[144:145]
	v_fma_f64 v[208:209], v[222:223], v[228:229], v[208:209]
	ds_load_2addr_b64 v[220:223], v230 offset0:56 offset1:57
	v_add_f64 v[108:109], v[108:109], -v[144:145]
	v_add_f64 v[110:111], v[110:111], -v[208:209]
	s_waitcnt lgkmcnt(0)
	v_mul_f64 v[144:145], v[222:223], v[146:147]
	v_mul_f64 v[208:209], v[220:221], v[146:147]
	s_delay_alu instid0(VALU_DEP_2) | instskip(NEXT) | instid1(VALU_DEP_2)
	v_fma_f64 v[144:145], v[220:221], v[228:229], -v[144:145]
	v_fma_f64 v[208:209], v[222:223], v[228:229], v[208:209]
	ds_load_2addr_b64 v[220:223], v230 offset0:58 offset1:59
	v_add_f64 v[104:105], v[104:105], -v[144:145]
	v_add_f64 v[106:107], v[106:107], -v[208:209]
	s_waitcnt lgkmcnt(0)
	v_mul_f64 v[144:145], v[222:223], v[146:147]
	v_mul_f64 v[208:209], v[220:221], v[146:147]
	s_delay_alu instid0(VALU_DEP_2) | instskip(NEXT) | instid1(VALU_DEP_2)
	v_fma_f64 v[144:145], v[220:221], v[228:229], -v[144:145]
	v_fma_f64 v[208:209], v[222:223], v[228:229], v[208:209]
	ds_load_2addr_b64 v[220:223], v230 offset0:60 offset1:61
	v_add_f64 v[100:101], v[100:101], -v[144:145]
	v_add_f64 v[102:103], v[102:103], -v[208:209]
	s_waitcnt lgkmcnt(0)
	v_mul_f64 v[144:145], v[222:223], v[146:147]
	v_mul_f64 v[208:209], v[220:221], v[146:147]
	s_delay_alu instid0(VALU_DEP_2) | instskip(NEXT) | instid1(VALU_DEP_2)
	v_fma_f64 v[144:145], v[220:221], v[228:229], -v[144:145]
	v_fma_f64 v[208:209], v[222:223], v[228:229], v[208:209]
	ds_load_2addr_b64 v[220:223], v230 offset0:62 offset1:63
	v_add_f64 v[96:97], v[96:97], -v[144:145]
	v_add_f64 v[98:99], v[98:99], -v[208:209]
	s_waitcnt lgkmcnt(0)
	v_mul_f64 v[144:145], v[222:223], v[146:147]
	v_mul_f64 v[208:209], v[220:221], v[146:147]
	s_delay_alu instid0(VALU_DEP_2) | instskip(NEXT) | instid1(VALU_DEP_2)
	v_fma_f64 v[144:145], v[220:221], v[228:229], -v[144:145]
	v_fma_f64 v[208:209], v[222:223], v[228:229], v[208:209]
	ds_load_2addr_b64 v[220:223], v230 offset0:64 offset1:65
	v_add_f64 v[92:93], v[92:93], -v[144:145]
	v_add_f64 v[94:95], v[94:95], -v[208:209]
	s_waitcnt lgkmcnt(0)
	v_mul_f64 v[144:145], v[222:223], v[146:147]
	v_mul_f64 v[208:209], v[220:221], v[146:147]
	s_delay_alu instid0(VALU_DEP_2) | instskip(NEXT) | instid1(VALU_DEP_2)
	v_fma_f64 v[144:145], v[220:221], v[228:229], -v[144:145]
	v_fma_f64 v[208:209], v[222:223], v[228:229], v[208:209]
	ds_load_2addr_b64 v[220:223], v230 offset0:66 offset1:67
	v_add_f64 v[88:89], v[88:89], -v[144:145]
	v_add_f64 v[90:91], v[90:91], -v[208:209]
	s_waitcnt lgkmcnt(0)
	v_mul_f64 v[144:145], v[222:223], v[146:147]
	v_mul_f64 v[208:209], v[220:221], v[146:147]
	s_delay_alu instid0(VALU_DEP_2) | instskip(NEXT) | instid1(VALU_DEP_2)
	v_fma_f64 v[144:145], v[220:221], v[228:229], -v[144:145]
	v_fma_f64 v[208:209], v[222:223], v[228:229], v[208:209]
	ds_load_2addr_b64 v[220:223], v230 offset0:68 offset1:69
	v_add_f64 v[84:85], v[84:85], -v[144:145]
	v_add_f64 v[86:87], v[86:87], -v[208:209]
	s_waitcnt lgkmcnt(0)
	v_mul_f64 v[144:145], v[222:223], v[146:147]
	v_mul_f64 v[208:209], v[220:221], v[146:147]
	s_delay_alu instid0(VALU_DEP_2) | instskip(NEXT) | instid1(VALU_DEP_2)
	v_fma_f64 v[144:145], v[220:221], v[228:229], -v[144:145]
	v_fma_f64 v[208:209], v[222:223], v[228:229], v[208:209]
	ds_load_2addr_b64 v[220:223], v230 offset0:70 offset1:71
	v_add_f64 v[80:81], v[80:81], -v[144:145]
	v_add_f64 v[82:83], v[82:83], -v[208:209]
	s_waitcnt lgkmcnt(0)
	v_mul_f64 v[144:145], v[222:223], v[146:147]
	v_mul_f64 v[208:209], v[220:221], v[146:147]
	s_delay_alu instid0(VALU_DEP_2) | instskip(NEXT) | instid1(VALU_DEP_2)
	v_fma_f64 v[144:145], v[220:221], v[228:229], -v[144:145]
	v_fma_f64 v[208:209], v[222:223], v[228:229], v[208:209]
	ds_load_2addr_b64 v[220:223], v230 offset0:72 offset1:73
	v_add_f64 v[76:77], v[76:77], -v[144:145]
	v_add_f64 v[78:79], v[78:79], -v[208:209]
	s_waitcnt lgkmcnt(0)
	v_mul_f64 v[144:145], v[222:223], v[146:147]
	v_mul_f64 v[208:209], v[220:221], v[146:147]
	s_delay_alu instid0(VALU_DEP_2) | instskip(NEXT) | instid1(VALU_DEP_2)
	v_fma_f64 v[144:145], v[220:221], v[228:229], -v[144:145]
	v_fma_f64 v[208:209], v[222:223], v[228:229], v[208:209]
	ds_load_2addr_b64 v[220:223], v230 offset0:74 offset1:75
	v_add_f64 v[72:73], v[72:73], -v[144:145]
	v_add_f64 v[74:75], v[74:75], -v[208:209]
	s_waitcnt lgkmcnt(0)
	v_mul_f64 v[144:145], v[222:223], v[146:147]
	v_mul_f64 v[208:209], v[220:221], v[146:147]
	s_delay_alu instid0(VALU_DEP_2) | instskip(NEXT) | instid1(VALU_DEP_2)
	v_fma_f64 v[144:145], v[220:221], v[228:229], -v[144:145]
	v_fma_f64 v[208:209], v[222:223], v[228:229], v[208:209]
	ds_load_2addr_b64 v[220:223], v230 offset0:76 offset1:77
	v_add_f64 v[68:69], v[68:69], -v[144:145]
	v_add_f64 v[70:71], v[70:71], -v[208:209]
	s_waitcnt lgkmcnt(0)
	v_mul_f64 v[144:145], v[222:223], v[146:147]
	v_mul_f64 v[208:209], v[220:221], v[146:147]
	s_delay_alu instid0(VALU_DEP_2) | instskip(NEXT) | instid1(VALU_DEP_2)
	v_fma_f64 v[144:145], v[220:221], v[228:229], -v[144:145]
	v_fma_f64 v[208:209], v[222:223], v[228:229], v[208:209]
	ds_load_2addr_b64 v[220:223], v230 offset0:78 offset1:79
	v_add_f64 v[64:65], v[64:65], -v[144:145]
	v_add_f64 v[66:67], v[66:67], -v[208:209]
	s_waitcnt lgkmcnt(0)
	v_mul_f64 v[144:145], v[222:223], v[146:147]
	v_mul_f64 v[208:209], v[220:221], v[146:147]
	s_delay_alu instid0(VALU_DEP_2) | instskip(NEXT) | instid1(VALU_DEP_2)
	v_fma_f64 v[144:145], v[220:221], v[228:229], -v[144:145]
	v_fma_f64 v[208:209], v[222:223], v[228:229], v[208:209]
	ds_load_2addr_b64 v[220:223], v230 offset0:80 offset1:81
	v_add_f64 v[60:61], v[60:61], -v[144:145]
	v_add_f64 v[62:63], v[62:63], -v[208:209]
	s_waitcnt lgkmcnt(0)
	v_mul_f64 v[144:145], v[222:223], v[146:147]
	v_mul_f64 v[208:209], v[220:221], v[146:147]
	s_delay_alu instid0(VALU_DEP_2) | instskip(NEXT) | instid1(VALU_DEP_2)
	v_fma_f64 v[144:145], v[220:221], v[228:229], -v[144:145]
	v_fma_f64 v[208:209], v[222:223], v[228:229], v[208:209]
	ds_load_2addr_b64 v[220:223], v230 offset0:82 offset1:83
	v_add_f64 v[56:57], v[56:57], -v[144:145]
	v_add_f64 v[58:59], v[58:59], -v[208:209]
	s_waitcnt lgkmcnt(0)
	v_mul_f64 v[144:145], v[222:223], v[146:147]
	v_mul_f64 v[208:209], v[220:221], v[146:147]
	s_delay_alu instid0(VALU_DEP_2) | instskip(NEXT) | instid1(VALU_DEP_2)
	v_fma_f64 v[144:145], v[220:221], v[228:229], -v[144:145]
	v_fma_f64 v[208:209], v[222:223], v[228:229], v[208:209]
	ds_load_2addr_b64 v[220:223], v230 offset0:84 offset1:85
	v_add_f64 v[52:53], v[52:53], -v[144:145]
	v_add_f64 v[54:55], v[54:55], -v[208:209]
	s_waitcnt lgkmcnt(0)
	v_mul_f64 v[144:145], v[222:223], v[146:147]
	v_mul_f64 v[208:209], v[220:221], v[146:147]
	s_delay_alu instid0(VALU_DEP_2) | instskip(NEXT) | instid1(VALU_DEP_2)
	v_fma_f64 v[144:145], v[220:221], v[228:229], -v[144:145]
	v_fma_f64 v[208:209], v[222:223], v[228:229], v[208:209]
	ds_load_2addr_b64 v[220:223], v230 offset0:86 offset1:87
	v_add_f64 v[48:49], v[48:49], -v[144:145]
	v_add_f64 v[50:51], v[50:51], -v[208:209]
	s_waitcnt lgkmcnt(0)
	v_mul_f64 v[144:145], v[222:223], v[146:147]
	v_mul_f64 v[208:209], v[220:221], v[146:147]
	s_delay_alu instid0(VALU_DEP_2) | instskip(NEXT) | instid1(VALU_DEP_2)
	v_fma_f64 v[144:145], v[220:221], v[228:229], -v[144:145]
	v_fma_f64 v[208:209], v[222:223], v[228:229], v[208:209]
	ds_load_2addr_b64 v[220:223], v230 offset0:88 offset1:89
	v_add_f64 v[44:45], v[44:45], -v[144:145]
	v_add_f64 v[46:47], v[46:47], -v[208:209]
	s_waitcnt lgkmcnt(0)
	v_mul_f64 v[144:145], v[222:223], v[146:147]
	v_mul_f64 v[208:209], v[220:221], v[146:147]
	s_delay_alu instid0(VALU_DEP_2) | instskip(NEXT) | instid1(VALU_DEP_2)
	v_fma_f64 v[144:145], v[220:221], v[228:229], -v[144:145]
	v_fma_f64 v[208:209], v[222:223], v[228:229], v[208:209]
	ds_load_2addr_b64 v[220:223], v230 offset0:90 offset1:91
	v_add_f64 v[40:41], v[40:41], -v[144:145]
	v_add_f64 v[42:43], v[42:43], -v[208:209]
	s_waitcnt lgkmcnt(0)
	v_mul_f64 v[144:145], v[222:223], v[146:147]
	v_mul_f64 v[208:209], v[220:221], v[146:147]
	s_delay_alu instid0(VALU_DEP_2) | instskip(NEXT) | instid1(VALU_DEP_2)
	v_fma_f64 v[144:145], v[220:221], v[228:229], -v[144:145]
	v_fma_f64 v[208:209], v[222:223], v[228:229], v[208:209]
	ds_load_2addr_b64 v[220:223], v230 offset0:92 offset1:93
	v_add_f64 v[36:37], v[36:37], -v[144:145]
	v_add_f64 v[38:39], v[38:39], -v[208:209]
	s_waitcnt lgkmcnt(0)
	v_mul_f64 v[144:145], v[222:223], v[146:147]
	v_mul_f64 v[208:209], v[220:221], v[146:147]
	s_delay_alu instid0(VALU_DEP_2) | instskip(NEXT) | instid1(VALU_DEP_2)
	v_fma_f64 v[144:145], v[220:221], v[228:229], -v[144:145]
	v_fma_f64 v[208:209], v[222:223], v[228:229], v[208:209]
	ds_load_2addr_b64 v[220:223], v230 offset0:94 offset1:95
	v_add_f64 v[32:33], v[32:33], -v[144:145]
	v_add_f64 v[34:35], v[34:35], -v[208:209]
	s_waitcnt lgkmcnt(0)
	v_mul_f64 v[144:145], v[222:223], v[146:147]
	v_mul_f64 v[208:209], v[220:221], v[146:147]
	s_delay_alu instid0(VALU_DEP_2) | instskip(NEXT) | instid1(VALU_DEP_2)
	v_fma_f64 v[144:145], v[220:221], v[228:229], -v[144:145]
	v_fma_f64 v[208:209], v[222:223], v[228:229], v[208:209]
	ds_load_2addr_b64 v[220:223], v230 offset0:96 offset1:97
	v_add_f64 v[28:29], v[28:29], -v[144:145]
	v_add_f64 v[30:31], v[30:31], -v[208:209]
	s_waitcnt lgkmcnt(0)
	v_mul_f64 v[144:145], v[222:223], v[146:147]
	v_mul_f64 v[208:209], v[220:221], v[146:147]
	s_delay_alu instid0(VALU_DEP_2) | instskip(NEXT) | instid1(VALU_DEP_2)
	v_fma_f64 v[144:145], v[220:221], v[228:229], -v[144:145]
	v_fma_f64 v[208:209], v[222:223], v[228:229], v[208:209]
	ds_load_2addr_b64 v[220:223], v230 offset0:98 offset1:99
	v_add_f64 v[24:25], v[24:25], -v[144:145]
	v_add_f64 v[26:27], v[26:27], -v[208:209]
	s_waitcnt lgkmcnt(0)
	v_mul_f64 v[144:145], v[222:223], v[146:147]
	v_mul_f64 v[208:209], v[220:221], v[146:147]
	s_delay_alu instid0(VALU_DEP_2) | instskip(NEXT) | instid1(VALU_DEP_2)
	v_fma_f64 v[144:145], v[220:221], v[228:229], -v[144:145]
	v_fma_f64 v[208:209], v[222:223], v[228:229], v[208:209]
	ds_load_2addr_b64 v[220:223], v230 offset0:100 offset1:101
	v_add_f64 v[20:21], v[20:21], -v[144:145]
	v_add_f64 v[22:23], v[22:23], -v[208:209]
	s_waitcnt lgkmcnt(0)
	v_mul_f64 v[144:145], v[222:223], v[146:147]
	v_mul_f64 v[208:209], v[220:221], v[146:147]
	s_delay_alu instid0(VALU_DEP_2) | instskip(NEXT) | instid1(VALU_DEP_2)
	v_fma_f64 v[144:145], v[220:221], v[228:229], -v[144:145]
	v_fma_f64 v[208:209], v[222:223], v[228:229], v[208:209]
	ds_load_2addr_b64 v[220:223], v230 offset0:102 offset1:103
	v_add_f64 v[16:17], v[16:17], -v[144:145]
	v_add_f64 v[18:19], v[18:19], -v[208:209]
	s_waitcnt lgkmcnt(0)
	v_mul_f64 v[144:145], v[222:223], v[146:147]
	v_mul_f64 v[208:209], v[220:221], v[146:147]
	s_delay_alu instid0(VALU_DEP_2) | instskip(NEXT) | instid1(VALU_DEP_2)
	v_fma_f64 v[144:145], v[220:221], v[228:229], -v[144:145]
	v_fma_f64 v[208:209], v[222:223], v[228:229], v[208:209]
	ds_load_2addr_b64 v[220:223], v230 offset0:104 offset1:105
	v_add_f64 v[12:13], v[12:13], -v[144:145]
	v_add_f64 v[14:15], v[14:15], -v[208:209]
	s_waitcnt lgkmcnt(0)
	v_mul_f64 v[144:145], v[222:223], v[146:147]
	v_mul_f64 v[208:209], v[220:221], v[146:147]
	s_delay_alu instid0(VALU_DEP_2) | instskip(NEXT) | instid1(VALU_DEP_2)
	v_fma_f64 v[144:145], v[220:221], v[228:229], -v[144:145]
	v_fma_f64 v[208:209], v[222:223], v[228:229], v[208:209]
	ds_load_2addr_b64 v[220:223], v230 offset0:106 offset1:107
	v_add_f64 v[8:9], v[8:9], -v[144:145]
	v_add_f64 v[10:11], v[10:11], -v[208:209]
	s_waitcnt lgkmcnt(0)
	v_mul_f64 v[144:145], v[222:223], v[146:147]
	v_mul_f64 v[208:209], v[220:221], v[146:147]
	s_delay_alu instid0(VALU_DEP_2) | instskip(NEXT) | instid1(VALU_DEP_2)
	v_fma_f64 v[144:145], v[220:221], v[228:229], -v[144:145]
	v_fma_f64 v[208:209], v[222:223], v[228:229], v[208:209]
	ds_load_2addr_b64 v[220:223], v230 offset0:108 offset1:109
	v_add_f64 v[4:5], v[4:5], -v[144:145]
	v_add_f64 v[6:7], v[6:7], -v[208:209]
	s_waitcnt lgkmcnt(0)
	v_mul_f64 v[144:145], v[222:223], v[146:147]
	v_mul_f64 v[208:209], v[220:221], v[146:147]
	s_delay_alu instid0(VALU_DEP_2) | instskip(NEXT) | instid1(VALU_DEP_2)
	v_fma_f64 v[144:145], v[220:221], v[228:229], -v[144:145]
	v_fma_f64 v[208:209], v[222:223], v[228:229], v[208:209]
	s_delay_alu instid0(VALU_DEP_2) | instskip(NEXT) | instid1(VALU_DEP_2)
	v_add_f64 v[0:1], v[0:1], -v[144:145]
	v_add_f64 v[2:3], v[2:3], -v[208:209]
	v_dual_mov_b32 v144, v228 :: v_dual_mov_b32 v145, v229
.LBB108_399:
	s_or_b32 exec_lo, exec_lo, s2
	v_lshl_add_u32 v208, v236, 4, v230
	s_barrier
	buffer_gl0_inv
	v_mov_b32_e32 v228, 19
	ds_store_2addr_b64 v208, v[140:141], v[142:143] offset1:1
	s_waitcnt lgkmcnt(0)
	s_barrier
	buffer_gl0_inv
	ds_load_2addr_b64 v[220:223], v230 offset0:38 offset1:39
	s_cmp_lt_i32 s5, 21
	s_cbranch_scc1 .LBB108_402
; %bb.400:
	v_add3_u32 v229, v234, 0, 0x140
	v_mov_b32_e32 v228, 19
	s_mov_b32 s6, 20
	s_set_inst_prefetch_distance 0x1
	.p2align	6
.LBB108_401:                            ; =>This Inner Loop Header: Depth=1
	ds_load_2addr_b64 v[237:240], v229 offset1:1
	s_waitcnt lgkmcnt(1)
	v_cmp_gt_f64_e32 vcc_lo, 0, v[220:221]
	v_xor_b32_e32 v208, 0x80000000, v221
	v_cmp_gt_f64_e64 s2, 0, v[222:223]
	v_xor_b32_e32 v210, 0x80000000, v223
	v_add_nc_u32_e32 v229, 16, v229
	s_waitcnt lgkmcnt(0)
	v_cmp_gt_f64_e64 s3, 0, v[237:238]
	v_mov_b32_e32 v212, v237
	v_dual_mov_b32 v214, v239 :: v_dual_cndmask_b32 v209, v221, v208
	v_xor_b32_e32 v208, 0x80000000, v238
	v_cndmask_b32_e64 v211, v223, v210, s2
	v_xor_b32_e32 v210, 0x80000000, v240
	s_delay_alu instid0(VALU_DEP_3) | instskip(SKIP_2) | instid1(VALU_DEP_2)
	v_cndmask_b32_e64 v213, v238, v208, s3
	v_cmp_gt_f64_e64 s3, 0, v[239:240]
	v_cndmask_b32_e32 v208, v220, v220, vcc_lo
	v_cndmask_b32_e64 v215, v240, v210, s3
	v_cndmask_b32_e64 v210, v222, v222, s2
	s_delay_alu instid0(VALU_DEP_2) | instskip(NEXT) | instid1(VALU_DEP_2)
	v_add_f64 v[212:213], v[212:213], v[214:215]
	v_add_f64 v[208:209], v[208:209], v[210:211]
	s_delay_alu instid0(VALU_DEP_1) | instskip(SKIP_4) | instid1(SALU_CYCLE_1)
	v_cmp_lt_f64_e32 vcc_lo, v[208:209], v[212:213]
	v_dual_cndmask_b32 v221, v221, v238 :: v_dual_cndmask_b32 v220, v220, v237
	v_dual_cndmask_b32 v223, v223, v240 :: v_dual_cndmask_b32 v222, v222, v239
	v_cndmask_b32_e64 v228, v228, s6, vcc_lo
	s_add_i32 s6, s6, 1
	s_cmp_lg_u32 s5, s6
	s_cbranch_scc1 .LBB108_401
.LBB108_402:
	s_set_inst_prefetch_distance 0x2
	s_waitcnt lgkmcnt(0)
	v_cmp_eq_f64_e32 vcc_lo, 0, v[220:221]
	v_cmp_eq_f64_e64 s2, 0, v[222:223]
	s_delay_alu instid0(VALU_DEP_1) | instskip(NEXT) | instid1(SALU_CYCLE_1)
	s_and_b32 s2, vcc_lo, s2
	s_and_saveexec_b32 s3, s2
	s_delay_alu instid0(SALU_CYCLE_1)
	s_xor_b32 s2, exec_lo, s3
; %bb.403:
	v_cmp_ne_u32_e32 vcc_lo, 0, v233
	v_cndmask_b32_e32 v233, 20, v233, vcc_lo
; %bb.404:
	s_and_not1_saveexec_b32 s3, s2
	s_cbranch_execz .LBB108_410
; %bb.405:
	v_cmp_gt_f64_e32 vcc_lo, 0, v[220:221]
	v_cmp_gt_f64_e64 s2, 0, v[222:223]
	v_xor_b32_e32 v208, 0x80000000, v221
	v_xor_b32_e32 v210, 0x80000000, v223
	s_delay_alu instid0(VALU_DEP_2) | instskip(NEXT) | instid1(VALU_DEP_2)
	v_cndmask_b32_e32 v209, v221, v208, vcc_lo
	v_cndmask_b32_e64 v211, v223, v210, s2
	v_cndmask_b32_e32 v208, v220, v220, vcc_lo
	v_cndmask_b32_e64 v210, v222, v222, s2
	s_mov_b32 s2, exec_lo
	s_delay_alu instid0(VALU_DEP_1)
	v_cmpx_ngt_f64_e32 v[208:209], v[210:211]
	s_xor_b32 s2, exec_lo, s2
	s_cbranch_execz .LBB108_407
; %bb.406:
	v_div_scale_f64 v[208:209], null, v[222:223], v[222:223], v[220:221]
	v_div_scale_f64 v[214:215], vcc_lo, v[220:221], v[222:223], v[220:221]
	s_delay_alu instid0(VALU_DEP_2) | instskip(SKIP_2) | instid1(VALU_DEP_1)
	v_rcp_f64_e32 v[210:211], v[208:209]
	s_waitcnt_depctr 0xfff
	v_fma_f64 v[212:213], -v[208:209], v[210:211], 1.0
	v_fma_f64 v[210:211], v[210:211], v[212:213], v[210:211]
	s_delay_alu instid0(VALU_DEP_1) | instskip(NEXT) | instid1(VALU_DEP_1)
	v_fma_f64 v[212:213], -v[208:209], v[210:211], 1.0
	v_fma_f64 v[210:211], v[210:211], v[212:213], v[210:211]
	s_delay_alu instid0(VALU_DEP_1) | instskip(NEXT) | instid1(VALU_DEP_1)
	v_mul_f64 v[212:213], v[214:215], v[210:211]
	v_fma_f64 v[208:209], -v[208:209], v[212:213], v[214:215]
	s_delay_alu instid0(VALU_DEP_1) | instskip(NEXT) | instid1(VALU_DEP_1)
	v_div_fmas_f64 v[208:209], v[208:209], v[210:211], v[212:213]
	v_div_fixup_f64 v[208:209], v[208:209], v[222:223], v[220:221]
	s_delay_alu instid0(VALU_DEP_1) | instskip(NEXT) | instid1(VALU_DEP_1)
	v_fma_f64 v[210:211], v[220:221], v[208:209], v[222:223]
	v_div_scale_f64 v[212:213], null, v[210:211], v[210:211], 1.0
	s_delay_alu instid0(VALU_DEP_1) | instskip(SKIP_2) | instid1(VALU_DEP_1)
	v_rcp_f64_e32 v[214:215], v[212:213]
	s_waitcnt_depctr 0xfff
	v_fma_f64 v[220:221], -v[212:213], v[214:215], 1.0
	v_fma_f64 v[214:215], v[214:215], v[220:221], v[214:215]
	s_delay_alu instid0(VALU_DEP_1) | instskip(NEXT) | instid1(VALU_DEP_1)
	v_fma_f64 v[220:221], -v[212:213], v[214:215], 1.0
	v_fma_f64 v[214:215], v[214:215], v[220:221], v[214:215]
	v_div_scale_f64 v[220:221], vcc_lo, 1.0, v[210:211], 1.0
	s_delay_alu instid0(VALU_DEP_1) | instskip(NEXT) | instid1(VALU_DEP_1)
	v_mul_f64 v[222:223], v[220:221], v[214:215]
	v_fma_f64 v[212:213], -v[212:213], v[222:223], v[220:221]
	s_delay_alu instid0(VALU_DEP_1) | instskip(NEXT) | instid1(VALU_DEP_1)
	v_div_fmas_f64 v[212:213], v[212:213], v[214:215], v[222:223]
	v_div_fixup_f64 v[222:223], v[212:213], v[210:211], 1.0
	s_delay_alu instid0(VALU_DEP_1)
	v_mul_f64 v[220:221], v[208:209], v[222:223]
	v_xor_b32_e32 v223, 0x80000000, v223
.LBB108_407:
	s_and_not1_saveexec_b32 s2, s2
	s_cbranch_execz .LBB108_409
; %bb.408:
	s_delay_alu instid0(VALU_DEP_1) | instskip(SKIP_1) | instid1(VALU_DEP_2)
	v_div_scale_f64 v[208:209], null, v[220:221], v[220:221], v[222:223]
	v_div_scale_f64 v[214:215], vcc_lo, v[222:223], v[220:221], v[222:223]
	v_rcp_f64_e32 v[210:211], v[208:209]
	s_waitcnt_depctr 0xfff
	v_fma_f64 v[212:213], -v[208:209], v[210:211], 1.0
	s_delay_alu instid0(VALU_DEP_1) | instskip(NEXT) | instid1(VALU_DEP_1)
	v_fma_f64 v[210:211], v[210:211], v[212:213], v[210:211]
	v_fma_f64 v[212:213], -v[208:209], v[210:211], 1.0
	s_delay_alu instid0(VALU_DEP_1) | instskip(NEXT) | instid1(VALU_DEP_1)
	v_fma_f64 v[210:211], v[210:211], v[212:213], v[210:211]
	v_mul_f64 v[212:213], v[214:215], v[210:211]
	s_delay_alu instid0(VALU_DEP_1) | instskip(NEXT) | instid1(VALU_DEP_1)
	v_fma_f64 v[208:209], -v[208:209], v[212:213], v[214:215]
	v_div_fmas_f64 v[208:209], v[208:209], v[210:211], v[212:213]
	s_delay_alu instid0(VALU_DEP_1) | instskip(NEXT) | instid1(VALU_DEP_1)
	v_div_fixup_f64 v[208:209], v[208:209], v[220:221], v[222:223]
	v_fma_f64 v[210:211], v[222:223], v[208:209], v[220:221]
	s_delay_alu instid0(VALU_DEP_1) | instskip(NEXT) | instid1(VALU_DEP_1)
	v_div_scale_f64 v[212:213], null, v[210:211], v[210:211], 1.0
	v_rcp_f64_e32 v[214:215], v[212:213]
	s_waitcnt_depctr 0xfff
	v_fma_f64 v[220:221], -v[212:213], v[214:215], 1.0
	s_delay_alu instid0(VALU_DEP_1) | instskip(NEXT) | instid1(VALU_DEP_1)
	v_fma_f64 v[214:215], v[214:215], v[220:221], v[214:215]
	v_fma_f64 v[220:221], -v[212:213], v[214:215], 1.0
	s_delay_alu instid0(VALU_DEP_1) | instskip(SKIP_1) | instid1(VALU_DEP_1)
	v_fma_f64 v[214:215], v[214:215], v[220:221], v[214:215]
	v_div_scale_f64 v[220:221], vcc_lo, 1.0, v[210:211], 1.0
	v_mul_f64 v[222:223], v[220:221], v[214:215]
	s_delay_alu instid0(VALU_DEP_1) | instskip(NEXT) | instid1(VALU_DEP_1)
	v_fma_f64 v[212:213], -v[212:213], v[222:223], v[220:221]
	v_div_fmas_f64 v[212:213], v[212:213], v[214:215], v[222:223]
	s_delay_alu instid0(VALU_DEP_1) | instskip(NEXT) | instid1(VALU_DEP_1)
	v_div_fixup_f64 v[220:221], v[212:213], v[210:211], 1.0
	v_mul_f64 v[222:223], v[208:209], -v[220:221]
.LBB108_409:
	s_or_b32 exec_lo, exec_lo, s2
.LBB108_410:
	s_delay_alu instid0(SALU_CYCLE_1) | instskip(NEXT) | instid1(SALU_CYCLE_1)
	s_or_b32 exec_lo, exec_lo, s3
	s_mov_b32 s2, exec_lo
	v_cmpx_ne_u32_e64 v236, v228
	s_xor_b32 s2, exec_lo, s2
	s_cbranch_execz .LBB108_416
; %bb.411:
	s_mov_b32 s3, exec_lo
	v_cmpx_eq_u32_e32 19, v236
	s_cbranch_execz .LBB108_415
; %bb.412:
	v_cmp_ne_u32_e32 vcc_lo, 19, v228
	s_xor_b32 s6, s4, -1
	s_delay_alu instid0(SALU_CYCLE_1) | instskip(NEXT) | instid1(SALU_CYCLE_1)
	s_and_b32 s7, s6, vcc_lo
	s_and_saveexec_b32 s6, s7
	s_cbranch_execz .LBB108_414
; %bb.413:
	v_ashrrev_i32_e32 v229, 31, v228
	s_delay_alu instid0(VALU_DEP_1) | instskip(NEXT) | instid1(VALU_DEP_1)
	v_lshlrev_b64 v[208:209], 2, v[228:229]
	v_add_co_u32 v208, vcc_lo, v231, v208
	s_delay_alu instid0(VALU_DEP_2)
	v_add_co_ci_u32_e32 v209, vcc_lo, v232, v209, vcc_lo
	s_clause 0x1
	flat_load_b32 v210, v[208:209]
	flat_load_b32 v211, v[231:232] offset:76
	s_waitcnt vmcnt(1) lgkmcnt(1)
	flat_store_b32 v[231:232], v210 offset:76
	s_waitcnt vmcnt(0) lgkmcnt(1)
	flat_store_b32 v[208:209], v211
.LBB108_414:
	s_or_b32 exec_lo, exec_lo, s6
	v_mov_b32_e32 v236, v228
	v_mov_b32_e32 v227, v228
.LBB108_415:
	s_or_b32 exec_lo, exec_lo, s3
.LBB108_416:
	s_and_not1_saveexec_b32 s2, s2
	s_cbranch_execz .LBB108_418
; %bb.417:
	v_mov_b32_e32 v236, 19
	ds_store_2addr_b64 v230, v[136:137], v[138:139] offset0:40 offset1:41
	ds_store_2addr_b64 v230, v[132:133], v[134:135] offset0:42 offset1:43
	;; [unrolled: 1-line block ×35, first 2 shown]
.LBB108_418:
	s_or_b32 exec_lo, exec_lo, s2
	s_delay_alu instid0(SALU_CYCLE_1)
	s_mov_b32 s2, exec_lo
	s_waitcnt lgkmcnt(0)
	s_waitcnt_vscnt null, 0x0
	s_barrier
	buffer_gl0_inv
	v_cmpx_lt_i32_e32 19, v236
	s_cbranch_execz .LBB108_420
; %bb.419:
	v_mul_f64 v[208:209], v[222:223], v[142:143]
	v_mul_f64 v[142:143], v[220:221], v[142:143]
	s_delay_alu instid0(VALU_DEP_2) | instskip(NEXT) | instid1(VALU_DEP_2)
	v_fma_f64 v[228:229], v[220:221], v[140:141], -v[208:209]
	v_fma_f64 v[142:143], v[222:223], v[140:141], v[142:143]
	ds_load_2addr_b64 v[220:223], v230 offset0:40 offset1:41
	s_waitcnt lgkmcnt(0)
	v_mul_f64 v[140:141], v[222:223], v[142:143]
	v_mul_f64 v[208:209], v[220:221], v[142:143]
	s_delay_alu instid0(VALU_DEP_2) | instskip(NEXT) | instid1(VALU_DEP_2)
	v_fma_f64 v[140:141], v[220:221], v[228:229], -v[140:141]
	v_fma_f64 v[208:209], v[222:223], v[228:229], v[208:209]
	ds_load_2addr_b64 v[220:223], v230 offset0:42 offset1:43
	v_add_f64 v[136:137], v[136:137], -v[140:141]
	v_add_f64 v[138:139], v[138:139], -v[208:209]
	s_waitcnt lgkmcnt(0)
	v_mul_f64 v[140:141], v[222:223], v[142:143]
	v_mul_f64 v[208:209], v[220:221], v[142:143]
	s_delay_alu instid0(VALU_DEP_2) | instskip(NEXT) | instid1(VALU_DEP_2)
	v_fma_f64 v[140:141], v[220:221], v[228:229], -v[140:141]
	v_fma_f64 v[208:209], v[222:223], v[228:229], v[208:209]
	ds_load_2addr_b64 v[220:223], v230 offset0:44 offset1:45
	v_add_f64 v[132:133], v[132:133], -v[140:141]
	v_add_f64 v[134:135], v[134:135], -v[208:209]
	;; [unrolled: 9-line block ×34, first 2 shown]
	s_waitcnt lgkmcnt(0)
	v_mul_f64 v[140:141], v[222:223], v[142:143]
	v_mul_f64 v[208:209], v[220:221], v[142:143]
	s_delay_alu instid0(VALU_DEP_2) | instskip(NEXT) | instid1(VALU_DEP_2)
	v_fma_f64 v[140:141], v[220:221], v[228:229], -v[140:141]
	v_fma_f64 v[208:209], v[222:223], v[228:229], v[208:209]
	s_delay_alu instid0(VALU_DEP_2) | instskip(NEXT) | instid1(VALU_DEP_2)
	v_add_f64 v[0:1], v[0:1], -v[140:141]
	v_add_f64 v[2:3], v[2:3], -v[208:209]
	v_dual_mov_b32 v140, v228 :: v_dual_mov_b32 v141, v229
.LBB108_420:
	s_or_b32 exec_lo, exec_lo, s2
	v_lshl_add_u32 v208, v236, 4, v230
	s_barrier
	buffer_gl0_inv
	v_mov_b32_e32 v228, 20
	ds_store_2addr_b64 v208, v[136:137], v[138:139] offset1:1
	s_waitcnt lgkmcnt(0)
	s_barrier
	buffer_gl0_inv
	ds_load_2addr_b64 v[220:223], v230 offset0:40 offset1:41
	s_cmp_lt_i32 s5, 22
	s_cbranch_scc1 .LBB108_423
; %bb.421:
	v_add3_u32 v229, v234, 0, 0x150
	v_mov_b32_e32 v228, 20
	s_mov_b32 s6, 21
	s_set_inst_prefetch_distance 0x1
	.p2align	6
.LBB108_422:                            ; =>This Inner Loop Header: Depth=1
	ds_load_2addr_b64 v[237:240], v229 offset1:1
	s_waitcnt lgkmcnt(1)
	v_cmp_gt_f64_e32 vcc_lo, 0, v[220:221]
	v_xor_b32_e32 v208, 0x80000000, v221
	v_cmp_gt_f64_e64 s2, 0, v[222:223]
	v_xor_b32_e32 v210, 0x80000000, v223
	v_add_nc_u32_e32 v229, 16, v229
	s_waitcnt lgkmcnt(0)
	v_cmp_gt_f64_e64 s3, 0, v[237:238]
	v_mov_b32_e32 v212, v237
	v_dual_mov_b32 v214, v239 :: v_dual_cndmask_b32 v209, v221, v208
	v_xor_b32_e32 v208, 0x80000000, v238
	v_cndmask_b32_e64 v211, v223, v210, s2
	v_xor_b32_e32 v210, 0x80000000, v240
	s_delay_alu instid0(VALU_DEP_3) | instskip(SKIP_2) | instid1(VALU_DEP_2)
	v_cndmask_b32_e64 v213, v238, v208, s3
	v_cmp_gt_f64_e64 s3, 0, v[239:240]
	v_cndmask_b32_e32 v208, v220, v220, vcc_lo
	v_cndmask_b32_e64 v215, v240, v210, s3
	v_cndmask_b32_e64 v210, v222, v222, s2
	s_delay_alu instid0(VALU_DEP_2) | instskip(NEXT) | instid1(VALU_DEP_2)
	v_add_f64 v[212:213], v[212:213], v[214:215]
	v_add_f64 v[208:209], v[208:209], v[210:211]
	s_delay_alu instid0(VALU_DEP_1) | instskip(SKIP_4) | instid1(SALU_CYCLE_1)
	v_cmp_lt_f64_e32 vcc_lo, v[208:209], v[212:213]
	v_dual_cndmask_b32 v221, v221, v238 :: v_dual_cndmask_b32 v220, v220, v237
	v_dual_cndmask_b32 v223, v223, v240 :: v_dual_cndmask_b32 v222, v222, v239
	v_cndmask_b32_e64 v228, v228, s6, vcc_lo
	s_add_i32 s6, s6, 1
	s_cmp_lg_u32 s5, s6
	s_cbranch_scc1 .LBB108_422
.LBB108_423:
	s_set_inst_prefetch_distance 0x2
	s_waitcnt lgkmcnt(0)
	v_cmp_eq_f64_e32 vcc_lo, 0, v[220:221]
	v_cmp_eq_f64_e64 s2, 0, v[222:223]
	s_delay_alu instid0(VALU_DEP_1) | instskip(NEXT) | instid1(SALU_CYCLE_1)
	s_and_b32 s2, vcc_lo, s2
	s_and_saveexec_b32 s3, s2
	s_delay_alu instid0(SALU_CYCLE_1)
	s_xor_b32 s2, exec_lo, s3
; %bb.424:
	v_cmp_ne_u32_e32 vcc_lo, 0, v233
	v_cndmask_b32_e32 v233, 21, v233, vcc_lo
; %bb.425:
	s_and_not1_saveexec_b32 s3, s2
	s_cbranch_execz .LBB108_431
; %bb.426:
	v_cmp_gt_f64_e32 vcc_lo, 0, v[220:221]
	v_cmp_gt_f64_e64 s2, 0, v[222:223]
	v_xor_b32_e32 v208, 0x80000000, v221
	v_xor_b32_e32 v210, 0x80000000, v223
	s_delay_alu instid0(VALU_DEP_2) | instskip(NEXT) | instid1(VALU_DEP_2)
	v_cndmask_b32_e32 v209, v221, v208, vcc_lo
	v_cndmask_b32_e64 v211, v223, v210, s2
	v_cndmask_b32_e32 v208, v220, v220, vcc_lo
	v_cndmask_b32_e64 v210, v222, v222, s2
	s_mov_b32 s2, exec_lo
	s_delay_alu instid0(VALU_DEP_1)
	v_cmpx_ngt_f64_e32 v[208:209], v[210:211]
	s_xor_b32 s2, exec_lo, s2
	s_cbranch_execz .LBB108_428
; %bb.427:
	v_div_scale_f64 v[208:209], null, v[222:223], v[222:223], v[220:221]
	v_div_scale_f64 v[214:215], vcc_lo, v[220:221], v[222:223], v[220:221]
	s_delay_alu instid0(VALU_DEP_2) | instskip(SKIP_2) | instid1(VALU_DEP_1)
	v_rcp_f64_e32 v[210:211], v[208:209]
	s_waitcnt_depctr 0xfff
	v_fma_f64 v[212:213], -v[208:209], v[210:211], 1.0
	v_fma_f64 v[210:211], v[210:211], v[212:213], v[210:211]
	s_delay_alu instid0(VALU_DEP_1) | instskip(NEXT) | instid1(VALU_DEP_1)
	v_fma_f64 v[212:213], -v[208:209], v[210:211], 1.0
	v_fma_f64 v[210:211], v[210:211], v[212:213], v[210:211]
	s_delay_alu instid0(VALU_DEP_1) | instskip(NEXT) | instid1(VALU_DEP_1)
	v_mul_f64 v[212:213], v[214:215], v[210:211]
	v_fma_f64 v[208:209], -v[208:209], v[212:213], v[214:215]
	s_delay_alu instid0(VALU_DEP_1) | instskip(NEXT) | instid1(VALU_DEP_1)
	v_div_fmas_f64 v[208:209], v[208:209], v[210:211], v[212:213]
	v_div_fixup_f64 v[208:209], v[208:209], v[222:223], v[220:221]
	s_delay_alu instid0(VALU_DEP_1) | instskip(NEXT) | instid1(VALU_DEP_1)
	v_fma_f64 v[210:211], v[220:221], v[208:209], v[222:223]
	v_div_scale_f64 v[212:213], null, v[210:211], v[210:211], 1.0
	s_delay_alu instid0(VALU_DEP_1) | instskip(SKIP_2) | instid1(VALU_DEP_1)
	v_rcp_f64_e32 v[214:215], v[212:213]
	s_waitcnt_depctr 0xfff
	v_fma_f64 v[220:221], -v[212:213], v[214:215], 1.0
	v_fma_f64 v[214:215], v[214:215], v[220:221], v[214:215]
	s_delay_alu instid0(VALU_DEP_1) | instskip(NEXT) | instid1(VALU_DEP_1)
	v_fma_f64 v[220:221], -v[212:213], v[214:215], 1.0
	v_fma_f64 v[214:215], v[214:215], v[220:221], v[214:215]
	v_div_scale_f64 v[220:221], vcc_lo, 1.0, v[210:211], 1.0
	s_delay_alu instid0(VALU_DEP_1) | instskip(NEXT) | instid1(VALU_DEP_1)
	v_mul_f64 v[222:223], v[220:221], v[214:215]
	v_fma_f64 v[212:213], -v[212:213], v[222:223], v[220:221]
	s_delay_alu instid0(VALU_DEP_1) | instskip(NEXT) | instid1(VALU_DEP_1)
	v_div_fmas_f64 v[212:213], v[212:213], v[214:215], v[222:223]
	v_div_fixup_f64 v[222:223], v[212:213], v[210:211], 1.0
	s_delay_alu instid0(VALU_DEP_1)
	v_mul_f64 v[220:221], v[208:209], v[222:223]
	v_xor_b32_e32 v223, 0x80000000, v223
.LBB108_428:
	s_and_not1_saveexec_b32 s2, s2
	s_cbranch_execz .LBB108_430
; %bb.429:
	s_delay_alu instid0(VALU_DEP_1) | instskip(SKIP_1) | instid1(VALU_DEP_2)
	v_div_scale_f64 v[208:209], null, v[220:221], v[220:221], v[222:223]
	v_div_scale_f64 v[214:215], vcc_lo, v[222:223], v[220:221], v[222:223]
	v_rcp_f64_e32 v[210:211], v[208:209]
	s_waitcnt_depctr 0xfff
	v_fma_f64 v[212:213], -v[208:209], v[210:211], 1.0
	s_delay_alu instid0(VALU_DEP_1) | instskip(NEXT) | instid1(VALU_DEP_1)
	v_fma_f64 v[210:211], v[210:211], v[212:213], v[210:211]
	v_fma_f64 v[212:213], -v[208:209], v[210:211], 1.0
	s_delay_alu instid0(VALU_DEP_1) | instskip(NEXT) | instid1(VALU_DEP_1)
	v_fma_f64 v[210:211], v[210:211], v[212:213], v[210:211]
	v_mul_f64 v[212:213], v[214:215], v[210:211]
	s_delay_alu instid0(VALU_DEP_1) | instskip(NEXT) | instid1(VALU_DEP_1)
	v_fma_f64 v[208:209], -v[208:209], v[212:213], v[214:215]
	v_div_fmas_f64 v[208:209], v[208:209], v[210:211], v[212:213]
	s_delay_alu instid0(VALU_DEP_1) | instskip(NEXT) | instid1(VALU_DEP_1)
	v_div_fixup_f64 v[208:209], v[208:209], v[220:221], v[222:223]
	v_fma_f64 v[210:211], v[222:223], v[208:209], v[220:221]
	s_delay_alu instid0(VALU_DEP_1) | instskip(NEXT) | instid1(VALU_DEP_1)
	v_div_scale_f64 v[212:213], null, v[210:211], v[210:211], 1.0
	v_rcp_f64_e32 v[214:215], v[212:213]
	s_waitcnt_depctr 0xfff
	v_fma_f64 v[220:221], -v[212:213], v[214:215], 1.0
	s_delay_alu instid0(VALU_DEP_1) | instskip(NEXT) | instid1(VALU_DEP_1)
	v_fma_f64 v[214:215], v[214:215], v[220:221], v[214:215]
	v_fma_f64 v[220:221], -v[212:213], v[214:215], 1.0
	s_delay_alu instid0(VALU_DEP_1) | instskip(SKIP_1) | instid1(VALU_DEP_1)
	v_fma_f64 v[214:215], v[214:215], v[220:221], v[214:215]
	v_div_scale_f64 v[220:221], vcc_lo, 1.0, v[210:211], 1.0
	v_mul_f64 v[222:223], v[220:221], v[214:215]
	s_delay_alu instid0(VALU_DEP_1) | instskip(NEXT) | instid1(VALU_DEP_1)
	v_fma_f64 v[212:213], -v[212:213], v[222:223], v[220:221]
	v_div_fmas_f64 v[212:213], v[212:213], v[214:215], v[222:223]
	s_delay_alu instid0(VALU_DEP_1) | instskip(NEXT) | instid1(VALU_DEP_1)
	v_div_fixup_f64 v[220:221], v[212:213], v[210:211], 1.0
	v_mul_f64 v[222:223], v[208:209], -v[220:221]
.LBB108_430:
	s_or_b32 exec_lo, exec_lo, s2
.LBB108_431:
	s_delay_alu instid0(SALU_CYCLE_1) | instskip(NEXT) | instid1(SALU_CYCLE_1)
	s_or_b32 exec_lo, exec_lo, s3
	s_mov_b32 s2, exec_lo
	v_cmpx_ne_u32_e64 v236, v228
	s_xor_b32 s2, exec_lo, s2
	s_cbranch_execz .LBB108_437
; %bb.432:
	s_mov_b32 s3, exec_lo
	v_cmpx_eq_u32_e32 20, v236
	s_cbranch_execz .LBB108_436
; %bb.433:
	v_cmp_ne_u32_e32 vcc_lo, 20, v228
	s_xor_b32 s6, s4, -1
	s_delay_alu instid0(SALU_CYCLE_1) | instskip(NEXT) | instid1(SALU_CYCLE_1)
	s_and_b32 s7, s6, vcc_lo
	s_and_saveexec_b32 s6, s7
	s_cbranch_execz .LBB108_435
; %bb.434:
	v_ashrrev_i32_e32 v229, 31, v228
	s_delay_alu instid0(VALU_DEP_1) | instskip(NEXT) | instid1(VALU_DEP_1)
	v_lshlrev_b64 v[208:209], 2, v[228:229]
	v_add_co_u32 v208, vcc_lo, v231, v208
	s_delay_alu instid0(VALU_DEP_2)
	v_add_co_ci_u32_e32 v209, vcc_lo, v232, v209, vcc_lo
	s_clause 0x1
	flat_load_b32 v210, v[208:209]
	flat_load_b32 v211, v[231:232] offset:80
	s_waitcnt vmcnt(1) lgkmcnt(1)
	flat_store_b32 v[231:232], v210 offset:80
	s_waitcnt vmcnt(0) lgkmcnt(1)
	flat_store_b32 v[208:209], v211
.LBB108_435:
	s_or_b32 exec_lo, exec_lo, s6
	v_mov_b32_e32 v236, v228
	v_mov_b32_e32 v227, v228
.LBB108_436:
	s_or_b32 exec_lo, exec_lo, s3
.LBB108_437:
	s_and_not1_saveexec_b32 s2, s2
	s_cbranch_execz .LBB108_439
; %bb.438:
	v_mov_b32_e32 v236, 20
	ds_store_2addr_b64 v230, v[132:133], v[134:135] offset0:42 offset1:43
	ds_store_2addr_b64 v230, v[128:129], v[130:131] offset0:44 offset1:45
	;; [unrolled: 1-line block ×34, first 2 shown]
.LBB108_439:
	s_or_b32 exec_lo, exec_lo, s2
	s_delay_alu instid0(SALU_CYCLE_1)
	s_mov_b32 s2, exec_lo
	s_waitcnt lgkmcnt(0)
	s_waitcnt_vscnt null, 0x0
	s_barrier
	buffer_gl0_inv
	v_cmpx_lt_i32_e32 20, v236
	s_cbranch_execz .LBB108_441
; %bb.440:
	v_mul_f64 v[208:209], v[222:223], v[138:139]
	v_mul_f64 v[138:139], v[220:221], v[138:139]
	s_delay_alu instid0(VALU_DEP_2) | instskip(NEXT) | instid1(VALU_DEP_2)
	v_fma_f64 v[228:229], v[220:221], v[136:137], -v[208:209]
	v_fma_f64 v[138:139], v[222:223], v[136:137], v[138:139]
	ds_load_2addr_b64 v[220:223], v230 offset0:42 offset1:43
	s_waitcnt lgkmcnt(0)
	v_mul_f64 v[136:137], v[222:223], v[138:139]
	v_mul_f64 v[208:209], v[220:221], v[138:139]
	s_delay_alu instid0(VALU_DEP_2) | instskip(NEXT) | instid1(VALU_DEP_2)
	v_fma_f64 v[136:137], v[220:221], v[228:229], -v[136:137]
	v_fma_f64 v[208:209], v[222:223], v[228:229], v[208:209]
	ds_load_2addr_b64 v[220:223], v230 offset0:44 offset1:45
	v_add_f64 v[132:133], v[132:133], -v[136:137]
	v_add_f64 v[134:135], v[134:135], -v[208:209]
	s_waitcnt lgkmcnt(0)
	v_mul_f64 v[136:137], v[222:223], v[138:139]
	v_mul_f64 v[208:209], v[220:221], v[138:139]
	s_delay_alu instid0(VALU_DEP_2) | instskip(NEXT) | instid1(VALU_DEP_2)
	v_fma_f64 v[136:137], v[220:221], v[228:229], -v[136:137]
	v_fma_f64 v[208:209], v[222:223], v[228:229], v[208:209]
	ds_load_2addr_b64 v[220:223], v230 offset0:46 offset1:47
	v_add_f64 v[128:129], v[128:129], -v[136:137]
	v_add_f64 v[130:131], v[130:131], -v[208:209]
	;; [unrolled: 9-line block ×33, first 2 shown]
	s_waitcnt lgkmcnt(0)
	v_mul_f64 v[136:137], v[222:223], v[138:139]
	v_mul_f64 v[208:209], v[220:221], v[138:139]
	s_delay_alu instid0(VALU_DEP_2) | instskip(NEXT) | instid1(VALU_DEP_2)
	v_fma_f64 v[136:137], v[220:221], v[228:229], -v[136:137]
	v_fma_f64 v[208:209], v[222:223], v[228:229], v[208:209]
	s_delay_alu instid0(VALU_DEP_2) | instskip(NEXT) | instid1(VALU_DEP_2)
	v_add_f64 v[0:1], v[0:1], -v[136:137]
	v_add_f64 v[2:3], v[2:3], -v[208:209]
	v_dual_mov_b32 v136, v228 :: v_dual_mov_b32 v137, v229
.LBB108_441:
	s_or_b32 exec_lo, exec_lo, s2
	v_lshl_add_u32 v208, v236, 4, v230
	s_barrier
	buffer_gl0_inv
	v_mov_b32_e32 v228, 21
	ds_store_2addr_b64 v208, v[132:133], v[134:135] offset1:1
	s_waitcnt lgkmcnt(0)
	s_barrier
	buffer_gl0_inv
	ds_load_2addr_b64 v[220:223], v230 offset0:42 offset1:43
	s_cmp_lt_i32 s5, 23
	s_cbranch_scc1 .LBB108_444
; %bb.442:
	v_add3_u32 v229, v234, 0, 0x160
	v_mov_b32_e32 v228, 21
	s_mov_b32 s6, 22
	s_set_inst_prefetch_distance 0x1
	.p2align	6
.LBB108_443:                            ; =>This Inner Loop Header: Depth=1
	ds_load_2addr_b64 v[237:240], v229 offset1:1
	s_waitcnt lgkmcnt(1)
	v_cmp_gt_f64_e32 vcc_lo, 0, v[220:221]
	v_xor_b32_e32 v208, 0x80000000, v221
	v_cmp_gt_f64_e64 s2, 0, v[222:223]
	v_xor_b32_e32 v210, 0x80000000, v223
	v_add_nc_u32_e32 v229, 16, v229
	s_waitcnt lgkmcnt(0)
	v_cmp_gt_f64_e64 s3, 0, v[237:238]
	v_mov_b32_e32 v212, v237
	v_dual_mov_b32 v214, v239 :: v_dual_cndmask_b32 v209, v221, v208
	v_xor_b32_e32 v208, 0x80000000, v238
	v_cndmask_b32_e64 v211, v223, v210, s2
	v_xor_b32_e32 v210, 0x80000000, v240
	s_delay_alu instid0(VALU_DEP_3) | instskip(SKIP_2) | instid1(VALU_DEP_2)
	v_cndmask_b32_e64 v213, v238, v208, s3
	v_cmp_gt_f64_e64 s3, 0, v[239:240]
	v_cndmask_b32_e32 v208, v220, v220, vcc_lo
	v_cndmask_b32_e64 v215, v240, v210, s3
	v_cndmask_b32_e64 v210, v222, v222, s2
	s_delay_alu instid0(VALU_DEP_2) | instskip(NEXT) | instid1(VALU_DEP_2)
	v_add_f64 v[212:213], v[212:213], v[214:215]
	v_add_f64 v[208:209], v[208:209], v[210:211]
	s_delay_alu instid0(VALU_DEP_1) | instskip(SKIP_4) | instid1(SALU_CYCLE_1)
	v_cmp_lt_f64_e32 vcc_lo, v[208:209], v[212:213]
	v_dual_cndmask_b32 v221, v221, v238 :: v_dual_cndmask_b32 v220, v220, v237
	v_dual_cndmask_b32 v223, v223, v240 :: v_dual_cndmask_b32 v222, v222, v239
	v_cndmask_b32_e64 v228, v228, s6, vcc_lo
	s_add_i32 s6, s6, 1
	s_cmp_lg_u32 s5, s6
	s_cbranch_scc1 .LBB108_443
.LBB108_444:
	s_set_inst_prefetch_distance 0x2
	s_waitcnt lgkmcnt(0)
	v_cmp_eq_f64_e32 vcc_lo, 0, v[220:221]
	v_cmp_eq_f64_e64 s2, 0, v[222:223]
	s_delay_alu instid0(VALU_DEP_1) | instskip(NEXT) | instid1(SALU_CYCLE_1)
	s_and_b32 s2, vcc_lo, s2
	s_and_saveexec_b32 s3, s2
	s_delay_alu instid0(SALU_CYCLE_1)
	s_xor_b32 s2, exec_lo, s3
; %bb.445:
	v_cmp_ne_u32_e32 vcc_lo, 0, v233
	v_cndmask_b32_e32 v233, 22, v233, vcc_lo
; %bb.446:
	s_and_not1_saveexec_b32 s3, s2
	s_cbranch_execz .LBB108_452
; %bb.447:
	v_cmp_gt_f64_e32 vcc_lo, 0, v[220:221]
	v_cmp_gt_f64_e64 s2, 0, v[222:223]
	v_xor_b32_e32 v208, 0x80000000, v221
	v_xor_b32_e32 v210, 0x80000000, v223
	s_delay_alu instid0(VALU_DEP_2) | instskip(NEXT) | instid1(VALU_DEP_2)
	v_cndmask_b32_e32 v209, v221, v208, vcc_lo
	v_cndmask_b32_e64 v211, v223, v210, s2
	v_cndmask_b32_e32 v208, v220, v220, vcc_lo
	v_cndmask_b32_e64 v210, v222, v222, s2
	s_mov_b32 s2, exec_lo
	s_delay_alu instid0(VALU_DEP_1)
	v_cmpx_ngt_f64_e32 v[208:209], v[210:211]
	s_xor_b32 s2, exec_lo, s2
	s_cbranch_execz .LBB108_449
; %bb.448:
	v_div_scale_f64 v[208:209], null, v[222:223], v[222:223], v[220:221]
	v_div_scale_f64 v[214:215], vcc_lo, v[220:221], v[222:223], v[220:221]
	s_delay_alu instid0(VALU_DEP_2) | instskip(SKIP_2) | instid1(VALU_DEP_1)
	v_rcp_f64_e32 v[210:211], v[208:209]
	s_waitcnt_depctr 0xfff
	v_fma_f64 v[212:213], -v[208:209], v[210:211], 1.0
	v_fma_f64 v[210:211], v[210:211], v[212:213], v[210:211]
	s_delay_alu instid0(VALU_DEP_1) | instskip(NEXT) | instid1(VALU_DEP_1)
	v_fma_f64 v[212:213], -v[208:209], v[210:211], 1.0
	v_fma_f64 v[210:211], v[210:211], v[212:213], v[210:211]
	s_delay_alu instid0(VALU_DEP_1) | instskip(NEXT) | instid1(VALU_DEP_1)
	v_mul_f64 v[212:213], v[214:215], v[210:211]
	v_fma_f64 v[208:209], -v[208:209], v[212:213], v[214:215]
	s_delay_alu instid0(VALU_DEP_1) | instskip(NEXT) | instid1(VALU_DEP_1)
	v_div_fmas_f64 v[208:209], v[208:209], v[210:211], v[212:213]
	v_div_fixup_f64 v[208:209], v[208:209], v[222:223], v[220:221]
	s_delay_alu instid0(VALU_DEP_1) | instskip(NEXT) | instid1(VALU_DEP_1)
	v_fma_f64 v[210:211], v[220:221], v[208:209], v[222:223]
	v_div_scale_f64 v[212:213], null, v[210:211], v[210:211], 1.0
	s_delay_alu instid0(VALU_DEP_1) | instskip(SKIP_2) | instid1(VALU_DEP_1)
	v_rcp_f64_e32 v[214:215], v[212:213]
	s_waitcnt_depctr 0xfff
	v_fma_f64 v[220:221], -v[212:213], v[214:215], 1.0
	v_fma_f64 v[214:215], v[214:215], v[220:221], v[214:215]
	s_delay_alu instid0(VALU_DEP_1) | instskip(NEXT) | instid1(VALU_DEP_1)
	v_fma_f64 v[220:221], -v[212:213], v[214:215], 1.0
	v_fma_f64 v[214:215], v[214:215], v[220:221], v[214:215]
	v_div_scale_f64 v[220:221], vcc_lo, 1.0, v[210:211], 1.0
	s_delay_alu instid0(VALU_DEP_1) | instskip(NEXT) | instid1(VALU_DEP_1)
	v_mul_f64 v[222:223], v[220:221], v[214:215]
	v_fma_f64 v[212:213], -v[212:213], v[222:223], v[220:221]
	s_delay_alu instid0(VALU_DEP_1) | instskip(NEXT) | instid1(VALU_DEP_1)
	v_div_fmas_f64 v[212:213], v[212:213], v[214:215], v[222:223]
	v_div_fixup_f64 v[222:223], v[212:213], v[210:211], 1.0
	s_delay_alu instid0(VALU_DEP_1)
	v_mul_f64 v[220:221], v[208:209], v[222:223]
	v_xor_b32_e32 v223, 0x80000000, v223
.LBB108_449:
	s_and_not1_saveexec_b32 s2, s2
	s_cbranch_execz .LBB108_451
; %bb.450:
	s_delay_alu instid0(VALU_DEP_1) | instskip(SKIP_1) | instid1(VALU_DEP_2)
	v_div_scale_f64 v[208:209], null, v[220:221], v[220:221], v[222:223]
	v_div_scale_f64 v[214:215], vcc_lo, v[222:223], v[220:221], v[222:223]
	v_rcp_f64_e32 v[210:211], v[208:209]
	s_waitcnt_depctr 0xfff
	v_fma_f64 v[212:213], -v[208:209], v[210:211], 1.0
	s_delay_alu instid0(VALU_DEP_1) | instskip(NEXT) | instid1(VALU_DEP_1)
	v_fma_f64 v[210:211], v[210:211], v[212:213], v[210:211]
	v_fma_f64 v[212:213], -v[208:209], v[210:211], 1.0
	s_delay_alu instid0(VALU_DEP_1) | instskip(NEXT) | instid1(VALU_DEP_1)
	v_fma_f64 v[210:211], v[210:211], v[212:213], v[210:211]
	v_mul_f64 v[212:213], v[214:215], v[210:211]
	s_delay_alu instid0(VALU_DEP_1) | instskip(NEXT) | instid1(VALU_DEP_1)
	v_fma_f64 v[208:209], -v[208:209], v[212:213], v[214:215]
	v_div_fmas_f64 v[208:209], v[208:209], v[210:211], v[212:213]
	s_delay_alu instid0(VALU_DEP_1) | instskip(NEXT) | instid1(VALU_DEP_1)
	v_div_fixup_f64 v[208:209], v[208:209], v[220:221], v[222:223]
	v_fma_f64 v[210:211], v[222:223], v[208:209], v[220:221]
	s_delay_alu instid0(VALU_DEP_1) | instskip(NEXT) | instid1(VALU_DEP_1)
	v_div_scale_f64 v[212:213], null, v[210:211], v[210:211], 1.0
	v_rcp_f64_e32 v[214:215], v[212:213]
	s_waitcnt_depctr 0xfff
	v_fma_f64 v[220:221], -v[212:213], v[214:215], 1.0
	s_delay_alu instid0(VALU_DEP_1) | instskip(NEXT) | instid1(VALU_DEP_1)
	v_fma_f64 v[214:215], v[214:215], v[220:221], v[214:215]
	v_fma_f64 v[220:221], -v[212:213], v[214:215], 1.0
	s_delay_alu instid0(VALU_DEP_1) | instskip(SKIP_1) | instid1(VALU_DEP_1)
	v_fma_f64 v[214:215], v[214:215], v[220:221], v[214:215]
	v_div_scale_f64 v[220:221], vcc_lo, 1.0, v[210:211], 1.0
	v_mul_f64 v[222:223], v[220:221], v[214:215]
	s_delay_alu instid0(VALU_DEP_1) | instskip(NEXT) | instid1(VALU_DEP_1)
	v_fma_f64 v[212:213], -v[212:213], v[222:223], v[220:221]
	v_div_fmas_f64 v[212:213], v[212:213], v[214:215], v[222:223]
	s_delay_alu instid0(VALU_DEP_1) | instskip(NEXT) | instid1(VALU_DEP_1)
	v_div_fixup_f64 v[220:221], v[212:213], v[210:211], 1.0
	v_mul_f64 v[222:223], v[208:209], -v[220:221]
.LBB108_451:
	s_or_b32 exec_lo, exec_lo, s2
.LBB108_452:
	s_delay_alu instid0(SALU_CYCLE_1) | instskip(NEXT) | instid1(SALU_CYCLE_1)
	s_or_b32 exec_lo, exec_lo, s3
	s_mov_b32 s2, exec_lo
	v_cmpx_ne_u32_e64 v236, v228
	s_xor_b32 s2, exec_lo, s2
	s_cbranch_execz .LBB108_458
; %bb.453:
	s_mov_b32 s3, exec_lo
	v_cmpx_eq_u32_e32 21, v236
	s_cbranch_execz .LBB108_457
; %bb.454:
	v_cmp_ne_u32_e32 vcc_lo, 21, v228
	s_xor_b32 s6, s4, -1
	s_delay_alu instid0(SALU_CYCLE_1) | instskip(NEXT) | instid1(SALU_CYCLE_1)
	s_and_b32 s7, s6, vcc_lo
	s_and_saveexec_b32 s6, s7
	s_cbranch_execz .LBB108_456
; %bb.455:
	v_ashrrev_i32_e32 v229, 31, v228
	s_delay_alu instid0(VALU_DEP_1) | instskip(NEXT) | instid1(VALU_DEP_1)
	v_lshlrev_b64 v[208:209], 2, v[228:229]
	v_add_co_u32 v208, vcc_lo, v231, v208
	s_delay_alu instid0(VALU_DEP_2)
	v_add_co_ci_u32_e32 v209, vcc_lo, v232, v209, vcc_lo
	s_clause 0x1
	flat_load_b32 v210, v[208:209]
	flat_load_b32 v211, v[231:232] offset:84
	s_waitcnt vmcnt(1) lgkmcnt(1)
	flat_store_b32 v[231:232], v210 offset:84
	s_waitcnt vmcnt(0) lgkmcnt(1)
	flat_store_b32 v[208:209], v211
.LBB108_456:
	s_or_b32 exec_lo, exec_lo, s6
	v_mov_b32_e32 v236, v228
	v_mov_b32_e32 v227, v228
.LBB108_457:
	s_or_b32 exec_lo, exec_lo, s3
.LBB108_458:
	s_and_not1_saveexec_b32 s2, s2
	s_cbranch_execz .LBB108_460
; %bb.459:
	v_mov_b32_e32 v236, 21
	ds_store_2addr_b64 v230, v[128:129], v[130:131] offset0:44 offset1:45
	ds_store_2addr_b64 v230, v[124:125], v[126:127] offset0:46 offset1:47
	ds_store_2addr_b64 v230, v[120:121], v[122:123] offset0:48 offset1:49
	ds_store_2addr_b64 v230, v[116:117], v[118:119] offset0:50 offset1:51
	ds_store_2addr_b64 v230, v[112:113], v[114:115] offset0:52 offset1:53
	ds_store_2addr_b64 v230, v[108:109], v[110:111] offset0:54 offset1:55
	ds_store_2addr_b64 v230, v[104:105], v[106:107] offset0:56 offset1:57
	ds_store_2addr_b64 v230, v[100:101], v[102:103] offset0:58 offset1:59
	ds_store_2addr_b64 v230, v[96:97], v[98:99] offset0:60 offset1:61
	ds_store_2addr_b64 v230, v[92:93], v[94:95] offset0:62 offset1:63
	ds_store_2addr_b64 v230, v[88:89], v[90:91] offset0:64 offset1:65
	ds_store_2addr_b64 v230, v[84:85], v[86:87] offset0:66 offset1:67
	ds_store_2addr_b64 v230, v[80:81], v[82:83] offset0:68 offset1:69
	ds_store_2addr_b64 v230, v[76:77], v[78:79] offset0:70 offset1:71
	ds_store_2addr_b64 v230, v[72:73], v[74:75] offset0:72 offset1:73
	ds_store_2addr_b64 v230, v[68:69], v[70:71] offset0:74 offset1:75
	ds_store_2addr_b64 v230, v[64:65], v[66:67] offset0:76 offset1:77
	ds_store_2addr_b64 v230, v[60:61], v[62:63] offset0:78 offset1:79
	ds_store_2addr_b64 v230, v[56:57], v[58:59] offset0:80 offset1:81
	ds_store_2addr_b64 v230, v[52:53], v[54:55] offset0:82 offset1:83
	ds_store_2addr_b64 v230, v[48:49], v[50:51] offset0:84 offset1:85
	ds_store_2addr_b64 v230, v[44:45], v[46:47] offset0:86 offset1:87
	ds_store_2addr_b64 v230, v[40:41], v[42:43] offset0:88 offset1:89
	ds_store_2addr_b64 v230, v[36:37], v[38:39] offset0:90 offset1:91
	ds_store_2addr_b64 v230, v[32:33], v[34:35] offset0:92 offset1:93
	ds_store_2addr_b64 v230, v[28:29], v[30:31] offset0:94 offset1:95
	ds_store_2addr_b64 v230, v[24:25], v[26:27] offset0:96 offset1:97
	ds_store_2addr_b64 v230, v[20:21], v[22:23] offset0:98 offset1:99
	ds_store_2addr_b64 v230, v[16:17], v[18:19] offset0:100 offset1:101
	ds_store_2addr_b64 v230, v[12:13], v[14:15] offset0:102 offset1:103
	ds_store_2addr_b64 v230, v[8:9], v[10:11] offset0:104 offset1:105
	ds_store_2addr_b64 v230, v[4:5], v[6:7] offset0:106 offset1:107
	ds_store_2addr_b64 v230, v[0:1], v[2:3] offset0:108 offset1:109
.LBB108_460:
	s_or_b32 exec_lo, exec_lo, s2
	s_delay_alu instid0(SALU_CYCLE_1)
	s_mov_b32 s2, exec_lo
	s_waitcnt lgkmcnt(0)
	s_waitcnt_vscnt null, 0x0
	s_barrier
	buffer_gl0_inv
	v_cmpx_lt_i32_e32 21, v236
	s_cbranch_execz .LBB108_462
; %bb.461:
	v_mul_f64 v[208:209], v[222:223], v[134:135]
	v_mul_f64 v[134:135], v[220:221], v[134:135]
	s_delay_alu instid0(VALU_DEP_2) | instskip(NEXT) | instid1(VALU_DEP_2)
	v_fma_f64 v[228:229], v[220:221], v[132:133], -v[208:209]
	v_fma_f64 v[134:135], v[222:223], v[132:133], v[134:135]
	ds_load_2addr_b64 v[220:223], v230 offset0:44 offset1:45
	s_waitcnt lgkmcnt(0)
	v_mul_f64 v[132:133], v[222:223], v[134:135]
	v_mul_f64 v[208:209], v[220:221], v[134:135]
	s_delay_alu instid0(VALU_DEP_2) | instskip(NEXT) | instid1(VALU_DEP_2)
	v_fma_f64 v[132:133], v[220:221], v[228:229], -v[132:133]
	v_fma_f64 v[208:209], v[222:223], v[228:229], v[208:209]
	ds_load_2addr_b64 v[220:223], v230 offset0:46 offset1:47
	v_add_f64 v[128:129], v[128:129], -v[132:133]
	v_add_f64 v[130:131], v[130:131], -v[208:209]
	s_waitcnt lgkmcnt(0)
	v_mul_f64 v[132:133], v[222:223], v[134:135]
	v_mul_f64 v[208:209], v[220:221], v[134:135]
	s_delay_alu instid0(VALU_DEP_2) | instskip(NEXT) | instid1(VALU_DEP_2)
	v_fma_f64 v[132:133], v[220:221], v[228:229], -v[132:133]
	v_fma_f64 v[208:209], v[222:223], v[228:229], v[208:209]
	ds_load_2addr_b64 v[220:223], v230 offset0:48 offset1:49
	v_add_f64 v[124:125], v[124:125], -v[132:133]
	v_add_f64 v[126:127], v[126:127], -v[208:209]
	;; [unrolled: 9-line block ×32, first 2 shown]
	s_waitcnt lgkmcnt(0)
	v_mul_f64 v[132:133], v[222:223], v[134:135]
	v_mul_f64 v[208:209], v[220:221], v[134:135]
	s_delay_alu instid0(VALU_DEP_2) | instskip(NEXT) | instid1(VALU_DEP_2)
	v_fma_f64 v[132:133], v[220:221], v[228:229], -v[132:133]
	v_fma_f64 v[208:209], v[222:223], v[228:229], v[208:209]
	s_delay_alu instid0(VALU_DEP_2) | instskip(NEXT) | instid1(VALU_DEP_2)
	v_add_f64 v[0:1], v[0:1], -v[132:133]
	v_add_f64 v[2:3], v[2:3], -v[208:209]
	v_dual_mov_b32 v132, v228 :: v_dual_mov_b32 v133, v229
.LBB108_462:
	s_or_b32 exec_lo, exec_lo, s2
	v_lshl_add_u32 v208, v236, 4, v230
	s_barrier
	buffer_gl0_inv
	v_mov_b32_e32 v228, 22
	ds_store_2addr_b64 v208, v[128:129], v[130:131] offset1:1
	s_waitcnt lgkmcnt(0)
	s_barrier
	buffer_gl0_inv
	ds_load_2addr_b64 v[220:223], v230 offset0:44 offset1:45
	s_cmp_lt_i32 s5, 24
	s_cbranch_scc1 .LBB108_465
; %bb.463:
	v_add3_u32 v229, v234, 0, 0x170
	v_mov_b32_e32 v228, 22
	s_mov_b32 s6, 23
	s_set_inst_prefetch_distance 0x1
	.p2align	6
.LBB108_464:                            ; =>This Inner Loop Header: Depth=1
	ds_load_2addr_b64 v[237:240], v229 offset1:1
	s_waitcnt lgkmcnt(1)
	v_cmp_gt_f64_e32 vcc_lo, 0, v[220:221]
	v_xor_b32_e32 v208, 0x80000000, v221
	v_cmp_gt_f64_e64 s2, 0, v[222:223]
	v_xor_b32_e32 v210, 0x80000000, v223
	v_add_nc_u32_e32 v229, 16, v229
	s_waitcnt lgkmcnt(0)
	v_cmp_gt_f64_e64 s3, 0, v[237:238]
	v_mov_b32_e32 v212, v237
	v_dual_mov_b32 v214, v239 :: v_dual_cndmask_b32 v209, v221, v208
	v_xor_b32_e32 v208, 0x80000000, v238
	v_cndmask_b32_e64 v211, v223, v210, s2
	v_xor_b32_e32 v210, 0x80000000, v240
	s_delay_alu instid0(VALU_DEP_3) | instskip(SKIP_2) | instid1(VALU_DEP_2)
	v_cndmask_b32_e64 v213, v238, v208, s3
	v_cmp_gt_f64_e64 s3, 0, v[239:240]
	v_cndmask_b32_e32 v208, v220, v220, vcc_lo
	v_cndmask_b32_e64 v215, v240, v210, s3
	v_cndmask_b32_e64 v210, v222, v222, s2
	s_delay_alu instid0(VALU_DEP_2) | instskip(NEXT) | instid1(VALU_DEP_2)
	v_add_f64 v[212:213], v[212:213], v[214:215]
	v_add_f64 v[208:209], v[208:209], v[210:211]
	s_delay_alu instid0(VALU_DEP_1) | instskip(SKIP_4) | instid1(SALU_CYCLE_1)
	v_cmp_lt_f64_e32 vcc_lo, v[208:209], v[212:213]
	v_dual_cndmask_b32 v221, v221, v238 :: v_dual_cndmask_b32 v220, v220, v237
	v_dual_cndmask_b32 v223, v223, v240 :: v_dual_cndmask_b32 v222, v222, v239
	v_cndmask_b32_e64 v228, v228, s6, vcc_lo
	s_add_i32 s6, s6, 1
	s_cmp_lg_u32 s5, s6
	s_cbranch_scc1 .LBB108_464
.LBB108_465:
	s_set_inst_prefetch_distance 0x2
	s_waitcnt lgkmcnt(0)
	v_cmp_eq_f64_e32 vcc_lo, 0, v[220:221]
	v_cmp_eq_f64_e64 s2, 0, v[222:223]
	s_delay_alu instid0(VALU_DEP_1) | instskip(NEXT) | instid1(SALU_CYCLE_1)
	s_and_b32 s2, vcc_lo, s2
	s_and_saveexec_b32 s3, s2
	s_delay_alu instid0(SALU_CYCLE_1)
	s_xor_b32 s2, exec_lo, s3
; %bb.466:
	v_cmp_ne_u32_e32 vcc_lo, 0, v233
	v_cndmask_b32_e32 v233, 23, v233, vcc_lo
; %bb.467:
	s_and_not1_saveexec_b32 s3, s2
	s_cbranch_execz .LBB108_473
; %bb.468:
	v_cmp_gt_f64_e32 vcc_lo, 0, v[220:221]
	v_cmp_gt_f64_e64 s2, 0, v[222:223]
	v_xor_b32_e32 v208, 0x80000000, v221
	v_xor_b32_e32 v210, 0x80000000, v223
	s_delay_alu instid0(VALU_DEP_2) | instskip(NEXT) | instid1(VALU_DEP_2)
	v_cndmask_b32_e32 v209, v221, v208, vcc_lo
	v_cndmask_b32_e64 v211, v223, v210, s2
	v_cndmask_b32_e32 v208, v220, v220, vcc_lo
	v_cndmask_b32_e64 v210, v222, v222, s2
	s_mov_b32 s2, exec_lo
	s_delay_alu instid0(VALU_DEP_1)
	v_cmpx_ngt_f64_e32 v[208:209], v[210:211]
	s_xor_b32 s2, exec_lo, s2
	s_cbranch_execz .LBB108_470
; %bb.469:
	v_div_scale_f64 v[208:209], null, v[222:223], v[222:223], v[220:221]
	v_div_scale_f64 v[214:215], vcc_lo, v[220:221], v[222:223], v[220:221]
	s_delay_alu instid0(VALU_DEP_2) | instskip(SKIP_2) | instid1(VALU_DEP_1)
	v_rcp_f64_e32 v[210:211], v[208:209]
	s_waitcnt_depctr 0xfff
	v_fma_f64 v[212:213], -v[208:209], v[210:211], 1.0
	v_fma_f64 v[210:211], v[210:211], v[212:213], v[210:211]
	s_delay_alu instid0(VALU_DEP_1) | instskip(NEXT) | instid1(VALU_DEP_1)
	v_fma_f64 v[212:213], -v[208:209], v[210:211], 1.0
	v_fma_f64 v[210:211], v[210:211], v[212:213], v[210:211]
	s_delay_alu instid0(VALU_DEP_1) | instskip(NEXT) | instid1(VALU_DEP_1)
	v_mul_f64 v[212:213], v[214:215], v[210:211]
	v_fma_f64 v[208:209], -v[208:209], v[212:213], v[214:215]
	s_delay_alu instid0(VALU_DEP_1) | instskip(NEXT) | instid1(VALU_DEP_1)
	v_div_fmas_f64 v[208:209], v[208:209], v[210:211], v[212:213]
	v_div_fixup_f64 v[208:209], v[208:209], v[222:223], v[220:221]
	s_delay_alu instid0(VALU_DEP_1) | instskip(NEXT) | instid1(VALU_DEP_1)
	v_fma_f64 v[210:211], v[220:221], v[208:209], v[222:223]
	v_div_scale_f64 v[212:213], null, v[210:211], v[210:211], 1.0
	s_delay_alu instid0(VALU_DEP_1) | instskip(SKIP_2) | instid1(VALU_DEP_1)
	v_rcp_f64_e32 v[214:215], v[212:213]
	s_waitcnt_depctr 0xfff
	v_fma_f64 v[220:221], -v[212:213], v[214:215], 1.0
	v_fma_f64 v[214:215], v[214:215], v[220:221], v[214:215]
	s_delay_alu instid0(VALU_DEP_1) | instskip(NEXT) | instid1(VALU_DEP_1)
	v_fma_f64 v[220:221], -v[212:213], v[214:215], 1.0
	v_fma_f64 v[214:215], v[214:215], v[220:221], v[214:215]
	v_div_scale_f64 v[220:221], vcc_lo, 1.0, v[210:211], 1.0
	s_delay_alu instid0(VALU_DEP_1) | instskip(NEXT) | instid1(VALU_DEP_1)
	v_mul_f64 v[222:223], v[220:221], v[214:215]
	v_fma_f64 v[212:213], -v[212:213], v[222:223], v[220:221]
	s_delay_alu instid0(VALU_DEP_1) | instskip(NEXT) | instid1(VALU_DEP_1)
	v_div_fmas_f64 v[212:213], v[212:213], v[214:215], v[222:223]
	v_div_fixup_f64 v[222:223], v[212:213], v[210:211], 1.0
	s_delay_alu instid0(VALU_DEP_1)
	v_mul_f64 v[220:221], v[208:209], v[222:223]
	v_xor_b32_e32 v223, 0x80000000, v223
.LBB108_470:
	s_and_not1_saveexec_b32 s2, s2
	s_cbranch_execz .LBB108_472
; %bb.471:
	s_delay_alu instid0(VALU_DEP_1) | instskip(SKIP_1) | instid1(VALU_DEP_2)
	v_div_scale_f64 v[208:209], null, v[220:221], v[220:221], v[222:223]
	v_div_scale_f64 v[214:215], vcc_lo, v[222:223], v[220:221], v[222:223]
	v_rcp_f64_e32 v[210:211], v[208:209]
	s_waitcnt_depctr 0xfff
	v_fma_f64 v[212:213], -v[208:209], v[210:211], 1.0
	s_delay_alu instid0(VALU_DEP_1) | instskip(NEXT) | instid1(VALU_DEP_1)
	v_fma_f64 v[210:211], v[210:211], v[212:213], v[210:211]
	v_fma_f64 v[212:213], -v[208:209], v[210:211], 1.0
	s_delay_alu instid0(VALU_DEP_1) | instskip(NEXT) | instid1(VALU_DEP_1)
	v_fma_f64 v[210:211], v[210:211], v[212:213], v[210:211]
	v_mul_f64 v[212:213], v[214:215], v[210:211]
	s_delay_alu instid0(VALU_DEP_1) | instskip(NEXT) | instid1(VALU_DEP_1)
	v_fma_f64 v[208:209], -v[208:209], v[212:213], v[214:215]
	v_div_fmas_f64 v[208:209], v[208:209], v[210:211], v[212:213]
	s_delay_alu instid0(VALU_DEP_1) | instskip(NEXT) | instid1(VALU_DEP_1)
	v_div_fixup_f64 v[208:209], v[208:209], v[220:221], v[222:223]
	v_fma_f64 v[210:211], v[222:223], v[208:209], v[220:221]
	s_delay_alu instid0(VALU_DEP_1) | instskip(NEXT) | instid1(VALU_DEP_1)
	v_div_scale_f64 v[212:213], null, v[210:211], v[210:211], 1.0
	v_rcp_f64_e32 v[214:215], v[212:213]
	s_waitcnt_depctr 0xfff
	v_fma_f64 v[220:221], -v[212:213], v[214:215], 1.0
	s_delay_alu instid0(VALU_DEP_1) | instskip(NEXT) | instid1(VALU_DEP_1)
	v_fma_f64 v[214:215], v[214:215], v[220:221], v[214:215]
	v_fma_f64 v[220:221], -v[212:213], v[214:215], 1.0
	s_delay_alu instid0(VALU_DEP_1) | instskip(SKIP_1) | instid1(VALU_DEP_1)
	v_fma_f64 v[214:215], v[214:215], v[220:221], v[214:215]
	v_div_scale_f64 v[220:221], vcc_lo, 1.0, v[210:211], 1.0
	v_mul_f64 v[222:223], v[220:221], v[214:215]
	s_delay_alu instid0(VALU_DEP_1) | instskip(NEXT) | instid1(VALU_DEP_1)
	v_fma_f64 v[212:213], -v[212:213], v[222:223], v[220:221]
	v_div_fmas_f64 v[212:213], v[212:213], v[214:215], v[222:223]
	s_delay_alu instid0(VALU_DEP_1) | instskip(NEXT) | instid1(VALU_DEP_1)
	v_div_fixup_f64 v[220:221], v[212:213], v[210:211], 1.0
	v_mul_f64 v[222:223], v[208:209], -v[220:221]
.LBB108_472:
	s_or_b32 exec_lo, exec_lo, s2
.LBB108_473:
	s_delay_alu instid0(SALU_CYCLE_1) | instskip(NEXT) | instid1(SALU_CYCLE_1)
	s_or_b32 exec_lo, exec_lo, s3
	s_mov_b32 s2, exec_lo
	v_cmpx_ne_u32_e64 v236, v228
	s_xor_b32 s2, exec_lo, s2
	s_cbranch_execz .LBB108_479
; %bb.474:
	s_mov_b32 s3, exec_lo
	v_cmpx_eq_u32_e32 22, v236
	s_cbranch_execz .LBB108_478
; %bb.475:
	v_cmp_ne_u32_e32 vcc_lo, 22, v228
	s_xor_b32 s6, s4, -1
	s_delay_alu instid0(SALU_CYCLE_1) | instskip(NEXT) | instid1(SALU_CYCLE_1)
	s_and_b32 s7, s6, vcc_lo
	s_and_saveexec_b32 s6, s7
	s_cbranch_execz .LBB108_477
; %bb.476:
	v_ashrrev_i32_e32 v229, 31, v228
	s_delay_alu instid0(VALU_DEP_1) | instskip(NEXT) | instid1(VALU_DEP_1)
	v_lshlrev_b64 v[208:209], 2, v[228:229]
	v_add_co_u32 v208, vcc_lo, v231, v208
	s_delay_alu instid0(VALU_DEP_2)
	v_add_co_ci_u32_e32 v209, vcc_lo, v232, v209, vcc_lo
	s_clause 0x1
	flat_load_b32 v210, v[208:209]
	flat_load_b32 v211, v[231:232] offset:88
	s_waitcnt vmcnt(1) lgkmcnt(1)
	flat_store_b32 v[231:232], v210 offset:88
	s_waitcnt vmcnt(0) lgkmcnt(1)
	flat_store_b32 v[208:209], v211
.LBB108_477:
	s_or_b32 exec_lo, exec_lo, s6
	v_mov_b32_e32 v236, v228
	v_mov_b32_e32 v227, v228
.LBB108_478:
	s_or_b32 exec_lo, exec_lo, s3
.LBB108_479:
	s_and_not1_saveexec_b32 s2, s2
	s_cbranch_execz .LBB108_481
; %bb.480:
	v_mov_b32_e32 v236, 22
	ds_store_2addr_b64 v230, v[124:125], v[126:127] offset0:46 offset1:47
	ds_store_2addr_b64 v230, v[120:121], v[122:123] offset0:48 offset1:49
	;; [unrolled: 1-line block ×32, first 2 shown]
.LBB108_481:
	s_or_b32 exec_lo, exec_lo, s2
	s_delay_alu instid0(SALU_CYCLE_1)
	s_mov_b32 s2, exec_lo
	s_waitcnt lgkmcnt(0)
	s_waitcnt_vscnt null, 0x0
	s_barrier
	buffer_gl0_inv
	v_cmpx_lt_i32_e32 22, v236
	s_cbranch_execz .LBB108_483
; %bb.482:
	v_mul_f64 v[208:209], v[222:223], v[130:131]
	v_mul_f64 v[130:131], v[220:221], v[130:131]
	s_delay_alu instid0(VALU_DEP_2) | instskip(NEXT) | instid1(VALU_DEP_2)
	v_fma_f64 v[228:229], v[220:221], v[128:129], -v[208:209]
	v_fma_f64 v[130:131], v[222:223], v[128:129], v[130:131]
	ds_load_2addr_b64 v[220:223], v230 offset0:46 offset1:47
	s_waitcnt lgkmcnt(0)
	v_mul_f64 v[128:129], v[222:223], v[130:131]
	v_mul_f64 v[208:209], v[220:221], v[130:131]
	s_delay_alu instid0(VALU_DEP_2) | instskip(NEXT) | instid1(VALU_DEP_2)
	v_fma_f64 v[128:129], v[220:221], v[228:229], -v[128:129]
	v_fma_f64 v[208:209], v[222:223], v[228:229], v[208:209]
	ds_load_2addr_b64 v[220:223], v230 offset0:48 offset1:49
	v_add_f64 v[124:125], v[124:125], -v[128:129]
	v_add_f64 v[126:127], v[126:127], -v[208:209]
	s_waitcnt lgkmcnt(0)
	v_mul_f64 v[128:129], v[222:223], v[130:131]
	v_mul_f64 v[208:209], v[220:221], v[130:131]
	s_delay_alu instid0(VALU_DEP_2) | instskip(NEXT) | instid1(VALU_DEP_2)
	v_fma_f64 v[128:129], v[220:221], v[228:229], -v[128:129]
	v_fma_f64 v[208:209], v[222:223], v[228:229], v[208:209]
	ds_load_2addr_b64 v[220:223], v230 offset0:50 offset1:51
	v_add_f64 v[120:121], v[120:121], -v[128:129]
	v_add_f64 v[122:123], v[122:123], -v[208:209]
	;; [unrolled: 9-line block ×31, first 2 shown]
	s_waitcnt lgkmcnt(0)
	v_mul_f64 v[128:129], v[222:223], v[130:131]
	v_mul_f64 v[208:209], v[220:221], v[130:131]
	s_delay_alu instid0(VALU_DEP_2) | instskip(NEXT) | instid1(VALU_DEP_2)
	v_fma_f64 v[128:129], v[220:221], v[228:229], -v[128:129]
	v_fma_f64 v[208:209], v[222:223], v[228:229], v[208:209]
	s_delay_alu instid0(VALU_DEP_2) | instskip(NEXT) | instid1(VALU_DEP_2)
	v_add_f64 v[0:1], v[0:1], -v[128:129]
	v_add_f64 v[2:3], v[2:3], -v[208:209]
	v_dual_mov_b32 v128, v228 :: v_dual_mov_b32 v129, v229
.LBB108_483:
	s_or_b32 exec_lo, exec_lo, s2
	v_lshl_add_u32 v208, v236, 4, v230
	s_barrier
	buffer_gl0_inv
	v_mov_b32_e32 v228, 23
	ds_store_2addr_b64 v208, v[124:125], v[126:127] offset1:1
	s_waitcnt lgkmcnt(0)
	s_barrier
	buffer_gl0_inv
	ds_load_2addr_b64 v[220:223], v230 offset0:46 offset1:47
	s_cmp_lt_i32 s5, 25
	s_cbranch_scc1 .LBB108_486
; %bb.484:
	v_add3_u32 v229, v234, 0, 0x180
	v_mov_b32_e32 v228, 23
	s_mov_b32 s6, 24
	s_set_inst_prefetch_distance 0x1
	.p2align	6
.LBB108_485:                            ; =>This Inner Loop Header: Depth=1
	ds_load_2addr_b64 v[237:240], v229 offset1:1
	s_waitcnt lgkmcnt(1)
	v_cmp_gt_f64_e32 vcc_lo, 0, v[220:221]
	v_xor_b32_e32 v208, 0x80000000, v221
	v_cmp_gt_f64_e64 s2, 0, v[222:223]
	v_xor_b32_e32 v210, 0x80000000, v223
	v_add_nc_u32_e32 v229, 16, v229
	s_waitcnt lgkmcnt(0)
	v_cmp_gt_f64_e64 s3, 0, v[237:238]
	v_mov_b32_e32 v212, v237
	v_dual_mov_b32 v214, v239 :: v_dual_cndmask_b32 v209, v221, v208
	v_xor_b32_e32 v208, 0x80000000, v238
	v_cndmask_b32_e64 v211, v223, v210, s2
	v_xor_b32_e32 v210, 0x80000000, v240
	s_delay_alu instid0(VALU_DEP_3) | instskip(SKIP_2) | instid1(VALU_DEP_2)
	v_cndmask_b32_e64 v213, v238, v208, s3
	v_cmp_gt_f64_e64 s3, 0, v[239:240]
	v_cndmask_b32_e32 v208, v220, v220, vcc_lo
	v_cndmask_b32_e64 v215, v240, v210, s3
	v_cndmask_b32_e64 v210, v222, v222, s2
	s_delay_alu instid0(VALU_DEP_2) | instskip(NEXT) | instid1(VALU_DEP_2)
	v_add_f64 v[212:213], v[212:213], v[214:215]
	v_add_f64 v[208:209], v[208:209], v[210:211]
	s_delay_alu instid0(VALU_DEP_1) | instskip(SKIP_4) | instid1(SALU_CYCLE_1)
	v_cmp_lt_f64_e32 vcc_lo, v[208:209], v[212:213]
	v_dual_cndmask_b32 v221, v221, v238 :: v_dual_cndmask_b32 v220, v220, v237
	v_dual_cndmask_b32 v223, v223, v240 :: v_dual_cndmask_b32 v222, v222, v239
	v_cndmask_b32_e64 v228, v228, s6, vcc_lo
	s_add_i32 s6, s6, 1
	s_cmp_lg_u32 s5, s6
	s_cbranch_scc1 .LBB108_485
.LBB108_486:
	s_set_inst_prefetch_distance 0x2
	s_waitcnt lgkmcnt(0)
	v_cmp_eq_f64_e32 vcc_lo, 0, v[220:221]
	v_cmp_eq_f64_e64 s2, 0, v[222:223]
	s_delay_alu instid0(VALU_DEP_1) | instskip(NEXT) | instid1(SALU_CYCLE_1)
	s_and_b32 s2, vcc_lo, s2
	s_and_saveexec_b32 s3, s2
	s_delay_alu instid0(SALU_CYCLE_1)
	s_xor_b32 s2, exec_lo, s3
; %bb.487:
	v_cmp_ne_u32_e32 vcc_lo, 0, v233
	v_cndmask_b32_e32 v233, 24, v233, vcc_lo
; %bb.488:
	s_and_not1_saveexec_b32 s3, s2
	s_cbranch_execz .LBB108_494
; %bb.489:
	v_cmp_gt_f64_e32 vcc_lo, 0, v[220:221]
	v_cmp_gt_f64_e64 s2, 0, v[222:223]
	v_xor_b32_e32 v208, 0x80000000, v221
	v_xor_b32_e32 v210, 0x80000000, v223
	s_delay_alu instid0(VALU_DEP_2) | instskip(NEXT) | instid1(VALU_DEP_2)
	v_cndmask_b32_e32 v209, v221, v208, vcc_lo
	v_cndmask_b32_e64 v211, v223, v210, s2
	v_cndmask_b32_e32 v208, v220, v220, vcc_lo
	v_cndmask_b32_e64 v210, v222, v222, s2
	s_mov_b32 s2, exec_lo
	s_delay_alu instid0(VALU_DEP_1)
	v_cmpx_ngt_f64_e32 v[208:209], v[210:211]
	s_xor_b32 s2, exec_lo, s2
	s_cbranch_execz .LBB108_491
; %bb.490:
	v_div_scale_f64 v[208:209], null, v[222:223], v[222:223], v[220:221]
	v_div_scale_f64 v[214:215], vcc_lo, v[220:221], v[222:223], v[220:221]
	s_delay_alu instid0(VALU_DEP_2) | instskip(SKIP_2) | instid1(VALU_DEP_1)
	v_rcp_f64_e32 v[210:211], v[208:209]
	s_waitcnt_depctr 0xfff
	v_fma_f64 v[212:213], -v[208:209], v[210:211], 1.0
	v_fma_f64 v[210:211], v[210:211], v[212:213], v[210:211]
	s_delay_alu instid0(VALU_DEP_1) | instskip(NEXT) | instid1(VALU_DEP_1)
	v_fma_f64 v[212:213], -v[208:209], v[210:211], 1.0
	v_fma_f64 v[210:211], v[210:211], v[212:213], v[210:211]
	s_delay_alu instid0(VALU_DEP_1) | instskip(NEXT) | instid1(VALU_DEP_1)
	v_mul_f64 v[212:213], v[214:215], v[210:211]
	v_fma_f64 v[208:209], -v[208:209], v[212:213], v[214:215]
	s_delay_alu instid0(VALU_DEP_1) | instskip(NEXT) | instid1(VALU_DEP_1)
	v_div_fmas_f64 v[208:209], v[208:209], v[210:211], v[212:213]
	v_div_fixup_f64 v[208:209], v[208:209], v[222:223], v[220:221]
	s_delay_alu instid0(VALU_DEP_1) | instskip(NEXT) | instid1(VALU_DEP_1)
	v_fma_f64 v[210:211], v[220:221], v[208:209], v[222:223]
	v_div_scale_f64 v[212:213], null, v[210:211], v[210:211], 1.0
	s_delay_alu instid0(VALU_DEP_1) | instskip(SKIP_2) | instid1(VALU_DEP_1)
	v_rcp_f64_e32 v[214:215], v[212:213]
	s_waitcnt_depctr 0xfff
	v_fma_f64 v[220:221], -v[212:213], v[214:215], 1.0
	v_fma_f64 v[214:215], v[214:215], v[220:221], v[214:215]
	s_delay_alu instid0(VALU_DEP_1) | instskip(NEXT) | instid1(VALU_DEP_1)
	v_fma_f64 v[220:221], -v[212:213], v[214:215], 1.0
	v_fma_f64 v[214:215], v[214:215], v[220:221], v[214:215]
	v_div_scale_f64 v[220:221], vcc_lo, 1.0, v[210:211], 1.0
	s_delay_alu instid0(VALU_DEP_1) | instskip(NEXT) | instid1(VALU_DEP_1)
	v_mul_f64 v[222:223], v[220:221], v[214:215]
	v_fma_f64 v[212:213], -v[212:213], v[222:223], v[220:221]
	s_delay_alu instid0(VALU_DEP_1) | instskip(NEXT) | instid1(VALU_DEP_1)
	v_div_fmas_f64 v[212:213], v[212:213], v[214:215], v[222:223]
	v_div_fixup_f64 v[222:223], v[212:213], v[210:211], 1.0
	s_delay_alu instid0(VALU_DEP_1)
	v_mul_f64 v[220:221], v[208:209], v[222:223]
	v_xor_b32_e32 v223, 0x80000000, v223
.LBB108_491:
	s_and_not1_saveexec_b32 s2, s2
	s_cbranch_execz .LBB108_493
; %bb.492:
	s_delay_alu instid0(VALU_DEP_1) | instskip(SKIP_1) | instid1(VALU_DEP_2)
	v_div_scale_f64 v[208:209], null, v[220:221], v[220:221], v[222:223]
	v_div_scale_f64 v[214:215], vcc_lo, v[222:223], v[220:221], v[222:223]
	v_rcp_f64_e32 v[210:211], v[208:209]
	s_waitcnt_depctr 0xfff
	v_fma_f64 v[212:213], -v[208:209], v[210:211], 1.0
	s_delay_alu instid0(VALU_DEP_1) | instskip(NEXT) | instid1(VALU_DEP_1)
	v_fma_f64 v[210:211], v[210:211], v[212:213], v[210:211]
	v_fma_f64 v[212:213], -v[208:209], v[210:211], 1.0
	s_delay_alu instid0(VALU_DEP_1) | instskip(NEXT) | instid1(VALU_DEP_1)
	v_fma_f64 v[210:211], v[210:211], v[212:213], v[210:211]
	v_mul_f64 v[212:213], v[214:215], v[210:211]
	s_delay_alu instid0(VALU_DEP_1) | instskip(NEXT) | instid1(VALU_DEP_1)
	v_fma_f64 v[208:209], -v[208:209], v[212:213], v[214:215]
	v_div_fmas_f64 v[208:209], v[208:209], v[210:211], v[212:213]
	s_delay_alu instid0(VALU_DEP_1) | instskip(NEXT) | instid1(VALU_DEP_1)
	v_div_fixup_f64 v[208:209], v[208:209], v[220:221], v[222:223]
	v_fma_f64 v[210:211], v[222:223], v[208:209], v[220:221]
	s_delay_alu instid0(VALU_DEP_1) | instskip(NEXT) | instid1(VALU_DEP_1)
	v_div_scale_f64 v[212:213], null, v[210:211], v[210:211], 1.0
	v_rcp_f64_e32 v[214:215], v[212:213]
	s_waitcnt_depctr 0xfff
	v_fma_f64 v[220:221], -v[212:213], v[214:215], 1.0
	s_delay_alu instid0(VALU_DEP_1) | instskip(NEXT) | instid1(VALU_DEP_1)
	v_fma_f64 v[214:215], v[214:215], v[220:221], v[214:215]
	v_fma_f64 v[220:221], -v[212:213], v[214:215], 1.0
	s_delay_alu instid0(VALU_DEP_1) | instskip(SKIP_1) | instid1(VALU_DEP_1)
	v_fma_f64 v[214:215], v[214:215], v[220:221], v[214:215]
	v_div_scale_f64 v[220:221], vcc_lo, 1.0, v[210:211], 1.0
	v_mul_f64 v[222:223], v[220:221], v[214:215]
	s_delay_alu instid0(VALU_DEP_1) | instskip(NEXT) | instid1(VALU_DEP_1)
	v_fma_f64 v[212:213], -v[212:213], v[222:223], v[220:221]
	v_div_fmas_f64 v[212:213], v[212:213], v[214:215], v[222:223]
	s_delay_alu instid0(VALU_DEP_1) | instskip(NEXT) | instid1(VALU_DEP_1)
	v_div_fixup_f64 v[220:221], v[212:213], v[210:211], 1.0
	v_mul_f64 v[222:223], v[208:209], -v[220:221]
.LBB108_493:
	s_or_b32 exec_lo, exec_lo, s2
.LBB108_494:
	s_delay_alu instid0(SALU_CYCLE_1) | instskip(NEXT) | instid1(SALU_CYCLE_1)
	s_or_b32 exec_lo, exec_lo, s3
	s_mov_b32 s2, exec_lo
	v_cmpx_ne_u32_e64 v236, v228
	s_xor_b32 s2, exec_lo, s2
	s_cbranch_execz .LBB108_500
; %bb.495:
	s_mov_b32 s3, exec_lo
	v_cmpx_eq_u32_e32 23, v236
	s_cbranch_execz .LBB108_499
; %bb.496:
	v_cmp_ne_u32_e32 vcc_lo, 23, v228
	s_xor_b32 s6, s4, -1
	s_delay_alu instid0(SALU_CYCLE_1) | instskip(NEXT) | instid1(SALU_CYCLE_1)
	s_and_b32 s7, s6, vcc_lo
	s_and_saveexec_b32 s6, s7
	s_cbranch_execz .LBB108_498
; %bb.497:
	v_ashrrev_i32_e32 v229, 31, v228
	s_delay_alu instid0(VALU_DEP_1) | instskip(NEXT) | instid1(VALU_DEP_1)
	v_lshlrev_b64 v[208:209], 2, v[228:229]
	v_add_co_u32 v208, vcc_lo, v231, v208
	s_delay_alu instid0(VALU_DEP_2)
	v_add_co_ci_u32_e32 v209, vcc_lo, v232, v209, vcc_lo
	s_clause 0x1
	flat_load_b32 v210, v[208:209]
	flat_load_b32 v211, v[231:232] offset:92
	s_waitcnt vmcnt(1) lgkmcnt(1)
	flat_store_b32 v[231:232], v210 offset:92
	s_waitcnt vmcnt(0) lgkmcnt(1)
	flat_store_b32 v[208:209], v211
.LBB108_498:
	s_or_b32 exec_lo, exec_lo, s6
	v_mov_b32_e32 v236, v228
	v_mov_b32_e32 v227, v228
.LBB108_499:
	s_or_b32 exec_lo, exec_lo, s3
.LBB108_500:
	s_and_not1_saveexec_b32 s2, s2
	s_cbranch_execz .LBB108_502
; %bb.501:
	v_mov_b32_e32 v236, 23
	ds_store_2addr_b64 v230, v[120:121], v[122:123] offset0:48 offset1:49
	ds_store_2addr_b64 v230, v[116:117], v[118:119] offset0:50 offset1:51
	;; [unrolled: 1-line block ×31, first 2 shown]
.LBB108_502:
	s_or_b32 exec_lo, exec_lo, s2
	s_delay_alu instid0(SALU_CYCLE_1)
	s_mov_b32 s2, exec_lo
	s_waitcnt lgkmcnt(0)
	s_waitcnt_vscnt null, 0x0
	s_barrier
	buffer_gl0_inv
	v_cmpx_lt_i32_e32 23, v236
	s_cbranch_execz .LBB108_504
; %bb.503:
	v_mul_f64 v[208:209], v[222:223], v[126:127]
	v_mul_f64 v[126:127], v[220:221], v[126:127]
	s_delay_alu instid0(VALU_DEP_2) | instskip(NEXT) | instid1(VALU_DEP_2)
	v_fma_f64 v[228:229], v[220:221], v[124:125], -v[208:209]
	v_fma_f64 v[126:127], v[222:223], v[124:125], v[126:127]
	ds_load_2addr_b64 v[220:223], v230 offset0:48 offset1:49
	s_waitcnt lgkmcnt(0)
	v_mul_f64 v[124:125], v[222:223], v[126:127]
	v_mul_f64 v[208:209], v[220:221], v[126:127]
	s_delay_alu instid0(VALU_DEP_2) | instskip(NEXT) | instid1(VALU_DEP_2)
	v_fma_f64 v[124:125], v[220:221], v[228:229], -v[124:125]
	v_fma_f64 v[208:209], v[222:223], v[228:229], v[208:209]
	ds_load_2addr_b64 v[220:223], v230 offset0:50 offset1:51
	v_add_f64 v[120:121], v[120:121], -v[124:125]
	v_add_f64 v[122:123], v[122:123], -v[208:209]
	s_waitcnt lgkmcnt(0)
	v_mul_f64 v[124:125], v[222:223], v[126:127]
	v_mul_f64 v[208:209], v[220:221], v[126:127]
	s_delay_alu instid0(VALU_DEP_2) | instskip(NEXT) | instid1(VALU_DEP_2)
	v_fma_f64 v[124:125], v[220:221], v[228:229], -v[124:125]
	v_fma_f64 v[208:209], v[222:223], v[228:229], v[208:209]
	ds_load_2addr_b64 v[220:223], v230 offset0:52 offset1:53
	v_add_f64 v[116:117], v[116:117], -v[124:125]
	v_add_f64 v[118:119], v[118:119], -v[208:209]
	;; [unrolled: 9-line block ×30, first 2 shown]
	s_waitcnt lgkmcnt(0)
	v_mul_f64 v[124:125], v[222:223], v[126:127]
	v_mul_f64 v[208:209], v[220:221], v[126:127]
	s_delay_alu instid0(VALU_DEP_2) | instskip(NEXT) | instid1(VALU_DEP_2)
	v_fma_f64 v[124:125], v[220:221], v[228:229], -v[124:125]
	v_fma_f64 v[208:209], v[222:223], v[228:229], v[208:209]
	s_delay_alu instid0(VALU_DEP_2) | instskip(NEXT) | instid1(VALU_DEP_2)
	v_add_f64 v[0:1], v[0:1], -v[124:125]
	v_add_f64 v[2:3], v[2:3], -v[208:209]
	v_dual_mov_b32 v124, v228 :: v_dual_mov_b32 v125, v229
.LBB108_504:
	s_or_b32 exec_lo, exec_lo, s2
	v_lshl_add_u32 v208, v236, 4, v230
	s_barrier
	buffer_gl0_inv
	v_mov_b32_e32 v228, 24
	ds_store_2addr_b64 v208, v[120:121], v[122:123] offset1:1
	s_waitcnt lgkmcnt(0)
	s_barrier
	buffer_gl0_inv
	ds_load_2addr_b64 v[220:223], v230 offset0:48 offset1:49
	s_cmp_lt_i32 s5, 26
	s_cbranch_scc1 .LBB108_507
; %bb.505:
	v_add3_u32 v229, v234, 0, 0x190
	v_mov_b32_e32 v228, 24
	s_mov_b32 s6, 25
	s_set_inst_prefetch_distance 0x1
	.p2align	6
.LBB108_506:                            ; =>This Inner Loop Header: Depth=1
	ds_load_2addr_b64 v[237:240], v229 offset1:1
	s_waitcnt lgkmcnt(1)
	v_cmp_gt_f64_e32 vcc_lo, 0, v[220:221]
	v_xor_b32_e32 v208, 0x80000000, v221
	v_cmp_gt_f64_e64 s2, 0, v[222:223]
	v_xor_b32_e32 v210, 0x80000000, v223
	v_add_nc_u32_e32 v229, 16, v229
	s_waitcnt lgkmcnt(0)
	v_cmp_gt_f64_e64 s3, 0, v[237:238]
	v_mov_b32_e32 v212, v237
	v_dual_mov_b32 v214, v239 :: v_dual_cndmask_b32 v209, v221, v208
	v_xor_b32_e32 v208, 0x80000000, v238
	v_cndmask_b32_e64 v211, v223, v210, s2
	v_xor_b32_e32 v210, 0x80000000, v240
	s_delay_alu instid0(VALU_DEP_3) | instskip(SKIP_2) | instid1(VALU_DEP_2)
	v_cndmask_b32_e64 v213, v238, v208, s3
	v_cmp_gt_f64_e64 s3, 0, v[239:240]
	v_cndmask_b32_e32 v208, v220, v220, vcc_lo
	v_cndmask_b32_e64 v215, v240, v210, s3
	v_cndmask_b32_e64 v210, v222, v222, s2
	s_delay_alu instid0(VALU_DEP_2) | instskip(NEXT) | instid1(VALU_DEP_2)
	v_add_f64 v[212:213], v[212:213], v[214:215]
	v_add_f64 v[208:209], v[208:209], v[210:211]
	s_delay_alu instid0(VALU_DEP_1) | instskip(SKIP_4) | instid1(SALU_CYCLE_1)
	v_cmp_lt_f64_e32 vcc_lo, v[208:209], v[212:213]
	v_dual_cndmask_b32 v221, v221, v238 :: v_dual_cndmask_b32 v220, v220, v237
	v_dual_cndmask_b32 v223, v223, v240 :: v_dual_cndmask_b32 v222, v222, v239
	v_cndmask_b32_e64 v228, v228, s6, vcc_lo
	s_add_i32 s6, s6, 1
	s_cmp_lg_u32 s5, s6
	s_cbranch_scc1 .LBB108_506
.LBB108_507:
	s_set_inst_prefetch_distance 0x2
	s_waitcnt lgkmcnt(0)
	v_cmp_eq_f64_e32 vcc_lo, 0, v[220:221]
	v_cmp_eq_f64_e64 s2, 0, v[222:223]
	s_delay_alu instid0(VALU_DEP_1) | instskip(NEXT) | instid1(SALU_CYCLE_1)
	s_and_b32 s2, vcc_lo, s2
	s_and_saveexec_b32 s3, s2
	s_delay_alu instid0(SALU_CYCLE_1)
	s_xor_b32 s2, exec_lo, s3
; %bb.508:
	v_cmp_ne_u32_e32 vcc_lo, 0, v233
	v_cndmask_b32_e32 v233, 25, v233, vcc_lo
; %bb.509:
	s_and_not1_saveexec_b32 s3, s2
	s_cbranch_execz .LBB108_515
; %bb.510:
	v_cmp_gt_f64_e32 vcc_lo, 0, v[220:221]
	v_cmp_gt_f64_e64 s2, 0, v[222:223]
	v_xor_b32_e32 v208, 0x80000000, v221
	v_xor_b32_e32 v210, 0x80000000, v223
	s_delay_alu instid0(VALU_DEP_2) | instskip(NEXT) | instid1(VALU_DEP_2)
	v_cndmask_b32_e32 v209, v221, v208, vcc_lo
	v_cndmask_b32_e64 v211, v223, v210, s2
	v_cndmask_b32_e32 v208, v220, v220, vcc_lo
	v_cndmask_b32_e64 v210, v222, v222, s2
	s_mov_b32 s2, exec_lo
	s_delay_alu instid0(VALU_DEP_1)
	v_cmpx_ngt_f64_e32 v[208:209], v[210:211]
	s_xor_b32 s2, exec_lo, s2
	s_cbranch_execz .LBB108_512
; %bb.511:
	v_div_scale_f64 v[208:209], null, v[222:223], v[222:223], v[220:221]
	v_div_scale_f64 v[214:215], vcc_lo, v[220:221], v[222:223], v[220:221]
	s_delay_alu instid0(VALU_DEP_2) | instskip(SKIP_2) | instid1(VALU_DEP_1)
	v_rcp_f64_e32 v[210:211], v[208:209]
	s_waitcnt_depctr 0xfff
	v_fma_f64 v[212:213], -v[208:209], v[210:211], 1.0
	v_fma_f64 v[210:211], v[210:211], v[212:213], v[210:211]
	s_delay_alu instid0(VALU_DEP_1) | instskip(NEXT) | instid1(VALU_DEP_1)
	v_fma_f64 v[212:213], -v[208:209], v[210:211], 1.0
	v_fma_f64 v[210:211], v[210:211], v[212:213], v[210:211]
	s_delay_alu instid0(VALU_DEP_1) | instskip(NEXT) | instid1(VALU_DEP_1)
	v_mul_f64 v[212:213], v[214:215], v[210:211]
	v_fma_f64 v[208:209], -v[208:209], v[212:213], v[214:215]
	s_delay_alu instid0(VALU_DEP_1) | instskip(NEXT) | instid1(VALU_DEP_1)
	v_div_fmas_f64 v[208:209], v[208:209], v[210:211], v[212:213]
	v_div_fixup_f64 v[208:209], v[208:209], v[222:223], v[220:221]
	s_delay_alu instid0(VALU_DEP_1) | instskip(NEXT) | instid1(VALU_DEP_1)
	v_fma_f64 v[210:211], v[220:221], v[208:209], v[222:223]
	v_div_scale_f64 v[212:213], null, v[210:211], v[210:211], 1.0
	s_delay_alu instid0(VALU_DEP_1) | instskip(SKIP_2) | instid1(VALU_DEP_1)
	v_rcp_f64_e32 v[214:215], v[212:213]
	s_waitcnt_depctr 0xfff
	v_fma_f64 v[220:221], -v[212:213], v[214:215], 1.0
	v_fma_f64 v[214:215], v[214:215], v[220:221], v[214:215]
	s_delay_alu instid0(VALU_DEP_1) | instskip(NEXT) | instid1(VALU_DEP_1)
	v_fma_f64 v[220:221], -v[212:213], v[214:215], 1.0
	v_fma_f64 v[214:215], v[214:215], v[220:221], v[214:215]
	v_div_scale_f64 v[220:221], vcc_lo, 1.0, v[210:211], 1.0
	s_delay_alu instid0(VALU_DEP_1) | instskip(NEXT) | instid1(VALU_DEP_1)
	v_mul_f64 v[222:223], v[220:221], v[214:215]
	v_fma_f64 v[212:213], -v[212:213], v[222:223], v[220:221]
	s_delay_alu instid0(VALU_DEP_1) | instskip(NEXT) | instid1(VALU_DEP_1)
	v_div_fmas_f64 v[212:213], v[212:213], v[214:215], v[222:223]
	v_div_fixup_f64 v[222:223], v[212:213], v[210:211], 1.0
	s_delay_alu instid0(VALU_DEP_1)
	v_mul_f64 v[220:221], v[208:209], v[222:223]
	v_xor_b32_e32 v223, 0x80000000, v223
.LBB108_512:
	s_and_not1_saveexec_b32 s2, s2
	s_cbranch_execz .LBB108_514
; %bb.513:
	s_delay_alu instid0(VALU_DEP_1) | instskip(SKIP_1) | instid1(VALU_DEP_2)
	v_div_scale_f64 v[208:209], null, v[220:221], v[220:221], v[222:223]
	v_div_scale_f64 v[214:215], vcc_lo, v[222:223], v[220:221], v[222:223]
	v_rcp_f64_e32 v[210:211], v[208:209]
	s_waitcnt_depctr 0xfff
	v_fma_f64 v[212:213], -v[208:209], v[210:211], 1.0
	s_delay_alu instid0(VALU_DEP_1) | instskip(NEXT) | instid1(VALU_DEP_1)
	v_fma_f64 v[210:211], v[210:211], v[212:213], v[210:211]
	v_fma_f64 v[212:213], -v[208:209], v[210:211], 1.0
	s_delay_alu instid0(VALU_DEP_1) | instskip(NEXT) | instid1(VALU_DEP_1)
	v_fma_f64 v[210:211], v[210:211], v[212:213], v[210:211]
	v_mul_f64 v[212:213], v[214:215], v[210:211]
	s_delay_alu instid0(VALU_DEP_1) | instskip(NEXT) | instid1(VALU_DEP_1)
	v_fma_f64 v[208:209], -v[208:209], v[212:213], v[214:215]
	v_div_fmas_f64 v[208:209], v[208:209], v[210:211], v[212:213]
	s_delay_alu instid0(VALU_DEP_1) | instskip(NEXT) | instid1(VALU_DEP_1)
	v_div_fixup_f64 v[208:209], v[208:209], v[220:221], v[222:223]
	v_fma_f64 v[210:211], v[222:223], v[208:209], v[220:221]
	s_delay_alu instid0(VALU_DEP_1) | instskip(NEXT) | instid1(VALU_DEP_1)
	v_div_scale_f64 v[212:213], null, v[210:211], v[210:211], 1.0
	v_rcp_f64_e32 v[214:215], v[212:213]
	s_waitcnt_depctr 0xfff
	v_fma_f64 v[220:221], -v[212:213], v[214:215], 1.0
	s_delay_alu instid0(VALU_DEP_1) | instskip(NEXT) | instid1(VALU_DEP_1)
	v_fma_f64 v[214:215], v[214:215], v[220:221], v[214:215]
	v_fma_f64 v[220:221], -v[212:213], v[214:215], 1.0
	s_delay_alu instid0(VALU_DEP_1) | instskip(SKIP_1) | instid1(VALU_DEP_1)
	v_fma_f64 v[214:215], v[214:215], v[220:221], v[214:215]
	v_div_scale_f64 v[220:221], vcc_lo, 1.0, v[210:211], 1.0
	v_mul_f64 v[222:223], v[220:221], v[214:215]
	s_delay_alu instid0(VALU_DEP_1) | instskip(NEXT) | instid1(VALU_DEP_1)
	v_fma_f64 v[212:213], -v[212:213], v[222:223], v[220:221]
	v_div_fmas_f64 v[212:213], v[212:213], v[214:215], v[222:223]
	s_delay_alu instid0(VALU_DEP_1) | instskip(NEXT) | instid1(VALU_DEP_1)
	v_div_fixup_f64 v[220:221], v[212:213], v[210:211], 1.0
	v_mul_f64 v[222:223], v[208:209], -v[220:221]
.LBB108_514:
	s_or_b32 exec_lo, exec_lo, s2
.LBB108_515:
	s_delay_alu instid0(SALU_CYCLE_1) | instskip(NEXT) | instid1(SALU_CYCLE_1)
	s_or_b32 exec_lo, exec_lo, s3
	s_mov_b32 s2, exec_lo
	v_cmpx_ne_u32_e64 v236, v228
	s_xor_b32 s2, exec_lo, s2
	s_cbranch_execz .LBB108_521
; %bb.516:
	s_mov_b32 s3, exec_lo
	v_cmpx_eq_u32_e32 24, v236
	s_cbranch_execz .LBB108_520
; %bb.517:
	v_cmp_ne_u32_e32 vcc_lo, 24, v228
	s_xor_b32 s6, s4, -1
	s_delay_alu instid0(SALU_CYCLE_1) | instskip(NEXT) | instid1(SALU_CYCLE_1)
	s_and_b32 s7, s6, vcc_lo
	s_and_saveexec_b32 s6, s7
	s_cbranch_execz .LBB108_519
; %bb.518:
	v_ashrrev_i32_e32 v229, 31, v228
	s_delay_alu instid0(VALU_DEP_1) | instskip(NEXT) | instid1(VALU_DEP_1)
	v_lshlrev_b64 v[208:209], 2, v[228:229]
	v_add_co_u32 v208, vcc_lo, v231, v208
	s_delay_alu instid0(VALU_DEP_2)
	v_add_co_ci_u32_e32 v209, vcc_lo, v232, v209, vcc_lo
	s_clause 0x1
	flat_load_b32 v210, v[208:209]
	flat_load_b32 v211, v[231:232] offset:96
	s_waitcnt vmcnt(1) lgkmcnt(1)
	flat_store_b32 v[231:232], v210 offset:96
	s_waitcnt vmcnt(0) lgkmcnt(1)
	flat_store_b32 v[208:209], v211
.LBB108_519:
	s_or_b32 exec_lo, exec_lo, s6
	v_mov_b32_e32 v236, v228
	v_mov_b32_e32 v227, v228
.LBB108_520:
	s_or_b32 exec_lo, exec_lo, s3
.LBB108_521:
	s_and_not1_saveexec_b32 s2, s2
	s_cbranch_execz .LBB108_523
; %bb.522:
	v_mov_b32_e32 v236, 24
	ds_store_2addr_b64 v230, v[116:117], v[118:119] offset0:50 offset1:51
	ds_store_2addr_b64 v230, v[112:113], v[114:115] offset0:52 offset1:53
	;; [unrolled: 1-line block ×30, first 2 shown]
.LBB108_523:
	s_or_b32 exec_lo, exec_lo, s2
	s_delay_alu instid0(SALU_CYCLE_1)
	s_mov_b32 s2, exec_lo
	s_waitcnt lgkmcnt(0)
	s_waitcnt_vscnt null, 0x0
	s_barrier
	buffer_gl0_inv
	v_cmpx_lt_i32_e32 24, v236
	s_cbranch_execz .LBB108_525
; %bb.524:
	v_mul_f64 v[208:209], v[222:223], v[122:123]
	v_mul_f64 v[122:123], v[220:221], v[122:123]
	s_delay_alu instid0(VALU_DEP_2) | instskip(NEXT) | instid1(VALU_DEP_2)
	v_fma_f64 v[228:229], v[220:221], v[120:121], -v[208:209]
	v_fma_f64 v[122:123], v[222:223], v[120:121], v[122:123]
	ds_load_2addr_b64 v[220:223], v230 offset0:50 offset1:51
	s_waitcnt lgkmcnt(0)
	v_mul_f64 v[120:121], v[222:223], v[122:123]
	v_mul_f64 v[208:209], v[220:221], v[122:123]
	s_delay_alu instid0(VALU_DEP_2) | instskip(NEXT) | instid1(VALU_DEP_2)
	v_fma_f64 v[120:121], v[220:221], v[228:229], -v[120:121]
	v_fma_f64 v[208:209], v[222:223], v[228:229], v[208:209]
	ds_load_2addr_b64 v[220:223], v230 offset0:52 offset1:53
	v_add_f64 v[116:117], v[116:117], -v[120:121]
	v_add_f64 v[118:119], v[118:119], -v[208:209]
	s_waitcnt lgkmcnt(0)
	v_mul_f64 v[120:121], v[222:223], v[122:123]
	v_mul_f64 v[208:209], v[220:221], v[122:123]
	s_delay_alu instid0(VALU_DEP_2) | instskip(NEXT) | instid1(VALU_DEP_2)
	v_fma_f64 v[120:121], v[220:221], v[228:229], -v[120:121]
	v_fma_f64 v[208:209], v[222:223], v[228:229], v[208:209]
	ds_load_2addr_b64 v[220:223], v230 offset0:54 offset1:55
	v_add_f64 v[112:113], v[112:113], -v[120:121]
	v_add_f64 v[114:115], v[114:115], -v[208:209]
	;; [unrolled: 9-line block ×29, first 2 shown]
	s_waitcnt lgkmcnt(0)
	v_mul_f64 v[120:121], v[222:223], v[122:123]
	v_mul_f64 v[208:209], v[220:221], v[122:123]
	s_delay_alu instid0(VALU_DEP_2) | instskip(NEXT) | instid1(VALU_DEP_2)
	v_fma_f64 v[120:121], v[220:221], v[228:229], -v[120:121]
	v_fma_f64 v[208:209], v[222:223], v[228:229], v[208:209]
	s_delay_alu instid0(VALU_DEP_2) | instskip(NEXT) | instid1(VALU_DEP_2)
	v_add_f64 v[0:1], v[0:1], -v[120:121]
	v_add_f64 v[2:3], v[2:3], -v[208:209]
	v_dual_mov_b32 v120, v228 :: v_dual_mov_b32 v121, v229
.LBB108_525:
	s_or_b32 exec_lo, exec_lo, s2
	v_lshl_add_u32 v208, v236, 4, v230
	s_barrier
	buffer_gl0_inv
	v_mov_b32_e32 v228, 25
	ds_store_2addr_b64 v208, v[116:117], v[118:119] offset1:1
	s_waitcnt lgkmcnt(0)
	s_barrier
	buffer_gl0_inv
	ds_load_2addr_b64 v[220:223], v230 offset0:50 offset1:51
	s_cmp_lt_i32 s5, 27
	s_cbranch_scc1 .LBB108_528
; %bb.526:
	v_add3_u32 v229, v234, 0, 0x1a0
	v_mov_b32_e32 v228, 25
	s_mov_b32 s6, 26
	s_set_inst_prefetch_distance 0x1
	.p2align	6
.LBB108_527:                            ; =>This Inner Loop Header: Depth=1
	ds_load_2addr_b64 v[237:240], v229 offset1:1
	s_waitcnt lgkmcnt(1)
	v_cmp_gt_f64_e32 vcc_lo, 0, v[220:221]
	v_xor_b32_e32 v208, 0x80000000, v221
	v_cmp_gt_f64_e64 s2, 0, v[222:223]
	v_xor_b32_e32 v210, 0x80000000, v223
	v_add_nc_u32_e32 v229, 16, v229
	s_waitcnt lgkmcnt(0)
	v_cmp_gt_f64_e64 s3, 0, v[237:238]
	v_mov_b32_e32 v212, v237
	v_dual_mov_b32 v214, v239 :: v_dual_cndmask_b32 v209, v221, v208
	v_xor_b32_e32 v208, 0x80000000, v238
	v_cndmask_b32_e64 v211, v223, v210, s2
	v_xor_b32_e32 v210, 0x80000000, v240
	s_delay_alu instid0(VALU_DEP_3) | instskip(SKIP_2) | instid1(VALU_DEP_2)
	v_cndmask_b32_e64 v213, v238, v208, s3
	v_cmp_gt_f64_e64 s3, 0, v[239:240]
	v_cndmask_b32_e32 v208, v220, v220, vcc_lo
	v_cndmask_b32_e64 v215, v240, v210, s3
	v_cndmask_b32_e64 v210, v222, v222, s2
	s_delay_alu instid0(VALU_DEP_2) | instskip(NEXT) | instid1(VALU_DEP_2)
	v_add_f64 v[212:213], v[212:213], v[214:215]
	v_add_f64 v[208:209], v[208:209], v[210:211]
	s_delay_alu instid0(VALU_DEP_1) | instskip(SKIP_4) | instid1(SALU_CYCLE_1)
	v_cmp_lt_f64_e32 vcc_lo, v[208:209], v[212:213]
	v_dual_cndmask_b32 v221, v221, v238 :: v_dual_cndmask_b32 v220, v220, v237
	v_dual_cndmask_b32 v223, v223, v240 :: v_dual_cndmask_b32 v222, v222, v239
	v_cndmask_b32_e64 v228, v228, s6, vcc_lo
	s_add_i32 s6, s6, 1
	s_cmp_lg_u32 s5, s6
	s_cbranch_scc1 .LBB108_527
.LBB108_528:
	s_set_inst_prefetch_distance 0x2
	s_waitcnt lgkmcnt(0)
	v_cmp_eq_f64_e32 vcc_lo, 0, v[220:221]
	v_cmp_eq_f64_e64 s2, 0, v[222:223]
	s_delay_alu instid0(VALU_DEP_1) | instskip(NEXT) | instid1(SALU_CYCLE_1)
	s_and_b32 s2, vcc_lo, s2
	s_and_saveexec_b32 s3, s2
	s_delay_alu instid0(SALU_CYCLE_1)
	s_xor_b32 s2, exec_lo, s3
; %bb.529:
	v_cmp_ne_u32_e32 vcc_lo, 0, v233
	v_cndmask_b32_e32 v233, 26, v233, vcc_lo
; %bb.530:
	s_and_not1_saveexec_b32 s3, s2
	s_cbranch_execz .LBB108_536
; %bb.531:
	v_cmp_gt_f64_e32 vcc_lo, 0, v[220:221]
	v_cmp_gt_f64_e64 s2, 0, v[222:223]
	v_xor_b32_e32 v208, 0x80000000, v221
	v_xor_b32_e32 v210, 0x80000000, v223
	s_delay_alu instid0(VALU_DEP_2) | instskip(NEXT) | instid1(VALU_DEP_2)
	v_cndmask_b32_e32 v209, v221, v208, vcc_lo
	v_cndmask_b32_e64 v211, v223, v210, s2
	v_cndmask_b32_e32 v208, v220, v220, vcc_lo
	v_cndmask_b32_e64 v210, v222, v222, s2
	s_mov_b32 s2, exec_lo
	s_delay_alu instid0(VALU_DEP_1)
	v_cmpx_ngt_f64_e32 v[208:209], v[210:211]
	s_xor_b32 s2, exec_lo, s2
	s_cbranch_execz .LBB108_533
; %bb.532:
	v_div_scale_f64 v[208:209], null, v[222:223], v[222:223], v[220:221]
	v_div_scale_f64 v[214:215], vcc_lo, v[220:221], v[222:223], v[220:221]
	s_delay_alu instid0(VALU_DEP_2) | instskip(SKIP_2) | instid1(VALU_DEP_1)
	v_rcp_f64_e32 v[210:211], v[208:209]
	s_waitcnt_depctr 0xfff
	v_fma_f64 v[212:213], -v[208:209], v[210:211], 1.0
	v_fma_f64 v[210:211], v[210:211], v[212:213], v[210:211]
	s_delay_alu instid0(VALU_DEP_1) | instskip(NEXT) | instid1(VALU_DEP_1)
	v_fma_f64 v[212:213], -v[208:209], v[210:211], 1.0
	v_fma_f64 v[210:211], v[210:211], v[212:213], v[210:211]
	s_delay_alu instid0(VALU_DEP_1) | instskip(NEXT) | instid1(VALU_DEP_1)
	v_mul_f64 v[212:213], v[214:215], v[210:211]
	v_fma_f64 v[208:209], -v[208:209], v[212:213], v[214:215]
	s_delay_alu instid0(VALU_DEP_1) | instskip(NEXT) | instid1(VALU_DEP_1)
	v_div_fmas_f64 v[208:209], v[208:209], v[210:211], v[212:213]
	v_div_fixup_f64 v[208:209], v[208:209], v[222:223], v[220:221]
	s_delay_alu instid0(VALU_DEP_1) | instskip(NEXT) | instid1(VALU_DEP_1)
	v_fma_f64 v[210:211], v[220:221], v[208:209], v[222:223]
	v_div_scale_f64 v[212:213], null, v[210:211], v[210:211], 1.0
	s_delay_alu instid0(VALU_DEP_1) | instskip(SKIP_2) | instid1(VALU_DEP_1)
	v_rcp_f64_e32 v[214:215], v[212:213]
	s_waitcnt_depctr 0xfff
	v_fma_f64 v[220:221], -v[212:213], v[214:215], 1.0
	v_fma_f64 v[214:215], v[214:215], v[220:221], v[214:215]
	s_delay_alu instid0(VALU_DEP_1) | instskip(NEXT) | instid1(VALU_DEP_1)
	v_fma_f64 v[220:221], -v[212:213], v[214:215], 1.0
	v_fma_f64 v[214:215], v[214:215], v[220:221], v[214:215]
	v_div_scale_f64 v[220:221], vcc_lo, 1.0, v[210:211], 1.0
	s_delay_alu instid0(VALU_DEP_1) | instskip(NEXT) | instid1(VALU_DEP_1)
	v_mul_f64 v[222:223], v[220:221], v[214:215]
	v_fma_f64 v[212:213], -v[212:213], v[222:223], v[220:221]
	s_delay_alu instid0(VALU_DEP_1) | instskip(NEXT) | instid1(VALU_DEP_1)
	v_div_fmas_f64 v[212:213], v[212:213], v[214:215], v[222:223]
	v_div_fixup_f64 v[222:223], v[212:213], v[210:211], 1.0
	s_delay_alu instid0(VALU_DEP_1)
	v_mul_f64 v[220:221], v[208:209], v[222:223]
	v_xor_b32_e32 v223, 0x80000000, v223
.LBB108_533:
	s_and_not1_saveexec_b32 s2, s2
	s_cbranch_execz .LBB108_535
; %bb.534:
	s_delay_alu instid0(VALU_DEP_1) | instskip(SKIP_1) | instid1(VALU_DEP_2)
	v_div_scale_f64 v[208:209], null, v[220:221], v[220:221], v[222:223]
	v_div_scale_f64 v[214:215], vcc_lo, v[222:223], v[220:221], v[222:223]
	v_rcp_f64_e32 v[210:211], v[208:209]
	s_waitcnt_depctr 0xfff
	v_fma_f64 v[212:213], -v[208:209], v[210:211], 1.0
	s_delay_alu instid0(VALU_DEP_1) | instskip(NEXT) | instid1(VALU_DEP_1)
	v_fma_f64 v[210:211], v[210:211], v[212:213], v[210:211]
	v_fma_f64 v[212:213], -v[208:209], v[210:211], 1.0
	s_delay_alu instid0(VALU_DEP_1) | instskip(NEXT) | instid1(VALU_DEP_1)
	v_fma_f64 v[210:211], v[210:211], v[212:213], v[210:211]
	v_mul_f64 v[212:213], v[214:215], v[210:211]
	s_delay_alu instid0(VALU_DEP_1) | instskip(NEXT) | instid1(VALU_DEP_1)
	v_fma_f64 v[208:209], -v[208:209], v[212:213], v[214:215]
	v_div_fmas_f64 v[208:209], v[208:209], v[210:211], v[212:213]
	s_delay_alu instid0(VALU_DEP_1) | instskip(NEXT) | instid1(VALU_DEP_1)
	v_div_fixup_f64 v[208:209], v[208:209], v[220:221], v[222:223]
	v_fma_f64 v[210:211], v[222:223], v[208:209], v[220:221]
	s_delay_alu instid0(VALU_DEP_1) | instskip(NEXT) | instid1(VALU_DEP_1)
	v_div_scale_f64 v[212:213], null, v[210:211], v[210:211], 1.0
	v_rcp_f64_e32 v[214:215], v[212:213]
	s_waitcnt_depctr 0xfff
	v_fma_f64 v[220:221], -v[212:213], v[214:215], 1.0
	s_delay_alu instid0(VALU_DEP_1) | instskip(NEXT) | instid1(VALU_DEP_1)
	v_fma_f64 v[214:215], v[214:215], v[220:221], v[214:215]
	v_fma_f64 v[220:221], -v[212:213], v[214:215], 1.0
	s_delay_alu instid0(VALU_DEP_1) | instskip(SKIP_1) | instid1(VALU_DEP_1)
	v_fma_f64 v[214:215], v[214:215], v[220:221], v[214:215]
	v_div_scale_f64 v[220:221], vcc_lo, 1.0, v[210:211], 1.0
	v_mul_f64 v[222:223], v[220:221], v[214:215]
	s_delay_alu instid0(VALU_DEP_1) | instskip(NEXT) | instid1(VALU_DEP_1)
	v_fma_f64 v[212:213], -v[212:213], v[222:223], v[220:221]
	v_div_fmas_f64 v[212:213], v[212:213], v[214:215], v[222:223]
	s_delay_alu instid0(VALU_DEP_1) | instskip(NEXT) | instid1(VALU_DEP_1)
	v_div_fixup_f64 v[220:221], v[212:213], v[210:211], 1.0
	v_mul_f64 v[222:223], v[208:209], -v[220:221]
.LBB108_535:
	s_or_b32 exec_lo, exec_lo, s2
.LBB108_536:
	s_delay_alu instid0(SALU_CYCLE_1) | instskip(NEXT) | instid1(SALU_CYCLE_1)
	s_or_b32 exec_lo, exec_lo, s3
	s_mov_b32 s2, exec_lo
	v_cmpx_ne_u32_e64 v236, v228
	s_xor_b32 s2, exec_lo, s2
	s_cbranch_execz .LBB108_542
; %bb.537:
	s_mov_b32 s3, exec_lo
	v_cmpx_eq_u32_e32 25, v236
	s_cbranch_execz .LBB108_541
; %bb.538:
	v_cmp_ne_u32_e32 vcc_lo, 25, v228
	s_xor_b32 s6, s4, -1
	s_delay_alu instid0(SALU_CYCLE_1) | instskip(NEXT) | instid1(SALU_CYCLE_1)
	s_and_b32 s7, s6, vcc_lo
	s_and_saveexec_b32 s6, s7
	s_cbranch_execz .LBB108_540
; %bb.539:
	v_ashrrev_i32_e32 v229, 31, v228
	s_delay_alu instid0(VALU_DEP_1) | instskip(NEXT) | instid1(VALU_DEP_1)
	v_lshlrev_b64 v[208:209], 2, v[228:229]
	v_add_co_u32 v208, vcc_lo, v231, v208
	s_delay_alu instid0(VALU_DEP_2)
	v_add_co_ci_u32_e32 v209, vcc_lo, v232, v209, vcc_lo
	s_clause 0x1
	flat_load_b32 v210, v[208:209]
	flat_load_b32 v211, v[231:232] offset:100
	s_waitcnt vmcnt(1) lgkmcnt(1)
	flat_store_b32 v[231:232], v210 offset:100
	s_waitcnt vmcnt(0) lgkmcnt(1)
	flat_store_b32 v[208:209], v211
.LBB108_540:
	s_or_b32 exec_lo, exec_lo, s6
	v_mov_b32_e32 v236, v228
	v_mov_b32_e32 v227, v228
.LBB108_541:
	s_or_b32 exec_lo, exec_lo, s3
.LBB108_542:
	s_and_not1_saveexec_b32 s2, s2
	s_cbranch_execz .LBB108_544
; %bb.543:
	v_mov_b32_e32 v236, 25
	ds_store_2addr_b64 v230, v[112:113], v[114:115] offset0:52 offset1:53
	ds_store_2addr_b64 v230, v[108:109], v[110:111] offset0:54 offset1:55
	;; [unrolled: 1-line block ×29, first 2 shown]
.LBB108_544:
	s_or_b32 exec_lo, exec_lo, s2
	s_delay_alu instid0(SALU_CYCLE_1)
	s_mov_b32 s2, exec_lo
	s_waitcnt lgkmcnt(0)
	s_waitcnt_vscnt null, 0x0
	s_barrier
	buffer_gl0_inv
	v_cmpx_lt_i32_e32 25, v236
	s_cbranch_execz .LBB108_546
; %bb.545:
	v_mul_f64 v[208:209], v[222:223], v[118:119]
	v_mul_f64 v[118:119], v[220:221], v[118:119]
	s_delay_alu instid0(VALU_DEP_2) | instskip(NEXT) | instid1(VALU_DEP_2)
	v_fma_f64 v[228:229], v[220:221], v[116:117], -v[208:209]
	v_fma_f64 v[118:119], v[222:223], v[116:117], v[118:119]
	ds_load_2addr_b64 v[220:223], v230 offset0:52 offset1:53
	s_waitcnt lgkmcnt(0)
	v_mul_f64 v[116:117], v[222:223], v[118:119]
	v_mul_f64 v[208:209], v[220:221], v[118:119]
	s_delay_alu instid0(VALU_DEP_2) | instskip(NEXT) | instid1(VALU_DEP_2)
	v_fma_f64 v[116:117], v[220:221], v[228:229], -v[116:117]
	v_fma_f64 v[208:209], v[222:223], v[228:229], v[208:209]
	ds_load_2addr_b64 v[220:223], v230 offset0:54 offset1:55
	v_add_f64 v[112:113], v[112:113], -v[116:117]
	v_add_f64 v[114:115], v[114:115], -v[208:209]
	s_waitcnt lgkmcnt(0)
	v_mul_f64 v[116:117], v[222:223], v[118:119]
	v_mul_f64 v[208:209], v[220:221], v[118:119]
	s_delay_alu instid0(VALU_DEP_2) | instskip(NEXT) | instid1(VALU_DEP_2)
	v_fma_f64 v[116:117], v[220:221], v[228:229], -v[116:117]
	v_fma_f64 v[208:209], v[222:223], v[228:229], v[208:209]
	ds_load_2addr_b64 v[220:223], v230 offset0:56 offset1:57
	v_add_f64 v[108:109], v[108:109], -v[116:117]
	v_add_f64 v[110:111], v[110:111], -v[208:209]
	;; [unrolled: 9-line block ×28, first 2 shown]
	s_waitcnt lgkmcnt(0)
	v_mul_f64 v[116:117], v[222:223], v[118:119]
	v_mul_f64 v[208:209], v[220:221], v[118:119]
	s_delay_alu instid0(VALU_DEP_2) | instskip(NEXT) | instid1(VALU_DEP_2)
	v_fma_f64 v[116:117], v[220:221], v[228:229], -v[116:117]
	v_fma_f64 v[208:209], v[222:223], v[228:229], v[208:209]
	s_delay_alu instid0(VALU_DEP_2) | instskip(NEXT) | instid1(VALU_DEP_2)
	v_add_f64 v[0:1], v[0:1], -v[116:117]
	v_add_f64 v[2:3], v[2:3], -v[208:209]
	v_dual_mov_b32 v116, v228 :: v_dual_mov_b32 v117, v229
.LBB108_546:
	s_or_b32 exec_lo, exec_lo, s2
	v_lshl_add_u32 v208, v236, 4, v230
	s_barrier
	buffer_gl0_inv
	v_mov_b32_e32 v228, 26
	ds_store_2addr_b64 v208, v[112:113], v[114:115] offset1:1
	s_waitcnt lgkmcnt(0)
	s_barrier
	buffer_gl0_inv
	ds_load_2addr_b64 v[220:223], v230 offset0:52 offset1:53
	s_cmp_lt_i32 s5, 28
	s_cbranch_scc1 .LBB108_549
; %bb.547:
	v_add3_u32 v229, v234, 0, 0x1b0
	v_mov_b32_e32 v228, 26
	s_mov_b32 s6, 27
	s_set_inst_prefetch_distance 0x1
	.p2align	6
.LBB108_548:                            ; =>This Inner Loop Header: Depth=1
	ds_load_2addr_b64 v[237:240], v229 offset1:1
	s_waitcnt lgkmcnt(1)
	v_cmp_gt_f64_e32 vcc_lo, 0, v[220:221]
	v_xor_b32_e32 v208, 0x80000000, v221
	v_cmp_gt_f64_e64 s2, 0, v[222:223]
	v_xor_b32_e32 v210, 0x80000000, v223
	v_add_nc_u32_e32 v229, 16, v229
	s_waitcnt lgkmcnt(0)
	v_cmp_gt_f64_e64 s3, 0, v[237:238]
	v_mov_b32_e32 v212, v237
	v_dual_mov_b32 v214, v239 :: v_dual_cndmask_b32 v209, v221, v208
	v_xor_b32_e32 v208, 0x80000000, v238
	v_cndmask_b32_e64 v211, v223, v210, s2
	v_xor_b32_e32 v210, 0x80000000, v240
	s_delay_alu instid0(VALU_DEP_3) | instskip(SKIP_2) | instid1(VALU_DEP_2)
	v_cndmask_b32_e64 v213, v238, v208, s3
	v_cmp_gt_f64_e64 s3, 0, v[239:240]
	v_cndmask_b32_e32 v208, v220, v220, vcc_lo
	v_cndmask_b32_e64 v215, v240, v210, s3
	v_cndmask_b32_e64 v210, v222, v222, s2
	s_delay_alu instid0(VALU_DEP_2) | instskip(NEXT) | instid1(VALU_DEP_2)
	v_add_f64 v[212:213], v[212:213], v[214:215]
	v_add_f64 v[208:209], v[208:209], v[210:211]
	s_delay_alu instid0(VALU_DEP_1) | instskip(SKIP_4) | instid1(SALU_CYCLE_1)
	v_cmp_lt_f64_e32 vcc_lo, v[208:209], v[212:213]
	v_dual_cndmask_b32 v221, v221, v238 :: v_dual_cndmask_b32 v220, v220, v237
	v_dual_cndmask_b32 v223, v223, v240 :: v_dual_cndmask_b32 v222, v222, v239
	v_cndmask_b32_e64 v228, v228, s6, vcc_lo
	s_add_i32 s6, s6, 1
	s_cmp_lg_u32 s5, s6
	s_cbranch_scc1 .LBB108_548
.LBB108_549:
	s_set_inst_prefetch_distance 0x2
	s_waitcnt lgkmcnt(0)
	v_cmp_eq_f64_e32 vcc_lo, 0, v[220:221]
	v_cmp_eq_f64_e64 s2, 0, v[222:223]
	s_delay_alu instid0(VALU_DEP_1) | instskip(NEXT) | instid1(SALU_CYCLE_1)
	s_and_b32 s2, vcc_lo, s2
	s_and_saveexec_b32 s3, s2
	s_delay_alu instid0(SALU_CYCLE_1)
	s_xor_b32 s2, exec_lo, s3
; %bb.550:
	v_cmp_ne_u32_e32 vcc_lo, 0, v233
	v_cndmask_b32_e32 v233, 27, v233, vcc_lo
; %bb.551:
	s_and_not1_saveexec_b32 s3, s2
	s_cbranch_execz .LBB108_557
; %bb.552:
	v_cmp_gt_f64_e32 vcc_lo, 0, v[220:221]
	v_cmp_gt_f64_e64 s2, 0, v[222:223]
	v_xor_b32_e32 v208, 0x80000000, v221
	v_xor_b32_e32 v210, 0x80000000, v223
	s_delay_alu instid0(VALU_DEP_2) | instskip(NEXT) | instid1(VALU_DEP_2)
	v_cndmask_b32_e32 v209, v221, v208, vcc_lo
	v_cndmask_b32_e64 v211, v223, v210, s2
	v_cndmask_b32_e32 v208, v220, v220, vcc_lo
	v_cndmask_b32_e64 v210, v222, v222, s2
	s_mov_b32 s2, exec_lo
	s_delay_alu instid0(VALU_DEP_1)
	v_cmpx_ngt_f64_e32 v[208:209], v[210:211]
	s_xor_b32 s2, exec_lo, s2
	s_cbranch_execz .LBB108_554
; %bb.553:
	v_div_scale_f64 v[208:209], null, v[222:223], v[222:223], v[220:221]
	v_div_scale_f64 v[214:215], vcc_lo, v[220:221], v[222:223], v[220:221]
	s_delay_alu instid0(VALU_DEP_2) | instskip(SKIP_2) | instid1(VALU_DEP_1)
	v_rcp_f64_e32 v[210:211], v[208:209]
	s_waitcnt_depctr 0xfff
	v_fma_f64 v[212:213], -v[208:209], v[210:211], 1.0
	v_fma_f64 v[210:211], v[210:211], v[212:213], v[210:211]
	s_delay_alu instid0(VALU_DEP_1) | instskip(NEXT) | instid1(VALU_DEP_1)
	v_fma_f64 v[212:213], -v[208:209], v[210:211], 1.0
	v_fma_f64 v[210:211], v[210:211], v[212:213], v[210:211]
	s_delay_alu instid0(VALU_DEP_1) | instskip(NEXT) | instid1(VALU_DEP_1)
	v_mul_f64 v[212:213], v[214:215], v[210:211]
	v_fma_f64 v[208:209], -v[208:209], v[212:213], v[214:215]
	s_delay_alu instid0(VALU_DEP_1) | instskip(NEXT) | instid1(VALU_DEP_1)
	v_div_fmas_f64 v[208:209], v[208:209], v[210:211], v[212:213]
	v_div_fixup_f64 v[208:209], v[208:209], v[222:223], v[220:221]
	s_delay_alu instid0(VALU_DEP_1) | instskip(NEXT) | instid1(VALU_DEP_1)
	v_fma_f64 v[210:211], v[220:221], v[208:209], v[222:223]
	v_div_scale_f64 v[212:213], null, v[210:211], v[210:211], 1.0
	s_delay_alu instid0(VALU_DEP_1) | instskip(SKIP_2) | instid1(VALU_DEP_1)
	v_rcp_f64_e32 v[214:215], v[212:213]
	s_waitcnt_depctr 0xfff
	v_fma_f64 v[220:221], -v[212:213], v[214:215], 1.0
	v_fma_f64 v[214:215], v[214:215], v[220:221], v[214:215]
	s_delay_alu instid0(VALU_DEP_1) | instskip(NEXT) | instid1(VALU_DEP_1)
	v_fma_f64 v[220:221], -v[212:213], v[214:215], 1.0
	v_fma_f64 v[214:215], v[214:215], v[220:221], v[214:215]
	v_div_scale_f64 v[220:221], vcc_lo, 1.0, v[210:211], 1.0
	s_delay_alu instid0(VALU_DEP_1) | instskip(NEXT) | instid1(VALU_DEP_1)
	v_mul_f64 v[222:223], v[220:221], v[214:215]
	v_fma_f64 v[212:213], -v[212:213], v[222:223], v[220:221]
	s_delay_alu instid0(VALU_DEP_1) | instskip(NEXT) | instid1(VALU_DEP_1)
	v_div_fmas_f64 v[212:213], v[212:213], v[214:215], v[222:223]
	v_div_fixup_f64 v[222:223], v[212:213], v[210:211], 1.0
	s_delay_alu instid0(VALU_DEP_1)
	v_mul_f64 v[220:221], v[208:209], v[222:223]
	v_xor_b32_e32 v223, 0x80000000, v223
.LBB108_554:
	s_and_not1_saveexec_b32 s2, s2
	s_cbranch_execz .LBB108_556
; %bb.555:
	s_delay_alu instid0(VALU_DEP_1) | instskip(SKIP_1) | instid1(VALU_DEP_2)
	v_div_scale_f64 v[208:209], null, v[220:221], v[220:221], v[222:223]
	v_div_scale_f64 v[214:215], vcc_lo, v[222:223], v[220:221], v[222:223]
	v_rcp_f64_e32 v[210:211], v[208:209]
	s_waitcnt_depctr 0xfff
	v_fma_f64 v[212:213], -v[208:209], v[210:211], 1.0
	s_delay_alu instid0(VALU_DEP_1) | instskip(NEXT) | instid1(VALU_DEP_1)
	v_fma_f64 v[210:211], v[210:211], v[212:213], v[210:211]
	v_fma_f64 v[212:213], -v[208:209], v[210:211], 1.0
	s_delay_alu instid0(VALU_DEP_1) | instskip(NEXT) | instid1(VALU_DEP_1)
	v_fma_f64 v[210:211], v[210:211], v[212:213], v[210:211]
	v_mul_f64 v[212:213], v[214:215], v[210:211]
	s_delay_alu instid0(VALU_DEP_1) | instskip(NEXT) | instid1(VALU_DEP_1)
	v_fma_f64 v[208:209], -v[208:209], v[212:213], v[214:215]
	v_div_fmas_f64 v[208:209], v[208:209], v[210:211], v[212:213]
	s_delay_alu instid0(VALU_DEP_1) | instskip(NEXT) | instid1(VALU_DEP_1)
	v_div_fixup_f64 v[208:209], v[208:209], v[220:221], v[222:223]
	v_fma_f64 v[210:211], v[222:223], v[208:209], v[220:221]
	s_delay_alu instid0(VALU_DEP_1) | instskip(NEXT) | instid1(VALU_DEP_1)
	v_div_scale_f64 v[212:213], null, v[210:211], v[210:211], 1.0
	v_rcp_f64_e32 v[214:215], v[212:213]
	s_waitcnt_depctr 0xfff
	v_fma_f64 v[220:221], -v[212:213], v[214:215], 1.0
	s_delay_alu instid0(VALU_DEP_1) | instskip(NEXT) | instid1(VALU_DEP_1)
	v_fma_f64 v[214:215], v[214:215], v[220:221], v[214:215]
	v_fma_f64 v[220:221], -v[212:213], v[214:215], 1.0
	s_delay_alu instid0(VALU_DEP_1) | instskip(SKIP_1) | instid1(VALU_DEP_1)
	v_fma_f64 v[214:215], v[214:215], v[220:221], v[214:215]
	v_div_scale_f64 v[220:221], vcc_lo, 1.0, v[210:211], 1.0
	v_mul_f64 v[222:223], v[220:221], v[214:215]
	s_delay_alu instid0(VALU_DEP_1) | instskip(NEXT) | instid1(VALU_DEP_1)
	v_fma_f64 v[212:213], -v[212:213], v[222:223], v[220:221]
	v_div_fmas_f64 v[212:213], v[212:213], v[214:215], v[222:223]
	s_delay_alu instid0(VALU_DEP_1) | instskip(NEXT) | instid1(VALU_DEP_1)
	v_div_fixup_f64 v[220:221], v[212:213], v[210:211], 1.0
	v_mul_f64 v[222:223], v[208:209], -v[220:221]
.LBB108_556:
	s_or_b32 exec_lo, exec_lo, s2
.LBB108_557:
	s_delay_alu instid0(SALU_CYCLE_1) | instskip(NEXT) | instid1(SALU_CYCLE_1)
	s_or_b32 exec_lo, exec_lo, s3
	s_mov_b32 s2, exec_lo
	v_cmpx_ne_u32_e64 v236, v228
	s_xor_b32 s2, exec_lo, s2
	s_cbranch_execz .LBB108_563
; %bb.558:
	s_mov_b32 s3, exec_lo
	v_cmpx_eq_u32_e32 26, v236
	s_cbranch_execz .LBB108_562
; %bb.559:
	v_cmp_ne_u32_e32 vcc_lo, 26, v228
	s_xor_b32 s6, s4, -1
	s_delay_alu instid0(SALU_CYCLE_1) | instskip(NEXT) | instid1(SALU_CYCLE_1)
	s_and_b32 s7, s6, vcc_lo
	s_and_saveexec_b32 s6, s7
	s_cbranch_execz .LBB108_561
; %bb.560:
	v_ashrrev_i32_e32 v229, 31, v228
	s_delay_alu instid0(VALU_DEP_1) | instskip(NEXT) | instid1(VALU_DEP_1)
	v_lshlrev_b64 v[208:209], 2, v[228:229]
	v_add_co_u32 v208, vcc_lo, v231, v208
	s_delay_alu instid0(VALU_DEP_2)
	v_add_co_ci_u32_e32 v209, vcc_lo, v232, v209, vcc_lo
	s_clause 0x1
	flat_load_b32 v210, v[208:209]
	flat_load_b32 v211, v[231:232] offset:104
	s_waitcnt vmcnt(1) lgkmcnt(1)
	flat_store_b32 v[231:232], v210 offset:104
	s_waitcnt vmcnt(0) lgkmcnt(1)
	flat_store_b32 v[208:209], v211
.LBB108_561:
	s_or_b32 exec_lo, exec_lo, s6
	v_mov_b32_e32 v236, v228
	v_mov_b32_e32 v227, v228
.LBB108_562:
	s_or_b32 exec_lo, exec_lo, s3
.LBB108_563:
	s_and_not1_saveexec_b32 s2, s2
	s_cbranch_execz .LBB108_565
; %bb.564:
	v_mov_b32_e32 v236, 26
	ds_store_2addr_b64 v230, v[108:109], v[110:111] offset0:54 offset1:55
	ds_store_2addr_b64 v230, v[104:105], v[106:107] offset0:56 offset1:57
	ds_store_2addr_b64 v230, v[100:101], v[102:103] offset0:58 offset1:59
	ds_store_2addr_b64 v230, v[96:97], v[98:99] offset0:60 offset1:61
	ds_store_2addr_b64 v230, v[92:93], v[94:95] offset0:62 offset1:63
	ds_store_2addr_b64 v230, v[88:89], v[90:91] offset0:64 offset1:65
	ds_store_2addr_b64 v230, v[84:85], v[86:87] offset0:66 offset1:67
	ds_store_2addr_b64 v230, v[80:81], v[82:83] offset0:68 offset1:69
	ds_store_2addr_b64 v230, v[76:77], v[78:79] offset0:70 offset1:71
	ds_store_2addr_b64 v230, v[72:73], v[74:75] offset0:72 offset1:73
	ds_store_2addr_b64 v230, v[68:69], v[70:71] offset0:74 offset1:75
	ds_store_2addr_b64 v230, v[64:65], v[66:67] offset0:76 offset1:77
	ds_store_2addr_b64 v230, v[60:61], v[62:63] offset0:78 offset1:79
	ds_store_2addr_b64 v230, v[56:57], v[58:59] offset0:80 offset1:81
	ds_store_2addr_b64 v230, v[52:53], v[54:55] offset0:82 offset1:83
	ds_store_2addr_b64 v230, v[48:49], v[50:51] offset0:84 offset1:85
	ds_store_2addr_b64 v230, v[44:45], v[46:47] offset0:86 offset1:87
	ds_store_2addr_b64 v230, v[40:41], v[42:43] offset0:88 offset1:89
	ds_store_2addr_b64 v230, v[36:37], v[38:39] offset0:90 offset1:91
	ds_store_2addr_b64 v230, v[32:33], v[34:35] offset0:92 offset1:93
	ds_store_2addr_b64 v230, v[28:29], v[30:31] offset0:94 offset1:95
	ds_store_2addr_b64 v230, v[24:25], v[26:27] offset0:96 offset1:97
	ds_store_2addr_b64 v230, v[20:21], v[22:23] offset0:98 offset1:99
	ds_store_2addr_b64 v230, v[16:17], v[18:19] offset0:100 offset1:101
	ds_store_2addr_b64 v230, v[12:13], v[14:15] offset0:102 offset1:103
	ds_store_2addr_b64 v230, v[8:9], v[10:11] offset0:104 offset1:105
	ds_store_2addr_b64 v230, v[4:5], v[6:7] offset0:106 offset1:107
	ds_store_2addr_b64 v230, v[0:1], v[2:3] offset0:108 offset1:109
.LBB108_565:
	s_or_b32 exec_lo, exec_lo, s2
	s_delay_alu instid0(SALU_CYCLE_1)
	s_mov_b32 s2, exec_lo
	s_waitcnt lgkmcnt(0)
	s_waitcnt_vscnt null, 0x0
	s_barrier
	buffer_gl0_inv
	v_cmpx_lt_i32_e32 26, v236
	s_cbranch_execz .LBB108_567
; %bb.566:
	v_mul_f64 v[208:209], v[222:223], v[114:115]
	v_mul_f64 v[114:115], v[220:221], v[114:115]
	s_delay_alu instid0(VALU_DEP_2) | instskip(NEXT) | instid1(VALU_DEP_2)
	v_fma_f64 v[228:229], v[220:221], v[112:113], -v[208:209]
	v_fma_f64 v[114:115], v[222:223], v[112:113], v[114:115]
	ds_load_2addr_b64 v[220:223], v230 offset0:54 offset1:55
	s_waitcnt lgkmcnt(0)
	v_mul_f64 v[112:113], v[222:223], v[114:115]
	v_mul_f64 v[208:209], v[220:221], v[114:115]
	s_delay_alu instid0(VALU_DEP_2) | instskip(NEXT) | instid1(VALU_DEP_2)
	v_fma_f64 v[112:113], v[220:221], v[228:229], -v[112:113]
	v_fma_f64 v[208:209], v[222:223], v[228:229], v[208:209]
	ds_load_2addr_b64 v[220:223], v230 offset0:56 offset1:57
	v_add_f64 v[108:109], v[108:109], -v[112:113]
	v_add_f64 v[110:111], v[110:111], -v[208:209]
	s_waitcnt lgkmcnt(0)
	v_mul_f64 v[112:113], v[222:223], v[114:115]
	v_mul_f64 v[208:209], v[220:221], v[114:115]
	s_delay_alu instid0(VALU_DEP_2) | instskip(NEXT) | instid1(VALU_DEP_2)
	v_fma_f64 v[112:113], v[220:221], v[228:229], -v[112:113]
	v_fma_f64 v[208:209], v[222:223], v[228:229], v[208:209]
	ds_load_2addr_b64 v[220:223], v230 offset0:58 offset1:59
	v_add_f64 v[104:105], v[104:105], -v[112:113]
	v_add_f64 v[106:107], v[106:107], -v[208:209]
	s_waitcnt lgkmcnt(0)
	v_mul_f64 v[112:113], v[222:223], v[114:115]
	v_mul_f64 v[208:209], v[220:221], v[114:115]
	s_delay_alu instid0(VALU_DEP_2) | instskip(NEXT) | instid1(VALU_DEP_2)
	v_fma_f64 v[112:113], v[220:221], v[228:229], -v[112:113]
	v_fma_f64 v[208:209], v[222:223], v[228:229], v[208:209]
	ds_load_2addr_b64 v[220:223], v230 offset0:60 offset1:61
	v_add_f64 v[100:101], v[100:101], -v[112:113]
	v_add_f64 v[102:103], v[102:103], -v[208:209]
	s_waitcnt lgkmcnt(0)
	v_mul_f64 v[112:113], v[222:223], v[114:115]
	v_mul_f64 v[208:209], v[220:221], v[114:115]
	s_delay_alu instid0(VALU_DEP_2) | instskip(NEXT) | instid1(VALU_DEP_2)
	v_fma_f64 v[112:113], v[220:221], v[228:229], -v[112:113]
	v_fma_f64 v[208:209], v[222:223], v[228:229], v[208:209]
	ds_load_2addr_b64 v[220:223], v230 offset0:62 offset1:63
	v_add_f64 v[96:97], v[96:97], -v[112:113]
	v_add_f64 v[98:99], v[98:99], -v[208:209]
	s_waitcnt lgkmcnt(0)
	v_mul_f64 v[112:113], v[222:223], v[114:115]
	v_mul_f64 v[208:209], v[220:221], v[114:115]
	s_delay_alu instid0(VALU_DEP_2) | instskip(NEXT) | instid1(VALU_DEP_2)
	v_fma_f64 v[112:113], v[220:221], v[228:229], -v[112:113]
	v_fma_f64 v[208:209], v[222:223], v[228:229], v[208:209]
	ds_load_2addr_b64 v[220:223], v230 offset0:64 offset1:65
	v_add_f64 v[92:93], v[92:93], -v[112:113]
	v_add_f64 v[94:95], v[94:95], -v[208:209]
	s_waitcnt lgkmcnt(0)
	v_mul_f64 v[112:113], v[222:223], v[114:115]
	v_mul_f64 v[208:209], v[220:221], v[114:115]
	s_delay_alu instid0(VALU_DEP_2) | instskip(NEXT) | instid1(VALU_DEP_2)
	v_fma_f64 v[112:113], v[220:221], v[228:229], -v[112:113]
	v_fma_f64 v[208:209], v[222:223], v[228:229], v[208:209]
	ds_load_2addr_b64 v[220:223], v230 offset0:66 offset1:67
	v_add_f64 v[88:89], v[88:89], -v[112:113]
	v_add_f64 v[90:91], v[90:91], -v[208:209]
	s_waitcnt lgkmcnt(0)
	v_mul_f64 v[112:113], v[222:223], v[114:115]
	v_mul_f64 v[208:209], v[220:221], v[114:115]
	s_delay_alu instid0(VALU_DEP_2) | instskip(NEXT) | instid1(VALU_DEP_2)
	v_fma_f64 v[112:113], v[220:221], v[228:229], -v[112:113]
	v_fma_f64 v[208:209], v[222:223], v[228:229], v[208:209]
	ds_load_2addr_b64 v[220:223], v230 offset0:68 offset1:69
	v_add_f64 v[84:85], v[84:85], -v[112:113]
	v_add_f64 v[86:87], v[86:87], -v[208:209]
	s_waitcnt lgkmcnt(0)
	v_mul_f64 v[112:113], v[222:223], v[114:115]
	v_mul_f64 v[208:209], v[220:221], v[114:115]
	s_delay_alu instid0(VALU_DEP_2) | instskip(NEXT) | instid1(VALU_DEP_2)
	v_fma_f64 v[112:113], v[220:221], v[228:229], -v[112:113]
	v_fma_f64 v[208:209], v[222:223], v[228:229], v[208:209]
	ds_load_2addr_b64 v[220:223], v230 offset0:70 offset1:71
	v_add_f64 v[80:81], v[80:81], -v[112:113]
	v_add_f64 v[82:83], v[82:83], -v[208:209]
	s_waitcnt lgkmcnt(0)
	v_mul_f64 v[112:113], v[222:223], v[114:115]
	v_mul_f64 v[208:209], v[220:221], v[114:115]
	s_delay_alu instid0(VALU_DEP_2) | instskip(NEXT) | instid1(VALU_DEP_2)
	v_fma_f64 v[112:113], v[220:221], v[228:229], -v[112:113]
	v_fma_f64 v[208:209], v[222:223], v[228:229], v[208:209]
	ds_load_2addr_b64 v[220:223], v230 offset0:72 offset1:73
	v_add_f64 v[76:77], v[76:77], -v[112:113]
	v_add_f64 v[78:79], v[78:79], -v[208:209]
	s_waitcnt lgkmcnt(0)
	v_mul_f64 v[112:113], v[222:223], v[114:115]
	v_mul_f64 v[208:209], v[220:221], v[114:115]
	s_delay_alu instid0(VALU_DEP_2) | instskip(NEXT) | instid1(VALU_DEP_2)
	v_fma_f64 v[112:113], v[220:221], v[228:229], -v[112:113]
	v_fma_f64 v[208:209], v[222:223], v[228:229], v[208:209]
	ds_load_2addr_b64 v[220:223], v230 offset0:74 offset1:75
	v_add_f64 v[72:73], v[72:73], -v[112:113]
	v_add_f64 v[74:75], v[74:75], -v[208:209]
	s_waitcnt lgkmcnt(0)
	v_mul_f64 v[112:113], v[222:223], v[114:115]
	v_mul_f64 v[208:209], v[220:221], v[114:115]
	s_delay_alu instid0(VALU_DEP_2) | instskip(NEXT) | instid1(VALU_DEP_2)
	v_fma_f64 v[112:113], v[220:221], v[228:229], -v[112:113]
	v_fma_f64 v[208:209], v[222:223], v[228:229], v[208:209]
	ds_load_2addr_b64 v[220:223], v230 offset0:76 offset1:77
	v_add_f64 v[68:69], v[68:69], -v[112:113]
	v_add_f64 v[70:71], v[70:71], -v[208:209]
	s_waitcnt lgkmcnt(0)
	v_mul_f64 v[112:113], v[222:223], v[114:115]
	v_mul_f64 v[208:209], v[220:221], v[114:115]
	s_delay_alu instid0(VALU_DEP_2) | instskip(NEXT) | instid1(VALU_DEP_2)
	v_fma_f64 v[112:113], v[220:221], v[228:229], -v[112:113]
	v_fma_f64 v[208:209], v[222:223], v[228:229], v[208:209]
	ds_load_2addr_b64 v[220:223], v230 offset0:78 offset1:79
	v_add_f64 v[64:65], v[64:65], -v[112:113]
	v_add_f64 v[66:67], v[66:67], -v[208:209]
	s_waitcnt lgkmcnt(0)
	v_mul_f64 v[112:113], v[222:223], v[114:115]
	v_mul_f64 v[208:209], v[220:221], v[114:115]
	s_delay_alu instid0(VALU_DEP_2) | instskip(NEXT) | instid1(VALU_DEP_2)
	v_fma_f64 v[112:113], v[220:221], v[228:229], -v[112:113]
	v_fma_f64 v[208:209], v[222:223], v[228:229], v[208:209]
	ds_load_2addr_b64 v[220:223], v230 offset0:80 offset1:81
	v_add_f64 v[60:61], v[60:61], -v[112:113]
	v_add_f64 v[62:63], v[62:63], -v[208:209]
	s_waitcnt lgkmcnt(0)
	v_mul_f64 v[112:113], v[222:223], v[114:115]
	v_mul_f64 v[208:209], v[220:221], v[114:115]
	s_delay_alu instid0(VALU_DEP_2) | instskip(NEXT) | instid1(VALU_DEP_2)
	v_fma_f64 v[112:113], v[220:221], v[228:229], -v[112:113]
	v_fma_f64 v[208:209], v[222:223], v[228:229], v[208:209]
	ds_load_2addr_b64 v[220:223], v230 offset0:82 offset1:83
	v_add_f64 v[56:57], v[56:57], -v[112:113]
	v_add_f64 v[58:59], v[58:59], -v[208:209]
	s_waitcnt lgkmcnt(0)
	v_mul_f64 v[112:113], v[222:223], v[114:115]
	v_mul_f64 v[208:209], v[220:221], v[114:115]
	s_delay_alu instid0(VALU_DEP_2) | instskip(NEXT) | instid1(VALU_DEP_2)
	v_fma_f64 v[112:113], v[220:221], v[228:229], -v[112:113]
	v_fma_f64 v[208:209], v[222:223], v[228:229], v[208:209]
	ds_load_2addr_b64 v[220:223], v230 offset0:84 offset1:85
	v_add_f64 v[52:53], v[52:53], -v[112:113]
	v_add_f64 v[54:55], v[54:55], -v[208:209]
	s_waitcnt lgkmcnt(0)
	v_mul_f64 v[112:113], v[222:223], v[114:115]
	v_mul_f64 v[208:209], v[220:221], v[114:115]
	s_delay_alu instid0(VALU_DEP_2) | instskip(NEXT) | instid1(VALU_DEP_2)
	v_fma_f64 v[112:113], v[220:221], v[228:229], -v[112:113]
	v_fma_f64 v[208:209], v[222:223], v[228:229], v[208:209]
	ds_load_2addr_b64 v[220:223], v230 offset0:86 offset1:87
	v_add_f64 v[48:49], v[48:49], -v[112:113]
	v_add_f64 v[50:51], v[50:51], -v[208:209]
	s_waitcnt lgkmcnt(0)
	v_mul_f64 v[112:113], v[222:223], v[114:115]
	v_mul_f64 v[208:209], v[220:221], v[114:115]
	s_delay_alu instid0(VALU_DEP_2) | instskip(NEXT) | instid1(VALU_DEP_2)
	v_fma_f64 v[112:113], v[220:221], v[228:229], -v[112:113]
	v_fma_f64 v[208:209], v[222:223], v[228:229], v[208:209]
	ds_load_2addr_b64 v[220:223], v230 offset0:88 offset1:89
	v_add_f64 v[44:45], v[44:45], -v[112:113]
	v_add_f64 v[46:47], v[46:47], -v[208:209]
	s_waitcnt lgkmcnt(0)
	v_mul_f64 v[112:113], v[222:223], v[114:115]
	v_mul_f64 v[208:209], v[220:221], v[114:115]
	s_delay_alu instid0(VALU_DEP_2) | instskip(NEXT) | instid1(VALU_DEP_2)
	v_fma_f64 v[112:113], v[220:221], v[228:229], -v[112:113]
	v_fma_f64 v[208:209], v[222:223], v[228:229], v[208:209]
	ds_load_2addr_b64 v[220:223], v230 offset0:90 offset1:91
	v_add_f64 v[40:41], v[40:41], -v[112:113]
	v_add_f64 v[42:43], v[42:43], -v[208:209]
	s_waitcnt lgkmcnt(0)
	v_mul_f64 v[112:113], v[222:223], v[114:115]
	v_mul_f64 v[208:209], v[220:221], v[114:115]
	s_delay_alu instid0(VALU_DEP_2) | instskip(NEXT) | instid1(VALU_DEP_2)
	v_fma_f64 v[112:113], v[220:221], v[228:229], -v[112:113]
	v_fma_f64 v[208:209], v[222:223], v[228:229], v[208:209]
	ds_load_2addr_b64 v[220:223], v230 offset0:92 offset1:93
	v_add_f64 v[36:37], v[36:37], -v[112:113]
	v_add_f64 v[38:39], v[38:39], -v[208:209]
	s_waitcnt lgkmcnt(0)
	v_mul_f64 v[112:113], v[222:223], v[114:115]
	v_mul_f64 v[208:209], v[220:221], v[114:115]
	s_delay_alu instid0(VALU_DEP_2) | instskip(NEXT) | instid1(VALU_DEP_2)
	v_fma_f64 v[112:113], v[220:221], v[228:229], -v[112:113]
	v_fma_f64 v[208:209], v[222:223], v[228:229], v[208:209]
	ds_load_2addr_b64 v[220:223], v230 offset0:94 offset1:95
	v_add_f64 v[32:33], v[32:33], -v[112:113]
	v_add_f64 v[34:35], v[34:35], -v[208:209]
	s_waitcnt lgkmcnt(0)
	v_mul_f64 v[112:113], v[222:223], v[114:115]
	v_mul_f64 v[208:209], v[220:221], v[114:115]
	s_delay_alu instid0(VALU_DEP_2) | instskip(NEXT) | instid1(VALU_DEP_2)
	v_fma_f64 v[112:113], v[220:221], v[228:229], -v[112:113]
	v_fma_f64 v[208:209], v[222:223], v[228:229], v[208:209]
	ds_load_2addr_b64 v[220:223], v230 offset0:96 offset1:97
	v_add_f64 v[28:29], v[28:29], -v[112:113]
	v_add_f64 v[30:31], v[30:31], -v[208:209]
	s_waitcnt lgkmcnt(0)
	v_mul_f64 v[112:113], v[222:223], v[114:115]
	v_mul_f64 v[208:209], v[220:221], v[114:115]
	s_delay_alu instid0(VALU_DEP_2) | instskip(NEXT) | instid1(VALU_DEP_2)
	v_fma_f64 v[112:113], v[220:221], v[228:229], -v[112:113]
	v_fma_f64 v[208:209], v[222:223], v[228:229], v[208:209]
	ds_load_2addr_b64 v[220:223], v230 offset0:98 offset1:99
	v_add_f64 v[24:25], v[24:25], -v[112:113]
	v_add_f64 v[26:27], v[26:27], -v[208:209]
	s_waitcnt lgkmcnt(0)
	v_mul_f64 v[112:113], v[222:223], v[114:115]
	v_mul_f64 v[208:209], v[220:221], v[114:115]
	s_delay_alu instid0(VALU_DEP_2) | instskip(NEXT) | instid1(VALU_DEP_2)
	v_fma_f64 v[112:113], v[220:221], v[228:229], -v[112:113]
	v_fma_f64 v[208:209], v[222:223], v[228:229], v[208:209]
	ds_load_2addr_b64 v[220:223], v230 offset0:100 offset1:101
	v_add_f64 v[20:21], v[20:21], -v[112:113]
	v_add_f64 v[22:23], v[22:23], -v[208:209]
	s_waitcnt lgkmcnt(0)
	v_mul_f64 v[112:113], v[222:223], v[114:115]
	v_mul_f64 v[208:209], v[220:221], v[114:115]
	s_delay_alu instid0(VALU_DEP_2) | instskip(NEXT) | instid1(VALU_DEP_2)
	v_fma_f64 v[112:113], v[220:221], v[228:229], -v[112:113]
	v_fma_f64 v[208:209], v[222:223], v[228:229], v[208:209]
	ds_load_2addr_b64 v[220:223], v230 offset0:102 offset1:103
	v_add_f64 v[16:17], v[16:17], -v[112:113]
	v_add_f64 v[18:19], v[18:19], -v[208:209]
	s_waitcnt lgkmcnt(0)
	v_mul_f64 v[112:113], v[222:223], v[114:115]
	v_mul_f64 v[208:209], v[220:221], v[114:115]
	s_delay_alu instid0(VALU_DEP_2) | instskip(NEXT) | instid1(VALU_DEP_2)
	v_fma_f64 v[112:113], v[220:221], v[228:229], -v[112:113]
	v_fma_f64 v[208:209], v[222:223], v[228:229], v[208:209]
	ds_load_2addr_b64 v[220:223], v230 offset0:104 offset1:105
	v_add_f64 v[12:13], v[12:13], -v[112:113]
	v_add_f64 v[14:15], v[14:15], -v[208:209]
	s_waitcnt lgkmcnt(0)
	v_mul_f64 v[112:113], v[222:223], v[114:115]
	v_mul_f64 v[208:209], v[220:221], v[114:115]
	s_delay_alu instid0(VALU_DEP_2) | instskip(NEXT) | instid1(VALU_DEP_2)
	v_fma_f64 v[112:113], v[220:221], v[228:229], -v[112:113]
	v_fma_f64 v[208:209], v[222:223], v[228:229], v[208:209]
	ds_load_2addr_b64 v[220:223], v230 offset0:106 offset1:107
	v_add_f64 v[8:9], v[8:9], -v[112:113]
	v_add_f64 v[10:11], v[10:11], -v[208:209]
	s_waitcnt lgkmcnt(0)
	v_mul_f64 v[112:113], v[222:223], v[114:115]
	v_mul_f64 v[208:209], v[220:221], v[114:115]
	s_delay_alu instid0(VALU_DEP_2) | instskip(NEXT) | instid1(VALU_DEP_2)
	v_fma_f64 v[112:113], v[220:221], v[228:229], -v[112:113]
	v_fma_f64 v[208:209], v[222:223], v[228:229], v[208:209]
	ds_load_2addr_b64 v[220:223], v230 offset0:108 offset1:109
	v_add_f64 v[4:5], v[4:5], -v[112:113]
	v_add_f64 v[6:7], v[6:7], -v[208:209]
	s_waitcnt lgkmcnt(0)
	v_mul_f64 v[112:113], v[222:223], v[114:115]
	v_mul_f64 v[208:209], v[220:221], v[114:115]
	s_delay_alu instid0(VALU_DEP_2) | instskip(NEXT) | instid1(VALU_DEP_2)
	v_fma_f64 v[112:113], v[220:221], v[228:229], -v[112:113]
	v_fma_f64 v[208:209], v[222:223], v[228:229], v[208:209]
	s_delay_alu instid0(VALU_DEP_2) | instskip(NEXT) | instid1(VALU_DEP_2)
	v_add_f64 v[0:1], v[0:1], -v[112:113]
	v_add_f64 v[2:3], v[2:3], -v[208:209]
	v_dual_mov_b32 v112, v228 :: v_dual_mov_b32 v113, v229
.LBB108_567:
	s_or_b32 exec_lo, exec_lo, s2
	v_lshl_add_u32 v208, v236, 4, v230
	s_barrier
	buffer_gl0_inv
	v_mov_b32_e32 v228, 27
	ds_store_2addr_b64 v208, v[108:109], v[110:111] offset1:1
	s_waitcnt lgkmcnt(0)
	s_barrier
	buffer_gl0_inv
	ds_load_2addr_b64 v[220:223], v230 offset0:54 offset1:55
	s_cmp_lt_i32 s5, 29
	s_cbranch_scc1 .LBB108_570
; %bb.568:
	v_add3_u32 v229, v234, 0, 0x1c0
	v_mov_b32_e32 v228, 27
	s_mov_b32 s6, 28
	s_set_inst_prefetch_distance 0x1
	.p2align	6
.LBB108_569:                            ; =>This Inner Loop Header: Depth=1
	ds_load_2addr_b64 v[237:240], v229 offset1:1
	s_waitcnt lgkmcnt(1)
	v_cmp_gt_f64_e32 vcc_lo, 0, v[220:221]
	v_xor_b32_e32 v208, 0x80000000, v221
	v_cmp_gt_f64_e64 s2, 0, v[222:223]
	v_xor_b32_e32 v210, 0x80000000, v223
	v_add_nc_u32_e32 v229, 16, v229
	s_waitcnt lgkmcnt(0)
	v_cmp_gt_f64_e64 s3, 0, v[237:238]
	v_mov_b32_e32 v212, v237
	v_dual_mov_b32 v214, v239 :: v_dual_cndmask_b32 v209, v221, v208
	v_xor_b32_e32 v208, 0x80000000, v238
	v_cndmask_b32_e64 v211, v223, v210, s2
	v_xor_b32_e32 v210, 0x80000000, v240
	s_delay_alu instid0(VALU_DEP_3) | instskip(SKIP_2) | instid1(VALU_DEP_2)
	v_cndmask_b32_e64 v213, v238, v208, s3
	v_cmp_gt_f64_e64 s3, 0, v[239:240]
	v_cndmask_b32_e32 v208, v220, v220, vcc_lo
	v_cndmask_b32_e64 v215, v240, v210, s3
	v_cndmask_b32_e64 v210, v222, v222, s2
	s_delay_alu instid0(VALU_DEP_2) | instskip(NEXT) | instid1(VALU_DEP_2)
	v_add_f64 v[212:213], v[212:213], v[214:215]
	v_add_f64 v[208:209], v[208:209], v[210:211]
	s_delay_alu instid0(VALU_DEP_1) | instskip(SKIP_4) | instid1(SALU_CYCLE_1)
	v_cmp_lt_f64_e32 vcc_lo, v[208:209], v[212:213]
	v_dual_cndmask_b32 v221, v221, v238 :: v_dual_cndmask_b32 v220, v220, v237
	v_dual_cndmask_b32 v223, v223, v240 :: v_dual_cndmask_b32 v222, v222, v239
	v_cndmask_b32_e64 v228, v228, s6, vcc_lo
	s_add_i32 s6, s6, 1
	s_cmp_lg_u32 s5, s6
	s_cbranch_scc1 .LBB108_569
.LBB108_570:
	s_set_inst_prefetch_distance 0x2
	s_waitcnt lgkmcnt(0)
	v_cmp_eq_f64_e32 vcc_lo, 0, v[220:221]
	v_cmp_eq_f64_e64 s2, 0, v[222:223]
	s_delay_alu instid0(VALU_DEP_1) | instskip(NEXT) | instid1(SALU_CYCLE_1)
	s_and_b32 s2, vcc_lo, s2
	s_and_saveexec_b32 s3, s2
	s_delay_alu instid0(SALU_CYCLE_1)
	s_xor_b32 s2, exec_lo, s3
; %bb.571:
	v_cmp_ne_u32_e32 vcc_lo, 0, v233
	v_cndmask_b32_e32 v233, 28, v233, vcc_lo
; %bb.572:
	s_and_not1_saveexec_b32 s3, s2
	s_cbranch_execz .LBB108_578
; %bb.573:
	v_cmp_gt_f64_e32 vcc_lo, 0, v[220:221]
	v_cmp_gt_f64_e64 s2, 0, v[222:223]
	v_xor_b32_e32 v208, 0x80000000, v221
	v_xor_b32_e32 v210, 0x80000000, v223
	s_delay_alu instid0(VALU_DEP_2) | instskip(NEXT) | instid1(VALU_DEP_2)
	v_cndmask_b32_e32 v209, v221, v208, vcc_lo
	v_cndmask_b32_e64 v211, v223, v210, s2
	v_cndmask_b32_e32 v208, v220, v220, vcc_lo
	v_cndmask_b32_e64 v210, v222, v222, s2
	s_mov_b32 s2, exec_lo
	s_delay_alu instid0(VALU_DEP_1)
	v_cmpx_ngt_f64_e32 v[208:209], v[210:211]
	s_xor_b32 s2, exec_lo, s2
	s_cbranch_execz .LBB108_575
; %bb.574:
	v_div_scale_f64 v[208:209], null, v[222:223], v[222:223], v[220:221]
	v_div_scale_f64 v[214:215], vcc_lo, v[220:221], v[222:223], v[220:221]
	s_delay_alu instid0(VALU_DEP_2) | instskip(SKIP_2) | instid1(VALU_DEP_1)
	v_rcp_f64_e32 v[210:211], v[208:209]
	s_waitcnt_depctr 0xfff
	v_fma_f64 v[212:213], -v[208:209], v[210:211], 1.0
	v_fma_f64 v[210:211], v[210:211], v[212:213], v[210:211]
	s_delay_alu instid0(VALU_DEP_1) | instskip(NEXT) | instid1(VALU_DEP_1)
	v_fma_f64 v[212:213], -v[208:209], v[210:211], 1.0
	v_fma_f64 v[210:211], v[210:211], v[212:213], v[210:211]
	s_delay_alu instid0(VALU_DEP_1) | instskip(NEXT) | instid1(VALU_DEP_1)
	v_mul_f64 v[212:213], v[214:215], v[210:211]
	v_fma_f64 v[208:209], -v[208:209], v[212:213], v[214:215]
	s_delay_alu instid0(VALU_DEP_1) | instskip(NEXT) | instid1(VALU_DEP_1)
	v_div_fmas_f64 v[208:209], v[208:209], v[210:211], v[212:213]
	v_div_fixup_f64 v[208:209], v[208:209], v[222:223], v[220:221]
	s_delay_alu instid0(VALU_DEP_1) | instskip(NEXT) | instid1(VALU_DEP_1)
	v_fma_f64 v[210:211], v[220:221], v[208:209], v[222:223]
	v_div_scale_f64 v[212:213], null, v[210:211], v[210:211], 1.0
	s_delay_alu instid0(VALU_DEP_1) | instskip(SKIP_2) | instid1(VALU_DEP_1)
	v_rcp_f64_e32 v[214:215], v[212:213]
	s_waitcnt_depctr 0xfff
	v_fma_f64 v[220:221], -v[212:213], v[214:215], 1.0
	v_fma_f64 v[214:215], v[214:215], v[220:221], v[214:215]
	s_delay_alu instid0(VALU_DEP_1) | instskip(NEXT) | instid1(VALU_DEP_1)
	v_fma_f64 v[220:221], -v[212:213], v[214:215], 1.0
	v_fma_f64 v[214:215], v[214:215], v[220:221], v[214:215]
	v_div_scale_f64 v[220:221], vcc_lo, 1.0, v[210:211], 1.0
	s_delay_alu instid0(VALU_DEP_1) | instskip(NEXT) | instid1(VALU_DEP_1)
	v_mul_f64 v[222:223], v[220:221], v[214:215]
	v_fma_f64 v[212:213], -v[212:213], v[222:223], v[220:221]
	s_delay_alu instid0(VALU_DEP_1) | instskip(NEXT) | instid1(VALU_DEP_1)
	v_div_fmas_f64 v[212:213], v[212:213], v[214:215], v[222:223]
	v_div_fixup_f64 v[222:223], v[212:213], v[210:211], 1.0
	s_delay_alu instid0(VALU_DEP_1)
	v_mul_f64 v[220:221], v[208:209], v[222:223]
	v_xor_b32_e32 v223, 0x80000000, v223
.LBB108_575:
	s_and_not1_saveexec_b32 s2, s2
	s_cbranch_execz .LBB108_577
; %bb.576:
	s_delay_alu instid0(VALU_DEP_1) | instskip(SKIP_1) | instid1(VALU_DEP_2)
	v_div_scale_f64 v[208:209], null, v[220:221], v[220:221], v[222:223]
	v_div_scale_f64 v[214:215], vcc_lo, v[222:223], v[220:221], v[222:223]
	v_rcp_f64_e32 v[210:211], v[208:209]
	s_waitcnt_depctr 0xfff
	v_fma_f64 v[212:213], -v[208:209], v[210:211], 1.0
	s_delay_alu instid0(VALU_DEP_1) | instskip(NEXT) | instid1(VALU_DEP_1)
	v_fma_f64 v[210:211], v[210:211], v[212:213], v[210:211]
	v_fma_f64 v[212:213], -v[208:209], v[210:211], 1.0
	s_delay_alu instid0(VALU_DEP_1) | instskip(NEXT) | instid1(VALU_DEP_1)
	v_fma_f64 v[210:211], v[210:211], v[212:213], v[210:211]
	v_mul_f64 v[212:213], v[214:215], v[210:211]
	s_delay_alu instid0(VALU_DEP_1) | instskip(NEXT) | instid1(VALU_DEP_1)
	v_fma_f64 v[208:209], -v[208:209], v[212:213], v[214:215]
	v_div_fmas_f64 v[208:209], v[208:209], v[210:211], v[212:213]
	s_delay_alu instid0(VALU_DEP_1) | instskip(NEXT) | instid1(VALU_DEP_1)
	v_div_fixup_f64 v[208:209], v[208:209], v[220:221], v[222:223]
	v_fma_f64 v[210:211], v[222:223], v[208:209], v[220:221]
	s_delay_alu instid0(VALU_DEP_1) | instskip(NEXT) | instid1(VALU_DEP_1)
	v_div_scale_f64 v[212:213], null, v[210:211], v[210:211], 1.0
	v_rcp_f64_e32 v[214:215], v[212:213]
	s_waitcnt_depctr 0xfff
	v_fma_f64 v[220:221], -v[212:213], v[214:215], 1.0
	s_delay_alu instid0(VALU_DEP_1) | instskip(NEXT) | instid1(VALU_DEP_1)
	v_fma_f64 v[214:215], v[214:215], v[220:221], v[214:215]
	v_fma_f64 v[220:221], -v[212:213], v[214:215], 1.0
	s_delay_alu instid0(VALU_DEP_1) | instskip(SKIP_1) | instid1(VALU_DEP_1)
	v_fma_f64 v[214:215], v[214:215], v[220:221], v[214:215]
	v_div_scale_f64 v[220:221], vcc_lo, 1.0, v[210:211], 1.0
	v_mul_f64 v[222:223], v[220:221], v[214:215]
	s_delay_alu instid0(VALU_DEP_1) | instskip(NEXT) | instid1(VALU_DEP_1)
	v_fma_f64 v[212:213], -v[212:213], v[222:223], v[220:221]
	v_div_fmas_f64 v[212:213], v[212:213], v[214:215], v[222:223]
	s_delay_alu instid0(VALU_DEP_1) | instskip(NEXT) | instid1(VALU_DEP_1)
	v_div_fixup_f64 v[220:221], v[212:213], v[210:211], 1.0
	v_mul_f64 v[222:223], v[208:209], -v[220:221]
.LBB108_577:
	s_or_b32 exec_lo, exec_lo, s2
.LBB108_578:
	s_delay_alu instid0(SALU_CYCLE_1) | instskip(NEXT) | instid1(SALU_CYCLE_1)
	s_or_b32 exec_lo, exec_lo, s3
	s_mov_b32 s2, exec_lo
	v_cmpx_ne_u32_e64 v236, v228
	s_xor_b32 s2, exec_lo, s2
	s_cbranch_execz .LBB108_584
; %bb.579:
	s_mov_b32 s3, exec_lo
	v_cmpx_eq_u32_e32 27, v236
	s_cbranch_execz .LBB108_583
; %bb.580:
	v_cmp_ne_u32_e32 vcc_lo, 27, v228
	s_xor_b32 s6, s4, -1
	s_delay_alu instid0(SALU_CYCLE_1) | instskip(NEXT) | instid1(SALU_CYCLE_1)
	s_and_b32 s7, s6, vcc_lo
	s_and_saveexec_b32 s6, s7
	s_cbranch_execz .LBB108_582
; %bb.581:
	v_ashrrev_i32_e32 v229, 31, v228
	s_delay_alu instid0(VALU_DEP_1) | instskip(NEXT) | instid1(VALU_DEP_1)
	v_lshlrev_b64 v[208:209], 2, v[228:229]
	v_add_co_u32 v208, vcc_lo, v231, v208
	s_delay_alu instid0(VALU_DEP_2)
	v_add_co_ci_u32_e32 v209, vcc_lo, v232, v209, vcc_lo
	s_clause 0x1
	flat_load_b32 v210, v[208:209]
	flat_load_b32 v211, v[231:232] offset:108
	s_waitcnt vmcnt(1) lgkmcnt(1)
	flat_store_b32 v[231:232], v210 offset:108
	s_waitcnt vmcnt(0) lgkmcnt(1)
	flat_store_b32 v[208:209], v211
.LBB108_582:
	s_or_b32 exec_lo, exec_lo, s6
	v_mov_b32_e32 v236, v228
	v_mov_b32_e32 v227, v228
.LBB108_583:
	s_or_b32 exec_lo, exec_lo, s3
.LBB108_584:
	s_and_not1_saveexec_b32 s2, s2
	s_cbranch_execz .LBB108_586
; %bb.585:
	v_mov_b32_e32 v236, 27
	ds_store_2addr_b64 v230, v[104:105], v[106:107] offset0:56 offset1:57
	ds_store_2addr_b64 v230, v[100:101], v[102:103] offset0:58 offset1:59
	;; [unrolled: 1-line block ×27, first 2 shown]
.LBB108_586:
	s_or_b32 exec_lo, exec_lo, s2
	s_delay_alu instid0(SALU_CYCLE_1)
	s_mov_b32 s2, exec_lo
	s_waitcnt lgkmcnt(0)
	s_waitcnt_vscnt null, 0x0
	s_barrier
	buffer_gl0_inv
	v_cmpx_lt_i32_e32 27, v236
	s_cbranch_execz .LBB108_588
; %bb.587:
	v_mul_f64 v[208:209], v[222:223], v[110:111]
	v_mul_f64 v[110:111], v[220:221], v[110:111]
	s_delay_alu instid0(VALU_DEP_2) | instskip(NEXT) | instid1(VALU_DEP_2)
	v_fma_f64 v[228:229], v[220:221], v[108:109], -v[208:209]
	v_fma_f64 v[110:111], v[222:223], v[108:109], v[110:111]
	ds_load_2addr_b64 v[220:223], v230 offset0:56 offset1:57
	s_waitcnt lgkmcnt(0)
	v_mul_f64 v[108:109], v[222:223], v[110:111]
	v_mul_f64 v[208:209], v[220:221], v[110:111]
	s_delay_alu instid0(VALU_DEP_2) | instskip(NEXT) | instid1(VALU_DEP_2)
	v_fma_f64 v[108:109], v[220:221], v[228:229], -v[108:109]
	v_fma_f64 v[208:209], v[222:223], v[228:229], v[208:209]
	ds_load_2addr_b64 v[220:223], v230 offset0:58 offset1:59
	v_add_f64 v[104:105], v[104:105], -v[108:109]
	v_add_f64 v[106:107], v[106:107], -v[208:209]
	s_waitcnt lgkmcnt(0)
	v_mul_f64 v[108:109], v[222:223], v[110:111]
	v_mul_f64 v[208:209], v[220:221], v[110:111]
	s_delay_alu instid0(VALU_DEP_2) | instskip(NEXT) | instid1(VALU_DEP_2)
	v_fma_f64 v[108:109], v[220:221], v[228:229], -v[108:109]
	v_fma_f64 v[208:209], v[222:223], v[228:229], v[208:209]
	ds_load_2addr_b64 v[220:223], v230 offset0:60 offset1:61
	v_add_f64 v[100:101], v[100:101], -v[108:109]
	v_add_f64 v[102:103], v[102:103], -v[208:209]
	;; [unrolled: 9-line block ×26, first 2 shown]
	s_waitcnt lgkmcnt(0)
	v_mul_f64 v[108:109], v[222:223], v[110:111]
	v_mul_f64 v[208:209], v[220:221], v[110:111]
	s_delay_alu instid0(VALU_DEP_2) | instskip(NEXT) | instid1(VALU_DEP_2)
	v_fma_f64 v[108:109], v[220:221], v[228:229], -v[108:109]
	v_fma_f64 v[208:209], v[222:223], v[228:229], v[208:209]
	s_delay_alu instid0(VALU_DEP_2) | instskip(NEXT) | instid1(VALU_DEP_2)
	v_add_f64 v[0:1], v[0:1], -v[108:109]
	v_add_f64 v[2:3], v[2:3], -v[208:209]
	v_dual_mov_b32 v108, v228 :: v_dual_mov_b32 v109, v229
.LBB108_588:
	s_or_b32 exec_lo, exec_lo, s2
	v_lshl_add_u32 v208, v236, 4, v230
	s_barrier
	buffer_gl0_inv
	v_mov_b32_e32 v228, 28
	ds_store_2addr_b64 v208, v[104:105], v[106:107] offset1:1
	s_waitcnt lgkmcnt(0)
	s_barrier
	buffer_gl0_inv
	ds_load_2addr_b64 v[220:223], v230 offset0:56 offset1:57
	s_cmp_lt_i32 s5, 30
	s_cbranch_scc1 .LBB108_591
; %bb.589:
	v_add3_u32 v229, v234, 0, 0x1d0
	v_mov_b32_e32 v228, 28
	s_mov_b32 s6, 29
	s_set_inst_prefetch_distance 0x1
	.p2align	6
.LBB108_590:                            ; =>This Inner Loop Header: Depth=1
	ds_load_2addr_b64 v[237:240], v229 offset1:1
	s_waitcnt lgkmcnt(1)
	v_cmp_gt_f64_e32 vcc_lo, 0, v[220:221]
	v_xor_b32_e32 v208, 0x80000000, v221
	v_cmp_gt_f64_e64 s2, 0, v[222:223]
	v_xor_b32_e32 v210, 0x80000000, v223
	v_add_nc_u32_e32 v229, 16, v229
	s_waitcnt lgkmcnt(0)
	v_cmp_gt_f64_e64 s3, 0, v[237:238]
	v_mov_b32_e32 v212, v237
	v_dual_mov_b32 v214, v239 :: v_dual_cndmask_b32 v209, v221, v208
	v_xor_b32_e32 v208, 0x80000000, v238
	v_cndmask_b32_e64 v211, v223, v210, s2
	v_xor_b32_e32 v210, 0x80000000, v240
	s_delay_alu instid0(VALU_DEP_3) | instskip(SKIP_2) | instid1(VALU_DEP_2)
	v_cndmask_b32_e64 v213, v238, v208, s3
	v_cmp_gt_f64_e64 s3, 0, v[239:240]
	v_cndmask_b32_e32 v208, v220, v220, vcc_lo
	v_cndmask_b32_e64 v215, v240, v210, s3
	v_cndmask_b32_e64 v210, v222, v222, s2
	s_delay_alu instid0(VALU_DEP_2) | instskip(NEXT) | instid1(VALU_DEP_2)
	v_add_f64 v[212:213], v[212:213], v[214:215]
	v_add_f64 v[208:209], v[208:209], v[210:211]
	s_delay_alu instid0(VALU_DEP_1) | instskip(SKIP_4) | instid1(SALU_CYCLE_1)
	v_cmp_lt_f64_e32 vcc_lo, v[208:209], v[212:213]
	v_dual_cndmask_b32 v221, v221, v238 :: v_dual_cndmask_b32 v220, v220, v237
	v_dual_cndmask_b32 v223, v223, v240 :: v_dual_cndmask_b32 v222, v222, v239
	v_cndmask_b32_e64 v228, v228, s6, vcc_lo
	s_add_i32 s6, s6, 1
	s_cmp_lg_u32 s5, s6
	s_cbranch_scc1 .LBB108_590
.LBB108_591:
	s_set_inst_prefetch_distance 0x2
	s_waitcnt lgkmcnt(0)
	v_cmp_eq_f64_e32 vcc_lo, 0, v[220:221]
	v_cmp_eq_f64_e64 s2, 0, v[222:223]
	s_delay_alu instid0(VALU_DEP_1) | instskip(NEXT) | instid1(SALU_CYCLE_1)
	s_and_b32 s2, vcc_lo, s2
	s_and_saveexec_b32 s3, s2
	s_delay_alu instid0(SALU_CYCLE_1)
	s_xor_b32 s2, exec_lo, s3
; %bb.592:
	v_cmp_ne_u32_e32 vcc_lo, 0, v233
	v_cndmask_b32_e32 v233, 29, v233, vcc_lo
; %bb.593:
	s_and_not1_saveexec_b32 s3, s2
	s_cbranch_execz .LBB108_599
; %bb.594:
	v_cmp_gt_f64_e32 vcc_lo, 0, v[220:221]
	v_cmp_gt_f64_e64 s2, 0, v[222:223]
	v_xor_b32_e32 v208, 0x80000000, v221
	v_xor_b32_e32 v210, 0x80000000, v223
	s_delay_alu instid0(VALU_DEP_2) | instskip(NEXT) | instid1(VALU_DEP_2)
	v_cndmask_b32_e32 v209, v221, v208, vcc_lo
	v_cndmask_b32_e64 v211, v223, v210, s2
	v_cndmask_b32_e32 v208, v220, v220, vcc_lo
	v_cndmask_b32_e64 v210, v222, v222, s2
	s_mov_b32 s2, exec_lo
	s_delay_alu instid0(VALU_DEP_1)
	v_cmpx_ngt_f64_e32 v[208:209], v[210:211]
	s_xor_b32 s2, exec_lo, s2
	s_cbranch_execz .LBB108_596
; %bb.595:
	v_div_scale_f64 v[208:209], null, v[222:223], v[222:223], v[220:221]
	v_div_scale_f64 v[214:215], vcc_lo, v[220:221], v[222:223], v[220:221]
	s_delay_alu instid0(VALU_DEP_2) | instskip(SKIP_2) | instid1(VALU_DEP_1)
	v_rcp_f64_e32 v[210:211], v[208:209]
	s_waitcnt_depctr 0xfff
	v_fma_f64 v[212:213], -v[208:209], v[210:211], 1.0
	v_fma_f64 v[210:211], v[210:211], v[212:213], v[210:211]
	s_delay_alu instid0(VALU_DEP_1) | instskip(NEXT) | instid1(VALU_DEP_1)
	v_fma_f64 v[212:213], -v[208:209], v[210:211], 1.0
	v_fma_f64 v[210:211], v[210:211], v[212:213], v[210:211]
	s_delay_alu instid0(VALU_DEP_1) | instskip(NEXT) | instid1(VALU_DEP_1)
	v_mul_f64 v[212:213], v[214:215], v[210:211]
	v_fma_f64 v[208:209], -v[208:209], v[212:213], v[214:215]
	s_delay_alu instid0(VALU_DEP_1) | instskip(NEXT) | instid1(VALU_DEP_1)
	v_div_fmas_f64 v[208:209], v[208:209], v[210:211], v[212:213]
	v_div_fixup_f64 v[208:209], v[208:209], v[222:223], v[220:221]
	s_delay_alu instid0(VALU_DEP_1) | instskip(NEXT) | instid1(VALU_DEP_1)
	v_fma_f64 v[210:211], v[220:221], v[208:209], v[222:223]
	v_div_scale_f64 v[212:213], null, v[210:211], v[210:211], 1.0
	s_delay_alu instid0(VALU_DEP_1) | instskip(SKIP_2) | instid1(VALU_DEP_1)
	v_rcp_f64_e32 v[214:215], v[212:213]
	s_waitcnt_depctr 0xfff
	v_fma_f64 v[220:221], -v[212:213], v[214:215], 1.0
	v_fma_f64 v[214:215], v[214:215], v[220:221], v[214:215]
	s_delay_alu instid0(VALU_DEP_1) | instskip(NEXT) | instid1(VALU_DEP_1)
	v_fma_f64 v[220:221], -v[212:213], v[214:215], 1.0
	v_fma_f64 v[214:215], v[214:215], v[220:221], v[214:215]
	v_div_scale_f64 v[220:221], vcc_lo, 1.0, v[210:211], 1.0
	s_delay_alu instid0(VALU_DEP_1) | instskip(NEXT) | instid1(VALU_DEP_1)
	v_mul_f64 v[222:223], v[220:221], v[214:215]
	v_fma_f64 v[212:213], -v[212:213], v[222:223], v[220:221]
	s_delay_alu instid0(VALU_DEP_1) | instskip(NEXT) | instid1(VALU_DEP_1)
	v_div_fmas_f64 v[212:213], v[212:213], v[214:215], v[222:223]
	v_div_fixup_f64 v[222:223], v[212:213], v[210:211], 1.0
	s_delay_alu instid0(VALU_DEP_1)
	v_mul_f64 v[220:221], v[208:209], v[222:223]
	v_xor_b32_e32 v223, 0x80000000, v223
.LBB108_596:
	s_and_not1_saveexec_b32 s2, s2
	s_cbranch_execz .LBB108_598
; %bb.597:
	s_delay_alu instid0(VALU_DEP_1) | instskip(SKIP_1) | instid1(VALU_DEP_2)
	v_div_scale_f64 v[208:209], null, v[220:221], v[220:221], v[222:223]
	v_div_scale_f64 v[214:215], vcc_lo, v[222:223], v[220:221], v[222:223]
	v_rcp_f64_e32 v[210:211], v[208:209]
	s_waitcnt_depctr 0xfff
	v_fma_f64 v[212:213], -v[208:209], v[210:211], 1.0
	s_delay_alu instid0(VALU_DEP_1) | instskip(NEXT) | instid1(VALU_DEP_1)
	v_fma_f64 v[210:211], v[210:211], v[212:213], v[210:211]
	v_fma_f64 v[212:213], -v[208:209], v[210:211], 1.0
	s_delay_alu instid0(VALU_DEP_1) | instskip(NEXT) | instid1(VALU_DEP_1)
	v_fma_f64 v[210:211], v[210:211], v[212:213], v[210:211]
	v_mul_f64 v[212:213], v[214:215], v[210:211]
	s_delay_alu instid0(VALU_DEP_1) | instskip(NEXT) | instid1(VALU_DEP_1)
	v_fma_f64 v[208:209], -v[208:209], v[212:213], v[214:215]
	v_div_fmas_f64 v[208:209], v[208:209], v[210:211], v[212:213]
	s_delay_alu instid0(VALU_DEP_1) | instskip(NEXT) | instid1(VALU_DEP_1)
	v_div_fixup_f64 v[208:209], v[208:209], v[220:221], v[222:223]
	v_fma_f64 v[210:211], v[222:223], v[208:209], v[220:221]
	s_delay_alu instid0(VALU_DEP_1) | instskip(NEXT) | instid1(VALU_DEP_1)
	v_div_scale_f64 v[212:213], null, v[210:211], v[210:211], 1.0
	v_rcp_f64_e32 v[214:215], v[212:213]
	s_waitcnt_depctr 0xfff
	v_fma_f64 v[220:221], -v[212:213], v[214:215], 1.0
	s_delay_alu instid0(VALU_DEP_1) | instskip(NEXT) | instid1(VALU_DEP_1)
	v_fma_f64 v[214:215], v[214:215], v[220:221], v[214:215]
	v_fma_f64 v[220:221], -v[212:213], v[214:215], 1.0
	s_delay_alu instid0(VALU_DEP_1) | instskip(SKIP_1) | instid1(VALU_DEP_1)
	v_fma_f64 v[214:215], v[214:215], v[220:221], v[214:215]
	v_div_scale_f64 v[220:221], vcc_lo, 1.0, v[210:211], 1.0
	v_mul_f64 v[222:223], v[220:221], v[214:215]
	s_delay_alu instid0(VALU_DEP_1) | instskip(NEXT) | instid1(VALU_DEP_1)
	v_fma_f64 v[212:213], -v[212:213], v[222:223], v[220:221]
	v_div_fmas_f64 v[212:213], v[212:213], v[214:215], v[222:223]
	s_delay_alu instid0(VALU_DEP_1) | instskip(NEXT) | instid1(VALU_DEP_1)
	v_div_fixup_f64 v[220:221], v[212:213], v[210:211], 1.0
	v_mul_f64 v[222:223], v[208:209], -v[220:221]
.LBB108_598:
	s_or_b32 exec_lo, exec_lo, s2
.LBB108_599:
	s_delay_alu instid0(SALU_CYCLE_1) | instskip(NEXT) | instid1(SALU_CYCLE_1)
	s_or_b32 exec_lo, exec_lo, s3
	s_mov_b32 s2, exec_lo
	v_cmpx_ne_u32_e64 v236, v228
	s_xor_b32 s2, exec_lo, s2
	s_cbranch_execz .LBB108_605
; %bb.600:
	s_mov_b32 s3, exec_lo
	v_cmpx_eq_u32_e32 28, v236
	s_cbranch_execz .LBB108_604
; %bb.601:
	v_cmp_ne_u32_e32 vcc_lo, 28, v228
	s_xor_b32 s6, s4, -1
	s_delay_alu instid0(SALU_CYCLE_1) | instskip(NEXT) | instid1(SALU_CYCLE_1)
	s_and_b32 s7, s6, vcc_lo
	s_and_saveexec_b32 s6, s7
	s_cbranch_execz .LBB108_603
; %bb.602:
	v_ashrrev_i32_e32 v229, 31, v228
	s_delay_alu instid0(VALU_DEP_1) | instskip(NEXT) | instid1(VALU_DEP_1)
	v_lshlrev_b64 v[208:209], 2, v[228:229]
	v_add_co_u32 v208, vcc_lo, v231, v208
	s_delay_alu instid0(VALU_DEP_2)
	v_add_co_ci_u32_e32 v209, vcc_lo, v232, v209, vcc_lo
	s_clause 0x1
	flat_load_b32 v210, v[208:209]
	flat_load_b32 v211, v[231:232] offset:112
	s_waitcnt vmcnt(1) lgkmcnt(1)
	flat_store_b32 v[231:232], v210 offset:112
	s_waitcnt vmcnt(0) lgkmcnt(1)
	flat_store_b32 v[208:209], v211
.LBB108_603:
	s_or_b32 exec_lo, exec_lo, s6
	v_mov_b32_e32 v236, v228
	v_mov_b32_e32 v227, v228
.LBB108_604:
	s_or_b32 exec_lo, exec_lo, s3
.LBB108_605:
	s_and_not1_saveexec_b32 s2, s2
	s_cbranch_execz .LBB108_607
; %bb.606:
	v_mov_b32_e32 v236, 28
	ds_store_2addr_b64 v230, v[100:101], v[102:103] offset0:58 offset1:59
	ds_store_2addr_b64 v230, v[96:97], v[98:99] offset0:60 offset1:61
	;; [unrolled: 1-line block ×26, first 2 shown]
.LBB108_607:
	s_or_b32 exec_lo, exec_lo, s2
	s_delay_alu instid0(SALU_CYCLE_1)
	s_mov_b32 s2, exec_lo
	s_waitcnt lgkmcnt(0)
	s_waitcnt_vscnt null, 0x0
	s_barrier
	buffer_gl0_inv
	v_cmpx_lt_i32_e32 28, v236
	s_cbranch_execz .LBB108_609
; %bb.608:
	v_mul_f64 v[208:209], v[222:223], v[106:107]
	v_mul_f64 v[106:107], v[220:221], v[106:107]
	s_delay_alu instid0(VALU_DEP_2) | instskip(NEXT) | instid1(VALU_DEP_2)
	v_fma_f64 v[228:229], v[220:221], v[104:105], -v[208:209]
	v_fma_f64 v[106:107], v[222:223], v[104:105], v[106:107]
	ds_load_2addr_b64 v[220:223], v230 offset0:58 offset1:59
	s_waitcnt lgkmcnt(0)
	v_mul_f64 v[104:105], v[222:223], v[106:107]
	v_mul_f64 v[208:209], v[220:221], v[106:107]
	s_delay_alu instid0(VALU_DEP_2) | instskip(NEXT) | instid1(VALU_DEP_2)
	v_fma_f64 v[104:105], v[220:221], v[228:229], -v[104:105]
	v_fma_f64 v[208:209], v[222:223], v[228:229], v[208:209]
	ds_load_2addr_b64 v[220:223], v230 offset0:60 offset1:61
	v_add_f64 v[100:101], v[100:101], -v[104:105]
	v_add_f64 v[102:103], v[102:103], -v[208:209]
	s_waitcnt lgkmcnt(0)
	v_mul_f64 v[104:105], v[222:223], v[106:107]
	v_mul_f64 v[208:209], v[220:221], v[106:107]
	s_delay_alu instid0(VALU_DEP_2) | instskip(NEXT) | instid1(VALU_DEP_2)
	v_fma_f64 v[104:105], v[220:221], v[228:229], -v[104:105]
	v_fma_f64 v[208:209], v[222:223], v[228:229], v[208:209]
	ds_load_2addr_b64 v[220:223], v230 offset0:62 offset1:63
	v_add_f64 v[96:97], v[96:97], -v[104:105]
	v_add_f64 v[98:99], v[98:99], -v[208:209]
	;; [unrolled: 9-line block ×25, first 2 shown]
	s_waitcnt lgkmcnt(0)
	v_mul_f64 v[104:105], v[222:223], v[106:107]
	v_mul_f64 v[208:209], v[220:221], v[106:107]
	s_delay_alu instid0(VALU_DEP_2) | instskip(NEXT) | instid1(VALU_DEP_2)
	v_fma_f64 v[104:105], v[220:221], v[228:229], -v[104:105]
	v_fma_f64 v[208:209], v[222:223], v[228:229], v[208:209]
	s_delay_alu instid0(VALU_DEP_2) | instskip(NEXT) | instid1(VALU_DEP_2)
	v_add_f64 v[0:1], v[0:1], -v[104:105]
	v_add_f64 v[2:3], v[2:3], -v[208:209]
	v_dual_mov_b32 v104, v228 :: v_dual_mov_b32 v105, v229
.LBB108_609:
	s_or_b32 exec_lo, exec_lo, s2
	v_lshl_add_u32 v208, v236, 4, v230
	s_barrier
	buffer_gl0_inv
	v_mov_b32_e32 v228, 29
	ds_store_2addr_b64 v208, v[100:101], v[102:103] offset1:1
	s_waitcnt lgkmcnt(0)
	s_barrier
	buffer_gl0_inv
	ds_load_2addr_b64 v[220:223], v230 offset0:58 offset1:59
	s_cmp_lt_i32 s5, 31
	s_cbranch_scc1 .LBB108_612
; %bb.610:
	v_add3_u32 v229, v234, 0, 0x1e0
	v_mov_b32_e32 v228, 29
	s_mov_b32 s6, 30
	s_set_inst_prefetch_distance 0x1
	.p2align	6
.LBB108_611:                            ; =>This Inner Loop Header: Depth=1
	ds_load_2addr_b64 v[237:240], v229 offset1:1
	s_waitcnt lgkmcnt(1)
	v_cmp_gt_f64_e32 vcc_lo, 0, v[220:221]
	v_xor_b32_e32 v208, 0x80000000, v221
	v_cmp_gt_f64_e64 s2, 0, v[222:223]
	v_xor_b32_e32 v210, 0x80000000, v223
	v_add_nc_u32_e32 v229, 16, v229
	s_waitcnt lgkmcnt(0)
	v_cmp_gt_f64_e64 s3, 0, v[237:238]
	v_mov_b32_e32 v212, v237
	v_dual_mov_b32 v214, v239 :: v_dual_cndmask_b32 v209, v221, v208
	v_xor_b32_e32 v208, 0x80000000, v238
	v_cndmask_b32_e64 v211, v223, v210, s2
	v_xor_b32_e32 v210, 0x80000000, v240
	s_delay_alu instid0(VALU_DEP_3) | instskip(SKIP_2) | instid1(VALU_DEP_2)
	v_cndmask_b32_e64 v213, v238, v208, s3
	v_cmp_gt_f64_e64 s3, 0, v[239:240]
	v_cndmask_b32_e32 v208, v220, v220, vcc_lo
	v_cndmask_b32_e64 v215, v240, v210, s3
	v_cndmask_b32_e64 v210, v222, v222, s2
	s_delay_alu instid0(VALU_DEP_2) | instskip(NEXT) | instid1(VALU_DEP_2)
	v_add_f64 v[212:213], v[212:213], v[214:215]
	v_add_f64 v[208:209], v[208:209], v[210:211]
	s_delay_alu instid0(VALU_DEP_1) | instskip(SKIP_4) | instid1(SALU_CYCLE_1)
	v_cmp_lt_f64_e32 vcc_lo, v[208:209], v[212:213]
	v_dual_cndmask_b32 v221, v221, v238 :: v_dual_cndmask_b32 v220, v220, v237
	v_dual_cndmask_b32 v223, v223, v240 :: v_dual_cndmask_b32 v222, v222, v239
	v_cndmask_b32_e64 v228, v228, s6, vcc_lo
	s_add_i32 s6, s6, 1
	s_cmp_lg_u32 s5, s6
	s_cbranch_scc1 .LBB108_611
.LBB108_612:
	s_set_inst_prefetch_distance 0x2
	s_waitcnt lgkmcnt(0)
	v_cmp_eq_f64_e32 vcc_lo, 0, v[220:221]
	v_cmp_eq_f64_e64 s2, 0, v[222:223]
	s_delay_alu instid0(VALU_DEP_1) | instskip(NEXT) | instid1(SALU_CYCLE_1)
	s_and_b32 s2, vcc_lo, s2
	s_and_saveexec_b32 s3, s2
	s_delay_alu instid0(SALU_CYCLE_1)
	s_xor_b32 s2, exec_lo, s3
; %bb.613:
	v_cmp_ne_u32_e32 vcc_lo, 0, v233
	v_cndmask_b32_e32 v233, 30, v233, vcc_lo
; %bb.614:
	s_and_not1_saveexec_b32 s3, s2
	s_cbranch_execz .LBB108_620
; %bb.615:
	v_cmp_gt_f64_e32 vcc_lo, 0, v[220:221]
	v_cmp_gt_f64_e64 s2, 0, v[222:223]
	v_xor_b32_e32 v208, 0x80000000, v221
	v_xor_b32_e32 v210, 0x80000000, v223
	s_delay_alu instid0(VALU_DEP_2) | instskip(NEXT) | instid1(VALU_DEP_2)
	v_cndmask_b32_e32 v209, v221, v208, vcc_lo
	v_cndmask_b32_e64 v211, v223, v210, s2
	v_cndmask_b32_e32 v208, v220, v220, vcc_lo
	v_cndmask_b32_e64 v210, v222, v222, s2
	s_mov_b32 s2, exec_lo
	s_delay_alu instid0(VALU_DEP_1)
	v_cmpx_ngt_f64_e32 v[208:209], v[210:211]
	s_xor_b32 s2, exec_lo, s2
	s_cbranch_execz .LBB108_617
; %bb.616:
	v_div_scale_f64 v[208:209], null, v[222:223], v[222:223], v[220:221]
	v_div_scale_f64 v[214:215], vcc_lo, v[220:221], v[222:223], v[220:221]
	s_delay_alu instid0(VALU_DEP_2) | instskip(SKIP_2) | instid1(VALU_DEP_1)
	v_rcp_f64_e32 v[210:211], v[208:209]
	s_waitcnt_depctr 0xfff
	v_fma_f64 v[212:213], -v[208:209], v[210:211], 1.0
	v_fma_f64 v[210:211], v[210:211], v[212:213], v[210:211]
	s_delay_alu instid0(VALU_DEP_1) | instskip(NEXT) | instid1(VALU_DEP_1)
	v_fma_f64 v[212:213], -v[208:209], v[210:211], 1.0
	v_fma_f64 v[210:211], v[210:211], v[212:213], v[210:211]
	s_delay_alu instid0(VALU_DEP_1) | instskip(NEXT) | instid1(VALU_DEP_1)
	v_mul_f64 v[212:213], v[214:215], v[210:211]
	v_fma_f64 v[208:209], -v[208:209], v[212:213], v[214:215]
	s_delay_alu instid0(VALU_DEP_1) | instskip(NEXT) | instid1(VALU_DEP_1)
	v_div_fmas_f64 v[208:209], v[208:209], v[210:211], v[212:213]
	v_div_fixup_f64 v[208:209], v[208:209], v[222:223], v[220:221]
	s_delay_alu instid0(VALU_DEP_1) | instskip(NEXT) | instid1(VALU_DEP_1)
	v_fma_f64 v[210:211], v[220:221], v[208:209], v[222:223]
	v_div_scale_f64 v[212:213], null, v[210:211], v[210:211], 1.0
	s_delay_alu instid0(VALU_DEP_1) | instskip(SKIP_2) | instid1(VALU_DEP_1)
	v_rcp_f64_e32 v[214:215], v[212:213]
	s_waitcnt_depctr 0xfff
	v_fma_f64 v[220:221], -v[212:213], v[214:215], 1.0
	v_fma_f64 v[214:215], v[214:215], v[220:221], v[214:215]
	s_delay_alu instid0(VALU_DEP_1) | instskip(NEXT) | instid1(VALU_DEP_1)
	v_fma_f64 v[220:221], -v[212:213], v[214:215], 1.0
	v_fma_f64 v[214:215], v[214:215], v[220:221], v[214:215]
	v_div_scale_f64 v[220:221], vcc_lo, 1.0, v[210:211], 1.0
	s_delay_alu instid0(VALU_DEP_1) | instskip(NEXT) | instid1(VALU_DEP_1)
	v_mul_f64 v[222:223], v[220:221], v[214:215]
	v_fma_f64 v[212:213], -v[212:213], v[222:223], v[220:221]
	s_delay_alu instid0(VALU_DEP_1) | instskip(NEXT) | instid1(VALU_DEP_1)
	v_div_fmas_f64 v[212:213], v[212:213], v[214:215], v[222:223]
	v_div_fixup_f64 v[222:223], v[212:213], v[210:211], 1.0
	s_delay_alu instid0(VALU_DEP_1)
	v_mul_f64 v[220:221], v[208:209], v[222:223]
	v_xor_b32_e32 v223, 0x80000000, v223
.LBB108_617:
	s_and_not1_saveexec_b32 s2, s2
	s_cbranch_execz .LBB108_619
; %bb.618:
	s_delay_alu instid0(VALU_DEP_1) | instskip(SKIP_1) | instid1(VALU_DEP_2)
	v_div_scale_f64 v[208:209], null, v[220:221], v[220:221], v[222:223]
	v_div_scale_f64 v[214:215], vcc_lo, v[222:223], v[220:221], v[222:223]
	v_rcp_f64_e32 v[210:211], v[208:209]
	s_waitcnt_depctr 0xfff
	v_fma_f64 v[212:213], -v[208:209], v[210:211], 1.0
	s_delay_alu instid0(VALU_DEP_1) | instskip(NEXT) | instid1(VALU_DEP_1)
	v_fma_f64 v[210:211], v[210:211], v[212:213], v[210:211]
	v_fma_f64 v[212:213], -v[208:209], v[210:211], 1.0
	s_delay_alu instid0(VALU_DEP_1) | instskip(NEXT) | instid1(VALU_DEP_1)
	v_fma_f64 v[210:211], v[210:211], v[212:213], v[210:211]
	v_mul_f64 v[212:213], v[214:215], v[210:211]
	s_delay_alu instid0(VALU_DEP_1) | instskip(NEXT) | instid1(VALU_DEP_1)
	v_fma_f64 v[208:209], -v[208:209], v[212:213], v[214:215]
	v_div_fmas_f64 v[208:209], v[208:209], v[210:211], v[212:213]
	s_delay_alu instid0(VALU_DEP_1) | instskip(NEXT) | instid1(VALU_DEP_1)
	v_div_fixup_f64 v[208:209], v[208:209], v[220:221], v[222:223]
	v_fma_f64 v[210:211], v[222:223], v[208:209], v[220:221]
	s_delay_alu instid0(VALU_DEP_1) | instskip(NEXT) | instid1(VALU_DEP_1)
	v_div_scale_f64 v[212:213], null, v[210:211], v[210:211], 1.0
	v_rcp_f64_e32 v[214:215], v[212:213]
	s_waitcnt_depctr 0xfff
	v_fma_f64 v[220:221], -v[212:213], v[214:215], 1.0
	s_delay_alu instid0(VALU_DEP_1) | instskip(NEXT) | instid1(VALU_DEP_1)
	v_fma_f64 v[214:215], v[214:215], v[220:221], v[214:215]
	v_fma_f64 v[220:221], -v[212:213], v[214:215], 1.0
	s_delay_alu instid0(VALU_DEP_1) | instskip(SKIP_1) | instid1(VALU_DEP_1)
	v_fma_f64 v[214:215], v[214:215], v[220:221], v[214:215]
	v_div_scale_f64 v[220:221], vcc_lo, 1.0, v[210:211], 1.0
	v_mul_f64 v[222:223], v[220:221], v[214:215]
	s_delay_alu instid0(VALU_DEP_1) | instskip(NEXT) | instid1(VALU_DEP_1)
	v_fma_f64 v[212:213], -v[212:213], v[222:223], v[220:221]
	v_div_fmas_f64 v[212:213], v[212:213], v[214:215], v[222:223]
	s_delay_alu instid0(VALU_DEP_1) | instskip(NEXT) | instid1(VALU_DEP_1)
	v_div_fixup_f64 v[220:221], v[212:213], v[210:211], 1.0
	v_mul_f64 v[222:223], v[208:209], -v[220:221]
.LBB108_619:
	s_or_b32 exec_lo, exec_lo, s2
.LBB108_620:
	s_delay_alu instid0(SALU_CYCLE_1) | instskip(NEXT) | instid1(SALU_CYCLE_1)
	s_or_b32 exec_lo, exec_lo, s3
	s_mov_b32 s2, exec_lo
	v_cmpx_ne_u32_e64 v236, v228
	s_xor_b32 s2, exec_lo, s2
	s_cbranch_execz .LBB108_626
; %bb.621:
	s_mov_b32 s3, exec_lo
	v_cmpx_eq_u32_e32 29, v236
	s_cbranch_execz .LBB108_625
; %bb.622:
	v_cmp_ne_u32_e32 vcc_lo, 29, v228
	s_xor_b32 s6, s4, -1
	s_delay_alu instid0(SALU_CYCLE_1) | instskip(NEXT) | instid1(SALU_CYCLE_1)
	s_and_b32 s7, s6, vcc_lo
	s_and_saveexec_b32 s6, s7
	s_cbranch_execz .LBB108_624
; %bb.623:
	v_ashrrev_i32_e32 v229, 31, v228
	s_delay_alu instid0(VALU_DEP_1) | instskip(NEXT) | instid1(VALU_DEP_1)
	v_lshlrev_b64 v[208:209], 2, v[228:229]
	v_add_co_u32 v208, vcc_lo, v231, v208
	s_delay_alu instid0(VALU_DEP_2)
	v_add_co_ci_u32_e32 v209, vcc_lo, v232, v209, vcc_lo
	s_clause 0x1
	flat_load_b32 v210, v[208:209]
	flat_load_b32 v211, v[231:232] offset:116
	s_waitcnt vmcnt(1) lgkmcnt(1)
	flat_store_b32 v[231:232], v210 offset:116
	s_waitcnt vmcnt(0) lgkmcnt(1)
	flat_store_b32 v[208:209], v211
.LBB108_624:
	s_or_b32 exec_lo, exec_lo, s6
	v_mov_b32_e32 v236, v228
	v_mov_b32_e32 v227, v228
.LBB108_625:
	s_or_b32 exec_lo, exec_lo, s3
.LBB108_626:
	s_and_not1_saveexec_b32 s2, s2
	s_cbranch_execz .LBB108_628
; %bb.627:
	v_mov_b32_e32 v236, 29
	ds_store_2addr_b64 v230, v[96:97], v[98:99] offset0:60 offset1:61
	ds_store_2addr_b64 v230, v[92:93], v[94:95] offset0:62 offset1:63
	;; [unrolled: 1-line block ×25, first 2 shown]
.LBB108_628:
	s_or_b32 exec_lo, exec_lo, s2
	s_delay_alu instid0(SALU_CYCLE_1)
	s_mov_b32 s2, exec_lo
	s_waitcnt lgkmcnt(0)
	s_waitcnt_vscnt null, 0x0
	s_barrier
	buffer_gl0_inv
	v_cmpx_lt_i32_e32 29, v236
	s_cbranch_execz .LBB108_630
; %bb.629:
	v_mul_f64 v[208:209], v[222:223], v[102:103]
	v_mul_f64 v[102:103], v[220:221], v[102:103]
	s_delay_alu instid0(VALU_DEP_2) | instskip(NEXT) | instid1(VALU_DEP_2)
	v_fma_f64 v[228:229], v[220:221], v[100:101], -v[208:209]
	v_fma_f64 v[102:103], v[222:223], v[100:101], v[102:103]
	ds_load_2addr_b64 v[220:223], v230 offset0:60 offset1:61
	s_waitcnt lgkmcnt(0)
	v_mul_f64 v[100:101], v[222:223], v[102:103]
	v_mul_f64 v[208:209], v[220:221], v[102:103]
	s_delay_alu instid0(VALU_DEP_2) | instskip(NEXT) | instid1(VALU_DEP_2)
	v_fma_f64 v[100:101], v[220:221], v[228:229], -v[100:101]
	v_fma_f64 v[208:209], v[222:223], v[228:229], v[208:209]
	ds_load_2addr_b64 v[220:223], v230 offset0:62 offset1:63
	v_add_f64 v[96:97], v[96:97], -v[100:101]
	v_add_f64 v[98:99], v[98:99], -v[208:209]
	s_waitcnt lgkmcnt(0)
	v_mul_f64 v[100:101], v[222:223], v[102:103]
	v_mul_f64 v[208:209], v[220:221], v[102:103]
	s_delay_alu instid0(VALU_DEP_2) | instskip(NEXT) | instid1(VALU_DEP_2)
	v_fma_f64 v[100:101], v[220:221], v[228:229], -v[100:101]
	v_fma_f64 v[208:209], v[222:223], v[228:229], v[208:209]
	ds_load_2addr_b64 v[220:223], v230 offset0:64 offset1:65
	v_add_f64 v[92:93], v[92:93], -v[100:101]
	v_add_f64 v[94:95], v[94:95], -v[208:209]
	;; [unrolled: 9-line block ×24, first 2 shown]
	s_waitcnt lgkmcnt(0)
	v_mul_f64 v[100:101], v[222:223], v[102:103]
	v_mul_f64 v[208:209], v[220:221], v[102:103]
	s_delay_alu instid0(VALU_DEP_2) | instskip(NEXT) | instid1(VALU_DEP_2)
	v_fma_f64 v[100:101], v[220:221], v[228:229], -v[100:101]
	v_fma_f64 v[208:209], v[222:223], v[228:229], v[208:209]
	s_delay_alu instid0(VALU_DEP_2) | instskip(NEXT) | instid1(VALU_DEP_2)
	v_add_f64 v[0:1], v[0:1], -v[100:101]
	v_add_f64 v[2:3], v[2:3], -v[208:209]
	v_dual_mov_b32 v100, v228 :: v_dual_mov_b32 v101, v229
.LBB108_630:
	s_or_b32 exec_lo, exec_lo, s2
	v_lshl_add_u32 v208, v236, 4, v230
	s_barrier
	buffer_gl0_inv
	v_mov_b32_e32 v228, 30
	ds_store_2addr_b64 v208, v[96:97], v[98:99] offset1:1
	s_waitcnt lgkmcnt(0)
	s_barrier
	buffer_gl0_inv
	ds_load_2addr_b64 v[220:223], v230 offset0:60 offset1:61
	s_cmp_lt_i32 s5, 32
	s_cbranch_scc1 .LBB108_633
; %bb.631:
	v_add3_u32 v229, v234, 0, 0x1f0
	v_mov_b32_e32 v228, 30
	s_mov_b32 s6, 31
	s_set_inst_prefetch_distance 0x1
	.p2align	6
.LBB108_632:                            ; =>This Inner Loop Header: Depth=1
	ds_load_2addr_b64 v[237:240], v229 offset1:1
	s_waitcnt lgkmcnt(1)
	v_cmp_gt_f64_e32 vcc_lo, 0, v[220:221]
	v_xor_b32_e32 v208, 0x80000000, v221
	v_cmp_gt_f64_e64 s2, 0, v[222:223]
	v_xor_b32_e32 v210, 0x80000000, v223
	v_add_nc_u32_e32 v229, 16, v229
	s_waitcnt lgkmcnt(0)
	v_cmp_gt_f64_e64 s3, 0, v[237:238]
	v_mov_b32_e32 v212, v237
	v_dual_mov_b32 v214, v239 :: v_dual_cndmask_b32 v209, v221, v208
	v_xor_b32_e32 v208, 0x80000000, v238
	v_cndmask_b32_e64 v211, v223, v210, s2
	v_xor_b32_e32 v210, 0x80000000, v240
	s_delay_alu instid0(VALU_DEP_3) | instskip(SKIP_2) | instid1(VALU_DEP_2)
	v_cndmask_b32_e64 v213, v238, v208, s3
	v_cmp_gt_f64_e64 s3, 0, v[239:240]
	v_cndmask_b32_e32 v208, v220, v220, vcc_lo
	v_cndmask_b32_e64 v215, v240, v210, s3
	v_cndmask_b32_e64 v210, v222, v222, s2
	s_delay_alu instid0(VALU_DEP_2) | instskip(NEXT) | instid1(VALU_DEP_2)
	v_add_f64 v[212:213], v[212:213], v[214:215]
	v_add_f64 v[208:209], v[208:209], v[210:211]
	s_delay_alu instid0(VALU_DEP_1) | instskip(SKIP_4) | instid1(SALU_CYCLE_1)
	v_cmp_lt_f64_e32 vcc_lo, v[208:209], v[212:213]
	v_dual_cndmask_b32 v221, v221, v238 :: v_dual_cndmask_b32 v220, v220, v237
	v_dual_cndmask_b32 v223, v223, v240 :: v_dual_cndmask_b32 v222, v222, v239
	v_cndmask_b32_e64 v228, v228, s6, vcc_lo
	s_add_i32 s6, s6, 1
	s_cmp_lg_u32 s5, s6
	s_cbranch_scc1 .LBB108_632
.LBB108_633:
	s_set_inst_prefetch_distance 0x2
	s_waitcnt lgkmcnt(0)
	v_cmp_eq_f64_e32 vcc_lo, 0, v[220:221]
	v_cmp_eq_f64_e64 s2, 0, v[222:223]
	s_delay_alu instid0(VALU_DEP_1) | instskip(NEXT) | instid1(SALU_CYCLE_1)
	s_and_b32 s2, vcc_lo, s2
	s_and_saveexec_b32 s3, s2
	s_delay_alu instid0(SALU_CYCLE_1)
	s_xor_b32 s2, exec_lo, s3
; %bb.634:
	v_cmp_ne_u32_e32 vcc_lo, 0, v233
	v_cndmask_b32_e32 v233, 31, v233, vcc_lo
; %bb.635:
	s_and_not1_saveexec_b32 s3, s2
	s_cbranch_execz .LBB108_641
; %bb.636:
	v_cmp_gt_f64_e32 vcc_lo, 0, v[220:221]
	v_cmp_gt_f64_e64 s2, 0, v[222:223]
	v_xor_b32_e32 v208, 0x80000000, v221
	v_xor_b32_e32 v210, 0x80000000, v223
	s_delay_alu instid0(VALU_DEP_2) | instskip(NEXT) | instid1(VALU_DEP_2)
	v_cndmask_b32_e32 v209, v221, v208, vcc_lo
	v_cndmask_b32_e64 v211, v223, v210, s2
	v_cndmask_b32_e32 v208, v220, v220, vcc_lo
	v_cndmask_b32_e64 v210, v222, v222, s2
	s_mov_b32 s2, exec_lo
	s_delay_alu instid0(VALU_DEP_1)
	v_cmpx_ngt_f64_e32 v[208:209], v[210:211]
	s_xor_b32 s2, exec_lo, s2
	s_cbranch_execz .LBB108_638
; %bb.637:
	v_div_scale_f64 v[208:209], null, v[222:223], v[222:223], v[220:221]
	v_div_scale_f64 v[214:215], vcc_lo, v[220:221], v[222:223], v[220:221]
	s_delay_alu instid0(VALU_DEP_2) | instskip(SKIP_2) | instid1(VALU_DEP_1)
	v_rcp_f64_e32 v[210:211], v[208:209]
	s_waitcnt_depctr 0xfff
	v_fma_f64 v[212:213], -v[208:209], v[210:211], 1.0
	v_fma_f64 v[210:211], v[210:211], v[212:213], v[210:211]
	s_delay_alu instid0(VALU_DEP_1) | instskip(NEXT) | instid1(VALU_DEP_1)
	v_fma_f64 v[212:213], -v[208:209], v[210:211], 1.0
	v_fma_f64 v[210:211], v[210:211], v[212:213], v[210:211]
	s_delay_alu instid0(VALU_DEP_1) | instskip(NEXT) | instid1(VALU_DEP_1)
	v_mul_f64 v[212:213], v[214:215], v[210:211]
	v_fma_f64 v[208:209], -v[208:209], v[212:213], v[214:215]
	s_delay_alu instid0(VALU_DEP_1) | instskip(NEXT) | instid1(VALU_DEP_1)
	v_div_fmas_f64 v[208:209], v[208:209], v[210:211], v[212:213]
	v_div_fixup_f64 v[208:209], v[208:209], v[222:223], v[220:221]
	s_delay_alu instid0(VALU_DEP_1) | instskip(NEXT) | instid1(VALU_DEP_1)
	v_fma_f64 v[210:211], v[220:221], v[208:209], v[222:223]
	v_div_scale_f64 v[212:213], null, v[210:211], v[210:211], 1.0
	s_delay_alu instid0(VALU_DEP_1) | instskip(SKIP_2) | instid1(VALU_DEP_1)
	v_rcp_f64_e32 v[214:215], v[212:213]
	s_waitcnt_depctr 0xfff
	v_fma_f64 v[220:221], -v[212:213], v[214:215], 1.0
	v_fma_f64 v[214:215], v[214:215], v[220:221], v[214:215]
	s_delay_alu instid0(VALU_DEP_1) | instskip(NEXT) | instid1(VALU_DEP_1)
	v_fma_f64 v[220:221], -v[212:213], v[214:215], 1.0
	v_fma_f64 v[214:215], v[214:215], v[220:221], v[214:215]
	v_div_scale_f64 v[220:221], vcc_lo, 1.0, v[210:211], 1.0
	s_delay_alu instid0(VALU_DEP_1) | instskip(NEXT) | instid1(VALU_DEP_1)
	v_mul_f64 v[222:223], v[220:221], v[214:215]
	v_fma_f64 v[212:213], -v[212:213], v[222:223], v[220:221]
	s_delay_alu instid0(VALU_DEP_1) | instskip(NEXT) | instid1(VALU_DEP_1)
	v_div_fmas_f64 v[212:213], v[212:213], v[214:215], v[222:223]
	v_div_fixup_f64 v[222:223], v[212:213], v[210:211], 1.0
	s_delay_alu instid0(VALU_DEP_1)
	v_mul_f64 v[220:221], v[208:209], v[222:223]
	v_xor_b32_e32 v223, 0x80000000, v223
.LBB108_638:
	s_and_not1_saveexec_b32 s2, s2
	s_cbranch_execz .LBB108_640
; %bb.639:
	s_delay_alu instid0(VALU_DEP_1) | instskip(SKIP_1) | instid1(VALU_DEP_2)
	v_div_scale_f64 v[208:209], null, v[220:221], v[220:221], v[222:223]
	v_div_scale_f64 v[214:215], vcc_lo, v[222:223], v[220:221], v[222:223]
	v_rcp_f64_e32 v[210:211], v[208:209]
	s_waitcnt_depctr 0xfff
	v_fma_f64 v[212:213], -v[208:209], v[210:211], 1.0
	s_delay_alu instid0(VALU_DEP_1) | instskip(NEXT) | instid1(VALU_DEP_1)
	v_fma_f64 v[210:211], v[210:211], v[212:213], v[210:211]
	v_fma_f64 v[212:213], -v[208:209], v[210:211], 1.0
	s_delay_alu instid0(VALU_DEP_1) | instskip(NEXT) | instid1(VALU_DEP_1)
	v_fma_f64 v[210:211], v[210:211], v[212:213], v[210:211]
	v_mul_f64 v[212:213], v[214:215], v[210:211]
	s_delay_alu instid0(VALU_DEP_1) | instskip(NEXT) | instid1(VALU_DEP_1)
	v_fma_f64 v[208:209], -v[208:209], v[212:213], v[214:215]
	v_div_fmas_f64 v[208:209], v[208:209], v[210:211], v[212:213]
	s_delay_alu instid0(VALU_DEP_1) | instskip(NEXT) | instid1(VALU_DEP_1)
	v_div_fixup_f64 v[208:209], v[208:209], v[220:221], v[222:223]
	v_fma_f64 v[210:211], v[222:223], v[208:209], v[220:221]
	s_delay_alu instid0(VALU_DEP_1) | instskip(NEXT) | instid1(VALU_DEP_1)
	v_div_scale_f64 v[212:213], null, v[210:211], v[210:211], 1.0
	v_rcp_f64_e32 v[214:215], v[212:213]
	s_waitcnt_depctr 0xfff
	v_fma_f64 v[220:221], -v[212:213], v[214:215], 1.0
	s_delay_alu instid0(VALU_DEP_1) | instskip(NEXT) | instid1(VALU_DEP_1)
	v_fma_f64 v[214:215], v[214:215], v[220:221], v[214:215]
	v_fma_f64 v[220:221], -v[212:213], v[214:215], 1.0
	s_delay_alu instid0(VALU_DEP_1) | instskip(SKIP_1) | instid1(VALU_DEP_1)
	v_fma_f64 v[214:215], v[214:215], v[220:221], v[214:215]
	v_div_scale_f64 v[220:221], vcc_lo, 1.0, v[210:211], 1.0
	v_mul_f64 v[222:223], v[220:221], v[214:215]
	s_delay_alu instid0(VALU_DEP_1) | instskip(NEXT) | instid1(VALU_DEP_1)
	v_fma_f64 v[212:213], -v[212:213], v[222:223], v[220:221]
	v_div_fmas_f64 v[212:213], v[212:213], v[214:215], v[222:223]
	s_delay_alu instid0(VALU_DEP_1) | instskip(NEXT) | instid1(VALU_DEP_1)
	v_div_fixup_f64 v[220:221], v[212:213], v[210:211], 1.0
	v_mul_f64 v[222:223], v[208:209], -v[220:221]
.LBB108_640:
	s_or_b32 exec_lo, exec_lo, s2
.LBB108_641:
	s_delay_alu instid0(SALU_CYCLE_1) | instskip(NEXT) | instid1(SALU_CYCLE_1)
	s_or_b32 exec_lo, exec_lo, s3
	s_mov_b32 s2, exec_lo
	v_cmpx_ne_u32_e64 v236, v228
	s_xor_b32 s2, exec_lo, s2
	s_cbranch_execz .LBB108_647
; %bb.642:
	s_mov_b32 s3, exec_lo
	v_cmpx_eq_u32_e32 30, v236
	s_cbranch_execz .LBB108_646
; %bb.643:
	v_cmp_ne_u32_e32 vcc_lo, 30, v228
	s_xor_b32 s6, s4, -1
	s_delay_alu instid0(SALU_CYCLE_1) | instskip(NEXT) | instid1(SALU_CYCLE_1)
	s_and_b32 s7, s6, vcc_lo
	s_and_saveexec_b32 s6, s7
	s_cbranch_execz .LBB108_645
; %bb.644:
	v_ashrrev_i32_e32 v229, 31, v228
	s_delay_alu instid0(VALU_DEP_1) | instskip(NEXT) | instid1(VALU_DEP_1)
	v_lshlrev_b64 v[208:209], 2, v[228:229]
	v_add_co_u32 v208, vcc_lo, v231, v208
	s_delay_alu instid0(VALU_DEP_2)
	v_add_co_ci_u32_e32 v209, vcc_lo, v232, v209, vcc_lo
	s_clause 0x1
	flat_load_b32 v210, v[208:209]
	flat_load_b32 v211, v[231:232] offset:120
	s_waitcnt vmcnt(1) lgkmcnt(1)
	flat_store_b32 v[231:232], v210 offset:120
	s_waitcnt vmcnt(0) lgkmcnt(1)
	flat_store_b32 v[208:209], v211
.LBB108_645:
	s_or_b32 exec_lo, exec_lo, s6
	v_mov_b32_e32 v236, v228
	v_mov_b32_e32 v227, v228
.LBB108_646:
	s_or_b32 exec_lo, exec_lo, s3
.LBB108_647:
	s_and_not1_saveexec_b32 s2, s2
	s_cbranch_execz .LBB108_649
; %bb.648:
	v_mov_b32_e32 v236, 30
	ds_store_2addr_b64 v230, v[92:93], v[94:95] offset0:62 offset1:63
	ds_store_2addr_b64 v230, v[88:89], v[90:91] offset0:64 offset1:65
	;; [unrolled: 1-line block ×24, first 2 shown]
.LBB108_649:
	s_or_b32 exec_lo, exec_lo, s2
	s_delay_alu instid0(SALU_CYCLE_1)
	s_mov_b32 s2, exec_lo
	s_waitcnt lgkmcnt(0)
	s_waitcnt_vscnt null, 0x0
	s_barrier
	buffer_gl0_inv
	v_cmpx_lt_i32_e32 30, v236
	s_cbranch_execz .LBB108_651
; %bb.650:
	v_mul_f64 v[208:209], v[222:223], v[98:99]
	v_mul_f64 v[98:99], v[220:221], v[98:99]
	s_delay_alu instid0(VALU_DEP_2) | instskip(NEXT) | instid1(VALU_DEP_2)
	v_fma_f64 v[228:229], v[220:221], v[96:97], -v[208:209]
	v_fma_f64 v[98:99], v[222:223], v[96:97], v[98:99]
	ds_load_2addr_b64 v[220:223], v230 offset0:62 offset1:63
	s_waitcnt lgkmcnt(0)
	v_mul_f64 v[96:97], v[222:223], v[98:99]
	v_mul_f64 v[208:209], v[220:221], v[98:99]
	s_delay_alu instid0(VALU_DEP_2) | instskip(NEXT) | instid1(VALU_DEP_2)
	v_fma_f64 v[96:97], v[220:221], v[228:229], -v[96:97]
	v_fma_f64 v[208:209], v[222:223], v[228:229], v[208:209]
	ds_load_2addr_b64 v[220:223], v230 offset0:64 offset1:65
	v_add_f64 v[92:93], v[92:93], -v[96:97]
	v_add_f64 v[94:95], v[94:95], -v[208:209]
	s_waitcnt lgkmcnt(0)
	v_mul_f64 v[96:97], v[222:223], v[98:99]
	v_mul_f64 v[208:209], v[220:221], v[98:99]
	s_delay_alu instid0(VALU_DEP_2) | instskip(NEXT) | instid1(VALU_DEP_2)
	v_fma_f64 v[96:97], v[220:221], v[228:229], -v[96:97]
	v_fma_f64 v[208:209], v[222:223], v[228:229], v[208:209]
	ds_load_2addr_b64 v[220:223], v230 offset0:66 offset1:67
	v_add_f64 v[88:89], v[88:89], -v[96:97]
	v_add_f64 v[90:91], v[90:91], -v[208:209]
	;; [unrolled: 9-line block ×23, first 2 shown]
	s_waitcnt lgkmcnt(0)
	v_mul_f64 v[96:97], v[222:223], v[98:99]
	v_mul_f64 v[208:209], v[220:221], v[98:99]
	s_delay_alu instid0(VALU_DEP_2) | instskip(NEXT) | instid1(VALU_DEP_2)
	v_fma_f64 v[96:97], v[220:221], v[228:229], -v[96:97]
	v_fma_f64 v[208:209], v[222:223], v[228:229], v[208:209]
	s_delay_alu instid0(VALU_DEP_2) | instskip(NEXT) | instid1(VALU_DEP_2)
	v_add_f64 v[0:1], v[0:1], -v[96:97]
	v_add_f64 v[2:3], v[2:3], -v[208:209]
	v_dual_mov_b32 v96, v228 :: v_dual_mov_b32 v97, v229
.LBB108_651:
	s_or_b32 exec_lo, exec_lo, s2
	v_lshl_add_u32 v208, v236, 4, v230
	s_barrier
	buffer_gl0_inv
	v_mov_b32_e32 v228, 31
	ds_store_2addr_b64 v208, v[92:93], v[94:95] offset1:1
	s_waitcnt lgkmcnt(0)
	s_barrier
	buffer_gl0_inv
	ds_load_2addr_b64 v[220:223], v230 offset0:62 offset1:63
	s_cmp_lt_i32 s5, 33
	s_cbranch_scc1 .LBB108_654
; %bb.652:
	v_add3_u32 v229, v234, 0, 0x200
	v_mov_b32_e32 v228, 31
	s_mov_b32 s6, 32
	s_set_inst_prefetch_distance 0x1
	.p2align	6
.LBB108_653:                            ; =>This Inner Loop Header: Depth=1
	ds_load_2addr_b64 v[237:240], v229 offset1:1
	s_waitcnt lgkmcnt(1)
	v_cmp_gt_f64_e32 vcc_lo, 0, v[220:221]
	v_xor_b32_e32 v208, 0x80000000, v221
	v_cmp_gt_f64_e64 s2, 0, v[222:223]
	v_xor_b32_e32 v210, 0x80000000, v223
	v_add_nc_u32_e32 v229, 16, v229
	s_waitcnt lgkmcnt(0)
	v_cmp_gt_f64_e64 s3, 0, v[237:238]
	v_mov_b32_e32 v212, v237
	v_dual_mov_b32 v214, v239 :: v_dual_cndmask_b32 v209, v221, v208
	v_xor_b32_e32 v208, 0x80000000, v238
	v_cndmask_b32_e64 v211, v223, v210, s2
	v_xor_b32_e32 v210, 0x80000000, v240
	s_delay_alu instid0(VALU_DEP_3) | instskip(SKIP_2) | instid1(VALU_DEP_2)
	v_cndmask_b32_e64 v213, v238, v208, s3
	v_cmp_gt_f64_e64 s3, 0, v[239:240]
	v_cndmask_b32_e32 v208, v220, v220, vcc_lo
	v_cndmask_b32_e64 v215, v240, v210, s3
	v_cndmask_b32_e64 v210, v222, v222, s2
	s_delay_alu instid0(VALU_DEP_2) | instskip(NEXT) | instid1(VALU_DEP_2)
	v_add_f64 v[212:213], v[212:213], v[214:215]
	v_add_f64 v[208:209], v[208:209], v[210:211]
	s_delay_alu instid0(VALU_DEP_1) | instskip(SKIP_4) | instid1(SALU_CYCLE_1)
	v_cmp_lt_f64_e32 vcc_lo, v[208:209], v[212:213]
	v_dual_cndmask_b32 v221, v221, v238 :: v_dual_cndmask_b32 v220, v220, v237
	v_dual_cndmask_b32 v223, v223, v240 :: v_dual_cndmask_b32 v222, v222, v239
	v_cndmask_b32_e64 v228, v228, s6, vcc_lo
	s_add_i32 s6, s6, 1
	s_cmp_lg_u32 s5, s6
	s_cbranch_scc1 .LBB108_653
.LBB108_654:
	s_set_inst_prefetch_distance 0x2
	s_waitcnt lgkmcnt(0)
	v_cmp_eq_f64_e32 vcc_lo, 0, v[220:221]
	v_cmp_eq_f64_e64 s2, 0, v[222:223]
	s_delay_alu instid0(VALU_DEP_1) | instskip(NEXT) | instid1(SALU_CYCLE_1)
	s_and_b32 s2, vcc_lo, s2
	s_and_saveexec_b32 s3, s2
	s_delay_alu instid0(SALU_CYCLE_1)
	s_xor_b32 s2, exec_lo, s3
; %bb.655:
	v_cmp_ne_u32_e32 vcc_lo, 0, v233
	v_cndmask_b32_e32 v233, 32, v233, vcc_lo
; %bb.656:
	s_and_not1_saveexec_b32 s3, s2
	s_cbranch_execz .LBB108_662
; %bb.657:
	v_cmp_gt_f64_e32 vcc_lo, 0, v[220:221]
	v_cmp_gt_f64_e64 s2, 0, v[222:223]
	v_xor_b32_e32 v208, 0x80000000, v221
	v_xor_b32_e32 v210, 0x80000000, v223
	s_delay_alu instid0(VALU_DEP_2) | instskip(NEXT) | instid1(VALU_DEP_2)
	v_cndmask_b32_e32 v209, v221, v208, vcc_lo
	v_cndmask_b32_e64 v211, v223, v210, s2
	v_cndmask_b32_e32 v208, v220, v220, vcc_lo
	v_cndmask_b32_e64 v210, v222, v222, s2
	s_mov_b32 s2, exec_lo
	s_delay_alu instid0(VALU_DEP_1)
	v_cmpx_ngt_f64_e32 v[208:209], v[210:211]
	s_xor_b32 s2, exec_lo, s2
	s_cbranch_execz .LBB108_659
; %bb.658:
	v_div_scale_f64 v[208:209], null, v[222:223], v[222:223], v[220:221]
	v_div_scale_f64 v[214:215], vcc_lo, v[220:221], v[222:223], v[220:221]
	s_delay_alu instid0(VALU_DEP_2) | instskip(SKIP_2) | instid1(VALU_DEP_1)
	v_rcp_f64_e32 v[210:211], v[208:209]
	s_waitcnt_depctr 0xfff
	v_fma_f64 v[212:213], -v[208:209], v[210:211], 1.0
	v_fma_f64 v[210:211], v[210:211], v[212:213], v[210:211]
	s_delay_alu instid0(VALU_DEP_1) | instskip(NEXT) | instid1(VALU_DEP_1)
	v_fma_f64 v[212:213], -v[208:209], v[210:211], 1.0
	v_fma_f64 v[210:211], v[210:211], v[212:213], v[210:211]
	s_delay_alu instid0(VALU_DEP_1) | instskip(NEXT) | instid1(VALU_DEP_1)
	v_mul_f64 v[212:213], v[214:215], v[210:211]
	v_fma_f64 v[208:209], -v[208:209], v[212:213], v[214:215]
	s_delay_alu instid0(VALU_DEP_1) | instskip(NEXT) | instid1(VALU_DEP_1)
	v_div_fmas_f64 v[208:209], v[208:209], v[210:211], v[212:213]
	v_div_fixup_f64 v[208:209], v[208:209], v[222:223], v[220:221]
	s_delay_alu instid0(VALU_DEP_1) | instskip(NEXT) | instid1(VALU_DEP_1)
	v_fma_f64 v[210:211], v[220:221], v[208:209], v[222:223]
	v_div_scale_f64 v[212:213], null, v[210:211], v[210:211], 1.0
	s_delay_alu instid0(VALU_DEP_1) | instskip(SKIP_2) | instid1(VALU_DEP_1)
	v_rcp_f64_e32 v[214:215], v[212:213]
	s_waitcnt_depctr 0xfff
	v_fma_f64 v[220:221], -v[212:213], v[214:215], 1.0
	v_fma_f64 v[214:215], v[214:215], v[220:221], v[214:215]
	s_delay_alu instid0(VALU_DEP_1) | instskip(NEXT) | instid1(VALU_DEP_1)
	v_fma_f64 v[220:221], -v[212:213], v[214:215], 1.0
	v_fma_f64 v[214:215], v[214:215], v[220:221], v[214:215]
	v_div_scale_f64 v[220:221], vcc_lo, 1.0, v[210:211], 1.0
	s_delay_alu instid0(VALU_DEP_1) | instskip(NEXT) | instid1(VALU_DEP_1)
	v_mul_f64 v[222:223], v[220:221], v[214:215]
	v_fma_f64 v[212:213], -v[212:213], v[222:223], v[220:221]
	s_delay_alu instid0(VALU_DEP_1) | instskip(NEXT) | instid1(VALU_DEP_1)
	v_div_fmas_f64 v[212:213], v[212:213], v[214:215], v[222:223]
	v_div_fixup_f64 v[222:223], v[212:213], v[210:211], 1.0
	s_delay_alu instid0(VALU_DEP_1)
	v_mul_f64 v[220:221], v[208:209], v[222:223]
	v_xor_b32_e32 v223, 0x80000000, v223
.LBB108_659:
	s_and_not1_saveexec_b32 s2, s2
	s_cbranch_execz .LBB108_661
; %bb.660:
	s_delay_alu instid0(VALU_DEP_1) | instskip(SKIP_1) | instid1(VALU_DEP_2)
	v_div_scale_f64 v[208:209], null, v[220:221], v[220:221], v[222:223]
	v_div_scale_f64 v[214:215], vcc_lo, v[222:223], v[220:221], v[222:223]
	v_rcp_f64_e32 v[210:211], v[208:209]
	s_waitcnt_depctr 0xfff
	v_fma_f64 v[212:213], -v[208:209], v[210:211], 1.0
	s_delay_alu instid0(VALU_DEP_1) | instskip(NEXT) | instid1(VALU_DEP_1)
	v_fma_f64 v[210:211], v[210:211], v[212:213], v[210:211]
	v_fma_f64 v[212:213], -v[208:209], v[210:211], 1.0
	s_delay_alu instid0(VALU_DEP_1) | instskip(NEXT) | instid1(VALU_DEP_1)
	v_fma_f64 v[210:211], v[210:211], v[212:213], v[210:211]
	v_mul_f64 v[212:213], v[214:215], v[210:211]
	s_delay_alu instid0(VALU_DEP_1) | instskip(NEXT) | instid1(VALU_DEP_1)
	v_fma_f64 v[208:209], -v[208:209], v[212:213], v[214:215]
	v_div_fmas_f64 v[208:209], v[208:209], v[210:211], v[212:213]
	s_delay_alu instid0(VALU_DEP_1) | instskip(NEXT) | instid1(VALU_DEP_1)
	v_div_fixup_f64 v[208:209], v[208:209], v[220:221], v[222:223]
	v_fma_f64 v[210:211], v[222:223], v[208:209], v[220:221]
	s_delay_alu instid0(VALU_DEP_1) | instskip(NEXT) | instid1(VALU_DEP_1)
	v_div_scale_f64 v[212:213], null, v[210:211], v[210:211], 1.0
	v_rcp_f64_e32 v[214:215], v[212:213]
	s_waitcnt_depctr 0xfff
	v_fma_f64 v[220:221], -v[212:213], v[214:215], 1.0
	s_delay_alu instid0(VALU_DEP_1) | instskip(NEXT) | instid1(VALU_DEP_1)
	v_fma_f64 v[214:215], v[214:215], v[220:221], v[214:215]
	v_fma_f64 v[220:221], -v[212:213], v[214:215], 1.0
	s_delay_alu instid0(VALU_DEP_1) | instskip(SKIP_1) | instid1(VALU_DEP_1)
	v_fma_f64 v[214:215], v[214:215], v[220:221], v[214:215]
	v_div_scale_f64 v[220:221], vcc_lo, 1.0, v[210:211], 1.0
	v_mul_f64 v[222:223], v[220:221], v[214:215]
	s_delay_alu instid0(VALU_DEP_1) | instskip(NEXT) | instid1(VALU_DEP_1)
	v_fma_f64 v[212:213], -v[212:213], v[222:223], v[220:221]
	v_div_fmas_f64 v[212:213], v[212:213], v[214:215], v[222:223]
	s_delay_alu instid0(VALU_DEP_1) | instskip(NEXT) | instid1(VALU_DEP_1)
	v_div_fixup_f64 v[220:221], v[212:213], v[210:211], 1.0
	v_mul_f64 v[222:223], v[208:209], -v[220:221]
.LBB108_661:
	s_or_b32 exec_lo, exec_lo, s2
.LBB108_662:
	s_delay_alu instid0(SALU_CYCLE_1) | instskip(NEXT) | instid1(SALU_CYCLE_1)
	s_or_b32 exec_lo, exec_lo, s3
	s_mov_b32 s2, exec_lo
	v_cmpx_ne_u32_e64 v236, v228
	s_xor_b32 s2, exec_lo, s2
	s_cbranch_execz .LBB108_668
; %bb.663:
	s_mov_b32 s3, exec_lo
	v_cmpx_eq_u32_e32 31, v236
	s_cbranch_execz .LBB108_667
; %bb.664:
	v_cmp_ne_u32_e32 vcc_lo, 31, v228
	s_xor_b32 s6, s4, -1
	s_delay_alu instid0(SALU_CYCLE_1) | instskip(NEXT) | instid1(SALU_CYCLE_1)
	s_and_b32 s7, s6, vcc_lo
	s_and_saveexec_b32 s6, s7
	s_cbranch_execz .LBB108_666
; %bb.665:
	v_ashrrev_i32_e32 v229, 31, v228
	s_delay_alu instid0(VALU_DEP_1) | instskip(NEXT) | instid1(VALU_DEP_1)
	v_lshlrev_b64 v[208:209], 2, v[228:229]
	v_add_co_u32 v208, vcc_lo, v231, v208
	s_delay_alu instid0(VALU_DEP_2)
	v_add_co_ci_u32_e32 v209, vcc_lo, v232, v209, vcc_lo
	s_clause 0x1
	flat_load_b32 v210, v[208:209]
	flat_load_b32 v211, v[231:232] offset:124
	s_waitcnt vmcnt(1) lgkmcnt(1)
	flat_store_b32 v[231:232], v210 offset:124
	s_waitcnt vmcnt(0) lgkmcnt(1)
	flat_store_b32 v[208:209], v211
.LBB108_666:
	s_or_b32 exec_lo, exec_lo, s6
	v_mov_b32_e32 v236, v228
	v_mov_b32_e32 v227, v228
.LBB108_667:
	s_or_b32 exec_lo, exec_lo, s3
.LBB108_668:
	s_and_not1_saveexec_b32 s2, s2
	s_cbranch_execz .LBB108_670
; %bb.669:
	v_mov_b32_e32 v236, 31
	ds_store_2addr_b64 v230, v[88:89], v[90:91] offset0:64 offset1:65
	ds_store_2addr_b64 v230, v[84:85], v[86:87] offset0:66 offset1:67
	;; [unrolled: 1-line block ×23, first 2 shown]
.LBB108_670:
	s_or_b32 exec_lo, exec_lo, s2
	s_delay_alu instid0(SALU_CYCLE_1)
	s_mov_b32 s2, exec_lo
	s_waitcnt lgkmcnt(0)
	s_waitcnt_vscnt null, 0x0
	s_barrier
	buffer_gl0_inv
	v_cmpx_lt_i32_e32 31, v236
	s_cbranch_execz .LBB108_672
; %bb.671:
	v_mul_f64 v[208:209], v[222:223], v[94:95]
	v_mul_f64 v[94:95], v[220:221], v[94:95]
	s_delay_alu instid0(VALU_DEP_2) | instskip(NEXT) | instid1(VALU_DEP_2)
	v_fma_f64 v[228:229], v[220:221], v[92:93], -v[208:209]
	v_fma_f64 v[94:95], v[222:223], v[92:93], v[94:95]
	ds_load_2addr_b64 v[220:223], v230 offset0:64 offset1:65
	s_waitcnt lgkmcnt(0)
	v_mul_f64 v[92:93], v[222:223], v[94:95]
	v_mul_f64 v[208:209], v[220:221], v[94:95]
	s_delay_alu instid0(VALU_DEP_2) | instskip(NEXT) | instid1(VALU_DEP_2)
	v_fma_f64 v[92:93], v[220:221], v[228:229], -v[92:93]
	v_fma_f64 v[208:209], v[222:223], v[228:229], v[208:209]
	ds_load_2addr_b64 v[220:223], v230 offset0:66 offset1:67
	v_add_f64 v[88:89], v[88:89], -v[92:93]
	v_add_f64 v[90:91], v[90:91], -v[208:209]
	s_waitcnt lgkmcnt(0)
	v_mul_f64 v[92:93], v[222:223], v[94:95]
	v_mul_f64 v[208:209], v[220:221], v[94:95]
	s_delay_alu instid0(VALU_DEP_2) | instskip(NEXT) | instid1(VALU_DEP_2)
	v_fma_f64 v[92:93], v[220:221], v[228:229], -v[92:93]
	v_fma_f64 v[208:209], v[222:223], v[228:229], v[208:209]
	ds_load_2addr_b64 v[220:223], v230 offset0:68 offset1:69
	v_add_f64 v[84:85], v[84:85], -v[92:93]
	v_add_f64 v[86:87], v[86:87], -v[208:209]
	;; [unrolled: 9-line block ×22, first 2 shown]
	s_waitcnt lgkmcnt(0)
	v_mul_f64 v[92:93], v[222:223], v[94:95]
	v_mul_f64 v[208:209], v[220:221], v[94:95]
	s_delay_alu instid0(VALU_DEP_2) | instskip(NEXT) | instid1(VALU_DEP_2)
	v_fma_f64 v[92:93], v[220:221], v[228:229], -v[92:93]
	v_fma_f64 v[208:209], v[222:223], v[228:229], v[208:209]
	s_delay_alu instid0(VALU_DEP_2) | instskip(NEXT) | instid1(VALU_DEP_2)
	v_add_f64 v[0:1], v[0:1], -v[92:93]
	v_add_f64 v[2:3], v[2:3], -v[208:209]
	v_dual_mov_b32 v92, v228 :: v_dual_mov_b32 v93, v229
.LBB108_672:
	s_or_b32 exec_lo, exec_lo, s2
	v_lshl_add_u32 v208, v236, 4, v230
	s_barrier
	buffer_gl0_inv
	v_mov_b32_e32 v228, 32
	ds_store_2addr_b64 v208, v[88:89], v[90:91] offset1:1
	s_waitcnt lgkmcnt(0)
	s_barrier
	buffer_gl0_inv
	ds_load_2addr_b64 v[220:223], v230 offset0:64 offset1:65
	s_cmp_lt_i32 s5, 34
	s_cbranch_scc1 .LBB108_675
; %bb.673:
	v_add3_u32 v229, v234, 0, 0x210
	v_mov_b32_e32 v228, 32
	s_mov_b32 s6, 33
	s_set_inst_prefetch_distance 0x1
	.p2align	6
.LBB108_674:                            ; =>This Inner Loop Header: Depth=1
	ds_load_2addr_b64 v[237:240], v229 offset1:1
	s_waitcnt lgkmcnt(1)
	v_cmp_gt_f64_e32 vcc_lo, 0, v[220:221]
	v_xor_b32_e32 v208, 0x80000000, v221
	v_cmp_gt_f64_e64 s2, 0, v[222:223]
	v_xor_b32_e32 v210, 0x80000000, v223
	v_add_nc_u32_e32 v229, 16, v229
	s_waitcnt lgkmcnt(0)
	v_cmp_gt_f64_e64 s3, 0, v[237:238]
	v_mov_b32_e32 v212, v237
	v_dual_mov_b32 v214, v239 :: v_dual_cndmask_b32 v209, v221, v208
	v_xor_b32_e32 v208, 0x80000000, v238
	v_cndmask_b32_e64 v211, v223, v210, s2
	v_xor_b32_e32 v210, 0x80000000, v240
	s_delay_alu instid0(VALU_DEP_3) | instskip(SKIP_2) | instid1(VALU_DEP_2)
	v_cndmask_b32_e64 v213, v238, v208, s3
	v_cmp_gt_f64_e64 s3, 0, v[239:240]
	v_cndmask_b32_e32 v208, v220, v220, vcc_lo
	v_cndmask_b32_e64 v215, v240, v210, s3
	v_cndmask_b32_e64 v210, v222, v222, s2
	s_delay_alu instid0(VALU_DEP_2) | instskip(NEXT) | instid1(VALU_DEP_2)
	v_add_f64 v[212:213], v[212:213], v[214:215]
	v_add_f64 v[208:209], v[208:209], v[210:211]
	s_delay_alu instid0(VALU_DEP_1) | instskip(SKIP_4) | instid1(SALU_CYCLE_1)
	v_cmp_lt_f64_e32 vcc_lo, v[208:209], v[212:213]
	v_dual_cndmask_b32 v221, v221, v238 :: v_dual_cndmask_b32 v220, v220, v237
	v_dual_cndmask_b32 v223, v223, v240 :: v_dual_cndmask_b32 v222, v222, v239
	v_cndmask_b32_e64 v228, v228, s6, vcc_lo
	s_add_i32 s6, s6, 1
	s_cmp_lg_u32 s5, s6
	s_cbranch_scc1 .LBB108_674
.LBB108_675:
	s_set_inst_prefetch_distance 0x2
	s_waitcnt lgkmcnt(0)
	v_cmp_eq_f64_e32 vcc_lo, 0, v[220:221]
	v_cmp_eq_f64_e64 s2, 0, v[222:223]
	s_delay_alu instid0(VALU_DEP_1) | instskip(NEXT) | instid1(SALU_CYCLE_1)
	s_and_b32 s2, vcc_lo, s2
	s_and_saveexec_b32 s3, s2
	s_delay_alu instid0(SALU_CYCLE_1)
	s_xor_b32 s2, exec_lo, s3
; %bb.676:
	v_cmp_ne_u32_e32 vcc_lo, 0, v233
	v_cndmask_b32_e32 v233, 33, v233, vcc_lo
; %bb.677:
	s_and_not1_saveexec_b32 s3, s2
	s_cbranch_execz .LBB108_683
; %bb.678:
	v_cmp_gt_f64_e32 vcc_lo, 0, v[220:221]
	v_cmp_gt_f64_e64 s2, 0, v[222:223]
	v_xor_b32_e32 v208, 0x80000000, v221
	v_xor_b32_e32 v210, 0x80000000, v223
	s_delay_alu instid0(VALU_DEP_2) | instskip(NEXT) | instid1(VALU_DEP_2)
	v_cndmask_b32_e32 v209, v221, v208, vcc_lo
	v_cndmask_b32_e64 v211, v223, v210, s2
	v_cndmask_b32_e32 v208, v220, v220, vcc_lo
	v_cndmask_b32_e64 v210, v222, v222, s2
	s_mov_b32 s2, exec_lo
	s_delay_alu instid0(VALU_DEP_1)
	v_cmpx_ngt_f64_e32 v[208:209], v[210:211]
	s_xor_b32 s2, exec_lo, s2
	s_cbranch_execz .LBB108_680
; %bb.679:
	v_div_scale_f64 v[208:209], null, v[222:223], v[222:223], v[220:221]
	v_div_scale_f64 v[214:215], vcc_lo, v[220:221], v[222:223], v[220:221]
	s_delay_alu instid0(VALU_DEP_2) | instskip(SKIP_2) | instid1(VALU_DEP_1)
	v_rcp_f64_e32 v[210:211], v[208:209]
	s_waitcnt_depctr 0xfff
	v_fma_f64 v[212:213], -v[208:209], v[210:211], 1.0
	v_fma_f64 v[210:211], v[210:211], v[212:213], v[210:211]
	s_delay_alu instid0(VALU_DEP_1) | instskip(NEXT) | instid1(VALU_DEP_1)
	v_fma_f64 v[212:213], -v[208:209], v[210:211], 1.0
	v_fma_f64 v[210:211], v[210:211], v[212:213], v[210:211]
	s_delay_alu instid0(VALU_DEP_1) | instskip(NEXT) | instid1(VALU_DEP_1)
	v_mul_f64 v[212:213], v[214:215], v[210:211]
	v_fma_f64 v[208:209], -v[208:209], v[212:213], v[214:215]
	s_delay_alu instid0(VALU_DEP_1) | instskip(NEXT) | instid1(VALU_DEP_1)
	v_div_fmas_f64 v[208:209], v[208:209], v[210:211], v[212:213]
	v_div_fixup_f64 v[208:209], v[208:209], v[222:223], v[220:221]
	s_delay_alu instid0(VALU_DEP_1) | instskip(NEXT) | instid1(VALU_DEP_1)
	v_fma_f64 v[210:211], v[220:221], v[208:209], v[222:223]
	v_div_scale_f64 v[212:213], null, v[210:211], v[210:211], 1.0
	s_delay_alu instid0(VALU_DEP_1) | instskip(SKIP_2) | instid1(VALU_DEP_1)
	v_rcp_f64_e32 v[214:215], v[212:213]
	s_waitcnt_depctr 0xfff
	v_fma_f64 v[220:221], -v[212:213], v[214:215], 1.0
	v_fma_f64 v[214:215], v[214:215], v[220:221], v[214:215]
	s_delay_alu instid0(VALU_DEP_1) | instskip(NEXT) | instid1(VALU_DEP_1)
	v_fma_f64 v[220:221], -v[212:213], v[214:215], 1.0
	v_fma_f64 v[214:215], v[214:215], v[220:221], v[214:215]
	v_div_scale_f64 v[220:221], vcc_lo, 1.0, v[210:211], 1.0
	s_delay_alu instid0(VALU_DEP_1) | instskip(NEXT) | instid1(VALU_DEP_1)
	v_mul_f64 v[222:223], v[220:221], v[214:215]
	v_fma_f64 v[212:213], -v[212:213], v[222:223], v[220:221]
	s_delay_alu instid0(VALU_DEP_1) | instskip(NEXT) | instid1(VALU_DEP_1)
	v_div_fmas_f64 v[212:213], v[212:213], v[214:215], v[222:223]
	v_div_fixup_f64 v[222:223], v[212:213], v[210:211], 1.0
	s_delay_alu instid0(VALU_DEP_1)
	v_mul_f64 v[220:221], v[208:209], v[222:223]
	v_xor_b32_e32 v223, 0x80000000, v223
.LBB108_680:
	s_and_not1_saveexec_b32 s2, s2
	s_cbranch_execz .LBB108_682
; %bb.681:
	s_delay_alu instid0(VALU_DEP_1) | instskip(SKIP_1) | instid1(VALU_DEP_2)
	v_div_scale_f64 v[208:209], null, v[220:221], v[220:221], v[222:223]
	v_div_scale_f64 v[214:215], vcc_lo, v[222:223], v[220:221], v[222:223]
	v_rcp_f64_e32 v[210:211], v[208:209]
	s_waitcnt_depctr 0xfff
	v_fma_f64 v[212:213], -v[208:209], v[210:211], 1.0
	s_delay_alu instid0(VALU_DEP_1) | instskip(NEXT) | instid1(VALU_DEP_1)
	v_fma_f64 v[210:211], v[210:211], v[212:213], v[210:211]
	v_fma_f64 v[212:213], -v[208:209], v[210:211], 1.0
	s_delay_alu instid0(VALU_DEP_1) | instskip(NEXT) | instid1(VALU_DEP_1)
	v_fma_f64 v[210:211], v[210:211], v[212:213], v[210:211]
	v_mul_f64 v[212:213], v[214:215], v[210:211]
	s_delay_alu instid0(VALU_DEP_1) | instskip(NEXT) | instid1(VALU_DEP_1)
	v_fma_f64 v[208:209], -v[208:209], v[212:213], v[214:215]
	v_div_fmas_f64 v[208:209], v[208:209], v[210:211], v[212:213]
	s_delay_alu instid0(VALU_DEP_1) | instskip(NEXT) | instid1(VALU_DEP_1)
	v_div_fixup_f64 v[208:209], v[208:209], v[220:221], v[222:223]
	v_fma_f64 v[210:211], v[222:223], v[208:209], v[220:221]
	s_delay_alu instid0(VALU_DEP_1) | instskip(NEXT) | instid1(VALU_DEP_1)
	v_div_scale_f64 v[212:213], null, v[210:211], v[210:211], 1.0
	v_rcp_f64_e32 v[214:215], v[212:213]
	s_waitcnt_depctr 0xfff
	v_fma_f64 v[220:221], -v[212:213], v[214:215], 1.0
	s_delay_alu instid0(VALU_DEP_1) | instskip(NEXT) | instid1(VALU_DEP_1)
	v_fma_f64 v[214:215], v[214:215], v[220:221], v[214:215]
	v_fma_f64 v[220:221], -v[212:213], v[214:215], 1.0
	s_delay_alu instid0(VALU_DEP_1) | instskip(SKIP_1) | instid1(VALU_DEP_1)
	v_fma_f64 v[214:215], v[214:215], v[220:221], v[214:215]
	v_div_scale_f64 v[220:221], vcc_lo, 1.0, v[210:211], 1.0
	v_mul_f64 v[222:223], v[220:221], v[214:215]
	s_delay_alu instid0(VALU_DEP_1) | instskip(NEXT) | instid1(VALU_DEP_1)
	v_fma_f64 v[212:213], -v[212:213], v[222:223], v[220:221]
	v_div_fmas_f64 v[212:213], v[212:213], v[214:215], v[222:223]
	s_delay_alu instid0(VALU_DEP_1) | instskip(NEXT) | instid1(VALU_DEP_1)
	v_div_fixup_f64 v[220:221], v[212:213], v[210:211], 1.0
	v_mul_f64 v[222:223], v[208:209], -v[220:221]
.LBB108_682:
	s_or_b32 exec_lo, exec_lo, s2
.LBB108_683:
	s_delay_alu instid0(SALU_CYCLE_1) | instskip(NEXT) | instid1(SALU_CYCLE_1)
	s_or_b32 exec_lo, exec_lo, s3
	s_mov_b32 s2, exec_lo
	v_cmpx_ne_u32_e64 v236, v228
	s_xor_b32 s2, exec_lo, s2
	s_cbranch_execz .LBB108_689
; %bb.684:
	s_mov_b32 s3, exec_lo
	v_cmpx_eq_u32_e32 32, v236
	s_cbranch_execz .LBB108_688
; %bb.685:
	v_cmp_ne_u32_e32 vcc_lo, 32, v228
	s_xor_b32 s6, s4, -1
	s_delay_alu instid0(SALU_CYCLE_1) | instskip(NEXT) | instid1(SALU_CYCLE_1)
	s_and_b32 s7, s6, vcc_lo
	s_and_saveexec_b32 s6, s7
	s_cbranch_execz .LBB108_687
; %bb.686:
	v_ashrrev_i32_e32 v229, 31, v228
	s_delay_alu instid0(VALU_DEP_1) | instskip(NEXT) | instid1(VALU_DEP_1)
	v_lshlrev_b64 v[208:209], 2, v[228:229]
	v_add_co_u32 v208, vcc_lo, v231, v208
	s_delay_alu instid0(VALU_DEP_2)
	v_add_co_ci_u32_e32 v209, vcc_lo, v232, v209, vcc_lo
	s_clause 0x1
	flat_load_b32 v210, v[208:209]
	flat_load_b32 v211, v[231:232] offset:128
	s_waitcnt vmcnt(1) lgkmcnt(1)
	flat_store_b32 v[231:232], v210 offset:128
	s_waitcnt vmcnt(0) lgkmcnt(1)
	flat_store_b32 v[208:209], v211
.LBB108_687:
	s_or_b32 exec_lo, exec_lo, s6
	v_mov_b32_e32 v236, v228
	v_mov_b32_e32 v227, v228
.LBB108_688:
	s_or_b32 exec_lo, exec_lo, s3
.LBB108_689:
	s_and_not1_saveexec_b32 s2, s2
	s_cbranch_execz .LBB108_691
; %bb.690:
	v_mov_b32_e32 v236, 32
	ds_store_2addr_b64 v230, v[84:85], v[86:87] offset0:66 offset1:67
	ds_store_2addr_b64 v230, v[80:81], v[82:83] offset0:68 offset1:69
	;; [unrolled: 1-line block ×22, first 2 shown]
.LBB108_691:
	s_or_b32 exec_lo, exec_lo, s2
	s_delay_alu instid0(SALU_CYCLE_1)
	s_mov_b32 s2, exec_lo
	s_waitcnt lgkmcnt(0)
	s_waitcnt_vscnt null, 0x0
	s_barrier
	buffer_gl0_inv
	v_cmpx_lt_i32_e32 32, v236
	s_cbranch_execz .LBB108_693
; %bb.692:
	v_mul_f64 v[208:209], v[222:223], v[90:91]
	v_mul_f64 v[90:91], v[220:221], v[90:91]
	s_delay_alu instid0(VALU_DEP_2) | instskip(NEXT) | instid1(VALU_DEP_2)
	v_fma_f64 v[228:229], v[220:221], v[88:89], -v[208:209]
	v_fma_f64 v[90:91], v[222:223], v[88:89], v[90:91]
	ds_load_2addr_b64 v[220:223], v230 offset0:66 offset1:67
	s_waitcnt lgkmcnt(0)
	v_mul_f64 v[88:89], v[222:223], v[90:91]
	v_mul_f64 v[208:209], v[220:221], v[90:91]
	s_delay_alu instid0(VALU_DEP_2) | instskip(NEXT) | instid1(VALU_DEP_2)
	v_fma_f64 v[88:89], v[220:221], v[228:229], -v[88:89]
	v_fma_f64 v[208:209], v[222:223], v[228:229], v[208:209]
	ds_load_2addr_b64 v[220:223], v230 offset0:68 offset1:69
	v_add_f64 v[84:85], v[84:85], -v[88:89]
	v_add_f64 v[86:87], v[86:87], -v[208:209]
	s_waitcnt lgkmcnt(0)
	v_mul_f64 v[88:89], v[222:223], v[90:91]
	v_mul_f64 v[208:209], v[220:221], v[90:91]
	s_delay_alu instid0(VALU_DEP_2) | instskip(NEXT) | instid1(VALU_DEP_2)
	v_fma_f64 v[88:89], v[220:221], v[228:229], -v[88:89]
	v_fma_f64 v[208:209], v[222:223], v[228:229], v[208:209]
	ds_load_2addr_b64 v[220:223], v230 offset0:70 offset1:71
	v_add_f64 v[80:81], v[80:81], -v[88:89]
	v_add_f64 v[82:83], v[82:83], -v[208:209]
	;; [unrolled: 9-line block ×21, first 2 shown]
	s_waitcnt lgkmcnt(0)
	v_mul_f64 v[88:89], v[222:223], v[90:91]
	v_mul_f64 v[208:209], v[220:221], v[90:91]
	s_delay_alu instid0(VALU_DEP_2) | instskip(NEXT) | instid1(VALU_DEP_2)
	v_fma_f64 v[88:89], v[220:221], v[228:229], -v[88:89]
	v_fma_f64 v[208:209], v[222:223], v[228:229], v[208:209]
	s_delay_alu instid0(VALU_DEP_2) | instskip(NEXT) | instid1(VALU_DEP_2)
	v_add_f64 v[0:1], v[0:1], -v[88:89]
	v_add_f64 v[2:3], v[2:3], -v[208:209]
	v_dual_mov_b32 v88, v228 :: v_dual_mov_b32 v89, v229
.LBB108_693:
	s_or_b32 exec_lo, exec_lo, s2
	v_lshl_add_u32 v208, v236, 4, v230
	s_barrier
	buffer_gl0_inv
	v_mov_b32_e32 v228, 33
	ds_store_2addr_b64 v208, v[84:85], v[86:87] offset1:1
	s_waitcnt lgkmcnt(0)
	s_barrier
	buffer_gl0_inv
	ds_load_2addr_b64 v[220:223], v230 offset0:66 offset1:67
	s_cmp_lt_i32 s5, 35
	s_cbranch_scc1 .LBB108_696
; %bb.694:
	v_add3_u32 v229, v234, 0, 0x220
	v_mov_b32_e32 v228, 33
	s_mov_b32 s6, 34
	s_set_inst_prefetch_distance 0x1
	.p2align	6
.LBB108_695:                            ; =>This Inner Loop Header: Depth=1
	ds_load_2addr_b64 v[237:240], v229 offset1:1
	s_waitcnt lgkmcnt(1)
	v_cmp_gt_f64_e32 vcc_lo, 0, v[220:221]
	v_xor_b32_e32 v208, 0x80000000, v221
	v_cmp_gt_f64_e64 s2, 0, v[222:223]
	v_xor_b32_e32 v210, 0x80000000, v223
	v_add_nc_u32_e32 v229, 16, v229
	s_waitcnt lgkmcnt(0)
	v_cmp_gt_f64_e64 s3, 0, v[237:238]
	v_mov_b32_e32 v212, v237
	v_dual_mov_b32 v214, v239 :: v_dual_cndmask_b32 v209, v221, v208
	v_xor_b32_e32 v208, 0x80000000, v238
	v_cndmask_b32_e64 v211, v223, v210, s2
	v_xor_b32_e32 v210, 0x80000000, v240
	s_delay_alu instid0(VALU_DEP_3) | instskip(SKIP_2) | instid1(VALU_DEP_2)
	v_cndmask_b32_e64 v213, v238, v208, s3
	v_cmp_gt_f64_e64 s3, 0, v[239:240]
	v_cndmask_b32_e32 v208, v220, v220, vcc_lo
	v_cndmask_b32_e64 v215, v240, v210, s3
	v_cndmask_b32_e64 v210, v222, v222, s2
	s_delay_alu instid0(VALU_DEP_2) | instskip(NEXT) | instid1(VALU_DEP_2)
	v_add_f64 v[212:213], v[212:213], v[214:215]
	v_add_f64 v[208:209], v[208:209], v[210:211]
	s_delay_alu instid0(VALU_DEP_1) | instskip(SKIP_4) | instid1(SALU_CYCLE_1)
	v_cmp_lt_f64_e32 vcc_lo, v[208:209], v[212:213]
	v_dual_cndmask_b32 v221, v221, v238 :: v_dual_cndmask_b32 v220, v220, v237
	v_dual_cndmask_b32 v223, v223, v240 :: v_dual_cndmask_b32 v222, v222, v239
	v_cndmask_b32_e64 v228, v228, s6, vcc_lo
	s_add_i32 s6, s6, 1
	s_cmp_lg_u32 s5, s6
	s_cbranch_scc1 .LBB108_695
.LBB108_696:
	s_set_inst_prefetch_distance 0x2
	s_waitcnt lgkmcnt(0)
	v_cmp_eq_f64_e32 vcc_lo, 0, v[220:221]
	v_cmp_eq_f64_e64 s2, 0, v[222:223]
	s_delay_alu instid0(VALU_DEP_1) | instskip(NEXT) | instid1(SALU_CYCLE_1)
	s_and_b32 s2, vcc_lo, s2
	s_and_saveexec_b32 s3, s2
	s_delay_alu instid0(SALU_CYCLE_1)
	s_xor_b32 s2, exec_lo, s3
; %bb.697:
	v_cmp_ne_u32_e32 vcc_lo, 0, v233
	v_cndmask_b32_e32 v233, 34, v233, vcc_lo
; %bb.698:
	s_and_not1_saveexec_b32 s3, s2
	s_cbranch_execz .LBB108_704
; %bb.699:
	v_cmp_gt_f64_e32 vcc_lo, 0, v[220:221]
	v_cmp_gt_f64_e64 s2, 0, v[222:223]
	v_xor_b32_e32 v208, 0x80000000, v221
	v_xor_b32_e32 v210, 0x80000000, v223
	s_delay_alu instid0(VALU_DEP_2) | instskip(NEXT) | instid1(VALU_DEP_2)
	v_cndmask_b32_e32 v209, v221, v208, vcc_lo
	v_cndmask_b32_e64 v211, v223, v210, s2
	v_cndmask_b32_e32 v208, v220, v220, vcc_lo
	v_cndmask_b32_e64 v210, v222, v222, s2
	s_mov_b32 s2, exec_lo
	s_delay_alu instid0(VALU_DEP_1)
	v_cmpx_ngt_f64_e32 v[208:209], v[210:211]
	s_xor_b32 s2, exec_lo, s2
	s_cbranch_execz .LBB108_701
; %bb.700:
	v_div_scale_f64 v[208:209], null, v[222:223], v[222:223], v[220:221]
	v_div_scale_f64 v[214:215], vcc_lo, v[220:221], v[222:223], v[220:221]
	s_delay_alu instid0(VALU_DEP_2) | instskip(SKIP_2) | instid1(VALU_DEP_1)
	v_rcp_f64_e32 v[210:211], v[208:209]
	s_waitcnt_depctr 0xfff
	v_fma_f64 v[212:213], -v[208:209], v[210:211], 1.0
	v_fma_f64 v[210:211], v[210:211], v[212:213], v[210:211]
	s_delay_alu instid0(VALU_DEP_1) | instskip(NEXT) | instid1(VALU_DEP_1)
	v_fma_f64 v[212:213], -v[208:209], v[210:211], 1.0
	v_fma_f64 v[210:211], v[210:211], v[212:213], v[210:211]
	s_delay_alu instid0(VALU_DEP_1) | instskip(NEXT) | instid1(VALU_DEP_1)
	v_mul_f64 v[212:213], v[214:215], v[210:211]
	v_fma_f64 v[208:209], -v[208:209], v[212:213], v[214:215]
	s_delay_alu instid0(VALU_DEP_1) | instskip(NEXT) | instid1(VALU_DEP_1)
	v_div_fmas_f64 v[208:209], v[208:209], v[210:211], v[212:213]
	v_div_fixup_f64 v[208:209], v[208:209], v[222:223], v[220:221]
	s_delay_alu instid0(VALU_DEP_1) | instskip(NEXT) | instid1(VALU_DEP_1)
	v_fma_f64 v[210:211], v[220:221], v[208:209], v[222:223]
	v_div_scale_f64 v[212:213], null, v[210:211], v[210:211], 1.0
	s_delay_alu instid0(VALU_DEP_1) | instskip(SKIP_2) | instid1(VALU_DEP_1)
	v_rcp_f64_e32 v[214:215], v[212:213]
	s_waitcnt_depctr 0xfff
	v_fma_f64 v[220:221], -v[212:213], v[214:215], 1.0
	v_fma_f64 v[214:215], v[214:215], v[220:221], v[214:215]
	s_delay_alu instid0(VALU_DEP_1) | instskip(NEXT) | instid1(VALU_DEP_1)
	v_fma_f64 v[220:221], -v[212:213], v[214:215], 1.0
	v_fma_f64 v[214:215], v[214:215], v[220:221], v[214:215]
	v_div_scale_f64 v[220:221], vcc_lo, 1.0, v[210:211], 1.0
	s_delay_alu instid0(VALU_DEP_1) | instskip(NEXT) | instid1(VALU_DEP_1)
	v_mul_f64 v[222:223], v[220:221], v[214:215]
	v_fma_f64 v[212:213], -v[212:213], v[222:223], v[220:221]
	s_delay_alu instid0(VALU_DEP_1) | instskip(NEXT) | instid1(VALU_DEP_1)
	v_div_fmas_f64 v[212:213], v[212:213], v[214:215], v[222:223]
	v_div_fixup_f64 v[222:223], v[212:213], v[210:211], 1.0
	s_delay_alu instid0(VALU_DEP_1)
	v_mul_f64 v[220:221], v[208:209], v[222:223]
	v_xor_b32_e32 v223, 0x80000000, v223
.LBB108_701:
	s_and_not1_saveexec_b32 s2, s2
	s_cbranch_execz .LBB108_703
; %bb.702:
	s_delay_alu instid0(VALU_DEP_1) | instskip(SKIP_1) | instid1(VALU_DEP_2)
	v_div_scale_f64 v[208:209], null, v[220:221], v[220:221], v[222:223]
	v_div_scale_f64 v[214:215], vcc_lo, v[222:223], v[220:221], v[222:223]
	v_rcp_f64_e32 v[210:211], v[208:209]
	s_waitcnt_depctr 0xfff
	v_fma_f64 v[212:213], -v[208:209], v[210:211], 1.0
	s_delay_alu instid0(VALU_DEP_1) | instskip(NEXT) | instid1(VALU_DEP_1)
	v_fma_f64 v[210:211], v[210:211], v[212:213], v[210:211]
	v_fma_f64 v[212:213], -v[208:209], v[210:211], 1.0
	s_delay_alu instid0(VALU_DEP_1) | instskip(NEXT) | instid1(VALU_DEP_1)
	v_fma_f64 v[210:211], v[210:211], v[212:213], v[210:211]
	v_mul_f64 v[212:213], v[214:215], v[210:211]
	s_delay_alu instid0(VALU_DEP_1) | instskip(NEXT) | instid1(VALU_DEP_1)
	v_fma_f64 v[208:209], -v[208:209], v[212:213], v[214:215]
	v_div_fmas_f64 v[208:209], v[208:209], v[210:211], v[212:213]
	s_delay_alu instid0(VALU_DEP_1) | instskip(NEXT) | instid1(VALU_DEP_1)
	v_div_fixup_f64 v[208:209], v[208:209], v[220:221], v[222:223]
	v_fma_f64 v[210:211], v[222:223], v[208:209], v[220:221]
	s_delay_alu instid0(VALU_DEP_1) | instskip(NEXT) | instid1(VALU_DEP_1)
	v_div_scale_f64 v[212:213], null, v[210:211], v[210:211], 1.0
	v_rcp_f64_e32 v[214:215], v[212:213]
	s_waitcnt_depctr 0xfff
	v_fma_f64 v[220:221], -v[212:213], v[214:215], 1.0
	s_delay_alu instid0(VALU_DEP_1) | instskip(NEXT) | instid1(VALU_DEP_1)
	v_fma_f64 v[214:215], v[214:215], v[220:221], v[214:215]
	v_fma_f64 v[220:221], -v[212:213], v[214:215], 1.0
	s_delay_alu instid0(VALU_DEP_1) | instskip(SKIP_1) | instid1(VALU_DEP_1)
	v_fma_f64 v[214:215], v[214:215], v[220:221], v[214:215]
	v_div_scale_f64 v[220:221], vcc_lo, 1.0, v[210:211], 1.0
	v_mul_f64 v[222:223], v[220:221], v[214:215]
	s_delay_alu instid0(VALU_DEP_1) | instskip(NEXT) | instid1(VALU_DEP_1)
	v_fma_f64 v[212:213], -v[212:213], v[222:223], v[220:221]
	v_div_fmas_f64 v[212:213], v[212:213], v[214:215], v[222:223]
	s_delay_alu instid0(VALU_DEP_1) | instskip(NEXT) | instid1(VALU_DEP_1)
	v_div_fixup_f64 v[220:221], v[212:213], v[210:211], 1.0
	v_mul_f64 v[222:223], v[208:209], -v[220:221]
.LBB108_703:
	s_or_b32 exec_lo, exec_lo, s2
.LBB108_704:
	s_delay_alu instid0(SALU_CYCLE_1) | instskip(NEXT) | instid1(SALU_CYCLE_1)
	s_or_b32 exec_lo, exec_lo, s3
	s_mov_b32 s2, exec_lo
	v_cmpx_ne_u32_e64 v236, v228
	s_xor_b32 s2, exec_lo, s2
	s_cbranch_execz .LBB108_710
; %bb.705:
	s_mov_b32 s3, exec_lo
	v_cmpx_eq_u32_e32 33, v236
	s_cbranch_execz .LBB108_709
; %bb.706:
	v_cmp_ne_u32_e32 vcc_lo, 33, v228
	s_xor_b32 s6, s4, -1
	s_delay_alu instid0(SALU_CYCLE_1) | instskip(NEXT) | instid1(SALU_CYCLE_1)
	s_and_b32 s7, s6, vcc_lo
	s_and_saveexec_b32 s6, s7
	s_cbranch_execz .LBB108_708
; %bb.707:
	v_ashrrev_i32_e32 v229, 31, v228
	s_delay_alu instid0(VALU_DEP_1) | instskip(NEXT) | instid1(VALU_DEP_1)
	v_lshlrev_b64 v[208:209], 2, v[228:229]
	v_add_co_u32 v208, vcc_lo, v231, v208
	s_delay_alu instid0(VALU_DEP_2)
	v_add_co_ci_u32_e32 v209, vcc_lo, v232, v209, vcc_lo
	s_clause 0x1
	flat_load_b32 v210, v[208:209]
	flat_load_b32 v211, v[231:232] offset:132
	s_waitcnt vmcnt(1) lgkmcnt(1)
	flat_store_b32 v[231:232], v210 offset:132
	s_waitcnt vmcnt(0) lgkmcnt(1)
	flat_store_b32 v[208:209], v211
.LBB108_708:
	s_or_b32 exec_lo, exec_lo, s6
	v_mov_b32_e32 v236, v228
	v_mov_b32_e32 v227, v228
.LBB108_709:
	s_or_b32 exec_lo, exec_lo, s3
.LBB108_710:
	s_and_not1_saveexec_b32 s2, s2
	s_cbranch_execz .LBB108_712
; %bb.711:
	v_mov_b32_e32 v236, 33
	ds_store_2addr_b64 v230, v[80:81], v[82:83] offset0:68 offset1:69
	ds_store_2addr_b64 v230, v[76:77], v[78:79] offset0:70 offset1:71
	;; [unrolled: 1-line block ×21, first 2 shown]
.LBB108_712:
	s_or_b32 exec_lo, exec_lo, s2
	s_delay_alu instid0(SALU_CYCLE_1)
	s_mov_b32 s2, exec_lo
	s_waitcnt lgkmcnt(0)
	s_waitcnt_vscnt null, 0x0
	s_barrier
	buffer_gl0_inv
	v_cmpx_lt_i32_e32 33, v236
	s_cbranch_execz .LBB108_714
; %bb.713:
	v_mul_f64 v[208:209], v[222:223], v[86:87]
	v_mul_f64 v[86:87], v[220:221], v[86:87]
	s_delay_alu instid0(VALU_DEP_2) | instskip(NEXT) | instid1(VALU_DEP_2)
	v_fma_f64 v[228:229], v[220:221], v[84:85], -v[208:209]
	v_fma_f64 v[86:87], v[222:223], v[84:85], v[86:87]
	ds_load_2addr_b64 v[220:223], v230 offset0:68 offset1:69
	s_waitcnt lgkmcnt(0)
	v_mul_f64 v[84:85], v[222:223], v[86:87]
	v_mul_f64 v[208:209], v[220:221], v[86:87]
	s_delay_alu instid0(VALU_DEP_2) | instskip(NEXT) | instid1(VALU_DEP_2)
	v_fma_f64 v[84:85], v[220:221], v[228:229], -v[84:85]
	v_fma_f64 v[208:209], v[222:223], v[228:229], v[208:209]
	ds_load_2addr_b64 v[220:223], v230 offset0:70 offset1:71
	v_add_f64 v[80:81], v[80:81], -v[84:85]
	v_add_f64 v[82:83], v[82:83], -v[208:209]
	s_waitcnt lgkmcnt(0)
	v_mul_f64 v[84:85], v[222:223], v[86:87]
	v_mul_f64 v[208:209], v[220:221], v[86:87]
	s_delay_alu instid0(VALU_DEP_2) | instskip(NEXT) | instid1(VALU_DEP_2)
	v_fma_f64 v[84:85], v[220:221], v[228:229], -v[84:85]
	v_fma_f64 v[208:209], v[222:223], v[228:229], v[208:209]
	ds_load_2addr_b64 v[220:223], v230 offset0:72 offset1:73
	v_add_f64 v[76:77], v[76:77], -v[84:85]
	v_add_f64 v[78:79], v[78:79], -v[208:209]
	;; [unrolled: 9-line block ×20, first 2 shown]
	s_waitcnt lgkmcnt(0)
	v_mul_f64 v[84:85], v[222:223], v[86:87]
	v_mul_f64 v[208:209], v[220:221], v[86:87]
	s_delay_alu instid0(VALU_DEP_2) | instskip(NEXT) | instid1(VALU_DEP_2)
	v_fma_f64 v[84:85], v[220:221], v[228:229], -v[84:85]
	v_fma_f64 v[208:209], v[222:223], v[228:229], v[208:209]
	s_delay_alu instid0(VALU_DEP_2) | instskip(NEXT) | instid1(VALU_DEP_2)
	v_add_f64 v[0:1], v[0:1], -v[84:85]
	v_add_f64 v[2:3], v[2:3], -v[208:209]
	v_dual_mov_b32 v84, v228 :: v_dual_mov_b32 v85, v229
.LBB108_714:
	s_or_b32 exec_lo, exec_lo, s2
	v_lshl_add_u32 v208, v236, 4, v230
	s_barrier
	buffer_gl0_inv
	v_mov_b32_e32 v228, 34
	ds_store_2addr_b64 v208, v[80:81], v[82:83] offset1:1
	s_waitcnt lgkmcnt(0)
	s_barrier
	buffer_gl0_inv
	ds_load_2addr_b64 v[220:223], v230 offset0:68 offset1:69
	s_cmp_lt_i32 s5, 36
	s_cbranch_scc1 .LBB108_717
; %bb.715:
	v_add3_u32 v229, v234, 0, 0x230
	v_mov_b32_e32 v228, 34
	s_mov_b32 s6, 35
	s_set_inst_prefetch_distance 0x1
	.p2align	6
.LBB108_716:                            ; =>This Inner Loop Header: Depth=1
	ds_load_2addr_b64 v[237:240], v229 offset1:1
	s_waitcnt lgkmcnt(1)
	v_cmp_gt_f64_e32 vcc_lo, 0, v[220:221]
	v_xor_b32_e32 v208, 0x80000000, v221
	v_cmp_gt_f64_e64 s2, 0, v[222:223]
	v_xor_b32_e32 v210, 0x80000000, v223
	v_add_nc_u32_e32 v229, 16, v229
	s_waitcnt lgkmcnt(0)
	v_cmp_gt_f64_e64 s3, 0, v[237:238]
	v_mov_b32_e32 v212, v237
	v_dual_mov_b32 v214, v239 :: v_dual_cndmask_b32 v209, v221, v208
	v_xor_b32_e32 v208, 0x80000000, v238
	v_cndmask_b32_e64 v211, v223, v210, s2
	v_xor_b32_e32 v210, 0x80000000, v240
	s_delay_alu instid0(VALU_DEP_3) | instskip(SKIP_2) | instid1(VALU_DEP_2)
	v_cndmask_b32_e64 v213, v238, v208, s3
	v_cmp_gt_f64_e64 s3, 0, v[239:240]
	v_cndmask_b32_e32 v208, v220, v220, vcc_lo
	v_cndmask_b32_e64 v215, v240, v210, s3
	v_cndmask_b32_e64 v210, v222, v222, s2
	s_delay_alu instid0(VALU_DEP_2) | instskip(NEXT) | instid1(VALU_DEP_2)
	v_add_f64 v[212:213], v[212:213], v[214:215]
	v_add_f64 v[208:209], v[208:209], v[210:211]
	s_delay_alu instid0(VALU_DEP_1) | instskip(SKIP_4) | instid1(SALU_CYCLE_1)
	v_cmp_lt_f64_e32 vcc_lo, v[208:209], v[212:213]
	v_dual_cndmask_b32 v221, v221, v238 :: v_dual_cndmask_b32 v220, v220, v237
	v_dual_cndmask_b32 v223, v223, v240 :: v_dual_cndmask_b32 v222, v222, v239
	v_cndmask_b32_e64 v228, v228, s6, vcc_lo
	s_add_i32 s6, s6, 1
	s_cmp_lg_u32 s5, s6
	s_cbranch_scc1 .LBB108_716
.LBB108_717:
	s_set_inst_prefetch_distance 0x2
	s_waitcnt lgkmcnt(0)
	v_cmp_eq_f64_e32 vcc_lo, 0, v[220:221]
	v_cmp_eq_f64_e64 s2, 0, v[222:223]
	s_delay_alu instid0(VALU_DEP_1) | instskip(NEXT) | instid1(SALU_CYCLE_1)
	s_and_b32 s2, vcc_lo, s2
	s_and_saveexec_b32 s3, s2
	s_delay_alu instid0(SALU_CYCLE_1)
	s_xor_b32 s2, exec_lo, s3
; %bb.718:
	v_cmp_ne_u32_e32 vcc_lo, 0, v233
	v_cndmask_b32_e32 v233, 35, v233, vcc_lo
; %bb.719:
	s_and_not1_saveexec_b32 s3, s2
	s_cbranch_execz .LBB108_725
; %bb.720:
	v_cmp_gt_f64_e32 vcc_lo, 0, v[220:221]
	v_cmp_gt_f64_e64 s2, 0, v[222:223]
	v_xor_b32_e32 v208, 0x80000000, v221
	v_xor_b32_e32 v210, 0x80000000, v223
	s_delay_alu instid0(VALU_DEP_2) | instskip(NEXT) | instid1(VALU_DEP_2)
	v_cndmask_b32_e32 v209, v221, v208, vcc_lo
	v_cndmask_b32_e64 v211, v223, v210, s2
	v_cndmask_b32_e32 v208, v220, v220, vcc_lo
	v_cndmask_b32_e64 v210, v222, v222, s2
	s_mov_b32 s2, exec_lo
	s_delay_alu instid0(VALU_DEP_1)
	v_cmpx_ngt_f64_e32 v[208:209], v[210:211]
	s_xor_b32 s2, exec_lo, s2
	s_cbranch_execz .LBB108_722
; %bb.721:
	v_div_scale_f64 v[208:209], null, v[222:223], v[222:223], v[220:221]
	v_div_scale_f64 v[214:215], vcc_lo, v[220:221], v[222:223], v[220:221]
	s_delay_alu instid0(VALU_DEP_2) | instskip(SKIP_2) | instid1(VALU_DEP_1)
	v_rcp_f64_e32 v[210:211], v[208:209]
	s_waitcnt_depctr 0xfff
	v_fma_f64 v[212:213], -v[208:209], v[210:211], 1.0
	v_fma_f64 v[210:211], v[210:211], v[212:213], v[210:211]
	s_delay_alu instid0(VALU_DEP_1) | instskip(NEXT) | instid1(VALU_DEP_1)
	v_fma_f64 v[212:213], -v[208:209], v[210:211], 1.0
	v_fma_f64 v[210:211], v[210:211], v[212:213], v[210:211]
	s_delay_alu instid0(VALU_DEP_1) | instskip(NEXT) | instid1(VALU_DEP_1)
	v_mul_f64 v[212:213], v[214:215], v[210:211]
	v_fma_f64 v[208:209], -v[208:209], v[212:213], v[214:215]
	s_delay_alu instid0(VALU_DEP_1) | instskip(NEXT) | instid1(VALU_DEP_1)
	v_div_fmas_f64 v[208:209], v[208:209], v[210:211], v[212:213]
	v_div_fixup_f64 v[208:209], v[208:209], v[222:223], v[220:221]
	s_delay_alu instid0(VALU_DEP_1) | instskip(NEXT) | instid1(VALU_DEP_1)
	v_fma_f64 v[210:211], v[220:221], v[208:209], v[222:223]
	v_div_scale_f64 v[212:213], null, v[210:211], v[210:211], 1.0
	s_delay_alu instid0(VALU_DEP_1) | instskip(SKIP_2) | instid1(VALU_DEP_1)
	v_rcp_f64_e32 v[214:215], v[212:213]
	s_waitcnt_depctr 0xfff
	v_fma_f64 v[220:221], -v[212:213], v[214:215], 1.0
	v_fma_f64 v[214:215], v[214:215], v[220:221], v[214:215]
	s_delay_alu instid0(VALU_DEP_1) | instskip(NEXT) | instid1(VALU_DEP_1)
	v_fma_f64 v[220:221], -v[212:213], v[214:215], 1.0
	v_fma_f64 v[214:215], v[214:215], v[220:221], v[214:215]
	v_div_scale_f64 v[220:221], vcc_lo, 1.0, v[210:211], 1.0
	s_delay_alu instid0(VALU_DEP_1) | instskip(NEXT) | instid1(VALU_DEP_1)
	v_mul_f64 v[222:223], v[220:221], v[214:215]
	v_fma_f64 v[212:213], -v[212:213], v[222:223], v[220:221]
	s_delay_alu instid0(VALU_DEP_1) | instskip(NEXT) | instid1(VALU_DEP_1)
	v_div_fmas_f64 v[212:213], v[212:213], v[214:215], v[222:223]
	v_div_fixup_f64 v[222:223], v[212:213], v[210:211], 1.0
	s_delay_alu instid0(VALU_DEP_1)
	v_mul_f64 v[220:221], v[208:209], v[222:223]
	v_xor_b32_e32 v223, 0x80000000, v223
.LBB108_722:
	s_and_not1_saveexec_b32 s2, s2
	s_cbranch_execz .LBB108_724
; %bb.723:
	s_delay_alu instid0(VALU_DEP_1) | instskip(SKIP_1) | instid1(VALU_DEP_2)
	v_div_scale_f64 v[208:209], null, v[220:221], v[220:221], v[222:223]
	v_div_scale_f64 v[214:215], vcc_lo, v[222:223], v[220:221], v[222:223]
	v_rcp_f64_e32 v[210:211], v[208:209]
	s_waitcnt_depctr 0xfff
	v_fma_f64 v[212:213], -v[208:209], v[210:211], 1.0
	s_delay_alu instid0(VALU_DEP_1) | instskip(NEXT) | instid1(VALU_DEP_1)
	v_fma_f64 v[210:211], v[210:211], v[212:213], v[210:211]
	v_fma_f64 v[212:213], -v[208:209], v[210:211], 1.0
	s_delay_alu instid0(VALU_DEP_1) | instskip(NEXT) | instid1(VALU_DEP_1)
	v_fma_f64 v[210:211], v[210:211], v[212:213], v[210:211]
	v_mul_f64 v[212:213], v[214:215], v[210:211]
	s_delay_alu instid0(VALU_DEP_1) | instskip(NEXT) | instid1(VALU_DEP_1)
	v_fma_f64 v[208:209], -v[208:209], v[212:213], v[214:215]
	v_div_fmas_f64 v[208:209], v[208:209], v[210:211], v[212:213]
	s_delay_alu instid0(VALU_DEP_1) | instskip(NEXT) | instid1(VALU_DEP_1)
	v_div_fixup_f64 v[208:209], v[208:209], v[220:221], v[222:223]
	v_fma_f64 v[210:211], v[222:223], v[208:209], v[220:221]
	s_delay_alu instid0(VALU_DEP_1) | instskip(NEXT) | instid1(VALU_DEP_1)
	v_div_scale_f64 v[212:213], null, v[210:211], v[210:211], 1.0
	v_rcp_f64_e32 v[214:215], v[212:213]
	s_waitcnt_depctr 0xfff
	v_fma_f64 v[220:221], -v[212:213], v[214:215], 1.0
	s_delay_alu instid0(VALU_DEP_1) | instskip(NEXT) | instid1(VALU_DEP_1)
	v_fma_f64 v[214:215], v[214:215], v[220:221], v[214:215]
	v_fma_f64 v[220:221], -v[212:213], v[214:215], 1.0
	s_delay_alu instid0(VALU_DEP_1) | instskip(SKIP_1) | instid1(VALU_DEP_1)
	v_fma_f64 v[214:215], v[214:215], v[220:221], v[214:215]
	v_div_scale_f64 v[220:221], vcc_lo, 1.0, v[210:211], 1.0
	v_mul_f64 v[222:223], v[220:221], v[214:215]
	s_delay_alu instid0(VALU_DEP_1) | instskip(NEXT) | instid1(VALU_DEP_1)
	v_fma_f64 v[212:213], -v[212:213], v[222:223], v[220:221]
	v_div_fmas_f64 v[212:213], v[212:213], v[214:215], v[222:223]
	s_delay_alu instid0(VALU_DEP_1) | instskip(NEXT) | instid1(VALU_DEP_1)
	v_div_fixup_f64 v[220:221], v[212:213], v[210:211], 1.0
	v_mul_f64 v[222:223], v[208:209], -v[220:221]
.LBB108_724:
	s_or_b32 exec_lo, exec_lo, s2
.LBB108_725:
	s_delay_alu instid0(SALU_CYCLE_1) | instskip(NEXT) | instid1(SALU_CYCLE_1)
	s_or_b32 exec_lo, exec_lo, s3
	s_mov_b32 s2, exec_lo
	v_cmpx_ne_u32_e64 v236, v228
	s_xor_b32 s2, exec_lo, s2
	s_cbranch_execz .LBB108_731
; %bb.726:
	s_mov_b32 s3, exec_lo
	v_cmpx_eq_u32_e32 34, v236
	s_cbranch_execz .LBB108_730
; %bb.727:
	v_cmp_ne_u32_e32 vcc_lo, 34, v228
	s_xor_b32 s6, s4, -1
	s_delay_alu instid0(SALU_CYCLE_1) | instskip(NEXT) | instid1(SALU_CYCLE_1)
	s_and_b32 s7, s6, vcc_lo
	s_and_saveexec_b32 s6, s7
	s_cbranch_execz .LBB108_729
; %bb.728:
	v_ashrrev_i32_e32 v229, 31, v228
	s_delay_alu instid0(VALU_DEP_1) | instskip(NEXT) | instid1(VALU_DEP_1)
	v_lshlrev_b64 v[208:209], 2, v[228:229]
	v_add_co_u32 v208, vcc_lo, v231, v208
	s_delay_alu instid0(VALU_DEP_2)
	v_add_co_ci_u32_e32 v209, vcc_lo, v232, v209, vcc_lo
	s_clause 0x1
	flat_load_b32 v210, v[208:209]
	flat_load_b32 v211, v[231:232] offset:136
	s_waitcnt vmcnt(1) lgkmcnt(1)
	flat_store_b32 v[231:232], v210 offset:136
	s_waitcnt vmcnt(0) lgkmcnt(1)
	flat_store_b32 v[208:209], v211
.LBB108_729:
	s_or_b32 exec_lo, exec_lo, s6
	v_mov_b32_e32 v236, v228
	v_mov_b32_e32 v227, v228
.LBB108_730:
	s_or_b32 exec_lo, exec_lo, s3
.LBB108_731:
	s_and_not1_saveexec_b32 s2, s2
	s_cbranch_execz .LBB108_733
; %bb.732:
	v_mov_b32_e32 v236, 34
	ds_store_2addr_b64 v230, v[76:77], v[78:79] offset0:70 offset1:71
	ds_store_2addr_b64 v230, v[72:73], v[74:75] offset0:72 offset1:73
	;; [unrolled: 1-line block ×20, first 2 shown]
.LBB108_733:
	s_or_b32 exec_lo, exec_lo, s2
	s_delay_alu instid0(SALU_CYCLE_1)
	s_mov_b32 s2, exec_lo
	s_waitcnt lgkmcnt(0)
	s_waitcnt_vscnt null, 0x0
	s_barrier
	buffer_gl0_inv
	v_cmpx_lt_i32_e32 34, v236
	s_cbranch_execz .LBB108_735
; %bb.734:
	v_mul_f64 v[208:209], v[222:223], v[82:83]
	v_mul_f64 v[82:83], v[220:221], v[82:83]
	s_delay_alu instid0(VALU_DEP_2) | instskip(NEXT) | instid1(VALU_DEP_2)
	v_fma_f64 v[228:229], v[220:221], v[80:81], -v[208:209]
	v_fma_f64 v[82:83], v[222:223], v[80:81], v[82:83]
	ds_load_2addr_b64 v[220:223], v230 offset0:70 offset1:71
	s_waitcnt lgkmcnt(0)
	v_mul_f64 v[80:81], v[222:223], v[82:83]
	v_mul_f64 v[208:209], v[220:221], v[82:83]
	s_delay_alu instid0(VALU_DEP_2) | instskip(NEXT) | instid1(VALU_DEP_2)
	v_fma_f64 v[80:81], v[220:221], v[228:229], -v[80:81]
	v_fma_f64 v[208:209], v[222:223], v[228:229], v[208:209]
	ds_load_2addr_b64 v[220:223], v230 offset0:72 offset1:73
	v_add_f64 v[76:77], v[76:77], -v[80:81]
	v_add_f64 v[78:79], v[78:79], -v[208:209]
	s_waitcnt lgkmcnt(0)
	v_mul_f64 v[80:81], v[222:223], v[82:83]
	v_mul_f64 v[208:209], v[220:221], v[82:83]
	s_delay_alu instid0(VALU_DEP_2) | instskip(NEXT) | instid1(VALU_DEP_2)
	v_fma_f64 v[80:81], v[220:221], v[228:229], -v[80:81]
	v_fma_f64 v[208:209], v[222:223], v[228:229], v[208:209]
	ds_load_2addr_b64 v[220:223], v230 offset0:74 offset1:75
	v_add_f64 v[72:73], v[72:73], -v[80:81]
	v_add_f64 v[74:75], v[74:75], -v[208:209]
	;; [unrolled: 9-line block ×19, first 2 shown]
	s_waitcnt lgkmcnt(0)
	v_mul_f64 v[80:81], v[222:223], v[82:83]
	v_mul_f64 v[208:209], v[220:221], v[82:83]
	s_delay_alu instid0(VALU_DEP_2) | instskip(NEXT) | instid1(VALU_DEP_2)
	v_fma_f64 v[80:81], v[220:221], v[228:229], -v[80:81]
	v_fma_f64 v[208:209], v[222:223], v[228:229], v[208:209]
	s_delay_alu instid0(VALU_DEP_2) | instskip(NEXT) | instid1(VALU_DEP_2)
	v_add_f64 v[0:1], v[0:1], -v[80:81]
	v_add_f64 v[2:3], v[2:3], -v[208:209]
	v_dual_mov_b32 v80, v228 :: v_dual_mov_b32 v81, v229
.LBB108_735:
	s_or_b32 exec_lo, exec_lo, s2
	v_lshl_add_u32 v208, v236, 4, v230
	s_barrier
	buffer_gl0_inv
	v_mov_b32_e32 v228, 35
	ds_store_2addr_b64 v208, v[76:77], v[78:79] offset1:1
	s_waitcnt lgkmcnt(0)
	s_barrier
	buffer_gl0_inv
	ds_load_2addr_b64 v[220:223], v230 offset0:70 offset1:71
	s_cmp_lt_i32 s5, 37
	s_cbranch_scc1 .LBB108_738
; %bb.736:
	v_add3_u32 v229, v234, 0, 0x240
	v_mov_b32_e32 v228, 35
	s_mov_b32 s6, 36
	s_set_inst_prefetch_distance 0x1
	.p2align	6
.LBB108_737:                            ; =>This Inner Loop Header: Depth=1
	ds_load_2addr_b64 v[237:240], v229 offset1:1
	s_waitcnt lgkmcnt(1)
	v_cmp_gt_f64_e32 vcc_lo, 0, v[220:221]
	v_xor_b32_e32 v208, 0x80000000, v221
	v_cmp_gt_f64_e64 s2, 0, v[222:223]
	v_xor_b32_e32 v210, 0x80000000, v223
	v_add_nc_u32_e32 v229, 16, v229
	s_waitcnt lgkmcnt(0)
	v_cmp_gt_f64_e64 s3, 0, v[237:238]
	v_mov_b32_e32 v212, v237
	v_dual_mov_b32 v214, v239 :: v_dual_cndmask_b32 v209, v221, v208
	v_xor_b32_e32 v208, 0x80000000, v238
	v_cndmask_b32_e64 v211, v223, v210, s2
	v_xor_b32_e32 v210, 0x80000000, v240
	s_delay_alu instid0(VALU_DEP_3) | instskip(SKIP_2) | instid1(VALU_DEP_2)
	v_cndmask_b32_e64 v213, v238, v208, s3
	v_cmp_gt_f64_e64 s3, 0, v[239:240]
	v_cndmask_b32_e32 v208, v220, v220, vcc_lo
	v_cndmask_b32_e64 v215, v240, v210, s3
	v_cndmask_b32_e64 v210, v222, v222, s2
	s_delay_alu instid0(VALU_DEP_2) | instskip(NEXT) | instid1(VALU_DEP_2)
	v_add_f64 v[212:213], v[212:213], v[214:215]
	v_add_f64 v[208:209], v[208:209], v[210:211]
	s_delay_alu instid0(VALU_DEP_1) | instskip(SKIP_4) | instid1(SALU_CYCLE_1)
	v_cmp_lt_f64_e32 vcc_lo, v[208:209], v[212:213]
	v_dual_cndmask_b32 v221, v221, v238 :: v_dual_cndmask_b32 v220, v220, v237
	v_dual_cndmask_b32 v223, v223, v240 :: v_dual_cndmask_b32 v222, v222, v239
	v_cndmask_b32_e64 v228, v228, s6, vcc_lo
	s_add_i32 s6, s6, 1
	s_cmp_lg_u32 s5, s6
	s_cbranch_scc1 .LBB108_737
.LBB108_738:
	s_set_inst_prefetch_distance 0x2
	s_waitcnt lgkmcnt(0)
	v_cmp_eq_f64_e32 vcc_lo, 0, v[220:221]
	v_cmp_eq_f64_e64 s2, 0, v[222:223]
	s_delay_alu instid0(VALU_DEP_1) | instskip(NEXT) | instid1(SALU_CYCLE_1)
	s_and_b32 s2, vcc_lo, s2
	s_and_saveexec_b32 s3, s2
	s_delay_alu instid0(SALU_CYCLE_1)
	s_xor_b32 s2, exec_lo, s3
; %bb.739:
	v_cmp_ne_u32_e32 vcc_lo, 0, v233
	v_cndmask_b32_e32 v233, 36, v233, vcc_lo
; %bb.740:
	s_and_not1_saveexec_b32 s3, s2
	s_cbranch_execz .LBB108_746
; %bb.741:
	v_cmp_gt_f64_e32 vcc_lo, 0, v[220:221]
	v_cmp_gt_f64_e64 s2, 0, v[222:223]
	v_xor_b32_e32 v208, 0x80000000, v221
	v_xor_b32_e32 v210, 0x80000000, v223
	s_delay_alu instid0(VALU_DEP_2) | instskip(NEXT) | instid1(VALU_DEP_2)
	v_cndmask_b32_e32 v209, v221, v208, vcc_lo
	v_cndmask_b32_e64 v211, v223, v210, s2
	v_cndmask_b32_e32 v208, v220, v220, vcc_lo
	v_cndmask_b32_e64 v210, v222, v222, s2
	s_mov_b32 s2, exec_lo
	s_delay_alu instid0(VALU_DEP_1)
	v_cmpx_ngt_f64_e32 v[208:209], v[210:211]
	s_xor_b32 s2, exec_lo, s2
	s_cbranch_execz .LBB108_743
; %bb.742:
	v_div_scale_f64 v[208:209], null, v[222:223], v[222:223], v[220:221]
	v_div_scale_f64 v[214:215], vcc_lo, v[220:221], v[222:223], v[220:221]
	s_delay_alu instid0(VALU_DEP_2) | instskip(SKIP_2) | instid1(VALU_DEP_1)
	v_rcp_f64_e32 v[210:211], v[208:209]
	s_waitcnt_depctr 0xfff
	v_fma_f64 v[212:213], -v[208:209], v[210:211], 1.0
	v_fma_f64 v[210:211], v[210:211], v[212:213], v[210:211]
	s_delay_alu instid0(VALU_DEP_1) | instskip(NEXT) | instid1(VALU_DEP_1)
	v_fma_f64 v[212:213], -v[208:209], v[210:211], 1.0
	v_fma_f64 v[210:211], v[210:211], v[212:213], v[210:211]
	s_delay_alu instid0(VALU_DEP_1) | instskip(NEXT) | instid1(VALU_DEP_1)
	v_mul_f64 v[212:213], v[214:215], v[210:211]
	v_fma_f64 v[208:209], -v[208:209], v[212:213], v[214:215]
	s_delay_alu instid0(VALU_DEP_1) | instskip(NEXT) | instid1(VALU_DEP_1)
	v_div_fmas_f64 v[208:209], v[208:209], v[210:211], v[212:213]
	v_div_fixup_f64 v[208:209], v[208:209], v[222:223], v[220:221]
	s_delay_alu instid0(VALU_DEP_1) | instskip(NEXT) | instid1(VALU_DEP_1)
	v_fma_f64 v[210:211], v[220:221], v[208:209], v[222:223]
	v_div_scale_f64 v[212:213], null, v[210:211], v[210:211], 1.0
	s_delay_alu instid0(VALU_DEP_1) | instskip(SKIP_2) | instid1(VALU_DEP_1)
	v_rcp_f64_e32 v[214:215], v[212:213]
	s_waitcnt_depctr 0xfff
	v_fma_f64 v[220:221], -v[212:213], v[214:215], 1.0
	v_fma_f64 v[214:215], v[214:215], v[220:221], v[214:215]
	s_delay_alu instid0(VALU_DEP_1) | instskip(NEXT) | instid1(VALU_DEP_1)
	v_fma_f64 v[220:221], -v[212:213], v[214:215], 1.0
	v_fma_f64 v[214:215], v[214:215], v[220:221], v[214:215]
	v_div_scale_f64 v[220:221], vcc_lo, 1.0, v[210:211], 1.0
	s_delay_alu instid0(VALU_DEP_1) | instskip(NEXT) | instid1(VALU_DEP_1)
	v_mul_f64 v[222:223], v[220:221], v[214:215]
	v_fma_f64 v[212:213], -v[212:213], v[222:223], v[220:221]
	s_delay_alu instid0(VALU_DEP_1) | instskip(NEXT) | instid1(VALU_DEP_1)
	v_div_fmas_f64 v[212:213], v[212:213], v[214:215], v[222:223]
	v_div_fixup_f64 v[222:223], v[212:213], v[210:211], 1.0
	s_delay_alu instid0(VALU_DEP_1)
	v_mul_f64 v[220:221], v[208:209], v[222:223]
	v_xor_b32_e32 v223, 0x80000000, v223
.LBB108_743:
	s_and_not1_saveexec_b32 s2, s2
	s_cbranch_execz .LBB108_745
; %bb.744:
	s_delay_alu instid0(VALU_DEP_1) | instskip(SKIP_1) | instid1(VALU_DEP_2)
	v_div_scale_f64 v[208:209], null, v[220:221], v[220:221], v[222:223]
	v_div_scale_f64 v[214:215], vcc_lo, v[222:223], v[220:221], v[222:223]
	v_rcp_f64_e32 v[210:211], v[208:209]
	s_waitcnt_depctr 0xfff
	v_fma_f64 v[212:213], -v[208:209], v[210:211], 1.0
	s_delay_alu instid0(VALU_DEP_1) | instskip(NEXT) | instid1(VALU_DEP_1)
	v_fma_f64 v[210:211], v[210:211], v[212:213], v[210:211]
	v_fma_f64 v[212:213], -v[208:209], v[210:211], 1.0
	s_delay_alu instid0(VALU_DEP_1) | instskip(NEXT) | instid1(VALU_DEP_1)
	v_fma_f64 v[210:211], v[210:211], v[212:213], v[210:211]
	v_mul_f64 v[212:213], v[214:215], v[210:211]
	s_delay_alu instid0(VALU_DEP_1) | instskip(NEXT) | instid1(VALU_DEP_1)
	v_fma_f64 v[208:209], -v[208:209], v[212:213], v[214:215]
	v_div_fmas_f64 v[208:209], v[208:209], v[210:211], v[212:213]
	s_delay_alu instid0(VALU_DEP_1) | instskip(NEXT) | instid1(VALU_DEP_1)
	v_div_fixup_f64 v[208:209], v[208:209], v[220:221], v[222:223]
	v_fma_f64 v[210:211], v[222:223], v[208:209], v[220:221]
	s_delay_alu instid0(VALU_DEP_1) | instskip(NEXT) | instid1(VALU_DEP_1)
	v_div_scale_f64 v[212:213], null, v[210:211], v[210:211], 1.0
	v_rcp_f64_e32 v[214:215], v[212:213]
	s_waitcnt_depctr 0xfff
	v_fma_f64 v[220:221], -v[212:213], v[214:215], 1.0
	s_delay_alu instid0(VALU_DEP_1) | instskip(NEXT) | instid1(VALU_DEP_1)
	v_fma_f64 v[214:215], v[214:215], v[220:221], v[214:215]
	v_fma_f64 v[220:221], -v[212:213], v[214:215], 1.0
	s_delay_alu instid0(VALU_DEP_1) | instskip(SKIP_1) | instid1(VALU_DEP_1)
	v_fma_f64 v[214:215], v[214:215], v[220:221], v[214:215]
	v_div_scale_f64 v[220:221], vcc_lo, 1.0, v[210:211], 1.0
	v_mul_f64 v[222:223], v[220:221], v[214:215]
	s_delay_alu instid0(VALU_DEP_1) | instskip(NEXT) | instid1(VALU_DEP_1)
	v_fma_f64 v[212:213], -v[212:213], v[222:223], v[220:221]
	v_div_fmas_f64 v[212:213], v[212:213], v[214:215], v[222:223]
	s_delay_alu instid0(VALU_DEP_1) | instskip(NEXT) | instid1(VALU_DEP_1)
	v_div_fixup_f64 v[220:221], v[212:213], v[210:211], 1.0
	v_mul_f64 v[222:223], v[208:209], -v[220:221]
.LBB108_745:
	s_or_b32 exec_lo, exec_lo, s2
.LBB108_746:
	s_delay_alu instid0(SALU_CYCLE_1) | instskip(NEXT) | instid1(SALU_CYCLE_1)
	s_or_b32 exec_lo, exec_lo, s3
	s_mov_b32 s2, exec_lo
	v_cmpx_ne_u32_e64 v236, v228
	s_xor_b32 s2, exec_lo, s2
	s_cbranch_execz .LBB108_752
; %bb.747:
	s_mov_b32 s3, exec_lo
	v_cmpx_eq_u32_e32 35, v236
	s_cbranch_execz .LBB108_751
; %bb.748:
	v_cmp_ne_u32_e32 vcc_lo, 35, v228
	s_xor_b32 s6, s4, -1
	s_delay_alu instid0(SALU_CYCLE_1) | instskip(NEXT) | instid1(SALU_CYCLE_1)
	s_and_b32 s7, s6, vcc_lo
	s_and_saveexec_b32 s6, s7
	s_cbranch_execz .LBB108_750
; %bb.749:
	v_ashrrev_i32_e32 v229, 31, v228
	s_delay_alu instid0(VALU_DEP_1) | instskip(NEXT) | instid1(VALU_DEP_1)
	v_lshlrev_b64 v[208:209], 2, v[228:229]
	v_add_co_u32 v208, vcc_lo, v231, v208
	s_delay_alu instid0(VALU_DEP_2)
	v_add_co_ci_u32_e32 v209, vcc_lo, v232, v209, vcc_lo
	s_clause 0x1
	flat_load_b32 v210, v[208:209]
	flat_load_b32 v211, v[231:232] offset:140
	s_waitcnt vmcnt(1) lgkmcnt(1)
	flat_store_b32 v[231:232], v210 offset:140
	s_waitcnt vmcnt(0) lgkmcnt(1)
	flat_store_b32 v[208:209], v211
.LBB108_750:
	s_or_b32 exec_lo, exec_lo, s6
	v_mov_b32_e32 v236, v228
	v_mov_b32_e32 v227, v228
.LBB108_751:
	s_or_b32 exec_lo, exec_lo, s3
.LBB108_752:
	s_and_not1_saveexec_b32 s2, s2
	s_cbranch_execz .LBB108_754
; %bb.753:
	v_mov_b32_e32 v236, 35
	ds_store_2addr_b64 v230, v[72:73], v[74:75] offset0:72 offset1:73
	ds_store_2addr_b64 v230, v[68:69], v[70:71] offset0:74 offset1:75
	;; [unrolled: 1-line block ×19, first 2 shown]
.LBB108_754:
	s_or_b32 exec_lo, exec_lo, s2
	s_delay_alu instid0(SALU_CYCLE_1)
	s_mov_b32 s2, exec_lo
	s_waitcnt lgkmcnt(0)
	s_waitcnt_vscnt null, 0x0
	s_barrier
	buffer_gl0_inv
	v_cmpx_lt_i32_e32 35, v236
	s_cbranch_execz .LBB108_756
; %bb.755:
	v_mul_f64 v[208:209], v[222:223], v[78:79]
	v_mul_f64 v[78:79], v[220:221], v[78:79]
	s_delay_alu instid0(VALU_DEP_2) | instskip(NEXT) | instid1(VALU_DEP_2)
	v_fma_f64 v[228:229], v[220:221], v[76:77], -v[208:209]
	v_fma_f64 v[78:79], v[222:223], v[76:77], v[78:79]
	ds_load_2addr_b64 v[220:223], v230 offset0:72 offset1:73
	s_waitcnt lgkmcnt(0)
	v_mul_f64 v[76:77], v[222:223], v[78:79]
	v_mul_f64 v[208:209], v[220:221], v[78:79]
	s_delay_alu instid0(VALU_DEP_2) | instskip(NEXT) | instid1(VALU_DEP_2)
	v_fma_f64 v[76:77], v[220:221], v[228:229], -v[76:77]
	v_fma_f64 v[208:209], v[222:223], v[228:229], v[208:209]
	ds_load_2addr_b64 v[220:223], v230 offset0:74 offset1:75
	v_add_f64 v[72:73], v[72:73], -v[76:77]
	v_add_f64 v[74:75], v[74:75], -v[208:209]
	s_waitcnt lgkmcnt(0)
	v_mul_f64 v[76:77], v[222:223], v[78:79]
	v_mul_f64 v[208:209], v[220:221], v[78:79]
	s_delay_alu instid0(VALU_DEP_2) | instskip(NEXT) | instid1(VALU_DEP_2)
	v_fma_f64 v[76:77], v[220:221], v[228:229], -v[76:77]
	v_fma_f64 v[208:209], v[222:223], v[228:229], v[208:209]
	ds_load_2addr_b64 v[220:223], v230 offset0:76 offset1:77
	v_add_f64 v[68:69], v[68:69], -v[76:77]
	v_add_f64 v[70:71], v[70:71], -v[208:209]
	s_waitcnt lgkmcnt(0)
	v_mul_f64 v[76:77], v[222:223], v[78:79]
	v_mul_f64 v[208:209], v[220:221], v[78:79]
	s_delay_alu instid0(VALU_DEP_2) | instskip(NEXT) | instid1(VALU_DEP_2)
	v_fma_f64 v[76:77], v[220:221], v[228:229], -v[76:77]
	v_fma_f64 v[208:209], v[222:223], v[228:229], v[208:209]
	ds_load_2addr_b64 v[220:223], v230 offset0:78 offset1:79
	v_add_f64 v[64:65], v[64:65], -v[76:77]
	v_add_f64 v[66:67], v[66:67], -v[208:209]
	s_waitcnt lgkmcnt(0)
	v_mul_f64 v[76:77], v[222:223], v[78:79]
	v_mul_f64 v[208:209], v[220:221], v[78:79]
	s_delay_alu instid0(VALU_DEP_2) | instskip(NEXT) | instid1(VALU_DEP_2)
	v_fma_f64 v[76:77], v[220:221], v[228:229], -v[76:77]
	v_fma_f64 v[208:209], v[222:223], v[228:229], v[208:209]
	ds_load_2addr_b64 v[220:223], v230 offset0:80 offset1:81
	v_add_f64 v[60:61], v[60:61], -v[76:77]
	v_add_f64 v[62:63], v[62:63], -v[208:209]
	s_waitcnt lgkmcnt(0)
	v_mul_f64 v[76:77], v[222:223], v[78:79]
	v_mul_f64 v[208:209], v[220:221], v[78:79]
	s_delay_alu instid0(VALU_DEP_2) | instskip(NEXT) | instid1(VALU_DEP_2)
	v_fma_f64 v[76:77], v[220:221], v[228:229], -v[76:77]
	v_fma_f64 v[208:209], v[222:223], v[228:229], v[208:209]
	ds_load_2addr_b64 v[220:223], v230 offset0:82 offset1:83
	v_add_f64 v[56:57], v[56:57], -v[76:77]
	v_add_f64 v[58:59], v[58:59], -v[208:209]
	s_waitcnt lgkmcnt(0)
	v_mul_f64 v[76:77], v[222:223], v[78:79]
	v_mul_f64 v[208:209], v[220:221], v[78:79]
	s_delay_alu instid0(VALU_DEP_2) | instskip(NEXT) | instid1(VALU_DEP_2)
	v_fma_f64 v[76:77], v[220:221], v[228:229], -v[76:77]
	v_fma_f64 v[208:209], v[222:223], v[228:229], v[208:209]
	ds_load_2addr_b64 v[220:223], v230 offset0:84 offset1:85
	v_add_f64 v[52:53], v[52:53], -v[76:77]
	v_add_f64 v[54:55], v[54:55], -v[208:209]
	s_waitcnt lgkmcnt(0)
	v_mul_f64 v[76:77], v[222:223], v[78:79]
	v_mul_f64 v[208:209], v[220:221], v[78:79]
	s_delay_alu instid0(VALU_DEP_2) | instskip(NEXT) | instid1(VALU_DEP_2)
	v_fma_f64 v[76:77], v[220:221], v[228:229], -v[76:77]
	v_fma_f64 v[208:209], v[222:223], v[228:229], v[208:209]
	ds_load_2addr_b64 v[220:223], v230 offset0:86 offset1:87
	v_add_f64 v[48:49], v[48:49], -v[76:77]
	v_add_f64 v[50:51], v[50:51], -v[208:209]
	s_waitcnt lgkmcnt(0)
	v_mul_f64 v[76:77], v[222:223], v[78:79]
	v_mul_f64 v[208:209], v[220:221], v[78:79]
	s_delay_alu instid0(VALU_DEP_2) | instskip(NEXT) | instid1(VALU_DEP_2)
	v_fma_f64 v[76:77], v[220:221], v[228:229], -v[76:77]
	v_fma_f64 v[208:209], v[222:223], v[228:229], v[208:209]
	ds_load_2addr_b64 v[220:223], v230 offset0:88 offset1:89
	v_add_f64 v[44:45], v[44:45], -v[76:77]
	v_add_f64 v[46:47], v[46:47], -v[208:209]
	s_waitcnt lgkmcnt(0)
	v_mul_f64 v[76:77], v[222:223], v[78:79]
	v_mul_f64 v[208:209], v[220:221], v[78:79]
	s_delay_alu instid0(VALU_DEP_2) | instskip(NEXT) | instid1(VALU_DEP_2)
	v_fma_f64 v[76:77], v[220:221], v[228:229], -v[76:77]
	v_fma_f64 v[208:209], v[222:223], v[228:229], v[208:209]
	ds_load_2addr_b64 v[220:223], v230 offset0:90 offset1:91
	v_add_f64 v[40:41], v[40:41], -v[76:77]
	v_add_f64 v[42:43], v[42:43], -v[208:209]
	s_waitcnt lgkmcnt(0)
	v_mul_f64 v[76:77], v[222:223], v[78:79]
	v_mul_f64 v[208:209], v[220:221], v[78:79]
	s_delay_alu instid0(VALU_DEP_2) | instskip(NEXT) | instid1(VALU_DEP_2)
	v_fma_f64 v[76:77], v[220:221], v[228:229], -v[76:77]
	v_fma_f64 v[208:209], v[222:223], v[228:229], v[208:209]
	ds_load_2addr_b64 v[220:223], v230 offset0:92 offset1:93
	v_add_f64 v[36:37], v[36:37], -v[76:77]
	v_add_f64 v[38:39], v[38:39], -v[208:209]
	s_waitcnt lgkmcnt(0)
	v_mul_f64 v[76:77], v[222:223], v[78:79]
	v_mul_f64 v[208:209], v[220:221], v[78:79]
	s_delay_alu instid0(VALU_DEP_2) | instskip(NEXT) | instid1(VALU_DEP_2)
	v_fma_f64 v[76:77], v[220:221], v[228:229], -v[76:77]
	v_fma_f64 v[208:209], v[222:223], v[228:229], v[208:209]
	ds_load_2addr_b64 v[220:223], v230 offset0:94 offset1:95
	v_add_f64 v[32:33], v[32:33], -v[76:77]
	v_add_f64 v[34:35], v[34:35], -v[208:209]
	s_waitcnt lgkmcnt(0)
	v_mul_f64 v[76:77], v[222:223], v[78:79]
	v_mul_f64 v[208:209], v[220:221], v[78:79]
	s_delay_alu instid0(VALU_DEP_2) | instskip(NEXT) | instid1(VALU_DEP_2)
	v_fma_f64 v[76:77], v[220:221], v[228:229], -v[76:77]
	v_fma_f64 v[208:209], v[222:223], v[228:229], v[208:209]
	ds_load_2addr_b64 v[220:223], v230 offset0:96 offset1:97
	v_add_f64 v[28:29], v[28:29], -v[76:77]
	v_add_f64 v[30:31], v[30:31], -v[208:209]
	s_waitcnt lgkmcnt(0)
	v_mul_f64 v[76:77], v[222:223], v[78:79]
	v_mul_f64 v[208:209], v[220:221], v[78:79]
	s_delay_alu instid0(VALU_DEP_2) | instskip(NEXT) | instid1(VALU_DEP_2)
	v_fma_f64 v[76:77], v[220:221], v[228:229], -v[76:77]
	v_fma_f64 v[208:209], v[222:223], v[228:229], v[208:209]
	ds_load_2addr_b64 v[220:223], v230 offset0:98 offset1:99
	v_add_f64 v[24:25], v[24:25], -v[76:77]
	v_add_f64 v[26:27], v[26:27], -v[208:209]
	s_waitcnt lgkmcnt(0)
	v_mul_f64 v[76:77], v[222:223], v[78:79]
	v_mul_f64 v[208:209], v[220:221], v[78:79]
	s_delay_alu instid0(VALU_DEP_2) | instskip(NEXT) | instid1(VALU_DEP_2)
	v_fma_f64 v[76:77], v[220:221], v[228:229], -v[76:77]
	v_fma_f64 v[208:209], v[222:223], v[228:229], v[208:209]
	ds_load_2addr_b64 v[220:223], v230 offset0:100 offset1:101
	v_add_f64 v[20:21], v[20:21], -v[76:77]
	v_add_f64 v[22:23], v[22:23], -v[208:209]
	s_waitcnt lgkmcnt(0)
	v_mul_f64 v[76:77], v[222:223], v[78:79]
	v_mul_f64 v[208:209], v[220:221], v[78:79]
	s_delay_alu instid0(VALU_DEP_2) | instskip(NEXT) | instid1(VALU_DEP_2)
	v_fma_f64 v[76:77], v[220:221], v[228:229], -v[76:77]
	v_fma_f64 v[208:209], v[222:223], v[228:229], v[208:209]
	ds_load_2addr_b64 v[220:223], v230 offset0:102 offset1:103
	v_add_f64 v[16:17], v[16:17], -v[76:77]
	v_add_f64 v[18:19], v[18:19], -v[208:209]
	s_waitcnt lgkmcnt(0)
	v_mul_f64 v[76:77], v[222:223], v[78:79]
	v_mul_f64 v[208:209], v[220:221], v[78:79]
	s_delay_alu instid0(VALU_DEP_2) | instskip(NEXT) | instid1(VALU_DEP_2)
	v_fma_f64 v[76:77], v[220:221], v[228:229], -v[76:77]
	v_fma_f64 v[208:209], v[222:223], v[228:229], v[208:209]
	ds_load_2addr_b64 v[220:223], v230 offset0:104 offset1:105
	v_add_f64 v[12:13], v[12:13], -v[76:77]
	v_add_f64 v[14:15], v[14:15], -v[208:209]
	s_waitcnt lgkmcnt(0)
	v_mul_f64 v[76:77], v[222:223], v[78:79]
	v_mul_f64 v[208:209], v[220:221], v[78:79]
	s_delay_alu instid0(VALU_DEP_2) | instskip(NEXT) | instid1(VALU_DEP_2)
	v_fma_f64 v[76:77], v[220:221], v[228:229], -v[76:77]
	v_fma_f64 v[208:209], v[222:223], v[228:229], v[208:209]
	ds_load_2addr_b64 v[220:223], v230 offset0:106 offset1:107
	v_add_f64 v[8:9], v[8:9], -v[76:77]
	v_add_f64 v[10:11], v[10:11], -v[208:209]
	s_waitcnt lgkmcnt(0)
	v_mul_f64 v[76:77], v[222:223], v[78:79]
	v_mul_f64 v[208:209], v[220:221], v[78:79]
	s_delay_alu instid0(VALU_DEP_2) | instskip(NEXT) | instid1(VALU_DEP_2)
	v_fma_f64 v[76:77], v[220:221], v[228:229], -v[76:77]
	v_fma_f64 v[208:209], v[222:223], v[228:229], v[208:209]
	ds_load_2addr_b64 v[220:223], v230 offset0:108 offset1:109
	v_add_f64 v[4:5], v[4:5], -v[76:77]
	v_add_f64 v[6:7], v[6:7], -v[208:209]
	s_waitcnt lgkmcnt(0)
	v_mul_f64 v[76:77], v[222:223], v[78:79]
	v_mul_f64 v[208:209], v[220:221], v[78:79]
	s_delay_alu instid0(VALU_DEP_2) | instskip(NEXT) | instid1(VALU_DEP_2)
	v_fma_f64 v[76:77], v[220:221], v[228:229], -v[76:77]
	v_fma_f64 v[208:209], v[222:223], v[228:229], v[208:209]
	s_delay_alu instid0(VALU_DEP_2) | instskip(NEXT) | instid1(VALU_DEP_2)
	v_add_f64 v[0:1], v[0:1], -v[76:77]
	v_add_f64 v[2:3], v[2:3], -v[208:209]
	v_dual_mov_b32 v76, v228 :: v_dual_mov_b32 v77, v229
.LBB108_756:
	s_or_b32 exec_lo, exec_lo, s2
	v_lshl_add_u32 v208, v236, 4, v230
	s_barrier
	buffer_gl0_inv
	v_mov_b32_e32 v228, 36
	ds_store_2addr_b64 v208, v[72:73], v[74:75] offset1:1
	s_waitcnt lgkmcnt(0)
	s_barrier
	buffer_gl0_inv
	ds_load_2addr_b64 v[220:223], v230 offset0:72 offset1:73
	s_cmp_lt_i32 s5, 38
	s_cbranch_scc1 .LBB108_759
; %bb.757:
	v_add3_u32 v229, v234, 0, 0x250
	v_mov_b32_e32 v228, 36
	s_mov_b32 s6, 37
	s_set_inst_prefetch_distance 0x1
	.p2align	6
.LBB108_758:                            ; =>This Inner Loop Header: Depth=1
	ds_load_2addr_b64 v[237:240], v229 offset1:1
	s_waitcnt lgkmcnt(1)
	v_cmp_gt_f64_e32 vcc_lo, 0, v[220:221]
	v_xor_b32_e32 v208, 0x80000000, v221
	v_cmp_gt_f64_e64 s2, 0, v[222:223]
	v_xor_b32_e32 v210, 0x80000000, v223
	v_add_nc_u32_e32 v229, 16, v229
	s_waitcnt lgkmcnt(0)
	v_cmp_gt_f64_e64 s3, 0, v[237:238]
	v_mov_b32_e32 v212, v237
	v_dual_mov_b32 v214, v239 :: v_dual_cndmask_b32 v209, v221, v208
	v_xor_b32_e32 v208, 0x80000000, v238
	v_cndmask_b32_e64 v211, v223, v210, s2
	v_xor_b32_e32 v210, 0x80000000, v240
	s_delay_alu instid0(VALU_DEP_3) | instskip(SKIP_2) | instid1(VALU_DEP_2)
	v_cndmask_b32_e64 v213, v238, v208, s3
	v_cmp_gt_f64_e64 s3, 0, v[239:240]
	v_cndmask_b32_e32 v208, v220, v220, vcc_lo
	v_cndmask_b32_e64 v215, v240, v210, s3
	v_cndmask_b32_e64 v210, v222, v222, s2
	s_delay_alu instid0(VALU_DEP_2) | instskip(NEXT) | instid1(VALU_DEP_2)
	v_add_f64 v[212:213], v[212:213], v[214:215]
	v_add_f64 v[208:209], v[208:209], v[210:211]
	s_delay_alu instid0(VALU_DEP_1) | instskip(SKIP_4) | instid1(SALU_CYCLE_1)
	v_cmp_lt_f64_e32 vcc_lo, v[208:209], v[212:213]
	v_dual_cndmask_b32 v221, v221, v238 :: v_dual_cndmask_b32 v220, v220, v237
	v_dual_cndmask_b32 v223, v223, v240 :: v_dual_cndmask_b32 v222, v222, v239
	v_cndmask_b32_e64 v228, v228, s6, vcc_lo
	s_add_i32 s6, s6, 1
	s_cmp_lg_u32 s5, s6
	s_cbranch_scc1 .LBB108_758
.LBB108_759:
	s_set_inst_prefetch_distance 0x2
	s_waitcnt lgkmcnt(0)
	v_cmp_eq_f64_e32 vcc_lo, 0, v[220:221]
	v_cmp_eq_f64_e64 s2, 0, v[222:223]
	s_delay_alu instid0(VALU_DEP_1) | instskip(NEXT) | instid1(SALU_CYCLE_1)
	s_and_b32 s2, vcc_lo, s2
	s_and_saveexec_b32 s3, s2
	s_delay_alu instid0(SALU_CYCLE_1)
	s_xor_b32 s2, exec_lo, s3
; %bb.760:
	v_cmp_ne_u32_e32 vcc_lo, 0, v233
	v_cndmask_b32_e32 v233, 37, v233, vcc_lo
; %bb.761:
	s_and_not1_saveexec_b32 s3, s2
	s_cbranch_execz .LBB108_767
; %bb.762:
	v_cmp_gt_f64_e32 vcc_lo, 0, v[220:221]
	v_cmp_gt_f64_e64 s2, 0, v[222:223]
	v_xor_b32_e32 v208, 0x80000000, v221
	v_xor_b32_e32 v210, 0x80000000, v223
	s_delay_alu instid0(VALU_DEP_2) | instskip(NEXT) | instid1(VALU_DEP_2)
	v_cndmask_b32_e32 v209, v221, v208, vcc_lo
	v_cndmask_b32_e64 v211, v223, v210, s2
	v_cndmask_b32_e32 v208, v220, v220, vcc_lo
	v_cndmask_b32_e64 v210, v222, v222, s2
	s_mov_b32 s2, exec_lo
	s_delay_alu instid0(VALU_DEP_1)
	v_cmpx_ngt_f64_e32 v[208:209], v[210:211]
	s_xor_b32 s2, exec_lo, s2
	s_cbranch_execz .LBB108_764
; %bb.763:
	v_div_scale_f64 v[208:209], null, v[222:223], v[222:223], v[220:221]
	v_div_scale_f64 v[214:215], vcc_lo, v[220:221], v[222:223], v[220:221]
	s_delay_alu instid0(VALU_DEP_2) | instskip(SKIP_2) | instid1(VALU_DEP_1)
	v_rcp_f64_e32 v[210:211], v[208:209]
	s_waitcnt_depctr 0xfff
	v_fma_f64 v[212:213], -v[208:209], v[210:211], 1.0
	v_fma_f64 v[210:211], v[210:211], v[212:213], v[210:211]
	s_delay_alu instid0(VALU_DEP_1) | instskip(NEXT) | instid1(VALU_DEP_1)
	v_fma_f64 v[212:213], -v[208:209], v[210:211], 1.0
	v_fma_f64 v[210:211], v[210:211], v[212:213], v[210:211]
	s_delay_alu instid0(VALU_DEP_1) | instskip(NEXT) | instid1(VALU_DEP_1)
	v_mul_f64 v[212:213], v[214:215], v[210:211]
	v_fma_f64 v[208:209], -v[208:209], v[212:213], v[214:215]
	s_delay_alu instid0(VALU_DEP_1) | instskip(NEXT) | instid1(VALU_DEP_1)
	v_div_fmas_f64 v[208:209], v[208:209], v[210:211], v[212:213]
	v_div_fixup_f64 v[208:209], v[208:209], v[222:223], v[220:221]
	s_delay_alu instid0(VALU_DEP_1) | instskip(NEXT) | instid1(VALU_DEP_1)
	v_fma_f64 v[210:211], v[220:221], v[208:209], v[222:223]
	v_div_scale_f64 v[212:213], null, v[210:211], v[210:211], 1.0
	s_delay_alu instid0(VALU_DEP_1) | instskip(SKIP_2) | instid1(VALU_DEP_1)
	v_rcp_f64_e32 v[214:215], v[212:213]
	s_waitcnt_depctr 0xfff
	v_fma_f64 v[220:221], -v[212:213], v[214:215], 1.0
	v_fma_f64 v[214:215], v[214:215], v[220:221], v[214:215]
	s_delay_alu instid0(VALU_DEP_1) | instskip(NEXT) | instid1(VALU_DEP_1)
	v_fma_f64 v[220:221], -v[212:213], v[214:215], 1.0
	v_fma_f64 v[214:215], v[214:215], v[220:221], v[214:215]
	v_div_scale_f64 v[220:221], vcc_lo, 1.0, v[210:211], 1.0
	s_delay_alu instid0(VALU_DEP_1) | instskip(NEXT) | instid1(VALU_DEP_1)
	v_mul_f64 v[222:223], v[220:221], v[214:215]
	v_fma_f64 v[212:213], -v[212:213], v[222:223], v[220:221]
	s_delay_alu instid0(VALU_DEP_1) | instskip(NEXT) | instid1(VALU_DEP_1)
	v_div_fmas_f64 v[212:213], v[212:213], v[214:215], v[222:223]
	v_div_fixup_f64 v[222:223], v[212:213], v[210:211], 1.0
	s_delay_alu instid0(VALU_DEP_1)
	v_mul_f64 v[220:221], v[208:209], v[222:223]
	v_xor_b32_e32 v223, 0x80000000, v223
.LBB108_764:
	s_and_not1_saveexec_b32 s2, s2
	s_cbranch_execz .LBB108_766
; %bb.765:
	s_delay_alu instid0(VALU_DEP_1) | instskip(SKIP_1) | instid1(VALU_DEP_2)
	v_div_scale_f64 v[208:209], null, v[220:221], v[220:221], v[222:223]
	v_div_scale_f64 v[214:215], vcc_lo, v[222:223], v[220:221], v[222:223]
	v_rcp_f64_e32 v[210:211], v[208:209]
	s_waitcnt_depctr 0xfff
	v_fma_f64 v[212:213], -v[208:209], v[210:211], 1.0
	s_delay_alu instid0(VALU_DEP_1) | instskip(NEXT) | instid1(VALU_DEP_1)
	v_fma_f64 v[210:211], v[210:211], v[212:213], v[210:211]
	v_fma_f64 v[212:213], -v[208:209], v[210:211], 1.0
	s_delay_alu instid0(VALU_DEP_1) | instskip(NEXT) | instid1(VALU_DEP_1)
	v_fma_f64 v[210:211], v[210:211], v[212:213], v[210:211]
	v_mul_f64 v[212:213], v[214:215], v[210:211]
	s_delay_alu instid0(VALU_DEP_1) | instskip(NEXT) | instid1(VALU_DEP_1)
	v_fma_f64 v[208:209], -v[208:209], v[212:213], v[214:215]
	v_div_fmas_f64 v[208:209], v[208:209], v[210:211], v[212:213]
	s_delay_alu instid0(VALU_DEP_1) | instskip(NEXT) | instid1(VALU_DEP_1)
	v_div_fixup_f64 v[208:209], v[208:209], v[220:221], v[222:223]
	v_fma_f64 v[210:211], v[222:223], v[208:209], v[220:221]
	s_delay_alu instid0(VALU_DEP_1) | instskip(NEXT) | instid1(VALU_DEP_1)
	v_div_scale_f64 v[212:213], null, v[210:211], v[210:211], 1.0
	v_rcp_f64_e32 v[214:215], v[212:213]
	s_waitcnt_depctr 0xfff
	v_fma_f64 v[220:221], -v[212:213], v[214:215], 1.0
	s_delay_alu instid0(VALU_DEP_1) | instskip(NEXT) | instid1(VALU_DEP_1)
	v_fma_f64 v[214:215], v[214:215], v[220:221], v[214:215]
	v_fma_f64 v[220:221], -v[212:213], v[214:215], 1.0
	s_delay_alu instid0(VALU_DEP_1) | instskip(SKIP_1) | instid1(VALU_DEP_1)
	v_fma_f64 v[214:215], v[214:215], v[220:221], v[214:215]
	v_div_scale_f64 v[220:221], vcc_lo, 1.0, v[210:211], 1.0
	v_mul_f64 v[222:223], v[220:221], v[214:215]
	s_delay_alu instid0(VALU_DEP_1) | instskip(NEXT) | instid1(VALU_DEP_1)
	v_fma_f64 v[212:213], -v[212:213], v[222:223], v[220:221]
	v_div_fmas_f64 v[212:213], v[212:213], v[214:215], v[222:223]
	s_delay_alu instid0(VALU_DEP_1) | instskip(NEXT) | instid1(VALU_DEP_1)
	v_div_fixup_f64 v[220:221], v[212:213], v[210:211], 1.0
	v_mul_f64 v[222:223], v[208:209], -v[220:221]
.LBB108_766:
	s_or_b32 exec_lo, exec_lo, s2
.LBB108_767:
	s_delay_alu instid0(SALU_CYCLE_1) | instskip(NEXT) | instid1(SALU_CYCLE_1)
	s_or_b32 exec_lo, exec_lo, s3
	s_mov_b32 s2, exec_lo
	v_cmpx_ne_u32_e64 v236, v228
	s_xor_b32 s2, exec_lo, s2
	s_cbranch_execz .LBB108_773
; %bb.768:
	s_mov_b32 s3, exec_lo
	v_cmpx_eq_u32_e32 36, v236
	s_cbranch_execz .LBB108_772
; %bb.769:
	v_cmp_ne_u32_e32 vcc_lo, 36, v228
	s_xor_b32 s6, s4, -1
	s_delay_alu instid0(SALU_CYCLE_1) | instskip(NEXT) | instid1(SALU_CYCLE_1)
	s_and_b32 s7, s6, vcc_lo
	s_and_saveexec_b32 s6, s7
	s_cbranch_execz .LBB108_771
; %bb.770:
	v_ashrrev_i32_e32 v229, 31, v228
	s_delay_alu instid0(VALU_DEP_1) | instskip(NEXT) | instid1(VALU_DEP_1)
	v_lshlrev_b64 v[208:209], 2, v[228:229]
	v_add_co_u32 v208, vcc_lo, v231, v208
	s_delay_alu instid0(VALU_DEP_2)
	v_add_co_ci_u32_e32 v209, vcc_lo, v232, v209, vcc_lo
	s_clause 0x1
	flat_load_b32 v210, v[208:209]
	flat_load_b32 v211, v[231:232] offset:144
	s_waitcnt vmcnt(1) lgkmcnt(1)
	flat_store_b32 v[231:232], v210 offset:144
	s_waitcnt vmcnt(0) lgkmcnt(1)
	flat_store_b32 v[208:209], v211
.LBB108_771:
	s_or_b32 exec_lo, exec_lo, s6
	v_mov_b32_e32 v236, v228
	v_mov_b32_e32 v227, v228
.LBB108_772:
	s_or_b32 exec_lo, exec_lo, s3
.LBB108_773:
	s_and_not1_saveexec_b32 s2, s2
	s_cbranch_execz .LBB108_775
; %bb.774:
	v_mov_b32_e32 v236, 36
	ds_store_2addr_b64 v230, v[68:69], v[70:71] offset0:74 offset1:75
	ds_store_2addr_b64 v230, v[64:65], v[66:67] offset0:76 offset1:77
	;; [unrolled: 1-line block ×18, first 2 shown]
.LBB108_775:
	s_or_b32 exec_lo, exec_lo, s2
	s_delay_alu instid0(SALU_CYCLE_1)
	s_mov_b32 s2, exec_lo
	s_waitcnt lgkmcnt(0)
	s_waitcnt_vscnt null, 0x0
	s_barrier
	buffer_gl0_inv
	v_cmpx_lt_i32_e32 36, v236
	s_cbranch_execz .LBB108_777
; %bb.776:
	v_mul_f64 v[208:209], v[222:223], v[74:75]
	v_mul_f64 v[74:75], v[220:221], v[74:75]
	s_delay_alu instid0(VALU_DEP_2) | instskip(NEXT) | instid1(VALU_DEP_2)
	v_fma_f64 v[228:229], v[220:221], v[72:73], -v[208:209]
	v_fma_f64 v[74:75], v[222:223], v[72:73], v[74:75]
	ds_load_2addr_b64 v[220:223], v230 offset0:74 offset1:75
	s_waitcnt lgkmcnt(0)
	v_mul_f64 v[72:73], v[222:223], v[74:75]
	v_mul_f64 v[208:209], v[220:221], v[74:75]
	s_delay_alu instid0(VALU_DEP_2) | instskip(NEXT) | instid1(VALU_DEP_2)
	v_fma_f64 v[72:73], v[220:221], v[228:229], -v[72:73]
	v_fma_f64 v[208:209], v[222:223], v[228:229], v[208:209]
	ds_load_2addr_b64 v[220:223], v230 offset0:76 offset1:77
	v_add_f64 v[68:69], v[68:69], -v[72:73]
	v_add_f64 v[70:71], v[70:71], -v[208:209]
	s_waitcnt lgkmcnt(0)
	v_mul_f64 v[72:73], v[222:223], v[74:75]
	v_mul_f64 v[208:209], v[220:221], v[74:75]
	s_delay_alu instid0(VALU_DEP_2) | instskip(NEXT) | instid1(VALU_DEP_2)
	v_fma_f64 v[72:73], v[220:221], v[228:229], -v[72:73]
	v_fma_f64 v[208:209], v[222:223], v[228:229], v[208:209]
	ds_load_2addr_b64 v[220:223], v230 offset0:78 offset1:79
	v_add_f64 v[64:65], v[64:65], -v[72:73]
	v_add_f64 v[66:67], v[66:67], -v[208:209]
	;; [unrolled: 9-line block ×17, first 2 shown]
	s_waitcnt lgkmcnt(0)
	v_mul_f64 v[72:73], v[222:223], v[74:75]
	v_mul_f64 v[208:209], v[220:221], v[74:75]
	s_delay_alu instid0(VALU_DEP_2) | instskip(NEXT) | instid1(VALU_DEP_2)
	v_fma_f64 v[72:73], v[220:221], v[228:229], -v[72:73]
	v_fma_f64 v[208:209], v[222:223], v[228:229], v[208:209]
	s_delay_alu instid0(VALU_DEP_2) | instskip(NEXT) | instid1(VALU_DEP_2)
	v_add_f64 v[0:1], v[0:1], -v[72:73]
	v_add_f64 v[2:3], v[2:3], -v[208:209]
	v_dual_mov_b32 v72, v228 :: v_dual_mov_b32 v73, v229
.LBB108_777:
	s_or_b32 exec_lo, exec_lo, s2
	v_lshl_add_u32 v208, v236, 4, v230
	s_barrier
	buffer_gl0_inv
	v_mov_b32_e32 v228, 37
	ds_store_2addr_b64 v208, v[68:69], v[70:71] offset1:1
	s_waitcnt lgkmcnt(0)
	s_barrier
	buffer_gl0_inv
	ds_load_2addr_b64 v[220:223], v230 offset0:74 offset1:75
	s_cmp_lt_i32 s5, 39
	s_cbranch_scc1 .LBB108_780
; %bb.778:
	v_add3_u32 v229, v234, 0, 0x260
	v_mov_b32_e32 v228, 37
	s_mov_b32 s6, 38
	s_set_inst_prefetch_distance 0x1
	.p2align	6
.LBB108_779:                            ; =>This Inner Loop Header: Depth=1
	ds_load_2addr_b64 v[237:240], v229 offset1:1
	s_waitcnt lgkmcnt(1)
	v_cmp_gt_f64_e32 vcc_lo, 0, v[220:221]
	v_xor_b32_e32 v208, 0x80000000, v221
	v_cmp_gt_f64_e64 s2, 0, v[222:223]
	v_xor_b32_e32 v210, 0x80000000, v223
	v_add_nc_u32_e32 v229, 16, v229
	s_waitcnt lgkmcnt(0)
	v_cmp_gt_f64_e64 s3, 0, v[237:238]
	v_mov_b32_e32 v212, v237
	v_dual_mov_b32 v214, v239 :: v_dual_cndmask_b32 v209, v221, v208
	v_xor_b32_e32 v208, 0x80000000, v238
	v_cndmask_b32_e64 v211, v223, v210, s2
	v_xor_b32_e32 v210, 0x80000000, v240
	s_delay_alu instid0(VALU_DEP_3) | instskip(SKIP_2) | instid1(VALU_DEP_2)
	v_cndmask_b32_e64 v213, v238, v208, s3
	v_cmp_gt_f64_e64 s3, 0, v[239:240]
	v_cndmask_b32_e32 v208, v220, v220, vcc_lo
	v_cndmask_b32_e64 v215, v240, v210, s3
	v_cndmask_b32_e64 v210, v222, v222, s2
	s_delay_alu instid0(VALU_DEP_2) | instskip(NEXT) | instid1(VALU_DEP_2)
	v_add_f64 v[212:213], v[212:213], v[214:215]
	v_add_f64 v[208:209], v[208:209], v[210:211]
	s_delay_alu instid0(VALU_DEP_1) | instskip(SKIP_4) | instid1(SALU_CYCLE_1)
	v_cmp_lt_f64_e32 vcc_lo, v[208:209], v[212:213]
	v_dual_cndmask_b32 v221, v221, v238 :: v_dual_cndmask_b32 v220, v220, v237
	v_dual_cndmask_b32 v223, v223, v240 :: v_dual_cndmask_b32 v222, v222, v239
	v_cndmask_b32_e64 v228, v228, s6, vcc_lo
	s_add_i32 s6, s6, 1
	s_cmp_lg_u32 s5, s6
	s_cbranch_scc1 .LBB108_779
.LBB108_780:
	s_set_inst_prefetch_distance 0x2
	s_waitcnt lgkmcnt(0)
	v_cmp_eq_f64_e32 vcc_lo, 0, v[220:221]
	v_cmp_eq_f64_e64 s2, 0, v[222:223]
	s_delay_alu instid0(VALU_DEP_1) | instskip(NEXT) | instid1(SALU_CYCLE_1)
	s_and_b32 s2, vcc_lo, s2
	s_and_saveexec_b32 s3, s2
	s_delay_alu instid0(SALU_CYCLE_1)
	s_xor_b32 s2, exec_lo, s3
; %bb.781:
	v_cmp_ne_u32_e32 vcc_lo, 0, v233
	v_cndmask_b32_e32 v233, 38, v233, vcc_lo
; %bb.782:
	s_and_not1_saveexec_b32 s3, s2
	s_cbranch_execz .LBB108_788
; %bb.783:
	v_cmp_gt_f64_e32 vcc_lo, 0, v[220:221]
	v_cmp_gt_f64_e64 s2, 0, v[222:223]
	v_xor_b32_e32 v208, 0x80000000, v221
	v_xor_b32_e32 v210, 0x80000000, v223
	s_delay_alu instid0(VALU_DEP_2) | instskip(NEXT) | instid1(VALU_DEP_2)
	v_cndmask_b32_e32 v209, v221, v208, vcc_lo
	v_cndmask_b32_e64 v211, v223, v210, s2
	v_cndmask_b32_e32 v208, v220, v220, vcc_lo
	v_cndmask_b32_e64 v210, v222, v222, s2
	s_mov_b32 s2, exec_lo
	s_delay_alu instid0(VALU_DEP_1)
	v_cmpx_ngt_f64_e32 v[208:209], v[210:211]
	s_xor_b32 s2, exec_lo, s2
	s_cbranch_execz .LBB108_785
; %bb.784:
	v_div_scale_f64 v[208:209], null, v[222:223], v[222:223], v[220:221]
	v_div_scale_f64 v[214:215], vcc_lo, v[220:221], v[222:223], v[220:221]
	s_delay_alu instid0(VALU_DEP_2) | instskip(SKIP_2) | instid1(VALU_DEP_1)
	v_rcp_f64_e32 v[210:211], v[208:209]
	s_waitcnt_depctr 0xfff
	v_fma_f64 v[212:213], -v[208:209], v[210:211], 1.0
	v_fma_f64 v[210:211], v[210:211], v[212:213], v[210:211]
	s_delay_alu instid0(VALU_DEP_1) | instskip(NEXT) | instid1(VALU_DEP_1)
	v_fma_f64 v[212:213], -v[208:209], v[210:211], 1.0
	v_fma_f64 v[210:211], v[210:211], v[212:213], v[210:211]
	s_delay_alu instid0(VALU_DEP_1) | instskip(NEXT) | instid1(VALU_DEP_1)
	v_mul_f64 v[212:213], v[214:215], v[210:211]
	v_fma_f64 v[208:209], -v[208:209], v[212:213], v[214:215]
	s_delay_alu instid0(VALU_DEP_1) | instskip(NEXT) | instid1(VALU_DEP_1)
	v_div_fmas_f64 v[208:209], v[208:209], v[210:211], v[212:213]
	v_div_fixup_f64 v[208:209], v[208:209], v[222:223], v[220:221]
	s_delay_alu instid0(VALU_DEP_1) | instskip(NEXT) | instid1(VALU_DEP_1)
	v_fma_f64 v[210:211], v[220:221], v[208:209], v[222:223]
	v_div_scale_f64 v[212:213], null, v[210:211], v[210:211], 1.0
	s_delay_alu instid0(VALU_DEP_1) | instskip(SKIP_2) | instid1(VALU_DEP_1)
	v_rcp_f64_e32 v[214:215], v[212:213]
	s_waitcnt_depctr 0xfff
	v_fma_f64 v[220:221], -v[212:213], v[214:215], 1.0
	v_fma_f64 v[214:215], v[214:215], v[220:221], v[214:215]
	s_delay_alu instid0(VALU_DEP_1) | instskip(NEXT) | instid1(VALU_DEP_1)
	v_fma_f64 v[220:221], -v[212:213], v[214:215], 1.0
	v_fma_f64 v[214:215], v[214:215], v[220:221], v[214:215]
	v_div_scale_f64 v[220:221], vcc_lo, 1.0, v[210:211], 1.0
	s_delay_alu instid0(VALU_DEP_1) | instskip(NEXT) | instid1(VALU_DEP_1)
	v_mul_f64 v[222:223], v[220:221], v[214:215]
	v_fma_f64 v[212:213], -v[212:213], v[222:223], v[220:221]
	s_delay_alu instid0(VALU_DEP_1) | instskip(NEXT) | instid1(VALU_DEP_1)
	v_div_fmas_f64 v[212:213], v[212:213], v[214:215], v[222:223]
	v_div_fixup_f64 v[222:223], v[212:213], v[210:211], 1.0
	s_delay_alu instid0(VALU_DEP_1)
	v_mul_f64 v[220:221], v[208:209], v[222:223]
	v_xor_b32_e32 v223, 0x80000000, v223
.LBB108_785:
	s_and_not1_saveexec_b32 s2, s2
	s_cbranch_execz .LBB108_787
; %bb.786:
	s_delay_alu instid0(VALU_DEP_1) | instskip(SKIP_1) | instid1(VALU_DEP_2)
	v_div_scale_f64 v[208:209], null, v[220:221], v[220:221], v[222:223]
	v_div_scale_f64 v[214:215], vcc_lo, v[222:223], v[220:221], v[222:223]
	v_rcp_f64_e32 v[210:211], v[208:209]
	s_waitcnt_depctr 0xfff
	v_fma_f64 v[212:213], -v[208:209], v[210:211], 1.0
	s_delay_alu instid0(VALU_DEP_1) | instskip(NEXT) | instid1(VALU_DEP_1)
	v_fma_f64 v[210:211], v[210:211], v[212:213], v[210:211]
	v_fma_f64 v[212:213], -v[208:209], v[210:211], 1.0
	s_delay_alu instid0(VALU_DEP_1) | instskip(NEXT) | instid1(VALU_DEP_1)
	v_fma_f64 v[210:211], v[210:211], v[212:213], v[210:211]
	v_mul_f64 v[212:213], v[214:215], v[210:211]
	s_delay_alu instid0(VALU_DEP_1) | instskip(NEXT) | instid1(VALU_DEP_1)
	v_fma_f64 v[208:209], -v[208:209], v[212:213], v[214:215]
	v_div_fmas_f64 v[208:209], v[208:209], v[210:211], v[212:213]
	s_delay_alu instid0(VALU_DEP_1) | instskip(NEXT) | instid1(VALU_DEP_1)
	v_div_fixup_f64 v[208:209], v[208:209], v[220:221], v[222:223]
	v_fma_f64 v[210:211], v[222:223], v[208:209], v[220:221]
	s_delay_alu instid0(VALU_DEP_1) | instskip(NEXT) | instid1(VALU_DEP_1)
	v_div_scale_f64 v[212:213], null, v[210:211], v[210:211], 1.0
	v_rcp_f64_e32 v[214:215], v[212:213]
	s_waitcnt_depctr 0xfff
	v_fma_f64 v[220:221], -v[212:213], v[214:215], 1.0
	s_delay_alu instid0(VALU_DEP_1) | instskip(NEXT) | instid1(VALU_DEP_1)
	v_fma_f64 v[214:215], v[214:215], v[220:221], v[214:215]
	v_fma_f64 v[220:221], -v[212:213], v[214:215], 1.0
	s_delay_alu instid0(VALU_DEP_1) | instskip(SKIP_1) | instid1(VALU_DEP_1)
	v_fma_f64 v[214:215], v[214:215], v[220:221], v[214:215]
	v_div_scale_f64 v[220:221], vcc_lo, 1.0, v[210:211], 1.0
	v_mul_f64 v[222:223], v[220:221], v[214:215]
	s_delay_alu instid0(VALU_DEP_1) | instskip(NEXT) | instid1(VALU_DEP_1)
	v_fma_f64 v[212:213], -v[212:213], v[222:223], v[220:221]
	v_div_fmas_f64 v[212:213], v[212:213], v[214:215], v[222:223]
	s_delay_alu instid0(VALU_DEP_1) | instskip(NEXT) | instid1(VALU_DEP_1)
	v_div_fixup_f64 v[220:221], v[212:213], v[210:211], 1.0
	v_mul_f64 v[222:223], v[208:209], -v[220:221]
.LBB108_787:
	s_or_b32 exec_lo, exec_lo, s2
.LBB108_788:
	s_delay_alu instid0(SALU_CYCLE_1) | instskip(NEXT) | instid1(SALU_CYCLE_1)
	s_or_b32 exec_lo, exec_lo, s3
	s_mov_b32 s2, exec_lo
	v_cmpx_ne_u32_e64 v236, v228
	s_xor_b32 s2, exec_lo, s2
	s_cbranch_execz .LBB108_794
; %bb.789:
	s_mov_b32 s3, exec_lo
	v_cmpx_eq_u32_e32 37, v236
	s_cbranch_execz .LBB108_793
; %bb.790:
	v_cmp_ne_u32_e32 vcc_lo, 37, v228
	s_xor_b32 s6, s4, -1
	s_delay_alu instid0(SALU_CYCLE_1) | instskip(NEXT) | instid1(SALU_CYCLE_1)
	s_and_b32 s7, s6, vcc_lo
	s_and_saveexec_b32 s6, s7
	s_cbranch_execz .LBB108_792
; %bb.791:
	v_ashrrev_i32_e32 v229, 31, v228
	s_delay_alu instid0(VALU_DEP_1) | instskip(NEXT) | instid1(VALU_DEP_1)
	v_lshlrev_b64 v[208:209], 2, v[228:229]
	v_add_co_u32 v208, vcc_lo, v231, v208
	s_delay_alu instid0(VALU_DEP_2)
	v_add_co_ci_u32_e32 v209, vcc_lo, v232, v209, vcc_lo
	s_clause 0x1
	flat_load_b32 v210, v[208:209]
	flat_load_b32 v211, v[231:232] offset:148
	s_waitcnt vmcnt(1) lgkmcnt(1)
	flat_store_b32 v[231:232], v210 offset:148
	s_waitcnt vmcnt(0) lgkmcnt(1)
	flat_store_b32 v[208:209], v211
.LBB108_792:
	s_or_b32 exec_lo, exec_lo, s6
	v_mov_b32_e32 v236, v228
	v_mov_b32_e32 v227, v228
.LBB108_793:
	s_or_b32 exec_lo, exec_lo, s3
.LBB108_794:
	s_and_not1_saveexec_b32 s2, s2
	s_cbranch_execz .LBB108_796
; %bb.795:
	v_mov_b32_e32 v236, 37
	ds_store_2addr_b64 v230, v[64:65], v[66:67] offset0:76 offset1:77
	ds_store_2addr_b64 v230, v[60:61], v[62:63] offset0:78 offset1:79
	;; [unrolled: 1-line block ×17, first 2 shown]
.LBB108_796:
	s_or_b32 exec_lo, exec_lo, s2
	s_delay_alu instid0(SALU_CYCLE_1)
	s_mov_b32 s2, exec_lo
	s_waitcnt lgkmcnt(0)
	s_waitcnt_vscnt null, 0x0
	s_barrier
	buffer_gl0_inv
	v_cmpx_lt_i32_e32 37, v236
	s_cbranch_execz .LBB108_798
; %bb.797:
	v_mul_f64 v[208:209], v[222:223], v[70:71]
	v_mul_f64 v[70:71], v[220:221], v[70:71]
	s_delay_alu instid0(VALU_DEP_2) | instskip(NEXT) | instid1(VALU_DEP_2)
	v_fma_f64 v[228:229], v[220:221], v[68:69], -v[208:209]
	v_fma_f64 v[70:71], v[222:223], v[68:69], v[70:71]
	ds_load_2addr_b64 v[220:223], v230 offset0:76 offset1:77
	s_waitcnt lgkmcnt(0)
	v_mul_f64 v[68:69], v[222:223], v[70:71]
	v_mul_f64 v[208:209], v[220:221], v[70:71]
	s_delay_alu instid0(VALU_DEP_2) | instskip(NEXT) | instid1(VALU_DEP_2)
	v_fma_f64 v[68:69], v[220:221], v[228:229], -v[68:69]
	v_fma_f64 v[208:209], v[222:223], v[228:229], v[208:209]
	ds_load_2addr_b64 v[220:223], v230 offset0:78 offset1:79
	v_add_f64 v[64:65], v[64:65], -v[68:69]
	v_add_f64 v[66:67], v[66:67], -v[208:209]
	s_waitcnt lgkmcnt(0)
	v_mul_f64 v[68:69], v[222:223], v[70:71]
	v_mul_f64 v[208:209], v[220:221], v[70:71]
	s_delay_alu instid0(VALU_DEP_2) | instskip(NEXT) | instid1(VALU_DEP_2)
	v_fma_f64 v[68:69], v[220:221], v[228:229], -v[68:69]
	v_fma_f64 v[208:209], v[222:223], v[228:229], v[208:209]
	ds_load_2addr_b64 v[220:223], v230 offset0:80 offset1:81
	v_add_f64 v[60:61], v[60:61], -v[68:69]
	v_add_f64 v[62:63], v[62:63], -v[208:209]
	;; [unrolled: 9-line block ×16, first 2 shown]
	s_waitcnt lgkmcnt(0)
	v_mul_f64 v[68:69], v[222:223], v[70:71]
	v_mul_f64 v[208:209], v[220:221], v[70:71]
	s_delay_alu instid0(VALU_DEP_2) | instskip(NEXT) | instid1(VALU_DEP_2)
	v_fma_f64 v[68:69], v[220:221], v[228:229], -v[68:69]
	v_fma_f64 v[208:209], v[222:223], v[228:229], v[208:209]
	s_delay_alu instid0(VALU_DEP_2) | instskip(NEXT) | instid1(VALU_DEP_2)
	v_add_f64 v[0:1], v[0:1], -v[68:69]
	v_add_f64 v[2:3], v[2:3], -v[208:209]
	v_dual_mov_b32 v68, v228 :: v_dual_mov_b32 v69, v229
.LBB108_798:
	s_or_b32 exec_lo, exec_lo, s2
	v_lshl_add_u32 v208, v236, 4, v230
	s_barrier
	buffer_gl0_inv
	v_mov_b32_e32 v228, 38
	ds_store_2addr_b64 v208, v[64:65], v[66:67] offset1:1
	s_waitcnt lgkmcnt(0)
	s_barrier
	buffer_gl0_inv
	ds_load_2addr_b64 v[220:223], v230 offset0:76 offset1:77
	s_cmp_lt_i32 s5, 40
	s_cbranch_scc1 .LBB108_801
; %bb.799:
	v_add3_u32 v229, v234, 0, 0x270
	v_mov_b32_e32 v228, 38
	s_mov_b32 s6, 39
	s_set_inst_prefetch_distance 0x1
	.p2align	6
.LBB108_800:                            ; =>This Inner Loop Header: Depth=1
	ds_load_2addr_b64 v[237:240], v229 offset1:1
	s_waitcnt lgkmcnt(1)
	v_cmp_gt_f64_e32 vcc_lo, 0, v[220:221]
	v_xor_b32_e32 v208, 0x80000000, v221
	v_cmp_gt_f64_e64 s2, 0, v[222:223]
	v_xor_b32_e32 v210, 0x80000000, v223
	v_add_nc_u32_e32 v229, 16, v229
	s_waitcnt lgkmcnt(0)
	v_cmp_gt_f64_e64 s3, 0, v[237:238]
	v_mov_b32_e32 v212, v237
	v_dual_mov_b32 v214, v239 :: v_dual_cndmask_b32 v209, v221, v208
	v_xor_b32_e32 v208, 0x80000000, v238
	v_cndmask_b32_e64 v211, v223, v210, s2
	v_xor_b32_e32 v210, 0x80000000, v240
	s_delay_alu instid0(VALU_DEP_3) | instskip(SKIP_2) | instid1(VALU_DEP_2)
	v_cndmask_b32_e64 v213, v238, v208, s3
	v_cmp_gt_f64_e64 s3, 0, v[239:240]
	v_cndmask_b32_e32 v208, v220, v220, vcc_lo
	v_cndmask_b32_e64 v215, v240, v210, s3
	v_cndmask_b32_e64 v210, v222, v222, s2
	s_delay_alu instid0(VALU_DEP_2) | instskip(NEXT) | instid1(VALU_DEP_2)
	v_add_f64 v[212:213], v[212:213], v[214:215]
	v_add_f64 v[208:209], v[208:209], v[210:211]
	s_delay_alu instid0(VALU_DEP_1) | instskip(SKIP_4) | instid1(SALU_CYCLE_1)
	v_cmp_lt_f64_e32 vcc_lo, v[208:209], v[212:213]
	v_dual_cndmask_b32 v221, v221, v238 :: v_dual_cndmask_b32 v220, v220, v237
	v_dual_cndmask_b32 v223, v223, v240 :: v_dual_cndmask_b32 v222, v222, v239
	v_cndmask_b32_e64 v228, v228, s6, vcc_lo
	s_add_i32 s6, s6, 1
	s_cmp_lg_u32 s5, s6
	s_cbranch_scc1 .LBB108_800
.LBB108_801:
	s_set_inst_prefetch_distance 0x2
	s_waitcnt lgkmcnt(0)
	v_cmp_eq_f64_e32 vcc_lo, 0, v[220:221]
	v_cmp_eq_f64_e64 s2, 0, v[222:223]
	s_delay_alu instid0(VALU_DEP_1) | instskip(NEXT) | instid1(SALU_CYCLE_1)
	s_and_b32 s2, vcc_lo, s2
	s_and_saveexec_b32 s3, s2
	s_delay_alu instid0(SALU_CYCLE_1)
	s_xor_b32 s2, exec_lo, s3
; %bb.802:
	v_cmp_ne_u32_e32 vcc_lo, 0, v233
	v_cndmask_b32_e32 v233, 39, v233, vcc_lo
; %bb.803:
	s_and_not1_saveexec_b32 s3, s2
	s_cbranch_execz .LBB108_809
; %bb.804:
	v_cmp_gt_f64_e32 vcc_lo, 0, v[220:221]
	v_cmp_gt_f64_e64 s2, 0, v[222:223]
	v_xor_b32_e32 v208, 0x80000000, v221
	v_xor_b32_e32 v210, 0x80000000, v223
	s_delay_alu instid0(VALU_DEP_2) | instskip(NEXT) | instid1(VALU_DEP_2)
	v_cndmask_b32_e32 v209, v221, v208, vcc_lo
	v_cndmask_b32_e64 v211, v223, v210, s2
	v_cndmask_b32_e32 v208, v220, v220, vcc_lo
	v_cndmask_b32_e64 v210, v222, v222, s2
	s_mov_b32 s2, exec_lo
	s_delay_alu instid0(VALU_DEP_1)
	v_cmpx_ngt_f64_e32 v[208:209], v[210:211]
	s_xor_b32 s2, exec_lo, s2
	s_cbranch_execz .LBB108_806
; %bb.805:
	v_div_scale_f64 v[208:209], null, v[222:223], v[222:223], v[220:221]
	v_div_scale_f64 v[214:215], vcc_lo, v[220:221], v[222:223], v[220:221]
	s_delay_alu instid0(VALU_DEP_2) | instskip(SKIP_2) | instid1(VALU_DEP_1)
	v_rcp_f64_e32 v[210:211], v[208:209]
	s_waitcnt_depctr 0xfff
	v_fma_f64 v[212:213], -v[208:209], v[210:211], 1.0
	v_fma_f64 v[210:211], v[210:211], v[212:213], v[210:211]
	s_delay_alu instid0(VALU_DEP_1) | instskip(NEXT) | instid1(VALU_DEP_1)
	v_fma_f64 v[212:213], -v[208:209], v[210:211], 1.0
	v_fma_f64 v[210:211], v[210:211], v[212:213], v[210:211]
	s_delay_alu instid0(VALU_DEP_1) | instskip(NEXT) | instid1(VALU_DEP_1)
	v_mul_f64 v[212:213], v[214:215], v[210:211]
	v_fma_f64 v[208:209], -v[208:209], v[212:213], v[214:215]
	s_delay_alu instid0(VALU_DEP_1) | instskip(NEXT) | instid1(VALU_DEP_1)
	v_div_fmas_f64 v[208:209], v[208:209], v[210:211], v[212:213]
	v_div_fixup_f64 v[208:209], v[208:209], v[222:223], v[220:221]
	s_delay_alu instid0(VALU_DEP_1) | instskip(NEXT) | instid1(VALU_DEP_1)
	v_fma_f64 v[210:211], v[220:221], v[208:209], v[222:223]
	v_div_scale_f64 v[212:213], null, v[210:211], v[210:211], 1.0
	s_delay_alu instid0(VALU_DEP_1) | instskip(SKIP_2) | instid1(VALU_DEP_1)
	v_rcp_f64_e32 v[214:215], v[212:213]
	s_waitcnt_depctr 0xfff
	v_fma_f64 v[220:221], -v[212:213], v[214:215], 1.0
	v_fma_f64 v[214:215], v[214:215], v[220:221], v[214:215]
	s_delay_alu instid0(VALU_DEP_1) | instskip(NEXT) | instid1(VALU_DEP_1)
	v_fma_f64 v[220:221], -v[212:213], v[214:215], 1.0
	v_fma_f64 v[214:215], v[214:215], v[220:221], v[214:215]
	v_div_scale_f64 v[220:221], vcc_lo, 1.0, v[210:211], 1.0
	s_delay_alu instid0(VALU_DEP_1) | instskip(NEXT) | instid1(VALU_DEP_1)
	v_mul_f64 v[222:223], v[220:221], v[214:215]
	v_fma_f64 v[212:213], -v[212:213], v[222:223], v[220:221]
	s_delay_alu instid0(VALU_DEP_1) | instskip(NEXT) | instid1(VALU_DEP_1)
	v_div_fmas_f64 v[212:213], v[212:213], v[214:215], v[222:223]
	v_div_fixup_f64 v[222:223], v[212:213], v[210:211], 1.0
	s_delay_alu instid0(VALU_DEP_1)
	v_mul_f64 v[220:221], v[208:209], v[222:223]
	v_xor_b32_e32 v223, 0x80000000, v223
.LBB108_806:
	s_and_not1_saveexec_b32 s2, s2
	s_cbranch_execz .LBB108_808
; %bb.807:
	s_delay_alu instid0(VALU_DEP_1) | instskip(SKIP_1) | instid1(VALU_DEP_2)
	v_div_scale_f64 v[208:209], null, v[220:221], v[220:221], v[222:223]
	v_div_scale_f64 v[214:215], vcc_lo, v[222:223], v[220:221], v[222:223]
	v_rcp_f64_e32 v[210:211], v[208:209]
	s_waitcnt_depctr 0xfff
	v_fma_f64 v[212:213], -v[208:209], v[210:211], 1.0
	s_delay_alu instid0(VALU_DEP_1) | instskip(NEXT) | instid1(VALU_DEP_1)
	v_fma_f64 v[210:211], v[210:211], v[212:213], v[210:211]
	v_fma_f64 v[212:213], -v[208:209], v[210:211], 1.0
	s_delay_alu instid0(VALU_DEP_1) | instskip(NEXT) | instid1(VALU_DEP_1)
	v_fma_f64 v[210:211], v[210:211], v[212:213], v[210:211]
	v_mul_f64 v[212:213], v[214:215], v[210:211]
	s_delay_alu instid0(VALU_DEP_1) | instskip(NEXT) | instid1(VALU_DEP_1)
	v_fma_f64 v[208:209], -v[208:209], v[212:213], v[214:215]
	v_div_fmas_f64 v[208:209], v[208:209], v[210:211], v[212:213]
	s_delay_alu instid0(VALU_DEP_1) | instskip(NEXT) | instid1(VALU_DEP_1)
	v_div_fixup_f64 v[208:209], v[208:209], v[220:221], v[222:223]
	v_fma_f64 v[210:211], v[222:223], v[208:209], v[220:221]
	s_delay_alu instid0(VALU_DEP_1) | instskip(NEXT) | instid1(VALU_DEP_1)
	v_div_scale_f64 v[212:213], null, v[210:211], v[210:211], 1.0
	v_rcp_f64_e32 v[214:215], v[212:213]
	s_waitcnt_depctr 0xfff
	v_fma_f64 v[220:221], -v[212:213], v[214:215], 1.0
	s_delay_alu instid0(VALU_DEP_1) | instskip(NEXT) | instid1(VALU_DEP_1)
	v_fma_f64 v[214:215], v[214:215], v[220:221], v[214:215]
	v_fma_f64 v[220:221], -v[212:213], v[214:215], 1.0
	s_delay_alu instid0(VALU_DEP_1) | instskip(SKIP_1) | instid1(VALU_DEP_1)
	v_fma_f64 v[214:215], v[214:215], v[220:221], v[214:215]
	v_div_scale_f64 v[220:221], vcc_lo, 1.0, v[210:211], 1.0
	v_mul_f64 v[222:223], v[220:221], v[214:215]
	s_delay_alu instid0(VALU_DEP_1) | instskip(NEXT) | instid1(VALU_DEP_1)
	v_fma_f64 v[212:213], -v[212:213], v[222:223], v[220:221]
	v_div_fmas_f64 v[212:213], v[212:213], v[214:215], v[222:223]
	s_delay_alu instid0(VALU_DEP_1) | instskip(NEXT) | instid1(VALU_DEP_1)
	v_div_fixup_f64 v[220:221], v[212:213], v[210:211], 1.0
	v_mul_f64 v[222:223], v[208:209], -v[220:221]
.LBB108_808:
	s_or_b32 exec_lo, exec_lo, s2
.LBB108_809:
	s_delay_alu instid0(SALU_CYCLE_1) | instskip(NEXT) | instid1(SALU_CYCLE_1)
	s_or_b32 exec_lo, exec_lo, s3
	s_mov_b32 s2, exec_lo
	v_cmpx_ne_u32_e64 v236, v228
	s_xor_b32 s2, exec_lo, s2
	s_cbranch_execz .LBB108_815
; %bb.810:
	s_mov_b32 s3, exec_lo
	v_cmpx_eq_u32_e32 38, v236
	s_cbranch_execz .LBB108_814
; %bb.811:
	v_cmp_ne_u32_e32 vcc_lo, 38, v228
	s_xor_b32 s6, s4, -1
	s_delay_alu instid0(SALU_CYCLE_1) | instskip(NEXT) | instid1(SALU_CYCLE_1)
	s_and_b32 s7, s6, vcc_lo
	s_and_saveexec_b32 s6, s7
	s_cbranch_execz .LBB108_813
; %bb.812:
	v_ashrrev_i32_e32 v229, 31, v228
	s_delay_alu instid0(VALU_DEP_1) | instskip(NEXT) | instid1(VALU_DEP_1)
	v_lshlrev_b64 v[208:209], 2, v[228:229]
	v_add_co_u32 v208, vcc_lo, v231, v208
	s_delay_alu instid0(VALU_DEP_2)
	v_add_co_ci_u32_e32 v209, vcc_lo, v232, v209, vcc_lo
	s_clause 0x1
	flat_load_b32 v210, v[208:209]
	flat_load_b32 v211, v[231:232] offset:152
	s_waitcnt vmcnt(1) lgkmcnt(1)
	flat_store_b32 v[231:232], v210 offset:152
	s_waitcnt vmcnt(0) lgkmcnt(1)
	flat_store_b32 v[208:209], v211
.LBB108_813:
	s_or_b32 exec_lo, exec_lo, s6
	v_mov_b32_e32 v236, v228
	v_mov_b32_e32 v227, v228
.LBB108_814:
	s_or_b32 exec_lo, exec_lo, s3
.LBB108_815:
	s_and_not1_saveexec_b32 s2, s2
	s_cbranch_execz .LBB108_817
; %bb.816:
	v_mov_b32_e32 v236, 38
	ds_store_2addr_b64 v230, v[60:61], v[62:63] offset0:78 offset1:79
	ds_store_2addr_b64 v230, v[56:57], v[58:59] offset0:80 offset1:81
	;; [unrolled: 1-line block ×16, first 2 shown]
.LBB108_817:
	s_or_b32 exec_lo, exec_lo, s2
	s_delay_alu instid0(SALU_CYCLE_1)
	s_mov_b32 s2, exec_lo
	s_waitcnt lgkmcnt(0)
	s_waitcnt_vscnt null, 0x0
	s_barrier
	buffer_gl0_inv
	v_cmpx_lt_i32_e32 38, v236
	s_cbranch_execz .LBB108_819
; %bb.818:
	v_mul_f64 v[208:209], v[220:221], v[66:67]
	v_mul_f64 v[66:67], v[222:223], v[66:67]
	s_delay_alu instid0(VALU_DEP_2) | instskip(NEXT) | instid1(VALU_DEP_2)
	v_fma_f64 v[228:229], v[222:223], v[64:65], v[208:209]
	v_fma_f64 v[64:65], v[220:221], v[64:65], -v[66:67]
	ds_load_2addr_b64 v[220:223], v230 offset0:78 offset1:79
	s_waitcnt lgkmcnt(0)
	v_mul_f64 v[66:67], v[222:223], v[228:229]
	v_mul_f64 v[208:209], v[220:221], v[228:229]
	s_delay_alu instid0(VALU_DEP_2) | instskip(NEXT) | instid1(VALU_DEP_2)
	v_fma_f64 v[66:67], v[220:221], v[64:65], -v[66:67]
	v_fma_f64 v[208:209], v[222:223], v[64:65], v[208:209]
	ds_load_2addr_b64 v[220:223], v230 offset0:80 offset1:81
	v_add_f64 v[60:61], v[60:61], -v[66:67]
	v_add_f64 v[62:63], v[62:63], -v[208:209]
	s_waitcnt lgkmcnt(0)
	v_mul_f64 v[66:67], v[222:223], v[228:229]
	v_mul_f64 v[208:209], v[220:221], v[228:229]
	s_delay_alu instid0(VALU_DEP_2) | instskip(NEXT) | instid1(VALU_DEP_2)
	v_fma_f64 v[66:67], v[220:221], v[64:65], -v[66:67]
	v_fma_f64 v[208:209], v[222:223], v[64:65], v[208:209]
	ds_load_2addr_b64 v[220:223], v230 offset0:82 offset1:83
	v_add_f64 v[56:57], v[56:57], -v[66:67]
	v_add_f64 v[58:59], v[58:59], -v[208:209]
	;; [unrolled: 9-line block ×15, first 2 shown]
	s_waitcnt lgkmcnt(0)
	v_mul_f64 v[66:67], v[222:223], v[228:229]
	v_mul_f64 v[208:209], v[220:221], v[228:229]
	s_delay_alu instid0(VALU_DEP_2) | instskip(NEXT) | instid1(VALU_DEP_2)
	v_fma_f64 v[66:67], v[220:221], v[64:65], -v[66:67]
	v_fma_f64 v[208:209], v[222:223], v[64:65], v[208:209]
	s_delay_alu instid0(VALU_DEP_2) | instskip(NEXT) | instid1(VALU_DEP_2)
	v_add_f64 v[0:1], v[0:1], -v[66:67]
	v_add_f64 v[2:3], v[2:3], -v[208:209]
	v_dual_mov_b32 v66, v228 :: v_dual_mov_b32 v67, v229
.LBB108_819:
	s_or_b32 exec_lo, exec_lo, s2
	v_lshl_add_u32 v208, v236, 4, v230
	s_barrier
	buffer_gl0_inv
	v_mov_b32_e32 v228, 39
	ds_store_2addr_b64 v208, v[60:61], v[62:63] offset1:1
	s_waitcnt lgkmcnt(0)
	s_barrier
	buffer_gl0_inv
	ds_load_2addr_b64 v[220:223], v230 offset0:78 offset1:79
	s_cmp_lt_i32 s5, 41
	s_cbranch_scc1 .LBB108_822
; %bb.820:
	v_add3_u32 v229, v234, 0, 0x280
	v_mov_b32_e32 v228, 39
	s_mov_b32 s6, 40
	s_set_inst_prefetch_distance 0x1
	.p2align	6
.LBB108_821:                            ; =>This Inner Loop Header: Depth=1
	ds_load_2addr_b64 v[237:240], v229 offset1:1
	s_waitcnt lgkmcnt(1)
	v_cmp_gt_f64_e32 vcc_lo, 0, v[220:221]
	v_xor_b32_e32 v208, 0x80000000, v221
	v_cmp_gt_f64_e64 s2, 0, v[222:223]
	v_xor_b32_e32 v210, 0x80000000, v223
	v_add_nc_u32_e32 v229, 16, v229
	s_waitcnt lgkmcnt(0)
	v_cmp_gt_f64_e64 s3, 0, v[237:238]
	v_mov_b32_e32 v212, v237
	v_dual_mov_b32 v214, v239 :: v_dual_cndmask_b32 v209, v221, v208
	v_xor_b32_e32 v208, 0x80000000, v238
	v_cndmask_b32_e64 v211, v223, v210, s2
	v_xor_b32_e32 v210, 0x80000000, v240
	s_delay_alu instid0(VALU_DEP_3) | instskip(SKIP_2) | instid1(VALU_DEP_2)
	v_cndmask_b32_e64 v213, v238, v208, s3
	v_cmp_gt_f64_e64 s3, 0, v[239:240]
	v_cndmask_b32_e32 v208, v220, v220, vcc_lo
	v_cndmask_b32_e64 v215, v240, v210, s3
	v_cndmask_b32_e64 v210, v222, v222, s2
	s_delay_alu instid0(VALU_DEP_2) | instskip(NEXT) | instid1(VALU_DEP_2)
	v_add_f64 v[212:213], v[212:213], v[214:215]
	v_add_f64 v[208:209], v[208:209], v[210:211]
	s_delay_alu instid0(VALU_DEP_1) | instskip(SKIP_4) | instid1(SALU_CYCLE_1)
	v_cmp_lt_f64_e32 vcc_lo, v[208:209], v[212:213]
	v_dual_cndmask_b32 v221, v221, v238 :: v_dual_cndmask_b32 v220, v220, v237
	v_dual_cndmask_b32 v223, v223, v240 :: v_dual_cndmask_b32 v222, v222, v239
	v_cndmask_b32_e64 v228, v228, s6, vcc_lo
	s_add_i32 s6, s6, 1
	s_cmp_lg_u32 s5, s6
	s_cbranch_scc1 .LBB108_821
.LBB108_822:
	s_set_inst_prefetch_distance 0x2
	s_waitcnt lgkmcnt(0)
	v_cmp_eq_f64_e32 vcc_lo, 0, v[220:221]
	v_cmp_eq_f64_e64 s2, 0, v[222:223]
	s_delay_alu instid0(VALU_DEP_1) | instskip(NEXT) | instid1(SALU_CYCLE_1)
	s_and_b32 s2, vcc_lo, s2
	s_and_saveexec_b32 s3, s2
	s_delay_alu instid0(SALU_CYCLE_1)
	s_xor_b32 s2, exec_lo, s3
; %bb.823:
	v_cmp_ne_u32_e32 vcc_lo, 0, v233
	v_cndmask_b32_e32 v233, 40, v233, vcc_lo
; %bb.824:
	s_and_not1_saveexec_b32 s3, s2
	s_cbranch_execz .LBB108_830
; %bb.825:
	v_cmp_gt_f64_e32 vcc_lo, 0, v[220:221]
	v_cmp_gt_f64_e64 s2, 0, v[222:223]
	v_xor_b32_e32 v208, 0x80000000, v221
	v_xor_b32_e32 v210, 0x80000000, v223
	s_delay_alu instid0(VALU_DEP_2) | instskip(NEXT) | instid1(VALU_DEP_2)
	v_cndmask_b32_e32 v209, v221, v208, vcc_lo
	v_cndmask_b32_e64 v211, v223, v210, s2
	v_cndmask_b32_e32 v208, v220, v220, vcc_lo
	v_cndmask_b32_e64 v210, v222, v222, s2
	s_mov_b32 s2, exec_lo
	s_delay_alu instid0(VALU_DEP_1)
	v_cmpx_ngt_f64_e32 v[208:209], v[210:211]
	s_xor_b32 s2, exec_lo, s2
	s_cbranch_execz .LBB108_827
; %bb.826:
	v_div_scale_f64 v[208:209], null, v[222:223], v[222:223], v[220:221]
	v_div_scale_f64 v[214:215], vcc_lo, v[220:221], v[222:223], v[220:221]
	s_delay_alu instid0(VALU_DEP_2) | instskip(SKIP_2) | instid1(VALU_DEP_1)
	v_rcp_f64_e32 v[210:211], v[208:209]
	s_waitcnt_depctr 0xfff
	v_fma_f64 v[212:213], -v[208:209], v[210:211], 1.0
	v_fma_f64 v[210:211], v[210:211], v[212:213], v[210:211]
	s_delay_alu instid0(VALU_DEP_1) | instskip(NEXT) | instid1(VALU_DEP_1)
	v_fma_f64 v[212:213], -v[208:209], v[210:211], 1.0
	v_fma_f64 v[210:211], v[210:211], v[212:213], v[210:211]
	s_delay_alu instid0(VALU_DEP_1) | instskip(NEXT) | instid1(VALU_DEP_1)
	v_mul_f64 v[212:213], v[214:215], v[210:211]
	v_fma_f64 v[208:209], -v[208:209], v[212:213], v[214:215]
	s_delay_alu instid0(VALU_DEP_1) | instskip(NEXT) | instid1(VALU_DEP_1)
	v_div_fmas_f64 v[208:209], v[208:209], v[210:211], v[212:213]
	v_div_fixup_f64 v[208:209], v[208:209], v[222:223], v[220:221]
	s_delay_alu instid0(VALU_DEP_1) | instskip(NEXT) | instid1(VALU_DEP_1)
	v_fma_f64 v[210:211], v[220:221], v[208:209], v[222:223]
	v_div_scale_f64 v[212:213], null, v[210:211], v[210:211], 1.0
	s_delay_alu instid0(VALU_DEP_1) | instskip(SKIP_2) | instid1(VALU_DEP_1)
	v_rcp_f64_e32 v[214:215], v[212:213]
	s_waitcnt_depctr 0xfff
	v_fma_f64 v[220:221], -v[212:213], v[214:215], 1.0
	v_fma_f64 v[214:215], v[214:215], v[220:221], v[214:215]
	s_delay_alu instid0(VALU_DEP_1) | instskip(NEXT) | instid1(VALU_DEP_1)
	v_fma_f64 v[220:221], -v[212:213], v[214:215], 1.0
	v_fma_f64 v[214:215], v[214:215], v[220:221], v[214:215]
	v_div_scale_f64 v[220:221], vcc_lo, 1.0, v[210:211], 1.0
	s_delay_alu instid0(VALU_DEP_1) | instskip(NEXT) | instid1(VALU_DEP_1)
	v_mul_f64 v[222:223], v[220:221], v[214:215]
	v_fma_f64 v[212:213], -v[212:213], v[222:223], v[220:221]
	s_delay_alu instid0(VALU_DEP_1) | instskip(NEXT) | instid1(VALU_DEP_1)
	v_div_fmas_f64 v[212:213], v[212:213], v[214:215], v[222:223]
	v_div_fixup_f64 v[222:223], v[212:213], v[210:211], 1.0
	s_delay_alu instid0(VALU_DEP_1)
	v_mul_f64 v[220:221], v[208:209], v[222:223]
	v_xor_b32_e32 v223, 0x80000000, v223
.LBB108_827:
	s_and_not1_saveexec_b32 s2, s2
	s_cbranch_execz .LBB108_829
; %bb.828:
	s_delay_alu instid0(VALU_DEP_1) | instskip(SKIP_1) | instid1(VALU_DEP_2)
	v_div_scale_f64 v[208:209], null, v[220:221], v[220:221], v[222:223]
	v_div_scale_f64 v[214:215], vcc_lo, v[222:223], v[220:221], v[222:223]
	v_rcp_f64_e32 v[210:211], v[208:209]
	s_waitcnt_depctr 0xfff
	v_fma_f64 v[212:213], -v[208:209], v[210:211], 1.0
	s_delay_alu instid0(VALU_DEP_1) | instskip(NEXT) | instid1(VALU_DEP_1)
	v_fma_f64 v[210:211], v[210:211], v[212:213], v[210:211]
	v_fma_f64 v[212:213], -v[208:209], v[210:211], 1.0
	s_delay_alu instid0(VALU_DEP_1) | instskip(NEXT) | instid1(VALU_DEP_1)
	v_fma_f64 v[210:211], v[210:211], v[212:213], v[210:211]
	v_mul_f64 v[212:213], v[214:215], v[210:211]
	s_delay_alu instid0(VALU_DEP_1) | instskip(NEXT) | instid1(VALU_DEP_1)
	v_fma_f64 v[208:209], -v[208:209], v[212:213], v[214:215]
	v_div_fmas_f64 v[208:209], v[208:209], v[210:211], v[212:213]
	s_delay_alu instid0(VALU_DEP_1) | instskip(NEXT) | instid1(VALU_DEP_1)
	v_div_fixup_f64 v[208:209], v[208:209], v[220:221], v[222:223]
	v_fma_f64 v[210:211], v[222:223], v[208:209], v[220:221]
	s_delay_alu instid0(VALU_DEP_1) | instskip(NEXT) | instid1(VALU_DEP_1)
	v_div_scale_f64 v[212:213], null, v[210:211], v[210:211], 1.0
	v_rcp_f64_e32 v[214:215], v[212:213]
	s_waitcnt_depctr 0xfff
	v_fma_f64 v[220:221], -v[212:213], v[214:215], 1.0
	s_delay_alu instid0(VALU_DEP_1) | instskip(NEXT) | instid1(VALU_DEP_1)
	v_fma_f64 v[214:215], v[214:215], v[220:221], v[214:215]
	v_fma_f64 v[220:221], -v[212:213], v[214:215], 1.0
	s_delay_alu instid0(VALU_DEP_1) | instskip(SKIP_1) | instid1(VALU_DEP_1)
	v_fma_f64 v[214:215], v[214:215], v[220:221], v[214:215]
	v_div_scale_f64 v[220:221], vcc_lo, 1.0, v[210:211], 1.0
	v_mul_f64 v[222:223], v[220:221], v[214:215]
	s_delay_alu instid0(VALU_DEP_1) | instskip(NEXT) | instid1(VALU_DEP_1)
	v_fma_f64 v[212:213], -v[212:213], v[222:223], v[220:221]
	v_div_fmas_f64 v[212:213], v[212:213], v[214:215], v[222:223]
	s_delay_alu instid0(VALU_DEP_1) | instskip(NEXT) | instid1(VALU_DEP_1)
	v_div_fixup_f64 v[220:221], v[212:213], v[210:211], 1.0
	v_mul_f64 v[222:223], v[208:209], -v[220:221]
.LBB108_829:
	s_or_b32 exec_lo, exec_lo, s2
.LBB108_830:
	s_delay_alu instid0(SALU_CYCLE_1) | instskip(NEXT) | instid1(SALU_CYCLE_1)
	s_or_b32 exec_lo, exec_lo, s3
	s_mov_b32 s2, exec_lo
	v_cmpx_ne_u32_e64 v236, v228
	s_xor_b32 s2, exec_lo, s2
	s_cbranch_execz .LBB108_836
; %bb.831:
	s_mov_b32 s3, exec_lo
	v_cmpx_eq_u32_e32 39, v236
	s_cbranch_execz .LBB108_835
; %bb.832:
	v_cmp_ne_u32_e32 vcc_lo, 39, v228
	s_xor_b32 s6, s4, -1
	s_delay_alu instid0(SALU_CYCLE_1) | instskip(NEXT) | instid1(SALU_CYCLE_1)
	s_and_b32 s7, s6, vcc_lo
	s_and_saveexec_b32 s6, s7
	s_cbranch_execz .LBB108_834
; %bb.833:
	v_ashrrev_i32_e32 v229, 31, v228
	s_delay_alu instid0(VALU_DEP_1) | instskip(NEXT) | instid1(VALU_DEP_1)
	v_lshlrev_b64 v[208:209], 2, v[228:229]
	v_add_co_u32 v208, vcc_lo, v231, v208
	s_delay_alu instid0(VALU_DEP_2)
	v_add_co_ci_u32_e32 v209, vcc_lo, v232, v209, vcc_lo
	s_clause 0x1
	flat_load_b32 v210, v[208:209]
	flat_load_b32 v211, v[231:232] offset:156
	s_waitcnt vmcnt(1) lgkmcnt(1)
	flat_store_b32 v[231:232], v210 offset:156
	s_waitcnt vmcnt(0) lgkmcnt(1)
	flat_store_b32 v[208:209], v211
.LBB108_834:
	s_or_b32 exec_lo, exec_lo, s6
	v_mov_b32_e32 v236, v228
	v_mov_b32_e32 v227, v228
.LBB108_835:
	s_or_b32 exec_lo, exec_lo, s3
.LBB108_836:
	s_and_not1_saveexec_b32 s2, s2
	s_cbranch_execz .LBB108_838
; %bb.837:
	v_mov_b32_e32 v236, 39
	ds_store_2addr_b64 v230, v[56:57], v[58:59] offset0:80 offset1:81
	ds_store_2addr_b64 v230, v[52:53], v[54:55] offset0:82 offset1:83
	;; [unrolled: 1-line block ×15, first 2 shown]
.LBB108_838:
	s_or_b32 exec_lo, exec_lo, s2
	s_delay_alu instid0(SALU_CYCLE_1)
	s_mov_b32 s2, exec_lo
	s_waitcnt lgkmcnt(0)
	s_waitcnt_vscnt null, 0x0
	s_barrier
	buffer_gl0_inv
	v_cmpx_lt_i32_e32 39, v236
	s_cbranch_execz .LBB108_840
; %bb.839:
	v_mul_f64 v[208:209], v[220:221], v[62:63]
	v_mul_f64 v[62:63], v[222:223], v[62:63]
	s_delay_alu instid0(VALU_DEP_2) | instskip(NEXT) | instid1(VALU_DEP_2)
	v_fma_f64 v[228:229], v[222:223], v[60:61], v[208:209]
	v_fma_f64 v[60:61], v[220:221], v[60:61], -v[62:63]
	ds_load_2addr_b64 v[220:223], v230 offset0:80 offset1:81
	s_waitcnt lgkmcnt(0)
	v_mul_f64 v[62:63], v[222:223], v[228:229]
	v_mul_f64 v[208:209], v[220:221], v[228:229]
	s_delay_alu instid0(VALU_DEP_2) | instskip(NEXT) | instid1(VALU_DEP_2)
	v_fma_f64 v[62:63], v[220:221], v[60:61], -v[62:63]
	v_fma_f64 v[208:209], v[222:223], v[60:61], v[208:209]
	ds_load_2addr_b64 v[220:223], v230 offset0:82 offset1:83
	v_add_f64 v[56:57], v[56:57], -v[62:63]
	v_add_f64 v[58:59], v[58:59], -v[208:209]
	s_waitcnt lgkmcnt(0)
	v_mul_f64 v[62:63], v[222:223], v[228:229]
	v_mul_f64 v[208:209], v[220:221], v[228:229]
	s_delay_alu instid0(VALU_DEP_2) | instskip(NEXT) | instid1(VALU_DEP_2)
	v_fma_f64 v[62:63], v[220:221], v[60:61], -v[62:63]
	v_fma_f64 v[208:209], v[222:223], v[60:61], v[208:209]
	ds_load_2addr_b64 v[220:223], v230 offset0:84 offset1:85
	v_add_f64 v[52:53], v[52:53], -v[62:63]
	v_add_f64 v[54:55], v[54:55], -v[208:209]
	;; [unrolled: 9-line block ×14, first 2 shown]
	s_waitcnt lgkmcnt(0)
	v_mul_f64 v[62:63], v[222:223], v[228:229]
	v_mul_f64 v[208:209], v[220:221], v[228:229]
	s_delay_alu instid0(VALU_DEP_2) | instskip(NEXT) | instid1(VALU_DEP_2)
	v_fma_f64 v[62:63], v[220:221], v[60:61], -v[62:63]
	v_fma_f64 v[208:209], v[222:223], v[60:61], v[208:209]
	s_delay_alu instid0(VALU_DEP_2) | instskip(NEXT) | instid1(VALU_DEP_2)
	v_add_f64 v[0:1], v[0:1], -v[62:63]
	v_add_f64 v[2:3], v[2:3], -v[208:209]
	v_dual_mov_b32 v62, v228 :: v_dual_mov_b32 v63, v229
.LBB108_840:
	s_or_b32 exec_lo, exec_lo, s2
	v_lshl_add_u32 v208, v236, 4, v230
	s_barrier
	buffer_gl0_inv
	v_mov_b32_e32 v228, 40
	ds_store_2addr_b64 v208, v[56:57], v[58:59] offset1:1
	s_waitcnt lgkmcnt(0)
	s_barrier
	buffer_gl0_inv
	ds_load_2addr_b64 v[220:223], v230 offset0:80 offset1:81
	s_cmp_lt_i32 s5, 42
	s_cbranch_scc1 .LBB108_843
; %bb.841:
	v_add3_u32 v229, v234, 0, 0x290
	v_mov_b32_e32 v228, 40
	s_mov_b32 s6, 41
	s_set_inst_prefetch_distance 0x1
	.p2align	6
.LBB108_842:                            ; =>This Inner Loop Header: Depth=1
	ds_load_2addr_b64 v[237:240], v229 offset1:1
	s_waitcnt lgkmcnt(1)
	v_cmp_gt_f64_e32 vcc_lo, 0, v[220:221]
	v_xor_b32_e32 v208, 0x80000000, v221
	v_cmp_gt_f64_e64 s2, 0, v[222:223]
	v_xor_b32_e32 v210, 0x80000000, v223
	v_add_nc_u32_e32 v229, 16, v229
	s_waitcnt lgkmcnt(0)
	v_cmp_gt_f64_e64 s3, 0, v[237:238]
	v_mov_b32_e32 v212, v237
	v_dual_mov_b32 v214, v239 :: v_dual_cndmask_b32 v209, v221, v208
	v_xor_b32_e32 v208, 0x80000000, v238
	v_cndmask_b32_e64 v211, v223, v210, s2
	v_xor_b32_e32 v210, 0x80000000, v240
	s_delay_alu instid0(VALU_DEP_3) | instskip(SKIP_2) | instid1(VALU_DEP_2)
	v_cndmask_b32_e64 v213, v238, v208, s3
	v_cmp_gt_f64_e64 s3, 0, v[239:240]
	v_cndmask_b32_e32 v208, v220, v220, vcc_lo
	v_cndmask_b32_e64 v215, v240, v210, s3
	v_cndmask_b32_e64 v210, v222, v222, s2
	s_delay_alu instid0(VALU_DEP_2) | instskip(NEXT) | instid1(VALU_DEP_2)
	v_add_f64 v[212:213], v[212:213], v[214:215]
	v_add_f64 v[208:209], v[208:209], v[210:211]
	s_delay_alu instid0(VALU_DEP_1) | instskip(SKIP_4) | instid1(SALU_CYCLE_1)
	v_cmp_lt_f64_e32 vcc_lo, v[208:209], v[212:213]
	v_dual_cndmask_b32 v221, v221, v238 :: v_dual_cndmask_b32 v220, v220, v237
	v_dual_cndmask_b32 v223, v223, v240 :: v_dual_cndmask_b32 v222, v222, v239
	v_cndmask_b32_e64 v228, v228, s6, vcc_lo
	s_add_i32 s6, s6, 1
	s_cmp_lg_u32 s5, s6
	s_cbranch_scc1 .LBB108_842
.LBB108_843:
	s_set_inst_prefetch_distance 0x2
	s_waitcnt lgkmcnt(0)
	v_cmp_eq_f64_e32 vcc_lo, 0, v[220:221]
	v_cmp_eq_f64_e64 s2, 0, v[222:223]
	s_delay_alu instid0(VALU_DEP_1) | instskip(NEXT) | instid1(SALU_CYCLE_1)
	s_and_b32 s2, vcc_lo, s2
	s_and_saveexec_b32 s3, s2
	s_delay_alu instid0(SALU_CYCLE_1)
	s_xor_b32 s2, exec_lo, s3
; %bb.844:
	v_cmp_ne_u32_e32 vcc_lo, 0, v233
	v_cndmask_b32_e32 v233, 41, v233, vcc_lo
; %bb.845:
	s_and_not1_saveexec_b32 s3, s2
	s_cbranch_execz .LBB108_851
; %bb.846:
	v_cmp_gt_f64_e32 vcc_lo, 0, v[220:221]
	v_cmp_gt_f64_e64 s2, 0, v[222:223]
	v_xor_b32_e32 v208, 0x80000000, v221
	v_xor_b32_e32 v210, 0x80000000, v223
	s_delay_alu instid0(VALU_DEP_2) | instskip(NEXT) | instid1(VALU_DEP_2)
	v_cndmask_b32_e32 v209, v221, v208, vcc_lo
	v_cndmask_b32_e64 v211, v223, v210, s2
	v_cndmask_b32_e32 v208, v220, v220, vcc_lo
	v_cndmask_b32_e64 v210, v222, v222, s2
	s_mov_b32 s2, exec_lo
	s_delay_alu instid0(VALU_DEP_1)
	v_cmpx_ngt_f64_e32 v[208:209], v[210:211]
	s_xor_b32 s2, exec_lo, s2
	s_cbranch_execz .LBB108_848
; %bb.847:
	v_div_scale_f64 v[208:209], null, v[222:223], v[222:223], v[220:221]
	v_div_scale_f64 v[214:215], vcc_lo, v[220:221], v[222:223], v[220:221]
	s_delay_alu instid0(VALU_DEP_2) | instskip(SKIP_2) | instid1(VALU_DEP_1)
	v_rcp_f64_e32 v[210:211], v[208:209]
	s_waitcnt_depctr 0xfff
	v_fma_f64 v[212:213], -v[208:209], v[210:211], 1.0
	v_fma_f64 v[210:211], v[210:211], v[212:213], v[210:211]
	s_delay_alu instid0(VALU_DEP_1) | instskip(NEXT) | instid1(VALU_DEP_1)
	v_fma_f64 v[212:213], -v[208:209], v[210:211], 1.0
	v_fma_f64 v[210:211], v[210:211], v[212:213], v[210:211]
	s_delay_alu instid0(VALU_DEP_1) | instskip(NEXT) | instid1(VALU_DEP_1)
	v_mul_f64 v[212:213], v[214:215], v[210:211]
	v_fma_f64 v[208:209], -v[208:209], v[212:213], v[214:215]
	s_delay_alu instid0(VALU_DEP_1) | instskip(NEXT) | instid1(VALU_DEP_1)
	v_div_fmas_f64 v[208:209], v[208:209], v[210:211], v[212:213]
	v_div_fixup_f64 v[208:209], v[208:209], v[222:223], v[220:221]
	s_delay_alu instid0(VALU_DEP_1) | instskip(NEXT) | instid1(VALU_DEP_1)
	v_fma_f64 v[210:211], v[220:221], v[208:209], v[222:223]
	v_div_scale_f64 v[212:213], null, v[210:211], v[210:211], 1.0
	s_delay_alu instid0(VALU_DEP_1) | instskip(SKIP_2) | instid1(VALU_DEP_1)
	v_rcp_f64_e32 v[214:215], v[212:213]
	s_waitcnt_depctr 0xfff
	v_fma_f64 v[220:221], -v[212:213], v[214:215], 1.0
	v_fma_f64 v[214:215], v[214:215], v[220:221], v[214:215]
	s_delay_alu instid0(VALU_DEP_1) | instskip(NEXT) | instid1(VALU_DEP_1)
	v_fma_f64 v[220:221], -v[212:213], v[214:215], 1.0
	v_fma_f64 v[214:215], v[214:215], v[220:221], v[214:215]
	v_div_scale_f64 v[220:221], vcc_lo, 1.0, v[210:211], 1.0
	s_delay_alu instid0(VALU_DEP_1) | instskip(NEXT) | instid1(VALU_DEP_1)
	v_mul_f64 v[222:223], v[220:221], v[214:215]
	v_fma_f64 v[212:213], -v[212:213], v[222:223], v[220:221]
	s_delay_alu instid0(VALU_DEP_1) | instskip(NEXT) | instid1(VALU_DEP_1)
	v_div_fmas_f64 v[212:213], v[212:213], v[214:215], v[222:223]
	v_div_fixup_f64 v[222:223], v[212:213], v[210:211], 1.0
	s_delay_alu instid0(VALU_DEP_1)
	v_mul_f64 v[220:221], v[208:209], v[222:223]
	v_xor_b32_e32 v223, 0x80000000, v223
.LBB108_848:
	s_and_not1_saveexec_b32 s2, s2
	s_cbranch_execz .LBB108_850
; %bb.849:
	s_delay_alu instid0(VALU_DEP_1) | instskip(SKIP_1) | instid1(VALU_DEP_2)
	v_div_scale_f64 v[208:209], null, v[220:221], v[220:221], v[222:223]
	v_div_scale_f64 v[214:215], vcc_lo, v[222:223], v[220:221], v[222:223]
	v_rcp_f64_e32 v[210:211], v[208:209]
	s_waitcnt_depctr 0xfff
	v_fma_f64 v[212:213], -v[208:209], v[210:211], 1.0
	s_delay_alu instid0(VALU_DEP_1) | instskip(NEXT) | instid1(VALU_DEP_1)
	v_fma_f64 v[210:211], v[210:211], v[212:213], v[210:211]
	v_fma_f64 v[212:213], -v[208:209], v[210:211], 1.0
	s_delay_alu instid0(VALU_DEP_1) | instskip(NEXT) | instid1(VALU_DEP_1)
	v_fma_f64 v[210:211], v[210:211], v[212:213], v[210:211]
	v_mul_f64 v[212:213], v[214:215], v[210:211]
	s_delay_alu instid0(VALU_DEP_1) | instskip(NEXT) | instid1(VALU_DEP_1)
	v_fma_f64 v[208:209], -v[208:209], v[212:213], v[214:215]
	v_div_fmas_f64 v[208:209], v[208:209], v[210:211], v[212:213]
	s_delay_alu instid0(VALU_DEP_1) | instskip(NEXT) | instid1(VALU_DEP_1)
	v_div_fixup_f64 v[208:209], v[208:209], v[220:221], v[222:223]
	v_fma_f64 v[210:211], v[222:223], v[208:209], v[220:221]
	s_delay_alu instid0(VALU_DEP_1) | instskip(NEXT) | instid1(VALU_DEP_1)
	v_div_scale_f64 v[212:213], null, v[210:211], v[210:211], 1.0
	v_rcp_f64_e32 v[214:215], v[212:213]
	s_waitcnt_depctr 0xfff
	v_fma_f64 v[220:221], -v[212:213], v[214:215], 1.0
	s_delay_alu instid0(VALU_DEP_1) | instskip(NEXT) | instid1(VALU_DEP_1)
	v_fma_f64 v[214:215], v[214:215], v[220:221], v[214:215]
	v_fma_f64 v[220:221], -v[212:213], v[214:215], 1.0
	s_delay_alu instid0(VALU_DEP_1) | instskip(SKIP_1) | instid1(VALU_DEP_1)
	v_fma_f64 v[214:215], v[214:215], v[220:221], v[214:215]
	v_div_scale_f64 v[220:221], vcc_lo, 1.0, v[210:211], 1.0
	v_mul_f64 v[222:223], v[220:221], v[214:215]
	s_delay_alu instid0(VALU_DEP_1) | instskip(NEXT) | instid1(VALU_DEP_1)
	v_fma_f64 v[212:213], -v[212:213], v[222:223], v[220:221]
	v_div_fmas_f64 v[212:213], v[212:213], v[214:215], v[222:223]
	s_delay_alu instid0(VALU_DEP_1) | instskip(NEXT) | instid1(VALU_DEP_1)
	v_div_fixup_f64 v[220:221], v[212:213], v[210:211], 1.0
	v_mul_f64 v[222:223], v[208:209], -v[220:221]
.LBB108_850:
	s_or_b32 exec_lo, exec_lo, s2
.LBB108_851:
	s_delay_alu instid0(SALU_CYCLE_1) | instskip(NEXT) | instid1(SALU_CYCLE_1)
	s_or_b32 exec_lo, exec_lo, s3
	s_mov_b32 s2, exec_lo
	v_cmpx_ne_u32_e64 v236, v228
	s_xor_b32 s2, exec_lo, s2
	s_cbranch_execz .LBB108_857
; %bb.852:
	s_mov_b32 s3, exec_lo
	v_cmpx_eq_u32_e32 40, v236
	s_cbranch_execz .LBB108_856
; %bb.853:
	v_cmp_ne_u32_e32 vcc_lo, 40, v228
	s_xor_b32 s6, s4, -1
	s_delay_alu instid0(SALU_CYCLE_1) | instskip(NEXT) | instid1(SALU_CYCLE_1)
	s_and_b32 s7, s6, vcc_lo
	s_and_saveexec_b32 s6, s7
	s_cbranch_execz .LBB108_855
; %bb.854:
	v_ashrrev_i32_e32 v229, 31, v228
	s_delay_alu instid0(VALU_DEP_1) | instskip(NEXT) | instid1(VALU_DEP_1)
	v_lshlrev_b64 v[208:209], 2, v[228:229]
	v_add_co_u32 v208, vcc_lo, v231, v208
	s_delay_alu instid0(VALU_DEP_2)
	v_add_co_ci_u32_e32 v209, vcc_lo, v232, v209, vcc_lo
	s_clause 0x1
	flat_load_b32 v210, v[208:209]
	flat_load_b32 v211, v[231:232] offset:160
	s_waitcnt vmcnt(1) lgkmcnt(1)
	flat_store_b32 v[231:232], v210 offset:160
	s_waitcnt vmcnt(0) lgkmcnt(1)
	flat_store_b32 v[208:209], v211
.LBB108_855:
	s_or_b32 exec_lo, exec_lo, s6
	v_mov_b32_e32 v236, v228
	v_mov_b32_e32 v227, v228
.LBB108_856:
	s_or_b32 exec_lo, exec_lo, s3
.LBB108_857:
	s_and_not1_saveexec_b32 s2, s2
	s_cbranch_execz .LBB108_859
; %bb.858:
	v_mov_b32_e32 v236, 40
	ds_store_2addr_b64 v230, v[52:53], v[54:55] offset0:82 offset1:83
	ds_store_2addr_b64 v230, v[48:49], v[50:51] offset0:84 offset1:85
	;; [unrolled: 1-line block ×14, first 2 shown]
.LBB108_859:
	s_or_b32 exec_lo, exec_lo, s2
	s_delay_alu instid0(SALU_CYCLE_1)
	s_mov_b32 s2, exec_lo
	s_waitcnt lgkmcnt(0)
	s_waitcnt_vscnt null, 0x0
	s_barrier
	buffer_gl0_inv
	v_cmpx_lt_i32_e32 40, v236
	s_cbranch_execz .LBB108_861
; %bb.860:
	v_mul_f64 v[208:209], v[220:221], v[58:59]
	v_mul_f64 v[58:59], v[222:223], v[58:59]
	s_delay_alu instid0(VALU_DEP_2) | instskip(NEXT) | instid1(VALU_DEP_2)
	v_fma_f64 v[228:229], v[222:223], v[56:57], v[208:209]
	v_fma_f64 v[56:57], v[220:221], v[56:57], -v[58:59]
	ds_load_2addr_b64 v[220:223], v230 offset0:82 offset1:83
	s_waitcnt lgkmcnt(0)
	v_mul_f64 v[58:59], v[222:223], v[228:229]
	v_mul_f64 v[208:209], v[220:221], v[228:229]
	s_delay_alu instid0(VALU_DEP_2) | instskip(NEXT) | instid1(VALU_DEP_2)
	v_fma_f64 v[58:59], v[220:221], v[56:57], -v[58:59]
	v_fma_f64 v[208:209], v[222:223], v[56:57], v[208:209]
	ds_load_2addr_b64 v[220:223], v230 offset0:84 offset1:85
	v_add_f64 v[52:53], v[52:53], -v[58:59]
	v_add_f64 v[54:55], v[54:55], -v[208:209]
	s_waitcnt lgkmcnt(0)
	v_mul_f64 v[58:59], v[222:223], v[228:229]
	v_mul_f64 v[208:209], v[220:221], v[228:229]
	s_delay_alu instid0(VALU_DEP_2) | instskip(NEXT) | instid1(VALU_DEP_2)
	v_fma_f64 v[58:59], v[220:221], v[56:57], -v[58:59]
	v_fma_f64 v[208:209], v[222:223], v[56:57], v[208:209]
	ds_load_2addr_b64 v[220:223], v230 offset0:86 offset1:87
	v_add_f64 v[48:49], v[48:49], -v[58:59]
	v_add_f64 v[50:51], v[50:51], -v[208:209]
	;; [unrolled: 9-line block ×13, first 2 shown]
	s_waitcnt lgkmcnt(0)
	v_mul_f64 v[58:59], v[222:223], v[228:229]
	v_mul_f64 v[208:209], v[220:221], v[228:229]
	s_delay_alu instid0(VALU_DEP_2) | instskip(NEXT) | instid1(VALU_DEP_2)
	v_fma_f64 v[58:59], v[220:221], v[56:57], -v[58:59]
	v_fma_f64 v[208:209], v[222:223], v[56:57], v[208:209]
	s_delay_alu instid0(VALU_DEP_2) | instskip(NEXT) | instid1(VALU_DEP_2)
	v_add_f64 v[0:1], v[0:1], -v[58:59]
	v_add_f64 v[2:3], v[2:3], -v[208:209]
	v_dual_mov_b32 v58, v228 :: v_dual_mov_b32 v59, v229
.LBB108_861:
	s_or_b32 exec_lo, exec_lo, s2
	v_lshl_add_u32 v208, v236, 4, v230
	s_barrier
	buffer_gl0_inv
	v_mov_b32_e32 v228, 41
	ds_store_2addr_b64 v208, v[52:53], v[54:55] offset1:1
	s_waitcnt lgkmcnt(0)
	s_barrier
	buffer_gl0_inv
	ds_load_2addr_b64 v[220:223], v230 offset0:82 offset1:83
	s_cmp_lt_i32 s5, 43
	s_cbranch_scc1 .LBB108_864
; %bb.862:
	v_add3_u32 v229, v234, 0, 0x2a0
	v_mov_b32_e32 v228, 41
	s_mov_b32 s6, 42
	s_set_inst_prefetch_distance 0x1
	.p2align	6
.LBB108_863:                            ; =>This Inner Loop Header: Depth=1
	ds_load_2addr_b64 v[237:240], v229 offset1:1
	s_waitcnt lgkmcnt(1)
	v_cmp_gt_f64_e32 vcc_lo, 0, v[220:221]
	v_xor_b32_e32 v208, 0x80000000, v221
	v_cmp_gt_f64_e64 s2, 0, v[222:223]
	v_xor_b32_e32 v210, 0x80000000, v223
	v_add_nc_u32_e32 v229, 16, v229
	s_waitcnt lgkmcnt(0)
	v_cmp_gt_f64_e64 s3, 0, v[237:238]
	v_mov_b32_e32 v212, v237
	v_dual_mov_b32 v214, v239 :: v_dual_cndmask_b32 v209, v221, v208
	v_xor_b32_e32 v208, 0x80000000, v238
	v_cndmask_b32_e64 v211, v223, v210, s2
	v_xor_b32_e32 v210, 0x80000000, v240
	s_delay_alu instid0(VALU_DEP_3) | instskip(SKIP_2) | instid1(VALU_DEP_2)
	v_cndmask_b32_e64 v213, v238, v208, s3
	v_cmp_gt_f64_e64 s3, 0, v[239:240]
	v_cndmask_b32_e32 v208, v220, v220, vcc_lo
	v_cndmask_b32_e64 v215, v240, v210, s3
	v_cndmask_b32_e64 v210, v222, v222, s2
	s_delay_alu instid0(VALU_DEP_2) | instskip(NEXT) | instid1(VALU_DEP_2)
	v_add_f64 v[212:213], v[212:213], v[214:215]
	v_add_f64 v[208:209], v[208:209], v[210:211]
	s_delay_alu instid0(VALU_DEP_1) | instskip(SKIP_4) | instid1(SALU_CYCLE_1)
	v_cmp_lt_f64_e32 vcc_lo, v[208:209], v[212:213]
	v_dual_cndmask_b32 v221, v221, v238 :: v_dual_cndmask_b32 v220, v220, v237
	v_dual_cndmask_b32 v223, v223, v240 :: v_dual_cndmask_b32 v222, v222, v239
	v_cndmask_b32_e64 v228, v228, s6, vcc_lo
	s_add_i32 s6, s6, 1
	s_cmp_lg_u32 s5, s6
	s_cbranch_scc1 .LBB108_863
.LBB108_864:
	s_set_inst_prefetch_distance 0x2
	s_waitcnt lgkmcnt(0)
	v_cmp_eq_f64_e32 vcc_lo, 0, v[220:221]
	v_cmp_eq_f64_e64 s2, 0, v[222:223]
	s_delay_alu instid0(VALU_DEP_1) | instskip(NEXT) | instid1(SALU_CYCLE_1)
	s_and_b32 s2, vcc_lo, s2
	s_and_saveexec_b32 s3, s2
	s_delay_alu instid0(SALU_CYCLE_1)
	s_xor_b32 s2, exec_lo, s3
; %bb.865:
	v_cmp_ne_u32_e32 vcc_lo, 0, v233
	v_cndmask_b32_e32 v233, 42, v233, vcc_lo
; %bb.866:
	s_and_not1_saveexec_b32 s3, s2
	s_cbranch_execz .LBB108_872
; %bb.867:
	v_cmp_gt_f64_e32 vcc_lo, 0, v[220:221]
	v_cmp_gt_f64_e64 s2, 0, v[222:223]
	v_xor_b32_e32 v208, 0x80000000, v221
	v_xor_b32_e32 v210, 0x80000000, v223
	s_delay_alu instid0(VALU_DEP_2) | instskip(NEXT) | instid1(VALU_DEP_2)
	v_cndmask_b32_e32 v209, v221, v208, vcc_lo
	v_cndmask_b32_e64 v211, v223, v210, s2
	v_cndmask_b32_e32 v208, v220, v220, vcc_lo
	v_cndmask_b32_e64 v210, v222, v222, s2
	s_mov_b32 s2, exec_lo
	s_delay_alu instid0(VALU_DEP_1)
	v_cmpx_ngt_f64_e32 v[208:209], v[210:211]
	s_xor_b32 s2, exec_lo, s2
	s_cbranch_execz .LBB108_869
; %bb.868:
	v_div_scale_f64 v[208:209], null, v[222:223], v[222:223], v[220:221]
	v_div_scale_f64 v[214:215], vcc_lo, v[220:221], v[222:223], v[220:221]
	s_delay_alu instid0(VALU_DEP_2) | instskip(SKIP_2) | instid1(VALU_DEP_1)
	v_rcp_f64_e32 v[210:211], v[208:209]
	s_waitcnt_depctr 0xfff
	v_fma_f64 v[212:213], -v[208:209], v[210:211], 1.0
	v_fma_f64 v[210:211], v[210:211], v[212:213], v[210:211]
	s_delay_alu instid0(VALU_DEP_1) | instskip(NEXT) | instid1(VALU_DEP_1)
	v_fma_f64 v[212:213], -v[208:209], v[210:211], 1.0
	v_fma_f64 v[210:211], v[210:211], v[212:213], v[210:211]
	s_delay_alu instid0(VALU_DEP_1) | instskip(NEXT) | instid1(VALU_DEP_1)
	v_mul_f64 v[212:213], v[214:215], v[210:211]
	v_fma_f64 v[208:209], -v[208:209], v[212:213], v[214:215]
	s_delay_alu instid0(VALU_DEP_1) | instskip(NEXT) | instid1(VALU_DEP_1)
	v_div_fmas_f64 v[208:209], v[208:209], v[210:211], v[212:213]
	v_div_fixup_f64 v[208:209], v[208:209], v[222:223], v[220:221]
	s_delay_alu instid0(VALU_DEP_1) | instskip(NEXT) | instid1(VALU_DEP_1)
	v_fma_f64 v[210:211], v[220:221], v[208:209], v[222:223]
	v_div_scale_f64 v[212:213], null, v[210:211], v[210:211], 1.0
	s_delay_alu instid0(VALU_DEP_1) | instskip(SKIP_2) | instid1(VALU_DEP_1)
	v_rcp_f64_e32 v[214:215], v[212:213]
	s_waitcnt_depctr 0xfff
	v_fma_f64 v[220:221], -v[212:213], v[214:215], 1.0
	v_fma_f64 v[214:215], v[214:215], v[220:221], v[214:215]
	s_delay_alu instid0(VALU_DEP_1) | instskip(NEXT) | instid1(VALU_DEP_1)
	v_fma_f64 v[220:221], -v[212:213], v[214:215], 1.0
	v_fma_f64 v[214:215], v[214:215], v[220:221], v[214:215]
	v_div_scale_f64 v[220:221], vcc_lo, 1.0, v[210:211], 1.0
	s_delay_alu instid0(VALU_DEP_1) | instskip(NEXT) | instid1(VALU_DEP_1)
	v_mul_f64 v[222:223], v[220:221], v[214:215]
	v_fma_f64 v[212:213], -v[212:213], v[222:223], v[220:221]
	s_delay_alu instid0(VALU_DEP_1) | instskip(NEXT) | instid1(VALU_DEP_1)
	v_div_fmas_f64 v[212:213], v[212:213], v[214:215], v[222:223]
	v_div_fixup_f64 v[222:223], v[212:213], v[210:211], 1.0
	s_delay_alu instid0(VALU_DEP_1)
	v_mul_f64 v[220:221], v[208:209], v[222:223]
	v_xor_b32_e32 v223, 0x80000000, v223
.LBB108_869:
	s_and_not1_saveexec_b32 s2, s2
	s_cbranch_execz .LBB108_871
; %bb.870:
	s_delay_alu instid0(VALU_DEP_1) | instskip(SKIP_1) | instid1(VALU_DEP_2)
	v_div_scale_f64 v[208:209], null, v[220:221], v[220:221], v[222:223]
	v_div_scale_f64 v[214:215], vcc_lo, v[222:223], v[220:221], v[222:223]
	v_rcp_f64_e32 v[210:211], v[208:209]
	s_waitcnt_depctr 0xfff
	v_fma_f64 v[212:213], -v[208:209], v[210:211], 1.0
	s_delay_alu instid0(VALU_DEP_1) | instskip(NEXT) | instid1(VALU_DEP_1)
	v_fma_f64 v[210:211], v[210:211], v[212:213], v[210:211]
	v_fma_f64 v[212:213], -v[208:209], v[210:211], 1.0
	s_delay_alu instid0(VALU_DEP_1) | instskip(NEXT) | instid1(VALU_DEP_1)
	v_fma_f64 v[210:211], v[210:211], v[212:213], v[210:211]
	v_mul_f64 v[212:213], v[214:215], v[210:211]
	s_delay_alu instid0(VALU_DEP_1) | instskip(NEXT) | instid1(VALU_DEP_1)
	v_fma_f64 v[208:209], -v[208:209], v[212:213], v[214:215]
	v_div_fmas_f64 v[208:209], v[208:209], v[210:211], v[212:213]
	s_delay_alu instid0(VALU_DEP_1) | instskip(NEXT) | instid1(VALU_DEP_1)
	v_div_fixup_f64 v[208:209], v[208:209], v[220:221], v[222:223]
	v_fma_f64 v[210:211], v[222:223], v[208:209], v[220:221]
	s_delay_alu instid0(VALU_DEP_1) | instskip(NEXT) | instid1(VALU_DEP_1)
	v_div_scale_f64 v[212:213], null, v[210:211], v[210:211], 1.0
	v_rcp_f64_e32 v[214:215], v[212:213]
	s_waitcnt_depctr 0xfff
	v_fma_f64 v[220:221], -v[212:213], v[214:215], 1.0
	s_delay_alu instid0(VALU_DEP_1) | instskip(NEXT) | instid1(VALU_DEP_1)
	v_fma_f64 v[214:215], v[214:215], v[220:221], v[214:215]
	v_fma_f64 v[220:221], -v[212:213], v[214:215], 1.0
	s_delay_alu instid0(VALU_DEP_1) | instskip(SKIP_1) | instid1(VALU_DEP_1)
	v_fma_f64 v[214:215], v[214:215], v[220:221], v[214:215]
	v_div_scale_f64 v[220:221], vcc_lo, 1.0, v[210:211], 1.0
	v_mul_f64 v[222:223], v[220:221], v[214:215]
	s_delay_alu instid0(VALU_DEP_1) | instskip(NEXT) | instid1(VALU_DEP_1)
	v_fma_f64 v[212:213], -v[212:213], v[222:223], v[220:221]
	v_div_fmas_f64 v[212:213], v[212:213], v[214:215], v[222:223]
	s_delay_alu instid0(VALU_DEP_1) | instskip(NEXT) | instid1(VALU_DEP_1)
	v_div_fixup_f64 v[220:221], v[212:213], v[210:211], 1.0
	v_mul_f64 v[222:223], v[208:209], -v[220:221]
.LBB108_871:
	s_or_b32 exec_lo, exec_lo, s2
.LBB108_872:
	s_delay_alu instid0(SALU_CYCLE_1) | instskip(NEXT) | instid1(SALU_CYCLE_1)
	s_or_b32 exec_lo, exec_lo, s3
	s_mov_b32 s2, exec_lo
	v_cmpx_ne_u32_e64 v236, v228
	s_xor_b32 s2, exec_lo, s2
	s_cbranch_execz .LBB108_878
; %bb.873:
	s_mov_b32 s3, exec_lo
	v_cmpx_eq_u32_e32 41, v236
	s_cbranch_execz .LBB108_877
; %bb.874:
	v_cmp_ne_u32_e32 vcc_lo, 41, v228
	s_xor_b32 s6, s4, -1
	s_delay_alu instid0(SALU_CYCLE_1) | instskip(NEXT) | instid1(SALU_CYCLE_1)
	s_and_b32 s7, s6, vcc_lo
	s_and_saveexec_b32 s6, s7
	s_cbranch_execz .LBB108_876
; %bb.875:
	v_ashrrev_i32_e32 v229, 31, v228
	s_delay_alu instid0(VALU_DEP_1) | instskip(NEXT) | instid1(VALU_DEP_1)
	v_lshlrev_b64 v[208:209], 2, v[228:229]
	v_add_co_u32 v208, vcc_lo, v231, v208
	s_delay_alu instid0(VALU_DEP_2)
	v_add_co_ci_u32_e32 v209, vcc_lo, v232, v209, vcc_lo
	s_clause 0x1
	flat_load_b32 v210, v[208:209]
	flat_load_b32 v211, v[231:232] offset:164
	s_waitcnt vmcnt(1) lgkmcnt(1)
	flat_store_b32 v[231:232], v210 offset:164
	s_waitcnt vmcnt(0) lgkmcnt(1)
	flat_store_b32 v[208:209], v211
.LBB108_876:
	s_or_b32 exec_lo, exec_lo, s6
	v_mov_b32_e32 v236, v228
	v_mov_b32_e32 v227, v228
.LBB108_877:
	s_or_b32 exec_lo, exec_lo, s3
.LBB108_878:
	s_and_not1_saveexec_b32 s2, s2
	s_cbranch_execz .LBB108_880
; %bb.879:
	v_mov_b32_e32 v236, 41
	ds_store_2addr_b64 v230, v[48:49], v[50:51] offset0:84 offset1:85
	ds_store_2addr_b64 v230, v[44:45], v[46:47] offset0:86 offset1:87
	;; [unrolled: 1-line block ×13, first 2 shown]
.LBB108_880:
	s_or_b32 exec_lo, exec_lo, s2
	s_delay_alu instid0(SALU_CYCLE_1)
	s_mov_b32 s2, exec_lo
	s_waitcnt lgkmcnt(0)
	s_waitcnt_vscnt null, 0x0
	s_barrier
	buffer_gl0_inv
	v_cmpx_lt_i32_e32 41, v236
	s_cbranch_execz .LBB108_882
; %bb.881:
	v_mul_f64 v[208:209], v[220:221], v[54:55]
	v_mul_f64 v[54:55], v[222:223], v[54:55]
	s_delay_alu instid0(VALU_DEP_2) | instskip(NEXT) | instid1(VALU_DEP_2)
	v_fma_f64 v[228:229], v[222:223], v[52:53], v[208:209]
	v_fma_f64 v[52:53], v[220:221], v[52:53], -v[54:55]
	ds_load_2addr_b64 v[220:223], v230 offset0:84 offset1:85
	s_waitcnt lgkmcnt(0)
	v_mul_f64 v[54:55], v[222:223], v[228:229]
	v_mul_f64 v[208:209], v[220:221], v[228:229]
	s_delay_alu instid0(VALU_DEP_2) | instskip(NEXT) | instid1(VALU_DEP_2)
	v_fma_f64 v[54:55], v[220:221], v[52:53], -v[54:55]
	v_fma_f64 v[208:209], v[222:223], v[52:53], v[208:209]
	ds_load_2addr_b64 v[220:223], v230 offset0:86 offset1:87
	v_add_f64 v[48:49], v[48:49], -v[54:55]
	v_add_f64 v[50:51], v[50:51], -v[208:209]
	s_waitcnt lgkmcnt(0)
	v_mul_f64 v[54:55], v[222:223], v[228:229]
	v_mul_f64 v[208:209], v[220:221], v[228:229]
	s_delay_alu instid0(VALU_DEP_2) | instskip(NEXT) | instid1(VALU_DEP_2)
	v_fma_f64 v[54:55], v[220:221], v[52:53], -v[54:55]
	v_fma_f64 v[208:209], v[222:223], v[52:53], v[208:209]
	ds_load_2addr_b64 v[220:223], v230 offset0:88 offset1:89
	v_add_f64 v[44:45], v[44:45], -v[54:55]
	v_add_f64 v[46:47], v[46:47], -v[208:209]
	;; [unrolled: 9-line block ×12, first 2 shown]
	s_waitcnt lgkmcnt(0)
	v_mul_f64 v[54:55], v[222:223], v[228:229]
	v_mul_f64 v[208:209], v[220:221], v[228:229]
	s_delay_alu instid0(VALU_DEP_2) | instskip(NEXT) | instid1(VALU_DEP_2)
	v_fma_f64 v[54:55], v[220:221], v[52:53], -v[54:55]
	v_fma_f64 v[208:209], v[222:223], v[52:53], v[208:209]
	s_delay_alu instid0(VALU_DEP_2) | instskip(NEXT) | instid1(VALU_DEP_2)
	v_add_f64 v[0:1], v[0:1], -v[54:55]
	v_add_f64 v[2:3], v[2:3], -v[208:209]
	v_dual_mov_b32 v54, v228 :: v_dual_mov_b32 v55, v229
.LBB108_882:
	s_or_b32 exec_lo, exec_lo, s2
	v_lshl_add_u32 v208, v236, 4, v230
	s_barrier
	buffer_gl0_inv
	v_mov_b32_e32 v228, 42
	ds_store_2addr_b64 v208, v[48:49], v[50:51] offset1:1
	s_waitcnt lgkmcnt(0)
	s_barrier
	buffer_gl0_inv
	ds_load_2addr_b64 v[220:223], v230 offset0:84 offset1:85
	s_cmp_lt_i32 s5, 44
	s_cbranch_scc1 .LBB108_885
; %bb.883:
	v_add3_u32 v229, v234, 0, 0x2b0
	v_mov_b32_e32 v228, 42
	s_mov_b32 s6, 43
	s_set_inst_prefetch_distance 0x1
	.p2align	6
.LBB108_884:                            ; =>This Inner Loop Header: Depth=1
	ds_load_2addr_b64 v[237:240], v229 offset1:1
	s_waitcnt lgkmcnt(1)
	v_cmp_gt_f64_e32 vcc_lo, 0, v[220:221]
	v_xor_b32_e32 v208, 0x80000000, v221
	v_cmp_gt_f64_e64 s2, 0, v[222:223]
	v_xor_b32_e32 v210, 0x80000000, v223
	v_add_nc_u32_e32 v229, 16, v229
	s_waitcnt lgkmcnt(0)
	v_cmp_gt_f64_e64 s3, 0, v[237:238]
	v_mov_b32_e32 v212, v237
	v_dual_mov_b32 v214, v239 :: v_dual_cndmask_b32 v209, v221, v208
	v_xor_b32_e32 v208, 0x80000000, v238
	v_cndmask_b32_e64 v211, v223, v210, s2
	v_xor_b32_e32 v210, 0x80000000, v240
	s_delay_alu instid0(VALU_DEP_3) | instskip(SKIP_2) | instid1(VALU_DEP_2)
	v_cndmask_b32_e64 v213, v238, v208, s3
	v_cmp_gt_f64_e64 s3, 0, v[239:240]
	v_cndmask_b32_e32 v208, v220, v220, vcc_lo
	v_cndmask_b32_e64 v215, v240, v210, s3
	v_cndmask_b32_e64 v210, v222, v222, s2
	s_delay_alu instid0(VALU_DEP_2) | instskip(NEXT) | instid1(VALU_DEP_2)
	v_add_f64 v[212:213], v[212:213], v[214:215]
	v_add_f64 v[208:209], v[208:209], v[210:211]
	s_delay_alu instid0(VALU_DEP_1) | instskip(SKIP_4) | instid1(SALU_CYCLE_1)
	v_cmp_lt_f64_e32 vcc_lo, v[208:209], v[212:213]
	v_dual_cndmask_b32 v221, v221, v238 :: v_dual_cndmask_b32 v220, v220, v237
	v_dual_cndmask_b32 v223, v223, v240 :: v_dual_cndmask_b32 v222, v222, v239
	v_cndmask_b32_e64 v228, v228, s6, vcc_lo
	s_add_i32 s6, s6, 1
	s_cmp_lg_u32 s5, s6
	s_cbranch_scc1 .LBB108_884
.LBB108_885:
	s_set_inst_prefetch_distance 0x2
	s_waitcnt lgkmcnt(0)
	v_cmp_eq_f64_e32 vcc_lo, 0, v[220:221]
	v_cmp_eq_f64_e64 s2, 0, v[222:223]
	s_delay_alu instid0(VALU_DEP_1) | instskip(NEXT) | instid1(SALU_CYCLE_1)
	s_and_b32 s2, vcc_lo, s2
	s_and_saveexec_b32 s3, s2
	s_delay_alu instid0(SALU_CYCLE_1)
	s_xor_b32 s2, exec_lo, s3
; %bb.886:
	v_cmp_ne_u32_e32 vcc_lo, 0, v233
	v_cndmask_b32_e32 v233, 43, v233, vcc_lo
; %bb.887:
	s_and_not1_saveexec_b32 s3, s2
	s_cbranch_execz .LBB108_893
; %bb.888:
	v_cmp_gt_f64_e32 vcc_lo, 0, v[220:221]
	v_cmp_gt_f64_e64 s2, 0, v[222:223]
	v_xor_b32_e32 v208, 0x80000000, v221
	v_xor_b32_e32 v210, 0x80000000, v223
	s_delay_alu instid0(VALU_DEP_2) | instskip(NEXT) | instid1(VALU_DEP_2)
	v_cndmask_b32_e32 v209, v221, v208, vcc_lo
	v_cndmask_b32_e64 v211, v223, v210, s2
	v_cndmask_b32_e32 v208, v220, v220, vcc_lo
	v_cndmask_b32_e64 v210, v222, v222, s2
	s_mov_b32 s2, exec_lo
	s_delay_alu instid0(VALU_DEP_1)
	v_cmpx_ngt_f64_e32 v[208:209], v[210:211]
	s_xor_b32 s2, exec_lo, s2
	s_cbranch_execz .LBB108_890
; %bb.889:
	v_div_scale_f64 v[208:209], null, v[222:223], v[222:223], v[220:221]
	v_div_scale_f64 v[214:215], vcc_lo, v[220:221], v[222:223], v[220:221]
	s_delay_alu instid0(VALU_DEP_2) | instskip(SKIP_2) | instid1(VALU_DEP_1)
	v_rcp_f64_e32 v[210:211], v[208:209]
	s_waitcnt_depctr 0xfff
	v_fma_f64 v[212:213], -v[208:209], v[210:211], 1.0
	v_fma_f64 v[210:211], v[210:211], v[212:213], v[210:211]
	s_delay_alu instid0(VALU_DEP_1) | instskip(NEXT) | instid1(VALU_DEP_1)
	v_fma_f64 v[212:213], -v[208:209], v[210:211], 1.0
	v_fma_f64 v[210:211], v[210:211], v[212:213], v[210:211]
	s_delay_alu instid0(VALU_DEP_1) | instskip(NEXT) | instid1(VALU_DEP_1)
	v_mul_f64 v[212:213], v[214:215], v[210:211]
	v_fma_f64 v[208:209], -v[208:209], v[212:213], v[214:215]
	s_delay_alu instid0(VALU_DEP_1) | instskip(NEXT) | instid1(VALU_DEP_1)
	v_div_fmas_f64 v[208:209], v[208:209], v[210:211], v[212:213]
	v_div_fixup_f64 v[208:209], v[208:209], v[222:223], v[220:221]
	s_delay_alu instid0(VALU_DEP_1) | instskip(NEXT) | instid1(VALU_DEP_1)
	v_fma_f64 v[210:211], v[220:221], v[208:209], v[222:223]
	v_div_scale_f64 v[212:213], null, v[210:211], v[210:211], 1.0
	s_delay_alu instid0(VALU_DEP_1) | instskip(SKIP_2) | instid1(VALU_DEP_1)
	v_rcp_f64_e32 v[214:215], v[212:213]
	s_waitcnt_depctr 0xfff
	v_fma_f64 v[220:221], -v[212:213], v[214:215], 1.0
	v_fma_f64 v[214:215], v[214:215], v[220:221], v[214:215]
	s_delay_alu instid0(VALU_DEP_1) | instskip(NEXT) | instid1(VALU_DEP_1)
	v_fma_f64 v[220:221], -v[212:213], v[214:215], 1.0
	v_fma_f64 v[214:215], v[214:215], v[220:221], v[214:215]
	v_div_scale_f64 v[220:221], vcc_lo, 1.0, v[210:211], 1.0
	s_delay_alu instid0(VALU_DEP_1) | instskip(NEXT) | instid1(VALU_DEP_1)
	v_mul_f64 v[222:223], v[220:221], v[214:215]
	v_fma_f64 v[212:213], -v[212:213], v[222:223], v[220:221]
	s_delay_alu instid0(VALU_DEP_1) | instskip(NEXT) | instid1(VALU_DEP_1)
	v_div_fmas_f64 v[212:213], v[212:213], v[214:215], v[222:223]
	v_div_fixup_f64 v[222:223], v[212:213], v[210:211], 1.0
	s_delay_alu instid0(VALU_DEP_1)
	v_mul_f64 v[220:221], v[208:209], v[222:223]
	v_xor_b32_e32 v223, 0x80000000, v223
.LBB108_890:
	s_and_not1_saveexec_b32 s2, s2
	s_cbranch_execz .LBB108_892
; %bb.891:
	s_delay_alu instid0(VALU_DEP_1) | instskip(SKIP_1) | instid1(VALU_DEP_2)
	v_div_scale_f64 v[208:209], null, v[220:221], v[220:221], v[222:223]
	v_div_scale_f64 v[214:215], vcc_lo, v[222:223], v[220:221], v[222:223]
	v_rcp_f64_e32 v[210:211], v[208:209]
	s_waitcnt_depctr 0xfff
	v_fma_f64 v[212:213], -v[208:209], v[210:211], 1.0
	s_delay_alu instid0(VALU_DEP_1) | instskip(NEXT) | instid1(VALU_DEP_1)
	v_fma_f64 v[210:211], v[210:211], v[212:213], v[210:211]
	v_fma_f64 v[212:213], -v[208:209], v[210:211], 1.0
	s_delay_alu instid0(VALU_DEP_1) | instskip(NEXT) | instid1(VALU_DEP_1)
	v_fma_f64 v[210:211], v[210:211], v[212:213], v[210:211]
	v_mul_f64 v[212:213], v[214:215], v[210:211]
	s_delay_alu instid0(VALU_DEP_1) | instskip(NEXT) | instid1(VALU_DEP_1)
	v_fma_f64 v[208:209], -v[208:209], v[212:213], v[214:215]
	v_div_fmas_f64 v[208:209], v[208:209], v[210:211], v[212:213]
	s_delay_alu instid0(VALU_DEP_1) | instskip(NEXT) | instid1(VALU_DEP_1)
	v_div_fixup_f64 v[208:209], v[208:209], v[220:221], v[222:223]
	v_fma_f64 v[210:211], v[222:223], v[208:209], v[220:221]
	s_delay_alu instid0(VALU_DEP_1) | instskip(NEXT) | instid1(VALU_DEP_1)
	v_div_scale_f64 v[212:213], null, v[210:211], v[210:211], 1.0
	v_rcp_f64_e32 v[214:215], v[212:213]
	s_waitcnt_depctr 0xfff
	v_fma_f64 v[220:221], -v[212:213], v[214:215], 1.0
	s_delay_alu instid0(VALU_DEP_1) | instskip(NEXT) | instid1(VALU_DEP_1)
	v_fma_f64 v[214:215], v[214:215], v[220:221], v[214:215]
	v_fma_f64 v[220:221], -v[212:213], v[214:215], 1.0
	s_delay_alu instid0(VALU_DEP_1) | instskip(SKIP_1) | instid1(VALU_DEP_1)
	v_fma_f64 v[214:215], v[214:215], v[220:221], v[214:215]
	v_div_scale_f64 v[220:221], vcc_lo, 1.0, v[210:211], 1.0
	v_mul_f64 v[222:223], v[220:221], v[214:215]
	s_delay_alu instid0(VALU_DEP_1) | instskip(NEXT) | instid1(VALU_DEP_1)
	v_fma_f64 v[212:213], -v[212:213], v[222:223], v[220:221]
	v_div_fmas_f64 v[212:213], v[212:213], v[214:215], v[222:223]
	s_delay_alu instid0(VALU_DEP_1) | instskip(NEXT) | instid1(VALU_DEP_1)
	v_div_fixup_f64 v[220:221], v[212:213], v[210:211], 1.0
	v_mul_f64 v[222:223], v[208:209], -v[220:221]
.LBB108_892:
	s_or_b32 exec_lo, exec_lo, s2
.LBB108_893:
	s_delay_alu instid0(SALU_CYCLE_1) | instskip(NEXT) | instid1(SALU_CYCLE_1)
	s_or_b32 exec_lo, exec_lo, s3
	s_mov_b32 s2, exec_lo
	v_cmpx_ne_u32_e64 v236, v228
	s_xor_b32 s2, exec_lo, s2
	s_cbranch_execz .LBB108_899
; %bb.894:
	s_mov_b32 s3, exec_lo
	v_cmpx_eq_u32_e32 42, v236
	s_cbranch_execz .LBB108_898
; %bb.895:
	v_cmp_ne_u32_e32 vcc_lo, 42, v228
	s_xor_b32 s6, s4, -1
	s_delay_alu instid0(SALU_CYCLE_1) | instskip(NEXT) | instid1(SALU_CYCLE_1)
	s_and_b32 s7, s6, vcc_lo
	s_and_saveexec_b32 s6, s7
	s_cbranch_execz .LBB108_897
; %bb.896:
	v_ashrrev_i32_e32 v229, 31, v228
	s_delay_alu instid0(VALU_DEP_1) | instskip(NEXT) | instid1(VALU_DEP_1)
	v_lshlrev_b64 v[208:209], 2, v[228:229]
	v_add_co_u32 v208, vcc_lo, v231, v208
	s_delay_alu instid0(VALU_DEP_2)
	v_add_co_ci_u32_e32 v209, vcc_lo, v232, v209, vcc_lo
	s_clause 0x1
	flat_load_b32 v210, v[208:209]
	flat_load_b32 v211, v[231:232] offset:168
	s_waitcnt vmcnt(1) lgkmcnt(1)
	flat_store_b32 v[231:232], v210 offset:168
	s_waitcnt vmcnt(0) lgkmcnt(1)
	flat_store_b32 v[208:209], v211
.LBB108_897:
	s_or_b32 exec_lo, exec_lo, s6
	v_mov_b32_e32 v236, v228
	v_mov_b32_e32 v227, v228
.LBB108_898:
	s_or_b32 exec_lo, exec_lo, s3
.LBB108_899:
	s_and_not1_saveexec_b32 s2, s2
	s_cbranch_execz .LBB108_901
; %bb.900:
	v_mov_b32_e32 v236, 42
	ds_store_2addr_b64 v230, v[44:45], v[46:47] offset0:86 offset1:87
	ds_store_2addr_b64 v230, v[40:41], v[42:43] offset0:88 offset1:89
	;; [unrolled: 1-line block ×12, first 2 shown]
.LBB108_901:
	s_or_b32 exec_lo, exec_lo, s2
	s_delay_alu instid0(SALU_CYCLE_1)
	s_mov_b32 s2, exec_lo
	s_waitcnt lgkmcnt(0)
	s_waitcnt_vscnt null, 0x0
	s_barrier
	buffer_gl0_inv
	v_cmpx_lt_i32_e32 42, v236
	s_cbranch_execz .LBB108_903
; %bb.902:
	v_mul_f64 v[208:209], v[220:221], v[50:51]
	v_mul_f64 v[50:51], v[222:223], v[50:51]
	s_delay_alu instid0(VALU_DEP_2) | instskip(NEXT) | instid1(VALU_DEP_2)
	v_fma_f64 v[208:209], v[222:223], v[48:49], v[208:209]
	v_fma_f64 v[48:49], v[220:221], v[48:49], -v[50:51]
	ds_load_2addr_b64 v[220:223], v230 offset0:86 offset1:87
	s_waitcnt lgkmcnt(0)
	v_mul_f64 v[50:51], v[222:223], v[208:209]
	v_mul_f64 v[210:211], v[220:221], v[208:209]
	s_delay_alu instid0(VALU_DEP_2) | instskip(NEXT) | instid1(VALU_DEP_2)
	v_fma_f64 v[50:51], v[220:221], v[48:49], -v[50:51]
	v_fma_f64 v[210:211], v[222:223], v[48:49], v[210:211]
	ds_load_2addr_b64 v[220:223], v230 offset0:88 offset1:89
	v_add_f64 v[44:45], v[44:45], -v[50:51]
	v_add_f64 v[46:47], v[46:47], -v[210:211]
	s_waitcnt lgkmcnt(0)
	v_mul_f64 v[50:51], v[222:223], v[208:209]
	v_mul_f64 v[210:211], v[220:221], v[208:209]
	s_delay_alu instid0(VALU_DEP_2) | instskip(NEXT) | instid1(VALU_DEP_2)
	v_fma_f64 v[50:51], v[220:221], v[48:49], -v[50:51]
	v_fma_f64 v[210:211], v[222:223], v[48:49], v[210:211]
	ds_load_2addr_b64 v[220:223], v230 offset0:90 offset1:91
	v_add_f64 v[40:41], v[40:41], -v[50:51]
	v_add_f64 v[42:43], v[42:43], -v[210:211]
	;; [unrolled: 9-line block ×11, first 2 shown]
	s_waitcnt lgkmcnt(0)
	v_mul_f64 v[50:51], v[222:223], v[208:209]
	v_mul_f64 v[210:211], v[220:221], v[208:209]
	s_delay_alu instid0(VALU_DEP_2) | instskip(NEXT) | instid1(VALU_DEP_2)
	v_fma_f64 v[50:51], v[220:221], v[48:49], -v[50:51]
	v_fma_f64 v[210:211], v[222:223], v[48:49], v[210:211]
	s_delay_alu instid0(VALU_DEP_2) | instskip(NEXT) | instid1(VALU_DEP_2)
	v_add_f64 v[0:1], v[0:1], -v[50:51]
	v_add_f64 v[2:3], v[2:3], -v[210:211]
	v_dual_mov_b32 v50, v208 :: v_dual_mov_b32 v51, v209
.LBB108_903:
	s_or_b32 exec_lo, exec_lo, s2
	v_lshl_add_u32 v208, v236, 4, v230
	s_barrier
	buffer_gl0_inv
	v_mov_b32_e32 v228, 43
	ds_store_2addr_b64 v208, v[44:45], v[46:47] offset1:1
	s_waitcnt lgkmcnt(0)
	s_barrier
	buffer_gl0_inv
	ds_load_2addr_b64 v[220:223], v230 offset0:86 offset1:87
	s_cmp_lt_i32 s5, 45
	s_cbranch_scc1 .LBB108_906
; %bb.904:
	v_add3_u32 v229, v234, 0, 0x2c0
	v_mov_b32_e32 v228, 43
	s_mov_b32 s6, 44
	s_set_inst_prefetch_distance 0x1
	.p2align	6
.LBB108_905:                            ; =>This Inner Loop Header: Depth=1
	ds_load_2addr_b64 v[237:240], v229 offset1:1
	s_waitcnt lgkmcnt(1)
	v_cmp_gt_f64_e32 vcc_lo, 0, v[220:221]
	v_xor_b32_e32 v208, 0x80000000, v221
	v_cmp_gt_f64_e64 s2, 0, v[222:223]
	v_xor_b32_e32 v210, 0x80000000, v223
	v_add_nc_u32_e32 v229, 16, v229
	s_waitcnt lgkmcnt(0)
	v_cmp_gt_f64_e64 s3, 0, v[237:238]
	v_mov_b32_e32 v212, v237
	v_dual_mov_b32 v214, v239 :: v_dual_cndmask_b32 v209, v221, v208
	v_xor_b32_e32 v208, 0x80000000, v238
	v_cndmask_b32_e64 v211, v223, v210, s2
	v_xor_b32_e32 v210, 0x80000000, v240
	s_delay_alu instid0(VALU_DEP_3) | instskip(SKIP_2) | instid1(VALU_DEP_2)
	v_cndmask_b32_e64 v213, v238, v208, s3
	v_cmp_gt_f64_e64 s3, 0, v[239:240]
	v_cndmask_b32_e32 v208, v220, v220, vcc_lo
	v_cndmask_b32_e64 v215, v240, v210, s3
	v_cndmask_b32_e64 v210, v222, v222, s2
	s_delay_alu instid0(VALU_DEP_2) | instskip(NEXT) | instid1(VALU_DEP_2)
	v_add_f64 v[212:213], v[212:213], v[214:215]
	v_add_f64 v[208:209], v[208:209], v[210:211]
	s_delay_alu instid0(VALU_DEP_1) | instskip(SKIP_4) | instid1(SALU_CYCLE_1)
	v_cmp_lt_f64_e32 vcc_lo, v[208:209], v[212:213]
	v_dual_cndmask_b32 v221, v221, v238 :: v_dual_cndmask_b32 v220, v220, v237
	v_dual_cndmask_b32 v223, v223, v240 :: v_dual_cndmask_b32 v222, v222, v239
	v_cndmask_b32_e64 v228, v228, s6, vcc_lo
	s_add_i32 s6, s6, 1
	s_cmp_lg_u32 s5, s6
	s_cbranch_scc1 .LBB108_905
.LBB108_906:
	s_set_inst_prefetch_distance 0x2
	s_waitcnt lgkmcnt(0)
	v_cmp_eq_f64_e32 vcc_lo, 0, v[220:221]
	v_cmp_eq_f64_e64 s2, 0, v[222:223]
	s_delay_alu instid0(VALU_DEP_1) | instskip(NEXT) | instid1(SALU_CYCLE_1)
	s_and_b32 s2, vcc_lo, s2
	s_and_saveexec_b32 s3, s2
	s_delay_alu instid0(SALU_CYCLE_1)
	s_xor_b32 s2, exec_lo, s3
; %bb.907:
	v_cmp_ne_u32_e32 vcc_lo, 0, v233
	v_cndmask_b32_e32 v233, 44, v233, vcc_lo
; %bb.908:
	s_and_not1_saveexec_b32 s3, s2
	s_cbranch_execz .LBB108_914
; %bb.909:
	v_cmp_gt_f64_e32 vcc_lo, 0, v[220:221]
	v_cmp_gt_f64_e64 s2, 0, v[222:223]
	v_xor_b32_e32 v208, 0x80000000, v221
	v_xor_b32_e32 v210, 0x80000000, v223
	s_delay_alu instid0(VALU_DEP_2) | instskip(NEXT) | instid1(VALU_DEP_2)
	v_cndmask_b32_e32 v209, v221, v208, vcc_lo
	v_cndmask_b32_e64 v211, v223, v210, s2
	v_cndmask_b32_e32 v208, v220, v220, vcc_lo
	v_cndmask_b32_e64 v210, v222, v222, s2
	s_mov_b32 s2, exec_lo
	s_delay_alu instid0(VALU_DEP_1)
	v_cmpx_ngt_f64_e32 v[208:209], v[210:211]
	s_xor_b32 s2, exec_lo, s2
	s_cbranch_execz .LBB108_911
; %bb.910:
	v_div_scale_f64 v[208:209], null, v[222:223], v[222:223], v[220:221]
	v_div_scale_f64 v[214:215], vcc_lo, v[220:221], v[222:223], v[220:221]
	s_delay_alu instid0(VALU_DEP_2) | instskip(SKIP_2) | instid1(VALU_DEP_1)
	v_rcp_f64_e32 v[210:211], v[208:209]
	s_waitcnt_depctr 0xfff
	v_fma_f64 v[212:213], -v[208:209], v[210:211], 1.0
	v_fma_f64 v[210:211], v[210:211], v[212:213], v[210:211]
	s_delay_alu instid0(VALU_DEP_1) | instskip(NEXT) | instid1(VALU_DEP_1)
	v_fma_f64 v[212:213], -v[208:209], v[210:211], 1.0
	v_fma_f64 v[210:211], v[210:211], v[212:213], v[210:211]
	s_delay_alu instid0(VALU_DEP_1) | instskip(NEXT) | instid1(VALU_DEP_1)
	v_mul_f64 v[212:213], v[214:215], v[210:211]
	v_fma_f64 v[208:209], -v[208:209], v[212:213], v[214:215]
	s_delay_alu instid0(VALU_DEP_1) | instskip(NEXT) | instid1(VALU_DEP_1)
	v_div_fmas_f64 v[208:209], v[208:209], v[210:211], v[212:213]
	v_div_fixup_f64 v[208:209], v[208:209], v[222:223], v[220:221]
	s_delay_alu instid0(VALU_DEP_1) | instskip(NEXT) | instid1(VALU_DEP_1)
	v_fma_f64 v[210:211], v[220:221], v[208:209], v[222:223]
	v_div_scale_f64 v[212:213], null, v[210:211], v[210:211], 1.0
	s_delay_alu instid0(VALU_DEP_1) | instskip(SKIP_2) | instid1(VALU_DEP_1)
	v_rcp_f64_e32 v[214:215], v[212:213]
	s_waitcnt_depctr 0xfff
	v_fma_f64 v[220:221], -v[212:213], v[214:215], 1.0
	v_fma_f64 v[214:215], v[214:215], v[220:221], v[214:215]
	s_delay_alu instid0(VALU_DEP_1) | instskip(NEXT) | instid1(VALU_DEP_1)
	v_fma_f64 v[220:221], -v[212:213], v[214:215], 1.0
	v_fma_f64 v[214:215], v[214:215], v[220:221], v[214:215]
	v_div_scale_f64 v[220:221], vcc_lo, 1.0, v[210:211], 1.0
	s_delay_alu instid0(VALU_DEP_1) | instskip(NEXT) | instid1(VALU_DEP_1)
	v_mul_f64 v[222:223], v[220:221], v[214:215]
	v_fma_f64 v[212:213], -v[212:213], v[222:223], v[220:221]
	s_delay_alu instid0(VALU_DEP_1) | instskip(NEXT) | instid1(VALU_DEP_1)
	v_div_fmas_f64 v[212:213], v[212:213], v[214:215], v[222:223]
	v_div_fixup_f64 v[222:223], v[212:213], v[210:211], 1.0
	s_delay_alu instid0(VALU_DEP_1)
	v_mul_f64 v[220:221], v[208:209], v[222:223]
	v_xor_b32_e32 v223, 0x80000000, v223
.LBB108_911:
	s_and_not1_saveexec_b32 s2, s2
	s_cbranch_execz .LBB108_913
; %bb.912:
	s_delay_alu instid0(VALU_DEP_1) | instskip(SKIP_1) | instid1(VALU_DEP_2)
	v_div_scale_f64 v[208:209], null, v[220:221], v[220:221], v[222:223]
	v_div_scale_f64 v[214:215], vcc_lo, v[222:223], v[220:221], v[222:223]
	v_rcp_f64_e32 v[210:211], v[208:209]
	s_waitcnt_depctr 0xfff
	v_fma_f64 v[212:213], -v[208:209], v[210:211], 1.0
	s_delay_alu instid0(VALU_DEP_1) | instskip(NEXT) | instid1(VALU_DEP_1)
	v_fma_f64 v[210:211], v[210:211], v[212:213], v[210:211]
	v_fma_f64 v[212:213], -v[208:209], v[210:211], 1.0
	s_delay_alu instid0(VALU_DEP_1) | instskip(NEXT) | instid1(VALU_DEP_1)
	v_fma_f64 v[210:211], v[210:211], v[212:213], v[210:211]
	v_mul_f64 v[212:213], v[214:215], v[210:211]
	s_delay_alu instid0(VALU_DEP_1) | instskip(NEXT) | instid1(VALU_DEP_1)
	v_fma_f64 v[208:209], -v[208:209], v[212:213], v[214:215]
	v_div_fmas_f64 v[208:209], v[208:209], v[210:211], v[212:213]
	s_delay_alu instid0(VALU_DEP_1) | instskip(NEXT) | instid1(VALU_DEP_1)
	v_div_fixup_f64 v[208:209], v[208:209], v[220:221], v[222:223]
	v_fma_f64 v[210:211], v[222:223], v[208:209], v[220:221]
	s_delay_alu instid0(VALU_DEP_1) | instskip(NEXT) | instid1(VALU_DEP_1)
	v_div_scale_f64 v[212:213], null, v[210:211], v[210:211], 1.0
	v_rcp_f64_e32 v[214:215], v[212:213]
	s_waitcnt_depctr 0xfff
	v_fma_f64 v[220:221], -v[212:213], v[214:215], 1.0
	s_delay_alu instid0(VALU_DEP_1) | instskip(NEXT) | instid1(VALU_DEP_1)
	v_fma_f64 v[214:215], v[214:215], v[220:221], v[214:215]
	v_fma_f64 v[220:221], -v[212:213], v[214:215], 1.0
	s_delay_alu instid0(VALU_DEP_1) | instskip(SKIP_1) | instid1(VALU_DEP_1)
	v_fma_f64 v[214:215], v[214:215], v[220:221], v[214:215]
	v_div_scale_f64 v[220:221], vcc_lo, 1.0, v[210:211], 1.0
	v_mul_f64 v[222:223], v[220:221], v[214:215]
	s_delay_alu instid0(VALU_DEP_1) | instskip(NEXT) | instid1(VALU_DEP_1)
	v_fma_f64 v[212:213], -v[212:213], v[222:223], v[220:221]
	v_div_fmas_f64 v[212:213], v[212:213], v[214:215], v[222:223]
	s_delay_alu instid0(VALU_DEP_1) | instskip(NEXT) | instid1(VALU_DEP_1)
	v_div_fixup_f64 v[220:221], v[212:213], v[210:211], 1.0
	v_mul_f64 v[222:223], v[208:209], -v[220:221]
.LBB108_913:
	s_or_b32 exec_lo, exec_lo, s2
.LBB108_914:
	s_delay_alu instid0(SALU_CYCLE_1) | instskip(NEXT) | instid1(SALU_CYCLE_1)
	s_or_b32 exec_lo, exec_lo, s3
	s_mov_b32 s2, exec_lo
	v_cmpx_ne_u32_e64 v236, v228
	s_xor_b32 s2, exec_lo, s2
	s_cbranch_execz .LBB108_920
; %bb.915:
	s_mov_b32 s3, exec_lo
	v_cmpx_eq_u32_e32 43, v236
	s_cbranch_execz .LBB108_919
; %bb.916:
	v_cmp_ne_u32_e32 vcc_lo, 43, v228
	s_xor_b32 s6, s4, -1
	s_delay_alu instid0(SALU_CYCLE_1) | instskip(NEXT) | instid1(SALU_CYCLE_1)
	s_and_b32 s7, s6, vcc_lo
	s_and_saveexec_b32 s6, s7
	s_cbranch_execz .LBB108_918
; %bb.917:
	v_ashrrev_i32_e32 v229, 31, v228
	s_delay_alu instid0(VALU_DEP_1) | instskip(NEXT) | instid1(VALU_DEP_1)
	v_lshlrev_b64 v[208:209], 2, v[228:229]
	v_add_co_u32 v208, vcc_lo, v231, v208
	s_delay_alu instid0(VALU_DEP_2)
	v_add_co_ci_u32_e32 v209, vcc_lo, v232, v209, vcc_lo
	s_clause 0x1
	flat_load_b32 v210, v[208:209]
	flat_load_b32 v211, v[231:232] offset:172
	s_waitcnt vmcnt(1) lgkmcnt(1)
	flat_store_b32 v[231:232], v210 offset:172
	s_waitcnt vmcnt(0) lgkmcnt(1)
	flat_store_b32 v[208:209], v211
.LBB108_918:
	s_or_b32 exec_lo, exec_lo, s6
	v_mov_b32_e32 v236, v228
	v_mov_b32_e32 v227, v228
.LBB108_919:
	s_or_b32 exec_lo, exec_lo, s3
.LBB108_920:
	s_and_not1_saveexec_b32 s2, s2
	s_cbranch_execz .LBB108_922
; %bb.921:
	v_mov_b32_e32 v236, 43
	ds_store_2addr_b64 v230, v[40:41], v[42:43] offset0:88 offset1:89
	ds_store_2addr_b64 v230, v[36:37], v[38:39] offset0:90 offset1:91
	ds_store_2addr_b64 v230, v[32:33], v[34:35] offset0:92 offset1:93
	ds_store_2addr_b64 v230, v[28:29], v[30:31] offset0:94 offset1:95
	ds_store_2addr_b64 v230, v[24:25], v[26:27] offset0:96 offset1:97
	ds_store_2addr_b64 v230, v[20:21], v[22:23] offset0:98 offset1:99
	ds_store_2addr_b64 v230, v[16:17], v[18:19] offset0:100 offset1:101
	ds_store_2addr_b64 v230, v[12:13], v[14:15] offset0:102 offset1:103
	ds_store_2addr_b64 v230, v[8:9], v[10:11] offset0:104 offset1:105
	ds_store_2addr_b64 v230, v[4:5], v[6:7] offset0:106 offset1:107
	ds_store_2addr_b64 v230, v[0:1], v[2:3] offset0:108 offset1:109
.LBB108_922:
	s_or_b32 exec_lo, exec_lo, s2
	s_delay_alu instid0(SALU_CYCLE_1)
	s_mov_b32 s2, exec_lo
	s_waitcnt lgkmcnt(0)
	s_waitcnt_vscnt null, 0x0
	s_barrier
	buffer_gl0_inv
	v_cmpx_lt_i32_e32 43, v236
	s_cbranch_execz .LBB108_924
; %bb.923:
	v_mul_f64 v[208:209], v[220:221], v[46:47]
	v_mul_f64 v[46:47], v[222:223], v[46:47]
	s_delay_alu instid0(VALU_DEP_2) | instskip(NEXT) | instid1(VALU_DEP_2)
	v_fma_f64 v[208:209], v[222:223], v[44:45], v[208:209]
	v_fma_f64 v[44:45], v[220:221], v[44:45], -v[46:47]
	ds_load_2addr_b64 v[220:223], v230 offset0:88 offset1:89
	s_waitcnt lgkmcnt(0)
	v_mul_f64 v[46:47], v[222:223], v[208:209]
	v_mul_f64 v[210:211], v[220:221], v[208:209]
	s_delay_alu instid0(VALU_DEP_2) | instskip(NEXT) | instid1(VALU_DEP_2)
	v_fma_f64 v[46:47], v[220:221], v[44:45], -v[46:47]
	v_fma_f64 v[210:211], v[222:223], v[44:45], v[210:211]
	ds_load_2addr_b64 v[220:223], v230 offset0:90 offset1:91
	v_add_f64 v[40:41], v[40:41], -v[46:47]
	v_add_f64 v[42:43], v[42:43], -v[210:211]
	s_waitcnt lgkmcnt(0)
	v_mul_f64 v[46:47], v[222:223], v[208:209]
	v_mul_f64 v[210:211], v[220:221], v[208:209]
	s_delay_alu instid0(VALU_DEP_2) | instskip(NEXT) | instid1(VALU_DEP_2)
	v_fma_f64 v[46:47], v[220:221], v[44:45], -v[46:47]
	v_fma_f64 v[210:211], v[222:223], v[44:45], v[210:211]
	ds_load_2addr_b64 v[220:223], v230 offset0:92 offset1:93
	v_add_f64 v[36:37], v[36:37], -v[46:47]
	v_add_f64 v[38:39], v[38:39], -v[210:211]
	;; [unrolled: 9-line block ×10, first 2 shown]
	s_waitcnt lgkmcnt(0)
	v_mul_f64 v[46:47], v[222:223], v[208:209]
	v_mul_f64 v[210:211], v[220:221], v[208:209]
	s_delay_alu instid0(VALU_DEP_2) | instskip(NEXT) | instid1(VALU_DEP_2)
	v_fma_f64 v[46:47], v[220:221], v[44:45], -v[46:47]
	v_fma_f64 v[210:211], v[222:223], v[44:45], v[210:211]
	s_delay_alu instid0(VALU_DEP_2) | instskip(NEXT) | instid1(VALU_DEP_2)
	v_add_f64 v[0:1], v[0:1], -v[46:47]
	v_add_f64 v[2:3], v[2:3], -v[210:211]
	v_dual_mov_b32 v46, v208 :: v_dual_mov_b32 v47, v209
.LBB108_924:
	s_or_b32 exec_lo, exec_lo, s2
	v_lshl_add_u32 v208, v236, 4, v230
	s_barrier
	buffer_gl0_inv
	v_mov_b32_e32 v228, 44
	ds_store_2addr_b64 v208, v[40:41], v[42:43] offset1:1
	s_waitcnt lgkmcnt(0)
	s_barrier
	buffer_gl0_inv
	ds_load_2addr_b64 v[220:223], v230 offset0:88 offset1:89
	s_cmp_lt_i32 s5, 46
	s_cbranch_scc1 .LBB108_927
; %bb.925:
	v_add3_u32 v229, v234, 0, 0x2d0
	v_mov_b32_e32 v228, 44
	s_mov_b32 s6, 45
	s_set_inst_prefetch_distance 0x1
	.p2align	6
.LBB108_926:                            ; =>This Inner Loop Header: Depth=1
	ds_load_2addr_b64 v[237:240], v229 offset1:1
	s_waitcnt lgkmcnt(1)
	v_cmp_gt_f64_e32 vcc_lo, 0, v[220:221]
	v_xor_b32_e32 v208, 0x80000000, v221
	v_cmp_gt_f64_e64 s2, 0, v[222:223]
	v_xor_b32_e32 v210, 0x80000000, v223
	v_add_nc_u32_e32 v229, 16, v229
	s_waitcnt lgkmcnt(0)
	v_cmp_gt_f64_e64 s3, 0, v[237:238]
	v_mov_b32_e32 v212, v237
	v_dual_mov_b32 v214, v239 :: v_dual_cndmask_b32 v209, v221, v208
	v_xor_b32_e32 v208, 0x80000000, v238
	v_cndmask_b32_e64 v211, v223, v210, s2
	v_xor_b32_e32 v210, 0x80000000, v240
	s_delay_alu instid0(VALU_DEP_3) | instskip(SKIP_2) | instid1(VALU_DEP_2)
	v_cndmask_b32_e64 v213, v238, v208, s3
	v_cmp_gt_f64_e64 s3, 0, v[239:240]
	v_cndmask_b32_e32 v208, v220, v220, vcc_lo
	v_cndmask_b32_e64 v215, v240, v210, s3
	v_cndmask_b32_e64 v210, v222, v222, s2
	s_delay_alu instid0(VALU_DEP_2) | instskip(NEXT) | instid1(VALU_DEP_2)
	v_add_f64 v[212:213], v[212:213], v[214:215]
	v_add_f64 v[208:209], v[208:209], v[210:211]
	s_delay_alu instid0(VALU_DEP_1) | instskip(SKIP_4) | instid1(SALU_CYCLE_1)
	v_cmp_lt_f64_e32 vcc_lo, v[208:209], v[212:213]
	v_dual_cndmask_b32 v221, v221, v238 :: v_dual_cndmask_b32 v220, v220, v237
	v_dual_cndmask_b32 v223, v223, v240 :: v_dual_cndmask_b32 v222, v222, v239
	v_cndmask_b32_e64 v228, v228, s6, vcc_lo
	s_add_i32 s6, s6, 1
	s_cmp_lg_u32 s5, s6
	s_cbranch_scc1 .LBB108_926
.LBB108_927:
	s_set_inst_prefetch_distance 0x2
	s_waitcnt lgkmcnt(0)
	v_cmp_eq_f64_e32 vcc_lo, 0, v[220:221]
	v_cmp_eq_f64_e64 s2, 0, v[222:223]
	s_delay_alu instid0(VALU_DEP_1) | instskip(NEXT) | instid1(SALU_CYCLE_1)
	s_and_b32 s2, vcc_lo, s2
	s_and_saveexec_b32 s3, s2
	s_delay_alu instid0(SALU_CYCLE_1)
	s_xor_b32 s2, exec_lo, s3
; %bb.928:
	v_cmp_ne_u32_e32 vcc_lo, 0, v233
	v_cndmask_b32_e32 v233, 45, v233, vcc_lo
; %bb.929:
	s_and_not1_saveexec_b32 s3, s2
	s_cbranch_execz .LBB108_935
; %bb.930:
	v_cmp_gt_f64_e32 vcc_lo, 0, v[220:221]
	v_cmp_gt_f64_e64 s2, 0, v[222:223]
	v_xor_b32_e32 v208, 0x80000000, v221
	v_xor_b32_e32 v210, 0x80000000, v223
	s_delay_alu instid0(VALU_DEP_2) | instskip(NEXT) | instid1(VALU_DEP_2)
	v_cndmask_b32_e32 v209, v221, v208, vcc_lo
	v_cndmask_b32_e64 v211, v223, v210, s2
	v_cndmask_b32_e32 v208, v220, v220, vcc_lo
	v_cndmask_b32_e64 v210, v222, v222, s2
	s_mov_b32 s2, exec_lo
	s_delay_alu instid0(VALU_DEP_1)
	v_cmpx_ngt_f64_e32 v[208:209], v[210:211]
	s_xor_b32 s2, exec_lo, s2
	s_cbranch_execz .LBB108_932
; %bb.931:
	v_div_scale_f64 v[208:209], null, v[222:223], v[222:223], v[220:221]
	v_div_scale_f64 v[214:215], vcc_lo, v[220:221], v[222:223], v[220:221]
	s_delay_alu instid0(VALU_DEP_2) | instskip(SKIP_2) | instid1(VALU_DEP_1)
	v_rcp_f64_e32 v[210:211], v[208:209]
	s_waitcnt_depctr 0xfff
	v_fma_f64 v[212:213], -v[208:209], v[210:211], 1.0
	v_fma_f64 v[210:211], v[210:211], v[212:213], v[210:211]
	s_delay_alu instid0(VALU_DEP_1) | instskip(NEXT) | instid1(VALU_DEP_1)
	v_fma_f64 v[212:213], -v[208:209], v[210:211], 1.0
	v_fma_f64 v[210:211], v[210:211], v[212:213], v[210:211]
	s_delay_alu instid0(VALU_DEP_1) | instskip(NEXT) | instid1(VALU_DEP_1)
	v_mul_f64 v[212:213], v[214:215], v[210:211]
	v_fma_f64 v[208:209], -v[208:209], v[212:213], v[214:215]
	s_delay_alu instid0(VALU_DEP_1) | instskip(NEXT) | instid1(VALU_DEP_1)
	v_div_fmas_f64 v[208:209], v[208:209], v[210:211], v[212:213]
	v_div_fixup_f64 v[208:209], v[208:209], v[222:223], v[220:221]
	s_delay_alu instid0(VALU_DEP_1) | instskip(NEXT) | instid1(VALU_DEP_1)
	v_fma_f64 v[210:211], v[220:221], v[208:209], v[222:223]
	v_div_scale_f64 v[212:213], null, v[210:211], v[210:211], 1.0
	s_delay_alu instid0(VALU_DEP_1) | instskip(SKIP_2) | instid1(VALU_DEP_1)
	v_rcp_f64_e32 v[214:215], v[212:213]
	s_waitcnt_depctr 0xfff
	v_fma_f64 v[220:221], -v[212:213], v[214:215], 1.0
	v_fma_f64 v[214:215], v[214:215], v[220:221], v[214:215]
	s_delay_alu instid0(VALU_DEP_1) | instskip(NEXT) | instid1(VALU_DEP_1)
	v_fma_f64 v[220:221], -v[212:213], v[214:215], 1.0
	v_fma_f64 v[214:215], v[214:215], v[220:221], v[214:215]
	v_div_scale_f64 v[220:221], vcc_lo, 1.0, v[210:211], 1.0
	s_delay_alu instid0(VALU_DEP_1) | instskip(NEXT) | instid1(VALU_DEP_1)
	v_mul_f64 v[222:223], v[220:221], v[214:215]
	v_fma_f64 v[212:213], -v[212:213], v[222:223], v[220:221]
	s_delay_alu instid0(VALU_DEP_1) | instskip(NEXT) | instid1(VALU_DEP_1)
	v_div_fmas_f64 v[212:213], v[212:213], v[214:215], v[222:223]
	v_div_fixup_f64 v[222:223], v[212:213], v[210:211], 1.0
	s_delay_alu instid0(VALU_DEP_1)
	v_mul_f64 v[220:221], v[208:209], v[222:223]
	v_xor_b32_e32 v223, 0x80000000, v223
.LBB108_932:
	s_and_not1_saveexec_b32 s2, s2
	s_cbranch_execz .LBB108_934
; %bb.933:
	s_delay_alu instid0(VALU_DEP_1) | instskip(SKIP_1) | instid1(VALU_DEP_2)
	v_div_scale_f64 v[208:209], null, v[220:221], v[220:221], v[222:223]
	v_div_scale_f64 v[214:215], vcc_lo, v[222:223], v[220:221], v[222:223]
	v_rcp_f64_e32 v[210:211], v[208:209]
	s_waitcnt_depctr 0xfff
	v_fma_f64 v[212:213], -v[208:209], v[210:211], 1.0
	s_delay_alu instid0(VALU_DEP_1) | instskip(NEXT) | instid1(VALU_DEP_1)
	v_fma_f64 v[210:211], v[210:211], v[212:213], v[210:211]
	v_fma_f64 v[212:213], -v[208:209], v[210:211], 1.0
	s_delay_alu instid0(VALU_DEP_1) | instskip(NEXT) | instid1(VALU_DEP_1)
	v_fma_f64 v[210:211], v[210:211], v[212:213], v[210:211]
	v_mul_f64 v[212:213], v[214:215], v[210:211]
	s_delay_alu instid0(VALU_DEP_1) | instskip(NEXT) | instid1(VALU_DEP_1)
	v_fma_f64 v[208:209], -v[208:209], v[212:213], v[214:215]
	v_div_fmas_f64 v[208:209], v[208:209], v[210:211], v[212:213]
	s_delay_alu instid0(VALU_DEP_1) | instskip(NEXT) | instid1(VALU_DEP_1)
	v_div_fixup_f64 v[208:209], v[208:209], v[220:221], v[222:223]
	v_fma_f64 v[210:211], v[222:223], v[208:209], v[220:221]
	s_delay_alu instid0(VALU_DEP_1) | instskip(NEXT) | instid1(VALU_DEP_1)
	v_div_scale_f64 v[212:213], null, v[210:211], v[210:211], 1.0
	v_rcp_f64_e32 v[214:215], v[212:213]
	s_waitcnt_depctr 0xfff
	v_fma_f64 v[220:221], -v[212:213], v[214:215], 1.0
	s_delay_alu instid0(VALU_DEP_1) | instskip(NEXT) | instid1(VALU_DEP_1)
	v_fma_f64 v[214:215], v[214:215], v[220:221], v[214:215]
	v_fma_f64 v[220:221], -v[212:213], v[214:215], 1.0
	s_delay_alu instid0(VALU_DEP_1) | instskip(SKIP_1) | instid1(VALU_DEP_1)
	v_fma_f64 v[214:215], v[214:215], v[220:221], v[214:215]
	v_div_scale_f64 v[220:221], vcc_lo, 1.0, v[210:211], 1.0
	v_mul_f64 v[222:223], v[220:221], v[214:215]
	s_delay_alu instid0(VALU_DEP_1) | instskip(NEXT) | instid1(VALU_DEP_1)
	v_fma_f64 v[212:213], -v[212:213], v[222:223], v[220:221]
	v_div_fmas_f64 v[212:213], v[212:213], v[214:215], v[222:223]
	s_delay_alu instid0(VALU_DEP_1) | instskip(NEXT) | instid1(VALU_DEP_1)
	v_div_fixup_f64 v[220:221], v[212:213], v[210:211], 1.0
	v_mul_f64 v[222:223], v[208:209], -v[220:221]
.LBB108_934:
	s_or_b32 exec_lo, exec_lo, s2
.LBB108_935:
	s_delay_alu instid0(SALU_CYCLE_1) | instskip(NEXT) | instid1(SALU_CYCLE_1)
	s_or_b32 exec_lo, exec_lo, s3
	s_mov_b32 s2, exec_lo
	v_cmpx_ne_u32_e64 v236, v228
	s_xor_b32 s2, exec_lo, s2
	s_cbranch_execz .LBB108_941
; %bb.936:
	s_mov_b32 s3, exec_lo
	v_cmpx_eq_u32_e32 44, v236
	s_cbranch_execz .LBB108_940
; %bb.937:
	v_cmp_ne_u32_e32 vcc_lo, 44, v228
	s_xor_b32 s6, s4, -1
	s_delay_alu instid0(SALU_CYCLE_1) | instskip(NEXT) | instid1(SALU_CYCLE_1)
	s_and_b32 s7, s6, vcc_lo
	s_and_saveexec_b32 s6, s7
	s_cbranch_execz .LBB108_939
; %bb.938:
	v_ashrrev_i32_e32 v229, 31, v228
	s_delay_alu instid0(VALU_DEP_1) | instskip(NEXT) | instid1(VALU_DEP_1)
	v_lshlrev_b64 v[208:209], 2, v[228:229]
	v_add_co_u32 v208, vcc_lo, v231, v208
	s_delay_alu instid0(VALU_DEP_2)
	v_add_co_ci_u32_e32 v209, vcc_lo, v232, v209, vcc_lo
	s_clause 0x1
	flat_load_b32 v210, v[208:209]
	flat_load_b32 v211, v[231:232] offset:176
	s_waitcnt vmcnt(1) lgkmcnt(1)
	flat_store_b32 v[231:232], v210 offset:176
	s_waitcnt vmcnt(0) lgkmcnt(1)
	flat_store_b32 v[208:209], v211
.LBB108_939:
	s_or_b32 exec_lo, exec_lo, s6
	v_mov_b32_e32 v236, v228
	v_mov_b32_e32 v227, v228
.LBB108_940:
	s_or_b32 exec_lo, exec_lo, s3
.LBB108_941:
	s_and_not1_saveexec_b32 s2, s2
	s_cbranch_execz .LBB108_943
; %bb.942:
	v_mov_b32_e32 v236, 44
	ds_store_2addr_b64 v230, v[36:37], v[38:39] offset0:90 offset1:91
	ds_store_2addr_b64 v230, v[32:33], v[34:35] offset0:92 offset1:93
	;; [unrolled: 1-line block ×10, first 2 shown]
.LBB108_943:
	s_or_b32 exec_lo, exec_lo, s2
	s_delay_alu instid0(SALU_CYCLE_1)
	s_mov_b32 s2, exec_lo
	s_waitcnt lgkmcnt(0)
	s_waitcnt_vscnt null, 0x0
	s_barrier
	buffer_gl0_inv
	v_cmpx_lt_i32_e32 44, v236
	s_cbranch_execz .LBB108_945
; %bb.944:
	v_mul_f64 v[208:209], v[220:221], v[42:43]
	v_mul_f64 v[42:43], v[222:223], v[42:43]
	s_delay_alu instid0(VALU_DEP_2) | instskip(NEXT) | instid1(VALU_DEP_2)
	v_fma_f64 v[208:209], v[222:223], v[40:41], v[208:209]
	v_fma_f64 v[40:41], v[220:221], v[40:41], -v[42:43]
	ds_load_2addr_b64 v[220:223], v230 offset0:90 offset1:91
	s_waitcnt lgkmcnt(0)
	v_mul_f64 v[42:43], v[222:223], v[208:209]
	v_mul_f64 v[210:211], v[220:221], v[208:209]
	s_delay_alu instid0(VALU_DEP_2) | instskip(NEXT) | instid1(VALU_DEP_2)
	v_fma_f64 v[42:43], v[220:221], v[40:41], -v[42:43]
	v_fma_f64 v[210:211], v[222:223], v[40:41], v[210:211]
	ds_load_2addr_b64 v[220:223], v230 offset0:92 offset1:93
	v_add_f64 v[36:37], v[36:37], -v[42:43]
	v_add_f64 v[38:39], v[38:39], -v[210:211]
	s_waitcnt lgkmcnt(0)
	v_mul_f64 v[42:43], v[222:223], v[208:209]
	v_mul_f64 v[210:211], v[220:221], v[208:209]
	s_delay_alu instid0(VALU_DEP_2) | instskip(NEXT) | instid1(VALU_DEP_2)
	v_fma_f64 v[42:43], v[220:221], v[40:41], -v[42:43]
	v_fma_f64 v[210:211], v[222:223], v[40:41], v[210:211]
	ds_load_2addr_b64 v[220:223], v230 offset0:94 offset1:95
	v_add_f64 v[32:33], v[32:33], -v[42:43]
	v_add_f64 v[34:35], v[34:35], -v[210:211]
	;; [unrolled: 9-line block ×9, first 2 shown]
	s_waitcnt lgkmcnt(0)
	v_mul_f64 v[42:43], v[222:223], v[208:209]
	v_mul_f64 v[210:211], v[220:221], v[208:209]
	s_delay_alu instid0(VALU_DEP_2) | instskip(NEXT) | instid1(VALU_DEP_2)
	v_fma_f64 v[42:43], v[220:221], v[40:41], -v[42:43]
	v_fma_f64 v[210:211], v[222:223], v[40:41], v[210:211]
	s_delay_alu instid0(VALU_DEP_2) | instskip(NEXT) | instid1(VALU_DEP_2)
	v_add_f64 v[0:1], v[0:1], -v[42:43]
	v_add_f64 v[2:3], v[2:3], -v[210:211]
	v_dual_mov_b32 v42, v208 :: v_dual_mov_b32 v43, v209
.LBB108_945:
	s_or_b32 exec_lo, exec_lo, s2
	v_lshl_add_u32 v208, v236, 4, v230
	s_barrier
	buffer_gl0_inv
	v_mov_b32_e32 v228, 45
	ds_store_2addr_b64 v208, v[36:37], v[38:39] offset1:1
	s_waitcnt lgkmcnt(0)
	s_barrier
	buffer_gl0_inv
	ds_load_2addr_b64 v[220:223], v230 offset0:90 offset1:91
	s_cmp_lt_i32 s5, 47
	s_cbranch_scc1 .LBB108_948
; %bb.946:
	v_add3_u32 v229, v234, 0, 0x2e0
	v_mov_b32_e32 v228, 45
	s_mov_b32 s6, 46
	s_set_inst_prefetch_distance 0x1
	.p2align	6
.LBB108_947:                            ; =>This Inner Loop Header: Depth=1
	ds_load_2addr_b64 v[237:240], v229 offset1:1
	s_waitcnt lgkmcnt(1)
	v_cmp_gt_f64_e32 vcc_lo, 0, v[220:221]
	v_xor_b32_e32 v208, 0x80000000, v221
	v_cmp_gt_f64_e64 s2, 0, v[222:223]
	v_xor_b32_e32 v210, 0x80000000, v223
	v_add_nc_u32_e32 v229, 16, v229
	s_waitcnt lgkmcnt(0)
	v_cmp_gt_f64_e64 s3, 0, v[237:238]
	v_mov_b32_e32 v212, v237
	v_dual_mov_b32 v214, v239 :: v_dual_cndmask_b32 v209, v221, v208
	v_xor_b32_e32 v208, 0x80000000, v238
	v_cndmask_b32_e64 v211, v223, v210, s2
	v_xor_b32_e32 v210, 0x80000000, v240
	s_delay_alu instid0(VALU_DEP_3) | instskip(SKIP_2) | instid1(VALU_DEP_2)
	v_cndmask_b32_e64 v213, v238, v208, s3
	v_cmp_gt_f64_e64 s3, 0, v[239:240]
	v_cndmask_b32_e32 v208, v220, v220, vcc_lo
	v_cndmask_b32_e64 v215, v240, v210, s3
	v_cndmask_b32_e64 v210, v222, v222, s2
	s_delay_alu instid0(VALU_DEP_2) | instskip(NEXT) | instid1(VALU_DEP_2)
	v_add_f64 v[212:213], v[212:213], v[214:215]
	v_add_f64 v[208:209], v[208:209], v[210:211]
	s_delay_alu instid0(VALU_DEP_1) | instskip(SKIP_4) | instid1(SALU_CYCLE_1)
	v_cmp_lt_f64_e32 vcc_lo, v[208:209], v[212:213]
	v_dual_cndmask_b32 v221, v221, v238 :: v_dual_cndmask_b32 v220, v220, v237
	v_dual_cndmask_b32 v223, v223, v240 :: v_dual_cndmask_b32 v222, v222, v239
	v_cndmask_b32_e64 v228, v228, s6, vcc_lo
	s_add_i32 s6, s6, 1
	s_cmp_lg_u32 s5, s6
	s_cbranch_scc1 .LBB108_947
.LBB108_948:
	s_set_inst_prefetch_distance 0x2
	s_waitcnt lgkmcnt(0)
	v_cmp_eq_f64_e32 vcc_lo, 0, v[220:221]
	v_cmp_eq_f64_e64 s2, 0, v[222:223]
	s_delay_alu instid0(VALU_DEP_1) | instskip(NEXT) | instid1(SALU_CYCLE_1)
	s_and_b32 s2, vcc_lo, s2
	s_and_saveexec_b32 s3, s2
	s_delay_alu instid0(SALU_CYCLE_1)
	s_xor_b32 s2, exec_lo, s3
; %bb.949:
	v_cmp_ne_u32_e32 vcc_lo, 0, v233
	v_cndmask_b32_e32 v233, 46, v233, vcc_lo
; %bb.950:
	s_and_not1_saveexec_b32 s3, s2
	s_cbranch_execz .LBB108_956
; %bb.951:
	v_cmp_gt_f64_e32 vcc_lo, 0, v[220:221]
	v_cmp_gt_f64_e64 s2, 0, v[222:223]
	v_xor_b32_e32 v208, 0x80000000, v221
	v_xor_b32_e32 v210, 0x80000000, v223
	s_delay_alu instid0(VALU_DEP_2) | instskip(NEXT) | instid1(VALU_DEP_2)
	v_cndmask_b32_e32 v209, v221, v208, vcc_lo
	v_cndmask_b32_e64 v211, v223, v210, s2
	v_cndmask_b32_e32 v208, v220, v220, vcc_lo
	v_cndmask_b32_e64 v210, v222, v222, s2
	s_mov_b32 s2, exec_lo
	s_delay_alu instid0(VALU_DEP_1)
	v_cmpx_ngt_f64_e32 v[208:209], v[210:211]
	s_xor_b32 s2, exec_lo, s2
	s_cbranch_execz .LBB108_953
; %bb.952:
	v_div_scale_f64 v[208:209], null, v[222:223], v[222:223], v[220:221]
	v_div_scale_f64 v[214:215], vcc_lo, v[220:221], v[222:223], v[220:221]
	s_delay_alu instid0(VALU_DEP_2) | instskip(SKIP_2) | instid1(VALU_DEP_1)
	v_rcp_f64_e32 v[210:211], v[208:209]
	s_waitcnt_depctr 0xfff
	v_fma_f64 v[212:213], -v[208:209], v[210:211], 1.0
	v_fma_f64 v[210:211], v[210:211], v[212:213], v[210:211]
	s_delay_alu instid0(VALU_DEP_1) | instskip(NEXT) | instid1(VALU_DEP_1)
	v_fma_f64 v[212:213], -v[208:209], v[210:211], 1.0
	v_fma_f64 v[210:211], v[210:211], v[212:213], v[210:211]
	s_delay_alu instid0(VALU_DEP_1) | instskip(NEXT) | instid1(VALU_DEP_1)
	v_mul_f64 v[212:213], v[214:215], v[210:211]
	v_fma_f64 v[208:209], -v[208:209], v[212:213], v[214:215]
	s_delay_alu instid0(VALU_DEP_1) | instskip(NEXT) | instid1(VALU_DEP_1)
	v_div_fmas_f64 v[208:209], v[208:209], v[210:211], v[212:213]
	v_div_fixup_f64 v[208:209], v[208:209], v[222:223], v[220:221]
	s_delay_alu instid0(VALU_DEP_1) | instskip(NEXT) | instid1(VALU_DEP_1)
	v_fma_f64 v[210:211], v[220:221], v[208:209], v[222:223]
	v_div_scale_f64 v[212:213], null, v[210:211], v[210:211], 1.0
	s_delay_alu instid0(VALU_DEP_1) | instskip(SKIP_2) | instid1(VALU_DEP_1)
	v_rcp_f64_e32 v[214:215], v[212:213]
	s_waitcnt_depctr 0xfff
	v_fma_f64 v[220:221], -v[212:213], v[214:215], 1.0
	v_fma_f64 v[214:215], v[214:215], v[220:221], v[214:215]
	s_delay_alu instid0(VALU_DEP_1) | instskip(NEXT) | instid1(VALU_DEP_1)
	v_fma_f64 v[220:221], -v[212:213], v[214:215], 1.0
	v_fma_f64 v[214:215], v[214:215], v[220:221], v[214:215]
	v_div_scale_f64 v[220:221], vcc_lo, 1.0, v[210:211], 1.0
	s_delay_alu instid0(VALU_DEP_1) | instskip(NEXT) | instid1(VALU_DEP_1)
	v_mul_f64 v[222:223], v[220:221], v[214:215]
	v_fma_f64 v[212:213], -v[212:213], v[222:223], v[220:221]
	s_delay_alu instid0(VALU_DEP_1) | instskip(NEXT) | instid1(VALU_DEP_1)
	v_div_fmas_f64 v[212:213], v[212:213], v[214:215], v[222:223]
	v_div_fixup_f64 v[222:223], v[212:213], v[210:211], 1.0
	s_delay_alu instid0(VALU_DEP_1)
	v_mul_f64 v[220:221], v[208:209], v[222:223]
	v_xor_b32_e32 v223, 0x80000000, v223
.LBB108_953:
	s_and_not1_saveexec_b32 s2, s2
	s_cbranch_execz .LBB108_955
; %bb.954:
	s_delay_alu instid0(VALU_DEP_1) | instskip(SKIP_1) | instid1(VALU_DEP_2)
	v_div_scale_f64 v[208:209], null, v[220:221], v[220:221], v[222:223]
	v_div_scale_f64 v[214:215], vcc_lo, v[222:223], v[220:221], v[222:223]
	v_rcp_f64_e32 v[210:211], v[208:209]
	s_waitcnt_depctr 0xfff
	v_fma_f64 v[212:213], -v[208:209], v[210:211], 1.0
	s_delay_alu instid0(VALU_DEP_1) | instskip(NEXT) | instid1(VALU_DEP_1)
	v_fma_f64 v[210:211], v[210:211], v[212:213], v[210:211]
	v_fma_f64 v[212:213], -v[208:209], v[210:211], 1.0
	s_delay_alu instid0(VALU_DEP_1) | instskip(NEXT) | instid1(VALU_DEP_1)
	v_fma_f64 v[210:211], v[210:211], v[212:213], v[210:211]
	v_mul_f64 v[212:213], v[214:215], v[210:211]
	s_delay_alu instid0(VALU_DEP_1) | instskip(NEXT) | instid1(VALU_DEP_1)
	v_fma_f64 v[208:209], -v[208:209], v[212:213], v[214:215]
	v_div_fmas_f64 v[208:209], v[208:209], v[210:211], v[212:213]
	s_delay_alu instid0(VALU_DEP_1) | instskip(NEXT) | instid1(VALU_DEP_1)
	v_div_fixup_f64 v[208:209], v[208:209], v[220:221], v[222:223]
	v_fma_f64 v[210:211], v[222:223], v[208:209], v[220:221]
	s_delay_alu instid0(VALU_DEP_1) | instskip(NEXT) | instid1(VALU_DEP_1)
	v_div_scale_f64 v[212:213], null, v[210:211], v[210:211], 1.0
	v_rcp_f64_e32 v[214:215], v[212:213]
	s_waitcnt_depctr 0xfff
	v_fma_f64 v[220:221], -v[212:213], v[214:215], 1.0
	s_delay_alu instid0(VALU_DEP_1) | instskip(NEXT) | instid1(VALU_DEP_1)
	v_fma_f64 v[214:215], v[214:215], v[220:221], v[214:215]
	v_fma_f64 v[220:221], -v[212:213], v[214:215], 1.0
	s_delay_alu instid0(VALU_DEP_1) | instskip(SKIP_1) | instid1(VALU_DEP_1)
	v_fma_f64 v[214:215], v[214:215], v[220:221], v[214:215]
	v_div_scale_f64 v[220:221], vcc_lo, 1.0, v[210:211], 1.0
	v_mul_f64 v[222:223], v[220:221], v[214:215]
	s_delay_alu instid0(VALU_DEP_1) | instskip(NEXT) | instid1(VALU_DEP_1)
	v_fma_f64 v[212:213], -v[212:213], v[222:223], v[220:221]
	v_div_fmas_f64 v[212:213], v[212:213], v[214:215], v[222:223]
	s_delay_alu instid0(VALU_DEP_1) | instskip(NEXT) | instid1(VALU_DEP_1)
	v_div_fixup_f64 v[220:221], v[212:213], v[210:211], 1.0
	v_mul_f64 v[222:223], v[208:209], -v[220:221]
.LBB108_955:
	s_or_b32 exec_lo, exec_lo, s2
.LBB108_956:
	s_delay_alu instid0(SALU_CYCLE_1) | instskip(NEXT) | instid1(SALU_CYCLE_1)
	s_or_b32 exec_lo, exec_lo, s3
	s_mov_b32 s2, exec_lo
	v_cmpx_ne_u32_e64 v236, v228
	s_xor_b32 s2, exec_lo, s2
	s_cbranch_execz .LBB108_962
; %bb.957:
	s_mov_b32 s3, exec_lo
	v_cmpx_eq_u32_e32 45, v236
	s_cbranch_execz .LBB108_961
; %bb.958:
	v_cmp_ne_u32_e32 vcc_lo, 45, v228
	s_xor_b32 s6, s4, -1
	s_delay_alu instid0(SALU_CYCLE_1) | instskip(NEXT) | instid1(SALU_CYCLE_1)
	s_and_b32 s7, s6, vcc_lo
	s_and_saveexec_b32 s6, s7
	s_cbranch_execz .LBB108_960
; %bb.959:
	v_ashrrev_i32_e32 v229, 31, v228
	s_delay_alu instid0(VALU_DEP_1) | instskip(NEXT) | instid1(VALU_DEP_1)
	v_lshlrev_b64 v[208:209], 2, v[228:229]
	v_add_co_u32 v208, vcc_lo, v231, v208
	s_delay_alu instid0(VALU_DEP_2)
	v_add_co_ci_u32_e32 v209, vcc_lo, v232, v209, vcc_lo
	s_clause 0x1
	flat_load_b32 v210, v[208:209]
	flat_load_b32 v211, v[231:232] offset:180
	s_waitcnt vmcnt(1) lgkmcnt(1)
	flat_store_b32 v[231:232], v210 offset:180
	s_waitcnt vmcnt(0) lgkmcnt(1)
	flat_store_b32 v[208:209], v211
.LBB108_960:
	s_or_b32 exec_lo, exec_lo, s6
	v_mov_b32_e32 v236, v228
	v_mov_b32_e32 v227, v228
.LBB108_961:
	s_or_b32 exec_lo, exec_lo, s3
.LBB108_962:
	s_and_not1_saveexec_b32 s2, s2
	s_cbranch_execz .LBB108_964
; %bb.963:
	v_mov_b32_e32 v236, 45
	ds_store_2addr_b64 v230, v[32:33], v[34:35] offset0:92 offset1:93
	ds_store_2addr_b64 v230, v[28:29], v[30:31] offset0:94 offset1:95
	;; [unrolled: 1-line block ×9, first 2 shown]
.LBB108_964:
	s_or_b32 exec_lo, exec_lo, s2
	s_delay_alu instid0(SALU_CYCLE_1)
	s_mov_b32 s2, exec_lo
	s_waitcnt lgkmcnt(0)
	s_waitcnt_vscnt null, 0x0
	s_barrier
	buffer_gl0_inv
	v_cmpx_lt_i32_e32 45, v236
	s_cbranch_execz .LBB108_966
; %bb.965:
	v_mul_f64 v[208:209], v[220:221], v[38:39]
	v_mul_f64 v[38:39], v[222:223], v[38:39]
	s_delay_alu instid0(VALU_DEP_2) | instskip(NEXT) | instid1(VALU_DEP_2)
	v_fma_f64 v[208:209], v[222:223], v[36:37], v[208:209]
	v_fma_f64 v[36:37], v[220:221], v[36:37], -v[38:39]
	ds_load_2addr_b64 v[220:223], v230 offset0:92 offset1:93
	s_waitcnt lgkmcnt(0)
	v_mul_f64 v[38:39], v[222:223], v[208:209]
	v_mul_f64 v[210:211], v[220:221], v[208:209]
	s_delay_alu instid0(VALU_DEP_2) | instskip(NEXT) | instid1(VALU_DEP_2)
	v_fma_f64 v[38:39], v[220:221], v[36:37], -v[38:39]
	v_fma_f64 v[210:211], v[222:223], v[36:37], v[210:211]
	ds_load_2addr_b64 v[220:223], v230 offset0:94 offset1:95
	v_add_f64 v[32:33], v[32:33], -v[38:39]
	v_add_f64 v[34:35], v[34:35], -v[210:211]
	s_waitcnt lgkmcnt(0)
	v_mul_f64 v[38:39], v[222:223], v[208:209]
	v_mul_f64 v[210:211], v[220:221], v[208:209]
	s_delay_alu instid0(VALU_DEP_2) | instskip(NEXT) | instid1(VALU_DEP_2)
	v_fma_f64 v[38:39], v[220:221], v[36:37], -v[38:39]
	v_fma_f64 v[210:211], v[222:223], v[36:37], v[210:211]
	ds_load_2addr_b64 v[220:223], v230 offset0:96 offset1:97
	v_add_f64 v[28:29], v[28:29], -v[38:39]
	v_add_f64 v[30:31], v[30:31], -v[210:211]
	;; [unrolled: 9-line block ×8, first 2 shown]
	s_waitcnt lgkmcnt(0)
	v_mul_f64 v[38:39], v[222:223], v[208:209]
	v_mul_f64 v[210:211], v[220:221], v[208:209]
	s_delay_alu instid0(VALU_DEP_2) | instskip(NEXT) | instid1(VALU_DEP_2)
	v_fma_f64 v[38:39], v[220:221], v[36:37], -v[38:39]
	v_fma_f64 v[210:211], v[222:223], v[36:37], v[210:211]
	s_delay_alu instid0(VALU_DEP_2) | instskip(NEXT) | instid1(VALU_DEP_2)
	v_add_f64 v[0:1], v[0:1], -v[38:39]
	v_add_f64 v[2:3], v[2:3], -v[210:211]
	v_dual_mov_b32 v38, v208 :: v_dual_mov_b32 v39, v209
.LBB108_966:
	s_or_b32 exec_lo, exec_lo, s2
	v_lshl_add_u32 v208, v236, 4, v230
	s_barrier
	buffer_gl0_inv
	v_mov_b32_e32 v228, 46
	ds_store_2addr_b64 v208, v[32:33], v[34:35] offset1:1
	s_waitcnt lgkmcnt(0)
	s_barrier
	buffer_gl0_inv
	ds_load_2addr_b64 v[220:223], v230 offset0:92 offset1:93
	s_cmp_lt_i32 s5, 48
	s_cbranch_scc1 .LBB108_969
; %bb.967:
	v_add3_u32 v229, v234, 0, 0x2f0
	v_mov_b32_e32 v228, 46
	s_mov_b32 s6, 47
	s_set_inst_prefetch_distance 0x1
	.p2align	6
.LBB108_968:                            ; =>This Inner Loop Header: Depth=1
	ds_load_2addr_b64 v[237:240], v229 offset1:1
	s_waitcnt lgkmcnt(1)
	v_cmp_gt_f64_e32 vcc_lo, 0, v[220:221]
	v_xor_b32_e32 v208, 0x80000000, v221
	v_cmp_gt_f64_e64 s2, 0, v[222:223]
	v_xor_b32_e32 v210, 0x80000000, v223
	v_add_nc_u32_e32 v229, 16, v229
	s_waitcnt lgkmcnt(0)
	v_cmp_gt_f64_e64 s3, 0, v[237:238]
	v_mov_b32_e32 v212, v237
	v_dual_mov_b32 v214, v239 :: v_dual_cndmask_b32 v209, v221, v208
	v_xor_b32_e32 v208, 0x80000000, v238
	v_cndmask_b32_e64 v211, v223, v210, s2
	v_xor_b32_e32 v210, 0x80000000, v240
	s_delay_alu instid0(VALU_DEP_3) | instskip(SKIP_2) | instid1(VALU_DEP_2)
	v_cndmask_b32_e64 v213, v238, v208, s3
	v_cmp_gt_f64_e64 s3, 0, v[239:240]
	v_cndmask_b32_e32 v208, v220, v220, vcc_lo
	v_cndmask_b32_e64 v215, v240, v210, s3
	v_cndmask_b32_e64 v210, v222, v222, s2
	s_delay_alu instid0(VALU_DEP_2) | instskip(NEXT) | instid1(VALU_DEP_2)
	v_add_f64 v[212:213], v[212:213], v[214:215]
	v_add_f64 v[208:209], v[208:209], v[210:211]
	s_delay_alu instid0(VALU_DEP_1) | instskip(SKIP_4) | instid1(SALU_CYCLE_1)
	v_cmp_lt_f64_e32 vcc_lo, v[208:209], v[212:213]
	v_dual_cndmask_b32 v221, v221, v238 :: v_dual_cndmask_b32 v220, v220, v237
	v_dual_cndmask_b32 v223, v223, v240 :: v_dual_cndmask_b32 v222, v222, v239
	v_cndmask_b32_e64 v228, v228, s6, vcc_lo
	s_add_i32 s6, s6, 1
	s_cmp_lg_u32 s5, s6
	s_cbranch_scc1 .LBB108_968
.LBB108_969:
	s_set_inst_prefetch_distance 0x2
	s_waitcnt lgkmcnt(0)
	v_cmp_eq_f64_e32 vcc_lo, 0, v[220:221]
	v_cmp_eq_f64_e64 s2, 0, v[222:223]
	s_delay_alu instid0(VALU_DEP_1) | instskip(NEXT) | instid1(SALU_CYCLE_1)
	s_and_b32 s2, vcc_lo, s2
	s_and_saveexec_b32 s3, s2
	s_delay_alu instid0(SALU_CYCLE_1)
	s_xor_b32 s2, exec_lo, s3
; %bb.970:
	v_cmp_ne_u32_e32 vcc_lo, 0, v233
	v_cndmask_b32_e32 v233, 47, v233, vcc_lo
; %bb.971:
	s_and_not1_saveexec_b32 s3, s2
	s_cbranch_execz .LBB108_977
; %bb.972:
	v_cmp_gt_f64_e32 vcc_lo, 0, v[220:221]
	v_cmp_gt_f64_e64 s2, 0, v[222:223]
	v_xor_b32_e32 v208, 0x80000000, v221
	v_xor_b32_e32 v210, 0x80000000, v223
	s_delay_alu instid0(VALU_DEP_2) | instskip(NEXT) | instid1(VALU_DEP_2)
	v_cndmask_b32_e32 v209, v221, v208, vcc_lo
	v_cndmask_b32_e64 v211, v223, v210, s2
	v_cndmask_b32_e32 v208, v220, v220, vcc_lo
	v_cndmask_b32_e64 v210, v222, v222, s2
	s_mov_b32 s2, exec_lo
	s_delay_alu instid0(VALU_DEP_1)
	v_cmpx_ngt_f64_e32 v[208:209], v[210:211]
	s_xor_b32 s2, exec_lo, s2
	s_cbranch_execz .LBB108_974
; %bb.973:
	v_div_scale_f64 v[208:209], null, v[222:223], v[222:223], v[220:221]
	v_div_scale_f64 v[214:215], vcc_lo, v[220:221], v[222:223], v[220:221]
	s_delay_alu instid0(VALU_DEP_2) | instskip(SKIP_2) | instid1(VALU_DEP_1)
	v_rcp_f64_e32 v[210:211], v[208:209]
	s_waitcnt_depctr 0xfff
	v_fma_f64 v[212:213], -v[208:209], v[210:211], 1.0
	v_fma_f64 v[210:211], v[210:211], v[212:213], v[210:211]
	s_delay_alu instid0(VALU_DEP_1) | instskip(NEXT) | instid1(VALU_DEP_1)
	v_fma_f64 v[212:213], -v[208:209], v[210:211], 1.0
	v_fma_f64 v[210:211], v[210:211], v[212:213], v[210:211]
	s_delay_alu instid0(VALU_DEP_1) | instskip(NEXT) | instid1(VALU_DEP_1)
	v_mul_f64 v[212:213], v[214:215], v[210:211]
	v_fma_f64 v[208:209], -v[208:209], v[212:213], v[214:215]
	s_delay_alu instid0(VALU_DEP_1) | instskip(NEXT) | instid1(VALU_DEP_1)
	v_div_fmas_f64 v[208:209], v[208:209], v[210:211], v[212:213]
	v_div_fixup_f64 v[208:209], v[208:209], v[222:223], v[220:221]
	s_delay_alu instid0(VALU_DEP_1) | instskip(NEXT) | instid1(VALU_DEP_1)
	v_fma_f64 v[210:211], v[220:221], v[208:209], v[222:223]
	v_div_scale_f64 v[212:213], null, v[210:211], v[210:211], 1.0
	s_delay_alu instid0(VALU_DEP_1) | instskip(SKIP_2) | instid1(VALU_DEP_1)
	v_rcp_f64_e32 v[214:215], v[212:213]
	s_waitcnt_depctr 0xfff
	v_fma_f64 v[220:221], -v[212:213], v[214:215], 1.0
	v_fma_f64 v[214:215], v[214:215], v[220:221], v[214:215]
	s_delay_alu instid0(VALU_DEP_1) | instskip(NEXT) | instid1(VALU_DEP_1)
	v_fma_f64 v[220:221], -v[212:213], v[214:215], 1.0
	v_fma_f64 v[214:215], v[214:215], v[220:221], v[214:215]
	v_div_scale_f64 v[220:221], vcc_lo, 1.0, v[210:211], 1.0
	s_delay_alu instid0(VALU_DEP_1) | instskip(NEXT) | instid1(VALU_DEP_1)
	v_mul_f64 v[222:223], v[220:221], v[214:215]
	v_fma_f64 v[212:213], -v[212:213], v[222:223], v[220:221]
	s_delay_alu instid0(VALU_DEP_1) | instskip(NEXT) | instid1(VALU_DEP_1)
	v_div_fmas_f64 v[212:213], v[212:213], v[214:215], v[222:223]
	v_div_fixup_f64 v[222:223], v[212:213], v[210:211], 1.0
	s_delay_alu instid0(VALU_DEP_1)
	v_mul_f64 v[220:221], v[208:209], v[222:223]
	v_xor_b32_e32 v223, 0x80000000, v223
.LBB108_974:
	s_and_not1_saveexec_b32 s2, s2
	s_cbranch_execz .LBB108_976
; %bb.975:
	s_delay_alu instid0(VALU_DEP_1) | instskip(SKIP_1) | instid1(VALU_DEP_2)
	v_div_scale_f64 v[208:209], null, v[220:221], v[220:221], v[222:223]
	v_div_scale_f64 v[214:215], vcc_lo, v[222:223], v[220:221], v[222:223]
	v_rcp_f64_e32 v[210:211], v[208:209]
	s_waitcnt_depctr 0xfff
	v_fma_f64 v[212:213], -v[208:209], v[210:211], 1.0
	s_delay_alu instid0(VALU_DEP_1) | instskip(NEXT) | instid1(VALU_DEP_1)
	v_fma_f64 v[210:211], v[210:211], v[212:213], v[210:211]
	v_fma_f64 v[212:213], -v[208:209], v[210:211], 1.0
	s_delay_alu instid0(VALU_DEP_1) | instskip(NEXT) | instid1(VALU_DEP_1)
	v_fma_f64 v[210:211], v[210:211], v[212:213], v[210:211]
	v_mul_f64 v[212:213], v[214:215], v[210:211]
	s_delay_alu instid0(VALU_DEP_1) | instskip(NEXT) | instid1(VALU_DEP_1)
	v_fma_f64 v[208:209], -v[208:209], v[212:213], v[214:215]
	v_div_fmas_f64 v[208:209], v[208:209], v[210:211], v[212:213]
	s_delay_alu instid0(VALU_DEP_1) | instskip(NEXT) | instid1(VALU_DEP_1)
	v_div_fixup_f64 v[208:209], v[208:209], v[220:221], v[222:223]
	v_fma_f64 v[210:211], v[222:223], v[208:209], v[220:221]
	s_delay_alu instid0(VALU_DEP_1) | instskip(NEXT) | instid1(VALU_DEP_1)
	v_div_scale_f64 v[212:213], null, v[210:211], v[210:211], 1.0
	v_rcp_f64_e32 v[214:215], v[212:213]
	s_waitcnt_depctr 0xfff
	v_fma_f64 v[220:221], -v[212:213], v[214:215], 1.0
	s_delay_alu instid0(VALU_DEP_1) | instskip(NEXT) | instid1(VALU_DEP_1)
	v_fma_f64 v[214:215], v[214:215], v[220:221], v[214:215]
	v_fma_f64 v[220:221], -v[212:213], v[214:215], 1.0
	s_delay_alu instid0(VALU_DEP_1) | instskip(SKIP_1) | instid1(VALU_DEP_1)
	v_fma_f64 v[214:215], v[214:215], v[220:221], v[214:215]
	v_div_scale_f64 v[220:221], vcc_lo, 1.0, v[210:211], 1.0
	v_mul_f64 v[222:223], v[220:221], v[214:215]
	s_delay_alu instid0(VALU_DEP_1) | instskip(NEXT) | instid1(VALU_DEP_1)
	v_fma_f64 v[212:213], -v[212:213], v[222:223], v[220:221]
	v_div_fmas_f64 v[212:213], v[212:213], v[214:215], v[222:223]
	s_delay_alu instid0(VALU_DEP_1) | instskip(NEXT) | instid1(VALU_DEP_1)
	v_div_fixup_f64 v[220:221], v[212:213], v[210:211], 1.0
	v_mul_f64 v[222:223], v[208:209], -v[220:221]
.LBB108_976:
	s_or_b32 exec_lo, exec_lo, s2
.LBB108_977:
	s_delay_alu instid0(SALU_CYCLE_1) | instskip(NEXT) | instid1(SALU_CYCLE_1)
	s_or_b32 exec_lo, exec_lo, s3
	s_mov_b32 s2, exec_lo
	v_cmpx_ne_u32_e64 v236, v228
	s_xor_b32 s2, exec_lo, s2
	s_cbranch_execz .LBB108_983
; %bb.978:
	s_mov_b32 s3, exec_lo
	v_cmpx_eq_u32_e32 46, v236
	s_cbranch_execz .LBB108_982
; %bb.979:
	v_cmp_ne_u32_e32 vcc_lo, 46, v228
	s_xor_b32 s6, s4, -1
	s_delay_alu instid0(SALU_CYCLE_1) | instskip(NEXT) | instid1(SALU_CYCLE_1)
	s_and_b32 s7, s6, vcc_lo
	s_and_saveexec_b32 s6, s7
	s_cbranch_execz .LBB108_981
; %bb.980:
	v_ashrrev_i32_e32 v229, 31, v228
	s_delay_alu instid0(VALU_DEP_1) | instskip(NEXT) | instid1(VALU_DEP_1)
	v_lshlrev_b64 v[208:209], 2, v[228:229]
	v_add_co_u32 v208, vcc_lo, v231, v208
	s_delay_alu instid0(VALU_DEP_2)
	v_add_co_ci_u32_e32 v209, vcc_lo, v232, v209, vcc_lo
	s_clause 0x1
	flat_load_b32 v210, v[208:209]
	flat_load_b32 v211, v[231:232] offset:184
	s_waitcnt vmcnt(1) lgkmcnt(1)
	flat_store_b32 v[231:232], v210 offset:184
	s_waitcnt vmcnt(0) lgkmcnt(1)
	flat_store_b32 v[208:209], v211
.LBB108_981:
	s_or_b32 exec_lo, exec_lo, s6
	v_mov_b32_e32 v236, v228
	v_mov_b32_e32 v227, v228
.LBB108_982:
	s_or_b32 exec_lo, exec_lo, s3
.LBB108_983:
	s_and_not1_saveexec_b32 s2, s2
	s_cbranch_execz .LBB108_985
; %bb.984:
	v_mov_b32_e32 v236, 46
	ds_store_2addr_b64 v230, v[28:29], v[30:31] offset0:94 offset1:95
	ds_store_2addr_b64 v230, v[24:25], v[26:27] offset0:96 offset1:97
	;; [unrolled: 1-line block ×8, first 2 shown]
.LBB108_985:
	s_or_b32 exec_lo, exec_lo, s2
	s_delay_alu instid0(SALU_CYCLE_1)
	s_mov_b32 s2, exec_lo
	s_waitcnt lgkmcnt(0)
	s_waitcnt_vscnt null, 0x0
	s_barrier
	buffer_gl0_inv
	v_cmpx_lt_i32_e32 46, v236
	s_cbranch_execz .LBB108_987
; %bb.986:
	v_mul_f64 v[208:209], v[220:221], v[34:35]
	v_mul_f64 v[34:35], v[222:223], v[34:35]
	s_delay_alu instid0(VALU_DEP_2) | instskip(NEXT) | instid1(VALU_DEP_2)
	v_fma_f64 v[208:209], v[222:223], v[32:33], v[208:209]
	v_fma_f64 v[32:33], v[220:221], v[32:33], -v[34:35]
	ds_load_2addr_b64 v[220:223], v230 offset0:94 offset1:95
	s_waitcnt lgkmcnt(0)
	v_mul_f64 v[34:35], v[222:223], v[208:209]
	v_mul_f64 v[210:211], v[220:221], v[208:209]
	s_delay_alu instid0(VALU_DEP_2) | instskip(NEXT) | instid1(VALU_DEP_2)
	v_fma_f64 v[34:35], v[220:221], v[32:33], -v[34:35]
	v_fma_f64 v[210:211], v[222:223], v[32:33], v[210:211]
	ds_load_2addr_b64 v[220:223], v230 offset0:96 offset1:97
	v_add_f64 v[28:29], v[28:29], -v[34:35]
	v_add_f64 v[30:31], v[30:31], -v[210:211]
	s_waitcnt lgkmcnt(0)
	v_mul_f64 v[34:35], v[222:223], v[208:209]
	v_mul_f64 v[210:211], v[220:221], v[208:209]
	s_delay_alu instid0(VALU_DEP_2) | instskip(NEXT) | instid1(VALU_DEP_2)
	v_fma_f64 v[34:35], v[220:221], v[32:33], -v[34:35]
	v_fma_f64 v[210:211], v[222:223], v[32:33], v[210:211]
	ds_load_2addr_b64 v[220:223], v230 offset0:98 offset1:99
	v_add_f64 v[24:25], v[24:25], -v[34:35]
	v_add_f64 v[26:27], v[26:27], -v[210:211]
	;; [unrolled: 9-line block ×7, first 2 shown]
	s_waitcnt lgkmcnt(0)
	v_mul_f64 v[34:35], v[222:223], v[208:209]
	v_mul_f64 v[210:211], v[220:221], v[208:209]
	s_delay_alu instid0(VALU_DEP_2) | instskip(NEXT) | instid1(VALU_DEP_2)
	v_fma_f64 v[34:35], v[220:221], v[32:33], -v[34:35]
	v_fma_f64 v[210:211], v[222:223], v[32:33], v[210:211]
	s_delay_alu instid0(VALU_DEP_2) | instskip(NEXT) | instid1(VALU_DEP_2)
	v_add_f64 v[0:1], v[0:1], -v[34:35]
	v_add_f64 v[2:3], v[2:3], -v[210:211]
	v_dual_mov_b32 v34, v208 :: v_dual_mov_b32 v35, v209
.LBB108_987:
	s_or_b32 exec_lo, exec_lo, s2
	v_lshl_add_u32 v208, v236, 4, v230
	s_barrier
	buffer_gl0_inv
	v_mov_b32_e32 v228, 47
	ds_store_2addr_b64 v208, v[28:29], v[30:31] offset1:1
	s_waitcnt lgkmcnt(0)
	s_barrier
	buffer_gl0_inv
	ds_load_2addr_b64 v[220:223], v230 offset0:94 offset1:95
	s_cmp_lt_i32 s5, 49
	s_cbranch_scc1 .LBB108_990
; %bb.988:
	v_add3_u32 v229, v234, 0, 0x300
	v_mov_b32_e32 v228, 47
	s_mov_b32 s6, 48
	s_set_inst_prefetch_distance 0x1
	.p2align	6
.LBB108_989:                            ; =>This Inner Loop Header: Depth=1
	ds_load_2addr_b64 v[237:240], v229 offset1:1
	s_waitcnt lgkmcnt(1)
	v_cmp_gt_f64_e32 vcc_lo, 0, v[220:221]
	v_xor_b32_e32 v208, 0x80000000, v221
	v_cmp_gt_f64_e64 s2, 0, v[222:223]
	v_xor_b32_e32 v210, 0x80000000, v223
	v_add_nc_u32_e32 v229, 16, v229
	s_waitcnt lgkmcnt(0)
	v_cmp_gt_f64_e64 s3, 0, v[237:238]
	v_mov_b32_e32 v212, v237
	v_dual_mov_b32 v214, v239 :: v_dual_cndmask_b32 v209, v221, v208
	v_xor_b32_e32 v208, 0x80000000, v238
	v_cndmask_b32_e64 v211, v223, v210, s2
	v_xor_b32_e32 v210, 0x80000000, v240
	s_delay_alu instid0(VALU_DEP_3) | instskip(SKIP_2) | instid1(VALU_DEP_2)
	v_cndmask_b32_e64 v213, v238, v208, s3
	v_cmp_gt_f64_e64 s3, 0, v[239:240]
	v_cndmask_b32_e32 v208, v220, v220, vcc_lo
	v_cndmask_b32_e64 v215, v240, v210, s3
	v_cndmask_b32_e64 v210, v222, v222, s2
	s_delay_alu instid0(VALU_DEP_2) | instskip(NEXT) | instid1(VALU_DEP_2)
	v_add_f64 v[212:213], v[212:213], v[214:215]
	v_add_f64 v[208:209], v[208:209], v[210:211]
	s_delay_alu instid0(VALU_DEP_1) | instskip(SKIP_4) | instid1(SALU_CYCLE_1)
	v_cmp_lt_f64_e32 vcc_lo, v[208:209], v[212:213]
	v_dual_cndmask_b32 v221, v221, v238 :: v_dual_cndmask_b32 v220, v220, v237
	v_dual_cndmask_b32 v223, v223, v240 :: v_dual_cndmask_b32 v222, v222, v239
	v_cndmask_b32_e64 v228, v228, s6, vcc_lo
	s_add_i32 s6, s6, 1
	s_cmp_lg_u32 s5, s6
	s_cbranch_scc1 .LBB108_989
.LBB108_990:
	s_set_inst_prefetch_distance 0x2
	s_waitcnt lgkmcnt(0)
	v_cmp_eq_f64_e32 vcc_lo, 0, v[220:221]
	v_cmp_eq_f64_e64 s2, 0, v[222:223]
	s_delay_alu instid0(VALU_DEP_1) | instskip(NEXT) | instid1(SALU_CYCLE_1)
	s_and_b32 s2, vcc_lo, s2
	s_and_saveexec_b32 s3, s2
	s_delay_alu instid0(SALU_CYCLE_1)
	s_xor_b32 s2, exec_lo, s3
; %bb.991:
	v_cmp_ne_u32_e32 vcc_lo, 0, v233
	v_cndmask_b32_e32 v233, 48, v233, vcc_lo
; %bb.992:
	s_and_not1_saveexec_b32 s3, s2
	s_cbranch_execz .LBB108_998
; %bb.993:
	v_cmp_gt_f64_e32 vcc_lo, 0, v[220:221]
	v_cmp_gt_f64_e64 s2, 0, v[222:223]
	v_xor_b32_e32 v208, 0x80000000, v221
	v_xor_b32_e32 v210, 0x80000000, v223
	s_delay_alu instid0(VALU_DEP_2) | instskip(NEXT) | instid1(VALU_DEP_2)
	v_cndmask_b32_e32 v209, v221, v208, vcc_lo
	v_cndmask_b32_e64 v211, v223, v210, s2
	v_cndmask_b32_e32 v208, v220, v220, vcc_lo
	v_cndmask_b32_e64 v210, v222, v222, s2
	s_mov_b32 s2, exec_lo
	s_delay_alu instid0(VALU_DEP_1)
	v_cmpx_ngt_f64_e32 v[208:209], v[210:211]
	s_xor_b32 s2, exec_lo, s2
	s_cbranch_execz .LBB108_995
; %bb.994:
	v_div_scale_f64 v[208:209], null, v[222:223], v[222:223], v[220:221]
	v_div_scale_f64 v[214:215], vcc_lo, v[220:221], v[222:223], v[220:221]
	s_delay_alu instid0(VALU_DEP_2) | instskip(SKIP_2) | instid1(VALU_DEP_1)
	v_rcp_f64_e32 v[210:211], v[208:209]
	s_waitcnt_depctr 0xfff
	v_fma_f64 v[212:213], -v[208:209], v[210:211], 1.0
	v_fma_f64 v[210:211], v[210:211], v[212:213], v[210:211]
	s_delay_alu instid0(VALU_DEP_1) | instskip(NEXT) | instid1(VALU_DEP_1)
	v_fma_f64 v[212:213], -v[208:209], v[210:211], 1.0
	v_fma_f64 v[210:211], v[210:211], v[212:213], v[210:211]
	s_delay_alu instid0(VALU_DEP_1) | instskip(NEXT) | instid1(VALU_DEP_1)
	v_mul_f64 v[212:213], v[214:215], v[210:211]
	v_fma_f64 v[208:209], -v[208:209], v[212:213], v[214:215]
	s_delay_alu instid0(VALU_DEP_1) | instskip(NEXT) | instid1(VALU_DEP_1)
	v_div_fmas_f64 v[208:209], v[208:209], v[210:211], v[212:213]
	v_div_fixup_f64 v[208:209], v[208:209], v[222:223], v[220:221]
	s_delay_alu instid0(VALU_DEP_1) | instskip(NEXT) | instid1(VALU_DEP_1)
	v_fma_f64 v[210:211], v[220:221], v[208:209], v[222:223]
	v_div_scale_f64 v[212:213], null, v[210:211], v[210:211], 1.0
	s_delay_alu instid0(VALU_DEP_1) | instskip(SKIP_2) | instid1(VALU_DEP_1)
	v_rcp_f64_e32 v[214:215], v[212:213]
	s_waitcnt_depctr 0xfff
	v_fma_f64 v[220:221], -v[212:213], v[214:215], 1.0
	v_fma_f64 v[214:215], v[214:215], v[220:221], v[214:215]
	s_delay_alu instid0(VALU_DEP_1) | instskip(NEXT) | instid1(VALU_DEP_1)
	v_fma_f64 v[220:221], -v[212:213], v[214:215], 1.0
	v_fma_f64 v[214:215], v[214:215], v[220:221], v[214:215]
	v_div_scale_f64 v[220:221], vcc_lo, 1.0, v[210:211], 1.0
	s_delay_alu instid0(VALU_DEP_1) | instskip(NEXT) | instid1(VALU_DEP_1)
	v_mul_f64 v[222:223], v[220:221], v[214:215]
	v_fma_f64 v[212:213], -v[212:213], v[222:223], v[220:221]
	s_delay_alu instid0(VALU_DEP_1) | instskip(NEXT) | instid1(VALU_DEP_1)
	v_div_fmas_f64 v[212:213], v[212:213], v[214:215], v[222:223]
	v_div_fixup_f64 v[222:223], v[212:213], v[210:211], 1.0
	s_delay_alu instid0(VALU_DEP_1)
	v_mul_f64 v[220:221], v[208:209], v[222:223]
	v_xor_b32_e32 v223, 0x80000000, v223
.LBB108_995:
	s_and_not1_saveexec_b32 s2, s2
	s_cbranch_execz .LBB108_997
; %bb.996:
	s_delay_alu instid0(VALU_DEP_1) | instskip(SKIP_1) | instid1(VALU_DEP_2)
	v_div_scale_f64 v[208:209], null, v[220:221], v[220:221], v[222:223]
	v_div_scale_f64 v[214:215], vcc_lo, v[222:223], v[220:221], v[222:223]
	v_rcp_f64_e32 v[210:211], v[208:209]
	s_waitcnt_depctr 0xfff
	v_fma_f64 v[212:213], -v[208:209], v[210:211], 1.0
	s_delay_alu instid0(VALU_DEP_1) | instskip(NEXT) | instid1(VALU_DEP_1)
	v_fma_f64 v[210:211], v[210:211], v[212:213], v[210:211]
	v_fma_f64 v[212:213], -v[208:209], v[210:211], 1.0
	s_delay_alu instid0(VALU_DEP_1) | instskip(NEXT) | instid1(VALU_DEP_1)
	v_fma_f64 v[210:211], v[210:211], v[212:213], v[210:211]
	v_mul_f64 v[212:213], v[214:215], v[210:211]
	s_delay_alu instid0(VALU_DEP_1) | instskip(NEXT) | instid1(VALU_DEP_1)
	v_fma_f64 v[208:209], -v[208:209], v[212:213], v[214:215]
	v_div_fmas_f64 v[208:209], v[208:209], v[210:211], v[212:213]
	s_delay_alu instid0(VALU_DEP_1) | instskip(NEXT) | instid1(VALU_DEP_1)
	v_div_fixup_f64 v[208:209], v[208:209], v[220:221], v[222:223]
	v_fma_f64 v[210:211], v[222:223], v[208:209], v[220:221]
	s_delay_alu instid0(VALU_DEP_1) | instskip(NEXT) | instid1(VALU_DEP_1)
	v_div_scale_f64 v[212:213], null, v[210:211], v[210:211], 1.0
	v_rcp_f64_e32 v[214:215], v[212:213]
	s_waitcnt_depctr 0xfff
	v_fma_f64 v[220:221], -v[212:213], v[214:215], 1.0
	s_delay_alu instid0(VALU_DEP_1) | instskip(NEXT) | instid1(VALU_DEP_1)
	v_fma_f64 v[214:215], v[214:215], v[220:221], v[214:215]
	v_fma_f64 v[220:221], -v[212:213], v[214:215], 1.0
	s_delay_alu instid0(VALU_DEP_1) | instskip(SKIP_1) | instid1(VALU_DEP_1)
	v_fma_f64 v[214:215], v[214:215], v[220:221], v[214:215]
	v_div_scale_f64 v[220:221], vcc_lo, 1.0, v[210:211], 1.0
	v_mul_f64 v[222:223], v[220:221], v[214:215]
	s_delay_alu instid0(VALU_DEP_1) | instskip(NEXT) | instid1(VALU_DEP_1)
	v_fma_f64 v[212:213], -v[212:213], v[222:223], v[220:221]
	v_div_fmas_f64 v[212:213], v[212:213], v[214:215], v[222:223]
	s_delay_alu instid0(VALU_DEP_1) | instskip(NEXT) | instid1(VALU_DEP_1)
	v_div_fixup_f64 v[220:221], v[212:213], v[210:211], 1.0
	v_mul_f64 v[222:223], v[208:209], -v[220:221]
.LBB108_997:
	s_or_b32 exec_lo, exec_lo, s2
.LBB108_998:
	s_delay_alu instid0(SALU_CYCLE_1) | instskip(NEXT) | instid1(SALU_CYCLE_1)
	s_or_b32 exec_lo, exec_lo, s3
	s_mov_b32 s2, exec_lo
	v_cmpx_ne_u32_e64 v236, v228
	s_xor_b32 s2, exec_lo, s2
	s_cbranch_execz .LBB108_1004
; %bb.999:
	s_mov_b32 s3, exec_lo
	v_cmpx_eq_u32_e32 47, v236
	s_cbranch_execz .LBB108_1003
; %bb.1000:
	v_cmp_ne_u32_e32 vcc_lo, 47, v228
	s_xor_b32 s6, s4, -1
	s_delay_alu instid0(SALU_CYCLE_1) | instskip(NEXT) | instid1(SALU_CYCLE_1)
	s_and_b32 s7, s6, vcc_lo
	s_and_saveexec_b32 s6, s7
	s_cbranch_execz .LBB108_1002
; %bb.1001:
	v_ashrrev_i32_e32 v229, 31, v228
	s_delay_alu instid0(VALU_DEP_1) | instskip(NEXT) | instid1(VALU_DEP_1)
	v_lshlrev_b64 v[208:209], 2, v[228:229]
	v_add_co_u32 v208, vcc_lo, v231, v208
	s_delay_alu instid0(VALU_DEP_2)
	v_add_co_ci_u32_e32 v209, vcc_lo, v232, v209, vcc_lo
	s_clause 0x1
	flat_load_b32 v210, v[208:209]
	flat_load_b32 v211, v[231:232] offset:188
	s_waitcnt vmcnt(1) lgkmcnt(1)
	flat_store_b32 v[231:232], v210 offset:188
	s_waitcnt vmcnt(0) lgkmcnt(1)
	flat_store_b32 v[208:209], v211
.LBB108_1002:
	s_or_b32 exec_lo, exec_lo, s6
	v_mov_b32_e32 v236, v228
	v_mov_b32_e32 v227, v228
.LBB108_1003:
	s_or_b32 exec_lo, exec_lo, s3
.LBB108_1004:
	s_and_not1_saveexec_b32 s2, s2
	s_cbranch_execz .LBB108_1006
; %bb.1005:
	v_mov_b32_e32 v236, 47
	ds_store_2addr_b64 v230, v[24:25], v[26:27] offset0:96 offset1:97
	ds_store_2addr_b64 v230, v[20:21], v[22:23] offset0:98 offset1:99
	ds_store_2addr_b64 v230, v[16:17], v[18:19] offset0:100 offset1:101
	ds_store_2addr_b64 v230, v[12:13], v[14:15] offset0:102 offset1:103
	ds_store_2addr_b64 v230, v[8:9], v[10:11] offset0:104 offset1:105
	ds_store_2addr_b64 v230, v[4:5], v[6:7] offset0:106 offset1:107
	ds_store_2addr_b64 v230, v[0:1], v[2:3] offset0:108 offset1:109
.LBB108_1006:
	s_or_b32 exec_lo, exec_lo, s2
	s_delay_alu instid0(SALU_CYCLE_1)
	s_mov_b32 s2, exec_lo
	s_waitcnt lgkmcnt(0)
	s_waitcnt_vscnt null, 0x0
	s_barrier
	buffer_gl0_inv
	v_cmpx_lt_i32_e32 47, v236
	s_cbranch_execz .LBB108_1008
; %bb.1007:
	v_mul_f64 v[208:209], v[220:221], v[30:31]
	v_mul_f64 v[30:31], v[222:223], v[30:31]
	s_delay_alu instid0(VALU_DEP_2) | instskip(NEXT) | instid1(VALU_DEP_2)
	v_fma_f64 v[208:209], v[222:223], v[28:29], v[208:209]
	v_fma_f64 v[28:29], v[220:221], v[28:29], -v[30:31]
	ds_load_2addr_b64 v[220:223], v230 offset0:96 offset1:97
	s_waitcnt lgkmcnt(0)
	v_mul_f64 v[30:31], v[222:223], v[208:209]
	v_mul_f64 v[210:211], v[220:221], v[208:209]
	s_delay_alu instid0(VALU_DEP_2) | instskip(NEXT) | instid1(VALU_DEP_2)
	v_fma_f64 v[30:31], v[220:221], v[28:29], -v[30:31]
	v_fma_f64 v[210:211], v[222:223], v[28:29], v[210:211]
	ds_load_2addr_b64 v[220:223], v230 offset0:98 offset1:99
	v_add_f64 v[24:25], v[24:25], -v[30:31]
	v_add_f64 v[26:27], v[26:27], -v[210:211]
	s_waitcnt lgkmcnt(0)
	v_mul_f64 v[30:31], v[222:223], v[208:209]
	v_mul_f64 v[210:211], v[220:221], v[208:209]
	s_delay_alu instid0(VALU_DEP_2) | instskip(NEXT) | instid1(VALU_DEP_2)
	v_fma_f64 v[30:31], v[220:221], v[28:29], -v[30:31]
	v_fma_f64 v[210:211], v[222:223], v[28:29], v[210:211]
	ds_load_2addr_b64 v[220:223], v230 offset0:100 offset1:101
	v_add_f64 v[20:21], v[20:21], -v[30:31]
	v_add_f64 v[22:23], v[22:23], -v[210:211]
	s_waitcnt lgkmcnt(0)
	v_mul_f64 v[30:31], v[222:223], v[208:209]
	v_mul_f64 v[210:211], v[220:221], v[208:209]
	s_delay_alu instid0(VALU_DEP_2) | instskip(NEXT) | instid1(VALU_DEP_2)
	v_fma_f64 v[30:31], v[220:221], v[28:29], -v[30:31]
	v_fma_f64 v[210:211], v[222:223], v[28:29], v[210:211]
	ds_load_2addr_b64 v[220:223], v230 offset0:102 offset1:103
	v_add_f64 v[16:17], v[16:17], -v[30:31]
	v_add_f64 v[18:19], v[18:19], -v[210:211]
	s_waitcnt lgkmcnt(0)
	v_mul_f64 v[30:31], v[222:223], v[208:209]
	v_mul_f64 v[210:211], v[220:221], v[208:209]
	s_delay_alu instid0(VALU_DEP_2) | instskip(NEXT) | instid1(VALU_DEP_2)
	v_fma_f64 v[30:31], v[220:221], v[28:29], -v[30:31]
	v_fma_f64 v[210:211], v[222:223], v[28:29], v[210:211]
	ds_load_2addr_b64 v[220:223], v230 offset0:104 offset1:105
	v_add_f64 v[12:13], v[12:13], -v[30:31]
	v_add_f64 v[14:15], v[14:15], -v[210:211]
	s_waitcnt lgkmcnt(0)
	v_mul_f64 v[30:31], v[222:223], v[208:209]
	v_mul_f64 v[210:211], v[220:221], v[208:209]
	s_delay_alu instid0(VALU_DEP_2) | instskip(NEXT) | instid1(VALU_DEP_2)
	v_fma_f64 v[30:31], v[220:221], v[28:29], -v[30:31]
	v_fma_f64 v[210:211], v[222:223], v[28:29], v[210:211]
	ds_load_2addr_b64 v[220:223], v230 offset0:106 offset1:107
	v_add_f64 v[8:9], v[8:9], -v[30:31]
	v_add_f64 v[10:11], v[10:11], -v[210:211]
	s_waitcnt lgkmcnt(0)
	v_mul_f64 v[30:31], v[222:223], v[208:209]
	v_mul_f64 v[210:211], v[220:221], v[208:209]
	s_delay_alu instid0(VALU_DEP_2) | instskip(NEXT) | instid1(VALU_DEP_2)
	v_fma_f64 v[30:31], v[220:221], v[28:29], -v[30:31]
	v_fma_f64 v[210:211], v[222:223], v[28:29], v[210:211]
	ds_load_2addr_b64 v[220:223], v230 offset0:108 offset1:109
	v_add_f64 v[4:5], v[4:5], -v[30:31]
	v_add_f64 v[6:7], v[6:7], -v[210:211]
	s_waitcnt lgkmcnt(0)
	v_mul_f64 v[30:31], v[222:223], v[208:209]
	v_mul_f64 v[210:211], v[220:221], v[208:209]
	s_delay_alu instid0(VALU_DEP_2) | instskip(NEXT) | instid1(VALU_DEP_2)
	v_fma_f64 v[30:31], v[220:221], v[28:29], -v[30:31]
	v_fma_f64 v[210:211], v[222:223], v[28:29], v[210:211]
	s_delay_alu instid0(VALU_DEP_2) | instskip(NEXT) | instid1(VALU_DEP_2)
	v_add_f64 v[0:1], v[0:1], -v[30:31]
	v_add_f64 v[2:3], v[2:3], -v[210:211]
	v_dual_mov_b32 v30, v208 :: v_dual_mov_b32 v31, v209
.LBB108_1008:
	s_or_b32 exec_lo, exec_lo, s2
	v_lshl_add_u32 v208, v236, 4, v230
	s_barrier
	buffer_gl0_inv
	v_mov_b32_e32 v228, 48
	ds_store_2addr_b64 v208, v[24:25], v[26:27] offset1:1
	s_waitcnt lgkmcnt(0)
	s_barrier
	buffer_gl0_inv
	ds_load_2addr_b64 v[220:223], v230 offset0:96 offset1:97
	s_cmp_lt_i32 s5, 50
	s_cbranch_scc1 .LBB108_1011
; %bb.1009:
	v_add3_u32 v229, v234, 0, 0x310
	v_mov_b32_e32 v228, 48
	s_mov_b32 s6, 49
	s_set_inst_prefetch_distance 0x1
	.p2align	6
.LBB108_1010:                           ; =>This Inner Loop Header: Depth=1
	ds_load_2addr_b64 v[237:240], v229 offset1:1
	s_waitcnt lgkmcnt(1)
	v_cmp_gt_f64_e32 vcc_lo, 0, v[220:221]
	v_xor_b32_e32 v208, 0x80000000, v221
	v_cmp_gt_f64_e64 s2, 0, v[222:223]
	v_xor_b32_e32 v210, 0x80000000, v223
	v_add_nc_u32_e32 v229, 16, v229
	s_waitcnt lgkmcnt(0)
	v_cmp_gt_f64_e64 s3, 0, v[237:238]
	v_mov_b32_e32 v212, v237
	v_dual_mov_b32 v214, v239 :: v_dual_cndmask_b32 v209, v221, v208
	v_xor_b32_e32 v208, 0x80000000, v238
	v_cndmask_b32_e64 v211, v223, v210, s2
	v_xor_b32_e32 v210, 0x80000000, v240
	s_delay_alu instid0(VALU_DEP_3) | instskip(SKIP_2) | instid1(VALU_DEP_2)
	v_cndmask_b32_e64 v213, v238, v208, s3
	v_cmp_gt_f64_e64 s3, 0, v[239:240]
	v_cndmask_b32_e32 v208, v220, v220, vcc_lo
	v_cndmask_b32_e64 v215, v240, v210, s3
	v_cndmask_b32_e64 v210, v222, v222, s2
	s_delay_alu instid0(VALU_DEP_2) | instskip(NEXT) | instid1(VALU_DEP_2)
	v_add_f64 v[212:213], v[212:213], v[214:215]
	v_add_f64 v[208:209], v[208:209], v[210:211]
	s_delay_alu instid0(VALU_DEP_1) | instskip(SKIP_4) | instid1(SALU_CYCLE_1)
	v_cmp_lt_f64_e32 vcc_lo, v[208:209], v[212:213]
	v_dual_cndmask_b32 v221, v221, v238 :: v_dual_cndmask_b32 v220, v220, v237
	v_dual_cndmask_b32 v223, v223, v240 :: v_dual_cndmask_b32 v222, v222, v239
	v_cndmask_b32_e64 v228, v228, s6, vcc_lo
	s_add_i32 s6, s6, 1
	s_cmp_lg_u32 s5, s6
	s_cbranch_scc1 .LBB108_1010
.LBB108_1011:
	s_set_inst_prefetch_distance 0x2
	s_waitcnt lgkmcnt(0)
	v_cmp_eq_f64_e32 vcc_lo, 0, v[220:221]
	v_cmp_eq_f64_e64 s2, 0, v[222:223]
	s_delay_alu instid0(VALU_DEP_1) | instskip(NEXT) | instid1(SALU_CYCLE_1)
	s_and_b32 s2, vcc_lo, s2
	s_and_saveexec_b32 s3, s2
	s_delay_alu instid0(SALU_CYCLE_1)
	s_xor_b32 s2, exec_lo, s3
; %bb.1012:
	v_cmp_ne_u32_e32 vcc_lo, 0, v233
	v_cndmask_b32_e32 v233, 49, v233, vcc_lo
; %bb.1013:
	s_and_not1_saveexec_b32 s3, s2
	s_cbranch_execz .LBB108_1019
; %bb.1014:
	v_cmp_gt_f64_e32 vcc_lo, 0, v[220:221]
	v_cmp_gt_f64_e64 s2, 0, v[222:223]
	v_xor_b32_e32 v208, 0x80000000, v221
	v_xor_b32_e32 v210, 0x80000000, v223
	s_delay_alu instid0(VALU_DEP_2) | instskip(NEXT) | instid1(VALU_DEP_2)
	v_cndmask_b32_e32 v209, v221, v208, vcc_lo
	v_cndmask_b32_e64 v211, v223, v210, s2
	v_cndmask_b32_e32 v208, v220, v220, vcc_lo
	v_cndmask_b32_e64 v210, v222, v222, s2
	s_mov_b32 s2, exec_lo
	s_delay_alu instid0(VALU_DEP_1)
	v_cmpx_ngt_f64_e32 v[208:209], v[210:211]
	s_xor_b32 s2, exec_lo, s2
	s_cbranch_execz .LBB108_1016
; %bb.1015:
	v_div_scale_f64 v[208:209], null, v[222:223], v[222:223], v[220:221]
	v_div_scale_f64 v[214:215], vcc_lo, v[220:221], v[222:223], v[220:221]
	s_delay_alu instid0(VALU_DEP_2) | instskip(SKIP_2) | instid1(VALU_DEP_1)
	v_rcp_f64_e32 v[210:211], v[208:209]
	s_waitcnt_depctr 0xfff
	v_fma_f64 v[212:213], -v[208:209], v[210:211], 1.0
	v_fma_f64 v[210:211], v[210:211], v[212:213], v[210:211]
	s_delay_alu instid0(VALU_DEP_1) | instskip(NEXT) | instid1(VALU_DEP_1)
	v_fma_f64 v[212:213], -v[208:209], v[210:211], 1.0
	v_fma_f64 v[210:211], v[210:211], v[212:213], v[210:211]
	s_delay_alu instid0(VALU_DEP_1) | instskip(NEXT) | instid1(VALU_DEP_1)
	v_mul_f64 v[212:213], v[214:215], v[210:211]
	v_fma_f64 v[208:209], -v[208:209], v[212:213], v[214:215]
	s_delay_alu instid0(VALU_DEP_1) | instskip(NEXT) | instid1(VALU_DEP_1)
	v_div_fmas_f64 v[208:209], v[208:209], v[210:211], v[212:213]
	v_div_fixup_f64 v[208:209], v[208:209], v[222:223], v[220:221]
	s_delay_alu instid0(VALU_DEP_1) | instskip(NEXT) | instid1(VALU_DEP_1)
	v_fma_f64 v[210:211], v[220:221], v[208:209], v[222:223]
	v_div_scale_f64 v[212:213], null, v[210:211], v[210:211], 1.0
	s_delay_alu instid0(VALU_DEP_1) | instskip(SKIP_2) | instid1(VALU_DEP_1)
	v_rcp_f64_e32 v[214:215], v[212:213]
	s_waitcnt_depctr 0xfff
	v_fma_f64 v[220:221], -v[212:213], v[214:215], 1.0
	v_fma_f64 v[214:215], v[214:215], v[220:221], v[214:215]
	s_delay_alu instid0(VALU_DEP_1) | instskip(NEXT) | instid1(VALU_DEP_1)
	v_fma_f64 v[220:221], -v[212:213], v[214:215], 1.0
	v_fma_f64 v[214:215], v[214:215], v[220:221], v[214:215]
	v_div_scale_f64 v[220:221], vcc_lo, 1.0, v[210:211], 1.0
	s_delay_alu instid0(VALU_DEP_1) | instskip(NEXT) | instid1(VALU_DEP_1)
	v_mul_f64 v[222:223], v[220:221], v[214:215]
	v_fma_f64 v[212:213], -v[212:213], v[222:223], v[220:221]
	s_delay_alu instid0(VALU_DEP_1) | instskip(NEXT) | instid1(VALU_DEP_1)
	v_div_fmas_f64 v[212:213], v[212:213], v[214:215], v[222:223]
	v_div_fixup_f64 v[222:223], v[212:213], v[210:211], 1.0
	s_delay_alu instid0(VALU_DEP_1)
	v_mul_f64 v[220:221], v[208:209], v[222:223]
	v_xor_b32_e32 v223, 0x80000000, v223
.LBB108_1016:
	s_and_not1_saveexec_b32 s2, s2
	s_cbranch_execz .LBB108_1018
; %bb.1017:
	s_delay_alu instid0(VALU_DEP_1) | instskip(SKIP_1) | instid1(VALU_DEP_2)
	v_div_scale_f64 v[208:209], null, v[220:221], v[220:221], v[222:223]
	v_div_scale_f64 v[214:215], vcc_lo, v[222:223], v[220:221], v[222:223]
	v_rcp_f64_e32 v[210:211], v[208:209]
	s_waitcnt_depctr 0xfff
	v_fma_f64 v[212:213], -v[208:209], v[210:211], 1.0
	s_delay_alu instid0(VALU_DEP_1) | instskip(NEXT) | instid1(VALU_DEP_1)
	v_fma_f64 v[210:211], v[210:211], v[212:213], v[210:211]
	v_fma_f64 v[212:213], -v[208:209], v[210:211], 1.0
	s_delay_alu instid0(VALU_DEP_1) | instskip(NEXT) | instid1(VALU_DEP_1)
	v_fma_f64 v[210:211], v[210:211], v[212:213], v[210:211]
	v_mul_f64 v[212:213], v[214:215], v[210:211]
	s_delay_alu instid0(VALU_DEP_1) | instskip(NEXT) | instid1(VALU_DEP_1)
	v_fma_f64 v[208:209], -v[208:209], v[212:213], v[214:215]
	v_div_fmas_f64 v[208:209], v[208:209], v[210:211], v[212:213]
	s_delay_alu instid0(VALU_DEP_1) | instskip(NEXT) | instid1(VALU_DEP_1)
	v_div_fixup_f64 v[208:209], v[208:209], v[220:221], v[222:223]
	v_fma_f64 v[210:211], v[222:223], v[208:209], v[220:221]
	s_delay_alu instid0(VALU_DEP_1) | instskip(NEXT) | instid1(VALU_DEP_1)
	v_div_scale_f64 v[212:213], null, v[210:211], v[210:211], 1.0
	v_rcp_f64_e32 v[214:215], v[212:213]
	s_waitcnt_depctr 0xfff
	v_fma_f64 v[220:221], -v[212:213], v[214:215], 1.0
	s_delay_alu instid0(VALU_DEP_1) | instskip(NEXT) | instid1(VALU_DEP_1)
	v_fma_f64 v[214:215], v[214:215], v[220:221], v[214:215]
	v_fma_f64 v[220:221], -v[212:213], v[214:215], 1.0
	s_delay_alu instid0(VALU_DEP_1) | instskip(SKIP_1) | instid1(VALU_DEP_1)
	v_fma_f64 v[214:215], v[214:215], v[220:221], v[214:215]
	v_div_scale_f64 v[220:221], vcc_lo, 1.0, v[210:211], 1.0
	v_mul_f64 v[222:223], v[220:221], v[214:215]
	s_delay_alu instid0(VALU_DEP_1) | instskip(NEXT) | instid1(VALU_DEP_1)
	v_fma_f64 v[212:213], -v[212:213], v[222:223], v[220:221]
	v_div_fmas_f64 v[212:213], v[212:213], v[214:215], v[222:223]
	s_delay_alu instid0(VALU_DEP_1) | instskip(NEXT) | instid1(VALU_DEP_1)
	v_div_fixup_f64 v[220:221], v[212:213], v[210:211], 1.0
	v_mul_f64 v[222:223], v[208:209], -v[220:221]
.LBB108_1018:
	s_or_b32 exec_lo, exec_lo, s2
.LBB108_1019:
	s_delay_alu instid0(SALU_CYCLE_1) | instskip(NEXT) | instid1(SALU_CYCLE_1)
	s_or_b32 exec_lo, exec_lo, s3
	s_mov_b32 s2, exec_lo
	v_cmpx_ne_u32_e64 v236, v228
	s_xor_b32 s2, exec_lo, s2
	s_cbranch_execz .LBB108_1025
; %bb.1020:
	s_mov_b32 s3, exec_lo
	v_cmpx_eq_u32_e32 48, v236
	s_cbranch_execz .LBB108_1024
; %bb.1021:
	v_cmp_ne_u32_e32 vcc_lo, 48, v228
	s_xor_b32 s6, s4, -1
	s_delay_alu instid0(SALU_CYCLE_1) | instskip(NEXT) | instid1(SALU_CYCLE_1)
	s_and_b32 s7, s6, vcc_lo
	s_and_saveexec_b32 s6, s7
	s_cbranch_execz .LBB108_1023
; %bb.1022:
	v_ashrrev_i32_e32 v229, 31, v228
	s_delay_alu instid0(VALU_DEP_1) | instskip(NEXT) | instid1(VALU_DEP_1)
	v_lshlrev_b64 v[208:209], 2, v[228:229]
	v_add_co_u32 v208, vcc_lo, v231, v208
	s_delay_alu instid0(VALU_DEP_2)
	v_add_co_ci_u32_e32 v209, vcc_lo, v232, v209, vcc_lo
	s_clause 0x1
	flat_load_b32 v210, v[208:209]
	flat_load_b32 v211, v[231:232] offset:192
	s_waitcnt vmcnt(1) lgkmcnt(1)
	flat_store_b32 v[231:232], v210 offset:192
	s_waitcnt vmcnt(0) lgkmcnt(1)
	flat_store_b32 v[208:209], v211
.LBB108_1023:
	s_or_b32 exec_lo, exec_lo, s6
	v_mov_b32_e32 v236, v228
	v_mov_b32_e32 v227, v228
.LBB108_1024:
	s_or_b32 exec_lo, exec_lo, s3
.LBB108_1025:
	s_and_not1_saveexec_b32 s2, s2
	s_cbranch_execz .LBB108_1027
; %bb.1026:
	v_mov_b32_e32 v236, 48
	ds_store_2addr_b64 v230, v[20:21], v[22:23] offset0:98 offset1:99
	ds_store_2addr_b64 v230, v[16:17], v[18:19] offset0:100 offset1:101
	;; [unrolled: 1-line block ×6, first 2 shown]
.LBB108_1027:
	s_or_b32 exec_lo, exec_lo, s2
	s_delay_alu instid0(SALU_CYCLE_1)
	s_mov_b32 s2, exec_lo
	s_waitcnt lgkmcnt(0)
	s_waitcnt_vscnt null, 0x0
	s_barrier
	buffer_gl0_inv
	v_cmpx_lt_i32_e32 48, v236
	s_cbranch_execz .LBB108_1029
; %bb.1028:
	v_mul_f64 v[208:209], v[220:221], v[26:27]
	v_mul_f64 v[26:27], v[222:223], v[26:27]
	s_delay_alu instid0(VALU_DEP_2) | instskip(NEXT) | instid1(VALU_DEP_2)
	v_fma_f64 v[208:209], v[222:223], v[24:25], v[208:209]
	v_fma_f64 v[24:25], v[220:221], v[24:25], -v[26:27]
	ds_load_2addr_b64 v[220:223], v230 offset0:98 offset1:99
	s_waitcnt lgkmcnt(0)
	v_mul_f64 v[26:27], v[222:223], v[208:209]
	v_mul_f64 v[210:211], v[220:221], v[208:209]
	s_delay_alu instid0(VALU_DEP_2) | instskip(NEXT) | instid1(VALU_DEP_2)
	v_fma_f64 v[26:27], v[220:221], v[24:25], -v[26:27]
	v_fma_f64 v[210:211], v[222:223], v[24:25], v[210:211]
	ds_load_2addr_b64 v[220:223], v230 offset0:100 offset1:101
	v_add_f64 v[20:21], v[20:21], -v[26:27]
	v_add_f64 v[22:23], v[22:23], -v[210:211]
	s_waitcnt lgkmcnt(0)
	v_mul_f64 v[26:27], v[222:223], v[208:209]
	v_mul_f64 v[210:211], v[220:221], v[208:209]
	s_delay_alu instid0(VALU_DEP_2) | instskip(NEXT) | instid1(VALU_DEP_2)
	v_fma_f64 v[26:27], v[220:221], v[24:25], -v[26:27]
	v_fma_f64 v[210:211], v[222:223], v[24:25], v[210:211]
	ds_load_2addr_b64 v[220:223], v230 offset0:102 offset1:103
	v_add_f64 v[16:17], v[16:17], -v[26:27]
	v_add_f64 v[18:19], v[18:19], -v[210:211]
	;; [unrolled: 9-line block ×5, first 2 shown]
	s_waitcnt lgkmcnt(0)
	v_mul_f64 v[26:27], v[222:223], v[208:209]
	v_mul_f64 v[210:211], v[220:221], v[208:209]
	s_delay_alu instid0(VALU_DEP_2) | instskip(NEXT) | instid1(VALU_DEP_2)
	v_fma_f64 v[26:27], v[220:221], v[24:25], -v[26:27]
	v_fma_f64 v[210:211], v[222:223], v[24:25], v[210:211]
	s_delay_alu instid0(VALU_DEP_2) | instskip(NEXT) | instid1(VALU_DEP_2)
	v_add_f64 v[0:1], v[0:1], -v[26:27]
	v_add_f64 v[2:3], v[2:3], -v[210:211]
	v_dual_mov_b32 v26, v208 :: v_dual_mov_b32 v27, v209
.LBB108_1029:
	s_or_b32 exec_lo, exec_lo, s2
	v_lshl_add_u32 v208, v236, 4, v230
	s_barrier
	buffer_gl0_inv
	v_mov_b32_e32 v228, 49
	ds_store_2addr_b64 v208, v[20:21], v[22:23] offset1:1
	s_waitcnt lgkmcnt(0)
	s_barrier
	buffer_gl0_inv
	ds_load_2addr_b64 v[220:223], v230 offset0:98 offset1:99
	s_cmp_lt_i32 s5, 51
	s_cbranch_scc1 .LBB108_1032
; %bb.1030:
	v_add3_u32 v229, v234, 0, 0x320
	v_mov_b32_e32 v228, 49
	s_mov_b32 s6, 50
	s_set_inst_prefetch_distance 0x1
	.p2align	6
.LBB108_1031:                           ; =>This Inner Loop Header: Depth=1
	ds_load_2addr_b64 v[237:240], v229 offset1:1
	s_waitcnt lgkmcnt(1)
	v_cmp_gt_f64_e32 vcc_lo, 0, v[220:221]
	v_xor_b32_e32 v208, 0x80000000, v221
	v_cmp_gt_f64_e64 s2, 0, v[222:223]
	v_xor_b32_e32 v210, 0x80000000, v223
	v_add_nc_u32_e32 v229, 16, v229
	s_waitcnt lgkmcnt(0)
	v_cmp_gt_f64_e64 s3, 0, v[237:238]
	v_mov_b32_e32 v212, v237
	v_dual_mov_b32 v214, v239 :: v_dual_cndmask_b32 v209, v221, v208
	v_xor_b32_e32 v208, 0x80000000, v238
	v_cndmask_b32_e64 v211, v223, v210, s2
	v_xor_b32_e32 v210, 0x80000000, v240
	s_delay_alu instid0(VALU_DEP_3) | instskip(SKIP_2) | instid1(VALU_DEP_2)
	v_cndmask_b32_e64 v213, v238, v208, s3
	v_cmp_gt_f64_e64 s3, 0, v[239:240]
	v_cndmask_b32_e32 v208, v220, v220, vcc_lo
	v_cndmask_b32_e64 v215, v240, v210, s3
	v_cndmask_b32_e64 v210, v222, v222, s2
	s_delay_alu instid0(VALU_DEP_2) | instskip(NEXT) | instid1(VALU_DEP_2)
	v_add_f64 v[212:213], v[212:213], v[214:215]
	v_add_f64 v[208:209], v[208:209], v[210:211]
	s_delay_alu instid0(VALU_DEP_1) | instskip(SKIP_4) | instid1(SALU_CYCLE_1)
	v_cmp_lt_f64_e32 vcc_lo, v[208:209], v[212:213]
	v_dual_cndmask_b32 v221, v221, v238 :: v_dual_cndmask_b32 v220, v220, v237
	v_dual_cndmask_b32 v223, v223, v240 :: v_dual_cndmask_b32 v222, v222, v239
	v_cndmask_b32_e64 v228, v228, s6, vcc_lo
	s_add_i32 s6, s6, 1
	s_cmp_lg_u32 s5, s6
	s_cbranch_scc1 .LBB108_1031
.LBB108_1032:
	s_set_inst_prefetch_distance 0x2
	s_waitcnt lgkmcnt(0)
	v_cmp_eq_f64_e32 vcc_lo, 0, v[220:221]
	v_cmp_eq_f64_e64 s2, 0, v[222:223]
	s_delay_alu instid0(VALU_DEP_1) | instskip(NEXT) | instid1(SALU_CYCLE_1)
	s_and_b32 s2, vcc_lo, s2
	s_and_saveexec_b32 s3, s2
	s_delay_alu instid0(SALU_CYCLE_1)
	s_xor_b32 s2, exec_lo, s3
; %bb.1033:
	v_cmp_ne_u32_e32 vcc_lo, 0, v233
	v_cndmask_b32_e32 v233, 50, v233, vcc_lo
; %bb.1034:
	s_and_not1_saveexec_b32 s3, s2
	s_cbranch_execz .LBB108_1040
; %bb.1035:
	v_cmp_gt_f64_e32 vcc_lo, 0, v[220:221]
	v_cmp_gt_f64_e64 s2, 0, v[222:223]
	v_xor_b32_e32 v208, 0x80000000, v221
	v_xor_b32_e32 v210, 0x80000000, v223
	s_delay_alu instid0(VALU_DEP_2) | instskip(NEXT) | instid1(VALU_DEP_2)
	v_cndmask_b32_e32 v209, v221, v208, vcc_lo
	v_cndmask_b32_e64 v211, v223, v210, s2
	v_cndmask_b32_e32 v208, v220, v220, vcc_lo
	v_cndmask_b32_e64 v210, v222, v222, s2
	s_mov_b32 s2, exec_lo
	s_delay_alu instid0(VALU_DEP_1)
	v_cmpx_ngt_f64_e32 v[208:209], v[210:211]
	s_xor_b32 s2, exec_lo, s2
	s_cbranch_execz .LBB108_1037
; %bb.1036:
	v_div_scale_f64 v[208:209], null, v[222:223], v[222:223], v[220:221]
	v_div_scale_f64 v[214:215], vcc_lo, v[220:221], v[222:223], v[220:221]
	s_delay_alu instid0(VALU_DEP_2) | instskip(SKIP_2) | instid1(VALU_DEP_1)
	v_rcp_f64_e32 v[210:211], v[208:209]
	s_waitcnt_depctr 0xfff
	v_fma_f64 v[212:213], -v[208:209], v[210:211], 1.0
	v_fma_f64 v[210:211], v[210:211], v[212:213], v[210:211]
	s_delay_alu instid0(VALU_DEP_1) | instskip(NEXT) | instid1(VALU_DEP_1)
	v_fma_f64 v[212:213], -v[208:209], v[210:211], 1.0
	v_fma_f64 v[210:211], v[210:211], v[212:213], v[210:211]
	s_delay_alu instid0(VALU_DEP_1) | instskip(NEXT) | instid1(VALU_DEP_1)
	v_mul_f64 v[212:213], v[214:215], v[210:211]
	v_fma_f64 v[208:209], -v[208:209], v[212:213], v[214:215]
	s_delay_alu instid0(VALU_DEP_1) | instskip(NEXT) | instid1(VALU_DEP_1)
	v_div_fmas_f64 v[208:209], v[208:209], v[210:211], v[212:213]
	v_div_fixup_f64 v[208:209], v[208:209], v[222:223], v[220:221]
	s_delay_alu instid0(VALU_DEP_1) | instskip(NEXT) | instid1(VALU_DEP_1)
	v_fma_f64 v[210:211], v[220:221], v[208:209], v[222:223]
	v_div_scale_f64 v[212:213], null, v[210:211], v[210:211], 1.0
	s_delay_alu instid0(VALU_DEP_1) | instskip(SKIP_2) | instid1(VALU_DEP_1)
	v_rcp_f64_e32 v[214:215], v[212:213]
	s_waitcnt_depctr 0xfff
	v_fma_f64 v[220:221], -v[212:213], v[214:215], 1.0
	v_fma_f64 v[214:215], v[214:215], v[220:221], v[214:215]
	s_delay_alu instid0(VALU_DEP_1) | instskip(NEXT) | instid1(VALU_DEP_1)
	v_fma_f64 v[220:221], -v[212:213], v[214:215], 1.0
	v_fma_f64 v[214:215], v[214:215], v[220:221], v[214:215]
	v_div_scale_f64 v[220:221], vcc_lo, 1.0, v[210:211], 1.0
	s_delay_alu instid0(VALU_DEP_1) | instskip(NEXT) | instid1(VALU_DEP_1)
	v_mul_f64 v[222:223], v[220:221], v[214:215]
	v_fma_f64 v[212:213], -v[212:213], v[222:223], v[220:221]
	s_delay_alu instid0(VALU_DEP_1) | instskip(NEXT) | instid1(VALU_DEP_1)
	v_div_fmas_f64 v[212:213], v[212:213], v[214:215], v[222:223]
	v_div_fixup_f64 v[222:223], v[212:213], v[210:211], 1.0
	s_delay_alu instid0(VALU_DEP_1)
	v_mul_f64 v[220:221], v[208:209], v[222:223]
	v_xor_b32_e32 v223, 0x80000000, v223
.LBB108_1037:
	s_and_not1_saveexec_b32 s2, s2
	s_cbranch_execz .LBB108_1039
; %bb.1038:
	s_delay_alu instid0(VALU_DEP_1) | instskip(SKIP_1) | instid1(VALU_DEP_2)
	v_div_scale_f64 v[208:209], null, v[220:221], v[220:221], v[222:223]
	v_div_scale_f64 v[214:215], vcc_lo, v[222:223], v[220:221], v[222:223]
	v_rcp_f64_e32 v[210:211], v[208:209]
	s_waitcnt_depctr 0xfff
	v_fma_f64 v[212:213], -v[208:209], v[210:211], 1.0
	s_delay_alu instid0(VALU_DEP_1) | instskip(NEXT) | instid1(VALU_DEP_1)
	v_fma_f64 v[210:211], v[210:211], v[212:213], v[210:211]
	v_fma_f64 v[212:213], -v[208:209], v[210:211], 1.0
	s_delay_alu instid0(VALU_DEP_1) | instskip(NEXT) | instid1(VALU_DEP_1)
	v_fma_f64 v[210:211], v[210:211], v[212:213], v[210:211]
	v_mul_f64 v[212:213], v[214:215], v[210:211]
	s_delay_alu instid0(VALU_DEP_1) | instskip(NEXT) | instid1(VALU_DEP_1)
	v_fma_f64 v[208:209], -v[208:209], v[212:213], v[214:215]
	v_div_fmas_f64 v[208:209], v[208:209], v[210:211], v[212:213]
	s_delay_alu instid0(VALU_DEP_1) | instskip(NEXT) | instid1(VALU_DEP_1)
	v_div_fixup_f64 v[208:209], v[208:209], v[220:221], v[222:223]
	v_fma_f64 v[210:211], v[222:223], v[208:209], v[220:221]
	s_delay_alu instid0(VALU_DEP_1) | instskip(NEXT) | instid1(VALU_DEP_1)
	v_div_scale_f64 v[212:213], null, v[210:211], v[210:211], 1.0
	v_rcp_f64_e32 v[214:215], v[212:213]
	s_waitcnt_depctr 0xfff
	v_fma_f64 v[220:221], -v[212:213], v[214:215], 1.0
	s_delay_alu instid0(VALU_DEP_1) | instskip(NEXT) | instid1(VALU_DEP_1)
	v_fma_f64 v[214:215], v[214:215], v[220:221], v[214:215]
	v_fma_f64 v[220:221], -v[212:213], v[214:215], 1.0
	s_delay_alu instid0(VALU_DEP_1) | instskip(SKIP_1) | instid1(VALU_DEP_1)
	v_fma_f64 v[214:215], v[214:215], v[220:221], v[214:215]
	v_div_scale_f64 v[220:221], vcc_lo, 1.0, v[210:211], 1.0
	v_mul_f64 v[222:223], v[220:221], v[214:215]
	s_delay_alu instid0(VALU_DEP_1) | instskip(NEXT) | instid1(VALU_DEP_1)
	v_fma_f64 v[212:213], -v[212:213], v[222:223], v[220:221]
	v_div_fmas_f64 v[212:213], v[212:213], v[214:215], v[222:223]
	s_delay_alu instid0(VALU_DEP_1) | instskip(NEXT) | instid1(VALU_DEP_1)
	v_div_fixup_f64 v[220:221], v[212:213], v[210:211], 1.0
	v_mul_f64 v[222:223], v[208:209], -v[220:221]
.LBB108_1039:
	s_or_b32 exec_lo, exec_lo, s2
.LBB108_1040:
	s_delay_alu instid0(SALU_CYCLE_1) | instskip(NEXT) | instid1(SALU_CYCLE_1)
	s_or_b32 exec_lo, exec_lo, s3
	s_mov_b32 s2, exec_lo
	v_cmpx_ne_u32_e64 v236, v228
	s_xor_b32 s2, exec_lo, s2
	s_cbranch_execz .LBB108_1046
; %bb.1041:
	s_mov_b32 s3, exec_lo
	v_cmpx_eq_u32_e32 49, v236
	s_cbranch_execz .LBB108_1045
; %bb.1042:
	v_cmp_ne_u32_e32 vcc_lo, 49, v228
	s_xor_b32 s6, s4, -1
	s_delay_alu instid0(SALU_CYCLE_1) | instskip(NEXT) | instid1(SALU_CYCLE_1)
	s_and_b32 s7, s6, vcc_lo
	s_and_saveexec_b32 s6, s7
	s_cbranch_execz .LBB108_1044
; %bb.1043:
	v_ashrrev_i32_e32 v229, 31, v228
	s_delay_alu instid0(VALU_DEP_1) | instskip(NEXT) | instid1(VALU_DEP_1)
	v_lshlrev_b64 v[208:209], 2, v[228:229]
	v_add_co_u32 v208, vcc_lo, v231, v208
	s_delay_alu instid0(VALU_DEP_2)
	v_add_co_ci_u32_e32 v209, vcc_lo, v232, v209, vcc_lo
	s_clause 0x1
	flat_load_b32 v210, v[208:209]
	flat_load_b32 v211, v[231:232] offset:196
	s_waitcnt vmcnt(1) lgkmcnt(1)
	flat_store_b32 v[231:232], v210 offset:196
	s_waitcnt vmcnt(0) lgkmcnt(1)
	flat_store_b32 v[208:209], v211
.LBB108_1044:
	s_or_b32 exec_lo, exec_lo, s6
	v_mov_b32_e32 v236, v228
	v_mov_b32_e32 v227, v228
.LBB108_1045:
	s_or_b32 exec_lo, exec_lo, s3
.LBB108_1046:
	s_and_not1_saveexec_b32 s2, s2
	s_cbranch_execz .LBB108_1048
; %bb.1047:
	v_mov_b32_e32 v236, 49
	ds_store_2addr_b64 v230, v[16:17], v[18:19] offset0:100 offset1:101
	ds_store_2addr_b64 v230, v[12:13], v[14:15] offset0:102 offset1:103
	;; [unrolled: 1-line block ×5, first 2 shown]
.LBB108_1048:
	s_or_b32 exec_lo, exec_lo, s2
	s_delay_alu instid0(SALU_CYCLE_1)
	s_mov_b32 s2, exec_lo
	s_waitcnt lgkmcnt(0)
	s_waitcnt_vscnt null, 0x0
	s_barrier
	buffer_gl0_inv
	v_cmpx_lt_i32_e32 49, v236
	s_cbranch_execz .LBB108_1050
; %bb.1049:
	v_mul_f64 v[208:209], v[220:221], v[22:23]
	v_mul_f64 v[22:23], v[222:223], v[22:23]
	s_delay_alu instid0(VALU_DEP_2) | instskip(NEXT) | instid1(VALU_DEP_2)
	v_fma_f64 v[208:209], v[222:223], v[20:21], v[208:209]
	v_fma_f64 v[20:21], v[220:221], v[20:21], -v[22:23]
	ds_load_2addr_b64 v[220:223], v230 offset0:100 offset1:101
	s_waitcnt lgkmcnt(0)
	v_mul_f64 v[22:23], v[222:223], v[208:209]
	v_mul_f64 v[210:211], v[220:221], v[208:209]
	s_delay_alu instid0(VALU_DEP_2) | instskip(NEXT) | instid1(VALU_DEP_2)
	v_fma_f64 v[22:23], v[220:221], v[20:21], -v[22:23]
	v_fma_f64 v[210:211], v[222:223], v[20:21], v[210:211]
	ds_load_2addr_b64 v[220:223], v230 offset0:102 offset1:103
	v_add_f64 v[16:17], v[16:17], -v[22:23]
	v_add_f64 v[18:19], v[18:19], -v[210:211]
	s_waitcnt lgkmcnt(0)
	v_mul_f64 v[22:23], v[222:223], v[208:209]
	v_mul_f64 v[210:211], v[220:221], v[208:209]
	s_delay_alu instid0(VALU_DEP_2) | instskip(NEXT) | instid1(VALU_DEP_2)
	v_fma_f64 v[22:23], v[220:221], v[20:21], -v[22:23]
	v_fma_f64 v[210:211], v[222:223], v[20:21], v[210:211]
	ds_load_2addr_b64 v[220:223], v230 offset0:104 offset1:105
	v_add_f64 v[12:13], v[12:13], -v[22:23]
	v_add_f64 v[14:15], v[14:15], -v[210:211]
	;; [unrolled: 9-line block ×4, first 2 shown]
	s_waitcnt lgkmcnt(0)
	v_mul_f64 v[22:23], v[222:223], v[208:209]
	v_mul_f64 v[210:211], v[220:221], v[208:209]
	s_delay_alu instid0(VALU_DEP_2) | instskip(NEXT) | instid1(VALU_DEP_2)
	v_fma_f64 v[22:23], v[220:221], v[20:21], -v[22:23]
	v_fma_f64 v[210:211], v[222:223], v[20:21], v[210:211]
	s_delay_alu instid0(VALU_DEP_2) | instskip(NEXT) | instid1(VALU_DEP_2)
	v_add_f64 v[0:1], v[0:1], -v[22:23]
	v_add_f64 v[2:3], v[2:3], -v[210:211]
	v_dual_mov_b32 v22, v208 :: v_dual_mov_b32 v23, v209
.LBB108_1050:
	s_or_b32 exec_lo, exec_lo, s2
	v_lshl_add_u32 v208, v236, 4, v230
	s_barrier
	buffer_gl0_inv
	v_mov_b32_e32 v228, 50
	ds_store_2addr_b64 v208, v[16:17], v[18:19] offset1:1
	s_waitcnt lgkmcnt(0)
	s_barrier
	buffer_gl0_inv
	ds_load_2addr_b64 v[220:223], v230 offset0:100 offset1:101
	s_cmp_lt_i32 s5, 52
	s_cbranch_scc1 .LBB108_1053
; %bb.1051:
	v_add3_u32 v229, v234, 0, 0x330
	v_mov_b32_e32 v228, 50
	s_mov_b32 s6, 51
	s_set_inst_prefetch_distance 0x1
	.p2align	6
.LBB108_1052:                           ; =>This Inner Loop Header: Depth=1
	ds_load_2addr_b64 v[237:240], v229 offset1:1
	s_waitcnt lgkmcnt(1)
	v_cmp_gt_f64_e32 vcc_lo, 0, v[220:221]
	v_xor_b32_e32 v208, 0x80000000, v221
	v_cmp_gt_f64_e64 s2, 0, v[222:223]
	v_xor_b32_e32 v210, 0x80000000, v223
	v_add_nc_u32_e32 v229, 16, v229
	s_waitcnt lgkmcnt(0)
	v_cmp_gt_f64_e64 s3, 0, v[237:238]
	v_mov_b32_e32 v212, v237
	v_dual_mov_b32 v214, v239 :: v_dual_cndmask_b32 v209, v221, v208
	v_xor_b32_e32 v208, 0x80000000, v238
	v_cndmask_b32_e64 v211, v223, v210, s2
	v_xor_b32_e32 v210, 0x80000000, v240
	s_delay_alu instid0(VALU_DEP_3) | instskip(SKIP_2) | instid1(VALU_DEP_2)
	v_cndmask_b32_e64 v213, v238, v208, s3
	v_cmp_gt_f64_e64 s3, 0, v[239:240]
	v_cndmask_b32_e32 v208, v220, v220, vcc_lo
	v_cndmask_b32_e64 v215, v240, v210, s3
	v_cndmask_b32_e64 v210, v222, v222, s2
	s_delay_alu instid0(VALU_DEP_2) | instskip(NEXT) | instid1(VALU_DEP_2)
	v_add_f64 v[212:213], v[212:213], v[214:215]
	v_add_f64 v[208:209], v[208:209], v[210:211]
	s_delay_alu instid0(VALU_DEP_1) | instskip(SKIP_4) | instid1(SALU_CYCLE_1)
	v_cmp_lt_f64_e32 vcc_lo, v[208:209], v[212:213]
	v_dual_cndmask_b32 v221, v221, v238 :: v_dual_cndmask_b32 v220, v220, v237
	v_dual_cndmask_b32 v223, v223, v240 :: v_dual_cndmask_b32 v222, v222, v239
	v_cndmask_b32_e64 v228, v228, s6, vcc_lo
	s_add_i32 s6, s6, 1
	s_cmp_lg_u32 s5, s6
	s_cbranch_scc1 .LBB108_1052
.LBB108_1053:
	s_set_inst_prefetch_distance 0x2
	s_waitcnt lgkmcnt(0)
	v_cmp_eq_f64_e32 vcc_lo, 0, v[220:221]
	v_cmp_eq_f64_e64 s2, 0, v[222:223]
	s_delay_alu instid0(VALU_DEP_1) | instskip(NEXT) | instid1(SALU_CYCLE_1)
	s_and_b32 s2, vcc_lo, s2
	s_and_saveexec_b32 s3, s2
	s_delay_alu instid0(SALU_CYCLE_1)
	s_xor_b32 s2, exec_lo, s3
; %bb.1054:
	v_cmp_ne_u32_e32 vcc_lo, 0, v233
	v_cndmask_b32_e32 v233, 51, v233, vcc_lo
; %bb.1055:
	s_and_not1_saveexec_b32 s3, s2
	s_cbranch_execz .LBB108_1061
; %bb.1056:
	v_cmp_gt_f64_e32 vcc_lo, 0, v[220:221]
	v_cmp_gt_f64_e64 s2, 0, v[222:223]
	v_xor_b32_e32 v208, 0x80000000, v221
	v_xor_b32_e32 v210, 0x80000000, v223
	s_delay_alu instid0(VALU_DEP_2) | instskip(NEXT) | instid1(VALU_DEP_2)
	v_cndmask_b32_e32 v209, v221, v208, vcc_lo
	v_cndmask_b32_e64 v211, v223, v210, s2
	v_cndmask_b32_e32 v208, v220, v220, vcc_lo
	v_cndmask_b32_e64 v210, v222, v222, s2
	s_mov_b32 s2, exec_lo
	s_delay_alu instid0(VALU_DEP_1)
	v_cmpx_ngt_f64_e32 v[208:209], v[210:211]
	s_xor_b32 s2, exec_lo, s2
	s_cbranch_execz .LBB108_1058
; %bb.1057:
	v_div_scale_f64 v[208:209], null, v[222:223], v[222:223], v[220:221]
	v_div_scale_f64 v[214:215], vcc_lo, v[220:221], v[222:223], v[220:221]
	s_delay_alu instid0(VALU_DEP_2) | instskip(SKIP_2) | instid1(VALU_DEP_1)
	v_rcp_f64_e32 v[210:211], v[208:209]
	s_waitcnt_depctr 0xfff
	v_fma_f64 v[212:213], -v[208:209], v[210:211], 1.0
	v_fma_f64 v[210:211], v[210:211], v[212:213], v[210:211]
	s_delay_alu instid0(VALU_DEP_1) | instskip(NEXT) | instid1(VALU_DEP_1)
	v_fma_f64 v[212:213], -v[208:209], v[210:211], 1.0
	v_fma_f64 v[210:211], v[210:211], v[212:213], v[210:211]
	s_delay_alu instid0(VALU_DEP_1) | instskip(NEXT) | instid1(VALU_DEP_1)
	v_mul_f64 v[212:213], v[214:215], v[210:211]
	v_fma_f64 v[208:209], -v[208:209], v[212:213], v[214:215]
	s_delay_alu instid0(VALU_DEP_1) | instskip(NEXT) | instid1(VALU_DEP_1)
	v_div_fmas_f64 v[208:209], v[208:209], v[210:211], v[212:213]
	v_div_fixup_f64 v[208:209], v[208:209], v[222:223], v[220:221]
	s_delay_alu instid0(VALU_DEP_1) | instskip(NEXT) | instid1(VALU_DEP_1)
	v_fma_f64 v[210:211], v[220:221], v[208:209], v[222:223]
	v_div_scale_f64 v[212:213], null, v[210:211], v[210:211], 1.0
	s_delay_alu instid0(VALU_DEP_1) | instskip(SKIP_2) | instid1(VALU_DEP_1)
	v_rcp_f64_e32 v[214:215], v[212:213]
	s_waitcnt_depctr 0xfff
	v_fma_f64 v[220:221], -v[212:213], v[214:215], 1.0
	v_fma_f64 v[214:215], v[214:215], v[220:221], v[214:215]
	s_delay_alu instid0(VALU_DEP_1) | instskip(NEXT) | instid1(VALU_DEP_1)
	v_fma_f64 v[220:221], -v[212:213], v[214:215], 1.0
	v_fma_f64 v[214:215], v[214:215], v[220:221], v[214:215]
	v_div_scale_f64 v[220:221], vcc_lo, 1.0, v[210:211], 1.0
	s_delay_alu instid0(VALU_DEP_1) | instskip(NEXT) | instid1(VALU_DEP_1)
	v_mul_f64 v[222:223], v[220:221], v[214:215]
	v_fma_f64 v[212:213], -v[212:213], v[222:223], v[220:221]
	s_delay_alu instid0(VALU_DEP_1) | instskip(NEXT) | instid1(VALU_DEP_1)
	v_div_fmas_f64 v[212:213], v[212:213], v[214:215], v[222:223]
	v_div_fixup_f64 v[222:223], v[212:213], v[210:211], 1.0
	s_delay_alu instid0(VALU_DEP_1)
	v_mul_f64 v[220:221], v[208:209], v[222:223]
	v_xor_b32_e32 v223, 0x80000000, v223
.LBB108_1058:
	s_and_not1_saveexec_b32 s2, s2
	s_cbranch_execz .LBB108_1060
; %bb.1059:
	s_delay_alu instid0(VALU_DEP_1) | instskip(SKIP_1) | instid1(VALU_DEP_2)
	v_div_scale_f64 v[208:209], null, v[220:221], v[220:221], v[222:223]
	v_div_scale_f64 v[214:215], vcc_lo, v[222:223], v[220:221], v[222:223]
	v_rcp_f64_e32 v[210:211], v[208:209]
	s_waitcnt_depctr 0xfff
	v_fma_f64 v[212:213], -v[208:209], v[210:211], 1.0
	s_delay_alu instid0(VALU_DEP_1) | instskip(NEXT) | instid1(VALU_DEP_1)
	v_fma_f64 v[210:211], v[210:211], v[212:213], v[210:211]
	v_fma_f64 v[212:213], -v[208:209], v[210:211], 1.0
	s_delay_alu instid0(VALU_DEP_1) | instskip(NEXT) | instid1(VALU_DEP_1)
	v_fma_f64 v[210:211], v[210:211], v[212:213], v[210:211]
	v_mul_f64 v[212:213], v[214:215], v[210:211]
	s_delay_alu instid0(VALU_DEP_1) | instskip(NEXT) | instid1(VALU_DEP_1)
	v_fma_f64 v[208:209], -v[208:209], v[212:213], v[214:215]
	v_div_fmas_f64 v[208:209], v[208:209], v[210:211], v[212:213]
	s_delay_alu instid0(VALU_DEP_1) | instskip(NEXT) | instid1(VALU_DEP_1)
	v_div_fixup_f64 v[208:209], v[208:209], v[220:221], v[222:223]
	v_fma_f64 v[210:211], v[222:223], v[208:209], v[220:221]
	s_delay_alu instid0(VALU_DEP_1) | instskip(NEXT) | instid1(VALU_DEP_1)
	v_div_scale_f64 v[212:213], null, v[210:211], v[210:211], 1.0
	v_rcp_f64_e32 v[214:215], v[212:213]
	s_waitcnt_depctr 0xfff
	v_fma_f64 v[220:221], -v[212:213], v[214:215], 1.0
	s_delay_alu instid0(VALU_DEP_1) | instskip(NEXT) | instid1(VALU_DEP_1)
	v_fma_f64 v[214:215], v[214:215], v[220:221], v[214:215]
	v_fma_f64 v[220:221], -v[212:213], v[214:215], 1.0
	s_delay_alu instid0(VALU_DEP_1) | instskip(SKIP_1) | instid1(VALU_DEP_1)
	v_fma_f64 v[214:215], v[214:215], v[220:221], v[214:215]
	v_div_scale_f64 v[220:221], vcc_lo, 1.0, v[210:211], 1.0
	v_mul_f64 v[222:223], v[220:221], v[214:215]
	s_delay_alu instid0(VALU_DEP_1) | instskip(NEXT) | instid1(VALU_DEP_1)
	v_fma_f64 v[212:213], -v[212:213], v[222:223], v[220:221]
	v_div_fmas_f64 v[212:213], v[212:213], v[214:215], v[222:223]
	s_delay_alu instid0(VALU_DEP_1) | instskip(NEXT) | instid1(VALU_DEP_1)
	v_div_fixup_f64 v[220:221], v[212:213], v[210:211], 1.0
	v_mul_f64 v[222:223], v[208:209], -v[220:221]
.LBB108_1060:
	s_or_b32 exec_lo, exec_lo, s2
.LBB108_1061:
	s_delay_alu instid0(SALU_CYCLE_1) | instskip(NEXT) | instid1(SALU_CYCLE_1)
	s_or_b32 exec_lo, exec_lo, s3
	s_mov_b32 s2, exec_lo
	v_cmpx_ne_u32_e64 v236, v228
	s_xor_b32 s2, exec_lo, s2
	s_cbranch_execz .LBB108_1067
; %bb.1062:
	s_mov_b32 s3, exec_lo
	v_cmpx_eq_u32_e32 50, v236
	s_cbranch_execz .LBB108_1066
; %bb.1063:
	v_cmp_ne_u32_e32 vcc_lo, 50, v228
	s_xor_b32 s6, s4, -1
	s_delay_alu instid0(SALU_CYCLE_1) | instskip(NEXT) | instid1(SALU_CYCLE_1)
	s_and_b32 s7, s6, vcc_lo
	s_and_saveexec_b32 s6, s7
	s_cbranch_execz .LBB108_1065
; %bb.1064:
	v_ashrrev_i32_e32 v229, 31, v228
	s_delay_alu instid0(VALU_DEP_1) | instskip(NEXT) | instid1(VALU_DEP_1)
	v_lshlrev_b64 v[208:209], 2, v[228:229]
	v_add_co_u32 v208, vcc_lo, v231, v208
	s_delay_alu instid0(VALU_DEP_2)
	v_add_co_ci_u32_e32 v209, vcc_lo, v232, v209, vcc_lo
	s_clause 0x1
	flat_load_b32 v210, v[208:209]
	flat_load_b32 v211, v[231:232] offset:200
	s_waitcnt vmcnt(1) lgkmcnt(1)
	flat_store_b32 v[231:232], v210 offset:200
	s_waitcnt vmcnt(0) lgkmcnt(1)
	flat_store_b32 v[208:209], v211
.LBB108_1065:
	s_or_b32 exec_lo, exec_lo, s6
	v_mov_b32_e32 v236, v228
	v_mov_b32_e32 v227, v228
.LBB108_1066:
	s_or_b32 exec_lo, exec_lo, s3
.LBB108_1067:
	s_and_not1_saveexec_b32 s2, s2
	s_cbranch_execz .LBB108_1069
; %bb.1068:
	v_mov_b32_e32 v236, 50
	ds_store_2addr_b64 v230, v[12:13], v[14:15] offset0:102 offset1:103
	ds_store_2addr_b64 v230, v[8:9], v[10:11] offset0:104 offset1:105
	;; [unrolled: 1-line block ×4, first 2 shown]
.LBB108_1069:
	s_or_b32 exec_lo, exec_lo, s2
	s_delay_alu instid0(SALU_CYCLE_1)
	s_mov_b32 s2, exec_lo
	s_waitcnt lgkmcnt(0)
	s_waitcnt_vscnt null, 0x0
	s_barrier
	buffer_gl0_inv
	v_cmpx_lt_i32_e32 50, v236
	s_cbranch_execz .LBB108_1071
; %bb.1070:
	v_mul_f64 v[208:209], v[220:221], v[18:19]
	v_mul_f64 v[18:19], v[222:223], v[18:19]
	s_delay_alu instid0(VALU_DEP_2) | instskip(NEXT) | instid1(VALU_DEP_2)
	v_fma_f64 v[208:209], v[222:223], v[16:17], v[208:209]
	v_fma_f64 v[16:17], v[220:221], v[16:17], -v[18:19]
	ds_load_2addr_b64 v[220:223], v230 offset0:102 offset1:103
	s_waitcnt lgkmcnt(0)
	v_mul_f64 v[18:19], v[222:223], v[208:209]
	v_mul_f64 v[210:211], v[220:221], v[208:209]
	s_delay_alu instid0(VALU_DEP_2) | instskip(NEXT) | instid1(VALU_DEP_2)
	v_fma_f64 v[18:19], v[220:221], v[16:17], -v[18:19]
	v_fma_f64 v[210:211], v[222:223], v[16:17], v[210:211]
	ds_load_2addr_b64 v[220:223], v230 offset0:104 offset1:105
	v_add_f64 v[12:13], v[12:13], -v[18:19]
	v_add_f64 v[14:15], v[14:15], -v[210:211]
	s_waitcnt lgkmcnt(0)
	v_mul_f64 v[18:19], v[222:223], v[208:209]
	v_mul_f64 v[210:211], v[220:221], v[208:209]
	s_delay_alu instid0(VALU_DEP_2) | instskip(NEXT) | instid1(VALU_DEP_2)
	v_fma_f64 v[18:19], v[220:221], v[16:17], -v[18:19]
	v_fma_f64 v[210:211], v[222:223], v[16:17], v[210:211]
	ds_load_2addr_b64 v[220:223], v230 offset0:106 offset1:107
	v_add_f64 v[8:9], v[8:9], -v[18:19]
	v_add_f64 v[10:11], v[10:11], -v[210:211]
	;; [unrolled: 9-line block ×3, first 2 shown]
	s_waitcnt lgkmcnt(0)
	v_mul_f64 v[18:19], v[222:223], v[208:209]
	v_mul_f64 v[210:211], v[220:221], v[208:209]
	s_delay_alu instid0(VALU_DEP_2) | instskip(NEXT) | instid1(VALU_DEP_2)
	v_fma_f64 v[18:19], v[220:221], v[16:17], -v[18:19]
	v_fma_f64 v[210:211], v[222:223], v[16:17], v[210:211]
	s_delay_alu instid0(VALU_DEP_2) | instskip(NEXT) | instid1(VALU_DEP_2)
	v_add_f64 v[0:1], v[0:1], -v[18:19]
	v_add_f64 v[2:3], v[2:3], -v[210:211]
	v_dual_mov_b32 v18, v208 :: v_dual_mov_b32 v19, v209
.LBB108_1071:
	s_or_b32 exec_lo, exec_lo, s2
	v_lshl_add_u32 v208, v236, 4, v230
	s_barrier
	buffer_gl0_inv
	v_mov_b32_e32 v228, 51
	ds_store_2addr_b64 v208, v[12:13], v[14:15] offset1:1
	s_waitcnt lgkmcnt(0)
	s_barrier
	buffer_gl0_inv
	ds_load_2addr_b64 v[220:223], v230 offset0:102 offset1:103
	s_cmp_lt_i32 s5, 53
	s_cbranch_scc1 .LBB108_1074
; %bb.1072:
	v_add3_u32 v229, v234, 0, 0x340
	v_mov_b32_e32 v228, 51
	s_mov_b32 s6, 52
	s_set_inst_prefetch_distance 0x1
	.p2align	6
.LBB108_1073:                           ; =>This Inner Loop Header: Depth=1
	ds_load_2addr_b64 v[237:240], v229 offset1:1
	s_waitcnt lgkmcnt(1)
	v_cmp_gt_f64_e32 vcc_lo, 0, v[220:221]
	v_xor_b32_e32 v208, 0x80000000, v221
	v_cmp_gt_f64_e64 s2, 0, v[222:223]
	v_xor_b32_e32 v210, 0x80000000, v223
	v_add_nc_u32_e32 v229, 16, v229
	s_waitcnt lgkmcnt(0)
	v_cmp_gt_f64_e64 s3, 0, v[237:238]
	v_mov_b32_e32 v212, v237
	v_dual_mov_b32 v214, v239 :: v_dual_cndmask_b32 v209, v221, v208
	v_xor_b32_e32 v208, 0x80000000, v238
	v_cndmask_b32_e64 v211, v223, v210, s2
	v_xor_b32_e32 v210, 0x80000000, v240
	s_delay_alu instid0(VALU_DEP_3) | instskip(SKIP_2) | instid1(VALU_DEP_2)
	v_cndmask_b32_e64 v213, v238, v208, s3
	v_cmp_gt_f64_e64 s3, 0, v[239:240]
	v_cndmask_b32_e32 v208, v220, v220, vcc_lo
	v_cndmask_b32_e64 v215, v240, v210, s3
	v_cndmask_b32_e64 v210, v222, v222, s2
	s_delay_alu instid0(VALU_DEP_2) | instskip(NEXT) | instid1(VALU_DEP_2)
	v_add_f64 v[212:213], v[212:213], v[214:215]
	v_add_f64 v[208:209], v[208:209], v[210:211]
	s_delay_alu instid0(VALU_DEP_1) | instskip(SKIP_4) | instid1(SALU_CYCLE_1)
	v_cmp_lt_f64_e32 vcc_lo, v[208:209], v[212:213]
	v_dual_cndmask_b32 v221, v221, v238 :: v_dual_cndmask_b32 v220, v220, v237
	v_dual_cndmask_b32 v223, v223, v240 :: v_dual_cndmask_b32 v222, v222, v239
	v_cndmask_b32_e64 v228, v228, s6, vcc_lo
	s_add_i32 s6, s6, 1
	s_cmp_lg_u32 s5, s6
	s_cbranch_scc1 .LBB108_1073
.LBB108_1074:
	s_set_inst_prefetch_distance 0x2
	s_waitcnt lgkmcnt(0)
	v_cmp_eq_f64_e32 vcc_lo, 0, v[220:221]
	v_cmp_eq_f64_e64 s2, 0, v[222:223]
	s_delay_alu instid0(VALU_DEP_1) | instskip(NEXT) | instid1(SALU_CYCLE_1)
	s_and_b32 s2, vcc_lo, s2
	s_and_saveexec_b32 s3, s2
	s_delay_alu instid0(SALU_CYCLE_1)
	s_xor_b32 s2, exec_lo, s3
; %bb.1075:
	v_cmp_ne_u32_e32 vcc_lo, 0, v233
	v_cndmask_b32_e32 v233, 52, v233, vcc_lo
; %bb.1076:
	s_and_not1_saveexec_b32 s3, s2
	s_cbranch_execz .LBB108_1082
; %bb.1077:
	v_cmp_gt_f64_e32 vcc_lo, 0, v[220:221]
	v_cmp_gt_f64_e64 s2, 0, v[222:223]
	v_xor_b32_e32 v208, 0x80000000, v221
	v_xor_b32_e32 v210, 0x80000000, v223
	s_delay_alu instid0(VALU_DEP_2) | instskip(NEXT) | instid1(VALU_DEP_2)
	v_cndmask_b32_e32 v209, v221, v208, vcc_lo
	v_cndmask_b32_e64 v211, v223, v210, s2
	v_cndmask_b32_e32 v208, v220, v220, vcc_lo
	v_cndmask_b32_e64 v210, v222, v222, s2
	s_mov_b32 s2, exec_lo
	s_delay_alu instid0(VALU_DEP_1)
	v_cmpx_ngt_f64_e32 v[208:209], v[210:211]
	s_xor_b32 s2, exec_lo, s2
	s_cbranch_execz .LBB108_1079
; %bb.1078:
	v_div_scale_f64 v[208:209], null, v[222:223], v[222:223], v[220:221]
	v_div_scale_f64 v[214:215], vcc_lo, v[220:221], v[222:223], v[220:221]
	s_delay_alu instid0(VALU_DEP_2) | instskip(SKIP_2) | instid1(VALU_DEP_1)
	v_rcp_f64_e32 v[210:211], v[208:209]
	s_waitcnt_depctr 0xfff
	v_fma_f64 v[212:213], -v[208:209], v[210:211], 1.0
	v_fma_f64 v[210:211], v[210:211], v[212:213], v[210:211]
	s_delay_alu instid0(VALU_DEP_1) | instskip(NEXT) | instid1(VALU_DEP_1)
	v_fma_f64 v[212:213], -v[208:209], v[210:211], 1.0
	v_fma_f64 v[210:211], v[210:211], v[212:213], v[210:211]
	s_delay_alu instid0(VALU_DEP_1) | instskip(NEXT) | instid1(VALU_DEP_1)
	v_mul_f64 v[212:213], v[214:215], v[210:211]
	v_fma_f64 v[208:209], -v[208:209], v[212:213], v[214:215]
	s_delay_alu instid0(VALU_DEP_1) | instskip(NEXT) | instid1(VALU_DEP_1)
	v_div_fmas_f64 v[208:209], v[208:209], v[210:211], v[212:213]
	v_div_fixup_f64 v[208:209], v[208:209], v[222:223], v[220:221]
	s_delay_alu instid0(VALU_DEP_1) | instskip(NEXT) | instid1(VALU_DEP_1)
	v_fma_f64 v[210:211], v[220:221], v[208:209], v[222:223]
	v_div_scale_f64 v[212:213], null, v[210:211], v[210:211], 1.0
	s_delay_alu instid0(VALU_DEP_1) | instskip(SKIP_2) | instid1(VALU_DEP_1)
	v_rcp_f64_e32 v[214:215], v[212:213]
	s_waitcnt_depctr 0xfff
	v_fma_f64 v[220:221], -v[212:213], v[214:215], 1.0
	v_fma_f64 v[214:215], v[214:215], v[220:221], v[214:215]
	s_delay_alu instid0(VALU_DEP_1) | instskip(NEXT) | instid1(VALU_DEP_1)
	v_fma_f64 v[220:221], -v[212:213], v[214:215], 1.0
	v_fma_f64 v[214:215], v[214:215], v[220:221], v[214:215]
	v_div_scale_f64 v[220:221], vcc_lo, 1.0, v[210:211], 1.0
	s_delay_alu instid0(VALU_DEP_1) | instskip(NEXT) | instid1(VALU_DEP_1)
	v_mul_f64 v[222:223], v[220:221], v[214:215]
	v_fma_f64 v[212:213], -v[212:213], v[222:223], v[220:221]
	s_delay_alu instid0(VALU_DEP_1) | instskip(NEXT) | instid1(VALU_DEP_1)
	v_div_fmas_f64 v[212:213], v[212:213], v[214:215], v[222:223]
	v_div_fixup_f64 v[222:223], v[212:213], v[210:211], 1.0
	s_delay_alu instid0(VALU_DEP_1)
	v_mul_f64 v[220:221], v[208:209], v[222:223]
	v_xor_b32_e32 v223, 0x80000000, v223
.LBB108_1079:
	s_and_not1_saveexec_b32 s2, s2
	s_cbranch_execz .LBB108_1081
; %bb.1080:
	s_delay_alu instid0(VALU_DEP_1) | instskip(SKIP_1) | instid1(VALU_DEP_2)
	v_div_scale_f64 v[208:209], null, v[220:221], v[220:221], v[222:223]
	v_div_scale_f64 v[214:215], vcc_lo, v[222:223], v[220:221], v[222:223]
	v_rcp_f64_e32 v[210:211], v[208:209]
	s_waitcnt_depctr 0xfff
	v_fma_f64 v[212:213], -v[208:209], v[210:211], 1.0
	s_delay_alu instid0(VALU_DEP_1) | instskip(NEXT) | instid1(VALU_DEP_1)
	v_fma_f64 v[210:211], v[210:211], v[212:213], v[210:211]
	v_fma_f64 v[212:213], -v[208:209], v[210:211], 1.0
	s_delay_alu instid0(VALU_DEP_1) | instskip(NEXT) | instid1(VALU_DEP_1)
	v_fma_f64 v[210:211], v[210:211], v[212:213], v[210:211]
	v_mul_f64 v[212:213], v[214:215], v[210:211]
	s_delay_alu instid0(VALU_DEP_1) | instskip(NEXT) | instid1(VALU_DEP_1)
	v_fma_f64 v[208:209], -v[208:209], v[212:213], v[214:215]
	v_div_fmas_f64 v[208:209], v[208:209], v[210:211], v[212:213]
	s_delay_alu instid0(VALU_DEP_1) | instskip(NEXT) | instid1(VALU_DEP_1)
	v_div_fixup_f64 v[208:209], v[208:209], v[220:221], v[222:223]
	v_fma_f64 v[210:211], v[222:223], v[208:209], v[220:221]
	s_delay_alu instid0(VALU_DEP_1) | instskip(NEXT) | instid1(VALU_DEP_1)
	v_div_scale_f64 v[212:213], null, v[210:211], v[210:211], 1.0
	v_rcp_f64_e32 v[214:215], v[212:213]
	s_waitcnt_depctr 0xfff
	v_fma_f64 v[220:221], -v[212:213], v[214:215], 1.0
	s_delay_alu instid0(VALU_DEP_1) | instskip(NEXT) | instid1(VALU_DEP_1)
	v_fma_f64 v[214:215], v[214:215], v[220:221], v[214:215]
	v_fma_f64 v[220:221], -v[212:213], v[214:215], 1.0
	s_delay_alu instid0(VALU_DEP_1) | instskip(SKIP_1) | instid1(VALU_DEP_1)
	v_fma_f64 v[214:215], v[214:215], v[220:221], v[214:215]
	v_div_scale_f64 v[220:221], vcc_lo, 1.0, v[210:211], 1.0
	v_mul_f64 v[222:223], v[220:221], v[214:215]
	s_delay_alu instid0(VALU_DEP_1) | instskip(NEXT) | instid1(VALU_DEP_1)
	v_fma_f64 v[212:213], -v[212:213], v[222:223], v[220:221]
	v_div_fmas_f64 v[212:213], v[212:213], v[214:215], v[222:223]
	s_delay_alu instid0(VALU_DEP_1) | instskip(NEXT) | instid1(VALU_DEP_1)
	v_div_fixup_f64 v[220:221], v[212:213], v[210:211], 1.0
	v_mul_f64 v[222:223], v[208:209], -v[220:221]
.LBB108_1081:
	s_or_b32 exec_lo, exec_lo, s2
.LBB108_1082:
	s_delay_alu instid0(SALU_CYCLE_1) | instskip(NEXT) | instid1(SALU_CYCLE_1)
	s_or_b32 exec_lo, exec_lo, s3
	s_mov_b32 s2, exec_lo
	v_cmpx_ne_u32_e64 v236, v228
	s_xor_b32 s2, exec_lo, s2
	s_cbranch_execz .LBB108_1088
; %bb.1083:
	s_mov_b32 s3, exec_lo
	v_cmpx_eq_u32_e32 51, v236
	s_cbranch_execz .LBB108_1087
; %bb.1084:
	v_cmp_ne_u32_e32 vcc_lo, 51, v228
	s_xor_b32 s6, s4, -1
	s_delay_alu instid0(SALU_CYCLE_1) | instskip(NEXT) | instid1(SALU_CYCLE_1)
	s_and_b32 s7, s6, vcc_lo
	s_and_saveexec_b32 s6, s7
	s_cbranch_execz .LBB108_1086
; %bb.1085:
	v_ashrrev_i32_e32 v229, 31, v228
	s_delay_alu instid0(VALU_DEP_1) | instskip(NEXT) | instid1(VALU_DEP_1)
	v_lshlrev_b64 v[208:209], 2, v[228:229]
	v_add_co_u32 v208, vcc_lo, v231, v208
	s_delay_alu instid0(VALU_DEP_2)
	v_add_co_ci_u32_e32 v209, vcc_lo, v232, v209, vcc_lo
	s_clause 0x1
	flat_load_b32 v210, v[208:209]
	flat_load_b32 v211, v[231:232] offset:204
	s_waitcnt vmcnt(1) lgkmcnt(1)
	flat_store_b32 v[231:232], v210 offset:204
	s_waitcnt vmcnt(0) lgkmcnt(1)
	flat_store_b32 v[208:209], v211
.LBB108_1086:
	s_or_b32 exec_lo, exec_lo, s6
	v_mov_b32_e32 v236, v228
	v_mov_b32_e32 v227, v228
.LBB108_1087:
	s_or_b32 exec_lo, exec_lo, s3
.LBB108_1088:
	s_and_not1_saveexec_b32 s2, s2
	s_cbranch_execz .LBB108_1090
; %bb.1089:
	v_mov_b32_e32 v236, 51
	ds_store_2addr_b64 v230, v[8:9], v[10:11] offset0:104 offset1:105
	ds_store_2addr_b64 v230, v[4:5], v[6:7] offset0:106 offset1:107
	;; [unrolled: 1-line block ×3, first 2 shown]
.LBB108_1090:
	s_or_b32 exec_lo, exec_lo, s2
	s_delay_alu instid0(SALU_CYCLE_1)
	s_mov_b32 s2, exec_lo
	s_waitcnt lgkmcnt(0)
	s_waitcnt_vscnt null, 0x0
	s_barrier
	buffer_gl0_inv
	v_cmpx_lt_i32_e32 51, v236
	s_cbranch_execz .LBB108_1092
; %bb.1091:
	v_mul_f64 v[208:209], v[220:221], v[14:15]
	v_mul_f64 v[14:15], v[222:223], v[14:15]
	s_delay_alu instid0(VALU_DEP_2) | instskip(NEXT) | instid1(VALU_DEP_2)
	v_fma_f64 v[208:209], v[222:223], v[12:13], v[208:209]
	v_fma_f64 v[12:13], v[220:221], v[12:13], -v[14:15]
	ds_load_2addr_b64 v[220:223], v230 offset0:104 offset1:105
	s_waitcnt lgkmcnt(0)
	v_mul_f64 v[14:15], v[222:223], v[208:209]
	v_mul_f64 v[210:211], v[220:221], v[208:209]
	s_delay_alu instid0(VALU_DEP_2) | instskip(NEXT) | instid1(VALU_DEP_2)
	v_fma_f64 v[14:15], v[220:221], v[12:13], -v[14:15]
	v_fma_f64 v[210:211], v[222:223], v[12:13], v[210:211]
	ds_load_2addr_b64 v[220:223], v230 offset0:106 offset1:107
	v_add_f64 v[8:9], v[8:9], -v[14:15]
	v_add_f64 v[10:11], v[10:11], -v[210:211]
	s_waitcnt lgkmcnt(0)
	v_mul_f64 v[14:15], v[222:223], v[208:209]
	v_mul_f64 v[210:211], v[220:221], v[208:209]
	s_delay_alu instid0(VALU_DEP_2) | instskip(NEXT) | instid1(VALU_DEP_2)
	v_fma_f64 v[14:15], v[220:221], v[12:13], -v[14:15]
	v_fma_f64 v[210:211], v[222:223], v[12:13], v[210:211]
	ds_load_2addr_b64 v[220:223], v230 offset0:108 offset1:109
	v_add_f64 v[4:5], v[4:5], -v[14:15]
	v_add_f64 v[6:7], v[6:7], -v[210:211]
	s_waitcnt lgkmcnt(0)
	v_mul_f64 v[14:15], v[222:223], v[208:209]
	v_mul_f64 v[210:211], v[220:221], v[208:209]
	s_delay_alu instid0(VALU_DEP_2) | instskip(NEXT) | instid1(VALU_DEP_2)
	v_fma_f64 v[14:15], v[220:221], v[12:13], -v[14:15]
	v_fma_f64 v[210:211], v[222:223], v[12:13], v[210:211]
	s_delay_alu instid0(VALU_DEP_2) | instskip(NEXT) | instid1(VALU_DEP_2)
	v_add_f64 v[0:1], v[0:1], -v[14:15]
	v_add_f64 v[2:3], v[2:3], -v[210:211]
	v_dual_mov_b32 v14, v208 :: v_dual_mov_b32 v15, v209
.LBB108_1092:
	s_or_b32 exec_lo, exec_lo, s2
	v_lshl_add_u32 v208, v236, 4, v230
	s_barrier
	buffer_gl0_inv
	v_mov_b32_e32 v228, 52
	ds_store_2addr_b64 v208, v[8:9], v[10:11] offset1:1
	s_waitcnt lgkmcnt(0)
	s_barrier
	buffer_gl0_inv
	ds_load_2addr_b64 v[220:223], v230 offset0:104 offset1:105
	s_cmp_lt_i32 s5, 54
	s_cbranch_scc1 .LBB108_1095
; %bb.1093:
	v_add3_u32 v229, v234, 0, 0x350
	v_mov_b32_e32 v228, 52
	s_mov_b32 s6, 53
	s_set_inst_prefetch_distance 0x1
	.p2align	6
.LBB108_1094:                           ; =>This Inner Loop Header: Depth=1
	ds_load_2addr_b64 v[237:240], v229 offset1:1
	s_waitcnt lgkmcnt(1)
	v_cmp_gt_f64_e32 vcc_lo, 0, v[220:221]
	v_xor_b32_e32 v208, 0x80000000, v221
	v_cmp_gt_f64_e64 s2, 0, v[222:223]
	v_xor_b32_e32 v210, 0x80000000, v223
	v_add_nc_u32_e32 v229, 16, v229
	s_waitcnt lgkmcnt(0)
	v_cmp_gt_f64_e64 s3, 0, v[237:238]
	v_mov_b32_e32 v212, v237
	v_dual_mov_b32 v214, v239 :: v_dual_cndmask_b32 v209, v221, v208
	v_xor_b32_e32 v208, 0x80000000, v238
	v_cndmask_b32_e64 v211, v223, v210, s2
	v_xor_b32_e32 v210, 0x80000000, v240
	s_delay_alu instid0(VALU_DEP_3) | instskip(SKIP_2) | instid1(VALU_DEP_2)
	v_cndmask_b32_e64 v213, v238, v208, s3
	v_cmp_gt_f64_e64 s3, 0, v[239:240]
	v_cndmask_b32_e32 v208, v220, v220, vcc_lo
	v_cndmask_b32_e64 v215, v240, v210, s3
	v_cndmask_b32_e64 v210, v222, v222, s2
	s_delay_alu instid0(VALU_DEP_2) | instskip(NEXT) | instid1(VALU_DEP_2)
	v_add_f64 v[212:213], v[212:213], v[214:215]
	v_add_f64 v[208:209], v[208:209], v[210:211]
	s_delay_alu instid0(VALU_DEP_1) | instskip(SKIP_4) | instid1(SALU_CYCLE_1)
	v_cmp_lt_f64_e32 vcc_lo, v[208:209], v[212:213]
	v_dual_cndmask_b32 v221, v221, v238 :: v_dual_cndmask_b32 v220, v220, v237
	v_dual_cndmask_b32 v223, v223, v240 :: v_dual_cndmask_b32 v222, v222, v239
	v_cndmask_b32_e64 v228, v228, s6, vcc_lo
	s_add_i32 s6, s6, 1
	s_cmp_lg_u32 s5, s6
	s_cbranch_scc1 .LBB108_1094
.LBB108_1095:
	s_set_inst_prefetch_distance 0x2
	s_waitcnt lgkmcnt(0)
	v_cmp_eq_f64_e32 vcc_lo, 0, v[220:221]
	v_cmp_eq_f64_e64 s2, 0, v[222:223]
	s_delay_alu instid0(VALU_DEP_1) | instskip(NEXT) | instid1(SALU_CYCLE_1)
	s_and_b32 s2, vcc_lo, s2
	s_and_saveexec_b32 s3, s2
	s_delay_alu instid0(SALU_CYCLE_1)
	s_xor_b32 s2, exec_lo, s3
; %bb.1096:
	v_cmp_ne_u32_e32 vcc_lo, 0, v233
	v_cndmask_b32_e32 v233, 53, v233, vcc_lo
; %bb.1097:
	s_and_not1_saveexec_b32 s3, s2
	s_cbranch_execz .LBB108_1103
; %bb.1098:
	v_cmp_gt_f64_e32 vcc_lo, 0, v[220:221]
	v_cmp_gt_f64_e64 s2, 0, v[222:223]
	v_xor_b32_e32 v208, 0x80000000, v221
	v_xor_b32_e32 v210, 0x80000000, v223
	s_delay_alu instid0(VALU_DEP_2) | instskip(NEXT) | instid1(VALU_DEP_2)
	v_cndmask_b32_e32 v209, v221, v208, vcc_lo
	v_cndmask_b32_e64 v211, v223, v210, s2
	v_cndmask_b32_e32 v208, v220, v220, vcc_lo
	v_cndmask_b32_e64 v210, v222, v222, s2
	s_mov_b32 s2, exec_lo
	s_delay_alu instid0(VALU_DEP_1)
	v_cmpx_ngt_f64_e32 v[208:209], v[210:211]
	s_xor_b32 s2, exec_lo, s2
	s_cbranch_execz .LBB108_1100
; %bb.1099:
	v_div_scale_f64 v[208:209], null, v[222:223], v[222:223], v[220:221]
	v_div_scale_f64 v[214:215], vcc_lo, v[220:221], v[222:223], v[220:221]
	s_delay_alu instid0(VALU_DEP_2) | instskip(SKIP_2) | instid1(VALU_DEP_1)
	v_rcp_f64_e32 v[210:211], v[208:209]
	s_waitcnt_depctr 0xfff
	v_fma_f64 v[212:213], -v[208:209], v[210:211], 1.0
	v_fma_f64 v[210:211], v[210:211], v[212:213], v[210:211]
	s_delay_alu instid0(VALU_DEP_1) | instskip(NEXT) | instid1(VALU_DEP_1)
	v_fma_f64 v[212:213], -v[208:209], v[210:211], 1.0
	v_fma_f64 v[210:211], v[210:211], v[212:213], v[210:211]
	s_delay_alu instid0(VALU_DEP_1) | instskip(NEXT) | instid1(VALU_DEP_1)
	v_mul_f64 v[212:213], v[214:215], v[210:211]
	v_fma_f64 v[208:209], -v[208:209], v[212:213], v[214:215]
	s_delay_alu instid0(VALU_DEP_1) | instskip(NEXT) | instid1(VALU_DEP_1)
	v_div_fmas_f64 v[208:209], v[208:209], v[210:211], v[212:213]
	v_div_fixup_f64 v[208:209], v[208:209], v[222:223], v[220:221]
	s_delay_alu instid0(VALU_DEP_1) | instskip(NEXT) | instid1(VALU_DEP_1)
	v_fma_f64 v[210:211], v[220:221], v[208:209], v[222:223]
	v_div_scale_f64 v[212:213], null, v[210:211], v[210:211], 1.0
	s_delay_alu instid0(VALU_DEP_1) | instskip(SKIP_2) | instid1(VALU_DEP_1)
	v_rcp_f64_e32 v[214:215], v[212:213]
	s_waitcnt_depctr 0xfff
	v_fma_f64 v[220:221], -v[212:213], v[214:215], 1.0
	v_fma_f64 v[214:215], v[214:215], v[220:221], v[214:215]
	s_delay_alu instid0(VALU_DEP_1) | instskip(NEXT) | instid1(VALU_DEP_1)
	v_fma_f64 v[220:221], -v[212:213], v[214:215], 1.0
	v_fma_f64 v[214:215], v[214:215], v[220:221], v[214:215]
	v_div_scale_f64 v[220:221], vcc_lo, 1.0, v[210:211], 1.0
	s_delay_alu instid0(VALU_DEP_1) | instskip(NEXT) | instid1(VALU_DEP_1)
	v_mul_f64 v[222:223], v[220:221], v[214:215]
	v_fma_f64 v[212:213], -v[212:213], v[222:223], v[220:221]
	s_delay_alu instid0(VALU_DEP_1) | instskip(NEXT) | instid1(VALU_DEP_1)
	v_div_fmas_f64 v[212:213], v[212:213], v[214:215], v[222:223]
	v_div_fixup_f64 v[222:223], v[212:213], v[210:211], 1.0
	s_delay_alu instid0(VALU_DEP_1)
	v_mul_f64 v[220:221], v[208:209], v[222:223]
	v_xor_b32_e32 v223, 0x80000000, v223
.LBB108_1100:
	s_and_not1_saveexec_b32 s2, s2
	s_cbranch_execz .LBB108_1102
; %bb.1101:
	s_delay_alu instid0(VALU_DEP_1) | instskip(SKIP_1) | instid1(VALU_DEP_2)
	v_div_scale_f64 v[208:209], null, v[220:221], v[220:221], v[222:223]
	v_div_scale_f64 v[214:215], vcc_lo, v[222:223], v[220:221], v[222:223]
	v_rcp_f64_e32 v[210:211], v[208:209]
	s_waitcnt_depctr 0xfff
	v_fma_f64 v[212:213], -v[208:209], v[210:211], 1.0
	s_delay_alu instid0(VALU_DEP_1) | instskip(NEXT) | instid1(VALU_DEP_1)
	v_fma_f64 v[210:211], v[210:211], v[212:213], v[210:211]
	v_fma_f64 v[212:213], -v[208:209], v[210:211], 1.0
	s_delay_alu instid0(VALU_DEP_1) | instskip(NEXT) | instid1(VALU_DEP_1)
	v_fma_f64 v[210:211], v[210:211], v[212:213], v[210:211]
	v_mul_f64 v[212:213], v[214:215], v[210:211]
	s_delay_alu instid0(VALU_DEP_1) | instskip(NEXT) | instid1(VALU_DEP_1)
	v_fma_f64 v[208:209], -v[208:209], v[212:213], v[214:215]
	v_div_fmas_f64 v[208:209], v[208:209], v[210:211], v[212:213]
	s_delay_alu instid0(VALU_DEP_1) | instskip(NEXT) | instid1(VALU_DEP_1)
	v_div_fixup_f64 v[208:209], v[208:209], v[220:221], v[222:223]
	v_fma_f64 v[210:211], v[222:223], v[208:209], v[220:221]
	s_delay_alu instid0(VALU_DEP_1) | instskip(NEXT) | instid1(VALU_DEP_1)
	v_div_scale_f64 v[212:213], null, v[210:211], v[210:211], 1.0
	v_rcp_f64_e32 v[214:215], v[212:213]
	s_waitcnt_depctr 0xfff
	v_fma_f64 v[220:221], -v[212:213], v[214:215], 1.0
	s_delay_alu instid0(VALU_DEP_1) | instskip(NEXT) | instid1(VALU_DEP_1)
	v_fma_f64 v[214:215], v[214:215], v[220:221], v[214:215]
	v_fma_f64 v[220:221], -v[212:213], v[214:215], 1.0
	s_delay_alu instid0(VALU_DEP_1) | instskip(SKIP_1) | instid1(VALU_DEP_1)
	v_fma_f64 v[214:215], v[214:215], v[220:221], v[214:215]
	v_div_scale_f64 v[220:221], vcc_lo, 1.0, v[210:211], 1.0
	v_mul_f64 v[222:223], v[220:221], v[214:215]
	s_delay_alu instid0(VALU_DEP_1) | instskip(NEXT) | instid1(VALU_DEP_1)
	v_fma_f64 v[212:213], -v[212:213], v[222:223], v[220:221]
	v_div_fmas_f64 v[212:213], v[212:213], v[214:215], v[222:223]
	s_delay_alu instid0(VALU_DEP_1) | instskip(NEXT) | instid1(VALU_DEP_1)
	v_div_fixup_f64 v[220:221], v[212:213], v[210:211], 1.0
	v_mul_f64 v[222:223], v[208:209], -v[220:221]
.LBB108_1102:
	s_or_b32 exec_lo, exec_lo, s2
.LBB108_1103:
	s_delay_alu instid0(SALU_CYCLE_1) | instskip(NEXT) | instid1(SALU_CYCLE_1)
	s_or_b32 exec_lo, exec_lo, s3
	s_mov_b32 s2, exec_lo
	v_cmpx_ne_u32_e64 v236, v228
	s_xor_b32 s2, exec_lo, s2
	s_cbranch_execz .LBB108_1109
; %bb.1104:
	s_mov_b32 s3, exec_lo
	v_cmpx_eq_u32_e32 52, v236
	s_cbranch_execz .LBB108_1108
; %bb.1105:
	v_cmp_ne_u32_e32 vcc_lo, 52, v228
	s_xor_b32 s6, s4, -1
	s_delay_alu instid0(SALU_CYCLE_1) | instskip(NEXT) | instid1(SALU_CYCLE_1)
	s_and_b32 s7, s6, vcc_lo
	s_and_saveexec_b32 s6, s7
	s_cbranch_execz .LBB108_1107
; %bb.1106:
	v_ashrrev_i32_e32 v229, 31, v228
	s_delay_alu instid0(VALU_DEP_1) | instskip(NEXT) | instid1(VALU_DEP_1)
	v_lshlrev_b64 v[208:209], 2, v[228:229]
	v_add_co_u32 v208, vcc_lo, v231, v208
	s_delay_alu instid0(VALU_DEP_2)
	v_add_co_ci_u32_e32 v209, vcc_lo, v232, v209, vcc_lo
	s_clause 0x1
	flat_load_b32 v210, v[208:209]
	flat_load_b32 v211, v[231:232] offset:208
	s_waitcnt vmcnt(1) lgkmcnt(1)
	flat_store_b32 v[231:232], v210 offset:208
	s_waitcnt vmcnt(0) lgkmcnt(1)
	flat_store_b32 v[208:209], v211
.LBB108_1107:
	s_or_b32 exec_lo, exec_lo, s6
	v_mov_b32_e32 v236, v228
	v_mov_b32_e32 v227, v228
.LBB108_1108:
	s_or_b32 exec_lo, exec_lo, s3
.LBB108_1109:
	s_and_not1_saveexec_b32 s2, s2
	s_cbranch_execz .LBB108_1111
; %bb.1110:
	v_mov_b32_e32 v236, 52
	ds_store_2addr_b64 v230, v[4:5], v[6:7] offset0:106 offset1:107
	ds_store_2addr_b64 v230, v[0:1], v[2:3] offset0:108 offset1:109
.LBB108_1111:
	s_or_b32 exec_lo, exec_lo, s2
	s_delay_alu instid0(SALU_CYCLE_1)
	s_mov_b32 s2, exec_lo
	s_waitcnt lgkmcnt(0)
	s_waitcnt_vscnt null, 0x0
	s_barrier
	buffer_gl0_inv
	v_cmpx_lt_i32_e32 52, v236
	s_cbranch_execz .LBB108_1113
; %bb.1112:
	v_mul_f64 v[208:209], v[220:221], v[10:11]
	v_mul_f64 v[10:11], v[222:223], v[10:11]
	v_dual_mov_b32 v216, v241 :: v_dual_mov_b32 v217, v242
	ds_load_2addr_b64 v[237:240], v230 offset0:106 offset1:107
	v_dual_mov_b32 v218, v243 :: v_dual_mov_b32 v219, v244
	ds_load_2addr_b64 v[241:244], v230 offset0:108 offset1:109
	v_fma_f64 v[208:209], v[222:223], v[8:9], v[208:209]
	v_fma_f64 v[8:9], v[220:221], v[8:9], -v[10:11]
	s_waitcnt lgkmcnt(1)
	s_delay_alu instid0(VALU_DEP_2) | instskip(SKIP_4) | instid1(VALU_DEP_4)
	v_mul_f64 v[10:11], v[239:240], v[208:209]
	v_mul_f64 v[210:211], v[237:238], v[208:209]
	s_waitcnt lgkmcnt(0)
	v_mul_f64 v[212:213], v[243:244], v[208:209]
	v_mul_f64 v[214:215], v[241:242], v[208:209]
	v_fma_f64 v[10:11], v[237:238], v[8:9], -v[10:11]
	s_delay_alu instid0(VALU_DEP_4) | instskip(NEXT) | instid1(VALU_DEP_4)
	v_fma_f64 v[210:211], v[239:240], v[8:9], v[210:211]
	v_fma_f64 v[212:213], v[241:242], v[8:9], -v[212:213]
	s_delay_alu instid0(VALU_DEP_4)
	v_fma_f64 v[214:215], v[243:244], v[8:9], v[214:215]
	v_dual_mov_b32 v244, v219 :: v_dual_mov_b32 v243, v218
	v_dual_mov_b32 v242, v217 :: v_dual_mov_b32 v241, v216
	v_add_f64 v[4:5], v[4:5], -v[10:11]
	v_add_f64 v[6:7], v[6:7], -v[210:211]
	;; [unrolled: 1-line block ×4, first 2 shown]
	v_dual_mov_b32 v10, v208 :: v_dual_mov_b32 v11, v209
.LBB108_1113:
	s_or_b32 exec_lo, exec_lo, s2
	v_lshl_add_u32 v208, v236, 4, v230
	s_barrier
	buffer_gl0_inv
	v_mov_b32_e32 v228, 53
	ds_store_2addr_b64 v208, v[4:5], v[6:7] offset1:1
	s_waitcnt lgkmcnt(0)
	s_barrier
	buffer_gl0_inv
	ds_load_2addr_b64 v[220:223], v230 offset0:106 offset1:107
	s_cmp_lt_i32 s5, 55
	s_cbranch_scc1 .LBB108_1116
; %bb.1114:
	v_add3_u32 v229, v234, 0, 0x360
	v_mov_b32_e32 v228, 53
	s_mov_b32 s6, 54
	s_set_inst_prefetch_distance 0x1
	.p2align	6
.LBB108_1115:                           ; =>This Inner Loop Header: Depth=1
	ds_load_2addr_b64 v[237:240], v229 offset1:1
	s_waitcnt lgkmcnt(1)
	v_cmp_gt_f64_e32 vcc_lo, 0, v[220:221]
	v_xor_b32_e32 v208, 0x80000000, v221
	v_cmp_gt_f64_e64 s2, 0, v[222:223]
	v_xor_b32_e32 v210, 0x80000000, v223
	v_add_nc_u32_e32 v229, 16, v229
	s_waitcnt lgkmcnt(0)
	v_cmp_gt_f64_e64 s3, 0, v[237:238]
	v_mov_b32_e32 v212, v237
	v_dual_mov_b32 v214, v239 :: v_dual_cndmask_b32 v209, v221, v208
	v_xor_b32_e32 v208, 0x80000000, v238
	v_cndmask_b32_e64 v211, v223, v210, s2
	v_xor_b32_e32 v210, 0x80000000, v240
	s_delay_alu instid0(VALU_DEP_3) | instskip(SKIP_2) | instid1(VALU_DEP_2)
	v_cndmask_b32_e64 v213, v238, v208, s3
	v_cmp_gt_f64_e64 s3, 0, v[239:240]
	v_cndmask_b32_e32 v208, v220, v220, vcc_lo
	v_cndmask_b32_e64 v215, v240, v210, s3
	v_cndmask_b32_e64 v210, v222, v222, s2
	s_delay_alu instid0(VALU_DEP_2) | instskip(NEXT) | instid1(VALU_DEP_2)
	v_add_f64 v[212:213], v[212:213], v[214:215]
	v_add_f64 v[208:209], v[208:209], v[210:211]
	s_delay_alu instid0(VALU_DEP_1) | instskip(SKIP_4) | instid1(SALU_CYCLE_1)
	v_cmp_lt_f64_e32 vcc_lo, v[208:209], v[212:213]
	v_dual_cndmask_b32 v221, v221, v238 :: v_dual_cndmask_b32 v220, v220, v237
	v_dual_cndmask_b32 v223, v223, v240 :: v_dual_cndmask_b32 v222, v222, v239
	v_cndmask_b32_e64 v228, v228, s6, vcc_lo
	s_add_i32 s6, s6, 1
	s_cmp_lg_u32 s5, s6
	s_cbranch_scc1 .LBB108_1115
.LBB108_1116:
	s_set_inst_prefetch_distance 0x2
	s_waitcnt lgkmcnt(0)
	v_cmp_eq_f64_e32 vcc_lo, 0, v[220:221]
	v_cmp_eq_f64_e64 s2, 0, v[222:223]
	s_delay_alu instid0(VALU_DEP_1) | instskip(NEXT) | instid1(SALU_CYCLE_1)
	s_and_b32 s2, vcc_lo, s2
	s_and_saveexec_b32 s3, s2
	s_delay_alu instid0(SALU_CYCLE_1)
	s_xor_b32 s2, exec_lo, s3
; %bb.1117:
	v_cmp_ne_u32_e32 vcc_lo, 0, v233
	v_cndmask_b32_e32 v233, 54, v233, vcc_lo
; %bb.1118:
	s_and_not1_saveexec_b32 s3, s2
	s_cbranch_execz .LBB108_1124
; %bb.1119:
	v_cmp_gt_f64_e32 vcc_lo, 0, v[220:221]
	v_cmp_gt_f64_e64 s2, 0, v[222:223]
	v_xor_b32_e32 v208, 0x80000000, v221
	v_xor_b32_e32 v210, 0x80000000, v223
	s_delay_alu instid0(VALU_DEP_2) | instskip(NEXT) | instid1(VALU_DEP_2)
	v_cndmask_b32_e32 v209, v221, v208, vcc_lo
	v_cndmask_b32_e64 v211, v223, v210, s2
	v_cndmask_b32_e32 v208, v220, v220, vcc_lo
	v_cndmask_b32_e64 v210, v222, v222, s2
	s_mov_b32 s2, exec_lo
	s_delay_alu instid0(VALU_DEP_1)
	v_cmpx_ngt_f64_e32 v[208:209], v[210:211]
	s_xor_b32 s2, exec_lo, s2
	s_cbranch_execz .LBB108_1121
; %bb.1120:
	v_div_scale_f64 v[208:209], null, v[222:223], v[222:223], v[220:221]
	v_div_scale_f64 v[214:215], vcc_lo, v[220:221], v[222:223], v[220:221]
	s_delay_alu instid0(VALU_DEP_2) | instskip(SKIP_2) | instid1(VALU_DEP_1)
	v_rcp_f64_e32 v[210:211], v[208:209]
	s_waitcnt_depctr 0xfff
	v_fma_f64 v[212:213], -v[208:209], v[210:211], 1.0
	v_fma_f64 v[210:211], v[210:211], v[212:213], v[210:211]
	s_delay_alu instid0(VALU_DEP_1) | instskip(NEXT) | instid1(VALU_DEP_1)
	v_fma_f64 v[212:213], -v[208:209], v[210:211], 1.0
	v_fma_f64 v[210:211], v[210:211], v[212:213], v[210:211]
	s_delay_alu instid0(VALU_DEP_1) | instskip(NEXT) | instid1(VALU_DEP_1)
	v_mul_f64 v[212:213], v[214:215], v[210:211]
	v_fma_f64 v[208:209], -v[208:209], v[212:213], v[214:215]
	s_delay_alu instid0(VALU_DEP_1) | instskip(NEXT) | instid1(VALU_DEP_1)
	v_div_fmas_f64 v[208:209], v[208:209], v[210:211], v[212:213]
	v_div_fixup_f64 v[208:209], v[208:209], v[222:223], v[220:221]
	s_delay_alu instid0(VALU_DEP_1) | instskip(NEXT) | instid1(VALU_DEP_1)
	v_fma_f64 v[210:211], v[220:221], v[208:209], v[222:223]
	v_div_scale_f64 v[212:213], null, v[210:211], v[210:211], 1.0
	s_delay_alu instid0(VALU_DEP_1) | instskip(SKIP_2) | instid1(VALU_DEP_1)
	v_rcp_f64_e32 v[214:215], v[212:213]
	s_waitcnt_depctr 0xfff
	v_fma_f64 v[220:221], -v[212:213], v[214:215], 1.0
	v_fma_f64 v[214:215], v[214:215], v[220:221], v[214:215]
	s_delay_alu instid0(VALU_DEP_1) | instskip(NEXT) | instid1(VALU_DEP_1)
	v_fma_f64 v[220:221], -v[212:213], v[214:215], 1.0
	v_fma_f64 v[214:215], v[214:215], v[220:221], v[214:215]
	v_div_scale_f64 v[220:221], vcc_lo, 1.0, v[210:211], 1.0
	s_delay_alu instid0(VALU_DEP_1) | instskip(NEXT) | instid1(VALU_DEP_1)
	v_mul_f64 v[222:223], v[220:221], v[214:215]
	v_fma_f64 v[212:213], -v[212:213], v[222:223], v[220:221]
	s_delay_alu instid0(VALU_DEP_1) | instskip(NEXT) | instid1(VALU_DEP_1)
	v_div_fmas_f64 v[212:213], v[212:213], v[214:215], v[222:223]
	v_div_fixup_f64 v[222:223], v[212:213], v[210:211], 1.0
	s_delay_alu instid0(VALU_DEP_1)
	v_mul_f64 v[220:221], v[208:209], v[222:223]
	v_xor_b32_e32 v223, 0x80000000, v223
.LBB108_1121:
	s_and_not1_saveexec_b32 s2, s2
	s_cbranch_execz .LBB108_1123
; %bb.1122:
	s_delay_alu instid0(VALU_DEP_1) | instskip(SKIP_1) | instid1(VALU_DEP_2)
	v_div_scale_f64 v[208:209], null, v[220:221], v[220:221], v[222:223]
	v_div_scale_f64 v[214:215], vcc_lo, v[222:223], v[220:221], v[222:223]
	v_rcp_f64_e32 v[210:211], v[208:209]
	s_waitcnt_depctr 0xfff
	v_fma_f64 v[212:213], -v[208:209], v[210:211], 1.0
	s_delay_alu instid0(VALU_DEP_1) | instskip(NEXT) | instid1(VALU_DEP_1)
	v_fma_f64 v[210:211], v[210:211], v[212:213], v[210:211]
	v_fma_f64 v[212:213], -v[208:209], v[210:211], 1.0
	s_delay_alu instid0(VALU_DEP_1) | instskip(NEXT) | instid1(VALU_DEP_1)
	v_fma_f64 v[210:211], v[210:211], v[212:213], v[210:211]
	v_mul_f64 v[212:213], v[214:215], v[210:211]
	s_delay_alu instid0(VALU_DEP_1) | instskip(NEXT) | instid1(VALU_DEP_1)
	v_fma_f64 v[208:209], -v[208:209], v[212:213], v[214:215]
	v_div_fmas_f64 v[208:209], v[208:209], v[210:211], v[212:213]
	s_delay_alu instid0(VALU_DEP_1) | instskip(NEXT) | instid1(VALU_DEP_1)
	v_div_fixup_f64 v[208:209], v[208:209], v[220:221], v[222:223]
	v_fma_f64 v[210:211], v[222:223], v[208:209], v[220:221]
	s_delay_alu instid0(VALU_DEP_1) | instskip(NEXT) | instid1(VALU_DEP_1)
	v_div_scale_f64 v[212:213], null, v[210:211], v[210:211], 1.0
	v_rcp_f64_e32 v[214:215], v[212:213]
	s_waitcnt_depctr 0xfff
	v_fma_f64 v[220:221], -v[212:213], v[214:215], 1.0
	s_delay_alu instid0(VALU_DEP_1) | instskip(NEXT) | instid1(VALU_DEP_1)
	v_fma_f64 v[214:215], v[214:215], v[220:221], v[214:215]
	v_fma_f64 v[220:221], -v[212:213], v[214:215], 1.0
	s_delay_alu instid0(VALU_DEP_1) | instskip(SKIP_1) | instid1(VALU_DEP_1)
	v_fma_f64 v[214:215], v[214:215], v[220:221], v[214:215]
	v_div_scale_f64 v[220:221], vcc_lo, 1.0, v[210:211], 1.0
	v_mul_f64 v[222:223], v[220:221], v[214:215]
	s_delay_alu instid0(VALU_DEP_1) | instskip(NEXT) | instid1(VALU_DEP_1)
	v_fma_f64 v[212:213], -v[212:213], v[222:223], v[220:221]
	v_div_fmas_f64 v[212:213], v[212:213], v[214:215], v[222:223]
	s_delay_alu instid0(VALU_DEP_1) | instskip(NEXT) | instid1(VALU_DEP_1)
	v_div_fixup_f64 v[220:221], v[212:213], v[210:211], 1.0
	v_mul_f64 v[222:223], v[208:209], -v[220:221]
.LBB108_1123:
	s_or_b32 exec_lo, exec_lo, s2
.LBB108_1124:
	s_delay_alu instid0(SALU_CYCLE_1) | instskip(NEXT) | instid1(SALU_CYCLE_1)
	s_or_b32 exec_lo, exec_lo, s3
	s_mov_b32 s2, exec_lo
	v_cmpx_ne_u32_e64 v236, v228
	s_xor_b32 s2, exec_lo, s2
	s_cbranch_execz .LBB108_1130
; %bb.1125:
	s_mov_b32 s3, exec_lo
	v_cmpx_eq_u32_e32 53, v236
	s_cbranch_execz .LBB108_1129
; %bb.1126:
	v_cmp_ne_u32_e32 vcc_lo, 53, v228
	s_xor_b32 s6, s4, -1
	s_delay_alu instid0(SALU_CYCLE_1) | instskip(NEXT) | instid1(SALU_CYCLE_1)
	s_and_b32 s7, s6, vcc_lo
	s_and_saveexec_b32 s6, s7
	s_cbranch_execz .LBB108_1128
; %bb.1127:
	v_ashrrev_i32_e32 v229, 31, v228
	s_delay_alu instid0(VALU_DEP_1) | instskip(NEXT) | instid1(VALU_DEP_1)
	v_lshlrev_b64 v[208:209], 2, v[228:229]
	v_add_co_u32 v208, vcc_lo, v231, v208
	s_delay_alu instid0(VALU_DEP_2)
	v_add_co_ci_u32_e32 v209, vcc_lo, v232, v209, vcc_lo
	s_clause 0x1
	flat_load_b32 v210, v[208:209]
	flat_load_b32 v211, v[231:232] offset:212
	s_waitcnt vmcnt(1) lgkmcnt(1)
	flat_store_b32 v[231:232], v210 offset:212
	s_waitcnt vmcnt(0) lgkmcnt(1)
	flat_store_b32 v[208:209], v211
.LBB108_1128:
	s_or_b32 exec_lo, exec_lo, s6
	v_mov_b32_e32 v236, v228
	v_mov_b32_e32 v227, v228
.LBB108_1129:
	s_or_b32 exec_lo, exec_lo, s3
.LBB108_1130:
	s_and_not1_saveexec_b32 s2, s2
	s_cbranch_execz .LBB108_1132
; %bb.1131:
	v_mov_b32_e32 v236, 53
	ds_store_2addr_b64 v230, v[0:1], v[2:3] offset0:108 offset1:109
.LBB108_1132:
	s_or_b32 exec_lo, exec_lo, s2
	s_delay_alu instid0(SALU_CYCLE_1)
	s_mov_b32 s2, exec_lo
	s_waitcnt lgkmcnt(0)
	s_waitcnt_vscnt null, 0x0
	s_barrier
	buffer_gl0_inv
	v_cmpx_lt_i32_e32 53, v236
	s_cbranch_execz .LBB108_1134
; %bb.1133:
	v_mul_f64 v[208:209], v[220:221], v[6:7]
	v_mul_f64 v[6:7], v[222:223], v[6:7]
	ds_load_2addr_b64 v[237:240], v230 offset0:108 offset1:109
	v_fma_f64 v[208:209], v[222:223], v[4:5], v[208:209]
	v_fma_f64 v[4:5], v[220:221], v[4:5], -v[6:7]
	s_waitcnt lgkmcnt(0)
	s_delay_alu instid0(VALU_DEP_2) | instskip(SKIP_1) | instid1(VALU_DEP_2)
	v_mul_f64 v[6:7], v[239:240], v[208:209]
	v_mul_f64 v[210:211], v[237:238], v[208:209]
	v_fma_f64 v[6:7], v[237:238], v[4:5], -v[6:7]
	s_delay_alu instid0(VALU_DEP_2) | instskip(NEXT) | instid1(VALU_DEP_2)
	v_fma_f64 v[210:211], v[239:240], v[4:5], v[210:211]
	v_add_f64 v[0:1], v[0:1], -v[6:7]
	s_delay_alu instid0(VALU_DEP_2)
	v_add_f64 v[2:3], v[2:3], -v[210:211]
	v_dual_mov_b32 v6, v208 :: v_dual_mov_b32 v7, v209
.LBB108_1134:
	s_or_b32 exec_lo, exec_lo, s2
	v_lshl_add_u32 v208, v236, 4, v230
	s_barrier
	buffer_gl0_inv
	v_mov_b32_e32 v228, 54
	ds_store_2addr_b64 v208, v[0:1], v[2:3] offset1:1
	s_waitcnt lgkmcnt(0)
	s_barrier
	buffer_gl0_inv
	ds_load_2addr_b64 v[220:223], v230 offset0:108 offset1:109
	s_cmp_lt_i32 s5, 56
	s_cbranch_scc1 .LBB108_1137
; %bb.1135:
	v_add3_u32 v229, v234, 0, 0x370
	v_mov_b32_e32 v228, 54
	s_mov_b32 s6, 55
	s_set_inst_prefetch_distance 0x1
	.p2align	6
.LBB108_1136:                           ; =>This Inner Loop Header: Depth=1
	ds_load_2addr_b64 v[237:240], v229 offset1:1
	s_waitcnt lgkmcnt(1)
	v_cmp_gt_f64_e32 vcc_lo, 0, v[220:221]
	v_xor_b32_e32 v208, 0x80000000, v221
	v_cmp_gt_f64_e64 s2, 0, v[222:223]
	v_xor_b32_e32 v210, 0x80000000, v223
	v_add_nc_u32_e32 v229, 16, v229
	s_waitcnt lgkmcnt(0)
	v_cmp_gt_f64_e64 s3, 0, v[237:238]
	v_mov_b32_e32 v212, v237
	v_dual_mov_b32 v214, v239 :: v_dual_cndmask_b32 v209, v221, v208
	v_xor_b32_e32 v208, 0x80000000, v238
	v_cndmask_b32_e64 v211, v223, v210, s2
	v_xor_b32_e32 v210, 0x80000000, v240
	s_delay_alu instid0(VALU_DEP_3) | instskip(SKIP_2) | instid1(VALU_DEP_2)
	v_cndmask_b32_e64 v213, v238, v208, s3
	v_cmp_gt_f64_e64 s3, 0, v[239:240]
	v_cndmask_b32_e32 v208, v220, v220, vcc_lo
	v_cndmask_b32_e64 v215, v240, v210, s3
	v_cndmask_b32_e64 v210, v222, v222, s2
	s_delay_alu instid0(VALU_DEP_2) | instskip(NEXT) | instid1(VALU_DEP_2)
	v_add_f64 v[212:213], v[212:213], v[214:215]
	v_add_f64 v[208:209], v[208:209], v[210:211]
	s_delay_alu instid0(VALU_DEP_1) | instskip(SKIP_4) | instid1(SALU_CYCLE_1)
	v_cmp_lt_f64_e32 vcc_lo, v[208:209], v[212:213]
	v_dual_cndmask_b32 v221, v221, v238 :: v_dual_cndmask_b32 v220, v220, v237
	v_dual_cndmask_b32 v223, v223, v240 :: v_dual_cndmask_b32 v222, v222, v239
	v_cndmask_b32_e64 v228, v228, s6, vcc_lo
	s_add_i32 s6, s6, 1
	s_cmp_lg_u32 s5, s6
	s_cbranch_scc1 .LBB108_1136
.LBB108_1137:
	s_set_inst_prefetch_distance 0x2
	s_waitcnt lgkmcnt(0)
	v_cmp_eq_f64_e32 vcc_lo, 0, v[220:221]
	v_cmp_eq_f64_e64 s2, 0, v[222:223]
	s_delay_alu instid0(VALU_DEP_1) | instskip(NEXT) | instid1(SALU_CYCLE_1)
	s_and_b32 s2, vcc_lo, s2
	s_and_saveexec_b32 s3, s2
	s_delay_alu instid0(SALU_CYCLE_1)
	s_xor_b32 s2, exec_lo, s3
; %bb.1138:
	v_cmp_ne_u32_e32 vcc_lo, 0, v233
	v_cndmask_b32_e32 v233, 55, v233, vcc_lo
; %bb.1139:
	s_and_not1_saveexec_b32 s3, s2
	s_cbranch_execz .LBB108_1145
; %bb.1140:
	v_cmp_gt_f64_e32 vcc_lo, 0, v[220:221]
	v_cmp_gt_f64_e64 s2, 0, v[222:223]
	v_xor_b32_e32 v208, 0x80000000, v221
	v_xor_b32_e32 v210, 0x80000000, v223
	s_delay_alu instid0(VALU_DEP_2) | instskip(NEXT) | instid1(VALU_DEP_2)
	v_cndmask_b32_e32 v209, v221, v208, vcc_lo
	v_cndmask_b32_e64 v211, v223, v210, s2
	v_cndmask_b32_e32 v208, v220, v220, vcc_lo
	v_cndmask_b32_e64 v210, v222, v222, s2
	s_mov_b32 s2, exec_lo
	s_delay_alu instid0(VALU_DEP_1)
	v_cmpx_ngt_f64_e32 v[208:209], v[210:211]
	s_xor_b32 s2, exec_lo, s2
	s_cbranch_execz .LBB108_1142
; %bb.1141:
	v_div_scale_f64 v[208:209], null, v[222:223], v[222:223], v[220:221]
	v_div_scale_f64 v[214:215], vcc_lo, v[220:221], v[222:223], v[220:221]
	s_delay_alu instid0(VALU_DEP_2) | instskip(SKIP_2) | instid1(VALU_DEP_1)
	v_rcp_f64_e32 v[210:211], v[208:209]
	s_waitcnt_depctr 0xfff
	v_fma_f64 v[212:213], -v[208:209], v[210:211], 1.0
	v_fma_f64 v[210:211], v[210:211], v[212:213], v[210:211]
	s_delay_alu instid0(VALU_DEP_1) | instskip(NEXT) | instid1(VALU_DEP_1)
	v_fma_f64 v[212:213], -v[208:209], v[210:211], 1.0
	v_fma_f64 v[210:211], v[210:211], v[212:213], v[210:211]
	s_delay_alu instid0(VALU_DEP_1) | instskip(NEXT) | instid1(VALU_DEP_1)
	v_mul_f64 v[212:213], v[214:215], v[210:211]
	v_fma_f64 v[208:209], -v[208:209], v[212:213], v[214:215]
	s_delay_alu instid0(VALU_DEP_1) | instskip(NEXT) | instid1(VALU_DEP_1)
	v_div_fmas_f64 v[208:209], v[208:209], v[210:211], v[212:213]
	v_div_fixup_f64 v[208:209], v[208:209], v[222:223], v[220:221]
	s_delay_alu instid0(VALU_DEP_1) | instskip(NEXT) | instid1(VALU_DEP_1)
	v_fma_f64 v[210:211], v[220:221], v[208:209], v[222:223]
	v_div_scale_f64 v[212:213], null, v[210:211], v[210:211], 1.0
	s_delay_alu instid0(VALU_DEP_1) | instskip(SKIP_2) | instid1(VALU_DEP_1)
	v_rcp_f64_e32 v[214:215], v[212:213]
	s_waitcnt_depctr 0xfff
	v_fma_f64 v[220:221], -v[212:213], v[214:215], 1.0
	v_fma_f64 v[214:215], v[214:215], v[220:221], v[214:215]
	s_delay_alu instid0(VALU_DEP_1) | instskip(NEXT) | instid1(VALU_DEP_1)
	v_fma_f64 v[220:221], -v[212:213], v[214:215], 1.0
	v_fma_f64 v[214:215], v[214:215], v[220:221], v[214:215]
	v_div_scale_f64 v[220:221], vcc_lo, 1.0, v[210:211], 1.0
	s_delay_alu instid0(VALU_DEP_1) | instskip(NEXT) | instid1(VALU_DEP_1)
	v_mul_f64 v[222:223], v[220:221], v[214:215]
	v_fma_f64 v[212:213], -v[212:213], v[222:223], v[220:221]
	s_delay_alu instid0(VALU_DEP_1) | instskip(NEXT) | instid1(VALU_DEP_1)
	v_div_fmas_f64 v[212:213], v[212:213], v[214:215], v[222:223]
	v_div_fixup_f64 v[222:223], v[212:213], v[210:211], 1.0
	s_delay_alu instid0(VALU_DEP_1)
	v_mul_f64 v[220:221], v[208:209], v[222:223]
	v_xor_b32_e32 v223, 0x80000000, v223
.LBB108_1142:
	s_and_not1_saveexec_b32 s2, s2
	s_cbranch_execz .LBB108_1144
; %bb.1143:
	s_delay_alu instid0(VALU_DEP_1) | instskip(SKIP_1) | instid1(VALU_DEP_2)
	v_div_scale_f64 v[208:209], null, v[220:221], v[220:221], v[222:223]
	v_div_scale_f64 v[214:215], vcc_lo, v[222:223], v[220:221], v[222:223]
	v_rcp_f64_e32 v[210:211], v[208:209]
	s_waitcnt_depctr 0xfff
	v_fma_f64 v[212:213], -v[208:209], v[210:211], 1.0
	s_delay_alu instid0(VALU_DEP_1) | instskip(NEXT) | instid1(VALU_DEP_1)
	v_fma_f64 v[210:211], v[210:211], v[212:213], v[210:211]
	v_fma_f64 v[212:213], -v[208:209], v[210:211], 1.0
	s_delay_alu instid0(VALU_DEP_1) | instskip(NEXT) | instid1(VALU_DEP_1)
	v_fma_f64 v[210:211], v[210:211], v[212:213], v[210:211]
	v_mul_f64 v[212:213], v[214:215], v[210:211]
	s_delay_alu instid0(VALU_DEP_1) | instskip(NEXT) | instid1(VALU_DEP_1)
	v_fma_f64 v[208:209], -v[208:209], v[212:213], v[214:215]
	v_div_fmas_f64 v[208:209], v[208:209], v[210:211], v[212:213]
	s_delay_alu instid0(VALU_DEP_1) | instskip(NEXT) | instid1(VALU_DEP_1)
	v_div_fixup_f64 v[208:209], v[208:209], v[220:221], v[222:223]
	v_fma_f64 v[210:211], v[222:223], v[208:209], v[220:221]
	s_delay_alu instid0(VALU_DEP_1) | instskip(NEXT) | instid1(VALU_DEP_1)
	v_div_scale_f64 v[212:213], null, v[210:211], v[210:211], 1.0
	v_rcp_f64_e32 v[214:215], v[212:213]
	s_waitcnt_depctr 0xfff
	v_fma_f64 v[220:221], -v[212:213], v[214:215], 1.0
	s_delay_alu instid0(VALU_DEP_1) | instskip(NEXT) | instid1(VALU_DEP_1)
	v_fma_f64 v[214:215], v[214:215], v[220:221], v[214:215]
	v_fma_f64 v[220:221], -v[212:213], v[214:215], 1.0
	s_delay_alu instid0(VALU_DEP_1) | instskip(SKIP_1) | instid1(VALU_DEP_1)
	v_fma_f64 v[214:215], v[214:215], v[220:221], v[214:215]
	v_div_scale_f64 v[220:221], vcc_lo, 1.0, v[210:211], 1.0
	v_mul_f64 v[222:223], v[220:221], v[214:215]
	s_delay_alu instid0(VALU_DEP_1) | instskip(NEXT) | instid1(VALU_DEP_1)
	v_fma_f64 v[212:213], -v[212:213], v[222:223], v[220:221]
	v_div_fmas_f64 v[212:213], v[212:213], v[214:215], v[222:223]
	s_delay_alu instid0(VALU_DEP_1) | instskip(NEXT) | instid1(VALU_DEP_1)
	v_div_fixup_f64 v[220:221], v[212:213], v[210:211], 1.0
	v_mul_f64 v[222:223], v[208:209], -v[220:221]
.LBB108_1144:
	s_or_b32 exec_lo, exec_lo, s2
.LBB108_1145:
	s_delay_alu instid0(SALU_CYCLE_1)
	s_or_b32 exec_lo, exec_lo, s3
	v_mov_b32_e32 v229, 54
	s_mov_b32 s2, exec_lo
	v_cmpx_ne_u32_e64 v236, v228
	s_cbranch_execz .LBB108_1151
; %bb.1146:
	s_mov_b32 s3, exec_lo
	v_cmpx_eq_u32_e32 54, v236
	s_cbranch_execz .LBB108_1150
; %bb.1147:
	v_cmp_ne_u32_e32 vcc_lo, 54, v228
	s_xor_b32 s4, s4, -1
	s_delay_alu instid0(SALU_CYCLE_1) | instskip(NEXT) | instid1(SALU_CYCLE_1)
	s_and_b32 s5, s4, vcc_lo
	s_and_saveexec_b32 s4, s5
	s_cbranch_execz .LBB108_1149
; %bb.1148:
	v_ashrrev_i32_e32 v229, 31, v228
	s_delay_alu instid0(VALU_DEP_1) | instskip(NEXT) | instid1(VALU_DEP_1)
	v_lshlrev_b64 v[208:209], 2, v[228:229]
	v_add_co_u32 v208, vcc_lo, v231, v208
	s_delay_alu instid0(VALU_DEP_2)
	v_add_co_ci_u32_e32 v209, vcc_lo, v232, v209, vcc_lo
	s_clause 0x1
	flat_load_b32 v210, v[208:209]
	flat_load_b32 v211, v[231:232] offset:216
	s_waitcnt vmcnt(1) lgkmcnt(1)
	flat_store_b32 v[231:232], v210 offset:216
	s_waitcnt vmcnt(0) lgkmcnt(1)
	flat_store_b32 v[208:209], v211
.LBB108_1149:
	s_or_b32 exec_lo, exec_lo, s4
	v_mov_b32_e32 v236, v228
	v_mov_b32_e32 v227, v228
.LBB108_1150:
	s_or_b32 exec_lo, exec_lo, s3
	s_delay_alu instid0(VALU_DEP_2)
	v_mov_b32_e32 v229, v236
.LBB108_1151:
	s_or_b32 exec_lo, exec_lo, s2
	s_delay_alu instid0(SALU_CYCLE_1)
	s_mov_b32 s2, exec_lo
	s_waitcnt lgkmcnt(0)
	s_waitcnt_vscnt null, 0x0
	s_barrier
	buffer_gl0_inv
	v_cmpx_lt_i32_e32 54, v229
; %bb.1152:
	v_mul_f64 v[208:209], v[222:223], v[2:3]
	v_mul_f64 v[2:3], v[220:221], v[2:3]
	s_delay_alu instid0(VALU_DEP_2) | instskip(NEXT) | instid1(VALU_DEP_2)
	v_fma_f64 v[208:209], v[220:221], v[0:1], -v[208:209]
	v_fma_f64 v[2:3], v[222:223], v[0:1], v[2:3]
	s_delay_alu instid0(VALU_DEP_2)
	v_dual_mov_b32 v0, v208 :: v_dual_mov_b32 v1, v209
; %bb.1153:
	s_or_b32 exec_lo, exec_lo, s2
	s_load_b256 s[0:7], s[0:1], 0x28
	v_ashrrev_i32_e32 v230, 31, v229
	s_mov_b32 s9, exec_lo
	s_waitcnt lgkmcnt(0)
	s_barrier
	buffer_gl0_inv
	v_cmpx_gt_i32_e32 55, v229
	s_cbranch_execz .LBB108_1155
; %bb.1154:
	v_mul_lo_u32 v210, v225, s4
	v_mul_lo_u32 v211, v224, s5
	v_mad_u64_u32 v[208:209], null, v224, s4, 0
	s_lshl_b64 s[2:3], s[2:3], 2
	s_delay_alu instid0(SALU_CYCLE_1) | instskip(SKIP_1) | instid1(VALU_DEP_1)
	s_add_u32 s0, s2, s0
	s_addc_u32 s1, s3, s1
	v_add3_u32 v209, v209, v211, v210
	v_lshlrev_b64 v[210:211], 2, v[229:230]
	s_delay_alu instid0(VALU_DEP_2) | instskip(NEXT) | instid1(VALU_DEP_1)
	v_lshlrev_b64 v[208:209], 2, v[208:209]
	v_add_co_u32 v208, vcc_lo, s0, v208
	s_delay_alu instid0(VALU_DEP_2) | instskip(NEXT) | instid1(VALU_DEP_2)
	v_add_co_ci_u32_e32 v209, vcc_lo, s1, v209, vcc_lo
	v_add_co_u32 v208, vcc_lo, v208, v210
	s_delay_alu instid0(VALU_DEP_2)
	v_add_co_ci_u32_e32 v209, vcc_lo, v209, v211, vcc_lo
	v_add3_u32 v210, v227, s13, 1
	global_store_b32 v[208:209], v210, off
.LBB108_1155:
	s_or_b32 exec_lo, exec_lo, s9
	s_delay_alu instid0(SALU_CYCLE_1)
	s_mov_b32 s1, exec_lo
	v_cmpx_eq_u32_e32 0, v229
	s_cbranch_execz .LBB108_1158
; %bb.1156:
	v_lshlrev_b64 v[208:209], 2, v[224:225]
	v_cmp_lt_i32_e64 s0, 0, v233
	s_delay_alu instid0(VALU_DEP_2) | instskip(NEXT) | instid1(VALU_DEP_3)
	v_add_co_u32 v220, vcc_lo, s6, v208
	v_add_co_ci_u32_e32 v221, vcc_lo, s7, v209, vcc_lo
	global_load_b32 v208, v[220:221], off
	s_waitcnt vmcnt(0)
	v_cmp_eq_u32_e32 vcc_lo, 0, v208
	s_and_b32 s0, vcc_lo, s0
	s_delay_alu instid0(SALU_CYCLE_1)
	s_and_b32 exec_lo, exec_lo, s0
	s_cbranch_execz .LBB108_1158
; %bb.1157:
	v_add_nc_u32_e32 v208, s13, v233
	global_store_b32 v[220:221], v208, off
.LBB108_1158:
	s_or_b32 exec_lo, exec_lo, s1
	scratch_load_b32 v218, off, off offset:40 ; 4-byte Folded Reload
	v_add3_u32 v208, s8, s8, v229
	v_lshlrev_b64 v[210:211], 4, v[229:230]
	s_delay_alu instid0(VALU_DEP_2) | instskip(SKIP_1) | instid1(VALU_DEP_2)
	v_ashrrev_i32_e32 v209, 31, v208
	v_add_nc_u32_e32 v212, s8, v208
	v_lshlrev_b64 v[208:209], 4, v[208:209]
	s_delay_alu instid0(VALU_DEP_2) | instskip(SKIP_1) | instid1(VALU_DEP_1)
	v_ashrrev_i32_e32 v213, 31, v212
	v_add_nc_u32_e32 v214, s8, v212
	v_ashrrev_i32_e32 v215, 31, v214
	s_waitcnt vmcnt(0)
	v_add_co_u32 v210, vcc_lo, v218, v210
	v_add_co_ci_u32_e32 v211, vcc_lo, v235, v211, vcc_lo
	s_delay_alu instid0(VALU_DEP_2) | instskip(NEXT) | instid1(VALU_DEP_2)
	v_add_co_u32 v220, vcc_lo, v210, s10
	v_add_co_ci_u32_e32 v221, vcc_lo, s11, v211, vcc_lo
	v_add_co_u32 v208, vcc_lo, v218, v208
	global_store_b128 v[210:211], v[249:252], off
	v_lshlrev_b64 v[210:211], 4, v[212:213]
	v_add_nc_u32_e32 v212, s8, v214
	v_add_co_ci_u32_e32 v209, vcc_lo, v235, v209, vcc_lo
	s_clause 0x1
	global_store_b128 v[220:221], v[245:248], off
	global_store_b128 v[208:209], v[241:244], off
	v_lshlrev_b64 v[208:209], 4, v[214:215]
	v_add_nc_u32_e32 v214, s8, v212
	v_add_co_u32 v210, vcc_lo, v218, v210
	v_ashrrev_i32_e32 v213, 31, v212
	v_add_co_ci_u32_e32 v211, vcc_lo, v235, v211, vcc_lo
	s_delay_alu instid0(VALU_DEP_4)
	v_add_nc_u32_e32 v216, s8, v214
	v_add_co_u32 v208, vcc_lo, v218, v208
	v_ashrrev_i32_e32 v215, 31, v214
	v_add_co_ci_u32_e32 v209, vcc_lo, v235, v209, vcc_lo
	v_lshlrev_b64 v[212:213], 4, v[212:213]
	v_ashrrev_i32_e32 v217, 31, v216
	s_clause 0x1
	global_store_b128 v[210:211], v[204:207], off
	global_store_b128 v[208:209], v[200:203], off
	v_lshlrev_b64 v[200:201], 4, v[214:215]
	v_add_nc_u32_e32 v206, s8, v216
	v_add_co_u32 v202, vcc_lo, v218, v212
	v_lshlrev_b64 v[204:205], 4, v[216:217]
	v_add_co_ci_u32_e32 v203, vcc_lo, v235, v213, vcc_lo
	v_add_co_u32 v200, vcc_lo, v218, v200
	v_add_co_ci_u32_e32 v201, vcc_lo, v235, v201, vcc_lo
	s_delay_alu instid0(VALU_DEP_4)
	v_add_co_u32 v204, vcc_lo, v218, v204
	v_add_nc_u32_e32 v208, s8, v206
	v_add_co_ci_u32_e32 v205, vcc_lo, v235, v205, vcc_lo
	v_ashrrev_i32_e32 v207, 31, v206
	global_store_b128 v[202:203], v[196:199], off
	v_ashrrev_i32_e32 v209, 31, v208
	s_clause 0x1
	global_store_b128 v[200:201], v[192:195], off
	global_store_b128 v[204:205], v[188:191], off
	v_add_nc_u32_e32 v190, s8, v208
	v_lshlrev_b64 v[196:197], 4, v[206:207]
	v_lshlrev_b64 v[188:189], 4, v[208:209]
	s_delay_alu instid0(VALU_DEP_3) | instskip(SKIP_1) | instid1(VALU_DEP_4)
	v_add_nc_u32_e32 v194, s8, v190
	v_ashrrev_i32_e32 v191, 31, v190
	v_add_co_u32 v192, vcc_lo, v218, v196
	v_add_co_ci_u32_e32 v193, vcc_lo, v235, v197, vcc_lo
	s_delay_alu instid0(VALU_DEP_4)
	v_add_nc_u32_e32 v196, s8, v194
	v_add_co_u32 v188, vcc_lo, v218, v188
	v_ashrrev_i32_e32 v195, 31, v194
	v_add_co_ci_u32_e32 v189, vcc_lo, v235, v189, vcc_lo
	v_lshlrev_b64 v[190:191], 4, v[190:191]
	v_ashrrev_i32_e32 v197, 31, v196
	s_clause 0x1
	global_store_b128 v[192:193], v[184:187], off
	global_store_b128 v[188:189], v[180:183], off
	v_lshlrev_b64 v[180:181], 4, v[194:195]
	v_add_nc_u32_e32 v186, s8, v196
	v_add_co_u32 v182, vcc_lo, v218, v190
	v_lshlrev_b64 v[184:185], 4, v[196:197]
	v_add_co_ci_u32_e32 v183, vcc_lo, v235, v191, vcc_lo
	v_add_co_u32 v180, vcc_lo, v218, v180
	v_add_co_ci_u32_e32 v181, vcc_lo, v235, v181, vcc_lo
	s_delay_alu instid0(VALU_DEP_4)
	v_add_co_u32 v184, vcc_lo, v218, v184
	v_add_nc_u32_e32 v188, s8, v186
	v_add_co_ci_u32_e32 v185, vcc_lo, v235, v185, vcc_lo
	v_ashrrev_i32_e32 v187, 31, v186
	global_store_b128 v[182:183], v[176:179], off
	v_ashrrev_i32_e32 v189, 31, v188
	s_clause 0x1
	global_store_b128 v[180:181], v[172:175], off
	global_store_b128 v[184:185], v[168:171], off
	v_add_nc_u32_e32 v170, s8, v188
	v_lshlrev_b64 v[176:177], 4, v[186:187]
	v_lshlrev_b64 v[168:169], 4, v[188:189]
	s_delay_alu instid0(VALU_DEP_3) | instskip(SKIP_1) | instid1(VALU_DEP_4)
	v_add_nc_u32_e32 v174, s8, v170
	v_ashrrev_i32_e32 v171, 31, v170
	v_add_co_u32 v172, vcc_lo, v218, v176
	;; [unrolled: 35-line block ×8, first 2 shown]
	v_add_co_ci_u32_e32 v53, vcc_lo, v235, v57, vcc_lo
	s_delay_alu instid0(VALU_DEP_4)
	v_add_nc_u32_e32 v56, s8, v54
	v_add_co_u32 v48, vcc_lo, v218, v48
	v_ashrrev_i32_e32 v55, 31, v54
	v_add_co_ci_u32_e32 v49, vcc_lo, v235, v49, vcc_lo
	v_lshlrev_b64 v[50:51], 4, v[50:51]
	v_ashrrev_i32_e32 v57, 31, v56
	s_clause 0x1
	global_store_b128 v[52:53], v[44:47], off
	global_store_b128 v[48:49], v[40:43], off
	v_lshlrev_b64 v[40:41], 4, v[54:55]
	v_add_nc_u32_e32 v46, s8, v56
	v_add_co_u32 v42, vcc_lo, v218, v50
	v_lshlrev_b64 v[44:45], 4, v[56:57]
	v_add_co_ci_u32_e32 v43, vcc_lo, v235, v51, vcc_lo
	v_add_co_u32 v40, vcc_lo, v218, v40
	v_add_nc_u32_e32 v48, s8, v46
	v_add_co_ci_u32_e32 v41, vcc_lo, v235, v41, vcc_lo
	v_ashrrev_i32_e32 v47, 31, v46
	v_add_co_u32 v44, vcc_lo, v218, v44
	v_add_co_ci_u32_e32 v45, vcc_lo, v235, v45, vcc_lo
	v_ashrrev_i32_e32 v49, 31, v48
	global_store_b128 v[42:43], v[36:39], off
	v_lshlrev_b64 v[36:37], 4, v[46:47]
	s_clause 0x1
	global_store_b128 v[40:41], v[32:35], off
	global_store_b128 v[44:45], v[28:31], off
	v_add_nc_u32_e32 v30, s8, v48
	v_lshlrev_b64 v[28:29], 4, v[48:49]
	v_add_co_u32 v32, vcc_lo, v218, v36
	s_delay_alu instid0(VALU_DEP_3) | instskip(SKIP_1) | instid1(VALU_DEP_4)
	v_add_nc_u32_e32 v34, s8, v30
	v_add_co_ci_u32_e32 v33, vcc_lo, v235, v37, vcc_lo
	v_add_co_u32 v28, vcc_lo, v218, v28
	v_add_co_ci_u32_e32 v29, vcc_lo, v235, v29, vcc_lo
	s_delay_alu instid0(VALU_DEP_4)
	v_add_nc_u32_e32 v36, s8, v34
	v_ashrrev_i32_e32 v31, 31, v30
	s_clause 0x1
	global_store_b128 v[32:33], v[24:27], off
	global_store_b128 v[28:29], v[20:23], off
	v_ashrrev_i32_e32 v35, 31, v34
	v_add_nc_u32_e32 v22, s8, v36
	v_lshlrev_b64 v[24:25], 4, v[30:31]
	v_ashrrev_i32_e32 v37, 31, v36
	s_delay_alu instid0(VALU_DEP_4) | instskip(NEXT) | instid1(VALU_DEP_4)
	v_lshlrev_b64 v[20:21], 4, v[34:35]
	v_add_nc_u32_e32 v28, s8, v22
	v_ashrrev_i32_e32 v23, 31, v22
	v_add_co_u32 v24, vcc_lo, v218, v24
	v_lshlrev_b64 v[26:27], 4, v[36:37]
	s_delay_alu instid0(VALU_DEP_4)
	v_ashrrev_i32_e32 v29, 31, v28
	v_add_co_ci_u32_e32 v25, vcc_lo, v235, v25, vcc_lo
	v_add_co_u32 v20, vcc_lo, v218, v20
	v_lshlrev_b64 v[22:23], 4, v[22:23]
	v_add_co_ci_u32_e32 v21, vcc_lo, v235, v21, vcc_lo
	v_add_co_u32 v26, vcc_lo, v218, v26
	v_lshlrev_b64 v[28:29], 4, v[28:29]
	v_add_co_ci_u32_e32 v27, vcc_lo, v235, v27, vcc_lo
	v_add_co_u32 v22, vcc_lo, v218, v22
	v_add_co_ci_u32_e32 v23, vcc_lo, v235, v23, vcc_lo
	s_delay_alu instid0(VALU_DEP_4)
	v_add_co_u32 v28, vcc_lo, v218, v28
	v_add_co_ci_u32_e32 v29, vcc_lo, v235, v29, vcc_lo
	s_clause 0x4
	global_store_b128 v[24:25], v[16:19], off
	global_store_b128 v[20:21], v[12:15], off
	;; [unrolled: 1-line block ×5, first 2 shown]
.LBB108_1159:
	s_nop 0
	s_sendmsg sendmsg(MSG_DEALLOC_VGPRS)
	s_endpgm
	.section	.rodata,"a",@progbits
	.p2align	6, 0x0
	.amdhsa_kernel _ZN9rocsolver6v33100L18getf2_small_kernelILi55E19rocblas_complex_numIdEiiPKPS3_EEvT1_T3_lS7_lPS7_llPT2_S7_S7_S9_l
		.amdhsa_group_segment_fixed_size 0
		.amdhsa_private_segment_fixed_size 48
		.amdhsa_kernarg_size 352
		.amdhsa_user_sgpr_count 14
		.amdhsa_user_sgpr_dispatch_ptr 0
		.amdhsa_user_sgpr_queue_ptr 0
		.amdhsa_user_sgpr_kernarg_segment_ptr 1
		.amdhsa_user_sgpr_dispatch_id 0
		.amdhsa_user_sgpr_private_segment_size 0
		.amdhsa_wavefront_size32 1
		.amdhsa_uses_dynamic_stack 0
		.amdhsa_enable_private_segment 1
		.amdhsa_system_sgpr_workgroup_id_x 1
		.amdhsa_system_sgpr_workgroup_id_y 1
		.amdhsa_system_sgpr_workgroup_id_z 0
		.amdhsa_system_sgpr_workgroup_info 0
		.amdhsa_system_vgpr_workitem_id 1
		.amdhsa_next_free_vgpr 256
		.amdhsa_next_free_sgpr 18
		.amdhsa_reserve_vcc 1
		.amdhsa_float_round_mode_32 0
		.amdhsa_float_round_mode_16_64 0
		.amdhsa_float_denorm_mode_32 3
		.amdhsa_float_denorm_mode_16_64 3
		.amdhsa_dx10_clamp 1
		.amdhsa_ieee_mode 1
		.amdhsa_fp16_overflow 0
		.amdhsa_workgroup_processor_mode 1
		.amdhsa_memory_ordered 1
		.amdhsa_forward_progress 0
		.amdhsa_shared_vgpr_count 0
		.amdhsa_exception_fp_ieee_invalid_op 0
		.amdhsa_exception_fp_denorm_src 0
		.amdhsa_exception_fp_ieee_div_zero 0
		.amdhsa_exception_fp_ieee_overflow 0
		.amdhsa_exception_fp_ieee_underflow 0
		.amdhsa_exception_fp_ieee_inexact 0
		.amdhsa_exception_int_div_zero 0
	.end_amdhsa_kernel
	.section	.text._ZN9rocsolver6v33100L18getf2_small_kernelILi55E19rocblas_complex_numIdEiiPKPS3_EEvT1_T3_lS7_lPS7_llPT2_S7_S7_S9_l,"axG",@progbits,_ZN9rocsolver6v33100L18getf2_small_kernelILi55E19rocblas_complex_numIdEiiPKPS3_EEvT1_T3_lS7_lPS7_llPT2_S7_S7_S9_l,comdat
.Lfunc_end108:
	.size	_ZN9rocsolver6v33100L18getf2_small_kernelILi55E19rocblas_complex_numIdEiiPKPS3_EEvT1_T3_lS7_lPS7_llPT2_S7_S7_S9_l, .Lfunc_end108-_ZN9rocsolver6v33100L18getf2_small_kernelILi55E19rocblas_complex_numIdEiiPKPS3_EEvT1_T3_lS7_lPS7_llPT2_S7_S7_S9_l
                                        ; -- End function
	.section	.AMDGPU.csdata,"",@progbits
; Kernel info:
; codeLenInByte = 175740
; NumSgprs: 20
; NumVgprs: 256
; ScratchSize: 48
; MemoryBound: 0
; FloatMode: 240
; IeeeMode: 1
; LDSByteSize: 0 bytes/workgroup (compile time only)
; SGPRBlocks: 2
; VGPRBlocks: 31
; NumSGPRsForWavesPerEU: 20
; NumVGPRsForWavesPerEU: 256
; Occupancy: 5
; WaveLimiterHint : 1
; COMPUTE_PGM_RSRC2:SCRATCH_EN: 1
; COMPUTE_PGM_RSRC2:USER_SGPR: 14
; COMPUTE_PGM_RSRC2:TRAP_HANDLER: 0
; COMPUTE_PGM_RSRC2:TGID_X_EN: 1
; COMPUTE_PGM_RSRC2:TGID_Y_EN: 1
; COMPUTE_PGM_RSRC2:TGID_Z_EN: 0
; COMPUTE_PGM_RSRC2:TIDIG_COMP_CNT: 1
	.section	.text._ZN9rocsolver6v33100L23getf2_npvt_small_kernelILi55E19rocblas_complex_numIdEiiPKPS3_EEvT1_T3_lS7_lPT2_S7_S7_,"axG",@progbits,_ZN9rocsolver6v33100L23getf2_npvt_small_kernelILi55E19rocblas_complex_numIdEiiPKPS3_EEvT1_T3_lS7_lPT2_S7_S7_,comdat
	.globl	_ZN9rocsolver6v33100L23getf2_npvt_small_kernelILi55E19rocblas_complex_numIdEiiPKPS3_EEvT1_T3_lS7_lPT2_S7_S7_ ; -- Begin function _ZN9rocsolver6v33100L23getf2_npvt_small_kernelILi55E19rocblas_complex_numIdEiiPKPS3_EEvT1_T3_lS7_lPT2_S7_S7_
	.p2align	8
	.type	_ZN9rocsolver6v33100L23getf2_npvt_small_kernelILi55E19rocblas_complex_numIdEiiPKPS3_EEvT1_T3_lS7_lPT2_S7_S7_,@function
_ZN9rocsolver6v33100L23getf2_npvt_small_kernelILi55E19rocblas_complex_numIdEiiPKPS3_EEvT1_T3_lS7_lPT2_S7_S7_: ; @_ZN9rocsolver6v33100L23getf2_npvt_small_kernelILi55E19rocblas_complex_numIdEiiPKPS3_EEvT1_T3_lS7_lPT2_S7_S7_
; %bb.0:
	s_clause 0x1
	s_load_b32 s2, s[0:1], 0x44
	s_load_b64 s[12:13], s[0:1], 0x30
	v_bfe_u32 v1, v0, 10, 10
	s_waitcnt lgkmcnt(0)
	s_lshr_b32 s8, s2, 16
	s_mov_b32 s2, exec_lo
	s_delay_alu instid0(VALU_DEP_1) | instskip(NEXT) | instid1(VALU_DEP_1)
	v_mad_u64_u32 v[2:3], null, s15, s8, v[1:2]
	v_cmpx_gt_i32_e64 s12, v2
	s_cbranch_execnz .LBB109_1
; %bb.501:
	s_getpc_b64 s[16:17]
.Lpost_getpc17:
	s_add_u32 s16, s16, (.LBB109_500-.Lpost_getpc17)&4294967295
	s_addc_u32 s17, s17, (.LBB109_500-.Lpost_getpc17)>>32
	s_setpc_b64 s[16:17]
.LBB109_1:
	s_clause 0x1
	s_load_b128 s[4:7], s[0:1], 0x8
	s_load_b32 s2, s[0:1], 0x18
	v_ashrrev_i32_e32 v3, 31, v2
	v_and_b32_e32 v215, 0x3ff, v0
	s_mulk_i32 s8, 0x370
	v_mad_u32_u24 v214, 0x370, v1, 0
	scratch_store_b64 off, v[2:3], off offset:1224 ; 8-byte Folded Spill
	v_lshlrev_b64 v[2:3], 3, v[2:3]
	s_waitcnt lgkmcnt(0)
	s_delay_alu instid0(VALU_DEP_1) | instskip(NEXT) | instid1(VALU_DEP_2)
	v_add_co_u32 v2, vcc_lo, s4, v2
	v_add_co_ci_u32_e32 v3, vcc_lo, s5, v3, vcc_lo
	v_add3_u32 v4, s2, s2, v215
	s_lshl_b64 s[4:5], s[6:7], 4
	s_ashr_i32 s3, s2, 31
	global_load_b64 v[2:3], v[2:3], off
	v_add_nc_u32_e32 v8, s2, v4
	v_ashrrev_i32_e32 v5, 31, v4
	s_delay_alu instid0(VALU_DEP_2) | instskip(SKIP_1) | instid1(VALU_DEP_3)
	v_add_nc_u32_e32 v13, s2, v8
	v_ashrrev_i32_e32 v9, 31, v8
	v_lshlrev_b64 v[6:7], 4, v[4:5]
	s_delay_alu instid0(VALU_DEP_3) | instskip(SKIP_1) | instid1(VALU_DEP_4)
	v_add_nc_u32_e32 v10, s2, v13
	v_ashrrev_i32_e32 v14, 31, v13
	v_lshlrev_b64 v[8:9], 4, v[8:9]
	s_delay_alu instid0(VALU_DEP_3) | instskip(SKIP_1) | instid1(VALU_DEP_4)
	;; [unrolled: 4-line block ×11, first 2 shown]
	v_add_nc_u32_e32 v32, s2, v28
	v_ashrrev_i32_e32 v29, 31, v28
	v_lshlrev_b64 v[26:27], 4, v[26:27]
	s_delay_alu instid0(VALU_DEP_3) | instskip(NEXT) | instid1(VALU_DEP_3)
	v_add_nc_u32_e32 v39, s2, v32
	v_lshlrev_b64 v[30:31], 4, v[28:29]
	v_ashrrev_i32_e32 v33, 31, v32
	s_delay_alu instid0(VALU_DEP_3) | instskip(SKIP_1) | instid1(VALU_DEP_3)
	v_add_nc_u32_e32 v34, s2, v39
	v_ashrrev_i32_e32 v40, 31, v39
	v_lshlrev_b64 v[32:33], 4, v[32:33]
	s_delay_alu instid0(VALU_DEP_3) | instskip(NEXT) | instid1(VALU_DEP_3)
	v_add_nc_u32_e32 v38, s2, v34
	v_lshlrev_b64 v[28:29], 4, v[39:40]
	v_ashrrev_i32_e32 v35, 31, v34
	s_delay_alu instid0(VALU_DEP_3) | instskip(SKIP_1) | instid1(VALU_DEP_3)
	v_add_nc_u32_e32 v36, s2, v38
	v_ashrrev_i32_e32 v39, 31, v38
	v_lshlrev_b64 v[34:35], 4, v[34:35]
	s_delay_alu instid0(VALU_DEP_3) | instskip(SKIP_1) | instid1(VALU_DEP_4)
	v_add_nc_u32_e32 v47, s2, v36
	v_ashrrev_i32_e32 v37, 31, v36
	v_lshlrev_b64 v[38:39], 4, v[38:39]
	s_delay_alu instid0(VALU_DEP_3) | instskip(SKIP_1) | instid1(VALU_DEP_4)
	v_add_nc_u32_e32 v42, s2, v47
	v_ashrrev_i32_e32 v48, 31, v47
	v_lshlrev_b64 v[40:41], 4, v[36:37]
	s_delay_alu instid0(VALU_DEP_3) | instskip(NEXT) | instid1(VALU_DEP_3)
	v_add_nc_u32_e32 v46, s2, v42
	v_lshlrev_b64 v[36:37], 4, v[47:48]
	v_ashrrev_i32_e32 v43, 31, v42
	s_delay_alu instid0(VALU_DEP_3) | instskip(SKIP_1) | instid1(VALU_DEP_3)
	v_add_nc_u32_e32 v44, s2, v46
	v_ashrrev_i32_e32 v47, 31, v46
	v_lshlrev_b64 v[42:43], 4, v[42:43]
	s_delay_alu instid0(VALU_DEP_3) | instskip(SKIP_1) | instid1(VALU_DEP_4)
	v_add_nc_u32_e32 v50, s2, v44
	v_ashrrev_i32_e32 v45, 31, v44
	v_lshlrev_b64 v[46:47], 4, v[46:47]
	s_delay_alu instid0(VALU_DEP_3) | instskip(SKIP_1) | instid1(VALU_DEP_4)
	;; [unrolled: 4-line block ×3, first 2 shown]
	v_add_nc_u32_e32 v54, s2, v52
	v_ashrrev_i32_e32 v53, 31, v52
	v_lshlrev_b64 v[44:45], 4, v[50:51]
	s_delay_alu instid0(VALU_DEP_3) | instskip(NEXT) | instid1(VALU_DEP_3)
	v_add_nc_u32_e32 v56, s2, v54
	v_lshlrev_b64 v[50:51], 4, v[52:53]
	v_ashrrev_i32_e32 v55, 31, v54
	s_delay_alu instid0(VALU_DEP_3) | instskip(SKIP_1) | instid1(VALU_DEP_3)
	v_add_nc_u32_e32 v58, s2, v56
	v_ashrrev_i32_e32 v57, 31, v56
	v_lshlrev_b64 v[54:55], 4, v[54:55]
	s_delay_alu instid0(VALU_DEP_3) | instskip(SKIP_1) | instid1(VALU_DEP_4)
	v_add_nc_u32_e32 v60, s2, v58
	v_ashrrev_i32_e32 v59, 31, v58
	v_lshlrev_b64 v[56:57], 4, v[56:57]
	s_delay_alu instid0(VALU_DEP_3) | instskip(SKIP_1) | instid1(VALU_DEP_4)
	v_add_nc_u32_e32 v62, s2, v60
	v_ashrrev_i32_e32 v61, 31, v60
	v_lshlrev_b64 v[52:53], 4, v[58:59]
	s_delay_alu instid0(VALU_DEP_3) | instskip(NEXT) | instid1(VALU_DEP_3)
	v_add_nc_u32_e32 v64, s2, v62
	v_lshlrev_b64 v[58:59], 4, v[60:61]
	v_ashrrev_i32_e32 v63, 31, v62
	s_delay_alu instid0(VALU_DEP_3) | instskip(SKIP_1) | instid1(VALU_DEP_3)
	v_add_nc_u32_e32 v66, s2, v64
	v_ashrrev_i32_e32 v65, 31, v64
	v_lshlrev_b64 v[62:63], 4, v[62:63]
	s_delay_alu instid0(VALU_DEP_3) | instskip(SKIP_1) | instid1(VALU_DEP_4)
	v_add_nc_u32_e32 v68, s2, v66
	v_ashrrev_i32_e32 v67, 31, v66
	v_lshlrev_b64 v[64:65], 4, v[64:65]
	s_delay_alu instid0(VALU_DEP_3) | instskip(NEXT) | instid1(VALU_DEP_3)
	v_add_nc_u32_e32 v70, s2, v68
	v_lshlrev_b64 v[60:61], 4, v[66:67]
	v_ashrrev_i32_e32 v69, 31, v68
	s_delay_alu instid0(VALU_DEP_3) | instskip(SKIP_1) | instid1(VALU_DEP_3)
	v_add_nc_u32_e32 v72, s2, v70
	v_ashrrev_i32_e32 v71, 31, v70
	v_lshlrev_b64 v[68:69], 4, v[68:69]
	s_delay_alu instid0(VALU_DEP_3) | instskip(SKIP_1) | instid1(VALU_DEP_4)
	v_add_nc_u32_e32 v74, s2, v72
	v_ashrrev_i32_e32 v73, 31, v72
	v_lshlrev_b64 v[70:71], 4, v[70:71]
	s_delay_alu instid0(VALU_DEP_3) | instskip(SKIP_1) | instid1(VALU_DEP_4)
	;; [unrolled: 4-line block ×16, first 2 shown]
	v_ashrrev_i32_e32 v101, 31, v100
	v_add_nc_u32_e32 v102, s2, v100
	v_lshlrev_b64 v[98:99], 4, v[98:99]
	s_delay_alu instid0(VALU_DEP_2) | instskip(SKIP_4) | instid1(VALU_DEP_3)
	v_ashrrev_i32_e32 v103, 31, v102
	s_waitcnt vmcnt(0)
	v_add_co_u32 v0, vcc_lo, v2, s4
	v_add_co_ci_u32_e32 v104, vcc_lo, s5, v3, vcc_lo
	v_lshlrev_b64 v[2:3], 4, v[100:101]
	v_add_co_u32 v151, vcc_lo, v0, v6
	s_delay_alu instid0(VALU_DEP_3)
	v_add_co_ci_u32_e32 v152, vcc_lo, v104, v7, vcc_lo
	v_add_co_u32 v149, vcc_lo, v0, v8
	v_add_co_ci_u32_e32 v150, vcc_lo, v104, v9, vcc_lo
	v_add_co_u32 v147, vcc_lo, v0, v4
	;; [unrolled: 2-line block ×45, first 2 shown]
	v_add_nc_u32_e32 v4, s2, v102
	v_add_co_ci_u32_e32 v11, vcc_lo, v104, v95, vcc_lo
	v_add_co_u32 v205, vcc_lo, v0, v96
	v_add_co_ci_u32_e32 v206, vcc_lo, v104, v97, vcc_lo
	v_add_co_u32 v12, vcc_lo, v0, v98
	v_ashrrev_i32_e32 v5, 31, v4
	v_add_nc_u32_e32 v8, s2, v4
	v_add_co_ci_u32_e32 v13, vcc_lo, v104, v99, vcc_lo
	v_add_co_u32 v18, vcc_lo, v0, v2
	v_lshlrev_b64 v[6:7], 4, v[102:103]
	v_add_co_ci_u32_e32 v19, vcc_lo, v104, v3, vcc_lo
	v_lshlrev_b64 v[2:3], 4, v[4:5]
	v_add_nc_u32_e32 v4, s2, v8
	v_ashrrev_i32_e32 v9, 31, v8
	v_add_co_u32 v207, vcc_lo, v0, v6
	v_add_co_ci_u32_e32 v208, vcc_lo, v104, v7, vcc_lo
	s_delay_alu instid0(VALU_DEP_4) | instskip(NEXT) | instid1(VALU_DEP_4)
	v_ashrrev_i32_e32 v5, 31, v4
	v_lshlrev_b64 v[6:7], 4, v[8:9]
	v_add_co_u32 v8, vcc_lo, v0, v2
	v_add_co_ci_u32_e32 v9, vcc_lo, v104, v3, vcc_lo
	s_delay_alu instid0(VALU_DEP_4) | instskip(NEXT) | instid1(VALU_DEP_4)
	v_lshlrev_b64 v[2:3], 4, v[4:5]
	v_add_co_u32 v5, vcc_lo, v0, v6
	v_lshlrev_b32_e32 v4, 4, v215
	v_add_co_ci_u32_e32 v6, vcc_lo, v104, v7, vcc_lo
	s_delay_alu instid0(VALU_DEP_4) | instskip(SKIP_1) | instid1(VALU_DEP_4)
	v_add_co_u32 v2, vcc_lo, v0, v2
	v_add_co_ci_u32_e32 v3, vcc_lo, v104, v3, vcc_lo
	v_add_co_u32 v56, vcc_lo, v0, v4
	v_add_co_ci_u32_e32 v57, vcc_lo, 0, v104, vcc_lo
	s_lshl_b64 s[2:3], s[2:3], 4
	v_lshlrev_b32_e32 v0, 4, v1
	s_delay_alu instid0(VALU_DEP_3)
	v_add_co_u32 v58, vcc_lo, v56, s2
	global_load_b128 v[60:63], v[56:57], off
	v_add_co_ci_u32_e32 v59, vcc_lo, s3, v57, vcc_lo
	scratch_store_b64 off, v[56:57], off offset:480 ; 8-byte Folded Spill
	v_add3_u32 v204, 0, s8, v0
	v_cmp_ne_u32_e64 s3, 0, v215
	v_cmp_eq_u32_e64 s2, 0, v215
	s_waitcnt vmcnt(0)
	s_clause 0x1
	scratch_store_b128 off, v[60:63], off offset:48
	scratch_store_b64 off, v[58:59], off offset:488
	global_load_b128 v[56:59], v[58:59], off
	s_waitcnt vmcnt(0)
	s_clause 0x1
	scratch_store_b128 off, v[56:59], off offset:32
	scratch_store_b64 off, v[151:152], off offset:472
	global_load_b128 v[56:59], v[151:152], off
	;; [unrolled: 5-line block ×3, first 2 shown]
	s_waitcnt vmcnt(0)
	s_clause 0x1
	scratch_store_b128 off, v[56:59], off
	scratch_store_b64 off, v[147:148], off offset:456
	global_load_b128 v[200:203], v[147:148], off
	s_clause 0x1
	scratch_store_b64 off, v[145:146], off offset:448
	scratch_store_b64 off, v[205:206], off offset:976
	s_clause 0x1
	global_load_b128 v[196:199], v[145:146], off
	global_load_b128 v[192:195], v[143:144], off
	s_clause 0x3
	scratch_store_b64 off, v[143:144], off offset:440
	scratch_store_b64 off, v[141:142], off offset:432
	scratch_store_b64 off, v[139:140], off offset:424
	scratch_store_b64 off, v[137:138], off offset:416
	s_clause 0x3
	global_load_b128 v[188:191], v[141:142], off
	global_load_b128 v[184:187], v[139:140], off
	global_load_b128 v[180:183], v[137:138], off
	global_load_b128 v[176:179], v[135:136], off
	s_clause 0x3
	scratch_store_b64 off, v[135:136], off offset:408
	scratch_store_b64 off, v[133:134], off offset:400
	scratch_store_b64 off, v[131:132], off offset:392
	scratch_store_b64 off, v[129:130], off offset:384
	s_clause 0x3
	global_load_b128 v[172:175], v[133:134], off
	global_load_b128 v[168:171], v[131:132], off
	;; [unrolled: 10-line block ×3, first 2 shown]
	s_clause 0x3
	scratch_store_b64 off, v[119:120], off offset:344
	scratch_store_b64 off, v[117:118], off offset:336
	;; [unrolled: 1-line block ×4, first 2 shown]
	s_clause 0x3
	global_load_b128 v[140:143], v[117:118], off
	global_load_b128 v[136:139], v[115:116], off
	;; [unrolled: 1-line block ×4, first 2 shown]
	s_clause 0x3
	scratch_store_b64 off, v[111:112], off offset:312
	scratch_store_b64 off, v[109:110], off offset:304
	;; [unrolled: 1-line block ×4, first 2 shown]
	global_load_b128 v[124:127], v[109:110], off
	s_clause 0x3
	scratch_store_b64 off, v[100:101], off offset:280
	scratch_store_b64 off, v[54:55], off offset:272
	;; [unrolled: 1-line block ×4, first 2 shown]
	s_clause 0x2
	global_load_b128 v[112:115], v[100:101], off
	global_load_b128 v[100:103], v[50:51], off
	global_load_b128 v[96:99], v[48:49], off
	s_clause 0x3
	scratch_store_b64 off, v[48:49], off offset:248
	scratch_store_b64 off, v[46:47], off offset:240
	scratch_store_b64 off, v[44:45], off offset:232
	scratch_store_b64 off, v[42:43], off offset:224
	s_clause 0x3
	global_load_b128 v[92:95], v[46:47], off
	global_load_b128 v[88:91], v[44:45], off
	global_load_b128 v[84:87], v[42:43], off
	global_load_b128 v[80:83], v[40:41], off
	s_clause 0x3
	scratch_store_b64 off, v[40:41], off offset:216
	scratch_store_b64 off, v[38:39], off offset:208
	scratch_store_b64 off, v[36:37], off offset:200
	scratch_store_b64 off, v[34:35], off offset:192
	s_clause 0x3
	global_load_b128 v[76:79], v[38:39], off
	;; [unrolled: 10-line block ×3, first 2 shown]
	global_load_b128 v[56:59], v[28:29], off
	global_load_b128 v[48:51], v[24:25], off
	s_clause 0x3
	scratch_store_b64 off, v[22:23], off offset:128
	scratch_store_b64 off, v[8:9], off offset:136
	;; [unrolled: 1-line block ×4, first 2 shown]
	global_load_b128 v[44:47], v[22:23], off
	s_clause 0x1
	scratch_store_b64 off, v[20:21], off offset:104
	scratch_store_b64 off, v[2:3], off offset:112
	s_clause 0x3
	global_load_b128 v[40:43], v[20:21], off
	global_load_b128 v[36:39], v[16:17], off
	;; [unrolled: 1-line block ×4, first 2 shown]
	s_clause 0x4
	scratch_store_b64 off, v[10:11], off offset:64
	scratch_store_b64 off, v[12:13], off offset:72
	;; [unrolled: 1-line block ×5, first 2 shown]
	s_clause 0xb
	global_load_b128 v[16:19], v[18:19], off
	global_load_b128 v[20:23], v[12:13], off
	;; [unrolled: 1-line block ×12, first 2 shown]
	scratch_store_b64 off, v[5:6], off offset:120 ; 8-byte Folded Spill
	s_clause 0x1
	global_load_b128 v[4:7], v[5:6], off
	global_load_b128 v[0:3], v[2:3], off
	s_and_saveexec_b32 s5, s2
	s_cbranch_execz .LBB109_8
; %bb.2:
	scratch_load_b128 v[207:210], off, off offset:48 ; 16-byte Folded Reload
	s_waitcnt vmcnt(0)
	ds_store_2addr_b64 v204, v[207:208], v[209:210] offset1:1
	scratch_load_b128 v[207:210], off, off offset:32 ; 16-byte Folded Reload
	s_waitcnt vmcnt(0)
	ds_store_2addr_b64 v214, v[207:208], v[209:210] offset0:2 offset1:3
	scratch_load_b128 v[207:210], off, off offset:16 ; 16-byte Folded Reload
	s_waitcnt vmcnt(0)
	ds_store_2addr_b64 v214, v[207:208], v[209:210] offset0:4 offset1:5
	scratch_load_b128 v[207:210], off, off  ; 16-byte Folded Reload
	s_waitcnt vmcnt(0)
	ds_store_2addr_b64 v214, v[207:208], v[209:210] offset0:6 offset1:7
	ds_store_2addr_b64 v214, v[200:201], v[202:203] offset0:8 offset1:9
	ds_store_2addr_b64 v214, v[196:197], v[198:199] offset0:10 offset1:11
	ds_store_2addr_b64 v214, v[192:193], v[194:195] offset0:12 offset1:13
	ds_store_2addr_b64 v214, v[188:189], v[190:191] offset0:14 offset1:15
	ds_store_2addr_b64 v214, v[184:185], v[186:187] offset0:16 offset1:17
	ds_store_2addr_b64 v214, v[180:181], v[182:183] offset0:18 offset1:19
	ds_store_2addr_b64 v214, v[176:177], v[178:179] offset0:20 offset1:21
	ds_store_2addr_b64 v214, v[172:173], v[174:175] offset0:22 offset1:23
	ds_store_2addr_b64 v214, v[168:169], v[170:171] offset0:24 offset1:25
	ds_store_2addr_b64 v214, v[164:165], v[166:167] offset0:26 offset1:27
	ds_store_2addr_b64 v214, v[160:161], v[162:163] offset0:28 offset1:29
	ds_store_2addr_b64 v214, v[156:157], v[158:159] offset0:30 offset1:31
	ds_store_2addr_b64 v214, v[152:153], v[154:155] offset0:32 offset1:33
	ds_store_2addr_b64 v214, v[148:149], v[150:151] offset0:34 offset1:35
	ds_store_2addr_b64 v214, v[144:145], v[146:147] offset0:36 offset1:37
	ds_store_2addr_b64 v214, v[140:141], v[142:143] offset0:38 offset1:39
	ds_store_2addr_b64 v214, v[136:137], v[138:139] offset0:40 offset1:41
	ds_store_2addr_b64 v214, v[132:133], v[134:135] offset0:42 offset1:43
	ds_store_2addr_b64 v214, v[128:129], v[130:131] offset0:44 offset1:45
	ds_store_2addr_b64 v214, v[124:125], v[126:127] offset0:46 offset1:47
	ds_store_2addr_b64 v214, v[120:121], v[122:123] offset0:48 offset1:49
	ds_store_2addr_b64 v214, v[116:117], v[118:119] offset0:50 offset1:51
	ds_store_2addr_b64 v214, v[112:113], v[114:115] offset0:52 offset1:53
	ds_store_2addr_b64 v214, v[108:109], v[110:111] offset0:54 offset1:55
	ds_store_2addr_b64 v214, v[104:105], v[106:107] offset0:56 offset1:57
	ds_store_2addr_b64 v214, v[100:101], v[102:103] offset0:58 offset1:59
	ds_store_2addr_b64 v214, v[96:97], v[98:99] offset0:60 offset1:61
	ds_store_2addr_b64 v214, v[92:93], v[94:95] offset0:62 offset1:63
	ds_store_2addr_b64 v214, v[88:89], v[90:91] offset0:64 offset1:65
	ds_store_2addr_b64 v214, v[84:85], v[86:87] offset0:66 offset1:67
	ds_store_2addr_b64 v214, v[80:81], v[82:83] offset0:68 offset1:69
	ds_store_2addr_b64 v214, v[76:77], v[78:79] offset0:70 offset1:71
	ds_store_2addr_b64 v214, v[72:73], v[74:75] offset0:72 offset1:73
	ds_store_2addr_b64 v214, v[68:69], v[70:71] offset0:74 offset1:75
	ds_store_2addr_b64 v214, v[64:65], v[66:67] offset0:76 offset1:77
	ds_store_2addr_b64 v214, v[60:61], v[62:63] offset0:78 offset1:79
	ds_store_2addr_b64 v214, v[56:57], v[58:59] offset0:80 offset1:81
	ds_store_2addr_b64 v214, v[52:53], v[54:55] offset0:82 offset1:83
	ds_store_2addr_b64 v214, v[48:49], v[50:51] offset0:84 offset1:85
	ds_store_2addr_b64 v214, v[44:45], v[46:47] offset0:86 offset1:87
	ds_store_2addr_b64 v214, v[40:41], v[42:43] offset0:88 offset1:89
	ds_store_2addr_b64 v214, v[36:37], v[38:39] offset0:90 offset1:91
	ds_store_2addr_b64 v214, v[32:33], v[34:35] offset0:92 offset1:93
	ds_store_2addr_b64 v214, v[28:29], v[30:31] offset0:94 offset1:95
	ds_store_2addr_b64 v214, v[24:25], v[26:27] offset0:96 offset1:97
	ds_store_2addr_b64 v214, v[20:21], v[22:23] offset0:98 offset1:99
	ds_store_2addr_b64 v214, v[16:17], v[18:19] offset0:100 offset1:101
	ds_store_2addr_b64 v214, v[12:13], v[14:15] offset0:102 offset1:103
	ds_store_2addr_b64 v214, v[8:9], v[10:11] offset0:104 offset1:105
	ds_store_2addr_b64 v214, v[4:5], v[6:7] offset0:106 offset1:107
	ds_store_2addr_b64 v214, v[0:1], v[2:3] offset0:108 offset1:109
	ds_load_2addr_b64 v[216:219], v204 offset1:1
	s_waitcnt lgkmcnt(0)
	v_cmp_neq_f64_e32 vcc_lo, 0, v[216:217]
	v_cmp_neq_f64_e64 s4, 0, v[218:219]
	s_delay_alu instid0(VALU_DEP_1) | instskip(NEXT) | instid1(SALU_CYCLE_1)
	s_or_b32 s4, vcc_lo, s4
	s_and_b32 exec_lo, exec_lo, s4
	s_cbranch_execz .LBB109_8
; %bb.3:
	v_cmp_gt_f64_e32 vcc_lo, 0, v[216:217]
	v_xor_b32_e32 v208, 0x80000000, v217
	s_delay_alu instid0(VALU_DEP_1) | instskip(SKIP_3) | instid1(VALU_DEP_1)
	v_cndmask_b32_e32 v213, v217, v208, vcc_lo
	v_cndmask_b32_e32 v212, v216, v216, vcc_lo
	v_cmp_gt_f64_e32 vcc_lo, 0, v[218:219]
	v_xor_b32_e32 v208, 0x80000000, v219
	v_dual_cndmask_b32 v220, v218, v218 :: v_dual_cndmask_b32 v221, v219, v208
	s_delay_alu instid0(VALU_DEP_1) | instskip(SKIP_1) | instid1(SALU_CYCLE_1)
	v_cmp_ngt_f64_e32 vcc_lo, v[212:213], v[220:221]
                                        ; implicit-def: $vgpr212_vgpr213
	s_and_saveexec_b32 s4, vcc_lo
	s_xor_b32 s4, exec_lo, s4
                                        ; implicit-def: $vgpr220_vgpr221_vgpr222_vgpr223
	s_cbranch_execz .LBB109_5
; %bb.4:
	v_div_scale_f64 v[212:213], null, v[218:219], v[218:219], v[216:217]
	v_div_scale_f64 v[224:225], vcc_lo, v[216:217], v[218:219], v[216:217]
	s_delay_alu instid0(VALU_DEP_2) | instskip(SKIP_2) | instid1(VALU_DEP_1)
	v_rcp_f64_e32 v[220:221], v[212:213]
	s_waitcnt_depctr 0xfff
	v_fma_f64 v[222:223], -v[212:213], v[220:221], 1.0
	v_fma_f64 v[220:221], v[220:221], v[222:223], v[220:221]
	s_delay_alu instid0(VALU_DEP_1) | instskip(NEXT) | instid1(VALU_DEP_1)
	v_fma_f64 v[222:223], -v[212:213], v[220:221], 1.0
	v_fma_f64 v[220:221], v[220:221], v[222:223], v[220:221]
	s_delay_alu instid0(VALU_DEP_1) | instskip(NEXT) | instid1(VALU_DEP_1)
	v_mul_f64 v[222:223], v[224:225], v[220:221]
	v_fma_f64 v[212:213], -v[212:213], v[222:223], v[224:225]
	s_delay_alu instid0(VALU_DEP_1) | instskip(NEXT) | instid1(VALU_DEP_1)
	v_div_fmas_f64 v[212:213], v[212:213], v[220:221], v[222:223]
	v_div_fixup_f64 v[212:213], v[212:213], v[218:219], v[216:217]
	s_delay_alu instid0(VALU_DEP_1) | instskip(NEXT) | instid1(VALU_DEP_1)
	v_fma_f64 v[216:217], v[216:217], v[212:213], v[218:219]
	v_div_scale_f64 v[218:219], null, v[216:217], v[216:217], 1.0
	s_delay_alu instid0(VALU_DEP_1) | instskip(SKIP_2) | instid1(VALU_DEP_1)
	v_rcp_f64_e32 v[220:221], v[218:219]
	s_waitcnt_depctr 0xfff
	v_fma_f64 v[222:223], -v[218:219], v[220:221], 1.0
	v_fma_f64 v[220:221], v[220:221], v[222:223], v[220:221]
	s_delay_alu instid0(VALU_DEP_1) | instskip(NEXT) | instid1(VALU_DEP_1)
	v_fma_f64 v[222:223], -v[218:219], v[220:221], 1.0
	v_fma_f64 v[220:221], v[220:221], v[222:223], v[220:221]
	v_div_scale_f64 v[222:223], vcc_lo, 1.0, v[216:217], 1.0
	s_delay_alu instid0(VALU_DEP_1) | instskip(NEXT) | instid1(VALU_DEP_1)
	v_mul_f64 v[224:225], v[222:223], v[220:221]
	v_fma_f64 v[218:219], -v[218:219], v[224:225], v[222:223]
	s_delay_alu instid0(VALU_DEP_1) | instskip(NEXT) | instid1(VALU_DEP_1)
	v_div_fmas_f64 v[218:219], v[218:219], v[220:221], v[224:225]
	v_div_fixup_f64 v[222:223], v[218:219], v[216:217], 1.0
                                        ; implicit-def: $vgpr216_vgpr217
	s_delay_alu instid0(VALU_DEP_1)
	v_mul_f64 v[212:213], v[212:213], v[222:223]
	v_xor_b32_e32 v223, 0x80000000, v223
.LBB109_5:
	s_and_not1_saveexec_b32 s4, s4
	s_cbranch_execz .LBB109_7
; %bb.6:
	v_div_scale_f64 v[212:213], null, v[216:217], v[216:217], v[218:219]
	v_div_scale_f64 v[224:225], vcc_lo, v[218:219], v[216:217], v[218:219]
	s_delay_alu instid0(VALU_DEP_2) | instskip(SKIP_2) | instid1(VALU_DEP_1)
	v_rcp_f64_e32 v[220:221], v[212:213]
	s_waitcnt_depctr 0xfff
	v_fma_f64 v[222:223], -v[212:213], v[220:221], 1.0
	v_fma_f64 v[220:221], v[220:221], v[222:223], v[220:221]
	s_delay_alu instid0(VALU_DEP_1) | instskip(NEXT) | instid1(VALU_DEP_1)
	v_fma_f64 v[222:223], -v[212:213], v[220:221], 1.0
	v_fma_f64 v[220:221], v[220:221], v[222:223], v[220:221]
	s_delay_alu instid0(VALU_DEP_1) | instskip(NEXT) | instid1(VALU_DEP_1)
	v_mul_f64 v[222:223], v[224:225], v[220:221]
	v_fma_f64 v[212:213], -v[212:213], v[222:223], v[224:225]
	s_delay_alu instid0(VALU_DEP_1) | instskip(NEXT) | instid1(VALU_DEP_1)
	v_div_fmas_f64 v[212:213], v[212:213], v[220:221], v[222:223]
	v_div_fixup_f64 v[220:221], v[212:213], v[216:217], v[218:219]
	s_delay_alu instid0(VALU_DEP_1) | instskip(NEXT) | instid1(VALU_DEP_1)
	v_fma_f64 v[212:213], v[218:219], v[220:221], v[216:217]
	v_div_scale_f64 v[216:217], null, v[212:213], v[212:213], 1.0
	s_delay_alu instid0(VALU_DEP_1) | instskip(SKIP_2) | instid1(VALU_DEP_1)
	v_rcp_f64_e32 v[218:219], v[216:217]
	s_waitcnt_depctr 0xfff
	v_fma_f64 v[222:223], -v[216:217], v[218:219], 1.0
	v_fma_f64 v[218:219], v[218:219], v[222:223], v[218:219]
	s_delay_alu instid0(VALU_DEP_1) | instskip(NEXT) | instid1(VALU_DEP_1)
	v_fma_f64 v[222:223], -v[216:217], v[218:219], 1.0
	v_fma_f64 v[218:219], v[218:219], v[222:223], v[218:219]
	v_div_scale_f64 v[222:223], vcc_lo, 1.0, v[212:213], 1.0
	s_delay_alu instid0(VALU_DEP_1) | instskip(NEXT) | instid1(VALU_DEP_1)
	v_mul_f64 v[224:225], v[222:223], v[218:219]
	v_fma_f64 v[216:217], -v[216:217], v[224:225], v[222:223]
	s_delay_alu instid0(VALU_DEP_1) | instskip(NEXT) | instid1(VALU_DEP_1)
	v_div_fmas_f64 v[216:217], v[216:217], v[218:219], v[224:225]
	v_div_fixup_f64 v[212:213], v[216:217], v[212:213], 1.0
	s_delay_alu instid0(VALU_DEP_1)
	v_mul_f64 v[222:223], v[220:221], -v[212:213]
.LBB109_7:
	s_or_b32 exec_lo, exec_lo, s4
	ds_store_2addr_b64 v204, v[212:213], v[222:223] offset1:1
.LBB109_8:
	s_or_b32 exec_lo, exec_lo, s5
	s_waitcnt vmcnt(0) lgkmcnt(0)
	s_waitcnt_vscnt null, 0x0
	s_barrier
	buffer_gl0_inv
	ds_load_2addr_b64 v[207:210], v204 offset1:1
	s_waitcnt lgkmcnt(0)
	scratch_store_b128 off, v[207:210], off offset:496 ; 16-byte Folded Spill
	s_and_saveexec_b32 s4, s3
	s_cbranch_execz .LBB109_10
; %bb.9:
	s_clause 0x1
	scratch_load_b128 v[220:223], off, off offset:48
	scratch_load_b128 v[207:210], off, off offset:496
	s_waitcnt vmcnt(0)
	v_mul_f64 v[212:213], v[209:210], v[222:223]
	s_delay_alu instid0(VALU_DEP_1) | instskip(SKIP_1) | instid1(VALU_DEP_1)
	v_fma_f64 v[216:217], v[207:208], v[220:221], -v[212:213]
	v_mul_f64 v[212:213], v[207:208], v[222:223]
	v_fma_f64 v[222:223], v[209:210], v[220:221], v[212:213]
	scratch_load_b128 v[207:210], off, off offset:32 ; 16-byte Folded Reload
	ds_load_2addr_b64 v[218:221], v214 offset0:2 offset1:3
	s_waitcnt lgkmcnt(0)
	v_mul_f64 v[212:213], v[220:221], v[222:223]
	s_delay_alu instid0(VALU_DEP_1) | instskip(SKIP_1) | instid1(VALU_DEP_1)
	v_fma_f64 v[212:213], v[218:219], v[216:217], -v[212:213]
	v_mul_f64 v[218:219], v[218:219], v[222:223]
	v_fma_f64 v[218:219], v[220:221], v[216:217], v[218:219]
	s_waitcnt vmcnt(0)
	s_delay_alu instid0(VALU_DEP_3) | instskip(NEXT) | instid1(VALU_DEP_2)
	v_add_f64 v[207:208], v[207:208], -v[212:213]
	v_add_f64 v[209:210], v[209:210], -v[218:219]
	ds_load_2addr_b64 v[218:221], v214 offset0:4 offset1:5
	s_waitcnt lgkmcnt(0)
	v_mul_f64 v[212:213], v[220:221], v[222:223]
	scratch_store_b128 off, v[207:210], off offset:32 ; 16-byte Folded Spill
	scratch_load_b128 v[207:210], off, off offset:16 ; 16-byte Folded Reload
	v_fma_f64 v[212:213], v[218:219], v[216:217], -v[212:213]
	v_mul_f64 v[218:219], v[218:219], v[222:223]
	s_delay_alu instid0(VALU_DEP_1) | instskip(SKIP_1) | instid1(VALU_DEP_3)
	v_fma_f64 v[218:219], v[220:221], v[216:217], v[218:219]
	s_waitcnt vmcnt(0)
	v_add_f64 v[207:208], v[207:208], -v[212:213]
	s_delay_alu instid0(VALU_DEP_2)
	v_add_f64 v[209:210], v[209:210], -v[218:219]
	ds_load_2addr_b64 v[218:221], v214 offset0:6 offset1:7
	s_waitcnt lgkmcnt(0)
	v_mul_f64 v[212:213], v[220:221], v[222:223]
	scratch_store_b128 off, v[207:210], off offset:16 ; 16-byte Folded Spill
	scratch_load_b128 v[207:210], off, off  ; 16-byte Folded Reload
	v_fma_f64 v[212:213], v[218:219], v[216:217], -v[212:213]
	v_mul_f64 v[218:219], v[218:219], v[222:223]
	s_delay_alu instid0(VALU_DEP_1) | instskip(SKIP_1) | instid1(VALU_DEP_1)
	v_fma_f64 v[218:219], v[220:221], v[216:217], v[218:219]
	s_waitcnt vmcnt(0)
	v_add_f64 v[209:210], v[209:210], -v[218:219]
	ds_load_2addr_b64 v[218:221], v214 offset0:8 offset1:9
	v_add_f64 v[207:208], v[207:208], -v[212:213]
	s_waitcnt lgkmcnt(0)
	v_mul_f64 v[212:213], v[220:221], v[222:223]
	s_delay_alu instid0(VALU_DEP_1) | instskip(SKIP_1) | instid1(VALU_DEP_2)
	v_fma_f64 v[212:213], v[218:219], v[216:217], -v[212:213]
	v_mul_f64 v[218:219], v[218:219], v[222:223]
	v_add_f64 v[200:201], v[200:201], -v[212:213]
	s_delay_alu instid0(VALU_DEP_2) | instskip(NEXT) | instid1(VALU_DEP_1)
	v_fma_f64 v[218:219], v[220:221], v[216:217], v[218:219]
	v_add_f64 v[202:203], v[202:203], -v[218:219]
	ds_load_2addr_b64 v[218:221], v214 offset0:10 offset1:11
	s_waitcnt lgkmcnt(0)
	v_mul_f64 v[212:213], v[220:221], v[222:223]
	s_delay_alu instid0(VALU_DEP_1) | instskip(SKIP_1) | instid1(VALU_DEP_2)
	v_fma_f64 v[212:213], v[218:219], v[216:217], -v[212:213]
	v_mul_f64 v[218:219], v[218:219], v[222:223]
	v_add_f64 v[196:197], v[196:197], -v[212:213]
	s_delay_alu instid0(VALU_DEP_2) | instskip(NEXT) | instid1(VALU_DEP_1)
	v_fma_f64 v[218:219], v[220:221], v[216:217], v[218:219]
	v_add_f64 v[198:199], v[198:199], -v[218:219]
	ds_load_2addr_b64 v[218:221], v214 offset0:12 offset1:13
	;; [unrolled: 10-line block ×50, first 2 shown]
	s_waitcnt lgkmcnt(0)
	v_mul_f64 v[212:213], v[220:221], v[222:223]
	s_delay_alu instid0(VALU_DEP_1) | instskip(SKIP_1) | instid1(VALU_DEP_2)
	v_fma_f64 v[212:213], v[218:219], v[216:217], -v[212:213]
	v_mul_f64 v[218:219], v[218:219], v[222:223]
	v_add_f64 v[0:1], v[0:1], -v[212:213]
	s_delay_alu instid0(VALU_DEP_2)
	v_fma_f64 v[218:219], v[220:221], v[216:217], v[218:219]
	v_dual_mov_b32 v221, v217 :: v_dual_mov_b32 v220, v216
	s_clause 0x1
	scratch_store_b128 off, v[207:210], off
	scratch_store_b128 off, v[220:223], off offset:48
	v_add_f64 v[2:3], v[2:3], -v[218:219]
.LBB109_10:
	s_or_b32 exec_lo, exec_lo, s4
	s_delay_alu instid0(SALU_CYCLE_1)
	s_mov_b32 s4, exec_lo
	s_waitcnt_vscnt null, 0x0
	s_barrier
	buffer_gl0_inv
	v_cmpx_eq_u32_e32 1, v215
	s_cbranch_execz .LBB109_17
; %bb.11:
	scratch_load_b128 v[207:210], off, off offset:32 ; 16-byte Folded Reload
	s_waitcnt vmcnt(0)
	ds_store_2addr_b64 v204, v[207:208], v[209:210] offset1:1
	scratch_load_b128 v[207:210], off, off offset:16 ; 16-byte Folded Reload
	s_waitcnt vmcnt(0)
	ds_store_2addr_b64 v214, v[207:208], v[209:210] offset0:4 offset1:5
	scratch_load_b128 v[207:210], off, off  ; 16-byte Folded Reload
	s_waitcnt vmcnt(0)
	ds_store_2addr_b64 v214, v[207:208], v[209:210] offset0:6 offset1:7
	ds_store_2addr_b64 v214, v[200:201], v[202:203] offset0:8 offset1:9
	;; [unrolled: 1-line block ×52, first 2 shown]
	ds_load_2addr_b64 v[216:219], v204 offset1:1
	s_waitcnt lgkmcnt(0)
	v_cmp_neq_f64_e32 vcc_lo, 0, v[216:217]
	v_cmp_neq_f64_e64 s3, 0, v[218:219]
	s_delay_alu instid0(VALU_DEP_1) | instskip(NEXT) | instid1(SALU_CYCLE_1)
	s_or_b32 s3, vcc_lo, s3
	s_and_b32 exec_lo, exec_lo, s3
	s_cbranch_execz .LBB109_17
; %bb.12:
	v_cmp_gt_f64_e32 vcc_lo, 0, v[216:217]
	v_xor_b32_e32 v208, 0x80000000, v217
	s_delay_alu instid0(VALU_DEP_1) | instskip(SKIP_3) | instid1(VALU_DEP_1)
	v_cndmask_b32_e32 v213, v217, v208, vcc_lo
	v_cndmask_b32_e32 v212, v216, v216, vcc_lo
	v_cmp_gt_f64_e32 vcc_lo, 0, v[218:219]
	v_xor_b32_e32 v208, 0x80000000, v219
	v_dual_cndmask_b32 v220, v218, v218 :: v_dual_cndmask_b32 v221, v219, v208
	s_delay_alu instid0(VALU_DEP_1) | instskip(SKIP_1) | instid1(SALU_CYCLE_1)
	v_cmp_ngt_f64_e32 vcc_lo, v[212:213], v[220:221]
                                        ; implicit-def: $vgpr212_vgpr213
	s_and_saveexec_b32 s3, vcc_lo
	s_xor_b32 s3, exec_lo, s3
                                        ; implicit-def: $vgpr220_vgpr221_vgpr222_vgpr223
	s_cbranch_execz .LBB109_14
; %bb.13:
	v_div_scale_f64 v[212:213], null, v[218:219], v[218:219], v[216:217]
	v_div_scale_f64 v[224:225], vcc_lo, v[216:217], v[218:219], v[216:217]
	s_delay_alu instid0(VALU_DEP_2) | instskip(SKIP_2) | instid1(VALU_DEP_1)
	v_rcp_f64_e32 v[220:221], v[212:213]
	s_waitcnt_depctr 0xfff
	v_fma_f64 v[222:223], -v[212:213], v[220:221], 1.0
	v_fma_f64 v[220:221], v[220:221], v[222:223], v[220:221]
	s_delay_alu instid0(VALU_DEP_1) | instskip(NEXT) | instid1(VALU_DEP_1)
	v_fma_f64 v[222:223], -v[212:213], v[220:221], 1.0
	v_fma_f64 v[220:221], v[220:221], v[222:223], v[220:221]
	s_delay_alu instid0(VALU_DEP_1) | instskip(NEXT) | instid1(VALU_DEP_1)
	v_mul_f64 v[222:223], v[224:225], v[220:221]
	v_fma_f64 v[212:213], -v[212:213], v[222:223], v[224:225]
	s_delay_alu instid0(VALU_DEP_1) | instskip(NEXT) | instid1(VALU_DEP_1)
	v_div_fmas_f64 v[212:213], v[212:213], v[220:221], v[222:223]
	v_div_fixup_f64 v[212:213], v[212:213], v[218:219], v[216:217]
	s_delay_alu instid0(VALU_DEP_1) | instskip(NEXT) | instid1(VALU_DEP_1)
	v_fma_f64 v[216:217], v[216:217], v[212:213], v[218:219]
	v_div_scale_f64 v[218:219], null, v[216:217], v[216:217], 1.0
	s_delay_alu instid0(VALU_DEP_1) | instskip(SKIP_2) | instid1(VALU_DEP_1)
	v_rcp_f64_e32 v[220:221], v[218:219]
	s_waitcnt_depctr 0xfff
	v_fma_f64 v[222:223], -v[218:219], v[220:221], 1.0
	v_fma_f64 v[220:221], v[220:221], v[222:223], v[220:221]
	s_delay_alu instid0(VALU_DEP_1) | instskip(NEXT) | instid1(VALU_DEP_1)
	v_fma_f64 v[222:223], -v[218:219], v[220:221], 1.0
	v_fma_f64 v[220:221], v[220:221], v[222:223], v[220:221]
	v_div_scale_f64 v[222:223], vcc_lo, 1.0, v[216:217], 1.0
	s_delay_alu instid0(VALU_DEP_1) | instskip(NEXT) | instid1(VALU_DEP_1)
	v_mul_f64 v[224:225], v[222:223], v[220:221]
	v_fma_f64 v[218:219], -v[218:219], v[224:225], v[222:223]
	s_delay_alu instid0(VALU_DEP_1) | instskip(NEXT) | instid1(VALU_DEP_1)
	v_div_fmas_f64 v[218:219], v[218:219], v[220:221], v[224:225]
	v_div_fixup_f64 v[222:223], v[218:219], v[216:217], 1.0
                                        ; implicit-def: $vgpr216_vgpr217
	s_delay_alu instid0(VALU_DEP_1)
	v_mul_f64 v[212:213], v[212:213], v[222:223]
	v_xor_b32_e32 v223, 0x80000000, v223
.LBB109_14:
	s_and_not1_saveexec_b32 s3, s3
	s_cbranch_execz .LBB109_16
; %bb.15:
	v_div_scale_f64 v[212:213], null, v[216:217], v[216:217], v[218:219]
	v_div_scale_f64 v[224:225], vcc_lo, v[218:219], v[216:217], v[218:219]
	s_delay_alu instid0(VALU_DEP_2) | instskip(SKIP_2) | instid1(VALU_DEP_1)
	v_rcp_f64_e32 v[220:221], v[212:213]
	s_waitcnt_depctr 0xfff
	v_fma_f64 v[222:223], -v[212:213], v[220:221], 1.0
	v_fma_f64 v[220:221], v[220:221], v[222:223], v[220:221]
	s_delay_alu instid0(VALU_DEP_1) | instskip(NEXT) | instid1(VALU_DEP_1)
	v_fma_f64 v[222:223], -v[212:213], v[220:221], 1.0
	v_fma_f64 v[220:221], v[220:221], v[222:223], v[220:221]
	s_delay_alu instid0(VALU_DEP_1) | instskip(NEXT) | instid1(VALU_DEP_1)
	v_mul_f64 v[222:223], v[224:225], v[220:221]
	v_fma_f64 v[212:213], -v[212:213], v[222:223], v[224:225]
	s_delay_alu instid0(VALU_DEP_1) | instskip(NEXT) | instid1(VALU_DEP_1)
	v_div_fmas_f64 v[212:213], v[212:213], v[220:221], v[222:223]
	v_div_fixup_f64 v[220:221], v[212:213], v[216:217], v[218:219]
	s_delay_alu instid0(VALU_DEP_1) | instskip(NEXT) | instid1(VALU_DEP_1)
	v_fma_f64 v[212:213], v[218:219], v[220:221], v[216:217]
	v_div_scale_f64 v[216:217], null, v[212:213], v[212:213], 1.0
	s_delay_alu instid0(VALU_DEP_1) | instskip(SKIP_2) | instid1(VALU_DEP_1)
	v_rcp_f64_e32 v[218:219], v[216:217]
	s_waitcnt_depctr 0xfff
	v_fma_f64 v[222:223], -v[216:217], v[218:219], 1.0
	v_fma_f64 v[218:219], v[218:219], v[222:223], v[218:219]
	s_delay_alu instid0(VALU_DEP_1) | instskip(NEXT) | instid1(VALU_DEP_1)
	v_fma_f64 v[222:223], -v[216:217], v[218:219], 1.0
	v_fma_f64 v[218:219], v[218:219], v[222:223], v[218:219]
	v_div_scale_f64 v[222:223], vcc_lo, 1.0, v[212:213], 1.0
	s_delay_alu instid0(VALU_DEP_1) | instskip(NEXT) | instid1(VALU_DEP_1)
	v_mul_f64 v[224:225], v[222:223], v[218:219]
	v_fma_f64 v[216:217], -v[216:217], v[224:225], v[222:223]
	s_delay_alu instid0(VALU_DEP_1) | instskip(NEXT) | instid1(VALU_DEP_1)
	v_div_fmas_f64 v[216:217], v[216:217], v[218:219], v[224:225]
	v_div_fixup_f64 v[212:213], v[216:217], v[212:213], 1.0
	s_delay_alu instid0(VALU_DEP_1)
	v_mul_f64 v[222:223], v[220:221], -v[212:213]
.LBB109_16:
	s_or_b32 exec_lo, exec_lo, s3
	ds_store_2addr_b64 v204, v[212:213], v[222:223] offset1:1
.LBB109_17:
	s_or_b32 exec_lo, exec_lo, s4
	s_waitcnt lgkmcnt(0)
	s_barrier
	buffer_gl0_inv
	ds_load_2addr_b64 v[207:210], v204 offset1:1
	s_mov_b32 s3, exec_lo
	s_waitcnt lgkmcnt(0)
	scratch_store_b128 off, v[207:210], off offset:512 ; 16-byte Folded Spill
	v_cmpx_lt_u32_e32 1, v215
	s_cbranch_execz .LBB109_19
; %bb.18:
	s_clause 0x1
	scratch_load_b128 v[220:223], off, off offset:32
	scratch_load_b128 v[207:210], off, off offset:512
	s_waitcnt vmcnt(0)
	v_mul_f64 v[212:213], v[209:210], v[222:223]
	s_delay_alu instid0(VALU_DEP_1) | instskip(SKIP_1) | instid1(VALU_DEP_1)
	v_fma_f64 v[216:217], v[207:208], v[220:221], -v[212:213]
	v_mul_f64 v[212:213], v[207:208], v[222:223]
	v_fma_f64 v[222:223], v[209:210], v[220:221], v[212:213]
	scratch_load_b128 v[207:210], off, off offset:16 ; 16-byte Folded Reload
	ds_load_2addr_b64 v[218:221], v214 offset0:4 offset1:5
	s_waitcnt lgkmcnt(0)
	v_mul_f64 v[212:213], v[220:221], v[222:223]
	s_delay_alu instid0(VALU_DEP_1) | instskip(SKIP_1) | instid1(VALU_DEP_1)
	v_fma_f64 v[212:213], v[218:219], v[216:217], -v[212:213]
	v_mul_f64 v[218:219], v[218:219], v[222:223]
	v_fma_f64 v[218:219], v[220:221], v[216:217], v[218:219]
	s_waitcnt vmcnt(0)
	s_delay_alu instid0(VALU_DEP_3) | instskip(NEXT) | instid1(VALU_DEP_2)
	v_add_f64 v[207:208], v[207:208], -v[212:213]
	v_add_f64 v[209:210], v[209:210], -v[218:219]
	ds_load_2addr_b64 v[218:221], v214 offset0:6 offset1:7
	s_waitcnt lgkmcnt(0)
	v_mul_f64 v[212:213], v[220:221], v[222:223]
	scratch_store_b128 off, v[207:210], off offset:16 ; 16-byte Folded Spill
	scratch_load_b128 v[207:210], off, off  ; 16-byte Folded Reload
	v_fma_f64 v[212:213], v[218:219], v[216:217], -v[212:213]
	v_mul_f64 v[218:219], v[218:219], v[222:223]
	s_delay_alu instid0(VALU_DEP_1) | instskip(SKIP_1) | instid1(VALU_DEP_1)
	v_fma_f64 v[218:219], v[220:221], v[216:217], v[218:219]
	s_waitcnt vmcnt(0)
	v_add_f64 v[209:210], v[209:210], -v[218:219]
	ds_load_2addr_b64 v[218:221], v214 offset0:8 offset1:9
	v_add_f64 v[207:208], v[207:208], -v[212:213]
	s_waitcnt lgkmcnt(0)
	v_mul_f64 v[212:213], v[220:221], v[222:223]
	s_delay_alu instid0(VALU_DEP_1) | instskip(SKIP_1) | instid1(VALU_DEP_2)
	v_fma_f64 v[212:213], v[218:219], v[216:217], -v[212:213]
	v_mul_f64 v[218:219], v[218:219], v[222:223]
	v_add_f64 v[200:201], v[200:201], -v[212:213]
	s_delay_alu instid0(VALU_DEP_2) | instskip(NEXT) | instid1(VALU_DEP_1)
	v_fma_f64 v[218:219], v[220:221], v[216:217], v[218:219]
	v_add_f64 v[202:203], v[202:203], -v[218:219]
	ds_load_2addr_b64 v[218:221], v214 offset0:10 offset1:11
	s_waitcnt lgkmcnt(0)
	v_mul_f64 v[212:213], v[220:221], v[222:223]
	s_delay_alu instid0(VALU_DEP_1) | instskip(SKIP_1) | instid1(VALU_DEP_2)
	v_fma_f64 v[212:213], v[218:219], v[216:217], -v[212:213]
	v_mul_f64 v[218:219], v[218:219], v[222:223]
	v_add_f64 v[196:197], v[196:197], -v[212:213]
	s_delay_alu instid0(VALU_DEP_2) | instskip(NEXT) | instid1(VALU_DEP_1)
	v_fma_f64 v[218:219], v[220:221], v[216:217], v[218:219]
	v_add_f64 v[198:199], v[198:199], -v[218:219]
	ds_load_2addr_b64 v[218:221], v214 offset0:12 offset1:13
	;; [unrolled: 10-line block ×50, first 2 shown]
	s_waitcnt lgkmcnt(0)
	v_mul_f64 v[212:213], v[220:221], v[222:223]
	s_delay_alu instid0(VALU_DEP_1) | instskip(SKIP_1) | instid1(VALU_DEP_2)
	v_fma_f64 v[212:213], v[218:219], v[216:217], -v[212:213]
	v_mul_f64 v[218:219], v[218:219], v[222:223]
	v_add_f64 v[0:1], v[0:1], -v[212:213]
	s_delay_alu instid0(VALU_DEP_2)
	v_fma_f64 v[218:219], v[220:221], v[216:217], v[218:219]
	v_dual_mov_b32 v221, v217 :: v_dual_mov_b32 v220, v216
	s_clause 0x1
	scratch_store_b128 off, v[207:210], off
	scratch_store_b128 off, v[220:223], off offset:32
	v_add_f64 v[2:3], v[2:3], -v[218:219]
.LBB109_19:
	s_or_b32 exec_lo, exec_lo, s3
	s_delay_alu instid0(SALU_CYCLE_1)
	s_mov_b32 s4, exec_lo
	s_waitcnt_vscnt null, 0x0
	s_barrier
	buffer_gl0_inv
	v_cmpx_eq_u32_e32 2, v215
	s_cbranch_execz .LBB109_26
; %bb.20:
	scratch_load_b128 v[207:210], off, off offset:16 ; 16-byte Folded Reload
	s_waitcnt vmcnt(0)
	ds_store_2addr_b64 v204, v[207:208], v[209:210] offset1:1
	scratch_load_b128 v[207:210], off, off  ; 16-byte Folded Reload
	s_waitcnt vmcnt(0)
	ds_store_2addr_b64 v214, v[207:208], v[209:210] offset0:6 offset1:7
	ds_store_2addr_b64 v214, v[200:201], v[202:203] offset0:8 offset1:9
	;; [unrolled: 1-line block ×52, first 2 shown]
	ds_load_2addr_b64 v[216:219], v204 offset1:1
	s_waitcnt lgkmcnt(0)
	v_cmp_neq_f64_e32 vcc_lo, 0, v[216:217]
	v_cmp_neq_f64_e64 s3, 0, v[218:219]
	s_delay_alu instid0(VALU_DEP_1) | instskip(NEXT) | instid1(SALU_CYCLE_1)
	s_or_b32 s3, vcc_lo, s3
	s_and_b32 exec_lo, exec_lo, s3
	s_cbranch_execz .LBB109_26
; %bb.21:
	v_cmp_gt_f64_e32 vcc_lo, 0, v[216:217]
	v_xor_b32_e32 v208, 0x80000000, v217
	s_delay_alu instid0(VALU_DEP_1) | instskip(SKIP_3) | instid1(VALU_DEP_1)
	v_cndmask_b32_e32 v213, v217, v208, vcc_lo
	v_cndmask_b32_e32 v212, v216, v216, vcc_lo
	v_cmp_gt_f64_e32 vcc_lo, 0, v[218:219]
	v_xor_b32_e32 v208, 0x80000000, v219
	v_dual_cndmask_b32 v220, v218, v218 :: v_dual_cndmask_b32 v221, v219, v208
	s_delay_alu instid0(VALU_DEP_1) | instskip(SKIP_1) | instid1(SALU_CYCLE_1)
	v_cmp_ngt_f64_e32 vcc_lo, v[212:213], v[220:221]
                                        ; implicit-def: $vgpr212_vgpr213
	s_and_saveexec_b32 s3, vcc_lo
	s_xor_b32 s3, exec_lo, s3
                                        ; implicit-def: $vgpr220_vgpr221_vgpr222_vgpr223
	s_cbranch_execz .LBB109_23
; %bb.22:
	v_div_scale_f64 v[212:213], null, v[218:219], v[218:219], v[216:217]
	v_div_scale_f64 v[224:225], vcc_lo, v[216:217], v[218:219], v[216:217]
	s_delay_alu instid0(VALU_DEP_2) | instskip(SKIP_2) | instid1(VALU_DEP_1)
	v_rcp_f64_e32 v[220:221], v[212:213]
	s_waitcnt_depctr 0xfff
	v_fma_f64 v[222:223], -v[212:213], v[220:221], 1.0
	v_fma_f64 v[220:221], v[220:221], v[222:223], v[220:221]
	s_delay_alu instid0(VALU_DEP_1) | instskip(NEXT) | instid1(VALU_DEP_1)
	v_fma_f64 v[222:223], -v[212:213], v[220:221], 1.0
	v_fma_f64 v[220:221], v[220:221], v[222:223], v[220:221]
	s_delay_alu instid0(VALU_DEP_1) | instskip(NEXT) | instid1(VALU_DEP_1)
	v_mul_f64 v[222:223], v[224:225], v[220:221]
	v_fma_f64 v[212:213], -v[212:213], v[222:223], v[224:225]
	s_delay_alu instid0(VALU_DEP_1) | instskip(NEXT) | instid1(VALU_DEP_1)
	v_div_fmas_f64 v[212:213], v[212:213], v[220:221], v[222:223]
	v_div_fixup_f64 v[212:213], v[212:213], v[218:219], v[216:217]
	s_delay_alu instid0(VALU_DEP_1) | instskip(NEXT) | instid1(VALU_DEP_1)
	v_fma_f64 v[216:217], v[216:217], v[212:213], v[218:219]
	v_div_scale_f64 v[218:219], null, v[216:217], v[216:217], 1.0
	s_delay_alu instid0(VALU_DEP_1) | instskip(SKIP_2) | instid1(VALU_DEP_1)
	v_rcp_f64_e32 v[220:221], v[218:219]
	s_waitcnt_depctr 0xfff
	v_fma_f64 v[222:223], -v[218:219], v[220:221], 1.0
	v_fma_f64 v[220:221], v[220:221], v[222:223], v[220:221]
	s_delay_alu instid0(VALU_DEP_1) | instskip(NEXT) | instid1(VALU_DEP_1)
	v_fma_f64 v[222:223], -v[218:219], v[220:221], 1.0
	v_fma_f64 v[220:221], v[220:221], v[222:223], v[220:221]
	v_div_scale_f64 v[222:223], vcc_lo, 1.0, v[216:217], 1.0
	s_delay_alu instid0(VALU_DEP_1) | instskip(NEXT) | instid1(VALU_DEP_1)
	v_mul_f64 v[224:225], v[222:223], v[220:221]
	v_fma_f64 v[218:219], -v[218:219], v[224:225], v[222:223]
	s_delay_alu instid0(VALU_DEP_1) | instskip(NEXT) | instid1(VALU_DEP_1)
	v_div_fmas_f64 v[218:219], v[218:219], v[220:221], v[224:225]
	v_div_fixup_f64 v[222:223], v[218:219], v[216:217], 1.0
                                        ; implicit-def: $vgpr216_vgpr217
	s_delay_alu instid0(VALU_DEP_1)
	v_mul_f64 v[212:213], v[212:213], v[222:223]
	v_xor_b32_e32 v223, 0x80000000, v223
.LBB109_23:
	s_and_not1_saveexec_b32 s3, s3
	s_cbranch_execz .LBB109_25
; %bb.24:
	v_div_scale_f64 v[212:213], null, v[216:217], v[216:217], v[218:219]
	v_div_scale_f64 v[224:225], vcc_lo, v[218:219], v[216:217], v[218:219]
	s_delay_alu instid0(VALU_DEP_2) | instskip(SKIP_2) | instid1(VALU_DEP_1)
	v_rcp_f64_e32 v[220:221], v[212:213]
	s_waitcnt_depctr 0xfff
	v_fma_f64 v[222:223], -v[212:213], v[220:221], 1.0
	v_fma_f64 v[220:221], v[220:221], v[222:223], v[220:221]
	s_delay_alu instid0(VALU_DEP_1) | instskip(NEXT) | instid1(VALU_DEP_1)
	v_fma_f64 v[222:223], -v[212:213], v[220:221], 1.0
	v_fma_f64 v[220:221], v[220:221], v[222:223], v[220:221]
	s_delay_alu instid0(VALU_DEP_1) | instskip(NEXT) | instid1(VALU_DEP_1)
	v_mul_f64 v[222:223], v[224:225], v[220:221]
	v_fma_f64 v[212:213], -v[212:213], v[222:223], v[224:225]
	s_delay_alu instid0(VALU_DEP_1) | instskip(NEXT) | instid1(VALU_DEP_1)
	v_div_fmas_f64 v[212:213], v[212:213], v[220:221], v[222:223]
	v_div_fixup_f64 v[220:221], v[212:213], v[216:217], v[218:219]
	s_delay_alu instid0(VALU_DEP_1) | instskip(NEXT) | instid1(VALU_DEP_1)
	v_fma_f64 v[212:213], v[218:219], v[220:221], v[216:217]
	v_div_scale_f64 v[216:217], null, v[212:213], v[212:213], 1.0
	s_delay_alu instid0(VALU_DEP_1) | instskip(SKIP_2) | instid1(VALU_DEP_1)
	v_rcp_f64_e32 v[218:219], v[216:217]
	s_waitcnt_depctr 0xfff
	v_fma_f64 v[222:223], -v[216:217], v[218:219], 1.0
	v_fma_f64 v[218:219], v[218:219], v[222:223], v[218:219]
	s_delay_alu instid0(VALU_DEP_1) | instskip(NEXT) | instid1(VALU_DEP_1)
	v_fma_f64 v[222:223], -v[216:217], v[218:219], 1.0
	v_fma_f64 v[218:219], v[218:219], v[222:223], v[218:219]
	v_div_scale_f64 v[222:223], vcc_lo, 1.0, v[212:213], 1.0
	s_delay_alu instid0(VALU_DEP_1) | instskip(NEXT) | instid1(VALU_DEP_1)
	v_mul_f64 v[224:225], v[222:223], v[218:219]
	v_fma_f64 v[216:217], -v[216:217], v[224:225], v[222:223]
	s_delay_alu instid0(VALU_DEP_1) | instskip(NEXT) | instid1(VALU_DEP_1)
	v_div_fmas_f64 v[216:217], v[216:217], v[218:219], v[224:225]
	v_div_fixup_f64 v[212:213], v[216:217], v[212:213], 1.0
	s_delay_alu instid0(VALU_DEP_1)
	v_mul_f64 v[222:223], v[220:221], -v[212:213]
.LBB109_25:
	s_or_b32 exec_lo, exec_lo, s3
	ds_store_2addr_b64 v204, v[212:213], v[222:223] offset1:1
.LBB109_26:
	s_or_b32 exec_lo, exec_lo, s4
	s_waitcnt lgkmcnt(0)
	s_barrier
	buffer_gl0_inv
	ds_load_2addr_b64 v[207:210], v204 offset1:1
	s_mov_b32 s3, exec_lo
	s_waitcnt lgkmcnt(0)
	scratch_store_b128 off, v[207:210], off offset:528 ; 16-byte Folded Spill
	v_cmpx_lt_u32_e32 2, v215
	s_cbranch_execz .LBB109_28
; %bb.27:
	s_clause 0x1
	scratch_load_b128 v[208:211], off, off offset:16
	scratch_load_b128 v[218:221], off, off offset:528
	s_waitcnt vmcnt(0)
	v_mul_f64 v[212:213], v[220:221], v[210:211]
	v_mul_f64 v[210:211], v[218:219], v[210:211]
	s_delay_alu instid0(VALU_DEP_2) | instskip(NEXT) | instid1(VALU_DEP_2)
	v_fma_f64 v[216:217], v[218:219], v[208:209], -v[212:213]
	v_fma_f64 v[210:211], v[220:221], v[208:209], v[210:211]
	ds_load_2addr_b64 v[218:221], v214 offset0:6 offset1:7
	s_waitcnt lgkmcnt(0)
	v_mul_f64 v[208:209], v[220:221], v[210:211]
	v_mul_f64 v[212:213], v[218:219], v[210:211]
	s_delay_alu instid0(VALU_DEP_2) | instskip(NEXT) | instid1(VALU_DEP_2)
	v_fma_f64 v[208:209], v[218:219], v[216:217], -v[208:209]
	v_fma_f64 v[212:213], v[220:221], v[216:217], v[212:213]
	scratch_load_b128 v[218:221], off, off  ; 16-byte Folded Reload
	s_waitcnt vmcnt(0)
	v_add_f64 v[218:219], v[218:219], -v[208:209]
	v_add_f64 v[220:221], v[220:221], -v[212:213]
	scratch_store_b128 off, v[218:221], off ; 16-byte Folded Spill
	ds_load_2addr_b64 v[218:221], v214 offset0:8 offset1:9
	s_waitcnt lgkmcnt(0)
	v_mul_f64 v[208:209], v[220:221], v[210:211]
	v_mul_f64 v[212:213], v[218:219], v[210:211]
	s_delay_alu instid0(VALU_DEP_2) | instskip(NEXT) | instid1(VALU_DEP_2)
	v_fma_f64 v[208:209], v[218:219], v[216:217], -v[208:209]
	v_fma_f64 v[212:213], v[220:221], v[216:217], v[212:213]
	ds_load_2addr_b64 v[218:221], v214 offset0:10 offset1:11
	v_add_f64 v[200:201], v[200:201], -v[208:209]
	v_add_f64 v[202:203], v[202:203], -v[212:213]
	s_waitcnt lgkmcnt(0)
	v_mul_f64 v[208:209], v[220:221], v[210:211]
	v_mul_f64 v[212:213], v[218:219], v[210:211]
	s_delay_alu instid0(VALU_DEP_2) | instskip(NEXT) | instid1(VALU_DEP_2)
	v_fma_f64 v[208:209], v[218:219], v[216:217], -v[208:209]
	v_fma_f64 v[212:213], v[220:221], v[216:217], v[212:213]
	ds_load_2addr_b64 v[218:221], v214 offset0:12 offset1:13
	v_add_f64 v[196:197], v[196:197], -v[208:209]
	v_add_f64 v[198:199], v[198:199], -v[212:213]
	;; [unrolled: 9-line block ×50, first 2 shown]
	s_waitcnt lgkmcnt(0)
	v_mul_f64 v[208:209], v[220:221], v[210:211]
	v_mul_f64 v[212:213], v[218:219], v[210:211]
	s_delay_alu instid0(VALU_DEP_2) | instskip(NEXT) | instid1(VALU_DEP_2)
	v_fma_f64 v[208:209], v[218:219], v[216:217], -v[208:209]
	v_fma_f64 v[212:213], v[220:221], v[216:217], v[212:213]
	s_delay_alu instid0(VALU_DEP_2) | instskip(NEXT) | instid1(VALU_DEP_2)
	v_add_f64 v[0:1], v[0:1], -v[208:209]
	v_add_f64 v[2:3], v[2:3], -v[212:213]
	v_dual_mov_b32 v208, v216 :: v_dual_mov_b32 v209, v217
	scratch_store_b128 off, v[208:211], off offset:16 ; 16-byte Folded Spill
.LBB109_28:
	s_or_b32 exec_lo, exec_lo, s3
	s_delay_alu instid0(SALU_CYCLE_1)
	s_mov_b32 s4, exec_lo
	s_waitcnt_vscnt null, 0x0
	s_barrier
	buffer_gl0_inv
	v_cmpx_eq_u32_e32 3, v215
	s_cbranch_execz .LBB109_35
; %bb.29:
	scratch_load_b128 v[207:210], off, off  ; 16-byte Folded Reload
	s_waitcnt vmcnt(0)
	ds_store_2addr_b64 v204, v[207:208], v[209:210] offset1:1
	ds_store_2addr_b64 v214, v[200:201], v[202:203] offset0:8 offset1:9
	ds_store_2addr_b64 v214, v[196:197], v[198:199] offset0:10 offset1:11
	ds_store_2addr_b64 v214, v[192:193], v[194:195] offset0:12 offset1:13
	ds_store_2addr_b64 v214, v[188:189], v[190:191] offset0:14 offset1:15
	ds_store_2addr_b64 v214, v[184:185], v[186:187] offset0:16 offset1:17
	ds_store_2addr_b64 v214, v[180:181], v[182:183] offset0:18 offset1:19
	ds_store_2addr_b64 v214, v[176:177], v[178:179] offset0:20 offset1:21
	ds_store_2addr_b64 v214, v[172:173], v[174:175] offset0:22 offset1:23
	ds_store_2addr_b64 v214, v[168:169], v[170:171] offset0:24 offset1:25
	ds_store_2addr_b64 v214, v[164:165], v[166:167] offset0:26 offset1:27
	ds_store_2addr_b64 v214, v[160:161], v[162:163] offset0:28 offset1:29
	ds_store_2addr_b64 v214, v[156:157], v[158:159] offset0:30 offset1:31
	ds_store_2addr_b64 v214, v[152:153], v[154:155] offset0:32 offset1:33
	ds_store_2addr_b64 v214, v[148:149], v[150:151] offset0:34 offset1:35
	ds_store_2addr_b64 v214, v[144:145], v[146:147] offset0:36 offset1:37
	ds_store_2addr_b64 v214, v[140:141], v[142:143] offset0:38 offset1:39
	ds_store_2addr_b64 v214, v[136:137], v[138:139] offset0:40 offset1:41
	ds_store_2addr_b64 v214, v[132:133], v[134:135] offset0:42 offset1:43
	ds_store_2addr_b64 v214, v[128:129], v[130:131] offset0:44 offset1:45
	ds_store_2addr_b64 v214, v[124:125], v[126:127] offset0:46 offset1:47
	ds_store_2addr_b64 v214, v[120:121], v[122:123] offset0:48 offset1:49
	ds_store_2addr_b64 v214, v[116:117], v[118:119] offset0:50 offset1:51
	ds_store_2addr_b64 v214, v[112:113], v[114:115] offset0:52 offset1:53
	ds_store_2addr_b64 v214, v[108:109], v[110:111] offset0:54 offset1:55
	ds_store_2addr_b64 v214, v[104:105], v[106:107] offset0:56 offset1:57
	ds_store_2addr_b64 v214, v[100:101], v[102:103] offset0:58 offset1:59
	ds_store_2addr_b64 v214, v[96:97], v[98:99] offset0:60 offset1:61
	ds_store_2addr_b64 v214, v[92:93], v[94:95] offset0:62 offset1:63
	ds_store_2addr_b64 v214, v[88:89], v[90:91] offset0:64 offset1:65
	ds_store_2addr_b64 v214, v[84:85], v[86:87] offset0:66 offset1:67
	ds_store_2addr_b64 v214, v[80:81], v[82:83] offset0:68 offset1:69
	ds_store_2addr_b64 v214, v[76:77], v[78:79] offset0:70 offset1:71
	ds_store_2addr_b64 v214, v[72:73], v[74:75] offset0:72 offset1:73
	ds_store_2addr_b64 v214, v[68:69], v[70:71] offset0:74 offset1:75
	ds_store_2addr_b64 v214, v[64:65], v[66:67] offset0:76 offset1:77
	ds_store_2addr_b64 v214, v[60:61], v[62:63] offset0:78 offset1:79
	ds_store_2addr_b64 v214, v[56:57], v[58:59] offset0:80 offset1:81
	ds_store_2addr_b64 v214, v[52:53], v[54:55] offset0:82 offset1:83
	ds_store_2addr_b64 v214, v[48:49], v[50:51] offset0:84 offset1:85
	ds_store_2addr_b64 v214, v[44:45], v[46:47] offset0:86 offset1:87
	ds_store_2addr_b64 v214, v[40:41], v[42:43] offset0:88 offset1:89
	ds_store_2addr_b64 v214, v[36:37], v[38:39] offset0:90 offset1:91
	ds_store_2addr_b64 v214, v[32:33], v[34:35] offset0:92 offset1:93
	ds_store_2addr_b64 v214, v[28:29], v[30:31] offset0:94 offset1:95
	ds_store_2addr_b64 v214, v[24:25], v[26:27] offset0:96 offset1:97
	ds_store_2addr_b64 v214, v[20:21], v[22:23] offset0:98 offset1:99
	ds_store_2addr_b64 v214, v[16:17], v[18:19] offset0:100 offset1:101
	ds_store_2addr_b64 v214, v[12:13], v[14:15] offset0:102 offset1:103
	ds_store_2addr_b64 v214, v[8:9], v[10:11] offset0:104 offset1:105
	ds_store_2addr_b64 v214, v[4:5], v[6:7] offset0:106 offset1:107
	ds_store_2addr_b64 v214, v[0:1], v[2:3] offset0:108 offset1:109
	ds_load_2addr_b64 v[216:219], v204 offset1:1
	s_waitcnt lgkmcnt(0)
	v_cmp_neq_f64_e32 vcc_lo, 0, v[216:217]
	v_cmp_neq_f64_e64 s3, 0, v[218:219]
	s_delay_alu instid0(VALU_DEP_1) | instskip(NEXT) | instid1(SALU_CYCLE_1)
	s_or_b32 s3, vcc_lo, s3
	s_and_b32 exec_lo, exec_lo, s3
	s_cbranch_execz .LBB109_35
; %bb.30:
	v_cmp_gt_f64_e32 vcc_lo, 0, v[216:217]
	v_xor_b32_e32 v208, 0x80000000, v217
	s_delay_alu instid0(VALU_DEP_1) | instskip(SKIP_3) | instid1(VALU_DEP_1)
	v_cndmask_b32_e32 v213, v217, v208, vcc_lo
	v_cndmask_b32_e32 v212, v216, v216, vcc_lo
	v_cmp_gt_f64_e32 vcc_lo, 0, v[218:219]
	v_xor_b32_e32 v208, 0x80000000, v219
	v_dual_cndmask_b32 v220, v218, v218 :: v_dual_cndmask_b32 v221, v219, v208
	s_delay_alu instid0(VALU_DEP_1) | instskip(SKIP_1) | instid1(SALU_CYCLE_1)
	v_cmp_ngt_f64_e32 vcc_lo, v[212:213], v[220:221]
                                        ; implicit-def: $vgpr212_vgpr213
	s_and_saveexec_b32 s3, vcc_lo
	s_xor_b32 s3, exec_lo, s3
                                        ; implicit-def: $vgpr220_vgpr221_vgpr222_vgpr223
	s_cbranch_execz .LBB109_32
; %bb.31:
	v_div_scale_f64 v[212:213], null, v[218:219], v[218:219], v[216:217]
	v_div_scale_f64 v[224:225], vcc_lo, v[216:217], v[218:219], v[216:217]
	s_delay_alu instid0(VALU_DEP_2) | instskip(SKIP_2) | instid1(VALU_DEP_1)
	v_rcp_f64_e32 v[220:221], v[212:213]
	s_waitcnt_depctr 0xfff
	v_fma_f64 v[222:223], -v[212:213], v[220:221], 1.0
	v_fma_f64 v[220:221], v[220:221], v[222:223], v[220:221]
	s_delay_alu instid0(VALU_DEP_1) | instskip(NEXT) | instid1(VALU_DEP_1)
	v_fma_f64 v[222:223], -v[212:213], v[220:221], 1.0
	v_fma_f64 v[220:221], v[220:221], v[222:223], v[220:221]
	s_delay_alu instid0(VALU_DEP_1) | instskip(NEXT) | instid1(VALU_DEP_1)
	v_mul_f64 v[222:223], v[224:225], v[220:221]
	v_fma_f64 v[212:213], -v[212:213], v[222:223], v[224:225]
	s_delay_alu instid0(VALU_DEP_1) | instskip(NEXT) | instid1(VALU_DEP_1)
	v_div_fmas_f64 v[212:213], v[212:213], v[220:221], v[222:223]
	v_div_fixup_f64 v[212:213], v[212:213], v[218:219], v[216:217]
	s_delay_alu instid0(VALU_DEP_1) | instskip(NEXT) | instid1(VALU_DEP_1)
	v_fma_f64 v[216:217], v[216:217], v[212:213], v[218:219]
	v_div_scale_f64 v[218:219], null, v[216:217], v[216:217], 1.0
	s_delay_alu instid0(VALU_DEP_1) | instskip(SKIP_2) | instid1(VALU_DEP_1)
	v_rcp_f64_e32 v[220:221], v[218:219]
	s_waitcnt_depctr 0xfff
	v_fma_f64 v[222:223], -v[218:219], v[220:221], 1.0
	v_fma_f64 v[220:221], v[220:221], v[222:223], v[220:221]
	s_delay_alu instid0(VALU_DEP_1) | instskip(NEXT) | instid1(VALU_DEP_1)
	v_fma_f64 v[222:223], -v[218:219], v[220:221], 1.0
	v_fma_f64 v[220:221], v[220:221], v[222:223], v[220:221]
	v_div_scale_f64 v[222:223], vcc_lo, 1.0, v[216:217], 1.0
	s_delay_alu instid0(VALU_DEP_1) | instskip(NEXT) | instid1(VALU_DEP_1)
	v_mul_f64 v[224:225], v[222:223], v[220:221]
	v_fma_f64 v[218:219], -v[218:219], v[224:225], v[222:223]
	s_delay_alu instid0(VALU_DEP_1) | instskip(NEXT) | instid1(VALU_DEP_1)
	v_div_fmas_f64 v[218:219], v[218:219], v[220:221], v[224:225]
	v_div_fixup_f64 v[222:223], v[218:219], v[216:217], 1.0
                                        ; implicit-def: $vgpr216_vgpr217
	s_delay_alu instid0(VALU_DEP_1)
	v_mul_f64 v[212:213], v[212:213], v[222:223]
	v_xor_b32_e32 v223, 0x80000000, v223
.LBB109_32:
	s_and_not1_saveexec_b32 s3, s3
	s_cbranch_execz .LBB109_34
; %bb.33:
	v_div_scale_f64 v[212:213], null, v[216:217], v[216:217], v[218:219]
	v_div_scale_f64 v[224:225], vcc_lo, v[218:219], v[216:217], v[218:219]
	s_delay_alu instid0(VALU_DEP_2) | instskip(SKIP_2) | instid1(VALU_DEP_1)
	v_rcp_f64_e32 v[220:221], v[212:213]
	s_waitcnt_depctr 0xfff
	v_fma_f64 v[222:223], -v[212:213], v[220:221], 1.0
	v_fma_f64 v[220:221], v[220:221], v[222:223], v[220:221]
	s_delay_alu instid0(VALU_DEP_1) | instskip(NEXT) | instid1(VALU_DEP_1)
	v_fma_f64 v[222:223], -v[212:213], v[220:221], 1.0
	v_fma_f64 v[220:221], v[220:221], v[222:223], v[220:221]
	s_delay_alu instid0(VALU_DEP_1) | instskip(NEXT) | instid1(VALU_DEP_1)
	v_mul_f64 v[222:223], v[224:225], v[220:221]
	v_fma_f64 v[212:213], -v[212:213], v[222:223], v[224:225]
	s_delay_alu instid0(VALU_DEP_1) | instskip(NEXT) | instid1(VALU_DEP_1)
	v_div_fmas_f64 v[212:213], v[212:213], v[220:221], v[222:223]
	v_div_fixup_f64 v[220:221], v[212:213], v[216:217], v[218:219]
	s_delay_alu instid0(VALU_DEP_1) | instskip(NEXT) | instid1(VALU_DEP_1)
	v_fma_f64 v[212:213], v[218:219], v[220:221], v[216:217]
	v_div_scale_f64 v[216:217], null, v[212:213], v[212:213], 1.0
	s_delay_alu instid0(VALU_DEP_1) | instskip(SKIP_2) | instid1(VALU_DEP_1)
	v_rcp_f64_e32 v[218:219], v[216:217]
	s_waitcnt_depctr 0xfff
	v_fma_f64 v[222:223], -v[216:217], v[218:219], 1.0
	v_fma_f64 v[218:219], v[218:219], v[222:223], v[218:219]
	s_delay_alu instid0(VALU_DEP_1) | instskip(NEXT) | instid1(VALU_DEP_1)
	v_fma_f64 v[222:223], -v[216:217], v[218:219], 1.0
	v_fma_f64 v[218:219], v[218:219], v[222:223], v[218:219]
	v_div_scale_f64 v[222:223], vcc_lo, 1.0, v[212:213], 1.0
	s_delay_alu instid0(VALU_DEP_1) | instskip(NEXT) | instid1(VALU_DEP_1)
	v_mul_f64 v[224:225], v[222:223], v[218:219]
	v_fma_f64 v[216:217], -v[216:217], v[224:225], v[222:223]
	s_delay_alu instid0(VALU_DEP_1) | instskip(NEXT) | instid1(VALU_DEP_1)
	v_div_fmas_f64 v[216:217], v[216:217], v[218:219], v[224:225]
	v_div_fixup_f64 v[212:213], v[216:217], v[212:213], 1.0
	s_delay_alu instid0(VALU_DEP_1)
	v_mul_f64 v[222:223], v[220:221], -v[212:213]
.LBB109_34:
	s_or_b32 exec_lo, exec_lo, s3
	ds_store_2addr_b64 v204, v[212:213], v[222:223] offset1:1
.LBB109_35:
	s_or_b32 exec_lo, exec_lo, s4
	s_waitcnt lgkmcnt(0)
	s_barrier
	buffer_gl0_inv
	ds_load_2addr_b64 v[207:210], v204 offset1:1
	s_mov_b32 s3, exec_lo
	s_waitcnt lgkmcnt(0)
	scratch_store_b128 off, v[207:210], off offset:544 ; 16-byte Folded Spill
	v_cmpx_lt_u32_e32 3, v215
	s_cbranch_execz .LBB109_37
; %bb.36:
	s_clause 0x1
	scratch_load_b128 v[220:223], off, off
	scratch_load_b128 v[224:227], off, off offset:544
	s_waitcnt vmcnt(0)
	v_mul_f64 v[206:207], v[224:225], v[222:223]
	v_mul_f64 v[212:213], v[226:227], v[222:223]
	s_delay_alu instid0(VALU_DEP_2) | instskip(NEXT) | instid1(VALU_DEP_2)
	v_fma_f64 v[222:223], v[226:227], v[220:221], v[206:207]
	v_fma_f64 v[216:217], v[224:225], v[220:221], -v[212:213]
	ds_load_2addr_b64 v[218:221], v214 offset0:8 offset1:9
	v_mov_b32_e32 v206, v204
	s_waitcnt lgkmcnt(0)
	v_mul_f64 v[204:205], v[220:221], v[222:223]
	v_mul_f64 v[212:213], v[218:219], v[222:223]
	s_delay_alu instid0(VALU_DEP_2) | instskip(NEXT) | instid1(VALU_DEP_2)
	v_fma_f64 v[204:205], v[218:219], v[216:217], -v[204:205]
	v_fma_f64 v[212:213], v[220:221], v[216:217], v[212:213]
	ds_load_2addr_b64 v[218:221], v214 offset0:10 offset1:11
	v_add_f64 v[200:201], v[200:201], -v[204:205]
	v_add_f64 v[202:203], v[202:203], -v[212:213]
	s_waitcnt lgkmcnt(0)
	v_mul_f64 v[204:205], v[220:221], v[222:223]
	v_mul_f64 v[212:213], v[218:219], v[222:223]
	s_delay_alu instid0(VALU_DEP_2) | instskip(NEXT) | instid1(VALU_DEP_2)
	v_fma_f64 v[204:205], v[218:219], v[216:217], -v[204:205]
	v_fma_f64 v[212:213], v[220:221], v[216:217], v[212:213]
	ds_load_2addr_b64 v[218:221], v214 offset0:12 offset1:13
	v_add_f64 v[196:197], v[196:197], -v[204:205]
	v_add_f64 v[198:199], v[198:199], -v[212:213]
	s_waitcnt lgkmcnt(0)
	v_mul_f64 v[204:205], v[220:221], v[222:223]
	v_mul_f64 v[212:213], v[218:219], v[222:223]
	s_delay_alu instid0(VALU_DEP_2) | instskip(NEXT) | instid1(VALU_DEP_2)
	v_fma_f64 v[204:205], v[218:219], v[216:217], -v[204:205]
	v_fma_f64 v[212:213], v[220:221], v[216:217], v[212:213]
	ds_load_2addr_b64 v[218:221], v214 offset0:14 offset1:15
	v_add_f64 v[192:193], v[192:193], -v[204:205]
	v_add_f64 v[194:195], v[194:195], -v[212:213]
	s_waitcnt lgkmcnt(0)
	v_mul_f64 v[204:205], v[220:221], v[222:223]
	v_mul_f64 v[212:213], v[218:219], v[222:223]
	s_delay_alu instid0(VALU_DEP_2) | instskip(NEXT) | instid1(VALU_DEP_2)
	v_fma_f64 v[204:205], v[218:219], v[216:217], -v[204:205]
	v_fma_f64 v[212:213], v[220:221], v[216:217], v[212:213]
	ds_load_2addr_b64 v[218:221], v214 offset0:16 offset1:17
	v_add_f64 v[188:189], v[188:189], -v[204:205]
	v_add_f64 v[190:191], v[190:191], -v[212:213]
	s_waitcnt lgkmcnt(0)
	v_mul_f64 v[204:205], v[220:221], v[222:223]
	v_mul_f64 v[212:213], v[218:219], v[222:223]
	s_delay_alu instid0(VALU_DEP_2) | instskip(NEXT) | instid1(VALU_DEP_2)
	v_fma_f64 v[204:205], v[218:219], v[216:217], -v[204:205]
	v_fma_f64 v[212:213], v[220:221], v[216:217], v[212:213]
	ds_load_2addr_b64 v[218:221], v214 offset0:18 offset1:19
	v_add_f64 v[184:185], v[184:185], -v[204:205]
	v_add_f64 v[186:187], v[186:187], -v[212:213]
	s_waitcnt lgkmcnt(0)
	v_mul_f64 v[204:205], v[220:221], v[222:223]
	v_mul_f64 v[212:213], v[218:219], v[222:223]
	s_delay_alu instid0(VALU_DEP_2) | instskip(NEXT) | instid1(VALU_DEP_2)
	v_fma_f64 v[204:205], v[218:219], v[216:217], -v[204:205]
	v_fma_f64 v[212:213], v[220:221], v[216:217], v[212:213]
	ds_load_2addr_b64 v[218:221], v214 offset0:20 offset1:21
	v_add_f64 v[180:181], v[180:181], -v[204:205]
	v_add_f64 v[182:183], v[182:183], -v[212:213]
	s_waitcnt lgkmcnt(0)
	v_mul_f64 v[204:205], v[220:221], v[222:223]
	v_mul_f64 v[212:213], v[218:219], v[222:223]
	s_delay_alu instid0(VALU_DEP_2) | instskip(NEXT) | instid1(VALU_DEP_2)
	v_fma_f64 v[204:205], v[218:219], v[216:217], -v[204:205]
	v_fma_f64 v[212:213], v[220:221], v[216:217], v[212:213]
	ds_load_2addr_b64 v[218:221], v214 offset0:22 offset1:23
	v_add_f64 v[176:177], v[176:177], -v[204:205]
	v_add_f64 v[178:179], v[178:179], -v[212:213]
	s_waitcnt lgkmcnt(0)
	v_mul_f64 v[204:205], v[220:221], v[222:223]
	v_mul_f64 v[212:213], v[218:219], v[222:223]
	s_delay_alu instid0(VALU_DEP_2) | instskip(NEXT) | instid1(VALU_DEP_2)
	v_fma_f64 v[204:205], v[218:219], v[216:217], -v[204:205]
	v_fma_f64 v[212:213], v[220:221], v[216:217], v[212:213]
	ds_load_2addr_b64 v[218:221], v214 offset0:24 offset1:25
	v_add_f64 v[172:173], v[172:173], -v[204:205]
	v_add_f64 v[174:175], v[174:175], -v[212:213]
	s_waitcnt lgkmcnt(0)
	v_mul_f64 v[204:205], v[220:221], v[222:223]
	v_mul_f64 v[212:213], v[218:219], v[222:223]
	s_delay_alu instid0(VALU_DEP_2) | instskip(NEXT) | instid1(VALU_DEP_2)
	v_fma_f64 v[204:205], v[218:219], v[216:217], -v[204:205]
	v_fma_f64 v[212:213], v[220:221], v[216:217], v[212:213]
	ds_load_2addr_b64 v[218:221], v214 offset0:26 offset1:27
	v_add_f64 v[168:169], v[168:169], -v[204:205]
	v_add_f64 v[170:171], v[170:171], -v[212:213]
	s_waitcnt lgkmcnt(0)
	v_mul_f64 v[204:205], v[220:221], v[222:223]
	v_mul_f64 v[212:213], v[218:219], v[222:223]
	s_delay_alu instid0(VALU_DEP_2) | instskip(NEXT) | instid1(VALU_DEP_2)
	v_fma_f64 v[204:205], v[218:219], v[216:217], -v[204:205]
	v_fma_f64 v[212:213], v[220:221], v[216:217], v[212:213]
	ds_load_2addr_b64 v[218:221], v214 offset0:28 offset1:29
	v_add_f64 v[164:165], v[164:165], -v[204:205]
	v_add_f64 v[166:167], v[166:167], -v[212:213]
	s_waitcnt lgkmcnt(0)
	v_mul_f64 v[204:205], v[220:221], v[222:223]
	v_mul_f64 v[212:213], v[218:219], v[222:223]
	s_delay_alu instid0(VALU_DEP_2) | instskip(NEXT) | instid1(VALU_DEP_2)
	v_fma_f64 v[204:205], v[218:219], v[216:217], -v[204:205]
	v_fma_f64 v[212:213], v[220:221], v[216:217], v[212:213]
	ds_load_2addr_b64 v[218:221], v214 offset0:30 offset1:31
	v_add_f64 v[160:161], v[160:161], -v[204:205]
	v_add_f64 v[162:163], v[162:163], -v[212:213]
	s_waitcnt lgkmcnt(0)
	v_mul_f64 v[204:205], v[220:221], v[222:223]
	v_mul_f64 v[212:213], v[218:219], v[222:223]
	s_delay_alu instid0(VALU_DEP_2) | instskip(NEXT) | instid1(VALU_DEP_2)
	v_fma_f64 v[204:205], v[218:219], v[216:217], -v[204:205]
	v_fma_f64 v[212:213], v[220:221], v[216:217], v[212:213]
	ds_load_2addr_b64 v[218:221], v214 offset0:32 offset1:33
	v_add_f64 v[156:157], v[156:157], -v[204:205]
	v_add_f64 v[158:159], v[158:159], -v[212:213]
	s_waitcnt lgkmcnt(0)
	v_mul_f64 v[204:205], v[220:221], v[222:223]
	v_mul_f64 v[212:213], v[218:219], v[222:223]
	s_delay_alu instid0(VALU_DEP_2) | instskip(NEXT) | instid1(VALU_DEP_2)
	v_fma_f64 v[204:205], v[218:219], v[216:217], -v[204:205]
	v_fma_f64 v[212:213], v[220:221], v[216:217], v[212:213]
	ds_load_2addr_b64 v[218:221], v214 offset0:34 offset1:35
	v_add_f64 v[152:153], v[152:153], -v[204:205]
	v_add_f64 v[154:155], v[154:155], -v[212:213]
	s_waitcnt lgkmcnt(0)
	v_mul_f64 v[204:205], v[220:221], v[222:223]
	v_mul_f64 v[212:213], v[218:219], v[222:223]
	s_delay_alu instid0(VALU_DEP_2) | instskip(NEXT) | instid1(VALU_DEP_2)
	v_fma_f64 v[204:205], v[218:219], v[216:217], -v[204:205]
	v_fma_f64 v[212:213], v[220:221], v[216:217], v[212:213]
	ds_load_2addr_b64 v[218:221], v214 offset0:36 offset1:37
	v_add_f64 v[148:149], v[148:149], -v[204:205]
	v_add_f64 v[150:151], v[150:151], -v[212:213]
	s_waitcnt lgkmcnt(0)
	v_mul_f64 v[204:205], v[220:221], v[222:223]
	v_mul_f64 v[212:213], v[218:219], v[222:223]
	s_delay_alu instid0(VALU_DEP_2) | instskip(NEXT) | instid1(VALU_DEP_2)
	v_fma_f64 v[204:205], v[218:219], v[216:217], -v[204:205]
	v_fma_f64 v[212:213], v[220:221], v[216:217], v[212:213]
	ds_load_2addr_b64 v[218:221], v214 offset0:38 offset1:39
	v_add_f64 v[144:145], v[144:145], -v[204:205]
	v_add_f64 v[146:147], v[146:147], -v[212:213]
	s_waitcnt lgkmcnt(0)
	v_mul_f64 v[204:205], v[220:221], v[222:223]
	v_mul_f64 v[212:213], v[218:219], v[222:223]
	s_delay_alu instid0(VALU_DEP_2) | instskip(NEXT) | instid1(VALU_DEP_2)
	v_fma_f64 v[204:205], v[218:219], v[216:217], -v[204:205]
	v_fma_f64 v[212:213], v[220:221], v[216:217], v[212:213]
	ds_load_2addr_b64 v[218:221], v214 offset0:40 offset1:41
	v_add_f64 v[140:141], v[140:141], -v[204:205]
	v_add_f64 v[142:143], v[142:143], -v[212:213]
	s_waitcnt lgkmcnt(0)
	v_mul_f64 v[204:205], v[220:221], v[222:223]
	v_mul_f64 v[212:213], v[218:219], v[222:223]
	s_delay_alu instid0(VALU_DEP_2) | instskip(NEXT) | instid1(VALU_DEP_2)
	v_fma_f64 v[204:205], v[218:219], v[216:217], -v[204:205]
	v_fma_f64 v[212:213], v[220:221], v[216:217], v[212:213]
	ds_load_2addr_b64 v[218:221], v214 offset0:42 offset1:43
	v_add_f64 v[136:137], v[136:137], -v[204:205]
	v_add_f64 v[138:139], v[138:139], -v[212:213]
	s_waitcnt lgkmcnt(0)
	v_mul_f64 v[204:205], v[220:221], v[222:223]
	v_mul_f64 v[212:213], v[218:219], v[222:223]
	s_delay_alu instid0(VALU_DEP_2) | instskip(NEXT) | instid1(VALU_DEP_2)
	v_fma_f64 v[204:205], v[218:219], v[216:217], -v[204:205]
	v_fma_f64 v[212:213], v[220:221], v[216:217], v[212:213]
	ds_load_2addr_b64 v[218:221], v214 offset0:44 offset1:45
	v_add_f64 v[132:133], v[132:133], -v[204:205]
	v_add_f64 v[134:135], v[134:135], -v[212:213]
	s_waitcnt lgkmcnt(0)
	v_mul_f64 v[204:205], v[220:221], v[222:223]
	v_mul_f64 v[212:213], v[218:219], v[222:223]
	s_delay_alu instid0(VALU_DEP_2) | instskip(NEXT) | instid1(VALU_DEP_2)
	v_fma_f64 v[204:205], v[218:219], v[216:217], -v[204:205]
	v_fma_f64 v[212:213], v[220:221], v[216:217], v[212:213]
	ds_load_2addr_b64 v[218:221], v214 offset0:46 offset1:47
	v_add_f64 v[128:129], v[128:129], -v[204:205]
	v_add_f64 v[130:131], v[130:131], -v[212:213]
	s_waitcnt lgkmcnt(0)
	v_mul_f64 v[204:205], v[220:221], v[222:223]
	v_mul_f64 v[212:213], v[218:219], v[222:223]
	s_delay_alu instid0(VALU_DEP_2) | instskip(NEXT) | instid1(VALU_DEP_2)
	v_fma_f64 v[204:205], v[218:219], v[216:217], -v[204:205]
	v_fma_f64 v[212:213], v[220:221], v[216:217], v[212:213]
	ds_load_2addr_b64 v[218:221], v214 offset0:48 offset1:49
	v_add_f64 v[124:125], v[124:125], -v[204:205]
	v_add_f64 v[126:127], v[126:127], -v[212:213]
	s_waitcnt lgkmcnt(0)
	v_mul_f64 v[204:205], v[220:221], v[222:223]
	v_mul_f64 v[212:213], v[218:219], v[222:223]
	s_delay_alu instid0(VALU_DEP_2) | instskip(NEXT) | instid1(VALU_DEP_2)
	v_fma_f64 v[204:205], v[218:219], v[216:217], -v[204:205]
	v_fma_f64 v[212:213], v[220:221], v[216:217], v[212:213]
	ds_load_2addr_b64 v[218:221], v214 offset0:50 offset1:51
	v_add_f64 v[120:121], v[120:121], -v[204:205]
	v_add_f64 v[122:123], v[122:123], -v[212:213]
	s_waitcnt lgkmcnt(0)
	v_mul_f64 v[204:205], v[220:221], v[222:223]
	v_mul_f64 v[212:213], v[218:219], v[222:223]
	s_delay_alu instid0(VALU_DEP_2) | instskip(NEXT) | instid1(VALU_DEP_2)
	v_fma_f64 v[204:205], v[218:219], v[216:217], -v[204:205]
	v_fma_f64 v[212:213], v[220:221], v[216:217], v[212:213]
	ds_load_2addr_b64 v[218:221], v214 offset0:52 offset1:53
	v_add_f64 v[116:117], v[116:117], -v[204:205]
	v_add_f64 v[118:119], v[118:119], -v[212:213]
	s_waitcnt lgkmcnt(0)
	v_mul_f64 v[204:205], v[220:221], v[222:223]
	v_mul_f64 v[212:213], v[218:219], v[222:223]
	s_delay_alu instid0(VALU_DEP_2) | instskip(NEXT) | instid1(VALU_DEP_2)
	v_fma_f64 v[204:205], v[218:219], v[216:217], -v[204:205]
	v_fma_f64 v[212:213], v[220:221], v[216:217], v[212:213]
	ds_load_2addr_b64 v[218:221], v214 offset0:54 offset1:55
	v_add_f64 v[112:113], v[112:113], -v[204:205]
	v_add_f64 v[114:115], v[114:115], -v[212:213]
	s_waitcnt lgkmcnt(0)
	v_mul_f64 v[204:205], v[220:221], v[222:223]
	v_mul_f64 v[212:213], v[218:219], v[222:223]
	s_delay_alu instid0(VALU_DEP_2) | instskip(NEXT) | instid1(VALU_DEP_2)
	v_fma_f64 v[204:205], v[218:219], v[216:217], -v[204:205]
	v_fma_f64 v[212:213], v[220:221], v[216:217], v[212:213]
	ds_load_2addr_b64 v[218:221], v214 offset0:56 offset1:57
	v_add_f64 v[108:109], v[108:109], -v[204:205]
	v_add_f64 v[110:111], v[110:111], -v[212:213]
	s_waitcnt lgkmcnt(0)
	v_mul_f64 v[204:205], v[220:221], v[222:223]
	v_mul_f64 v[212:213], v[218:219], v[222:223]
	s_delay_alu instid0(VALU_DEP_2) | instskip(NEXT) | instid1(VALU_DEP_2)
	v_fma_f64 v[204:205], v[218:219], v[216:217], -v[204:205]
	v_fma_f64 v[212:213], v[220:221], v[216:217], v[212:213]
	ds_load_2addr_b64 v[218:221], v214 offset0:58 offset1:59
	v_add_f64 v[104:105], v[104:105], -v[204:205]
	v_add_f64 v[106:107], v[106:107], -v[212:213]
	s_waitcnt lgkmcnt(0)
	v_mul_f64 v[204:205], v[220:221], v[222:223]
	v_mul_f64 v[212:213], v[218:219], v[222:223]
	s_delay_alu instid0(VALU_DEP_2) | instskip(NEXT) | instid1(VALU_DEP_2)
	v_fma_f64 v[204:205], v[218:219], v[216:217], -v[204:205]
	v_fma_f64 v[212:213], v[220:221], v[216:217], v[212:213]
	ds_load_2addr_b64 v[218:221], v214 offset0:60 offset1:61
	v_add_f64 v[100:101], v[100:101], -v[204:205]
	v_add_f64 v[102:103], v[102:103], -v[212:213]
	s_waitcnt lgkmcnt(0)
	v_mul_f64 v[204:205], v[220:221], v[222:223]
	v_mul_f64 v[212:213], v[218:219], v[222:223]
	s_delay_alu instid0(VALU_DEP_2) | instskip(NEXT) | instid1(VALU_DEP_2)
	v_fma_f64 v[204:205], v[218:219], v[216:217], -v[204:205]
	v_fma_f64 v[212:213], v[220:221], v[216:217], v[212:213]
	ds_load_2addr_b64 v[218:221], v214 offset0:62 offset1:63
	v_add_f64 v[96:97], v[96:97], -v[204:205]
	v_add_f64 v[98:99], v[98:99], -v[212:213]
	s_waitcnt lgkmcnt(0)
	v_mul_f64 v[204:205], v[220:221], v[222:223]
	v_mul_f64 v[212:213], v[218:219], v[222:223]
	s_delay_alu instid0(VALU_DEP_2) | instskip(NEXT) | instid1(VALU_DEP_2)
	v_fma_f64 v[204:205], v[218:219], v[216:217], -v[204:205]
	v_fma_f64 v[212:213], v[220:221], v[216:217], v[212:213]
	ds_load_2addr_b64 v[218:221], v214 offset0:64 offset1:65
	v_add_f64 v[92:93], v[92:93], -v[204:205]
	v_add_f64 v[94:95], v[94:95], -v[212:213]
	s_waitcnt lgkmcnt(0)
	v_mul_f64 v[204:205], v[220:221], v[222:223]
	v_mul_f64 v[212:213], v[218:219], v[222:223]
	s_delay_alu instid0(VALU_DEP_2) | instskip(NEXT) | instid1(VALU_DEP_2)
	v_fma_f64 v[204:205], v[218:219], v[216:217], -v[204:205]
	v_fma_f64 v[212:213], v[220:221], v[216:217], v[212:213]
	ds_load_2addr_b64 v[218:221], v214 offset0:66 offset1:67
	v_add_f64 v[88:89], v[88:89], -v[204:205]
	v_add_f64 v[90:91], v[90:91], -v[212:213]
	s_waitcnt lgkmcnt(0)
	v_mul_f64 v[204:205], v[220:221], v[222:223]
	v_mul_f64 v[212:213], v[218:219], v[222:223]
	s_delay_alu instid0(VALU_DEP_2) | instskip(NEXT) | instid1(VALU_DEP_2)
	v_fma_f64 v[204:205], v[218:219], v[216:217], -v[204:205]
	v_fma_f64 v[212:213], v[220:221], v[216:217], v[212:213]
	ds_load_2addr_b64 v[218:221], v214 offset0:68 offset1:69
	v_add_f64 v[84:85], v[84:85], -v[204:205]
	v_add_f64 v[86:87], v[86:87], -v[212:213]
	s_waitcnt lgkmcnt(0)
	v_mul_f64 v[204:205], v[220:221], v[222:223]
	v_mul_f64 v[212:213], v[218:219], v[222:223]
	s_delay_alu instid0(VALU_DEP_2) | instskip(NEXT) | instid1(VALU_DEP_2)
	v_fma_f64 v[204:205], v[218:219], v[216:217], -v[204:205]
	v_fma_f64 v[212:213], v[220:221], v[216:217], v[212:213]
	ds_load_2addr_b64 v[218:221], v214 offset0:70 offset1:71
	v_add_f64 v[80:81], v[80:81], -v[204:205]
	v_add_f64 v[82:83], v[82:83], -v[212:213]
	s_waitcnt lgkmcnt(0)
	v_mul_f64 v[204:205], v[220:221], v[222:223]
	v_mul_f64 v[212:213], v[218:219], v[222:223]
	s_delay_alu instid0(VALU_DEP_2) | instskip(NEXT) | instid1(VALU_DEP_2)
	v_fma_f64 v[204:205], v[218:219], v[216:217], -v[204:205]
	v_fma_f64 v[212:213], v[220:221], v[216:217], v[212:213]
	ds_load_2addr_b64 v[218:221], v214 offset0:72 offset1:73
	v_add_f64 v[76:77], v[76:77], -v[204:205]
	v_add_f64 v[78:79], v[78:79], -v[212:213]
	s_waitcnt lgkmcnt(0)
	v_mul_f64 v[204:205], v[220:221], v[222:223]
	v_mul_f64 v[212:213], v[218:219], v[222:223]
	s_delay_alu instid0(VALU_DEP_2) | instskip(NEXT) | instid1(VALU_DEP_2)
	v_fma_f64 v[204:205], v[218:219], v[216:217], -v[204:205]
	v_fma_f64 v[212:213], v[220:221], v[216:217], v[212:213]
	ds_load_2addr_b64 v[218:221], v214 offset0:74 offset1:75
	v_add_f64 v[72:73], v[72:73], -v[204:205]
	v_add_f64 v[74:75], v[74:75], -v[212:213]
	s_waitcnt lgkmcnt(0)
	v_mul_f64 v[204:205], v[220:221], v[222:223]
	v_mul_f64 v[212:213], v[218:219], v[222:223]
	s_delay_alu instid0(VALU_DEP_2) | instskip(NEXT) | instid1(VALU_DEP_2)
	v_fma_f64 v[204:205], v[218:219], v[216:217], -v[204:205]
	v_fma_f64 v[212:213], v[220:221], v[216:217], v[212:213]
	ds_load_2addr_b64 v[218:221], v214 offset0:76 offset1:77
	v_add_f64 v[68:69], v[68:69], -v[204:205]
	v_add_f64 v[70:71], v[70:71], -v[212:213]
	s_waitcnt lgkmcnt(0)
	v_mul_f64 v[204:205], v[220:221], v[222:223]
	v_mul_f64 v[212:213], v[218:219], v[222:223]
	s_delay_alu instid0(VALU_DEP_2) | instskip(NEXT) | instid1(VALU_DEP_2)
	v_fma_f64 v[204:205], v[218:219], v[216:217], -v[204:205]
	v_fma_f64 v[212:213], v[220:221], v[216:217], v[212:213]
	ds_load_2addr_b64 v[218:221], v214 offset0:78 offset1:79
	v_add_f64 v[64:65], v[64:65], -v[204:205]
	v_add_f64 v[66:67], v[66:67], -v[212:213]
	s_waitcnt lgkmcnt(0)
	v_mul_f64 v[204:205], v[220:221], v[222:223]
	v_mul_f64 v[212:213], v[218:219], v[222:223]
	s_delay_alu instid0(VALU_DEP_2) | instskip(NEXT) | instid1(VALU_DEP_2)
	v_fma_f64 v[204:205], v[218:219], v[216:217], -v[204:205]
	v_fma_f64 v[212:213], v[220:221], v[216:217], v[212:213]
	ds_load_2addr_b64 v[218:221], v214 offset0:80 offset1:81
	v_add_f64 v[60:61], v[60:61], -v[204:205]
	v_add_f64 v[62:63], v[62:63], -v[212:213]
	s_waitcnt lgkmcnt(0)
	v_mul_f64 v[204:205], v[220:221], v[222:223]
	v_mul_f64 v[212:213], v[218:219], v[222:223]
	s_delay_alu instid0(VALU_DEP_2) | instskip(NEXT) | instid1(VALU_DEP_2)
	v_fma_f64 v[204:205], v[218:219], v[216:217], -v[204:205]
	v_fma_f64 v[212:213], v[220:221], v[216:217], v[212:213]
	ds_load_2addr_b64 v[218:221], v214 offset0:82 offset1:83
	v_add_f64 v[56:57], v[56:57], -v[204:205]
	v_add_f64 v[58:59], v[58:59], -v[212:213]
	s_waitcnt lgkmcnt(0)
	v_mul_f64 v[204:205], v[220:221], v[222:223]
	v_mul_f64 v[212:213], v[218:219], v[222:223]
	s_delay_alu instid0(VALU_DEP_2) | instskip(NEXT) | instid1(VALU_DEP_2)
	v_fma_f64 v[204:205], v[218:219], v[216:217], -v[204:205]
	v_fma_f64 v[212:213], v[220:221], v[216:217], v[212:213]
	ds_load_2addr_b64 v[218:221], v214 offset0:84 offset1:85
	v_add_f64 v[52:53], v[52:53], -v[204:205]
	v_add_f64 v[54:55], v[54:55], -v[212:213]
	s_waitcnt lgkmcnt(0)
	v_mul_f64 v[204:205], v[220:221], v[222:223]
	v_mul_f64 v[212:213], v[218:219], v[222:223]
	s_delay_alu instid0(VALU_DEP_2) | instskip(NEXT) | instid1(VALU_DEP_2)
	v_fma_f64 v[204:205], v[218:219], v[216:217], -v[204:205]
	v_fma_f64 v[212:213], v[220:221], v[216:217], v[212:213]
	ds_load_2addr_b64 v[218:221], v214 offset0:86 offset1:87
	v_add_f64 v[48:49], v[48:49], -v[204:205]
	v_add_f64 v[50:51], v[50:51], -v[212:213]
	s_waitcnt lgkmcnt(0)
	v_mul_f64 v[204:205], v[220:221], v[222:223]
	v_mul_f64 v[212:213], v[218:219], v[222:223]
	s_delay_alu instid0(VALU_DEP_2) | instskip(NEXT) | instid1(VALU_DEP_2)
	v_fma_f64 v[204:205], v[218:219], v[216:217], -v[204:205]
	v_fma_f64 v[212:213], v[220:221], v[216:217], v[212:213]
	ds_load_2addr_b64 v[218:221], v214 offset0:88 offset1:89
	v_add_f64 v[44:45], v[44:45], -v[204:205]
	v_add_f64 v[46:47], v[46:47], -v[212:213]
	s_waitcnt lgkmcnt(0)
	v_mul_f64 v[204:205], v[220:221], v[222:223]
	v_mul_f64 v[212:213], v[218:219], v[222:223]
	s_delay_alu instid0(VALU_DEP_2) | instskip(NEXT) | instid1(VALU_DEP_2)
	v_fma_f64 v[204:205], v[218:219], v[216:217], -v[204:205]
	v_fma_f64 v[212:213], v[220:221], v[216:217], v[212:213]
	ds_load_2addr_b64 v[218:221], v214 offset0:90 offset1:91
	v_add_f64 v[40:41], v[40:41], -v[204:205]
	v_add_f64 v[42:43], v[42:43], -v[212:213]
	s_waitcnt lgkmcnt(0)
	v_mul_f64 v[204:205], v[220:221], v[222:223]
	v_mul_f64 v[212:213], v[218:219], v[222:223]
	s_delay_alu instid0(VALU_DEP_2) | instskip(NEXT) | instid1(VALU_DEP_2)
	v_fma_f64 v[204:205], v[218:219], v[216:217], -v[204:205]
	v_fma_f64 v[212:213], v[220:221], v[216:217], v[212:213]
	ds_load_2addr_b64 v[218:221], v214 offset0:92 offset1:93
	v_add_f64 v[36:37], v[36:37], -v[204:205]
	v_add_f64 v[38:39], v[38:39], -v[212:213]
	s_waitcnt lgkmcnt(0)
	v_mul_f64 v[204:205], v[220:221], v[222:223]
	v_mul_f64 v[212:213], v[218:219], v[222:223]
	s_delay_alu instid0(VALU_DEP_2) | instskip(NEXT) | instid1(VALU_DEP_2)
	v_fma_f64 v[204:205], v[218:219], v[216:217], -v[204:205]
	v_fma_f64 v[212:213], v[220:221], v[216:217], v[212:213]
	ds_load_2addr_b64 v[218:221], v214 offset0:94 offset1:95
	v_add_f64 v[32:33], v[32:33], -v[204:205]
	v_add_f64 v[34:35], v[34:35], -v[212:213]
	s_waitcnt lgkmcnt(0)
	v_mul_f64 v[204:205], v[220:221], v[222:223]
	v_mul_f64 v[212:213], v[218:219], v[222:223]
	s_delay_alu instid0(VALU_DEP_2) | instskip(NEXT) | instid1(VALU_DEP_2)
	v_fma_f64 v[204:205], v[218:219], v[216:217], -v[204:205]
	v_fma_f64 v[212:213], v[220:221], v[216:217], v[212:213]
	ds_load_2addr_b64 v[218:221], v214 offset0:96 offset1:97
	v_add_f64 v[28:29], v[28:29], -v[204:205]
	v_add_f64 v[30:31], v[30:31], -v[212:213]
	s_waitcnt lgkmcnt(0)
	v_mul_f64 v[204:205], v[220:221], v[222:223]
	v_mul_f64 v[212:213], v[218:219], v[222:223]
	s_delay_alu instid0(VALU_DEP_2) | instskip(NEXT) | instid1(VALU_DEP_2)
	v_fma_f64 v[204:205], v[218:219], v[216:217], -v[204:205]
	v_fma_f64 v[212:213], v[220:221], v[216:217], v[212:213]
	ds_load_2addr_b64 v[218:221], v214 offset0:98 offset1:99
	v_add_f64 v[24:25], v[24:25], -v[204:205]
	v_add_f64 v[26:27], v[26:27], -v[212:213]
	s_waitcnt lgkmcnt(0)
	v_mul_f64 v[204:205], v[220:221], v[222:223]
	v_mul_f64 v[212:213], v[218:219], v[222:223]
	s_delay_alu instid0(VALU_DEP_2) | instskip(NEXT) | instid1(VALU_DEP_2)
	v_fma_f64 v[204:205], v[218:219], v[216:217], -v[204:205]
	v_fma_f64 v[212:213], v[220:221], v[216:217], v[212:213]
	ds_load_2addr_b64 v[218:221], v214 offset0:100 offset1:101
	v_add_f64 v[20:21], v[20:21], -v[204:205]
	v_add_f64 v[22:23], v[22:23], -v[212:213]
	s_waitcnt lgkmcnt(0)
	v_mul_f64 v[204:205], v[220:221], v[222:223]
	v_mul_f64 v[212:213], v[218:219], v[222:223]
	s_delay_alu instid0(VALU_DEP_2) | instskip(NEXT) | instid1(VALU_DEP_2)
	v_fma_f64 v[204:205], v[218:219], v[216:217], -v[204:205]
	v_fma_f64 v[212:213], v[220:221], v[216:217], v[212:213]
	ds_load_2addr_b64 v[218:221], v214 offset0:102 offset1:103
	v_add_f64 v[16:17], v[16:17], -v[204:205]
	v_add_f64 v[18:19], v[18:19], -v[212:213]
	s_waitcnt lgkmcnt(0)
	v_mul_f64 v[204:205], v[220:221], v[222:223]
	v_mul_f64 v[212:213], v[218:219], v[222:223]
	s_delay_alu instid0(VALU_DEP_2) | instskip(NEXT) | instid1(VALU_DEP_2)
	v_fma_f64 v[204:205], v[218:219], v[216:217], -v[204:205]
	v_fma_f64 v[212:213], v[220:221], v[216:217], v[212:213]
	ds_load_2addr_b64 v[218:221], v214 offset0:104 offset1:105
	v_add_f64 v[12:13], v[12:13], -v[204:205]
	v_add_f64 v[14:15], v[14:15], -v[212:213]
	s_waitcnt lgkmcnt(0)
	v_mul_f64 v[204:205], v[220:221], v[222:223]
	v_mul_f64 v[212:213], v[218:219], v[222:223]
	s_delay_alu instid0(VALU_DEP_2) | instskip(NEXT) | instid1(VALU_DEP_2)
	v_fma_f64 v[204:205], v[218:219], v[216:217], -v[204:205]
	v_fma_f64 v[212:213], v[220:221], v[216:217], v[212:213]
	ds_load_2addr_b64 v[218:221], v214 offset0:106 offset1:107
	v_add_f64 v[8:9], v[8:9], -v[204:205]
	v_add_f64 v[10:11], v[10:11], -v[212:213]
	s_waitcnt lgkmcnt(0)
	v_mul_f64 v[204:205], v[220:221], v[222:223]
	v_mul_f64 v[212:213], v[218:219], v[222:223]
	s_delay_alu instid0(VALU_DEP_2) | instskip(NEXT) | instid1(VALU_DEP_2)
	v_fma_f64 v[204:205], v[218:219], v[216:217], -v[204:205]
	v_fma_f64 v[212:213], v[220:221], v[216:217], v[212:213]
	ds_load_2addr_b64 v[218:221], v214 offset0:108 offset1:109
	v_add_f64 v[4:5], v[4:5], -v[204:205]
	v_add_f64 v[6:7], v[6:7], -v[212:213]
	s_waitcnt lgkmcnt(0)
	v_mul_f64 v[204:205], v[220:221], v[222:223]
	v_mul_f64 v[212:213], v[218:219], v[222:223]
	s_delay_alu instid0(VALU_DEP_2) | instskip(NEXT) | instid1(VALU_DEP_2)
	v_fma_f64 v[204:205], v[218:219], v[216:217], -v[204:205]
	v_fma_f64 v[212:213], v[220:221], v[216:217], v[212:213]
	v_dual_mov_b32 v221, v217 :: v_dual_mov_b32 v220, v216
	scratch_store_b128 off, v[220:223], off ; 16-byte Folded Spill
	v_add_f64 v[0:1], v[0:1], -v[204:205]
	v_add_f64 v[2:3], v[2:3], -v[212:213]
	v_mov_b32_e32 v204, v206
.LBB109_37:
	s_or_b32 exec_lo, exec_lo, s3
	s_delay_alu instid0(SALU_CYCLE_1)
	s_mov_b32 s4, exec_lo
	s_waitcnt_vscnt null, 0x0
	s_barrier
	buffer_gl0_inv
	v_cmpx_eq_u32_e32 4, v215
	s_cbranch_execz .LBB109_44
; %bb.38:
	ds_store_2addr_b64 v204, v[200:201], v[202:203] offset1:1
	ds_store_2addr_b64 v214, v[196:197], v[198:199] offset0:10 offset1:11
	ds_store_2addr_b64 v214, v[192:193], v[194:195] offset0:12 offset1:13
	;; [unrolled: 1-line block ×50, first 2 shown]
	ds_load_2addr_b64 v[216:219], v204 offset1:1
	s_waitcnt lgkmcnt(0)
	v_cmp_neq_f64_e32 vcc_lo, 0, v[216:217]
	v_cmp_neq_f64_e64 s3, 0, v[218:219]
	s_delay_alu instid0(VALU_DEP_1) | instskip(NEXT) | instid1(SALU_CYCLE_1)
	s_or_b32 s3, vcc_lo, s3
	s_and_b32 exec_lo, exec_lo, s3
	s_cbranch_execz .LBB109_44
; %bb.39:
	v_cmp_gt_f64_e32 vcc_lo, 0, v[216:217]
	v_xor_b32_e32 v208, 0x80000000, v217
	s_delay_alu instid0(VALU_DEP_1) | instskip(SKIP_3) | instid1(VALU_DEP_1)
	v_cndmask_b32_e32 v213, v217, v208, vcc_lo
	v_cndmask_b32_e32 v212, v216, v216, vcc_lo
	v_cmp_gt_f64_e32 vcc_lo, 0, v[218:219]
	v_xor_b32_e32 v208, 0x80000000, v219
	v_dual_cndmask_b32 v220, v218, v218 :: v_dual_cndmask_b32 v221, v219, v208
	s_delay_alu instid0(VALU_DEP_1) | instskip(SKIP_1) | instid1(SALU_CYCLE_1)
	v_cmp_ngt_f64_e32 vcc_lo, v[212:213], v[220:221]
                                        ; implicit-def: $vgpr212_vgpr213
	s_and_saveexec_b32 s3, vcc_lo
	s_xor_b32 s3, exec_lo, s3
                                        ; implicit-def: $vgpr220_vgpr221_vgpr222_vgpr223
	s_cbranch_execz .LBB109_41
; %bb.40:
	v_div_scale_f64 v[212:213], null, v[218:219], v[218:219], v[216:217]
	v_div_scale_f64 v[224:225], vcc_lo, v[216:217], v[218:219], v[216:217]
	s_delay_alu instid0(VALU_DEP_2) | instskip(SKIP_2) | instid1(VALU_DEP_1)
	v_rcp_f64_e32 v[220:221], v[212:213]
	s_waitcnt_depctr 0xfff
	v_fma_f64 v[222:223], -v[212:213], v[220:221], 1.0
	v_fma_f64 v[220:221], v[220:221], v[222:223], v[220:221]
	s_delay_alu instid0(VALU_DEP_1) | instskip(NEXT) | instid1(VALU_DEP_1)
	v_fma_f64 v[222:223], -v[212:213], v[220:221], 1.0
	v_fma_f64 v[220:221], v[220:221], v[222:223], v[220:221]
	s_delay_alu instid0(VALU_DEP_1) | instskip(NEXT) | instid1(VALU_DEP_1)
	v_mul_f64 v[222:223], v[224:225], v[220:221]
	v_fma_f64 v[212:213], -v[212:213], v[222:223], v[224:225]
	s_delay_alu instid0(VALU_DEP_1) | instskip(NEXT) | instid1(VALU_DEP_1)
	v_div_fmas_f64 v[212:213], v[212:213], v[220:221], v[222:223]
	v_div_fixup_f64 v[212:213], v[212:213], v[218:219], v[216:217]
	s_delay_alu instid0(VALU_DEP_1) | instskip(NEXT) | instid1(VALU_DEP_1)
	v_fma_f64 v[216:217], v[216:217], v[212:213], v[218:219]
	v_div_scale_f64 v[218:219], null, v[216:217], v[216:217], 1.0
	s_delay_alu instid0(VALU_DEP_1) | instskip(SKIP_2) | instid1(VALU_DEP_1)
	v_rcp_f64_e32 v[220:221], v[218:219]
	s_waitcnt_depctr 0xfff
	v_fma_f64 v[222:223], -v[218:219], v[220:221], 1.0
	v_fma_f64 v[220:221], v[220:221], v[222:223], v[220:221]
	s_delay_alu instid0(VALU_DEP_1) | instskip(NEXT) | instid1(VALU_DEP_1)
	v_fma_f64 v[222:223], -v[218:219], v[220:221], 1.0
	v_fma_f64 v[220:221], v[220:221], v[222:223], v[220:221]
	v_div_scale_f64 v[222:223], vcc_lo, 1.0, v[216:217], 1.0
	s_delay_alu instid0(VALU_DEP_1) | instskip(NEXT) | instid1(VALU_DEP_1)
	v_mul_f64 v[224:225], v[222:223], v[220:221]
	v_fma_f64 v[218:219], -v[218:219], v[224:225], v[222:223]
	s_delay_alu instid0(VALU_DEP_1) | instskip(NEXT) | instid1(VALU_DEP_1)
	v_div_fmas_f64 v[218:219], v[218:219], v[220:221], v[224:225]
	v_div_fixup_f64 v[222:223], v[218:219], v[216:217], 1.0
                                        ; implicit-def: $vgpr216_vgpr217
	s_delay_alu instid0(VALU_DEP_1)
	v_mul_f64 v[212:213], v[212:213], v[222:223]
	v_xor_b32_e32 v223, 0x80000000, v223
.LBB109_41:
	s_and_not1_saveexec_b32 s3, s3
	s_cbranch_execz .LBB109_43
; %bb.42:
	v_div_scale_f64 v[212:213], null, v[216:217], v[216:217], v[218:219]
	v_div_scale_f64 v[224:225], vcc_lo, v[218:219], v[216:217], v[218:219]
	s_delay_alu instid0(VALU_DEP_2) | instskip(SKIP_2) | instid1(VALU_DEP_1)
	v_rcp_f64_e32 v[220:221], v[212:213]
	s_waitcnt_depctr 0xfff
	v_fma_f64 v[222:223], -v[212:213], v[220:221], 1.0
	v_fma_f64 v[220:221], v[220:221], v[222:223], v[220:221]
	s_delay_alu instid0(VALU_DEP_1) | instskip(NEXT) | instid1(VALU_DEP_1)
	v_fma_f64 v[222:223], -v[212:213], v[220:221], 1.0
	v_fma_f64 v[220:221], v[220:221], v[222:223], v[220:221]
	s_delay_alu instid0(VALU_DEP_1) | instskip(NEXT) | instid1(VALU_DEP_1)
	v_mul_f64 v[222:223], v[224:225], v[220:221]
	v_fma_f64 v[212:213], -v[212:213], v[222:223], v[224:225]
	s_delay_alu instid0(VALU_DEP_1) | instskip(NEXT) | instid1(VALU_DEP_1)
	v_div_fmas_f64 v[212:213], v[212:213], v[220:221], v[222:223]
	v_div_fixup_f64 v[220:221], v[212:213], v[216:217], v[218:219]
	s_delay_alu instid0(VALU_DEP_1) | instskip(NEXT) | instid1(VALU_DEP_1)
	v_fma_f64 v[212:213], v[218:219], v[220:221], v[216:217]
	v_div_scale_f64 v[216:217], null, v[212:213], v[212:213], 1.0
	s_delay_alu instid0(VALU_DEP_1) | instskip(SKIP_2) | instid1(VALU_DEP_1)
	v_rcp_f64_e32 v[218:219], v[216:217]
	s_waitcnt_depctr 0xfff
	v_fma_f64 v[222:223], -v[216:217], v[218:219], 1.0
	v_fma_f64 v[218:219], v[218:219], v[222:223], v[218:219]
	s_delay_alu instid0(VALU_DEP_1) | instskip(NEXT) | instid1(VALU_DEP_1)
	v_fma_f64 v[222:223], -v[216:217], v[218:219], 1.0
	v_fma_f64 v[218:219], v[218:219], v[222:223], v[218:219]
	v_div_scale_f64 v[222:223], vcc_lo, 1.0, v[212:213], 1.0
	s_delay_alu instid0(VALU_DEP_1) | instskip(NEXT) | instid1(VALU_DEP_1)
	v_mul_f64 v[224:225], v[222:223], v[218:219]
	v_fma_f64 v[216:217], -v[216:217], v[224:225], v[222:223]
	s_delay_alu instid0(VALU_DEP_1) | instskip(NEXT) | instid1(VALU_DEP_1)
	v_div_fmas_f64 v[216:217], v[216:217], v[218:219], v[224:225]
	v_div_fixup_f64 v[212:213], v[216:217], v[212:213], 1.0
	s_delay_alu instid0(VALU_DEP_1)
	v_mul_f64 v[222:223], v[220:221], -v[212:213]
.LBB109_43:
	s_or_b32 exec_lo, exec_lo, s3
	ds_store_2addr_b64 v204, v[212:213], v[222:223] offset1:1
.LBB109_44:
	s_or_b32 exec_lo, exec_lo, s4
	s_waitcnt lgkmcnt(0)
	s_barrier
	buffer_gl0_inv
	ds_load_2addr_b64 v[207:210], v204 offset1:1
	s_mov_b32 s3, exec_lo
	s_waitcnt lgkmcnt(0)
	scratch_store_b128 off, v[207:210], off offset:560 ; 16-byte Folded Spill
	v_cmpx_lt_u32_e32 4, v215
	s_cbranch_execz .LBB109_46
; %bb.45:
	scratch_load_b128 v[207:210], off, off offset:560 ; 16-byte Folded Reload
	ds_load_2addr_b64 v[218:221], v214 offset0:10 offset1:11
	s_waitcnt vmcnt(0)
	v_mul_f64 v[212:213], v[209:210], v[202:203]
	v_mul_f64 v[202:203], v[207:208], v[202:203]
	s_delay_alu instid0(VALU_DEP_2) | instskip(NEXT) | instid1(VALU_DEP_2)
	v_fma_f64 v[216:217], v[207:208], v[200:201], -v[212:213]
	v_fma_f64 v[202:203], v[209:210], v[200:201], v[202:203]
	s_waitcnt lgkmcnt(0)
	s_delay_alu instid0(VALU_DEP_1) | instskip(SKIP_1) | instid1(VALU_DEP_2)
	v_mul_f64 v[200:201], v[220:221], v[202:203]
	v_mul_f64 v[212:213], v[218:219], v[202:203]
	v_fma_f64 v[200:201], v[218:219], v[216:217], -v[200:201]
	s_delay_alu instid0(VALU_DEP_2)
	v_fma_f64 v[212:213], v[220:221], v[216:217], v[212:213]
	ds_load_2addr_b64 v[218:221], v214 offset0:12 offset1:13
	v_add_f64 v[196:197], v[196:197], -v[200:201]
	v_add_f64 v[198:199], v[198:199], -v[212:213]
	s_waitcnt lgkmcnt(0)
	v_mul_f64 v[200:201], v[220:221], v[202:203]
	v_mul_f64 v[212:213], v[218:219], v[202:203]
	s_delay_alu instid0(VALU_DEP_2) | instskip(NEXT) | instid1(VALU_DEP_2)
	v_fma_f64 v[200:201], v[218:219], v[216:217], -v[200:201]
	v_fma_f64 v[212:213], v[220:221], v[216:217], v[212:213]
	ds_load_2addr_b64 v[218:221], v214 offset0:14 offset1:15
	v_add_f64 v[192:193], v[192:193], -v[200:201]
	v_add_f64 v[194:195], v[194:195], -v[212:213]
	s_waitcnt lgkmcnt(0)
	v_mul_f64 v[200:201], v[220:221], v[202:203]
	v_mul_f64 v[212:213], v[218:219], v[202:203]
	s_delay_alu instid0(VALU_DEP_2) | instskip(NEXT) | instid1(VALU_DEP_2)
	v_fma_f64 v[200:201], v[218:219], v[216:217], -v[200:201]
	;; [unrolled: 9-line block ×49, first 2 shown]
	v_fma_f64 v[212:213], v[220:221], v[216:217], v[212:213]
	s_delay_alu instid0(VALU_DEP_2) | instskip(NEXT) | instid1(VALU_DEP_2)
	v_add_f64 v[0:1], v[0:1], -v[200:201]
	v_add_f64 v[2:3], v[2:3], -v[212:213]
	v_dual_mov_b32 v200, v216 :: v_dual_mov_b32 v201, v217
.LBB109_46:
	s_or_b32 exec_lo, exec_lo, s3
	s_delay_alu instid0(SALU_CYCLE_1)
	s_mov_b32 s4, exec_lo
	s_waitcnt_vscnt null, 0x0
	s_barrier
	buffer_gl0_inv
	v_cmpx_eq_u32_e32 5, v215
	s_cbranch_execz .LBB109_53
; %bb.47:
	ds_store_2addr_b64 v204, v[196:197], v[198:199] offset1:1
	ds_store_2addr_b64 v214, v[192:193], v[194:195] offset0:12 offset1:13
	ds_store_2addr_b64 v214, v[188:189], v[190:191] offset0:14 offset1:15
	;; [unrolled: 1-line block ×49, first 2 shown]
	ds_load_2addr_b64 v[216:219], v204 offset1:1
	s_waitcnt lgkmcnt(0)
	v_cmp_neq_f64_e32 vcc_lo, 0, v[216:217]
	v_cmp_neq_f64_e64 s3, 0, v[218:219]
	s_delay_alu instid0(VALU_DEP_1) | instskip(NEXT) | instid1(SALU_CYCLE_1)
	s_or_b32 s3, vcc_lo, s3
	s_and_b32 exec_lo, exec_lo, s3
	s_cbranch_execz .LBB109_53
; %bb.48:
	v_cmp_gt_f64_e32 vcc_lo, 0, v[216:217]
	v_xor_b32_e32 v208, 0x80000000, v217
	s_delay_alu instid0(VALU_DEP_1) | instskip(SKIP_3) | instid1(VALU_DEP_1)
	v_cndmask_b32_e32 v213, v217, v208, vcc_lo
	v_cndmask_b32_e32 v212, v216, v216, vcc_lo
	v_cmp_gt_f64_e32 vcc_lo, 0, v[218:219]
	v_xor_b32_e32 v208, 0x80000000, v219
	v_dual_cndmask_b32 v220, v218, v218 :: v_dual_cndmask_b32 v221, v219, v208
	s_delay_alu instid0(VALU_DEP_1) | instskip(SKIP_1) | instid1(SALU_CYCLE_1)
	v_cmp_ngt_f64_e32 vcc_lo, v[212:213], v[220:221]
                                        ; implicit-def: $vgpr212_vgpr213
	s_and_saveexec_b32 s3, vcc_lo
	s_xor_b32 s3, exec_lo, s3
                                        ; implicit-def: $vgpr220_vgpr221_vgpr222_vgpr223
	s_cbranch_execz .LBB109_50
; %bb.49:
	v_div_scale_f64 v[212:213], null, v[218:219], v[218:219], v[216:217]
	v_div_scale_f64 v[224:225], vcc_lo, v[216:217], v[218:219], v[216:217]
	s_delay_alu instid0(VALU_DEP_2) | instskip(SKIP_2) | instid1(VALU_DEP_1)
	v_rcp_f64_e32 v[220:221], v[212:213]
	s_waitcnt_depctr 0xfff
	v_fma_f64 v[222:223], -v[212:213], v[220:221], 1.0
	v_fma_f64 v[220:221], v[220:221], v[222:223], v[220:221]
	s_delay_alu instid0(VALU_DEP_1) | instskip(NEXT) | instid1(VALU_DEP_1)
	v_fma_f64 v[222:223], -v[212:213], v[220:221], 1.0
	v_fma_f64 v[220:221], v[220:221], v[222:223], v[220:221]
	s_delay_alu instid0(VALU_DEP_1) | instskip(NEXT) | instid1(VALU_DEP_1)
	v_mul_f64 v[222:223], v[224:225], v[220:221]
	v_fma_f64 v[212:213], -v[212:213], v[222:223], v[224:225]
	s_delay_alu instid0(VALU_DEP_1) | instskip(NEXT) | instid1(VALU_DEP_1)
	v_div_fmas_f64 v[212:213], v[212:213], v[220:221], v[222:223]
	v_div_fixup_f64 v[212:213], v[212:213], v[218:219], v[216:217]
	s_delay_alu instid0(VALU_DEP_1) | instskip(NEXT) | instid1(VALU_DEP_1)
	v_fma_f64 v[216:217], v[216:217], v[212:213], v[218:219]
	v_div_scale_f64 v[218:219], null, v[216:217], v[216:217], 1.0
	s_delay_alu instid0(VALU_DEP_1) | instskip(SKIP_2) | instid1(VALU_DEP_1)
	v_rcp_f64_e32 v[220:221], v[218:219]
	s_waitcnt_depctr 0xfff
	v_fma_f64 v[222:223], -v[218:219], v[220:221], 1.0
	v_fma_f64 v[220:221], v[220:221], v[222:223], v[220:221]
	s_delay_alu instid0(VALU_DEP_1) | instskip(NEXT) | instid1(VALU_DEP_1)
	v_fma_f64 v[222:223], -v[218:219], v[220:221], 1.0
	v_fma_f64 v[220:221], v[220:221], v[222:223], v[220:221]
	v_div_scale_f64 v[222:223], vcc_lo, 1.0, v[216:217], 1.0
	s_delay_alu instid0(VALU_DEP_1) | instskip(NEXT) | instid1(VALU_DEP_1)
	v_mul_f64 v[224:225], v[222:223], v[220:221]
	v_fma_f64 v[218:219], -v[218:219], v[224:225], v[222:223]
	s_delay_alu instid0(VALU_DEP_1) | instskip(NEXT) | instid1(VALU_DEP_1)
	v_div_fmas_f64 v[218:219], v[218:219], v[220:221], v[224:225]
	v_div_fixup_f64 v[222:223], v[218:219], v[216:217], 1.0
                                        ; implicit-def: $vgpr216_vgpr217
	s_delay_alu instid0(VALU_DEP_1)
	v_mul_f64 v[212:213], v[212:213], v[222:223]
	v_xor_b32_e32 v223, 0x80000000, v223
.LBB109_50:
	s_and_not1_saveexec_b32 s3, s3
	s_cbranch_execz .LBB109_52
; %bb.51:
	v_div_scale_f64 v[212:213], null, v[216:217], v[216:217], v[218:219]
	v_div_scale_f64 v[224:225], vcc_lo, v[218:219], v[216:217], v[218:219]
	s_delay_alu instid0(VALU_DEP_2) | instskip(SKIP_2) | instid1(VALU_DEP_1)
	v_rcp_f64_e32 v[220:221], v[212:213]
	s_waitcnt_depctr 0xfff
	v_fma_f64 v[222:223], -v[212:213], v[220:221], 1.0
	v_fma_f64 v[220:221], v[220:221], v[222:223], v[220:221]
	s_delay_alu instid0(VALU_DEP_1) | instskip(NEXT) | instid1(VALU_DEP_1)
	v_fma_f64 v[222:223], -v[212:213], v[220:221], 1.0
	v_fma_f64 v[220:221], v[220:221], v[222:223], v[220:221]
	s_delay_alu instid0(VALU_DEP_1) | instskip(NEXT) | instid1(VALU_DEP_1)
	v_mul_f64 v[222:223], v[224:225], v[220:221]
	v_fma_f64 v[212:213], -v[212:213], v[222:223], v[224:225]
	s_delay_alu instid0(VALU_DEP_1) | instskip(NEXT) | instid1(VALU_DEP_1)
	v_div_fmas_f64 v[212:213], v[212:213], v[220:221], v[222:223]
	v_div_fixup_f64 v[220:221], v[212:213], v[216:217], v[218:219]
	s_delay_alu instid0(VALU_DEP_1) | instskip(NEXT) | instid1(VALU_DEP_1)
	v_fma_f64 v[212:213], v[218:219], v[220:221], v[216:217]
	v_div_scale_f64 v[216:217], null, v[212:213], v[212:213], 1.0
	s_delay_alu instid0(VALU_DEP_1) | instskip(SKIP_2) | instid1(VALU_DEP_1)
	v_rcp_f64_e32 v[218:219], v[216:217]
	s_waitcnt_depctr 0xfff
	v_fma_f64 v[222:223], -v[216:217], v[218:219], 1.0
	v_fma_f64 v[218:219], v[218:219], v[222:223], v[218:219]
	s_delay_alu instid0(VALU_DEP_1) | instskip(NEXT) | instid1(VALU_DEP_1)
	v_fma_f64 v[222:223], -v[216:217], v[218:219], 1.0
	v_fma_f64 v[218:219], v[218:219], v[222:223], v[218:219]
	v_div_scale_f64 v[222:223], vcc_lo, 1.0, v[212:213], 1.0
	s_delay_alu instid0(VALU_DEP_1) | instskip(NEXT) | instid1(VALU_DEP_1)
	v_mul_f64 v[224:225], v[222:223], v[218:219]
	v_fma_f64 v[216:217], -v[216:217], v[224:225], v[222:223]
	s_delay_alu instid0(VALU_DEP_1) | instskip(NEXT) | instid1(VALU_DEP_1)
	v_div_fmas_f64 v[216:217], v[216:217], v[218:219], v[224:225]
	v_div_fixup_f64 v[212:213], v[216:217], v[212:213], 1.0
	s_delay_alu instid0(VALU_DEP_1)
	v_mul_f64 v[222:223], v[220:221], -v[212:213]
.LBB109_52:
	s_or_b32 exec_lo, exec_lo, s3
	ds_store_2addr_b64 v204, v[212:213], v[222:223] offset1:1
.LBB109_53:
	s_or_b32 exec_lo, exec_lo, s4
	s_waitcnt lgkmcnt(0)
	s_barrier
	buffer_gl0_inv
	ds_load_2addr_b64 v[207:210], v204 offset1:1
	s_mov_b32 s3, exec_lo
	s_waitcnt lgkmcnt(0)
	scratch_store_b128 off, v[207:210], off offset:576 ; 16-byte Folded Spill
	v_cmpx_lt_u32_e32 5, v215
	s_cbranch_execz .LBB109_55
; %bb.54:
	scratch_load_b128 v[207:210], off, off offset:576 ; 16-byte Folded Reload
	ds_load_2addr_b64 v[218:221], v214 offset0:12 offset1:13
	s_waitcnt vmcnt(0)
	v_mul_f64 v[212:213], v[209:210], v[198:199]
	v_mul_f64 v[198:199], v[207:208], v[198:199]
	s_delay_alu instid0(VALU_DEP_2) | instskip(NEXT) | instid1(VALU_DEP_2)
	v_fma_f64 v[216:217], v[207:208], v[196:197], -v[212:213]
	v_fma_f64 v[198:199], v[209:210], v[196:197], v[198:199]
	s_waitcnt lgkmcnt(0)
	s_delay_alu instid0(VALU_DEP_1) | instskip(SKIP_1) | instid1(VALU_DEP_2)
	v_mul_f64 v[196:197], v[220:221], v[198:199]
	v_mul_f64 v[212:213], v[218:219], v[198:199]
	v_fma_f64 v[196:197], v[218:219], v[216:217], -v[196:197]
	s_delay_alu instid0(VALU_DEP_2)
	v_fma_f64 v[212:213], v[220:221], v[216:217], v[212:213]
	ds_load_2addr_b64 v[218:221], v214 offset0:14 offset1:15
	v_add_f64 v[192:193], v[192:193], -v[196:197]
	v_add_f64 v[194:195], v[194:195], -v[212:213]
	s_waitcnt lgkmcnt(0)
	v_mul_f64 v[196:197], v[220:221], v[198:199]
	v_mul_f64 v[212:213], v[218:219], v[198:199]
	s_delay_alu instid0(VALU_DEP_2) | instskip(NEXT) | instid1(VALU_DEP_2)
	v_fma_f64 v[196:197], v[218:219], v[216:217], -v[196:197]
	v_fma_f64 v[212:213], v[220:221], v[216:217], v[212:213]
	ds_load_2addr_b64 v[218:221], v214 offset0:16 offset1:17
	v_add_f64 v[188:189], v[188:189], -v[196:197]
	v_add_f64 v[190:191], v[190:191], -v[212:213]
	s_waitcnt lgkmcnt(0)
	v_mul_f64 v[196:197], v[220:221], v[198:199]
	v_mul_f64 v[212:213], v[218:219], v[198:199]
	s_delay_alu instid0(VALU_DEP_2) | instskip(NEXT) | instid1(VALU_DEP_2)
	v_fma_f64 v[196:197], v[218:219], v[216:217], -v[196:197]
	v_fma_f64 v[212:213], v[220:221], v[216:217], v[212:213]
	ds_load_2addr_b64 v[218:221], v214 offset0:18 offset1:19
	v_add_f64 v[184:185], v[184:185], -v[196:197]
	v_add_f64 v[186:187], v[186:187], -v[212:213]
	s_waitcnt lgkmcnt(0)
	v_mul_f64 v[196:197], v[220:221], v[198:199]
	v_mul_f64 v[212:213], v[218:219], v[198:199]
	s_delay_alu instid0(VALU_DEP_2) | instskip(NEXT) | instid1(VALU_DEP_2)
	v_fma_f64 v[196:197], v[218:219], v[216:217], -v[196:197]
	v_fma_f64 v[212:213], v[220:221], v[216:217], v[212:213]
	ds_load_2addr_b64 v[218:221], v214 offset0:20 offset1:21
	v_add_f64 v[180:181], v[180:181], -v[196:197]
	v_add_f64 v[182:183], v[182:183], -v[212:213]
	s_waitcnt lgkmcnt(0)
	v_mul_f64 v[196:197], v[220:221], v[198:199]
	v_mul_f64 v[212:213], v[218:219], v[198:199]
	s_delay_alu instid0(VALU_DEP_2) | instskip(NEXT) | instid1(VALU_DEP_2)
	v_fma_f64 v[196:197], v[218:219], v[216:217], -v[196:197]
	v_fma_f64 v[212:213], v[220:221], v[216:217], v[212:213]
	ds_load_2addr_b64 v[218:221], v214 offset0:22 offset1:23
	v_add_f64 v[176:177], v[176:177], -v[196:197]
	v_add_f64 v[178:179], v[178:179], -v[212:213]
	s_waitcnt lgkmcnt(0)
	v_mul_f64 v[196:197], v[220:221], v[198:199]
	v_mul_f64 v[212:213], v[218:219], v[198:199]
	s_delay_alu instid0(VALU_DEP_2) | instskip(NEXT) | instid1(VALU_DEP_2)
	v_fma_f64 v[196:197], v[218:219], v[216:217], -v[196:197]
	v_fma_f64 v[212:213], v[220:221], v[216:217], v[212:213]
	ds_load_2addr_b64 v[218:221], v214 offset0:24 offset1:25
	v_add_f64 v[172:173], v[172:173], -v[196:197]
	v_add_f64 v[174:175], v[174:175], -v[212:213]
	s_waitcnt lgkmcnt(0)
	v_mul_f64 v[196:197], v[220:221], v[198:199]
	v_mul_f64 v[212:213], v[218:219], v[198:199]
	s_delay_alu instid0(VALU_DEP_2) | instskip(NEXT) | instid1(VALU_DEP_2)
	v_fma_f64 v[196:197], v[218:219], v[216:217], -v[196:197]
	v_fma_f64 v[212:213], v[220:221], v[216:217], v[212:213]
	ds_load_2addr_b64 v[218:221], v214 offset0:26 offset1:27
	v_add_f64 v[168:169], v[168:169], -v[196:197]
	v_add_f64 v[170:171], v[170:171], -v[212:213]
	s_waitcnt lgkmcnt(0)
	v_mul_f64 v[196:197], v[220:221], v[198:199]
	v_mul_f64 v[212:213], v[218:219], v[198:199]
	s_delay_alu instid0(VALU_DEP_2) | instskip(NEXT) | instid1(VALU_DEP_2)
	v_fma_f64 v[196:197], v[218:219], v[216:217], -v[196:197]
	v_fma_f64 v[212:213], v[220:221], v[216:217], v[212:213]
	ds_load_2addr_b64 v[218:221], v214 offset0:28 offset1:29
	v_add_f64 v[164:165], v[164:165], -v[196:197]
	v_add_f64 v[166:167], v[166:167], -v[212:213]
	s_waitcnt lgkmcnt(0)
	v_mul_f64 v[196:197], v[220:221], v[198:199]
	v_mul_f64 v[212:213], v[218:219], v[198:199]
	s_delay_alu instid0(VALU_DEP_2) | instskip(NEXT) | instid1(VALU_DEP_2)
	v_fma_f64 v[196:197], v[218:219], v[216:217], -v[196:197]
	v_fma_f64 v[212:213], v[220:221], v[216:217], v[212:213]
	ds_load_2addr_b64 v[218:221], v214 offset0:30 offset1:31
	v_add_f64 v[160:161], v[160:161], -v[196:197]
	v_add_f64 v[162:163], v[162:163], -v[212:213]
	s_waitcnt lgkmcnt(0)
	v_mul_f64 v[196:197], v[220:221], v[198:199]
	v_mul_f64 v[212:213], v[218:219], v[198:199]
	s_delay_alu instid0(VALU_DEP_2) | instskip(NEXT) | instid1(VALU_DEP_2)
	v_fma_f64 v[196:197], v[218:219], v[216:217], -v[196:197]
	v_fma_f64 v[212:213], v[220:221], v[216:217], v[212:213]
	ds_load_2addr_b64 v[218:221], v214 offset0:32 offset1:33
	v_add_f64 v[156:157], v[156:157], -v[196:197]
	v_add_f64 v[158:159], v[158:159], -v[212:213]
	s_waitcnt lgkmcnt(0)
	v_mul_f64 v[196:197], v[220:221], v[198:199]
	v_mul_f64 v[212:213], v[218:219], v[198:199]
	s_delay_alu instid0(VALU_DEP_2) | instskip(NEXT) | instid1(VALU_DEP_2)
	v_fma_f64 v[196:197], v[218:219], v[216:217], -v[196:197]
	v_fma_f64 v[212:213], v[220:221], v[216:217], v[212:213]
	ds_load_2addr_b64 v[218:221], v214 offset0:34 offset1:35
	v_add_f64 v[152:153], v[152:153], -v[196:197]
	v_add_f64 v[154:155], v[154:155], -v[212:213]
	s_waitcnt lgkmcnt(0)
	v_mul_f64 v[196:197], v[220:221], v[198:199]
	v_mul_f64 v[212:213], v[218:219], v[198:199]
	s_delay_alu instid0(VALU_DEP_2) | instskip(NEXT) | instid1(VALU_DEP_2)
	v_fma_f64 v[196:197], v[218:219], v[216:217], -v[196:197]
	v_fma_f64 v[212:213], v[220:221], v[216:217], v[212:213]
	ds_load_2addr_b64 v[218:221], v214 offset0:36 offset1:37
	v_add_f64 v[148:149], v[148:149], -v[196:197]
	v_add_f64 v[150:151], v[150:151], -v[212:213]
	s_waitcnt lgkmcnt(0)
	v_mul_f64 v[196:197], v[220:221], v[198:199]
	v_mul_f64 v[212:213], v[218:219], v[198:199]
	s_delay_alu instid0(VALU_DEP_2) | instskip(NEXT) | instid1(VALU_DEP_2)
	v_fma_f64 v[196:197], v[218:219], v[216:217], -v[196:197]
	v_fma_f64 v[212:213], v[220:221], v[216:217], v[212:213]
	ds_load_2addr_b64 v[218:221], v214 offset0:38 offset1:39
	v_add_f64 v[144:145], v[144:145], -v[196:197]
	v_add_f64 v[146:147], v[146:147], -v[212:213]
	s_waitcnt lgkmcnt(0)
	v_mul_f64 v[196:197], v[220:221], v[198:199]
	v_mul_f64 v[212:213], v[218:219], v[198:199]
	s_delay_alu instid0(VALU_DEP_2) | instskip(NEXT) | instid1(VALU_DEP_2)
	v_fma_f64 v[196:197], v[218:219], v[216:217], -v[196:197]
	v_fma_f64 v[212:213], v[220:221], v[216:217], v[212:213]
	ds_load_2addr_b64 v[218:221], v214 offset0:40 offset1:41
	v_add_f64 v[140:141], v[140:141], -v[196:197]
	v_add_f64 v[142:143], v[142:143], -v[212:213]
	s_waitcnt lgkmcnt(0)
	v_mul_f64 v[196:197], v[220:221], v[198:199]
	v_mul_f64 v[212:213], v[218:219], v[198:199]
	s_delay_alu instid0(VALU_DEP_2) | instskip(NEXT) | instid1(VALU_DEP_2)
	v_fma_f64 v[196:197], v[218:219], v[216:217], -v[196:197]
	v_fma_f64 v[212:213], v[220:221], v[216:217], v[212:213]
	ds_load_2addr_b64 v[218:221], v214 offset0:42 offset1:43
	v_add_f64 v[136:137], v[136:137], -v[196:197]
	v_add_f64 v[138:139], v[138:139], -v[212:213]
	s_waitcnt lgkmcnt(0)
	v_mul_f64 v[196:197], v[220:221], v[198:199]
	v_mul_f64 v[212:213], v[218:219], v[198:199]
	s_delay_alu instid0(VALU_DEP_2) | instskip(NEXT) | instid1(VALU_DEP_2)
	v_fma_f64 v[196:197], v[218:219], v[216:217], -v[196:197]
	v_fma_f64 v[212:213], v[220:221], v[216:217], v[212:213]
	ds_load_2addr_b64 v[218:221], v214 offset0:44 offset1:45
	v_add_f64 v[132:133], v[132:133], -v[196:197]
	v_add_f64 v[134:135], v[134:135], -v[212:213]
	s_waitcnt lgkmcnt(0)
	v_mul_f64 v[196:197], v[220:221], v[198:199]
	v_mul_f64 v[212:213], v[218:219], v[198:199]
	s_delay_alu instid0(VALU_DEP_2) | instskip(NEXT) | instid1(VALU_DEP_2)
	v_fma_f64 v[196:197], v[218:219], v[216:217], -v[196:197]
	v_fma_f64 v[212:213], v[220:221], v[216:217], v[212:213]
	ds_load_2addr_b64 v[218:221], v214 offset0:46 offset1:47
	v_add_f64 v[128:129], v[128:129], -v[196:197]
	v_add_f64 v[130:131], v[130:131], -v[212:213]
	s_waitcnt lgkmcnt(0)
	v_mul_f64 v[196:197], v[220:221], v[198:199]
	v_mul_f64 v[212:213], v[218:219], v[198:199]
	s_delay_alu instid0(VALU_DEP_2) | instskip(NEXT) | instid1(VALU_DEP_2)
	v_fma_f64 v[196:197], v[218:219], v[216:217], -v[196:197]
	v_fma_f64 v[212:213], v[220:221], v[216:217], v[212:213]
	ds_load_2addr_b64 v[218:221], v214 offset0:48 offset1:49
	v_add_f64 v[124:125], v[124:125], -v[196:197]
	v_add_f64 v[126:127], v[126:127], -v[212:213]
	s_waitcnt lgkmcnt(0)
	v_mul_f64 v[196:197], v[220:221], v[198:199]
	v_mul_f64 v[212:213], v[218:219], v[198:199]
	s_delay_alu instid0(VALU_DEP_2) | instskip(NEXT) | instid1(VALU_DEP_2)
	v_fma_f64 v[196:197], v[218:219], v[216:217], -v[196:197]
	v_fma_f64 v[212:213], v[220:221], v[216:217], v[212:213]
	ds_load_2addr_b64 v[218:221], v214 offset0:50 offset1:51
	v_add_f64 v[120:121], v[120:121], -v[196:197]
	v_add_f64 v[122:123], v[122:123], -v[212:213]
	s_waitcnt lgkmcnt(0)
	v_mul_f64 v[196:197], v[220:221], v[198:199]
	v_mul_f64 v[212:213], v[218:219], v[198:199]
	s_delay_alu instid0(VALU_DEP_2) | instskip(NEXT) | instid1(VALU_DEP_2)
	v_fma_f64 v[196:197], v[218:219], v[216:217], -v[196:197]
	v_fma_f64 v[212:213], v[220:221], v[216:217], v[212:213]
	ds_load_2addr_b64 v[218:221], v214 offset0:52 offset1:53
	v_add_f64 v[116:117], v[116:117], -v[196:197]
	v_add_f64 v[118:119], v[118:119], -v[212:213]
	s_waitcnt lgkmcnt(0)
	v_mul_f64 v[196:197], v[220:221], v[198:199]
	v_mul_f64 v[212:213], v[218:219], v[198:199]
	s_delay_alu instid0(VALU_DEP_2) | instskip(NEXT) | instid1(VALU_DEP_2)
	v_fma_f64 v[196:197], v[218:219], v[216:217], -v[196:197]
	v_fma_f64 v[212:213], v[220:221], v[216:217], v[212:213]
	ds_load_2addr_b64 v[218:221], v214 offset0:54 offset1:55
	v_add_f64 v[112:113], v[112:113], -v[196:197]
	v_add_f64 v[114:115], v[114:115], -v[212:213]
	s_waitcnt lgkmcnt(0)
	v_mul_f64 v[196:197], v[220:221], v[198:199]
	v_mul_f64 v[212:213], v[218:219], v[198:199]
	s_delay_alu instid0(VALU_DEP_2) | instskip(NEXT) | instid1(VALU_DEP_2)
	v_fma_f64 v[196:197], v[218:219], v[216:217], -v[196:197]
	v_fma_f64 v[212:213], v[220:221], v[216:217], v[212:213]
	ds_load_2addr_b64 v[218:221], v214 offset0:56 offset1:57
	v_add_f64 v[108:109], v[108:109], -v[196:197]
	v_add_f64 v[110:111], v[110:111], -v[212:213]
	s_waitcnt lgkmcnt(0)
	v_mul_f64 v[196:197], v[220:221], v[198:199]
	v_mul_f64 v[212:213], v[218:219], v[198:199]
	s_delay_alu instid0(VALU_DEP_2) | instskip(NEXT) | instid1(VALU_DEP_2)
	v_fma_f64 v[196:197], v[218:219], v[216:217], -v[196:197]
	v_fma_f64 v[212:213], v[220:221], v[216:217], v[212:213]
	ds_load_2addr_b64 v[218:221], v214 offset0:58 offset1:59
	v_add_f64 v[104:105], v[104:105], -v[196:197]
	v_add_f64 v[106:107], v[106:107], -v[212:213]
	s_waitcnt lgkmcnt(0)
	v_mul_f64 v[196:197], v[220:221], v[198:199]
	v_mul_f64 v[212:213], v[218:219], v[198:199]
	s_delay_alu instid0(VALU_DEP_2) | instskip(NEXT) | instid1(VALU_DEP_2)
	v_fma_f64 v[196:197], v[218:219], v[216:217], -v[196:197]
	v_fma_f64 v[212:213], v[220:221], v[216:217], v[212:213]
	ds_load_2addr_b64 v[218:221], v214 offset0:60 offset1:61
	v_add_f64 v[100:101], v[100:101], -v[196:197]
	v_add_f64 v[102:103], v[102:103], -v[212:213]
	s_waitcnt lgkmcnt(0)
	v_mul_f64 v[196:197], v[220:221], v[198:199]
	v_mul_f64 v[212:213], v[218:219], v[198:199]
	s_delay_alu instid0(VALU_DEP_2) | instskip(NEXT) | instid1(VALU_DEP_2)
	v_fma_f64 v[196:197], v[218:219], v[216:217], -v[196:197]
	v_fma_f64 v[212:213], v[220:221], v[216:217], v[212:213]
	ds_load_2addr_b64 v[218:221], v214 offset0:62 offset1:63
	v_add_f64 v[96:97], v[96:97], -v[196:197]
	v_add_f64 v[98:99], v[98:99], -v[212:213]
	s_waitcnt lgkmcnt(0)
	v_mul_f64 v[196:197], v[220:221], v[198:199]
	v_mul_f64 v[212:213], v[218:219], v[198:199]
	s_delay_alu instid0(VALU_DEP_2) | instskip(NEXT) | instid1(VALU_DEP_2)
	v_fma_f64 v[196:197], v[218:219], v[216:217], -v[196:197]
	v_fma_f64 v[212:213], v[220:221], v[216:217], v[212:213]
	ds_load_2addr_b64 v[218:221], v214 offset0:64 offset1:65
	v_add_f64 v[92:93], v[92:93], -v[196:197]
	v_add_f64 v[94:95], v[94:95], -v[212:213]
	s_waitcnt lgkmcnt(0)
	v_mul_f64 v[196:197], v[220:221], v[198:199]
	v_mul_f64 v[212:213], v[218:219], v[198:199]
	s_delay_alu instid0(VALU_DEP_2) | instskip(NEXT) | instid1(VALU_DEP_2)
	v_fma_f64 v[196:197], v[218:219], v[216:217], -v[196:197]
	v_fma_f64 v[212:213], v[220:221], v[216:217], v[212:213]
	ds_load_2addr_b64 v[218:221], v214 offset0:66 offset1:67
	v_add_f64 v[88:89], v[88:89], -v[196:197]
	v_add_f64 v[90:91], v[90:91], -v[212:213]
	s_waitcnt lgkmcnt(0)
	v_mul_f64 v[196:197], v[220:221], v[198:199]
	v_mul_f64 v[212:213], v[218:219], v[198:199]
	s_delay_alu instid0(VALU_DEP_2) | instskip(NEXT) | instid1(VALU_DEP_2)
	v_fma_f64 v[196:197], v[218:219], v[216:217], -v[196:197]
	v_fma_f64 v[212:213], v[220:221], v[216:217], v[212:213]
	ds_load_2addr_b64 v[218:221], v214 offset0:68 offset1:69
	v_add_f64 v[84:85], v[84:85], -v[196:197]
	v_add_f64 v[86:87], v[86:87], -v[212:213]
	s_waitcnt lgkmcnt(0)
	v_mul_f64 v[196:197], v[220:221], v[198:199]
	v_mul_f64 v[212:213], v[218:219], v[198:199]
	s_delay_alu instid0(VALU_DEP_2) | instskip(NEXT) | instid1(VALU_DEP_2)
	v_fma_f64 v[196:197], v[218:219], v[216:217], -v[196:197]
	v_fma_f64 v[212:213], v[220:221], v[216:217], v[212:213]
	ds_load_2addr_b64 v[218:221], v214 offset0:70 offset1:71
	v_add_f64 v[80:81], v[80:81], -v[196:197]
	v_add_f64 v[82:83], v[82:83], -v[212:213]
	s_waitcnt lgkmcnt(0)
	v_mul_f64 v[196:197], v[220:221], v[198:199]
	v_mul_f64 v[212:213], v[218:219], v[198:199]
	s_delay_alu instid0(VALU_DEP_2) | instskip(NEXT) | instid1(VALU_DEP_2)
	v_fma_f64 v[196:197], v[218:219], v[216:217], -v[196:197]
	v_fma_f64 v[212:213], v[220:221], v[216:217], v[212:213]
	ds_load_2addr_b64 v[218:221], v214 offset0:72 offset1:73
	v_add_f64 v[76:77], v[76:77], -v[196:197]
	v_add_f64 v[78:79], v[78:79], -v[212:213]
	s_waitcnt lgkmcnt(0)
	v_mul_f64 v[196:197], v[220:221], v[198:199]
	v_mul_f64 v[212:213], v[218:219], v[198:199]
	s_delay_alu instid0(VALU_DEP_2) | instskip(NEXT) | instid1(VALU_DEP_2)
	v_fma_f64 v[196:197], v[218:219], v[216:217], -v[196:197]
	v_fma_f64 v[212:213], v[220:221], v[216:217], v[212:213]
	ds_load_2addr_b64 v[218:221], v214 offset0:74 offset1:75
	v_add_f64 v[72:73], v[72:73], -v[196:197]
	v_add_f64 v[74:75], v[74:75], -v[212:213]
	s_waitcnt lgkmcnt(0)
	v_mul_f64 v[196:197], v[220:221], v[198:199]
	v_mul_f64 v[212:213], v[218:219], v[198:199]
	s_delay_alu instid0(VALU_DEP_2) | instskip(NEXT) | instid1(VALU_DEP_2)
	v_fma_f64 v[196:197], v[218:219], v[216:217], -v[196:197]
	v_fma_f64 v[212:213], v[220:221], v[216:217], v[212:213]
	ds_load_2addr_b64 v[218:221], v214 offset0:76 offset1:77
	v_add_f64 v[68:69], v[68:69], -v[196:197]
	v_add_f64 v[70:71], v[70:71], -v[212:213]
	s_waitcnt lgkmcnt(0)
	v_mul_f64 v[196:197], v[220:221], v[198:199]
	v_mul_f64 v[212:213], v[218:219], v[198:199]
	s_delay_alu instid0(VALU_DEP_2) | instskip(NEXT) | instid1(VALU_DEP_2)
	v_fma_f64 v[196:197], v[218:219], v[216:217], -v[196:197]
	v_fma_f64 v[212:213], v[220:221], v[216:217], v[212:213]
	ds_load_2addr_b64 v[218:221], v214 offset0:78 offset1:79
	v_add_f64 v[64:65], v[64:65], -v[196:197]
	v_add_f64 v[66:67], v[66:67], -v[212:213]
	s_waitcnt lgkmcnt(0)
	v_mul_f64 v[196:197], v[220:221], v[198:199]
	v_mul_f64 v[212:213], v[218:219], v[198:199]
	s_delay_alu instid0(VALU_DEP_2) | instskip(NEXT) | instid1(VALU_DEP_2)
	v_fma_f64 v[196:197], v[218:219], v[216:217], -v[196:197]
	v_fma_f64 v[212:213], v[220:221], v[216:217], v[212:213]
	ds_load_2addr_b64 v[218:221], v214 offset0:80 offset1:81
	v_add_f64 v[60:61], v[60:61], -v[196:197]
	v_add_f64 v[62:63], v[62:63], -v[212:213]
	s_waitcnt lgkmcnt(0)
	v_mul_f64 v[196:197], v[220:221], v[198:199]
	v_mul_f64 v[212:213], v[218:219], v[198:199]
	s_delay_alu instid0(VALU_DEP_2) | instskip(NEXT) | instid1(VALU_DEP_2)
	v_fma_f64 v[196:197], v[218:219], v[216:217], -v[196:197]
	v_fma_f64 v[212:213], v[220:221], v[216:217], v[212:213]
	ds_load_2addr_b64 v[218:221], v214 offset0:82 offset1:83
	v_add_f64 v[56:57], v[56:57], -v[196:197]
	v_add_f64 v[58:59], v[58:59], -v[212:213]
	s_waitcnt lgkmcnt(0)
	v_mul_f64 v[196:197], v[220:221], v[198:199]
	v_mul_f64 v[212:213], v[218:219], v[198:199]
	s_delay_alu instid0(VALU_DEP_2) | instskip(NEXT) | instid1(VALU_DEP_2)
	v_fma_f64 v[196:197], v[218:219], v[216:217], -v[196:197]
	v_fma_f64 v[212:213], v[220:221], v[216:217], v[212:213]
	ds_load_2addr_b64 v[218:221], v214 offset0:84 offset1:85
	v_add_f64 v[52:53], v[52:53], -v[196:197]
	v_add_f64 v[54:55], v[54:55], -v[212:213]
	s_waitcnt lgkmcnt(0)
	v_mul_f64 v[196:197], v[220:221], v[198:199]
	v_mul_f64 v[212:213], v[218:219], v[198:199]
	s_delay_alu instid0(VALU_DEP_2) | instskip(NEXT) | instid1(VALU_DEP_2)
	v_fma_f64 v[196:197], v[218:219], v[216:217], -v[196:197]
	v_fma_f64 v[212:213], v[220:221], v[216:217], v[212:213]
	ds_load_2addr_b64 v[218:221], v214 offset0:86 offset1:87
	v_add_f64 v[48:49], v[48:49], -v[196:197]
	v_add_f64 v[50:51], v[50:51], -v[212:213]
	s_waitcnt lgkmcnt(0)
	v_mul_f64 v[196:197], v[220:221], v[198:199]
	v_mul_f64 v[212:213], v[218:219], v[198:199]
	s_delay_alu instid0(VALU_DEP_2) | instskip(NEXT) | instid1(VALU_DEP_2)
	v_fma_f64 v[196:197], v[218:219], v[216:217], -v[196:197]
	v_fma_f64 v[212:213], v[220:221], v[216:217], v[212:213]
	ds_load_2addr_b64 v[218:221], v214 offset0:88 offset1:89
	v_add_f64 v[44:45], v[44:45], -v[196:197]
	v_add_f64 v[46:47], v[46:47], -v[212:213]
	s_waitcnt lgkmcnt(0)
	v_mul_f64 v[196:197], v[220:221], v[198:199]
	v_mul_f64 v[212:213], v[218:219], v[198:199]
	s_delay_alu instid0(VALU_DEP_2) | instskip(NEXT) | instid1(VALU_DEP_2)
	v_fma_f64 v[196:197], v[218:219], v[216:217], -v[196:197]
	v_fma_f64 v[212:213], v[220:221], v[216:217], v[212:213]
	ds_load_2addr_b64 v[218:221], v214 offset0:90 offset1:91
	v_add_f64 v[40:41], v[40:41], -v[196:197]
	v_add_f64 v[42:43], v[42:43], -v[212:213]
	s_waitcnt lgkmcnt(0)
	v_mul_f64 v[196:197], v[220:221], v[198:199]
	v_mul_f64 v[212:213], v[218:219], v[198:199]
	s_delay_alu instid0(VALU_DEP_2) | instskip(NEXT) | instid1(VALU_DEP_2)
	v_fma_f64 v[196:197], v[218:219], v[216:217], -v[196:197]
	v_fma_f64 v[212:213], v[220:221], v[216:217], v[212:213]
	ds_load_2addr_b64 v[218:221], v214 offset0:92 offset1:93
	v_add_f64 v[36:37], v[36:37], -v[196:197]
	v_add_f64 v[38:39], v[38:39], -v[212:213]
	s_waitcnt lgkmcnt(0)
	v_mul_f64 v[196:197], v[220:221], v[198:199]
	v_mul_f64 v[212:213], v[218:219], v[198:199]
	s_delay_alu instid0(VALU_DEP_2) | instskip(NEXT) | instid1(VALU_DEP_2)
	v_fma_f64 v[196:197], v[218:219], v[216:217], -v[196:197]
	v_fma_f64 v[212:213], v[220:221], v[216:217], v[212:213]
	ds_load_2addr_b64 v[218:221], v214 offset0:94 offset1:95
	v_add_f64 v[32:33], v[32:33], -v[196:197]
	v_add_f64 v[34:35], v[34:35], -v[212:213]
	s_waitcnt lgkmcnt(0)
	v_mul_f64 v[196:197], v[220:221], v[198:199]
	v_mul_f64 v[212:213], v[218:219], v[198:199]
	s_delay_alu instid0(VALU_DEP_2) | instskip(NEXT) | instid1(VALU_DEP_2)
	v_fma_f64 v[196:197], v[218:219], v[216:217], -v[196:197]
	v_fma_f64 v[212:213], v[220:221], v[216:217], v[212:213]
	ds_load_2addr_b64 v[218:221], v214 offset0:96 offset1:97
	v_add_f64 v[28:29], v[28:29], -v[196:197]
	v_add_f64 v[30:31], v[30:31], -v[212:213]
	s_waitcnt lgkmcnt(0)
	v_mul_f64 v[196:197], v[220:221], v[198:199]
	v_mul_f64 v[212:213], v[218:219], v[198:199]
	s_delay_alu instid0(VALU_DEP_2) | instskip(NEXT) | instid1(VALU_DEP_2)
	v_fma_f64 v[196:197], v[218:219], v[216:217], -v[196:197]
	v_fma_f64 v[212:213], v[220:221], v[216:217], v[212:213]
	ds_load_2addr_b64 v[218:221], v214 offset0:98 offset1:99
	v_add_f64 v[24:25], v[24:25], -v[196:197]
	v_add_f64 v[26:27], v[26:27], -v[212:213]
	s_waitcnt lgkmcnt(0)
	v_mul_f64 v[196:197], v[220:221], v[198:199]
	v_mul_f64 v[212:213], v[218:219], v[198:199]
	s_delay_alu instid0(VALU_DEP_2) | instskip(NEXT) | instid1(VALU_DEP_2)
	v_fma_f64 v[196:197], v[218:219], v[216:217], -v[196:197]
	v_fma_f64 v[212:213], v[220:221], v[216:217], v[212:213]
	ds_load_2addr_b64 v[218:221], v214 offset0:100 offset1:101
	v_add_f64 v[20:21], v[20:21], -v[196:197]
	v_add_f64 v[22:23], v[22:23], -v[212:213]
	s_waitcnt lgkmcnt(0)
	v_mul_f64 v[196:197], v[220:221], v[198:199]
	v_mul_f64 v[212:213], v[218:219], v[198:199]
	s_delay_alu instid0(VALU_DEP_2) | instskip(NEXT) | instid1(VALU_DEP_2)
	v_fma_f64 v[196:197], v[218:219], v[216:217], -v[196:197]
	v_fma_f64 v[212:213], v[220:221], v[216:217], v[212:213]
	ds_load_2addr_b64 v[218:221], v214 offset0:102 offset1:103
	v_add_f64 v[16:17], v[16:17], -v[196:197]
	v_add_f64 v[18:19], v[18:19], -v[212:213]
	s_waitcnt lgkmcnt(0)
	v_mul_f64 v[196:197], v[220:221], v[198:199]
	v_mul_f64 v[212:213], v[218:219], v[198:199]
	s_delay_alu instid0(VALU_DEP_2) | instskip(NEXT) | instid1(VALU_DEP_2)
	v_fma_f64 v[196:197], v[218:219], v[216:217], -v[196:197]
	v_fma_f64 v[212:213], v[220:221], v[216:217], v[212:213]
	ds_load_2addr_b64 v[218:221], v214 offset0:104 offset1:105
	v_add_f64 v[12:13], v[12:13], -v[196:197]
	v_add_f64 v[14:15], v[14:15], -v[212:213]
	s_waitcnt lgkmcnt(0)
	v_mul_f64 v[196:197], v[220:221], v[198:199]
	v_mul_f64 v[212:213], v[218:219], v[198:199]
	s_delay_alu instid0(VALU_DEP_2) | instskip(NEXT) | instid1(VALU_DEP_2)
	v_fma_f64 v[196:197], v[218:219], v[216:217], -v[196:197]
	v_fma_f64 v[212:213], v[220:221], v[216:217], v[212:213]
	ds_load_2addr_b64 v[218:221], v214 offset0:106 offset1:107
	v_add_f64 v[8:9], v[8:9], -v[196:197]
	v_add_f64 v[10:11], v[10:11], -v[212:213]
	s_waitcnt lgkmcnt(0)
	v_mul_f64 v[196:197], v[220:221], v[198:199]
	v_mul_f64 v[212:213], v[218:219], v[198:199]
	s_delay_alu instid0(VALU_DEP_2) | instskip(NEXT) | instid1(VALU_DEP_2)
	v_fma_f64 v[196:197], v[218:219], v[216:217], -v[196:197]
	v_fma_f64 v[212:213], v[220:221], v[216:217], v[212:213]
	ds_load_2addr_b64 v[218:221], v214 offset0:108 offset1:109
	v_add_f64 v[4:5], v[4:5], -v[196:197]
	v_add_f64 v[6:7], v[6:7], -v[212:213]
	s_waitcnt lgkmcnt(0)
	v_mul_f64 v[196:197], v[220:221], v[198:199]
	v_mul_f64 v[212:213], v[218:219], v[198:199]
	s_delay_alu instid0(VALU_DEP_2) | instskip(NEXT) | instid1(VALU_DEP_2)
	v_fma_f64 v[196:197], v[218:219], v[216:217], -v[196:197]
	v_fma_f64 v[212:213], v[220:221], v[216:217], v[212:213]
	s_delay_alu instid0(VALU_DEP_2) | instskip(NEXT) | instid1(VALU_DEP_2)
	v_add_f64 v[0:1], v[0:1], -v[196:197]
	v_add_f64 v[2:3], v[2:3], -v[212:213]
	v_dual_mov_b32 v196, v216 :: v_dual_mov_b32 v197, v217
.LBB109_55:
	s_or_b32 exec_lo, exec_lo, s3
	s_delay_alu instid0(SALU_CYCLE_1)
	s_mov_b32 s4, exec_lo
	s_waitcnt_vscnt null, 0x0
	s_barrier
	buffer_gl0_inv
	v_cmpx_eq_u32_e32 6, v215
	s_cbranch_execz .LBB109_62
; %bb.56:
	ds_store_2addr_b64 v204, v[192:193], v[194:195] offset1:1
	ds_store_2addr_b64 v214, v[188:189], v[190:191] offset0:14 offset1:15
	ds_store_2addr_b64 v214, v[184:185], v[186:187] offset0:16 offset1:17
	ds_store_2addr_b64 v214, v[180:181], v[182:183] offset0:18 offset1:19
	ds_store_2addr_b64 v214, v[176:177], v[178:179] offset0:20 offset1:21
	ds_store_2addr_b64 v214, v[172:173], v[174:175] offset0:22 offset1:23
	ds_store_2addr_b64 v214, v[168:169], v[170:171] offset0:24 offset1:25
	ds_store_2addr_b64 v214, v[164:165], v[166:167] offset0:26 offset1:27
	ds_store_2addr_b64 v214, v[160:161], v[162:163] offset0:28 offset1:29
	ds_store_2addr_b64 v214, v[156:157], v[158:159] offset0:30 offset1:31
	ds_store_2addr_b64 v214, v[152:153], v[154:155] offset0:32 offset1:33
	ds_store_2addr_b64 v214, v[148:149], v[150:151] offset0:34 offset1:35
	ds_store_2addr_b64 v214, v[144:145], v[146:147] offset0:36 offset1:37
	ds_store_2addr_b64 v214, v[140:141], v[142:143] offset0:38 offset1:39
	ds_store_2addr_b64 v214, v[136:137], v[138:139] offset0:40 offset1:41
	ds_store_2addr_b64 v214, v[132:133], v[134:135] offset0:42 offset1:43
	ds_store_2addr_b64 v214, v[128:129], v[130:131] offset0:44 offset1:45
	ds_store_2addr_b64 v214, v[124:125], v[126:127] offset0:46 offset1:47
	ds_store_2addr_b64 v214, v[120:121], v[122:123] offset0:48 offset1:49
	ds_store_2addr_b64 v214, v[116:117], v[118:119] offset0:50 offset1:51
	ds_store_2addr_b64 v214, v[112:113], v[114:115] offset0:52 offset1:53
	ds_store_2addr_b64 v214, v[108:109], v[110:111] offset0:54 offset1:55
	ds_store_2addr_b64 v214, v[104:105], v[106:107] offset0:56 offset1:57
	ds_store_2addr_b64 v214, v[100:101], v[102:103] offset0:58 offset1:59
	ds_store_2addr_b64 v214, v[96:97], v[98:99] offset0:60 offset1:61
	ds_store_2addr_b64 v214, v[92:93], v[94:95] offset0:62 offset1:63
	ds_store_2addr_b64 v214, v[88:89], v[90:91] offset0:64 offset1:65
	ds_store_2addr_b64 v214, v[84:85], v[86:87] offset0:66 offset1:67
	ds_store_2addr_b64 v214, v[80:81], v[82:83] offset0:68 offset1:69
	ds_store_2addr_b64 v214, v[76:77], v[78:79] offset0:70 offset1:71
	ds_store_2addr_b64 v214, v[72:73], v[74:75] offset0:72 offset1:73
	ds_store_2addr_b64 v214, v[68:69], v[70:71] offset0:74 offset1:75
	ds_store_2addr_b64 v214, v[64:65], v[66:67] offset0:76 offset1:77
	ds_store_2addr_b64 v214, v[60:61], v[62:63] offset0:78 offset1:79
	ds_store_2addr_b64 v214, v[56:57], v[58:59] offset0:80 offset1:81
	ds_store_2addr_b64 v214, v[52:53], v[54:55] offset0:82 offset1:83
	ds_store_2addr_b64 v214, v[48:49], v[50:51] offset0:84 offset1:85
	ds_store_2addr_b64 v214, v[44:45], v[46:47] offset0:86 offset1:87
	ds_store_2addr_b64 v214, v[40:41], v[42:43] offset0:88 offset1:89
	ds_store_2addr_b64 v214, v[36:37], v[38:39] offset0:90 offset1:91
	ds_store_2addr_b64 v214, v[32:33], v[34:35] offset0:92 offset1:93
	ds_store_2addr_b64 v214, v[28:29], v[30:31] offset0:94 offset1:95
	ds_store_2addr_b64 v214, v[24:25], v[26:27] offset0:96 offset1:97
	ds_store_2addr_b64 v214, v[20:21], v[22:23] offset0:98 offset1:99
	ds_store_2addr_b64 v214, v[16:17], v[18:19] offset0:100 offset1:101
	ds_store_2addr_b64 v214, v[12:13], v[14:15] offset0:102 offset1:103
	ds_store_2addr_b64 v214, v[8:9], v[10:11] offset0:104 offset1:105
	ds_store_2addr_b64 v214, v[4:5], v[6:7] offset0:106 offset1:107
	ds_store_2addr_b64 v214, v[0:1], v[2:3] offset0:108 offset1:109
	ds_load_2addr_b64 v[216:219], v204 offset1:1
	s_waitcnt lgkmcnt(0)
	v_cmp_neq_f64_e32 vcc_lo, 0, v[216:217]
	v_cmp_neq_f64_e64 s3, 0, v[218:219]
	s_delay_alu instid0(VALU_DEP_1) | instskip(NEXT) | instid1(SALU_CYCLE_1)
	s_or_b32 s3, vcc_lo, s3
	s_and_b32 exec_lo, exec_lo, s3
	s_cbranch_execz .LBB109_62
; %bb.57:
	v_cmp_gt_f64_e32 vcc_lo, 0, v[216:217]
	v_xor_b32_e32 v208, 0x80000000, v217
	s_delay_alu instid0(VALU_DEP_1) | instskip(SKIP_3) | instid1(VALU_DEP_1)
	v_cndmask_b32_e32 v213, v217, v208, vcc_lo
	v_cndmask_b32_e32 v212, v216, v216, vcc_lo
	v_cmp_gt_f64_e32 vcc_lo, 0, v[218:219]
	v_xor_b32_e32 v208, 0x80000000, v219
	v_dual_cndmask_b32 v220, v218, v218 :: v_dual_cndmask_b32 v221, v219, v208
	s_delay_alu instid0(VALU_DEP_1) | instskip(SKIP_1) | instid1(SALU_CYCLE_1)
	v_cmp_ngt_f64_e32 vcc_lo, v[212:213], v[220:221]
                                        ; implicit-def: $vgpr212_vgpr213
	s_and_saveexec_b32 s3, vcc_lo
	s_xor_b32 s3, exec_lo, s3
                                        ; implicit-def: $vgpr220_vgpr221_vgpr222_vgpr223
	s_cbranch_execz .LBB109_59
; %bb.58:
	v_div_scale_f64 v[212:213], null, v[218:219], v[218:219], v[216:217]
	v_div_scale_f64 v[224:225], vcc_lo, v[216:217], v[218:219], v[216:217]
	s_delay_alu instid0(VALU_DEP_2) | instskip(SKIP_2) | instid1(VALU_DEP_1)
	v_rcp_f64_e32 v[220:221], v[212:213]
	s_waitcnt_depctr 0xfff
	v_fma_f64 v[222:223], -v[212:213], v[220:221], 1.0
	v_fma_f64 v[220:221], v[220:221], v[222:223], v[220:221]
	s_delay_alu instid0(VALU_DEP_1) | instskip(NEXT) | instid1(VALU_DEP_1)
	v_fma_f64 v[222:223], -v[212:213], v[220:221], 1.0
	v_fma_f64 v[220:221], v[220:221], v[222:223], v[220:221]
	s_delay_alu instid0(VALU_DEP_1) | instskip(NEXT) | instid1(VALU_DEP_1)
	v_mul_f64 v[222:223], v[224:225], v[220:221]
	v_fma_f64 v[212:213], -v[212:213], v[222:223], v[224:225]
	s_delay_alu instid0(VALU_DEP_1) | instskip(NEXT) | instid1(VALU_DEP_1)
	v_div_fmas_f64 v[212:213], v[212:213], v[220:221], v[222:223]
	v_div_fixup_f64 v[212:213], v[212:213], v[218:219], v[216:217]
	s_delay_alu instid0(VALU_DEP_1) | instskip(NEXT) | instid1(VALU_DEP_1)
	v_fma_f64 v[216:217], v[216:217], v[212:213], v[218:219]
	v_div_scale_f64 v[218:219], null, v[216:217], v[216:217], 1.0
	s_delay_alu instid0(VALU_DEP_1) | instskip(SKIP_2) | instid1(VALU_DEP_1)
	v_rcp_f64_e32 v[220:221], v[218:219]
	s_waitcnt_depctr 0xfff
	v_fma_f64 v[222:223], -v[218:219], v[220:221], 1.0
	v_fma_f64 v[220:221], v[220:221], v[222:223], v[220:221]
	s_delay_alu instid0(VALU_DEP_1) | instskip(NEXT) | instid1(VALU_DEP_1)
	v_fma_f64 v[222:223], -v[218:219], v[220:221], 1.0
	v_fma_f64 v[220:221], v[220:221], v[222:223], v[220:221]
	v_div_scale_f64 v[222:223], vcc_lo, 1.0, v[216:217], 1.0
	s_delay_alu instid0(VALU_DEP_1) | instskip(NEXT) | instid1(VALU_DEP_1)
	v_mul_f64 v[224:225], v[222:223], v[220:221]
	v_fma_f64 v[218:219], -v[218:219], v[224:225], v[222:223]
	s_delay_alu instid0(VALU_DEP_1) | instskip(NEXT) | instid1(VALU_DEP_1)
	v_div_fmas_f64 v[218:219], v[218:219], v[220:221], v[224:225]
	v_div_fixup_f64 v[222:223], v[218:219], v[216:217], 1.0
                                        ; implicit-def: $vgpr216_vgpr217
	s_delay_alu instid0(VALU_DEP_1)
	v_mul_f64 v[212:213], v[212:213], v[222:223]
	v_xor_b32_e32 v223, 0x80000000, v223
.LBB109_59:
	s_and_not1_saveexec_b32 s3, s3
	s_cbranch_execz .LBB109_61
; %bb.60:
	v_div_scale_f64 v[212:213], null, v[216:217], v[216:217], v[218:219]
	v_div_scale_f64 v[224:225], vcc_lo, v[218:219], v[216:217], v[218:219]
	s_delay_alu instid0(VALU_DEP_2) | instskip(SKIP_2) | instid1(VALU_DEP_1)
	v_rcp_f64_e32 v[220:221], v[212:213]
	s_waitcnt_depctr 0xfff
	v_fma_f64 v[222:223], -v[212:213], v[220:221], 1.0
	v_fma_f64 v[220:221], v[220:221], v[222:223], v[220:221]
	s_delay_alu instid0(VALU_DEP_1) | instskip(NEXT) | instid1(VALU_DEP_1)
	v_fma_f64 v[222:223], -v[212:213], v[220:221], 1.0
	v_fma_f64 v[220:221], v[220:221], v[222:223], v[220:221]
	s_delay_alu instid0(VALU_DEP_1) | instskip(NEXT) | instid1(VALU_DEP_1)
	v_mul_f64 v[222:223], v[224:225], v[220:221]
	v_fma_f64 v[212:213], -v[212:213], v[222:223], v[224:225]
	s_delay_alu instid0(VALU_DEP_1) | instskip(NEXT) | instid1(VALU_DEP_1)
	v_div_fmas_f64 v[212:213], v[212:213], v[220:221], v[222:223]
	v_div_fixup_f64 v[220:221], v[212:213], v[216:217], v[218:219]
	s_delay_alu instid0(VALU_DEP_1) | instskip(NEXT) | instid1(VALU_DEP_1)
	v_fma_f64 v[212:213], v[218:219], v[220:221], v[216:217]
	v_div_scale_f64 v[216:217], null, v[212:213], v[212:213], 1.0
	s_delay_alu instid0(VALU_DEP_1) | instskip(SKIP_2) | instid1(VALU_DEP_1)
	v_rcp_f64_e32 v[218:219], v[216:217]
	s_waitcnt_depctr 0xfff
	v_fma_f64 v[222:223], -v[216:217], v[218:219], 1.0
	v_fma_f64 v[218:219], v[218:219], v[222:223], v[218:219]
	s_delay_alu instid0(VALU_DEP_1) | instskip(NEXT) | instid1(VALU_DEP_1)
	v_fma_f64 v[222:223], -v[216:217], v[218:219], 1.0
	v_fma_f64 v[218:219], v[218:219], v[222:223], v[218:219]
	v_div_scale_f64 v[222:223], vcc_lo, 1.0, v[212:213], 1.0
	s_delay_alu instid0(VALU_DEP_1) | instskip(NEXT) | instid1(VALU_DEP_1)
	v_mul_f64 v[224:225], v[222:223], v[218:219]
	v_fma_f64 v[216:217], -v[216:217], v[224:225], v[222:223]
	s_delay_alu instid0(VALU_DEP_1) | instskip(NEXT) | instid1(VALU_DEP_1)
	v_div_fmas_f64 v[216:217], v[216:217], v[218:219], v[224:225]
	v_div_fixup_f64 v[212:213], v[216:217], v[212:213], 1.0
	s_delay_alu instid0(VALU_DEP_1)
	v_mul_f64 v[222:223], v[220:221], -v[212:213]
.LBB109_61:
	s_or_b32 exec_lo, exec_lo, s3
	ds_store_2addr_b64 v204, v[212:213], v[222:223] offset1:1
.LBB109_62:
	s_or_b32 exec_lo, exec_lo, s4
	s_waitcnt lgkmcnt(0)
	s_barrier
	buffer_gl0_inv
	ds_load_2addr_b64 v[207:210], v204 offset1:1
	s_mov_b32 s3, exec_lo
	s_waitcnt lgkmcnt(0)
	scratch_store_b128 off, v[207:210], off offset:592 ; 16-byte Folded Spill
	v_cmpx_lt_u32_e32 6, v215
	s_cbranch_execz .LBB109_64
; %bb.63:
	scratch_load_b128 v[207:210], off, off offset:592 ; 16-byte Folded Reload
	ds_load_2addr_b64 v[218:221], v214 offset0:14 offset1:15
	s_waitcnt vmcnt(0)
	v_mul_f64 v[212:213], v[209:210], v[194:195]
	v_mul_f64 v[194:195], v[207:208], v[194:195]
	s_delay_alu instid0(VALU_DEP_2) | instskip(NEXT) | instid1(VALU_DEP_2)
	v_fma_f64 v[216:217], v[207:208], v[192:193], -v[212:213]
	v_fma_f64 v[194:195], v[209:210], v[192:193], v[194:195]
	s_waitcnt lgkmcnt(0)
	s_delay_alu instid0(VALU_DEP_1) | instskip(SKIP_1) | instid1(VALU_DEP_2)
	v_mul_f64 v[192:193], v[220:221], v[194:195]
	v_mul_f64 v[212:213], v[218:219], v[194:195]
	v_fma_f64 v[192:193], v[218:219], v[216:217], -v[192:193]
	s_delay_alu instid0(VALU_DEP_2)
	v_fma_f64 v[212:213], v[220:221], v[216:217], v[212:213]
	ds_load_2addr_b64 v[218:221], v214 offset0:16 offset1:17
	v_add_f64 v[188:189], v[188:189], -v[192:193]
	v_add_f64 v[190:191], v[190:191], -v[212:213]
	s_waitcnt lgkmcnt(0)
	v_mul_f64 v[192:193], v[220:221], v[194:195]
	v_mul_f64 v[212:213], v[218:219], v[194:195]
	s_delay_alu instid0(VALU_DEP_2) | instskip(NEXT) | instid1(VALU_DEP_2)
	v_fma_f64 v[192:193], v[218:219], v[216:217], -v[192:193]
	v_fma_f64 v[212:213], v[220:221], v[216:217], v[212:213]
	ds_load_2addr_b64 v[218:221], v214 offset0:18 offset1:19
	v_add_f64 v[184:185], v[184:185], -v[192:193]
	v_add_f64 v[186:187], v[186:187], -v[212:213]
	s_waitcnt lgkmcnt(0)
	v_mul_f64 v[192:193], v[220:221], v[194:195]
	v_mul_f64 v[212:213], v[218:219], v[194:195]
	s_delay_alu instid0(VALU_DEP_2) | instskip(NEXT) | instid1(VALU_DEP_2)
	v_fma_f64 v[192:193], v[218:219], v[216:217], -v[192:193]
	;; [unrolled: 9-line block ×47, first 2 shown]
	v_fma_f64 v[212:213], v[220:221], v[216:217], v[212:213]
	s_delay_alu instid0(VALU_DEP_2) | instskip(NEXT) | instid1(VALU_DEP_2)
	v_add_f64 v[0:1], v[0:1], -v[192:193]
	v_add_f64 v[2:3], v[2:3], -v[212:213]
	v_dual_mov_b32 v192, v216 :: v_dual_mov_b32 v193, v217
.LBB109_64:
	s_or_b32 exec_lo, exec_lo, s3
	s_delay_alu instid0(SALU_CYCLE_1)
	s_mov_b32 s4, exec_lo
	s_waitcnt_vscnt null, 0x0
	s_barrier
	buffer_gl0_inv
	v_cmpx_eq_u32_e32 7, v215
	s_cbranch_execz .LBB109_71
; %bb.65:
	ds_store_2addr_b64 v204, v[188:189], v[190:191] offset1:1
	ds_store_2addr_b64 v214, v[184:185], v[186:187] offset0:16 offset1:17
	ds_store_2addr_b64 v214, v[180:181], v[182:183] offset0:18 offset1:19
	;; [unrolled: 1-line block ×47, first 2 shown]
	ds_load_2addr_b64 v[216:219], v204 offset1:1
	s_waitcnt lgkmcnt(0)
	v_cmp_neq_f64_e32 vcc_lo, 0, v[216:217]
	v_cmp_neq_f64_e64 s3, 0, v[218:219]
	s_delay_alu instid0(VALU_DEP_1) | instskip(NEXT) | instid1(SALU_CYCLE_1)
	s_or_b32 s3, vcc_lo, s3
	s_and_b32 exec_lo, exec_lo, s3
	s_cbranch_execz .LBB109_71
; %bb.66:
	v_cmp_gt_f64_e32 vcc_lo, 0, v[216:217]
	v_xor_b32_e32 v208, 0x80000000, v217
	s_delay_alu instid0(VALU_DEP_1) | instskip(SKIP_3) | instid1(VALU_DEP_1)
	v_cndmask_b32_e32 v213, v217, v208, vcc_lo
	v_cndmask_b32_e32 v212, v216, v216, vcc_lo
	v_cmp_gt_f64_e32 vcc_lo, 0, v[218:219]
	v_xor_b32_e32 v208, 0x80000000, v219
	v_dual_cndmask_b32 v220, v218, v218 :: v_dual_cndmask_b32 v221, v219, v208
	s_delay_alu instid0(VALU_DEP_1) | instskip(SKIP_1) | instid1(SALU_CYCLE_1)
	v_cmp_ngt_f64_e32 vcc_lo, v[212:213], v[220:221]
                                        ; implicit-def: $vgpr212_vgpr213
	s_and_saveexec_b32 s3, vcc_lo
	s_xor_b32 s3, exec_lo, s3
                                        ; implicit-def: $vgpr220_vgpr221_vgpr222_vgpr223
	s_cbranch_execz .LBB109_68
; %bb.67:
	v_div_scale_f64 v[212:213], null, v[218:219], v[218:219], v[216:217]
	v_div_scale_f64 v[224:225], vcc_lo, v[216:217], v[218:219], v[216:217]
	s_delay_alu instid0(VALU_DEP_2) | instskip(SKIP_2) | instid1(VALU_DEP_1)
	v_rcp_f64_e32 v[220:221], v[212:213]
	s_waitcnt_depctr 0xfff
	v_fma_f64 v[222:223], -v[212:213], v[220:221], 1.0
	v_fma_f64 v[220:221], v[220:221], v[222:223], v[220:221]
	s_delay_alu instid0(VALU_DEP_1) | instskip(NEXT) | instid1(VALU_DEP_1)
	v_fma_f64 v[222:223], -v[212:213], v[220:221], 1.0
	v_fma_f64 v[220:221], v[220:221], v[222:223], v[220:221]
	s_delay_alu instid0(VALU_DEP_1) | instskip(NEXT) | instid1(VALU_DEP_1)
	v_mul_f64 v[222:223], v[224:225], v[220:221]
	v_fma_f64 v[212:213], -v[212:213], v[222:223], v[224:225]
	s_delay_alu instid0(VALU_DEP_1) | instskip(NEXT) | instid1(VALU_DEP_1)
	v_div_fmas_f64 v[212:213], v[212:213], v[220:221], v[222:223]
	v_div_fixup_f64 v[212:213], v[212:213], v[218:219], v[216:217]
	s_delay_alu instid0(VALU_DEP_1) | instskip(NEXT) | instid1(VALU_DEP_1)
	v_fma_f64 v[216:217], v[216:217], v[212:213], v[218:219]
	v_div_scale_f64 v[218:219], null, v[216:217], v[216:217], 1.0
	s_delay_alu instid0(VALU_DEP_1) | instskip(SKIP_2) | instid1(VALU_DEP_1)
	v_rcp_f64_e32 v[220:221], v[218:219]
	s_waitcnt_depctr 0xfff
	v_fma_f64 v[222:223], -v[218:219], v[220:221], 1.0
	v_fma_f64 v[220:221], v[220:221], v[222:223], v[220:221]
	s_delay_alu instid0(VALU_DEP_1) | instskip(NEXT) | instid1(VALU_DEP_1)
	v_fma_f64 v[222:223], -v[218:219], v[220:221], 1.0
	v_fma_f64 v[220:221], v[220:221], v[222:223], v[220:221]
	v_div_scale_f64 v[222:223], vcc_lo, 1.0, v[216:217], 1.0
	s_delay_alu instid0(VALU_DEP_1) | instskip(NEXT) | instid1(VALU_DEP_1)
	v_mul_f64 v[224:225], v[222:223], v[220:221]
	v_fma_f64 v[218:219], -v[218:219], v[224:225], v[222:223]
	s_delay_alu instid0(VALU_DEP_1) | instskip(NEXT) | instid1(VALU_DEP_1)
	v_div_fmas_f64 v[218:219], v[218:219], v[220:221], v[224:225]
	v_div_fixup_f64 v[222:223], v[218:219], v[216:217], 1.0
                                        ; implicit-def: $vgpr216_vgpr217
	s_delay_alu instid0(VALU_DEP_1)
	v_mul_f64 v[212:213], v[212:213], v[222:223]
	v_xor_b32_e32 v223, 0x80000000, v223
.LBB109_68:
	s_and_not1_saveexec_b32 s3, s3
	s_cbranch_execz .LBB109_70
; %bb.69:
	v_div_scale_f64 v[212:213], null, v[216:217], v[216:217], v[218:219]
	v_div_scale_f64 v[224:225], vcc_lo, v[218:219], v[216:217], v[218:219]
	s_delay_alu instid0(VALU_DEP_2) | instskip(SKIP_2) | instid1(VALU_DEP_1)
	v_rcp_f64_e32 v[220:221], v[212:213]
	s_waitcnt_depctr 0xfff
	v_fma_f64 v[222:223], -v[212:213], v[220:221], 1.0
	v_fma_f64 v[220:221], v[220:221], v[222:223], v[220:221]
	s_delay_alu instid0(VALU_DEP_1) | instskip(NEXT) | instid1(VALU_DEP_1)
	v_fma_f64 v[222:223], -v[212:213], v[220:221], 1.0
	v_fma_f64 v[220:221], v[220:221], v[222:223], v[220:221]
	s_delay_alu instid0(VALU_DEP_1) | instskip(NEXT) | instid1(VALU_DEP_1)
	v_mul_f64 v[222:223], v[224:225], v[220:221]
	v_fma_f64 v[212:213], -v[212:213], v[222:223], v[224:225]
	s_delay_alu instid0(VALU_DEP_1) | instskip(NEXT) | instid1(VALU_DEP_1)
	v_div_fmas_f64 v[212:213], v[212:213], v[220:221], v[222:223]
	v_div_fixup_f64 v[220:221], v[212:213], v[216:217], v[218:219]
	s_delay_alu instid0(VALU_DEP_1) | instskip(NEXT) | instid1(VALU_DEP_1)
	v_fma_f64 v[212:213], v[218:219], v[220:221], v[216:217]
	v_div_scale_f64 v[216:217], null, v[212:213], v[212:213], 1.0
	s_delay_alu instid0(VALU_DEP_1) | instskip(SKIP_2) | instid1(VALU_DEP_1)
	v_rcp_f64_e32 v[218:219], v[216:217]
	s_waitcnt_depctr 0xfff
	v_fma_f64 v[222:223], -v[216:217], v[218:219], 1.0
	v_fma_f64 v[218:219], v[218:219], v[222:223], v[218:219]
	s_delay_alu instid0(VALU_DEP_1) | instskip(NEXT) | instid1(VALU_DEP_1)
	v_fma_f64 v[222:223], -v[216:217], v[218:219], 1.0
	v_fma_f64 v[218:219], v[218:219], v[222:223], v[218:219]
	v_div_scale_f64 v[222:223], vcc_lo, 1.0, v[212:213], 1.0
	s_delay_alu instid0(VALU_DEP_1) | instskip(NEXT) | instid1(VALU_DEP_1)
	v_mul_f64 v[224:225], v[222:223], v[218:219]
	v_fma_f64 v[216:217], -v[216:217], v[224:225], v[222:223]
	s_delay_alu instid0(VALU_DEP_1) | instskip(NEXT) | instid1(VALU_DEP_1)
	v_div_fmas_f64 v[216:217], v[216:217], v[218:219], v[224:225]
	v_div_fixup_f64 v[212:213], v[216:217], v[212:213], 1.0
	s_delay_alu instid0(VALU_DEP_1)
	v_mul_f64 v[222:223], v[220:221], -v[212:213]
.LBB109_70:
	s_or_b32 exec_lo, exec_lo, s3
	ds_store_2addr_b64 v204, v[212:213], v[222:223] offset1:1
.LBB109_71:
	s_or_b32 exec_lo, exec_lo, s4
	s_waitcnt lgkmcnt(0)
	s_barrier
	buffer_gl0_inv
	ds_load_2addr_b64 v[207:210], v204 offset1:1
	s_mov_b32 s3, exec_lo
	s_waitcnt lgkmcnt(0)
	scratch_store_b128 off, v[207:210], off offset:608 ; 16-byte Folded Spill
	v_cmpx_lt_u32_e32 7, v215
	s_cbranch_execz .LBB109_73
; %bb.72:
	scratch_load_b128 v[207:210], off, off offset:608 ; 16-byte Folded Reload
	ds_load_2addr_b64 v[218:221], v214 offset0:16 offset1:17
	s_waitcnt vmcnt(0)
	v_mul_f64 v[212:213], v[209:210], v[190:191]
	v_mul_f64 v[190:191], v[207:208], v[190:191]
	s_delay_alu instid0(VALU_DEP_2) | instskip(NEXT) | instid1(VALU_DEP_2)
	v_fma_f64 v[216:217], v[207:208], v[188:189], -v[212:213]
	v_fma_f64 v[190:191], v[209:210], v[188:189], v[190:191]
	s_waitcnt lgkmcnt(0)
	s_delay_alu instid0(VALU_DEP_1) | instskip(SKIP_1) | instid1(VALU_DEP_2)
	v_mul_f64 v[188:189], v[220:221], v[190:191]
	v_mul_f64 v[212:213], v[218:219], v[190:191]
	v_fma_f64 v[188:189], v[218:219], v[216:217], -v[188:189]
	s_delay_alu instid0(VALU_DEP_2)
	v_fma_f64 v[212:213], v[220:221], v[216:217], v[212:213]
	ds_load_2addr_b64 v[218:221], v214 offset0:18 offset1:19
	v_add_f64 v[184:185], v[184:185], -v[188:189]
	v_add_f64 v[186:187], v[186:187], -v[212:213]
	s_waitcnt lgkmcnt(0)
	v_mul_f64 v[188:189], v[220:221], v[190:191]
	v_mul_f64 v[212:213], v[218:219], v[190:191]
	s_delay_alu instid0(VALU_DEP_2) | instskip(NEXT) | instid1(VALU_DEP_2)
	v_fma_f64 v[188:189], v[218:219], v[216:217], -v[188:189]
	v_fma_f64 v[212:213], v[220:221], v[216:217], v[212:213]
	ds_load_2addr_b64 v[218:221], v214 offset0:20 offset1:21
	v_add_f64 v[180:181], v[180:181], -v[188:189]
	v_add_f64 v[182:183], v[182:183], -v[212:213]
	s_waitcnt lgkmcnt(0)
	v_mul_f64 v[188:189], v[220:221], v[190:191]
	v_mul_f64 v[212:213], v[218:219], v[190:191]
	s_delay_alu instid0(VALU_DEP_2) | instskip(NEXT) | instid1(VALU_DEP_2)
	v_fma_f64 v[188:189], v[218:219], v[216:217], -v[188:189]
	;; [unrolled: 9-line block ×46, first 2 shown]
	v_fma_f64 v[212:213], v[220:221], v[216:217], v[212:213]
	s_delay_alu instid0(VALU_DEP_2) | instskip(NEXT) | instid1(VALU_DEP_2)
	v_add_f64 v[0:1], v[0:1], -v[188:189]
	v_add_f64 v[2:3], v[2:3], -v[212:213]
	v_dual_mov_b32 v188, v216 :: v_dual_mov_b32 v189, v217
.LBB109_73:
	s_or_b32 exec_lo, exec_lo, s3
	s_delay_alu instid0(SALU_CYCLE_1)
	s_mov_b32 s4, exec_lo
	s_waitcnt_vscnt null, 0x0
	s_barrier
	buffer_gl0_inv
	v_cmpx_eq_u32_e32 8, v215
	s_cbranch_execz .LBB109_80
; %bb.74:
	ds_store_2addr_b64 v204, v[184:185], v[186:187] offset1:1
	ds_store_2addr_b64 v214, v[180:181], v[182:183] offset0:18 offset1:19
	ds_store_2addr_b64 v214, v[176:177], v[178:179] offset0:20 offset1:21
	ds_store_2addr_b64 v214, v[172:173], v[174:175] offset0:22 offset1:23
	ds_store_2addr_b64 v214, v[168:169], v[170:171] offset0:24 offset1:25
	ds_store_2addr_b64 v214, v[164:165], v[166:167] offset0:26 offset1:27
	ds_store_2addr_b64 v214, v[160:161], v[162:163] offset0:28 offset1:29
	ds_store_2addr_b64 v214, v[156:157], v[158:159] offset0:30 offset1:31
	ds_store_2addr_b64 v214, v[152:153], v[154:155] offset0:32 offset1:33
	ds_store_2addr_b64 v214, v[148:149], v[150:151] offset0:34 offset1:35
	ds_store_2addr_b64 v214, v[144:145], v[146:147] offset0:36 offset1:37
	ds_store_2addr_b64 v214, v[140:141], v[142:143] offset0:38 offset1:39
	ds_store_2addr_b64 v214, v[136:137], v[138:139] offset0:40 offset1:41
	ds_store_2addr_b64 v214, v[132:133], v[134:135] offset0:42 offset1:43
	ds_store_2addr_b64 v214, v[128:129], v[130:131] offset0:44 offset1:45
	ds_store_2addr_b64 v214, v[124:125], v[126:127] offset0:46 offset1:47
	ds_store_2addr_b64 v214, v[120:121], v[122:123] offset0:48 offset1:49
	ds_store_2addr_b64 v214, v[116:117], v[118:119] offset0:50 offset1:51
	ds_store_2addr_b64 v214, v[112:113], v[114:115] offset0:52 offset1:53
	ds_store_2addr_b64 v214, v[108:109], v[110:111] offset0:54 offset1:55
	ds_store_2addr_b64 v214, v[104:105], v[106:107] offset0:56 offset1:57
	ds_store_2addr_b64 v214, v[100:101], v[102:103] offset0:58 offset1:59
	ds_store_2addr_b64 v214, v[96:97], v[98:99] offset0:60 offset1:61
	ds_store_2addr_b64 v214, v[92:93], v[94:95] offset0:62 offset1:63
	ds_store_2addr_b64 v214, v[88:89], v[90:91] offset0:64 offset1:65
	ds_store_2addr_b64 v214, v[84:85], v[86:87] offset0:66 offset1:67
	ds_store_2addr_b64 v214, v[80:81], v[82:83] offset0:68 offset1:69
	ds_store_2addr_b64 v214, v[76:77], v[78:79] offset0:70 offset1:71
	ds_store_2addr_b64 v214, v[72:73], v[74:75] offset0:72 offset1:73
	ds_store_2addr_b64 v214, v[68:69], v[70:71] offset0:74 offset1:75
	ds_store_2addr_b64 v214, v[64:65], v[66:67] offset0:76 offset1:77
	ds_store_2addr_b64 v214, v[60:61], v[62:63] offset0:78 offset1:79
	ds_store_2addr_b64 v214, v[56:57], v[58:59] offset0:80 offset1:81
	ds_store_2addr_b64 v214, v[52:53], v[54:55] offset0:82 offset1:83
	ds_store_2addr_b64 v214, v[48:49], v[50:51] offset0:84 offset1:85
	ds_store_2addr_b64 v214, v[44:45], v[46:47] offset0:86 offset1:87
	ds_store_2addr_b64 v214, v[40:41], v[42:43] offset0:88 offset1:89
	ds_store_2addr_b64 v214, v[36:37], v[38:39] offset0:90 offset1:91
	ds_store_2addr_b64 v214, v[32:33], v[34:35] offset0:92 offset1:93
	ds_store_2addr_b64 v214, v[28:29], v[30:31] offset0:94 offset1:95
	ds_store_2addr_b64 v214, v[24:25], v[26:27] offset0:96 offset1:97
	ds_store_2addr_b64 v214, v[20:21], v[22:23] offset0:98 offset1:99
	ds_store_2addr_b64 v214, v[16:17], v[18:19] offset0:100 offset1:101
	ds_store_2addr_b64 v214, v[12:13], v[14:15] offset0:102 offset1:103
	ds_store_2addr_b64 v214, v[8:9], v[10:11] offset0:104 offset1:105
	ds_store_2addr_b64 v214, v[4:5], v[6:7] offset0:106 offset1:107
	ds_store_2addr_b64 v214, v[0:1], v[2:3] offset0:108 offset1:109
	ds_load_2addr_b64 v[216:219], v204 offset1:1
	s_waitcnt lgkmcnt(0)
	v_cmp_neq_f64_e32 vcc_lo, 0, v[216:217]
	v_cmp_neq_f64_e64 s3, 0, v[218:219]
	s_delay_alu instid0(VALU_DEP_1) | instskip(NEXT) | instid1(SALU_CYCLE_1)
	s_or_b32 s3, vcc_lo, s3
	s_and_b32 exec_lo, exec_lo, s3
	s_cbranch_execz .LBB109_80
; %bb.75:
	v_cmp_gt_f64_e32 vcc_lo, 0, v[216:217]
	v_xor_b32_e32 v208, 0x80000000, v217
	s_delay_alu instid0(VALU_DEP_1) | instskip(SKIP_3) | instid1(VALU_DEP_1)
	v_cndmask_b32_e32 v213, v217, v208, vcc_lo
	v_cndmask_b32_e32 v212, v216, v216, vcc_lo
	v_cmp_gt_f64_e32 vcc_lo, 0, v[218:219]
	v_xor_b32_e32 v208, 0x80000000, v219
	v_dual_cndmask_b32 v220, v218, v218 :: v_dual_cndmask_b32 v221, v219, v208
	s_delay_alu instid0(VALU_DEP_1) | instskip(SKIP_1) | instid1(SALU_CYCLE_1)
	v_cmp_ngt_f64_e32 vcc_lo, v[212:213], v[220:221]
                                        ; implicit-def: $vgpr212_vgpr213
	s_and_saveexec_b32 s3, vcc_lo
	s_xor_b32 s3, exec_lo, s3
                                        ; implicit-def: $vgpr220_vgpr221_vgpr222_vgpr223
	s_cbranch_execz .LBB109_77
; %bb.76:
	v_div_scale_f64 v[212:213], null, v[218:219], v[218:219], v[216:217]
	v_div_scale_f64 v[224:225], vcc_lo, v[216:217], v[218:219], v[216:217]
	s_delay_alu instid0(VALU_DEP_2) | instskip(SKIP_2) | instid1(VALU_DEP_1)
	v_rcp_f64_e32 v[220:221], v[212:213]
	s_waitcnt_depctr 0xfff
	v_fma_f64 v[222:223], -v[212:213], v[220:221], 1.0
	v_fma_f64 v[220:221], v[220:221], v[222:223], v[220:221]
	s_delay_alu instid0(VALU_DEP_1) | instskip(NEXT) | instid1(VALU_DEP_1)
	v_fma_f64 v[222:223], -v[212:213], v[220:221], 1.0
	v_fma_f64 v[220:221], v[220:221], v[222:223], v[220:221]
	s_delay_alu instid0(VALU_DEP_1) | instskip(NEXT) | instid1(VALU_DEP_1)
	v_mul_f64 v[222:223], v[224:225], v[220:221]
	v_fma_f64 v[212:213], -v[212:213], v[222:223], v[224:225]
	s_delay_alu instid0(VALU_DEP_1) | instskip(NEXT) | instid1(VALU_DEP_1)
	v_div_fmas_f64 v[212:213], v[212:213], v[220:221], v[222:223]
	v_div_fixup_f64 v[212:213], v[212:213], v[218:219], v[216:217]
	s_delay_alu instid0(VALU_DEP_1) | instskip(NEXT) | instid1(VALU_DEP_1)
	v_fma_f64 v[216:217], v[216:217], v[212:213], v[218:219]
	v_div_scale_f64 v[218:219], null, v[216:217], v[216:217], 1.0
	s_delay_alu instid0(VALU_DEP_1) | instskip(SKIP_2) | instid1(VALU_DEP_1)
	v_rcp_f64_e32 v[220:221], v[218:219]
	s_waitcnt_depctr 0xfff
	v_fma_f64 v[222:223], -v[218:219], v[220:221], 1.0
	v_fma_f64 v[220:221], v[220:221], v[222:223], v[220:221]
	s_delay_alu instid0(VALU_DEP_1) | instskip(NEXT) | instid1(VALU_DEP_1)
	v_fma_f64 v[222:223], -v[218:219], v[220:221], 1.0
	v_fma_f64 v[220:221], v[220:221], v[222:223], v[220:221]
	v_div_scale_f64 v[222:223], vcc_lo, 1.0, v[216:217], 1.0
	s_delay_alu instid0(VALU_DEP_1) | instskip(NEXT) | instid1(VALU_DEP_1)
	v_mul_f64 v[224:225], v[222:223], v[220:221]
	v_fma_f64 v[218:219], -v[218:219], v[224:225], v[222:223]
	s_delay_alu instid0(VALU_DEP_1) | instskip(NEXT) | instid1(VALU_DEP_1)
	v_div_fmas_f64 v[218:219], v[218:219], v[220:221], v[224:225]
	v_div_fixup_f64 v[222:223], v[218:219], v[216:217], 1.0
                                        ; implicit-def: $vgpr216_vgpr217
	s_delay_alu instid0(VALU_DEP_1)
	v_mul_f64 v[212:213], v[212:213], v[222:223]
	v_xor_b32_e32 v223, 0x80000000, v223
.LBB109_77:
	s_and_not1_saveexec_b32 s3, s3
	s_cbranch_execz .LBB109_79
; %bb.78:
	v_div_scale_f64 v[212:213], null, v[216:217], v[216:217], v[218:219]
	v_div_scale_f64 v[224:225], vcc_lo, v[218:219], v[216:217], v[218:219]
	s_delay_alu instid0(VALU_DEP_2) | instskip(SKIP_2) | instid1(VALU_DEP_1)
	v_rcp_f64_e32 v[220:221], v[212:213]
	s_waitcnt_depctr 0xfff
	v_fma_f64 v[222:223], -v[212:213], v[220:221], 1.0
	v_fma_f64 v[220:221], v[220:221], v[222:223], v[220:221]
	s_delay_alu instid0(VALU_DEP_1) | instskip(NEXT) | instid1(VALU_DEP_1)
	v_fma_f64 v[222:223], -v[212:213], v[220:221], 1.0
	v_fma_f64 v[220:221], v[220:221], v[222:223], v[220:221]
	s_delay_alu instid0(VALU_DEP_1) | instskip(NEXT) | instid1(VALU_DEP_1)
	v_mul_f64 v[222:223], v[224:225], v[220:221]
	v_fma_f64 v[212:213], -v[212:213], v[222:223], v[224:225]
	s_delay_alu instid0(VALU_DEP_1) | instskip(NEXT) | instid1(VALU_DEP_1)
	v_div_fmas_f64 v[212:213], v[212:213], v[220:221], v[222:223]
	v_div_fixup_f64 v[220:221], v[212:213], v[216:217], v[218:219]
	s_delay_alu instid0(VALU_DEP_1) | instskip(NEXT) | instid1(VALU_DEP_1)
	v_fma_f64 v[212:213], v[218:219], v[220:221], v[216:217]
	v_div_scale_f64 v[216:217], null, v[212:213], v[212:213], 1.0
	s_delay_alu instid0(VALU_DEP_1) | instskip(SKIP_2) | instid1(VALU_DEP_1)
	v_rcp_f64_e32 v[218:219], v[216:217]
	s_waitcnt_depctr 0xfff
	v_fma_f64 v[222:223], -v[216:217], v[218:219], 1.0
	v_fma_f64 v[218:219], v[218:219], v[222:223], v[218:219]
	s_delay_alu instid0(VALU_DEP_1) | instskip(NEXT) | instid1(VALU_DEP_1)
	v_fma_f64 v[222:223], -v[216:217], v[218:219], 1.0
	v_fma_f64 v[218:219], v[218:219], v[222:223], v[218:219]
	v_div_scale_f64 v[222:223], vcc_lo, 1.0, v[212:213], 1.0
	s_delay_alu instid0(VALU_DEP_1) | instskip(NEXT) | instid1(VALU_DEP_1)
	v_mul_f64 v[224:225], v[222:223], v[218:219]
	v_fma_f64 v[216:217], -v[216:217], v[224:225], v[222:223]
	s_delay_alu instid0(VALU_DEP_1) | instskip(NEXT) | instid1(VALU_DEP_1)
	v_div_fmas_f64 v[216:217], v[216:217], v[218:219], v[224:225]
	v_div_fixup_f64 v[212:213], v[216:217], v[212:213], 1.0
	s_delay_alu instid0(VALU_DEP_1)
	v_mul_f64 v[222:223], v[220:221], -v[212:213]
.LBB109_79:
	s_or_b32 exec_lo, exec_lo, s3
	ds_store_2addr_b64 v204, v[212:213], v[222:223] offset1:1
.LBB109_80:
	s_or_b32 exec_lo, exec_lo, s4
	s_waitcnt lgkmcnt(0)
	s_barrier
	buffer_gl0_inv
	ds_load_2addr_b64 v[207:210], v204 offset1:1
	s_mov_b32 s3, exec_lo
	s_waitcnt lgkmcnt(0)
	scratch_store_b128 off, v[207:210], off offset:624 ; 16-byte Folded Spill
	v_cmpx_lt_u32_e32 8, v215
	s_cbranch_execz .LBB109_82
; %bb.81:
	scratch_load_b128 v[207:210], off, off offset:624 ; 16-byte Folded Reload
	ds_load_2addr_b64 v[218:221], v214 offset0:18 offset1:19
	s_waitcnt vmcnt(0)
	v_mul_f64 v[212:213], v[209:210], v[186:187]
	v_mul_f64 v[186:187], v[207:208], v[186:187]
	s_delay_alu instid0(VALU_DEP_2) | instskip(NEXT) | instid1(VALU_DEP_2)
	v_fma_f64 v[216:217], v[207:208], v[184:185], -v[212:213]
	v_fma_f64 v[186:187], v[209:210], v[184:185], v[186:187]
	s_waitcnt lgkmcnt(0)
	s_delay_alu instid0(VALU_DEP_1) | instskip(SKIP_1) | instid1(VALU_DEP_2)
	v_mul_f64 v[184:185], v[220:221], v[186:187]
	v_mul_f64 v[212:213], v[218:219], v[186:187]
	v_fma_f64 v[184:185], v[218:219], v[216:217], -v[184:185]
	s_delay_alu instid0(VALU_DEP_2)
	v_fma_f64 v[212:213], v[220:221], v[216:217], v[212:213]
	ds_load_2addr_b64 v[218:221], v214 offset0:20 offset1:21
	v_add_f64 v[180:181], v[180:181], -v[184:185]
	v_add_f64 v[182:183], v[182:183], -v[212:213]
	s_waitcnt lgkmcnt(0)
	v_mul_f64 v[184:185], v[220:221], v[186:187]
	v_mul_f64 v[212:213], v[218:219], v[186:187]
	s_delay_alu instid0(VALU_DEP_2) | instskip(NEXT) | instid1(VALU_DEP_2)
	v_fma_f64 v[184:185], v[218:219], v[216:217], -v[184:185]
	v_fma_f64 v[212:213], v[220:221], v[216:217], v[212:213]
	ds_load_2addr_b64 v[218:221], v214 offset0:22 offset1:23
	v_add_f64 v[176:177], v[176:177], -v[184:185]
	v_add_f64 v[178:179], v[178:179], -v[212:213]
	s_waitcnt lgkmcnt(0)
	v_mul_f64 v[184:185], v[220:221], v[186:187]
	v_mul_f64 v[212:213], v[218:219], v[186:187]
	s_delay_alu instid0(VALU_DEP_2) | instskip(NEXT) | instid1(VALU_DEP_2)
	v_fma_f64 v[184:185], v[218:219], v[216:217], -v[184:185]
	v_fma_f64 v[212:213], v[220:221], v[216:217], v[212:213]
	ds_load_2addr_b64 v[218:221], v214 offset0:24 offset1:25
	v_add_f64 v[172:173], v[172:173], -v[184:185]
	v_add_f64 v[174:175], v[174:175], -v[212:213]
	s_waitcnt lgkmcnt(0)
	v_mul_f64 v[184:185], v[220:221], v[186:187]
	v_mul_f64 v[212:213], v[218:219], v[186:187]
	s_delay_alu instid0(VALU_DEP_2) | instskip(NEXT) | instid1(VALU_DEP_2)
	v_fma_f64 v[184:185], v[218:219], v[216:217], -v[184:185]
	v_fma_f64 v[212:213], v[220:221], v[216:217], v[212:213]
	ds_load_2addr_b64 v[218:221], v214 offset0:26 offset1:27
	v_add_f64 v[168:169], v[168:169], -v[184:185]
	v_add_f64 v[170:171], v[170:171], -v[212:213]
	s_waitcnt lgkmcnt(0)
	v_mul_f64 v[184:185], v[220:221], v[186:187]
	v_mul_f64 v[212:213], v[218:219], v[186:187]
	s_delay_alu instid0(VALU_DEP_2) | instskip(NEXT) | instid1(VALU_DEP_2)
	v_fma_f64 v[184:185], v[218:219], v[216:217], -v[184:185]
	v_fma_f64 v[212:213], v[220:221], v[216:217], v[212:213]
	ds_load_2addr_b64 v[218:221], v214 offset0:28 offset1:29
	v_add_f64 v[164:165], v[164:165], -v[184:185]
	v_add_f64 v[166:167], v[166:167], -v[212:213]
	s_waitcnt lgkmcnt(0)
	v_mul_f64 v[184:185], v[220:221], v[186:187]
	v_mul_f64 v[212:213], v[218:219], v[186:187]
	s_delay_alu instid0(VALU_DEP_2) | instskip(NEXT) | instid1(VALU_DEP_2)
	v_fma_f64 v[184:185], v[218:219], v[216:217], -v[184:185]
	v_fma_f64 v[212:213], v[220:221], v[216:217], v[212:213]
	ds_load_2addr_b64 v[218:221], v214 offset0:30 offset1:31
	v_add_f64 v[160:161], v[160:161], -v[184:185]
	v_add_f64 v[162:163], v[162:163], -v[212:213]
	s_waitcnt lgkmcnt(0)
	v_mul_f64 v[184:185], v[220:221], v[186:187]
	v_mul_f64 v[212:213], v[218:219], v[186:187]
	s_delay_alu instid0(VALU_DEP_2) | instskip(NEXT) | instid1(VALU_DEP_2)
	v_fma_f64 v[184:185], v[218:219], v[216:217], -v[184:185]
	v_fma_f64 v[212:213], v[220:221], v[216:217], v[212:213]
	ds_load_2addr_b64 v[218:221], v214 offset0:32 offset1:33
	v_add_f64 v[156:157], v[156:157], -v[184:185]
	v_add_f64 v[158:159], v[158:159], -v[212:213]
	s_waitcnt lgkmcnt(0)
	v_mul_f64 v[184:185], v[220:221], v[186:187]
	v_mul_f64 v[212:213], v[218:219], v[186:187]
	s_delay_alu instid0(VALU_DEP_2) | instskip(NEXT) | instid1(VALU_DEP_2)
	v_fma_f64 v[184:185], v[218:219], v[216:217], -v[184:185]
	v_fma_f64 v[212:213], v[220:221], v[216:217], v[212:213]
	ds_load_2addr_b64 v[218:221], v214 offset0:34 offset1:35
	v_add_f64 v[152:153], v[152:153], -v[184:185]
	v_add_f64 v[154:155], v[154:155], -v[212:213]
	s_waitcnt lgkmcnt(0)
	v_mul_f64 v[184:185], v[220:221], v[186:187]
	v_mul_f64 v[212:213], v[218:219], v[186:187]
	s_delay_alu instid0(VALU_DEP_2) | instskip(NEXT) | instid1(VALU_DEP_2)
	v_fma_f64 v[184:185], v[218:219], v[216:217], -v[184:185]
	v_fma_f64 v[212:213], v[220:221], v[216:217], v[212:213]
	ds_load_2addr_b64 v[218:221], v214 offset0:36 offset1:37
	v_add_f64 v[148:149], v[148:149], -v[184:185]
	v_add_f64 v[150:151], v[150:151], -v[212:213]
	s_waitcnt lgkmcnt(0)
	v_mul_f64 v[184:185], v[220:221], v[186:187]
	v_mul_f64 v[212:213], v[218:219], v[186:187]
	s_delay_alu instid0(VALU_DEP_2) | instskip(NEXT) | instid1(VALU_DEP_2)
	v_fma_f64 v[184:185], v[218:219], v[216:217], -v[184:185]
	v_fma_f64 v[212:213], v[220:221], v[216:217], v[212:213]
	ds_load_2addr_b64 v[218:221], v214 offset0:38 offset1:39
	v_add_f64 v[144:145], v[144:145], -v[184:185]
	v_add_f64 v[146:147], v[146:147], -v[212:213]
	s_waitcnt lgkmcnt(0)
	v_mul_f64 v[184:185], v[220:221], v[186:187]
	v_mul_f64 v[212:213], v[218:219], v[186:187]
	s_delay_alu instid0(VALU_DEP_2) | instskip(NEXT) | instid1(VALU_DEP_2)
	v_fma_f64 v[184:185], v[218:219], v[216:217], -v[184:185]
	v_fma_f64 v[212:213], v[220:221], v[216:217], v[212:213]
	ds_load_2addr_b64 v[218:221], v214 offset0:40 offset1:41
	v_add_f64 v[140:141], v[140:141], -v[184:185]
	v_add_f64 v[142:143], v[142:143], -v[212:213]
	s_waitcnt lgkmcnt(0)
	v_mul_f64 v[184:185], v[220:221], v[186:187]
	v_mul_f64 v[212:213], v[218:219], v[186:187]
	s_delay_alu instid0(VALU_DEP_2) | instskip(NEXT) | instid1(VALU_DEP_2)
	v_fma_f64 v[184:185], v[218:219], v[216:217], -v[184:185]
	v_fma_f64 v[212:213], v[220:221], v[216:217], v[212:213]
	ds_load_2addr_b64 v[218:221], v214 offset0:42 offset1:43
	v_add_f64 v[136:137], v[136:137], -v[184:185]
	v_add_f64 v[138:139], v[138:139], -v[212:213]
	s_waitcnt lgkmcnt(0)
	v_mul_f64 v[184:185], v[220:221], v[186:187]
	v_mul_f64 v[212:213], v[218:219], v[186:187]
	s_delay_alu instid0(VALU_DEP_2) | instskip(NEXT) | instid1(VALU_DEP_2)
	v_fma_f64 v[184:185], v[218:219], v[216:217], -v[184:185]
	v_fma_f64 v[212:213], v[220:221], v[216:217], v[212:213]
	ds_load_2addr_b64 v[218:221], v214 offset0:44 offset1:45
	v_add_f64 v[132:133], v[132:133], -v[184:185]
	v_add_f64 v[134:135], v[134:135], -v[212:213]
	s_waitcnt lgkmcnt(0)
	v_mul_f64 v[184:185], v[220:221], v[186:187]
	v_mul_f64 v[212:213], v[218:219], v[186:187]
	s_delay_alu instid0(VALU_DEP_2) | instskip(NEXT) | instid1(VALU_DEP_2)
	v_fma_f64 v[184:185], v[218:219], v[216:217], -v[184:185]
	v_fma_f64 v[212:213], v[220:221], v[216:217], v[212:213]
	ds_load_2addr_b64 v[218:221], v214 offset0:46 offset1:47
	v_add_f64 v[128:129], v[128:129], -v[184:185]
	v_add_f64 v[130:131], v[130:131], -v[212:213]
	s_waitcnt lgkmcnt(0)
	v_mul_f64 v[184:185], v[220:221], v[186:187]
	v_mul_f64 v[212:213], v[218:219], v[186:187]
	s_delay_alu instid0(VALU_DEP_2) | instskip(NEXT) | instid1(VALU_DEP_2)
	v_fma_f64 v[184:185], v[218:219], v[216:217], -v[184:185]
	v_fma_f64 v[212:213], v[220:221], v[216:217], v[212:213]
	ds_load_2addr_b64 v[218:221], v214 offset0:48 offset1:49
	v_add_f64 v[124:125], v[124:125], -v[184:185]
	v_add_f64 v[126:127], v[126:127], -v[212:213]
	s_waitcnt lgkmcnt(0)
	v_mul_f64 v[184:185], v[220:221], v[186:187]
	v_mul_f64 v[212:213], v[218:219], v[186:187]
	s_delay_alu instid0(VALU_DEP_2) | instskip(NEXT) | instid1(VALU_DEP_2)
	v_fma_f64 v[184:185], v[218:219], v[216:217], -v[184:185]
	v_fma_f64 v[212:213], v[220:221], v[216:217], v[212:213]
	ds_load_2addr_b64 v[218:221], v214 offset0:50 offset1:51
	v_add_f64 v[120:121], v[120:121], -v[184:185]
	v_add_f64 v[122:123], v[122:123], -v[212:213]
	s_waitcnt lgkmcnt(0)
	v_mul_f64 v[184:185], v[220:221], v[186:187]
	v_mul_f64 v[212:213], v[218:219], v[186:187]
	s_delay_alu instid0(VALU_DEP_2) | instskip(NEXT) | instid1(VALU_DEP_2)
	v_fma_f64 v[184:185], v[218:219], v[216:217], -v[184:185]
	v_fma_f64 v[212:213], v[220:221], v[216:217], v[212:213]
	ds_load_2addr_b64 v[218:221], v214 offset0:52 offset1:53
	v_add_f64 v[116:117], v[116:117], -v[184:185]
	v_add_f64 v[118:119], v[118:119], -v[212:213]
	s_waitcnt lgkmcnt(0)
	v_mul_f64 v[184:185], v[220:221], v[186:187]
	v_mul_f64 v[212:213], v[218:219], v[186:187]
	s_delay_alu instid0(VALU_DEP_2) | instskip(NEXT) | instid1(VALU_DEP_2)
	v_fma_f64 v[184:185], v[218:219], v[216:217], -v[184:185]
	v_fma_f64 v[212:213], v[220:221], v[216:217], v[212:213]
	ds_load_2addr_b64 v[218:221], v214 offset0:54 offset1:55
	v_add_f64 v[112:113], v[112:113], -v[184:185]
	v_add_f64 v[114:115], v[114:115], -v[212:213]
	s_waitcnt lgkmcnt(0)
	v_mul_f64 v[184:185], v[220:221], v[186:187]
	v_mul_f64 v[212:213], v[218:219], v[186:187]
	s_delay_alu instid0(VALU_DEP_2) | instskip(NEXT) | instid1(VALU_DEP_2)
	v_fma_f64 v[184:185], v[218:219], v[216:217], -v[184:185]
	v_fma_f64 v[212:213], v[220:221], v[216:217], v[212:213]
	ds_load_2addr_b64 v[218:221], v214 offset0:56 offset1:57
	v_add_f64 v[108:109], v[108:109], -v[184:185]
	v_add_f64 v[110:111], v[110:111], -v[212:213]
	s_waitcnt lgkmcnt(0)
	v_mul_f64 v[184:185], v[220:221], v[186:187]
	v_mul_f64 v[212:213], v[218:219], v[186:187]
	s_delay_alu instid0(VALU_DEP_2) | instskip(NEXT) | instid1(VALU_DEP_2)
	v_fma_f64 v[184:185], v[218:219], v[216:217], -v[184:185]
	v_fma_f64 v[212:213], v[220:221], v[216:217], v[212:213]
	ds_load_2addr_b64 v[218:221], v214 offset0:58 offset1:59
	v_add_f64 v[104:105], v[104:105], -v[184:185]
	v_add_f64 v[106:107], v[106:107], -v[212:213]
	s_waitcnt lgkmcnt(0)
	v_mul_f64 v[184:185], v[220:221], v[186:187]
	v_mul_f64 v[212:213], v[218:219], v[186:187]
	s_delay_alu instid0(VALU_DEP_2) | instskip(NEXT) | instid1(VALU_DEP_2)
	v_fma_f64 v[184:185], v[218:219], v[216:217], -v[184:185]
	v_fma_f64 v[212:213], v[220:221], v[216:217], v[212:213]
	ds_load_2addr_b64 v[218:221], v214 offset0:60 offset1:61
	v_add_f64 v[100:101], v[100:101], -v[184:185]
	v_add_f64 v[102:103], v[102:103], -v[212:213]
	s_waitcnt lgkmcnt(0)
	v_mul_f64 v[184:185], v[220:221], v[186:187]
	v_mul_f64 v[212:213], v[218:219], v[186:187]
	s_delay_alu instid0(VALU_DEP_2) | instskip(NEXT) | instid1(VALU_DEP_2)
	v_fma_f64 v[184:185], v[218:219], v[216:217], -v[184:185]
	v_fma_f64 v[212:213], v[220:221], v[216:217], v[212:213]
	ds_load_2addr_b64 v[218:221], v214 offset0:62 offset1:63
	v_add_f64 v[96:97], v[96:97], -v[184:185]
	v_add_f64 v[98:99], v[98:99], -v[212:213]
	s_waitcnt lgkmcnt(0)
	v_mul_f64 v[184:185], v[220:221], v[186:187]
	v_mul_f64 v[212:213], v[218:219], v[186:187]
	s_delay_alu instid0(VALU_DEP_2) | instskip(NEXT) | instid1(VALU_DEP_2)
	v_fma_f64 v[184:185], v[218:219], v[216:217], -v[184:185]
	v_fma_f64 v[212:213], v[220:221], v[216:217], v[212:213]
	ds_load_2addr_b64 v[218:221], v214 offset0:64 offset1:65
	v_add_f64 v[92:93], v[92:93], -v[184:185]
	v_add_f64 v[94:95], v[94:95], -v[212:213]
	s_waitcnt lgkmcnt(0)
	v_mul_f64 v[184:185], v[220:221], v[186:187]
	v_mul_f64 v[212:213], v[218:219], v[186:187]
	s_delay_alu instid0(VALU_DEP_2) | instskip(NEXT) | instid1(VALU_DEP_2)
	v_fma_f64 v[184:185], v[218:219], v[216:217], -v[184:185]
	v_fma_f64 v[212:213], v[220:221], v[216:217], v[212:213]
	ds_load_2addr_b64 v[218:221], v214 offset0:66 offset1:67
	v_add_f64 v[88:89], v[88:89], -v[184:185]
	v_add_f64 v[90:91], v[90:91], -v[212:213]
	s_waitcnt lgkmcnt(0)
	v_mul_f64 v[184:185], v[220:221], v[186:187]
	v_mul_f64 v[212:213], v[218:219], v[186:187]
	s_delay_alu instid0(VALU_DEP_2) | instskip(NEXT) | instid1(VALU_DEP_2)
	v_fma_f64 v[184:185], v[218:219], v[216:217], -v[184:185]
	v_fma_f64 v[212:213], v[220:221], v[216:217], v[212:213]
	ds_load_2addr_b64 v[218:221], v214 offset0:68 offset1:69
	v_add_f64 v[84:85], v[84:85], -v[184:185]
	v_add_f64 v[86:87], v[86:87], -v[212:213]
	s_waitcnt lgkmcnt(0)
	v_mul_f64 v[184:185], v[220:221], v[186:187]
	v_mul_f64 v[212:213], v[218:219], v[186:187]
	s_delay_alu instid0(VALU_DEP_2) | instskip(NEXT) | instid1(VALU_DEP_2)
	v_fma_f64 v[184:185], v[218:219], v[216:217], -v[184:185]
	v_fma_f64 v[212:213], v[220:221], v[216:217], v[212:213]
	ds_load_2addr_b64 v[218:221], v214 offset0:70 offset1:71
	v_add_f64 v[80:81], v[80:81], -v[184:185]
	v_add_f64 v[82:83], v[82:83], -v[212:213]
	s_waitcnt lgkmcnt(0)
	v_mul_f64 v[184:185], v[220:221], v[186:187]
	v_mul_f64 v[212:213], v[218:219], v[186:187]
	s_delay_alu instid0(VALU_DEP_2) | instskip(NEXT) | instid1(VALU_DEP_2)
	v_fma_f64 v[184:185], v[218:219], v[216:217], -v[184:185]
	v_fma_f64 v[212:213], v[220:221], v[216:217], v[212:213]
	ds_load_2addr_b64 v[218:221], v214 offset0:72 offset1:73
	v_add_f64 v[76:77], v[76:77], -v[184:185]
	v_add_f64 v[78:79], v[78:79], -v[212:213]
	s_waitcnt lgkmcnt(0)
	v_mul_f64 v[184:185], v[220:221], v[186:187]
	v_mul_f64 v[212:213], v[218:219], v[186:187]
	s_delay_alu instid0(VALU_DEP_2) | instskip(NEXT) | instid1(VALU_DEP_2)
	v_fma_f64 v[184:185], v[218:219], v[216:217], -v[184:185]
	v_fma_f64 v[212:213], v[220:221], v[216:217], v[212:213]
	ds_load_2addr_b64 v[218:221], v214 offset0:74 offset1:75
	v_add_f64 v[72:73], v[72:73], -v[184:185]
	v_add_f64 v[74:75], v[74:75], -v[212:213]
	s_waitcnt lgkmcnt(0)
	v_mul_f64 v[184:185], v[220:221], v[186:187]
	v_mul_f64 v[212:213], v[218:219], v[186:187]
	s_delay_alu instid0(VALU_DEP_2) | instskip(NEXT) | instid1(VALU_DEP_2)
	v_fma_f64 v[184:185], v[218:219], v[216:217], -v[184:185]
	v_fma_f64 v[212:213], v[220:221], v[216:217], v[212:213]
	ds_load_2addr_b64 v[218:221], v214 offset0:76 offset1:77
	v_add_f64 v[68:69], v[68:69], -v[184:185]
	v_add_f64 v[70:71], v[70:71], -v[212:213]
	s_waitcnt lgkmcnt(0)
	v_mul_f64 v[184:185], v[220:221], v[186:187]
	v_mul_f64 v[212:213], v[218:219], v[186:187]
	s_delay_alu instid0(VALU_DEP_2) | instskip(NEXT) | instid1(VALU_DEP_2)
	v_fma_f64 v[184:185], v[218:219], v[216:217], -v[184:185]
	v_fma_f64 v[212:213], v[220:221], v[216:217], v[212:213]
	ds_load_2addr_b64 v[218:221], v214 offset0:78 offset1:79
	v_add_f64 v[64:65], v[64:65], -v[184:185]
	v_add_f64 v[66:67], v[66:67], -v[212:213]
	s_waitcnt lgkmcnt(0)
	v_mul_f64 v[184:185], v[220:221], v[186:187]
	v_mul_f64 v[212:213], v[218:219], v[186:187]
	s_delay_alu instid0(VALU_DEP_2) | instskip(NEXT) | instid1(VALU_DEP_2)
	v_fma_f64 v[184:185], v[218:219], v[216:217], -v[184:185]
	v_fma_f64 v[212:213], v[220:221], v[216:217], v[212:213]
	ds_load_2addr_b64 v[218:221], v214 offset0:80 offset1:81
	v_add_f64 v[60:61], v[60:61], -v[184:185]
	v_add_f64 v[62:63], v[62:63], -v[212:213]
	s_waitcnt lgkmcnt(0)
	v_mul_f64 v[184:185], v[220:221], v[186:187]
	v_mul_f64 v[212:213], v[218:219], v[186:187]
	s_delay_alu instid0(VALU_DEP_2) | instskip(NEXT) | instid1(VALU_DEP_2)
	v_fma_f64 v[184:185], v[218:219], v[216:217], -v[184:185]
	v_fma_f64 v[212:213], v[220:221], v[216:217], v[212:213]
	ds_load_2addr_b64 v[218:221], v214 offset0:82 offset1:83
	v_add_f64 v[56:57], v[56:57], -v[184:185]
	v_add_f64 v[58:59], v[58:59], -v[212:213]
	s_waitcnt lgkmcnt(0)
	v_mul_f64 v[184:185], v[220:221], v[186:187]
	v_mul_f64 v[212:213], v[218:219], v[186:187]
	s_delay_alu instid0(VALU_DEP_2) | instskip(NEXT) | instid1(VALU_DEP_2)
	v_fma_f64 v[184:185], v[218:219], v[216:217], -v[184:185]
	v_fma_f64 v[212:213], v[220:221], v[216:217], v[212:213]
	ds_load_2addr_b64 v[218:221], v214 offset0:84 offset1:85
	v_add_f64 v[52:53], v[52:53], -v[184:185]
	v_add_f64 v[54:55], v[54:55], -v[212:213]
	s_waitcnt lgkmcnt(0)
	v_mul_f64 v[184:185], v[220:221], v[186:187]
	v_mul_f64 v[212:213], v[218:219], v[186:187]
	s_delay_alu instid0(VALU_DEP_2) | instskip(NEXT) | instid1(VALU_DEP_2)
	v_fma_f64 v[184:185], v[218:219], v[216:217], -v[184:185]
	v_fma_f64 v[212:213], v[220:221], v[216:217], v[212:213]
	ds_load_2addr_b64 v[218:221], v214 offset0:86 offset1:87
	v_add_f64 v[48:49], v[48:49], -v[184:185]
	v_add_f64 v[50:51], v[50:51], -v[212:213]
	s_waitcnt lgkmcnt(0)
	v_mul_f64 v[184:185], v[220:221], v[186:187]
	v_mul_f64 v[212:213], v[218:219], v[186:187]
	s_delay_alu instid0(VALU_DEP_2) | instskip(NEXT) | instid1(VALU_DEP_2)
	v_fma_f64 v[184:185], v[218:219], v[216:217], -v[184:185]
	v_fma_f64 v[212:213], v[220:221], v[216:217], v[212:213]
	ds_load_2addr_b64 v[218:221], v214 offset0:88 offset1:89
	v_add_f64 v[44:45], v[44:45], -v[184:185]
	v_add_f64 v[46:47], v[46:47], -v[212:213]
	s_waitcnt lgkmcnt(0)
	v_mul_f64 v[184:185], v[220:221], v[186:187]
	v_mul_f64 v[212:213], v[218:219], v[186:187]
	s_delay_alu instid0(VALU_DEP_2) | instskip(NEXT) | instid1(VALU_DEP_2)
	v_fma_f64 v[184:185], v[218:219], v[216:217], -v[184:185]
	v_fma_f64 v[212:213], v[220:221], v[216:217], v[212:213]
	ds_load_2addr_b64 v[218:221], v214 offset0:90 offset1:91
	v_add_f64 v[40:41], v[40:41], -v[184:185]
	v_add_f64 v[42:43], v[42:43], -v[212:213]
	s_waitcnt lgkmcnt(0)
	v_mul_f64 v[184:185], v[220:221], v[186:187]
	v_mul_f64 v[212:213], v[218:219], v[186:187]
	s_delay_alu instid0(VALU_DEP_2) | instskip(NEXT) | instid1(VALU_DEP_2)
	v_fma_f64 v[184:185], v[218:219], v[216:217], -v[184:185]
	v_fma_f64 v[212:213], v[220:221], v[216:217], v[212:213]
	ds_load_2addr_b64 v[218:221], v214 offset0:92 offset1:93
	v_add_f64 v[36:37], v[36:37], -v[184:185]
	v_add_f64 v[38:39], v[38:39], -v[212:213]
	s_waitcnt lgkmcnt(0)
	v_mul_f64 v[184:185], v[220:221], v[186:187]
	v_mul_f64 v[212:213], v[218:219], v[186:187]
	s_delay_alu instid0(VALU_DEP_2) | instskip(NEXT) | instid1(VALU_DEP_2)
	v_fma_f64 v[184:185], v[218:219], v[216:217], -v[184:185]
	v_fma_f64 v[212:213], v[220:221], v[216:217], v[212:213]
	ds_load_2addr_b64 v[218:221], v214 offset0:94 offset1:95
	v_add_f64 v[32:33], v[32:33], -v[184:185]
	v_add_f64 v[34:35], v[34:35], -v[212:213]
	s_waitcnt lgkmcnt(0)
	v_mul_f64 v[184:185], v[220:221], v[186:187]
	v_mul_f64 v[212:213], v[218:219], v[186:187]
	s_delay_alu instid0(VALU_DEP_2) | instskip(NEXT) | instid1(VALU_DEP_2)
	v_fma_f64 v[184:185], v[218:219], v[216:217], -v[184:185]
	v_fma_f64 v[212:213], v[220:221], v[216:217], v[212:213]
	ds_load_2addr_b64 v[218:221], v214 offset0:96 offset1:97
	v_add_f64 v[28:29], v[28:29], -v[184:185]
	v_add_f64 v[30:31], v[30:31], -v[212:213]
	s_waitcnt lgkmcnt(0)
	v_mul_f64 v[184:185], v[220:221], v[186:187]
	v_mul_f64 v[212:213], v[218:219], v[186:187]
	s_delay_alu instid0(VALU_DEP_2) | instskip(NEXT) | instid1(VALU_DEP_2)
	v_fma_f64 v[184:185], v[218:219], v[216:217], -v[184:185]
	v_fma_f64 v[212:213], v[220:221], v[216:217], v[212:213]
	ds_load_2addr_b64 v[218:221], v214 offset0:98 offset1:99
	v_add_f64 v[24:25], v[24:25], -v[184:185]
	v_add_f64 v[26:27], v[26:27], -v[212:213]
	s_waitcnt lgkmcnt(0)
	v_mul_f64 v[184:185], v[220:221], v[186:187]
	v_mul_f64 v[212:213], v[218:219], v[186:187]
	s_delay_alu instid0(VALU_DEP_2) | instskip(NEXT) | instid1(VALU_DEP_2)
	v_fma_f64 v[184:185], v[218:219], v[216:217], -v[184:185]
	v_fma_f64 v[212:213], v[220:221], v[216:217], v[212:213]
	ds_load_2addr_b64 v[218:221], v214 offset0:100 offset1:101
	v_add_f64 v[20:21], v[20:21], -v[184:185]
	v_add_f64 v[22:23], v[22:23], -v[212:213]
	s_waitcnt lgkmcnt(0)
	v_mul_f64 v[184:185], v[220:221], v[186:187]
	v_mul_f64 v[212:213], v[218:219], v[186:187]
	s_delay_alu instid0(VALU_DEP_2) | instskip(NEXT) | instid1(VALU_DEP_2)
	v_fma_f64 v[184:185], v[218:219], v[216:217], -v[184:185]
	v_fma_f64 v[212:213], v[220:221], v[216:217], v[212:213]
	ds_load_2addr_b64 v[218:221], v214 offset0:102 offset1:103
	v_add_f64 v[16:17], v[16:17], -v[184:185]
	v_add_f64 v[18:19], v[18:19], -v[212:213]
	s_waitcnt lgkmcnt(0)
	v_mul_f64 v[184:185], v[220:221], v[186:187]
	v_mul_f64 v[212:213], v[218:219], v[186:187]
	s_delay_alu instid0(VALU_DEP_2) | instskip(NEXT) | instid1(VALU_DEP_2)
	v_fma_f64 v[184:185], v[218:219], v[216:217], -v[184:185]
	v_fma_f64 v[212:213], v[220:221], v[216:217], v[212:213]
	ds_load_2addr_b64 v[218:221], v214 offset0:104 offset1:105
	v_add_f64 v[12:13], v[12:13], -v[184:185]
	v_add_f64 v[14:15], v[14:15], -v[212:213]
	s_waitcnt lgkmcnt(0)
	v_mul_f64 v[184:185], v[220:221], v[186:187]
	v_mul_f64 v[212:213], v[218:219], v[186:187]
	s_delay_alu instid0(VALU_DEP_2) | instskip(NEXT) | instid1(VALU_DEP_2)
	v_fma_f64 v[184:185], v[218:219], v[216:217], -v[184:185]
	v_fma_f64 v[212:213], v[220:221], v[216:217], v[212:213]
	ds_load_2addr_b64 v[218:221], v214 offset0:106 offset1:107
	v_add_f64 v[8:9], v[8:9], -v[184:185]
	v_add_f64 v[10:11], v[10:11], -v[212:213]
	s_waitcnt lgkmcnt(0)
	v_mul_f64 v[184:185], v[220:221], v[186:187]
	v_mul_f64 v[212:213], v[218:219], v[186:187]
	s_delay_alu instid0(VALU_DEP_2) | instskip(NEXT) | instid1(VALU_DEP_2)
	v_fma_f64 v[184:185], v[218:219], v[216:217], -v[184:185]
	v_fma_f64 v[212:213], v[220:221], v[216:217], v[212:213]
	ds_load_2addr_b64 v[218:221], v214 offset0:108 offset1:109
	v_add_f64 v[4:5], v[4:5], -v[184:185]
	v_add_f64 v[6:7], v[6:7], -v[212:213]
	s_waitcnt lgkmcnt(0)
	v_mul_f64 v[184:185], v[220:221], v[186:187]
	v_mul_f64 v[212:213], v[218:219], v[186:187]
	s_delay_alu instid0(VALU_DEP_2) | instskip(NEXT) | instid1(VALU_DEP_2)
	v_fma_f64 v[184:185], v[218:219], v[216:217], -v[184:185]
	v_fma_f64 v[212:213], v[220:221], v[216:217], v[212:213]
	s_delay_alu instid0(VALU_DEP_2) | instskip(NEXT) | instid1(VALU_DEP_2)
	v_add_f64 v[0:1], v[0:1], -v[184:185]
	v_add_f64 v[2:3], v[2:3], -v[212:213]
	v_dual_mov_b32 v184, v216 :: v_dual_mov_b32 v185, v217
.LBB109_82:
	s_or_b32 exec_lo, exec_lo, s3
	s_delay_alu instid0(SALU_CYCLE_1)
	s_mov_b32 s4, exec_lo
	s_waitcnt_vscnt null, 0x0
	s_barrier
	buffer_gl0_inv
	v_cmpx_eq_u32_e32 9, v215
	s_cbranch_execz .LBB109_89
; %bb.83:
	ds_store_2addr_b64 v204, v[180:181], v[182:183] offset1:1
	ds_store_2addr_b64 v214, v[176:177], v[178:179] offset0:20 offset1:21
	ds_store_2addr_b64 v214, v[172:173], v[174:175] offset0:22 offset1:23
	;; [unrolled: 1-line block ×45, first 2 shown]
	ds_load_2addr_b64 v[216:219], v204 offset1:1
	s_waitcnt lgkmcnt(0)
	v_cmp_neq_f64_e32 vcc_lo, 0, v[216:217]
	v_cmp_neq_f64_e64 s3, 0, v[218:219]
	s_delay_alu instid0(VALU_DEP_1) | instskip(NEXT) | instid1(SALU_CYCLE_1)
	s_or_b32 s3, vcc_lo, s3
	s_and_b32 exec_lo, exec_lo, s3
	s_cbranch_execz .LBB109_89
; %bb.84:
	v_cmp_gt_f64_e32 vcc_lo, 0, v[216:217]
	v_xor_b32_e32 v208, 0x80000000, v217
	s_delay_alu instid0(VALU_DEP_1) | instskip(SKIP_3) | instid1(VALU_DEP_1)
	v_cndmask_b32_e32 v213, v217, v208, vcc_lo
	v_cndmask_b32_e32 v212, v216, v216, vcc_lo
	v_cmp_gt_f64_e32 vcc_lo, 0, v[218:219]
	v_xor_b32_e32 v208, 0x80000000, v219
	v_dual_cndmask_b32 v220, v218, v218 :: v_dual_cndmask_b32 v221, v219, v208
	s_delay_alu instid0(VALU_DEP_1) | instskip(SKIP_1) | instid1(SALU_CYCLE_1)
	v_cmp_ngt_f64_e32 vcc_lo, v[212:213], v[220:221]
                                        ; implicit-def: $vgpr212_vgpr213
	s_and_saveexec_b32 s3, vcc_lo
	s_xor_b32 s3, exec_lo, s3
                                        ; implicit-def: $vgpr220_vgpr221_vgpr222_vgpr223
	s_cbranch_execz .LBB109_86
; %bb.85:
	v_div_scale_f64 v[212:213], null, v[218:219], v[218:219], v[216:217]
	v_div_scale_f64 v[224:225], vcc_lo, v[216:217], v[218:219], v[216:217]
	s_delay_alu instid0(VALU_DEP_2) | instskip(SKIP_2) | instid1(VALU_DEP_1)
	v_rcp_f64_e32 v[220:221], v[212:213]
	s_waitcnt_depctr 0xfff
	v_fma_f64 v[222:223], -v[212:213], v[220:221], 1.0
	v_fma_f64 v[220:221], v[220:221], v[222:223], v[220:221]
	s_delay_alu instid0(VALU_DEP_1) | instskip(NEXT) | instid1(VALU_DEP_1)
	v_fma_f64 v[222:223], -v[212:213], v[220:221], 1.0
	v_fma_f64 v[220:221], v[220:221], v[222:223], v[220:221]
	s_delay_alu instid0(VALU_DEP_1) | instskip(NEXT) | instid1(VALU_DEP_1)
	v_mul_f64 v[222:223], v[224:225], v[220:221]
	v_fma_f64 v[212:213], -v[212:213], v[222:223], v[224:225]
	s_delay_alu instid0(VALU_DEP_1) | instskip(NEXT) | instid1(VALU_DEP_1)
	v_div_fmas_f64 v[212:213], v[212:213], v[220:221], v[222:223]
	v_div_fixup_f64 v[212:213], v[212:213], v[218:219], v[216:217]
	s_delay_alu instid0(VALU_DEP_1) | instskip(NEXT) | instid1(VALU_DEP_1)
	v_fma_f64 v[216:217], v[216:217], v[212:213], v[218:219]
	v_div_scale_f64 v[218:219], null, v[216:217], v[216:217], 1.0
	s_delay_alu instid0(VALU_DEP_1) | instskip(SKIP_2) | instid1(VALU_DEP_1)
	v_rcp_f64_e32 v[220:221], v[218:219]
	s_waitcnt_depctr 0xfff
	v_fma_f64 v[222:223], -v[218:219], v[220:221], 1.0
	v_fma_f64 v[220:221], v[220:221], v[222:223], v[220:221]
	s_delay_alu instid0(VALU_DEP_1) | instskip(NEXT) | instid1(VALU_DEP_1)
	v_fma_f64 v[222:223], -v[218:219], v[220:221], 1.0
	v_fma_f64 v[220:221], v[220:221], v[222:223], v[220:221]
	v_div_scale_f64 v[222:223], vcc_lo, 1.0, v[216:217], 1.0
	s_delay_alu instid0(VALU_DEP_1) | instskip(NEXT) | instid1(VALU_DEP_1)
	v_mul_f64 v[224:225], v[222:223], v[220:221]
	v_fma_f64 v[218:219], -v[218:219], v[224:225], v[222:223]
	s_delay_alu instid0(VALU_DEP_1) | instskip(NEXT) | instid1(VALU_DEP_1)
	v_div_fmas_f64 v[218:219], v[218:219], v[220:221], v[224:225]
	v_div_fixup_f64 v[222:223], v[218:219], v[216:217], 1.0
                                        ; implicit-def: $vgpr216_vgpr217
	s_delay_alu instid0(VALU_DEP_1)
	v_mul_f64 v[212:213], v[212:213], v[222:223]
	v_xor_b32_e32 v223, 0x80000000, v223
.LBB109_86:
	s_and_not1_saveexec_b32 s3, s3
	s_cbranch_execz .LBB109_88
; %bb.87:
	v_div_scale_f64 v[212:213], null, v[216:217], v[216:217], v[218:219]
	v_div_scale_f64 v[224:225], vcc_lo, v[218:219], v[216:217], v[218:219]
	s_delay_alu instid0(VALU_DEP_2) | instskip(SKIP_2) | instid1(VALU_DEP_1)
	v_rcp_f64_e32 v[220:221], v[212:213]
	s_waitcnt_depctr 0xfff
	v_fma_f64 v[222:223], -v[212:213], v[220:221], 1.0
	v_fma_f64 v[220:221], v[220:221], v[222:223], v[220:221]
	s_delay_alu instid0(VALU_DEP_1) | instskip(NEXT) | instid1(VALU_DEP_1)
	v_fma_f64 v[222:223], -v[212:213], v[220:221], 1.0
	v_fma_f64 v[220:221], v[220:221], v[222:223], v[220:221]
	s_delay_alu instid0(VALU_DEP_1) | instskip(NEXT) | instid1(VALU_DEP_1)
	v_mul_f64 v[222:223], v[224:225], v[220:221]
	v_fma_f64 v[212:213], -v[212:213], v[222:223], v[224:225]
	s_delay_alu instid0(VALU_DEP_1) | instskip(NEXT) | instid1(VALU_DEP_1)
	v_div_fmas_f64 v[212:213], v[212:213], v[220:221], v[222:223]
	v_div_fixup_f64 v[220:221], v[212:213], v[216:217], v[218:219]
	s_delay_alu instid0(VALU_DEP_1) | instskip(NEXT) | instid1(VALU_DEP_1)
	v_fma_f64 v[212:213], v[218:219], v[220:221], v[216:217]
	v_div_scale_f64 v[216:217], null, v[212:213], v[212:213], 1.0
	s_delay_alu instid0(VALU_DEP_1) | instskip(SKIP_2) | instid1(VALU_DEP_1)
	v_rcp_f64_e32 v[218:219], v[216:217]
	s_waitcnt_depctr 0xfff
	v_fma_f64 v[222:223], -v[216:217], v[218:219], 1.0
	v_fma_f64 v[218:219], v[218:219], v[222:223], v[218:219]
	s_delay_alu instid0(VALU_DEP_1) | instskip(NEXT) | instid1(VALU_DEP_1)
	v_fma_f64 v[222:223], -v[216:217], v[218:219], 1.0
	v_fma_f64 v[218:219], v[218:219], v[222:223], v[218:219]
	v_div_scale_f64 v[222:223], vcc_lo, 1.0, v[212:213], 1.0
	s_delay_alu instid0(VALU_DEP_1) | instskip(NEXT) | instid1(VALU_DEP_1)
	v_mul_f64 v[224:225], v[222:223], v[218:219]
	v_fma_f64 v[216:217], -v[216:217], v[224:225], v[222:223]
	s_delay_alu instid0(VALU_DEP_1) | instskip(NEXT) | instid1(VALU_DEP_1)
	v_div_fmas_f64 v[216:217], v[216:217], v[218:219], v[224:225]
	v_div_fixup_f64 v[212:213], v[216:217], v[212:213], 1.0
	s_delay_alu instid0(VALU_DEP_1)
	v_mul_f64 v[222:223], v[220:221], -v[212:213]
.LBB109_88:
	s_or_b32 exec_lo, exec_lo, s3
	ds_store_2addr_b64 v204, v[212:213], v[222:223] offset1:1
.LBB109_89:
	s_or_b32 exec_lo, exec_lo, s4
	s_waitcnt lgkmcnt(0)
	s_barrier
	buffer_gl0_inv
	ds_load_2addr_b64 v[207:210], v204 offset1:1
	s_mov_b32 s3, exec_lo
	s_waitcnt lgkmcnt(0)
	scratch_store_b128 off, v[207:210], off offset:640 ; 16-byte Folded Spill
	v_cmpx_lt_u32_e32 9, v215
	s_cbranch_execz .LBB109_91
; %bb.90:
	scratch_load_b128 v[207:210], off, off offset:640 ; 16-byte Folded Reload
	ds_load_2addr_b64 v[218:221], v214 offset0:20 offset1:21
	s_waitcnt vmcnt(0)
	v_mul_f64 v[212:213], v[209:210], v[182:183]
	v_mul_f64 v[182:183], v[207:208], v[182:183]
	s_delay_alu instid0(VALU_DEP_2) | instskip(NEXT) | instid1(VALU_DEP_2)
	v_fma_f64 v[216:217], v[207:208], v[180:181], -v[212:213]
	v_fma_f64 v[182:183], v[209:210], v[180:181], v[182:183]
	s_waitcnt lgkmcnt(0)
	s_delay_alu instid0(VALU_DEP_1) | instskip(SKIP_1) | instid1(VALU_DEP_2)
	v_mul_f64 v[180:181], v[220:221], v[182:183]
	v_mul_f64 v[212:213], v[218:219], v[182:183]
	v_fma_f64 v[180:181], v[218:219], v[216:217], -v[180:181]
	s_delay_alu instid0(VALU_DEP_2)
	v_fma_f64 v[212:213], v[220:221], v[216:217], v[212:213]
	ds_load_2addr_b64 v[218:221], v214 offset0:22 offset1:23
	v_add_f64 v[176:177], v[176:177], -v[180:181]
	v_add_f64 v[178:179], v[178:179], -v[212:213]
	s_waitcnt lgkmcnt(0)
	v_mul_f64 v[180:181], v[220:221], v[182:183]
	v_mul_f64 v[212:213], v[218:219], v[182:183]
	s_delay_alu instid0(VALU_DEP_2) | instskip(NEXT) | instid1(VALU_DEP_2)
	v_fma_f64 v[180:181], v[218:219], v[216:217], -v[180:181]
	v_fma_f64 v[212:213], v[220:221], v[216:217], v[212:213]
	ds_load_2addr_b64 v[218:221], v214 offset0:24 offset1:25
	v_add_f64 v[172:173], v[172:173], -v[180:181]
	v_add_f64 v[174:175], v[174:175], -v[212:213]
	s_waitcnt lgkmcnt(0)
	v_mul_f64 v[180:181], v[220:221], v[182:183]
	v_mul_f64 v[212:213], v[218:219], v[182:183]
	s_delay_alu instid0(VALU_DEP_2) | instskip(NEXT) | instid1(VALU_DEP_2)
	v_fma_f64 v[180:181], v[218:219], v[216:217], -v[180:181]
	;; [unrolled: 9-line block ×44, first 2 shown]
	v_fma_f64 v[212:213], v[220:221], v[216:217], v[212:213]
	s_delay_alu instid0(VALU_DEP_2) | instskip(NEXT) | instid1(VALU_DEP_2)
	v_add_f64 v[0:1], v[0:1], -v[180:181]
	v_add_f64 v[2:3], v[2:3], -v[212:213]
	v_dual_mov_b32 v180, v216 :: v_dual_mov_b32 v181, v217
.LBB109_91:
	s_or_b32 exec_lo, exec_lo, s3
	s_delay_alu instid0(SALU_CYCLE_1)
	s_mov_b32 s4, exec_lo
	s_waitcnt_vscnt null, 0x0
	s_barrier
	buffer_gl0_inv
	v_cmpx_eq_u32_e32 10, v215
	s_cbranch_execz .LBB109_98
; %bb.92:
	ds_store_2addr_b64 v204, v[176:177], v[178:179] offset1:1
	ds_store_2addr_b64 v214, v[172:173], v[174:175] offset0:22 offset1:23
	ds_store_2addr_b64 v214, v[168:169], v[170:171] offset0:24 offset1:25
	;; [unrolled: 1-line block ×44, first 2 shown]
	ds_load_2addr_b64 v[216:219], v204 offset1:1
	s_waitcnt lgkmcnt(0)
	v_cmp_neq_f64_e32 vcc_lo, 0, v[216:217]
	v_cmp_neq_f64_e64 s3, 0, v[218:219]
	s_delay_alu instid0(VALU_DEP_1) | instskip(NEXT) | instid1(SALU_CYCLE_1)
	s_or_b32 s3, vcc_lo, s3
	s_and_b32 exec_lo, exec_lo, s3
	s_cbranch_execz .LBB109_98
; %bb.93:
	v_cmp_gt_f64_e32 vcc_lo, 0, v[216:217]
	v_xor_b32_e32 v208, 0x80000000, v217
	s_delay_alu instid0(VALU_DEP_1) | instskip(SKIP_3) | instid1(VALU_DEP_1)
	v_cndmask_b32_e32 v213, v217, v208, vcc_lo
	v_cndmask_b32_e32 v212, v216, v216, vcc_lo
	v_cmp_gt_f64_e32 vcc_lo, 0, v[218:219]
	v_xor_b32_e32 v208, 0x80000000, v219
	v_dual_cndmask_b32 v220, v218, v218 :: v_dual_cndmask_b32 v221, v219, v208
	s_delay_alu instid0(VALU_DEP_1) | instskip(SKIP_1) | instid1(SALU_CYCLE_1)
	v_cmp_ngt_f64_e32 vcc_lo, v[212:213], v[220:221]
                                        ; implicit-def: $vgpr212_vgpr213
	s_and_saveexec_b32 s3, vcc_lo
	s_xor_b32 s3, exec_lo, s3
                                        ; implicit-def: $vgpr220_vgpr221_vgpr222_vgpr223
	s_cbranch_execz .LBB109_95
; %bb.94:
	v_div_scale_f64 v[212:213], null, v[218:219], v[218:219], v[216:217]
	v_div_scale_f64 v[224:225], vcc_lo, v[216:217], v[218:219], v[216:217]
	s_delay_alu instid0(VALU_DEP_2) | instskip(SKIP_2) | instid1(VALU_DEP_1)
	v_rcp_f64_e32 v[220:221], v[212:213]
	s_waitcnt_depctr 0xfff
	v_fma_f64 v[222:223], -v[212:213], v[220:221], 1.0
	v_fma_f64 v[220:221], v[220:221], v[222:223], v[220:221]
	s_delay_alu instid0(VALU_DEP_1) | instskip(NEXT) | instid1(VALU_DEP_1)
	v_fma_f64 v[222:223], -v[212:213], v[220:221], 1.0
	v_fma_f64 v[220:221], v[220:221], v[222:223], v[220:221]
	s_delay_alu instid0(VALU_DEP_1) | instskip(NEXT) | instid1(VALU_DEP_1)
	v_mul_f64 v[222:223], v[224:225], v[220:221]
	v_fma_f64 v[212:213], -v[212:213], v[222:223], v[224:225]
	s_delay_alu instid0(VALU_DEP_1) | instskip(NEXT) | instid1(VALU_DEP_1)
	v_div_fmas_f64 v[212:213], v[212:213], v[220:221], v[222:223]
	v_div_fixup_f64 v[212:213], v[212:213], v[218:219], v[216:217]
	s_delay_alu instid0(VALU_DEP_1) | instskip(NEXT) | instid1(VALU_DEP_1)
	v_fma_f64 v[216:217], v[216:217], v[212:213], v[218:219]
	v_div_scale_f64 v[218:219], null, v[216:217], v[216:217], 1.0
	s_delay_alu instid0(VALU_DEP_1) | instskip(SKIP_2) | instid1(VALU_DEP_1)
	v_rcp_f64_e32 v[220:221], v[218:219]
	s_waitcnt_depctr 0xfff
	v_fma_f64 v[222:223], -v[218:219], v[220:221], 1.0
	v_fma_f64 v[220:221], v[220:221], v[222:223], v[220:221]
	s_delay_alu instid0(VALU_DEP_1) | instskip(NEXT) | instid1(VALU_DEP_1)
	v_fma_f64 v[222:223], -v[218:219], v[220:221], 1.0
	v_fma_f64 v[220:221], v[220:221], v[222:223], v[220:221]
	v_div_scale_f64 v[222:223], vcc_lo, 1.0, v[216:217], 1.0
	s_delay_alu instid0(VALU_DEP_1) | instskip(NEXT) | instid1(VALU_DEP_1)
	v_mul_f64 v[224:225], v[222:223], v[220:221]
	v_fma_f64 v[218:219], -v[218:219], v[224:225], v[222:223]
	s_delay_alu instid0(VALU_DEP_1) | instskip(NEXT) | instid1(VALU_DEP_1)
	v_div_fmas_f64 v[218:219], v[218:219], v[220:221], v[224:225]
	v_div_fixup_f64 v[222:223], v[218:219], v[216:217], 1.0
                                        ; implicit-def: $vgpr216_vgpr217
	s_delay_alu instid0(VALU_DEP_1)
	v_mul_f64 v[212:213], v[212:213], v[222:223]
	v_xor_b32_e32 v223, 0x80000000, v223
.LBB109_95:
	s_and_not1_saveexec_b32 s3, s3
	s_cbranch_execz .LBB109_97
; %bb.96:
	v_div_scale_f64 v[212:213], null, v[216:217], v[216:217], v[218:219]
	v_div_scale_f64 v[224:225], vcc_lo, v[218:219], v[216:217], v[218:219]
	s_delay_alu instid0(VALU_DEP_2) | instskip(SKIP_2) | instid1(VALU_DEP_1)
	v_rcp_f64_e32 v[220:221], v[212:213]
	s_waitcnt_depctr 0xfff
	v_fma_f64 v[222:223], -v[212:213], v[220:221], 1.0
	v_fma_f64 v[220:221], v[220:221], v[222:223], v[220:221]
	s_delay_alu instid0(VALU_DEP_1) | instskip(NEXT) | instid1(VALU_DEP_1)
	v_fma_f64 v[222:223], -v[212:213], v[220:221], 1.0
	v_fma_f64 v[220:221], v[220:221], v[222:223], v[220:221]
	s_delay_alu instid0(VALU_DEP_1) | instskip(NEXT) | instid1(VALU_DEP_1)
	v_mul_f64 v[222:223], v[224:225], v[220:221]
	v_fma_f64 v[212:213], -v[212:213], v[222:223], v[224:225]
	s_delay_alu instid0(VALU_DEP_1) | instskip(NEXT) | instid1(VALU_DEP_1)
	v_div_fmas_f64 v[212:213], v[212:213], v[220:221], v[222:223]
	v_div_fixup_f64 v[220:221], v[212:213], v[216:217], v[218:219]
	s_delay_alu instid0(VALU_DEP_1) | instskip(NEXT) | instid1(VALU_DEP_1)
	v_fma_f64 v[212:213], v[218:219], v[220:221], v[216:217]
	v_div_scale_f64 v[216:217], null, v[212:213], v[212:213], 1.0
	s_delay_alu instid0(VALU_DEP_1) | instskip(SKIP_2) | instid1(VALU_DEP_1)
	v_rcp_f64_e32 v[218:219], v[216:217]
	s_waitcnt_depctr 0xfff
	v_fma_f64 v[222:223], -v[216:217], v[218:219], 1.0
	v_fma_f64 v[218:219], v[218:219], v[222:223], v[218:219]
	s_delay_alu instid0(VALU_DEP_1) | instskip(NEXT) | instid1(VALU_DEP_1)
	v_fma_f64 v[222:223], -v[216:217], v[218:219], 1.0
	v_fma_f64 v[218:219], v[218:219], v[222:223], v[218:219]
	v_div_scale_f64 v[222:223], vcc_lo, 1.0, v[212:213], 1.0
	s_delay_alu instid0(VALU_DEP_1) | instskip(NEXT) | instid1(VALU_DEP_1)
	v_mul_f64 v[224:225], v[222:223], v[218:219]
	v_fma_f64 v[216:217], -v[216:217], v[224:225], v[222:223]
	s_delay_alu instid0(VALU_DEP_1) | instskip(NEXT) | instid1(VALU_DEP_1)
	v_div_fmas_f64 v[216:217], v[216:217], v[218:219], v[224:225]
	v_div_fixup_f64 v[212:213], v[216:217], v[212:213], 1.0
	s_delay_alu instid0(VALU_DEP_1)
	v_mul_f64 v[222:223], v[220:221], -v[212:213]
.LBB109_97:
	s_or_b32 exec_lo, exec_lo, s3
	ds_store_2addr_b64 v204, v[212:213], v[222:223] offset1:1
.LBB109_98:
	s_or_b32 exec_lo, exec_lo, s4
	s_waitcnt lgkmcnt(0)
	s_barrier
	buffer_gl0_inv
	ds_load_2addr_b64 v[207:210], v204 offset1:1
	s_mov_b32 s3, exec_lo
	s_waitcnt lgkmcnt(0)
	scratch_store_b128 off, v[207:210], off offset:656 ; 16-byte Folded Spill
	v_cmpx_lt_u32_e32 10, v215
	s_cbranch_execz .LBB109_100
; %bb.99:
	scratch_load_b128 v[207:210], off, off offset:656 ; 16-byte Folded Reload
	ds_load_2addr_b64 v[218:221], v214 offset0:22 offset1:23
	s_waitcnt vmcnt(0)
	v_mul_f64 v[212:213], v[209:210], v[178:179]
	v_mul_f64 v[178:179], v[207:208], v[178:179]
	s_delay_alu instid0(VALU_DEP_2) | instskip(NEXT) | instid1(VALU_DEP_2)
	v_fma_f64 v[216:217], v[207:208], v[176:177], -v[212:213]
	v_fma_f64 v[178:179], v[209:210], v[176:177], v[178:179]
	s_waitcnt lgkmcnt(0)
	s_delay_alu instid0(VALU_DEP_1) | instskip(SKIP_1) | instid1(VALU_DEP_2)
	v_mul_f64 v[176:177], v[220:221], v[178:179]
	v_mul_f64 v[212:213], v[218:219], v[178:179]
	v_fma_f64 v[176:177], v[218:219], v[216:217], -v[176:177]
	s_delay_alu instid0(VALU_DEP_2)
	v_fma_f64 v[212:213], v[220:221], v[216:217], v[212:213]
	ds_load_2addr_b64 v[218:221], v214 offset0:24 offset1:25
	v_add_f64 v[172:173], v[172:173], -v[176:177]
	v_add_f64 v[174:175], v[174:175], -v[212:213]
	s_waitcnt lgkmcnt(0)
	v_mul_f64 v[176:177], v[220:221], v[178:179]
	v_mul_f64 v[212:213], v[218:219], v[178:179]
	s_delay_alu instid0(VALU_DEP_2) | instskip(NEXT) | instid1(VALU_DEP_2)
	v_fma_f64 v[176:177], v[218:219], v[216:217], -v[176:177]
	v_fma_f64 v[212:213], v[220:221], v[216:217], v[212:213]
	ds_load_2addr_b64 v[218:221], v214 offset0:26 offset1:27
	v_add_f64 v[168:169], v[168:169], -v[176:177]
	v_add_f64 v[170:171], v[170:171], -v[212:213]
	s_waitcnt lgkmcnt(0)
	v_mul_f64 v[176:177], v[220:221], v[178:179]
	v_mul_f64 v[212:213], v[218:219], v[178:179]
	s_delay_alu instid0(VALU_DEP_2) | instskip(NEXT) | instid1(VALU_DEP_2)
	v_fma_f64 v[176:177], v[218:219], v[216:217], -v[176:177]
	;; [unrolled: 9-line block ×43, first 2 shown]
	v_fma_f64 v[212:213], v[220:221], v[216:217], v[212:213]
	s_delay_alu instid0(VALU_DEP_2) | instskip(NEXT) | instid1(VALU_DEP_2)
	v_add_f64 v[0:1], v[0:1], -v[176:177]
	v_add_f64 v[2:3], v[2:3], -v[212:213]
	v_dual_mov_b32 v176, v216 :: v_dual_mov_b32 v177, v217
.LBB109_100:
	s_or_b32 exec_lo, exec_lo, s3
	s_delay_alu instid0(SALU_CYCLE_1)
	s_mov_b32 s4, exec_lo
	s_waitcnt_vscnt null, 0x0
	s_barrier
	buffer_gl0_inv
	v_cmpx_eq_u32_e32 11, v215
	s_cbranch_execz .LBB109_107
; %bb.101:
	ds_store_2addr_b64 v204, v[172:173], v[174:175] offset1:1
	ds_store_2addr_b64 v214, v[168:169], v[170:171] offset0:24 offset1:25
	ds_store_2addr_b64 v214, v[164:165], v[166:167] offset0:26 offset1:27
	;; [unrolled: 1-line block ×43, first 2 shown]
	ds_load_2addr_b64 v[216:219], v204 offset1:1
	s_waitcnt lgkmcnt(0)
	v_cmp_neq_f64_e32 vcc_lo, 0, v[216:217]
	v_cmp_neq_f64_e64 s3, 0, v[218:219]
	s_delay_alu instid0(VALU_DEP_1) | instskip(NEXT) | instid1(SALU_CYCLE_1)
	s_or_b32 s3, vcc_lo, s3
	s_and_b32 exec_lo, exec_lo, s3
	s_cbranch_execz .LBB109_107
; %bb.102:
	v_cmp_gt_f64_e32 vcc_lo, 0, v[216:217]
	v_xor_b32_e32 v208, 0x80000000, v217
	s_delay_alu instid0(VALU_DEP_1) | instskip(SKIP_3) | instid1(VALU_DEP_1)
	v_cndmask_b32_e32 v213, v217, v208, vcc_lo
	v_cndmask_b32_e32 v212, v216, v216, vcc_lo
	v_cmp_gt_f64_e32 vcc_lo, 0, v[218:219]
	v_xor_b32_e32 v208, 0x80000000, v219
	v_dual_cndmask_b32 v220, v218, v218 :: v_dual_cndmask_b32 v221, v219, v208
	s_delay_alu instid0(VALU_DEP_1) | instskip(SKIP_1) | instid1(SALU_CYCLE_1)
	v_cmp_ngt_f64_e32 vcc_lo, v[212:213], v[220:221]
                                        ; implicit-def: $vgpr212_vgpr213
	s_and_saveexec_b32 s3, vcc_lo
	s_xor_b32 s3, exec_lo, s3
                                        ; implicit-def: $vgpr220_vgpr221_vgpr222_vgpr223
	s_cbranch_execz .LBB109_104
; %bb.103:
	v_div_scale_f64 v[212:213], null, v[218:219], v[218:219], v[216:217]
	v_div_scale_f64 v[224:225], vcc_lo, v[216:217], v[218:219], v[216:217]
	s_delay_alu instid0(VALU_DEP_2) | instskip(SKIP_2) | instid1(VALU_DEP_1)
	v_rcp_f64_e32 v[220:221], v[212:213]
	s_waitcnt_depctr 0xfff
	v_fma_f64 v[222:223], -v[212:213], v[220:221], 1.0
	v_fma_f64 v[220:221], v[220:221], v[222:223], v[220:221]
	s_delay_alu instid0(VALU_DEP_1) | instskip(NEXT) | instid1(VALU_DEP_1)
	v_fma_f64 v[222:223], -v[212:213], v[220:221], 1.0
	v_fma_f64 v[220:221], v[220:221], v[222:223], v[220:221]
	s_delay_alu instid0(VALU_DEP_1) | instskip(NEXT) | instid1(VALU_DEP_1)
	v_mul_f64 v[222:223], v[224:225], v[220:221]
	v_fma_f64 v[212:213], -v[212:213], v[222:223], v[224:225]
	s_delay_alu instid0(VALU_DEP_1) | instskip(NEXT) | instid1(VALU_DEP_1)
	v_div_fmas_f64 v[212:213], v[212:213], v[220:221], v[222:223]
	v_div_fixup_f64 v[212:213], v[212:213], v[218:219], v[216:217]
	s_delay_alu instid0(VALU_DEP_1) | instskip(NEXT) | instid1(VALU_DEP_1)
	v_fma_f64 v[216:217], v[216:217], v[212:213], v[218:219]
	v_div_scale_f64 v[218:219], null, v[216:217], v[216:217], 1.0
	s_delay_alu instid0(VALU_DEP_1) | instskip(SKIP_2) | instid1(VALU_DEP_1)
	v_rcp_f64_e32 v[220:221], v[218:219]
	s_waitcnt_depctr 0xfff
	v_fma_f64 v[222:223], -v[218:219], v[220:221], 1.0
	v_fma_f64 v[220:221], v[220:221], v[222:223], v[220:221]
	s_delay_alu instid0(VALU_DEP_1) | instskip(NEXT) | instid1(VALU_DEP_1)
	v_fma_f64 v[222:223], -v[218:219], v[220:221], 1.0
	v_fma_f64 v[220:221], v[220:221], v[222:223], v[220:221]
	v_div_scale_f64 v[222:223], vcc_lo, 1.0, v[216:217], 1.0
	s_delay_alu instid0(VALU_DEP_1) | instskip(NEXT) | instid1(VALU_DEP_1)
	v_mul_f64 v[224:225], v[222:223], v[220:221]
	v_fma_f64 v[218:219], -v[218:219], v[224:225], v[222:223]
	s_delay_alu instid0(VALU_DEP_1) | instskip(NEXT) | instid1(VALU_DEP_1)
	v_div_fmas_f64 v[218:219], v[218:219], v[220:221], v[224:225]
	v_div_fixup_f64 v[222:223], v[218:219], v[216:217], 1.0
                                        ; implicit-def: $vgpr216_vgpr217
	s_delay_alu instid0(VALU_DEP_1)
	v_mul_f64 v[212:213], v[212:213], v[222:223]
	v_xor_b32_e32 v223, 0x80000000, v223
.LBB109_104:
	s_and_not1_saveexec_b32 s3, s3
	s_cbranch_execz .LBB109_106
; %bb.105:
	v_div_scale_f64 v[212:213], null, v[216:217], v[216:217], v[218:219]
	v_div_scale_f64 v[224:225], vcc_lo, v[218:219], v[216:217], v[218:219]
	s_delay_alu instid0(VALU_DEP_2) | instskip(SKIP_2) | instid1(VALU_DEP_1)
	v_rcp_f64_e32 v[220:221], v[212:213]
	s_waitcnt_depctr 0xfff
	v_fma_f64 v[222:223], -v[212:213], v[220:221], 1.0
	v_fma_f64 v[220:221], v[220:221], v[222:223], v[220:221]
	s_delay_alu instid0(VALU_DEP_1) | instskip(NEXT) | instid1(VALU_DEP_1)
	v_fma_f64 v[222:223], -v[212:213], v[220:221], 1.0
	v_fma_f64 v[220:221], v[220:221], v[222:223], v[220:221]
	s_delay_alu instid0(VALU_DEP_1) | instskip(NEXT) | instid1(VALU_DEP_1)
	v_mul_f64 v[222:223], v[224:225], v[220:221]
	v_fma_f64 v[212:213], -v[212:213], v[222:223], v[224:225]
	s_delay_alu instid0(VALU_DEP_1) | instskip(NEXT) | instid1(VALU_DEP_1)
	v_div_fmas_f64 v[212:213], v[212:213], v[220:221], v[222:223]
	v_div_fixup_f64 v[220:221], v[212:213], v[216:217], v[218:219]
	s_delay_alu instid0(VALU_DEP_1) | instskip(NEXT) | instid1(VALU_DEP_1)
	v_fma_f64 v[212:213], v[218:219], v[220:221], v[216:217]
	v_div_scale_f64 v[216:217], null, v[212:213], v[212:213], 1.0
	s_delay_alu instid0(VALU_DEP_1) | instskip(SKIP_2) | instid1(VALU_DEP_1)
	v_rcp_f64_e32 v[218:219], v[216:217]
	s_waitcnt_depctr 0xfff
	v_fma_f64 v[222:223], -v[216:217], v[218:219], 1.0
	v_fma_f64 v[218:219], v[218:219], v[222:223], v[218:219]
	s_delay_alu instid0(VALU_DEP_1) | instskip(NEXT) | instid1(VALU_DEP_1)
	v_fma_f64 v[222:223], -v[216:217], v[218:219], 1.0
	v_fma_f64 v[218:219], v[218:219], v[222:223], v[218:219]
	v_div_scale_f64 v[222:223], vcc_lo, 1.0, v[212:213], 1.0
	s_delay_alu instid0(VALU_DEP_1) | instskip(NEXT) | instid1(VALU_DEP_1)
	v_mul_f64 v[224:225], v[222:223], v[218:219]
	v_fma_f64 v[216:217], -v[216:217], v[224:225], v[222:223]
	s_delay_alu instid0(VALU_DEP_1) | instskip(NEXT) | instid1(VALU_DEP_1)
	v_div_fmas_f64 v[216:217], v[216:217], v[218:219], v[224:225]
	v_div_fixup_f64 v[212:213], v[216:217], v[212:213], 1.0
	s_delay_alu instid0(VALU_DEP_1)
	v_mul_f64 v[222:223], v[220:221], -v[212:213]
.LBB109_106:
	s_or_b32 exec_lo, exec_lo, s3
	ds_store_2addr_b64 v204, v[212:213], v[222:223] offset1:1
.LBB109_107:
	s_or_b32 exec_lo, exec_lo, s4
	s_waitcnt lgkmcnt(0)
	s_barrier
	buffer_gl0_inv
	ds_load_2addr_b64 v[207:210], v204 offset1:1
	s_mov_b32 s3, exec_lo
	s_waitcnt lgkmcnt(0)
	scratch_store_b128 off, v[207:210], off offset:672 ; 16-byte Folded Spill
	v_cmpx_lt_u32_e32 11, v215
	s_cbranch_execz .LBB109_109
; %bb.108:
	scratch_load_b128 v[207:210], off, off offset:672 ; 16-byte Folded Reload
	ds_load_2addr_b64 v[218:221], v214 offset0:24 offset1:25
	s_waitcnt vmcnt(0)
	v_mul_f64 v[212:213], v[209:210], v[174:175]
	v_mul_f64 v[174:175], v[207:208], v[174:175]
	s_delay_alu instid0(VALU_DEP_2) | instskip(NEXT) | instid1(VALU_DEP_2)
	v_fma_f64 v[216:217], v[207:208], v[172:173], -v[212:213]
	v_fma_f64 v[174:175], v[209:210], v[172:173], v[174:175]
	s_waitcnt lgkmcnt(0)
	s_delay_alu instid0(VALU_DEP_1) | instskip(SKIP_1) | instid1(VALU_DEP_2)
	v_mul_f64 v[172:173], v[220:221], v[174:175]
	v_mul_f64 v[212:213], v[218:219], v[174:175]
	v_fma_f64 v[172:173], v[218:219], v[216:217], -v[172:173]
	s_delay_alu instid0(VALU_DEP_2)
	v_fma_f64 v[212:213], v[220:221], v[216:217], v[212:213]
	ds_load_2addr_b64 v[218:221], v214 offset0:26 offset1:27
	v_add_f64 v[168:169], v[168:169], -v[172:173]
	v_add_f64 v[170:171], v[170:171], -v[212:213]
	s_waitcnt lgkmcnt(0)
	v_mul_f64 v[172:173], v[220:221], v[174:175]
	v_mul_f64 v[212:213], v[218:219], v[174:175]
	s_delay_alu instid0(VALU_DEP_2) | instskip(NEXT) | instid1(VALU_DEP_2)
	v_fma_f64 v[172:173], v[218:219], v[216:217], -v[172:173]
	v_fma_f64 v[212:213], v[220:221], v[216:217], v[212:213]
	ds_load_2addr_b64 v[218:221], v214 offset0:28 offset1:29
	v_add_f64 v[164:165], v[164:165], -v[172:173]
	v_add_f64 v[166:167], v[166:167], -v[212:213]
	s_waitcnt lgkmcnt(0)
	v_mul_f64 v[172:173], v[220:221], v[174:175]
	v_mul_f64 v[212:213], v[218:219], v[174:175]
	s_delay_alu instid0(VALU_DEP_2) | instskip(NEXT) | instid1(VALU_DEP_2)
	v_fma_f64 v[172:173], v[218:219], v[216:217], -v[172:173]
	;; [unrolled: 9-line block ×42, first 2 shown]
	v_fma_f64 v[212:213], v[220:221], v[216:217], v[212:213]
	s_delay_alu instid0(VALU_DEP_2) | instskip(NEXT) | instid1(VALU_DEP_2)
	v_add_f64 v[0:1], v[0:1], -v[172:173]
	v_add_f64 v[2:3], v[2:3], -v[212:213]
	v_dual_mov_b32 v172, v216 :: v_dual_mov_b32 v173, v217
.LBB109_109:
	s_or_b32 exec_lo, exec_lo, s3
	s_delay_alu instid0(SALU_CYCLE_1)
	s_mov_b32 s4, exec_lo
	s_waitcnt_vscnt null, 0x0
	s_barrier
	buffer_gl0_inv
	v_cmpx_eq_u32_e32 12, v215
	s_cbranch_execz .LBB109_116
; %bb.110:
	ds_store_2addr_b64 v204, v[168:169], v[170:171] offset1:1
	ds_store_2addr_b64 v214, v[164:165], v[166:167] offset0:26 offset1:27
	ds_store_2addr_b64 v214, v[160:161], v[162:163] offset0:28 offset1:29
	;; [unrolled: 1-line block ×42, first 2 shown]
	ds_load_2addr_b64 v[216:219], v204 offset1:1
	s_waitcnt lgkmcnt(0)
	v_cmp_neq_f64_e32 vcc_lo, 0, v[216:217]
	v_cmp_neq_f64_e64 s3, 0, v[218:219]
	s_delay_alu instid0(VALU_DEP_1) | instskip(NEXT) | instid1(SALU_CYCLE_1)
	s_or_b32 s3, vcc_lo, s3
	s_and_b32 exec_lo, exec_lo, s3
	s_cbranch_execz .LBB109_116
; %bb.111:
	v_cmp_gt_f64_e32 vcc_lo, 0, v[216:217]
	v_xor_b32_e32 v208, 0x80000000, v217
	s_delay_alu instid0(VALU_DEP_1) | instskip(SKIP_3) | instid1(VALU_DEP_1)
	v_cndmask_b32_e32 v213, v217, v208, vcc_lo
	v_cndmask_b32_e32 v212, v216, v216, vcc_lo
	v_cmp_gt_f64_e32 vcc_lo, 0, v[218:219]
	v_xor_b32_e32 v208, 0x80000000, v219
	v_dual_cndmask_b32 v220, v218, v218 :: v_dual_cndmask_b32 v221, v219, v208
	s_delay_alu instid0(VALU_DEP_1) | instskip(SKIP_1) | instid1(SALU_CYCLE_1)
	v_cmp_ngt_f64_e32 vcc_lo, v[212:213], v[220:221]
                                        ; implicit-def: $vgpr212_vgpr213
	s_and_saveexec_b32 s3, vcc_lo
	s_xor_b32 s3, exec_lo, s3
                                        ; implicit-def: $vgpr220_vgpr221_vgpr222_vgpr223
	s_cbranch_execz .LBB109_113
; %bb.112:
	v_div_scale_f64 v[212:213], null, v[218:219], v[218:219], v[216:217]
	v_div_scale_f64 v[224:225], vcc_lo, v[216:217], v[218:219], v[216:217]
	s_delay_alu instid0(VALU_DEP_2) | instskip(SKIP_2) | instid1(VALU_DEP_1)
	v_rcp_f64_e32 v[220:221], v[212:213]
	s_waitcnt_depctr 0xfff
	v_fma_f64 v[222:223], -v[212:213], v[220:221], 1.0
	v_fma_f64 v[220:221], v[220:221], v[222:223], v[220:221]
	s_delay_alu instid0(VALU_DEP_1) | instskip(NEXT) | instid1(VALU_DEP_1)
	v_fma_f64 v[222:223], -v[212:213], v[220:221], 1.0
	v_fma_f64 v[220:221], v[220:221], v[222:223], v[220:221]
	s_delay_alu instid0(VALU_DEP_1) | instskip(NEXT) | instid1(VALU_DEP_1)
	v_mul_f64 v[222:223], v[224:225], v[220:221]
	v_fma_f64 v[212:213], -v[212:213], v[222:223], v[224:225]
	s_delay_alu instid0(VALU_DEP_1) | instskip(NEXT) | instid1(VALU_DEP_1)
	v_div_fmas_f64 v[212:213], v[212:213], v[220:221], v[222:223]
	v_div_fixup_f64 v[212:213], v[212:213], v[218:219], v[216:217]
	s_delay_alu instid0(VALU_DEP_1) | instskip(NEXT) | instid1(VALU_DEP_1)
	v_fma_f64 v[216:217], v[216:217], v[212:213], v[218:219]
	v_div_scale_f64 v[218:219], null, v[216:217], v[216:217], 1.0
	s_delay_alu instid0(VALU_DEP_1) | instskip(SKIP_2) | instid1(VALU_DEP_1)
	v_rcp_f64_e32 v[220:221], v[218:219]
	s_waitcnt_depctr 0xfff
	v_fma_f64 v[222:223], -v[218:219], v[220:221], 1.0
	v_fma_f64 v[220:221], v[220:221], v[222:223], v[220:221]
	s_delay_alu instid0(VALU_DEP_1) | instskip(NEXT) | instid1(VALU_DEP_1)
	v_fma_f64 v[222:223], -v[218:219], v[220:221], 1.0
	v_fma_f64 v[220:221], v[220:221], v[222:223], v[220:221]
	v_div_scale_f64 v[222:223], vcc_lo, 1.0, v[216:217], 1.0
	s_delay_alu instid0(VALU_DEP_1) | instskip(NEXT) | instid1(VALU_DEP_1)
	v_mul_f64 v[224:225], v[222:223], v[220:221]
	v_fma_f64 v[218:219], -v[218:219], v[224:225], v[222:223]
	s_delay_alu instid0(VALU_DEP_1) | instskip(NEXT) | instid1(VALU_DEP_1)
	v_div_fmas_f64 v[218:219], v[218:219], v[220:221], v[224:225]
	v_div_fixup_f64 v[222:223], v[218:219], v[216:217], 1.0
                                        ; implicit-def: $vgpr216_vgpr217
	s_delay_alu instid0(VALU_DEP_1)
	v_mul_f64 v[212:213], v[212:213], v[222:223]
	v_xor_b32_e32 v223, 0x80000000, v223
.LBB109_113:
	s_and_not1_saveexec_b32 s3, s3
	s_cbranch_execz .LBB109_115
; %bb.114:
	v_div_scale_f64 v[212:213], null, v[216:217], v[216:217], v[218:219]
	v_div_scale_f64 v[224:225], vcc_lo, v[218:219], v[216:217], v[218:219]
	s_delay_alu instid0(VALU_DEP_2) | instskip(SKIP_2) | instid1(VALU_DEP_1)
	v_rcp_f64_e32 v[220:221], v[212:213]
	s_waitcnt_depctr 0xfff
	v_fma_f64 v[222:223], -v[212:213], v[220:221], 1.0
	v_fma_f64 v[220:221], v[220:221], v[222:223], v[220:221]
	s_delay_alu instid0(VALU_DEP_1) | instskip(NEXT) | instid1(VALU_DEP_1)
	v_fma_f64 v[222:223], -v[212:213], v[220:221], 1.0
	v_fma_f64 v[220:221], v[220:221], v[222:223], v[220:221]
	s_delay_alu instid0(VALU_DEP_1) | instskip(NEXT) | instid1(VALU_DEP_1)
	v_mul_f64 v[222:223], v[224:225], v[220:221]
	v_fma_f64 v[212:213], -v[212:213], v[222:223], v[224:225]
	s_delay_alu instid0(VALU_DEP_1) | instskip(NEXT) | instid1(VALU_DEP_1)
	v_div_fmas_f64 v[212:213], v[212:213], v[220:221], v[222:223]
	v_div_fixup_f64 v[220:221], v[212:213], v[216:217], v[218:219]
	s_delay_alu instid0(VALU_DEP_1) | instskip(NEXT) | instid1(VALU_DEP_1)
	v_fma_f64 v[212:213], v[218:219], v[220:221], v[216:217]
	v_div_scale_f64 v[216:217], null, v[212:213], v[212:213], 1.0
	s_delay_alu instid0(VALU_DEP_1) | instskip(SKIP_2) | instid1(VALU_DEP_1)
	v_rcp_f64_e32 v[218:219], v[216:217]
	s_waitcnt_depctr 0xfff
	v_fma_f64 v[222:223], -v[216:217], v[218:219], 1.0
	v_fma_f64 v[218:219], v[218:219], v[222:223], v[218:219]
	s_delay_alu instid0(VALU_DEP_1) | instskip(NEXT) | instid1(VALU_DEP_1)
	v_fma_f64 v[222:223], -v[216:217], v[218:219], 1.0
	v_fma_f64 v[218:219], v[218:219], v[222:223], v[218:219]
	v_div_scale_f64 v[222:223], vcc_lo, 1.0, v[212:213], 1.0
	s_delay_alu instid0(VALU_DEP_1) | instskip(NEXT) | instid1(VALU_DEP_1)
	v_mul_f64 v[224:225], v[222:223], v[218:219]
	v_fma_f64 v[216:217], -v[216:217], v[224:225], v[222:223]
	s_delay_alu instid0(VALU_DEP_1) | instskip(NEXT) | instid1(VALU_DEP_1)
	v_div_fmas_f64 v[216:217], v[216:217], v[218:219], v[224:225]
	v_div_fixup_f64 v[212:213], v[216:217], v[212:213], 1.0
	s_delay_alu instid0(VALU_DEP_1)
	v_mul_f64 v[222:223], v[220:221], -v[212:213]
.LBB109_115:
	s_or_b32 exec_lo, exec_lo, s3
	ds_store_2addr_b64 v204, v[212:213], v[222:223] offset1:1
.LBB109_116:
	s_or_b32 exec_lo, exec_lo, s4
	s_waitcnt lgkmcnt(0)
	s_barrier
	buffer_gl0_inv
	ds_load_2addr_b64 v[207:210], v204 offset1:1
	s_mov_b32 s3, exec_lo
	s_waitcnt lgkmcnt(0)
	scratch_store_b128 off, v[207:210], off offset:688 ; 16-byte Folded Spill
	v_cmpx_lt_u32_e32 12, v215
	s_cbranch_execz .LBB109_118
; %bb.117:
	scratch_load_b128 v[207:210], off, off offset:688 ; 16-byte Folded Reload
	ds_load_2addr_b64 v[218:221], v214 offset0:26 offset1:27
	s_waitcnt vmcnt(0)
	v_mul_f64 v[212:213], v[209:210], v[170:171]
	v_mul_f64 v[170:171], v[207:208], v[170:171]
	s_delay_alu instid0(VALU_DEP_2) | instskip(NEXT) | instid1(VALU_DEP_2)
	v_fma_f64 v[216:217], v[207:208], v[168:169], -v[212:213]
	v_fma_f64 v[170:171], v[209:210], v[168:169], v[170:171]
	s_waitcnt lgkmcnt(0)
	s_delay_alu instid0(VALU_DEP_1) | instskip(SKIP_1) | instid1(VALU_DEP_2)
	v_mul_f64 v[168:169], v[220:221], v[170:171]
	v_mul_f64 v[212:213], v[218:219], v[170:171]
	v_fma_f64 v[168:169], v[218:219], v[216:217], -v[168:169]
	s_delay_alu instid0(VALU_DEP_2)
	v_fma_f64 v[212:213], v[220:221], v[216:217], v[212:213]
	ds_load_2addr_b64 v[218:221], v214 offset0:28 offset1:29
	v_add_f64 v[164:165], v[164:165], -v[168:169]
	v_add_f64 v[166:167], v[166:167], -v[212:213]
	s_waitcnt lgkmcnt(0)
	v_mul_f64 v[168:169], v[220:221], v[170:171]
	v_mul_f64 v[212:213], v[218:219], v[170:171]
	s_delay_alu instid0(VALU_DEP_2) | instskip(NEXT) | instid1(VALU_DEP_2)
	v_fma_f64 v[168:169], v[218:219], v[216:217], -v[168:169]
	v_fma_f64 v[212:213], v[220:221], v[216:217], v[212:213]
	ds_load_2addr_b64 v[218:221], v214 offset0:30 offset1:31
	v_add_f64 v[160:161], v[160:161], -v[168:169]
	v_add_f64 v[162:163], v[162:163], -v[212:213]
	s_waitcnt lgkmcnt(0)
	v_mul_f64 v[168:169], v[220:221], v[170:171]
	v_mul_f64 v[212:213], v[218:219], v[170:171]
	s_delay_alu instid0(VALU_DEP_2) | instskip(NEXT) | instid1(VALU_DEP_2)
	v_fma_f64 v[168:169], v[218:219], v[216:217], -v[168:169]
	;; [unrolled: 9-line block ×41, first 2 shown]
	v_fma_f64 v[212:213], v[220:221], v[216:217], v[212:213]
	s_delay_alu instid0(VALU_DEP_2) | instskip(NEXT) | instid1(VALU_DEP_2)
	v_add_f64 v[0:1], v[0:1], -v[168:169]
	v_add_f64 v[2:3], v[2:3], -v[212:213]
	v_dual_mov_b32 v168, v216 :: v_dual_mov_b32 v169, v217
.LBB109_118:
	s_or_b32 exec_lo, exec_lo, s3
	s_delay_alu instid0(SALU_CYCLE_1)
	s_mov_b32 s4, exec_lo
	s_waitcnt_vscnt null, 0x0
	s_barrier
	buffer_gl0_inv
	v_cmpx_eq_u32_e32 13, v215
	s_cbranch_execz .LBB109_125
; %bb.119:
	ds_store_2addr_b64 v204, v[164:165], v[166:167] offset1:1
	ds_store_2addr_b64 v214, v[160:161], v[162:163] offset0:28 offset1:29
	ds_store_2addr_b64 v214, v[156:157], v[158:159] offset0:30 offset1:31
	;; [unrolled: 1-line block ×41, first 2 shown]
	ds_load_2addr_b64 v[216:219], v204 offset1:1
	s_waitcnt lgkmcnt(0)
	v_cmp_neq_f64_e32 vcc_lo, 0, v[216:217]
	v_cmp_neq_f64_e64 s3, 0, v[218:219]
	s_delay_alu instid0(VALU_DEP_1) | instskip(NEXT) | instid1(SALU_CYCLE_1)
	s_or_b32 s3, vcc_lo, s3
	s_and_b32 exec_lo, exec_lo, s3
	s_cbranch_execz .LBB109_125
; %bb.120:
	v_cmp_gt_f64_e32 vcc_lo, 0, v[216:217]
	v_xor_b32_e32 v208, 0x80000000, v217
	s_delay_alu instid0(VALU_DEP_1) | instskip(SKIP_3) | instid1(VALU_DEP_1)
	v_cndmask_b32_e32 v213, v217, v208, vcc_lo
	v_cndmask_b32_e32 v212, v216, v216, vcc_lo
	v_cmp_gt_f64_e32 vcc_lo, 0, v[218:219]
	v_xor_b32_e32 v208, 0x80000000, v219
	v_dual_cndmask_b32 v220, v218, v218 :: v_dual_cndmask_b32 v221, v219, v208
	s_delay_alu instid0(VALU_DEP_1) | instskip(SKIP_1) | instid1(SALU_CYCLE_1)
	v_cmp_ngt_f64_e32 vcc_lo, v[212:213], v[220:221]
                                        ; implicit-def: $vgpr212_vgpr213
	s_and_saveexec_b32 s3, vcc_lo
	s_xor_b32 s3, exec_lo, s3
                                        ; implicit-def: $vgpr220_vgpr221_vgpr222_vgpr223
	s_cbranch_execz .LBB109_122
; %bb.121:
	v_div_scale_f64 v[212:213], null, v[218:219], v[218:219], v[216:217]
	v_div_scale_f64 v[224:225], vcc_lo, v[216:217], v[218:219], v[216:217]
	s_delay_alu instid0(VALU_DEP_2) | instskip(SKIP_2) | instid1(VALU_DEP_1)
	v_rcp_f64_e32 v[220:221], v[212:213]
	s_waitcnt_depctr 0xfff
	v_fma_f64 v[222:223], -v[212:213], v[220:221], 1.0
	v_fma_f64 v[220:221], v[220:221], v[222:223], v[220:221]
	s_delay_alu instid0(VALU_DEP_1) | instskip(NEXT) | instid1(VALU_DEP_1)
	v_fma_f64 v[222:223], -v[212:213], v[220:221], 1.0
	v_fma_f64 v[220:221], v[220:221], v[222:223], v[220:221]
	s_delay_alu instid0(VALU_DEP_1) | instskip(NEXT) | instid1(VALU_DEP_1)
	v_mul_f64 v[222:223], v[224:225], v[220:221]
	v_fma_f64 v[212:213], -v[212:213], v[222:223], v[224:225]
	s_delay_alu instid0(VALU_DEP_1) | instskip(NEXT) | instid1(VALU_DEP_1)
	v_div_fmas_f64 v[212:213], v[212:213], v[220:221], v[222:223]
	v_div_fixup_f64 v[212:213], v[212:213], v[218:219], v[216:217]
	s_delay_alu instid0(VALU_DEP_1) | instskip(NEXT) | instid1(VALU_DEP_1)
	v_fma_f64 v[216:217], v[216:217], v[212:213], v[218:219]
	v_div_scale_f64 v[218:219], null, v[216:217], v[216:217], 1.0
	s_delay_alu instid0(VALU_DEP_1) | instskip(SKIP_2) | instid1(VALU_DEP_1)
	v_rcp_f64_e32 v[220:221], v[218:219]
	s_waitcnt_depctr 0xfff
	v_fma_f64 v[222:223], -v[218:219], v[220:221], 1.0
	v_fma_f64 v[220:221], v[220:221], v[222:223], v[220:221]
	s_delay_alu instid0(VALU_DEP_1) | instskip(NEXT) | instid1(VALU_DEP_1)
	v_fma_f64 v[222:223], -v[218:219], v[220:221], 1.0
	v_fma_f64 v[220:221], v[220:221], v[222:223], v[220:221]
	v_div_scale_f64 v[222:223], vcc_lo, 1.0, v[216:217], 1.0
	s_delay_alu instid0(VALU_DEP_1) | instskip(NEXT) | instid1(VALU_DEP_1)
	v_mul_f64 v[224:225], v[222:223], v[220:221]
	v_fma_f64 v[218:219], -v[218:219], v[224:225], v[222:223]
	s_delay_alu instid0(VALU_DEP_1) | instskip(NEXT) | instid1(VALU_DEP_1)
	v_div_fmas_f64 v[218:219], v[218:219], v[220:221], v[224:225]
	v_div_fixup_f64 v[222:223], v[218:219], v[216:217], 1.0
                                        ; implicit-def: $vgpr216_vgpr217
	s_delay_alu instid0(VALU_DEP_1)
	v_mul_f64 v[212:213], v[212:213], v[222:223]
	v_xor_b32_e32 v223, 0x80000000, v223
.LBB109_122:
	s_and_not1_saveexec_b32 s3, s3
	s_cbranch_execz .LBB109_124
; %bb.123:
	v_div_scale_f64 v[212:213], null, v[216:217], v[216:217], v[218:219]
	v_div_scale_f64 v[224:225], vcc_lo, v[218:219], v[216:217], v[218:219]
	s_delay_alu instid0(VALU_DEP_2) | instskip(SKIP_2) | instid1(VALU_DEP_1)
	v_rcp_f64_e32 v[220:221], v[212:213]
	s_waitcnt_depctr 0xfff
	v_fma_f64 v[222:223], -v[212:213], v[220:221], 1.0
	v_fma_f64 v[220:221], v[220:221], v[222:223], v[220:221]
	s_delay_alu instid0(VALU_DEP_1) | instskip(NEXT) | instid1(VALU_DEP_1)
	v_fma_f64 v[222:223], -v[212:213], v[220:221], 1.0
	v_fma_f64 v[220:221], v[220:221], v[222:223], v[220:221]
	s_delay_alu instid0(VALU_DEP_1) | instskip(NEXT) | instid1(VALU_DEP_1)
	v_mul_f64 v[222:223], v[224:225], v[220:221]
	v_fma_f64 v[212:213], -v[212:213], v[222:223], v[224:225]
	s_delay_alu instid0(VALU_DEP_1) | instskip(NEXT) | instid1(VALU_DEP_1)
	v_div_fmas_f64 v[212:213], v[212:213], v[220:221], v[222:223]
	v_div_fixup_f64 v[220:221], v[212:213], v[216:217], v[218:219]
	s_delay_alu instid0(VALU_DEP_1) | instskip(NEXT) | instid1(VALU_DEP_1)
	v_fma_f64 v[212:213], v[218:219], v[220:221], v[216:217]
	v_div_scale_f64 v[216:217], null, v[212:213], v[212:213], 1.0
	s_delay_alu instid0(VALU_DEP_1) | instskip(SKIP_2) | instid1(VALU_DEP_1)
	v_rcp_f64_e32 v[218:219], v[216:217]
	s_waitcnt_depctr 0xfff
	v_fma_f64 v[222:223], -v[216:217], v[218:219], 1.0
	v_fma_f64 v[218:219], v[218:219], v[222:223], v[218:219]
	s_delay_alu instid0(VALU_DEP_1) | instskip(NEXT) | instid1(VALU_DEP_1)
	v_fma_f64 v[222:223], -v[216:217], v[218:219], 1.0
	v_fma_f64 v[218:219], v[218:219], v[222:223], v[218:219]
	v_div_scale_f64 v[222:223], vcc_lo, 1.0, v[212:213], 1.0
	s_delay_alu instid0(VALU_DEP_1) | instskip(NEXT) | instid1(VALU_DEP_1)
	v_mul_f64 v[224:225], v[222:223], v[218:219]
	v_fma_f64 v[216:217], -v[216:217], v[224:225], v[222:223]
	s_delay_alu instid0(VALU_DEP_1) | instskip(NEXT) | instid1(VALU_DEP_1)
	v_div_fmas_f64 v[216:217], v[216:217], v[218:219], v[224:225]
	v_div_fixup_f64 v[212:213], v[216:217], v[212:213], 1.0
	s_delay_alu instid0(VALU_DEP_1)
	v_mul_f64 v[222:223], v[220:221], -v[212:213]
.LBB109_124:
	s_or_b32 exec_lo, exec_lo, s3
	ds_store_2addr_b64 v204, v[212:213], v[222:223] offset1:1
.LBB109_125:
	s_or_b32 exec_lo, exec_lo, s4
	s_waitcnt lgkmcnt(0)
	s_barrier
	buffer_gl0_inv
	ds_load_2addr_b64 v[207:210], v204 offset1:1
	s_mov_b32 s3, exec_lo
	s_waitcnt lgkmcnt(0)
	scratch_store_b128 off, v[207:210], off offset:704 ; 16-byte Folded Spill
	v_cmpx_lt_u32_e32 13, v215
	s_cbranch_execz .LBB109_127
; %bb.126:
	scratch_load_b128 v[207:210], off, off offset:704 ; 16-byte Folded Reload
	ds_load_2addr_b64 v[218:221], v214 offset0:28 offset1:29
	s_waitcnt vmcnt(0)
	v_mul_f64 v[212:213], v[209:210], v[166:167]
	v_mul_f64 v[166:167], v[207:208], v[166:167]
	s_delay_alu instid0(VALU_DEP_2) | instskip(NEXT) | instid1(VALU_DEP_2)
	v_fma_f64 v[216:217], v[207:208], v[164:165], -v[212:213]
	v_fma_f64 v[166:167], v[209:210], v[164:165], v[166:167]
	s_waitcnt lgkmcnt(0)
	s_delay_alu instid0(VALU_DEP_1) | instskip(SKIP_1) | instid1(VALU_DEP_2)
	v_mul_f64 v[164:165], v[220:221], v[166:167]
	v_mul_f64 v[212:213], v[218:219], v[166:167]
	v_fma_f64 v[164:165], v[218:219], v[216:217], -v[164:165]
	s_delay_alu instid0(VALU_DEP_2)
	v_fma_f64 v[212:213], v[220:221], v[216:217], v[212:213]
	ds_load_2addr_b64 v[218:221], v214 offset0:30 offset1:31
	v_add_f64 v[160:161], v[160:161], -v[164:165]
	v_add_f64 v[162:163], v[162:163], -v[212:213]
	s_waitcnt lgkmcnt(0)
	v_mul_f64 v[164:165], v[220:221], v[166:167]
	v_mul_f64 v[212:213], v[218:219], v[166:167]
	s_delay_alu instid0(VALU_DEP_2) | instskip(NEXT) | instid1(VALU_DEP_2)
	v_fma_f64 v[164:165], v[218:219], v[216:217], -v[164:165]
	v_fma_f64 v[212:213], v[220:221], v[216:217], v[212:213]
	ds_load_2addr_b64 v[218:221], v214 offset0:32 offset1:33
	v_add_f64 v[156:157], v[156:157], -v[164:165]
	v_add_f64 v[158:159], v[158:159], -v[212:213]
	s_waitcnt lgkmcnt(0)
	v_mul_f64 v[164:165], v[220:221], v[166:167]
	v_mul_f64 v[212:213], v[218:219], v[166:167]
	s_delay_alu instid0(VALU_DEP_2) | instskip(NEXT) | instid1(VALU_DEP_2)
	v_fma_f64 v[164:165], v[218:219], v[216:217], -v[164:165]
	;; [unrolled: 9-line block ×40, first 2 shown]
	v_fma_f64 v[212:213], v[220:221], v[216:217], v[212:213]
	s_delay_alu instid0(VALU_DEP_2) | instskip(NEXT) | instid1(VALU_DEP_2)
	v_add_f64 v[0:1], v[0:1], -v[164:165]
	v_add_f64 v[2:3], v[2:3], -v[212:213]
	v_dual_mov_b32 v164, v216 :: v_dual_mov_b32 v165, v217
.LBB109_127:
	s_or_b32 exec_lo, exec_lo, s3
	s_delay_alu instid0(SALU_CYCLE_1)
	s_mov_b32 s4, exec_lo
	s_waitcnt_vscnt null, 0x0
	s_barrier
	buffer_gl0_inv
	v_cmpx_eq_u32_e32 14, v215
	s_cbranch_execz .LBB109_134
; %bb.128:
	ds_store_2addr_b64 v204, v[160:161], v[162:163] offset1:1
	ds_store_2addr_b64 v214, v[156:157], v[158:159] offset0:30 offset1:31
	ds_store_2addr_b64 v214, v[152:153], v[154:155] offset0:32 offset1:33
	;; [unrolled: 1-line block ×40, first 2 shown]
	ds_load_2addr_b64 v[216:219], v204 offset1:1
	s_waitcnt lgkmcnt(0)
	v_cmp_neq_f64_e32 vcc_lo, 0, v[216:217]
	v_cmp_neq_f64_e64 s3, 0, v[218:219]
	s_delay_alu instid0(VALU_DEP_1) | instskip(NEXT) | instid1(SALU_CYCLE_1)
	s_or_b32 s3, vcc_lo, s3
	s_and_b32 exec_lo, exec_lo, s3
	s_cbranch_execz .LBB109_134
; %bb.129:
	v_cmp_gt_f64_e32 vcc_lo, 0, v[216:217]
	v_xor_b32_e32 v208, 0x80000000, v217
	s_delay_alu instid0(VALU_DEP_1) | instskip(SKIP_3) | instid1(VALU_DEP_1)
	v_cndmask_b32_e32 v213, v217, v208, vcc_lo
	v_cndmask_b32_e32 v212, v216, v216, vcc_lo
	v_cmp_gt_f64_e32 vcc_lo, 0, v[218:219]
	v_xor_b32_e32 v208, 0x80000000, v219
	v_dual_cndmask_b32 v220, v218, v218 :: v_dual_cndmask_b32 v221, v219, v208
	s_delay_alu instid0(VALU_DEP_1) | instskip(SKIP_1) | instid1(SALU_CYCLE_1)
	v_cmp_ngt_f64_e32 vcc_lo, v[212:213], v[220:221]
                                        ; implicit-def: $vgpr212_vgpr213
	s_and_saveexec_b32 s3, vcc_lo
	s_xor_b32 s3, exec_lo, s3
                                        ; implicit-def: $vgpr220_vgpr221_vgpr222_vgpr223
	s_cbranch_execz .LBB109_131
; %bb.130:
	v_div_scale_f64 v[212:213], null, v[218:219], v[218:219], v[216:217]
	v_div_scale_f64 v[224:225], vcc_lo, v[216:217], v[218:219], v[216:217]
	s_delay_alu instid0(VALU_DEP_2) | instskip(SKIP_2) | instid1(VALU_DEP_1)
	v_rcp_f64_e32 v[220:221], v[212:213]
	s_waitcnt_depctr 0xfff
	v_fma_f64 v[222:223], -v[212:213], v[220:221], 1.0
	v_fma_f64 v[220:221], v[220:221], v[222:223], v[220:221]
	s_delay_alu instid0(VALU_DEP_1) | instskip(NEXT) | instid1(VALU_DEP_1)
	v_fma_f64 v[222:223], -v[212:213], v[220:221], 1.0
	v_fma_f64 v[220:221], v[220:221], v[222:223], v[220:221]
	s_delay_alu instid0(VALU_DEP_1) | instskip(NEXT) | instid1(VALU_DEP_1)
	v_mul_f64 v[222:223], v[224:225], v[220:221]
	v_fma_f64 v[212:213], -v[212:213], v[222:223], v[224:225]
	s_delay_alu instid0(VALU_DEP_1) | instskip(NEXT) | instid1(VALU_DEP_1)
	v_div_fmas_f64 v[212:213], v[212:213], v[220:221], v[222:223]
	v_div_fixup_f64 v[212:213], v[212:213], v[218:219], v[216:217]
	s_delay_alu instid0(VALU_DEP_1) | instskip(NEXT) | instid1(VALU_DEP_1)
	v_fma_f64 v[216:217], v[216:217], v[212:213], v[218:219]
	v_div_scale_f64 v[218:219], null, v[216:217], v[216:217], 1.0
	s_delay_alu instid0(VALU_DEP_1) | instskip(SKIP_2) | instid1(VALU_DEP_1)
	v_rcp_f64_e32 v[220:221], v[218:219]
	s_waitcnt_depctr 0xfff
	v_fma_f64 v[222:223], -v[218:219], v[220:221], 1.0
	v_fma_f64 v[220:221], v[220:221], v[222:223], v[220:221]
	s_delay_alu instid0(VALU_DEP_1) | instskip(NEXT) | instid1(VALU_DEP_1)
	v_fma_f64 v[222:223], -v[218:219], v[220:221], 1.0
	v_fma_f64 v[220:221], v[220:221], v[222:223], v[220:221]
	v_div_scale_f64 v[222:223], vcc_lo, 1.0, v[216:217], 1.0
	s_delay_alu instid0(VALU_DEP_1) | instskip(NEXT) | instid1(VALU_DEP_1)
	v_mul_f64 v[224:225], v[222:223], v[220:221]
	v_fma_f64 v[218:219], -v[218:219], v[224:225], v[222:223]
	s_delay_alu instid0(VALU_DEP_1) | instskip(NEXT) | instid1(VALU_DEP_1)
	v_div_fmas_f64 v[218:219], v[218:219], v[220:221], v[224:225]
	v_div_fixup_f64 v[222:223], v[218:219], v[216:217], 1.0
                                        ; implicit-def: $vgpr216_vgpr217
	s_delay_alu instid0(VALU_DEP_1)
	v_mul_f64 v[212:213], v[212:213], v[222:223]
	v_xor_b32_e32 v223, 0x80000000, v223
.LBB109_131:
	s_and_not1_saveexec_b32 s3, s3
	s_cbranch_execz .LBB109_133
; %bb.132:
	v_div_scale_f64 v[212:213], null, v[216:217], v[216:217], v[218:219]
	v_div_scale_f64 v[224:225], vcc_lo, v[218:219], v[216:217], v[218:219]
	s_delay_alu instid0(VALU_DEP_2) | instskip(SKIP_2) | instid1(VALU_DEP_1)
	v_rcp_f64_e32 v[220:221], v[212:213]
	s_waitcnt_depctr 0xfff
	v_fma_f64 v[222:223], -v[212:213], v[220:221], 1.0
	v_fma_f64 v[220:221], v[220:221], v[222:223], v[220:221]
	s_delay_alu instid0(VALU_DEP_1) | instskip(NEXT) | instid1(VALU_DEP_1)
	v_fma_f64 v[222:223], -v[212:213], v[220:221], 1.0
	v_fma_f64 v[220:221], v[220:221], v[222:223], v[220:221]
	s_delay_alu instid0(VALU_DEP_1) | instskip(NEXT) | instid1(VALU_DEP_1)
	v_mul_f64 v[222:223], v[224:225], v[220:221]
	v_fma_f64 v[212:213], -v[212:213], v[222:223], v[224:225]
	s_delay_alu instid0(VALU_DEP_1) | instskip(NEXT) | instid1(VALU_DEP_1)
	v_div_fmas_f64 v[212:213], v[212:213], v[220:221], v[222:223]
	v_div_fixup_f64 v[220:221], v[212:213], v[216:217], v[218:219]
	s_delay_alu instid0(VALU_DEP_1) | instskip(NEXT) | instid1(VALU_DEP_1)
	v_fma_f64 v[212:213], v[218:219], v[220:221], v[216:217]
	v_div_scale_f64 v[216:217], null, v[212:213], v[212:213], 1.0
	s_delay_alu instid0(VALU_DEP_1) | instskip(SKIP_2) | instid1(VALU_DEP_1)
	v_rcp_f64_e32 v[218:219], v[216:217]
	s_waitcnt_depctr 0xfff
	v_fma_f64 v[222:223], -v[216:217], v[218:219], 1.0
	v_fma_f64 v[218:219], v[218:219], v[222:223], v[218:219]
	s_delay_alu instid0(VALU_DEP_1) | instskip(NEXT) | instid1(VALU_DEP_1)
	v_fma_f64 v[222:223], -v[216:217], v[218:219], 1.0
	v_fma_f64 v[218:219], v[218:219], v[222:223], v[218:219]
	v_div_scale_f64 v[222:223], vcc_lo, 1.0, v[212:213], 1.0
	s_delay_alu instid0(VALU_DEP_1) | instskip(NEXT) | instid1(VALU_DEP_1)
	v_mul_f64 v[224:225], v[222:223], v[218:219]
	v_fma_f64 v[216:217], -v[216:217], v[224:225], v[222:223]
	s_delay_alu instid0(VALU_DEP_1) | instskip(NEXT) | instid1(VALU_DEP_1)
	v_div_fmas_f64 v[216:217], v[216:217], v[218:219], v[224:225]
	v_div_fixup_f64 v[212:213], v[216:217], v[212:213], 1.0
	s_delay_alu instid0(VALU_DEP_1)
	v_mul_f64 v[222:223], v[220:221], -v[212:213]
.LBB109_133:
	s_or_b32 exec_lo, exec_lo, s3
	ds_store_2addr_b64 v204, v[212:213], v[222:223] offset1:1
.LBB109_134:
	s_or_b32 exec_lo, exec_lo, s4
	s_waitcnt lgkmcnt(0)
	s_barrier
	buffer_gl0_inv
	ds_load_2addr_b64 v[207:210], v204 offset1:1
	s_mov_b32 s3, exec_lo
	s_waitcnt lgkmcnt(0)
	scratch_store_b128 off, v[207:210], off offset:720 ; 16-byte Folded Spill
	v_cmpx_lt_u32_e32 14, v215
	s_cbranch_execz .LBB109_136
; %bb.135:
	scratch_load_b128 v[207:210], off, off offset:720 ; 16-byte Folded Reload
	ds_load_2addr_b64 v[218:221], v214 offset0:30 offset1:31
	s_waitcnt vmcnt(0)
	v_mul_f64 v[212:213], v[209:210], v[162:163]
	v_mul_f64 v[162:163], v[207:208], v[162:163]
	s_delay_alu instid0(VALU_DEP_2) | instskip(NEXT) | instid1(VALU_DEP_2)
	v_fma_f64 v[216:217], v[207:208], v[160:161], -v[212:213]
	v_fma_f64 v[162:163], v[209:210], v[160:161], v[162:163]
	s_waitcnt lgkmcnt(0)
	s_delay_alu instid0(VALU_DEP_1) | instskip(SKIP_1) | instid1(VALU_DEP_2)
	v_mul_f64 v[160:161], v[220:221], v[162:163]
	v_mul_f64 v[212:213], v[218:219], v[162:163]
	v_fma_f64 v[160:161], v[218:219], v[216:217], -v[160:161]
	s_delay_alu instid0(VALU_DEP_2)
	v_fma_f64 v[212:213], v[220:221], v[216:217], v[212:213]
	ds_load_2addr_b64 v[218:221], v214 offset0:32 offset1:33
	v_add_f64 v[156:157], v[156:157], -v[160:161]
	v_add_f64 v[158:159], v[158:159], -v[212:213]
	s_waitcnt lgkmcnt(0)
	v_mul_f64 v[160:161], v[220:221], v[162:163]
	v_mul_f64 v[212:213], v[218:219], v[162:163]
	s_delay_alu instid0(VALU_DEP_2) | instskip(NEXT) | instid1(VALU_DEP_2)
	v_fma_f64 v[160:161], v[218:219], v[216:217], -v[160:161]
	v_fma_f64 v[212:213], v[220:221], v[216:217], v[212:213]
	ds_load_2addr_b64 v[218:221], v214 offset0:34 offset1:35
	v_add_f64 v[152:153], v[152:153], -v[160:161]
	v_add_f64 v[154:155], v[154:155], -v[212:213]
	s_waitcnt lgkmcnt(0)
	v_mul_f64 v[160:161], v[220:221], v[162:163]
	v_mul_f64 v[212:213], v[218:219], v[162:163]
	s_delay_alu instid0(VALU_DEP_2) | instskip(NEXT) | instid1(VALU_DEP_2)
	v_fma_f64 v[160:161], v[218:219], v[216:217], -v[160:161]
	;; [unrolled: 9-line block ×39, first 2 shown]
	v_fma_f64 v[212:213], v[220:221], v[216:217], v[212:213]
	s_delay_alu instid0(VALU_DEP_2) | instskip(NEXT) | instid1(VALU_DEP_2)
	v_add_f64 v[0:1], v[0:1], -v[160:161]
	v_add_f64 v[2:3], v[2:3], -v[212:213]
	v_dual_mov_b32 v160, v216 :: v_dual_mov_b32 v161, v217
.LBB109_136:
	s_or_b32 exec_lo, exec_lo, s3
	s_delay_alu instid0(SALU_CYCLE_1)
	s_mov_b32 s4, exec_lo
	s_waitcnt_vscnt null, 0x0
	s_barrier
	buffer_gl0_inv
	v_cmpx_eq_u32_e32 15, v215
	s_cbranch_execz .LBB109_143
; %bb.137:
	ds_store_2addr_b64 v204, v[156:157], v[158:159] offset1:1
	ds_store_2addr_b64 v214, v[152:153], v[154:155] offset0:32 offset1:33
	ds_store_2addr_b64 v214, v[148:149], v[150:151] offset0:34 offset1:35
	;; [unrolled: 1-line block ×39, first 2 shown]
	ds_load_2addr_b64 v[216:219], v204 offset1:1
	s_waitcnt lgkmcnt(0)
	v_cmp_neq_f64_e32 vcc_lo, 0, v[216:217]
	v_cmp_neq_f64_e64 s3, 0, v[218:219]
	s_delay_alu instid0(VALU_DEP_1) | instskip(NEXT) | instid1(SALU_CYCLE_1)
	s_or_b32 s3, vcc_lo, s3
	s_and_b32 exec_lo, exec_lo, s3
	s_cbranch_execz .LBB109_143
; %bb.138:
	v_cmp_gt_f64_e32 vcc_lo, 0, v[216:217]
	v_xor_b32_e32 v208, 0x80000000, v217
	s_delay_alu instid0(VALU_DEP_1) | instskip(SKIP_3) | instid1(VALU_DEP_1)
	v_cndmask_b32_e32 v213, v217, v208, vcc_lo
	v_cndmask_b32_e32 v212, v216, v216, vcc_lo
	v_cmp_gt_f64_e32 vcc_lo, 0, v[218:219]
	v_xor_b32_e32 v208, 0x80000000, v219
	v_dual_cndmask_b32 v220, v218, v218 :: v_dual_cndmask_b32 v221, v219, v208
	s_delay_alu instid0(VALU_DEP_1) | instskip(SKIP_1) | instid1(SALU_CYCLE_1)
	v_cmp_ngt_f64_e32 vcc_lo, v[212:213], v[220:221]
                                        ; implicit-def: $vgpr212_vgpr213
	s_and_saveexec_b32 s3, vcc_lo
	s_xor_b32 s3, exec_lo, s3
                                        ; implicit-def: $vgpr220_vgpr221_vgpr222_vgpr223
	s_cbranch_execz .LBB109_140
; %bb.139:
	v_div_scale_f64 v[212:213], null, v[218:219], v[218:219], v[216:217]
	v_div_scale_f64 v[224:225], vcc_lo, v[216:217], v[218:219], v[216:217]
	s_delay_alu instid0(VALU_DEP_2) | instskip(SKIP_2) | instid1(VALU_DEP_1)
	v_rcp_f64_e32 v[220:221], v[212:213]
	s_waitcnt_depctr 0xfff
	v_fma_f64 v[222:223], -v[212:213], v[220:221], 1.0
	v_fma_f64 v[220:221], v[220:221], v[222:223], v[220:221]
	s_delay_alu instid0(VALU_DEP_1) | instskip(NEXT) | instid1(VALU_DEP_1)
	v_fma_f64 v[222:223], -v[212:213], v[220:221], 1.0
	v_fma_f64 v[220:221], v[220:221], v[222:223], v[220:221]
	s_delay_alu instid0(VALU_DEP_1) | instskip(NEXT) | instid1(VALU_DEP_1)
	v_mul_f64 v[222:223], v[224:225], v[220:221]
	v_fma_f64 v[212:213], -v[212:213], v[222:223], v[224:225]
	s_delay_alu instid0(VALU_DEP_1) | instskip(NEXT) | instid1(VALU_DEP_1)
	v_div_fmas_f64 v[212:213], v[212:213], v[220:221], v[222:223]
	v_div_fixup_f64 v[212:213], v[212:213], v[218:219], v[216:217]
	s_delay_alu instid0(VALU_DEP_1) | instskip(NEXT) | instid1(VALU_DEP_1)
	v_fma_f64 v[216:217], v[216:217], v[212:213], v[218:219]
	v_div_scale_f64 v[218:219], null, v[216:217], v[216:217], 1.0
	s_delay_alu instid0(VALU_DEP_1) | instskip(SKIP_2) | instid1(VALU_DEP_1)
	v_rcp_f64_e32 v[220:221], v[218:219]
	s_waitcnt_depctr 0xfff
	v_fma_f64 v[222:223], -v[218:219], v[220:221], 1.0
	v_fma_f64 v[220:221], v[220:221], v[222:223], v[220:221]
	s_delay_alu instid0(VALU_DEP_1) | instskip(NEXT) | instid1(VALU_DEP_1)
	v_fma_f64 v[222:223], -v[218:219], v[220:221], 1.0
	v_fma_f64 v[220:221], v[220:221], v[222:223], v[220:221]
	v_div_scale_f64 v[222:223], vcc_lo, 1.0, v[216:217], 1.0
	s_delay_alu instid0(VALU_DEP_1) | instskip(NEXT) | instid1(VALU_DEP_1)
	v_mul_f64 v[224:225], v[222:223], v[220:221]
	v_fma_f64 v[218:219], -v[218:219], v[224:225], v[222:223]
	s_delay_alu instid0(VALU_DEP_1) | instskip(NEXT) | instid1(VALU_DEP_1)
	v_div_fmas_f64 v[218:219], v[218:219], v[220:221], v[224:225]
	v_div_fixup_f64 v[222:223], v[218:219], v[216:217], 1.0
                                        ; implicit-def: $vgpr216_vgpr217
	s_delay_alu instid0(VALU_DEP_1)
	v_mul_f64 v[212:213], v[212:213], v[222:223]
	v_xor_b32_e32 v223, 0x80000000, v223
.LBB109_140:
	s_and_not1_saveexec_b32 s3, s3
	s_cbranch_execz .LBB109_142
; %bb.141:
	v_div_scale_f64 v[212:213], null, v[216:217], v[216:217], v[218:219]
	v_div_scale_f64 v[224:225], vcc_lo, v[218:219], v[216:217], v[218:219]
	s_delay_alu instid0(VALU_DEP_2) | instskip(SKIP_2) | instid1(VALU_DEP_1)
	v_rcp_f64_e32 v[220:221], v[212:213]
	s_waitcnt_depctr 0xfff
	v_fma_f64 v[222:223], -v[212:213], v[220:221], 1.0
	v_fma_f64 v[220:221], v[220:221], v[222:223], v[220:221]
	s_delay_alu instid0(VALU_DEP_1) | instskip(NEXT) | instid1(VALU_DEP_1)
	v_fma_f64 v[222:223], -v[212:213], v[220:221], 1.0
	v_fma_f64 v[220:221], v[220:221], v[222:223], v[220:221]
	s_delay_alu instid0(VALU_DEP_1) | instskip(NEXT) | instid1(VALU_DEP_1)
	v_mul_f64 v[222:223], v[224:225], v[220:221]
	v_fma_f64 v[212:213], -v[212:213], v[222:223], v[224:225]
	s_delay_alu instid0(VALU_DEP_1) | instskip(NEXT) | instid1(VALU_DEP_1)
	v_div_fmas_f64 v[212:213], v[212:213], v[220:221], v[222:223]
	v_div_fixup_f64 v[220:221], v[212:213], v[216:217], v[218:219]
	s_delay_alu instid0(VALU_DEP_1) | instskip(NEXT) | instid1(VALU_DEP_1)
	v_fma_f64 v[212:213], v[218:219], v[220:221], v[216:217]
	v_div_scale_f64 v[216:217], null, v[212:213], v[212:213], 1.0
	s_delay_alu instid0(VALU_DEP_1) | instskip(SKIP_2) | instid1(VALU_DEP_1)
	v_rcp_f64_e32 v[218:219], v[216:217]
	s_waitcnt_depctr 0xfff
	v_fma_f64 v[222:223], -v[216:217], v[218:219], 1.0
	v_fma_f64 v[218:219], v[218:219], v[222:223], v[218:219]
	s_delay_alu instid0(VALU_DEP_1) | instskip(NEXT) | instid1(VALU_DEP_1)
	v_fma_f64 v[222:223], -v[216:217], v[218:219], 1.0
	v_fma_f64 v[218:219], v[218:219], v[222:223], v[218:219]
	v_div_scale_f64 v[222:223], vcc_lo, 1.0, v[212:213], 1.0
	s_delay_alu instid0(VALU_DEP_1) | instskip(NEXT) | instid1(VALU_DEP_1)
	v_mul_f64 v[224:225], v[222:223], v[218:219]
	v_fma_f64 v[216:217], -v[216:217], v[224:225], v[222:223]
	s_delay_alu instid0(VALU_DEP_1) | instskip(NEXT) | instid1(VALU_DEP_1)
	v_div_fmas_f64 v[216:217], v[216:217], v[218:219], v[224:225]
	v_div_fixup_f64 v[212:213], v[216:217], v[212:213], 1.0
	s_delay_alu instid0(VALU_DEP_1)
	v_mul_f64 v[222:223], v[220:221], -v[212:213]
.LBB109_142:
	s_or_b32 exec_lo, exec_lo, s3
	ds_store_2addr_b64 v204, v[212:213], v[222:223] offset1:1
.LBB109_143:
	s_or_b32 exec_lo, exec_lo, s4
	s_waitcnt lgkmcnt(0)
	s_barrier
	buffer_gl0_inv
	ds_load_2addr_b64 v[207:210], v204 offset1:1
	s_mov_b32 s3, exec_lo
	s_waitcnt lgkmcnt(0)
	scratch_store_b128 off, v[207:210], off offset:736 ; 16-byte Folded Spill
	v_cmpx_lt_u32_e32 15, v215
	s_cbranch_execz .LBB109_145
; %bb.144:
	scratch_load_b128 v[207:210], off, off offset:736 ; 16-byte Folded Reload
	ds_load_2addr_b64 v[218:221], v214 offset0:32 offset1:33
	s_waitcnt vmcnt(0)
	v_mul_f64 v[212:213], v[209:210], v[158:159]
	v_mul_f64 v[158:159], v[207:208], v[158:159]
	s_delay_alu instid0(VALU_DEP_2) | instskip(NEXT) | instid1(VALU_DEP_2)
	v_fma_f64 v[216:217], v[207:208], v[156:157], -v[212:213]
	v_fma_f64 v[158:159], v[209:210], v[156:157], v[158:159]
	s_waitcnt lgkmcnt(0)
	s_delay_alu instid0(VALU_DEP_1) | instskip(SKIP_1) | instid1(VALU_DEP_2)
	v_mul_f64 v[156:157], v[220:221], v[158:159]
	v_mul_f64 v[212:213], v[218:219], v[158:159]
	v_fma_f64 v[156:157], v[218:219], v[216:217], -v[156:157]
	s_delay_alu instid0(VALU_DEP_2)
	v_fma_f64 v[212:213], v[220:221], v[216:217], v[212:213]
	ds_load_2addr_b64 v[218:221], v214 offset0:34 offset1:35
	v_add_f64 v[152:153], v[152:153], -v[156:157]
	v_add_f64 v[154:155], v[154:155], -v[212:213]
	s_waitcnt lgkmcnt(0)
	v_mul_f64 v[156:157], v[220:221], v[158:159]
	v_mul_f64 v[212:213], v[218:219], v[158:159]
	s_delay_alu instid0(VALU_DEP_2) | instskip(NEXT) | instid1(VALU_DEP_2)
	v_fma_f64 v[156:157], v[218:219], v[216:217], -v[156:157]
	v_fma_f64 v[212:213], v[220:221], v[216:217], v[212:213]
	ds_load_2addr_b64 v[218:221], v214 offset0:36 offset1:37
	v_add_f64 v[148:149], v[148:149], -v[156:157]
	v_add_f64 v[150:151], v[150:151], -v[212:213]
	s_waitcnt lgkmcnt(0)
	v_mul_f64 v[156:157], v[220:221], v[158:159]
	v_mul_f64 v[212:213], v[218:219], v[158:159]
	s_delay_alu instid0(VALU_DEP_2) | instskip(NEXT) | instid1(VALU_DEP_2)
	v_fma_f64 v[156:157], v[218:219], v[216:217], -v[156:157]
	;; [unrolled: 9-line block ×38, first 2 shown]
	v_fma_f64 v[212:213], v[220:221], v[216:217], v[212:213]
	s_delay_alu instid0(VALU_DEP_2) | instskip(NEXT) | instid1(VALU_DEP_2)
	v_add_f64 v[0:1], v[0:1], -v[156:157]
	v_add_f64 v[2:3], v[2:3], -v[212:213]
	v_dual_mov_b32 v156, v216 :: v_dual_mov_b32 v157, v217
.LBB109_145:
	s_or_b32 exec_lo, exec_lo, s3
	s_delay_alu instid0(SALU_CYCLE_1)
	s_mov_b32 s4, exec_lo
	s_waitcnt_vscnt null, 0x0
	s_barrier
	buffer_gl0_inv
	v_cmpx_eq_u32_e32 16, v215
	s_cbranch_execz .LBB109_152
; %bb.146:
	ds_store_2addr_b64 v204, v[152:153], v[154:155] offset1:1
	ds_store_2addr_b64 v214, v[148:149], v[150:151] offset0:34 offset1:35
	ds_store_2addr_b64 v214, v[144:145], v[146:147] offset0:36 offset1:37
	;; [unrolled: 1-line block ×38, first 2 shown]
	ds_load_2addr_b64 v[216:219], v204 offset1:1
	s_waitcnt lgkmcnt(0)
	v_cmp_neq_f64_e32 vcc_lo, 0, v[216:217]
	v_cmp_neq_f64_e64 s3, 0, v[218:219]
	s_delay_alu instid0(VALU_DEP_1) | instskip(NEXT) | instid1(SALU_CYCLE_1)
	s_or_b32 s3, vcc_lo, s3
	s_and_b32 exec_lo, exec_lo, s3
	s_cbranch_execz .LBB109_152
; %bb.147:
	v_cmp_gt_f64_e32 vcc_lo, 0, v[216:217]
	v_xor_b32_e32 v208, 0x80000000, v217
	s_delay_alu instid0(VALU_DEP_1) | instskip(SKIP_3) | instid1(VALU_DEP_1)
	v_cndmask_b32_e32 v213, v217, v208, vcc_lo
	v_cndmask_b32_e32 v212, v216, v216, vcc_lo
	v_cmp_gt_f64_e32 vcc_lo, 0, v[218:219]
	v_xor_b32_e32 v208, 0x80000000, v219
	v_dual_cndmask_b32 v220, v218, v218 :: v_dual_cndmask_b32 v221, v219, v208
	s_delay_alu instid0(VALU_DEP_1) | instskip(SKIP_1) | instid1(SALU_CYCLE_1)
	v_cmp_ngt_f64_e32 vcc_lo, v[212:213], v[220:221]
                                        ; implicit-def: $vgpr212_vgpr213
	s_and_saveexec_b32 s3, vcc_lo
	s_xor_b32 s3, exec_lo, s3
                                        ; implicit-def: $vgpr220_vgpr221_vgpr222_vgpr223
	s_cbranch_execz .LBB109_149
; %bb.148:
	v_div_scale_f64 v[212:213], null, v[218:219], v[218:219], v[216:217]
	v_div_scale_f64 v[224:225], vcc_lo, v[216:217], v[218:219], v[216:217]
	s_delay_alu instid0(VALU_DEP_2) | instskip(SKIP_2) | instid1(VALU_DEP_1)
	v_rcp_f64_e32 v[220:221], v[212:213]
	s_waitcnt_depctr 0xfff
	v_fma_f64 v[222:223], -v[212:213], v[220:221], 1.0
	v_fma_f64 v[220:221], v[220:221], v[222:223], v[220:221]
	s_delay_alu instid0(VALU_DEP_1) | instskip(NEXT) | instid1(VALU_DEP_1)
	v_fma_f64 v[222:223], -v[212:213], v[220:221], 1.0
	v_fma_f64 v[220:221], v[220:221], v[222:223], v[220:221]
	s_delay_alu instid0(VALU_DEP_1) | instskip(NEXT) | instid1(VALU_DEP_1)
	v_mul_f64 v[222:223], v[224:225], v[220:221]
	v_fma_f64 v[212:213], -v[212:213], v[222:223], v[224:225]
	s_delay_alu instid0(VALU_DEP_1) | instskip(NEXT) | instid1(VALU_DEP_1)
	v_div_fmas_f64 v[212:213], v[212:213], v[220:221], v[222:223]
	v_div_fixup_f64 v[212:213], v[212:213], v[218:219], v[216:217]
	s_delay_alu instid0(VALU_DEP_1) | instskip(NEXT) | instid1(VALU_DEP_1)
	v_fma_f64 v[216:217], v[216:217], v[212:213], v[218:219]
	v_div_scale_f64 v[218:219], null, v[216:217], v[216:217], 1.0
	s_delay_alu instid0(VALU_DEP_1) | instskip(SKIP_2) | instid1(VALU_DEP_1)
	v_rcp_f64_e32 v[220:221], v[218:219]
	s_waitcnt_depctr 0xfff
	v_fma_f64 v[222:223], -v[218:219], v[220:221], 1.0
	v_fma_f64 v[220:221], v[220:221], v[222:223], v[220:221]
	s_delay_alu instid0(VALU_DEP_1) | instskip(NEXT) | instid1(VALU_DEP_1)
	v_fma_f64 v[222:223], -v[218:219], v[220:221], 1.0
	v_fma_f64 v[220:221], v[220:221], v[222:223], v[220:221]
	v_div_scale_f64 v[222:223], vcc_lo, 1.0, v[216:217], 1.0
	s_delay_alu instid0(VALU_DEP_1) | instskip(NEXT) | instid1(VALU_DEP_1)
	v_mul_f64 v[224:225], v[222:223], v[220:221]
	v_fma_f64 v[218:219], -v[218:219], v[224:225], v[222:223]
	s_delay_alu instid0(VALU_DEP_1) | instskip(NEXT) | instid1(VALU_DEP_1)
	v_div_fmas_f64 v[218:219], v[218:219], v[220:221], v[224:225]
	v_div_fixup_f64 v[222:223], v[218:219], v[216:217], 1.0
                                        ; implicit-def: $vgpr216_vgpr217
	s_delay_alu instid0(VALU_DEP_1)
	v_mul_f64 v[212:213], v[212:213], v[222:223]
	v_xor_b32_e32 v223, 0x80000000, v223
.LBB109_149:
	s_and_not1_saveexec_b32 s3, s3
	s_cbranch_execz .LBB109_151
; %bb.150:
	v_div_scale_f64 v[212:213], null, v[216:217], v[216:217], v[218:219]
	v_div_scale_f64 v[224:225], vcc_lo, v[218:219], v[216:217], v[218:219]
	s_delay_alu instid0(VALU_DEP_2) | instskip(SKIP_2) | instid1(VALU_DEP_1)
	v_rcp_f64_e32 v[220:221], v[212:213]
	s_waitcnt_depctr 0xfff
	v_fma_f64 v[222:223], -v[212:213], v[220:221], 1.0
	v_fma_f64 v[220:221], v[220:221], v[222:223], v[220:221]
	s_delay_alu instid0(VALU_DEP_1) | instskip(NEXT) | instid1(VALU_DEP_1)
	v_fma_f64 v[222:223], -v[212:213], v[220:221], 1.0
	v_fma_f64 v[220:221], v[220:221], v[222:223], v[220:221]
	s_delay_alu instid0(VALU_DEP_1) | instskip(NEXT) | instid1(VALU_DEP_1)
	v_mul_f64 v[222:223], v[224:225], v[220:221]
	v_fma_f64 v[212:213], -v[212:213], v[222:223], v[224:225]
	s_delay_alu instid0(VALU_DEP_1) | instskip(NEXT) | instid1(VALU_DEP_1)
	v_div_fmas_f64 v[212:213], v[212:213], v[220:221], v[222:223]
	v_div_fixup_f64 v[220:221], v[212:213], v[216:217], v[218:219]
	s_delay_alu instid0(VALU_DEP_1) | instskip(NEXT) | instid1(VALU_DEP_1)
	v_fma_f64 v[212:213], v[218:219], v[220:221], v[216:217]
	v_div_scale_f64 v[216:217], null, v[212:213], v[212:213], 1.0
	s_delay_alu instid0(VALU_DEP_1) | instskip(SKIP_2) | instid1(VALU_DEP_1)
	v_rcp_f64_e32 v[218:219], v[216:217]
	s_waitcnt_depctr 0xfff
	v_fma_f64 v[222:223], -v[216:217], v[218:219], 1.0
	v_fma_f64 v[218:219], v[218:219], v[222:223], v[218:219]
	s_delay_alu instid0(VALU_DEP_1) | instskip(NEXT) | instid1(VALU_DEP_1)
	v_fma_f64 v[222:223], -v[216:217], v[218:219], 1.0
	v_fma_f64 v[218:219], v[218:219], v[222:223], v[218:219]
	v_div_scale_f64 v[222:223], vcc_lo, 1.0, v[212:213], 1.0
	s_delay_alu instid0(VALU_DEP_1) | instskip(NEXT) | instid1(VALU_DEP_1)
	v_mul_f64 v[224:225], v[222:223], v[218:219]
	v_fma_f64 v[216:217], -v[216:217], v[224:225], v[222:223]
	s_delay_alu instid0(VALU_DEP_1) | instskip(NEXT) | instid1(VALU_DEP_1)
	v_div_fmas_f64 v[216:217], v[216:217], v[218:219], v[224:225]
	v_div_fixup_f64 v[212:213], v[216:217], v[212:213], 1.0
	s_delay_alu instid0(VALU_DEP_1)
	v_mul_f64 v[222:223], v[220:221], -v[212:213]
.LBB109_151:
	s_or_b32 exec_lo, exec_lo, s3
	ds_store_2addr_b64 v204, v[212:213], v[222:223] offset1:1
.LBB109_152:
	s_or_b32 exec_lo, exec_lo, s4
	s_waitcnt lgkmcnt(0)
	s_barrier
	buffer_gl0_inv
	ds_load_2addr_b64 v[207:210], v204 offset1:1
	s_mov_b32 s3, exec_lo
	s_waitcnt lgkmcnt(0)
	scratch_store_b128 off, v[207:210], off offset:752 ; 16-byte Folded Spill
	v_cmpx_lt_u32_e32 16, v215
	s_cbranch_execz .LBB109_154
; %bb.153:
	scratch_load_b128 v[207:210], off, off offset:752 ; 16-byte Folded Reload
	ds_load_2addr_b64 v[218:221], v214 offset0:34 offset1:35
	s_waitcnt vmcnt(0)
	v_mul_f64 v[212:213], v[209:210], v[154:155]
	v_mul_f64 v[154:155], v[207:208], v[154:155]
	s_delay_alu instid0(VALU_DEP_2) | instskip(NEXT) | instid1(VALU_DEP_2)
	v_fma_f64 v[216:217], v[207:208], v[152:153], -v[212:213]
	v_fma_f64 v[154:155], v[209:210], v[152:153], v[154:155]
	s_waitcnt lgkmcnt(0)
	s_delay_alu instid0(VALU_DEP_1) | instskip(SKIP_1) | instid1(VALU_DEP_2)
	v_mul_f64 v[152:153], v[220:221], v[154:155]
	v_mul_f64 v[212:213], v[218:219], v[154:155]
	v_fma_f64 v[152:153], v[218:219], v[216:217], -v[152:153]
	s_delay_alu instid0(VALU_DEP_2)
	v_fma_f64 v[212:213], v[220:221], v[216:217], v[212:213]
	ds_load_2addr_b64 v[218:221], v214 offset0:36 offset1:37
	v_add_f64 v[148:149], v[148:149], -v[152:153]
	v_add_f64 v[150:151], v[150:151], -v[212:213]
	s_waitcnt lgkmcnt(0)
	v_mul_f64 v[152:153], v[220:221], v[154:155]
	v_mul_f64 v[212:213], v[218:219], v[154:155]
	s_delay_alu instid0(VALU_DEP_2) | instskip(NEXT) | instid1(VALU_DEP_2)
	v_fma_f64 v[152:153], v[218:219], v[216:217], -v[152:153]
	v_fma_f64 v[212:213], v[220:221], v[216:217], v[212:213]
	ds_load_2addr_b64 v[218:221], v214 offset0:38 offset1:39
	v_add_f64 v[144:145], v[144:145], -v[152:153]
	v_add_f64 v[146:147], v[146:147], -v[212:213]
	s_waitcnt lgkmcnt(0)
	v_mul_f64 v[152:153], v[220:221], v[154:155]
	v_mul_f64 v[212:213], v[218:219], v[154:155]
	s_delay_alu instid0(VALU_DEP_2) | instskip(NEXT) | instid1(VALU_DEP_2)
	v_fma_f64 v[152:153], v[218:219], v[216:217], -v[152:153]
	;; [unrolled: 9-line block ×37, first 2 shown]
	v_fma_f64 v[212:213], v[220:221], v[216:217], v[212:213]
	s_delay_alu instid0(VALU_DEP_2) | instskip(NEXT) | instid1(VALU_DEP_2)
	v_add_f64 v[0:1], v[0:1], -v[152:153]
	v_add_f64 v[2:3], v[2:3], -v[212:213]
	v_dual_mov_b32 v152, v216 :: v_dual_mov_b32 v153, v217
.LBB109_154:
	s_or_b32 exec_lo, exec_lo, s3
	s_delay_alu instid0(SALU_CYCLE_1)
	s_mov_b32 s4, exec_lo
	s_waitcnt_vscnt null, 0x0
	s_barrier
	buffer_gl0_inv
	v_cmpx_eq_u32_e32 17, v215
	s_cbranch_execz .LBB109_161
; %bb.155:
	ds_store_2addr_b64 v204, v[148:149], v[150:151] offset1:1
	ds_store_2addr_b64 v214, v[144:145], v[146:147] offset0:36 offset1:37
	ds_store_2addr_b64 v214, v[140:141], v[142:143] offset0:38 offset1:39
	;; [unrolled: 1-line block ×37, first 2 shown]
	ds_load_2addr_b64 v[216:219], v204 offset1:1
	s_waitcnt lgkmcnt(0)
	v_cmp_neq_f64_e32 vcc_lo, 0, v[216:217]
	v_cmp_neq_f64_e64 s3, 0, v[218:219]
	s_delay_alu instid0(VALU_DEP_1) | instskip(NEXT) | instid1(SALU_CYCLE_1)
	s_or_b32 s3, vcc_lo, s3
	s_and_b32 exec_lo, exec_lo, s3
	s_cbranch_execz .LBB109_161
; %bb.156:
	v_cmp_gt_f64_e32 vcc_lo, 0, v[216:217]
	v_xor_b32_e32 v208, 0x80000000, v217
	s_delay_alu instid0(VALU_DEP_1) | instskip(SKIP_3) | instid1(VALU_DEP_1)
	v_cndmask_b32_e32 v213, v217, v208, vcc_lo
	v_cndmask_b32_e32 v212, v216, v216, vcc_lo
	v_cmp_gt_f64_e32 vcc_lo, 0, v[218:219]
	v_xor_b32_e32 v208, 0x80000000, v219
	v_dual_cndmask_b32 v220, v218, v218 :: v_dual_cndmask_b32 v221, v219, v208
	s_delay_alu instid0(VALU_DEP_1) | instskip(SKIP_1) | instid1(SALU_CYCLE_1)
	v_cmp_ngt_f64_e32 vcc_lo, v[212:213], v[220:221]
                                        ; implicit-def: $vgpr212_vgpr213
	s_and_saveexec_b32 s3, vcc_lo
	s_xor_b32 s3, exec_lo, s3
                                        ; implicit-def: $vgpr220_vgpr221_vgpr222_vgpr223
	s_cbranch_execz .LBB109_158
; %bb.157:
	v_div_scale_f64 v[212:213], null, v[218:219], v[218:219], v[216:217]
	v_div_scale_f64 v[224:225], vcc_lo, v[216:217], v[218:219], v[216:217]
	s_delay_alu instid0(VALU_DEP_2) | instskip(SKIP_2) | instid1(VALU_DEP_1)
	v_rcp_f64_e32 v[220:221], v[212:213]
	s_waitcnt_depctr 0xfff
	v_fma_f64 v[222:223], -v[212:213], v[220:221], 1.0
	v_fma_f64 v[220:221], v[220:221], v[222:223], v[220:221]
	s_delay_alu instid0(VALU_DEP_1) | instskip(NEXT) | instid1(VALU_DEP_1)
	v_fma_f64 v[222:223], -v[212:213], v[220:221], 1.0
	v_fma_f64 v[220:221], v[220:221], v[222:223], v[220:221]
	s_delay_alu instid0(VALU_DEP_1) | instskip(NEXT) | instid1(VALU_DEP_1)
	v_mul_f64 v[222:223], v[224:225], v[220:221]
	v_fma_f64 v[212:213], -v[212:213], v[222:223], v[224:225]
	s_delay_alu instid0(VALU_DEP_1) | instskip(NEXT) | instid1(VALU_DEP_1)
	v_div_fmas_f64 v[212:213], v[212:213], v[220:221], v[222:223]
	v_div_fixup_f64 v[212:213], v[212:213], v[218:219], v[216:217]
	s_delay_alu instid0(VALU_DEP_1) | instskip(NEXT) | instid1(VALU_DEP_1)
	v_fma_f64 v[216:217], v[216:217], v[212:213], v[218:219]
	v_div_scale_f64 v[218:219], null, v[216:217], v[216:217], 1.0
	s_delay_alu instid0(VALU_DEP_1) | instskip(SKIP_2) | instid1(VALU_DEP_1)
	v_rcp_f64_e32 v[220:221], v[218:219]
	s_waitcnt_depctr 0xfff
	v_fma_f64 v[222:223], -v[218:219], v[220:221], 1.0
	v_fma_f64 v[220:221], v[220:221], v[222:223], v[220:221]
	s_delay_alu instid0(VALU_DEP_1) | instskip(NEXT) | instid1(VALU_DEP_1)
	v_fma_f64 v[222:223], -v[218:219], v[220:221], 1.0
	v_fma_f64 v[220:221], v[220:221], v[222:223], v[220:221]
	v_div_scale_f64 v[222:223], vcc_lo, 1.0, v[216:217], 1.0
	s_delay_alu instid0(VALU_DEP_1) | instskip(NEXT) | instid1(VALU_DEP_1)
	v_mul_f64 v[224:225], v[222:223], v[220:221]
	v_fma_f64 v[218:219], -v[218:219], v[224:225], v[222:223]
	s_delay_alu instid0(VALU_DEP_1) | instskip(NEXT) | instid1(VALU_DEP_1)
	v_div_fmas_f64 v[218:219], v[218:219], v[220:221], v[224:225]
	v_div_fixup_f64 v[222:223], v[218:219], v[216:217], 1.0
                                        ; implicit-def: $vgpr216_vgpr217
	s_delay_alu instid0(VALU_DEP_1)
	v_mul_f64 v[212:213], v[212:213], v[222:223]
	v_xor_b32_e32 v223, 0x80000000, v223
.LBB109_158:
	s_and_not1_saveexec_b32 s3, s3
	s_cbranch_execz .LBB109_160
; %bb.159:
	v_div_scale_f64 v[212:213], null, v[216:217], v[216:217], v[218:219]
	v_div_scale_f64 v[224:225], vcc_lo, v[218:219], v[216:217], v[218:219]
	s_delay_alu instid0(VALU_DEP_2) | instskip(SKIP_2) | instid1(VALU_DEP_1)
	v_rcp_f64_e32 v[220:221], v[212:213]
	s_waitcnt_depctr 0xfff
	v_fma_f64 v[222:223], -v[212:213], v[220:221], 1.0
	v_fma_f64 v[220:221], v[220:221], v[222:223], v[220:221]
	s_delay_alu instid0(VALU_DEP_1) | instskip(NEXT) | instid1(VALU_DEP_1)
	v_fma_f64 v[222:223], -v[212:213], v[220:221], 1.0
	v_fma_f64 v[220:221], v[220:221], v[222:223], v[220:221]
	s_delay_alu instid0(VALU_DEP_1) | instskip(NEXT) | instid1(VALU_DEP_1)
	v_mul_f64 v[222:223], v[224:225], v[220:221]
	v_fma_f64 v[212:213], -v[212:213], v[222:223], v[224:225]
	s_delay_alu instid0(VALU_DEP_1) | instskip(NEXT) | instid1(VALU_DEP_1)
	v_div_fmas_f64 v[212:213], v[212:213], v[220:221], v[222:223]
	v_div_fixup_f64 v[220:221], v[212:213], v[216:217], v[218:219]
	s_delay_alu instid0(VALU_DEP_1) | instskip(NEXT) | instid1(VALU_DEP_1)
	v_fma_f64 v[212:213], v[218:219], v[220:221], v[216:217]
	v_div_scale_f64 v[216:217], null, v[212:213], v[212:213], 1.0
	s_delay_alu instid0(VALU_DEP_1) | instskip(SKIP_2) | instid1(VALU_DEP_1)
	v_rcp_f64_e32 v[218:219], v[216:217]
	s_waitcnt_depctr 0xfff
	v_fma_f64 v[222:223], -v[216:217], v[218:219], 1.0
	v_fma_f64 v[218:219], v[218:219], v[222:223], v[218:219]
	s_delay_alu instid0(VALU_DEP_1) | instskip(NEXT) | instid1(VALU_DEP_1)
	v_fma_f64 v[222:223], -v[216:217], v[218:219], 1.0
	v_fma_f64 v[218:219], v[218:219], v[222:223], v[218:219]
	v_div_scale_f64 v[222:223], vcc_lo, 1.0, v[212:213], 1.0
	s_delay_alu instid0(VALU_DEP_1) | instskip(NEXT) | instid1(VALU_DEP_1)
	v_mul_f64 v[224:225], v[222:223], v[218:219]
	v_fma_f64 v[216:217], -v[216:217], v[224:225], v[222:223]
	s_delay_alu instid0(VALU_DEP_1) | instskip(NEXT) | instid1(VALU_DEP_1)
	v_div_fmas_f64 v[216:217], v[216:217], v[218:219], v[224:225]
	v_div_fixup_f64 v[212:213], v[216:217], v[212:213], 1.0
	s_delay_alu instid0(VALU_DEP_1)
	v_mul_f64 v[222:223], v[220:221], -v[212:213]
.LBB109_160:
	s_or_b32 exec_lo, exec_lo, s3
	ds_store_2addr_b64 v204, v[212:213], v[222:223] offset1:1
.LBB109_161:
	s_or_b32 exec_lo, exec_lo, s4
	s_waitcnt lgkmcnt(0)
	s_barrier
	buffer_gl0_inv
	ds_load_2addr_b64 v[207:210], v204 offset1:1
	s_mov_b32 s3, exec_lo
	s_waitcnt lgkmcnt(0)
	scratch_store_b128 off, v[207:210], off offset:768 ; 16-byte Folded Spill
	v_cmpx_lt_u32_e32 17, v215
	s_cbranch_execz .LBB109_163
; %bb.162:
	scratch_load_b128 v[207:210], off, off offset:768 ; 16-byte Folded Reload
	ds_load_2addr_b64 v[218:221], v214 offset0:36 offset1:37
	s_waitcnt vmcnt(0)
	v_mul_f64 v[212:213], v[209:210], v[150:151]
	v_mul_f64 v[150:151], v[207:208], v[150:151]
	s_delay_alu instid0(VALU_DEP_2) | instskip(NEXT) | instid1(VALU_DEP_2)
	v_fma_f64 v[216:217], v[207:208], v[148:149], -v[212:213]
	v_fma_f64 v[150:151], v[209:210], v[148:149], v[150:151]
	s_waitcnt lgkmcnt(0)
	s_delay_alu instid0(VALU_DEP_1) | instskip(SKIP_1) | instid1(VALU_DEP_2)
	v_mul_f64 v[148:149], v[220:221], v[150:151]
	v_mul_f64 v[212:213], v[218:219], v[150:151]
	v_fma_f64 v[148:149], v[218:219], v[216:217], -v[148:149]
	s_delay_alu instid0(VALU_DEP_2)
	v_fma_f64 v[212:213], v[220:221], v[216:217], v[212:213]
	ds_load_2addr_b64 v[218:221], v214 offset0:38 offset1:39
	v_add_f64 v[144:145], v[144:145], -v[148:149]
	v_add_f64 v[146:147], v[146:147], -v[212:213]
	s_waitcnt lgkmcnt(0)
	v_mul_f64 v[148:149], v[220:221], v[150:151]
	v_mul_f64 v[212:213], v[218:219], v[150:151]
	s_delay_alu instid0(VALU_DEP_2) | instskip(NEXT) | instid1(VALU_DEP_2)
	v_fma_f64 v[148:149], v[218:219], v[216:217], -v[148:149]
	v_fma_f64 v[212:213], v[220:221], v[216:217], v[212:213]
	ds_load_2addr_b64 v[218:221], v214 offset0:40 offset1:41
	v_add_f64 v[140:141], v[140:141], -v[148:149]
	v_add_f64 v[142:143], v[142:143], -v[212:213]
	s_waitcnt lgkmcnt(0)
	v_mul_f64 v[148:149], v[220:221], v[150:151]
	v_mul_f64 v[212:213], v[218:219], v[150:151]
	s_delay_alu instid0(VALU_DEP_2) | instskip(NEXT) | instid1(VALU_DEP_2)
	v_fma_f64 v[148:149], v[218:219], v[216:217], -v[148:149]
	;; [unrolled: 9-line block ×36, first 2 shown]
	v_fma_f64 v[212:213], v[220:221], v[216:217], v[212:213]
	s_delay_alu instid0(VALU_DEP_2) | instskip(NEXT) | instid1(VALU_DEP_2)
	v_add_f64 v[0:1], v[0:1], -v[148:149]
	v_add_f64 v[2:3], v[2:3], -v[212:213]
	v_dual_mov_b32 v148, v216 :: v_dual_mov_b32 v149, v217
.LBB109_163:
	s_or_b32 exec_lo, exec_lo, s3
	s_delay_alu instid0(SALU_CYCLE_1)
	s_mov_b32 s4, exec_lo
	s_waitcnt_vscnt null, 0x0
	s_barrier
	buffer_gl0_inv
	v_cmpx_eq_u32_e32 18, v215
	s_cbranch_execz .LBB109_170
; %bb.164:
	ds_store_2addr_b64 v204, v[144:145], v[146:147] offset1:1
	ds_store_2addr_b64 v214, v[140:141], v[142:143] offset0:38 offset1:39
	ds_store_2addr_b64 v214, v[136:137], v[138:139] offset0:40 offset1:41
	;; [unrolled: 1-line block ×36, first 2 shown]
	ds_load_2addr_b64 v[216:219], v204 offset1:1
	s_waitcnt lgkmcnt(0)
	v_cmp_neq_f64_e32 vcc_lo, 0, v[216:217]
	v_cmp_neq_f64_e64 s3, 0, v[218:219]
	s_delay_alu instid0(VALU_DEP_1) | instskip(NEXT) | instid1(SALU_CYCLE_1)
	s_or_b32 s3, vcc_lo, s3
	s_and_b32 exec_lo, exec_lo, s3
	s_cbranch_execz .LBB109_170
; %bb.165:
	v_cmp_gt_f64_e32 vcc_lo, 0, v[216:217]
	v_xor_b32_e32 v208, 0x80000000, v217
	s_delay_alu instid0(VALU_DEP_1) | instskip(SKIP_3) | instid1(VALU_DEP_1)
	v_cndmask_b32_e32 v213, v217, v208, vcc_lo
	v_cndmask_b32_e32 v212, v216, v216, vcc_lo
	v_cmp_gt_f64_e32 vcc_lo, 0, v[218:219]
	v_xor_b32_e32 v208, 0x80000000, v219
	v_dual_cndmask_b32 v220, v218, v218 :: v_dual_cndmask_b32 v221, v219, v208
	s_delay_alu instid0(VALU_DEP_1) | instskip(SKIP_1) | instid1(SALU_CYCLE_1)
	v_cmp_ngt_f64_e32 vcc_lo, v[212:213], v[220:221]
                                        ; implicit-def: $vgpr212_vgpr213
	s_and_saveexec_b32 s3, vcc_lo
	s_xor_b32 s3, exec_lo, s3
                                        ; implicit-def: $vgpr220_vgpr221_vgpr222_vgpr223
	s_cbranch_execz .LBB109_167
; %bb.166:
	v_div_scale_f64 v[212:213], null, v[218:219], v[218:219], v[216:217]
	v_div_scale_f64 v[224:225], vcc_lo, v[216:217], v[218:219], v[216:217]
	s_delay_alu instid0(VALU_DEP_2) | instskip(SKIP_2) | instid1(VALU_DEP_1)
	v_rcp_f64_e32 v[220:221], v[212:213]
	s_waitcnt_depctr 0xfff
	v_fma_f64 v[222:223], -v[212:213], v[220:221], 1.0
	v_fma_f64 v[220:221], v[220:221], v[222:223], v[220:221]
	s_delay_alu instid0(VALU_DEP_1) | instskip(NEXT) | instid1(VALU_DEP_1)
	v_fma_f64 v[222:223], -v[212:213], v[220:221], 1.0
	v_fma_f64 v[220:221], v[220:221], v[222:223], v[220:221]
	s_delay_alu instid0(VALU_DEP_1) | instskip(NEXT) | instid1(VALU_DEP_1)
	v_mul_f64 v[222:223], v[224:225], v[220:221]
	v_fma_f64 v[212:213], -v[212:213], v[222:223], v[224:225]
	s_delay_alu instid0(VALU_DEP_1) | instskip(NEXT) | instid1(VALU_DEP_1)
	v_div_fmas_f64 v[212:213], v[212:213], v[220:221], v[222:223]
	v_div_fixup_f64 v[212:213], v[212:213], v[218:219], v[216:217]
	s_delay_alu instid0(VALU_DEP_1) | instskip(NEXT) | instid1(VALU_DEP_1)
	v_fma_f64 v[216:217], v[216:217], v[212:213], v[218:219]
	v_div_scale_f64 v[218:219], null, v[216:217], v[216:217], 1.0
	s_delay_alu instid0(VALU_DEP_1) | instskip(SKIP_2) | instid1(VALU_DEP_1)
	v_rcp_f64_e32 v[220:221], v[218:219]
	s_waitcnt_depctr 0xfff
	v_fma_f64 v[222:223], -v[218:219], v[220:221], 1.0
	v_fma_f64 v[220:221], v[220:221], v[222:223], v[220:221]
	s_delay_alu instid0(VALU_DEP_1) | instskip(NEXT) | instid1(VALU_DEP_1)
	v_fma_f64 v[222:223], -v[218:219], v[220:221], 1.0
	v_fma_f64 v[220:221], v[220:221], v[222:223], v[220:221]
	v_div_scale_f64 v[222:223], vcc_lo, 1.0, v[216:217], 1.0
	s_delay_alu instid0(VALU_DEP_1) | instskip(NEXT) | instid1(VALU_DEP_1)
	v_mul_f64 v[224:225], v[222:223], v[220:221]
	v_fma_f64 v[218:219], -v[218:219], v[224:225], v[222:223]
	s_delay_alu instid0(VALU_DEP_1) | instskip(NEXT) | instid1(VALU_DEP_1)
	v_div_fmas_f64 v[218:219], v[218:219], v[220:221], v[224:225]
	v_div_fixup_f64 v[222:223], v[218:219], v[216:217], 1.0
                                        ; implicit-def: $vgpr216_vgpr217
	s_delay_alu instid0(VALU_DEP_1)
	v_mul_f64 v[212:213], v[212:213], v[222:223]
	v_xor_b32_e32 v223, 0x80000000, v223
.LBB109_167:
	s_and_not1_saveexec_b32 s3, s3
	s_cbranch_execz .LBB109_169
; %bb.168:
	v_div_scale_f64 v[212:213], null, v[216:217], v[216:217], v[218:219]
	v_div_scale_f64 v[224:225], vcc_lo, v[218:219], v[216:217], v[218:219]
	s_delay_alu instid0(VALU_DEP_2) | instskip(SKIP_2) | instid1(VALU_DEP_1)
	v_rcp_f64_e32 v[220:221], v[212:213]
	s_waitcnt_depctr 0xfff
	v_fma_f64 v[222:223], -v[212:213], v[220:221], 1.0
	v_fma_f64 v[220:221], v[220:221], v[222:223], v[220:221]
	s_delay_alu instid0(VALU_DEP_1) | instskip(NEXT) | instid1(VALU_DEP_1)
	v_fma_f64 v[222:223], -v[212:213], v[220:221], 1.0
	v_fma_f64 v[220:221], v[220:221], v[222:223], v[220:221]
	s_delay_alu instid0(VALU_DEP_1) | instskip(NEXT) | instid1(VALU_DEP_1)
	v_mul_f64 v[222:223], v[224:225], v[220:221]
	v_fma_f64 v[212:213], -v[212:213], v[222:223], v[224:225]
	s_delay_alu instid0(VALU_DEP_1) | instskip(NEXT) | instid1(VALU_DEP_1)
	v_div_fmas_f64 v[212:213], v[212:213], v[220:221], v[222:223]
	v_div_fixup_f64 v[220:221], v[212:213], v[216:217], v[218:219]
	s_delay_alu instid0(VALU_DEP_1) | instskip(NEXT) | instid1(VALU_DEP_1)
	v_fma_f64 v[212:213], v[218:219], v[220:221], v[216:217]
	v_div_scale_f64 v[216:217], null, v[212:213], v[212:213], 1.0
	s_delay_alu instid0(VALU_DEP_1) | instskip(SKIP_2) | instid1(VALU_DEP_1)
	v_rcp_f64_e32 v[218:219], v[216:217]
	s_waitcnt_depctr 0xfff
	v_fma_f64 v[222:223], -v[216:217], v[218:219], 1.0
	v_fma_f64 v[218:219], v[218:219], v[222:223], v[218:219]
	s_delay_alu instid0(VALU_DEP_1) | instskip(NEXT) | instid1(VALU_DEP_1)
	v_fma_f64 v[222:223], -v[216:217], v[218:219], 1.0
	v_fma_f64 v[218:219], v[218:219], v[222:223], v[218:219]
	v_div_scale_f64 v[222:223], vcc_lo, 1.0, v[212:213], 1.0
	s_delay_alu instid0(VALU_DEP_1) | instskip(NEXT) | instid1(VALU_DEP_1)
	v_mul_f64 v[224:225], v[222:223], v[218:219]
	v_fma_f64 v[216:217], -v[216:217], v[224:225], v[222:223]
	s_delay_alu instid0(VALU_DEP_1) | instskip(NEXT) | instid1(VALU_DEP_1)
	v_div_fmas_f64 v[216:217], v[216:217], v[218:219], v[224:225]
	v_div_fixup_f64 v[212:213], v[216:217], v[212:213], 1.0
	s_delay_alu instid0(VALU_DEP_1)
	v_mul_f64 v[222:223], v[220:221], -v[212:213]
.LBB109_169:
	s_or_b32 exec_lo, exec_lo, s3
	ds_store_2addr_b64 v204, v[212:213], v[222:223] offset1:1
.LBB109_170:
	s_or_b32 exec_lo, exec_lo, s4
	s_waitcnt lgkmcnt(0)
	s_barrier
	buffer_gl0_inv
	ds_load_2addr_b64 v[207:210], v204 offset1:1
	s_mov_b32 s3, exec_lo
	s_waitcnt lgkmcnt(0)
	scratch_store_b128 off, v[207:210], off offset:784 ; 16-byte Folded Spill
	v_cmpx_lt_u32_e32 18, v215
	s_cbranch_execz .LBB109_172
; %bb.171:
	scratch_load_b128 v[207:210], off, off offset:784 ; 16-byte Folded Reload
	ds_load_2addr_b64 v[218:221], v214 offset0:38 offset1:39
	s_waitcnt vmcnt(0)
	v_mul_f64 v[212:213], v[209:210], v[146:147]
	v_mul_f64 v[146:147], v[207:208], v[146:147]
	s_delay_alu instid0(VALU_DEP_2) | instskip(NEXT) | instid1(VALU_DEP_2)
	v_fma_f64 v[216:217], v[207:208], v[144:145], -v[212:213]
	v_fma_f64 v[146:147], v[209:210], v[144:145], v[146:147]
	s_waitcnt lgkmcnt(0)
	s_delay_alu instid0(VALU_DEP_1) | instskip(SKIP_1) | instid1(VALU_DEP_2)
	v_mul_f64 v[144:145], v[220:221], v[146:147]
	v_mul_f64 v[212:213], v[218:219], v[146:147]
	v_fma_f64 v[144:145], v[218:219], v[216:217], -v[144:145]
	s_delay_alu instid0(VALU_DEP_2)
	v_fma_f64 v[212:213], v[220:221], v[216:217], v[212:213]
	ds_load_2addr_b64 v[218:221], v214 offset0:40 offset1:41
	v_add_f64 v[140:141], v[140:141], -v[144:145]
	v_add_f64 v[142:143], v[142:143], -v[212:213]
	s_waitcnt lgkmcnt(0)
	v_mul_f64 v[144:145], v[220:221], v[146:147]
	v_mul_f64 v[212:213], v[218:219], v[146:147]
	s_delay_alu instid0(VALU_DEP_2) | instskip(NEXT) | instid1(VALU_DEP_2)
	v_fma_f64 v[144:145], v[218:219], v[216:217], -v[144:145]
	v_fma_f64 v[212:213], v[220:221], v[216:217], v[212:213]
	ds_load_2addr_b64 v[218:221], v214 offset0:42 offset1:43
	v_add_f64 v[136:137], v[136:137], -v[144:145]
	v_add_f64 v[138:139], v[138:139], -v[212:213]
	s_waitcnt lgkmcnt(0)
	v_mul_f64 v[144:145], v[220:221], v[146:147]
	v_mul_f64 v[212:213], v[218:219], v[146:147]
	s_delay_alu instid0(VALU_DEP_2) | instskip(NEXT) | instid1(VALU_DEP_2)
	v_fma_f64 v[144:145], v[218:219], v[216:217], -v[144:145]
	;; [unrolled: 9-line block ×35, first 2 shown]
	v_fma_f64 v[212:213], v[220:221], v[216:217], v[212:213]
	s_delay_alu instid0(VALU_DEP_2) | instskip(NEXT) | instid1(VALU_DEP_2)
	v_add_f64 v[0:1], v[0:1], -v[144:145]
	v_add_f64 v[2:3], v[2:3], -v[212:213]
	v_dual_mov_b32 v144, v216 :: v_dual_mov_b32 v145, v217
.LBB109_172:
	s_or_b32 exec_lo, exec_lo, s3
	s_delay_alu instid0(SALU_CYCLE_1)
	s_mov_b32 s4, exec_lo
	s_waitcnt_vscnt null, 0x0
	s_barrier
	buffer_gl0_inv
	v_cmpx_eq_u32_e32 19, v215
	s_cbranch_execz .LBB109_179
; %bb.173:
	ds_store_2addr_b64 v204, v[140:141], v[142:143] offset1:1
	ds_store_2addr_b64 v214, v[136:137], v[138:139] offset0:40 offset1:41
	ds_store_2addr_b64 v214, v[132:133], v[134:135] offset0:42 offset1:43
	;; [unrolled: 1-line block ×35, first 2 shown]
	ds_load_2addr_b64 v[216:219], v204 offset1:1
	s_waitcnt lgkmcnt(0)
	v_cmp_neq_f64_e32 vcc_lo, 0, v[216:217]
	v_cmp_neq_f64_e64 s3, 0, v[218:219]
	s_delay_alu instid0(VALU_DEP_1) | instskip(NEXT) | instid1(SALU_CYCLE_1)
	s_or_b32 s3, vcc_lo, s3
	s_and_b32 exec_lo, exec_lo, s3
	s_cbranch_execz .LBB109_179
; %bb.174:
	v_cmp_gt_f64_e32 vcc_lo, 0, v[216:217]
	v_xor_b32_e32 v208, 0x80000000, v217
	s_delay_alu instid0(VALU_DEP_1) | instskip(SKIP_3) | instid1(VALU_DEP_1)
	v_cndmask_b32_e32 v213, v217, v208, vcc_lo
	v_cndmask_b32_e32 v212, v216, v216, vcc_lo
	v_cmp_gt_f64_e32 vcc_lo, 0, v[218:219]
	v_xor_b32_e32 v208, 0x80000000, v219
	v_dual_cndmask_b32 v220, v218, v218 :: v_dual_cndmask_b32 v221, v219, v208
	s_delay_alu instid0(VALU_DEP_1) | instskip(SKIP_1) | instid1(SALU_CYCLE_1)
	v_cmp_ngt_f64_e32 vcc_lo, v[212:213], v[220:221]
                                        ; implicit-def: $vgpr212_vgpr213
	s_and_saveexec_b32 s3, vcc_lo
	s_xor_b32 s3, exec_lo, s3
                                        ; implicit-def: $vgpr220_vgpr221_vgpr222_vgpr223
	s_cbranch_execz .LBB109_176
; %bb.175:
	v_div_scale_f64 v[212:213], null, v[218:219], v[218:219], v[216:217]
	v_div_scale_f64 v[224:225], vcc_lo, v[216:217], v[218:219], v[216:217]
	s_delay_alu instid0(VALU_DEP_2) | instskip(SKIP_2) | instid1(VALU_DEP_1)
	v_rcp_f64_e32 v[220:221], v[212:213]
	s_waitcnt_depctr 0xfff
	v_fma_f64 v[222:223], -v[212:213], v[220:221], 1.0
	v_fma_f64 v[220:221], v[220:221], v[222:223], v[220:221]
	s_delay_alu instid0(VALU_DEP_1) | instskip(NEXT) | instid1(VALU_DEP_1)
	v_fma_f64 v[222:223], -v[212:213], v[220:221], 1.0
	v_fma_f64 v[220:221], v[220:221], v[222:223], v[220:221]
	s_delay_alu instid0(VALU_DEP_1) | instskip(NEXT) | instid1(VALU_DEP_1)
	v_mul_f64 v[222:223], v[224:225], v[220:221]
	v_fma_f64 v[212:213], -v[212:213], v[222:223], v[224:225]
	s_delay_alu instid0(VALU_DEP_1) | instskip(NEXT) | instid1(VALU_DEP_1)
	v_div_fmas_f64 v[212:213], v[212:213], v[220:221], v[222:223]
	v_div_fixup_f64 v[212:213], v[212:213], v[218:219], v[216:217]
	s_delay_alu instid0(VALU_DEP_1) | instskip(NEXT) | instid1(VALU_DEP_1)
	v_fma_f64 v[216:217], v[216:217], v[212:213], v[218:219]
	v_div_scale_f64 v[218:219], null, v[216:217], v[216:217], 1.0
	s_delay_alu instid0(VALU_DEP_1) | instskip(SKIP_2) | instid1(VALU_DEP_1)
	v_rcp_f64_e32 v[220:221], v[218:219]
	s_waitcnt_depctr 0xfff
	v_fma_f64 v[222:223], -v[218:219], v[220:221], 1.0
	v_fma_f64 v[220:221], v[220:221], v[222:223], v[220:221]
	s_delay_alu instid0(VALU_DEP_1) | instskip(NEXT) | instid1(VALU_DEP_1)
	v_fma_f64 v[222:223], -v[218:219], v[220:221], 1.0
	v_fma_f64 v[220:221], v[220:221], v[222:223], v[220:221]
	v_div_scale_f64 v[222:223], vcc_lo, 1.0, v[216:217], 1.0
	s_delay_alu instid0(VALU_DEP_1) | instskip(NEXT) | instid1(VALU_DEP_1)
	v_mul_f64 v[224:225], v[222:223], v[220:221]
	v_fma_f64 v[218:219], -v[218:219], v[224:225], v[222:223]
	s_delay_alu instid0(VALU_DEP_1) | instskip(NEXT) | instid1(VALU_DEP_1)
	v_div_fmas_f64 v[218:219], v[218:219], v[220:221], v[224:225]
	v_div_fixup_f64 v[222:223], v[218:219], v[216:217], 1.0
                                        ; implicit-def: $vgpr216_vgpr217
	s_delay_alu instid0(VALU_DEP_1)
	v_mul_f64 v[212:213], v[212:213], v[222:223]
	v_xor_b32_e32 v223, 0x80000000, v223
.LBB109_176:
	s_and_not1_saveexec_b32 s3, s3
	s_cbranch_execz .LBB109_178
; %bb.177:
	v_div_scale_f64 v[212:213], null, v[216:217], v[216:217], v[218:219]
	v_div_scale_f64 v[224:225], vcc_lo, v[218:219], v[216:217], v[218:219]
	s_delay_alu instid0(VALU_DEP_2) | instskip(SKIP_2) | instid1(VALU_DEP_1)
	v_rcp_f64_e32 v[220:221], v[212:213]
	s_waitcnt_depctr 0xfff
	v_fma_f64 v[222:223], -v[212:213], v[220:221], 1.0
	v_fma_f64 v[220:221], v[220:221], v[222:223], v[220:221]
	s_delay_alu instid0(VALU_DEP_1) | instskip(NEXT) | instid1(VALU_DEP_1)
	v_fma_f64 v[222:223], -v[212:213], v[220:221], 1.0
	v_fma_f64 v[220:221], v[220:221], v[222:223], v[220:221]
	s_delay_alu instid0(VALU_DEP_1) | instskip(NEXT) | instid1(VALU_DEP_1)
	v_mul_f64 v[222:223], v[224:225], v[220:221]
	v_fma_f64 v[212:213], -v[212:213], v[222:223], v[224:225]
	s_delay_alu instid0(VALU_DEP_1) | instskip(NEXT) | instid1(VALU_DEP_1)
	v_div_fmas_f64 v[212:213], v[212:213], v[220:221], v[222:223]
	v_div_fixup_f64 v[220:221], v[212:213], v[216:217], v[218:219]
	s_delay_alu instid0(VALU_DEP_1) | instskip(NEXT) | instid1(VALU_DEP_1)
	v_fma_f64 v[212:213], v[218:219], v[220:221], v[216:217]
	v_div_scale_f64 v[216:217], null, v[212:213], v[212:213], 1.0
	s_delay_alu instid0(VALU_DEP_1) | instskip(SKIP_2) | instid1(VALU_DEP_1)
	v_rcp_f64_e32 v[218:219], v[216:217]
	s_waitcnt_depctr 0xfff
	v_fma_f64 v[222:223], -v[216:217], v[218:219], 1.0
	v_fma_f64 v[218:219], v[218:219], v[222:223], v[218:219]
	s_delay_alu instid0(VALU_DEP_1) | instskip(NEXT) | instid1(VALU_DEP_1)
	v_fma_f64 v[222:223], -v[216:217], v[218:219], 1.0
	v_fma_f64 v[218:219], v[218:219], v[222:223], v[218:219]
	v_div_scale_f64 v[222:223], vcc_lo, 1.0, v[212:213], 1.0
	s_delay_alu instid0(VALU_DEP_1) | instskip(NEXT) | instid1(VALU_DEP_1)
	v_mul_f64 v[224:225], v[222:223], v[218:219]
	v_fma_f64 v[216:217], -v[216:217], v[224:225], v[222:223]
	s_delay_alu instid0(VALU_DEP_1) | instskip(NEXT) | instid1(VALU_DEP_1)
	v_div_fmas_f64 v[216:217], v[216:217], v[218:219], v[224:225]
	v_div_fixup_f64 v[212:213], v[216:217], v[212:213], 1.0
	s_delay_alu instid0(VALU_DEP_1)
	v_mul_f64 v[222:223], v[220:221], -v[212:213]
.LBB109_178:
	s_or_b32 exec_lo, exec_lo, s3
	ds_store_2addr_b64 v204, v[212:213], v[222:223] offset1:1
.LBB109_179:
	s_or_b32 exec_lo, exec_lo, s4
	s_waitcnt lgkmcnt(0)
	s_barrier
	buffer_gl0_inv
	ds_load_2addr_b64 v[207:210], v204 offset1:1
	s_mov_b32 s3, exec_lo
	s_waitcnt lgkmcnt(0)
	scratch_store_b128 off, v[207:210], off offset:800 ; 16-byte Folded Spill
	v_cmpx_lt_u32_e32 19, v215
	s_cbranch_execz .LBB109_181
; %bb.180:
	scratch_load_b128 v[207:210], off, off offset:800 ; 16-byte Folded Reload
	ds_load_2addr_b64 v[218:221], v214 offset0:40 offset1:41
	s_waitcnt vmcnt(0)
	v_mul_f64 v[212:213], v[209:210], v[142:143]
	v_mul_f64 v[142:143], v[207:208], v[142:143]
	s_delay_alu instid0(VALU_DEP_2) | instskip(NEXT) | instid1(VALU_DEP_2)
	v_fma_f64 v[216:217], v[207:208], v[140:141], -v[212:213]
	v_fma_f64 v[142:143], v[209:210], v[140:141], v[142:143]
	s_waitcnt lgkmcnt(0)
	s_delay_alu instid0(VALU_DEP_1) | instskip(SKIP_1) | instid1(VALU_DEP_2)
	v_mul_f64 v[140:141], v[220:221], v[142:143]
	v_mul_f64 v[212:213], v[218:219], v[142:143]
	v_fma_f64 v[140:141], v[218:219], v[216:217], -v[140:141]
	s_delay_alu instid0(VALU_DEP_2)
	v_fma_f64 v[212:213], v[220:221], v[216:217], v[212:213]
	ds_load_2addr_b64 v[218:221], v214 offset0:42 offset1:43
	v_add_f64 v[136:137], v[136:137], -v[140:141]
	v_add_f64 v[138:139], v[138:139], -v[212:213]
	s_waitcnt lgkmcnt(0)
	v_mul_f64 v[140:141], v[220:221], v[142:143]
	v_mul_f64 v[212:213], v[218:219], v[142:143]
	s_delay_alu instid0(VALU_DEP_2) | instskip(NEXT) | instid1(VALU_DEP_2)
	v_fma_f64 v[140:141], v[218:219], v[216:217], -v[140:141]
	v_fma_f64 v[212:213], v[220:221], v[216:217], v[212:213]
	ds_load_2addr_b64 v[218:221], v214 offset0:44 offset1:45
	v_add_f64 v[132:133], v[132:133], -v[140:141]
	v_add_f64 v[134:135], v[134:135], -v[212:213]
	s_waitcnt lgkmcnt(0)
	v_mul_f64 v[140:141], v[220:221], v[142:143]
	v_mul_f64 v[212:213], v[218:219], v[142:143]
	s_delay_alu instid0(VALU_DEP_2) | instskip(NEXT) | instid1(VALU_DEP_2)
	v_fma_f64 v[140:141], v[218:219], v[216:217], -v[140:141]
	;; [unrolled: 9-line block ×34, first 2 shown]
	v_fma_f64 v[212:213], v[220:221], v[216:217], v[212:213]
	s_delay_alu instid0(VALU_DEP_2) | instskip(NEXT) | instid1(VALU_DEP_2)
	v_add_f64 v[0:1], v[0:1], -v[140:141]
	v_add_f64 v[2:3], v[2:3], -v[212:213]
	v_dual_mov_b32 v140, v216 :: v_dual_mov_b32 v141, v217
.LBB109_181:
	s_or_b32 exec_lo, exec_lo, s3
	s_delay_alu instid0(SALU_CYCLE_1)
	s_mov_b32 s4, exec_lo
	s_waitcnt_vscnt null, 0x0
	s_barrier
	buffer_gl0_inv
	v_cmpx_eq_u32_e32 20, v215
	s_cbranch_execz .LBB109_188
; %bb.182:
	ds_store_2addr_b64 v204, v[136:137], v[138:139] offset1:1
	ds_store_2addr_b64 v214, v[132:133], v[134:135] offset0:42 offset1:43
	ds_store_2addr_b64 v214, v[128:129], v[130:131] offset0:44 offset1:45
	ds_store_2addr_b64 v214, v[124:125], v[126:127] offset0:46 offset1:47
	ds_store_2addr_b64 v214, v[120:121], v[122:123] offset0:48 offset1:49
	ds_store_2addr_b64 v214, v[116:117], v[118:119] offset0:50 offset1:51
	ds_store_2addr_b64 v214, v[112:113], v[114:115] offset0:52 offset1:53
	ds_store_2addr_b64 v214, v[108:109], v[110:111] offset0:54 offset1:55
	ds_store_2addr_b64 v214, v[104:105], v[106:107] offset0:56 offset1:57
	ds_store_2addr_b64 v214, v[100:101], v[102:103] offset0:58 offset1:59
	ds_store_2addr_b64 v214, v[96:97], v[98:99] offset0:60 offset1:61
	ds_store_2addr_b64 v214, v[92:93], v[94:95] offset0:62 offset1:63
	ds_store_2addr_b64 v214, v[88:89], v[90:91] offset0:64 offset1:65
	ds_store_2addr_b64 v214, v[84:85], v[86:87] offset0:66 offset1:67
	ds_store_2addr_b64 v214, v[80:81], v[82:83] offset0:68 offset1:69
	ds_store_2addr_b64 v214, v[76:77], v[78:79] offset0:70 offset1:71
	ds_store_2addr_b64 v214, v[72:73], v[74:75] offset0:72 offset1:73
	ds_store_2addr_b64 v214, v[68:69], v[70:71] offset0:74 offset1:75
	ds_store_2addr_b64 v214, v[64:65], v[66:67] offset0:76 offset1:77
	ds_store_2addr_b64 v214, v[60:61], v[62:63] offset0:78 offset1:79
	ds_store_2addr_b64 v214, v[56:57], v[58:59] offset0:80 offset1:81
	ds_store_2addr_b64 v214, v[52:53], v[54:55] offset0:82 offset1:83
	ds_store_2addr_b64 v214, v[48:49], v[50:51] offset0:84 offset1:85
	ds_store_2addr_b64 v214, v[44:45], v[46:47] offset0:86 offset1:87
	ds_store_2addr_b64 v214, v[40:41], v[42:43] offset0:88 offset1:89
	ds_store_2addr_b64 v214, v[36:37], v[38:39] offset0:90 offset1:91
	ds_store_2addr_b64 v214, v[32:33], v[34:35] offset0:92 offset1:93
	ds_store_2addr_b64 v214, v[28:29], v[30:31] offset0:94 offset1:95
	ds_store_2addr_b64 v214, v[24:25], v[26:27] offset0:96 offset1:97
	ds_store_2addr_b64 v214, v[20:21], v[22:23] offset0:98 offset1:99
	ds_store_2addr_b64 v214, v[16:17], v[18:19] offset0:100 offset1:101
	ds_store_2addr_b64 v214, v[12:13], v[14:15] offset0:102 offset1:103
	ds_store_2addr_b64 v214, v[8:9], v[10:11] offset0:104 offset1:105
	ds_store_2addr_b64 v214, v[4:5], v[6:7] offset0:106 offset1:107
	ds_store_2addr_b64 v214, v[0:1], v[2:3] offset0:108 offset1:109
	ds_load_2addr_b64 v[216:219], v204 offset1:1
	s_waitcnt lgkmcnt(0)
	v_cmp_neq_f64_e32 vcc_lo, 0, v[216:217]
	v_cmp_neq_f64_e64 s3, 0, v[218:219]
	s_delay_alu instid0(VALU_DEP_1) | instskip(NEXT) | instid1(SALU_CYCLE_1)
	s_or_b32 s3, vcc_lo, s3
	s_and_b32 exec_lo, exec_lo, s3
	s_cbranch_execz .LBB109_188
; %bb.183:
	v_cmp_gt_f64_e32 vcc_lo, 0, v[216:217]
	v_xor_b32_e32 v208, 0x80000000, v217
	s_delay_alu instid0(VALU_DEP_1) | instskip(SKIP_3) | instid1(VALU_DEP_1)
	v_cndmask_b32_e32 v213, v217, v208, vcc_lo
	v_cndmask_b32_e32 v212, v216, v216, vcc_lo
	v_cmp_gt_f64_e32 vcc_lo, 0, v[218:219]
	v_xor_b32_e32 v208, 0x80000000, v219
	v_dual_cndmask_b32 v220, v218, v218 :: v_dual_cndmask_b32 v221, v219, v208
	s_delay_alu instid0(VALU_DEP_1) | instskip(SKIP_1) | instid1(SALU_CYCLE_1)
	v_cmp_ngt_f64_e32 vcc_lo, v[212:213], v[220:221]
                                        ; implicit-def: $vgpr212_vgpr213
	s_and_saveexec_b32 s3, vcc_lo
	s_xor_b32 s3, exec_lo, s3
                                        ; implicit-def: $vgpr220_vgpr221_vgpr222_vgpr223
	s_cbranch_execz .LBB109_185
; %bb.184:
	v_div_scale_f64 v[212:213], null, v[218:219], v[218:219], v[216:217]
	v_div_scale_f64 v[224:225], vcc_lo, v[216:217], v[218:219], v[216:217]
	s_delay_alu instid0(VALU_DEP_2) | instskip(SKIP_2) | instid1(VALU_DEP_1)
	v_rcp_f64_e32 v[220:221], v[212:213]
	s_waitcnt_depctr 0xfff
	v_fma_f64 v[222:223], -v[212:213], v[220:221], 1.0
	v_fma_f64 v[220:221], v[220:221], v[222:223], v[220:221]
	s_delay_alu instid0(VALU_DEP_1) | instskip(NEXT) | instid1(VALU_DEP_1)
	v_fma_f64 v[222:223], -v[212:213], v[220:221], 1.0
	v_fma_f64 v[220:221], v[220:221], v[222:223], v[220:221]
	s_delay_alu instid0(VALU_DEP_1) | instskip(NEXT) | instid1(VALU_DEP_1)
	v_mul_f64 v[222:223], v[224:225], v[220:221]
	v_fma_f64 v[212:213], -v[212:213], v[222:223], v[224:225]
	s_delay_alu instid0(VALU_DEP_1) | instskip(NEXT) | instid1(VALU_DEP_1)
	v_div_fmas_f64 v[212:213], v[212:213], v[220:221], v[222:223]
	v_div_fixup_f64 v[212:213], v[212:213], v[218:219], v[216:217]
	s_delay_alu instid0(VALU_DEP_1) | instskip(NEXT) | instid1(VALU_DEP_1)
	v_fma_f64 v[216:217], v[216:217], v[212:213], v[218:219]
	v_div_scale_f64 v[218:219], null, v[216:217], v[216:217], 1.0
	s_delay_alu instid0(VALU_DEP_1) | instskip(SKIP_2) | instid1(VALU_DEP_1)
	v_rcp_f64_e32 v[220:221], v[218:219]
	s_waitcnt_depctr 0xfff
	v_fma_f64 v[222:223], -v[218:219], v[220:221], 1.0
	v_fma_f64 v[220:221], v[220:221], v[222:223], v[220:221]
	s_delay_alu instid0(VALU_DEP_1) | instskip(NEXT) | instid1(VALU_DEP_1)
	v_fma_f64 v[222:223], -v[218:219], v[220:221], 1.0
	v_fma_f64 v[220:221], v[220:221], v[222:223], v[220:221]
	v_div_scale_f64 v[222:223], vcc_lo, 1.0, v[216:217], 1.0
	s_delay_alu instid0(VALU_DEP_1) | instskip(NEXT) | instid1(VALU_DEP_1)
	v_mul_f64 v[224:225], v[222:223], v[220:221]
	v_fma_f64 v[218:219], -v[218:219], v[224:225], v[222:223]
	s_delay_alu instid0(VALU_DEP_1) | instskip(NEXT) | instid1(VALU_DEP_1)
	v_div_fmas_f64 v[218:219], v[218:219], v[220:221], v[224:225]
	v_div_fixup_f64 v[222:223], v[218:219], v[216:217], 1.0
                                        ; implicit-def: $vgpr216_vgpr217
	s_delay_alu instid0(VALU_DEP_1)
	v_mul_f64 v[212:213], v[212:213], v[222:223]
	v_xor_b32_e32 v223, 0x80000000, v223
.LBB109_185:
	s_and_not1_saveexec_b32 s3, s3
	s_cbranch_execz .LBB109_187
; %bb.186:
	v_div_scale_f64 v[212:213], null, v[216:217], v[216:217], v[218:219]
	v_div_scale_f64 v[224:225], vcc_lo, v[218:219], v[216:217], v[218:219]
	s_delay_alu instid0(VALU_DEP_2) | instskip(SKIP_2) | instid1(VALU_DEP_1)
	v_rcp_f64_e32 v[220:221], v[212:213]
	s_waitcnt_depctr 0xfff
	v_fma_f64 v[222:223], -v[212:213], v[220:221], 1.0
	v_fma_f64 v[220:221], v[220:221], v[222:223], v[220:221]
	s_delay_alu instid0(VALU_DEP_1) | instskip(NEXT) | instid1(VALU_DEP_1)
	v_fma_f64 v[222:223], -v[212:213], v[220:221], 1.0
	v_fma_f64 v[220:221], v[220:221], v[222:223], v[220:221]
	s_delay_alu instid0(VALU_DEP_1) | instskip(NEXT) | instid1(VALU_DEP_1)
	v_mul_f64 v[222:223], v[224:225], v[220:221]
	v_fma_f64 v[212:213], -v[212:213], v[222:223], v[224:225]
	s_delay_alu instid0(VALU_DEP_1) | instskip(NEXT) | instid1(VALU_DEP_1)
	v_div_fmas_f64 v[212:213], v[212:213], v[220:221], v[222:223]
	v_div_fixup_f64 v[220:221], v[212:213], v[216:217], v[218:219]
	s_delay_alu instid0(VALU_DEP_1) | instskip(NEXT) | instid1(VALU_DEP_1)
	v_fma_f64 v[212:213], v[218:219], v[220:221], v[216:217]
	v_div_scale_f64 v[216:217], null, v[212:213], v[212:213], 1.0
	s_delay_alu instid0(VALU_DEP_1) | instskip(SKIP_2) | instid1(VALU_DEP_1)
	v_rcp_f64_e32 v[218:219], v[216:217]
	s_waitcnt_depctr 0xfff
	v_fma_f64 v[222:223], -v[216:217], v[218:219], 1.0
	v_fma_f64 v[218:219], v[218:219], v[222:223], v[218:219]
	s_delay_alu instid0(VALU_DEP_1) | instskip(NEXT) | instid1(VALU_DEP_1)
	v_fma_f64 v[222:223], -v[216:217], v[218:219], 1.0
	v_fma_f64 v[218:219], v[218:219], v[222:223], v[218:219]
	v_div_scale_f64 v[222:223], vcc_lo, 1.0, v[212:213], 1.0
	s_delay_alu instid0(VALU_DEP_1) | instskip(NEXT) | instid1(VALU_DEP_1)
	v_mul_f64 v[224:225], v[222:223], v[218:219]
	v_fma_f64 v[216:217], -v[216:217], v[224:225], v[222:223]
	s_delay_alu instid0(VALU_DEP_1) | instskip(NEXT) | instid1(VALU_DEP_1)
	v_div_fmas_f64 v[216:217], v[216:217], v[218:219], v[224:225]
	v_div_fixup_f64 v[212:213], v[216:217], v[212:213], 1.0
	s_delay_alu instid0(VALU_DEP_1)
	v_mul_f64 v[222:223], v[220:221], -v[212:213]
.LBB109_187:
	s_or_b32 exec_lo, exec_lo, s3
	ds_store_2addr_b64 v204, v[212:213], v[222:223] offset1:1
.LBB109_188:
	s_or_b32 exec_lo, exec_lo, s4
	s_waitcnt lgkmcnt(0)
	s_barrier
	buffer_gl0_inv
	ds_load_2addr_b64 v[207:210], v204 offset1:1
	s_mov_b32 s3, exec_lo
	s_waitcnt lgkmcnt(0)
	scratch_store_b128 off, v[207:210], off offset:816 ; 16-byte Folded Spill
	v_cmpx_lt_u32_e32 20, v215
	s_cbranch_execz .LBB109_190
; %bb.189:
	scratch_load_b128 v[207:210], off, off offset:816 ; 16-byte Folded Reload
	ds_load_2addr_b64 v[218:221], v214 offset0:42 offset1:43
	s_waitcnt vmcnt(0)
	v_mul_f64 v[212:213], v[209:210], v[138:139]
	v_mul_f64 v[138:139], v[207:208], v[138:139]
	s_delay_alu instid0(VALU_DEP_2) | instskip(NEXT) | instid1(VALU_DEP_2)
	v_fma_f64 v[216:217], v[207:208], v[136:137], -v[212:213]
	v_fma_f64 v[138:139], v[209:210], v[136:137], v[138:139]
	s_waitcnt lgkmcnt(0)
	s_delay_alu instid0(VALU_DEP_1) | instskip(SKIP_1) | instid1(VALU_DEP_2)
	v_mul_f64 v[136:137], v[220:221], v[138:139]
	v_mul_f64 v[212:213], v[218:219], v[138:139]
	v_fma_f64 v[136:137], v[218:219], v[216:217], -v[136:137]
	s_delay_alu instid0(VALU_DEP_2)
	v_fma_f64 v[212:213], v[220:221], v[216:217], v[212:213]
	ds_load_2addr_b64 v[218:221], v214 offset0:44 offset1:45
	v_add_f64 v[132:133], v[132:133], -v[136:137]
	v_add_f64 v[134:135], v[134:135], -v[212:213]
	s_waitcnt lgkmcnt(0)
	v_mul_f64 v[136:137], v[220:221], v[138:139]
	v_mul_f64 v[212:213], v[218:219], v[138:139]
	s_delay_alu instid0(VALU_DEP_2) | instskip(NEXT) | instid1(VALU_DEP_2)
	v_fma_f64 v[136:137], v[218:219], v[216:217], -v[136:137]
	v_fma_f64 v[212:213], v[220:221], v[216:217], v[212:213]
	ds_load_2addr_b64 v[218:221], v214 offset0:46 offset1:47
	v_add_f64 v[128:129], v[128:129], -v[136:137]
	v_add_f64 v[130:131], v[130:131], -v[212:213]
	s_waitcnt lgkmcnt(0)
	v_mul_f64 v[136:137], v[220:221], v[138:139]
	v_mul_f64 v[212:213], v[218:219], v[138:139]
	s_delay_alu instid0(VALU_DEP_2) | instskip(NEXT) | instid1(VALU_DEP_2)
	v_fma_f64 v[136:137], v[218:219], v[216:217], -v[136:137]
	;; [unrolled: 9-line block ×33, first 2 shown]
	v_fma_f64 v[212:213], v[220:221], v[216:217], v[212:213]
	s_delay_alu instid0(VALU_DEP_2) | instskip(NEXT) | instid1(VALU_DEP_2)
	v_add_f64 v[0:1], v[0:1], -v[136:137]
	v_add_f64 v[2:3], v[2:3], -v[212:213]
	v_dual_mov_b32 v136, v216 :: v_dual_mov_b32 v137, v217
.LBB109_190:
	s_or_b32 exec_lo, exec_lo, s3
	s_delay_alu instid0(SALU_CYCLE_1)
	s_mov_b32 s4, exec_lo
	s_waitcnt_vscnt null, 0x0
	s_barrier
	buffer_gl0_inv
	v_cmpx_eq_u32_e32 21, v215
	s_cbranch_execz .LBB109_197
; %bb.191:
	ds_store_2addr_b64 v204, v[132:133], v[134:135] offset1:1
	ds_store_2addr_b64 v214, v[128:129], v[130:131] offset0:44 offset1:45
	ds_store_2addr_b64 v214, v[124:125], v[126:127] offset0:46 offset1:47
	;; [unrolled: 1-line block ×33, first 2 shown]
	ds_load_2addr_b64 v[216:219], v204 offset1:1
	s_waitcnt lgkmcnt(0)
	v_cmp_neq_f64_e32 vcc_lo, 0, v[216:217]
	v_cmp_neq_f64_e64 s3, 0, v[218:219]
	s_delay_alu instid0(VALU_DEP_1) | instskip(NEXT) | instid1(SALU_CYCLE_1)
	s_or_b32 s3, vcc_lo, s3
	s_and_b32 exec_lo, exec_lo, s3
	s_cbranch_execz .LBB109_197
; %bb.192:
	v_cmp_gt_f64_e32 vcc_lo, 0, v[216:217]
	v_xor_b32_e32 v208, 0x80000000, v217
	s_delay_alu instid0(VALU_DEP_1) | instskip(SKIP_3) | instid1(VALU_DEP_1)
	v_cndmask_b32_e32 v213, v217, v208, vcc_lo
	v_cndmask_b32_e32 v212, v216, v216, vcc_lo
	v_cmp_gt_f64_e32 vcc_lo, 0, v[218:219]
	v_xor_b32_e32 v208, 0x80000000, v219
	v_dual_cndmask_b32 v220, v218, v218 :: v_dual_cndmask_b32 v221, v219, v208
	s_delay_alu instid0(VALU_DEP_1) | instskip(SKIP_1) | instid1(SALU_CYCLE_1)
	v_cmp_ngt_f64_e32 vcc_lo, v[212:213], v[220:221]
                                        ; implicit-def: $vgpr212_vgpr213
	s_and_saveexec_b32 s3, vcc_lo
	s_xor_b32 s3, exec_lo, s3
                                        ; implicit-def: $vgpr220_vgpr221_vgpr222_vgpr223
	s_cbranch_execz .LBB109_194
; %bb.193:
	v_div_scale_f64 v[212:213], null, v[218:219], v[218:219], v[216:217]
	v_div_scale_f64 v[224:225], vcc_lo, v[216:217], v[218:219], v[216:217]
	s_delay_alu instid0(VALU_DEP_2) | instskip(SKIP_2) | instid1(VALU_DEP_1)
	v_rcp_f64_e32 v[220:221], v[212:213]
	s_waitcnt_depctr 0xfff
	v_fma_f64 v[222:223], -v[212:213], v[220:221], 1.0
	v_fma_f64 v[220:221], v[220:221], v[222:223], v[220:221]
	s_delay_alu instid0(VALU_DEP_1) | instskip(NEXT) | instid1(VALU_DEP_1)
	v_fma_f64 v[222:223], -v[212:213], v[220:221], 1.0
	v_fma_f64 v[220:221], v[220:221], v[222:223], v[220:221]
	s_delay_alu instid0(VALU_DEP_1) | instskip(NEXT) | instid1(VALU_DEP_1)
	v_mul_f64 v[222:223], v[224:225], v[220:221]
	v_fma_f64 v[212:213], -v[212:213], v[222:223], v[224:225]
	s_delay_alu instid0(VALU_DEP_1) | instskip(NEXT) | instid1(VALU_DEP_1)
	v_div_fmas_f64 v[212:213], v[212:213], v[220:221], v[222:223]
	v_div_fixup_f64 v[212:213], v[212:213], v[218:219], v[216:217]
	s_delay_alu instid0(VALU_DEP_1) | instskip(NEXT) | instid1(VALU_DEP_1)
	v_fma_f64 v[216:217], v[216:217], v[212:213], v[218:219]
	v_div_scale_f64 v[218:219], null, v[216:217], v[216:217], 1.0
	s_delay_alu instid0(VALU_DEP_1) | instskip(SKIP_2) | instid1(VALU_DEP_1)
	v_rcp_f64_e32 v[220:221], v[218:219]
	s_waitcnt_depctr 0xfff
	v_fma_f64 v[222:223], -v[218:219], v[220:221], 1.0
	v_fma_f64 v[220:221], v[220:221], v[222:223], v[220:221]
	s_delay_alu instid0(VALU_DEP_1) | instskip(NEXT) | instid1(VALU_DEP_1)
	v_fma_f64 v[222:223], -v[218:219], v[220:221], 1.0
	v_fma_f64 v[220:221], v[220:221], v[222:223], v[220:221]
	v_div_scale_f64 v[222:223], vcc_lo, 1.0, v[216:217], 1.0
	s_delay_alu instid0(VALU_DEP_1) | instskip(NEXT) | instid1(VALU_DEP_1)
	v_mul_f64 v[224:225], v[222:223], v[220:221]
	v_fma_f64 v[218:219], -v[218:219], v[224:225], v[222:223]
	s_delay_alu instid0(VALU_DEP_1) | instskip(NEXT) | instid1(VALU_DEP_1)
	v_div_fmas_f64 v[218:219], v[218:219], v[220:221], v[224:225]
	v_div_fixup_f64 v[222:223], v[218:219], v[216:217], 1.0
                                        ; implicit-def: $vgpr216_vgpr217
	s_delay_alu instid0(VALU_DEP_1)
	v_mul_f64 v[212:213], v[212:213], v[222:223]
	v_xor_b32_e32 v223, 0x80000000, v223
.LBB109_194:
	s_and_not1_saveexec_b32 s3, s3
	s_cbranch_execz .LBB109_196
; %bb.195:
	v_div_scale_f64 v[212:213], null, v[216:217], v[216:217], v[218:219]
	v_div_scale_f64 v[224:225], vcc_lo, v[218:219], v[216:217], v[218:219]
	s_delay_alu instid0(VALU_DEP_2) | instskip(SKIP_2) | instid1(VALU_DEP_1)
	v_rcp_f64_e32 v[220:221], v[212:213]
	s_waitcnt_depctr 0xfff
	v_fma_f64 v[222:223], -v[212:213], v[220:221], 1.0
	v_fma_f64 v[220:221], v[220:221], v[222:223], v[220:221]
	s_delay_alu instid0(VALU_DEP_1) | instskip(NEXT) | instid1(VALU_DEP_1)
	v_fma_f64 v[222:223], -v[212:213], v[220:221], 1.0
	v_fma_f64 v[220:221], v[220:221], v[222:223], v[220:221]
	s_delay_alu instid0(VALU_DEP_1) | instskip(NEXT) | instid1(VALU_DEP_1)
	v_mul_f64 v[222:223], v[224:225], v[220:221]
	v_fma_f64 v[212:213], -v[212:213], v[222:223], v[224:225]
	s_delay_alu instid0(VALU_DEP_1) | instskip(NEXT) | instid1(VALU_DEP_1)
	v_div_fmas_f64 v[212:213], v[212:213], v[220:221], v[222:223]
	v_div_fixup_f64 v[220:221], v[212:213], v[216:217], v[218:219]
	s_delay_alu instid0(VALU_DEP_1) | instskip(NEXT) | instid1(VALU_DEP_1)
	v_fma_f64 v[212:213], v[218:219], v[220:221], v[216:217]
	v_div_scale_f64 v[216:217], null, v[212:213], v[212:213], 1.0
	s_delay_alu instid0(VALU_DEP_1) | instskip(SKIP_2) | instid1(VALU_DEP_1)
	v_rcp_f64_e32 v[218:219], v[216:217]
	s_waitcnt_depctr 0xfff
	v_fma_f64 v[222:223], -v[216:217], v[218:219], 1.0
	v_fma_f64 v[218:219], v[218:219], v[222:223], v[218:219]
	s_delay_alu instid0(VALU_DEP_1) | instskip(NEXT) | instid1(VALU_DEP_1)
	v_fma_f64 v[222:223], -v[216:217], v[218:219], 1.0
	v_fma_f64 v[218:219], v[218:219], v[222:223], v[218:219]
	v_div_scale_f64 v[222:223], vcc_lo, 1.0, v[212:213], 1.0
	s_delay_alu instid0(VALU_DEP_1) | instskip(NEXT) | instid1(VALU_DEP_1)
	v_mul_f64 v[224:225], v[222:223], v[218:219]
	v_fma_f64 v[216:217], -v[216:217], v[224:225], v[222:223]
	s_delay_alu instid0(VALU_DEP_1) | instskip(NEXT) | instid1(VALU_DEP_1)
	v_div_fmas_f64 v[216:217], v[216:217], v[218:219], v[224:225]
	v_div_fixup_f64 v[212:213], v[216:217], v[212:213], 1.0
	s_delay_alu instid0(VALU_DEP_1)
	v_mul_f64 v[222:223], v[220:221], -v[212:213]
.LBB109_196:
	s_or_b32 exec_lo, exec_lo, s3
	ds_store_2addr_b64 v204, v[212:213], v[222:223] offset1:1
.LBB109_197:
	s_or_b32 exec_lo, exec_lo, s4
	s_waitcnt lgkmcnt(0)
	s_barrier
	buffer_gl0_inv
	ds_load_2addr_b64 v[207:210], v204 offset1:1
	s_mov_b32 s3, exec_lo
	s_waitcnt lgkmcnt(0)
	scratch_store_b128 off, v[207:210], off offset:832 ; 16-byte Folded Spill
	v_cmpx_lt_u32_e32 21, v215
	s_cbranch_execz .LBB109_199
; %bb.198:
	scratch_load_b128 v[207:210], off, off offset:832 ; 16-byte Folded Reload
	ds_load_2addr_b64 v[218:221], v214 offset0:44 offset1:45
	s_waitcnt vmcnt(0)
	v_mul_f64 v[212:213], v[209:210], v[134:135]
	v_mul_f64 v[134:135], v[207:208], v[134:135]
	s_delay_alu instid0(VALU_DEP_2) | instskip(NEXT) | instid1(VALU_DEP_2)
	v_fma_f64 v[216:217], v[207:208], v[132:133], -v[212:213]
	v_fma_f64 v[134:135], v[209:210], v[132:133], v[134:135]
	s_waitcnt lgkmcnt(0)
	s_delay_alu instid0(VALU_DEP_1) | instskip(SKIP_1) | instid1(VALU_DEP_2)
	v_mul_f64 v[132:133], v[220:221], v[134:135]
	v_mul_f64 v[212:213], v[218:219], v[134:135]
	v_fma_f64 v[132:133], v[218:219], v[216:217], -v[132:133]
	s_delay_alu instid0(VALU_DEP_2)
	v_fma_f64 v[212:213], v[220:221], v[216:217], v[212:213]
	ds_load_2addr_b64 v[218:221], v214 offset0:46 offset1:47
	v_add_f64 v[128:129], v[128:129], -v[132:133]
	v_add_f64 v[130:131], v[130:131], -v[212:213]
	s_waitcnt lgkmcnt(0)
	v_mul_f64 v[132:133], v[220:221], v[134:135]
	v_mul_f64 v[212:213], v[218:219], v[134:135]
	s_delay_alu instid0(VALU_DEP_2) | instskip(NEXT) | instid1(VALU_DEP_2)
	v_fma_f64 v[132:133], v[218:219], v[216:217], -v[132:133]
	v_fma_f64 v[212:213], v[220:221], v[216:217], v[212:213]
	ds_load_2addr_b64 v[218:221], v214 offset0:48 offset1:49
	v_add_f64 v[124:125], v[124:125], -v[132:133]
	v_add_f64 v[126:127], v[126:127], -v[212:213]
	s_waitcnt lgkmcnt(0)
	v_mul_f64 v[132:133], v[220:221], v[134:135]
	v_mul_f64 v[212:213], v[218:219], v[134:135]
	s_delay_alu instid0(VALU_DEP_2) | instskip(NEXT) | instid1(VALU_DEP_2)
	v_fma_f64 v[132:133], v[218:219], v[216:217], -v[132:133]
	;; [unrolled: 9-line block ×32, first 2 shown]
	v_fma_f64 v[212:213], v[220:221], v[216:217], v[212:213]
	s_delay_alu instid0(VALU_DEP_2) | instskip(NEXT) | instid1(VALU_DEP_2)
	v_add_f64 v[0:1], v[0:1], -v[132:133]
	v_add_f64 v[2:3], v[2:3], -v[212:213]
	v_dual_mov_b32 v132, v216 :: v_dual_mov_b32 v133, v217
.LBB109_199:
	s_or_b32 exec_lo, exec_lo, s3
	s_delay_alu instid0(SALU_CYCLE_1)
	s_mov_b32 s4, exec_lo
	s_waitcnt_vscnt null, 0x0
	s_barrier
	buffer_gl0_inv
	v_cmpx_eq_u32_e32 22, v215
	s_cbranch_execz .LBB109_206
; %bb.200:
	ds_store_2addr_b64 v204, v[128:129], v[130:131] offset1:1
	ds_store_2addr_b64 v214, v[124:125], v[126:127] offset0:46 offset1:47
	ds_store_2addr_b64 v214, v[120:121], v[122:123] offset0:48 offset1:49
	;; [unrolled: 1-line block ×32, first 2 shown]
	ds_load_2addr_b64 v[216:219], v204 offset1:1
	s_waitcnt lgkmcnt(0)
	v_cmp_neq_f64_e32 vcc_lo, 0, v[216:217]
	v_cmp_neq_f64_e64 s3, 0, v[218:219]
	s_delay_alu instid0(VALU_DEP_1) | instskip(NEXT) | instid1(SALU_CYCLE_1)
	s_or_b32 s3, vcc_lo, s3
	s_and_b32 exec_lo, exec_lo, s3
	s_cbranch_execz .LBB109_206
; %bb.201:
	v_cmp_gt_f64_e32 vcc_lo, 0, v[216:217]
	v_xor_b32_e32 v208, 0x80000000, v217
	s_delay_alu instid0(VALU_DEP_1) | instskip(SKIP_3) | instid1(VALU_DEP_1)
	v_cndmask_b32_e32 v213, v217, v208, vcc_lo
	v_cndmask_b32_e32 v212, v216, v216, vcc_lo
	v_cmp_gt_f64_e32 vcc_lo, 0, v[218:219]
	v_xor_b32_e32 v208, 0x80000000, v219
	v_dual_cndmask_b32 v220, v218, v218 :: v_dual_cndmask_b32 v221, v219, v208
	s_delay_alu instid0(VALU_DEP_1) | instskip(SKIP_1) | instid1(SALU_CYCLE_1)
	v_cmp_ngt_f64_e32 vcc_lo, v[212:213], v[220:221]
                                        ; implicit-def: $vgpr212_vgpr213
	s_and_saveexec_b32 s3, vcc_lo
	s_xor_b32 s3, exec_lo, s3
                                        ; implicit-def: $vgpr220_vgpr221_vgpr222_vgpr223
	s_cbranch_execz .LBB109_203
; %bb.202:
	v_div_scale_f64 v[212:213], null, v[218:219], v[218:219], v[216:217]
	v_div_scale_f64 v[224:225], vcc_lo, v[216:217], v[218:219], v[216:217]
	s_delay_alu instid0(VALU_DEP_2) | instskip(SKIP_2) | instid1(VALU_DEP_1)
	v_rcp_f64_e32 v[220:221], v[212:213]
	s_waitcnt_depctr 0xfff
	v_fma_f64 v[222:223], -v[212:213], v[220:221], 1.0
	v_fma_f64 v[220:221], v[220:221], v[222:223], v[220:221]
	s_delay_alu instid0(VALU_DEP_1) | instskip(NEXT) | instid1(VALU_DEP_1)
	v_fma_f64 v[222:223], -v[212:213], v[220:221], 1.0
	v_fma_f64 v[220:221], v[220:221], v[222:223], v[220:221]
	s_delay_alu instid0(VALU_DEP_1) | instskip(NEXT) | instid1(VALU_DEP_1)
	v_mul_f64 v[222:223], v[224:225], v[220:221]
	v_fma_f64 v[212:213], -v[212:213], v[222:223], v[224:225]
	s_delay_alu instid0(VALU_DEP_1) | instskip(NEXT) | instid1(VALU_DEP_1)
	v_div_fmas_f64 v[212:213], v[212:213], v[220:221], v[222:223]
	v_div_fixup_f64 v[212:213], v[212:213], v[218:219], v[216:217]
	s_delay_alu instid0(VALU_DEP_1) | instskip(NEXT) | instid1(VALU_DEP_1)
	v_fma_f64 v[216:217], v[216:217], v[212:213], v[218:219]
	v_div_scale_f64 v[218:219], null, v[216:217], v[216:217], 1.0
	s_delay_alu instid0(VALU_DEP_1) | instskip(SKIP_2) | instid1(VALU_DEP_1)
	v_rcp_f64_e32 v[220:221], v[218:219]
	s_waitcnt_depctr 0xfff
	v_fma_f64 v[222:223], -v[218:219], v[220:221], 1.0
	v_fma_f64 v[220:221], v[220:221], v[222:223], v[220:221]
	s_delay_alu instid0(VALU_DEP_1) | instskip(NEXT) | instid1(VALU_DEP_1)
	v_fma_f64 v[222:223], -v[218:219], v[220:221], 1.0
	v_fma_f64 v[220:221], v[220:221], v[222:223], v[220:221]
	v_div_scale_f64 v[222:223], vcc_lo, 1.0, v[216:217], 1.0
	s_delay_alu instid0(VALU_DEP_1) | instskip(NEXT) | instid1(VALU_DEP_1)
	v_mul_f64 v[224:225], v[222:223], v[220:221]
	v_fma_f64 v[218:219], -v[218:219], v[224:225], v[222:223]
	s_delay_alu instid0(VALU_DEP_1) | instskip(NEXT) | instid1(VALU_DEP_1)
	v_div_fmas_f64 v[218:219], v[218:219], v[220:221], v[224:225]
	v_div_fixup_f64 v[222:223], v[218:219], v[216:217], 1.0
                                        ; implicit-def: $vgpr216_vgpr217
	s_delay_alu instid0(VALU_DEP_1)
	v_mul_f64 v[212:213], v[212:213], v[222:223]
	v_xor_b32_e32 v223, 0x80000000, v223
.LBB109_203:
	s_and_not1_saveexec_b32 s3, s3
	s_cbranch_execz .LBB109_205
; %bb.204:
	v_div_scale_f64 v[212:213], null, v[216:217], v[216:217], v[218:219]
	v_div_scale_f64 v[224:225], vcc_lo, v[218:219], v[216:217], v[218:219]
	s_delay_alu instid0(VALU_DEP_2) | instskip(SKIP_2) | instid1(VALU_DEP_1)
	v_rcp_f64_e32 v[220:221], v[212:213]
	s_waitcnt_depctr 0xfff
	v_fma_f64 v[222:223], -v[212:213], v[220:221], 1.0
	v_fma_f64 v[220:221], v[220:221], v[222:223], v[220:221]
	s_delay_alu instid0(VALU_DEP_1) | instskip(NEXT) | instid1(VALU_DEP_1)
	v_fma_f64 v[222:223], -v[212:213], v[220:221], 1.0
	v_fma_f64 v[220:221], v[220:221], v[222:223], v[220:221]
	s_delay_alu instid0(VALU_DEP_1) | instskip(NEXT) | instid1(VALU_DEP_1)
	v_mul_f64 v[222:223], v[224:225], v[220:221]
	v_fma_f64 v[212:213], -v[212:213], v[222:223], v[224:225]
	s_delay_alu instid0(VALU_DEP_1) | instskip(NEXT) | instid1(VALU_DEP_1)
	v_div_fmas_f64 v[212:213], v[212:213], v[220:221], v[222:223]
	v_div_fixup_f64 v[220:221], v[212:213], v[216:217], v[218:219]
	s_delay_alu instid0(VALU_DEP_1) | instskip(NEXT) | instid1(VALU_DEP_1)
	v_fma_f64 v[212:213], v[218:219], v[220:221], v[216:217]
	v_div_scale_f64 v[216:217], null, v[212:213], v[212:213], 1.0
	s_delay_alu instid0(VALU_DEP_1) | instskip(SKIP_2) | instid1(VALU_DEP_1)
	v_rcp_f64_e32 v[218:219], v[216:217]
	s_waitcnt_depctr 0xfff
	v_fma_f64 v[222:223], -v[216:217], v[218:219], 1.0
	v_fma_f64 v[218:219], v[218:219], v[222:223], v[218:219]
	s_delay_alu instid0(VALU_DEP_1) | instskip(NEXT) | instid1(VALU_DEP_1)
	v_fma_f64 v[222:223], -v[216:217], v[218:219], 1.0
	v_fma_f64 v[218:219], v[218:219], v[222:223], v[218:219]
	v_div_scale_f64 v[222:223], vcc_lo, 1.0, v[212:213], 1.0
	s_delay_alu instid0(VALU_DEP_1) | instskip(NEXT) | instid1(VALU_DEP_1)
	v_mul_f64 v[224:225], v[222:223], v[218:219]
	v_fma_f64 v[216:217], -v[216:217], v[224:225], v[222:223]
	s_delay_alu instid0(VALU_DEP_1) | instskip(NEXT) | instid1(VALU_DEP_1)
	v_div_fmas_f64 v[216:217], v[216:217], v[218:219], v[224:225]
	v_div_fixup_f64 v[212:213], v[216:217], v[212:213], 1.0
	s_delay_alu instid0(VALU_DEP_1)
	v_mul_f64 v[222:223], v[220:221], -v[212:213]
.LBB109_205:
	s_or_b32 exec_lo, exec_lo, s3
	ds_store_2addr_b64 v204, v[212:213], v[222:223] offset1:1
.LBB109_206:
	s_or_b32 exec_lo, exec_lo, s4
	s_waitcnt lgkmcnt(0)
	s_barrier
	buffer_gl0_inv
	ds_load_2addr_b64 v[207:210], v204 offset1:1
	s_mov_b32 s3, exec_lo
	s_waitcnt lgkmcnt(0)
	scratch_store_b128 off, v[207:210], off offset:848 ; 16-byte Folded Spill
	v_cmpx_lt_u32_e32 22, v215
	s_cbranch_execz .LBB109_208
; %bb.207:
	scratch_load_b128 v[207:210], off, off offset:848 ; 16-byte Folded Reload
	ds_load_2addr_b64 v[218:221], v214 offset0:46 offset1:47
	s_waitcnt vmcnt(0)
	v_mul_f64 v[212:213], v[209:210], v[130:131]
	v_mul_f64 v[130:131], v[207:208], v[130:131]
	s_delay_alu instid0(VALU_DEP_2) | instskip(NEXT) | instid1(VALU_DEP_2)
	v_fma_f64 v[216:217], v[207:208], v[128:129], -v[212:213]
	v_fma_f64 v[130:131], v[209:210], v[128:129], v[130:131]
	s_waitcnt lgkmcnt(0)
	s_delay_alu instid0(VALU_DEP_1) | instskip(SKIP_1) | instid1(VALU_DEP_2)
	v_mul_f64 v[128:129], v[220:221], v[130:131]
	v_mul_f64 v[212:213], v[218:219], v[130:131]
	v_fma_f64 v[128:129], v[218:219], v[216:217], -v[128:129]
	s_delay_alu instid0(VALU_DEP_2)
	v_fma_f64 v[212:213], v[220:221], v[216:217], v[212:213]
	ds_load_2addr_b64 v[218:221], v214 offset0:48 offset1:49
	v_add_f64 v[124:125], v[124:125], -v[128:129]
	v_add_f64 v[126:127], v[126:127], -v[212:213]
	s_waitcnt lgkmcnt(0)
	v_mul_f64 v[128:129], v[220:221], v[130:131]
	v_mul_f64 v[212:213], v[218:219], v[130:131]
	s_delay_alu instid0(VALU_DEP_2) | instskip(NEXT) | instid1(VALU_DEP_2)
	v_fma_f64 v[128:129], v[218:219], v[216:217], -v[128:129]
	v_fma_f64 v[212:213], v[220:221], v[216:217], v[212:213]
	ds_load_2addr_b64 v[218:221], v214 offset0:50 offset1:51
	v_add_f64 v[120:121], v[120:121], -v[128:129]
	v_add_f64 v[122:123], v[122:123], -v[212:213]
	s_waitcnt lgkmcnt(0)
	v_mul_f64 v[128:129], v[220:221], v[130:131]
	v_mul_f64 v[212:213], v[218:219], v[130:131]
	s_delay_alu instid0(VALU_DEP_2) | instskip(NEXT) | instid1(VALU_DEP_2)
	v_fma_f64 v[128:129], v[218:219], v[216:217], -v[128:129]
	;; [unrolled: 9-line block ×31, first 2 shown]
	v_fma_f64 v[212:213], v[220:221], v[216:217], v[212:213]
	s_delay_alu instid0(VALU_DEP_2) | instskip(NEXT) | instid1(VALU_DEP_2)
	v_add_f64 v[0:1], v[0:1], -v[128:129]
	v_add_f64 v[2:3], v[2:3], -v[212:213]
	v_dual_mov_b32 v128, v216 :: v_dual_mov_b32 v129, v217
.LBB109_208:
	s_or_b32 exec_lo, exec_lo, s3
	s_delay_alu instid0(SALU_CYCLE_1)
	s_mov_b32 s4, exec_lo
	s_waitcnt_vscnt null, 0x0
	s_barrier
	buffer_gl0_inv
	v_cmpx_eq_u32_e32 23, v215
	s_cbranch_execz .LBB109_215
; %bb.209:
	ds_store_2addr_b64 v204, v[124:125], v[126:127] offset1:1
	ds_store_2addr_b64 v214, v[120:121], v[122:123] offset0:48 offset1:49
	ds_store_2addr_b64 v214, v[116:117], v[118:119] offset0:50 offset1:51
	;; [unrolled: 1-line block ×31, first 2 shown]
	ds_load_2addr_b64 v[216:219], v204 offset1:1
	s_waitcnt lgkmcnt(0)
	v_cmp_neq_f64_e32 vcc_lo, 0, v[216:217]
	v_cmp_neq_f64_e64 s3, 0, v[218:219]
	s_delay_alu instid0(VALU_DEP_1) | instskip(NEXT) | instid1(SALU_CYCLE_1)
	s_or_b32 s3, vcc_lo, s3
	s_and_b32 exec_lo, exec_lo, s3
	s_cbranch_execz .LBB109_215
; %bb.210:
	v_cmp_gt_f64_e32 vcc_lo, 0, v[216:217]
	v_xor_b32_e32 v208, 0x80000000, v217
	s_delay_alu instid0(VALU_DEP_1) | instskip(SKIP_3) | instid1(VALU_DEP_1)
	v_cndmask_b32_e32 v213, v217, v208, vcc_lo
	v_cndmask_b32_e32 v212, v216, v216, vcc_lo
	v_cmp_gt_f64_e32 vcc_lo, 0, v[218:219]
	v_xor_b32_e32 v208, 0x80000000, v219
	v_dual_cndmask_b32 v220, v218, v218 :: v_dual_cndmask_b32 v221, v219, v208
	s_delay_alu instid0(VALU_DEP_1) | instskip(SKIP_1) | instid1(SALU_CYCLE_1)
	v_cmp_ngt_f64_e32 vcc_lo, v[212:213], v[220:221]
                                        ; implicit-def: $vgpr212_vgpr213
	s_and_saveexec_b32 s3, vcc_lo
	s_xor_b32 s3, exec_lo, s3
                                        ; implicit-def: $vgpr220_vgpr221_vgpr222_vgpr223
	s_cbranch_execz .LBB109_212
; %bb.211:
	v_div_scale_f64 v[212:213], null, v[218:219], v[218:219], v[216:217]
	v_div_scale_f64 v[224:225], vcc_lo, v[216:217], v[218:219], v[216:217]
	s_delay_alu instid0(VALU_DEP_2) | instskip(SKIP_2) | instid1(VALU_DEP_1)
	v_rcp_f64_e32 v[220:221], v[212:213]
	s_waitcnt_depctr 0xfff
	v_fma_f64 v[222:223], -v[212:213], v[220:221], 1.0
	v_fma_f64 v[220:221], v[220:221], v[222:223], v[220:221]
	s_delay_alu instid0(VALU_DEP_1) | instskip(NEXT) | instid1(VALU_DEP_1)
	v_fma_f64 v[222:223], -v[212:213], v[220:221], 1.0
	v_fma_f64 v[220:221], v[220:221], v[222:223], v[220:221]
	s_delay_alu instid0(VALU_DEP_1) | instskip(NEXT) | instid1(VALU_DEP_1)
	v_mul_f64 v[222:223], v[224:225], v[220:221]
	v_fma_f64 v[212:213], -v[212:213], v[222:223], v[224:225]
	s_delay_alu instid0(VALU_DEP_1) | instskip(NEXT) | instid1(VALU_DEP_1)
	v_div_fmas_f64 v[212:213], v[212:213], v[220:221], v[222:223]
	v_div_fixup_f64 v[212:213], v[212:213], v[218:219], v[216:217]
	s_delay_alu instid0(VALU_DEP_1) | instskip(NEXT) | instid1(VALU_DEP_1)
	v_fma_f64 v[216:217], v[216:217], v[212:213], v[218:219]
	v_div_scale_f64 v[218:219], null, v[216:217], v[216:217], 1.0
	s_delay_alu instid0(VALU_DEP_1) | instskip(SKIP_2) | instid1(VALU_DEP_1)
	v_rcp_f64_e32 v[220:221], v[218:219]
	s_waitcnt_depctr 0xfff
	v_fma_f64 v[222:223], -v[218:219], v[220:221], 1.0
	v_fma_f64 v[220:221], v[220:221], v[222:223], v[220:221]
	s_delay_alu instid0(VALU_DEP_1) | instskip(NEXT) | instid1(VALU_DEP_1)
	v_fma_f64 v[222:223], -v[218:219], v[220:221], 1.0
	v_fma_f64 v[220:221], v[220:221], v[222:223], v[220:221]
	v_div_scale_f64 v[222:223], vcc_lo, 1.0, v[216:217], 1.0
	s_delay_alu instid0(VALU_DEP_1) | instskip(NEXT) | instid1(VALU_DEP_1)
	v_mul_f64 v[224:225], v[222:223], v[220:221]
	v_fma_f64 v[218:219], -v[218:219], v[224:225], v[222:223]
	s_delay_alu instid0(VALU_DEP_1) | instskip(NEXT) | instid1(VALU_DEP_1)
	v_div_fmas_f64 v[218:219], v[218:219], v[220:221], v[224:225]
	v_div_fixup_f64 v[222:223], v[218:219], v[216:217], 1.0
                                        ; implicit-def: $vgpr216_vgpr217
	s_delay_alu instid0(VALU_DEP_1)
	v_mul_f64 v[212:213], v[212:213], v[222:223]
	v_xor_b32_e32 v223, 0x80000000, v223
.LBB109_212:
	s_and_not1_saveexec_b32 s3, s3
	s_cbranch_execz .LBB109_214
; %bb.213:
	v_div_scale_f64 v[212:213], null, v[216:217], v[216:217], v[218:219]
	v_div_scale_f64 v[224:225], vcc_lo, v[218:219], v[216:217], v[218:219]
	s_delay_alu instid0(VALU_DEP_2) | instskip(SKIP_2) | instid1(VALU_DEP_1)
	v_rcp_f64_e32 v[220:221], v[212:213]
	s_waitcnt_depctr 0xfff
	v_fma_f64 v[222:223], -v[212:213], v[220:221], 1.0
	v_fma_f64 v[220:221], v[220:221], v[222:223], v[220:221]
	s_delay_alu instid0(VALU_DEP_1) | instskip(NEXT) | instid1(VALU_DEP_1)
	v_fma_f64 v[222:223], -v[212:213], v[220:221], 1.0
	v_fma_f64 v[220:221], v[220:221], v[222:223], v[220:221]
	s_delay_alu instid0(VALU_DEP_1) | instskip(NEXT) | instid1(VALU_DEP_1)
	v_mul_f64 v[222:223], v[224:225], v[220:221]
	v_fma_f64 v[212:213], -v[212:213], v[222:223], v[224:225]
	s_delay_alu instid0(VALU_DEP_1) | instskip(NEXT) | instid1(VALU_DEP_1)
	v_div_fmas_f64 v[212:213], v[212:213], v[220:221], v[222:223]
	v_div_fixup_f64 v[220:221], v[212:213], v[216:217], v[218:219]
	s_delay_alu instid0(VALU_DEP_1) | instskip(NEXT) | instid1(VALU_DEP_1)
	v_fma_f64 v[212:213], v[218:219], v[220:221], v[216:217]
	v_div_scale_f64 v[216:217], null, v[212:213], v[212:213], 1.0
	s_delay_alu instid0(VALU_DEP_1) | instskip(SKIP_2) | instid1(VALU_DEP_1)
	v_rcp_f64_e32 v[218:219], v[216:217]
	s_waitcnt_depctr 0xfff
	v_fma_f64 v[222:223], -v[216:217], v[218:219], 1.0
	v_fma_f64 v[218:219], v[218:219], v[222:223], v[218:219]
	s_delay_alu instid0(VALU_DEP_1) | instskip(NEXT) | instid1(VALU_DEP_1)
	v_fma_f64 v[222:223], -v[216:217], v[218:219], 1.0
	v_fma_f64 v[218:219], v[218:219], v[222:223], v[218:219]
	v_div_scale_f64 v[222:223], vcc_lo, 1.0, v[212:213], 1.0
	s_delay_alu instid0(VALU_DEP_1) | instskip(NEXT) | instid1(VALU_DEP_1)
	v_mul_f64 v[224:225], v[222:223], v[218:219]
	v_fma_f64 v[216:217], -v[216:217], v[224:225], v[222:223]
	s_delay_alu instid0(VALU_DEP_1) | instskip(NEXT) | instid1(VALU_DEP_1)
	v_div_fmas_f64 v[216:217], v[216:217], v[218:219], v[224:225]
	v_div_fixup_f64 v[212:213], v[216:217], v[212:213], 1.0
	s_delay_alu instid0(VALU_DEP_1)
	v_mul_f64 v[222:223], v[220:221], -v[212:213]
.LBB109_214:
	s_or_b32 exec_lo, exec_lo, s3
	ds_store_2addr_b64 v204, v[212:213], v[222:223] offset1:1
.LBB109_215:
	s_or_b32 exec_lo, exec_lo, s4
	s_waitcnt lgkmcnt(0)
	s_barrier
	buffer_gl0_inv
	ds_load_2addr_b64 v[207:210], v204 offset1:1
	s_mov_b32 s3, exec_lo
	s_waitcnt lgkmcnt(0)
	scratch_store_b128 off, v[207:210], off offset:864 ; 16-byte Folded Spill
	v_cmpx_lt_u32_e32 23, v215
	s_cbranch_execz .LBB109_217
; %bb.216:
	scratch_load_b128 v[207:210], off, off offset:864 ; 16-byte Folded Reload
	ds_load_2addr_b64 v[218:221], v214 offset0:48 offset1:49
	s_waitcnt vmcnt(0)
	v_mul_f64 v[212:213], v[209:210], v[126:127]
	v_mul_f64 v[126:127], v[207:208], v[126:127]
	s_delay_alu instid0(VALU_DEP_2) | instskip(NEXT) | instid1(VALU_DEP_2)
	v_fma_f64 v[216:217], v[207:208], v[124:125], -v[212:213]
	v_fma_f64 v[126:127], v[209:210], v[124:125], v[126:127]
	s_waitcnt lgkmcnt(0)
	s_delay_alu instid0(VALU_DEP_1) | instskip(SKIP_1) | instid1(VALU_DEP_2)
	v_mul_f64 v[124:125], v[220:221], v[126:127]
	v_mul_f64 v[212:213], v[218:219], v[126:127]
	v_fma_f64 v[124:125], v[218:219], v[216:217], -v[124:125]
	s_delay_alu instid0(VALU_DEP_2)
	v_fma_f64 v[212:213], v[220:221], v[216:217], v[212:213]
	ds_load_2addr_b64 v[218:221], v214 offset0:50 offset1:51
	v_add_f64 v[120:121], v[120:121], -v[124:125]
	v_add_f64 v[122:123], v[122:123], -v[212:213]
	s_waitcnt lgkmcnt(0)
	v_mul_f64 v[124:125], v[220:221], v[126:127]
	v_mul_f64 v[212:213], v[218:219], v[126:127]
	s_delay_alu instid0(VALU_DEP_2) | instskip(NEXT) | instid1(VALU_DEP_2)
	v_fma_f64 v[124:125], v[218:219], v[216:217], -v[124:125]
	v_fma_f64 v[212:213], v[220:221], v[216:217], v[212:213]
	ds_load_2addr_b64 v[218:221], v214 offset0:52 offset1:53
	v_add_f64 v[116:117], v[116:117], -v[124:125]
	v_add_f64 v[118:119], v[118:119], -v[212:213]
	s_waitcnt lgkmcnt(0)
	v_mul_f64 v[124:125], v[220:221], v[126:127]
	v_mul_f64 v[212:213], v[218:219], v[126:127]
	s_delay_alu instid0(VALU_DEP_2) | instskip(NEXT) | instid1(VALU_DEP_2)
	v_fma_f64 v[124:125], v[218:219], v[216:217], -v[124:125]
	;; [unrolled: 9-line block ×30, first 2 shown]
	v_fma_f64 v[212:213], v[220:221], v[216:217], v[212:213]
	s_delay_alu instid0(VALU_DEP_2) | instskip(NEXT) | instid1(VALU_DEP_2)
	v_add_f64 v[0:1], v[0:1], -v[124:125]
	v_add_f64 v[2:3], v[2:3], -v[212:213]
	v_dual_mov_b32 v124, v216 :: v_dual_mov_b32 v125, v217
.LBB109_217:
	s_or_b32 exec_lo, exec_lo, s3
	s_delay_alu instid0(SALU_CYCLE_1)
	s_mov_b32 s4, exec_lo
	s_waitcnt_vscnt null, 0x0
	s_barrier
	buffer_gl0_inv
	v_cmpx_eq_u32_e32 24, v215
	s_cbranch_execz .LBB109_224
; %bb.218:
	ds_store_2addr_b64 v204, v[120:121], v[122:123] offset1:1
	ds_store_2addr_b64 v214, v[116:117], v[118:119] offset0:50 offset1:51
	ds_store_2addr_b64 v214, v[112:113], v[114:115] offset0:52 offset1:53
	;; [unrolled: 1-line block ×30, first 2 shown]
	ds_load_2addr_b64 v[216:219], v204 offset1:1
	s_waitcnt lgkmcnt(0)
	v_cmp_neq_f64_e32 vcc_lo, 0, v[216:217]
	v_cmp_neq_f64_e64 s3, 0, v[218:219]
	s_delay_alu instid0(VALU_DEP_1) | instskip(NEXT) | instid1(SALU_CYCLE_1)
	s_or_b32 s3, vcc_lo, s3
	s_and_b32 exec_lo, exec_lo, s3
	s_cbranch_execz .LBB109_224
; %bb.219:
	v_cmp_gt_f64_e32 vcc_lo, 0, v[216:217]
	v_xor_b32_e32 v208, 0x80000000, v217
	s_delay_alu instid0(VALU_DEP_1) | instskip(SKIP_3) | instid1(VALU_DEP_1)
	v_cndmask_b32_e32 v213, v217, v208, vcc_lo
	v_cndmask_b32_e32 v212, v216, v216, vcc_lo
	v_cmp_gt_f64_e32 vcc_lo, 0, v[218:219]
	v_xor_b32_e32 v208, 0x80000000, v219
	v_dual_cndmask_b32 v220, v218, v218 :: v_dual_cndmask_b32 v221, v219, v208
	s_delay_alu instid0(VALU_DEP_1) | instskip(SKIP_1) | instid1(SALU_CYCLE_1)
	v_cmp_ngt_f64_e32 vcc_lo, v[212:213], v[220:221]
                                        ; implicit-def: $vgpr212_vgpr213
	s_and_saveexec_b32 s3, vcc_lo
	s_xor_b32 s3, exec_lo, s3
                                        ; implicit-def: $vgpr220_vgpr221_vgpr222_vgpr223
	s_cbranch_execz .LBB109_221
; %bb.220:
	v_div_scale_f64 v[212:213], null, v[218:219], v[218:219], v[216:217]
	v_div_scale_f64 v[224:225], vcc_lo, v[216:217], v[218:219], v[216:217]
	s_delay_alu instid0(VALU_DEP_2) | instskip(SKIP_2) | instid1(VALU_DEP_1)
	v_rcp_f64_e32 v[220:221], v[212:213]
	s_waitcnt_depctr 0xfff
	v_fma_f64 v[222:223], -v[212:213], v[220:221], 1.0
	v_fma_f64 v[220:221], v[220:221], v[222:223], v[220:221]
	s_delay_alu instid0(VALU_DEP_1) | instskip(NEXT) | instid1(VALU_DEP_1)
	v_fma_f64 v[222:223], -v[212:213], v[220:221], 1.0
	v_fma_f64 v[220:221], v[220:221], v[222:223], v[220:221]
	s_delay_alu instid0(VALU_DEP_1) | instskip(NEXT) | instid1(VALU_DEP_1)
	v_mul_f64 v[222:223], v[224:225], v[220:221]
	v_fma_f64 v[212:213], -v[212:213], v[222:223], v[224:225]
	s_delay_alu instid0(VALU_DEP_1) | instskip(NEXT) | instid1(VALU_DEP_1)
	v_div_fmas_f64 v[212:213], v[212:213], v[220:221], v[222:223]
	v_div_fixup_f64 v[212:213], v[212:213], v[218:219], v[216:217]
	s_delay_alu instid0(VALU_DEP_1) | instskip(NEXT) | instid1(VALU_DEP_1)
	v_fma_f64 v[216:217], v[216:217], v[212:213], v[218:219]
	v_div_scale_f64 v[218:219], null, v[216:217], v[216:217], 1.0
	s_delay_alu instid0(VALU_DEP_1) | instskip(SKIP_2) | instid1(VALU_DEP_1)
	v_rcp_f64_e32 v[220:221], v[218:219]
	s_waitcnt_depctr 0xfff
	v_fma_f64 v[222:223], -v[218:219], v[220:221], 1.0
	v_fma_f64 v[220:221], v[220:221], v[222:223], v[220:221]
	s_delay_alu instid0(VALU_DEP_1) | instskip(NEXT) | instid1(VALU_DEP_1)
	v_fma_f64 v[222:223], -v[218:219], v[220:221], 1.0
	v_fma_f64 v[220:221], v[220:221], v[222:223], v[220:221]
	v_div_scale_f64 v[222:223], vcc_lo, 1.0, v[216:217], 1.0
	s_delay_alu instid0(VALU_DEP_1) | instskip(NEXT) | instid1(VALU_DEP_1)
	v_mul_f64 v[224:225], v[222:223], v[220:221]
	v_fma_f64 v[218:219], -v[218:219], v[224:225], v[222:223]
	s_delay_alu instid0(VALU_DEP_1) | instskip(NEXT) | instid1(VALU_DEP_1)
	v_div_fmas_f64 v[218:219], v[218:219], v[220:221], v[224:225]
	v_div_fixup_f64 v[222:223], v[218:219], v[216:217], 1.0
                                        ; implicit-def: $vgpr216_vgpr217
	s_delay_alu instid0(VALU_DEP_1)
	v_mul_f64 v[212:213], v[212:213], v[222:223]
	v_xor_b32_e32 v223, 0x80000000, v223
.LBB109_221:
	s_and_not1_saveexec_b32 s3, s3
	s_cbranch_execz .LBB109_223
; %bb.222:
	v_div_scale_f64 v[212:213], null, v[216:217], v[216:217], v[218:219]
	v_div_scale_f64 v[224:225], vcc_lo, v[218:219], v[216:217], v[218:219]
	s_delay_alu instid0(VALU_DEP_2) | instskip(SKIP_2) | instid1(VALU_DEP_1)
	v_rcp_f64_e32 v[220:221], v[212:213]
	s_waitcnt_depctr 0xfff
	v_fma_f64 v[222:223], -v[212:213], v[220:221], 1.0
	v_fma_f64 v[220:221], v[220:221], v[222:223], v[220:221]
	s_delay_alu instid0(VALU_DEP_1) | instskip(NEXT) | instid1(VALU_DEP_1)
	v_fma_f64 v[222:223], -v[212:213], v[220:221], 1.0
	v_fma_f64 v[220:221], v[220:221], v[222:223], v[220:221]
	s_delay_alu instid0(VALU_DEP_1) | instskip(NEXT) | instid1(VALU_DEP_1)
	v_mul_f64 v[222:223], v[224:225], v[220:221]
	v_fma_f64 v[212:213], -v[212:213], v[222:223], v[224:225]
	s_delay_alu instid0(VALU_DEP_1) | instskip(NEXT) | instid1(VALU_DEP_1)
	v_div_fmas_f64 v[212:213], v[212:213], v[220:221], v[222:223]
	v_div_fixup_f64 v[220:221], v[212:213], v[216:217], v[218:219]
	s_delay_alu instid0(VALU_DEP_1) | instskip(NEXT) | instid1(VALU_DEP_1)
	v_fma_f64 v[212:213], v[218:219], v[220:221], v[216:217]
	v_div_scale_f64 v[216:217], null, v[212:213], v[212:213], 1.0
	s_delay_alu instid0(VALU_DEP_1) | instskip(SKIP_2) | instid1(VALU_DEP_1)
	v_rcp_f64_e32 v[218:219], v[216:217]
	s_waitcnt_depctr 0xfff
	v_fma_f64 v[222:223], -v[216:217], v[218:219], 1.0
	v_fma_f64 v[218:219], v[218:219], v[222:223], v[218:219]
	s_delay_alu instid0(VALU_DEP_1) | instskip(NEXT) | instid1(VALU_DEP_1)
	v_fma_f64 v[222:223], -v[216:217], v[218:219], 1.0
	v_fma_f64 v[218:219], v[218:219], v[222:223], v[218:219]
	v_div_scale_f64 v[222:223], vcc_lo, 1.0, v[212:213], 1.0
	s_delay_alu instid0(VALU_DEP_1) | instskip(NEXT) | instid1(VALU_DEP_1)
	v_mul_f64 v[224:225], v[222:223], v[218:219]
	v_fma_f64 v[216:217], -v[216:217], v[224:225], v[222:223]
	s_delay_alu instid0(VALU_DEP_1) | instskip(NEXT) | instid1(VALU_DEP_1)
	v_div_fmas_f64 v[216:217], v[216:217], v[218:219], v[224:225]
	v_div_fixup_f64 v[212:213], v[216:217], v[212:213], 1.0
	s_delay_alu instid0(VALU_DEP_1)
	v_mul_f64 v[222:223], v[220:221], -v[212:213]
.LBB109_223:
	s_or_b32 exec_lo, exec_lo, s3
	ds_store_2addr_b64 v204, v[212:213], v[222:223] offset1:1
.LBB109_224:
	s_or_b32 exec_lo, exec_lo, s4
	s_waitcnt lgkmcnt(0)
	s_barrier
	buffer_gl0_inv
	ds_load_2addr_b64 v[207:210], v204 offset1:1
	s_mov_b32 s3, exec_lo
	s_waitcnt lgkmcnt(0)
	scratch_store_b128 off, v[207:210], off offset:880 ; 16-byte Folded Spill
	v_cmpx_lt_u32_e32 24, v215
	s_cbranch_execz .LBB109_226
; %bb.225:
	scratch_load_b128 v[207:210], off, off offset:880 ; 16-byte Folded Reload
	ds_load_2addr_b64 v[218:221], v214 offset0:50 offset1:51
	s_waitcnt vmcnt(0)
	v_mul_f64 v[212:213], v[209:210], v[122:123]
	v_mul_f64 v[122:123], v[207:208], v[122:123]
	s_delay_alu instid0(VALU_DEP_2) | instskip(NEXT) | instid1(VALU_DEP_2)
	v_fma_f64 v[216:217], v[207:208], v[120:121], -v[212:213]
	v_fma_f64 v[122:123], v[209:210], v[120:121], v[122:123]
	s_waitcnt lgkmcnt(0)
	s_delay_alu instid0(VALU_DEP_1) | instskip(SKIP_1) | instid1(VALU_DEP_2)
	v_mul_f64 v[120:121], v[220:221], v[122:123]
	v_mul_f64 v[212:213], v[218:219], v[122:123]
	v_fma_f64 v[120:121], v[218:219], v[216:217], -v[120:121]
	s_delay_alu instid0(VALU_DEP_2)
	v_fma_f64 v[212:213], v[220:221], v[216:217], v[212:213]
	ds_load_2addr_b64 v[218:221], v214 offset0:52 offset1:53
	v_add_f64 v[116:117], v[116:117], -v[120:121]
	v_add_f64 v[118:119], v[118:119], -v[212:213]
	s_waitcnt lgkmcnt(0)
	v_mul_f64 v[120:121], v[220:221], v[122:123]
	v_mul_f64 v[212:213], v[218:219], v[122:123]
	s_delay_alu instid0(VALU_DEP_2) | instskip(NEXT) | instid1(VALU_DEP_2)
	v_fma_f64 v[120:121], v[218:219], v[216:217], -v[120:121]
	v_fma_f64 v[212:213], v[220:221], v[216:217], v[212:213]
	ds_load_2addr_b64 v[218:221], v214 offset0:54 offset1:55
	v_add_f64 v[112:113], v[112:113], -v[120:121]
	v_add_f64 v[114:115], v[114:115], -v[212:213]
	s_waitcnt lgkmcnt(0)
	v_mul_f64 v[120:121], v[220:221], v[122:123]
	v_mul_f64 v[212:213], v[218:219], v[122:123]
	s_delay_alu instid0(VALU_DEP_2) | instskip(NEXT) | instid1(VALU_DEP_2)
	v_fma_f64 v[120:121], v[218:219], v[216:217], -v[120:121]
	;; [unrolled: 9-line block ×29, first 2 shown]
	v_fma_f64 v[212:213], v[220:221], v[216:217], v[212:213]
	s_delay_alu instid0(VALU_DEP_2) | instskip(NEXT) | instid1(VALU_DEP_2)
	v_add_f64 v[0:1], v[0:1], -v[120:121]
	v_add_f64 v[2:3], v[2:3], -v[212:213]
	v_dual_mov_b32 v120, v216 :: v_dual_mov_b32 v121, v217
.LBB109_226:
	s_or_b32 exec_lo, exec_lo, s3
	s_delay_alu instid0(SALU_CYCLE_1)
	s_mov_b32 s4, exec_lo
	s_waitcnt_vscnt null, 0x0
	s_barrier
	buffer_gl0_inv
	v_cmpx_eq_u32_e32 25, v215
	s_cbranch_execz .LBB109_233
; %bb.227:
	ds_store_2addr_b64 v204, v[116:117], v[118:119] offset1:1
	ds_store_2addr_b64 v214, v[112:113], v[114:115] offset0:52 offset1:53
	ds_store_2addr_b64 v214, v[108:109], v[110:111] offset0:54 offset1:55
	;; [unrolled: 1-line block ×29, first 2 shown]
	ds_load_2addr_b64 v[216:219], v204 offset1:1
	s_waitcnt lgkmcnt(0)
	v_cmp_neq_f64_e32 vcc_lo, 0, v[216:217]
	v_cmp_neq_f64_e64 s3, 0, v[218:219]
	s_delay_alu instid0(VALU_DEP_1) | instskip(NEXT) | instid1(SALU_CYCLE_1)
	s_or_b32 s3, vcc_lo, s3
	s_and_b32 exec_lo, exec_lo, s3
	s_cbranch_execz .LBB109_233
; %bb.228:
	v_cmp_gt_f64_e32 vcc_lo, 0, v[216:217]
	v_xor_b32_e32 v208, 0x80000000, v217
	s_delay_alu instid0(VALU_DEP_1) | instskip(SKIP_3) | instid1(VALU_DEP_1)
	v_cndmask_b32_e32 v213, v217, v208, vcc_lo
	v_cndmask_b32_e32 v212, v216, v216, vcc_lo
	v_cmp_gt_f64_e32 vcc_lo, 0, v[218:219]
	v_xor_b32_e32 v208, 0x80000000, v219
	v_dual_cndmask_b32 v220, v218, v218 :: v_dual_cndmask_b32 v221, v219, v208
	s_delay_alu instid0(VALU_DEP_1) | instskip(SKIP_1) | instid1(SALU_CYCLE_1)
	v_cmp_ngt_f64_e32 vcc_lo, v[212:213], v[220:221]
                                        ; implicit-def: $vgpr212_vgpr213
	s_and_saveexec_b32 s3, vcc_lo
	s_xor_b32 s3, exec_lo, s3
                                        ; implicit-def: $vgpr220_vgpr221_vgpr222_vgpr223
	s_cbranch_execz .LBB109_230
; %bb.229:
	v_div_scale_f64 v[212:213], null, v[218:219], v[218:219], v[216:217]
	v_div_scale_f64 v[224:225], vcc_lo, v[216:217], v[218:219], v[216:217]
	s_delay_alu instid0(VALU_DEP_2) | instskip(SKIP_2) | instid1(VALU_DEP_1)
	v_rcp_f64_e32 v[220:221], v[212:213]
	s_waitcnt_depctr 0xfff
	v_fma_f64 v[222:223], -v[212:213], v[220:221], 1.0
	v_fma_f64 v[220:221], v[220:221], v[222:223], v[220:221]
	s_delay_alu instid0(VALU_DEP_1) | instskip(NEXT) | instid1(VALU_DEP_1)
	v_fma_f64 v[222:223], -v[212:213], v[220:221], 1.0
	v_fma_f64 v[220:221], v[220:221], v[222:223], v[220:221]
	s_delay_alu instid0(VALU_DEP_1) | instskip(NEXT) | instid1(VALU_DEP_1)
	v_mul_f64 v[222:223], v[224:225], v[220:221]
	v_fma_f64 v[212:213], -v[212:213], v[222:223], v[224:225]
	s_delay_alu instid0(VALU_DEP_1) | instskip(NEXT) | instid1(VALU_DEP_1)
	v_div_fmas_f64 v[212:213], v[212:213], v[220:221], v[222:223]
	v_div_fixup_f64 v[212:213], v[212:213], v[218:219], v[216:217]
	s_delay_alu instid0(VALU_DEP_1) | instskip(NEXT) | instid1(VALU_DEP_1)
	v_fma_f64 v[216:217], v[216:217], v[212:213], v[218:219]
	v_div_scale_f64 v[218:219], null, v[216:217], v[216:217], 1.0
	s_delay_alu instid0(VALU_DEP_1) | instskip(SKIP_2) | instid1(VALU_DEP_1)
	v_rcp_f64_e32 v[220:221], v[218:219]
	s_waitcnt_depctr 0xfff
	v_fma_f64 v[222:223], -v[218:219], v[220:221], 1.0
	v_fma_f64 v[220:221], v[220:221], v[222:223], v[220:221]
	s_delay_alu instid0(VALU_DEP_1) | instskip(NEXT) | instid1(VALU_DEP_1)
	v_fma_f64 v[222:223], -v[218:219], v[220:221], 1.0
	v_fma_f64 v[220:221], v[220:221], v[222:223], v[220:221]
	v_div_scale_f64 v[222:223], vcc_lo, 1.0, v[216:217], 1.0
	s_delay_alu instid0(VALU_DEP_1) | instskip(NEXT) | instid1(VALU_DEP_1)
	v_mul_f64 v[224:225], v[222:223], v[220:221]
	v_fma_f64 v[218:219], -v[218:219], v[224:225], v[222:223]
	s_delay_alu instid0(VALU_DEP_1) | instskip(NEXT) | instid1(VALU_DEP_1)
	v_div_fmas_f64 v[218:219], v[218:219], v[220:221], v[224:225]
	v_div_fixup_f64 v[222:223], v[218:219], v[216:217], 1.0
                                        ; implicit-def: $vgpr216_vgpr217
	s_delay_alu instid0(VALU_DEP_1)
	v_mul_f64 v[212:213], v[212:213], v[222:223]
	v_xor_b32_e32 v223, 0x80000000, v223
.LBB109_230:
	s_and_not1_saveexec_b32 s3, s3
	s_cbranch_execz .LBB109_232
; %bb.231:
	v_div_scale_f64 v[212:213], null, v[216:217], v[216:217], v[218:219]
	v_div_scale_f64 v[224:225], vcc_lo, v[218:219], v[216:217], v[218:219]
	s_delay_alu instid0(VALU_DEP_2) | instskip(SKIP_2) | instid1(VALU_DEP_1)
	v_rcp_f64_e32 v[220:221], v[212:213]
	s_waitcnt_depctr 0xfff
	v_fma_f64 v[222:223], -v[212:213], v[220:221], 1.0
	v_fma_f64 v[220:221], v[220:221], v[222:223], v[220:221]
	s_delay_alu instid0(VALU_DEP_1) | instskip(NEXT) | instid1(VALU_DEP_1)
	v_fma_f64 v[222:223], -v[212:213], v[220:221], 1.0
	v_fma_f64 v[220:221], v[220:221], v[222:223], v[220:221]
	s_delay_alu instid0(VALU_DEP_1) | instskip(NEXT) | instid1(VALU_DEP_1)
	v_mul_f64 v[222:223], v[224:225], v[220:221]
	v_fma_f64 v[212:213], -v[212:213], v[222:223], v[224:225]
	s_delay_alu instid0(VALU_DEP_1) | instskip(NEXT) | instid1(VALU_DEP_1)
	v_div_fmas_f64 v[212:213], v[212:213], v[220:221], v[222:223]
	v_div_fixup_f64 v[220:221], v[212:213], v[216:217], v[218:219]
	s_delay_alu instid0(VALU_DEP_1) | instskip(NEXT) | instid1(VALU_DEP_1)
	v_fma_f64 v[212:213], v[218:219], v[220:221], v[216:217]
	v_div_scale_f64 v[216:217], null, v[212:213], v[212:213], 1.0
	s_delay_alu instid0(VALU_DEP_1) | instskip(SKIP_2) | instid1(VALU_DEP_1)
	v_rcp_f64_e32 v[218:219], v[216:217]
	s_waitcnt_depctr 0xfff
	v_fma_f64 v[222:223], -v[216:217], v[218:219], 1.0
	v_fma_f64 v[218:219], v[218:219], v[222:223], v[218:219]
	s_delay_alu instid0(VALU_DEP_1) | instskip(NEXT) | instid1(VALU_DEP_1)
	v_fma_f64 v[222:223], -v[216:217], v[218:219], 1.0
	v_fma_f64 v[218:219], v[218:219], v[222:223], v[218:219]
	v_div_scale_f64 v[222:223], vcc_lo, 1.0, v[212:213], 1.0
	s_delay_alu instid0(VALU_DEP_1) | instskip(NEXT) | instid1(VALU_DEP_1)
	v_mul_f64 v[224:225], v[222:223], v[218:219]
	v_fma_f64 v[216:217], -v[216:217], v[224:225], v[222:223]
	s_delay_alu instid0(VALU_DEP_1) | instskip(NEXT) | instid1(VALU_DEP_1)
	v_div_fmas_f64 v[216:217], v[216:217], v[218:219], v[224:225]
	v_div_fixup_f64 v[212:213], v[216:217], v[212:213], 1.0
	s_delay_alu instid0(VALU_DEP_1)
	v_mul_f64 v[222:223], v[220:221], -v[212:213]
.LBB109_232:
	s_or_b32 exec_lo, exec_lo, s3
	ds_store_2addr_b64 v204, v[212:213], v[222:223] offset1:1
.LBB109_233:
	s_or_b32 exec_lo, exec_lo, s4
	s_waitcnt lgkmcnt(0)
	s_barrier
	buffer_gl0_inv
	ds_load_2addr_b64 v[207:210], v204 offset1:1
	s_mov_b32 s3, exec_lo
	s_waitcnt lgkmcnt(0)
	scratch_store_b128 off, v[207:210], off offset:896 ; 16-byte Folded Spill
	v_cmpx_lt_u32_e32 25, v215
	s_cbranch_execz .LBB109_235
; %bb.234:
	scratch_load_b128 v[207:210], off, off offset:896 ; 16-byte Folded Reload
	ds_load_2addr_b64 v[218:221], v214 offset0:52 offset1:53
	s_waitcnt vmcnt(0)
	v_mul_f64 v[212:213], v[209:210], v[118:119]
	v_mul_f64 v[118:119], v[207:208], v[118:119]
	s_delay_alu instid0(VALU_DEP_2) | instskip(NEXT) | instid1(VALU_DEP_2)
	v_fma_f64 v[216:217], v[207:208], v[116:117], -v[212:213]
	v_fma_f64 v[118:119], v[209:210], v[116:117], v[118:119]
	s_waitcnt lgkmcnt(0)
	s_delay_alu instid0(VALU_DEP_1) | instskip(SKIP_1) | instid1(VALU_DEP_2)
	v_mul_f64 v[116:117], v[220:221], v[118:119]
	v_mul_f64 v[212:213], v[218:219], v[118:119]
	v_fma_f64 v[116:117], v[218:219], v[216:217], -v[116:117]
	s_delay_alu instid0(VALU_DEP_2)
	v_fma_f64 v[212:213], v[220:221], v[216:217], v[212:213]
	ds_load_2addr_b64 v[218:221], v214 offset0:54 offset1:55
	v_add_f64 v[112:113], v[112:113], -v[116:117]
	v_add_f64 v[114:115], v[114:115], -v[212:213]
	s_waitcnt lgkmcnt(0)
	v_mul_f64 v[116:117], v[220:221], v[118:119]
	v_mul_f64 v[212:213], v[218:219], v[118:119]
	s_delay_alu instid0(VALU_DEP_2) | instskip(NEXT) | instid1(VALU_DEP_2)
	v_fma_f64 v[116:117], v[218:219], v[216:217], -v[116:117]
	v_fma_f64 v[212:213], v[220:221], v[216:217], v[212:213]
	ds_load_2addr_b64 v[218:221], v214 offset0:56 offset1:57
	v_add_f64 v[108:109], v[108:109], -v[116:117]
	v_add_f64 v[110:111], v[110:111], -v[212:213]
	s_waitcnt lgkmcnt(0)
	v_mul_f64 v[116:117], v[220:221], v[118:119]
	v_mul_f64 v[212:213], v[218:219], v[118:119]
	s_delay_alu instid0(VALU_DEP_2) | instskip(NEXT) | instid1(VALU_DEP_2)
	v_fma_f64 v[116:117], v[218:219], v[216:217], -v[116:117]
	v_fma_f64 v[212:213], v[220:221], v[216:217], v[212:213]
	ds_load_2addr_b64 v[218:221], v214 offset0:58 offset1:59
	v_add_f64 v[104:105], v[104:105], -v[116:117]
	v_add_f64 v[106:107], v[106:107], -v[212:213]
	s_waitcnt lgkmcnt(0)
	v_mul_f64 v[116:117], v[220:221], v[118:119]
	v_mul_f64 v[212:213], v[218:219], v[118:119]
	s_delay_alu instid0(VALU_DEP_2) | instskip(NEXT) | instid1(VALU_DEP_2)
	v_fma_f64 v[116:117], v[218:219], v[216:217], -v[116:117]
	v_fma_f64 v[212:213], v[220:221], v[216:217], v[212:213]
	ds_load_2addr_b64 v[218:221], v214 offset0:60 offset1:61
	v_add_f64 v[100:101], v[100:101], -v[116:117]
	v_add_f64 v[102:103], v[102:103], -v[212:213]
	s_waitcnt lgkmcnt(0)
	v_mul_f64 v[116:117], v[220:221], v[118:119]
	v_mul_f64 v[212:213], v[218:219], v[118:119]
	s_delay_alu instid0(VALU_DEP_2) | instskip(NEXT) | instid1(VALU_DEP_2)
	v_fma_f64 v[116:117], v[218:219], v[216:217], -v[116:117]
	v_fma_f64 v[212:213], v[220:221], v[216:217], v[212:213]
	ds_load_2addr_b64 v[218:221], v214 offset0:62 offset1:63
	v_add_f64 v[96:97], v[96:97], -v[116:117]
	v_add_f64 v[98:99], v[98:99], -v[212:213]
	s_waitcnt lgkmcnt(0)
	v_mul_f64 v[116:117], v[220:221], v[118:119]
	v_mul_f64 v[212:213], v[218:219], v[118:119]
	s_delay_alu instid0(VALU_DEP_2) | instskip(NEXT) | instid1(VALU_DEP_2)
	v_fma_f64 v[116:117], v[218:219], v[216:217], -v[116:117]
	v_fma_f64 v[212:213], v[220:221], v[216:217], v[212:213]
	ds_load_2addr_b64 v[218:221], v214 offset0:64 offset1:65
	v_add_f64 v[92:93], v[92:93], -v[116:117]
	v_add_f64 v[94:95], v[94:95], -v[212:213]
	s_waitcnt lgkmcnt(0)
	v_mul_f64 v[116:117], v[220:221], v[118:119]
	v_mul_f64 v[212:213], v[218:219], v[118:119]
	s_delay_alu instid0(VALU_DEP_2) | instskip(NEXT) | instid1(VALU_DEP_2)
	v_fma_f64 v[116:117], v[218:219], v[216:217], -v[116:117]
	v_fma_f64 v[212:213], v[220:221], v[216:217], v[212:213]
	ds_load_2addr_b64 v[218:221], v214 offset0:66 offset1:67
	v_add_f64 v[88:89], v[88:89], -v[116:117]
	v_add_f64 v[90:91], v[90:91], -v[212:213]
	s_waitcnt lgkmcnt(0)
	v_mul_f64 v[116:117], v[220:221], v[118:119]
	v_mul_f64 v[212:213], v[218:219], v[118:119]
	s_delay_alu instid0(VALU_DEP_2) | instskip(NEXT) | instid1(VALU_DEP_2)
	v_fma_f64 v[116:117], v[218:219], v[216:217], -v[116:117]
	v_fma_f64 v[212:213], v[220:221], v[216:217], v[212:213]
	ds_load_2addr_b64 v[218:221], v214 offset0:68 offset1:69
	v_add_f64 v[84:85], v[84:85], -v[116:117]
	v_add_f64 v[86:87], v[86:87], -v[212:213]
	s_waitcnt lgkmcnt(0)
	v_mul_f64 v[116:117], v[220:221], v[118:119]
	v_mul_f64 v[212:213], v[218:219], v[118:119]
	s_delay_alu instid0(VALU_DEP_2) | instskip(NEXT) | instid1(VALU_DEP_2)
	v_fma_f64 v[116:117], v[218:219], v[216:217], -v[116:117]
	v_fma_f64 v[212:213], v[220:221], v[216:217], v[212:213]
	ds_load_2addr_b64 v[218:221], v214 offset0:70 offset1:71
	v_add_f64 v[80:81], v[80:81], -v[116:117]
	v_add_f64 v[82:83], v[82:83], -v[212:213]
	s_waitcnt lgkmcnt(0)
	v_mul_f64 v[116:117], v[220:221], v[118:119]
	v_mul_f64 v[212:213], v[218:219], v[118:119]
	s_delay_alu instid0(VALU_DEP_2) | instskip(NEXT) | instid1(VALU_DEP_2)
	v_fma_f64 v[116:117], v[218:219], v[216:217], -v[116:117]
	v_fma_f64 v[212:213], v[220:221], v[216:217], v[212:213]
	ds_load_2addr_b64 v[218:221], v214 offset0:72 offset1:73
	v_add_f64 v[76:77], v[76:77], -v[116:117]
	v_add_f64 v[78:79], v[78:79], -v[212:213]
	s_waitcnt lgkmcnt(0)
	v_mul_f64 v[116:117], v[220:221], v[118:119]
	v_mul_f64 v[212:213], v[218:219], v[118:119]
	s_delay_alu instid0(VALU_DEP_2) | instskip(NEXT) | instid1(VALU_DEP_2)
	v_fma_f64 v[116:117], v[218:219], v[216:217], -v[116:117]
	v_fma_f64 v[212:213], v[220:221], v[216:217], v[212:213]
	ds_load_2addr_b64 v[218:221], v214 offset0:74 offset1:75
	v_add_f64 v[72:73], v[72:73], -v[116:117]
	v_add_f64 v[74:75], v[74:75], -v[212:213]
	s_waitcnt lgkmcnt(0)
	v_mul_f64 v[116:117], v[220:221], v[118:119]
	v_mul_f64 v[212:213], v[218:219], v[118:119]
	s_delay_alu instid0(VALU_DEP_2) | instskip(NEXT) | instid1(VALU_DEP_2)
	v_fma_f64 v[116:117], v[218:219], v[216:217], -v[116:117]
	v_fma_f64 v[212:213], v[220:221], v[216:217], v[212:213]
	ds_load_2addr_b64 v[218:221], v214 offset0:76 offset1:77
	v_add_f64 v[68:69], v[68:69], -v[116:117]
	v_add_f64 v[70:71], v[70:71], -v[212:213]
	s_waitcnt lgkmcnt(0)
	v_mul_f64 v[116:117], v[220:221], v[118:119]
	v_mul_f64 v[212:213], v[218:219], v[118:119]
	s_delay_alu instid0(VALU_DEP_2) | instskip(NEXT) | instid1(VALU_DEP_2)
	v_fma_f64 v[116:117], v[218:219], v[216:217], -v[116:117]
	v_fma_f64 v[212:213], v[220:221], v[216:217], v[212:213]
	ds_load_2addr_b64 v[218:221], v214 offset0:78 offset1:79
	v_add_f64 v[64:65], v[64:65], -v[116:117]
	v_add_f64 v[66:67], v[66:67], -v[212:213]
	s_waitcnt lgkmcnt(0)
	v_mul_f64 v[116:117], v[220:221], v[118:119]
	v_mul_f64 v[212:213], v[218:219], v[118:119]
	s_delay_alu instid0(VALU_DEP_2) | instskip(NEXT) | instid1(VALU_DEP_2)
	v_fma_f64 v[116:117], v[218:219], v[216:217], -v[116:117]
	v_fma_f64 v[212:213], v[220:221], v[216:217], v[212:213]
	ds_load_2addr_b64 v[218:221], v214 offset0:80 offset1:81
	v_add_f64 v[60:61], v[60:61], -v[116:117]
	v_add_f64 v[62:63], v[62:63], -v[212:213]
	s_waitcnt lgkmcnt(0)
	v_mul_f64 v[116:117], v[220:221], v[118:119]
	v_mul_f64 v[212:213], v[218:219], v[118:119]
	s_delay_alu instid0(VALU_DEP_2) | instskip(NEXT) | instid1(VALU_DEP_2)
	v_fma_f64 v[116:117], v[218:219], v[216:217], -v[116:117]
	v_fma_f64 v[212:213], v[220:221], v[216:217], v[212:213]
	ds_load_2addr_b64 v[218:221], v214 offset0:82 offset1:83
	v_add_f64 v[56:57], v[56:57], -v[116:117]
	v_add_f64 v[58:59], v[58:59], -v[212:213]
	s_waitcnt lgkmcnt(0)
	v_mul_f64 v[116:117], v[220:221], v[118:119]
	v_mul_f64 v[212:213], v[218:219], v[118:119]
	s_delay_alu instid0(VALU_DEP_2) | instskip(NEXT) | instid1(VALU_DEP_2)
	v_fma_f64 v[116:117], v[218:219], v[216:217], -v[116:117]
	v_fma_f64 v[212:213], v[220:221], v[216:217], v[212:213]
	ds_load_2addr_b64 v[218:221], v214 offset0:84 offset1:85
	v_add_f64 v[52:53], v[52:53], -v[116:117]
	v_add_f64 v[54:55], v[54:55], -v[212:213]
	s_waitcnt lgkmcnt(0)
	v_mul_f64 v[116:117], v[220:221], v[118:119]
	v_mul_f64 v[212:213], v[218:219], v[118:119]
	s_delay_alu instid0(VALU_DEP_2) | instskip(NEXT) | instid1(VALU_DEP_2)
	v_fma_f64 v[116:117], v[218:219], v[216:217], -v[116:117]
	v_fma_f64 v[212:213], v[220:221], v[216:217], v[212:213]
	ds_load_2addr_b64 v[218:221], v214 offset0:86 offset1:87
	v_add_f64 v[48:49], v[48:49], -v[116:117]
	v_add_f64 v[50:51], v[50:51], -v[212:213]
	s_waitcnt lgkmcnt(0)
	v_mul_f64 v[116:117], v[220:221], v[118:119]
	v_mul_f64 v[212:213], v[218:219], v[118:119]
	s_delay_alu instid0(VALU_DEP_2) | instskip(NEXT) | instid1(VALU_DEP_2)
	v_fma_f64 v[116:117], v[218:219], v[216:217], -v[116:117]
	v_fma_f64 v[212:213], v[220:221], v[216:217], v[212:213]
	ds_load_2addr_b64 v[218:221], v214 offset0:88 offset1:89
	v_add_f64 v[44:45], v[44:45], -v[116:117]
	v_add_f64 v[46:47], v[46:47], -v[212:213]
	s_waitcnt lgkmcnt(0)
	v_mul_f64 v[116:117], v[220:221], v[118:119]
	v_mul_f64 v[212:213], v[218:219], v[118:119]
	s_delay_alu instid0(VALU_DEP_2) | instskip(NEXT) | instid1(VALU_DEP_2)
	v_fma_f64 v[116:117], v[218:219], v[216:217], -v[116:117]
	v_fma_f64 v[212:213], v[220:221], v[216:217], v[212:213]
	ds_load_2addr_b64 v[218:221], v214 offset0:90 offset1:91
	v_add_f64 v[40:41], v[40:41], -v[116:117]
	v_add_f64 v[42:43], v[42:43], -v[212:213]
	s_waitcnt lgkmcnt(0)
	v_mul_f64 v[116:117], v[220:221], v[118:119]
	v_mul_f64 v[212:213], v[218:219], v[118:119]
	s_delay_alu instid0(VALU_DEP_2) | instskip(NEXT) | instid1(VALU_DEP_2)
	v_fma_f64 v[116:117], v[218:219], v[216:217], -v[116:117]
	v_fma_f64 v[212:213], v[220:221], v[216:217], v[212:213]
	ds_load_2addr_b64 v[218:221], v214 offset0:92 offset1:93
	v_add_f64 v[36:37], v[36:37], -v[116:117]
	v_add_f64 v[38:39], v[38:39], -v[212:213]
	s_waitcnt lgkmcnt(0)
	v_mul_f64 v[116:117], v[220:221], v[118:119]
	v_mul_f64 v[212:213], v[218:219], v[118:119]
	s_delay_alu instid0(VALU_DEP_2) | instskip(NEXT) | instid1(VALU_DEP_2)
	v_fma_f64 v[116:117], v[218:219], v[216:217], -v[116:117]
	v_fma_f64 v[212:213], v[220:221], v[216:217], v[212:213]
	ds_load_2addr_b64 v[218:221], v214 offset0:94 offset1:95
	v_add_f64 v[32:33], v[32:33], -v[116:117]
	v_add_f64 v[34:35], v[34:35], -v[212:213]
	s_waitcnt lgkmcnt(0)
	v_mul_f64 v[116:117], v[220:221], v[118:119]
	v_mul_f64 v[212:213], v[218:219], v[118:119]
	s_delay_alu instid0(VALU_DEP_2) | instskip(NEXT) | instid1(VALU_DEP_2)
	v_fma_f64 v[116:117], v[218:219], v[216:217], -v[116:117]
	v_fma_f64 v[212:213], v[220:221], v[216:217], v[212:213]
	ds_load_2addr_b64 v[218:221], v214 offset0:96 offset1:97
	v_add_f64 v[28:29], v[28:29], -v[116:117]
	v_add_f64 v[30:31], v[30:31], -v[212:213]
	s_waitcnt lgkmcnt(0)
	v_mul_f64 v[116:117], v[220:221], v[118:119]
	v_mul_f64 v[212:213], v[218:219], v[118:119]
	s_delay_alu instid0(VALU_DEP_2) | instskip(NEXT) | instid1(VALU_DEP_2)
	v_fma_f64 v[116:117], v[218:219], v[216:217], -v[116:117]
	v_fma_f64 v[212:213], v[220:221], v[216:217], v[212:213]
	ds_load_2addr_b64 v[218:221], v214 offset0:98 offset1:99
	v_add_f64 v[24:25], v[24:25], -v[116:117]
	v_add_f64 v[26:27], v[26:27], -v[212:213]
	s_waitcnt lgkmcnt(0)
	v_mul_f64 v[116:117], v[220:221], v[118:119]
	v_mul_f64 v[212:213], v[218:219], v[118:119]
	s_delay_alu instid0(VALU_DEP_2) | instskip(NEXT) | instid1(VALU_DEP_2)
	v_fma_f64 v[116:117], v[218:219], v[216:217], -v[116:117]
	v_fma_f64 v[212:213], v[220:221], v[216:217], v[212:213]
	ds_load_2addr_b64 v[218:221], v214 offset0:100 offset1:101
	v_add_f64 v[20:21], v[20:21], -v[116:117]
	v_add_f64 v[22:23], v[22:23], -v[212:213]
	s_waitcnt lgkmcnt(0)
	v_mul_f64 v[116:117], v[220:221], v[118:119]
	v_mul_f64 v[212:213], v[218:219], v[118:119]
	s_delay_alu instid0(VALU_DEP_2) | instskip(NEXT) | instid1(VALU_DEP_2)
	v_fma_f64 v[116:117], v[218:219], v[216:217], -v[116:117]
	v_fma_f64 v[212:213], v[220:221], v[216:217], v[212:213]
	ds_load_2addr_b64 v[218:221], v214 offset0:102 offset1:103
	v_add_f64 v[16:17], v[16:17], -v[116:117]
	v_add_f64 v[18:19], v[18:19], -v[212:213]
	s_waitcnt lgkmcnt(0)
	v_mul_f64 v[116:117], v[220:221], v[118:119]
	v_mul_f64 v[212:213], v[218:219], v[118:119]
	s_delay_alu instid0(VALU_DEP_2) | instskip(NEXT) | instid1(VALU_DEP_2)
	v_fma_f64 v[116:117], v[218:219], v[216:217], -v[116:117]
	v_fma_f64 v[212:213], v[220:221], v[216:217], v[212:213]
	ds_load_2addr_b64 v[218:221], v214 offset0:104 offset1:105
	v_add_f64 v[12:13], v[12:13], -v[116:117]
	v_add_f64 v[14:15], v[14:15], -v[212:213]
	s_waitcnt lgkmcnt(0)
	v_mul_f64 v[116:117], v[220:221], v[118:119]
	v_mul_f64 v[212:213], v[218:219], v[118:119]
	s_delay_alu instid0(VALU_DEP_2) | instskip(NEXT) | instid1(VALU_DEP_2)
	v_fma_f64 v[116:117], v[218:219], v[216:217], -v[116:117]
	v_fma_f64 v[212:213], v[220:221], v[216:217], v[212:213]
	ds_load_2addr_b64 v[218:221], v214 offset0:106 offset1:107
	v_add_f64 v[8:9], v[8:9], -v[116:117]
	v_add_f64 v[10:11], v[10:11], -v[212:213]
	s_waitcnt lgkmcnt(0)
	v_mul_f64 v[116:117], v[220:221], v[118:119]
	v_mul_f64 v[212:213], v[218:219], v[118:119]
	s_delay_alu instid0(VALU_DEP_2) | instskip(NEXT) | instid1(VALU_DEP_2)
	v_fma_f64 v[116:117], v[218:219], v[216:217], -v[116:117]
	v_fma_f64 v[212:213], v[220:221], v[216:217], v[212:213]
	ds_load_2addr_b64 v[218:221], v214 offset0:108 offset1:109
	v_add_f64 v[4:5], v[4:5], -v[116:117]
	v_add_f64 v[6:7], v[6:7], -v[212:213]
	s_waitcnt lgkmcnt(0)
	v_mul_f64 v[116:117], v[220:221], v[118:119]
	v_mul_f64 v[212:213], v[218:219], v[118:119]
	s_delay_alu instid0(VALU_DEP_2) | instskip(NEXT) | instid1(VALU_DEP_2)
	v_fma_f64 v[116:117], v[218:219], v[216:217], -v[116:117]
	v_fma_f64 v[212:213], v[220:221], v[216:217], v[212:213]
	s_delay_alu instid0(VALU_DEP_2) | instskip(NEXT) | instid1(VALU_DEP_2)
	v_add_f64 v[0:1], v[0:1], -v[116:117]
	v_add_f64 v[2:3], v[2:3], -v[212:213]
	v_dual_mov_b32 v116, v216 :: v_dual_mov_b32 v117, v217
.LBB109_235:
	s_or_b32 exec_lo, exec_lo, s3
	s_delay_alu instid0(SALU_CYCLE_1)
	s_mov_b32 s4, exec_lo
	s_waitcnt_vscnt null, 0x0
	s_barrier
	buffer_gl0_inv
	v_cmpx_eq_u32_e32 26, v215
	s_cbranch_execz .LBB109_242
; %bb.236:
	ds_store_2addr_b64 v204, v[112:113], v[114:115] offset1:1
	ds_store_2addr_b64 v214, v[108:109], v[110:111] offset0:54 offset1:55
	ds_store_2addr_b64 v214, v[104:105], v[106:107] offset0:56 offset1:57
	;; [unrolled: 1-line block ×28, first 2 shown]
	ds_load_2addr_b64 v[216:219], v204 offset1:1
	s_waitcnt lgkmcnt(0)
	v_cmp_neq_f64_e32 vcc_lo, 0, v[216:217]
	v_cmp_neq_f64_e64 s3, 0, v[218:219]
	s_delay_alu instid0(VALU_DEP_1) | instskip(NEXT) | instid1(SALU_CYCLE_1)
	s_or_b32 s3, vcc_lo, s3
	s_and_b32 exec_lo, exec_lo, s3
	s_cbranch_execz .LBB109_242
; %bb.237:
	v_cmp_gt_f64_e32 vcc_lo, 0, v[216:217]
	v_xor_b32_e32 v208, 0x80000000, v217
	s_delay_alu instid0(VALU_DEP_1) | instskip(SKIP_3) | instid1(VALU_DEP_1)
	v_cndmask_b32_e32 v213, v217, v208, vcc_lo
	v_cndmask_b32_e32 v212, v216, v216, vcc_lo
	v_cmp_gt_f64_e32 vcc_lo, 0, v[218:219]
	v_xor_b32_e32 v208, 0x80000000, v219
	v_dual_cndmask_b32 v220, v218, v218 :: v_dual_cndmask_b32 v221, v219, v208
	s_delay_alu instid0(VALU_DEP_1) | instskip(SKIP_1) | instid1(SALU_CYCLE_1)
	v_cmp_ngt_f64_e32 vcc_lo, v[212:213], v[220:221]
                                        ; implicit-def: $vgpr212_vgpr213
	s_and_saveexec_b32 s3, vcc_lo
	s_xor_b32 s3, exec_lo, s3
                                        ; implicit-def: $vgpr220_vgpr221_vgpr222_vgpr223
	s_cbranch_execz .LBB109_239
; %bb.238:
	v_div_scale_f64 v[212:213], null, v[218:219], v[218:219], v[216:217]
	v_div_scale_f64 v[224:225], vcc_lo, v[216:217], v[218:219], v[216:217]
	s_delay_alu instid0(VALU_DEP_2) | instskip(SKIP_2) | instid1(VALU_DEP_1)
	v_rcp_f64_e32 v[220:221], v[212:213]
	s_waitcnt_depctr 0xfff
	v_fma_f64 v[222:223], -v[212:213], v[220:221], 1.0
	v_fma_f64 v[220:221], v[220:221], v[222:223], v[220:221]
	s_delay_alu instid0(VALU_DEP_1) | instskip(NEXT) | instid1(VALU_DEP_1)
	v_fma_f64 v[222:223], -v[212:213], v[220:221], 1.0
	v_fma_f64 v[220:221], v[220:221], v[222:223], v[220:221]
	s_delay_alu instid0(VALU_DEP_1) | instskip(NEXT) | instid1(VALU_DEP_1)
	v_mul_f64 v[222:223], v[224:225], v[220:221]
	v_fma_f64 v[212:213], -v[212:213], v[222:223], v[224:225]
	s_delay_alu instid0(VALU_DEP_1) | instskip(NEXT) | instid1(VALU_DEP_1)
	v_div_fmas_f64 v[212:213], v[212:213], v[220:221], v[222:223]
	v_div_fixup_f64 v[212:213], v[212:213], v[218:219], v[216:217]
	s_delay_alu instid0(VALU_DEP_1) | instskip(NEXT) | instid1(VALU_DEP_1)
	v_fma_f64 v[216:217], v[216:217], v[212:213], v[218:219]
	v_div_scale_f64 v[218:219], null, v[216:217], v[216:217], 1.0
	s_delay_alu instid0(VALU_DEP_1) | instskip(SKIP_2) | instid1(VALU_DEP_1)
	v_rcp_f64_e32 v[220:221], v[218:219]
	s_waitcnt_depctr 0xfff
	v_fma_f64 v[222:223], -v[218:219], v[220:221], 1.0
	v_fma_f64 v[220:221], v[220:221], v[222:223], v[220:221]
	s_delay_alu instid0(VALU_DEP_1) | instskip(NEXT) | instid1(VALU_DEP_1)
	v_fma_f64 v[222:223], -v[218:219], v[220:221], 1.0
	v_fma_f64 v[220:221], v[220:221], v[222:223], v[220:221]
	v_div_scale_f64 v[222:223], vcc_lo, 1.0, v[216:217], 1.0
	s_delay_alu instid0(VALU_DEP_1) | instskip(NEXT) | instid1(VALU_DEP_1)
	v_mul_f64 v[224:225], v[222:223], v[220:221]
	v_fma_f64 v[218:219], -v[218:219], v[224:225], v[222:223]
	s_delay_alu instid0(VALU_DEP_1) | instskip(NEXT) | instid1(VALU_DEP_1)
	v_div_fmas_f64 v[218:219], v[218:219], v[220:221], v[224:225]
	v_div_fixup_f64 v[222:223], v[218:219], v[216:217], 1.0
                                        ; implicit-def: $vgpr216_vgpr217
	s_delay_alu instid0(VALU_DEP_1)
	v_mul_f64 v[212:213], v[212:213], v[222:223]
	v_xor_b32_e32 v223, 0x80000000, v223
.LBB109_239:
	s_and_not1_saveexec_b32 s3, s3
	s_cbranch_execz .LBB109_241
; %bb.240:
	v_div_scale_f64 v[212:213], null, v[216:217], v[216:217], v[218:219]
	v_div_scale_f64 v[224:225], vcc_lo, v[218:219], v[216:217], v[218:219]
	s_delay_alu instid0(VALU_DEP_2) | instskip(SKIP_2) | instid1(VALU_DEP_1)
	v_rcp_f64_e32 v[220:221], v[212:213]
	s_waitcnt_depctr 0xfff
	v_fma_f64 v[222:223], -v[212:213], v[220:221], 1.0
	v_fma_f64 v[220:221], v[220:221], v[222:223], v[220:221]
	s_delay_alu instid0(VALU_DEP_1) | instskip(NEXT) | instid1(VALU_DEP_1)
	v_fma_f64 v[222:223], -v[212:213], v[220:221], 1.0
	v_fma_f64 v[220:221], v[220:221], v[222:223], v[220:221]
	s_delay_alu instid0(VALU_DEP_1) | instskip(NEXT) | instid1(VALU_DEP_1)
	v_mul_f64 v[222:223], v[224:225], v[220:221]
	v_fma_f64 v[212:213], -v[212:213], v[222:223], v[224:225]
	s_delay_alu instid0(VALU_DEP_1) | instskip(NEXT) | instid1(VALU_DEP_1)
	v_div_fmas_f64 v[212:213], v[212:213], v[220:221], v[222:223]
	v_div_fixup_f64 v[220:221], v[212:213], v[216:217], v[218:219]
	s_delay_alu instid0(VALU_DEP_1) | instskip(NEXT) | instid1(VALU_DEP_1)
	v_fma_f64 v[212:213], v[218:219], v[220:221], v[216:217]
	v_div_scale_f64 v[216:217], null, v[212:213], v[212:213], 1.0
	s_delay_alu instid0(VALU_DEP_1) | instskip(SKIP_2) | instid1(VALU_DEP_1)
	v_rcp_f64_e32 v[218:219], v[216:217]
	s_waitcnt_depctr 0xfff
	v_fma_f64 v[222:223], -v[216:217], v[218:219], 1.0
	v_fma_f64 v[218:219], v[218:219], v[222:223], v[218:219]
	s_delay_alu instid0(VALU_DEP_1) | instskip(NEXT) | instid1(VALU_DEP_1)
	v_fma_f64 v[222:223], -v[216:217], v[218:219], 1.0
	v_fma_f64 v[218:219], v[218:219], v[222:223], v[218:219]
	v_div_scale_f64 v[222:223], vcc_lo, 1.0, v[212:213], 1.0
	s_delay_alu instid0(VALU_DEP_1) | instskip(NEXT) | instid1(VALU_DEP_1)
	v_mul_f64 v[224:225], v[222:223], v[218:219]
	v_fma_f64 v[216:217], -v[216:217], v[224:225], v[222:223]
	s_delay_alu instid0(VALU_DEP_1) | instskip(NEXT) | instid1(VALU_DEP_1)
	v_div_fmas_f64 v[216:217], v[216:217], v[218:219], v[224:225]
	v_div_fixup_f64 v[212:213], v[216:217], v[212:213], 1.0
	s_delay_alu instid0(VALU_DEP_1)
	v_mul_f64 v[222:223], v[220:221], -v[212:213]
.LBB109_241:
	s_or_b32 exec_lo, exec_lo, s3
	ds_store_2addr_b64 v204, v[212:213], v[222:223] offset1:1
.LBB109_242:
	s_or_b32 exec_lo, exec_lo, s4
	s_waitcnt lgkmcnt(0)
	s_barrier
	buffer_gl0_inv
	ds_load_2addr_b64 v[207:210], v204 offset1:1
	s_mov_b32 s3, exec_lo
	s_waitcnt lgkmcnt(0)
	scratch_store_b128 off, v[207:210], off offset:912 ; 16-byte Folded Spill
	v_cmpx_lt_u32_e32 26, v215
	s_cbranch_execz .LBB109_244
; %bb.243:
	scratch_load_b128 v[207:210], off, off offset:912 ; 16-byte Folded Reload
	ds_load_2addr_b64 v[218:221], v214 offset0:54 offset1:55
	s_waitcnt vmcnt(0)
	v_mul_f64 v[212:213], v[209:210], v[114:115]
	v_mul_f64 v[114:115], v[207:208], v[114:115]
	s_delay_alu instid0(VALU_DEP_2) | instskip(NEXT) | instid1(VALU_DEP_2)
	v_fma_f64 v[216:217], v[207:208], v[112:113], -v[212:213]
	v_fma_f64 v[114:115], v[209:210], v[112:113], v[114:115]
	s_waitcnt lgkmcnt(0)
	s_delay_alu instid0(VALU_DEP_1) | instskip(SKIP_1) | instid1(VALU_DEP_2)
	v_mul_f64 v[112:113], v[220:221], v[114:115]
	v_mul_f64 v[212:213], v[218:219], v[114:115]
	v_fma_f64 v[112:113], v[218:219], v[216:217], -v[112:113]
	s_delay_alu instid0(VALU_DEP_2)
	v_fma_f64 v[212:213], v[220:221], v[216:217], v[212:213]
	ds_load_2addr_b64 v[218:221], v214 offset0:56 offset1:57
	v_add_f64 v[108:109], v[108:109], -v[112:113]
	v_add_f64 v[110:111], v[110:111], -v[212:213]
	s_waitcnt lgkmcnt(0)
	v_mul_f64 v[112:113], v[220:221], v[114:115]
	v_mul_f64 v[212:213], v[218:219], v[114:115]
	s_delay_alu instid0(VALU_DEP_2) | instskip(NEXT) | instid1(VALU_DEP_2)
	v_fma_f64 v[112:113], v[218:219], v[216:217], -v[112:113]
	v_fma_f64 v[212:213], v[220:221], v[216:217], v[212:213]
	ds_load_2addr_b64 v[218:221], v214 offset0:58 offset1:59
	v_add_f64 v[104:105], v[104:105], -v[112:113]
	v_add_f64 v[106:107], v[106:107], -v[212:213]
	s_waitcnt lgkmcnt(0)
	v_mul_f64 v[112:113], v[220:221], v[114:115]
	v_mul_f64 v[212:213], v[218:219], v[114:115]
	s_delay_alu instid0(VALU_DEP_2) | instskip(NEXT) | instid1(VALU_DEP_2)
	v_fma_f64 v[112:113], v[218:219], v[216:217], -v[112:113]
	;; [unrolled: 9-line block ×27, first 2 shown]
	v_fma_f64 v[212:213], v[220:221], v[216:217], v[212:213]
	s_delay_alu instid0(VALU_DEP_2) | instskip(NEXT) | instid1(VALU_DEP_2)
	v_add_f64 v[0:1], v[0:1], -v[112:113]
	v_add_f64 v[2:3], v[2:3], -v[212:213]
	v_dual_mov_b32 v112, v216 :: v_dual_mov_b32 v113, v217
.LBB109_244:
	s_or_b32 exec_lo, exec_lo, s3
	s_delay_alu instid0(SALU_CYCLE_1)
	s_mov_b32 s4, exec_lo
	s_waitcnt_vscnt null, 0x0
	s_barrier
	buffer_gl0_inv
	v_cmpx_eq_u32_e32 27, v215
	s_cbranch_execz .LBB109_251
; %bb.245:
	ds_store_2addr_b64 v204, v[108:109], v[110:111] offset1:1
	ds_store_2addr_b64 v214, v[104:105], v[106:107] offset0:56 offset1:57
	ds_store_2addr_b64 v214, v[100:101], v[102:103] offset0:58 offset1:59
	;; [unrolled: 1-line block ×27, first 2 shown]
	ds_load_2addr_b64 v[216:219], v204 offset1:1
	s_waitcnt lgkmcnt(0)
	v_cmp_neq_f64_e32 vcc_lo, 0, v[216:217]
	v_cmp_neq_f64_e64 s3, 0, v[218:219]
	s_delay_alu instid0(VALU_DEP_1) | instskip(NEXT) | instid1(SALU_CYCLE_1)
	s_or_b32 s3, vcc_lo, s3
	s_and_b32 exec_lo, exec_lo, s3
	s_cbranch_execz .LBB109_251
; %bb.246:
	v_cmp_gt_f64_e32 vcc_lo, 0, v[216:217]
	v_xor_b32_e32 v208, 0x80000000, v217
	s_delay_alu instid0(VALU_DEP_1) | instskip(SKIP_3) | instid1(VALU_DEP_1)
	v_cndmask_b32_e32 v213, v217, v208, vcc_lo
	v_cndmask_b32_e32 v212, v216, v216, vcc_lo
	v_cmp_gt_f64_e32 vcc_lo, 0, v[218:219]
	v_xor_b32_e32 v208, 0x80000000, v219
	v_dual_cndmask_b32 v220, v218, v218 :: v_dual_cndmask_b32 v221, v219, v208
	s_delay_alu instid0(VALU_DEP_1) | instskip(SKIP_1) | instid1(SALU_CYCLE_1)
	v_cmp_ngt_f64_e32 vcc_lo, v[212:213], v[220:221]
                                        ; implicit-def: $vgpr212_vgpr213
	s_and_saveexec_b32 s3, vcc_lo
	s_xor_b32 s3, exec_lo, s3
                                        ; implicit-def: $vgpr220_vgpr221_vgpr222_vgpr223
	s_cbranch_execz .LBB109_248
; %bb.247:
	v_div_scale_f64 v[212:213], null, v[218:219], v[218:219], v[216:217]
	v_div_scale_f64 v[224:225], vcc_lo, v[216:217], v[218:219], v[216:217]
	s_delay_alu instid0(VALU_DEP_2) | instskip(SKIP_2) | instid1(VALU_DEP_1)
	v_rcp_f64_e32 v[220:221], v[212:213]
	s_waitcnt_depctr 0xfff
	v_fma_f64 v[222:223], -v[212:213], v[220:221], 1.0
	v_fma_f64 v[220:221], v[220:221], v[222:223], v[220:221]
	s_delay_alu instid0(VALU_DEP_1) | instskip(NEXT) | instid1(VALU_DEP_1)
	v_fma_f64 v[222:223], -v[212:213], v[220:221], 1.0
	v_fma_f64 v[220:221], v[220:221], v[222:223], v[220:221]
	s_delay_alu instid0(VALU_DEP_1) | instskip(NEXT) | instid1(VALU_DEP_1)
	v_mul_f64 v[222:223], v[224:225], v[220:221]
	v_fma_f64 v[212:213], -v[212:213], v[222:223], v[224:225]
	s_delay_alu instid0(VALU_DEP_1) | instskip(NEXT) | instid1(VALU_DEP_1)
	v_div_fmas_f64 v[212:213], v[212:213], v[220:221], v[222:223]
	v_div_fixup_f64 v[212:213], v[212:213], v[218:219], v[216:217]
	s_delay_alu instid0(VALU_DEP_1) | instskip(NEXT) | instid1(VALU_DEP_1)
	v_fma_f64 v[216:217], v[216:217], v[212:213], v[218:219]
	v_div_scale_f64 v[218:219], null, v[216:217], v[216:217], 1.0
	s_delay_alu instid0(VALU_DEP_1) | instskip(SKIP_2) | instid1(VALU_DEP_1)
	v_rcp_f64_e32 v[220:221], v[218:219]
	s_waitcnt_depctr 0xfff
	v_fma_f64 v[222:223], -v[218:219], v[220:221], 1.0
	v_fma_f64 v[220:221], v[220:221], v[222:223], v[220:221]
	s_delay_alu instid0(VALU_DEP_1) | instskip(NEXT) | instid1(VALU_DEP_1)
	v_fma_f64 v[222:223], -v[218:219], v[220:221], 1.0
	v_fma_f64 v[220:221], v[220:221], v[222:223], v[220:221]
	v_div_scale_f64 v[222:223], vcc_lo, 1.0, v[216:217], 1.0
	s_delay_alu instid0(VALU_DEP_1) | instskip(NEXT) | instid1(VALU_DEP_1)
	v_mul_f64 v[224:225], v[222:223], v[220:221]
	v_fma_f64 v[218:219], -v[218:219], v[224:225], v[222:223]
	s_delay_alu instid0(VALU_DEP_1) | instskip(NEXT) | instid1(VALU_DEP_1)
	v_div_fmas_f64 v[218:219], v[218:219], v[220:221], v[224:225]
	v_div_fixup_f64 v[222:223], v[218:219], v[216:217], 1.0
                                        ; implicit-def: $vgpr216_vgpr217
	s_delay_alu instid0(VALU_DEP_1)
	v_mul_f64 v[212:213], v[212:213], v[222:223]
	v_xor_b32_e32 v223, 0x80000000, v223
.LBB109_248:
	s_and_not1_saveexec_b32 s3, s3
	s_cbranch_execz .LBB109_250
; %bb.249:
	v_div_scale_f64 v[212:213], null, v[216:217], v[216:217], v[218:219]
	v_div_scale_f64 v[224:225], vcc_lo, v[218:219], v[216:217], v[218:219]
	s_delay_alu instid0(VALU_DEP_2) | instskip(SKIP_2) | instid1(VALU_DEP_1)
	v_rcp_f64_e32 v[220:221], v[212:213]
	s_waitcnt_depctr 0xfff
	v_fma_f64 v[222:223], -v[212:213], v[220:221], 1.0
	v_fma_f64 v[220:221], v[220:221], v[222:223], v[220:221]
	s_delay_alu instid0(VALU_DEP_1) | instskip(NEXT) | instid1(VALU_DEP_1)
	v_fma_f64 v[222:223], -v[212:213], v[220:221], 1.0
	v_fma_f64 v[220:221], v[220:221], v[222:223], v[220:221]
	s_delay_alu instid0(VALU_DEP_1) | instskip(NEXT) | instid1(VALU_DEP_1)
	v_mul_f64 v[222:223], v[224:225], v[220:221]
	v_fma_f64 v[212:213], -v[212:213], v[222:223], v[224:225]
	s_delay_alu instid0(VALU_DEP_1) | instskip(NEXT) | instid1(VALU_DEP_1)
	v_div_fmas_f64 v[212:213], v[212:213], v[220:221], v[222:223]
	v_div_fixup_f64 v[220:221], v[212:213], v[216:217], v[218:219]
	s_delay_alu instid0(VALU_DEP_1) | instskip(NEXT) | instid1(VALU_DEP_1)
	v_fma_f64 v[212:213], v[218:219], v[220:221], v[216:217]
	v_div_scale_f64 v[216:217], null, v[212:213], v[212:213], 1.0
	s_delay_alu instid0(VALU_DEP_1) | instskip(SKIP_2) | instid1(VALU_DEP_1)
	v_rcp_f64_e32 v[218:219], v[216:217]
	s_waitcnt_depctr 0xfff
	v_fma_f64 v[222:223], -v[216:217], v[218:219], 1.0
	v_fma_f64 v[218:219], v[218:219], v[222:223], v[218:219]
	s_delay_alu instid0(VALU_DEP_1) | instskip(NEXT) | instid1(VALU_DEP_1)
	v_fma_f64 v[222:223], -v[216:217], v[218:219], 1.0
	v_fma_f64 v[218:219], v[218:219], v[222:223], v[218:219]
	v_div_scale_f64 v[222:223], vcc_lo, 1.0, v[212:213], 1.0
	s_delay_alu instid0(VALU_DEP_1) | instskip(NEXT) | instid1(VALU_DEP_1)
	v_mul_f64 v[224:225], v[222:223], v[218:219]
	v_fma_f64 v[216:217], -v[216:217], v[224:225], v[222:223]
	s_delay_alu instid0(VALU_DEP_1) | instskip(NEXT) | instid1(VALU_DEP_1)
	v_div_fmas_f64 v[216:217], v[216:217], v[218:219], v[224:225]
	v_div_fixup_f64 v[212:213], v[216:217], v[212:213], 1.0
	s_delay_alu instid0(VALU_DEP_1)
	v_mul_f64 v[222:223], v[220:221], -v[212:213]
.LBB109_250:
	s_or_b32 exec_lo, exec_lo, s3
	ds_store_2addr_b64 v204, v[212:213], v[222:223] offset1:1
.LBB109_251:
	s_or_b32 exec_lo, exec_lo, s4
	s_waitcnt lgkmcnt(0)
	s_barrier
	buffer_gl0_inv
	ds_load_2addr_b64 v[207:210], v204 offset1:1
	s_mov_b32 s3, exec_lo
	s_waitcnt lgkmcnt(0)
	scratch_store_b128 off, v[207:210], off offset:928 ; 16-byte Folded Spill
	v_cmpx_lt_u32_e32 27, v215
	s_cbranch_execz .LBB109_253
; %bb.252:
	scratch_load_b128 v[207:210], off, off offset:928 ; 16-byte Folded Reload
	ds_load_2addr_b64 v[218:221], v214 offset0:56 offset1:57
	s_waitcnt vmcnt(0)
	v_mul_f64 v[212:213], v[209:210], v[110:111]
	v_mul_f64 v[110:111], v[207:208], v[110:111]
	s_delay_alu instid0(VALU_DEP_2) | instskip(NEXT) | instid1(VALU_DEP_2)
	v_fma_f64 v[216:217], v[207:208], v[108:109], -v[212:213]
	v_fma_f64 v[110:111], v[209:210], v[108:109], v[110:111]
	s_waitcnt lgkmcnt(0)
	s_delay_alu instid0(VALU_DEP_1) | instskip(SKIP_1) | instid1(VALU_DEP_2)
	v_mul_f64 v[108:109], v[220:221], v[110:111]
	v_mul_f64 v[212:213], v[218:219], v[110:111]
	v_fma_f64 v[108:109], v[218:219], v[216:217], -v[108:109]
	s_delay_alu instid0(VALU_DEP_2)
	v_fma_f64 v[212:213], v[220:221], v[216:217], v[212:213]
	ds_load_2addr_b64 v[218:221], v214 offset0:58 offset1:59
	v_add_f64 v[104:105], v[104:105], -v[108:109]
	v_add_f64 v[106:107], v[106:107], -v[212:213]
	s_waitcnt lgkmcnt(0)
	v_mul_f64 v[108:109], v[220:221], v[110:111]
	v_mul_f64 v[212:213], v[218:219], v[110:111]
	s_delay_alu instid0(VALU_DEP_2) | instskip(NEXT) | instid1(VALU_DEP_2)
	v_fma_f64 v[108:109], v[218:219], v[216:217], -v[108:109]
	v_fma_f64 v[212:213], v[220:221], v[216:217], v[212:213]
	ds_load_2addr_b64 v[218:221], v214 offset0:60 offset1:61
	v_add_f64 v[100:101], v[100:101], -v[108:109]
	v_add_f64 v[102:103], v[102:103], -v[212:213]
	s_waitcnt lgkmcnt(0)
	v_mul_f64 v[108:109], v[220:221], v[110:111]
	v_mul_f64 v[212:213], v[218:219], v[110:111]
	s_delay_alu instid0(VALU_DEP_2) | instskip(NEXT) | instid1(VALU_DEP_2)
	v_fma_f64 v[108:109], v[218:219], v[216:217], -v[108:109]
	;; [unrolled: 9-line block ×26, first 2 shown]
	v_fma_f64 v[212:213], v[220:221], v[216:217], v[212:213]
	s_delay_alu instid0(VALU_DEP_2) | instskip(NEXT) | instid1(VALU_DEP_2)
	v_add_f64 v[0:1], v[0:1], -v[108:109]
	v_add_f64 v[2:3], v[2:3], -v[212:213]
	v_dual_mov_b32 v108, v216 :: v_dual_mov_b32 v109, v217
.LBB109_253:
	s_or_b32 exec_lo, exec_lo, s3
	s_delay_alu instid0(SALU_CYCLE_1)
	s_mov_b32 s4, exec_lo
	s_waitcnt_vscnt null, 0x0
	s_barrier
	buffer_gl0_inv
	v_cmpx_eq_u32_e32 28, v215
	s_cbranch_execz .LBB109_260
; %bb.254:
	ds_store_2addr_b64 v204, v[104:105], v[106:107] offset1:1
	ds_store_2addr_b64 v214, v[100:101], v[102:103] offset0:58 offset1:59
	ds_store_2addr_b64 v214, v[96:97], v[98:99] offset0:60 offset1:61
	;; [unrolled: 1-line block ×26, first 2 shown]
	ds_load_2addr_b64 v[216:219], v204 offset1:1
	s_waitcnt lgkmcnt(0)
	v_cmp_neq_f64_e32 vcc_lo, 0, v[216:217]
	v_cmp_neq_f64_e64 s3, 0, v[218:219]
	s_delay_alu instid0(VALU_DEP_1) | instskip(NEXT) | instid1(SALU_CYCLE_1)
	s_or_b32 s3, vcc_lo, s3
	s_and_b32 exec_lo, exec_lo, s3
	s_cbranch_execz .LBB109_260
; %bb.255:
	v_cmp_gt_f64_e32 vcc_lo, 0, v[216:217]
	v_xor_b32_e32 v208, 0x80000000, v217
	s_delay_alu instid0(VALU_DEP_1) | instskip(SKIP_3) | instid1(VALU_DEP_1)
	v_cndmask_b32_e32 v213, v217, v208, vcc_lo
	v_cndmask_b32_e32 v212, v216, v216, vcc_lo
	v_cmp_gt_f64_e32 vcc_lo, 0, v[218:219]
	v_xor_b32_e32 v208, 0x80000000, v219
	v_dual_cndmask_b32 v220, v218, v218 :: v_dual_cndmask_b32 v221, v219, v208
	s_delay_alu instid0(VALU_DEP_1) | instskip(SKIP_1) | instid1(SALU_CYCLE_1)
	v_cmp_ngt_f64_e32 vcc_lo, v[212:213], v[220:221]
                                        ; implicit-def: $vgpr212_vgpr213
	s_and_saveexec_b32 s3, vcc_lo
	s_xor_b32 s3, exec_lo, s3
                                        ; implicit-def: $vgpr220_vgpr221_vgpr222_vgpr223
	s_cbranch_execz .LBB109_257
; %bb.256:
	v_div_scale_f64 v[212:213], null, v[218:219], v[218:219], v[216:217]
	v_div_scale_f64 v[224:225], vcc_lo, v[216:217], v[218:219], v[216:217]
	s_delay_alu instid0(VALU_DEP_2) | instskip(SKIP_2) | instid1(VALU_DEP_1)
	v_rcp_f64_e32 v[220:221], v[212:213]
	s_waitcnt_depctr 0xfff
	v_fma_f64 v[222:223], -v[212:213], v[220:221], 1.0
	v_fma_f64 v[220:221], v[220:221], v[222:223], v[220:221]
	s_delay_alu instid0(VALU_DEP_1) | instskip(NEXT) | instid1(VALU_DEP_1)
	v_fma_f64 v[222:223], -v[212:213], v[220:221], 1.0
	v_fma_f64 v[220:221], v[220:221], v[222:223], v[220:221]
	s_delay_alu instid0(VALU_DEP_1) | instskip(NEXT) | instid1(VALU_DEP_1)
	v_mul_f64 v[222:223], v[224:225], v[220:221]
	v_fma_f64 v[212:213], -v[212:213], v[222:223], v[224:225]
	s_delay_alu instid0(VALU_DEP_1) | instskip(NEXT) | instid1(VALU_DEP_1)
	v_div_fmas_f64 v[212:213], v[212:213], v[220:221], v[222:223]
	v_div_fixup_f64 v[212:213], v[212:213], v[218:219], v[216:217]
	s_delay_alu instid0(VALU_DEP_1) | instskip(NEXT) | instid1(VALU_DEP_1)
	v_fma_f64 v[216:217], v[216:217], v[212:213], v[218:219]
	v_div_scale_f64 v[218:219], null, v[216:217], v[216:217], 1.0
	s_delay_alu instid0(VALU_DEP_1) | instskip(SKIP_2) | instid1(VALU_DEP_1)
	v_rcp_f64_e32 v[220:221], v[218:219]
	s_waitcnt_depctr 0xfff
	v_fma_f64 v[222:223], -v[218:219], v[220:221], 1.0
	v_fma_f64 v[220:221], v[220:221], v[222:223], v[220:221]
	s_delay_alu instid0(VALU_DEP_1) | instskip(NEXT) | instid1(VALU_DEP_1)
	v_fma_f64 v[222:223], -v[218:219], v[220:221], 1.0
	v_fma_f64 v[220:221], v[220:221], v[222:223], v[220:221]
	v_div_scale_f64 v[222:223], vcc_lo, 1.0, v[216:217], 1.0
	s_delay_alu instid0(VALU_DEP_1) | instskip(NEXT) | instid1(VALU_DEP_1)
	v_mul_f64 v[224:225], v[222:223], v[220:221]
	v_fma_f64 v[218:219], -v[218:219], v[224:225], v[222:223]
	s_delay_alu instid0(VALU_DEP_1) | instskip(NEXT) | instid1(VALU_DEP_1)
	v_div_fmas_f64 v[218:219], v[218:219], v[220:221], v[224:225]
	v_div_fixup_f64 v[222:223], v[218:219], v[216:217], 1.0
                                        ; implicit-def: $vgpr216_vgpr217
	s_delay_alu instid0(VALU_DEP_1)
	v_mul_f64 v[212:213], v[212:213], v[222:223]
	v_xor_b32_e32 v223, 0x80000000, v223
.LBB109_257:
	s_and_not1_saveexec_b32 s3, s3
	s_cbranch_execz .LBB109_259
; %bb.258:
	v_div_scale_f64 v[212:213], null, v[216:217], v[216:217], v[218:219]
	v_div_scale_f64 v[224:225], vcc_lo, v[218:219], v[216:217], v[218:219]
	s_delay_alu instid0(VALU_DEP_2) | instskip(SKIP_2) | instid1(VALU_DEP_1)
	v_rcp_f64_e32 v[220:221], v[212:213]
	s_waitcnt_depctr 0xfff
	v_fma_f64 v[222:223], -v[212:213], v[220:221], 1.0
	v_fma_f64 v[220:221], v[220:221], v[222:223], v[220:221]
	s_delay_alu instid0(VALU_DEP_1) | instskip(NEXT) | instid1(VALU_DEP_1)
	v_fma_f64 v[222:223], -v[212:213], v[220:221], 1.0
	v_fma_f64 v[220:221], v[220:221], v[222:223], v[220:221]
	s_delay_alu instid0(VALU_DEP_1) | instskip(NEXT) | instid1(VALU_DEP_1)
	v_mul_f64 v[222:223], v[224:225], v[220:221]
	v_fma_f64 v[212:213], -v[212:213], v[222:223], v[224:225]
	s_delay_alu instid0(VALU_DEP_1) | instskip(NEXT) | instid1(VALU_DEP_1)
	v_div_fmas_f64 v[212:213], v[212:213], v[220:221], v[222:223]
	v_div_fixup_f64 v[220:221], v[212:213], v[216:217], v[218:219]
	s_delay_alu instid0(VALU_DEP_1) | instskip(NEXT) | instid1(VALU_DEP_1)
	v_fma_f64 v[212:213], v[218:219], v[220:221], v[216:217]
	v_div_scale_f64 v[216:217], null, v[212:213], v[212:213], 1.0
	s_delay_alu instid0(VALU_DEP_1) | instskip(SKIP_2) | instid1(VALU_DEP_1)
	v_rcp_f64_e32 v[218:219], v[216:217]
	s_waitcnt_depctr 0xfff
	v_fma_f64 v[222:223], -v[216:217], v[218:219], 1.0
	v_fma_f64 v[218:219], v[218:219], v[222:223], v[218:219]
	s_delay_alu instid0(VALU_DEP_1) | instskip(NEXT) | instid1(VALU_DEP_1)
	v_fma_f64 v[222:223], -v[216:217], v[218:219], 1.0
	v_fma_f64 v[218:219], v[218:219], v[222:223], v[218:219]
	v_div_scale_f64 v[222:223], vcc_lo, 1.0, v[212:213], 1.0
	s_delay_alu instid0(VALU_DEP_1) | instskip(NEXT) | instid1(VALU_DEP_1)
	v_mul_f64 v[224:225], v[222:223], v[218:219]
	v_fma_f64 v[216:217], -v[216:217], v[224:225], v[222:223]
	s_delay_alu instid0(VALU_DEP_1) | instskip(NEXT) | instid1(VALU_DEP_1)
	v_div_fmas_f64 v[216:217], v[216:217], v[218:219], v[224:225]
	v_div_fixup_f64 v[212:213], v[216:217], v[212:213], 1.0
	s_delay_alu instid0(VALU_DEP_1)
	v_mul_f64 v[222:223], v[220:221], -v[212:213]
.LBB109_259:
	s_or_b32 exec_lo, exec_lo, s3
	ds_store_2addr_b64 v204, v[212:213], v[222:223] offset1:1
.LBB109_260:
	s_or_b32 exec_lo, exec_lo, s4
	s_waitcnt lgkmcnt(0)
	s_barrier
	buffer_gl0_inv
	ds_load_2addr_b64 v[207:210], v204 offset1:1
	s_mov_b32 s3, exec_lo
	s_waitcnt lgkmcnt(0)
	scratch_store_b128 off, v[207:210], off offset:944 ; 16-byte Folded Spill
	v_cmpx_lt_u32_e32 28, v215
	s_cbranch_execz .LBB109_262
; %bb.261:
	scratch_load_b128 v[207:210], off, off offset:944 ; 16-byte Folded Reload
	ds_load_2addr_b64 v[218:221], v214 offset0:58 offset1:59
	s_waitcnt vmcnt(0)
	v_mul_f64 v[212:213], v[209:210], v[106:107]
	v_mul_f64 v[106:107], v[207:208], v[106:107]
	s_delay_alu instid0(VALU_DEP_2) | instskip(NEXT) | instid1(VALU_DEP_2)
	v_fma_f64 v[216:217], v[207:208], v[104:105], -v[212:213]
	v_fma_f64 v[106:107], v[209:210], v[104:105], v[106:107]
	s_waitcnt lgkmcnt(0)
	s_delay_alu instid0(VALU_DEP_1) | instskip(SKIP_1) | instid1(VALU_DEP_2)
	v_mul_f64 v[104:105], v[220:221], v[106:107]
	v_mul_f64 v[212:213], v[218:219], v[106:107]
	v_fma_f64 v[104:105], v[218:219], v[216:217], -v[104:105]
	s_delay_alu instid0(VALU_DEP_2)
	v_fma_f64 v[212:213], v[220:221], v[216:217], v[212:213]
	ds_load_2addr_b64 v[218:221], v214 offset0:60 offset1:61
	v_add_f64 v[100:101], v[100:101], -v[104:105]
	v_add_f64 v[102:103], v[102:103], -v[212:213]
	s_waitcnt lgkmcnt(0)
	v_mul_f64 v[104:105], v[220:221], v[106:107]
	v_mul_f64 v[212:213], v[218:219], v[106:107]
	s_delay_alu instid0(VALU_DEP_2) | instskip(NEXT) | instid1(VALU_DEP_2)
	v_fma_f64 v[104:105], v[218:219], v[216:217], -v[104:105]
	v_fma_f64 v[212:213], v[220:221], v[216:217], v[212:213]
	ds_load_2addr_b64 v[218:221], v214 offset0:62 offset1:63
	v_add_f64 v[96:97], v[96:97], -v[104:105]
	v_add_f64 v[98:99], v[98:99], -v[212:213]
	s_waitcnt lgkmcnt(0)
	v_mul_f64 v[104:105], v[220:221], v[106:107]
	v_mul_f64 v[212:213], v[218:219], v[106:107]
	s_delay_alu instid0(VALU_DEP_2) | instskip(NEXT) | instid1(VALU_DEP_2)
	v_fma_f64 v[104:105], v[218:219], v[216:217], -v[104:105]
	;; [unrolled: 9-line block ×25, first 2 shown]
	v_fma_f64 v[212:213], v[220:221], v[216:217], v[212:213]
	s_delay_alu instid0(VALU_DEP_2) | instskip(NEXT) | instid1(VALU_DEP_2)
	v_add_f64 v[0:1], v[0:1], -v[104:105]
	v_add_f64 v[2:3], v[2:3], -v[212:213]
	v_dual_mov_b32 v104, v216 :: v_dual_mov_b32 v105, v217
.LBB109_262:
	s_or_b32 exec_lo, exec_lo, s3
	s_delay_alu instid0(SALU_CYCLE_1)
	s_mov_b32 s4, exec_lo
	s_waitcnt_vscnt null, 0x0
	s_barrier
	buffer_gl0_inv
	v_cmpx_eq_u32_e32 29, v215
	s_cbranch_execz .LBB109_269
; %bb.263:
	ds_store_2addr_b64 v204, v[100:101], v[102:103] offset1:1
	ds_store_2addr_b64 v214, v[96:97], v[98:99] offset0:60 offset1:61
	ds_store_2addr_b64 v214, v[92:93], v[94:95] offset0:62 offset1:63
	;; [unrolled: 1-line block ×25, first 2 shown]
	ds_load_2addr_b64 v[216:219], v204 offset1:1
	s_waitcnt lgkmcnt(0)
	v_cmp_neq_f64_e32 vcc_lo, 0, v[216:217]
	v_cmp_neq_f64_e64 s3, 0, v[218:219]
	s_delay_alu instid0(VALU_DEP_1) | instskip(NEXT) | instid1(SALU_CYCLE_1)
	s_or_b32 s3, vcc_lo, s3
	s_and_b32 exec_lo, exec_lo, s3
	s_cbranch_execz .LBB109_269
; %bb.264:
	v_cmp_gt_f64_e32 vcc_lo, 0, v[216:217]
	v_xor_b32_e32 v208, 0x80000000, v217
	s_delay_alu instid0(VALU_DEP_1) | instskip(SKIP_3) | instid1(VALU_DEP_1)
	v_cndmask_b32_e32 v213, v217, v208, vcc_lo
	v_cndmask_b32_e32 v212, v216, v216, vcc_lo
	v_cmp_gt_f64_e32 vcc_lo, 0, v[218:219]
	v_xor_b32_e32 v208, 0x80000000, v219
	v_dual_cndmask_b32 v220, v218, v218 :: v_dual_cndmask_b32 v221, v219, v208
	s_delay_alu instid0(VALU_DEP_1) | instskip(SKIP_1) | instid1(SALU_CYCLE_1)
	v_cmp_ngt_f64_e32 vcc_lo, v[212:213], v[220:221]
                                        ; implicit-def: $vgpr212_vgpr213
	s_and_saveexec_b32 s3, vcc_lo
	s_xor_b32 s3, exec_lo, s3
                                        ; implicit-def: $vgpr220_vgpr221_vgpr222_vgpr223
	s_cbranch_execz .LBB109_266
; %bb.265:
	v_div_scale_f64 v[212:213], null, v[218:219], v[218:219], v[216:217]
	v_div_scale_f64 v[224:225], vcc_lo, v[216:217], v[218:219], v[216:217]
	s_delay_alu instid0(VALU_DEP_2) | instskip(SKIP_2) | instid1(VALU_DEP_1)
	v_rcp_f64_e32 v[220:221], v[212:213]
	s_waitcnt_depctr 0xfff
	v_fma_f64 v[222:223], -v[212:213], v[220:221], 1.0
	v_fma_f64 v[220:221], v[220:221], v[222:223], v[220:221]
	s_delay_alu instid0(VALU_DEP_1) | instskip(NEXT) | instid1(VALU_DEP_1)
	v_fma_f64 v[222:223], -v[212:213], v[220:221], 1.0
	v_fma_f64 v[220:221], v[220:221], v[222:223], v[220:221]
	s_delay_alu instid0(VALU_DEP_1) | instskip(NEXT) | instid1(VALU_DEP_1)
	v_mul_f64 v[222:223], v[224:225], v[220:221]
	v_fma_f64 v[212:213], -v[212:213], v[222:223], v[224:225]
	s_delay_alu instid0(VALU_DEP_1) | instskip(NEXT) | instid1(VALU_DEP_1)
	v_div_fmas_f64 v[212:213], v[212:213], v[220:221], v[222:223]
	v_div_fixup_f64 v[212:213], v[212:213], v[218:219], v[216:217]
	s_delay_alu instid0(VALU_DEP_1) | instskip(NEXT) | instid1(VALU_DEP_1)
	v_fma_f64 v[216:217], v[216:217], v[212:213], v[218:219]
	v_div_scale_f64 v[218:219], null, v[216:217], v[216:217], 1.0
	s_delay_alu instid0(VALU_DEP_1) | instskip(SKIP_2) | instid1(VALU_DEP_1)
	v_rcp_f64_e32 v[220:221], v[218:219]
	s_waitcnt_depctr 0xfff
	v_fma_f64 v[222:223], -v[218:219], v[220:221], 1.0
	v_fma_f64 v[220:221], v[220:221], v[222:223], v[220:221]
	s_delay_alu instid0(VALU_DEP_1) | instskip(NEXT) | instid1(VALU_DEP_1)
	v_fma_f64 v[222:223], -v[218:219], v[220:221], 1.0
	v_fma_f64 v[220:221], v[220:221], v[222:223], v[220:221]
	v_div_scale_f64 v[222:223], vcc_lo, 1.0, v[216:217], 1.0
	s_delay_alu instid0(VALU_DEP_1) | instskip(NEXT) | instid1(VALU_DEP_1)
	v_mul_f64 v[224:225], v[222:223], v[220:221]
	v_fma_f64 v[218:219], -v[218:219], v[224:225], v[222:223]
	s_delay_alu instid0(VALU_DEP_1) | instskip(NEXT) | instid1(VALU_DEP_1)
	v_div_fmas_f64 v[218:219], v[218:219], v[220:221], v[224:225]
	v_div_fixup_f64 v[222:223], v[218:219], v[216:217], 1.0
                                        ; implicit-def: $vgpr216_vgpr217
	s_delay_alu instid0(VALU_DEP_1)
	v_mul_f64 v[212:213], v[212:213], v[222:223]
	v_xor_b32_e32 v223, 0x80000000, v223
.LBB109_266:
	s_and_not1_saveexec_b32 s3, s3
	s_cbranch_execz .LBB109_268
; %bb.267:
	v_div_scale_f64 v[212:213], null, v[216:217], v[216:217], v[218:219]
	v_div_scale_f64 v[224:225], vcc_lo, v[218:219], v[216:217], v[218:219]
	s_delay_alu instid0(VALU_DEP_2) | instskip(SKIP_2) | instid1(VALU_DEP_1)
	v_rcp_f64_e32 v[220:221], v[212:213]
	s_waitcnt_depctr 0xfff
	v_fma_f64 v[222:223], -v[212:213], v[220:221], 1.0
	v_fma_f64 v[220:221], v[220:221], v[222:223], v[220:221]
	s_delay_alu instid0(VALU_DEP_1) | instskip(NEXT) | instid1(VALU_DEP_1)
	v_fma_f64 v[222:223], -v[212:213], v[220:221], 1.0
	v_fma_f64 v[220:221], v[220:221], v[222:223], v[220:221]
	s_delay_alu instid0(VALU_DEP_1) | instskip(NEXT) | instid1(VALU_DEP_1)
	v_mul_f64 v[222:223], v[224:225], v[220:221]
	v_fma_f64 v[212:213], -v[212:213], v[222:223], v[224:225]
	s_delay_alu instid0(VALU_DEP_1) | instskip(NEXT) | instid1(VALU_DEP_1)
	v_div_fmas_f64 v[212:213], v[212:213], v[220:221], v[222:223]
	v_div_fixup_f64 v[220:221], v[212:213], v[216:217], v[218:219]
	s_delay_alu instid0(VALU_DEP_1) | instskip(NEXT) | instid1(VALU_DEP_1)
	v_fma_f64 v[212:213], v[218:219], v[220:221], v[216:217]
	v_div_scale_f64 v[216:217], null, v[212:213], v[212:213], 1.0
	s_delay_alu instid0(VALU_DEP_1) | instskip(SKIP_2) | instid1(VALU_DEP_1)
	v_rcp_f64_e32 v[218:219], v[216:217]
	s_waitcnt_depctr 0xfff
	v_fma_f64 v[222:223], -v[216:217], v[218:219], 1.0
	v_fma_f64 v[218:219], v[218:219], v[222:223], v[218:219]
	s_delay_alu instid0(VALU_DEP_1) | instskip(NEXT) | instid1(VALU_DEP_1)
	v_fma_f64 v[222:223], -v[216:217], v[218:219], 1.0
	v_fma_f64 v[218:219], v[218:219], v[222:223], v[218:219]
	v_div_scale_f64 v[222:223], vcc_lo, 1.0, v[212:213], 1.0
	s_delay_alu instid0(VALU_DEP_1) | instskip(NEXT) | instid1(VALU_DEP_1)
	v_mul_f64 v[224:225], v[222:223], v[218:219]
	v_fma_f64 v[216:217], -v[216:217], v[224:225], v[222:223]
	s_delay_alu instid0(VALU_DEP_1) | instskip(NEXT) | instid1(VALU_DEP_1)
	v_div_fmas_f64 v[216:217], v[216:217], v[218:219], v[224:225]
	v_div_fixup_f64 v[212:213], v[216:217], v[212:213], 1.0
	s_delay_alu instid0(VALU_DEP_1)
	v_mul_f64 v[222:223], v[220:221], -v[212:213]
.LBB109_268:
	s_or_b32 exec_lo, exec_lo, s3
	ds_store_2addr_b64 v204, v[212:213], v[222:223] offset1:1
.LBB109_269:
	s_or_b32 exec_lo, exec_lo, s4
	s_waitcnt lgkmcnt(0)
	s_barrier
	buffer_gl0_inv
	ds_load_2addr_b64 v[207:210], v204 offset1:1
	s_mov_b32 s3, exec_lo
	s_waitcnt lgkmcnt(0)
	scratch_store_b128 off, v[207:210], off offset:960 ; 16-byte Folded Spill
	v_cmpx_lt_u32_e32 29, v215
	s_cbranch_execz .LBB109_271
; %bb.270:
	scratch_load_b128 v[207:210], off, off offset:960 ; 16-byte Folded Reload
	ds_load_2addr_b64 v[218:221], v214 offset0:60 offset1:61
	s_waitcnt vmcnt(0)
	v_mul_f64 v[212:213], v[209:210], v[102:103]
	v_mul_f64 v[102:103], v[207:208], v[102:103]
	s_delay_alu instid0(VALU_DEP_2) | instskip(NEXT) | instid1(VALU_DEP_2)
	v_fma_f64 v[216:217], v[207:208], v[100:101], -v[212:213]
	v_fma_f64 v[102:103], v[209:210], v[100:101], v[102:103]
	s_waitcnt lgkmcnt(0)
	s_delay_alu instid0(VALU_DEP_1) | instskip(SKIP_1) | instid1(VALU_DEP_2)
	v_mul_f64 v[100:101], v[220:221], v[102:103]
	v_mul_f64 v[212:213], v[218:219], v[102:103]
	v_fma_f64 v[100:101], v[218:219], v[216:217], -v[100:101]
	s_delay_alu instid0(VALU_DEP_2)
	v_fma_f64 v[212:213], v[220:221], v[216:217], v[212:213]
	ds_load_2addr_b64 v[218:221], v214 offset0:62 offset1:63
	v_add_f64 v[96:97], v[96:97], -v[100:101]
	v_add_f64 v[98:99], v[98:99], -v[212:213]
	s_waitcnt lgkmcnt(0)
	v_mul_f64 v[100:101], v[220:221], v[102:103]
	v_mul_f64 v[212:213], v[218:219], v[102:103]
	s_delay_alu instid0(VALU_DEP_2) | instskip(NEXT) | instid1(VALU_DEP_2)
	v_fma_f64 v[100:101], v[218:219], v[216:217], -v[100:101]
	v_fma_f64 v[212:213], v[220:221], v[216:217], v[212:213]
	ds_load_2addr_b64 v[218:221], v214 offset0:64 offset1:65
	v_add_f64 v[92:93], v[92:93], -v[100:101]
	v_add_f64 v[94:95], v[94:95], -v[212:213]
	s_waitcnt lgkmcnt(0)
	v_mul_f64 v[100:101], v[220:221], v[102:103]
	v_mul_f64 v[212:213], v[218:219], v[102:103]
	s_delay_alu instid0(VALU_DEP_2) | instskip(NEXT) | instid1(VALU_DEP_2)
	v_fma_f64 v[100:101], v[218:219], v[216:217], -v[100:101]
	;; [unrolled: 9-line block ×24, first 2 shown]
	v_fma_f64 v[212:213], v[220:221], v[216:217], v[212:213]
	s_delay_alu instid0(VALU_DEP_2) | instskip(NEXT) | instid1(VALU_DEP_2)
	v_add_f64 v[0:1], v[0:1], -v[100:101]
	v_add_f64 v[2:3], v[2:3], -v[212:213]
	v_dual_mov_b32 v100, v216 :: v_dual_mov_b32 v101, v217
.LBB109_271:
	s_or_b32 exec_lo, exec_lo, s3
	s_delay_alu instid0(SALU_CYCLE_1)
	s_mov_b32 s4, exec_lo
	s_waitcnt_vscnt null, 0x0
	s_barrier
	buffer_gl0_inv
	v_cmpx_eq_u32_e32 30, v215
	s_cbranch_execz .LBB109_278
; %bb.272:
	ds_store_2addr_b64 v204, v[96:97], v[98:99] offset1:1
	ds_store_2addr_b64 v214, v[92:93], v[94:95] offset0:62 offset1:63
	ds_store_2addr_b64 v214, v[88:89], v[90:91] offset0:64 offset1:65
	;; [unrolled: 1-line block ×24, first 2 shown]
	ds_load_2addr_b64 v[216:219], v204 offset1:1
	s_waitcnt lgkmcnt(0)
	v_cmp_neq_f64_e32 vcc_lo, 0, v[216:217]
	v_cmp_neq_f64_e64 s3, 0, v[218:219]
	s_delay_alu instid0(VALU_DEP_1) | instskip(NEXT) | instid1(SALU_CYCLE_1)
	s_or_b32 s3, vcc_lo, s3
	s_and_b32 exec_lo, exec_lo, s3
	s_cbranch_execz .LBB109_278
; %bb.273:
	v_cmp_gt_f64_e32 vcc_lo, 0, v[216:217]
	v_xor_b32_e32 v208, 0x80000000, v217
	s_delay_alu instid0(VALU_DEP_1) | instskip(SKIP_3) | instid1(VALU_DEP_1)
	v_cndmask_b32_e32 v213, v217, v208, vcc_lo
	v_cndmask_b32_e32 v212, v216, v216, vcc_lo
	v_cmp_gt_f64_e32 vcc_lo, 0, v[218:219]
	v_xor_b32_e32 v208, 0x80000000, v219
	v_dual_cndmask_b32 v220, v218, v218 :: v_dual_cndmask_b32 v221, v219, v208
	s_delay_alu instid0(VALU_DEP_1) | instskip(SKIP_1) | instid1(SALU_CYCLE_1)
	v_cmp_ngt_f64_e32 vcc_lo, v[212:213], v[220:221]
                                        ; implicit-def: $vgpr212_vgpr213
	s_and_saveexec_b32 s3, vcc_lo
	s_xor_b32 s3, exec_lo, s3
                                        ; implicit-def: $vgpr220_vgpr221_vgpr222_vgpr223
	s_cbranch_execz .LBB109_275
; %bb.274:
	v_div_scale_f64 v[212:213], null, v[218:219], v[218:219], v[216:217]
	v_div_scale_f64 v[224:225], vcc_lo, v[216:217], v[218:219], v[216:217]
	s_delay_alu instid0(VALU_DEP_2) | instskip(SKIP_2) | instid1(VALU_DEP_1)
	v_rcp_f64_e32 v[220:221], v[212:213]
	s_waitcnt_depctr 0xfff
	v_fma_f64 v[222:223], -v[212:213], v[220:221], 1.0
	v_fma_f64 v[220:221], v[220:221], v[222:223], v[220:221]
	s_delay_alu instid0(VALU_DEP_1) | instskip(NEXT) | instid1(VALU_DEP_1)
	v_fma_f64 v[222:223], -v[212:213], v[220:221], 1.0
	v_fma_f64 v[220:221], v[220:221], v[222:223], v[220:221]
	s_delay_alu instid0(VALU_DEP_1) | instskip(NEXT) | instid1(VALU_DEP_1)
	v_mul_f64 v[222:223], v[224:225], v[220:221]
	v_fma_f64 v[212:213], -v[212:213], v[222:223], v[224:225]
	s_delay_alu instid0(VALU_DEP_1) | instskip(NEXT) | instid1(VALU_DEP_1)
	v_div_fmas_f64 v[212:213], v[212:213], v[220:221], v[222:223]
	v_div_fixup_f64 v[212:213], v[212:213], v[218:219], v[216:217]
	s_delay_alu instid0(VALU_DEP_1) | instskip(NEXT) | instid1(VALU_DEP_1)
	v_fma_f64 v[216:217], v[216:217], v[212:213], v[218:219]
	v_div_scale_f64 v[218:219], null, v[216:217], v[216:217], 1.0
	s_delay_alu instid0(VALU_DEP_1) | instskip(SKIP_2) | instid1(VALU_DEP_1)
	v_rcp_f64_e32 v[220:221], v[218:219]
	s_waitcnt_depctr 0xfff
	v_fma_f64 v[222:223], -v[218:219], v[220:221], 1.0
	v_fma_f64 v[220:221], v[220:221], v[222:223], v[220:221]
	s_delay_alu instid0(VALU_DEP_1) | instskip(NEXT) | instid1(VALU_DEP_1)
	v_fma_f64 v[222:223], -v[218:219], v[220:221], 1.0
	v_fma_f64 v[220:221], v[220:221], v[222:223], v[220:221]
	v_div_scale_f64 v[222:223], vcc_lo, 1.0, v[216:217], 1.0
	s_delay_alu instid0(VALU_DEP_1) | instskip(NEXT) | instid1(VALU_DEP_1)
	v_mul_f64 v[224:225], v[222:223], v[220:221]
	v_fma_f64 v[218:219], -v[218:219], v[224:225], v[222:223]
	s_delay_alu instid0(VALU_DEP_1) | instskip(NEXT) | instid1(VALU_DEP_1)
	v_div_fmas_f64 v[218:219], v[218:219], v[220:221], v[224:225]
	v_div_fixup_f64 v[222:223], v[218:219], v[216:217], 1.0
                                        ; implicit-def: $vgpr216_vgpr217
	s_delay_alu instid0(VALU_DEP_1)
	v_mul_f64 v[212:213], v[212:213], v[222:223]
	v_xor_b32_e32 v223, 0x80000000, v223
.LBB109_275:
	s_and_not1_saveexec_b32 s3, s3
	s_cbranch_execz .LBB109_277
; %bb.276:
	v_div_scale_f64 v[212:213], null, v[216:217], v[216:217], v[218:219]
	v_div_scale_f64 v[224:225], vcc_lo, v[218:219], v[216:217], v[218:219]
	s_delay_alu instid0(VALU_DEP_2) | instskip(SKIP_2) | instid1(VALU_DEP_1)
	v_rcp_f64_e32 v[220:221], v[212:213]
	s_waitcnt_depctr 0xfff
	v_fma_f64 v[222:223], -v[212:213], v[220:221], 1.0
	v_fma_f64 v[220:221], v[220:221], v[222:223], v[220:221]
	s_delay_alu instid0(VALU_DEP_1) | instskip(NEXT) | instid1(VALU_DEP_1)
	v_fma_f64 v[222:223], -v[212:213], v[220:221], 1.0
	v_fma_f64 v[220:221], v[220:221], v[222:223], v[220:221]
	s_delay_alu instid0(VALU_DEP_1) | instskip(NEXT) | instid1(VALU_DEP_1)
	v_mul_f64 v[222:223], v[224:225], v[220:221]
	v_fma_f64 v[212:213], -v[212:213], v[222:223], v[224:225]
	s_delay_alu instid0(VALU_DEP_1) | instskip(NEXT) | instid1(VALU_DEP_1)
	v_div_fmas_f64 v[212:213], v[212:213], v[220:221], v[222:223]
	v_div_fixup_f64 v[220:221], v[212:213], v[216:217], v[218:219]
	s_delay_alu instid0(VALU_DEP_1) | instskip(NEXT) | instid1(VALU_DEP_1)
	v_fma_f64 v[212:213], v[218:219], v[220:221], v[216:217]
	v_div_scale_f64 v[216:217], null, v[212:213], v[212:213], 1.0
	s_delay_alu instid0(VALU_DEP_1) | instskip(SKIP_2) | instid1(VALU_DEP_1)
	v_rcp_f64_e32 v[218:219], v[216:217]
	s_waitcnt_depctr 0xfff
	v_fma_f64 v[222:223], -v[216:217], v[218:219], 1.0
	v_fma_f64 v[218:219], v[218:219], v[222:223], v[218:219]
	s_delay_alu instid0(VALU_DEP_1) | instskip(NEXT) | instid1(VALU_DEP_1)
	v_fma_f64 v[222:223], -v[216:217], v[218:219], 1.0
	v_fma_f64 v[218:219], v[218:219], v[222:223], v[218:219]
	v_div_scale_f64 v[222:223], vcc_lo, 1.0, v[212:213], 1.0
	s_delay_alu instid0(VALU_DEP_1) | instskip(NEXT) | instid1(VALU_DEP_1)
	v_mul_f64 v[224:225], v[222:223], v[218:219]
	v_fma_f64 v[216:217], -v[216:217], v[224:225], v[222:223]
	s_delay_alu instid0(VALU_DEP_1) | instskip(NEXT) | instid1(VALU_DEP_1)
	v_div_fmas_f64 v[216:217], v[216:217], v[218:219], v[224:225]
	v_div_fixup_f64 v[212:213], v[216:217], v[212:213], 1.0
	s_delay_alu instid0(VALU_DEP_1)
	v_mul_f64 v[222:223], v[220:221], -v[212:213]
.LBB109_277:
	s_or_b32 exec_lo, exec_lo, s3
	ds_store_2addr_b64 v204, v[212:213], v[222:223] offset1:1
.LBB109_278:
	s_or_b32 exec_lo, exec_lo, s4
	s_waitcnt lgkmcnt(0)
	s_barrier
	buffer_gl0_inv
	ds_load_2addr_b64 v[205:208], v204 offset1:1
	s_mov_b32 s3, exec_lo
	s_waitcnt lgkmcnt(0)
	scratch_store_b128 off, v[205:208], off offset:984 ; 16-byte Folded Spill
	v_cmpx_lt_u32_e32 30, v215
	s_cbranch_execz .LBB109_280
; %bb.279:
	scratch_load_b128 v[205:208], off, off offset:984 ; 16-byte Folded Reload
	ds_load_2addr_b64 v[218:221], v214 offset0:62 offset1:63
	s_waitcnt vmcnt(0)
	v_mul_f64 v[212:213], v[207:208], v[98:99]
	v_mul_f64 v[98:99], v[205:206], v[98:99]
	s_delay_alu instid0(VALU_DEP_2) | instskip(NEXT) | instid1(VALU_DEP_2)
	v_fma_f64 v[216:217], v[205:206], v[96:97], -v[212:213]
	v_fma_f64 v[98:99], v[207:208], v[96:97], v[98:99]
	s_waitcnt lgkmcnt(0)
	s_delay_alu instid0(VALU_DEP_1) | instskip(SKIP_1) | instid1(VALU_DEP_2)
	v_mul_f64 v[96:97], v[220:221], v[98:99]
	v_mul_f64 v[212:213], v[218:219], v[98:99]
	v_fma_f64 v[96:97], v[218:219], v[216:217], -v[96:97]
	s_delay_alu instid0(VALU_DEP_2)
	v_fma_f64 v[212:213], v[220:221], v[216:217], v[212:213]
	ds_load_2addr_b64 v[218:221], v214 offset0:64 offset1:65
	v_add_f64 v[92:93], v[92:93], -v[96:97]
	v_add_f64 v[94:95], v[94:95], -v[212:213]
	s_waitcnt lgkmcnt(0)
	v_mul_f64 v[96:97], v[220:221], v[98:99]
	v_mul_f64 v[212:213], v[218:219], v[98:99]
	s_delay_alu instid0(VALU_DEP_2) | instskip(NEXT) | instid1(VALU_DEP_2)
	v_fma_f64 v[96:97], v[218:219], v[216:217], -v[96:97]
	v_fma_f64 v[212:213], v[220:221], v[216:217], v[212:213]
	ds_load_2addr_b64 v[218:221], v214 offset0:66 offset1:67
	v_add_f64 v[88:89], v[88:89], -v[96:97]
	v_add_f64 v[90:91], v[90:91], -v[212:213]
	s_waitcnt lgkmcnt(0)
	v_mul_f64 v[96:97], v[220:221], v[98:99]
	v_mul_f64 v[212:213], v[218:219], v[98:99]
	s_delay_alu instid0(VALU_DEP_2) | instskip(NEXT) | instid1(VALU_DEP_2)
	v_fma_f64 v[96:97], v[218:219], v[216:217], -v[96:97]
	;; [unrolled: 9-line block ×23, first 2 shown]
	v_fma_f64 v[212:213], v[220:221], v[216:217], v[212:213]
	s_delay_alu instid0(VALU_DEP_2) | instskip(NEXT) | instid1(VALU_DEP_2)
	v_add_f64 v[0:1], v[0:1], -v[96:97]
	v_add_f64 v[2:3], v[2:3], -v[212:213]
	v_dual_mov_b32 v96, v216 :: v_dual_mov_b32 v97, v217
.LBB109_280:
	s_or_b32 exec_lo, exec_lo, s3
	s_delay_alu instid0(SALU_CYCLE_1)
	s_mov_b32 s4, exec_lo
	s_waitcnt_vscnt null, 0x0
	s_barrier
	buffer_gl0_inv
	v_cmpx_eq_u32_e32 31, v215
	s_cbranch_execz .LBB109_287
; %bb.281:
	ds_store_2addr_b64 v204, v[92:93], v[94:95] offset1:1
	ds_store_2addr_b64 v214, v[88:89], v[90:91] offset0:64 offset1:65
	ds_store_2addr_b64 v214, v[84:85], v[86:87] offset0:66 offset1:67
	;; [unrolled: 1-line block ×23, first 2 shown]
	ds_load_2addr_b64 v[216:219], v204 offset1:1
	s_waitcnt lgkmcnt(0)
	v_cmp_neq_f64_e32 vcc_lo, 0, v[216:217]
	v_cmp_neq_f64_e64 s3, 0, v[218:219]
	s_delay_alu instid0(VALU_DEP_1) | instskip(NEXT) | instid1(SALU_CYCLE_1)
	s_or_b32 s3, vcc_lo, s3
	s_and_b32 exec_lo, exec_lo, s3
	s_cbranch_execz .LBB109_287
; %bb.282:
	v_cmp_gt_f64_e32 vcc_lo, 0, v[216:217]
	v_xor_b32_e32 v208, 0x80000000, v217
	s_delay_alu instid0(VALU_DEP_1) | instskip(SKIP_3) | instid1(VALU_DEP_1)
	v_cndmask_b32_e32 v213, v217, v208, vcc_lo
	v_cndmask_b32_e32 v212, v216, v216, vcc_lo
	v_cmp_gt_f64_e32 vcc_lo, 0, v[218:219]
	v_xor_b32_e32 v208, 0x80000000, v219
	v_dual_cndmask_b32 v220, v218, v218 :: v_dual_cndmask_b32 v221, v219, v208
	s_delay_alu instid0(VALU_DEP_1) | instskip(SKIP_1) | instid1(SALU_CYCLE_1)
	v_cmp_ngt_f64_e32 vcc_lo, v[212:213], v[220:221]
                                        ; implicit-def: $vgpr212_vgpr213
	s_and_saveexec_b32 s3, vcc_lo
	s_xor_b32 s3, exec_lo, s3
                                        ; implicit-def: $vgpr220_vgpr221_vgpr222_vgpr223
	s_cbranch_execz .LBB109_284
; %bb.283:
	v_div_scale_f64 v[212:213], null, v[218:219], v[218:219], v[216:217]
	v_div_scale_f64 v[224:225], vcc_lo, v[216:217], v[218:219], v[216:217]
	s_delay_alu instid0(VALU_DEP_2) | instskip(SKIP_2) | instid1(VALU_DEP_1)
	v_rcp_f64_e32 v[220:221], v[212:213]
	s_waitcnt_depctr 0xfff
	v_fma_f64 v[222:223], -v[212:213], v[220:221], 1.0
	v_fma_f64 v[220:221], v[220:221], v[222:223], v[220:221]
	s_delay_alu instid0(VALU_DEP_1) | instskip(NEXT) | instid1(VALU_DEP_1)
	v_fma_f64 v[222:223], -v[212:213], v[220:221], 1.0
	v_fma_f64 v[220:221], v[220:221], v[222:223], v[220:221]
	s_delay_alu instid0(VALU_DEP_1) | instskip(NEXT) | instid1(VALU_DEP_1)
	v_mul_f64 v[222:223], v[224:225], v[220:221]
	v_fma_f64 v[212:213], -v[212:213], v[222:223], v[224:225]
	s_delay_alu instid0(VALU_DEP_1) | instskip(NEXT) | instid1(VALU_DEP_1)
	v_div_fmas_f64 v[212:213], v[212:213], v[220:221], v[222:223]
	v_div_fixup_f64 v[212:213], v[212:213], v[218:219], v[216:217]
	s_delay_alu instid0(VALU_DEP_1) | instskip(NEXT) | instid1(VALU_DEP_1)
	v_fma_f64 v[216:217], v[216:217], v[212:213], v[218:219]
	v_div_scale_f64 v[218:219], null, v[216:217], v[216:217], 1.0
	s_delay_alu instid0(VALU_DEP_1) | instskip(SKIP_2) | instid1(VALU_DEP_1)
	v_rcp_f64_e32 v[220:221], v[218:219]
	s_waitcnt_depctr 0xfff
	v_fma_f64 v[222:223], -v[218:219], v[220:221], 1.0
	v_fma_f64 v[220:221], v[220:221], v[222:223], v[220:221]
	s_delay_alu instid0(VALU_DEP_1) | instskip(NEXT) | instid1(VALU_DEP_1)
	v_fma_f64 v[222:223], -v[218:219], v[220:221], 1.0
	v_fma_f64 v[220:221], v[220:221], v[222:223], v[220:221]
	v_div_scale_f64 v[222:223], vcc_lo, 1.0, v[216:217], 1.0
	s_delay_alu instid0(VALU_DEP_1) | instskip(NEXT) | instid1(VALU_DEP_1)
	v_mul_f64 v[224:225], v[222:223], v[220:221]
	v_fma_f64 v[218:219], -v[218:219], v[224:225], v[222:223]
	s_delay_alu instid0(VALU_DEP_1) | instskip(NEXT) | instid1(VALU_DEP_1)
	v_div_fmas_f64 v[218:219], v[218:219], v[220:221], v[224:225]
	v_div_fixup_f64 v[222:223], v[218:219], v[216:217], 1.0
                                        ; implicit-def: $vgpr216_vgpr217
	s_delay_alu instid0(VALU_DEP_1)
	v_mul_f64 v[212:213], v[212:213], v[222:223]
	v_xor_b32_e32 v223, 0x80000000, v223
.LBB109_284:
	s_and_not1_saveexec_b32 s3, s3
	s_cbranch_execz .LBB109_286
; %bb.285:
	v_div_scale_f64 v[212:213], null, v[216:217], v[216:217], v[218:219]
	v_div_scale_f64 v[224:225], vcc_lo, v[218:219], v[216:217], v[218:219]
	s_delay_alu instid0(VALU_DEP_2) | instskip(SKIP_2) | instid1(VALU_DEP_1)
	v_rcp_f64_e32 v[220:221], v[212:213]
	s_waitcnt_depctr 0xfff
	v_fma_f64 v[222:223], -v[212:213], v[220:221], 1.0
	v_fma_f64 v[220:221], v[220:221], v[222:223], v[220:221]
	s_delay_alu instid0(VALU_DEP_1) | instskip(NEXT) | instid1(VALU_DEP_1)
	v_fma_f64 v[222:223], -v[212:213], v[220:221], 1.0
	v_fma_f64 v[220:221], v[220:221], v[222:223], v[220:221]
	s_delay_alu instid0(VALU_DEP_1) | instskip(NEXT) | instid1(VALU_DEP_1)
	v_mul_f64 v[222:223], v[224:225], v[220:221]
	v_fma_f64 v[212:213], -v[212:213], v[222:223], v[224:225]
	s_delay_alu instid0(VALU_DEP_1) | instskip(NEXT) | instid1(VALU_DEP_1)
	v_div_fmas_f64 v[212:213], v[212:213], v[220:221], v[222:223]
	v_div_fixup_f64 v[220:221], v[212:213], v[216:217], v[218:219]
	s_delay_alu instid0(VALU_DEP_1) | instskip(NEXT) | instid1(VALU_DEP_1)
	v_fma_f64 v[212:213], v[218:219], v[220:221], v[216:217]
	v_div_scale_f64 v[216:217], null, v[212:213], v[212:213], 1.0
	s_delay_alu instid0(VALU_DEP_1) | instskip(SKIP_2) | instid1(VALU_DEP_1)
	v_rcp_f64_e32 v[218:219], v[216:217]
	s_waitcnt_depctr 0xfff
	v_fma_f64 v[222:223], -v[216:217], v[218:219], 1.0
	v_fma_f64 v[218:219], v[218:219], v[222:223], v[218:219]
	s_delay_alu instid0(VALU_DEP_1) | instskip(NEXT) | instid1(VALU_DEP_1)
	v_fma_f64 v[222:223], -v[216:217], v[218:219], 1.0
	v_fma_f64 v[218:219], v[218:219], v[222:223], v[218:219]
	v_div_scale_f64 v[222:223], vcc_lo, 1.0, v[212:213], 1.0
	s_delay_alu instid0(VALU_DEP_1) | instskip(NEXT) | instid1(VALU_DEP_1)
	v_mul_f64 v[224:225], v[222:223], v[218:219]
	v_fma_f64 v[216:217], -v[216:217], v[224:225], v[222:223]
	s_delay_alu instid0(VALU_DEP_1) | instskip(NEXT) | instid1(VALU_DEP_1)
	v_div_fmas_f64 v[216:217], v[216:217], v[218:219], v[224:225]
	v_div_fixup_f64 v[212:213], v[216:217], v[212:213], 1.0
	s_delay_alu instid0(VALU_DEP_1)
	v_mul_f64 v[222:223], v[220:221], -v[212:213]
.LBB109_286:
	s_or_b32 exec_lo, exec_lo, s3
	ds_store_2addr_b64 v204, v[212:213], v[222:223] offset1:1
.LBB109_287:
	s_or_b32 exec_lo, exec_lo, s4
	s_waitcnt lgkmcnt(0)
	s_barrier
	buffer_gl0_inv
	ds_load_2addr_b64 v[205:208], v204 offset1:1
	s_mov_b32 s3, exec_lo
	s_waitcnt lgkmcnt(0)
	scratch_store_b128 off, v[205:208], off offset:1000 ; 16-byte Folded Spill
	v_cmpx_lt_u32_e32 31, v215
	s_cbranch_execz .LBB109_289
; %bb.288:
	scratch_load_b128 v[205:208], off, off offset:1000 ; 16-byte Folded Reload
	ds_load_2addr_b64 v[218:221], v214 offset0:64 offset1:65
	s_waitcnt vmcnt(0)
	v_mul_f64 v[212:213], v[207:208], v[94:95]
	v_mul_f64 v[94:95], v[205:206], v[94:95]
	s_delay_alu instid0(VALU_DEP_2) | instskip(NEXT) | instid1(VALU_DEP_2)
	v_fma_f64 v[216:217], v[205:206], v[92:93], -v[212:213]
	v_fma_f64 v[94:95], v[207:208], v[92:93], v[94:95]
	s_waitcnt lgkmcnt(0)
	s_delay_alu instid0(VALU_DEP_1) | instskip(SKIP_1) | instid1(VALU_DEP_2)
	v_mul_f64 v[92:93], v[220:221], v[94:95]
	v_mul_f64 v[212:213], v[218:219], v[94:95]
	v_fma_f64 v[92:93], v[218:219], v[216:217], -v[92:93]
	s_delay_alu instid0(VALU_DEP_2)
	v_fma_f64 v[212:213], v[220:221], v[216:217], v[212:213]
	ds_load_2addr_b64 v[218:221], v214 offset0:66 offset1:67
	v_add_f64 v[88:89], v[88:89], -v[92:93]
	v_add_f64 v[90:91], v[90:91], -v[212:213]
	s_waitcnt lgkmcnt(0)
	v_mul_f64 v[92:93], v[220:221], v[94:95]
	v_mul_f64 v[212:213], v[218:219], v[94:95]
	s_delay_alu instid0(VALU_DEP_2) | instskip(NEXT) | instid1(VALU_DEP_2)
	v_fma_f64 v[92:93], v[218:219], v[216:217], -v[92:93]
	v_fma_f64 v[212:213], v[220:221], v[216:217], v[212:213]
	ds_load_2addr_b64 v[218:221], v214 offset0:68 offset1:69
	v_add_f64 v[84:85], v[84:85], -v[92:93]
	v_add_f64 v[86:87], v[86:87], -v[212:213]
	s_waitcnt lgkmcnt(0)
	v_mul_f64 v[92:93], v[220:221], v[94:95]
	v_mul_f64 v[212:213], v[218:219], v[94:95]
	s_delay_alu instid0(VALU_DEP_2) | instskip(NEXT) | instid1(VALU_DEP_2)
	v_fma_f64 v[92:93], v[218:219], v[216:217], -v[92:93]
	;; [unrolled: 9-line block ×22, first 2 shown]
	v_fma_f64 v[212:213], v[220:221], v[216:217], v[212:213]
	s_delay_alu instid0(VALU_DEP_2) | instskip(NEXT) | instid1(VALU_DEP_2)
	v_add_f64 v[0:1], v[0:1], -v[92:93]
	v_add_f64 v[2:3], v[2:3], -v[212:213]
	v_dual_mov_b32 v92, v216 :: v_dual_mov_b32 v93, v217
.LBB109_289:
	s_or_b32 exec_lo, exec_lo, s3
	s_delay_alu instid0(SALU_CYCLE_1)
	s_mov_b32 s4, exec_lo
	s_waitcnt_vscnt null, 0x0
	s_barrier
	buffer_gl0_inv
	v_cmpx_eq_u32_e32 32, v215
	s_cbranch_execz .LBB109_296
; %bb.290:
	ds_store_2addr_b64 v204, v[88:89], v[90:91] offset1:1
	ds_store_2addr_b64 v214, v[84:85], v[86:87] offset0:66 offset1:67
	ds_store_2addr_b64 v214, v[80:81], v[82:83] offset0:68 offset1:69
	;; [unrolled: 1-line block ×22, first 2 shown]
	ds_load_2addr_b64 v[216:219], v204 offset1:1
	s_waitcnt lgkmcnt(0)
	v_cmp_neq_f64_e32 vcc_lo, 0, v[216:217]
	v_cmp_neq_f64_e64 s3, 0, v[218:219]
	s_delay_alu instid0(VALU_DEP_1) | instskip(NEXT) | instid1(SALU_CYCLE_1)
	s_or_b32 s3, vcc_lo, s3
	s_and_b32 exec_lo, exec_lo, s3
	s_cbranch_execz .LBB109_296
; %bb.291:
	v_cmp_gt_f64_e32 vcc_lo, 0, v[216:217]
	v_xor_b32_e32 v208, 0x80000000, v217
	s_delay_alu instid0(VALU_DEP_1) | instskip(SKIP_3) | instid1(VALU_DEP_1)
	v_cndmask_b32_e32 v213, v217, v208, vcc_lo
	v_cndmask_b32_e32 v212, v216, v216, vcc_lo
	v_cmp_gt_f64_e32 vcc_lo, 0, v[218:219]
	v_xor_b32_e32 v208, 0x80000000, v219
	v_dual_cndmask_b32 v220, v218, v218 :: v_dual_cndmask_b32 v221, v219, v208
	s_delay_alu instid0(VALU_DEP_1) | instskip(SKIP_1) | instid1(SALU_CYCLE_1)
	v_cmp_ngt_f64_e32 vcc_lo, v[212:213], v[220:221]
                                        ; implicit-def: $vgpr212_vgpr213
	s_and_saveexec_b32 s3, vcc_lo
	s_xor_b32 s3, exec_lo, s3
                                        ; implicit-def: $vgpr220_vgpr221_vgpr222_vgpr223
	s_cbranch_execz .LBB109_293
; %bb.292:
	v_div_scale_f64 v[212:213], null, v[218:219], v[218:219], v[216:217]
	v_div_scale_f64 v[224:225], vcc_lo, v[216:217], v[218:219], v[216:217]
	s_delay_alu instid0(VALU_DEP_2) | instskip(SKIP_2) | instid1(VALU_DEP_1)
	v_rcp_f64_e32 v[220:221], v[212:213]
	s_waitcnt_depctr 0xfff
	v_fma_f64 v[222:223], -v[212:213], v[220:221], 1.0
	v_fma_f64 v[220:221], v[220:221], v[222:223], v[220:221]
	s_delay_alu instid0(VALU_DEP_1) | instskip(NEXT) | instid1(VALU_DEP_1)
	v_fma_f64 v[222:223], -v[212:213], v[220:221], 1.0
	v_fma_f64 v[220:221], v[220:221], v[222:223], v[220:221]
	s_delay_alu instid0(VALU_DEP_1) | instskip(NEXT) | instid1(VALU_DEP_1)
	v_mul_f64 v[222:223], v[224:225], v[220:221]
	v_fma_f64 v[212:213], -v[212:213], v[222:223], v[224:225]
	s_delay_alu instid0(VALU_DEP_1) | instskip(NEXT) | instid1(VALU_DEP_1)
	v_div_fmas_f64 v[212:213], v[212:213], v[220:221], v[222:223]
	v_div_fixup_f64 v[212:213], v[212:213], v[218:219], v[216:217]
	s_delay_alu instid0(VALU_DEP_1) | instskip(NEXT) | instid1(VALU_DEP_1)
	v_fma_f64 v[216:217], v[216:217], v[212:213], v[218:219]
	v_div_scale_f64 v[218:219], null, v[216:217], v[216:217], 1.0
	s_delay_alu instid0(VALU_DEP_1) | instskip(SKIP_2) | instid1(VALU_DEP_1)
	v_rcp_f64_e32 v[220:221], v[218:219]
	s_waitcnt_depctr 0xfff
	v_fma_f64 v[222:223], -v[218:219], v[220:221], 1.0
	v_fma_f64 v[220:221], v[220:221], v[222:223], v[220:221]
	s_delay_alu instid0(VALU_DEP_1) | instskip(NEXT) | instid1(VALU_DEP_1)
	v_fma_f64 v[222:223], -v[218:219], v[220:221], 1.0
	v_fma_f64 v[220:221], v[220:221], v[222:223], v[220:221]
	v_div_scale_f64 v[222:223], vcc_lo, 1.0, v[216:217], 1.0
	s_delay_alu instid0(VALU_DEP_1) | instskip(NEXT) | instid1(VALU_DEP_1)
	v_mul_f64 v[224:225], v[222:223], v[220:221]
	v_fma_f64 v[218:219], -v[218:219], v[224:225], v[222:223]
	s_delay_alu instid0(VALU_DEP_1) | instskip(NEXT) | instid1(VALU_DEP_1)
	v_div_fmas_f64 v[218:219], v[218:219], v[220:221], v[224:225]
	v_div_fixup_f64 v[222:223], v[218:219], v[216:217], 1.0
                                        ; implicit-def: $vgpr216_vgpr217
	s_delay_alu instid0(VALU_DEP_1)
	v_mul_f64 v[212:213], v[212:213], v[222:223]
	v_xor_b32_e32 v223, 0x80000000, v223
.LBB109_293:
	s_and_not1_saveexec_b32 s3, s3
	s_cbranch_execz .LBB109_295
; %bb.294:
	v_div_scale_f64 v[212:213], null, v[216:217], v[216:217], v[218:219]
	v_div_scale_f64 v[224:225], vcc_lo, v[218:219], v[216:217], v[218:219]
	s_delay_alu instid0(VALU_DEP_2) | instskip(SKIP_2) | instid1(VALU_DEP_1)
	v_rcp_f64_e32 v[220:221], v[212:213]
	s_waitcnt_depctr 0xfff
	v_fma_f64 v[222:223], -v[212:213], v[220:221], 1.0
	v_fma_f64 v[220:221], v[220:221], v[222:223], v[220:221]
	s_delay_alu instid0(VALU_DEP_1) | instskip(NEXT) | instid1(VALU_DEP_1)
	v_fma_f64 v[222:223], -v[212:213], v[220:221], 1.0
	v_fma_f64 v[220:221], v[220:221], v[222:223], v[220:221]
	s_delay_alu instid0(VALU_DEP_1) | instskip(NEXT) | instid1(VALU_DEP_1)
	v_mul_f64 v[222:223], v[224:225], v[220:221]
	v_fma_f64 v[212:213], -v[212:213], v[222:223], v[224:225]
	s_delay_alu instid0(VALU_DEP_1) | instskip(NEXT) | instid1(VALU_DEP_1)
	v_div_fmas_f64 v[212:213], v[212:213], v[220:221], v[222:223]
	v_div_fixup_f64 v[220:221], v[212:213], v[216:217], v[218:219]
	s_delay_alu instid0(VALU_DEP_1) | instskip(NEXT) | instid1(VALU_DEP_1)
	v_fma_f64 v[212:213], v[218:219], v[220:221], v[216:217]
	v_div_scale_f64 v[216:217], null, v[212:213], v[212:213], 1.0
	s_delay_alu instid0(VALU_DEP_1) | instskip(SKIP_2) | instid1(VALU_DEP_1)
	v_rcp_f64_e32 v[218:219], v[216:217]
	s_waitcnt_depctr 0xfff
	v_fma_f64 v[222:223], -v[216:217], v[218:219], 1.0
	v_fma_f64 v[218:219], v[218:219], v[222:223], v[218:219]
	s_delay_alu instid0(VALU_DEP_1) | instskip(NEXT) | instid1(VALU_DEP_1)
	v_fma_f64 v[222:223], -v[216:217], v[218:219], 1.0
	v_fma_f64 v[218:219], v[218:219], v[222:223], v[218:219]
	v_div_scale_f64 v[222:223], vcc_lo, 1.0, v[212:213], 1.0
	s_delay_alu instid0(VALU_DEP_1) | instskip(NEXT) | instid1(VALU_DEP_1)
	v_mul_f64 v[224:225], v[222:223], v[218:219]
	v_fma_f64 v[216:217], -v[216:217], v[224:225], v[222:223]
	s_delay_alu instid0(VALU_DEP_1) | instskip(NEXT) | instid1(VALU_DEP_1)
	v_div_fmas_f64 v[216:217], v[216:217], v[218:219], v[224:225]
	v_div_fixup_f64 v[212:213], v[216:217], v[212:213], 1.0
	s_delay_alu instid0(VALU_DEP_1)
	v_mul_f64 v[222:223], v[220:221], -v[212:213]
.LBB109_295:
	s_or_b32 exec_lo, exec_lo, s3
	ds_store_2addr_b64 v204, v[212:213], v[222:223] offset1:1
.LBB109_296:
	s_or_b32 exec_lo, exec_lo, s4
	s_waitcnt lgkmcnt(0)
	s_barrier
	buffer_gl0_inv
	ds_load_2addr_b64 v[205:208], v204 offset1:1
	s_mov_b32 s3, exec_lo
	s_waitcnt lgkmcnt(0)
	scratch_store_b128 off, v[205:208], off offset:1016 ; 16-byte Folded Spill
	v_cmpx_lt_u32_e32 32, v215
	s_cbranch_execz .LBB109_298
; %bb.297:
	scratch_load_b128 v[205:208], off, off offset:1016 ; 16-byte Folded Reload
	ds_load_2addr_b64 v[218:221], v214 offset0:66 offset1:67
	s_waitcnt vmcnt(0)
	v_mul_f64 v[212:213], v[207:208], v[90:91]
	v_mul_f64 v[90:91], v[205:206], v[90:91]
	s_delay_alu instid0(VALU_DEP_2) | instskip(NEXT) | instid1(VALU_DEP_2)
	v_fma_f64 v[216:217], v[205:206], v[88:89], -v[212:213]
	v_fma_f64 v[90:91], v[207:208], v[88:89], v[90:91]
	s_waitcnt lgkmcnt(0)
	s_delay_alu instid0(VALU_DEP_1) | instskip(SKIP_1) | instid1(VALU_DEP_2)
	v_mul_f64 v[88:89], v[220:221], v[90:91]
	v_mul_f64 v[212:213], v[218:219], v[90:91]
	v_fma_f64 v[88:89], v[218:219], v[216:217], -v[88:89]
	s_delay_alu instid0(VALU_DEP_2)
	v_fma_f64 v[212:213], v[220:221], v[216:217], v[212:213]
	ds_load_2addr_b64 v[218:221], v214 offset0:68 offset1:69
	v_add_f64 v[84:85], v[84:85], -v[88:89]
	v_add_f64 v[86:87], v[86:87], -v[212:213]
	s_waitcnt lgkmcnt(0)
	v_mul_f64 v[88:89], v[220:221], v[90:91]
	v_mul_f64 v[212:213], v[218:219], v[90:91]
	s_delay_alu instid0(VALU_DEP_2) | instskip(NEXT) | instid1(VALU_DEP_2)
	v_fma_f64 v[88:89], v[218:219], v[216:217], -v[88:89]
	v_fma_f64 v[212:213], v[220:221], v[216:217], v[212:213]
	ds_load_2addr_b64 v[218:221], v214 offset0:70 offset1:71
	v_add_f64 v[80:81], v[80:81], -v[88:89]
	v_add_f64 v[82:83], v[82:83], -v[212:213]
	s_waitcnt lgkmcnt(0)
	v_mul_f64 v[88:89], v[220:221], v[90:91]
	v_mul_f64 v[212:213], v[218:219], v[90:91]
	s_delay_alu instid0(VALU_DEP_2) | instskip(NEXT) | instid1(VALU_DEP_2)
	v_fma_f64 v[88:89], v[218:219], v[216:217], -v[88:89]
	;; [unrolled: 9-line block ×21, first 2 shown]
	v_fma_f64 v[212:213], v[220:221], v[216:217], v[212:213]
	s_delay_alu instid0(VALU_DEP_2) | instskip(NEXT) | instid1(VALU_DEP_2)
	v_add_f64 v[0:1], v[0:1], -v[88:89]
	v_add_f64 v[2:3], v[2:3], -v[212:213]
	v_dual_mov_b32 v88, v216 :: v_dual_mov_b32 v89, v217
.LBB109_298:
	s_or_b32 exec_lo, exec_lo, s3
	s_delay_alu instid0(SALU_CYCLE_1)
	s_mov_b32 s4, exec_lo
	s_waitcnt_vscnt null, 0x0
	s_barrier
	buffer_gl0_inv
	v_cmpx_eq_u32_e32 33, v215
	s_cbranch_execz .LBB109_305
; %bb.299:
	ds_store_2addr_b64 v204, v[84:85], v[86:87] offset1:1
	ds_store_2addr_b64 v214, v[80:81], v[82:83] offset0:68 offset1:69
	ds_store_2addr_b64 v214, v[76:77], v[78:79] offset0:70 offset1:71
	;; [unrolled: 1-line block ×21, first 2 shown]
	ds_load_2addr_b64 v[216:219], v204 offset1:1
	s_waitcnt lgkmcnt(0)
	v_cmp_neq_f64_e32 vcc_lo, 0, v[216:217]
	v_cmp_neq_f64_e64 s3, 0, v[218:219]
	s_delay_alu instid0(VALU_DEP_1) | instskip(NEXT) | instid1(SALU_CYCLE_1)
	s_or_b32 s3, vcc_lo, s3
	s_and_b32 exec_lo, exec_lo, s3
	s_cbranch_execz .LBB109_305
; %bb.300:
	v_cmp_gt_f64_e32 vcc_lo, 0, v[216:217]
	v_xor_b32_e32 v208, 0x80000000, v217
	s_delay_alu instid0(VALU_DEP_1) | instskip(SKIP_3) | instid1(VALU_DEP_1)
	v_cndmask_b32_e32 v213, v217, v208, vcc_lo
	v_cndmask_b32_e32 v212, v216, v216, vcc_lo
	v_cmp_gt_f64_e32 vcc_lo, 0, v[218:219]
	v_xor_b32_e32 v208, 0x80000000, v219
	v_dual_cndmask_b32 v220, v218, v218 :: v_dual_cndmask_b32 v221, v219, v208
	s_delay_alu instid0(VALU_DEP_1) | instskip(SKIP_1) | instid1(SALU_CYCLE_1)
	v_cmp_ngt_f64_e32 vcc_lo, v[212:213], v[220:221]
                                        ; implicit-def: $vgpr212_vgpr213
	s_and_saveexec_b32 s3, vcc_lo
	s_xor_b32 s3, exec_lo, s3
                                        ; implicit-def: $vgpr220_vgpr221_vgpr222_vgpr223
	s_cbranch_execz .LBB109_302
; %bb.301:
	v_div_scale_f64 v[212:213], null, v[218:219], v[218:219], v[216:217]
	v_div_scale_f64 v[224:225], vcc_lo, v[216:217], v[218:219], v[216:217]
	s_delay_alu instid0(VALU_DEP_2) | instskip(SKIP_2) | instid1(VALU_DEP_1)
	v_rcp_f64_e32 v[220:221], v[212:213]
	s_waitcnt_depctr 0xfff
	v_fma_f64 v[222:223], -v[212:213], v[220:221], 1.0
	v_fma_f64 v[220:221], v[220:221], v[222:223], v[220:221]
	s_delay_alu instid0(VALU_DEP_1) | instskip(NEXT) | instid1(VALU_DEP_1)
	v_fma_f64 v[222:223], -v[212:213], v[220:221], 1.0
	v_fma_f64 v[220:221], v[220:221], v[222:223], v[220:221]
	s_delay_alu instid0(VALU_DEP_1) | instskip(NEXT) | instid1(VALU_DEP_1)
	v_mul_f64 v[222:223], v[224:225], v[220:221]
	v_fma_f64 v[212:213], -v[212:213], v[222:223], v[224:225]
	s_delay_alu instid0(VALU_DEP_1) | instskip(NEXT) | instid1(VALU_DEP_1)
	v_div_fmas_f64 v[212:213], v[212:213], v[220:221], v[222:223]
	v_div_fixup_f64 v[212:213], v[212:213], v[218:219], v[216:217]
	s_delay_alu instid0(VALU_DEP_1) | instskip(NEXT) | instid1(VALU_DEP_1)
	v_fma_f64 v[216:217], v[216:217], v[212:213], v[218:219]
	v_div_scale_f64 v[218:219], null, v[216:217], v[216:217], 1.0
	s_delay_alu instid0(VALU_DEP_1) | instskip(SKIP_2) | instid1(VALU_DEP_1)
	v_rcp_f64_e32 v[220:221], v[218:219]
	s_waitcnt_depctr 0xfff
	v_fma_f64 v[222:223], -v[218:219], v[220:221], 1.0
	v_fma_f64 v[220:221], v[220:221], v[222:223], v[220:221]
	s_delay_alu instid0(VALU_DEP_1) | instskip(NEXT) | instid1(VALU_DEP_1)
	v_fma_f64 v[222:223], -v[218:219], v[220:221], 1.0
	v_fma_f64 v[220:221], v[220:221], v[222:223], v[220:221]
	v_div_scale_f64 v[222:223], vcc_lo, 1.0, v[216:217], 1.0
	s_delay_alu instid0(VALU_DEP_1) | instskip(NEXT) | instid1(VALU_DEP_1)
	v_mul_f64 v[224:225], v[222:223], v[220:221]
	v_fma_f64 v[218:219], -v[218:219], v[224:225], v[222:223]
	s_delay_alu instid0(VALU_DEP_1) | instskip(NEXT) | instid1(VALU_DEP_1)
	v_div_fmas_f64 v[218:219], v[218:219], v[220:221], v[224:225]
	v_div_fixup_f64 v[222:223], v[218:219], v[216:217], 1.0
                                        ; implicit-def: $vgpr216_vgpr217
	s_delay_alu instid0(VALU_DEP_1)
	v_mul_f64 v[212:213], v[212:213], v[222:223]
	v_xor_b32_e32 v223, 0x80000000, v223
.LBB109_302:
	s_and_not1_saveexec_b32 s3, s3
	s_cbranch_execz .LBB109_304
; %bb.303:
	v_div_scale_f64 v[212:213], null, v[216:217], v[216:217], v[218:219]
	v_div_scale_f64 v[224:225], vcc_lo, v[218:219], v[216:217], v[218:219]
	s_delay_alu instid0(VALU_DEP_2) | instskip(SKIP_2) | instid1(VALU_DEP_1)
	v_rcp_f64_e32 v[220:221], v[212:213]
	s_waitcnt_depctr 0xfff
	v_fma_f64 v[222:223], -v[212:213], v[220:221], 1.0
	v_fma_f64 v[220:221], v[220:221], v[222:223], v[220:221]
	s_delay_alu instid0(VALU_DEP_1) | instskip(NEXT) | instid1(VALU_DEP_1)
	v_fma_f64 v[222:223], -v[212:213], v[220:221], 1.0
	v_fma_f64 v[220:221], v[220:221], v[222:223], v[220:221]
	s_delay_alu instid0(VALU_DEP_1) | instskip(NEXT) | instid1(VALU_DEP_1)
	v_mul_f64 v[222:223], v[224:225], v[220:221]
	v_fma_f64 v[212:213], -v[212:213], v[222:223], v[224:225]
	s_delay_alu instid0(VALU_DEP_1) | instskip(NEXT) | instid1(VALU_DEP_1)
	v_div_fmas_f64 v[212:213], v[212:213], v[220:221], v[222:223]
	v_div_fixup_f64 v[220:221], v[212:213], v[216:217], v[218:219]
	s_delay_alu instid0(VALU_DEP_1) | instskip(NEXT) | instid1(VALU_DEP_1)
	v_fma_f64 v[212:213], v[218:219], v[220:221], v[216:217]
	v_div_scale_f64 v[216:217], null, v[212:213], v[212:213], 1.0
	s_delay_alu instid0(VALU_DEP_1) | instskip(SKIP_2) | instid1(VALU_DEP_1)
	v_rcp_f64_e32 v[218:219], v[216:217]
	s_waitcnt_depctr 0xfff
	v_fma_f64 v[222:223], -v[216:217], v[218:219], 1.0
	v_fma_f64 v[218:219], v[218:219], v[222:223], v[218:219]
	s_delay_alu instid0(VALU_DEP_1) | instskip(NEXT) | instid1(VALU_DEP_1)
	v_fma_f64 v[222:223], -v[216:217], v[218:219], 1.0
	v_fma_f64 v[218:219], v[218:219], v[222:223], v[218:219]
	v_div_scale_f64 v[222:223], vcc_lo, 1.0, v[212:213], 1.0
	s_delay_alu instid0(VALU_DEP_1) | instskip(NEXT) | instid1(VALU_DEP_1)
	v_mul_f64 v[224:225], v[222:223], v[218:219]
	v_fma_f64 v[216:217], -v[216:217], v[224:225], v[222:223]
	s_delay_alu instid0(VALU_DEP_1) | instskip(NEXT) | instid1(VALU_DEP_1)
	v_div_fmas_f64 v[216:217], v[216:217], v[218:219], v[224:225]
	v_div_fixup_f64 v[212:213], v[216:217], v[212:213], 1.0
	s_delay_alu instid0(VALU_DEP_1)
	v_mul_f64 v[222:223], v[220:221], -v[212:213]
.LBB109_304:
	s_or_b32 exec_lo, exec_lo, s3
	ds_store_2addr_b64 v204, v[212:213], v[222:223] offset1:1
.LBB109_305:
	s_or_b32 exec_lo, exec_lo, s4
	s_waitcnt lgkmcnt(0)
	s_barrier
	buffer_gl0_inv
	ds_load_2addr_b64 v[205:208], v204 offset1:1
	s_mov_b32 s3, exec_lo
	s_waitcnt lgkmcnt(0)
	scratch_store_b128 off, v[205:208], off offset:1032 ; 16-byte Folded Spill
	v_cmpx_lt_u32_e32 33, v215
	s_cbranch_execz .LBB109_307
; %bb.306:
	scratch_load_b128 v[205:208], off, off offset:1032 ; 16-byte Folded Reload
	ds_load_2addr_b64 v[218:221], v214 offset0:68 offset1:69
	s_waitcnt vmcnt(0)
	v_mul_f64 v[212:213], v[207:208], v[86:87]
	v_mul_f64 v[86:87], v[205:206], v[86:87]
	s_delay_alu instid0(VALU_DEP_2) | instskip(NEXT) | instid1(VALU_DEP_2)
	v_fma_f64 v[216:217], v[205:206], v[84:85], -v[212:213]
	v_fma_f64 v[86:87], v[207:208], v[84:85], v[86:87]
	s_waitcnt lgkmcnt(0)
	s_delay_alu instid0(VALU_DEP_1) | instskip(SKIP_1) | instid1(VALU_DEP_2)
	v_mul_f64 v[84:85], v[220:221], v[86:87]
	v_mul_f64 v[212:213], v[218:219], v[86:87]
	v_fma_f64 v[84:85], v[218:219], v[216:217], -v[84:85]
	s_delay_alu instid0(VALU_DEP_2)
	v_fma_f64 v[212:213], v[220:221], v[216:217], v[212:213]
	ds_load_2addr_b64 v[218:221], v214 offset0:70 offset1:71
	v_add_f64 v[80:81], v[80:81], -v[84:85]
	v_add_f64 v[82:83], v[82:83], -v[212:213]
	s_waitcnt lgkmcnt(0)
	v_mul_f64 v[84:85], v[220:221], v[86:87]
	v_mul_f64 v[212:213], v[218:219], v[86:87]
	s_delay_alu instid0(VALU_DEP_2) | instskip(NEXT) | instid1(VALU_DEP_2)
	v_fma_f64 v[84:85], v[218:219], v[216:217], -v[84:85]
	v_fma_f64 v[212:213], v[220:221], v[216:217], v[212:213]
	ds_load_2addr_b64 v[218:221], v214 offset0:72 offset1:73
	v_add_f64 v[76:77], v[76:77], -v[84:85]
	v_add_f64 v[78:79], v[78:79], -v[212:213]
	s_waitcnt lgkmcnt(0)
	v_mul_f64 v[84:85], v[220:221], v[86:87]
	v_mul_f64 v[212:213], v[218:219], v[86:87]
	s_delay_alu instid0(VALU_DEP_2) | instskip(NEXT) | instid1(VALU_DEP_2)
	v_fma_f64 v[84:85], v[218:219], v[216:217], -v[84:85]
	;; [unrolled: 9-line block ×20, first 2 shown]
	v_fma_f64 v[212:213], v[220:221], v[216:217], v[212:213]
	s_delay_alu instid0(VALU_DEP_2) | instskip(NEXT) | instid1(VALU_DEP_2)
	v_add_f64 v[0:1], v[0:1], -v[84:85]
	v_add_f64 v[2:3], v[2:3], -v[212:213]
	v_dual_mov_b32 v84, v216 :: v_dual_mov_b32 v85, v217
.LBB109_307:
	s_or_b32 exec_lo, exec_lo, s3
	s_delay_alu instid0(SALU_CYCLE_1)
	s_mov_b32 s4, exec_lo
	s_waitcnt_vscnt null, 0x0
	s_barrier
	buffer_gl0_inv
	v_cmpx_eq_u32_e32 34, v215
	s_cbranch_execz .LBB109_314
; %bb.308:
	ds_store_2addr_b64 v204, v[80:81], v[82:83] offset1:1
	ds_store_2addr_b64 v214, v[76:77], v[78:79] offset0:70 offset1:71
	ds_store_2addr_b64 v214, v[72:73], v[74:75] offset0:72 offset1:73
	;; [unrolled: 1-line block ×20, first 2 shown]
	ds_load_2addr_b64 v[216:219], v204 offset1:1
	s_waitcnt lgkmcnt(0)
	v_cmp_neq_f64_e32 vcc_lo, 0, v[216:217]
	v_cmp_neq_f64_e64 s3, 0, v[218:219]
	s_delay_alu instid0(VALU_DEP_1) | instskip(NEXT) | instid1(SALU_CYCLE_1)
	s_or_b32 s3, vcc_lo, s3
	s_and_b32 exec_lo, exec_lo, s3
	s_cbranch_execz .LBB109_314
; %bb.309:
	v_cmp_gt_f64_e32 vcc_lo, 0, v[216:217]
	v_xor_b32_e32 v208, 0x80000000, v217
	s_delay_alu instid0(VALU_DEP_1) | instskip(SKIP_3) | instid1(VALU_DEP_1)
	v_cndmask_b32_e32 v213, v217, v208, vcc_lo
	v_cndmask_b32_e32 v212, v216, v216, vcc_lo
	v_cmp_gt_f64_e32 vcc_lo, 0, v[218:219]
	v_xor_b32_e32 v208, 0x80000000, v219
	v_dual_cndmask_b32 v220, v218, v218 :: v_dual_cndmask_b32 v221, v219, v208
	s_delay_alu instid0(VALU_DEP_1) | instskip(SKIP_1) | instid1(SALU_CYCLE_1)
	v_cmp_ngt_f64_e32 vcc_lo, v[212:213], v[220:221]
                                        ; implicit-def: $vgpr212_vgpr213
	s_and_saveexec_b32 s3, vcc_lo
	s_xor_b32 s3, exec_lo, s3
                                        ; implicit-def: $vgpr220_vgpr221_vgpr222_vgpr223
	s_cbranch_execz .LBB109_311
; %bb.310:
	v_div_scale_f64 v[212:213], null, v[218:219], v[218:219], v[216:217]
	v_div_scale_f64 v[224:225], vcc_lo, v[216:217], v[218:219], v[216:217]
	s_delay_alu instid0(VALU_DEP_2) | instskip(SKIP_2) | instid1(VALU_DEP_1)
	v_rcp_f64_e32 v[220:221], v[212:213]
	s_waitcnt_depctr 0xfff
	v_fma_f64 v[222:223], -v[212:213], v[220:221], 1.0
	v_fma_f64 v[220:221], v[220:221], v[222:223], v[220:221]
	s_delay_alu instid0(VALU_DEP_1) | instskip(NEXT) | instid1(VALU_DEP_1)
	v_fma_f64 v[222:223], -v[212:213], v[220:221], 1.0
	v_fma_f64 v[220:221], v[220:221], v[222:223], v[220:221]
	s_delay_alu instid0(VALU_DEP_1) | instskip(NEXT) | instid1(VALU_DEP_1)
	v_mul_f64 v[222:223], v[224:225], v[220:221]
	v_fma_f64 v[212:213], -v[212:213], v[222:223], v[224:225]
	s_delay_alu instid0(VALU_DEP_1) | instskip(NEXT) | instid1(VALU_DEP_1)
	v_div_fmas_f64 v[212:213], v[212:213], v[220:221], v[222:223]
	v_div_fixup_f64 v[212:213], v[212:213], v[218:219], v[216:217]
	s_delay_alu instid0(VALU_DEP_1) | instskip(NEXT) | instid1(VALU_DEP_1)
	v_fma_f64 v[216:217], v[216:217], v[212:213], v[218:219]
	v_div_scale_f64 v[218:219], null, v[216:217], v[216:217], 1.0
	s_delay_alu instid0(VALU_DEP_1) | instskip(SKIP_2) | instid1(VALU_DEP_1)
	v_rcp_f64_e32 v[220:221], v[218:219]
	s_waitcnt_depctr 0xfff
	v_fma_f64 v[222:223], -v[218:219], v[220:221], 1.0
	v_fma_f64 v[220:221], v[220:221], v[222:223], v[220:221]
	s_delay_alu instid0(VALU_DEP_1) | instskip(NEXT) | instid1(VALU_DEP_1)
	v_fma_f64 v[222:223], -v[218:219], v[220:221], 1.0
	v_fma_f64 v[220:221], v[220:221], v[222:223], v[220:221]
	v_div_scale_f64 v[222:223], vcc_lo, 1.0, v[216:217], 1.0
	s_delay_alu instid0(VALU_DEP_1) | instskip(NEXT) | instid1(VALU_DEP_1)
	v_mul_f64 v[224:225], v[222:223], v[220:221]
	v_fma_f64 v[218:219], -v[218:219], v[224:225], v[222:223]
	s_delay_alu instid0(VALU_DEP_1) | instskip(NEXT) | instid1(VALU_DEP_1)
	v_div_fmas_f64 v[218:219], v[218:219], v[220:221], v[224:225]
	v_div_fixup_f64 v[222:223], v[218:219], v[216:217], 1.0
                                        ; implicit-def: $vgpr216_vgpr217
	s_delay_alu instid0(VALU_DEP_1)
	v_mul_f64 v[212:213], v[212:213], v[222:223]
	v_xor_b32_e32 v223, 0x80000000, v223
.LBB109_311:
	s_and_not1_saveexec_b32 s3, s3
	s_cbranch_execz .LBB109_313
; %bb.312:
	v_div_scale_f64 v[212:213], null, v[216:217], v[216:217], v[218:219]
	v_div_scale_f64 v[224:225], vcc_lo, v[218:219], v[216:217], v[218:219]
	s_delay_alu instid0(VALU_DEP_2) | instskip(SKIP_2) | instid1(VALU_DEP_1)
	v_rcp_f64_e32 v[220:221], v[212:213]
	s_waitcnt_depctr 0xfff
	v_fma_f64 v[222:223], -v[212:213], v[220:221], 1.0
	v_fma_f64 v[220:221], v[220:221], v[222:223], v[220:221]
	s_delay_alu instid0(VALU_DEP_1) | instskip(NEXT) | instid1(VALU_DEP_1)
	v_fma_f64 v[222:223], -v[212:213], v[220:221], 1.0
	v_fma_f64 v[220:221], v[220:221], v[222:223], v[220:221]
	s_delay_alu instid0(VALU_DEP_1) | instskip(NEXT) | instid1(VALU_DEP_1)
	v_mul_f64 v[222:223], v[224:225], v[220:221]
	v_fma_f64 v[212:213], -v[212:213], v[222:223], v[224:225]
	s_delay_alu instid0(VALU_DEP_1) | instskip(NEXT) | instid1(VALU_DEP_1)
	v_div_fmas_f64 v[212:213], v[212:213], v[220:221], v[222:223]
	v_div_fixup_f64 v[220:221], v[212:213], v[216:217], v[218:219]
	s_delay_alu instid0(VALU_DEP_1) | instskip(NEXT) | instid1(VALU_DEP_1)
	v_fma_f64 v[212:213], v[218:219], v[220:221], v[216:217]
	v_div_scale_f64 v[216:217], null, v[212:213], v[212:213], 1.0
	s_delay_alu instid0(VALU_DEP_1) | instskip(SKIP_2) | instid1(VALU_DEP_1)
	v_rcp_f64_e32 v[218:219], v[216:217]
	s_waitcnt_depctr 0xfff
	v_fma_f64 v[222:223], -v[216:217], v[218:219], 1.0
	v_fma_f64 v[218:219], v[218:219], v[222:223], v[218:219]
	s_delay_alu instid0(VALU_DEP_1) | instskip(NEXT) | instid1(VALU_DEP_1)
	v_fma_f64 v[222:223], -v[216:217], v[218:219], 1.0
	v_fma_f64 v[218:219], v[218:219], v[222:223], v[218:219]
	v_div_scale_f64 v[222:223], vcc_lo, 1.0, v[212:213], 1.0
	s_delay_alu instid0(VALU_DEP_1) | instskip(NEXT) | instid1(VALU_DEP_1)
	v_mul_f64 v[224:225], v[222:223], v[218:219]
	v_fma_f64 v[216:217], -v[216:217], v[224:225], v[222:223]
	s_delay_alu instid0(VALU_DEP_1) | instskip(NEXT) | instid1(VALU_DEP_1)
	v_div_fmas_f64 v[216:217], v[216:217], v[218:219], v[224:225]
	v_div_fixup_f64 v[212:213], v[216:217], v[212:213], 1.0
	s_delay_alu instid0(VALU_DEP_1)
	v_mul_f64 v[222:223], v[220:221], -v[212:213]
.LBB109_313:
	s_or_b32 exec_lo, exec_lo, s3
	ds_store_2addr_b64 v204, v[212:213], v[222:223] offset1:1
.LBB109_314:
	s_or_b32 exec_lo, exec_lo, s4
	s_waitcnt lgkmcnt(0)
	s_barrier
	buffer_gl0_inv
	ds_load_2addr_b64 v[205:208], v204 offset1:1
	s_mov_b32 s3, exec_lo
	s_waitcnt lgkmcnt(0)
	scratch_store_b128 off, v[205:208], off offset:1048 ; 16-byte Folded Spill
	v_cmpx_lt_u32_e32 34, v215
	s_cbranch_execz .LBB109_316
; %bb.315:
	scratch_load_b128 v[205:208], off, off offset:1048 ; 16-byte Folded Reload
	ds_load_2addr_b64 v[218:221], v214 offset0:70 offset1:71
	s_waitcnt vmcnt(0)
	v_mul_f64 v[212:213], v[207:208], v[82:83]
	v_mul_f64 v[82:83], v[205:206], v[82:83]
	s_delay_alu instid0(VALU_DEP_2) | instskip(NEXT) | instid1(VALU_DEP_2)
	v_fma_f64 v[216:217], v[205:206], v[80:81], -v[212:213]
	v_fma_f64 v[82:83], v[207:208], v[80:81], v[82:83]
	s_waitcnt lgkmcnt(0)
	s_delay_alu instid0(VALU_DEP_1) | instskip(SKIP_1) | instid1(VALU_DEP_2)
	v_mul_f64 v[80:81], v[220:221], v[82:83]
	v_mul_f64 v[212:213], v[218:219], v[82:83]
	v_fma_f64 v[80:81], v[218:219], v[216:217], -v[80:81]
	s_delay_alu instid0(VALU_DEP_2)
	v_fma_f64 v[212:213], v[220:221], v[216:217], v[212:213]
	ds_load_2addr_b64 v[218:221], v214 offset0:72 offset1:73
	v_add_f64 v[76:77], v[76:77], -v[80:81]
	v_add_f64 v[78:79], v[78:79], -v[212:213]
	s_waitcnt lgkmcnt(0)
	v_mul_f64 v[80:81], v[220:221], v[82:83]
	v_mul_f64 v[212:213], v[218:219], v[82:83]
	s_delay_alu instid0(VALU_DEP_2) | instskip(NEXT) | instid1(VALU_DEP_2)
	v_fma_f64 v[80:81], v[218:219], v[216:217], -v[80:81]
	v_fma_f64 v[212:213], v[220:221], v[216:217], v[212:213]
	ds_load_2addr_b64 v[218:221], v214 offset0:74 offset1:75
	v_add_f64 v[72:73], v[72:73], -v[80:81]
	v_add_f64 v[74:75], v[74:75], -v[212:213]
	s_waitcnt lgkmcnt(0)
	v_mul_f64 v[80:81], v[220:221], v[82:83]
	v_mul_f64 v[212:213], v[218:219], v[82:83]
	s_delay_alu instid0(VALU_DEP_2) | instskip(NEXT) | instid1(VALU_DEP_2)
	v_fma_f64 v[80:81], v[218:219], v[216:217], -v[80:81]
	;; [unrolled: 9-line block ×19, first 2 shown]
	v_fma_f64 v[212:213], v[220:221], v[216:217], v[212:213]
	s_delay_alu instid0(VALU_DEP_2) | instskip(NEXT) | instid1(VALU_DEP_2)
	v_add_f64 v[0:1], v[0:1], -v[80:81]
	v_add_f64 v[2:3], v[2:3], -v[212:213]
	v_dual_mov_b32 v80, v216 :: v_dual_mov_b32 v81, v217
.LBB109_316:
	s_or_b32 exec_lo, exec_lo, s3
	s_delay_alu instid0(SALU_CYCLE_1)
	s_mov_b32 s4, exec_lo
	s_waitcnt_vscnt null, 0x0
	s_barrier
	buffer_gl0_inv
	v_cmpx_eq_u32_e32 35, v215
	s_cbranch_execz .LBB109_323
; %bb.317:
	ds_store_2addr_b64 v204, v[76:77], v[78:79] offset1:1
	ds_store_2addr_b64 v214, v[72:73], v[74:75] offset0:72 offset1:73
	ds_store_2addr_b64 v214, v[68:69], v[70:71] offset0:74 offset1:75
	;; [unrolled: 1-line block ×19, first 2 shown]
	ds_load_2addr_b64 v[216:219], v204 offset1:1
	s_waitcnt lgkmcnt(0)
	v_cmp_neq_f64_e32 vcc_lo, 0, v[216:217]
	v_cmp_neq_f64_e64 s3, 0, v[218:219]
	s_delay_alu instid0(VALU_DEP_1) | instskip(NEXT) | instid1(SALU_CYCLE_1)
	s_or_b32 s3, vcc_lo, s3
	s_and_b32 exec_lo, exec_lo, s3
	s_cbranch_execz .LBB109_323
; %bb.318:
	v_cmp_gt_f64_e32 vcc_lo, 0, v[216:217]
	v_xor_b32_e32 v208, 0x80000000, v217
	s_delay_alu instid0(VALU_DEP_1) | instskip(SKIP_3) | instid1(VALU_DEP_1)
	v_cndmask_b32_e32 v213, v217, v208, vcc_lo
	v_cndmask_b32_e32 v212, v216, v216, vcc_lo
	v_cmp_gt_f64_e32 vcc_lo, 0, v[218:219]
	v_xor_b32_e32 v208, 0x80000000, v219
	v_dual_cndmask_b32 v220, v218, v218 :: v_dual_cndmask_b32 v221, v219, v208
	s_delay_alu instid0(VALU_DEP_1) | instskip(SKIP_1) | instid1(SALU_CYCLE_1)
	v_cmp_ngt_f64_e32 vcc_lo, v[212:213], v[220:221]
                                        ; implicit-def: $vgpr212_vgpr213
	s_and_saveexec_b32 s3, vcc_lo
	s_xor_b32 s3, exec_lo, s3
                                        ; implicit-def: $vgpr220_vgpr221_vgpr222_vgpr223
	s_cbranch_execz .LBB109_320
; %bb.319:
	v_div_scale_f64 v[212:213], null, v[218:219], v[218:219], v[216:217]
	v_div_scale_f64 v[224:225], vcc_lo, v[216:217], v[218:219], v[216:217]
	s_delay_alu instid0(VALU_DEP_2) | instskip(SKIP_2) | instid1(VALU_DEP_1)
	v_rcp_f64_e32 v[220:221], v[212:213]
	s_waitcnt_depctr 0xfff
	v_fma_f64 v[222:223], -v[212:213], v[220:221], 1.0
	v_fma_f64 v[220:221], v[220:221], v[222:223], v[220:221]
	s_delay_alu instid0(VALU_DEP_1) | instskip(NEXT) | instid1(VALU_DEP_1)
	v_fma_f64 v[222:223], -v[212:213], v[220:221], 1.0
	v_fma_f64 v[220:221], v[220:221], v[222:223], v[220:221]
	s_delay_alu instid0(VALU_DEP_1) | instskip(NEXT) | instid1(VALU_DEP_1)
	v_mul_f64 v[222:223], v[224:225], v[220:221]
	v_fma_f64 v[212:213], -v[212:213], v[222:223], v[224:225]
	s_delay_alu instid0(VALU_DEP_1) | instskip(NEXT) | instid1(VALU_DEP_1)
	v_div_fmas_f64 v[212:213], v[212:213], v[220:221], v[222:223]
	v_div_fixup_f64 v[212:213], v[212:213], v[218:219], v[216:217]
	s_delay_alu instid0(VALU_DEP_1) | instskip(NEXT) | instid1(VALU_DEP_1)
	v_fma_f64 v[216:217], v[216:217], v[212:213], v[218:219]
	v_div_scale_f64 v[218:219], null, v[216:217], v[216:217], 1.0
	s_delay_alu instid0(VALU_DEP_1) | instskip(SKIP_2) | instid1(VALU_DEP_1)
	v_rcp_f64_e32 v[220:221], v[218:219]
	s_waitcnt_depctr 0xfff
	v_fma_f64 v[222:223], -v[218:219], v[220:221], 1.0
	v_fma_f64 v[220:221], v[220:221], v[222:223], v[220:221]
	s_delay_alu instid0(VALU_DEP_1) | instskip(NEXT) | instid1(VALU_DEP_1)
	v_fma_f64 v[222:223], -v[218:219], v[220:221], 1.0
	v_fma_f64 v[220:221], v[220:221], v[222:223], v[220:221]
	v_div_scale_f64 v[222:223], vcc_lo, 1.0, v[216:217], 1.0
	s_delay_alu instid0(VALU_DEP_1) | instskip(NEXT) | instid1(VALU_DEP_1)
	v_mul_f64 v[224:225], v[222:223], v[220:221]
	v_fma_f64 v[218:219], -v[218:219], v[224:225], v[222:223]
	s_delay_alu instid0(VALU_DEP_1) | instskip(NEXT) | instid1(VALU_DEP_1)
	v_div_fmas_f64 v[218:219], v[218:219], v[220:221], v[224:225]
	v_div_fixup_f64 v[222:223], v[218:219], v[216:217], 1.0
                                        ; implicit-def: $vgpr216_vgpr217
	s_delay_alu instid0(VALU_DEP_1)
	v_mul_f64 v[212:213], v[212:213], v[222:223]
	v_xor_b32_e32 v223, 0x80000000, v223
.LBB109_320:
	s_and_not1_saveexec_b32 s3, s3
	s_cbranch_execz .LBB109_322
; %bb.321:
	v_div_scale_f64 v[212:213], null, v[216:217], v[216:217], v[218:219]
	v_div_scale_f64 v[224:225], vcc_lo, v[218:219], v[216:217], v[218:219]
	s_delay_alu instid0(VALU_DEP_2) | instskip(SKIP_2) | instid1(VALU_DEP_1)
	v_rcp_f64_e32 v[220:221], v[212:213]
	s_waitcnt_depctr 0xfff
	v_fma_f64 v[222:223], -v[212:213], v[220:221], 1.0
	v_fma_f64 v[220:221], v[220:221], v[222:223], v[220:221]
	s_delay_alu instid0(VALU_DEP_1) | instskip(NEXT) | instid1(VALU_DEP_1)
	v_fma_f64 v[222:223], -v[212:213], v[220:221], 1.0
	v_fma_f64 v[220:221], v[220:221], v[222:223], v[220:221]
	s_delay_alu instid0(VALU_DEP_1) | instskip(NEXT) | instid1(VALU_DEP_1)
	v_mul_f64 v[222:223], v[224:225], v[220:221]
	v_fma_f64 v[212:213], -v[212:213], v[222:223], v[224:225]
	s_delay_alu instid0(VALU_DEP_1) | instskip(NEXT) | instid1(VALU_DEP_1)
	v_div_fmas_f64 v[212:213], v[212:213], v[220:221], v[222:223]
	v_div_fixup_f64 v[220:221], v[212:213], v[216:217], v[218:219]
	s_delay_alu instid0(VALU_DEP_1) | instskip(NEXT) | instid1(VALU_DEP_1)
	v_fma_f64 v[212:213], v[218:219], v[220:221], v[216:217]
	v_div_scale_f64 v[216:217], null, v[212:213], v[212:213], 1.0
	s_delay_alu instid0(VALU_DEP_1) | instskip(SKIP_2) | instid1(VALU_DEP_1)
	v_rcp_f64_e32 v[218:219], v[216:217]
	s_waitcnt_depctr 0xfff
	v_fma_f64 v[222:223], -v[216:217], v[218:219], 1.0
	v_fma_f64 v[218:219], v[218:219], v[222:223], v[218:219]
	s_delay_alu instid0(VALU_DEP_1) | instskip(NEXT) | instid1(VALU_DEP_1)
	v_fma_f64 v[222:223], -v[216:217], v[218:219], 1.0
	v_fma_f64 v[218:219], v[218:219], v[222:223], v[218:219]
	v_div_scale_f64 v[222:223], vcc_lo, 1.0, v[212:213], 1.0
	s_delay_alu instid0(VALU_DEP_1) | instskip(NEXT) | instid1(VALU_DEP_1)
	v_mul_f64 v[224:225], v[222:223], v[218:219]
	v_fma_f64 v[216:217], -v[216:217], v[224:225], v[222:223]
	s_delay_alu instid0(VALU_DEP_1) | instskip(NEXT) | instid1(VALU_DEP_1)
	v_div_fmas_f64 v[216:217], v[216:217], v[218:219], v[224:225]
	v_div_fixup_f64 v[212:213], v[216:217], v[212:213], 1.0
	s_delay_alu instid0(VALU_DEP_1)
	v_mul_f64 v[222:223], v[220:221], -v[212:213]
.LBB109_322:
	s_or_b32 exec_lo, exec_lo, s3
	ds_store_2addr_b64 v204, v[212:213], v[222:223] offset1:1
.LBB109_323:
	s_or_b32 exec_lo, exec_lo, s4
	s_waitcnt lgkmcnt(0)
	s_barrier
	buffer_gl0_inv
	ds_load_2addr_b64 v[205:208], v204 offset1:1
	s_mov_b32 s3, exec_lo
	s_waitcnt lgkmcnt(0)
	scratch_store_b128 off, v[205:208], off offset:1064 ; 16-byte Folded Spill
	v_cmpx_lt_u32_e32 35, v215
	s_cbranch_execz .LBB109_325
; %bb.324:
	scratch_load_b128 v[205:208], off, off offset:1064 ; 16-byte Folded Reload
	ds_load_2addr_b64 v[218:221], v214 offset0:72 offset1:73
	s_waitcnt vmcnt(0)
	v_mul_f64 v[212:213], v[207:208], v[78:79]
	v_mul_f64 v[78:79], v[205:206], v[78:79]
	s_delay_alu instid0(VALU_DEP_2) | instskip(NEXT) | instid1(VALU_DEP_2)
	v_fma_f64 v[216:217], v[205:206], v[76:77], -v[212:213]
	v_fma_f64 v[78:79], v[207:208], v[76:77], v[78:79]
	s_waitcnt lgkmcnt(0)
	s_delay_alu instid0(VALU_DEP_1) | instskip(SKIP_1) | instid1(VALU_DEP_2)
	v_mul_f64 v[76:77], v[220:221], v[78:79]
	v_mul_f64 v[212:213], v[218:219], v[78:79]
	v_fma_f64 v[76:77], v[218:219], v[216:217], -v[76:77]
	s_delay_alu instid0(VALU_DEP_2)
	v_fma_f64 v[212:213], v[220:221], v[216:217], v[212:213]
	ds_load_2addr_b64 v[218:221], v214 offset0:74 offset1:75
	v_add_f64 v[72:73], v[72:73], -v[76:77]
	v_add_f64 v[74:75], v[74:75], -v[212:213]
	s_waitcnt lgkmcnt(0)
	v_mul_f64 v[76:77], v[220:221], v[78:79]
	v_mul_f64 v[212:213], v[218:219], v[78:79]
	s_delay_alu instid0(VALU_DEP_2) | instskip(NEXT) | instid1(VALU_DEP_2)
	v_fma_f64 v[76:77], v[218:219], v[216:217], -v[76:77]
	v_fma_f64 v[212:213], v[220:221], v[216:217], v[212:213]
	ds_load_2addr_b64 v[218:221], v214 offset0:76 offset1:77
	v_add_f64 v[68:69], v[68:69], -v[76:77]
	v_add_f64 v[70:71], v[70:71], -v[212:213]
	s_waitcnt lgkmcnt(0)
	v_mul_f64 v[76:77], v[220:221], v[78:79]
	v_mul_f64 v[212:213], v[218:219], v[78:79]
	s_delay_alu instid0(VALU_DEP_2) | instskip(NEXT) | instid1(VALU_DEP_2)
	v_fma_f64 v[76:77], v[218:219], v[216:217], -v[76:77]
	;; [unrolled: 9-line block ×18, first 2 shown]
	v_fma_f64 v[212:213], v[220:221], v[216:217], v[212:213]
	s_delay_alu instid0(VALU_DEP_2) | instskip(NEXT) | instid1(VALU_DEP_2)
	v_add_f64 v[0:1], v[0:1], -v[76:77]
	v_add_f64 v[2:3], v[2:3], -v[212:213]
	v_dual_mov_b32 v76, v216 :: v_dual_mov_b32 v77, v217
.LBB109_325:
	s_or_b32 exec_lo, exec_lo, s3
	s_delay_alu instid0(SALU_CYCLE_1)
	s_mov_b32 s4, exec_lo
	s_waitcnt_vscnt null, 0x0
	s_barrier
	buffer_gl0_inv
	v_cmpx_eq_u32_e32 36, v215
	s_cbranch_execz .LBB109_332
; %bb.326:
	ds_store_2addr_b64 v204, v[72:73], v[74:75] offset1:1
	ds_store_2addr_b64 v214, v[68:69], v[70:71] offset0:74 offset1:75
	ds_store_2addr_b64 v214, v[64:65], v[66:67] offset0:76 offset1:77
	;; [unrolled: 1-line block ×18, first 2 shown]
	ds_load_2addr_b64 v[216:219], v204 offset1:1
	s_waitcnt lgkmcnt(0)
	v_cmp_neq_f64_e32 vcc_lo, 0, v[216:217]
	v_cmp_neq_f64_e64 s3, 0, v[218:219]
	s_delay_alu instid0(VALU_DEP_1) | instskip(NEXT) | instid1(SALU_CYCLE_1)
	s_or_b32 s3, vcc_lo, s3
	s_and_b32 exec_lo, exec_lo, s3
	s_cbranch_execz .LBB109_332
; %bb.327:
	v_cmp_gt_f64_e32 vcc_lo, 0, v[216:217]
	v_xor_b32_e32 v208, 0x80000000, v217
	s_delay_alu instid0(VALU_DEP_1) | instskip(SKIP_3) | instid1(VALU_DEP_1)
	v_cndmask_b32_e32 v213, v217, v208, vcc_lo
	v_cndmask_b32_e32 v212, v216, v216, vcc_lo
	v_cmp_gt_f64_e32 vcc_lo, 0, v[218:219]
	v_xor_b32_e32 v208, 0x80000000, v219
	v_dual_cndmask_b32 v220, v218, v218 :: v_dual_cndmask_b32 v221, v219, v208
	s_delay_alu instid0(VALU_DEP_1) | instskip(SKIP_1) | instid1(SALU_CYCLE_1)
	v_cmp_ngt_f64_e32 vcc_lo, v[212:213], v[220:221]
                                        ; implicit-def: $vgpr212_vgpr213
	s_and_saveexec_b32 s3, vcc_lo
	s_xor_b32 s3, exec_lo, s3
                                        ; implicit-def: $vgpr220_vgpr221_vgpr222_vgpr223
	s_cbranch_execz .LBB109_329
; %bb.328:
	v_div_scale_f64 v[212:213], null, v[218:219], v[218:219], v[216:217]
	v_div_scale_f64 v[224:225], vcc_lo, v[216:217], v[218:219], v[216:217]
	s_delay_alu instid0(VALU_DEP_2) | instskip(SKIP_2) | instid1(VALU_DEP_1)
	v_rcp_f64_e32 v[220:221], v[212:213]
	s_waitcnt_depctr 0xfff
	v_fma_f64 v[222:223], -v[212:213], v[220:221], 1.0
	v_fma_f64 v[220:221], v[220:221], v[222:223], v[220:221]
	s_delay_alu instid0(VALU_DEP_1) | instskip(NEXT) | instid1(VALU_DEP_1)
	v_fma_f64 v[222:223], -v[212:213], v[220:221], 1.0
	v_fma_f64 v[220:221], v[220:221], v[222:223], v[220:221]
	s_delay_alu instid0(VALU_DEP_1) | instskip(NEXT) | instid1(VALU_DEP_1)
	v_mul_f64 v[222:223], v[224:225], v[220:221]
	v_fma_f64 v[212:213], -v[212:213], v[222:223], v[224:225]
	s_delay_alu instid0(VALU_DEP_1) | instskip(NEXT) | instid1(VALU_DEP_1)
	v_div_fmas_f64 v[212:213], v[212:213], v[220:221], v[222:223]
	v_div_fixup_f64 v[212:213], v[212:213], v[218:219], v[216:217]
	s_delay_alu instid0(VALU_DEP_1) | instskip(NEXT) | instid1(VALU_DEP_1)
	v_fma_f64 v[216:217], v[216:217], v[212:213], v[218:219]
	v_div_scale_f64 v[218:219], null, v[216:217], v[216:217], 1.0
	s_delay_alu instid0(VALU_DEP_1) | instskip(SKIP_2) | instid1(VALU_DEP_1)
	v_rcp_f64_e32 v[220:221], v[218:219]
	s_waitcnt_depctr 0xfff
	v_fma_f64 v[222:223], -v[218:219], v[220:221], 1.0
	v_fma_f64 v[220:221], v[220:221], v[222:223], v[220:221]
	s_delay_alu instid0(VALU_DEP_1) | instskip(NEXT) | instid1(VALU_DEP_1)
	v_fma_f64 v[222:223], -v[218:219], v[220:221], 1.0
	v_fma_f64 v[220:221], v[220:221], v[222:223], v[220:221]
	v_div_scale_f64 v[222:223], vcc_lo, 1.0, v[216:217], 1.0
	s_delay_alu instid0(VALU_DEP_1) | instskip(NEXT) | instid1(VALU_DEP_1)
	v_mul_f64 v[224:225], v[222:223], v[220:221]
	v_fma_f64 v[218:219], -v[218:219], v[224:225], v[222:223]
	s_delay_alu instid0(VALU_DEP_1) | instskip(NEXT) | instid1(VALU_DEP_1)
	v_div_fmas_f64 v[218:219], v[218:219], v[220:221], v[224:225]
	v_div_fixup_f64 v[222:223], v[218:219], v[216:217], 1.0
                                        ; implicit-def: $vgpr216_vgpr217
	s_delay_alu instid0(VALU_DEP_1)
	v_mul_f64 v[212:213], v[212:213], v[222:223]
	v_xor_b32_e32 v223, 0x80000000, v223
.LBB109_329:
	s_and_not1_saveexec_b32 s3, s3
	s_cbranch_execz .LBB109_331
; %bb.330:
	v_div_scale_f64 v[212:213], null, v[216:217], v[216:217], v[218:219]
	v_div_scale_f64 v[224:225], vcc_lo, v[218:219], v[216:217], v[218:219]
	s_delay_alu instid0(VALU_DEP_2) | instskip(SKIP_2) | instid1(VALU_DEP_1)
	v_rcp_f64_e32 v[220:221], v[212:213]
	s_waitcnt_depctr 0xfff
	v_fma_f64 v[222:223], -v[212:213], v[220:221], 1.0
	v_fma_f64 v[220:221], v[220:221], v[222:223], v[220:221]
	s_delay_alu instid0(VALU_DEP_1) | instskip(NEXT) | instid1(VALU_DEP_1)
	v_fma_f64 v[222:223], -v[212:213], v[220:221], 1.0
	v_fma_f64 v[220:221], v[220:221], v[222:223], v[220:221]
	s_delay_alu instid0(VALU_DEP_1) | instskip(NEXT) | instid1(VALU_DEP_1)
	v_mul_f64 v[222:223], v[224:225], v[220:221]
	v_fma_f64 v[212:213], -v[212:213], v[222:223], v[224:225]
	s_delay_alu instid0(VALU_DEP_1) | instskip(NEXT) | instid1(VALU_DEP_1)
	v_div_fmas_f64 v[212:213], v[212:213], v[220:221], v[222:223]
	v_div_fixup_f64 v[220:221], v[212:213], v[216:217], v[218:219]
	s_delay_alu instid0(VALU_DEP_1) | instskip(NEXT) | instid1(VALU_DEP_1)
	v_fma_f64 v[212:213], v[218:219], v[220:221], v[216:217]
	v_div_scale_f64 v[216:217], null, v[212:213], v[212:213], 1.0
	s_delay_alu instid0(VALU_DEP_1) | instskip(SKIP_2) | instid1(VALU_DEP_1)
	v_rcp_f64_e32 v[218:219], v[216:217]
	s_waitcnt_depctr 0xfff
	v_fma_f64 v[222:223], -v[216:217], v[218:219], 1.0
	v_fma_f64 v[218:219], v[218:219], v[222:223], v[218:219]
	s_delay_alu instid0(VALU_DEP_1) | instskip(NEXT) | instid1(VALU_DEP_1)
	v_fma_f64 v[222:223], -v[216:217], v[218:219], 1.0
	v_fma_f64 v[218:219], v[218:219], v[222:223], v[218:219]
	v_div_scale_f64 v[222:223], vcc_lo, 1.0, v[212:213], 1.0
	s_delay_alu instid0(VALU_DEP_1) | instskip(NEXT) | instid1(VALU_DEP_1)
	v_mul_f64 v[224:225], v[222:223], v[218:219]
	v_fma_f64 v[216:217], -v[216:217], v[224:225], v[222:223]
	s_delay_alu instid0(VALU_DEP_1) | instskip(NEXT) | instid1(VALU_DEP_1)
	v_div_fmas_f64 v[216:217], v[216:217], v[218:219], v[224:225]
	v_div_fixup_f64 v[212:213], v[216:217], v[212:213], 1.0
	s_delay_alu instid0(VALU_DEP_1)
	v_mul_f64 v[222:223], v[220:221], -v[212:213]
.LBB109_331:
	s_or_b32 exec_lo, exec_lo, s3
	ds_store_2addr_b64 v204, v[212:213], v[222:223] offset1:1
.LBB109_332:
	s_or_b32 exec_lo, exec_lo, s4
	s_waitcnt lgkmcnt(0)
	s_barrier
	buffer_gl0_inv
	ds_load_2addr_b64 v[205:208], v204 offset1:1
	s_mov_b32 s3, exec_lo
	s_waitcnt lgkmcnt(0)
	scratch_store_b128 off, v[205:208], off offset:1080 ; 16-byte Folded Spill
	v_cmpx_lt_u32_e32 36, v215
	s_cbranch_execz .LBB109_334
; %bb.333:
	scratch_load_b128 v[205:208], off, off offset:1080 ; 16-byte Folded Reload
	ds_load_2addr_b64 v[218:221], v214 offset0:74 offset1:75
	s_waitcnt vmcnt(0)
	v_mul_f64 v[212:213], v[207:208], v[74:75]
	v_mul_f64 v[74:75], v[205:206], v[74:75]
	s_delay_alu instid0(VALU_DEP_2) | instskip(NEXT) | instid1(VALU_DEP_2)
	v_fma_f64 v[216:217], v[205:206], v[72:73], -v[212:213]
	v_fma_f64 v[74:75], v[207:208], v[72:73], v[74:75]
	s_waitcnt lgkmcnt(0)
	s_delay_alu instid0(VALU_DEP_1) | instskip(SKIP_1) | instid1(VALU_DEP_2)
	v_mul_f64 v[72:73], v[220:221], v[74:75]
	v_mul_f64 v[212:213], v[218:219], v[74:75]
	v_fma_f64 v[72:73], v[218:219], v[216:217], -v[72:73]
	s_delay_alu instid0(VALU_DEP_2)
	v_fma_f64 v[212:213], v[220:221], v[216:217], v[212:213]
	ds_load_2addr_b64 v[218:221], v214 offset0:76 offset1:77
	v_add_f64 v[68:69], v[68:69], -v[72:73]
	v_add_f64 v[70:71], v[70:71], -v[212:213]
	s_waitcnt lgkmcnt(0)
	v_mul_f64 v[72:73], v[220:221], v[74:75]
	v_mul_f64 v[212:213], v[218:219], v[74:75]
	s_delay_alu instid0(VALU_DEP_2) | instskip(NEXT) | instid1(VALU_DEP_2)
	v_fma_f64 v[72:73], v[218:219], v[216:217], -v[72:73]
	v_fma_f64 v[212:213], v[220:221], v[216:217], v[212:213]
	ds_load_2addr_b64 v[218:221], v214 offset0:78 offset1:79
	v_add_f64 v[64:65], v[64:65], -v[72:73]
	v_add_f64 v[66:67], v[66:67], -v[212:213]
	s_waitcnt lgkmcnt(0)
	v_mul_f64 v[72:73], v[220:221], v[74:75]
	v_mul_f64 v[212:213], v[218:219], v[74:75]
	s_delay_alu instid0(VALU_DEP_2) | instskip(NEXT) | instid1(VALU_DEP_2)
	v_fma_f64 v[72:73], v[218:219], v[216:217], -v[72:73]
	v_fma_f64 v[212:213], v[220:221], v[216:217], v[212:213]
	ds_load_2addr_b64 v[218:221], v214 offset0:80 offset1:81
	v_add_f64 v[60:61], v[60:61], -v[72:73]
	v_add_f64 v[62:63], v[62:63], -v[212:213]
	s_waitcnt lgkmcnt(0)
	v_mul_f64 v[72:73], v[220:221], v[74:75]
	v_mul_f64 v[212:213], v[218:219], v[74:75]
	s_delay_alu instid0(VALU_DEP_2) | instskip(NEXT) | instid1(VALU_DEP_2)
	v_fma_f64 v[72:73], v[218:219], v[216:217], -v[72:73]
	v_fma_f64 v[212:213], v[220:221], v[216:217], v[212:213]
	ds_load_2addr_b64 v[218:221], v214 offset0:82 offset1:83
	v_add_f64 v[56:57], v[56:57], -v[72:73]
	v_add_f64 v[58:59], v[58:59], -v[212:213]
	s_waitcnt lgkmcnt(0)
	v_mul_f64 v[72:73], v[220:221], v[74:75]
	v_mul_f64 v[212:213], v[218:219], v[74:75]
	s_delay_alu instid0(VALU_DEP_2) | instskip(NEXT) | instid1(VALU_DEP_2)
	v_fma_f64 v[72:73], v[218:219], v[216:217], -v[72:73]
	v_fma_f64 v[212:213], v[220:221], v[216:217], v[212:213]
	ds_load_2addr_b64 v[218:221], v214 offset0:84 offset1:85
	v_add_f64 v[52:53], v[52:53], -v[72:73]
	v_add_f64 v[54:55], v[54:55], -v[212:213]
	s_waitcnt lgkmcnt(0)
	v_mul_f64 v[72:73], v[220:221], v[74:75]
	v_mul_f64 v[212:213], v[218:219], v[74:75]
	s_delay_alu instid0(VALU_DEP_2) | instskip(NEXT) | instid1(VALU_DEP_2)
	v_fma_f64 v[72:73], v[218:219], v[216:217], -v[72:73]
	v_fma_f64 v[212:213], v[220:221], v[216:217], v[212:213]
	ds_load_2addr_b64 v[218:221], v214 offset0:86 offset1:87
	v_add_f64 v[48:49], v[48:49], -v[72:73]
	v_add_f64 v[50:51], v[50:51], -v[212:213]
	s_waitcnt lgkmcnt(0)
	v_mul_f64 v[72:73], v[220:221], v[74:75]
	v_mul_f64 v[212:213], v[218:219], v[74:75]
	s_delay_alu instid0(VALU_DEP_2) | instskip(NEXT) | instid1(VALU_DEP_2)
	v_fma_f64 v[72:73], v[218:219], v[216:217], -v[72:73]
	v_fma_f64 v[212:213], v[220:221], v[216:217], v[212:213]
	ds_load_2addr_b64 v[218:221], v214 offset0:88 offset1:89
	v_add_f64 v[44:45], v[44:45], -v[72:73]
	v_add_f64 v[46:47], v[46:47], -v[212:213]
	s_waitcnt lgkmcnt(0)
	v_mul_f64 v[72:73], v[220:221], v[74:75]
	v_mul_f64 v[212:213], v[218:219], v[74:75]
	s_delay_alu instid0(VALU_DEP_2) | instskip(NEXT) | instid1(VALU_DEP_2)
	v_fma_f64 v[72:73], v[218:219], v[216:217], -v[72:73]
	v_fma_f64 v[212:213], v[220:221], v[216:217], v[212:213]
	ds_load_2addr_b64 v[218:221], v214 offset0:90 offset1:91
	v_add_f64 v[40:41], v[40:41], -v[72:73]
	v_add_f64 v[42:43], v[42:43], -v[212:213]
	s_waitcnt lgkmcnt(0)
	v_mul_f64 v[72:73], v[220:221], v[74:75]
	v_mul_f64 v[212:213], v[218:219], v[74:75]
	s_delay_alu instid0(VALU_DEP_2) | instskip(NEXT) | instid1(VALU_DEP_2)
	v_fma_f64 v[72:73], v[218:219], v[216:217], -v[72:73]
	v_fma_f64 v[212:213], v[220:221], v[216:217], v[212:213]
	ds_load_2addr_b64 v[218:221], v214 offset0:92 offset1:93
	v_add_f64 v[36:37], v[36:37], -v[72:73]
	v_add_f64 v[38:39], v[38:39], -v[212:213]
	s_waitcnt lgkmcnt(0)
	v_mul_f64 v[72:73], v[220:221], v[74:75]
	v_mul_f64 v[212:213], v[218:219], v[74:75]
	s_delay_alu instid0(VALU_DEP_2) | instskip(NEXT) | instid1(VALU_DEP_2)
	v_fma_f64 v[72:73], v[218:219], v[216:217], -v[72:73]
	v_fma_f64 v[212:213], v[220:221], v[216:217], v[212:213]
	ds_load_2addr_b64 v[218:221], v214 offset0:94 offset1:95
	v_add_f64 v[32:33], v[32:33], -v[72:73]
	v_add_f64 v[34:35], v[34:35], -v[212:213]
	s_waitcnt lgkmcnt(0)
	v_mul_f64 v[72:73], v[220:221], v[74:75]
	v_mul_f64 v[212:213], v[218:219], v[74:75]
	s_delay_alu instid0(VALU_DEP_2) | instskip(NEXT) | instid1(VALU_DEP_2)
	v_fma_f64 v[72:73], v[218:219], v[216:217], -v[72:73]
	v_fma_f64 v[212:213], v[220:221], v[216:217], v[212:213]
	ds_load_2addr_b64 v[218:221], v214 offset0:96 offset1:97
	v_add_f64 v[28:29], v[28:29], -v[72:73]
	v_add_f64 v[30:31], v[30:31], -v[212:213]
	s_waitcnt lgkmcnt(0)
	v_mul_f64 v[72:73], v[220:221], v[74:75]
	v_mul_f64 v[212:213], v[218:219], v[74:75]
	s_delay_alu instid0(VALU_DEP_2) | instskip(NEXT) | instid1(VALU_DEP_2)
	v_fma_f64 v[72:73], v[218:219], v[216:217], -v[72:73]
	v_fma_f64 v[212:213], v[220:221], v[216:217], v[212:213]
	ds_load_2addr_b64 v[218:221], v214 offset0:98 offset1:99
	v_add_f64 v[24:25], v[24:25], -v[72:73]
	v_add_f64 v[26:27], v[26:27], -v[212:213]
	s_waitcnt lgkmcnt(0)
	v_mul_f64 v[72:73], v[220:221], v[74:75]
	v_mul_f64 v[212:213], v[218:219], v[74:75]
	s_delay_alu instid0(VALU_DEP_2) | instskip(NEXT) | instid1(VALU_DEP_2)
	v_fma_f64 v[72:73], v[218:219], v[216:217], -v[72:73]
	v_fma_f64 v[212:213], v[220:221], v[216:217], v[212:213]
	ds_load_2addr_b64 v[218:221], v214 offset0:100 offset1:101
	v_add_f64 v[20:21], v[20:21], -v[72:73]
	v_add_f64 v[22:23], v[22:23], -v[212:213]
	s_waitcnt lgkmcnt(0)
	v_mul_f64 v[72:73], v[220:221], v[74:75]
	v_mul_f64 v[212:213], v[218:219], v[74:75]
	s_delay_alu instid0(VALU_DEP_2) | instskip(NEXT) | instid1(VALU_DEP_2)
	v_fma_f64 v[72:73], v[218:219], v[216:217], -v[72:73]
	v_fma_f64 v[212:213], v[220:221], v[216:217], v[212:213]
	ds_load_2addr_b64 v[218:221], v214 offset0:102 offset1:103
	v_add_f64 v[16:17], v[16:17], -v[72:73]
	v_add_f64 v[18:19], v[18:19], -v[212:213]
	s_waitcnt lgkmcnt(0)
	v_mul_f64 v[72:73], v[220:221], v[74:75]
	v_mul_f64 v[212:213], v[218:219], v[74:75]
	s_delay_alu instid0(VALU_DEP_2) | instskip(NEXT) | instid1(VALU_DEP_2)
	v_fma_f64 v[72:73], v[218:219], v[216:217], -v[72:73]
	v_fma_f64 v[212:213], v[220:221], v[216:217], v[212:213]
	ds_load_2addr_b64 v[218:221], v214 offset0:104 offset1:105
	v_add_f64 v[12:13], v[12:13], -v[72:73]
	v_add_f64 v[14:15], v[14:15], -v[212:213]
	s_waitcnt lgkmcnt(0)
	v_mul_f64 v[72:73], v[220:221], v[74:75]
	v_mul_f64 v[212:213], v[218:219], v[74:75]
	s_delay_alu instid0(VALU_DEP_2) | instskip(NEXT) | instid1(VALU_DEP_2)
	v_fma_f64 v[72:73], v[218:219], v[216:217], -v[72:73]
	v_fma_f64 v[212:213], v[220:221], v[216:217], v[212:213]
	ds_load_2addr_b64 v[218:221], v214 offset0:106 offset1:107
	v_add_f64 v[8:9], v[8:9], -v[72:73]
	v_add_f64 v[10:11], v[10:11], -v[212:213]
	s_waitcnt lgkmcnt(0)
	v_mul_f64 v[72:73], v[220:221], v[74:75]
	v_mul_f64 v[212:213], v[218:219], v[74:75]
	s_delay_alu instid0(VALU_DEP_2) | instskip(NEXT) | instid1(VALU_DEP_2)
	v_fma_f64 v[72:73], v[218:219], v[216:217], -v[72:73]
	v_fma_f64 v[212:213], v[220:221], v[216:217], v[212:213]
	ds_load_2addr_b64 v[218:221], v214 offset0:108 offset1:109
	v_add_f64 v[4:5], v[4:5], -v[72:73]
	v_add_f64 v[6:7], v[6:7], -v[212:213]
	s_waitcnt lgkmcnt(0)
	v_mul_f64 v[72:73], v[220:221], v[74:75]
	v_mul_f64 v[212:213], v[218:219], v[74:75]
	s_delay_alu instid0(VALU_DEP_2) | instskip(NEXT) | instid1(VALU_DEP_2)
	v_fma_f64 v[72:73], v[218:219], v[216:217], -v[72:73]
	v_fma_f64 v[212:213], v[220:221], v[216:217], v[212:213]
	s_delay_alu instid0(VALU_DEP_2) | instskip(NEXT) | instid1(VALU_DEP_2)
	v_add_f64 v[0:1], v[0:1], -v[72:73]
	v_add_f64 v[2:3], v[2:3], -v[212:213]
	v_dual_mov_b32 v72, v216 :: v_dual_mov_b32 v73, v217
.LBB109_334:
	s_or_b32 exec_lo, exec_lo, s3
	s_delay_alu instid0(SALU_CYCLE_1)
	s_mov_b32 s4, exec_lo
	s_waitcnt_vscnt null, 0x0
	s_barrier
	buffer_gl0_inv
	v_cmpx_eq_u32_e32 37, v215
	s_cbranch_execz .LBB109_341
; %bb.335:
	ds_store_2addr_b64 v204, v[68:69], v[70:71] offset1:1
	ds_store_2addr_b64 v214, v[64:65], v[66:67] offset0:76 offset1:77
	ds_store_2addr_b64 v214, v[60:61], v[62:63] offset0:78 offset1:79
	;; [unrolled: 1-line block ×17, first 2 shown]
	ds_load_2addr_b64 v[216:219], v204 offset1:1
	s_waitcnt lgkmcnt(0)
	v_cmp_neq_f64_e32 vcc_lo, 0, v[216:217]
	v_cmp_neq_f64_e64 s3, 0, v[218:219]
	s_delay_alu instid0(VALU_DEP_1) | instskip(NEXT) | instid1(SALU_CYCLE_1)
	s_or_b32 s3, vcc_lo, s3
	s_and_b32 exec_lo, exec_lo, s3
	s_cbranch_execz .LBB109_341
; %bb.336:
	v_cmp_gt_f64_e32 vcc_lo, 0, v[216:217]
	v_xor_b32_e32 v208, 0x80000000, v217
	s_delay_alu instid0(VALU_DEP_1) | instskip(SKIP_3) | instid1(VALU_DEP_1)
	v_cndmask_b32_e32 v213, v217, v208, vcc_lo
	v_cndmask_b32_e32 v212, v216, v216, vcc_lo
	v_cmp_gt_f64_e32 vcc_lo, 0, v[218:219]
	v_xor_b32_e32 v208, 0x80000000, v219
	v_dual_cndmask_b32 v220, v218, v218 :: v_dual_cndmask_b32 v221, v219, v208
	s_delay_alu instid0(VALU_DEP_1) | instskip(SKIP_1) | instid1(SALU_CYCLE_1)
	v_cmp_ngt_f64_e32 vcc_lo, v[212:213], v[220:221]
                                        ; implicit-def: $vgpr212_vgpr213
	s_and_saveexec_b32 s3, vcc_lo
	s_xor_b32 s3, exec_lo, s3
                                        ; implicit-def: $vgpr220_vgpr221_vgpr222_vgpr223
	s_cbranch_execz .LBB109_338
; %bb.337:
	v_div_scale_f64 v[212:213], null, v[218:219], v[218:219], v[216:217]
	v_div_scale_f64 v[224:225], vcc_lo, v[216:217], v[218:219], v[216:217]
	s_delay_alu instid0(VALU_DEP_2) | instskip(SKIP_2) | instid1(VALU_DEP_1)
	v_rcp_f64_e32 v[220:221], v[212:213]
	s_waitcnt_depctr 0xfff
	v_fma_f64 v[222:223], -v[212:213], v[220:221], 1.0
	v_fma_f64 v[220:221], v[220:221], v[222:223], v[220:221]
	s_delay_alu instid0(VALU_DEP_1) | instskip(NEXT) | instid1(VALU_DEP_1)
	v_fma_f64 v[222:223], -v[212:213], v[220:221], 1.0
	v_fma_f64 v[220:221], v[220:221], v[222:223], v[220:221]
	s_delay_alu instid0(VALU_DEP_1) | instskip(NEXT) | instid1(VALU_DEP_1)
	v_mul_f64 v[222:223], v[224:225], v[220:221]
	v_fma_f64 v[212:213], -v[212:213], v[222:223], v[224:225]
	s_delay_alu instid0(VALU_DEP_1) | instskip(NEXT) | instid1(VALU_DEP_1)
	v_div_fmas_f64 v[212:213], v[212:213], v[220:221], v[222:223]
	v_div_fixup_f64 v[212:213], v[212:213], v[218:219], v[216:217]
	s_delay_alu instid0(VALU_DEP_1) | instskip(NEXT) | instid1(VALU_DEP_1)
	v_fma_f64 v[216:217], v[216:217], v[212:213], v[218:219]
	v_div_scale_f64 v[218:219], null, v[216:217], v[216:217], 1.0
	s_delay_alu instid0(VALU_DEP_1) | instskip(SKIP_2) | instid1(VALU_DEP_1)
	v_rcp_f64_e32 v[220:221], v[218:219]
	s_waitcnt_depctr 0xfff
	v_fma_f64 v[222:223], -v[218:219], v[220:221], 1.0
	v_fma_f64 v[220:221], v[220:221], v[222:223], v[220:221]
	s_delay_alu instid0(VALU_DEP_1) | instskip(NEXT) | instid1(VALU_DEP_1)
	v_fma_f64 v[222:223], -v[218:219], v[220:221], 1.0
	v_fma_f64 v[220:221], v[220:221], v[222:223], v[220:221]
	v_div_scale_f64 v[222:223], vcc_lo, 1.0, v[216:217], 1.0
	s_delay_alu instid0(VALU_DEP_1) | instskip(NEXT) | instid1(VALU_DEP_1)
	v_mul_f64 v[224:225], v[222:223], v[220:221]
	v_fma_f64 v[218:219], -v[218:219], v[224:225], v[222:223]
	s_delay_alu instid0(VALU_DEP_1) | instskip(NEXT) | instid1(VALU_DEP_1)
	v_div_fmas_f64 v[218:219], v[218:219], v[220:221], v[224:225]
	v_div_fixup_f64 v[222:223], v[218:219], v[216:217], 1.0
                                        ; implicit-def: $vgpr216_vgpr217
	s_delay_alu instid0(VALU_DEP_1)
	v_mul_f64 v[212:213], v[212:213], v[222:223]
	v_xor_b32_e32 v223, 0x80000000, v223
.LBB109_338:
	s_and_not1_saveexec_b32 s3, s3
	s_cbranch_execz .LBB109_340
; %bb.339:
	v_div_scale_f64 v[212:213], null, v[216:217], v[216:217], v[218:219]
	v_div_scale_f64 v[224:225], vcc_lo, v[218:219], v[216:217], v[218:219]
	s_delay_alu instid0(VALU_DEP_2) | instskip(SKIP_2) | instid1(VALU_DEP_1)
	v_rcp_f64_e32 v[220:221], v[212:213]
	s_waitcnt_depctr 0xfff
	v_fma_f64 v[222:223], -v[212:213], v[220:221], 1.0
	v_fma_f64 v[220:221], v[220:221], v[222:223], v[220:221]
	s_delay_alu instid0(VALU_DEP_1) | instskip(NEXT) | instid1(VALU_DEP_1)
	v_fma_f64 v[222:223], -v[212:213], v[220:221], 1.0
	v_fma_f64 v[220:221], v[220:221], v[222:223], v[220:221]
	s_delay_alu instid0(VALU_DEP_1) | instskip(NEXT) | instid1(VALU_DEP_1)
	v_mul_f64 v[222:223], v[224:225], v[220:221]
	v_fma_f64 v[212:213], -v[212:213], v[222:223], v[224:225]
	s_delay_alu instid0(VALU_DEP_1) | instskip(NEXT) | instid1(VALU_DEP_1)
	v_div_fmas_f64 v[212:213], v[212:213], v[220:221], v[222:223]
	v_div_fixup_f64 v[220:221], v[212:213], v[216:217], v[218:219]
	s_delay_alu instid0(VALU_DEP_1) | instskip(NEXT) | instid1(VALU_DEP_1)
	v_fma_f64 v[212:213], v[218:219], v[220:221], v[216:217]
	v_div_scale_f64 v[216:217], null, v[212:213], v[212:213], 1.0
	s_delay_alu instid0(VALU_DEP_1) | instskip(SKIP_2) | instid1(VALU_DEP_1)
	v_rcp_f64_e32 v[218:219], v[216:217]
	s_waitcnt_depctr 0xfff
	v_fma_f64 v[222:223], -v[216:217], v[218:219], 1.0
	v_fma_f64 v[218:219], v[218:219], v[222:223], v[218:219]
	s_delay_alu instid0(VALU_DEP_1) | instskip(NEXT) | instid1(VALU_DEP_1)
	v_fma_f64 v[222:223], -v[216:217], v[218:219], 1.0
	v_fma_f64 v[218:219], v[218:219], v[222:223], v[218:219]
	v_div_scale_f64 v[222:223], vcc_lo, 1.0, v[212:213], 1.0
	s_delay_alu instid0(VALU_DEP_1) | instskip(NEXT) | instid1(VALU_DEP_1)
	v_mul_f64 v[224:225], v[222:223], v[218:219]
	v_fma_f64 v[216:217], -v[216:217], v[224:225], v[222:223]
	s_delay_alu instid0(VALU_DEP_1) | instskip(NEXT) | instid1(VALU_DEP_1)
	v_div_fmas_f64 v[216:217], v[216:217], v[218:219], v[224:225]
	v_div_fixup_f64 v[212:213], v[216:217], v[212:213], 1.0
	s_delay_alu instid0(VALU_DEP_1)
	v_mul_f64 v[222:223], v[220:221], -v[212:213]
.LBB109_340:
	s_or_b32 exec_lo, exec_lo, s3
	ds_store_2addr_b64 v204, v[212:213], v[222:223] offset1:1
.LBB109_341:
	s_or_b32 exec_lo, exec_lo, s4
	s_waitcnt lgkmcnt(0)
	s_barrier
	buffer_gl0_inv
	ds_load_2addr_b64 v[205:208], v204 offset1:1
	s_mov_b32 s3, exec_lo
	s_waitcnt lgkmcnt(0)
	scratch_store_b128 off, v[205:208], off offset:1096 ; 16-byte Folded Spill
	v_cmpx_lt_u32_e32 37, v215
	s_cbranch_execz .LBB109_343
; %bb.342:
	scratch_load_b128 v[205:208], off, off offset:1096 ; 16-byte Folded Reload
	ds_load_2addr_b64 v[218:221], v214 offset0:76 offset1:77
	s_waitcnt vmcnt(0)
	v_mul_f64 v[212:213], v[207:208], v[70:71]
	v_mul_f64 v[70:71], v[205:206], v[70:71]
	s_delay_alu instid0(VALU_DEP_2) | instskip(NEXT) | instid1(VALU_DEP_2)
	v_fma_f64 v[216:217], v[205:206], v[68:69], -v[212:213]
	v_fma_f64 v[70:71], v[207:208], v[68:69], v[70:71]
	s_waitcnt lgkmcnt(0)
	s_delay_alu instid0(VALU_DEP_1) | instskip(SKIP_1) | instid1(VALU_DEP_2)
	v_mul_f64 v[68:69], v[220:221], v[70:71]
	v_mul_f64 v[212:213], v[218:219], v[70:71]
	v_fma_f64 v[68:69], v[218:219], v[216:217], -v[68:69]
	s_delay_alu instid0(VALU_DEP_2)
	v_fma_f64 v[212:213], v[220:221], v[216:217], v[212:213]
	ds_load_2addr_b64 v[218:221], v214 offset0:78 offset1:79
	v_add_f64 v[64:65], v[64:65], -v[68:69]
	v_add_f64 v[66:67], v[66:67], -v[212:213]
	s_waitcnt lgkmcnt(0)
	v_mul_f64 v[68:69], v[220:221], v[70:71]
	v_mul_f64 v[212:213], v[218:219], v[70:71]
	s_delay_alu instid0(VALU_DEP_2) | instskip(NEXT) | instid1(VALU_DEP_2)
	v_fma_f64 v[68:69], v[218:219], v[216:217], -v[68:69]
	v_fma_f64 v[212:213], v[220:221], v[216:217], v[212:213]
	ds_load_2addr_b64 v[218:221], v214 offset0:80 offset1:81
	v_add_f64 v[60:61], v[60:61], -v[68:69]
	v_add_f64 v[62:63], v[62:63], -v[212:213]
	s_waitcnt lgkmcnt(0)
	v_mul_f64 v[68:69], v[220:221], v[70:71]
	v_mul_f64 v[212:213], v[218:219], v[70:71]
	s_delay_alu instid0(VALU_DEP_2) | instskip(NEXT) | instid1(VALU_DEP_2)
	v_fma_f64 v[68:69], v[218:219], v[216:217], -v[68:69]
	;; [unrolled: 9-line block ×16, first 2 shown]
	v_fma_f64 v[212:213], v[220:221], v[216:217], v[212:213]
	s_delay_alu instid0(VALU_DEP_2) | instskip(NEXT) | instid1(VALU_DEP_2)
	v_add_f64 v[0:1], v[0:1], -v[68:69]
	v_add_f64 v[2:3], v[2:3], -v[212:213]
	v_dual_mov_b32 v68, v216 :: v_dual_mov_b32 v69, v217
.LBB109_343:
	s_or_b32 exec_lo, exec_lo, s3
	s_delay_alu instid0(SALU_CYCLE_1)
	s_mov_b32 s4, exec_lo
	s_waitcnt_vscnt null, 0x0
	s_barrier
	buffer_gl0_inv
	v_cmpx_eq_u32_e32 38, v215
	s_cbranch_execz .LBB109_350
; %bb.344:
	ds_store_2addr_b64 v204, v[64:65], v[66:67] offset1:1
	ds_store_2addr_b64 v214, v[60:61], v[62:63] offset0:78 offset1:79
	ds_store_2addr_b64 v214, v[56:57], v[58:59] offset0:80 offset1:81
	ds_store_2addr_b64 v214, v[52:53], v[54:55] offset0:82 offset1:83
	ds_store_2addr_b64 v214, v[48:49], v[50:51] offset0:84 offset1:85
	ds_store_2addr_b64 v214, v[44:45], v[46:47] offset0:86 offset1:87
	ds_store_2addr_b64 v214, v[40:41], v[42:43] offset0:88 offset1:89
	ds_store_2addr_b64 v214, v[36:37], v[38:39] offset0:90 offset1:91
	ds_store_2addr_b64 v214, v[32:33], v[34:35] offset0:92 offset1:93
	ds_store_2addr_b64 v214, v[28:29], v[30:31] offset0:94 offset1:95
	ds_store_2addr_b64 v214, v[24:25], v[26:27] offset0:96 offset1:97
	ds_store_2addr_b64 v214, v[20:21], v[22:23] offset0:98 offset1:99
	ds_store_2addr_b64 v214, v[16:17], v[18:19] offset0:100 offset1:101
	ds_store_2addr_b64 v214, v[12:13], v[14:15] offset0:102 offset1:103
	ds_store_2addr_b64 v214, v[8:9], v[10:11] offset0:104 offset1:105
	ds_store_2addr_b64 v214, v[4:5], v[6:7] offset0:106 offset1:107
	ds_store_2addr_b64 v214, v[0:1], v[2:3] offset0:108 offset1:109
	ds_load_2addr_b64 v[216:219], v204 offset1:1
	s_waitcnt lgkmcnt(0)
	v_cmp_neq_f64_e32 vcc_lo, 0, v[216:217]
	v_cmp_neq_f64_e64 s3, 0, v[218:219]
	s_delay_alu instid0(VALU_DEP_1) | instskip(NEXT) | instid1(SALU_CYCLE_1)
	s_or_b32 s3, vcc_lo, s3
	s_and_b32 exec_lo, exec_lo, s3
	s_cbranch_execz .LBB109_350
; %bb.345:
	v_cmp_gt_f64_e32 vcc_lo, 0, v[216:217]
	v_xor_b32_e32 v208, 0x80000000, v217
	s_delay_alu instid0(VALU_DEP_1) | instskip(SKIP_3) | instid1(VALU_DEP_1)
	v_cndmask_b32_e32 v213, v217, v208, vcc_lo
	v_cndmask_b32_e32 v212, v216, v216, vcc_lo
	v_cmp_gt_f64_e32 vcc_lo, 0, v[218:219]
	v_xor_b32_e32 v208, 0x80000000, v219
	v_dual_cndmask_b32 v220, v218, v218 :: v_dual_cndmask_b32 v221, v219, v208
	s_delay_alu instid0(VALU_DEP_1) | instskip(SKIP_1) | instid1(SALU_CYCLE_1)
	v_cmp_ngt_f64_e32 vcc_lo, v[212:213], v[220:221]
                                        ; implicit-def: $vgpr212_vgpr213
	s_and_saveexec_b32 s3, vcc_lo
	s_xor_b32 s3, exec_lo, s3
                                        ; implicit-def: $vgpr220_vgpr221_vgpr222_vgpr223
	s_cbranch_execz .LBB109_347
; %bb.346:
	v_div_scale_f64 v[212:213], null, v[218:219], v[218:219], v[216:217]
	v_div_scale_f64 v[224:225], vcc_lo, v[216:217], v[218:219], v[216:217]
	s_delay_alu instid0(VALU_DEP_2) | instskip(SKIP_2) | instid1(VALU_DEP_1)
	v_rcp_f64_e32 v[220:221], v[212:213]
	s_waitcnt_depctr 0xfff
	v_fma_f64 v[222:223], -v[212:213], v[220:221], 1.0
	v_fma_f64 v[220:221], v[220:221], v[222:223], v[220:221]
	s_delay_alu instid0(VALU_DEP_1) | instskip(NEXT) | instid1(VALU_DEP_1)
	v_fma_f64 v[222:223], -v[212:213], v[220:221], 1.0
	v_fma_f64 v[220:221], v[220:221], v[222:223], v[220:221]
	s_delay_alu instid0(VALU_DEP_1) | instskip(NEXT) | instid1(VALU_DEP_1)
	v_mul_f64 v[222:223], v[224:225], v[220:221]
	v_fma_f64 v[212:213], -v[212:213], v[222:223], v[224:225]
	s_delay_alu instid0(VALU_DEP_1) | instskip(NEXT) | instid1(VALU_DEP_1)
	v_div_fmas_f64 v[212:213], v[212:213], v[220:221], v[222:223]
	v_div_fixup_f64 v[212:213], v[212:213], v[218:219], v[216:217]
	s_delay_alu instid0(VALU_DEP_1) | instskip(NEXT) | instid1(VALU_DEP_1)
	v_fma_f64 v[216:217], v[216:217], v[212:213], v[218:219]
	v_div_scale_f64 v[218:219], null, v[216:217], v[216:217], 1.0
	s_delay_alu instid0(VALU_DEP_1) | instskip(SKIP_2) | instid1(VALU_DEP_1)
	v_rcp_f64_e32 v[220:221], v[218:219]
	s_waitcnt_depctr 0xfff
	v_fma_f64 v[222:223], -v[218:219], v[220:221], 1.0
	v_fma_f64 v[220:221], v[220:221], v[222:223], v[220:221]
	s_delay_alu instid0(VALU_DEP_1) | instskip(NEXT) | instid1(VALU_DEP_1)
	v_fma_f64 v[222:223], -v[218:219], v[220:221], 1.0
	v_fma_f64 v[220:221], v[220:221], v[222:223], v[220:221]
	v_div_scale_f64 v[222:223], vcc_lo, 1.0, v[216:217], 1.0
	s_delay_alu instid0(VALU_DEP_1) | instskip(NEXT) | instid1(VALU_DEP_1)
	v_mul_f64 v[224:225], v[222:223], v[220:221]
	v_fma_f64 v[218:219], -v[218:219], v[224:225], v[222:223]
	s_delay_alu instid0(VALU_DEP_1) | instskip(NEXT) | instid1(VALU_DEP_1)
	v_div_fmas_f64 v[218:219], v[218:219], v[220:221], v[224:225]
	v_div_fixup_f64 v[222:223], v[218:219], v[216:217], 1.0
                                        ; implicit-def: $vgpr216_vgpr217
	s_delay_alu instid0(VALU_DEP_1)
	v_mul_f64 v[212:213], v[212:213], v[222:223]
	v_xor_b32_e32 v223, 0x80000000, v223
.LBB109_347:
	s_and_not1_saveexec_b32 s3, s3
	s_cbranch_execz .LBB109_349
; %bb.348:
	v_div_scale_f64 v[212:213], null, v[216:217], v[216:217], v[218:219]
	v_div_scale_f64 v[224:225], vcc_lo, v[218:219], v[216:217], v[218:219]
	s_delay_alu instid0(VALU_DEP_2) | instskip(SKIP_2) | instid1(VALU_DEP_1)
	v_rcp_f64_e32 v[220:221], v[212:213]
	s_waitcnt_depctr 0xfff
	v_fma_f64 v[222:223], -v[212:213], v[220:221], 1.0
	v_fma_f64 v[220:221], v[220:221], v[222:223], v[220:221]
	s_delay_alu instid0(VALU_DEP_1) | instskip(NEXT) | instid1(VALU_DEP_1)
	v_fma_f64 v[222:223], -v[212:213], v[220:221], 1.0
	v_fma_f64 v[220:221], v[220:221], v[222:223], v[220:221]
	s_delay_alu instid0(VALU_DEP_1) | instskip(NEXT) | instid1(VALU_DEP_1)
	v_mul_f64 v[222:223], v[224:225], v[220:221]
	v_fma_f64 v[212:213], -v[212:213], v[222:223], v[224:225]
	s_delay_alu instid0(VALU_DEP_1) | instskip(NEXT) | instid1(VALU_DEP_1)
	v_div_fmas_f64 v[212:213], v[212:213], v[220:221], v[222:223]
	v_div_fixup_f64 v[220:221], v[212:213], v[216:217], v[218:219]
	s_delay_alu instid0(VALU_DEP_1) | instskip(NEXT) | instid1(VALU_DEP_1)
	v_fma_f64 v[212:213], v[218:219], v[220:221], v[216:217]
	v_div_scale_f64 v[216:217], null, v[212:213], v[212:213], 1.0
	s_delay_alu instid0(VALU_DEP_1) | instskip(SKIP_2) | instid1(VALU_DEP_1)
	v_rcp_f64_e32 v[218:219], v[216:217]
	s_waitcnt_depctr 0xfff
	v_fma_f64 v[222:223], -v[216:217], v[218:219], 1.0
	v_fma_f64 v[218:219], v[218:219], v[222:223], v[218:219]
	s_delay_alu instid0(VALU_DEP_1) | instskip(NEXT) | instid1(VALU_DEP_1)
	v_fma_f64 v[222:223], -v[216:217], v[218:219], 1.0
	v_fma_f64 v[218:219], v[218:219], v[222:223], v[218:219]
	v_div_scale_f64 v[222:223], vcc_lo, 1.0, v[212:213], 1.0
	s_delay_alu instid0(VALU_DEP_1) | instskip(NEXT) | instid1(VALU_DEP_1)
	v_mul_f64 v[224:225], v[222:223], v[218:219]
	v_fma_f64 v[216:217], -v[216:217], v[224:225], v[222:223]
	s_delay_alu instid0(VALU_DEP_1) | instskip(NEXT) | instid1(VALU_DEP_1)
	v_div_fmas_f64 v[216:217], v[216:217], v[218:219], v[224:225]
	v_div_fixup_f64 v[212:213], v[216:217], v[212:213], 1.0
	s_delay_alu instid0(VALU_DEP_1)
	v_mul_f64 v[222:223], v[220:221], -v[212:213]
.LBB109_349:
	s_or_b32 exec_lo, exec_lo, s3
	ds_store_2addr_b64 v204, v[212:213], v[222:223] offset1:1
.LBB109_350:
	s_or_b32 exec_lo, exec_lo, s4
	s_waitcnt lgkmcnt(0)
	s_barrier
	buffer_gl0_inv
	ds_load_2addr_b64 v[205:208], v204 offset1:1
	s_mov_b32 s3, exec_lo
	s_waitcnt lgkmcnt(0)
	scratch_store_b128 off, v[205:208], off offset:1112 ; 16-byte Folded Spill
	v_cmpx_lt_u32_e32 38, v215
	s_cbranch_execz .LBB109_352
; %bb.351:
	scratch_load_b128 v[205:208], off, off offset:1112 ; 16-byte Folded Reload
	ds_load_2addr_b64 v[218:221], v214 offset0:78 offset1:79
	s_waitcnt vmcnt(0)
	v_mul_f64 v[212:213], v[205:206], v[66:67]
	v_mul_f64 v[66:67], v[207:208], v[66:67]
	s_delay_alu instid0(VALU_DEP_2) | instskip(NEXT) | instid1(VALU_DEP_2)
	v_fma_f64 v[216:217], v[207:208], v[64:65], v[212:213]
	v_fma_f64 v[64:65], v[205:206], v[64:65], -v[66:67]
	s_waitcnt lgkmcnt(0)
	s_delay_alu instid0(VALU_DEP_2) | instskip(SKIP_1) | instid1(VALU_DEP_2)
	v_mul_f64 v[66:67], v[220:221], v[216:217]
	v_mul_f64 v[212:213], v[218:219], v[216:217]
	v_fma_f64 v[66:67], v[218:219], v[64:65], -v[66:67]
	s_delay_alu instid0(VALU_DEP_2)
	v_fma_f64 v[212:213], v[220:221], v[64:65], v[212:213]
	ds_load_2addr_b64 v[218:221], v214 offset0:80 offset1:81
	v_add_f64 v[60:61], v[60:61], -v[66:67]
	v_add_f64 v[62:63], v[62:63], -v[212:213]
	s_waitcnt lgkmcnt(0)
	v_mul_f64 v[66:67], v[220:221], v[216:217]
	v_mul_f64 v[212:213], v[218:219], v[216:217]
	s_delay_alu instid0(VALU_DEP_2) | instskip(NEXT) | instid1(VALU_DEP_2)
	v_fma_f64 v[66:67], v[218:219], v[64:65], -v[66:67]
	v_fma_f64 v[212:213], v[220:221], v[64:65], v[212:213]
	ds_load_2addr_b64 v[218:221], v214 offset0:82 offset1:83
	v_add_f64 v[56:57], v[56:57], -v[66:67]
	v_add_f64 v[58:59], v[58:59], -v[212:213]
	s_waitcnt lgkmcnt(0)
	v_mul_f64 v[66:67], v[220:221], v[216:217]
	v_mul_f64 v[212:213], v[218:219], v[216:217]
	s_delay_alu instid0(VALU_DEP_2) | instskip(NEXT) | instid1(VALU_DEP_2)
	v_fma_f64 v[66:67], v[218:219], v[64:65], -v[66:67]
	;; [unrolled: 9-line block ×15, first 2 shown]
	v_fma_f64 v[212:213], v[220:221], v[64:65], v[212:213]
	s_delay_alu instid0(VALU_DEP_2) | instskip(NEXT) | instid1(VALU_DEP_2)
	v_add_f64 v[0:1], v[0:1], -v[66:67]
	v_add_f64 v[2:3], v[2:3], -v[212:213]
	v_dual_mov_b32 v66, v216 :: v_dual_mov_b32 v67, v217
.LBB109_352:
	s_or_b32 exec_lo, exec_lo, s3
	s_delay_alu instid0(SALU_CYCLE_1)
	s_mov_b32 s4, exec_lo
	s_waitcnt_vscnt null, 0x0
	s_barrier
	buffer_gl0_inv
	v_cmpx_eq_u32_e32 39, v215
	s_cbranch_execz .LBB109_359
; %bb.353:
	ds_store_2addr_b64 v204, v[60:61], v[62:63] offset1:1
	ds_store_2addr_b64 v214, v[56:57], v[58:59] offset0:80 offset1:81
	ds_store_2addr_b64 v214, v[52:53], v[54:55] offset0:82 offset1:83
	;; [unrolled: 1-line block ×15, first 2 shown]
	ds_load_2addr_b64 v[216:219], v204 offset1:1
	s_waitcnt lgkmcnt(0)
	v_cmp_neq_f64_e32 vcc_lo, 0, v[216:217]
	v_cmp_neq_f64_e64 s3, 0, v[218:219]
	s_delay_alu instid0(VALU_DEP_1) | instskip(NEXT) | instid1(SALU_CYCLE_1)
	s_or_b32 s3, vcc_lo, s3
	s_and_b32 exec_lo, exec_lo, s3
	s_cbranch_execz .LBB109_359
; %bb.354:
	v_cmp_gt_f64_e32 vcc_lo, 0, v[216:217]
	v_xor_b32_e32 v208, 0x80000000, v217
	s_delay_alu instid0(VALU_DEP_1) | instskip(SKIP_3) | instid1(VALU_DEP_1)
	v_cndmask_b32_e32 v213, v217, v208, vcc_lo
	v_cndmask_b32_e32 v212, v216, v216, vcc_lo
	v_cmp_gt_f64_e32 vcc_lo, 0, v[218:219]
	v_xor_b32_e32 v208, 0x80000000, v219
	v_dual_cndmask_b32 v220, v218, v218 :: v_dual_cndmask_b32 v221, v219, v208
	s_delay_alu instid0(VALU_DEP_1) | instskip(SKIP_1) | instid1(SALU_CYCLE_1)
	v_cmp_ngt_f64_e32 vcc_lo, v[212:213], v[220:221]
                                        ; implicit-def: $vgpr212_vgpr213
	s_and_saveexec_b32 s3, vcc_lo
	s_xor_b32 s3, exec_lo, s3
                                        ; implicit-def: $vgpr220_vgpr221_vgpr222_vgpr223
	s_cbranch_execz .LBB109_356
; %bb.355:
	v_div_scale_f64 v[212:213], null, v[218:219], v[218:219], v[216:217]
	v_div_scale_f64 v[224:225], vcc_lo, v[216:217], v[218:219], v[216:217]
	s_delay_alu instid0(VALU_DEP_2) | instskip(SKIP_2) | instid1(VALU_DEP_1)
	v_rcp_f64_e32 v[220:221], v[212:213]
	s_waitcnt_depctr 0xfff
	v_fma_f64 v[222:223], -v[212:213], v[220:221], 1.0
	v_fma_f64 v[220:221], v[220:221], v[222:223], v[220:221]
	s_delay_alu instid0(VALU_DEP_1) | instskip(NEXT) | instid1(VALU_DEP_1)
	v_fma_f64 v[222:223], -v[212:213], v[220:221], 1.0
	v_fma_f64 v[220:221], v[220:221], v[222:223], v[220:221]
	s_delay_alu instid0(VALU_DEP_1) | instskip(NEXT) | instid1(VALU_DEP_1)
	v_mul_f64 v[222:223], v[224:225], v[220:221]
	v_fma_f64 v[212:213], -v[212:213], v[222:223], v[224:225]
	s_delay_alu instid0(VALU_DEP_1) | instskip(NEXT) | instid1(VALU_DEP_1)
	v_div_fmas_f64 v[212:213], v[212:213], v[220:221], v[222:223]
	v_div_fixup_f64 v[212:213], v[212:213], v[218:219], v[216:217]
	s_delay_alu instid0(VALU_DEP_1) | instskip(NEXT) | instid1(VALU_DEP_1)
	v_fma_f64 v[216:217], v[216:217], v[212:213], v[218:219]
	v_div_scale_f64 v[218:219], null, v[216:217], v[216:217], 1.0
	s_delay_alu instid0(VALU_DEP_1) | instskip(SKIP_2) | instid1(VALU_DEP_1)
	v_rcp_f64_e32 v[220:221], v[218:219]
	s_waitcnt_depctr 0xfff
	v_fma_f64 v[222:223], -v[218:219], v[220:221], 1.0
	v_fma_f64 v[220:221], v[220:221], v[222:223], v[220:221]
	s_delay_alu instid0(VALU_DEP_1) | instskip(NEXT) | instid1(VALU_DEP_1)
	v_fma_f64 v[222:223], -v[218:219], v[220:221], 1.0
	v_fma_f64 v[220:221], v[220:221], v[222:223], v[220:221]
	v_div_scale_f64 v[222:223], vcc_lo, 1.0, v[216:217], 1.0
	s_delay_alu instid0(VALU_DEP_1) | instskip(NEXT) | instid1(VALU_DEP_1)
	v_mul_f64 v[224:225], v[222:223], v[220:221]
	v_fma_f64 v[218:219], -v[218:219], v[224:225], v[222:223]
	s_delay_alu instid0(VALU_DEP_1) | instskip(NEXT) | instid1(VALU_DEP_1)
	v_div_fmas_f64 v[218:219], v[218:219], v[220:221], v[224:225]
	v_div_fixup_f64 v[222:223], v[218:219], v[216:217], 1.0
                                        ; implicit-def: $vgpr216_vgpr217
	s_delay_alu instid0(VALU_DEP_1)
	v_mul_f64 v[212:213], v[212:213], v[222:223]
	v_xor_b32_e32 v223, 0x80000000, v223
.LBB109_356:
	s_and_not1_saveexec_b32 s3, s3
	s_cbranch_execz .LBB109_358
; %bb.357:
	v_div_scale_f64 v[212:213], null, v[216:217], v[216:217], v[218:219]
	v_div_scale_f64 v[224:225], vcc_lo, v[218:219], v[216:217], v[218:219]
	s_delay_alu instid0(VALU_DEP_2) | instskip(SKIP_2) | instid1(VALU_DEP_1)
	v_rcp_f64_e32 v[220:221], v[212:213]
	s_waitcnt_depctr 0xfff
	v_fma_f64 v[222:223], -v[212:213], v[220:221], 1.0
	v_fma_f64 v[220:221], v[220:221], v[222:223], v[220:221]
	s_delay_alu instid0(VALU_DEP_1) | instskip(NEXT) | instid1(VALU_DEP_1)
	v_fma_f64 v[222:223], -v[212:213], v[220:221], 1.0
	v_fma_f64 v[220:221], v[220:221], v[222:223], v[220:221]
	s_delay_alu instid0(VALU_DEP_1) | instskip(NEXT) | instid1(VALU_DEP_1)
	v_mul_f64 v[222:223], v[224:225], v[220:221]
	v_fma_f64 v[212:213], -v[212:213], v[222:223], v[224:225]
	s_delay_alu instid0(VALU_DEP_1) | instskip(NEXT) | instid1(VALU_DEP_1)
	v_div_fmas_f64 v[212:213], v[212:213], v[220:221], v[222:223]
	v_div_fixup_f64 v[220:221], v[212:213], v[216:217], v[218:219]
	s_delay_alu instid0(VALU_DEP_1) | instskip(NEXT) | instid1(VALU_DEP_1)
	v_fma_f64 v[212:213], v[218:219], v[220:221], v[216:217]
	v_div_scale_f64 v[216:217], null, v[212:213], v[212:213], 1.0
	s_delay_alu instid0(VALU_DEP_1) | instskip(SKIP_2) | instid1(VALU_DEP_1)
	v_rcp_f64_e32 v[218:219], v[216:217]
	s_waitcnt_depctr 0xfff
	v_fma_f64 v[222:223], -v[216:217], v[218:219], 1.0
	v_fma_f64 v[218:219], v[218:219], v[222:223], v[218:219]
	s_delay_alu instid0(VALU_DEP_1) | instskip(NEXT) | instid1(VALU_DEP_1)
	v_fma_f64 v[222:223], -v[216:217], v[218:219], 1.0
	v_fma_f64 v[218:219], v[218:219], v[222:223], v[218:219]
	v_div_scale_f64 v[222:223], vcc_lo, 1.0, v[212:213], 1.0
	s_delay_alu instid0(VALU_DEP_1) | instskip(NEXT) | instid1(VALU_DEP_1)
	v_mul_f64 v[224:225], v[222:223], v[218:219]
	v_fma_f64 v[216:217], -v[216:217], v[224:225], v[222:223]
	s_delay_alu instid0(VALU_DEP_1) | instskip(NEXT) | instid1(VALU_DEP_1)
	v_div_fmas_f64 v[216:217], v[216:217], v[218:219], v[224:225]
	v_div_fixup_f64 v[212:213], v[216:217], v[212:213], 1.0
	s_delay_alu instid0(VALU_DEP_1)
	v_mul_f64 v[222:223], v[220:221], -v[212:213]
.LBB109_358:
	s_or_b32 exec_lo, exec_lo, s3
	ds_store_2addr_b64 v204, v[212:213], v[222:223] offset1:1
.LBB109_359:
	s_or_b32 exec_lo, exec_lo, s4
	s_waitcnt lgkmcnt(0)
	s_barrier
	buffer_gl0_inv
	ds_load_2addr_b64 v[205:208], v204 offset1:1
	s_mov_b32 s3, exec_lo
	s_waitcnt lgkmcnt(0)
	scratch_store_b128 off, v[205:208], off offset:1128 ; 16-byte Folded Spill
	v_cmpx_lt_u32_e32 39, v215
	s_cbranch_execz .LBB109_361
; %bb.360:
	scratch_load_b128 v[205:208], off, off offset:1128 ; 16-byte Folded Reload
	ds_load_2addr_b64 v[218:221], v214 offset0:80 offset1:81
	s_waitcnt vmcnt(0)
	v_mul_f64 v[212:213], v[205:206], v[62:63]
	v_mul_f64 v[62:63], v[207:208], v[62:63]
	s_delay_alu instid0(VALU_DEP_2) | instskip(NEXT) | instid1(VALU_DEP_2)
	v_fma_f64 v[216:217], v[207:208], v[60:61], v[212:213]
	v_fma_f64 v[60:61], v[205:206], v[60:61], -v[62:63]
	s_waitcnt lgkmcnt(0)
	s_delay_alu instid0(VALU_DEP_2) | instskip(SKIP_1) | instid1(VALU_DEP_2)
	v_mul_f64 v[62:63], v[220:221], v[216:217]
	v_mul_f64 v[212:213], v[218:219], v[216:217]
	v_fma_f64 v[62:63], v[218:219], v[60:61], -v[62:63]
	s_delay_alu instid0(VALU_DEP_2)
	v_fma_f64 v[212:213], v[220:221], v[60:61], v[212:213]
	ds_load_2addr_b64 v[218:221], v214 offset0:82 offset1:83
	v_add_f64 v[56:57], v[56:57], -v[62:63]
	v_add_f64 v[58:59], v[58:59], -v[212:213]
	s_waitcnt lgkmcnt(0)
	v_mul_f64 v[62:63], v[220:221], v[216:217]
	v_mul_f64 v[212:213], v[218:219], v[216:217]
	s_delay_alu instid0(VALU_DEP_2) | instskip(NEXT) | instid1(VALU_DEP_2)
	v_fma_f64 v[62:63], v[218:219], v[60:61], -v[62:63]
	v_fma_f64 v[212:213], v[220:221], v[60:61], v[212:213]
	ds_load_2addr_b64 v[218:221], v214 offset0:84 offset1:85
	v_add_f64 v[52:53], v[52:53], -v[62:63]
	v_add_f64 v[54:55], v[54:55], -v[212:213]
	s_waitcnt lgkmcnt(0)
	v_mul_f64 v[62:63], v[220:221], v[216:217]
	v_mul_f64 v[212:213], v[218:219], v[216:217]
	s_delay_alu instid0(VALU_DEP_2) | instskip(NEXT) | instid1(VALU_DEP_2)
	v_fma_f64 v[62:63], v[218:219], v[60:61], -v[62:63]
	;; [unrolled: 9-line block ×14, first 2 shown]
	v_fma_f64 v[212:213], v[220:221], v[60:61], v[212:213]
	s_delay_alu instid0(VALU_DEP_2) | instskip(NEXT) | instid1(VALU_DEP_2)
	v_add_f64 v[0:1], v[0:1], -v[62:63]
	v_add_f64 v[2:3], v[2:3], -v[212:213]
	v_dual_mov_b32 v62, v216 :: v_dual_mov_b32 v63, v217
.LBB109_361:
	s_or_b32 exec_lo, exec_lo, s3
	s_delay_alu instid0(SALU_CYCLE_1)
	s_mov_b32 s4, exec_lo
	s_waitcnt_vscnt null, 0x0
	s_barrier
	buffer_gl0_inv
	v_cmpx_eq_u32_e32 40, v215
	s_cbranch_execz .LBB109_368
; %bb.362:
	ds_store_2addr_b64 v204, v[56:57], v[58:59] offset1:1
	ds_store_2addr_b64 v214, v[52:53], v[54:55] offset0:82 offset1:83
	ds_store_2addr_b64 v214, v[48:49], v[50:51] offset0:84 offset1:85
	;; [unrolled: 1-line block ×14, first 2 shown]
	ds_load_2addr_b64 v[216:219], v204 offset1:1
	s_waitcnt lgkmcnt(0)
	v_cmp_neq_f64_e32 vcc_lo, 0, v[216:217]
	v_cmp_neq_f64_e64 s3, 0, v[218:219]
	s_delay_alu instid0(VALU_DEP_1) | instskip(NEXT) | instid1(SALU_CYCLE_1)
	s_or_b32 s3, vcc_lo, s3
	s_and_b32 exec_lo, exec_lo, s3
	s_cbranch_execz .LBB109_368
; %bb.363:
	v_cmp_gt_f64_e32 vcc_lo, 0, v[216:217]
	v_xor_b32_e32 v208, 0x80000000, v217
	s_delay_alu instid0(VALU_DEP_1) | instskip(SKIP_3) | instid1(VALU_DEP_1)
	v_cndmask_b32_e32 v213, v217, v208, vcc_lo
	v_cndmask_b32_e32 v212, v216, v216, vcc_lo
	v_cmp_gt_f64_e32 vcc_lo, 0, v[218:219]
	v_xor_b32_e32 v208, 0x80000000, v219
	v_dual_cndmask_b32 v220, v218, v218 :: v_dual_cndmask_b32 v221, v219, v208
	s_delay_alu instid0(VALU_DEP_1) | instskip(SKIP_1) | instid1(SALU_CYCLE_1)
	v_cmp_ngt_f64_e32 vcc_lo, v[212:213], v[220:221]
                                        ; implicit-def: $vgpr212_vgpr213
	s_and_saveexec_b32 s3, vcc_lo
	s_xor_b32 s3, exec_lo, s3
                                        ; implicit-def: $vgpr220_vgpr221_vgpr222_vgpr223
	s_cbranch_execz .LBB109_365
; %bb.364:
	v_div_scale_f64 v[212:213], null, v[218:219], v[218:219], v[216:217]
	v_div_scale_f64 v[224:225], vcc_lo, v[216:217], v[218:219], v[216:217]
	s_delay_alu instid0(VALU_DEP_2) | instskip(SKIP_2) | instid1(VALU_DEP_1)
	v_rcp_f64_e32 v[220:221], v[212:213]
	s_waitcnt_depctr 0xfff
	v_fma_f64 v[222:223], -v[212:213], v[220:221], 1.0
	v_fma_f64 v[220:221], v[220:221], v[222:223], v[220:221]
	s_delay_alu instid0(VALU_DEP_1) | instskip(NEXT) | instid1(VALU_DEP_1)
	v_fma_f64 v[222:223], -v[212:213], v[220:221], 1.0
	v_fma_f64 v[220:221], v[220:221], v[222:223], v[220:221]
	s_delay_alu instid0(VALU_DEP_1) | instskip(NEXT) | instid1(VALU_DEP_1)
	v_mul_f64 v[222:223], v[224:225], v[220:221]
	v_fma_f64 v[212:213], -v[212:213], v[222:223], v[224:225]
	s_delay_alu instid0(VALU_DEP_1) | instskip(NEXT) | instid1(VALU_DEP_1)
	v_div_fmas_f64 v[212:213], v[212:213], v[220:221], v[222:223]
	v_div_fixup_f64 v[212:213], v[212:213], v[218:219], v[216:217]
	s_delay_alu instid0(VALU_DEP_1) | instskip(NEXT) | instid1(VALU_DEP_1)
	v_fma_f64 v[216:217], v[216:217], v[212:213], v[218:219]
	v_div_scale_f64 v[218:219], null, v[216:217], v[216:217], 1.0
	s_delay_alu instid0(VALU_DEP_1) | instskip(SKIP_2) | instid1(VALU_DEP_1)
	v_rcp_f64_e32 v[220:221], v[218:219]
	s_waitcnt_depctr 0xfff
	v_fma_f64 v[222:223], -v[218:219], v[220:221], 1.0
	v_fma_f64 v[220:221], v[220:221], v[222:223], v[220:221]
	s_delay_alu instid0(VALU_DEP_1) | instskip(NEXT) | instid1(VALU_DEP_1)
	v_fma_f64 v[222:223], -v[218:219], v[220:221], 1.0
	v_fma_f64 v[220:221], v[220:221], v[222:223], v[220:221]
	v_div_scale_f64 v[222:223], vcc_lo, 1.0, v[216:217], 1.0
	s_delay_alu instid0(VALU_DEP_1) | instskip(NEXT) | instid1(VALU_DEP_1)
	v_mul_f64 v[224:225], v[222:223], v[220:221]
	v_fma_f64 v[218:219], -v[218:219], v[224:225], v[222:223]
	s_delay_alu instid0(VALU_DEP_1) | instskip(NEXT) | instid1(VALU_DEP_1)
	v_div_fmas_f64 v[218:219], v[218:219], v[220:221], v[224:225]
	v_div_fixup_f64 v[222:223], v[218:219], v[216:217], 1.0
                                        ; implicit-def: $vgpr216_vgpr217
	s_delay_alu instid0(VALU_DEP_1)
	v_mul_f64 v[212:213], v[212:213], v[222:223]
	v_xor_b32_e32 v223, 0x80000000, v223
.LBB109_365:
	s_and_not1_saveexec_b32 s3, s3
	s_cbranch_execz .LBB109_367
; %bb.366:
	v_div_scale_f64 v[212:213], null, v[216:217], v[216:217], v[218:219]
	v_div_scale_f64 v[224:225], vcc_lo, v[218:219], v[216:217], v[218:219]
	s_delay_alu instid0(VALU_DEP_2) | instskip(SKIP_2) | instid1(VALU_DEP_1)
	v_rcp_f64_e32 v[220:221], v[212:213]
	s_waitcnt_depctr 0xfff
	v_fma_f64 v[222:223], -v[212:213], v[220:221], 1.0
	v_fma_f64 v[220:221], v[220:221], v[222:223], v[220:221]
	s_delay_alu instid0(VALU_DEP_1) | instskip(NEXT) | instid1(VALU_DEP_1)
	v_fma_f64 v[222:223], -v[212:213], v[220:221], 1.0
	v_fma_f64 v[220:221], v[220:221], v[222:223], v[220:221]
	s_delay_alu instid0(VALU_DEP_1) | instskip(NEXT) | instid1(VALU_DEP_1)
	v_mul_f64 v[222:223], v[224:225], v[220:221]
	v_fma_f64 v[212:213], -v[212:213], v[222:223], v[224:225]
	s_delay_alu instid0(VALU_DEP_1) | instskip(NEXT) | instid1(VALU_DEP_1)
	v_div_fmas_f64 v[212:213], v[212:213], v[220:221], v[222:223]
	v_div_fixup_f64 v[220:221], v[212:213], v[216:217], v[218:219]
	s_delay_alu instid0(VALU_DEP_1) | instskip(NEXT) | instid1(VALU_DEP_1)
	v_fma_f64 v[212:213], v[218:219], v[220:221], v[216:217]
	v_div_scale_f64 v[216:217], null, v[212:213], v[212:213], 1.0
	s_delay_alu instid0(VALU_DEP_1) | instskip(SKIP_2) | instid1(VALU_DEP_1)
	v_rcp_f64_e32 v[218:219], v[216:217]
	s_waitcnt_depctr 0xfff
	v_fma_f64 v[222:223], -v[216:217], v[218:219], 1.0
	v_fma_f64 v[218:219], v[218:219], v[222:223], v[218:219]
	s_delay_alu instid0(VALU_DEP_1) | instskip(NEXT) | instid1(VALU_DEP_1)
	v_fma_f64 v[222:223], -v[216:217], v[218:219], 1.0
	v_fma_f64 v[218:219], v[218:219], v[222:223], v[218:219]
	v_div_scale_f64 v[222:223], vcc_lo, 1.0, v[212:213], 1.0
	s_delay_alu instid0(VALU_DEP_1) | instskip(NEXT) | instid1(VALU_DEP_1)
	v_mul_f64 v[224:225], v[222:223], v[218:219]
	v_fma_f64 v[216:217], -v[216:217], v[224:225], v[222:223]
	s_delay_alu instid0(VALU_DEP_1) | instskip(NEXT) | instid1(VALU_DEP_1)
	v_div_fmas_f64 v[216:217], v[216:217], v[218:219], v[224:225]
	v_div_fixup_f64 v[212:213], v[216:217], v[212:213], 1.0
	s_delay_alu instid0(VALU_DEP_1)
	v_mul_f64 v[222:223], v[220:221], -v[212:213]
.LBB109_367:
	s_or_b32 exec_lo, exec_lo, s3
	ds_store_2addr_b64 v204, v[212:213], v[222:223] offset1:1
.LBB109_368:
	s_or_b32 exec_lo, exec_lo, s4
	s_waitcnt lgkmcnt(0)
	s_barrier
	buffer_gl0_inv
	ds_load_2addr_b64 v[205:208], v204 offset1:1
	s_mov_b32 s3, exec_lo
	s_waitcnt lgkmcnt(0)
	scratch_store_b128 off, v[205:208], off offset:1144 ; 16-byte Folded Spill
	v_cmpx_lt_u32_e32 40, v215
	s_cbranch_execz .LBB109_370
; %bb.369:
	scratch_load_b128 v[205:208], off, off offset:1144 ; 16-byte Folded Reload
	ds_load_2addr_b64 v[218:221], v214 offset0:82 offset1:83
	s_waitcnt vmcnt(0)
	v_mul_f64 v[212:213], v[205:206], v[58:59]
	v_mul_f64 v[58:59], v[207:208], v[58:59]
	s_delay_alu instid0(VALU_DEP_2) | instskip(NEXT) | instid1(VALU_DEP_2)
	v_fma_f64 v[216:217], v[207:208], v[56:57], v[212:213]
	v_fma_f64 v[56:57], v[205:206], v[56:57], -v[58:59]
	s_waitcnt lgkmcnt(0)
	s_delay_alu instid0(VALU_DEP_2) | instskip(SKIP_1) | instid1(VALU_DEP_2)
	v_mul_f64 v[58:59], v[220:221], v[216:217]
	v_mul_f64 v[212:213], v[218:219], v[216:217]
	v_fma_f64 v[58:59], v[218:219], v[56:57], -v[58:59]
	s_delay_alu instid0(VALU_DEP_2)
	v_fma_f64 v[212:213], v[220:221], v[56:57], v[212:213]
	ds_load_2addr_b64 v[218:221], v214 offset0:84 offset1:85
	v_add_f64 v[52:53], v[52:53], -v[58:59]
	v_add_f64 v[54:55], v[54:55], -v[212:213]
	s_waitcnt lgkmcnt(0)
	v_mul_f64 v[58:59], v[220:221], v[216:217]
	v_mul_f64 v[212:213], v[218:219], v[216:217]
	s_delay_alu instid0(VALU_DEP_2) | instskip(NEXT) | instid1(VALU_DEP_2)
	v_fma_f64 v[58:59], v[218:219], v[56:57], -v[58:59]
	v_fma_f64 v[212:213], v[220:221], v[56:57], v[212:213]
	ds_load_2addr_b64 v[218:221], v214 offset0:86 offset1:87
	v_add_f64 v[48:49], v[48:49], -v[58:59]
	v_add_f64 v[50:51], v[50:51], -v[212:213]
	s_waitcnt lgkmcnt(0)
	v_mul_f64 v[58:59], v[220:221], v[216:217]
	v_mul_f64 v[212:213], v[218:219], v[216:217]
	s_delay_alu instid0(VALU_DEP_2) | instskip(NEXT) | instid1(VALU_DEP_2)
	v_fma_f64 v[58:59], v[218:219], v[56:57], -v[58:59]
	v_fma_f64 v[212:213], v[220:221], v[56:57], v[212:213]
	ds_load_2addr_b64 v[218:221], v214 offset0:88 offset1:89
	v_add_f64 v[44:45], v[44:45], -v[58:59]
	v_add_f64 v[46:47], v[46:47], -v[212:213]
	s_waitcnt lgkmcnt(0)
	v_mul_f64 v[58:59], v[220:221], v[216:217]
	v_mul_f64 v[212:213], v[218:219], v[216:217]
	s_delay_alu instid0(VALU_DEP_2) | instskip(NEXT) | instid1(VALU_DEP_2)
	v_fma_f64 v[58:59], v[218:219], v[56:57], -v[58:59]
	v_fma_f64 v[212:213], v[220:221], v[56:57], v[212:213]
	ds_load_2addr_b64 v[218:221], v214 offset0:90 offset1:91
	v_add_f64 v[40:41], v[40:41], -v[58:59]
	v_add_f64 v[42:43], v[42:43], -v[212:213]
	s_waitcnt lgkmcnt(0)
	v_mul_f64 v[58:59], v[220:221], v[216:217]
	v_mul_f64 v[212:213], v[218:219], v[216:217]
	s_delay_alu instid0(VALU_DEP_2) | instskip(NEXT) | instid1(VALU_DEP_2)
	v_fma_f64 v[58:59], v[218:219], v[56:57], -v[58:59]
	v_fma_f64 v[212:213], v[220:221], v[56:57], v[212:213]
	ds_load_2addr_b64 v[218:221], v214 offset0:92 offset1:93
	v_add_f64 v[36:37], v[36:37], -v[58:59]
	v_add_f64 v[38:39], v[38:39], -v[212:213]
	s_waitcnt lgkmcnt(0)
	v_mul_f64 v[58:59], v[220:221], v[216:217]
	v_mul_f64 v[212:213], v[218:219], v[216:217]
	s_delay_alu instid0(VALU_DEP_2) | instskip(NEXT) | instid1(VALU_DEP_2)
	v_fma_f64 v[58:59], v[218:219], v[56:57], -v[58:59]
	v_fma_f64 v[212:213], v[220:221], v[56:57], v[212:213]
	ds_load_2addr_b64 v[218:221], v214 offset0:94 offset1:95
	v_add_f64 v[32:33], v[32:33], -v[58:59]
	v_add_f64 v[34:35], v[34:35], -v[212:213]
	s_waitcnt lgkmcnt(0)
	v_mul_f64 v[58:59], v[220:221], v[216:217]
	v_mul_f64 v[212:213], v[218:219], v[216:217]
	s_delay_alu instid0(VALU_DEP_2) | instskip(NEXT) | instid1(VALU_DEP_2)
	v_fma_f64 v[58:59], v[218:219], v[56:57], -v[58:59]
	v_fma_f64 v[212:213], v[220:221], v[56:57], v[212:213]
	ds_load_2addr_b64 v[218:221], v214 offset0:96 offset1:97
	v_add_f64 v[28:29], v[28:29], -v[58:59]
	v_add_f64 v[30:31], v[30:31], -v[212:213]
	s_waitcnt lgkmcnt(0)
	v_mul_f64 v[58:59], v[220:221], v[216:217]
	v_mul_f64 v[212:213], v[218:219], v[216:217]
	s_delay_alu instid0(VALU_DEP_2) | instskip(NEXT) | instid1(VALU_DEP_2)
	v_fma_f64 v[58:59], v[218:219], v[56:57], -v[58:59]
	v_fma_f64 v[212:213], v[220:221], v[56:57], v[212:213]
	ds_load_2addr_b64 v[218:221], v214 offset0:98 offset1:99
	v_add_f64 v[24:25], v[24:25], -v[58:59]
	v_add_f64 v[26:27], v[26:27], -v[212:213]
	s_waitcnt lgkmcnt(0)
	v_mul_f64 v[58:59], v[220:221], v[216:217]
	v_mul_f64 v[212:213], v[218:219], v[216:217]
	s_delay_alu instid0(VALU_DEP_2) | instskip(NEXT) | instid1(VALU_DEP_2)
	v_fma_f64 v[58:59], v[218:219], v[56:57], -v[58:59]
	v_fma_f64 v[212:213], v[220:221], v[56:57], v[212:213]
	ds_load_2addr_b64 v[218:221], v214 offset0:100 offset1:101
	v_add_f64 v[20:21], v[20:21], -v[58:59]
	v_add_f64 v[22:23], v[22:23], -v[212:213]
	s_waitcnt lgkmcnt(0)
	v_mul_f64 v[58:59], v[220:221], v[216:217]
	v_mul_f64 v[212:213], v[218:219], v[216:217]
	s_delay_alu instid0(VALU_DEP_2) | instskip(NEXT) | instid1(VALU_DEP_2)
	v_fma_f64 v[58:59], v[218:219], v[56:57], -v[58:59]
	v_fma_f64 v[212:213], v[220:221], v[56:57], v[212:213]
	ds_load_2addr_b64 v[218:221], v214 offset0:102 offset1:103
	v_add_f64 v[16:17], v[16:17], -v[58:59]
	v_add_f64 v[18:19], v[18:19], -v[212:213]
	s_waitcnt lgkmcnt(0)
	v_mul_f64 v[58:59], v[220:221], v[216:217]
	v_mul_f64 v[212:213], v[218:219], v[216:217]
	s_delay_alu instid0(VALU_DEP_2) | instskip(NEXT) | instid1(VALU_DEP_2)
	v_fma_f64 v[58:59], v[218:219], v[56:57], -v[58:59]
	v_fma_f64 v[212:213], v[220:221], v[56:57], v[212:213]
	ds_load_2addr_b64 v[218:221], v214 offset0:104 offset1:105
	v_add_f64 v[12:13], v[12:13], -v[58:59]
	v_add_f64 v[14:15], v[14:15], -v[212:213]
	s_waitcnt lgkmcnt(0)
	v_mul_f64 v[58:59], v[220:221], v[216:217]
	v_mul_f64 v[212:213], v[218:219], v[216:217]
	s_delay_alu instid0(VALU_DEP_2) | instskip(NEXT) | instid1(VALU_DEP_2)
	v_fma_f64 v[58:59], v[218:219], v[56:57], -v[58:59]
	v_fma_f64 v[212:213], v[220:221], v[56:57], v[212:213]
	ds_load_2addr_b64 v[218:221], v214 offset0:106 offset1:107
	v_add_f64 v[8:9], v[8:9], -v[58:59]
	v_add_f64 v[10:11], v[10:11], -v[212:213]
	s_waitcnt lgkmcnt(0)
	v_mul_f64 v[58:59], v[220:221], v[216:217]
	v_mul_f64 v[212:213], v[218:219], v[216:217]
	s_delay_alu instid0(VALU_DEP_2) | instskip(NEXT) | instid1(VALU_DEP_2)
	v_fma_f64 v[58:59], v[218:219], v[56:57], -v[58:59]
	v_fma_f64 v[212:213], v[220:221], v[56:57], v[212:213]
	ds_load_2addr_b64 v[218:221], v214 offset0:108 offset1:109
	v_add_f64 v[4:5], v[4:5], -v[58:59]
	v_add_f64 v[6:7], v[6:7], -v[212:213]
	s_waitcnt lgkmcnt(0)
	v_mul_f64 v[58:59], v[220:221], v[216:217]
	v_mul_f64 v[212:213], v[218:219], v[216:217]
	s_delay_alu instid0(VALU_DEP_2) | instskip(NEXT) | instid1(VALU_DEP_2)
	v_fma_f64 v[58:59], v[218:219], v[56:57], -v[58:59]
	v_fma_f64 v[212:213], v[220:221], v[56:57], v[212:213]
	s_delay_alu instid0(VALU_DEP_2) | instskip(NEXT) | instid1(VALU_DEP_2)
	v_add_f64 v[0:1], v[0:1], -v[58:59]
	v_add_f64 v[2:3], v[2:3], -v[212:213]
	v_dual_mov_b32 v58, v216 :: v_dual_mov_b32 v59, v217
.LBB109_370:
	s_or_b32 exec_lo, exec_lo, s3
	s_delay_alu instid0(SALU_CYCLE_1)
	s_mov_b32 s4, exec_lo
	s_waitcnt_vscnt null, 0x0
	s_barrier
	buffer_gl0_inv
	v_cmpx_eq_u32_e32 41, v215
	s_cbranch_execz .LBB109_377
; %bb.371:
	ds_store_2addr_b64 v204, v[52:53], v[54:55] offset1:1
	ds_store_2addr_b64 v214, v[48:49], v[50:51] offset0:84 offset1:85
	ds_store_2addr_b64 v214, v[44:45], v[46:47] offset0:86 offset1:87
	;; [unrolled: 1-line block ×13, first 2 shown]
	ds_load_2addr_b64 v[216:219], v204 offset1:1
	s_waitcnt lgkmcnt(0)
	v_cmp_neq_f64_e32 vcc_lo, 0, v[216:217]
	v_cmp_neq_f64_e64 s3, 0, v[218:219]
	s_delay_alu instid0(VALU_DEP_1) | instskip(NEXT) | instid1(SALU_CYCLE_1)
	s_or_b32 s3, vcc_lo, s3
	s_and_b32 exec_lo, exec_lo, s3
	s_cbranch_execz .LBB109_377
; %bb.372:
	v_cmp_gt_f64_e32 vcc_lo, 0, v[216:217]
	v_xor_b32_e32 v208, 0x80000000, v217
	s_delay_alu instid0(VALU_DEP_1) | instskip(SKIP_3) | instid1(VALU_DEP_1)
	v_cndmask_b32_e32 v213, v217, v208, vcc_lo
	v_cndmask_b32_e32 v212, v216, v216, vcc_lo
	v_cmp_gt_f64_e32 vcc_lo, 0, v[218:219]
	v_xor_b32_e32 v208, 0x80000000, v219
	v_dual_cndmask_b32 v220, v218, v218 :: v_dual_cndmask_b32 v221, v219, v208
	s_delay_alu instid0(VALU_DEP_1) | instskip(SKIP_1) | instid1(SALU_CYCLE_1)
	v_cmp_ngt_f64_e32 vcc_lo, v[212:213], v[220:221]
                                        ; implicit-def: $vgpr212_vgpr213
	s_and_saveexec_b32 s3, vcc_lo
	s_xor_b32 s3, exec_lo, s3
                                        ; implicit-def: $vgpr220_vgpr221_vgpr222_vgpr223
	s_cbranch_execz .LBB109_374
; %bb.373:
	v_div_scale_f64 v[212:213], null, v[218:219], v[218:219], v[216:217]
	v_div_scale_f64 v[224:225], vcc_lo, v[216:217], v[218:219], v[216:217]
	s_delay_alu instid0(VALU_DEP_2) | instskip(SKIP_2) | instid1(VALU_DEP_1)
	v_rcp_f64_e32 v[220:221], v[212:213]
	s_waitcnt_depctr 0xfff
	v_fma_f64 v[222:223], -v[212:213], v[220:221], 1.0
	v_fma_f64 v[220:221], v[220:221], v[222:223], v[220:221]
	s_delay_alu instid0(VALU_DEP_1) | instskip(NEXT) | instid1(VALU_DEP_1)
	v_fma_f64 v[222:223], -v[212:213], v[220:221], 1.0
	v_fma_f64 v[220:221], v[220:221], v[222:223], v[220:221]
	s_delay_alu instid0(VALU_DEP_1) | instskip(NEXT) | instid1(VALU_DEP_1)
	v_mul_f64 v[222:223], v[224:225], v[220:221]
	v_fma_f64 v[212:213], -v[212:213], v[222:223], v[224:225]
	s_delay_alu instid0(VALU_DEP_1) | instskip(NEXT) | instid1(VALU_DEP_1)
	v_div_fmas_f64 v[212:213], v[212:213], v[220:221], v[222:223]
	v_div_fixup_f64 v[212:213], v[212:213], v[218:219], v[216:217]
	s_delay_alu instid0(VALU_DEP_1) | instskip(NEXT) | instid1(VALU_DEP_1)
	v_fma_f64 v[216:217], v[216:217], v[212:213], v[218:219]
	v_div_scale_f64 v[218:219], null, v[216:217], v[216:217], 1.0
	s_delay_alu instid0(VALU_DEP_1) | instskip(SKIP_2) | instid1(VALU_DEP_1)
	v_rcp_f64_e32 v[220:221], v[218:219]
	s_waitcnt_depctr 0xfff
	v_fma_f64 v[222:223], -v[218:219], v[220:221], 1.0
	v_fma_f64 v[220:221], v[220:221], v[222:223], v[220:221]
	s_delay_alu instid0(VALU_DEP_1) | instskip(NEXT) | instid1(VALU_DEP_1)
	v_fma_f64 v[222:223], -v[218:219], v[220:221], 1.0
	v_fma_f64 v[220:221], v[220:221], v[222:223], v[220:221]
	v_div_scale_f64 v[222:223], vcc_lo, 1.0, v[216:217], 1.0
	s_delay_alu instid0(VALU_DEP_1) | instskip(NEXT) | instid1(VALU_DEP_1)
	v_mul_f64 v[224:225], v[222:223], v[220:221]
	v_fma_f64 v[218:219], -v[218:219], v[224:225], v[222:223]
	s_delay_alu instid0(VALU_DEP_1) | instskip(NEXT) | instid1(VALU_DEP_1)
	v_div_fmas_f64 v[218:219], v[218:219], v[220:221], v[224:225]
	v_div_fixup_f64 v[222:223], v[218:219], v[216:217], 1.0
                                        ; implicit-def: $vgpr216_vgpr217
	s_delay_alu instid0(VALU_DEP_1)
	v_mul_f64 v[212:213], v[212:213], v[222:223]
	v_xor_b32_e32 v223, 0x80000000, v223
.LBB109_374:
	s_and_not1_saveexec_b32 s3, s3
	s_cbranch_execz .LBB109_376
; %bb.375:
	v_div_scale_f64 v[212:213], null, v[216:217], v[216:217], v[218:219]
	v_div_scale_f64 v[224:225], vcc_lo, v[218:219], v[216:217], v[218:219]
	s_delay_alu instid0(VALU_DEP_2) | instskip(SKIP_2) | instid1(VALU_DEP_1)
	v_rcp_f64_e32 v[220:221], v[212:213]
	s_waitcnt_depctr 0xfff
	v_fma_f64 v[222:223], -v[212:213], v[220:221], 1.0
	v_fma_f64 v[220:221], v[220:221], v[222:223], v[220:221]
	s_delay_alu instid0(VALU_DEP_1) | instskip(NEXT) | instid1(VALU_DEP_1)
	v_fma_f64 v[222:223], -v[212:213], v[220:221], 1.0
	v_fma_f64 v[220:221], v[220:221], v[222:223], v[220:221]
	s_delay_alu instid0(VALU_DEP_1) | instskip(NEXT) | instid1(VALU_DEP_1)
	v_mul_f64 v[222:223], v[224:225], v[220:221]
	v_fma_f64 v[212:213], -v[212:213], v[222:223], v[224:225]
	s_delay_alu instid0(VALU_DEP_1) | instskip(NEXT) | instid1(VALU_DEP_1)
	v_div_fmas_f64 v[212:213], v[212:213], v[220:221], v[222:223]
	v_div_fixup_f64 v[220:221], v[212:213], v[216:217], v[218:219]
	s_delay_alu instid0(VALU_DEP_1) | instskip(NEXT) | instid1(VALU_DEP_1)
	v_fma_f64 v[212:213], v[218:219], v[220:221], v[216:217]
	v_div_scale_f64 v[216:217], null, v[212:213], v[212:213], 1.0
	s_delay_alu instid0(VALU_DEP_1) | instskip(SKIP_2) | instid1(VALU_DEP_1)
	v_rcp_f64_e32 v[218:219], v[216:217]
	s_waitcnt_depctr 0xfff
	v_fma_f64 v[222:223], -v[216:217], v[218:219], 1.0
	v_fma_f64 v[218:219], v[218:219], v[222:223], v[218:219]
	s_delay_alu instid0(VALU_DEP_1) | instskip(NEXT) | instid1(VALU_DEP_1)
	v_fma_f64 v[222:223], -v[216:217], v[218:219], 1.0
	v_fma_f64 v[218:219], v[218:219], v[222:223], v[218:219]
	v_div_scale_f64 v[222:223], vcc_lo, 1.0, v[212:213], 1.0
	s_delay_alu instid0(VALU_DEP_1) | instskip(NEXT) | instid1(VALU_DEP_1)
	v_mul_f64 v[224:225], v[222:223], v[218:219]
	v_fma_f64 v[216:217], -v[216:217], v[224:225], v[222:223]
	s_delay_alu instid0(VALU_DEP_1) | instskip(NEXT) | instid1(VALU_DEP_1)
	v_div_fmas_f64 v[216:217], v[216:217], v[218:219], v[224:225]
	v_div_fixup_f64 v[212:213], v[216:217], v[212:213], 1.0
	s_delay_alu instid0(VALU_DEP_1)
	v_mul_f64 v[222:223], v[220:221], -v[212:213]
.LBB109_376:
	s_or_b32 exec_lo, exec_lo, s3
	ds_store_2addr_b64 v204, v[212:213], v[222:223] offset1:1
.LBB109_377:
	s_or_b32 exec_lo, exec_lo, s4
	s_waitcnt lgkmcnt(0)
	s_barrier
	buffer_gl0_inv
	ds_load_2addr_b64 v[205:208], v204 offset1:1
	s_mov_b32 s3, exec_lo
	s_waitcnt lgkmcnt(0)
	scratch_store_b128 off, v[205:208], off offset:1160 ; 16-byte Folded Spill
	v_cmpx_lt_u32_e32 41, v215
	s_cbranch_execz .LBB109_379
; %bb.378:
	scratch_load_b128 v[205:208], off, off offset:1160 ; 16-byte Folded Reload
	ds_load_2addr_b64 v[218:221], v214 offset0:84 offset1:85
	s_waitcnt vmcnt(0)
	v_mul_f64 v[212:213], v[205:206], v[54:55]
	v_mul_f64 v[54:55], v[207:208], v[54:55]
	s_delay_alu instid0(VALU_DEP_2) | instskip(NEXT) | instid1(VALU_DEP_2)
	v_fma_f64 v[216:217], v[207:208], v[52:53], v[212:213]
	v_fma_f64 v[52:53], v[205:206], v[52:53], -v[54:55]
	s_waitcnt lgkmcnt(0)
	s_delay_alu instid0(VALU_DEP_2) | instskip(SKIP_1) | instid1(VALU_DEP_2)
	v_mul_f64 v[54:55], v[220:221], v[216:217]
	v_mul_f64 v[212:213], v[218:219], v[216:217]
	v_fma_f64 v[54:55], v[218:219], v[52:53], -v[54:55]
	s_delay_alu instid0(VALU_DEP_2)
	v_fma_f64 v[212:213], v[220:221], v[52:53], v[212:213]
	ds_load_2addr_b64 v[218:221], v214 offset0:86 offset1:87
	v_add_f64 v[48:49], v[48:49], -v[54:55]
	v_add_f64 v[50:51], v[50:51], -v[212:213]
	s_waitcnt lgkmcnt(0)
	v_mul_f64 v[54:55], v[220:221], v[216:217]
	v_mul_f64 v[212:213], v[218:219], v[216:217]
	s_delay_alu instid0(VALU_DEP_2) | instskip(NEXT) | instid1(VALU_DEP_2)
	v_fma_f64 v[54:55], v[218:219], v[52:53], -v[54:55]
	v_fma_f64 v[212:213], v[220:221], v[52:53], v[212:213]
	ds_load_2addr_b64 v[218:221], v214 offset0:88 offset1:89
	v_add_f64 v[44:45], v[44:45], -v[54:55]
	v_add_f64 v[46:47], v[46:47], -v[212:213]
	s_waitcnt lgkmcnt(0)
	v_mul_f64 v[54:55], v[220:221], v[216:217]
	v_mul_f64 v[212:213], v[218:219], v[216:217]
	s_delay_alu instid0(VALU_DEP_2) | instskip(NEXT) | instid1(VALU_DEP_2)
	v_fma_f64 v[54:55], v[218:219], v[52:53], -v[54:55]
	v_fma_f64 v[212:213], v[220:221], v[52:53], v[212:213]
	ds_load_2addr_b64 v[218:221], v214 offset0:90 offset1:91
	v_add_f64 v[40:41], v[40:41], -v[54:55]
	v_add_f64 v[42:43], v[42:43], -v[212:213]
	s_waitcnt lgkmcnt(0)
	v_mul_f64 v[54:55], v[220:221], v[216:217]
	v_mul_f64 v[212:213], v[218:219], v[216:217]
	s_delay_alu instid0(VALU_DEP_2) | instskip(NEXT) | instid1(VALU_DEP_2)
	v_fma_f64 v[54:55], v[218:219], v[52:53], -v[54:55]
	v_fma_f64 v[212:213], v[220:221], v[52:53], v[212:213]
	ds_load_2addr_b64 v[218:221], v214 offset0:92 offset1:93
	v_add_f64 v[36:37], v[36:37], -v[54:55]
	v_add_f64 v[38:39], v[38:39], -v[212:213]
	s_waitcnt lgkmcnt(0)
	v_mul_f64 v[54:55], v[220:221], v[216:217]
	v_mul_f64 v[212:213], v[218:219], v[216:217]
	s_delay_alu instid0(VALU_DEP_2) | instskip(NEXT) | instid1(VALU_DEP_2)
	v_fma_f64 v[54:55], v[218:219], v[52:53], -v[54:55]
	v_fma_f64 v[212:213], v[220:221], v[52:53], v[212:213]
	ds_load_2addr_b64 v[218:221], v214 offset0:94 offset1:95
	v_add_f64 v[32:33], v[32:33], -v[54:55]
	v_add_f64 v[34:35], v[34:35], -v[212:213]
	s_waitcnt lgkmcnt(0)
	v_mul_f64 v[54:55], v[220:221], v[216:217]
	v_mul_f64 v[212:213], v[218:219], v[216:217]
	s_delay_alu instid0(VALU_DEP_2) | instskip(NEXT) | instid1(VALU_DEP_2)
	v_fma_f64 v[54:55], v[218:219], v[52:53], -v[54:55]
	v_fma_f64 v[212:213], v[220:221], v[52:53], v[212:213]
	ds_load_2addr_b64 v[218:221], v214 offset0:96 offset1:97
	v_add_f64 v[28:29], v[28:29], -v[54:55]
	v_add_f64 v[30:31], v[30:31], -v[212:213]
	s_waitcnt lgkmcnt(0)
	v_mul_f64 v[54:55], v[220:221], v[216:217]
	v_mul_f64 v[212:213], v[218:219], v[216:217]
	s_delay_alu instid0(VALU_DEP_2) | instskip(NEXT) | instid1(VALU_DEP_2)
	v_fma_f64 v[54:55], v[218:219], v[52:53], -v[54:55]
	v_fma_f64 v[212:213], v[220:221], v[52:53], v[212:213]
	ds_load_2addr_b64 v[218:221], v214 offset0:98 offset1:99
	v_add_f64 v[24:25], v[24:25], -v[54:55]
	v_add_f64 v[26:27], v[26:27], -v[212:213]
	s_waitcnt lgkmcnt(0)
	v_mul_f64 v[54:55], v[220:221], v[216:217]
	v_mul_f64 v[212:213], v[218:219], v[216:217]
	s_delay_alu instid0(VALU_DEP_2) | instskip(NEXT) | instid1(VALU_DEP_2)
	v_fma_f64 v[54:55], v[218:219], v[52:53], -v[54:55]
	v_fma_f64 v[212:213], v[220:221], v[52:53], v[212:213]
	ds_load_2addr_b64 v[218:221], v214 offset0:100 offset1:101
	v_add_f64 v[20:21], v[20:21], -v[54:55]
	v_add_f64 v[22:23], v[22:23], -v[212:213]
	s_waitcnt lgkmcnt(0)
	v_mul_f64 v[54:55], v[220:221], v[216:217]
	v_mul_f64 v[212:213], v[218:219], v[216:217]
	s_delay_alu instid0(VALU_DEP_2) | instskip(NEXT) | instid1(VALU_DEP_2)
	v_fma_f64 v[54:55], v[218:219], v[52:53], -v[54:55]
	v_fma_f64 v[212:213], v[220:221], v[52:53], v[212:213]
	ds_load_2addr_b64 v[218:221], v214 offset0:102 offset1:103
	v_add_f64 v[16:17], v[16:17], -v[54:55]
	v_add_f64 v[18:19], v[18:19], -v[212:213]
	s_waitcnt lgkmcnt(0)
	v_mul_f64 v[54:55], v[220:221], v[216:217]
	v_mul_f64 v[212:213], v[218:219], v[216:217]
	s_delay_alu instid0(VALU_DEP_2) | instskip(NEXT) | instid1(VALU_DEP_2)
	v_fma_f64 v[54:55], v[218:219], v[52:53], -v[54:55]
	v_fma_f64 v[212:213], v[220:221], v[52:53], v[212:213]
	ds_load_2addr_b64 v[218:221], v214 offset0:104 offset1:105
	v_add_f64 v[12:13], v[12:13], -v[54:55]
	v_add_f64 v[14:15], v[14:15], -v[212:213]
	s_waitcnt lgkmcnt(0)
	v_mul_f64 v[54:55], v[220:221], v[216:217]
	v_mul_f64 v[212:213], v[218:219], v[216:217]
	s_delay_alu instid0(VALU_DEP_2) | instskip(NEXT) | instid1(VALU_DEP_2)
	v_fma_f64 v[54:55], v[218:219], v[52:53], -v[54:55]
	v_fma_f64 v[212:213], v[220:221], v[52:53], v[212:213]
	ds_load_2addr_b64 v[218:221], v214 offset0:106 offset1:107
	v_add_f64 v[8:9], v[8:9], -v[54:55]
	v_add_f64 v[10:11], v[10:11], -v[212:213]
	s_waitcnt lgkmcnt(0)
	v_mul_f64 v[54:55], v[220:221], v[216:217]
	v_mul_f64 v[212:213], v[218:219], v[216:217]
	s_delay_alu instid0(VALU_DEP_2) | instskip(NEXT) | instid1(VALU_DEP_2)
	v_fma_f64 v[54:55], v[218:219], v[52:53], -v[54:55]
	v_fma_f64 v[212:213], v[220:221], v[52:53], v[212:213]
	ds_load_2addr_b64 v[218:221], v214 offset0:108 offset1:109
	v_add_f64 v[4:5], v[4:5], -v[54:55]
	v_add_f64 v[6:7], v[6:7], -v[212:213]
	s_waitcnt lgkmcnt(0)
	v_mul_f64 v[54:55], v[220:221], v[216:217]
	v_mul_f64 v[212:213], v[218:219], v[216:217]
	s_delay_alu instid0(VALU_DEP_2) | instskip(NEXT) | instid1(VALU_DEP_2)
	v_fma_f64 v[54:55], v[218:219], v[52:53], -v[54:55]
	v_fma_f64 v[212:213], v[220:221], v[52:53], v[212:213]
	s_delay_alu instid0(VALU_DEP_2) | instskip(NEXT) | instid1(VALU_DEP_2)
	v_add_f64 v[0:1], v[0:1], -v[54:55]
	v_add_f64 v[2:3], v[2:3], -v[212:213]
	v_dual_mov_b32 v54, v216 :: v_dual_mov_b32 v55, v217
.LBB109_379:
	s_or_b32 exec_lo, exec_lo, s3
	s_delay_alu instid0(SALU_CYCLE_1)
	s_mov_b32 s4, exec_lo
	s_waitcnt_vscnt null, 0x0
	s_barrier
	buffer_gl0_inv
	v_cmpx_eq_u32_e32 42, v215
	s_cbranch_execz .LBB109_386
; %bb.380:
	ds_store_2addr_b64 v204, v[48:49], v[50:51] offset1:1
	ds_store_2addr_b64 v214, v[44:45], v[46:47] offset0:86 offset1:87
	ds_store_2addr_b64 v214, v[40:41], v[42:43] offset0:88 offset1:89
	;; [unrolled: 1-line block ×12, first 2 shown]
	ds_load_2addr_b64 v[216:219], v204 offset1:1
	s_waitcnt lgkmcnt(0)
	v_cmp_neq_f64_e32 vcc_lo, 0, v[216:217]
	v_cmp_neq_f64_e64 s3, 0, v[218:219]
	s_delay_alu instid0(VALU_DEP_1) | instskip(NEXT) | instid1(SALU_CYCLE_1)
	s_or_b32 s3, vcc_lo, s3
	s_and_b32 exec_lo, exec_lo, s3
	s_cbranch_execz .LBB109_386
; %bb.381:
	v_cmp_gt_f64_e32 vcc_lo, 0, v[216:217]
	v_xor_b32_e32 v208, 0x80000000, v217
	s_delay_alu instid0(VALU_DEP_1) | instskip(SKIP_3) | instid1(VALU_DEP_1)
	v_cndmask_b32_e32 v213, v217, v208, vcc_lo
	v_cndmask_b32_e32 v212, v216, v216, vcc_lo
	v_cmp_gt_f64_e32 vcc_lo, 0, v[218:219]
	v_xor_b32_e32 v208, 0x80000000, v219
	v_dual_cndmask_b32 v220, v218, v218 :: v_dual_cndmask_b32 v221, v219, v208
	s_delay_alu instid0(VALU_DEP_1) | instskip(SKIP_1) | instid1(SALU_CYCLE_1)
	v_cmp_ngt_f64_e32 vcc_lo, v[212:213], v[220:221]
                                        ; implicit-def: $vgpr212_vgpr213
	s_and_saveexec_b32 s3, vcc_lo
	s_xor_b32 s3, exec_lo, s3
                                        ; implicit-def: $vgpr220_vgpr221_vgpr222_vgpr223
	s_cbranch_execz .LBB109_383
; %bb.382:
	v_div_scale_f64 v[212:213], null, v[218:219], v[218:219], v[216:217]
	v_div_scale_f64 v[224:225], vcc_lo, v[216:217], v[218:219], v[216:217]
	s_delay_alu instid0(VALU_DEP_2) | instskip(SKIP_2) | instid1(VALU_DEP_1)
	v_rcp_f64_e32 v[220:221], v[212:213]
	s_waitcnt_depctr 0xfff
	v_fma_f64 v[222:223], -v[212:213], v[220:221], 1.0
	v_fma_f64 v[220:221], v[220:221], v[222:223], v[220:221]
	s_delay_alu instid0(VALU_DEP_1) | instskip(NEXT) | instid1(VALU_DEP_1)
	v_fma_f64 v[222:223], -v[212:213], v[220:221], 1.0
	v_fma_f64 v[220:221], v[220:221], v[222:223], v[220:221]
	s_delay_alu instid0(VALU_DEP_1) | instskip(NEXT) | instid1(VALU_DEP_1)
	v_mul_f64 v[222:223], v[224:225], v[220:221]
	v_fma_f64 v[212:213], -v[212:213], v[222:223], v[224:225]
	s_delay_alu instid0(VALU_DEP_1) | instskip(NEXT) | instid1(VALU_DEP_1)
	v_div_fmas_f64 v[212:213], v[212:213], v[220:221], v[222:223]
	v_div_fixup_f64 v[212:213], v[212:213], v[218:219], v[216:217]
	s_delay_alu instid0(VALU_DEP_1) | instskip(NEXT) | instid1(VALU_DEP_1)
	v_fma_f64 v[216:217], v[216:217], v[212:213], v[218:219]
	v_div_scale_f64 v[218:219], null, v[216:217], v[216:217], 1.0
	s_delay_alu instid0(VALU_DEP_1) | instskip(SKIP_2) | instid1(VALU_DEP_1)
	v_rcp_f64_e32 v[220:221], v[218:219]
	s_waitcnt_depctr 0xfff
	v_fma_f64 v[222:223], -v[218:219], v[220:221], 1.0
	v_fma_f64 v[220:221], v[220:221], v[222:223], v[220:221]
	s_delay_alu instid0(VALU_DEP_1) | instskip(NEXT) | instid1(VALU_DEP_1)
	v_fma_f64 v[222:223], -v[218:219], v[220:221], 1.0
	v_fma_f64 v[220:221], v[220:221], v[222:223], v[220:221]
	v_div_scale_f64 v[222:223], vcc_lo, 1.0, v[216:217], 1.0
	s_delay_alu instid0(VALU_DEP_1) | instskip(NEXT) | instid1(VALU_DEP_1)
	v_mul_f64 v[224:225], v[222:223], v[220:221]
	v_fma_f64 v[218:219], -v[218:219], v[224:225], v[222:223]
	s_delay_alu instid0(VALU_DEP_1) | instskip(NEXT) | instid1(VALU_DEP_1)
	v_div_fmas_f64 v[218:219], v[218:219], v[220:221], v[224:225]
	v_div_fixup_f64 v[222:223], v[218:219], v[216:217], 1.0
                                        ; implicit-def: $vgpr216_vgpr217
	s_delay_alu instid0(VALU_DEP_1)
	v_mul_f64 v[212:213], v[212:213], v[222:223]
	v_xor_b32_e32 v223, 0x80000000, v223
.LBB109_383:
	s_and_not1_saveexec_b32 s3, s3
	s_cbranch_execz .LBB109_385
; %bb.384:
	v_div_scale_f64 v[212:213], null, v[216:217], v[216:217], v[218:219]
	v_div_scale_f64 v[224:225], vcc_lo, v[218:219], v[216:217], v[218:219]
	s_delay_alu instid0(VALU_DEP_2) | instskip(SKIP_2) | instid1(VALU_DEP_1)
	v_rcp_f64_e32 v[220:221], v[212:213]
	s_waitcnt_depctr 0xfff
	v_fma_f64 v[222:223], -v[212:213], v[220:221], 1.0
	v_fma_f64 v[220:221], v[220:221], v[222:223], v[220:221]
	s_delay_alu instid0(VALU_DEP_1) | instskip(NEXT) | instid1(VALU_DEP_1)
	v_fma_f64 v[222:223], -v[212:213], v[220:221], 1.0
	v_fma_f64 v[220:221], v[220:221], v[222:223], v[220:221]
	s_delay_alu instid0(VALU_DEP_1) | instskip(NEXT) | instid1(VALU_DEP_1)
	v_mul_f64 v[222:223], v[224:225], v[220:221]
	v_fma_f64 v[212:213], -v[212:213], v[222:223], v[224:225]
	s_delay_alu instid0(VALU_DEP_1) | instskip(NEXT) | instid1(VALU_DEP_1)
	v_div_fmas_f64 v[212:213], v[212:213], v[220:221], v[222:223]
	v_div_fixup_f64 v[220:221], v[212:213], v[216:217], v[218:219]
	s_delay_alu instid0(VALU_DEP_1) | instskip(NEXT) | instid1(VALU_DEP_1)
	v_fma_f64 v[212:213], v[218:219], v[220:221], v[216:217]
	v_div_scale_f64 v[216:217], null, v[212:213], v[212:213], 1.0
	s_delay_alu instid0(VALU_DEP_1) | instskip(SKIP_2) | instid1(VALU_DEP_1)
	v_rcp_f64_e32 v[218:219], v[216:217]
	s_waitcnt_depctr 0xfff
	v_fma_f64 v[222:223], -v[216:217], v[218:219], 1.0
	v_fma_f64 v[218:219], v[218:219], v[222:223], v[218:219]
	s_delay_alu instid0(VALU_DEP_1) | instskip(NEXT) | instid1(VALU_DEP_1)
	v_fma_f64 v[222:223], -v[216:217], v[218:219], 1.0
	v_fma_f64 v[218:219], v[218:219], v[222:223], v[218:219]
	v_div_scale_f64 v[222:223], vcc_lo, 1.0, v[212:213], 1.0
	s_delay_alu instid0(VALU_DEP_1) | instskip(NEXT) | instid1(VALU_DEP_1)
	v_mul_f64 v[224:225], v[222:223], v[218:219]
	v_fma_f64 v[216:217], -v[216:217], v[224:225], v[222:223]
	s_delay_alu instid0(VALU_DEP_1) | instskip(NEXT) | instid1(VALU_DEP_1)
	v_div_fmas_f64 v[216:217], v[216:217], v[218:219], v[224:225]
	v_div_fixup_f64 v[212:213], v[216:217], v[212:213], 1.0
	s_delay_alu instid0(VALU_DEP_1)
	v_mul_f64 v[222:223], v[220:221], -v[212:213]
.LBB109_385:
	s_or_b32 exec_lo, exec_lo, s3
	ds_store_2addr_b64 v204, v[212:213], v[222:223] offset1:1
.LBB109_386:
	s_or_b32 exec_lo, exec_lo, s4
	s_waitcnt lgkmcnt(0)
	s_barrier
	buffer_gl0_inv
	ds_load_2addr_b64 v[205:208], v204 offset1:1
	s_mov_b32 s3, exec_lo
	s_waitcnt lgkmcnt(0)
	scratch_store_b128 off, v[205:208], off offset:1176 ; 16-byte Folded Spill
	v_cmpx_lt_u32_e32 42, v215
	s_cbranch_execz .LBB109_388
; %bb.387:
	scratch_load_b128 v[205:208], off, off offset:1176 ; 16-byte Folded Reload
	ds_load_2addr_b64 v[218:221], v214 offset0:86 offset1:87
	s_waitcnt vmcnt(0)
	v_mul_f64 v[212:213], v[205:206], v[50:51]
	v_mul_f64 v[50:51], v[207:208], v[50:51]
	s_delay_alu instid0(VALU_DEP_2) | instskip(NEXT) | instid1(VALU_DEP_2)
	v_fma_f64 v[216:217], v[207:208], v[48:49], v[212:213]
	v_fma_f64 v[48:49], v[205:206], v[48:49], -v[50:51]
	s_waitcnt lgkmcnt(0)
	s_delay_alu instid0(VALU_DEP_2) | instskip(SKIP_1) | instid1(VALU_DEP_2)
	v_mul_f64 v[50:51], v[220:221], v[216:217]
	v_mul_f64 v[212:213], v[218:219], v[216:217]
	v_fma_f64 v[50:51], v[218:219], v[48:49], -v[50:51]
	s_delay_alu instid0(VALU_DEP_2)
	v_fma_f64 v[212:213], v[220:221], v[48:49], v[212:213]
	ds_load_2addr_b64 v[218:221], v214 offset0:88 offset1:89
	v_add_f64 v[44:45], v[44:45], -v[50:51]
	v_add_f64 v[46:47], v[46:47], -v[212:213]
	s_waitcnt lgkmcnt(0)
	v_mul_f64 v[50:51], v[220:221], v[216:217]
	v_mul_f64 v[212:213], v[218:219], v[216:217]
	s_delay_alu instid0(VALU_DEP_2) | instskip(NEXT) | instid1(VALU_DEP_2)
	v_fma_f64 v[50:51], v[218:219], v[48:49], -v[50:51]
	v_fma_f64 v[212:213], v[220:221], v[48:49], v[212:213]
	ds_load_2addr_b64 v[218:221], v214 offset0:90 offset1:91
	v_add_f64 v[40:41], v[40:41], -v[50:51]
	v_add_f64 v[42:43], v[42:43], -v[212:213]
	s_waitcnt lgkmcnt(0)
	v_mul_f64 v[50:51], v[220:221], v[216:217]
	v_mul_f64 v[212:213], v[218:219], v[216:217]
	s_delay_alu instid0(VALU_DEP_2) | instskip(NEXT) | instid1(VALU_DEP_2)
	v_fma_f64 v[50:51], v[218:219], v[48:49], -v[50:51]
	;; [unrolled: 9-line block ×11, first 2 shown]
	v_fma_f64 v[212:213], v[220:221], v[48:49], v[212:213]
	s_delay_alu instid0(VALU_DEP_2) | instskip(NEXT) | instid1(VALU_DEP_2)
	v_add_f64 v[0:1], v[0:1], -v[50:51]
	v_add_f64 v[2:3], v[2:3], -v[212:213]
	v_dual_mov_b32 v50, v216 :: v_dual_mov_b32 v51, v217
.LBB109_388:
	s_or_b32 exec_lo, exec_lo, s3
	s_delay_alu instid0(SALU_CYCLE_1)
	s_mov_b32 s4, exec_lo
	s_waitcnt_vscnt null, 0x0
	s_barrier
	buffer_gl0_inv
	v_cmpx_eq_u32_e32 43, v215
	s_cbranch_execz .LBB109_395
; %bb.389:
	ds_store_2addr_b64 v204, v[44:45], v[46:47] offset1:1
	ds_store_2addr_b64 v214, v[40:41], v[42:43] offset0:88 offset1:89
	ds_store_2addr_b64 v214, v[36:37], v[38:39] offset0:90 offset1:91
	;; [unrolled: 1-line block ×11, first 2 shown]
	ds_load_2addr_b64 v[216:219], v204 offset1:1
	s_waitcnt lgkmcnt(0)
	v_cmp_neq_f64_e32 vcc_lo, 0, v[216:217]
	v_cmp_neq_f64_e64 s3, 0, v[218:219]
	s_delay_alu instid0(VALU_DEP_1) | instskip(NEXT) | instid1(SALU_CYCLE_1)
	s_or_b32 s3, vcc_lo, s3
	s_and_b32 exec_lo, exec_lo, s3
	s_cbranch_execz .LBB109_395
; %bb.390:
	v_cmp_gt_f64_e32 vcc_lo, 0, v[216:217]
	v_xor_b32_e32 v208, 0x80000000, v217
	s_delay_alu instid0(VALU_DEP_1) | instskip(SKIP_3) | instid1(VALU_DEP_1)
	v_cndmask_b32_e32 v213, v217, v208, vcc_lo
	v_cndmask_b32_e32 v212, v216, v216, vcc_lo
	v_cmp_gt_f64_e32 vcc_lo, 0, v[218:219]
	v_xor_b32_e32 v208, 0x80000000, v219
	v_dual_cndmask_b32 v220, v218, v218 :: v_dual_cndmask_b32 v221, v219, v208
	s_delay_alu instid0(VALU_DEP_1) | instskip(SKIP_1) | instid1(SALU_CYCLE_1)
	v_cmp_ngt_f64_e32 vcc_lo, v[212:213], v[220:221]
                                        ; implicit-def: $vgpr212_vgpr213
	s_and_saveexec_b32 s3, vcc_lo
	s_xor_b32 s3, exec_lo, s3
                                        ; implicit-def: $vgpr220_vgpr221_vgpr222_vgpr223
	s_cbranch_execz .LBB109_392
; %bb.391:
	v_div_scale_f64 v[212:213], null, v[218:219], v[218:219], v[216:217]
	v_div_scale_f64 v[224:225], vcc_lo, v[216:217], v[218:219], v[216:217]
	s_delay_alu instid0(VALU_DEP_2) | instskip(SKIP_2) | instid1(VALU_DEP_1)
	v_rcp_f64_e32 v[220:221], v[212:213]
	s_waitcnt_depctr 0xfff
	v_fma_f64 v[222:223], -v[212:213], v[220:221], 1.0
	v_fma_f64 v[220:221], v[220:221], v[222:223], v[220:221]
	s_delay_alu instid0(VALU_DEP_1) | instskip(NEXT) | instid1(VALU_DEP_1)
	v_fma_f64 v[222:223], -v[212:213], v[220:221], 1.0
	v_fma_f64 v[220:221], v[220:221], v[222:223], v[220:221]
	s_delay_alu instid0(VALU_DEP_1) | instskip(NEXT) | instid1(VALU_DEP_1)
	v_mul_f64 v[222:223], v[224:225], v[220:221]
	v_fma_f64 v[212:213], -v[212:213], v[222:223], v[224:225]
	s_delay_alu instid0(VALU_DEP_1) | instskip(NEXT) | instid1(VALU_DEP_1)
	v_div_fmas_f64 v[212:213], v[212:213], v[220:221], v[222:223]
	v_div_fixup_f64 v[212:213], v[212:213], v[218:219], v[216:217]
	s_delay_alu instid0(VALU_DEP_1) | instskip(NEXT) | instid1(VALU_DEP_1)
	v_fma_f64 v[216:217], v[216:217], v[212:213], v[218:219]
	v_div_scale_f64 v[218:219], null, v[216:217], v[216:217], 1.0
	s_delay_alu instid0(VALU_DEP_1) | instskip(SKIP_2) | instid1(VALU_DEP_1)
	v_rcp_f64_e32 v[220:221], v[218:219]
	s_waitcnt_depctr 0xfff
	v_fma_f64 v[222:223], -v[218:219], v[220:221], 1.0
	v_fma_f64 v[220:221], v[220:221], v[222:223], v[220:221]
	s_delay_alu instid0(VALU_DEP_1) | instskip(NEXT) | instid1(VALU_DEP_1)
	v_fma_f64 v[222:223], -v[218:219], v[220:221], 1.0
	v_fma_f64 v[220:221], v[220:221], v[222:223], v[220:221]
	v_div_scale_f64 v[222:223], vcc_lo, 1.0, v[216:217], 1.0
	s_delay_alu instid0(VALU_DEP_1) | instskip(NEXT) | instid1(VALU_DEP_1)
	v_mul_f64 v[224:225], v[222:223], v[220:221]
	v_fma_f64 v[218:219], -v[218:219], v[224:225], v[222:223]
	s_delay_alu instid0(VALU_DEP_1) | instskip(NEXT) | instid1(VALU_DEP_1)
	v_div_fmas_f64 v[218:219], v[218:219], v[220:221], v[224:225]
	v_div_fixup_f64 v[222:223], v[218:219], v[216:217], 1.0
                                        ; implicit-def: $vgpr216_vgpr217
	s_delay_alu instid0(VALU_DEP_1)
	v_mul_f64 v[212:213], v[212:213], v[222:223]
	v_xor_b32_e32 v223, 0x80000000, v223
.LBB109_392:
	s_and_not1_saveexec_b32 s3, s3
	s_cbranch_execz .LBB109_394
; %bb.393:
	v_div_scale_f64 v[212:213], null, v[216:217], v[216:217], v[218:219]
	v_div_scale_f64 v[224:225], vcc_lo, v[218:219], v[216:217], v[218:219]
	s_delay_alu instid0(VALU_DEP_2) | instskip(SKIP_2) | instid1(VALU_DEP_1)
	v_rcp_f64_e32 v[220:221], v[212:213]
	s_waitcnt_depctr 0xfff
	v_fma_f64 v[222:223], -v[212:213], v[220:221], 1.0
	v_fma_f64 v[220:221], v[220:221], v[222:223], v[220:221]
	s_delay_alu instid0(VALU_DEP_1) | instskip(NEXT) | instid1(VALU_DEP_1)
	v_fma_f64 v[222:223], -v[212:213], v[220:221], 1.0
	v_fma_f64 v[220:221], v[220:221], v[222:223], v[220:221]
	s_delay_alu instid0(VALU_DEP_1) | instskip(NEXT) | instid1(VALU_DEP_1)
	v_mul_f64 v[222:223], v[224:225], v[220:221]
	v_fma_f64 v[212:213], -v[212:213], v[222:223], v[224:225]
	s_delay_alu instid0(VALU_DEP_1) | instskip(NEXT) | instid1(VALU_DEP_1)
	v_div_fmas_f64 v[212:213], v[212:213], v[220:221], v[222:223]
	v_div_fixup_f64 v[220:221], v[212:213], v[216:217], v[218:219]
	s_delay_alu instid0(VALU_DEP_1) | instskip(NEXT) | instid1(VALU_DEP_1)
	v_fma_f64 v[212:213], v[218:219], v[220:221], v[216:217]
	v_div_scale_f64 v[216:217], null, v[212:213], v[212:213], 1.0
	s_delay_alu instid0(VALU_DEP_1) | instskip(SKIP_2) | instid1(VALU_DEP_1)
	v_rcp_f64_e32 v[218:219], v[216:217]
	s_waitcnt_depctr 0xfff
	v_fma_f64 v[222:223], -v[216:217], v[218:219], 1.0
	v_fma_f64 v[218:219], v[218:219], v[222:223], v[218:219]
	s_delay_alu instid0(VALU_DEP_1) | instskip(NEXT) | instid1(VALU_DEP_1)
	v_fma_f64 v[222:223], -v[216:217], v[218:219], 1.0
	v_fma_f64 v[218:219], v[218:219], v[222:223], v[218:219]
	v_div_scale_f64 v[222:223], vcc_lo, 1.0, v[212:213], 1.0
	s_delay_alu instid0(VALU_DEP_1) | instskip(NEXT) | instid1(VALU_DEP_1)
	v_mul_f64 v[224:225], v[222:223], v[218:219]
	v_fma_f64 v[216:217], -v[216:217], v[224:225], v[222:223]
	s_delay_alu instid0(VALU_DEP_1) | instskip(NEXT) | instid1(VALU_DEP_1)
	v_div_fmas_f64 v[216:217], v[216:217], v[218:219], v[224:225]
	v_div_fixup_f64 v[212:213], v[216:217], v[212:213], 1.0
	s_delay_alu instid0(VALU_DEP_1)
	v_mul_f64 v[222:223], v[220:221], -v[212:213]
.LBB109_394:
	s_or_b32 exec_lo, exec_lo, s3
	ds_store_2addr_b64 v204, v[212:213], v[222:223] offset1:1
.LBB109_395:
	s_or_b32 exec_lo, exec_lo, s4
	s_waitcnt lgkmcnt(0)
	s_barrier
	buffer_gl0_inv
	ds_load_2addr_b64 v[205:208], v204 offset1:1
	s_mov_b32 s3, exec_lo
	s_waitcnt lgkmcnt(0)
	scratch_store_b128 off, v[205:208], off offset:1192 ; 16-byte Folded Spill
	v_cmpx_lt_u32_e32 43, v215
	s_cbranch_execz .LBB109_397
; %bb.396:
	scratch_load_b128 v[205:208], off, off offset:1192 ; 16-byte Folded Reload
	ds_load_2addr_b64 v[218:221], v214 offset0:88 offset1:89
	s_waitcnt vmcnt(0)
	v_mul_f64 v[212:213], v[205:206], v[46:47]
	v_mul_f64 v[46:47], v[207:208], v[46:47]
	s_delay_alu instid0(VALU_DEP_2) | instskip(NEXT) | instid1(VALU_DEP_2)
	v_fma_f64 v[216:217], v[207:208], v[44:45], v[212:213]
	v_fma_f64 v[44:45], v[205:206], v[44:45], -v[46:47]
	s_waitcnt lgkmcnt(0)
	s_delay_alu instid0(VALU_DEP_2) | instskip(SKIP_1) | instid1(VALU_DEP_2)
	v_mul_f64 v[46:47], v[220:221], v[216:217]
	v_mul_f64 v[212:213], v[218:219], v[216:217]
	v_fma_f64 v[46:47], v[218:219], v[44:45], -v[46:47]
	s_delay_alu instid0(VALU_DEP_2)
	v_fma_f64 v[212:213], v[220:221], v[44:45], v[212:213]
	ds_load_2addr_b64 v[218:221], v214 offset0:90 offset1:91
	v_add_f64 v[40:41], v[40:41], -v[46:47]
	v_add_f64 v[42:43], v[42:43], -v[212:213]
	s_waitcnt lgkmcnt(0)
	v_mul_f64 v[46:47], v[220:221], v[216:217]
	v_mul_f64 v[212:213], v[218:219], v[216:217]
	s_delay_alu instid0(VALU_DEP_2) | instskip(NEXT) | instid1(VALU_DEP_2)
	v_fma_f64 v[46:47], v[218:219], v[44:45], -v[46:47]
	v_fma_f64 v[212:213], v[220:221], v[44:45], v[212:213]
	ds_load_2addr_b64 v[218:221], v214 offset0:92 offset1:93
	v_add_f64 v[36:37], v[36:37], -v[46:47]
	v_add_f64 v[38:39], v[38:39], -v[212:213]
	s_waitcnt lgkmcnt(0)
	v_mul_f64 v[46:47], v[220:221], v[216:217]
	v_mul_f64 v[212:213], v[218:219], v[216:217]
	s_delay_alu instid0(VALU_DEP_2) | instskip(NEXT) | instid1(VALU_DEP_2)
	v_fma_f64 v[46:47], v[218:219], v[44:45], -v[46:47]
	;; [unrolled: 9-line block ×10, first 2 shown]
	v_fma_f64 v[212:213], v[220:221], v[44:45], v[212:213]
	s_delay_alu instid0(VALU_DEP_2) | instskip(NEXT) | instid1(VALU_DEP_2)
	v_add_f64 v[0:1], v[0:1], -v[46:47]
	v_add_f64 v[2:3], v[2:3], -v[212:213]
	v_dual_mov_b32 v46, v216 :: v_dual_mov_b32 v47, v217
.LBB109_397:
	s_or_b32 exec_lo, exec_lo, s3
	s_delay_alu instid0(SALU_CYCLE_1)
	s_mov_b32 s4, exec_lo
	s_waitcnt_vscnt null, 0x0
	s_barrier
	buffer_gl0_inv
	v_cmpx_eq_u32_e32 44, v215
	s_cbranch_execz .LBB109_404
; %bb.398:
	ds_store_2addr_b64 v204, v[40:41], v[42:43] offset1:1
	ds_store_2addr_b64 v214, v[36:37], v[38:39] offset0:90 offset1:91
	ds_store_2addr_b64 v214, v[32:33], v[34:35] offset0:92 offset1:93
	;; [unrolled: 1-line block ×10, first 2 shown]
	ds_load_2addr_b64 v[216:219], v204 offset1:1
	s_waitcnt lgkmcnt(0)
	v_cmp_neq_f64_e32 vcc_lo, 0, v[216:217]
	v_cmp_neq_f64_e64 s3, 0, v[218:219]
	s_delay_alu instid0(VALU_DEP_1) | instskip(NEXT) | instid1(SALU_CYCLE_1)
	s_or_b32 s3, vcc_lo, s3
	s_and_b32 exec_lo, exec_lo, s3
	s_cbranch_execz .LBB109_404
; %bb.399:
	v_cmp_gt_f64_e32 vcc_lo, 0, v[216:217]
	v_xor_b32_e32 v208, 0x80000000, v217
	s_delay_alu instid0(VALU_DEP_1) | instskip(SKIP_3) | instid1(VALU_DEP_1)
	v_cndmask_b32_e32 v213, v217, v208, vcc_lo
	v_cndmask_b32_e32 v212, v216, v216, vcc_lo
	v_cmp_gt_f64_e32 vcc_lo, 0, v[218:219]
	v_xor_b32_e32 v208, 0x80000000, v219
	v_dual_cndmask_b32 v220, v218, v218 :: v_dual_cndmask_b32 v221, v219, v208
	s_delay_alu instid0(VALU_DEP_1) | instskip(SKIP_1) | instid1(SALU_CYCLE_1)
	v_cmp_ngt_f64_e32 vcc_lo, v[212:213], v[220:221]
                                        ; implicit-def: $vgpr212_vgpr213
	s_and_saveexec_b32 s3, vcc_lo
	s_xor_b32 s3, exec_lo, s3
                                        ; implicit-def: $vgpr220_vgpr221_vgpr222_vgpr223
	s_cbranch_execz .LBB109_401
; %bb.400:
	v_div_scale_f64 v[212:213], null, v[218:219], v[218:219], v[216:217]
	v_div_scale_f64 v[224:225], vcc_lo, v[216:217], v[218:219], v[216:217]
	s_delay_alu instid0(VALU_DEP_2) | instskip(SKIP_2) | instid1(VALU_DEP_1)
	v_rcp_f64_e32 v[220:221], v[212:213]
	s_waitcnt_depctr 0xfff
	v_fma_f64 v[222:223], -v[212:213], v[220:221], 1.0
	v_fma_f64 v[220:221], v[220:221], v[222:223], v[220:221]
	s_delay_alu instid0(VALU_DEP_1) | instskip(NEXT) | instid1(VALU_DEP_1)
	v_fma_f64 v[222:223], -v[212:213], v[220:221], 1.0
	v_fma_f64 v[220:221], v[220:221], v[222:223], v[220:221]
	s_delay_alu instid0(VALU_DEP_1) | instskip(NEXT) | instid1(VALU_DEP_1)
	v_mul_f64 v[222:223], v[224:225], v[220:221]
	v_fma_f64 v[212:213], -v[212:213], v[222:223], v[224:225]
	s_delay_alu instid0(VALU_DEP_1) | instskip(NEXT) | instid1(VALU_DEP_1)
	v_div_fmas_f64 v[212:213], v[212:213], v[220:221], v[222:223]
	v_div_fixup_f64 v[212:213], v[212:213], v[218:219], v[216:217]
	s_delay_alu instid0(VALU_DEP_1) | instskip(NEXT) | instid1(VALU_DEP_1)
	v_fma_f64 v[216:217], v[216:217], v[212:213], v[218:219]
	v_div_scale_f64 v[218:219], null, v[216:217], v[216:217], 1.0
	s_delay_alu instid0(VALU_DEP_1) | instskip(SKIP_2) | instid1(VALU_DEP_1)
	v_rcp_f64_e32 v[220:221], v[218:219]
	s_waitcnt_depctr 0xfff
	v_fma_f64 v[222:223], -v[218:219], v[220:221], 1.0
	v_fma_f64 v[220:221], v[220:221], v[222:223], v[220:221]
	s_delay_alu instid0(VALU_DEP_1) | instskip(NEXT) | instid1(VALU_DEP_1)
	v_fma_f64 v[222:223], -v[218:219], v[220:221], 1.0
	v_fma_f64 v[220:221], v[220:221], v[222:223], v[220:221]
	v_div_scale_f64 v[222:223], vcc_lo, 1.0, v[216:217], 1.0
	s_delay_alu instid0(VALU_DEP_1) | instskip(NEXT) | instid1(VALU_DEP_1)
	v_mul_f64 v[224:225], v[222:223], v[220:221]
	v_fma_f64 v[218:219], -v[218:219], v[224:225], v[222:223]
	s_delay_alu instid0(VALU_DEP_1) | instskip(NEXT) | instid1(VALU_DEP_1)
	v_div_fmas_f64 v[218:219], v[218:219], v[220:221], v[224:225]
	v_div_fixup_f64 v[222:223], v[218:219], v[216:217], 1.0
                                        ; implicit-def: $vgpr216_vgpr217
	s_delay_alu instid0(VALU_DEP_1)
	v_mul_f64 v[212:213], v[212:213], v[222:223]
	v_xor_b32_e32 v223, 0x80000000, v223
.LBB109_401:
	s_and_not1_saveexec_b32 s3, s3
	s_cbranch_execz .LBB109_403
; %bb.402:
	v_div_scale_f64 v[212:213], null, v[216:217], v[216:217], v[218:219]
	v_div_scale_f64 v[224:225], vcc_lo, v[218:219], v[216:217], v[218:219]
	s_delay_alu instid0(VALU_DEP_2) | instskip(SKIP_2) | instid1(VALU_DEP_1)
	v_rcp_f64_e32 v[220:221], v[212:213]
	s_waitcnt_depctr 0xfff
	v_fma_f64 v[222:223], -v[212:213], v[220:221], 1.0
	v_fma_f64 v[220:221], v[220:221], v[222:223], v[220:221]
	s_delay_alu instid0(VALU_DEP_1) | instskip(NEXT) | instid1(VALU_DEP_1)
	v_fma_f64 v[222:223], -v[212:213], v[220:221], 1.0
	v_fma_f64 v[220:221], v[220:221], v[222:223], v[220:221]
	s_delay_alu instid0(VALU_DEP_1) | instskip(NEXT) | instid1(VALU_DEP_1)
	v_mul_f64 v[222:223], v[224:225], v[220:221]
	v_fma_f64 v[212:213], -v[212:213], v[222:223], v[224:225]
	s_delay_alu instid0(VALU_DEP_1) | instskip(NEXT) | instid1(VALU_DEP_1)
	v_div_fmas_f64 v[212:213], v[212:213], v[220:221], v[222:223]
	v_div_fixup_f64 v[220:221], v[212:213], v[216:217], v[218:219]
	s_delay_alu instid0(VALU_DEP_1) | instskip(NEXT) | instid1(VALU_DEP_1)
	v_fma_f64 v[212:213], v[218:219], v[220:221], v[216:217]
	v_div_scale_f64 v[216:217], null, v[212:213], v[212:213], 1.0
	s_delay_alu instid0(VALU_DEP_1) | instskip(SKIP_2) | instid1(VALU_DEP_1)
	v_rcp_f64_e32 v[218:219], v[216:217]
	s_waitcnt_depctr 0xfff
	v_fma_f64 v[222:223], -v[216:217], v[218:219], 1.0
	v_fma_f64 v[218:219], v[218:219], v[222:223], v[218:219]
	s_delay_alu instid0(VALU_DEP_1) | instskip(NEXT) | instid1(VALU_DEP_1)
	v_fma_f64 v[222:223], -v[216:217], v[218:219], 1.0
	v_fma_f64 v[218:219], v[218:219], v[222:223], v[218:219]
	v_div_scale_f64 v[222:223], vcc_lo, 1.0, v[212:213], 1.0
	s_delay_alu instid0(VALU_DEP_1) | instskip(NEXT) | instid1(VALU_DEP_1)
	v_mul_f64 v[224:225], v[222:223], v[218:219]
	v_fma_f64 v[216:217], -v[216:217], v[224:225], v[222:223]
	s_delay_alu instid0(VALU_DEP_1) | instskip(NEXT) | instid1(VALU_DEP_1)
	v_div_fmas_f64 v[216:217], v[216:217], v[218:219], v[224:225]
	v_div_fixup_f64 v[212:213], v[216:217], v[212:213], 1.0
	s_delay_alu instid0(VALU_DEP_1)
	v_mul_f64 v[222:223], v[220:221], -v[212:213]
.LBB109_403:
	s_or_b32 exec_lo, exec_lo, s3
	ds_store_2addr_b64 v204, v[212:213], v[222:223] offset1:1
.LBB109_404:
	s_or_b32 exec_lo, exec_lo, s4
	s_waitcnt lgkmcnt(0)
	s_barrier
	buffer_gl0_inv
	ds_load_2addr_b64 v[205:208], v204 offset1:1
	s_mov_b32 s3, exec_lo
	s_waitcnt lgkmcnt(0)
	scratch_store_b128 off, v[205:208], off offset:1208 ; 16-byte Folded Spill
	v_cmpx_lt_u32_e32 44, v215
	s_cbranch_execz .LBB109_406
; %bb.405:
	scratch_load_b128 v[205:208], off, off offset:1208 ; 16-byte Folded Reload
	ds_load_2addr_b64 v[216:219], v214 offset0:90 offset1:91
	s_waitcnt vmcnt(0)
	v_mul_f64 v[212:213], v[205:206], v[42:43]
	v_mul_f64 v[42:43], v[207:208], v[42:43]
	s_delay_alu instid0(VALU_DEP_2) | instskip(NEXT) | instid1(VALU_DEP_2)
	v_fma_f64 v[212:213], v[207:208], v[40:41], v[212:213]
	v_fma_f64 v[40:41], v[205:206], v[40:41], -v[42:43]
	s_waitcnt lgkmcnt(0)
	s_delay_alu instid0(VALU_DEP_2) | instskip(NEXT) | instid1(VALU_DEP_1)
	v_mul_f64 v[42:43], v[218:219], v[212:213]
	v_fma_f64 v[42:43], v[216:217], v[40:41], -v[42:43]
	v_mul_f64 v[216:217], v[216:217], v[212:213]
	s_delay_alu instid0(VALU_DEP_2) | instskip(NEXT) | instid1(VALU_DEP_2)
	v_add_f64 v[36:37], v[36:37], -v[42:43]
	v_fma_f64 v[216:217], v[218:219], v[40:41], v[216:217]
	s_delay_alu instid0(VALU_DEP_1) | instskip(SKIP_3) | instid1(VALU_DEP_1)
	v_add_f64 v[38:39], v[38:39], -v[216:217]
	ds_load_2addr_b64 v[216:219], v214 offset0:92 offset1:93
	s_waitcnt lgkmcnt(0)
	v_mul_f64 v[42:43], v[218:219], v[212:213]
	v_fma_f64 v[42:43], v[216:217], v[40:41], -v[42:43]
	v_mul_f64 v[216:217], v[216:217], v[212:213]
	s_delay_alu instid0(VALU_DEP_2) | instskip(NEXT) | instid1(VALU_DEP_2)
	v_add_f64 v[32:33], v[32:33], -v[42:43]
	v_fma_f64 v[216:217], v[218:219], v[40:41], v[216:217]
	s_delay_alu instid0(VALU_DEP_1) | instskip(SKIP_3) | instid1(VALU_DEP_1)
	v_add_f64 v[34:35], v[34:35], -v[216:217]
	ds_load_2addr_b64 v[216:219], v214 offset0:94 offset1:95
	s_waitcnt lgkmcnt(0)
	;; [unrolled: 10-line block ×9, first 2 shown]
	v_mul_f64 v[42:43], v[218:219], v[212:213]
	v_fma_f64 v[42:43], v[216:217], v[40:41], -v[42:43]
	v_mul_f64 v[216:217], v[216:217], v[212:213]
	s_delay_alu instid0(VALU_DEP_2) | instskip(NEXT) | instid1(VALU_DEP_2)
	v_add_f64 v[0:1], v[0:1], -v[42:43]
	v_fma_f64 v[216:217], v[218:219], v[40:41], v[216:217]
	v_dual_mov_b32 v42, v212 :: v_dual_mov_b32 v43, v213
	s_delay_alu instid0(VALU_DEP_2)
	v_add_f64 v[2:3], v[2:3], -v[216:217]
.LBB109_406:
	s_or_b32 exec_lo, exec_lo, s3
	s_delay_alu instid0(SALU_CYCLE_1)
	s_mov_b32 s4, exec_lo
	s_waitcnt_vscnt null, 0x0
	s_barrier
	buffer_gl0_inv
	v_cmpx_eq_u32_e32 45, v215
	s_cbranch_execz .LBB109_413
; %bb.407:
	ds_store_2addr_b64 v204, v[36:37], v[38:39] offset1:1
	ds_store_2addr_b64 v214, v[32:33], v[34:35] offset0:92 offset1:93
	ds_store_2addr_b64 v214, v[28:29], v[30:31] offset0:94 offset1:95
	;; [unrolled: 1-line block ×9, first 2 shown]
	ds_load_2addr_b64 v[216:219], v204 offset1:1
	s_waitcnt lgkmcnt(0)
	v_cmp_neq_f64_e32 vcc_lo, 0, v[216:217]
	v_cmp_neq_f64_e64 s3, 0, v[218:219]
	s_delay_alu instid0(VALU_DEP_1) | instskip(NEXT) | instid1(SALU_CYCLE_1)
	s_or_b32 s3, vcc_lo, s3
	s_and_b32 exec_lo, exec_lo, s3
	s_cbranch_execz .LBB109_413
; %bb.408:
	v_cmp_gt_f64_e32 vcc_lo, 0, v[216:217]
	v_xor_b32_e32 v208, 0x80000000, v217
	s_delay_alu instid0(VALU_DEP_1) | instskip(SKIP_3) | instid1(VALU_DEP_1)
	v_cndmask_b32_e32 v213, v217, v208, vcc_lo
	v_cndmask_b32_e32 v212, v216, v216, vcc_lo
	v_cmp_gt_f64_e32 vcc_lo, 0, v[218:219]
	v_xor_b32_e32 v208, 0x80000000, v219
	v_dual_cndmask_b32 v220, v218, v218 :: v_dual_cndmask_b32 v221, v219, v208
	s_delay_alu instid0(VALU_DEP_1) | instskip(SKIP_1) | instid1(SALU_CYCLE_1)
	v_cmp_ngt_f64_e32 vcc_lo, v[212:213], v[220:221]
                                        ; implicit-def: $vgpr212_vgpr213
	s_and_saveexec_b32 s3, vcc_lo
	s_xor_b32 s3, exec_lo, s3
                                        ; implicit-def: $vgpr220_vgpr221_vgpr222_vgpr223
	s_cbranch_execz .LBB109_410
; %bb.409:
	v_div_scale_f64 v[212:213], null, v[218:219], v[218:219], v[216:217]
	v_div_scale_f64 v[224:225], vcc_lo, v[216:217], v[218:219], v[216:217]
	s_delay_alu instid0(VALU_DEP_2) | instskip(SKIP_2) | instid1(VALU_DEP_1)
	v_rcp_f64_e32 v[220:221], v[212:213]
	s_waitcnt_depctr 0xfff
	v_fma_f64 v[222:223], -v[212:213], v[220:221], 1.0
	v_fma_f64 v[220:221], v[220:221], v[222:223], v[220:221]
	s_delay_alu instid0(VALU_DEP_1) | instskip(NEXT) | instid1(VALU_DEP_1)
	v_fma_f64 v[222:223], -v[212:213], v[220:221], 1.0
	v_fma_f64 v[220:221], v[220:221], v[222:223], v[220:221]
	s_delay_alu instid0(VALU_DEP_1) | instskip(NEXT) | instid1(VALU_DEP_1)
	v_mul_f64 v[222:223], v[224:225], v[220:221]
	v_fma_f64 v[212:213], -v[212:213], v[222:223], v[224:225]
	s_delay_alu instid0(VALU_DEP_1) | instskip(NEXT) | instid1(VALU_DEP_1)
	v_div_fmas_f64 v[212:213], v[212:213], v[220:221], v[222:223]
	v_div_fixup_f64 v[212:213], v[212:213], v[218:219], v[216:217]
	s_delay_alu instid0(VALU_DEP_1) | instskip(NEXT) | instid1(VALU_DEP_1)
	v_fma_f64 v[216:217], v[216:217], v[212:213], v[218:219]
	v_div_scale_f64 v[218:219], null, v[216:217], v[216:217], 1.0
	s_delay_alu instid0(VALU_DEP_1) | instskip(SKIP_2) | instid1(VALU_DEP_1)
	v_rcp_f64_e32 v[220:221], v[218:219]
	s_waitcnt_depctr 0xfff
	v_fma_f64 v[222:223], -v[218:219], v[220:221], 1.0
	v_fma_f64 v[220:221], v[220:221], v[222:223], v[220:221]
	s_delay_alu instid0(VALU_DEP_1) | instskip(NEXT) | instid1(VALU_DEP_1)
	v_fma_f64 v[222:223], -v[218:219], v[220:221], 1.0
	v_fma_f64 v[220:221], v[220:221], v[222:223], v[220:221]
	v_div_scale_f64 v[222:223], vcc_lo, 1.0, v[216:217], 1.0
	s_delay_alu instid0(VALU_DEP_1) | instskip(NEXT) | instid1(VALU_DEP_1)
	v_mul_f64 v[224:225], v[222:223], v[220:221]
	v_fma_f64 v[218:219], -v[218:219], v[224:225], v[222:223]
	s_delay_alu instid0(VALU_DEP_1) | instskip(NEXT) | instid1(VALU_DEP_1)
	v_div_fmas_f64 v[218:219], v[218:219], v[220:221], v[224:225]
	v_div_fixup_f64 v[222:223], v[218:219], v[216:217], 1.0
                                        ; implicit-def: $vgpr216_vgpr217
	s_delay_alu instid0(VALU_DEP_1)
	v_mul_f64 v[212:213], v[212:213], v[222:223]
	v_xor_b32_e32 v223, 0x80000000, v223
.LBB109_410:
	s_and_not1_saveexec_b32 s3, s3
	s_cbranch_execz .LBB109_412
; %bb.411:
	v_div_scale_f64 v[212:213], null, v[216:217], v[216:217], v[218:219]
	v_div_scale_f64 v[224:225], vcc_lo, v[218:219], v[216:217], v[218:219]
	s_delay_alu instid0(VALU_DEP_2) | instskip(SKIP_2) | instid1(VALU_DEP_1)
	v_rcp_f64_e32 v[220:221], v[212:213]
	s_waitcnt_depctr 0xfff
	v_fma_f64 v[222:223], -v[212:213], v[220:221], 1.0
	v_fma_f64 v[220:221], v[220:221], v[222:223], v[220:221]
	s_delay_alu instid0(VALU_DEP_1) | instskip(NEXT) | instid1(VALU_DEP_1)
	v_fma_f64 v[222:223], -v[212:213], v[220:221], 1.0
	v_fma_f64 v[220:221], v[220:221], v[222:223], v[220:221]
	s_delay_alu instid0(VALU_DEP_1) | instskip(NEXT) | instid1(VALU_DEP_1)
	v_mul_f64 v[222:223], v[224:225], v[220:221]
	v_fma_f64 v[212:213], -v[212:213], v[222:223], v[224:225]
	s_delay_alu instid0(VALU_DEP_1) | instskip(NEXT) | instid1(VALU_DEP_1)
	v_div_fmas_f64 v[212:213], v[212:213], v[220:221], v[222:223]
	v_div_fixup_f64 v[220:221], v[212:213], v[216:217], v[218:219]
	s_delay_alu instid0(VALU_DEP_1) | instskip(NEXT) | instid1(VALU_DEP_1)
	v_fma_f64 v[212:213], v[218:219], v[220:221], v[216:217]
	v_div_scale_f64 v[216:217], null, v[212:213], v[212:213], 1.0
	s_delay_alu instid0(VALU_DEP_1) | instskip(SKIP_2) | instid1(VALU_DEP_1)
	v_rcp_f64_e32 v[218:219], v[216:217]
	s_waitcnt_depctr 0xfff
	v_fma_f64 v[222:223], -v[216:217], v[218:219], 1.0
	v_fma_f64 v[218:219], v[218:219], v[222:223], v[218:219]
	s_delay_alu instid0(VALU_DEP_1) | instskip(NEXT) | instid1(VALU_DEP_1)
	v_fma_f64 v[222:223], -v[216:217], v[218:219], 1.0
	v_fma_f64 v[218:219], v[218:219], v[222:223], v[218:219]
	v_div_scale_f64 v[222:223], vcc_lo, 1.0, v[212:213], 1.0
	s_delay_alu instid0(VALU_DEP_1) | instskip(NEXT) | instid1(VALU_DEP_1)
	v_mul_f64 v[224:225], v[222:223], v[218:219]
	v_fma_f64 v[216:217], -v[216:217], v[224:225], v[222:223]
	s_delay_alu instid0(VALU_DEP_1) | instskip(NEXT) | instid1(VALU_DEP_1)
	v_div_fmas_f64 v[216:217], v[216:217], v[218:219], v[224:225]
	v_div_fixup_f64 v[212:213], v[216:217], v[212:213], 1.0
	s_delay_alu instid0(VALU_DEP_1)
	v_mul_f64 v[222:223], v[220:221], -v[212:213]
.LBB109_412:
	s_or_b32 exec_lo, exec_lo, s3
	ds_store_2addr_b64 v204, v[212:213], v[222:223] offset1:1
.LBB109_413:
	s_or_b32 exec_lo, exec_lo, s4
	s_waitcnt lgkmcnt(0)
	s_barrier
	buffer_gl0_inv
	ds_load_2addr_b64 v[220:223], v204 offset1:1
	s_mov_b32 s3, exec_lo
	v_cmpx_lt_u32_e32 45, v215
	s_cbranch_execz .LBB109_415
; %bb.414:
	s_waitcnt lgkmcnt(0)
	v_mul_f64 v[212:213], v[220:221], v[38:39]
	v_mul_f64 v[38:39], v[222:223], v[38:39]
	ds_load_2addr_b64 v[216:219], v214 offset0:92 offset1:93
	v_fma_f64 v[212:213], v[222:223], v[36:37], v[212:213]
	v_fma_f64 v[36:37], v[220:221], v[36:37], -v[38:39]
	s_waitcnt lgkmcnt(0)
	s_delay_alu instid0(VALU_DEP_2) | instskip(NEXT) | instid1(VALU_DEP_1)
	v_mul_f64 v[38:39], v[218:219], v[212:213]
	v_fma_f64 v[38:39], v[216:217], v[36:37], -v[38:39]
	v_mul_f64 v[216:217], v[216:217], v[212:213]
	s_delay_alu instid0(VALU_DEP_2) | instskip(NEXT) | instid1(VALU_DEP_2)
	v_add_f64 v[32:33], v[32:33], -v[38:39]
	v_fma_f64 v[216:217], v[218:219], v[36:37], v[216:217]
	s_delay_alu instid0(VALU_DEP_1) | instskip(SKIP_3) | instid1(VALU_DEP_1)
	v_add_f64 v[34:35], v[34:35], -v[216:217]
	ds_load_2addr_b64 v[216:219], v214 offset0:94 offset1:95
	s_waitcnt lgkmcnt(0)
	v_mul_f64 v[38:39], v[218:219], v[212:213]
	v_fma_f64 v[38:39], v[216:217], v[36:37], -v[38:39]
	v_mul_f64 v[216:217], v[216:217], v[212:213]
	s_delay_alu instid0(VALU_DEP_2) | instskip(NEXT) | instid1(VALU_DEP_2)
	v_add_f64 v[28:29], v[28:29], -v[38:39]
	v_fma_f64 v[216:217], v[218:219], v[36:37], v[216:217]
	s_delay_alu instid0(VALU_DEP_1) | instskip(SKIP_3) | instid1(VALU_DEP_1)
	v_add_f64 v[30:31], v[30:31], -v[216:217]
	ds_load_2addr_b64 v[216:219], v214 offset0:96 offset1:97
	s_waitcnt lgkmcnt(0)
	v_mul_f64 v[38:39], v[218:219], v[212:213]
	v_fma_f64 v[38:39], v[216:217], v[36:37], -v[38:39]
	v_mul_f64 v[216:217], v[216:217], v[212:213]
	s_delay_alu instid0(VALU_DEP_2) | instskip(NEXT) | instid1(VALU_DEP_2)
	v_add_f64 v[24:25], v[24:25], -v[38:39]
	v_fma_f64 v[216:217], v[218:219], v[36:37], v[216:217]
	s_delay_alu instid0(VALU_DEP_1) | instskip(SKIP_3) | instid1(VALU_DEP_1)
	v_add_f64 v[26:27], v[26:27], -v[216:217]
	ds_load_2addr_b64 v[216:219], v214 offset0:98 offset1:99
	s_waitcnt lgkmcnt(0)
	v_mul_f64 v[38:39], v[218:219], v[212:213]
	v_fma_f64 v[38:39], v[216:217], v[36:37], -v[38:39]
	v_mul_f64 v[216:217], v[216:217], v[212:213]
	s_delay_alu instid0(VALU_DEP_2) | instskip(NEXT) | instid1(VALU_DEP_2)
	v_add_f64 v[20:21], v[20:21], -v[38:39]
	v_fma_f64 v[216:217], v[218:219], v[36:37], v[216:217]
	s_delay_alu instid0(VALU_DEP_1) | instskip(SKIP_3) | instid1(VALU_DEP_1)
	v_add_f64 v[22:23], v[22:23], -v[216:217]
	ds_load_2addr_b64 v[216:219], v214 offset0:100 offset1:101
	s_waitcnt lgkmcnt(0)
	v_mul_f64 v[38:39], v[218:219], v[212:213]
	v_fma_f64 v[38:39], v[216:217], v[36:37], -v[38:39]
	v_mul_f64 v[216:217], v[216:217], v[212:213]
	s_delay_alu instid0(VALU_DEP_2) | instskip(NEXT) | instid1(VALU_DEP_2)
	v_add_f64 v[16:17], v[16:17], -v[38:39]
	v_fma_f64 v[216:217], v[218:219], v[36:37], v[216:217]
	s_delay_alu instid0(VALU_DEP_1) | instskip(SKIP_3) | instid1(VALU_DEP_1)
	v_add_f64 v[18:19], v[18:19], -v[216:217]
	ds_load_2addr_b64 v[216:219], v214 offset0:102 offset1:103
	s_waitcnt lgkmcnt(0)
	v_mul_f64 v[38:39], v[218:219], v[212:213]
	v_fma_f64 v[38:39], v[216:217], v[36:37], -v[38:39]
	v_mul_f64 v[216:217], v[216:217], v[212:213]
	s_delay_alu instid0(VALU_DEP_2) | instskip(NEXT) | instid1(VALU_DEP_2)
	v_add_f64 v[12:13], v[12:13], -v[38:39]
	v_fma_f64 v[216:217], v[218:219], v[36:37], v[216:217]
	s_delay_alu instid0(VALU_DEP_1) | instskip(SKIP_3) | instid1(VALU_DEP_1)
	v_add_f64 v[14:15], v[14:15], -v[216:217]
	ds_load_2addr_b64 v[216:219], v214 offset0:104 offset1:105
	s_waitcnt lgkmcnt(0)
	v_mul_f64 v[38:39], v[218:219], v[212:213]
	v_fma_f64 v[38:39], v[216:217], v[36:37], -v[38:39]
	v_mul_f64 v[216:217], v[216:217], v[212:213]
	s_delay_alu instid0(VALU_DEP_2) | instskip(NEXT) | instid1(VALU_DEP_2)
	v_add_f64 v[8:9], v[8:9], -v[38:39]
	v_fma_f64 v[216:217], v[218:219], v[36:37], v[216:217]
	s_delay_alu instid0(VALU_DEP_1) | instskip(SKIP_3) | instid1(VALU_DEP_1)
	v_add_f64 v[10:11], v[10:11], -v[216:217]
	ds_load_2addr_b64 v[216:219], v214 offset0:106 offset1:107
	s_waitcnt lgkmcnt(0)
	v_mul_f64 v[38:39], v[218:219], v[212:213]
	v_fma_f64 v[38:39], v[216:217], v[36:37], -v[38:39]
	v_mul_f64 v[216:217], v[216:217], v[212:213]
	s_delay_alu instid0(VALU_DEP_2) | instskip(NEXT) | instid1(VALU_DEP_2)
	v_add_f64 v[4:5], v[4:5], -v[38:39]
	v_fma_f64 v[216:217], v[218:219], v[36:37], v[216:217]
	s_delay_alu instid0(VALU_DEP_1) | instskip(SKIP_3) | instid1(VALU_DEP_1)
	v_add_f64 v[6:7], v[6:7], -v[216:217]
	ds_load_2addr_b64 v[216:219], v214 offset0:108 offset1:109
	s_waitcnt lgkmcnt(0)
	v_mul_f64 v[38:39], v[218:219], v[212:213]
	v_fma_f64 v[38:39], v[216:217], v[36:37], -v[38:39]
	v_mul_f64 v[216:217], v[216:217], v[212:213]
	s_delay_alu instid0(VALU_DEP_2) | instskip(NEXT) | instid1(VALU_DEP_2)
	v_add_f64 v[0:1], v[0:1], -v[38:39]
	v_fma_f64 v[216:217], v[218:219], v[36:37], v[216:217]
	v_dual_mov_b32 v38, v212 :: v_dual_mov_b32 v39, v213
	s_delay_alu instid0(VALU_DEP_2)
	v_add_f64 v[2:3], v[2:3], -v[216:217]
.LBB109_415:
	s_or_b32 exec_lo, exec_lo, s3
	s_delay_alu instid0(SALU_CYCLE_1)
	s_mov_b32 s4, exec_lo
	s_waitcnt lgkmcnt(0)
	s_barrier
	buffer_gl0_inv
	v_cmpx_eq_u32_e32 46, v215
	s_cbranch_execz .LBB109_422
; %bb.416:
	ds_store_2addr_b64 v204, v[32:33], v[34:35] offset1:1
	ds_store_2addr_b64 v214, v[28:29], v[30:31] offset0:94 offset1:95
	ds_store_2addr_b64 v214, v[24:25], v[26:27] offset0:96 offset1:97
	;; [unrolled: 1-line block ×8, first 2 shown]
	ds_load_2addr_b64 v[216:219], v204 offset1:1
	s_waitcnt lgkmcnt(0)
	v_cmp_neq_f64_e32 vcc_lo, 0, v[216:217]
	v_cmp_neq_f64_e64 s3, 0, v[218:219]
	s_delay_alu instid0(VALU_DEP_1) | instskip(NEXT) | instid1(SALU_CYCLE_1)
	s_or_b32 s3, vcc_lo, s3
	s_and_b32 exec_lo, exec_lo, s3
	s_cbranch_execz .LBB109_422
; %bb.417:
	v_cmp_gt_f64_e32 vcc_lo, 0, v[216:217]
	v_xor_b32_e32 v208, 0x80000000, v217
	s_delay_alu instid0(VALU_DEP_1) | instskip(SKIP_3) | instid1(VALU_DEP_1)
	v_cndmask_b32_e32 v213, v217, v208, vcc_lo
	v_cndmask_b32_e32 v212, v216, v216, vcc_lo
	v_cmp_gt_f64_e32 vcc_lo, 0, v[218:219]
	v_xor_b32_e32 v208, 0x80000000, v219
	v_dual_cndmask_b32 v224, v218, v218 :: v_dual_cndmask_b32 v225, v219, v208
	s_delay_alu instid0(VALU_DEP_1) | instskip(SKIP_1) | instid1(SALU_CYCLE_1)
	v_cmp_ngt_f64_e32 vcc_lo, v[212:213], v[224:225]
                                        ; implicit-def: $vgpr212_vgpr213
	s_and_saveexec_b32 s3, vcc_lo
	s_xor_b32 s3, exec_lo, s3
                                        ; implicit-def: $vgpr224_vgpr225_vgpr226_vgpr227
	s_cbranch_execz .LBB109_419
; %bb.418:
	v_div_scale_f64 v[212:213], null, v[218:219], v[218:219], v[216:217]
	v_div_scale_f64 v[228:229], vcc_lo, v[216:217], v[218:219], v[216:217]
	s_delay_alu instid0(VALU_DEP_2) | instskip(SKIP_2) | instid1(VALU_DEP_1)
	v_rcp_f64_e32 v[224:225], v[212:213]
	s_waitcnt_depctr 0xfff
	v_fma_f64 v[226:227], -v[212:213], v[224:225], 1.0
	v_fma_f64 v[224:225], v[224:225], v[226:227], v[224:225]
	s_delay_alu instid0(VALU_DEP_1) | instskip(NEXT) | instid1(VALU_DEP_1)
	v_fma_f64 v[226:227], -v[212:213], v[224:225], 1.0
	v_fma_f64 v[224:225], v[224:225], v[226:227], v[224:225]
	s_delay_alu instid0(VALU_DEP_1) | instskip(NEXT) | instid1(VALU_DEP_1)
	v_mul_f64 v[226:227], v[228:229], v[224:225]
	v_fma_f64 v[212:213], -v[212:213], v[226:227], v[228:229]
	s_delay_alu instid0(VALU_DEP_1) | instskip(NEXT) | instid1(VALU_DEP_1)
	v_div_fmas_f64 v[212:213], v[212:213], v[224:225], v[226:227]
	v_div_fixup_f64 v[212:213], v[212:213], v[218:219], v[216:217]
	s_delay_alu instid0(VALU_DEP_1) | instskip(NEXT) | instid1(VALU_DEP_1)
	v_fma_f64 v[216:217], v[216:217], v[212:213], v[218:219]
	v_div_scale_f64 v[218:219], null, v[216:217], v[216:217], 1.0
	s_delay_alu instid0(VALU_DEP_1) | instskip(SKIP_2) | instid1(VALU_DEP_1)
	v_rcp_f64_e32 v[224:225], v[218:219]
	s_waitcnt_depctr 0xfff
	v_fma_f64 v[226:227], -v[218:219], v[224:225], 1.0
	v_fma_f64 v[224:225], v[224:225], v[226:227], v[224:225]
	s_delay_alu instid0(VALU_DEP_1) | instskip(NEXT) | instid1(VALU_DEP_1)
	v_fma_f64 v[226:227], -v[218:219], v[224:225], 1.0
	v_fma_f64 v[224:225], v[224:225], v[226:227], v[224:225]
	v_div_scale_f64 v[226:227], vcc_lo, 1.0, v[216:217], 1.0
	s_delay_alu instid0(VALU_DEP_1) | instskip(NEXT) | instid1(VALU_DEP_1)
	v_mul_f64 v[228:229], v[226:227], v[224:225]
	v_fma_f64 v[218:219], -v[218:219], v[228:229], v[226:227]
	s_delay_alu instid0(VALU_DEP_1) | instskip(NEXT) | instid1(VALU_DEP_1)
	v_div_fmas_f64 v[218:219], v[218:219], v[224:225], v[228:229]
	v_div_fixup_f64 v[226:227], v[218:219], v[216:217], 1.0
                                        ; implicit-def: $vgpr216_vgpr217
	s_delay_alu instid0(VALU_DEP_1)
	v_mul_f64 v[212:213], v[212:213], v[226:227]
	v_xor_b32_e32 v227, 0x80000000, v227
.LBB109_419:
	s_and_not1_saveexec_b32 s3, s3
	s_cbranch_execz .LBB109_421
; %bb.420:
	v_div_scale_f64 v[212:213], null, v[216:217], v[216:217], v[218:219]
	v_div_scale_f64 v[228:229], vcc_lo, v[218:219], v[216:217], v[218:219]
	s_delay_alu instid0(VALU_DEP_2) | instskip(SKIP_2) | instid1(VALU_DEP_1)
	v_rcp_f64_e32 v[224:225], v[212:213]
	s_waitcnt_depctr 0xfff
	v_fma_f64 v[226:227], -v[212:213], v[224:225], 1.0
	v_fma_f64 v[224:225], v[224:225], v[226:227], v[224:225]
	s_delay_alu instid0(VALU_DEP_1) | instskip(NEXT) | instid1(VALU_DEP_1)
	v_fma_f64 v[226:227], -v[212:213], v[224:225], 1.0
	v_fma_f64 v[224:225], v[224:225], v[226:227], v[224:225]
	s_delay_alu instid0(VALU_DEP_1) | instskip(NEXT) | instid1(VALU_DEP_1)
	v_mul_f64 v[226:227], v[228:229], v[224:225]
	v_fma_f64 v[212:213], -v[212:213], v[226:227], v[228:229]
	s_delay_alu instid0(VALU_DEP_1) | instskip(NEXT) | instid1(VALU_DEP_1)
	v_div_fmas_f64 v[212:213], v[212:213], v[224:225], v[226:227]
	v_div_fixup_f64 v[224:225], v[212:213], v[216:217], v[218:219]
	s_delay_alu instid0(VALU_DEP_1) | instskip(NEXT) | instid1(VALU_DEP_1)
	v_fma_f64 v[212:213], v[218:219], v[224:225], v[216:217]
	v_div_scale_f64 v[216:217], null, v[212:213], v[212:213], 1.0
	s_delay_alu instid0(VALU_DEP_1) | instskip(SKIP_2) | instid1(VALU_DEP_1)
	v_rcp_f64_e32 v[218:219], v[216:217]
	s_waitcnt_depctr 0xfff
	v_fma_f64 v[226:227], -v[216:217], v[218:219], 1.0
	v_fma_f64 v[218:219], v[218:219], v[226:227], v[218:219]
	s_delay_alu instid0(VALU_DEP_1) | instskip(NEXT) | instid1(VALU_DEP_1)
	v_fma_f64 v[226:227], -v[216:217], v[218:219], 1.0
	v_fma_f64 v[218:219], v[218:219], v[226:227], v[218:219]
	v_div_scale_f64 v[226:227], vcc_lo, 1.0, v[212:213], 1.0
	s_delay_alu instid0(VALU_DEP_1) | instskip(NEXT) | instid1(VALU_DEP_1)
	v_mul_f64 v[228:229], v[226:227], v[218:219]
	v_fma_f64 v[216:217], -v[216:217], v[228:229], v[226:227]
	s_delay_alu instid0(VALU_DEP_1) | instskip(NEXT) | instid1(VALU_DEP_1)
	v_div_fmas_f64 v[216:217], v[216:217], v[218:219], v[228:229]
	v_div_fixup_f64 v[212:213], v[216:217], v[212:213], 1.0
	s_delay_alu instid0(VALU_DEP_1)
	v_mul_f64 v[226:227], v[224:225], -v[212:213]
.LBB109_421:
	s_or_b32 exec_lo, exec_lo, s3
	ds_store_2addr_b64 v204, v[212:213], v[226:227] offset1:1
.LBB109_422:
	s_or_b32 exec_lo, exec_lo, s4
	s_waitcnt lgkmcnt(0)
	s_barrier
	buffer_gl0_inv
	ds_load_2addr_b64 v[224:227], v204 offset1:1
	s_mov_b32 s3, exec_lo
	v_cmpx_lt_u32_e32 46, v215
	s_cbranch_execz .LBB109_424
; %bb.423:
	s_waitcnt lgkmcnt(0)
	v_mul_f64 v[212:213], v[224:225], v[34:35]
	v_mul_f64 v[34:35], v[226:227], v[34:35]
	ds_load_2addr_b64 v[216:219], v214 offset0:94 offset1:95
	v_fma_f64 v[212:213], v[226:227], v[32:33], v[212:213]
	v_fma_f64 v[32:33], v[224:225], v[32:33], -v[34:35]
	s_waitcnt lgkmcnt(0)
	s_delay_alu instid0(VALU_DEP_2) | instskip(NEXT) | instid1(VALU_DEP_1)
	v_mul_f64 v[34:35], v[218:219], v[212:213]
	v_fma_f64 v[34:35], v[216:217], v[32:33], -v[34:35]
	v_mul_f64 v[216:217], v[216:217], v[212:213]
	s_delay_alu instid0(VALU_DEP_2) | instskip(NEXT) | instid1(VALU_DEP_2)
	v_add_f64 v[28:29], v[28:29], -v[34:35]
	v_fma_f64 v[216:217], v[218:219], v[32:33], v[216:217]
	s_delay_alu instid0(VALU_DEP_1) | instskip(SKIP_3) | instid1(VALU_DEP_1)
	v_add_f64 v[30:31], v[30:31], -v[216:217]
	ds_load_2addr_b64 v[216:219], v214 offset0:96 offset1:97
	s_waitcnt lgkmcnt(0)
	v_mul_f64 v[34:35], v[218:219], v[212:213]
	v_fma_f64 v[34:35], v[216:217], v[32:33], -v[34:35]
	v_mul_f64 v[216:217], v[216:217], v[212:213]
	s_delay_alu instid0(VALU_DEP_2) | instskip(NEXT) | instid1(VALU_DEP_2)
	v_add_f64 v[24:25], v[24:25], -v[34:35]
	v_fma_f64 v[216:217], v[218:219], v[32:33], v[216:217]
	s_delay_alu instid0(VALU_DEP_1) | instskip(SKIP_3) | instid1(VALU_DEP_1)
	v_add_f64 v[26:27], v[26:27], -v[216:217]
	ds_load_2addr_b64 v[216:219], v214 offset0:98 offset1:99
	s_waitcnt lgkmcnt(0)
	;; [unrolled: 10-line block ×7, first 2 shown]
	v_mul_f64 v[34:35], v[218:219], v[212:213]
	v_fma_f64 v[34:35], v[216:217], v[32:33], -v[34:35]
	v_mul_f64 v[216:217], v[216:217], v[212:213]
	s_delay_alu instid0(VALU_DEP_2) | instskip(NEXT) | instid1(VALU_DEP_2)
	v_add_f64 v[0:1], v[0:1], -v[34:35]
	v_fma_f64 v[216:217], v[218:219], v[32:33], v[216:217]
	v_dual_mov_b32 v34, v212 :: v_dual_mov_b32 v35, v213
	s_delay_alu instid0(VALU_DEP_2)
	v_add_f64 v[2:3], v[2:3], -v[216:217]
.LBB109_424:
	s_or_b32 exec_lo, exec_lo, s3
	s_delay_alu instid0(SALU_CYCLE_1)
	s_mov_b32 s4, exec_lo
	s_waitcnt lgkmcnt(0)
	s_barrier
	buffer_gl0_inv
	v_cmpx_eq_u32_e32 47, v215
	s_cbranch_execz .LBB109_431
; %bb.425:
	ds_store_2addr_b64 v204, v[28:29], v[30:31] offset1:1
	ds_store_2addr_b64 v214, v[24:25], v[26:27] offset0:96 offset1:97
	ds_store_2addr_b64 v214, v[20:21], v[22:23] offset0:98 offset1:99
	;; [unrolled: 1-line block ×7, first 2 shown]
	ds_load_2addr_b64 v[216:219], v204 offset1:1
	s_waitcnt lgkmcnt(0)
	v_cmp_neq_f64_e32 vcc_lo, 0, v[216:217]
	v_cmp_neq_f64_e64 s3, 0, v[218:219]
	s_delay_alu instid0(VALU_DEP_1) | instskip(NEXT) | instid1(SALU_CYCLE_1)
	s_or_b32 s3, vcc_lo, s3
	s_and_b32 exec_lo, exec_lo, s3
	s_cbranch_execz .LBB109_431
; %bb.426:
	v_cmp_gt_f64_e32 vcc_lo, 0, v[216:217]
	v_xor_b32_e32 v208, 0x80000000, v217
	s_delay_alu instid0(VALU_DEP_1) | instskip(SKIP_3) | instid1(VALU_DEP_1)
	v_cndmask_b32_e32 v213, v217, v208, vcc_lo
	v_cndmask_b32_e32 v212, v216, v216, vcc_lo
	v_cmp_gt_f64_e32 vcc_lo, 0, v[218:219]
	v_xor_b32_e32 v208, 0x80000000, v219
	v_dual_cndmask_b32 v228, v218, v218 :: v_dual_cndmask_b32 v229, v219, v208
	s_delay_alu instid0(VALU_DEP_1) | instskip(SKIP_1) | instid1(SALU_CYCLE_1)
	v_cmp_ngt_f64_e32 vcc_lo, v[212:213], v[228:229]
                                        ; implicit-def: $vgpr212_vgpr213
	s_and_saveexec_b32 s3, vcc_lo
	s_xor_b32 s3, exec_lo, s3
                                        ; implicit-def: $vgpr228_vgpr229_vgpr230_vgpr231
	s_cbranch_execz .LBB109_428
; %bb.427:
	v_div_scale_f64 v[212:213], null, v[218:219], v[218:219], v[216:217]
	v_div_scale_f64 v[232:233], vcc_lo, v[216:217], v[218:219], v[216:217]
	s_delay_alu instid0(VALU_DEP_2) | instskip(SKIP_2) | instid1(VALU_DEP_1)
	v_rcp_f64_e32 v[228:229], v[212:213]
	s_waitcnt_depctr 0xfff
	v_fma_f64 v[230:231], -v[212:213], v[228:229], 1.0
	v_fma_f64 v[228:229], v[228:229], v[230:231], v[228:229]
	s_delay_alu instid0(VALU_DEP_1) | instskip(NEXT) | instid1(VALU_DEP_1)
	v_fma_f64 v[230:231], -v[212:213], v[228:229], 1.0
	v_fma_f64 v[228:229], v[228:229], v[230:231], v[228:229]
	s_delay_alu instid0(VALU_DEP_1) | instskip(NEXT) | instid1(VALU_DEP_1)
	v_mul_f64 v[230:231], v[232:233], v[228:229]
	v_fma_f64 v[212:213], -v[212:213], v[230:231], v[232:233]
	s_delay_alu instid0(VALU_DEP_1) | instskip(NEXT) | instid1(VALU_DEP_1)
	v_div_fmas_f64 v[212:213], v[212:213], v[228:229], v[230:231]
	v_div_fixup_f64 v[212:213], v[212:213], v[218:219], v[216:217]
	s_delay_alu instid0(VALU_DEP_1) | instskip(NEXT) | instid1(VALU_DEP_1)
	v_fma_f64 v[216:217], v[216:217], v[212:213], v[218:219]
	v_div_scale_f64 v[218:219], null, v[216:217], v[216:217], 1.0
	s_delay_alu instid0(VALU_DEP_1) | instskip(SKIP_2) | instid1(VALU_DEP_1)
	v_rcp_f64_e32 v[228:229], v[218:219]
	s_waitcnt_depctr 0xfff
	v_fma_f64 v[230:231], -v[218:219], v[228:229], 1.0
	v_fma_f64 v[228:229], v[228:229], v[230:231], v[228:229]
	s_delay_alu instid0(VALU_DEP_1) | instskip(NEXT) | instid1(VALU_DEP_1)
	v_fma_f64 v[230:231], -v[218:219], v[228:229], 1.0
	v_fma_f64 v[228:229], v[228:229], v[230:231], v[228:229]
	v_div_scale_f64 v[230:231], vcc_lo, 1.0, v[216:217], 1.0
	s_delay_alu instid0(VALU_DEP_1) | instskip(NEXT) | instid1(VALU_DEP_1)
	v_mul_f64 v[232:233], v[230:231], v[228:229]
	v_fma_f64 v[218:219], -v[218:219], v[232:233], v[230:231]
	s_delay_alu instid0(VALU_DEP_1) | instskip(NEXT) | instid1(VALU_DEP_1)
	v_div_fmas_f64 v[218:219], v[218:219], v[228:229], v[232:233]
	v_div_fixup_f64 v[230:231], v[218:219], v[216:217], 1.0
                                        ; implicit-def: $vgpr216_vgpr217
	s_delay_alu instid0(VALU_DEP_1)
	v_mul_f64 v[212:213], v[212:213], v[230:231]
	v_xor_b32_e32 v231, 0x80000000, v231
.LBB109_428:
	s_and_not1_saveexec_b32 s3, s3
	s_cbranch_execz .LBB109_430
; %bb.429:
	v_div_scale_f64 v[212:213], null, v[216:217], v[216:217], v[218:219]
	v_div_scale_f64 v[232:233], vcc_lo, v[218:219], v[216:217], v[218:219]
	s_delay_alu instid0(VALU_DEP_2) | instskip(SKIP_2) | instid1(VALU_DEP_1)
	v_rcp_f64_e32 v[228:229], v[212:213]
	s_waitcnt_depctr 0xfff
	v_fma_f64 v[230:231], -v[212:213], v[228:229], 1.0
	v_fma_f64 v[228:229], v[228:229], v[230:231], v[228:229]
	s_delay_alu instid0(VALU_DEP_1) | instskip(NEXT) | instid1(VALU_DEP_1)
	v_fma_f64 v[230:231], -v[212:213], v[228:229], 1.0
	v_fma_f64 v[228:229], v[228:229], v[230:231], v[228:229]
	s_delay_alu instid0(VALU_DEP_1) | instskip(NEXT) | instid1(VALU_DEP_1)
	v_mul_f64 v[230:231], v[232:233], v[228:229]
	v_fma_f64 v[212:213], -v[212:213], v[230:231], v[232:233]
	s_delay_alu instid0(VALU_DEP_1) | instskip(NEXT) | instid1(VALU_DEP_1)
	v_div_fmas_f64 v[212:213], v[212:213], v[228:229], v[230:231]
	v_div_fixup_f64 v[228:229], v[212:213], v[216:217], v[218:219]
	s_delay_alu instid0(VALU_DEP_1) | instskip(NEXT) | instid1(VALU_DEP_1)
	v_fma_f64 v[212:213], v[218:219], v[228:229], v[216:217]
	v_div_scale_f64 v[216:217], null, v[212:213], v[212:213], 1.0
	s_delay_alu instid0(VALU_DEP_1) | instskip(SKIP_2) | instid1(VALU_DEP_1)
	v_rcp_f64_e32 v[218:219], v[216:217]
	s_waitcnt_depctr 0xfff
	v_fma_f64 v[230:231], -v[216:217], v[218:219], 1.0
	v_fma_f64 v[218:219], v[218:219], v[230:231], v[218:219]
	s_delay_alu instid0(VALU_DEP_1) | instskip(NEXT) | instid1(VALU_DEP_1)
	v_fma_f64 v[230:231], -v[216:217], v[218:219], 1.0
	v_fma_f64 v[218:219], v[218:219], v[230:231], v[218:219]
	v_div_scale_f64 v[230:231], vcc_lo, 1.0, v[212:213], 1.0
	s_delay_alu instid0(VALU_DEP_1) | instskip(NEXT) | instid1(VALU_DEP_1)
	v_mul_f64 v[232:233], v[230:231], v[218:219]
	v_fma_f64 v[216:217], -v[216:217], v[232:233], v[230:231]
	s_delay_alu instid0(VALU_DEP_1) | instskip(NEXT) | instid1(VALU_DEP_1)
	v_div_fmas_f64 v[216:217], v[216:217], v[218:219], v[232:233]
	v_div_fixup_f64 v[212:213], v[216:217], v[212:213], 1.0
	s_delay_alu instid0(VALU_DEP_1)
	v_mul_f64 v[230:231], v[228:229], -v[212:213]
.LBB109_430:
	s_or_b32 exec_lo, exec_lo, s3
	ds_store_2addr_b64 v204, v[212:213], v[230:231] offset1:1
.LBB109_431:
	s_or_b32 exec_lo, exec_lo, s4
	s_waitcnt lgkmcnt(0)
	s_barrier
	buffer_gl0_inv
	ds_load_2addr_b64 v[228:231], v204 offset1:1
	s_mov_b32 s3, exec_lo
	v_cmpx_lt_u32_e32 47, v215
	s_cbranch_execz .LBB109_433
; %bb.432:
	s_waitcnt lgkmcnt(0)
	v_mul_f64 v[212:213], v[228:229], v[30:31]
	v_mul_f64 v[30:31], v[230:231], v[30:31]
	ds_load_2addr_b64 v[216:219], v214 offset0:96 offset1:97
	v_fma_f64 v[212:213], v[230:231], v[28:29], v[212:213]
	v_fma_f64 v[28:29], v[228:229], v[28:29], -v[30:31]
	s_waitcnt lgkmcnt(0)
	s_delay_alu instid0(VALU_DEP_2) | instskip(NEXT) | instid1(VALU_DEP_1)
	v_mul_f64 v[30:31], v[218:219], v[212:213]
	v_fma_f64 v[30:31], v[216:217], v[28:29], -v[30:31]
	v_mul_f64 v[216:217], v[216:217], v[212:213]
	s_delay_alu instid0(VALU_DEP_2) | instskip(NEXT) | instid1(VALU_DEP_2)
	v_add_f64 v[24:25], v[24:25], -v[30:31]
	v_fma_f64 v[216:217], v[218:219], v[28:29], v[216:217]
	s_delay_alu instid0(VALU_DEP_1) | instskip(SKIP_3) | instid1(VALU_DEP_1)
	v_add_f64 v[26:27], v[26:27], -v[216:217]
	ds_load_2addr_b64 v[216:219], v214 offset0:98 offset1:99
	s_waitcnt lgkmcnt(0)
	v_mul_f64 v[30:31], v[218:219], v[212:213]
	v_fma_f64 v[30:31], v[216:217], v[28:29], -v[30:31]
	v_mul_f64 v[216:217], v[216:217], v[212:213]
	s_delay_alu instid0(VALU_DEP_2) | instskip(NEXT) | instid1(VALU_DEP_2)
	v_add_f64 v[20:21], v[20:21], -v[30:31]
	v_fma_f64 v[216:217], v[218:219], v[28:29], v[216:217]
	s_delay_alu instid0(VALU_DEP_1) | instskip(SKIP_3) | instid1(VALU_DEP_1)
	v_add_f64 v[22:23], v[22:23], -v[216:217]
	ds_load_2addr_b64 v[216:219], v214 offset0:100 offset1:101
	s_waitcnt lgkmcnt(0)
	;; [unrolled: 10-line block ×6, first 2 shown]
	v_mul_f64 v[30:31], v[218:219], v[212:213]
	v_fma_f64 v[30:31], v[216:217], v[28:29], -v[30:31]
	v_mul_f64 v[216:217], v[216:217], v[212:213]
	s_delay_alu instid0(VALU_DEP_2) | instskip(NEXT) | instid1(VALU_DEP_2)
	v_add_f64 v[0:1], v[0:1], -v[30:31]
	v_fma_f64 v[216:217], v[218:219], v[28:29], v[216:217]
	v_dual_mov_b32 v30, v212 :: v_dual_mov_b32 v31, v213
	s_delay_alu instid0(VALU_DEP_2)
	v_add_f64 v[2:3], v[2:3], -v[216:217]
.LBB109_433:
	s_or_b32 exec_lo, exec_lo, s3
	s_delay_alu instid0(SALU_CYCLE_1)
	s_mov_b32 s4, exec_lo
	s_waitcnt lgkmcnt(0)
	s_barrier
	buffer_gl0_inv
	v_cmpx_eq_u32_e32 48, v215
	s_cbranch_execz .LBB109_440
; %bb.434:
	ds_store_2addr_b64 v204, v[24:25], v[26:27] offset1:1
	ds_store_2addr_b64 v214, v[20:21], v[22:23] offset0:98 offset1:99
	ds_store_2addr_b64 v214, v[16:17], v[18:19] offset0:100 offset1:101
	;; [unrolled: 1-line block ×6, first 2 shown]
	ds_load_2addr_b64 v[216:219], v204 offset1:1
	s_waitcnt lgkmcnt(0)
	v_cmp_neq_f64_e32 vcc_lo, 0, v[216:217]
	v_cmp_neq_f64_e64 s3, 0, v[218:219]
	s_delay_alu instid0(VALU_DEP_1) | instskip(NEXT) | instid1(SALU_CYCLE_1)
	s_or_b32 s3, vcc_lo, s3
	s_and_b32 exec_lo, exec_lo, s3
	s_cbranch_execz .LBB109_440
; %bb.435:
	v_cmp_gt_f64_e32 vcc_lo, 0, v[216:217]
	v_xor_b32_e32 v208, 0x80000000, v217
	s_delay_alu instid0(VALU_DEP_1) | instskip(SKIP_3) | instid1(VALU_DEP_1)
	v_cndmask_b32_e32 v213, v217, v208, vcc_lo
	v_cndmask_b32_e32 v212, v216, v216, vcc_lo
	v_cmp_gt_f64_e32 vcc_lo, 0, v[218:219]
	v_xor_b32_e32 v208, 0x80000000, v219
	v_dual_cndmask_b32 v232, v218, v218 :: v_dual_cndmask_b32 v233, v219, v208
	s_delay_alu instid0(VALU_DEP_1) | instskip(SKIP_1) | instid1(SALU_CYCLE_1)
	v_cmp_ngt_f64_e32 vcc_lo, v[212:213], v[232:233]
                                        ; implicit-def: $vgpr212_vgpr213
	s_and_saveexec_b32 s3, vcc_lo
	s_xor_b32 s3, exec_lo, s3
                                        ; implicit-def: $vgpr232_vgpr233_vgpr234_vgpr235
	s_cbranch_execz .LBB109_437
; %bb.436:
	v_div_scale_f64 v[212:213], null, v[218:219], v[218:219], v[216:217]
	v_div_scale_f64 v[236:237], vcc_lo, v[216:217], v[218:219], v[216:217]
	s_delay_alu instid0(VALU_DEP_2) | instskip(SKIP_2) | instid1(VALU_DEP_1)
	v_rcp_f64_e32 v[232:233], v[212:213]
	s_waitcnt_depctr 0xfff
	v_fma_f64 v[234:235], -v[212:213], v[232:233], 1.0
	v_fma_f64 v[232:233], v[232:233], v[234:235], v[232:233]
	s_delay_alu instid0(VALU_DEP_1) | instskip(NEXT) | instid1(VALU_DEP_1)
	v_fma_f64 v[234:235], -v[212:213], v[232:233], 1.0
	v_fma_f64 v[232:233], v[232:233], v[234:235], v[232:233]
	s_delay_alu instid0(VALU_DEP_1) | instskip(NEXT) | instid1(VALU_DEP_1)
	v_mul_f64 v[234:235], v[236:237], v[232:233]
	v_fma_f64 v[212:213], -v[212:213], v[234:235], v[236:237]
	s_delay_alu instid0(VALU_DEP_1) | instskip(NEXT) | instid1(VALU_DEP_1)
	v_div_fmas_f64 v[212:213], v[212:213], v[232:233], v[234:235]
	v_div_fixup_f64 v[212:213], v[212:213], v[218:219], v[216:217]
	s_delay_alu instid0(VALU_DEP_1) | instskip(NEXT) | instid1(VALU_DEP_1)
	v_fma_f64 v[216:217], v[216:217], v[212:213], v[218:219]
	v_div_scale_f64 v[218:219], null, v[216:217], v[216:217], 1.0
	s_delay_alu instid0(VALU_DEP_1) | instskip(SKIP_2) | instid1(VALU_DEP_1)
	v_rcp_f64_e32 v[232:233], v[218:219]
	s_waitcnt_depctr 0xfff
	v_fma_f64 v[234:235], -v[218:219], v[232:233], 1.0
	v_fma_f64 v[232:233], v[232:233], v[234:235], v[232:233]
	s_delay_alu instid0(VALU_DEP_1) | instskip(NEXT) | instid1(VALU_DEP_1)
	v_fma_f64 v[234:235], -v[218:219], v[232:233], 1.0
	v_fma_f64 v[232:233], v[232:233], v[234:235], v[232:233]
	v_div_scale_f64 v[234:235], vcc_lo, 1.0, v[216:217], 1.0
	s_delay_alu instid0(VALU_DEP_1) | instskip(NEXT) | instid1(VALU_DEP_1)
	v_mul_f64 v[236:237], v[234:235], v[232:233]
	v_fma_f64 v[218:219], -v[218:219], v[236:237], v[234:235]
	s_delay_alu instid0(VALU_DEP_1) | instskip(NEXT) | instid1(VALU_DEP_1)
	v_div_fmas_f64 v[218:219], v[218:219], v[232:233], v[236:237]
	v_div_fixup_f64 v[234:235], v[218:219], v[216:217], 1.0
                                        ; implicit-def: $vgpr216_vgpr217
	s_delay_alu instid0(VALU_DEP_1)
	v_mul_f64 v[212:213], v[212:213], v[234:235]
	v_xor_b32_e32 v235, 0x80000000, v235
.LBB109_437:
	s_and_not1_saveexec_b32 s3, s3
	s_cbranch_execz .LBB109_439
; %bb.438:
	v_div_scale_f64 v[212:213], null, v[216:217], v[216:217], v[218:219]
	v_div_scale_f64 v[236:237], vcc_lo, v[218:219], v[216:217], v[218:219]
	s_delay_alu instid0(VALU_DEP_2) | instskip(SKIP_2) | instid1(VALU_DEP_1)
	v_rcp_f64_e32 v[232:233], v[212:213]
	s_waitcnt_depctr 0xfff
	v_fma_f64 v[234:235], -v[212:213], v[232:233], 1.0
	v_fma_f64 v[232:233], v[232:233], v[234:235], v[232:233]
	s_delay_alu instid0(VALU_DEP_1) | instskip(NEXT) | instid1(VALU_DEP_1)
	v_fma_f64 v[234:235], -v[212:213], v[232:233], 1.0
	v_fma_f64 v[232:233], v[232:233], v[234:235], v[232:233]
	s_delay_alu instid0(VALU_DEP_1) | instskip(NEXT) | instid1(VALU_DEP_1)
	v_mul_f64 v[234:235], v[236:237], v[232:233]
	v_fma_f64 v[212:213], -v[212:213], v[234:235], v[236:237]
	s_delay_alu instid0(VALU_DEP_1) | instskip(NEXT) | instid1(VALU_DEP_1)
	v_div_fmas_f64 v[212:213], v[212:213], v[232:233], v[234:235]
	v_div_fixup_f64 v[232:233], v[212:213], v[216:217], v[218:219]
	s_delay_alu instid0(VALU_DEP_1) | instskip(NEXT) | instid1(VALU_DEP_1)
	v_fma_f64 v[212:213], v[218:219], v[232:233], v[216:217]
	v_div_scale_f64 v[216:217], null, v[212:213], v[212:213], 1.0
	s_delay_alu instid0(VALU_DEP_1) | instskip(SKIP_2) | instid1(VALU_DEP_1)
	v_rcp_f64_e32 v[218:219], v[216:217]
	s_waitcnt_depctr 0xfff
	v_fma_f64 v[234:235], -v[216:217], v[218:219], 1.0
	v_fma_f64 v[218:219], v[218:219], v[234:235], v[218:219]
	s_delay_alu instid0(VALU_DEP_1) | instskip(NEXT) | instid1(VALU_DEP_1)
	v_fma_f64 v[234:235], -v[216:217], v[218:219], 1.0
	v_fma_f64 v[218:219], v[218:219], v[234:235], v[218:219]
	v_div_scale_f64 v[234:235], vcc_lo, 1.0, v[212:213], 1.0
	s_delay_alu instid0(VALU_DEP_1) | instskip(NEXT) | instid1(VALU_DEP_1)
	v_mul_f64 v[236:237], v[234:235], v[218:219]
	v_fma_f64 v[216:217], -v[216:217], v[236:237], v[234:235]
	s_delay_alu instid0(VALU_DEP_1) | instskip(NEXT) | instid1(VALU_DEP_1)
	v_div_fmas_f64 v[216:217], v[216:217], v[218:219], v[236:237]
	v_div_fixup_f64 v[212:213], v[216:217], v[212:213], 1.0
	s_delay_alu instid0(VALU_DEP_1)
	v_mul_f64 v[234:235], v[232:233], -v[212:213]
.LBB109_439:
	s_or_b32 exec_lo, exec_lo, s3
	ds_store_2addr_b64 v204, v[212:213], v[234:235] offset1:1
.LBB109_440:
	s_or_b32 exec_lo, exec_lo, s4
	s_waitcnt lgkmcnt(0)
	s_barrier
	buffer_gl0_inv
	ds_load_2addr_b64 v[232:235], v204 offset1:1
	s_mov_b32 s3, exec_lo
	v_cmpx_lt_u32_e32 48, v215
	s_cbranch_execz .LBB109_442
; %bb.441:
	s_waitcnt lgkmcnt(0)
	v_mul_f64 v[212:213], v[232:233], v[26:27]
	v_mul_f64 v[26:27], v[234:235], v[26:27]
	ds_load_2addr_b64 v[216:219], v214 offset0:98 offset1:99
	v_fma_f64 v[212:213], v[234:235], v[24:25], v[212:213]
	v_fma_f64 v[24:25], v[232:233], v[24:25], -v[26:27]
	s_waitcnt lgkmcnt(0)
	s_delay_alu instid0(VALU_DEP_2) | instskip(NEXT) | instid1(VALU_DEP_1)
	v_mul_f64 v[26:27], v[218:219], v[212:213]
	v_fma_f64 v[26:27], v[216:217], v[24:25], -v[26:27]
	v_mul_f64 v[216:217], v[216:217], v[212:213]
	s_delay_alu instid0(VALU_DEP_2) | instskip(NEXT) | instid1(VALU_DEP_2)
	v_add_f64 v[20:21], v[20:21], -v[26:27]
	v_fma_f64 v[216:217], v[218:219], v[24:25], v[216:217]
	s_delay_alu instid0(VALU_DEP_1) | instskip(SKIP_3) | instid1(VALU_DEP_1)
	v_add_f64 v[22:23], v[22:23], -v[216:217]
	ds_load_2addr_b64 v[216:219], v214 offset0:100 offset1:101
	s_waitcnt lgkmcnt(0)
	v_mul_f64 v[26:27], v[218:219], v[212:213]
	v_fma_f64 v[26:27], v[216:217], v[24:25], -v[26:27]
	v_mul_f64 v[216:217], v[216:217], v[212:213]
	s_delay_alu instid0(VALU_DEP_2) | instskip(NEXT) | instid1(VALU_DEP_2)
	v_add_f64 v[16:17], v[16:17], -v[26:27]
	v_fma_f64 v[216:217], v[218:219], v[24:25], v[216:217]
	s_delay_alu instid0(VALU_DEP_1) | instskip(SKIP_3) | instid1(VALU_DEP_1)
	v_add_f64 v[18:19], v[18:19], -v[216:217]
	ds_load_2addr_b64 v[216:219], v214 offset0:102 offset1:103
	s_waitcnt lgkmcnt(0)
	;; [unrolled: 10-line block ×5, first 2 shown]
	v_mul_f64 v[26:27], v[218:219], v[212:213]
	v_fma_f64 v[26:27], v[216:217], v[24:25], -v[26:27]
	v_mul_f64 v[216:217], v[216:217], v[212:213]
	s_delay_alu instid0(VALU_DEP_2) | instskip(NEXT) | instid1(VALU_DEP_2)
	v_add_f64 v[0:1], v[0:1], -v[26:27]
	v_fma_f64 v[216:217], v[218:219], v[24:25], v[216:217]
	v_dual_mov_b32 v26, v212 :: v_dual_mov_b32 v27, v213
	s_delay_alu instid0(VALU_DEP_2)
	v_add_f64 v[2:3], v[2:3], -v[216:217]
.LBB109_442:
	s_or_b32 exec_lo, exec_lo, s3
	s_delay_alu instid0(SALU_CYCLE_1)
	s_mov_b32 s4, exec_lo
	s_waitcnt lgkmcnt(0)
	s_barrier
	buffer_gl0_inv
	v_cmpx_eq_u32_e32 49, v215
	s_cbranch_execz .LBB109_449
; %bb.443:
	ds_store_2addr_b64 v204, v[20:21], v[22:23] offset1:1
	ds_store_2addr_b64 v214, v[16:17], v[18:19] offset0:100 offset1:101
	ds_store_2addr_b64 v214, v[12:13], v[14:15] offset0:102 offset1:103
	;; [unrolled: 1-line block ×5, first 2 shown]
	ds_load_2addr_b64 v[216:219], v204 offset1:1
	s_waitcnt lgkmcnt(0)
	v_cmp_neq_f64_e32 vcc_lo, 0, v[216:217]
	v_cmp_neq_f64_e64 s3, 0, v[218:219]
	s_delay_alu instid0(VALU_DEP_1) | instskip(NEXT) | instid1(SALU_CYCLE_1)
	s_or_b32 s3, vcc_lo, s3
	s_and_b32 exec_lo, exec_lo, s3
	s_cbranch_execz .LBB109_449
; %bb.444:
	v_cmp_gt_f64_e32 vcc_lo, 0, v[216:217]
	v_xor_b32_e32 v208, 0x80000000, v217
	s_delay_alu instid0(VALU_DEP_1) | instskip(SKIP_3) | instid1(VALU_DEP_1)
	v_cndmask_b32_e32 v213, v217, v208, vcc_lo
	v_cndmask_b32_e32 v212, v216, v216, vcc_lo
	v_cmp_gt_f64_e32 vcc_lo, 0, v[218:219]
	v_xor_b32_e32 v208, 0x80000000, v219
	v_dual_cndmask_b32 v236, v218, v218 :: v_dual_cndmask_b32 v237, v219, v208
	s_delay_alu instid0(VALU_DEP_1) | instskip(SKIP_1) | instid1(SALU_CYCLE_1)
	v_cmp_ngt_f64_e32 vcc_lo, v[212:213], v[236:237]
                                        ; implicit-def: $vgpr212_vgpr213
	s_and_saveexec_b32 s3, vcc_lo
	s_xor_b32 s3, exec_lo, s3
                                        ; implicit-def: $vgpr236_vgpr237_vgpr238_vgpr239
	s_cbranch_execz .LBB109_446
; %bb.445:
	v_div_scale_f64 v[212:213], null, v[218:219], v[218:219], v[216:217]
	v_div_scale_f64 v[240:241], vcc_lo, v[216:217], v[218:219], v[216:217]
	s_delay_alu instid0(VALU_DEP_2) | instskip(SKIP_2) | instid1(VALU_DEP_1)
	v_rcp_f64_e32 v[236:237], v[212:213]
	s_waitcnt_depctr 0xfff
	v_fma_f64 v[238:239], -v[212:213], v[236:237], 1.0
	v_fma_f64 v[236:237], v[236:237], v[238:239], v[236:237]
	s_delay_alu instid0(VALU_DEP_1) | instskip(NEXT) | instid1(VALU_DEP_1)
	v_fma_f64 v[238:239], -v[212:213], v[236:237], 1.0
	v_fma_f64 v[236:237], v[236:237], v[238:239], v[236:237]
	s_delay_alu instid0(VALU_DEP_1) | instskip(NEXT) | instid1(VALU_DEP_1)
	v_mul_f64 v[238:239], v[240:241], v[236:237]
	v_fma_f64 v[212:213], -v[212:213], v[238:239], v[240:241]
	s_delay_alu instid0(VALU_DEP_1) | instskip(NEXT) | instid1(VALU_DEP_1)
	v_div_fmas_f64 v[212:213], v[212:213], v[236:237], v[238:239]
	v_div_fixup_f64 v[212:213], v[212:213], v[218:219], v[216:217]
	s_delay_alu instid0(VALU_DEP_1) | instskip(NEXT) | instid1(VALU_DEP_1)
	v_fma_f64 v[216:217], v[216:217], v[212:213], v[218:219]
	v_div_scale_f64 v[218:219], null, v[216:217], v[216:217], 1.0
	s_delay_alu instid0(VALU_DEP_1) | instskip(SKIP_2) | instid1(VALU_DEP_1)
	v_rcp_f64_e32 v[236:237], v[218:219]
	s_waitcnt_depctr 0xfff
	v_fma_f64 v[238:239], -v[218:219], v[236:237], 1.0
	v_fma_f64 v[236:237], v[236:237], v[238:239], v[236:237]
	s_delay_alu instid0(VALU_DEP_1) | instskip(NEXT) | instid1(VALU_DEP_1)
	v_fma_f64 v[238:239], -v[218:219], v[236:237], 1.0
	v_fma_f64 v[236:237], v[236:237], v[238:239], v[236:237]
	v_div_scale_f64 v[238:239], vcc_lo, 1.0, v[216:217], 1.0
	s_delay_alu instid0(VALU_DEP_1) | instskip(NEXT) | instid1(VALU_DEP_1)
	v_mul_f64 v[240:241], v[238:239], v[236:237]
	v_fma_f64 v[218:219], -v[218:219], v[240:241], v[238:239]
	s_delay_alu instid0(VALU_DEP_1) | instskip(NEXT) | instid1(VALU_DEP_1)
	v_div_fmas_f64 v[218:219], v[218:219], v[236:237], v[240:241]
	v_div_fixup_f64 v[238:239], v[218:219], v[216:217], 1.0
                                        ; implicit-def: $vgpr216_vgpr217
	s_delay_alu instid0(VALU_DEP_1)
	v_mul_f64 v[212:213], v[212:213], v[238:239]
	v_xor_b32_e32 v239, 0x80000000, v239
.LBB109_446:
	s_and_not1_saveexec_b32 s3, s3
	s_cbranch_execz .LBB109_448
; %bb.447:
	v_div_scale_f64 v[212:213], null, v[216:217], v[216:217], v[218:219]
	v_div_scale_f64 v[240:241], vcc_lo, v[218:219], v[216:217], v[218:219]
	s_delay_alu instid0(VALU_DEP_2) | instskip(SKIP_2) | instid1(VALU_DEP_1)
	v_rcp_f64_e32 v[236:237], v[212:213]
	s_waitcnt_depctr 0xfff
	v_fma_f64 v[238:239], -v[212:213], v[236:237], 1.0
	v_fma_f64 v[236:237], v[236:237], v[238:239], v[236:237]
	s_delay_alu instid0(VALU_DEP_1) | instskip(NEXT) | instid1(VALU_DEP_1)
	v_fma_f64 v[238:239], -v[212:213], v[236:237], 1.0
	v_fma_f64 v[236:237], v[236:237], v[238:239], v[236:237]
	s_delay_alu instid0(VALU_DEP_1) | instskip(NEXT) | instid1(VALU_DEP_1)
	v_mul_f64 v[238:239], v[240:241], v[236:237]
	v_fma_f64 v[212:213], -v[212:213], v[238:239], v[240:241]
	s_delay_alu instid0(VALU_DEP_1) | instskip(NEXT) | instid1(VALU_DEP_1)
	v_div_fmas_f64 v[212:213], v[212:213], v[236:237], v[238:239]
	v_div_fixup_f64 v[236:237], v[212:213], v[216:217], v[218:219]
	s_delay_alu instid0(VALU_DEP_1) | instskip(NEXT) | instid1(VALU_DEP_1)
	v_fma_f64 v[212:213], v[218:219], v[236:237], v[216:217]
	v_div_scale_f64 v[216:217], null, v[212:213], v[212:213], 1.0
	s_delay_alu instid0(VALU_DEP_1) | instskip(SKIP_2) | instid1(VALU_DEP_1)
	v_rcp_f64_e32 v[218:219], v[216:217]
	s_waitcnt_depctr 0xfff
	v_fma_f64 v[238:239], -v[216:217], v[218:219], 1.0
	v_fma_f64 v[218:219], v[218:219], v[238:239], v[218:219]
	s_delay_alu instid0(VALU_DEP_1) | instskip(NEXT) | instid1(VALU_DEP_1)
	v_fma_f64 v[238:239], -v[216:217], v[218:219], 1.0
	v_fma_f64 v[218:219], v[218:219], v[238:239], v[218:219]
	v_div_scale_f64 v[238:239], vcc_lo, 1.0, v[212:213], 1.0
	s_delay_alu instid0(VALU_DEP_1) | instskip(NEXT) | instid1(VALU_DEP_1)
	v_mul_f64 v[240:241], v[238:239], v[218:219]
	v_fma_f64 v[216:217], -v[216:217], v[240:241], v[238:239]
	s_delay_alu instid0(VALU_DEP_1) | instskip(NEXT) | instid1(VALU_DEP_1)
	v_div_fmas_f64 v[216:217], v[216:217], v[218:219], v[240:241]
	v_div_fixup_f64 v[212:213], v[216:217], v[212:213], 1.0
	s_delay_alu instid0(VALU_DEP_1)
	v_mul_f64 v[238:239], v[236:237], -v[212:213]
.LBB109_448:
	s_or_b32 exec_lo, exec_lo, s3
	ds_store_2addr_b64 v204, v[212:213], v[238:239] offset1:1
.LBB109_449:
	s_or_b32 exec_lo, exec_lo, s4
	s_waitcnt lgkmcnt(0)
	s_barrier
	buffer_gl0_inv
	ds_load_2addr_b64 v[236:239], v204 offset1:1
	s_mov_b32 s3, exec_lo
	v_cmpx_lt_u32_e32 49, v215
	s_cbranch_execz .LBB109_451
; %bb.450:
	s_waitcnt lgkmcnt(0)
	v_mul_f64 v[212:213], v[236:237], v[22:23]
	v_mul_f64 v[22:23], v[238:239], v[22:23]
	ds_load_2addr_b64 v[216:219], v214 offset0:100 offset1:101
	v_fma_f64 v[212:213], v[238:239], v[20:21], v[212:213]
	v_fma_f64 v[20:21], v[236:237], v[20:21], -v[22:23]
	s_waitcnt lgkmcnt(0)
	s_delay_alu instid0(VALU_DEP_2) | instskip(NEXT) | instid1(VALU_DEP_1)
	v_mul_f64 v[22:23], v[218:219], v[212:213]
	v_fma_f64 v[22:23], v[216:217], v[20:21], -v[22:23]
	v_mul_f64 v[216:217], v[216:217], v[212:213]
	s_delay_alu instid0(VALU_DEP_2) | instskip(NEXT) | instid1(VALU_DEP_2)
	v_add_f64 v[16:17], v[16:17], -v[22:23]
	v_fma_f64 v[216:217], v[218:219], v[20:21], v[216:217]
	s_delay_alu instid0(VALU_DEP_1) | instskip(SKIP_3) | instid1(VALU_DEP_1)
	v_add_f64 v[18:19], v[18:19], -v[216:217]
	ds_load_2addr_b64 v[216:219], v214 offset0:102 offset1:103
	s_waitcnt lgkmcnt(0)
	v_mul_f64 v[22:23], v[218:219], v[212:213]
	v_fma_f64 v[22:23], v[216:217], v[20:21], -v[22:23]
	v_mul_f64 v[216:217], v[216:217], v[212:213]
	s_delay_alu instid0(VALU_DEP_2) | instskip(NEXT) | instid1(VALU_DEP_2)
	v_add_f64 v[12:13], v[12:13], -v[22:23]
	v_fma_f64 v[216:217], v[218:219], v[20:21], v[216:217]
	s_delay_alu instid0(VALU_DEP_1) | instskip(SKIP_3) | instid1(VALU_DEP_1)
	v_add_f64 v[14:15], v[14:15], -v[216:217]
	ds_load_2addr_b64 v[216:219], v214 offset0:104 offset1:105
	s_waitcnt lgkmcnt(0)
	;; [unrolled: 10-line block ×4, first 2 shown]
	v_mul_f64 v[22:23], v[218:219], v[212:213]
	v_fma_f64 v[22:23], v[216:217], v[20:21], -v[22:23]
	v_mul_f64 v[216:217], v[216:217], v[212:213]
	s_delay_alu instid0(VALU_DEP_2) | instskip(NEXT) | instid1(VALU_DEP_2)
	v_add_f64 v[0:1], v[0:1], -v[22:23]
	v_fma_f64 v[216:217], v[218:219], v[20:21], v[216:217]
	v_dual_mov_b32 v22, v212 :: v_dual_mov_b32 v23, v213
	s_delay_alu instid0(VALU_DEP_2)
	v_add_f64 v[2:3], v[2:3], -v[216:217]
.LBB109_451:
	s_or_b32 exec_lo, exec_lo, s3
	s_delay_alu instid0(SALU_CYCLE_1)
	s_mov_b32 s4, exec_lo
	s_waitcnt lgkmcnt(0)
	s_barrier
	buffer_gl0_inv
	v_cmpx_eq_u32_e32 50, v215
	s_cbranch_execz .LBB109_458
; %bb.452:
	ds_store_2addr_b64 v204, v[16:17], v[18:19] offset1:1
	ds_store_2addr_b64 v214, v[12:13], v[14:15] offset0:102 offset1:103
	ds_store_2addr_b64 v214, v[8:9], v[10:11] offset0:104 offset1:105
	;; [unrolled: 1-line block ×4, first 2 shown]
	ds_load_2addr_b64 v[216:219], v204 offset1:1
	s_waitcnt lgkmcnt(0)
	v_cmp_neq_f64_e32 vcc_lo, 0, v[216:217]
	v_cmp_neq_f64_e64 s3, 0, v[218:219]
	s_delay_alu instid0(VALU_DEP_1) | instskip(NEXT) | instid1(SALU_CYCLE_1)
	s_or_b32 s3, vcc_lo, s3
	s_and_b32 exec_lo, exec_lo, s3
	s_cbranch_execz .LBB109_458
; %bb.453:
	v_cmp_gt_f64_e32 vcc_lo, 0, v[216:217]
	v_xor_b32_e32 v208, 0x80000000, v217
	s_delay_alu instid0(VALU_DEP_1) | instskip(SKIP_3) | instid1(VALU_DEP_1)
	v_cndmask_b32_e32 v213, v217, v208, vcc_lo
	v_cndmask_b32_e32 v212, v216, v216, vcc_lo
	v_cmp_gt_f64_e32 vcc_lo, 0, v[218:219]
	v_xor_b32_e32 v208, 0x80000000, v219
	v_dual_cndmask_b32 v240, v218, v218 :: v_dual_cndmask_b32 v241, v219, v208
	s_delay_alu instid0(VALU_DEP_1) | instskip(SKIP_1) | instid1(SALU_CYCLE_1)
	v_cmp_ngt_f64_e32 vcc_lo, v[212:213], v[240:241]
                                        ; implicit-def: $vgpr212_vgpr213
	s_and_saveexec_b32 s3, vcc_lo
	s_xor_b32 s3, exec_lo, s3
                                        ; implicit-def: $vgpr240_vgpr241_vgpr242_vgpr243
	s_cbranch_execz .LBB109_455
; %bb.454:
	v_div_scale_f64 v[212:213], null, v[218:219], v[218:219], v[216:217]
	v_div_scale_f64 v[244:245], vcc_lo, v[216:217], v[218:219], v[216:217]
	s_delay_alu instid0(VALU_DEP_2) | instskip(SKIP_2) | instid1(VALU_DEP_1)
	v_rcp_f64_e32 v[240:241], v[212:213]
	s_waitcnt_depctr 0xfff
	v_fma_f64 v[242:243], -v[212:213], v[240:241], 1.0
	v_fma_f64 v[240:241], v[240:241], v[242:243], v[240:241]
	s_delay_alu instid0(VALU_DEP_1) | instskip(NEXT) | instid1(VALU_DEP_1)
	v_fma_f64 v[242:243], -v[212:213], v[240:241], 1.0
	v_fma_f64 v[240:241], v[240:241], v[242:243], v[240:241]
	s_delay_alu instid0(VALU_DEP_1) | instskip(NEXT) | instid1(VALU_DEP_1)
	v_mul_f64 v[242:243], v[244:245], v[240:241]
	v_fma_f64 v[212:213], -v[212:213], v[242:243], v[244:245]
	s_delay_alu instid0(VALU_DEP_1) | instskip(NEXT) | instid1(VALU_DEP_1)
	v_div_fmas_f64 v[212:213], v[212:213], v[240:241], v[242:243]
	v_div_fixup_f64 v[212:213], v[212:213], v[218:219], v[216:217]
	s_delay_alu instid0(VALU_DEP_1) | instskip(NEXT) | instid1(VALU_DEP_1)
	v_fma_f64 v[216:217], v[216:217], v[212:213], v[218:219]
	v_div_scale_f64 v[218:219], null, v[216:217], v[216:217], 1.0
	s_delay_alu instid0(VALU_DEP_1) | instskip(SKIP_2) | instid1(VALU_DEP_1)
	v_rcp_f64_e32 v[240:241], v[218:219]
	s_waitcnt_depctr 0xfff
	v_fma_f64 v[242:243], -v[218:219], v[240:241], 1.0
	v_fma_f64 v[240:241], v[240:241], v[242:243], v[240:241]
	s_delay_alu instid0(VALU_DEP_1) | instskip(NEXT) | instid1(VALU_DEP_1)
	v_fma_f64 v[242:243], -v[218:219], v[240:241], 1.0
	v_fma_f64 v[240:241], v[240:241], v[242:243], v[240:241]
	v_div_scale_f64 v[242:243], vcc_lo, 1.0, v[216:217], 1.0
	s_delay_alu instid0(VALU_DEP_1) | instskip(NEXT) | instid1(VALU_DEP_1)
	v_mul_f64 v[244:245], v[242:243], v[240:241]
	v_fma_f64 v[218:219], -v[218:219], v[244:245], v[242:243]
	s_delay_alu instid0(VALU_DEP_1) | instskip(NEXT) | instid1(VALU_DEP_1)
	v_div_fmas_f64 v[218:219], v[218:219], v[240:241], v[244:245]
	v_div_fixup_f64 v[242:243], v[218:219], v[216:217], 1.0
                                        ; implicit-def: $vgpr216_vgpr217
	s_delay_alu instid0(VALU_DEP_1)
	v_mul_f64 v[212:213], v[212:213], v[242:243]
	v_xor_b32_e32 v243, 0x80000000, v243
.LBB109_455:
	s_and_not1_saveexec_b32 s3, s3
	s_cbranch_execz .LBB109_457
; %bb.456:
	v_div_scale_f64 v[212:213], null, v[216:217], v[216:217], v[218:219]
	v_div_scale_f64 v[244:245], vcc_lo, v[218:219], v[216:217], v[218:219]
	s_delay_alu instid0(VALU_DEP_2) | instskip(SKIP_2) | instid1(VALU_DEP_1)
	v_rcp_f64_e32 v[240:241], v[212:213]
	s_waitcnt_depctr 0xfff
	v_fma_f64 v[242:243], -v[212:213], v[240:241], 1.0
	v_fma_f64 v[240:241], v[240:241], v[242:243], v[240:241]
	s_delay_alu instid0(VALU_DEP_1) | instskip(NEXT) | instid1(VALU_DEP_1)
	v_fma_f64 v[242:243], -v[212:213], v[240:241], 1.0
	v_fma_f64 v[240:241], v[240:241], v[242:243], v[240:241]
	s_delay_alu instid0(VALU_DEP_1) | instskip(NEXT) | instid1(VALU_DEP_1)
	v_mul_f64 v[242:243], v[244:245], v[240:241]
	v_fma_f64 v[212:213], -v[212:213], v[242:243], v[244:245]
	s_delay_alu instid0(VALU_DEP_1) | instskip(NEXT) | instid1(VALU_DEP_1)
	v_div_fmas_f64 v[212:213], v[212:213], v[240:241], v[242:243]
	v_div_fixup_f64 v[240:241], v[212:213], v[216:217], v[218:219]
	s_delay_alu instid0(VALU_DEP_1) | instskip(NEXT) | instid1(VALU_DEP_1)
	v_fma_f64 v[212:213], v[218:219], v[240:241], v[216:217]
	v_div_scale_f64 v[216:217], null, v[212:213], v[212:213], 1.0
	s_delay_alu instid0(VALU_DEP_1) | instskip(SKIP_2) | instid1(VALU_DEP_1)
	v_rcp_f64_e32 v[218:219], v[216:217]
	s_waitcnt_depctr 0xfff
	v_fma_f64 v[242:243], -v[216:217], v[218:219], 1.0
	v_fma_f64 v[218:219], v[218:219], v[242:243], v[218:219]
	s_delay_alu instid0(VALU_DEP_1) | instskip(NEXT) | instid1(VALU_DEP_1)
	v_fma_f64 v[242:243], -v[216:217], v[218:219], 1.0
	v_fma_f64 v[218:219], v[218:219], v[242:243], v[218:219]
	v_div_scale_f64 v[242:243], vcc_lo, 1.0, v[212:213], 1.0
	s_delay_alu instid0(VALU_DEP_1) | instskip(NEXT) | instid1(VALU_DEP_1)
	v_mul_f64 v[244:245], v[242:243], v[218:219]
	v_fma_f64 v[216:217], -v[216:217], v[244:245], v[242:243]
	s_delay_alu instid0(VALU_DEP_1) | instskip(NEXT) | instid1(VALU_DEP_1)
	v_div_fmas_f64 v[216:217], v[216:217], v[218:219], v[244:245]
	v_div_fixup_f64 v[212:213], v[216:217], v[212:213], 1.0
	s_delay_alu instid0(VALU_DEP_1)
	v_mul_f64 v[242:243], v[240:241], -v[212:213]
.LBB109_457:
	s_or_b32 exec_lo, exec_lo, s3
	ds_store_2addr_b64 v204, v[212:213], v[242:243] offset1:1
.LBB109_458:
	s_or_b32 exec_lo, exec_lo, s4
	s_waitcnt lgkmcnt(0)
	s_barrier
	buffer_gl0_inv
	ds_load_2addr_b64 v[240:243], v204 offset1:1
	s_mov_b32 s3, exec_lo
	v_cmpx_lt_u32_e32 50, v215
	s_cbranch_execz .LBB109_460
; %bb.459:
	s_waitcnt lgkmcnt(0)
	v_mul_f64 v[212:213], v[240:241], v[18:19]
	v_mul_f64 v[18:19], v[242:243], v[18:19]
	ds_load_2addr_b64 v[216:219], v214 offset0:102 offset1:103
	v_fma_f64 v[212:213], v[242:243], v[16:17], v[212:213]
	v_fma_f64 v[16:17], v[240:241], v[16:17], -v[18:19]
	s_waitcnt lgkmcnt(0)
	s_delay_alu instid0(VALU_DEP_2) | instskip(NEXT) | instid1(VALU_DEP_1)
	v_mul_f64 v[18:19], v[218:219], v[212:213]
	v_fma_f64 v[18:19], v[216:217], v[16:17], -v[18:19]
	v_mul_f64 v[216:217], v[216:217], v[212:213]
	s_delay_alu instid0(VALU_DEP_2) | instskip(NEXT) | instid1(VALU_DEP_2)
	v_add_f64 v[12:13], v[12:13], -v[18:19]
	v_fma_f64 v[216:217], v[218:219], v[16:17], v[216:217]
	s_delay_alu instid0(VALU_DEP_1) | instskip(SKIP_3) | instid1(VALU_DEP_1)
	v_add_f64 v[14:15], v[14:15], -v[216:217]
	ds_load_2addr_b64 v[216:219], v214 offset0:104 offset1:105
	s_waitcnt lgkmcnt(0)
	v_mul_f64 v[18:19], v[218:219], v[212:213]
	v_fma_f64 v[18:19], v[216:217], v[16:17], -v[18:19]
	v_mul_f64 v[216:217], v[216:217], v[212:213]
	s_delay_alu instid0(VALU_DEP_2) | instskip(NEXT) | instid1(VALU_DEP_2)
	v_add_f64 v[8:9], v[8:9], -v[18:19]
	v_fma_f64 v[216:217], v[218:219], v[16:17], v[216:217]
	s_delay_alu instid0(VALU_DEP_1) | instskip(SKIP_3) | instid1(VALU_DEP_1)
	v_add_f64 v[10:11], v[10:11], -v[216:217]
	ds_load_2addr_b64 v[216:219], v214 offset0:106 offset1:107
	s_waitcnt lgkmcnt(0)
	v_mul_f64 v[18:19], v[218:219], v[212:213]
	v_fma_f64 v[18:19], v[216:217], v[16:17], -v[18:19]
	v_mul_f64 v[216:217], v[216:217], v[212:213]
	s_delay_alu instid0(VALU_DEP_2) | instskip(NEXT) | instid1(VALU_DEP_2)
	v_add_f64 v[4:5], v[4:5], -v[18:19]
	v_fma_f64 v[216:217], v[218:219], v[16:17], v[216:217]
	s_delay_alu instid0(VALU_DEP_1) | instskip(SKIP_3) | instid1(VALU_DEP_1)
	v_add_f64 v[6:7], v[6:7], -v[216:217]
	ds_load_2addr_b64 v[216:219], v214 offset0:108 offset1:109
	s_waitcnt lgkmcnt(0)
	v_mul_f64 v[18:19], v[218:219], v[212:213]
	v_fma_f64 v[18:19], v[216:217], v[16:17], -v[18:19]
	v_mul_f64 v[216:217], v[216:217], v[212:213]
	s_delay_alu instid0(VALU_DEP_2) | instskip(NEXT) | instid1(VALU_DEP_2)
	v_add_f64 v[0:1], v[0:1], -v[18:19]
	v_fma_f64 v[216:217], v[218:219], v[16:17], v[216:217]
	v_dual_mov_b32 v18, v212 :: v_dual_mov_b32 v19, v213
	s_delay_alu instid0(VALU_DEP_2)
	v_add_f64 v[2:3], v[2:3], -v[216:217]
.LBB109_460:
	s_or_b32 exec_lo, exec_lo, s3
	s_delay_alu instid0(SALU_CYCLE_1)
	s_mov_b32 s4, exec_lo
	s_waitcnt lgkmcnt(0)
	s_barrier
	buffer_gl0_inv
	v_cmpx_eq_u32_e32 51, v215
	s_cbranch_execz .LBB109_467
; %bb.461:
	ds_store_2addr_b64 v204, v[12:13], v[14:15] offset1:1
	ds_store_2addr_b64 v214, v[8:9], v[10:11] offset0:104 offset1:105
	ds_store_2addr_b64 v214, v[4:5], v[6:7] offset0:106 offset1:107
	;; [unrolled: 1-line block ×3, first 2 shown]
	ds_load_2addr_b64 v[216:219], v204 offset1:1
	s_waitcnt lgkmcnt(0)
	v_cmp_neq_f64_e32 vcc_lo, 0, v[216:217]
	v_cmp_neq_f64_e64 s3, 0, v[218:219]
	s_delay_alu instid0(VALU_DEP_1) | instskip(NEXT) | instid1(SALU_CYCLE_1)
	s_or_b32 s3, vcc_lo, s3
	s_and_b32 exec_lo, exec_lo, s3
	s_cbranch_execz .LBB109_467
; %bb.462:
	v_cmp_gt_f64_e32 vcc_lo, 0, v[216:217]
	v_xor_b32_e32 v208, 0x80000000, v217
	s_delay_alu instid0(VALU_DEP_1) | instskip(SKIP_3) | instid1(VALU_DEP_1)
	v_cndmask_b32_e32 v213, v217, v208, vcc_lo
	v_cndmask_b32_e32 v212, v216, v216, vcc_lo
	v_cmp_gt_f64_e32 vcc_lo, 0, v[218:219]
	v_xor_b32_e32 v208, 0x80000000, v219
	v_dual_cndmask_b32 v244, v218, v218 :: v_dual_cndmask_b32 v245, v219, v208
	s_delay_alu instid0(VALU_DEP_1) | instskip(SKIP_1) | instid1(SALU_CYCLE_1)
	v_cmp_ngt_f64_e32 vcc_lo, v[212:213], v[244:245]
                                        ; implicit-def: $vgpr212_vgpr213
	s_and_saveexec_b32 s3, vcc_lo
	s_xor_b32 s3, exec_lo, s3
                                        ; implicit-def: $vgpr244_vgpr245_vgpr246_vgpr247
	s_cbranch_execz .LBB109_464
; %bb.463:
	v_div_scale_f64 v[212:213], null, v[218:219], v[218:219], v[216:217]
	v_div_scale_f64 v[248:249], vcc_lo, v[216:217], v[218:219], v[216:217]
	s_delay_alu instid0(VALU_DEP_2) | instskip(SKIP_2) | instid1(VALU_DEP_1)
	v_rcp_f64_e32 v[244:245], v[212:213]
	s_waitcnt_depctr 0xfff
	v_fma_f64 v[246:247], -v[212:213], v[244:245], 1.0
	v_fma_f64 v[244:245], v[244:245], v[246:247], v[244:245]
	s_delay_alu instid0(VALU_DEP_1) | instskip(NEXT) | instid1(VALU_DEP_1)
	v_fma_f64 v[246:247], -v[212:213], v[244:245], 1.0
	v_fma_f64 v[244:245], v[244:245], v[246:247], v[244:245]
	s_delay_alu instid0(VALU_DEP_1) | instskip(NEXT) | instid1(VALU_DEP_1)
	v_mul_f64 v[246:247], v[248:249], v[244:245]
	v_fma_f64 v[212:213], -v[212:213], v[246:247], v[248:249]
	s_delay_alu instid0(VALU_DEP_1) | instskip(NEXT) | instid1(VALU_DEP_1)
	v_div_fmas_f64 v[212:213], v[212:213], v[244:245], v[246:247]
	v_div_fixup_f64 v[212:213], v[212:213], v[218:219], v[216:217]
	s_delay_alu instid0(VALU_DEP_1) | instskip(NEXT) | instid1(VALU_DEP_1)
	v_fma_f64 v[216:217], v[216:217], v[212:213], v[218:219]
	v_div_scale_f64 v[218:219], null, v[216:217], v[216:217], 1.0
	s_delay_alu instid0(VALU_DEP_1) | instskip(SKIP_2) | instid1(VALU_DEP_1)
	v_rcp_f64_e32 v[244:245], v[218:219]
	s_waitcnt_depctr 0xfff
	v_fma_f64 v[246:247], -v[218:219], v[244:245], 1.0
	v_fma_f64 v[244:245], v[244:245], v[246:247], v[244:245]
	s_delay_alu instid0(VALU_DEP_1) | instskip(NEXT) | instid1(VALU_DEP_1)
	v_fma_f64 v[246:247], -v[218:219], v[244:245], 1.0
	v_fma_f64 v[244:245], v[244:245], v[246:247], v[244:245]
	v_div_scale_f64 v[246:247], vcc_lo, 1.0, v[216:217], 1.0
	s_delay_alu instid0(VALU_DEP_1) | instskip(NEXT) | instid1(VALU_DEP_1)
	v_mul_f64 v[248:249], v[246:247], v[244:245]
	v_fma_f64 v[218:219], -v[218:219], v[248:249], v[246:247]
	s_delay_alu instid0(VALU_DEP_1) | instskip(NEXT) | instid1(VALU_DEP_1)
	v_div_fmas_f64 v[218:219], v[218:219], v[244:245], v[248:249]
	v_div_fixup_f64 v[246:247], v[218:219], v[216:217], 1.0
                                        ; implicit-def: $vgpr216_vgpr217
	s_delay_alu instid0(VALU_DEP_1)
	v_mul_f64 v[212:213], v[212:213], v[246:247]
	v_xor_b32_e32 v247, 0x80000000, v247
.LBB109_464:
	s_and_not1_saveexec_b32 s3, s3
	s_cbranch_execz .LBB109_466
; %bb.465:
	v_div_scale_f64 v[212:213], null, v[216:217], v[216:217], v[218:219]
	v_div_scale_f64 v[248:249], vcc_lo, v[218:219], v[216:217], v[218:219]
	s_delay_alu instid0(VALU_DEP_2) | instskip(SKIP_2) | instid1(VALU_DEP_1)
	v_rcp_f64_e32 v[244:245], v[212:213]
	s_waitcnt_depctr 0xfff
	v_fma_f64 v[246:247], -v[212:213], v[244:245], 1.0
	v_fma_f64 v[244:245], v[244:245], v[246:247], v[244:245]
	s_delay_alu instid0(VALU_DEP_1) | instskip(NEXT) | instid1(VALU_DEP_1)
	v_fma_f64 v[246:247], -v[212:213], v[244:245], 1.0
	v_fma_f64 v[244:245], v[244:245], v[246:247], v[244:245]
	s_delay_alu instid0(VALU_DEP_1) | instskip(NEXT) | instid1(VALU_DEP_1)
	v_mul_f64 v[246:247], v[248:249], v[244:245]
	v_fma_f64 v[212:213], -v[212:213], v[246:247], v[248:249]
	s_delay_alu instid0(VALU_DEP_1) | instskip(NEXT) | instid1(VALU_DEP_1)
	v_div_fmas_f64 v[212:213], v[212:213], v[244:245], v[246:247]
	v_div_fixup_f64 v[244:245], v[212:213], v[216:217], v[218:219]
	s_delay_alu instid0(VALU_DEP_1) | instskip(NEXT) | instid1(VALU_DEP_1)
	v_fma_f64 v[212:213], v[218:219], v[244:245], v[216:217]
	v_div_scale_f64 v[216:217], null, v[212:213], v[212:213], 1.0
	s_delay_alu instid0(VALU_DEP_1) | instskip(SKIP_2) | instid1(VALU_DEP_1)
	v_rcp_f64_e32 v[218:219], v[216:217]
	s_waitcnt_depctr 0xfff
	v_fma_f64 v[246:247], -v[216:217], v[218:219], 1.0
	v_fma_f64 v[218:219], v[218:219], v[246:247], v[218:219]
	s_delay_alu instid0(VALU_DEP_1) | instskip(NEXT) | instid1(VALU_DEP_1)
	v_fma_f64 v[246:247], -v[216:217], v[218:219], 1.0
	v_fma_f64 v[218:219], v[218:219], v[246:247], v[218:219]
	v_div_scale_f64 v[246:247], vcc_lo, 1.0, v[212:213], 1.0
	s_delay_alu instid0(VALU_DEP_1) | instskip(NEXT) | instid1(VALU_DEP_1)
	v_mul_f64 v[248:249], v[246:247], v[218:219]
	v_fma_f64 v[216:217], -v[216:217], v[248:249], v[246:247]
	s_delay_alu instid0(VALU_DEP_1) | instskip(NEXT) | instid1(VALU_DEP_1)
	v_div_fmas_f64 v[216:217], v[216:217], v[218:219], v[248:249]
	v_div_fixup_f64 v[212:213], v[216:217], v[212:213], 1.0
	s_delay_alu instid0(VALU_DEP_1)
	v_mul_f64 v[246:247], v[244:245], -v[212:213]
.LBB109_466:
	s_or_b32 exec_lo, exec_lo, s3
	ds_store_2addr_b64 v204, v[212:213], v[246:247] offset1:1
.LBB109_467:
	s_or_b32 exec_lo, exec_lo, s4
	s_waitcnt lgkmcnt(0)
	s_barrier
	buffer_gl0_inv
	ds_load_2addr_b64 v[244:247], v204 offset1:1
	s_mov_b32 s3, exec_lo
	v_cmpx_lt_u32_e32 51, v215
	s_cbranch_execz .LBB109_469
; %bb.468:
	s_waitcnt lgkmcnt(0)
	v_mul_f64 v[212:213], v[244:245], v[14:15]
	v_mul_f64 v[14:15], v[246:247], v[14:15]
	ds_load_2addr_b64 v[216:219], v214 offset0:104 offset1:105
	v_fma_f64 v[212:213], v[246:247], v[12:13], v[212:213]
	v_fma_f64 v[12:13], v[244:245], v[12:13], -v[14:15]
	s_waitcnt lgkmcnt(0)
	s_delay_alu instid0(VALU_DEP_2) | instskip(NEXT) | instid1(VALU_DEP_1)
	v_mul_f64 v[14:15], v[218:219], v[212:213]
	v_fma_f64 v[14:15], v[216:217], v[12:13], -v[14:15]
	v_mul_f64 v[216:217], v[216:217], v[212:213]
	s_delay_alu instid0(VALU_DEP_2) | instskip(NEXT) | instid1(VALU_DEP_2)
	v_add_f64 v[8:9], v[8:9], -v[14:15]
	v_fma_f64 v[216:217], v[218:219], v[12:13], v[216:217]
	s_delay_alu instid0(VALU_DEP_1) | instskip(SKIP_3) | instid1(VALU_DEP_1)
	v_add_f64 v[10:11], v[10:11], -v[216:217]
	ds_load_2addr_b64 v[216:219], v214 offset0:106 offset1:107
	s_waitcnt lgkmcnt(0)
	v_mul_f64 v[14:15], v[218:219], v[212:213]
	v_fma_f64 v[14:15], v[216:217], v[12:13], -v[14:15]
	v_mul_f64 v[216:217], v[216:217], v[212:213]
	s_delay_alu instid0(VALU_DEP_2) | instskip(NEXT) | instid1(VALU_DEP_2)
	v_add_f64 v[4:5], v[4:5], -v[14:15]
	v_fma_f64 v[216:217], v[218:219], v[12:13], v[216:217]
	s_delay_alu instid0(VALU_DEP_1) | instskip(SKIP_3) | instid1(VALU_DEP_1)
	v_add_f64 v[6:7], v[6:7], -v[216:217]
	ds_load_2addr_b64 v[216:219], v214 offset0:108 offset1:109
	s_waitcnt lgkmcnt(0)
	v_mul_f64 v[14:15], v[218:219], v[212:213]
	v_fma_f64 v[14:15], v[216:217], v[12:13], -v[14:15]
	v_mul_f64 v[216:217], v[216:217], v[212:213]
	s_delay_alu instid0(VALU_DEP_2) | instskip(NEXT) | instid1(VALU_DEP_2)
	v_add_f64 v[0:1], v[0:1], -v[14:15]
	v_fma_f64 v[216:217], v[218:219], v[12:13], v[216:217]
	v_dual_mov_b32 v14, v212 :: v_dual_mov_b32 v15, v213
	s_delay_alu instid0(VALU_DEP_2)
	v_add_f64 v[2:3], v[2:3], -v[216:217]
.LBB109_469:
	s_or_b32 exec_lo, exec_lo, s3
	s_delay_alu instid0(SALU_CYCLE_1)
	s_mov_b32 s4, exec_lo
	s_waitcnt lgkmcnt(0)
	s_barrier
	buffer_gl0_inv
	v_cmpx_eq_u32_e32 52, v215
	s_cbranch_execz .LBB109_476
; %bb.470:
	ds_store_2addr_b64 v204, v[8:9], v[10:11] offset1:1
	ds_store_2addr_b64 v214, v[4:5], v[6:7] offset0:106 offset1:107
	ds_store_2addr_b64 v214, v[0:1], v[2:3] offset0:108 offset1:109
	ds_load_2addr_b64 v[216:219], v204 offset1:1
	s_waitcnt lgkmcnt(0)
	v_cmp_neq_f64_e32 vcc_lo, 0, v[216:217]
	v_cmp_neq_f64_e64 s3, 0, v[218:219]
	s_delay_alu instid0(VALU_DEP_1) | instskip(NEXT) | instid1(SALU_CYCLE_1)
	s_or_b32 s3, vcc_lo, s3
	s_and_b32 exec_lo, exec_lo, s3
	s_cbranch_execz .LBB109_476
; %bb.471:
	v_cmp_gt_f64_e32 vcc_lo, 0, v[216:217]
	v_xor_b32_e32 v208, 0x80000000, v217
	s_delay_alu instid0(VALU_DEP_1) | instskip(SKIP_3) | instid1(VALU_DEP_1)
	v_cndmask_b32_e32 v213, v217, v208, vcc_lo
	v_cndmask_b32_e32 v212, v216, v216, vcc_lo
	v_cmp_gt_f64_e32 vcc_lo, 0, v[218:219]
	v_xor_b32_e32 v208, 0x80000000, v219
	v_dual_cndmask_b32 v248, v218, v218 :: v_dual_cndmask_b32 v249, v219, v208
	s_delay_alu instid0(VALU_DEP_1) | instskip(SKIP_1) | instid1(SALU_CYCLE_1)
	v_cmp_ngt_f64_e32 vcc_lo, v[212:213], v[248:249]
                                        ; implicit-def: $vgpr212_vgpr213
	s_and_saveexec_b32 s3, vcc_lo
	s_xor_b32 s3, exec_lo, s3
                                        ; implicit-def: $vgpr248_vgpr249_vgpr250_vgpr251
	s_cbranch_execz .LBB109_473
; %bb.472:
	v_div_scale_f64 v[212:213], null, v[218:219], v[218:219], v[216:217]
	v_div_scale_f64 v[252:253], vcc_lo, v[216:217], v[218:219], v[216:217]
	s_delay_alu instid0(VALU_DEP_2) | instskip(SKIP_2) | instid1(VALU_DEP_1)
	v_rcp_f64_e32 v[248:249], v[212:213]
	s_waitcnt_depctr 0xfff
	v_fma_f64 v[250:251], -v[212:213], v[248:249], 1.0
	v_fma_f64 v[248:249], v[248:249], v[250:251], v[248:249]
	s_delay_alu instid0(VALU_DEP_1) | instskip(NEXT) | instid1(VALU_DEP_1)
	v_fma_f64 v[250:251], -v[212:213], v[248:249], 1.0
	v_fma_f64 v[248:249], v[248:249], v[250:251], v[248:249]
	s_delay_alu instid0(VALU_DEP_1) | instskip(NEXT) | instid1(VALU_DEP_1)
	v_mul_f64 v[250:251], v[252:253], v[248:249]
	v_fma_f64 v[212:213], -v[212:213], v[250:251], v[252:253]
	s_delay_alu instid0(VALU_DEP_1) | instskip(NEXT) | instid1(VALU_DEP_1)
	v_div_fmas_f64 v[212:213], v[212:213], v[248:249], v[250:251]
	v_div_fixup_f64 v[212:213], v[212:213], v[218:219], v[216:217]
	s_delay_alu instid0(VALU_DEP_1) | instskip(NEXT) | instid1(VALU_DEP_1)
	v_fma_f64 v[216:217], v[216:217], v[212:213], v[218:219]
	v_div_scale_f64 v[218:219], null, v[216:217], v[216:217], 1.0
	s_delay_alu instid0(VALU_DEP_1) | instskip(SKIP_2) | instid1(VALU_DEP_1)
	v_rcp_f64_e32 v[248:249], v[218:219]
	s_waitcnt_depctr 0xfff
	v_fma_f64 v[250:251], -v[218:219], v[248:249], 1.0
	v_fma_f64 v[248:249], v[248:249], v[250:251], v[248:249]
	s_delay_alu instid0(VALU_DEP_1) | instskip(NEXT) | instid1(VALU_DEP_1)
	v_fma_f64 v[250:251], -v[218:219], v[248:249], 1.0
	v_fma_f64 v[248:249], v[248:249], v[250:251], v[248:249]
	v_div_scale_f64 v[250:251], vcc_lo, 1.0, v[216:217], 1.0
	s_delay_alu instid0(VALU_DEP_1) | instskip(NEXT) | instid1(VALU_DEP_1)
	v_mul_f64 v[252:253], v[250:251], v[248:249]
	v_fma_f64 v[218:219], -v[218:219], v[252:253], v[250:251]
	s_delay_alu instid0(VALU_DEP_1) | instskip(NEXT) | instid1(VALU_DEP_1)
	v_div_fmas_f64 v[218:219], v[218:219], v[248:249], v[252:253]
	v_div_fixup_f64 v[250:251], v[218:219], v[216:217], 1.0
                                        ; implicit-def: $vgpr216_vgpr217
	s_delay_alu instid0(VALU_DEP_1)
	v_mul_f64 v[212:213], v[212:213], v[250:251]
	v_xor_b32_e32 v251, 0x80000000, v251
.LBB109_473:
	s_and_not1_saveexec_b32 s3, s3
	s_cbranch_execz .LBB109_475
; %bb.474:
	v_div_scale_f64 v[212:213], null, v[216:217], v[216:217], v[218:219]
	v_div_scale_f64 v[252:253], vcc_lo, v[218:219], v[216:217], v[218:219]
	s_delay_alu instid0(VALU_DEP_2) | instskip(SKIP_2) | instid1(VALU_DEP_1)
	v_rcp_f64_e32 v[248:249], v[212:213]
	s_waitcnt_depctr 0xfff
	v_fma_f64 v[250:251], -v[212:213], v[248:249], 1.0
	v_fma_f64 v[248:249], v[248:249], v[250:251], v[248:249]
	s_delay_alu instid0(VALU_DEP_1) | instskip(NEXT) | instid1(VALU_DEP_1)
	v_fma_f64 v[250:251], -v[212:213], v[248:249], 1.0
	v_fma_f64 v[248:249], v[248:249], v[250:251], v[248:249]
	s_delay_alu instid0(VALU_DEP_1) | instskip(NEXT) | instid1(VALU_DEP_1)
	v_mul_f64 v[250:251], v[252:253], v[248:249]
	v_fma_f64 v[212:213], -v[212:213], v[250:251], v[252:253]
	s_delay_alu instid0(VALU_DEP_1) | instskip(NEXT) | instid1(VALU_DEP_1)
	v_div_fmas_f64 v[212:213], v[212:213], v[248:249], v[250:251]
	v_div_fixup_f64 v[248:249], v[212:213], v[216:217], v[218:219]
	s_delay_alu instid0(VALU_DEP_1) | instskip(NEXT) | instid1(VALU_DEP_1)
	v_fma_f64 v[212:213], v[218:219], v[248:249], v[216:217]
	v_div_scale_f64 v[216:217], null, v[212:213], v[212:213], 1.0
	s_delay_alu instid0(VALU_DEP_1) | instskip(SKIP_2) | instid1(VALU_DEP_1)
	v_rcp_f64_e32 v[218:219], v[216:217]
	s_waitcnt_depctr 0xfff
	v_fma_f64 v[250:251], -v[216:217], v[218:219], 1.0
	v_fma_f64 v[218:219], v[218:219], v[250:251], v[218:219]
	s_delay_alu instid0(VALU_DEP_1) | instskip(NEXT) | instid1(VALU_DEP_1)
	v_fma_f64 v[250:251], -v[216:217], v[218:219], 1.0
	v_fma_f64 v[218:219], v[218:219], v[250:251], v[218:219]
	v_div_scale_f64 v[250:251], vcc_lo, 1.0, v[212:213], 1.0
	s_delay_alu instid0(VALU_DEP_1) | instskip(NEXT) | instid1(VALU_DEP_1)
	v_mul_f64 v[252:253], v[250:251], v[218:219]
	v_fma_f64 v[216:217], -v[216:217], v[252:253], v[250:251]
	s_delay_alu instid0(VALU_DEP_1) | instskip(NEXT) | instid1(VALU_DEP_1)
	v_div_fmas_f64 v[216:217], v[216:217], v[218:219], v[252:253]
	v_div_fixup_f64 v[212:213], v[216:217], v[212:213], 1.0
	s_delay_alu instid0(VALU_DEP_1)
	v_mul_f64 v[250:251], v[248:249], -v[212:213]
.LBB109_475:
	s_or_b32 exec_lo, exec_lo, s3
	ds_store_2addr_b64 v204, v[212:213], v[250:251] offset1:1
.LBB109_476:
	s_or_b32 exec_lo, exec_lo, s4
	s_waitcnt lgkmcnt(0)
	s_barrier
	buffer_gl0_inv
	ds_load_2addr_b64 v[248:251], v204 offset1:1
	s_mov_b32 s3, exec_lo
	v_cmpx_lt_u32_e32 52, v215
	s_cbranch_execz .LBB109_478
; %bb.477:
	s_waitcnt lgkmcnt(0)
	v_mul_f64 v[212:213], v[248:249], v[10:11]
	v_mul_f64 v[10:11], v[250:251], v[10:11]
	ds_load_2addr_b64 v[216:219], v214 offset0:106 offset1:107
	v_fma_f64 v[212:213], v[250:251], v[8:9], v[212:213]
	v_fma_f64 v[8:9], v[248:249], v[8:9], -v[10:11]
	s_waitcnt lgkmcnt(0)
	s_delay_alu instid0(VALU_DEP_2) | instskip(NEXT) | instid1(VALU_DEP_1)
	v_mul_f64 v[10:11], v[218:219], v[212:213]
	v_fma_f64 v[10:11], v[216:217], v[8:9], -v[10:11]
	v_mul_f64 v[216:217], v[216:217], v[212:213]
	s_delay_alu instid0(VALU_DEP_2) | instskip(NEXT) | instid1(VALU_DEP_2)
	v_add_f64 v[4:5], v[4:5], -v[10:11]
	v_fma_f64 v[216:217], v[218:219], v[8:9], v[216:217]
	s_delay_alu instid0(VALU_DEP_1) | instskip(SKIP_3) | instid1(VALU_DEP_1)
	v_add_f64 v[6:7], v[6:7], -v[216:217]
	ds_load_2addr_b64 v[216:219], v214 offset0:108 offset1:109
	s_waitcnt lgkmcnt(0)
	v_mul_f64 v[10:11], v[218:219], v[212:213]
	v_fma_f64 v[10:11], v[216:217], v[8:9], -v[10:11]
	v_mul_f64 v[216:217], v[216:217], v[212:213]
	s_delay_alu instid0(VALU_DEP_2) | instskip(NEXT) | instid1(VALU_DEP_2)
	v_add_f64 v[0:1], v[0:1], -v[10:11]
	v_fma_f64 v[216:217], v[218:219], v[8:9], v[216:217]
	v_dual_mov_b32 v10, v212 :: v_dual_mov_b32 v11, v213
	s_delay_alu instid0(VALU_DEP_2)
	v_add_f64 v[2:3], v[2:3], -v[216:217]
.LBB109_478:
	s_or_b32 exec_lo, exec_lo, s3
	s_delay_alu instid0(SALU_CYCLE_1)
	s_mov_b32 s4, exec_lo
	s_waitcnt lgkmcnt(0)
	s_barrier
	buffer_gl0_inv
	v_cmpx_eq_u32_e32 53, v215
	s_cbranch_execz .LBB109_485
; %bb.479:
	ds_store_2addr_b64 v204, v[4:5], v[6:7] offset1:1
	ds_store_2addr_b64 v214, v[0:1], v[2:3] offset0:108 offset1:109
	ds_load_2addr_b64 v[216:219], v204 offset1:1
	s_waitcnt lgkmcnt(0)
	v_cmp_neq_f64_e32 vcc_lo, 0, v[216:217]
	v_cmp_neq_f64_e64 s3, 0, v[218:219]
	s_delay_alu instid0(VALU_DEP_1) | instskip(NEXT) | instid1(SALU_CYCLE_1)
	s_or_b32 s3, vcc_lo, s3
	s_and_b32 exec_lo, exec_lo, s3
	s_cbranch_execz .LBB109_485
; %bb.480:
	v_cmp_gt_f64_e32 vcc_lo, 0, v[216:217]
	v_xor_b32_e32 v208, 0x80000000, v217
	s_delay_alu instid0(VALU_DEP_1) | instskip(SKIP_3) | instid1(VALU_DEP_1)
	v_cndmask_b32_e32 v213, v217, v208, vcc_lo
	v_cndmask_b32_e32 v212, v216, v216, vcc_lo
	v_cmp_gt_f64_e32 vcc_lo, 0, v[218:219]
	v_xor_b32_e32 v208, 0x80000000, v219
	v_dual_cndmask_b32 v252, v218, v218 :: v_dual_cndmask_b32 v253, v219, v208
	s_delay_alu instid0(VALU_DEP_1) | instskip(SKIP_1) | instid1(SALU_CYCLE_1)
	v_cmp_ngt_f64_e32 vcc_lo, v[212:213], v[252:253]
                                        ; implicit-def: $vgpr212_vgpr213
	s_and_saveexec_b32 s3, vcc_lo
	s_xor_b32 s3, exec_lo, s3
                                        ; implicit-def: $vgpr252_vgpr253_vgpr254_vgpr255
	s_cbranch_execz .LBB109_482
; %bb.481:
	v_div_scale_f64 v[212:213], null, v[218:219], v[218:219], v[216:217]
	v_div_scale_f64 v[208:209], vcc_lo, v[216:217], v[218:219], v[216:217]
	s_delay_alu instid0(VALU_DEP_2) | instskip(SKIP_2) | instid1(VALU_DEP_1)
	v_rcp_f64_e32 v[252:253], v[212:213]
	s_waitcnt_depctr 0xfff
	v_fma_f64 v[254:255], -v[212:213], v[252:253], 1.0
	v_fma_f64 v[252:253], v[252:253], v[254:255], v[252:253]
	s_delay_alu instid0(VALU_DEP_1) | instskip(NEXT) | instid1(VALU_DEP_1)
	v_fma_f64 v[254:255], -v[212:213], v[252:253], 1.0
	v_fma_f64 v[210:211], v[252:253], v[254:255], v[252:253]
	s_delay_alu instid0(VALU_DEP_1) | instskip(NEXT) | instid1(VALU_DEP_1)
	v_mul_f64 v[252:253], v[208:209], v[210:211]
	v_fma_f64 v[208:209], -v[212:213], v[252:253], v[208:209]
	s_delay_alu instid0(VALU_DEP_1) | instskip(NEXT) | instid1(VALU_DEP_1)
	v_div_fmas_f64 v[208:209], v[208:209], v[210:211], v[252:253]
	v_div_fixup_f64 v[208:209], v[208:209], v[218:219], v[216:217]
	s_delay_alu instid0(VALU_DEP_1) | instskip(NEXT) | instid1(VALU_DEP_1)
	v_fma_f64 v[210:211], v[216:217], v[208:209], v[218:219]
	v_div_scale_f64 v[212:213], null, v[210:211], v[210:211], 1.0
	s_delay_alu instid0(VALU_DEP_1) | instskip(SKIP_2) | instid1(VALU_DEP_1)
	v_rcp_f64_e32 v[216:217], v[212:213]
	s_waitcnt_depctr 0xfff
	v_fma_f64 v[218:219], -v[212:213], v[216:217], 1.0
	v_fma_f64 v[216:217], v[216:217], v[218:219], v[216:217]
	s_delay_alu instid0(VALU_DEP_1) | instskip(NEXT) | instid1(VALU_DEP_1)
	v_fma_f64 v[218:219], -v[212:213], v[216:217], 1.0
	v_fma_f64 v[216:217], v[216:217], v[218:219], v[216:217]
	v_div_scale_f64 v[218:219], vcc_lo, 1.0, v[210:211], 1.0
	s_delay_alu instid0(VALU_DEP_1) | instskip(NEXT) | instid1(VALU_DEP_1)
	v_mul_f64 v[252:253], v[218:219], v[216:217]
	v_fma_f64 v[212:213], -v[212:213], v[252:253], v[218:219]
	s_delay_alu instid0(VALU_DEP_1) | instskip(NEXT) | instid1(VALU_DEP_1)
	v_div_fmas_f64 v[212:213], v[212:213], v[216:217], v[252:253]
                                        ; implicit-def: $vgpr216_vgpr217
	v_div_fixup_f64 v[254:255], v[212:213], v[210:211], 1.0
	s_delay_alu instid0(VALU_DEP_1)
	v_mul_f64 v[212:213], v[208:209], v[254:255]
	v_xor_b32_e32 v255, 0x80000000, v255
.LBB109_482:
	s_and_not1_saveexec_b32 s3, s3
	s_cbranch_execz .LBB109_484
; %bb.483:
	v_div_scale_f64 v[208:209], null, v[216:217], v[216:217], v[218:219]
	v_div_scale_f64 v[252:253], vcc_lo, v[218:219], v[216:217], v[218:219]
	s_delay_alu instid0(VALU_DEP_2) | instskip(SKIP_2) | instid1(VALU_DEP_1)
	v_rcp_f64_e32 v[210:211], v[208:209]
	s_waitcnt_depctr 0xfff
	v_fma_f64 v[212:213], -v[208:209], v[210:211], 1.0
	v_fma_f64 v[210:211], v[210:211], v[212:213], v[210:211]
	s_delay_alu instid0(VALU_DEP_1) | instskip(NEXT) | instid1(VALU_DEP_1)
	v_fma_f64 v[212:213], -v[208:209], v[210:211], 1.0
	v_fma_f64 v[210:211], v[210:211], v[212:213], v[210:211]
	s_delay_alu instid0(VALU_DEP_1) | instskip(NEXT) | instid1(VALU_DEP_1)
	v_mul_f64 v[212:213], v[252:253], v[210:211]
	v_fma_f64 v[208:209], -v[208:209], v[212:213], v[252:253]
	s_delay_alu instid0(VALU_DEP_1) | instskip(NEXT) | instid1(VALU_DEP_1)
	v_div_fmas_f64 v[208:209], v[208:209], v[210:211], v[212:213]
	v_div_fixup_f64 v[208:209], v[208:209], v[216:217], v[218:219]
	s_delay_alu instid0(VALU_DEP_1) | instskip(NEXT) | instid1(VALU_DEP_1)
	v_fma_f64 v[210:211], v[218:219], v[208:209], v[216:217]
	v_div_scale_f64 v[212:213], null, v[210:211], v[210:211], 1.0
	s_delay_alu instid0(VALU_DEP_1) | instskip(SKIP_2) | instid1(VALU_DEP_1)
	v_rcp_f64_e32 v[216:217], v[212:213]
	s_waitcnt_depctr 0xfff
	v_fma_f64 v[218:219], -v[212:213], v[216:217], 1.0
	v_fma_f64 v[216:217], v[216:217], v[218:219], v[216:217]
	s_delay_alu instid0(VALU_DEP_1) | instskip(NEXT) | instid1(VALU_DEP_1)
	v_fma_f64 v[218:219], -v[212:213], v[216:217], 1.0
	v_fma_f64 v[216:217], v[216:217], v[218:219], v[216:217]
	v_div_scale_f64 v[218:219], vcc_lo, 1.0, v[210:211], 1.0
	s_delay_alu instid0(VALU_DEP_1) | instskip(NEXT) | instid1(VALU_DEP_1)
	v_mul_f64 v[252:253], v[218:219], v[216:217]
	v_fma_f64 v[212:213], -v[212:213], v[252:253], v[218:219]
	s_delay_alu instid0(VALU_DEP_1) | instskip(NEXT) | instid1(VALU_DEP_1)
	v_div_fmas_f64 v[212:213], v[212:213], v[216:217], v[252:253]
	v_div_fixup_f64 v[212:213], v[212:213], v[210:211], 1.0
	s_delay_alu instid0(VALU_DEP_1)
	v_mul_f64 v[254:255], v[208:209], -v[212:213]
.LBB109_484:
	s_or_b32 exec_lo, exec_lo, s3
	ds_store_2addr_b64 v204, v[212:213], v[254:255] offset1:1
.LBB109_485:
	s_or_b32 exec_lo, exec_lo, s4
	s_waitcnt lgkmcnt(0)
	s_barrier
	buffer_gl0_inv
	ds_load_2addr_b64 v[252:255], v204 offset1:1
	s_mov_b32 s3, exec_lo
	v_cmpx_lt_u32_e32 53, v215
	s_cbranch_execz .LBB109_487
; %bb.486:
	s_waitcnt lgkmcnt(0)
	v_mul_f64 v[208:209], v[252:253], v[6:7]
	v_mul_f64 v[6:7], v[254:255], v[6:7]
	ds_load_2addr_b64 v[216:219], v214 offset0:108 offset1:109
	v_fma_f64 v[208:209], v[254:255], v[4:5], v[208:209]
	v_fma_f64 v[4:5], v[252:253], v[4:5], -v[6:7]
	s_waitcnt lgkmcnt(0)
	s_delay_alu instid0(VALU_DEP_2) | instskip(SKIP_1) | instid1(VALU_DEP_2)
	v_mul_f64 v[6:7], v[218:219], v[208:209]
	v_mul_f64 v[210:211], v[216:217], v[208:209]
	v_fma_f64 v[6:7], v[216:217], v[4:5], -v[6:7]
	s_delay_alu instid0(VALU_DEP_2) | instskip(NEXT) | instid1(VALU_DEP_2)
	v_fma_f64 v[210:211], v[218:219], v[4:5], v[210:211]
	v_add_f64 v[0:1], v[0:1], -v[6:7]
	s_delay_alu instid0(VALU_DEP_2)
	v_add_f64 v[2:3], v[2:3], -v[210:211]
	v_dual_mov_b32 v6, v208 :: v_dual_mov_b32 v7, v209
.LBB109_487:
	s_or_b32 exec_lo, exec_lo, s3
	s_delay_alu instid0(SALU_CYCLE_1)
	s_mov_b32 s4, exec_lo
	s_waitcnt lgkmcnt(0)
	s_barrier
	buffer_gl0_inv
	v_cmpx_eq_u32_e32 54, v215
	s_cbranch_execz .LBB109_494
; %bb.488:
	v_cmp_neq_f64_e32 vcc_lo, 0, v[0:1]
	v_cmp_neq_f64_e64 s3, 0, v[2:3]
	ds_store_2addr_b64 v204, v[0:1], v[2:3] offset1:1
	s_or_b32 s3, vcc_lo, s3
	s_delay_alu instid0(SALU_CYCLE_1)
	s_and_b32 exec_lo, exec_lo, s3
	s_cbranch_execz .LBB109_494
; %bb.489:
	v_cmp_gt_f64_e32 vcc_lo, 0, v[0:1]
	v_xor_b32_e32 v208, 0x80000000, v1
	v_xor_b32_e32 v210, 0x80000000, v3
	s_mov_b32 s3, exec_lo
                                        ; implicit-def: $vgpr212_vgpr213
	s_delay_alu instid0(VALU_DEP_2) | instskip(SKIP_4) | instid1(VALU_DEP_1)
	v_cndmask_b32_e32 v209, v1, v208, vcc_lo
	v_cndmask_b32_e32 v208, v0, v0, vcc_lo
	v_cmp_gt_f64_e32 vcc_lo, 0, v[2:3]
	v_cndmask_b32_e32 v211, v3, v210, vcc_lo
	v_cndmask_b32_e32 v210, v2, v2, vcc_lo
	v_cmpx_ngt_f64_e32 v[208:209], v[210:211]
	s_xor_b32 s3, exec_lo, s3
                                        ; implicit-def: $vgpr216_vgpr217_vgpr218_vgpr219
	s_cbranch_execz .LBB109_491
; %bb.490:
	v_div_scale_f64 v[208:209], null, v[2:3], v[2:3], v[0:1]
	v_div_scale_f64 v[216:217], vcc_lo, v[0:1], v[2:3], v[0:1]
	v_dual_mov_b32 v207, v204 :: v_dual_mov_b32 v204, v215
	s_delay_alu instid0(VALU_DEP_3) | instskip(SKIP_2) | instid1(VALU_DEP_1)
	v_rcp_f64_e32 v[210:211], v[208:209]
	s_waitcnt_depctr 0xfff
	v_fma_f64 v[212:213], -v[208:209], v[210:211], 1.0
	v_fma_f64 v[210:211], v[210:211], v[212:213], v[210:211]
	s_delay_alu instid0(VALU_DEP_1) | instskip(NEXT) | instid1(VALU_DEP_1)
	v_fma_f64 v[212:213], -v[208:209], v[210:211], 1.0
	v_fma_f64 v[210:211], v[210:211], v[212:213], v[210:211]
	s_delay_alu instid0(VALU_DEP_1) | instskip(NEXT) | instid1(VALU_DEP_1)
	v_mul_f64 v[212:213], v[216:217], v[210:211]
	v_fma_f64 v[208:209], -v[208:209], v[212:213], v[216:217]
	s_delay_alu instid0(VALU_DEP_1) | instskip(NEXT) | instid1(VALU_DEP_1)
	v_div_fmas_f64 v[208:209], v[208:209], v[210:211], v[212:213]
	v_div_fixup_f64 v[208:209], v[208:209], v[2:3], v[0:1]
	s_delay_alu instid0(VALU_DEP_1) | instskip(NEXT) | instid1(VALU_DEP_1)
	v_fma_f64 v[210:211], v[0:1], v[208:209], v[2:3]
	v_div_scale_f64 v[212:213], null, v[210:211], v[210:211], 1.0
	s_delay_alu instid0(VALU_DEP_1) | instskip(SKIP_2) | instid1(VALU_DEP_1)
	v_rcp_f64_e32 v[216:217], v[212:213]
	s_waitcnt_depctr 0xfff
	v_fma_f64 v[218:219], -v[212:213], v[216:217], 1.0
	v_fma_f64 v[216:217], v[216:217], v[218:219], v[216:217]
	s_delay_alu instid0(VALU_DEP_1) | instskip(NEXT) | instid1(VALU_DEP_1)
	v_fma_f64 v[218:219], -v[212:213], v[216:217], 1.0
	v_fma_f64 v[216:217], v[216:217], v[218:219], v[216:217]
	v_div_scale_f64 v[218:219], vcc_lo, 1.0, v[210:211], 1.0
	s_delay_alu instid0(VALU_DEP_1) | instskip(NEXT) | instid1(VALU_DEP_1)
	v_mul_f64 v[214:215], v[218:219], v[216:217]
	v_fma_f64 v[212:213], -v[212:213], v[214:215], v[218:219]
	s_delay_alu instid0(VALU_DEP_1) | instskip(SKIP_1) | instid1(VALU_DEP_2)
	v_div_fmas_f64 v[212:213], v[212:213], v[216:217], v[214:215]
	v_dual_mov_b32 v215, v204 :: v_dual_mov_b32 v204, v207
	v_div_fixup_f64 v[218:219], v[212:213], v[210:211], 1.0
	s_delay_alu instid0(VALU_DEP_1)
	v_mul_f64 v[212:213], v[208:209], v[218:219]
	v_xor_b32_e32 v219, 0x80000000, v219
.LBB109_491:
	s_and_not1_saveexec_b32 s3, s3
	s_cbranch_execz .LBB109_493
; %bb.492:
	v_div_scale_f64 v[208:209], null, v[0:1], v[0:1], v[2:3]
	v_dual_mov_b32 v207, v204 :: v_dual_mov_b32 v204, v215
	v_div_scale_f64 v[214:215], vcc_lo, v[2:3], v[0:1], v[2:3]
	s_delay_alu instid0(VALU_DEP_3) | instskip(SKIP_2) | instid1(VALU_DEP_1)
	v_rcp_f64_e32 v[210:211], v[208:209]
	s_waitcnt_depctr 0xfff
	v_fma_f64 v[212:213], -v[208:209], v[210:211], 1.0
	v_fma_f64 v[210:211], v[210:211], v[212:213], v[210:211]
	s_delay_alu instid0(VALU_DEP_1) | instskip(NEXT) | instid1(VALU_DEP_1)
	v_fma_f64 v[212:213], -v[208:209], v[210:211], 1.0
	v_fma_f64 v[210:211], v[210:211], v[212:213], v[210:211]
	s_delay_alu instid0(VALU_DEP_1) | instskip(NEXT) | instid1(VALU_DEP_1)
	v_mul_f64 v[212:213], v[214:215], v[210:211]
	v_fma_f64 v[208:209], -v[208:209], v[212:213], v[214:215]
	s_delay_alu instid0(VALU_DEP_1) | instskip(NEXT) | instid1(VALU_DEP_1)
	v_div_fmas_f64 v[208:209], v[208:209], v[210:211], v[212:213]
	v_div_fixup_f64 v[208:209], v[208:209], v[0:1], v[2:3]
	s_delay_alu instid0(VALU_DEP_1) | instskip(NEXT) | instid1(VALU_DEP_1)
	v_fma_f64 v[210:211], v[2:3], v[208:209], v[0:1]
	v_div_scale_f64 v[212:213], null, v[210:211], v[210:211], 1.0
	s_delay_alu instid0(VALU_DEP_1) | instskip(SKIP_2) | instid1(VALU_DEP_1)
	v_rcp_f64_e32 v[214:215], v[212:213]
	s_waitcnt_depctr 0xfff
	v_fma_f64 v[216:217], -v[212:213], v[214:215], 1.0
	v_fma_f64 v[214:215], v[214:215], v[216:217], v[214:215]
	s_delay_alu instid0(VALU_DEP_1) | instskip(NEXT) | instid1(VALU_DEP_1)
	v_fma_f64 v[216:217], -v[212:213], v[214:215], 1.0
	v_fma_f64 v[214:215], v[214:215], v[216:217], v[214:215]
	v_div_scale_f64 v[216:217], vcc_lo, 1.0, v[210:211], 1.0
	s_delay_alu instid0(VALU_DEP_1) | instskip(NEXT) | instid1(VALU_DEP_1)
	v_mul_f64 v[218:219], v[216:217], v[214:215]
	v_fma_f64 v[212:213], -v[212:213], v[218:219], v[216:217]
	s_delay_alu instid0(VALU_DEP_1) | instskip(SKIP_1) | instid1(VALU_DEP_2)
	v_div_fmas_f64 v[212:213], v[212:213], v[214:215], v[218:219]
	v_dual_mov_b32 v215, v204 :: v_dual_mov_b32 v204, v207
	v_div_fixup_f64 v[212:213], v[212:213], v[210:211], 1.0
	s_delay_alu instid0(VALU_DEP_1)
	v_mul_f64 v[218:219], v[208:209], -v[212:213]
.LBB109_493:
	s_or_b32 exec_lo, exec_lo, s3
	ds_store_2addr_b64 v204, v[212:213], v[218:219] offset1:1
.LBB109_494:
	s_or_b32 exec_lo, exec_lo, s4
	s_waitcnt lgkmcnt(0)
	s_barrier
	buffer_gl0_inv
	ds_load_2addr_b64 v[216:219], v204 offset1:1
	s_mov_b32 s3, exec_lo
	v_cmpx_lt_u32_e32 54, v215
	s_cbranch_execz .LBB109_496
; %bb.495:
	s_waitcnt lgkmcnt(0)
	v_mul_f64 v[208:209], v[218:219], v[2:3]
	v_mul_f64 v[2:3], v[216:217], v[2:3]
	s_delay_alu instid0(VALU_DEP_2) | instskip(NEXT) | instid1(VALU_DEP_2)
	v_fma_f64 v[208:209], v[216:217], v[0:1], -v[208:209]
	v_fma_f64 v[2:3], v[218:219], v[0:1], v[2:3]
	s_delay_alu instid0(VALU_DEP_2)
	v_dual_mov_b32 v0, v208 :: v_dual_mov_b32 v1, v209
.LBB109_496:
	s_or_b32 exec_lo, exec_lo, s3
	s_waitcnt lgkmcnt(0)
	s_barrier
	buffer_gl0_inv
	s_and_saveexec_b32 s12, s2
	s_cbranch_execz .LBB109_499
; %bb.497:
	scratch_load_b128 v[207:210], off, off offset:496 ; 16-byte Folded Reload
	s_load_b64 s[14:15], s[0:1], 0x28
	s_waitcnt vmcnt(0)
	v_cmp_eq_f64_e32 vcc_lo, 0, v[207:208]
	v_cmp_eq_f64_e64 s2, 0, v[209:210]
	scratch_load_b128 v[207:210], off, off offset:512 ; 16-byte Folded Reload
	s_and_b32 s2, vcc_lo, s2
	s_waitcnt vmcnt(0)
	v_cmp_neq_f64_e64 s3, 0, v[207:208]
	v_cmp_neq_f64_e64 s4, 0, v[209:210]
	scratch_load_b128 v[207:210], off, off offset:528 ; 16-byte Folded Reload
	s_or_b32 s3, s3, s4
	s_delay_alu instid0(SALU_CYCLE_1)
	s_or_b32 vcc_lo, s3, s2
	s_waitcnt vmcnt(0)
	v_cmp_eq_f64_e64 s5, 0, v[207:208]
	v_cmp_eq_f64_e64 s6, 0, v[209:210]
	scratch_load_b128 v[207:210], off, off offset:544 ; 16-byte Folded Reload
	s_and_b32 s4, s5, s6
	s_waitcnt vmcnt(0)
	v_cmp_eq_f64_e64 s7, 0, v[207:208]
	v_cmp_eq_f64_e64 s8, 0, v[209:210]
	scratch_load_b128 v[207:210], off, off offset:560 ; 16-byte Folded Reload
	s_and_b32 s6, s7, s8
	s_waitcnt vmcnt(0)
	v_cmp_eq_f64_e64 s10, 0, v[209:210]
	scratch_load_b128 v[209:212], off, off offset:576 ; 16-byte Folded Reload
	v_cmp_eq_f64_e64 s9, 0, v[207:208]
	scratch_load_b128 v[204:207], off, off offset:960 ; 16-byte Folded Reload
	v_cndmask_b32_e64 v208, 0, 1, s2
	s_delay_alu instid0(VALU_DEP_1) | instskip(NEXT) | instid1(VALU_DEP_1)
	v_cndmask_b32_e32 v208, 2, v208, vcc_lo
	v_cmp_eq_u32_e64 s3, 0, v208
	s_delay_alu instid0(VALU_DEP_1) | instskip(NEXT) | instid1(SALU_CYCLE_1)
	s_and_b32 s3, s4, s3
	v_cndmask_b32_e64 v208, v208, 3, s3
	s_delay_alu instid0(VALU_DEP_1) | instskip(NEXT) | instid1(VALU_DEP_1)
	v_cmp_eq_u32_e64 s5, 0, v208
	s_and_b32 s5, s6, s5
	s_delay_alu instid0(SALU_CYCLE_1) | instskip(NEXT) | instid1(VALU_DEP_1)
	v_cndmask_b32_e64 v208, v208, 4, s5
	v_cmp_eq_u32_e64 s7, 0, v208
	s_and_b32 s8, s9, s10
	s_delay_alu instid0(VALU_DEP_1) | instid1(SALU_CYCLE_1)
	s_and_b32 s7, s8, s7
	s_delay_alu instid0(SALU_CYCLE_1) | instskip(NEXT) | instid1(VALU_DEP_1)
	v_cndmask_b32_e64 v208, v208, 5, s7
	v_cmp_eq_u32_e64 s9, 0, v208
	s_waitcnt vmcnt(1)
	v_cmp_eq_f64_e32 vcc_lo, 0, v[209:210]
	v_cmp_eq_f64_e64 s2, 0, v[211:212]
	scratch_load_b128 v[209:212], off, off offset:592 ; 16-byte Folded Reload
	s_and_b32 s2, vcc_lo, s2
	s_delay_alu instid0(SALU_CYCLE_1) | instskip(NEXT) | instid1(SALU_CYCLE_1)
	s_and_b32 s2, s2, s9
	v_cndmask_b32_e64 v208, v208, 6, s2
	s_delay_alu instid0(VALU_DEP_1)
	v_cmp_eq_u32_e64 s9, 0, v208
	s_waitcnt vmcnt(0)
	v_cmp_eq_f64_e64 s3, 0, v[209:210]
	v_cmp_eq_f64_e64 s4, 0, v[211:212]
	scratch_load_b128 v[209:212], off, off offset:608 ; 16-byte Folded Reload
	s_and_b32 s3, s3, s4
	s_delay_alu instid0(SALU_CYCLE_1) | instskip(NEXT) | instid1(SALU_CYCLE_1)
	s_and_b32 s3, s3, s9
	v_cndmask_b32_e64 v208, v208, 7, s3
	s_delay_alu instid0(VALU_DEP_1)
	v_cmp_eq_u32_e64 s9, 0, v208
	s_waitcnt vmcnt(0)
	v_cmp_eq_f64_e64 s5, 0, v[209:210]
	v_cmp_eq_f64_e64 s6, 0, v[211:212]
	scratch_load_b128 v[209:212], off, off offset:624 ; 16-byte Folded Reload
	s_and_b32 s5, s5, s6
	s_delay_alu instid0(SALU_CYCLE_1) | instskip(NEXT) | instid1(SALU_CYCLE_1)
	s_and_b32 s5, s5, s9
	v_cndmask_b32_e64 v208, v208, 8, s5
	s_delay_alu instid0(VALU_DEP_1)
	v_cmp_eq_u32_e64 s9, 0, v208
	s_waitcnt vmcnt(0)
	v_cmp_eq_f64_e64 s7, 0, v[209:210]
	v_cmp_eq_f64_e64 s8, 0, v[211:212]
	scratch_load_b128 v[209:212], off, off offset:640 ; 16-byte Folded Reload
	s_and_b32 s7, s7, s8
	s_delay_alu instid0(SALU_CYCLE_1) | instskip(NEXT) | instid1(SALU_CYCLE_1)
	s_and_b32 s7, s7, s9
	v_cndmask_b32_e64 v208, v208, 9, s7
	s_delay_alu instid0(VALU_DEP_1)
	v_cmp_eq_u32_e64 s9, 0, v208
	s_waitcnt vmcnt(0)
	v_cmp_eq_f64_e32 vcc_lo, 0, v[209:210]
	v_cmp_eq_f64_e64 s2, 0, v[211:212]
	scratch_load_b128 v[209:212], off, off offset:656 ; 16-byte Folded Reload
	s_and_b32 s2, vcc_lo, s2
	s_delay_alu instid0(SALU_CYCLE_1) | instskip(NEXT) | instid1(SALU_CYCLE_1)
	s_and_b32 s2, s2, s9
	v_cndmask_b32_e64 v208, v208, 10, s2
	s_delay_alu instid0(VALU_DEP_1)
	v_cmp_eq_u32_e64 s9, 0, v208
	s_waitcnt vmcnt(0)
	v_cmp_eq_f64_e64 s3, 0, v[209:210]
	v_cmp_eq_f64_e64 s4, 0, v[211:212]
	scratch_load_b128 v[209:212], off, off offset:672 ; 16-byte Folded Reload
	s_and_b32 s3, s3, s4
	s_delay_alu instid0(SALU_CYCLE_1) | instskip(NEXT) | instid1(SALU_CYCLE_1)
	s_and_b32 s3, s3, s9
	v_cndmask_b32_e64 v208, v208, 11, s3
	s_delay_alu instid0(VALU_DEP_1)
	v_cmp_eq_u32_e64 s9, 0, v208
	s_waitcnt vmcnt(0)
	v_cmp_eq_f64_e64 s5, 0, v[209:210]
	v_cmp_eq_f64_e64 s6, 0, v[211:212]
	scratch_load_b128 v[209:212], off, off offset:688 ; 16-byte Folded Reload
	s_and_b32 s5, s5, s6
	s_delay_alu instid0(SALU_CYCLE_1) | instskip(NEXT) | instid1(SALU_CYCLE_1)
	s_and_b32 s5, s5, s9
	v_cndmask_b32_e64 v208, v208, 12, s5
	s_delay_alu instid0(VALU_DEP_1)
	v_cmp_eq_u32_e64 s9, 0, v208
	s_waitcnt vmcnt(0)
	v_cmp_eq_f64_e64 s7, 0, v[209:210]
	v_cmp_eq_f64_e64 s8, 0, v[211:212]
	scratch_load_b128 v[209:212], off, off offset:704 ; 16-byte Folded Reload
	s_and_b32 s7, s7, s8
	s_delay_alu instid0(SALU_CYCLE_1) | instskip(NEXT) | instid1(SALU_CYCLE_1)
	s_and_b32 s7, s7, s9
	v_cndmask_b32_e64 v208, v208, 13, s7
	s_delay_alu instid0(VALU_DEP_1)
	;; [unrolled: 40-line block ×4, first 2 shown]
	v_cmp_eq_u32_e64 s9, 0, v208
	s_waitcnt vmcnt(0)
	v_cmp_eq_f64_e32 vcc_lo, 0, v[209:210]
	v_cmp_eq_f64_e64 s2, 0, v[211:212]
	scratch_load_b128 v[209:212], off, off offset:848 ; 16-byte Folded Reload
	s_and_b32 s2, vcc_lo, s2
	s_delay_alu instid0(SALU_CYCLE_1) | instskip(NEXT) | instid1(SALU_CYCLE_1)
	s_and_b32 s2, s2, s9
	v_cndmask_b32_e64 v208, v208, 22, s2
	s_delay_alu instid0(VALU_DEP_1)
	v_cmp_eq_u32_e32 vcc_lo, 0, v208
	s_waitcnt vmcnt(0)
	v_cmp_eq_f64_e64 s3, 0, v[209:210]
	v_cmp_eq_f64_e64 s4, 0, v[211:212]
	scratch_load_b128 v[209:212], off, off offset:864 ; 16-byte Folded Reload
	s_and_b32 s2, s3, s4
	s_delay_alu instid0(SALU_CYCLE_1) | instskip(NEXT) | instid1(SALU_CYCLE_1)
	s_and_b32 s2, s2, vcc_lo
	v_cndmask_b32_e64 v208, v208, 23, s2
	s_delay_alu instid0(VALU_DEP_1)
	v_cmp_eq_u32_e64 s3, 0, v208
	s_waitcnt vmcnt(0)
	v_cmp_eq_f64_e64 s5, 0, v[209:210]
	v_cmp_eq_f64_e64 s6, 0, v[211:212]
	scratch_load_b128 v[209:212], off, off offset:880 ; 16-byte Folded Reload
	s_and_b32 s4, s5, s6
	s_delay_alu instid0(SALU_CYCLE_1) | instskip(NEXT) | instid1(SALU_CYCLE_1)
	s_and_b32 s0, s4, s3
	v_cndmask_b32_e64 v208, v208, 24, s0
	s_delay_alu instid0(VALU_DEP_1)
	v_cmp_eq_u32_e64 s3, 0, v208
	s_waitcnt vmcnt(0)
	v_cmp_eq_f64_e64 s7, 0, v[209:210]
	v_cmp_eq_f64_e64 s8, 0, v[211:212]
	scratch_load_b128 v[209:212], off, off offset:896 ; 16-byte Folded Reload
	s_and_b32 s4, s7, s8
	s_delay_alu instid0(SALU_CYCLE_1)
	s_and_b32 s3, s4, s3
	s_waitcnt vmcnt(0)
	v_cmp_eq_f64_e64 s10, 0, v[209:210]
	v_cmp_eq_f64_e64 s11, 0, v[211:212]
	scratch_load_b128 v[209:212], off, off offset:912 ; 16-byte Folded Reload
	s_and_b32 s7, s10, s11
	s_waitcnt vmcnt(0)
	v_cmp_eq_f64_e32 vcc_lo, 0, v[209:210]
	v_cmp_eq_f64_e64 s2, 0, v[211:212]
	scratch_load_b128 v[209:212], off, off offset:928 ; 16-byte Folded Reload
	s_and_b32 s2, vcc_lo, s2
	s_waitcnt vmcnt(0)
	v_cmp_eq_f64_e64 s0, 0, v[209:210]
	v_cndmask_b32_e64 v210, v208, 25, s3
	scratch_load_b64 v[208:209], off, off offset:1224 ; 8-byte Folded Reload
	v_cmp_eq_f64_e64 s1, 0, v[211:212]
	scratch_load_b128 v[211:214], off, off offset:944 ; 16-byte Folded Reload
	v_cmp_eq_u32_e64 s5, 0, v210
	s_delay_alu instid0(VALU_DEP_1)
	s_and_b32 s5, s7, s5
	s_and_b32 s0, s0, s1
	s_waitcnt vmcnt(1)
	v_lshlrev_b64 v[208:209], 2, v[208:209]
	s_waitcnt vmcnt(0)
	v_cmp_eq_f64_e64 s3, 0, v[211:212]
	v_cmp_eq_f64_e64 s4, 0, v[213:214]
	s_waitcnt lgkmcnt(0)
	s_delay_alu instid0(VALU_DEP_3) | instskip(NEXT) | instid1(VALU_DEP_1)
	v_add_co_u32 v212, s6, s14, v208
	v_add_co_ci_u32_e64 v213, s6, s15, v209, s6
	v_cndmask_b32_e64 v208, v210, 26, s5
	v_cmp_eq_f64_e64 s5, 0, v[204:205]
	v_cmp_eq_f64_e64 s6, 0, v[206:207]
	scratch_load_b128 v[204:207], off, off offset:984 ; 16-byte Folded Reload
	global_load_b32 v209, v[212:213], off
	v_cmp_eq_u32_e64 s7, 0, v208
	s_delay_alu instid0(VALU_DEP_1) | instskip(NEXT) | instid1(SALU_CYCLE_1)
	s_and_b32 s2, s2, s7
	v_cndmask_b32_e64 v208, v208, 27, s2
	s_delay_alu instid0(VALU_DEP_1) | instskip(NEXT) | instid1(VALU_DEP_1)
	v_cmp_eq_u32_e64 s7, 0, v208
	s_and_b32 s0, s0, s7
	s_delay_alu instid0(SALU_CYCLE_1) | instskip(NEXT) | instid1(VALU_DEP_1)
	v_cndmask_b32_e64 v208, v208, 28, s0
	v_cmp_eq_u32_e64 s7, 0, v208
	s_and_b32 s3, s3, s4
	s_delay_alu instid0(VALU_DEP_1) | instid1(SALU_CYCLE_1)
	s_and_b32 s3, s3, s7
	s_delay_alu instid0(SALU_CYCLE_1) | instskip(SKIP_1) | instid1(VALU_DEP_1)
	v_cndmask_b32_e64 v208, v208, 29, s3
	s_and_b32 s5, s5, s6
	v_cmp_eq_u32_e64 s7, 0, v208
	s_delay_alu instid0(VALU_DEP_1) | instskip(NEXT) | instid1(SALU_CYCLE_1)
	s_and_b32 s5, s5, s7
	v_cndmask_b32_e64 v208, v208, 30, s5
	s_delay_alu instid0(VALU_DEP_1)
	v_cmp_eq_u32_e64 s7, 0, v208
	s_waitcnt vmcnt(1)
	v_cmp_eq_f64_e32 vcc_lo, 0, v[204:205]
	v_cmp_eq_f64_e64 s2, 0, v[206:207]
	scratch_load_b128 v[204:207], off, off offset:1000 ; 16-byte Folded Reload
	s_and_b32 s2, vcc_lo, s2
	s_delay_alu instid0(SALU_CYCLE_1) | instskip(NEXT) | instid1(SALU_CYCLE_1)
	s_and_b32 s2, s2, s7
	v_cndmask_b32_e64 v208, v208, 31, s2
	s_delay_alu instid0(VALU_DEP_1)
	v_cmp_eq_u32_e64 s7, 0, v208
	s_waitcnt vmcnt(0)
	v_cmp_eq_f64_e64 s0, 0, v[204:205]
	v_cmp_eq_f64_e64 s1, 0, v[206:207]
	scratch_load_b128 v[204:207], off, off offset:1016 ; 16-byte Folded Reload
	s_and_b32 s0, s0, s1
	s_delay_alu instid0(SALU_CYCLE_1) | instskip(NEXT) | instid1(SALU_CYCLE_1)
	s_and_b32 s0, s0, s7
	v_cndmask_b32_e64 v208, v208, 32, s0
	s_delay_alu instid0(VALU_DEP_1)
	v_cmp_eq_u32_e64 s7, 0, v208
	s_waitcnt vmcnt(0)
	v_cmp_eq_f64_e64 s3, 0, v[204:205]
	v_cmp_eq_f64_e64 s4, 0, v[206:207]
	scratch_load_b128 v[204:207], off, off offset:1032 ; 16-byte Folded Reload
	s_and_b32 s3, s3, s4
	;; [unrolled: 10-line block ×3, first 2 shown]
	s_delay_alu instid0(SALU_CYCLE_1) | instskip(NEXT) | instid1(SALU_CYCLE_1)
	s_and_b32 s5, s5, s7
	v_cndmask_b32_e64 v208, v208, 34, s5
	s_delay_alu instid0(VALU_DEP_1)
	v_cmp_eq_u32_e64 s7, 0, v208
	s_waitcnt vmcnt(0)
	v_cmp_eq_f64_e32 vcc_lo, 0, v[204:205]
	v_cmp_eq_f64_e64 s2, 0, v[206:207]
	scratch_load_b128 v[204:207], off, off offset:1064 ; 16-byte Folded Reload
	s_and_b32 s2, vcc_lo, s2
	s_delay_alu instid0(SALU_CYCLE_1) | instskip(NEXT) | instid1(SALU_CYCLE_1)
	s_and_b32 s2, s2, s7
	v_cndmask_b32_e64 v208, v208, 35, s2
	s_delay_alu instid0(VALU_DEP_1)
	v_cmp_eq_u32_e64 s7, 0, v208
	s_waitcnt vmcnt(0)
	v_cmp_eq_f64_e64 s0, 0, v[204:205]
	v_cmp_eq_f64_e64 s1, 0, v[206:207]
	scratch_load_b128 v[204:207], off, off offset:1080 ; 16-byte Folded Reload
	s_and_b32 s0, s0, s1
	s_delay_alu instid0(SALU_CYCLE_1) | instskip(NEXT) | instid1(SALU_CYCLE_1)
	s_and_b32 s0, s0, s7
	v_cndmask_b32_e64 v208, v208, 36, s0
	s_delay_alu instid0(VALU_DEP_1)
	v_cmp_eq_u32_e64 s7, 0, v208
	s_waitcnt vmcnt(0)
	v_cmp_eq_f64_e64 s3, 0, v[204:205]
	v_cmp_eq_f64_e64 s4, 0, v[206:207]
	scratch_load_b128 v[204:207], off, off offset:1096 ; 16-byte Folded Reload
	s_and_b32 s3, s3, s4
	;; [unrolled: 10-line block ×3, first 2 shown]
	s_delay_alu instid0(SALU_CYCLE_1) | instskip(NEXT) | instid1(SALU_CYCLE_1)
	s_and_b32 s5, s5, s7
	v_cndmask_b32_e64 v208, v208, 38, s5
	s_delay_alu instid0(VALU_DEP_1)
	v_cmp_eq_u32_e64 s7, 0, v208
	s_waitcnt vmcnt(0)
	v_cmp_eq_f64_e32 vcc_lo, 0, v[204:205]
	v_cmp_eq_f64_e64 s2, 0, v[206:207]
	scratch_load_b128 v[204:207], off, off offset:1128 ; 16-byte Folded Reload
	s_and_b32 s2, vcc_lo, s2
	s_delay_alu instid0(SALU_CYCLE_1) | instskip(NEXT) | instid1(SALU_CYCLE_1)
	s_and_b32 s2, s2, s7
	v_cndmask_b32_e64 v208, v208, 39, s2
	s_delay_alu instid0(VALU_DEP_1)
	v_cmp_eq_u32_e64 s7, 0, v208
	s_waitcnt vmcnt(0)
	v_cmp_eq_f64_e64 s0, 0, v[204:205]
	v_cmp_eq_f64_e64 s1, 0, v[206:207]
	scratch_load_b128 v[204:207], off, off offset:1144 ; 16-byte Folded Reload
	s_and_b32 s0, s0, s1
	s_delay_alu instid0(SALU_CYCLE_1) | instskip(NEXT) | instid1(SALU_CYCLE_1)
	s_and_b32 s0, s0, s7
	v_cndmask_b32_e64 v208, v208, 40, s0
	s_delay_alu instid0(VALU_DEP_1)
	v_cmp_eq_u32_e64 s7, 0, v208
	s_waitcnt vmcnt(0)
	v_cmp_eq_f64_e64 s3, 0, v[204:205]
	v_cmp_eq_f64_e64 s4, 0, v[206:207]
	scratch_load_b128 v[204:207], off, off offset:1160 ; 16-byte Folded Reload
	s_and_b32 s3, s3, s4
	;; [unrolled: 10-line block ×3, first 2 shown]
	v_cmp_eq_f64_e64 s6, 0, v[222:223]
	s_and_b32 s5, s5, s7
	s_delay_alu instid0(SALU_CYCLE_1) | instskip(SKIP_1) | instid1(VALU_DEP_2)
	v_cndmask_b32_e64 v208, v208, 42, s5
	v_cmp_eq_f64_e64 s5, 0, v[220:221]
	v_cmp_eq_u32_e64 s7, 0, v208
	s_delay_alu instid0(VALU_DEP_2)
	s_and_b32 s5, s5, s6
	v_cmp_eq_f64_e64 s6, 0, v[238:239]
	s_waitcnt vmcnt(0)
	v_cmp_eq_f64_e32 vcc_lo, 0, v[204:205]
	v_cmp_eq_f64_e64 s2, 0, v[206:207]
	scratch_load_b128 v[204:207], off, off offset:1192 ; 16-byte Folded Reload
	s_and_b32 s2, vcc_lo, s2
	v_cmp_eq_f64_e32 vcc_lo, 0, v[224:225]
	s_and_b32 s2, s2, s7
	s_delay_alu instid0(SALU_CYCLE_1) | instskip(SKIP_1) | instid1(VALU_DEP_2)
	v_cndmask_b32_e64 v208, v208, 43, s2
	v_cmp_eq_f64_e64 s2, 0, v[226:227]
	v_cmp_eq_u32_e64 s7, 0, v208
	s_delay_alu instid0(VALU_DEP_2)
	s_and_b32 s2, vcc_lo, s2
	v_cmp_eq_f64_e32 vcc_lo, 0, v[240:241]
	s_waitcnt vmcnt(0)
	v_cmp_eq_f64_e64 s0, 0, v[204:205]
	v_cmp_eq_f64_e64 s1, 0, v[206:207]
	scratch_load_b128 v[204:207], off, off offset:1208 ; 16-byte Folded Reload
	s_and_b32 s0, s0, s1
	v_cmp_eq_f64_e64 s1, 0, v[230:231]
	s_and_b32 s0, s0, s7
	s_delay_alu instid0(SALU_CYCLE_1) | instskip(SKIP_1) | instid1(VALU_DEP_2)
	v_cndmask_b32_e64 v208, v208, 44, s0
	v_cmp_eq_f64_e64 s0, 0, v[228:229]
	v_cmp_eq_u32_e64 s7, 0, v208
	s_delay_alu instid0(VALU_DEP_2) | instskip(SKIP_4) | instid1(VALU_DEP_1)
	s_and_b32 s0, s0, s1
	v_cmp_eq_f64_e64 s1, 0, v[246:247]
	s_waitcnt vmcnt(0)
	v_cmp_eq_f64_e64 s3, 0, v[204:205]
	v_cmp_eq_f64_e64 s4, 0, v[206:207]
	s_and_b32 s3, s3, s4
	v_cmp_eq_f64_e64 s4, 0, v[234:235]
	s_and_b32 s3, s3, s7
	s_delay_alu instid0(SALU_CYCLE_1) | instskip(SKIP_1) | instid1(VALU_DEP_2)
	v_cndmask_b32_e64 v208, v208, 45, s3
	v_cmp_eq_f64_e64 s3, 0, v[232:233]
	v_cmp_eq_u32_e64 s7, 0, v208
	s_delay_alu instid0(VALU_DEP_1) | instskip(NEXT) | instid1(SALU_CYCLE_1)
	s_and_b32 s5, s5, s7
	v_cndmask_b32_e64 v208, v208, 46, s5
	v_cmp_eq_f64_e64 s5, 0, v[236:237]
	s_delay_alu instid0(VALU_DEP_2) | instskip(NEXT) | instid1(VALU_DEP_1)
	v_cmp_eq_u32_e64 s7, 0, v208
	s_and_b32 s2, s2, s7
	s_delay_alu instid0(SALU_CYCLE_1) | instskip(SKIP_1) | instid1(VALU_DEP_2)
	v_cndmask_b32_e64 v208, v208, 47, s2
	v_cmp_eq_f64_e64 s2, 0, v[242:243]
	v_cmp_eq_u32_e64 s7, 0, v208
	s_delay_alu instid0(VALU_DEP_1) | instskip(NEXT) | instid1(SALU_CYCLE_1)
	s_and_b32 s0, s0, s7
	v_cndmask_b32_e64 v208, v208, 48, s0
	v_cmp_eq_f64_e64 s0, 0, v[244:245]
	s_and_b32 s3, s3, s4
	v_cmp_eq_f64_e64 s4, 0, v[250:251]
	s_delay_alu instid0(VALU_DEP_3) | instskip(NEXT) | instid1(VALU_DEP_1)
	v_cmp_eq_u32_e64 s7, 0, v208
	s_and_b32 s3, s3, s7
	s_delay_alu instid0(SALU_CYCLE_1) | instskip(SKIP_3) | instid1(VALU_DEP_3)
	v_cndmask_b32_e64 v208, v208, 49, s3
	v_cmp_eq_f64_e64 s3, 0, v[248:249]
	s_and_b32 s5, s5, s6
	v_cmp_eq_f64_e64 s6, 0, v[254:255]
	v_cmp_eq_u32_e64 s7, 0, v208
	s_delay_alu instid0(VALU_DEP_1) | instskip(NEXT) | instid1(SALU_CYCLE_1)
	s_and_b32 s5, s5, s7
	v_cndmask_b32_e64 v208, v208, 50, s5
	v_cmp_eq_f64_e64 s5, 0, v[252:253]
	s_and_b32 s2, vcc_lo, s2
	v_cmp_eq_f64_e32 vcc_lo, 0, v[216:217]
	s_delay_alu instid0(VALU_DEP_3) | instskip(NEXT) | instid1(VALU_DEP_1)
	v_cmp_eq_u32_e64 s7, 0, v208
	s_and_b32 s2, s2, s7
	s_delay_alu instid0(SALU_CYCLE_1) | instskip(SKIP_2) | instid1(VALU_DEP_2)
	v_cndmask_b32_e64 v208, v208, 51, s2
	v_cmp_eq_f64_e64 s2, 0, v[218:219]
	s_and_b32 s0, s0, s1
	v_cmp_eq_u32_e64 s7, 0, v208
	s_delay_alu instid0(VALU_DEP_1) | instskip(NEXT) | instid1(SALU_CYCLE_1)
	s_and_b32 s0, s0, s7
	v_cndmask_b32_e64 v208, v208, 52, s0
	s_and_b32 s1, s3, s4
	s_delay_alu instid0(VALU_DEP_1) | instskip(NEXT) | instid1(VALU_DEP_1)
	v_cmp_eq_u32_e64 s0, 0, v208
	s_and_b32 s0, s1, s0
	s_delay_alu instid0(SALU_CYCLE_1) | instskip(SKIP_1) | instid1(VALU_DEP_1)
	v_cndmask_b32_e64 v208, v208, 53, s0
	s_and_b32 s1, s5, s6
	v_cmp_eq_u32_e64 s0, 0, v208
	s_delay_alu instid0(VALU_DEP_1) | instskip(NEXT) | instid1(SALU_CYCLE_1)
	s_and_b32 s0, s1, s0
	v_cndmask_b32_e64 v208, v208, 54, s0
	s_and_b32 s1, vcc_lo, s2
	v_cmp_eq_u32_e32 vcc_lo, 0, v209
	s_delay_alu instid0(VALU_DEP_2) | instskip(NEXT) | instid1(VALU_DEP_1)
	v_cmp_eq_u32_e64 s0, 0, v208
	s_and_b32 s0, s1, s0
	s_delay_alu instid0(SALU_CYCLE_1) | instskip(NEXT) | instid1(VALU_DEP_1)
	v_cndmask_b32_e64 v214, v208, 55, s0
	v_cmp_ne_u32_e64 s0, 0, v214
	s_delay_alu instid0(VALU_DEP_1) | instskip(NEXT) | instid1(SALU_CYCLE_1)
	s_and_b32 s0, vcc_lo, s0
	s_and_b32 exec_lo, exec_lo, s0
	s_cbranch_execz .LBB109_499
; %bb.498:
	v_add_nc_u32_e32 v208, s13, v214
	global_store_b32 v[212:213], v208, off
.LBB109_499:
	s_or_b32 exec_lo, exec_lo, s12
	s_clause 0x1
	scratch_load_b64 v[207:208], off, off offset:480
	scratch_load_b128 v[209:212], off, off offset:48
	s_waitcnt vmcnt(0)
	global_store_b128 v[207:208], v[209:212], off
	s_clause 0x1
	scratch_load_b64 v[207:208], off, off offset:488
	scratch_load_b128 v[209:212], off, off offset:32
	s_waitcnt vmcnt(0)
	global_store_b128 v[207:208], v[209:212], off
	;; [unrolled: 5-line block ×3, first 2 shown]
	s_clause 0x1
	scratch_load_b64 v[207:208], off, off offset:464
	scratch_load_b128 v[209:212], off, off
	s_waitcnt vmcnt(0)
	global_store_b128 v[207:208], v[209:212], off
	scratch_load_b64 v[207:208], off, off offset:456 ; 8-byte Folded Reload
	s_waitcnt vmcnt(0)
	global_store_b128 v[207:208], v[200:203], off
	scratch_load_b64 v[200:201], off, off offset:448 ; 8-byte Folded Reload
	;; [unrolled: 3-line block ×51, first 2 shown]
	s_waitcnt vmcnt(0)
	global_store_b128 v[4:5], v[0:3], off
.LBB109_500:
	s_nop 0
	s_sendmsg sendmsg(MSG_DEALLOC_VGPRS)
	s_endpgm
	.section	.rodata,"a",@progbits
	.p2align	6, 0x0
	.amdhsa_kernel _ZN9rocsolver6v33100L23getf2_npvt_small_kernelILi55E19rocblas_complex_numIdEiiPKPS3_EEvT1_T3_lS7_lPT2_S7_S7_
		.amdhsa_group_segment_fixed_size 0
		.amdhsa_private_segment_fixed_size 1236
		.amdhsa_kernarg_size 312
		.amdhsa_user_sgpr_count 14
		.amdhsa_user_sgpr_dispatch_ptr 0
		.amdhsa_user_sgpr_queue_ptr 0
		.amdhsa_user_sgpr_kernarg_segment_ptr 1
		.amdhsa_user_sgpr_dispatch_id 0
		.amdhsa_user_sgpr_private_segment_size 0
		.amdhsa_wavefront_size32 1
		.amdhsa_uses_dynamic_stack 0
		.amdhsa_enable_private_segment 1
		.amdhsa_system_sgpr_workgroup_id_x 1
		.amdhsa_system_sgpr_workgroup_id_y 1
		.amdhsa_system_sgpr_workgroup_id_z 0
		.amdhsa_system_sgpr_workgroup_info 0
		.amdhsa_system_vgpr_workitem_id 1
		.amdhsa_next_free_vgpr 256
		.amdhsa_next_free_sgpr 18
		.amdhsa_reserve_vcc 1
		.amdhsa_float_round_mode_32 0
		.amdhsa_float_round_mode_16_64 0
		.amdhsa_float_denorm_mode_32 3
		.amdhsa_float_denorm_mode_16_64 3
		.amdhsa_dx10_clamp 1
		.amdhsa_ieee_mode 1
		.amdhsa_fp16_overflow 0
		.amdhsa_workgroup_processor_mode 1
		.amdhsa_memory_ordered 1
		.amdhsa_forward_progress 0
		.amdhsa_shared_vgpr_count 0
		.amdhsa_exception_fp_ieee_invalid_op 0
		.amdhsa_exception_fp_denorm_src 0
		.amdhsa_exception_fp_ieee_div_zero 0
		.amdhsa_exception_fp_ieee_overflow 0
		.amdhsa_exception_fp_ieee_underflow 0
		.amdhsa_exception_fp_ieee_inexact 0
		.amdhsa_exception_int_div_zero 0
	.end_amdhsa_kernel
	.section	.text._ZN9rocsolver6v33100L23getf2_npvt_small_kernelILi55E19rocblas_complex_numIdEiiPKPS3_EEvT1_T3_lS7_lPT2_S7_S7_,"axG",@progbits,_ZN9rocsolver6v33100L23getf2_npvt_small_kernelILi55E19rocblas_complex_numIdEiiPKPS3_EEvT1_T3_lS7_lPT2_S7_S7_,comdat
.Lfunc_end109:
	.size	_ZN9rocsolver6v33100L23getf2_npvt_small_kernelILi55E19rocblas_complex_numIdEiiPKPS3_EEvT1_T3_lS7_lPT2_S7_S7_, .Lfunc_end109-_ZN9rocsolver6v33100L23getf2_npvt_small_kernelILi55E19rocblas_complex_numIdEiiPKPS3_EEvT1_T3_lS7_lPT2_S7_S7_
                                        ; -- End function
	.section	.AMDGPU.csdata,"",@progbits
; Kernel info:
; codeLenInByte = 156504
; NumSgprs: 20
; NumVgprs: 256
; ScratchSize: 1236
; MemoryBound: 1
; FloatMode: 240
; IeeeMode: 1
; LDSByteSize: 0 bytes/workgroup (compile time only)
; SGPRBlocks: 2
; VGPRBlocks: 31
; NumSGPRsForWavesPerEU: 20
; NumVGPRsForWavesPerEU: 256
; Occupancy: 5
; WaveLimiterHint : 1
; COMPUTE_PGM_RSRC2:SCRATCH_EN: 1
; COMPUTE_PGM_RSRC2:USER_SGPR: 14
; COMPUTE_PGM_RSRC2:TRAP_HANDLER: 0
; COMPUTE_PGM_RSRC2:TGID_X_EN: 1
; COMPUTE_PGM_RSRC2:TGID_Y_EN: 1
; COMPUTE_PGM_RSRC2:TGID_Z_EN: 0
; COMPUTE_PGM_RSRC2:TIDIG_COMP_CNT: 1
	.section	.text._ZN9rocsolver6v33100L18getf2_small_kernelILi56E19rocblas_complex_numIdEiiPKPS3_EEvT1_T3_lS7_lPS7_llPT2_S7_S7_S9_l,"axG",@progbits,_ZN9rocsolver6v33100L18getf2_small_kernelILi56E19rocblas_complex_numIdEiiPKPS3_EEvT1_T3_lS7_lPS7_llPT2_S7_S7_S9_l,comdat
	.globl	_ZN9rocsolver6v33100L18getf2_small_kernelILi56E19rocblas_complex_numIdEiiPKPS3_EEvT1_T3_lS7_lPS7_llPT2_S7_S7_S9_l ; -- Begin function _ZN9rocsolver6v33100L18getf2_small_kernelILi56E19rocblas_complex_numIdEiiPKPS3_EEvT1_T3_lS7_lPS7_llPT2_S7_S7_S9_l
	.p2align	8
	.type	_ZN9rocsolver6v33100L18getf2_small_kernelILi56E19rocblas_complex_numIdEiiPKPS3_EEvT1_T3_lS7_lPS7_llPT2_S7_S7_S9_l,@function
_ZN9rocsolver6v33100L18getf2_small_kernelILi56E19rocblas_complex_numIdEiiPKPS3_EEvT1_T3_lS7_lPS7_llPT2_S7_S7_S9_l: ; @_ZN9rocsolver6v33100L18getf2_small_kernelILi56E19rocblas_complex_numIdEiiPKPS3_EEvT1_T3_lS7_lPS7_llPT2_S7_S7_S9_l
; %bb.0:
	s_clause 0x1
	s_load_b32 s2, s[0:1], 0x6c
	s_load_b64 s[12:13], s[0:1], 0x48
	v_bfe_u32 v224, v0, 10, 10
	s_waitcnt lgkmcnt(0)
	s_lshr_b32 s2, s2, 16
	s_delay_alu instid0(VALU_DEP_1) | instid1(SALU_CYCLE_1)
	v_mad_u64_u32 v[208:209], null, s15, s2, v[224:225]
	s_mov_b32 s2, exec_lo
	s_delay_alu instid0(VALU_DEP_1)
	v_cmpx_gt_i32_e64 s12, v208
	s_cbranch_execnz .LBB110_1
; %bb.1181:
	s_getpc_b64 s[16:17]
.Lpost_getpc18:
	s_add_u32 s16, s16, (.LBB110_1180-.Lpost_getpc18)&4294967295
	s_addc_u32 s17, s17, (.LBB110_1180-.Lpost_getpc18)>>32
	s_setpc_b64 s[16:17]
.LBB110_1:
	s_clause 0x1
	s_load_b128 s[4:7], s[0:1], 0x8
	s_load_b128 s[8:11], s[0:1], 0x50
	v_ashrrev_i32_e32 v209, 31, v208
	v_mov_b32_e32 v3, 0
	v_mov_b32_e32 v4, 0
	s_delay_alu instid0(VALU_DEP_3)
	v_lshlrev_b64 v[1:2], 3, v[208:209]
	scratch_store_b64 off, v[3:4], off      ; 8-byte Folded Spill
	s_waitcnt lgkmcnt(0)
	v_add_co_u32 v1, vcc_lo, s4, v1
	v_add_co_ci_u32_e32 v2, vcc_lo, s5, v2, vcc_lo
	s_cmp_eq_u64 s[8:9], 0
	s_cselect_b32 s4, -1, 0
	global_load_b64 v[1:2], v[1:2], off
	s_and_b32 vcc_lo, exec_lo, s4
	s_cbranch_vccnz .LBB110_3
; %bb.2:
	v_mul_lo_u32 v5, v209, s10
	v_mul_lo_u32 v6, v208, s11
	v_mad_u64_u32 v[3:4], null, v208, s10, 0
	s_delay_alu instid0(VALU_DEP_1) | instskip(NEXT) | instid1(VALU_DEP_1)
	v_add3_u32 v4, v4, v6, v5
	v_lshlrev_b64 v[3:4], 2, v[3:4]
	s_delay_alu instid0(VALU_DEP_1) | instskip(NEXT) | instid1(VALU_DEP_2)
	v_add_co_u32 v3, vcc_lo, s8, v3
	v_add_co_ci_u32_e32 v4, vcc_lo, s9, v4, vcc_lo
	scratch_store_b64 off, v[3:4], off      ; 8-byte Folded Spill
.LBB110_3:
	s_clause 0x1
	s_load_b32 s8, s[0:1], 0x18
	s_load_b32 s5, s[0:1], 0x0
	v_and_b32_e32 v239, 0x3ff, v0
	s_lshl_b64 s[2:3], s[6:7], 4
	scratch_store_b64 off, v[208:209], off offset:24 ; 8-byte Folded Spill
	s_waitcnt vmcnt(0)
	v_add_co_u32 v235, vcc_lo, v1, s2
	v_add_co_ci_u32_e32 v236, vcc_lo, s3, v2, vcc_lo
	v_lshlrev_b32_e32 v214, 4, v239
	s_waitcnt lgkmcnt(0)
	v_add3_u32 v3, s8, s8, v239
	s_ashr_i32 s9, s8, 31
	s_max_i32 s2, s5, 56
	s_lshl_b64 s[10:11], s[8:9], 4
	s_cmp_lt_i32 s5, 2
	v_add_nc_u32_e32 v5, s8, v3
	v_ashrrev_i32_e32 v4, 31, v3
	s_delay_alu instid0(VALU_DEP_2) | instskip(NEXT) | instid1(VALU_DEP_2)
	v_add_nc_u32_e32 v0, s8, v5
	v_lshlrev_b64 v[3:4], 4, v[3:4]
	v_ashrrev_i32_e32 v6, 31, v5
	s_delay_alu instid0(VALU_DEP_3) | instskip(SKIP_1) | instid1(VALU_DEP_4)
	v_add_nc_u32_e32 v2, s8, v0
	v_ashrrev_i32_e32 v1, 31, v0
	v_add_co_u32 v7, vcc_lo, v235, v3
	v_add_co_ci_u32_e32 v8, vcc_lo, v236, v4, vcc_lo
	s_delay_alu instid0(VALU_DEP_4) | instskip(SKIP_3) | instid1(VALU_DEP_4)
	v_add_nc_u32_e32 v4, s8, v2
	v_lshlrev_b64 v[5:6], 4, v[5:6]
	v_ashrrev_i32_e32 v3, 31, v2
	v_lshlrev_b64 v[0:1], 4, v[0:1]
	v_add_nc_u32_e32 v11, s8, v4
	s_delay_alu instid0(VALU_DEP_4) | instskip(SKIP_1) | instid1(VALU_DEP_3)
	v_add_co_u32 v9, vcc_lo, v235, v5
	v_ashrrev_i32_e32 v5, 31, v4
	v_add_nc_u32_e32 v13, s8, v11
	v_lshlrev_b64 v[2:3], 4, v[2:3]
	v_ashrrev_i32_e32 v12, 31, v11
	v_add_co_ci_u32_e32 v10, vcc_lo, v236, v6, vcc_lo
	s_delay_alu instid0(VALU_DEP_4) | instskip(SKIP_3) | instid1(VALU_DEP_4)
	v_add_nc_u32_e32 v15, s8, v13
	v_add_co_u32 v0, vcc_lo, v235, v0
	v_lshlrev_b64 v[4:5], 4, v[4:5]
	v_ashrrev_i32_e32 v14, 31, v13
	v_add_nc_u32_e32 v17, s8, v15
	v_add_co_ci_u32_e32 v1, vcc_lo, v236, v1, vcc_lo
	v_add_co_u32 v2, vcc_lo, v235, v2
	s_delay_alu instid0(VALU_DEP_3) | instskip(SKIP_3) | instid1(VALU_DEP_4)
	v_add_nc_u32_e32 v19, s8, v17
	v_lshlrev_b64 v[11:12], 4, v[11:12]
	v_ashrrev_i32_e32 v16, 31, v15
	v_add_co_ci_u32_e32 v3, vcc_lo, v236, v3, vcc_lo
	v_add_nc_u32_e32 v21, s8, v19
	v_add_co_u32 v4, vcc_lo, v235, v4
	v_lshlrev_b64 v[13:14], 4, v[13:14]
	v_ashrrev_i32_e32 v18, 31, v17
	s_delay_alu instid0(VALU_DEP_4) | instskip(SKIP_2) | instid1(VALU_DEP_3)
	v_add_nc_u32_e32 v23, s8, v21
	v_add_co_ci_u32_e32 v5, vcc_lo, v236, v5, vcc_lo
	v_add_co_u32 v11, vcc_lo, v235, v11
	v_add_nc_u32_e32 v25, s8, v23
	v_lshlrev_b64 v[15:16], 4, v[15:16]
	v_ashrrev_i32_e32 v20, 31, v19
	v_add_co_ci_u32_e32 v12, vcc_lo, v236, v12, vcc_lo
	s_delay_alu instid0(VALU_DEP_4) | instskip(SKIP_3) | instid1(VALU_DEP_4)
	v_add_nc_u32_e32 v27, s8, v25
	v_add_co_u32 v13, vcc_lo, v235, v13
	v_lshlrev_b64 v[17:18], 4, v[17:18]
	v_ashrrev_i32_e32 v22, 31, v21
	v_add_nc_u32_e32 v29, s8, v27
	v_add_co_ci_u32_e32 v14, vcc_lo, v236, v14, vcc_lo
	v_add_co_u32 v15, vcc_lo, v235, v15
	s_delay_alu instid0(VALU_DEP_3) | instskip(SKIP_3) | instid1(VALU_DEP_4)
	v_add_nc_u32_e32 v31, s8, v29
	v_lshlrev_b64 v[19:20], 4, v[19:20]
	v_ashrrev_i32_e32 v24, 31, v23
	v_add_co_ci_u32_e32 v16, vcc_lo, v236, v16, vcc_lo
	v_add_nc_u32_e32 v33, s8, v31
	v_add_co_u32 v17, vcc_lo, v235, v17
	v_lshlrev_b64 v[21:22], 4, v[21:22]
	v_ashrrev_i32_e32 v26, 31, v25
	s_delay_alu instid0(VALU_DEP_4) | instskip(SKIP_2) | instid1(VALU_DEP_3)
	v_add_nc_u32_e32 v35, s8, v33
	v_add_co_ci_u32_e32 v18, vcc_lo, v236, v18, vcc_lo
	v_add_co_u32 v19, vcc_lo, v235, v19
	;; [unrolled: 25-line block ×3, first 2 shown]
	v_add_nc_u32_e32 v49, s8, v47
	v_lshlrev_b64 v[31:32], 4, v[31:32]
	v_ashrrev_i32_e32 v36, 31, v35
	v_add_co_ci_u32_e32 v28, vcc_lo, v236, v28, vcc_lo
	s_delay_alu instid0(VALU_DEP_4) | instskip(SKIP_3) | instid1(VALU_DEP_4)
	v_add_nc_u32_e32 v51, s8, v49
	v_add_co_u32 v29, vcc_lo, v235, v29
	v_lshlrev_b64 v[33:34], 4, v[33:34]
	v_ashrrev_i32_e32 v38, 31, v37
	v_add_nc_u32_e32 v53, s8, v51
	v_add_co_ci_u32_e32 v30, vcc_lo, v236, v30, vcc_lo
	v_add_co_u32 v31, vcc_lo, v235, v31
	v_lshlrev_b64 v[35:36], 4, v[35:36]
	s_delay_alu instid0(VALU_DEP_4)
	v_add_nc_u32_e32 v55, s8, v53
	v_ashrrev_i32_e32 v40, 31, v39
	v_add_co_ci_u32_e32 v32, vcc_lo, v236, v32, vcc_lo
	v_add_co_u32 v33, vcc_lo, v235, v33
	v_lshlrev_b64 v[37:38], 4, v[37:38]
	v_ashrrev_i32_e32 v42, 31, v41
	v_add_co_ci_u32_e32 v34, vcc_lo, v236, v34, vcc_lo
	v_add_nc_u32_e32 v57, s8, v55
	v_add_co_u32 v35, vcc_lo, v235, v35
	v_lshlrev_b64 v[39:40], 4, v[39:40]
	v_ashrrev_i32_e32 v44, 31, v43
	v_add_co_ci_u32_e32 v36, vcc_lo, v236, v36, vcc_lo
	v_add_co_u32 v37, vcc_lo, v235, v37
	v_lshlrev_b64 v[41:42], 4, v[41:42]
	v_ashrrev_i32_e32 v46, 31, v45
	v_add_nc_u32_e32 v59, s8, v57
	v_add_co_ci_u32_e32 v38, vcc_lo, v236, v38, vcc_lo
	v_add_co_u32 v39, vcc_lo, v235, v39
	v_lshlrev_b64 v[43:44], 4, v[43:44]
	v_ashrrev_i32_e32 v48, 31, v47
	v_add_co_ci_u32_e32 v40, vcc_lo, v236, v40, vcc_lo
	v_add_co_u32 v41, vcc_lo, v235, v41
	v_lshlrev_b64 v[45:46], 4, v[45:46]
	v_add_nc_u32_e32 v61, s8, v59
	v_ashrrev_i32_e32 v50, 31, v49
	v_add_co_ci_u32_e32 v42, vcc_lo, v236, v42, vcc_lo
	v_add_co_u32 v43, vcc_lo, v235, v43
	v_lshlrev_b64 v[47:48], 4, v[47:48]
	v_ashrrev_i32_e32 v52, 31, v51
	v_add_co_ci_u32_e32 v44, vcc_lo, v236, v44, vcc_lo
	v_add_nc_u32_e32 v63, s8, v61
	v_add_co_u32 v45, vcc_lo, v235, v45
	v_lshlrev_b64 v[49:50], 4, v[49:50]
	v_ashrrev_i32_e32 v54, 31, v53
	v_add_co_ci_u32_e32 v46, vcc_lo, v236, v46, vcc_lo
	v_add_co_u32 v47, vcc_lo, v235, v47
	v_lshlrev_b64 v[51:52], 4, v[51:52]
	v_ashrrev_i32_e32 v56, 31, v55
	v_add_nc_u32_e32 v65, s8, v63
	v_add_co_ci_u32_e32 v48, vcc_lo, v236, v48, vcc_lo
	v_add_co_u32 v49, vcc_lo, v235, v49
	v_lshlrev_b64 v[53:54], 4, v[53:54]
	v_ashrrev_i32_e32 v58, 31, v57
	v_add_co_ci_u32_e32 v50, vcc_lo, v236, v50, vcc_lo
	v_add_co_u32 v51, vcc_lo, v235, v51
	v_lshlrev_b64 v[55:56], 4, v[55:56]
	;; [unrolled: 23-line block ×3, first 2 shown]
	v_add_nc_u32_e32 v73, s8, v71
	v_ashrrev_i32_e32 v70, 31, v69
	v_add_co_ci_u32_e32 v62, vcc_lo, v236, v62, vcc_lo
	v_add_co_u32 v63, vcc_lo, v235, v63
	v_lshlrev_b64 v[67:68], 4, v[67:68]
	v_ashrrev_i32_e32 v72, 31, v71
	v_add_co_ci_u32_e32 v64, vcc_lo, v236, v64, vcc_lo
	v_add_nc_u32_e32 v75, s8, v73
	v_add_co_u32 v65, vcc_lo, v235, v65
	v_lshlrev_b64 v[69:70], 4, v[69:70]
	v_ashrrev_i32_e32 v74, 31, v73
	v_add_co_ci_u32_e32 v66, vcc_lo, v236, v66, vcc_lo
	v_add_co_u32 v67, vcc_lo, v235, v67
	v_lshlrev_b64 v[71:72], 4, v[71:72]
	v_add_nc_u32_e32 v77, s8, v75
	v_add_co_ci_u32_e32 v68, vcc_lo, v236, v68, vcc_lo
	v_add_co_u32 v69, vcc_lo, v235, v69
	v_lshlrev_b64 v[73:74], 4, v[73:74]
	v_ashrrev_i32_e32 v76, 31, v75
	v_add_co_ci_u32_e32 v70, vcc_lo, v236, v70, vcc_lo
	v_add_co_u32 v71, vcc_lo, v235, v71
	v_ashrrev_i32_e32 v78, 31, v77
	v_add_nc_u32_e32 v79, s8, v77
	v_add_co_ci_u32_e32 v72, vcc_lo, v236, v72, vcc_lo
	v_lshlrev_b64 v[75:76], 4, v[75:76]
	v_add_co_u32 v225, vcc_lo, v235, v73
	v_add_co_ci_u32_e32 v226, vcc_lo, v236, v74, vcc_lo
	v_lshlrev_b64 v[73:74], 4, v[77:78]
	v_ashrrev_i32_e32 v80, 31, v79
	v_add_nc_u32_e32 v77, s8, v79
	v_add_co_u32 v232, vcc_lo, v235, v75
	v_add_co_ci_u32_e32 v233, vcc_lo, v236, v76, vcc_lo
	s_delay_alu instid0(VALU_DEP_4) | instskip(NEXT) | instid1(VALU_DEP_4)
	v_lshlrev_b64 v[75:76], 4, v[79:80]
	v_ashrrev_i32_e32 v78, 31, v77
	v_add_nc_u32_e32 v79, s8, v77
	v_add_co_u32 v237, vcc_lo, v235, v73
	v_add_co_ci_u32_e32 v238, vcc_lo, v236, v74, vcc_lo
	s_delay_alu instid0(VALU_DEP_4) | instskip(NEXT) | instid1(VALU_DEP_4)
	;; [unrolled: 6-line block ×12, first 2 shown]
	v_lshlrev_b64 v[73:74], 4, v[77:78]
	v_add_nc_u32_e32 v77, s8, v79
	v_ashrrev_i32_e32 v80, 31, v79
	v_add_co_u32 v220, vcc_lo, v235, v75
	v_add_co_ci_u32_e32 v221, vcc_lo, v236, v76, vcc_lo
	s_delay_alu instid0(VALU_DEP_4) | instskip(NEXT) | instid1(VALU_DEP_4)
	v_ashrrev_i32_e32 v78, 31, v77
	v_lshlrev_b64 v[75:76], 4, v[79:80]
	v_add_co_u32 v222, vcc_lo, v235, v73
	v_add_co_ci_u32_e32 v223, vcc_lo, v236, v74, vcc_lo
	s_delay_alu instid0(VALU_DEP_4) | instskip(SKIP_3) | instid1(VALU_DEP_4)
	v_lshlrev_b64 v[73:74], 4, v[77:78]
	v_add_nc_u32_e32 v77, s8, v77
	v_add_co_u32 v216, vcc_lo, v235, v75
	v_add_co_ci_u32_e32 v217, vcc_lo, v236, v76, vcc_lo
	v_add_co_u32 v218, vcc_lo, v235, v73
	s_delay_alu instid0(VALU_DEP_4) | instskip(SKIP_3) | instid1(VALU_DEP_4)
	v_ashrrev_i32_e32 v78, 31, v77
	v_add_co_ci_u32_e32 v219, vcc_lo, v236, v74, vcc_lo
	v_add_co_u32 v75, vcc_lo, v235, v214
	v_add_co_ci_u32_e32 v76, vcc_lo, 0, v236, vcc_lo
	v_lshlrev_b64 v[73:74], 4, v[77:78]
	s_delay_alu instid0(VALU_DEP_3) | instskip(NEXT) | instid1(VALU_DEP_3)
	v_add_co_u32 v77, vcc_lo, v75, s10
	v_add_co_ci_u32_e32 v78, vcc_lo, s11, v76, vcc_lo
	s_delay_alu instid0(VALU_DEP_3) | instskip(NEXT) | instid1(VALU_DEP_4)
	v_add_co_u32 v212, vcc_lo, v235, v73
	v_add_co_ci_u32_e32 v213, vcc_lo, v236, v74, vcc_lo
	s_clause 0x1
	global_load_b128 v[208:211], v[75:76], off
	global_load_b128 v[73:76], v[77:78], off
	s_waitcnt vmcnt(0)
	scratch_store_b128 off, v[73:76], off offset:32 ; 16-byte Folded Spill
	global_load_b128 v[73:76], v[7:8], off
	s_waitcnt vmcnt(0)
	scratch_store_b128 off, v[73:76], off offset:48 ; 16-byte Folded Spill
	s_clause 0x1f
	global_load_b128 v[204:207], v[9:10], off
	global_load_b128 v[200:203], v[0:1], off
	;; [unrolled: 1-line block ×32, first 2 shown]
	s_clause 0x14
	global_load_b128 v[80:83], v[67:68], off
	global_load_b128 v[76:79], v[69:70], off
	;; [unrolled: 1-line block ×21, first 2 shown]
	v_mov_b32_e32 v232, 0
	v_mul_lo_u32 v212, s2, v224
	scratch_store_b128 off, v[208:211], off offset:8 ; 16-byte Folded Spill
	v_lshl_add_u32 v234, v212, 4, 0
	v_lshlrev_b32_e32 v238, 4, v212
	s_delay_alu instid0(VALU_DEP_2)
	v_add_nc_u32_e32 v213, v234, v214
	ds_store_2addr_b64 v213, v[208:209], v[210:211] offset1:1
	s_waitcnt vmcnt(0) lgkmcnt(0)
	s_waitcnt_vscnt null, 0x0
	s_barrier
	buffer_gl0_inv
	ds_load_2addr_b64 v[224:227], v234 offset1:1
	s_cbranch_scc1 .LBB110_6
; %bb.4:
	v_add3_u32 v233, v238, 0, 16
	v_mov_b32_e32 v232, 0
	s_mov_b32 s6, 1
	s_set_inst_prefetch_distance 0x1
	.p2align	6
.LBB110_5:                              ; =>This Inner Loop Header: Depth=1
	ds_load_2addr_b64 v[240:243], v233 offset1:1
	s_waitcnt lgkmcnt(1)
	v_cmp_gt_f64_e32 vcc_lo, 0, v[224:225]
	v_xor_b32_e32 v212, 0x80000000, v225
	v_cmp_gt_f64_e64 s2, 0, v[226:227]
	v_xor_b32_e32 v214, 0x80000000, v227
	v_add_nc_u32_e32 v233, 16, v233
	s_waitcnt lgkmcnt(0)
	v_cmp_gt_f64_e64 s3, 0, v[240:241]
	v_mov_b32_e32 v216, v240
	v_dual_mov_b32 v218, v242 :: v_dual_cndmask_b32 v213, v225, v212
	v_xor_b32_e32 v212, 0x80000000, v241
	v_cndmask_b32_e64 v215, v227, v214, s2
	v_xor_b32_e32 v214, 0x80000000, v243
	s_delay_alu instid0(VALU_DEP_3) | instskip(SKIP_2) | instid1(VALU_DEP_2)
	v_cndmask_b32_e64 v217, v241, v212, s3
	v_cmp_gt_f64_e64 s3, 0, v[242:243]
	v_cndmask_b32_e32 v212, v224, v224, vcc_lo
	v_cndmask_b32_e64 v219, v243, v214, s3
	v_cndmask_b32_e64 v214, v226, v226, s2
	s_delay_alu instid0(VALU_DEP_2) | instskip(NEXT) | instid1(VALU_DEP_2)
	v_add_f64 v[216:217], v[216:217], v[218:219]
	v_add_f64 v[212:213], v[212:213], v[214:215]
	s_delay_alu instid0(VALU_DEP_1)
	v_cmp_lt_f64_e32 vcc_lo, v[212:213], v[216:217]
	v_cndmask_b32_e32 v227, v227, v243, vcc_lo
	v_dual_cndmask_b32 v225, v225, v241 :: v_dual_cndmask_b32 v224, v224, v240
	v_cndmask_b32_e32 v226, v226, v242, vcc_lo
	v_cndmask_b32_e64 v232, v232, s6, vcc_lo
	s_add_i32 s6, s6, 1
	s_delay_alu instid0(SALU_CYCLE_1)
	s_cmp_eq_u32 s5, s6
	s_cbranch_scc0 .LBB110_5
.LBB110_6:
	s_set_inst_prefetch_distance 0x2
	scratch_load_b64 v[4:5], off, off offset:24 ; 8-byte Folded Reload
	s_waitcnt lgkmcnt(0)
	v_cmp_neq_f64_e32 vcc_lo, 0, v[224:225]
	v_cmp_neq_f64_e64 s2, 0, v[226:227]
	v_dual_mov_b32 v248, v207 :: v_dual_mov_b32 v247, v206
	v_dual_mov_b32 v246, v205 :: v_dual_mov_b32 v245, v204
	;; [unrolled: 1-line block ×4, first 2 shown]
	v_mov_b32_e32 v237, 1
	v_mov_b32_e32 v241, 1
	s_or_b32 s2, vcc_lo, s2
	s_mov_b32 s3, exec_lo
	v_dual_mov_b32 v203, v9 :: v_dual_mov_b32 v202, v8
	v_dual_mov_b32 v201, v7 :: v_dual_mov_b32 v200, v6
	s_clause 0x1
	scratch_load_b128 v[6:9], off, off offset:48
	scratch_load_b128 v[208:211], off, off offset:32
	s_and_b32 s2, s3, s2
	s_delay_alu instid0(SALU_CYCLE_1)
	s_mov_b32 exec_lo, s2
	s_cbranch_execz .LBB110_12
; %bb.7:
	v_cmp_gt_f64_e32 vcc_lo, 0, v[224:225]
	v_cmp_gt_f64_e64 s2, 0, v[226:227]
	v_xor_b32_e32 v212, 0x80000000, v225
	v_xor_b32_e32 v214, 0x80000000, v227
                                        ; implicit-def: $sgpr6
                                        ; implicit-def: $sgpr7
	s_delay_alu instid0(VALU_DEP_2) | instskip(NEXT) | instid1(VALU_DEP_2)
	v_cndmask_b32_e32 v213, v225, v212, vcc_lo
	v_cndmask_b32_e64 v215, v227, v214, s2
	v_cndmask_b32_e32 v212, v224, v224, vcc_lo
	v_cndmask_b32_e64 v214, v226, v226, s2
	s_mov_b32 s2, exec_lo
	s_delay_alu instid0(VALU_DEP_1)
	v_cmpx_ngt_f64_e32 v[212:213], v[214:215]
	s_xor_b32 s2, exec_lo, s2
	s_cbranch_execz .LBB110_9
; %bb.8:
	v_div_scale_f64 v[212:213], null, v[226:227], v[226:227], v[224:225]
	v_div_scale_f64 v[218:219], vcc_lo, v[224:225], v[226:227], v[224:225]
	s_mov_b32 s7, 2
	s_mov_b32 s6, 0
	s_delay_alu instid0(VALU_DEP_2) | instskip(SKIP_2) | instid1(VALU_DEP_1)
	v_rcp_f64_e32 v[214:215], v[212:213]
	s_waitcnt_depctr 0xfff
	v_fma_f64 v[216:217], -v[212:213], v[214:215], 1.0
	v_fma_f64 v[214:215], v[214:215], v[216:217], v[214:215]
	s_delay_alu instid0(VALU_DEP_1) | instskip(NEXT) | instid1(VALU_DEP_1)
	v_fma_f64 v[216:217], -v[212:213], v[214:215], 1.0
	v_fma_f64 v[214:215], v[214:215], v[216:217], v[214:215]
	s_delay_alu instid0(VALU_DEP_1) | instskip(NEXT) | instid1(VALU_DEP_1)
	v_mul_f64 v[216:217], v[218:219], v[214:215]
	v_fma_f64 v[212:213], -v[212:213], v[216:217], v[218:219]
	s_delay_alu instid0(VALU_DEP_1) | instskip(NEXT) | instid1(VALU_DEP_1)
	v_div_fmas_f64 v[212:213], v[212:213], v[214:215], v[216:217]
	v_div_fixup_f64 v[212:213], v[212:213], v[226:227], v[224:225]
	s_delay_alu instid0(VALU_DEP_1) | instskip(NEXT) | instid1(VALU_DEP_1)
	v_fma_f64 v[214:215], v[224:225], v[212:213], v[226:227]
	v_div_scale_f64 v[216:217], null, v[214:215], v[214:215], 1.0
	s_delay_alu instid0(VALU_DEP_1) | instskip(SKIP_2) | instid1(VALU_DEP_1)
	v_rcp_f64_e32 v[218:219], v[216:217]
	s_waitcnt_depctr 0xfff
	v_fma_f64 v[220:221], -v[216:217], v[218:219], 1.0
	v_fma_f64 v[218:219], v[218:219], v[220:221], v[218:219]
	s_delay_alu instid0(VALU_DEP_1) | instskip(NEXT) | instid1(VALU_DEP_1)
	v_fma_f64 v[220:221], -v[216:217], v[218:219], 1.0
	v_fma_f64 v[218:219], v[218:219], v[220:221], v[218:219]
	v_div_scale_f64 v[220:221], vcc_lo, 1.0, v[214:215], 1.0
	s_delay_alu instid0(VALU_DEP_1) | instskip(NEXT) | instid1(VALU_DEP_1)
	v_mul_f64 v[222:223], v[220:221], v[218:219]
	v_fma_f64 v[216:217], -v[216:217], v[222:223], v[220:221]
	s_delay_alu instid0(VALU_DEP_1) | instskip(NEXT) | instid1(VALU_DEP_1)
	v_div_fmas_f64 v[216:217], v[216:217], v[218:219], v[222:223]
	v_div_fixup_f64 v[226:227], v[216:217], v[214:215], 1.0
	s_delay_alu instid0(VALU_DEP_1)
	v_mul_f64 v[224:225], v[212:213], v[226:227]
	v_xor_b32_e32 v227, 0x80000000, v227
.LBB110_9:
	s_or_saveexec_b32 s2, s2
	v_mov_b32_e32 v241, s6
	v_mov_b32_e32 v237, s7
	s_xor_b32 exec_lo, exec_lo, s2
	s_cbranch_execz .LBB110_11
; %bb.10:
	s_delay_alu instid0(VALU_DEP_4) | instskip(SKIP_3) | instid1(VALU_DEP_4)
	v_div_scale_f64 v[212:213], null, v[224:225], v[224:225], v[226:227]
	v_div_scale_f64 v[218:219], vcc_lo, v[226:227], v[224:225], v[226:227]
	v_mov_b32_e32 v241, 0
	v_mov_b32_e32 v237, 2
	v_rcp_f64_e32 v[214:215], v[212:213]
	s_waitcnt_depctr 0xfff
	v_fma_f64 v[216:217], -v[212:213], v[214:215], 1.0
	s_delay_alu instid0(VALU_DEP_1) | instskip(NEXT) | instid1(VALU_DEP_1)
	v_fma_f64 v[214:215], v[214:215], v[216:217], v[214:215]
	v_fma_f64 v[216:217], -v[212:213], v[214:215], 1.0
	s_delay_alu instid0(VALU_DEP_1) | instskip(NEXT) | instid1(VALU_DEP_1)
	v_fma_f64 v[214:215], v[214:215], v[216:217], v[214:215]
	v_mul_f64 v[216:217], v[218:219], v[214:215]
	s_delay_alu instid0(VALU_DEP_1) | instskip(NEXT) | instid1(VALU_DEP_1)
	v_fma_f64 v[212:213], -v[212:213], v[216:217], v[218:219]
	v_div_fmas_f64 v[212:213], v[212:213], v[214:215], v[216:217]
	s_delay_alu instid0(VALU_DEP_1) | instskip(NEXT) | instid1(VALU_DEP_1)
	v_div_fixup_f64 v[212:213], v[212:213], v[224:225], v[226:227]
	v_fma_f64 v[214:215], v[226:227], v[212:213], v[224:225]
	s_delay_alu instid0(VALU_DEP_1) | instskip(NEXT) | instid1(VALU_DEP_1)
	v_div_scale_f64 v[216:217], null, v[214:215], v[214:215], 1.0
	v_rcp_f64_e32 v[218:219], v[216:217]
	s_waitcnt_depctr 0xfff
	v_fma_f64 v[220:221], -v[216:217], v[218:219], 1.0
	s_delay_alu instid0(VALU_DEP_1) | instskip(NEXT) | instid1(VALU_DEP_1)
	v_fma_f64 v[218:219], v[218:219], v[220:221], v[218:219]
	v_fma_f64 v[220:221], -v[216:217], v[218:219], 1.0
	s_delay_alu instid0(VALU_DEP_1) | instskip(SKIP_1) | instid1(VALU_DEP_1)
	v_fma_f64 v[218:219], v[218:219], v[220:221], v[218:219]
	v_div_scale_f64 v[220:221], vcc_lo, 1.0, v[214:215], 1.0
	v_mul_f64 v[222:223], v[220:221], v[218:219]
	s_delay_alu instid0(VALU_DEP_1) | instskip(NEXT) | instid1(VALU_DEP_1)
	v_fma_f64 v[216:217], -v[216:217], v[222:223], v[220:221]
	v_div_fmas_f64 v[216:217], v[216:217], v[218:219], v[222:223]
	s_delay_alu instid0(VALU_DEP_1) | instskip(NEXT) | instid1(VALU_DEP_1)
	v_div_fixup_f64 v[224:225], v[216:217], v[214:215], 1.0
	v_mul_f64 v[226:227], v[212:213], -v[224:225]
.LBB110_11:
	s_or_b32 exec_lo, exec_lo, s2
.LBB110_12:
	s_delay_alu instid0(SALU_CYCLE_1) | instskip(NEXT) | instid1(SALU_CYCLE_1)
	s_or_b32 exec_lo, exec_lo, s3
	s_mov_b32 s2, exec_lo
	v_cmpx_ne_u32_e64 v239, v232
	s_xor_b32 s2, exec_lo, s2
	s_cbranch_execz .LBB110_18
; %bb.13:
	s_mov_b32 s3, exec_lo
	v_cmpx_eq_u32_e32 0, v239
	s_cbranch_execz .LBB110_17
; %bb.14:
	v_cmp_ne_u32_e32 vcc_lo, 0, v232
	s_xor_b32 s6, s4, -1
	s_delay_alu instid0(SALU_CYCLE_1) | instskip(NEXT) | instid1(SALU_CYCLE_1)
	s_and_b32 s7, s6, vcc_lo
	s_and_saveexec_b32 s6, s7
	s_cbranch_execz .LBB110_16
; %bb.15:
	scratch_load_b64 v[10:11], off, off     ; 8-byte Folded Reload
	v_ashrrev_i32_e32 v233, 31, v232
	s_delay_alu instid0(VALU_DEP_1) | instskip(SKIP_1) | instid1(VALU_DEP_1)
	v_lshlrev_b64 v[212:213], 2, v[232:233]
	s_waitcnt vmcnt(0)
	v_add_co_u32 v212, vcc_lo, v10, v212
	s_delay_alu instid0(VALU_DEP_2)
	v_add_co_ci_u32_e32 v213, vcc_lo, v11, v213, vcc_lo
	s_clause 0x1
	flat_load_b32 v214, v[212:213]
	flat_load_b32 v215, v[10:11]
	s_waitcnt vmcnt(1) lgkmcnt(1)
	flat_store_b32 v[10:11], v214
	s_waitcnt vmcnt(0) lgkmcnt(1)
	flat_store_b32 v[212:213], v215
.LBB110_16:
	s_or_b32 exec_lo, exec_lo, s6
	v_mov_b32_e32 v239, v232
.LBB110_17:
	s_or_b32 exec_lo, exec_lo, s3
.LBB110_18:
	s_or_saveexec_b32 s2, s2
	s_delay_alu instid0(VALU_DEP_1)
	v_mov_b32_e32 v240, v239
	s_xor_b32 exec_lo, exec_lo, s2
	s_cbranch_execz .LBB110_20
; %bb.19:
	v_mov_b32_e32 v240, 0
	s_waitcnt vmcnt(0)
	ds_store_2addr_b64 v234, v[208:209], v[210:211] offset0:2 offset1:3
	ds_store_2addr_b64 v234, v[6:7], v[8:9] offset0:4 offset1:5
	;; [unrolled: 1-line block ×55, first 2 shown]
.LBB110_20:
	s_or_b32 exec_lo, exec_lo, s2
	s_delay_alu instid0(SALU_CYCLE_1)
	s_mov_b32 s2, exec_lo
	s_waitcnt vmcnt(0) lgkmcnt(0)
	s_waitcnt_vscnt null, 0x0
	s_barrier
	buffer_gl0_inv
	v_cmpx_lt_i32_e32 0, v240
	s_cbranch_execz .LBB110_22
; %bb.21:
	scratch_load_b128 v[214:217], off, off offset:8 ; 16-byte Folded Reload
	s_waitcnt vmcnt(0)
	v_mul_f64 v[212:213], v[226:227], v[216:217]
	s_delay_alu instid0(VALU_DEP_1) | instskip(SKIP_1) | instid1(VALU_DEP_1)
	v_fma_f64 v[232:233], v[224:225], v[214:215], -v[212:213]
	v_mul_f64 v[212:213], v[224:225], v[216:217]
	v_fma_f64 v[216:217], v[226:227], v[214:215], v[212:213]
	ds_load_2addr_b64 v[224:227], v234 offset0:2 offset1:3
	s_waitcnt lgkmcnt(0)
	v_mul_f64 v[212:213], v[226:227], v[216:217]
	v_mul_f64 v[214:215], v[224:225], v[216:217]
	s_delay_alu instid0(VALU_DEP_2) | instskip(NEXT) | instid1(VALU_DEP_2)
	v_fma_f64 v[212:213], v[224:225], v[232:233], -v[212:213]
	v_fma_f64 v[214:215], v[226:227], v[232:233], v[214:215]
	ds_load_2addr_b64 v[224:227], v234 offset0:4 offset1:5
	v_add_f64 v[208:209], v[208:209], -v[212:213]
	v_add_f64 v[210:211], v[210:211], -v[214:215]
	s_waitcnt lgkmcnt(0)
	v_mul_f64 v[212:213], v[226:227], v[216:217]
	v_mul_f64 v[214:215], v[224:225], v[216:217]
	s_delay_alu instid0(VALU_DEP_2) | instskip(NEXT) | instid1(VALU_DEP_2)
	v_fma_f64 v[212:213], v[224:225], v[232:233], -v[212:213]
	v_fma_f64 v[214:215], v[226:227], v[232:233], v[214:215]
	ds_load_2addr_b64 v[224:227], v234 offset0:6 offset1:7
	v_add_f64 v[6:7], v[6:7], -v[212:213]
	v_add_f64 v[8:9], v[8:9], -v[214:215]
	;; [unrolled: 9-line block ×54, first 2 shown]
	s_waitcnt lgkmcnt(0)
	v_mul_f64 v[212:213], v[226:227], v[216:217]
	v_mul_f64 v[214:215], v[224:225], v[216:217]
	s_delay_alu instid0(VALU_DEP_2) | instskip(NEXT) | instid1(VALU_DEP_2)
	v_fma_f64 v[212:213], v[224:225], v[232:233], -v[212:213]
	v_fma_f64 v[214:215], v[226:227], v[232:233], v[214:215]
	s_delay_alu instid0(VALU_DEP_2) | instskip(NEXT) | instid1(VALU_DEP_2)
	v_add_f64 v[0:1], v[0:1], -v[212:213]
	v_add_f64 v[2:3], v[2:3], -v[214:215]
	v_dual_mov_b32 v214, v232 :: v_dual_mov_b32 v215, v233
	scratch_store_b128 off, v[214:217], off offset:8 ; 16-byte Folded Spill
.LBB110_22:
	s_or_b32 exec_lo, exec_lo, s2
	v_lshl_add_u32 v212, v240, 4, v234
	s_waitcnt_vscnt null, 0x0
	s_barrier
	buffer_gl0_inv
	v_mov_b32_e32 v232, 1
	ds_store_2addr_b64 v212, v[208:209], v[210:211] offset1:1
	s_waitcnt lgkmcnt(0)
	s_barrier
	buffer_gl0_inv
	ds_load_2addr_b64 v[224:227], v234 offset0:2 offset1:3
	s_cmp_lt_i32 s5, 3
	s_cbranch_scc1 .LBB110_26
; %bb.23:
	v_dual_mov_b32 v220, v245 :: v_dual_mov_b32 v221, v246
	v_dual_mov_b32 v222, v247 :: v_dual_mov_b32 v223, v248
	v_add3_u32 v233, v238, 0, 32
	v_mov_b32_e32 v232, 1
	s_mov_b32 s6, 2
	s_set_inst_prefetch_distance 0x1
	.p2align	6
.LBB110_24:                             ; =>This Inner Loop Header: Depth=1
	ds_load_2addr_b64 v[242:245], v233 offset1:1
	s_waitcnt lgkmcnt(1)
	v_cmp_gt_f64_e32 vcc_lo, 0, v[224:225]
	v_xor_b32_e32 v212, 0x80000000, v225
	v_cmp_gt_f64_e64 s2, 0, v[226:227]
	v_xor_b32_e32 v214, 0x80000000, v227
	v_add_nc_u32_e32 v233, 16, v233
	s_waitcnt lgkmcnt(0)
	v_cmp_gt_f64_e64 s3, 0, v[242:243]
	v_mov_b32_e32 v216, v242
	v_dual_mov_b32 v218, v244 :: v_dual_cndmask_b32 v213, v225, v212
	v_xor_b32_e32 v212, 0x80000000, v243
	v_cndmask_b32_e64 v215, v227, v214, s2
	v_xor_b32_e32 v214, 0x80000000, v245
	s_delay_alu instid0(VALU_DEP_3) | instskip(SKIP_2) | instid1(VALU_DEP_2)
	v_cndmask_b32_e64 v217, v243, v212, s3
	v_cmp_gt_f64_e64 s3, 0, v[244:245]
	v_cndmask_b32_e32 v212, v224, v224, vcc_lo
	v_cndmask_b32_e64 v219, v245, v214, s3
	v_cndmask_b32_e64 v214, v226, v226, s2
	s_delay_alu instid0(VALU_DEP_2) | instskip(NEXT) | instid1(VALU_DEP_2)
	v_add_f64 v[216:217], v[216:217], v[218:219]
	v_add_f64 v[212:213], v[212:213], v[214:215]
	s_delay_alu instid0(VALU_DEP_1)
	v_cmp_lt_f64_e32 vcc_lo, v[212:213], v[216:217]
	v_cndmask_b32_e32 v227, v227, v245, vcc_lo
	v_dual_cndmask_b32 v225, v225, v243 :: v_dual_cndmask_b32 v224, v224, v242
	v_cndmask_b32_e32 v226, v226, v244, vcc_lo
	v_cndmask_b32_e64 v232, v232, s6, vcc_lo
	s_add_i32 s6, s6, 1
	s_delay_alu instid0(SALU_CYCLE_1)
	s_cmp_lg_u32 s5, s6
	s_cbranch_scc1 .LBB110_24
; %bb.25:
	s_set_inst_prefetch_distance 0x2
	v_dual_mov_b32 v248, v223 :: v_dual_mov_b32 v247, v222
	v_dual_mov_b32 v246, v221 :: v_dual_mov_b32 v245, v220
.LBB110_26:
	s_waitcnt lgkmcnt(0)
	v_cmp_neq_f64_e32 vcc_lo, 0, v[224:225]
	v_cmp_neq_f64_e64 s2, 0, v[226:227]
	s_delay_alu instid0(VALU_DEP_1) | instskip(NEXT) | instid1(SALU_CYCLE_1)
	s_or_b32 s2, vcc_lo, s2
	s_and_saveexec_b32 s3, s2
	s_cbranch_execz .LBB110_32
; %bb.27:
	v_cmp_gt_f64_e32 vcc_lo, 0, v[224:225]
	v_cmp_gt_f64_e64 s2, 0, v[226:227]
	v_xor_b32_e32 v212, 0x80000000, v225
	v_xor_b32_e32 v214, 0x80000000, v227
	s_delay_alu instid0(VALU_DEP_2) | instskip(NEXT) | instid1(VALU_DEP_2)
	v_cndmask_b32_e32 v213, v225, v212, vcc_lo
	v_cndmask_b32_e64 v215, v227, v214, s2
	v_cndmask_b32_e32 v212, v224, v224, vcc_lo
	v_cndmask_b32_e64 v214, v226, v226, s2
	s_mov_b32 s2, exec_lo
	s_delay_alu instid0(VALU_DEP_1)
	v_cmpx_ngt_f64_e32 v[212:213], v[214:215]
	s_xor_b32 s2, exec_lo, s2
	s_cbranch_execz .LBB110_29
; %bb.28:
	v_div_scale_f64 v[212:213], null, v[226:227], v[226:227], v[224:225]
	v_div_scale_f64 v[218:219], vcc_lo, v[224:225], v[226:227], v[224:225]
	s_delay_alu instid0(VALU_DEP_2) | instskip(SKIP_2) | instid1(VALU_DEP_1)
	v_rcp_f64_e32 v[214:215], v[212:213]
	s_waitcnt_depctr 0xfff
	v_fma_f64 v[216:217], -v[212:213], v[214:215], 1.0
	v_fma_f64 v[214:215], v[214:215], v[216:217], v[214:215]
	s_delay_alu instid0(VALU_DEP_1) | instskip(NEXT) | instid1(VALU_DEP_1)
	v_fma_f64 v[216:217], -v[212:213], v[214:215], 1.0
	v_fma_f64 v[214:215], v[214:215], v[216:217], v[214:215]
	s_delay_alu instid0(VALU_DEP_1) | instskip(NEXT) | instid1(VALU_DEP_1)
	v_mul_f64 v[216:217], v[218:219], v[214:215]
	v_fma_f64 v[212:213], -v[212:213], v[216:217], v[218:219]
	s_delay_alu instid0(VALU_DEP_1) | instskip(NEXT) | instid1(VALU_DEP_1)
	v_div_fmas_f64 v[212:213], v[212:213], v[214:215], v[216:217]
	v_div_fixup_f64 v[212:213], v[212:213], v[226:227], v[224:225]
	s_delay_alu instid0(VALU_DEP_1) | instskip(NEXT) | instid1(VALU_DEP_1)
	v_fma_f64 v[214:215], v[224:225], v[212:213], v[226:227]
	v_div_scale_f64 v[216:217], null, v[214:215], v[214:215], 1.0
	s_delay_alu instid0(VALU_DEP_1) | instskip(SKIP_2) | instid1(VALU_DEP_1)
	v_rcp_f64_e32 v[218:219], v[216:217]
	s_waitcnt_depctr 0xfff
	v_fma_f64 v[220:221], -v[216:217], v[218:219], 1.0
	v_fma_f64 v[218:219], v[218:219], v[220:221], v[218:219]
	s_delay_alu instid0(VALU_DEP_1) | instskip(NEXT) | instid1(VALU_DEP_1)
	v_fma_f64 v[220:221], -v[216:217], v[218:219], 1.0
	v_fma_f64 v[218:219], v[218:219], v[220:221], v[218:219]
	v_div_scale_f64 v[220:221], vcc_lo, 1.0, v[214:215], 1.0
	s_delay_alu instid0(VALU_DEP_1) | instskip(NEXT) | instid1(VALU_DEP_1)
	v_mul_f64 v[222:223], v[220:221], v[218:219]
	v_fma_f64 v[216:217], -v[216:217], v[222:223], v[220:221]
	s_delay_alu instid0(VALU_DEP_1) | instskip(NEXT) | instid1(VALU_DEP_1)
	v_div_fmas_f64 v[216:217], v[216:217], v[218:219], v[222:223]
	v_div_fixup_f64 v[226:227], v[216:217], v[214:215], 1.0
	s_delay_alu instid0(VALU_DEP_1)
	v_mul_f64 v[224:225], v[212:213], v[226:227]
	v_xor_b32_e32 v227, 0x80000000, v227
.LBB110_29:
	s_and_not1_saveexec_b32 s2, s2
	s_cbranch_execz .LBB110_31
; %bb.30:
	s_delay_alu instid0(VALU_DEP_1) | instskip(SKIP_1) | instid1(VALU_DEP_2)
	v_div_scale_f64 v[212:213], null, v[224:225], v[224:225], v[226:227]
	v_div_scale_f64 v[218:219], vcc_lo, v[226:227], v[224:225], v[226:227]
	v_rcp_f64_e32 v[214:215], v[212:213]
	s_waitcnt_depctr 0xfff
	v_fma_f64 v[216:217], -v[212:213], v[214:215], 1.0
	s_delay_alu instid0(VALU_DEP_1) | instskip(NEXT) | instid1(VALU_DEP_1)
	v_fma_f64 v[214:215], v[214:215], v[216:217], v[214:215]
	v_fma_f64 v[216:217], -v[212:213], v[214:215], 1.0
	s_delay_alu instid0(VALU_DEP_1) | instskip(NEXT) | instid1(VALU_DEP_1)
	v_fma_f64 v[214:215], v[214:215], v[216:217], v[214:215]
	v_mul_f64 v[216:217], v[218:219], v[214:215]
	s_delay_alu instid0(VALU_DEP_1) | instskip(NEXT) | instid1(VALU_DEP_1)
	v_fma_f64 v[212:213], -v[212:213], v[216:217], v[218:219]
	v_div_fmas_f64 v[212:213], v[212:213], v[214:215], v[216:217]
	s_delay_alu instid0(VALU_DEP_1) | instskip(NEXT) | instid1(VALU_DEP_1)
	v_div_fixup_f64 v[212:213], v[212:213], v[224:225], v[226:227]
	v_fma_f64 v[214:215], v[226:227], v[212:213], v[224:225]
	s_delay_alu instid0(VALU_DEP_1) | instskip(NEXT) | instid1(VALU_DEP_1)
	v_div_scale_f64 v[216:217], null, v[214:215], v[214:215], 1.0
	v_rcp_f64_e32 v[218:219], v[216:217]
	s_waitcnt_depctr 0xfff
	v_fma_f64 v[220:221], -v[216:217], v[218:219], 1.0
	s_delay_alu instid0(VALU_DEP_1) | instskip(NEXT) | instid1(VALU_DEP_1)
	v_fma_f64 v[218:219], v[218:219], v[220:221], v[218:219]
	v_fma_f64 v[220:221], -v[216:217], v[218:219], 1.0
	s_delay_alu instid0(VALU_DEP_1) | instskip(SKIP_1) | instid1(VALU_DEP_1)
	v_fma_f64 v[218:219], v[218:219], v[220:221], v[218:219]
	v_div_scale_f64 v[220:221], vcc_lo, 1.0, v[214:215], 1.0
	v_mul_f64 v[222:223], v[220:221], v[218:219]
	s_delay_alu instid0(VALU_DEP_1) | instskip(NEXT) | instid1(VALU_DEP_1)
	v_fma_f64 v[216:217], -v[216:217], v[222:223], v[220:221]
	v_div_fmas_f64 v[216:217], v[216:217], v[218:219], v[222:223]
	s_delay_alu instid0(VALU_DEP_1) | instskip(NEXT) | instid1(VALU_DEP_1)
	v_div_fixup_f64 v[224:225], v[216:217], v[214:215], 1.0
	v_mul_f64 v[226:227], v[212:213], -v[224:225]
.LBB110_31:
	s_or_b32 exec_lo, exec_lo, s2
	v_mov_b32_e32 v237, v241
.LBB110_32:
	s_or_b32 exec_lo, exec_lo, s3
	s_delay_alu instid0(SALU_CYCLE_1)
	s_mov_b32 s2, exec_lo
	v_cmpx_ne_u32_e64 v240, v232
	s_xor_b32 s2, exec_lo, s2
	s_cbranch_execz .LBB110_38
; %bb.33:
	s_mov_b32 s3, exec_lo
	v_cmpx_eq_u32_e32 1, v240
	s_cbranch_execz .LBB110_37
; %bb.34:
	v_cmp_ne_u32_e32 vcc_lo, 1, v232
	s_xor_b32 s6, s4, -1
	s_delay_alu instid0(SALU_CYCLE_1) | instskip(NEXT) | instid1(SALU_CYCLE_1)
	s_and_b32 s7, s6, vcc_lo
	s_and_saveexec_b32 s6, s7
	s_cbranch_execz .LBB110_36
; %bb.35:
	scratch_load_b64 v[10:11], off, off     ; 8-byte Folded Reload
	v_ashrrev_i32_e32 v233, 31, v232
	s_delay_alu instid0(VALU_DEP_1) | instskip(SKIP_1) | instid1(VALU_DEP_1)
	v_lshlrev_b64 v[212:213], 2, v[232:233]
	s_waitcnt vmcnt(0)
	v_add_co_u32 v212, vcc_lo, v10, v212
	s_delay_alu instid0(VALU_DEP_2)
	v_add_co_ci_u32_e32 v213, vcc_lo, v11, v213, vcc_lo
	s_clause 0x1
	flat_load_b32 v214, v[212:213]
	flat_load_b32 v215, v[10:11] offset:4
	s_waitcnt vmcnt(1) lgkmcnt(1)
	flat_store_b32 v[10:11], v214 offset:4
	s_waitcnt vmcnt(0) lgkmcnt(1)
	flat_store_b32 v[212:213], v215
.LBB110_36:
	s_or_b32 exec_lo, exec_lo, s6
	v_mov_b32_e32 v240, v232
	v_mov_b32_e32 v239, v232
.LBB110_37:
	s_or_b32 exec_lo, exec_lo, s3
.LBB110_38:
	s_and_not1_saveexec_b32 s2, s2
	s_cbranch_execz .LBB110_40
; %bb.39:
	v_mov_b32_e32 v240, 1
	ds_store_2addr_b64 v234, v[6:7], v[8:9] offset0:4 offset1:5
	ds_store_2addr_b64 v234, v[245:246], v[247:248] offset0:6 offset1:7
	;; [unrolled: 1-line block ×54, first 2 shown]
.LBB110_40:
	s_or_b32 exec_lo, exec_lo, s2
	s_delay_alu instid0(SALU_CYCLE_1)
	s_mov_b32 s2, exec_lo
	s_waitcnt lgkmcnt(0)
	s_waitcnt_vscnt null, 0x0
	s_barrier
	buffer_gl0_inv
	v_cmpx_lt_i32_e32 1, v240
	s_cbranch_execz .LBB110_42
; %bb.41:
	v_mul_f64 v[212:213], v[226:227], v[210:211]
	s_delay_alu instid0(VALU_DEP_1) | instskip(SKIP_1) | instid1(VALU_DEP_1)
	v_fma_f64 v[232:233], v[224:225], v[208:209], -v[212:213]
	v_mul_f64 v[212:213], v[224:225], v[210:211]
	v_fma_f64 v[210:211], v[226:227], v[208:209], v[212:213]
	ds_load_2addr_b64 v[224:227], v234 offset0:4 offset1:5
	v_dual_mov_b32 v208, v232 :: v_dual_mov_b32 v209, v233
	s_waitcnt lgkmcnt(0)
	v_mul_f64 v[212:213], v[226:227], v[210:211]
	v_mul_f64 v[214:215], v[224:225], v[210:211]
	s_delay_alu instid0(VALU_DEP_2) | instskip(NEXT) | instid1(VALU_DEP_2)
	v_fma_f64 v[212:213], v[224:225], v[232:233], -v[212:213]
	v_fma_f64 v[214:215], v[226:227], v[232:233], v[214:215]
	ds_load_2addr_b64 v[224:227], v234 offset0:6 offset1:7
	v_add_f64 v[6:7], v[6:7], -v[212:213]
	v_add_f64 v[8:9], v[8:9], -v[214:215]
	s_waitcnt lgkmcnt(0)
	v_mul_f64 v[212:213], v[226:227], v[210:211]
	v_mul_f64 v[214:215], v[224:225], v[210:211]
	s_delay_alu instid0(VALU_DEP_2) | instskip(NEXT) | instid1(VALU_DEP_2)
	v_fma_f64 v[212:213], v[224:225], v[232:233], -v[212:213]
	v_fma_f64 v[214:215], v[226:227], v[232:233], v[214:215]
	ds_load_2addr_b64 v[224:227], v234 offset0:8 offset1:9
	v_add_f64 v[245:246], v[245:246], -v[212:213]
	v_add_f64 v[247:248], v[247:248], -v[214:215]
	;; [unrolled: 9-line block ×53, first 2 shown]
	s_waitcnt lgkmcnt(0)
	v_mul_f64 v[212:213], v[226:227], v[210:211]
	v_mul_f64 v[214:215], v[224:225], v[210:211]
	s_delay_alu instid0(VALU_DEP_2) | instskip(NEXT) | instid1(VALU_DEP_2)
	v_fma_f64 v[212:213], v[224:225], v[232:233], -v[212:213]
	v_fma_f64 v[214:215], v[226:227], v[232:233], v[214:215]
	s_delay_alu instid0(VALU_DEP_2) | instskip(NEXT) | instid1(VALU_DEP_2)
	v_add_f64 v[0:1], v[0:1], -v[212:213]
	v_add_f64 v[2:3], v[2:3], -v[214:215]
.LBB110_42:
	s_or_b32 exec_lo, exec_lo, s2
	v_lshl_add_u32 v212, v240, 4, v234
	s_barrier
	buffer_gl0_inv
	v_mov_b32_e32 v232, 2
	ds_store_2addr_b64 v212, v[6:7], v[8:9] offset1:1
	s_waitcnt lgkmcnt(0)
	s_barrier
	buffer_gl0_inv
	ds_load_2addr_b64 v[224:227], v234 offset0:4 offset1:5
	s_cmp_lt_i32 s5, 4
	s_cbranch_scc1 .LBB110_45
; %bb.43:
	v_add3_u32 v233, v238, 0, 48
	v_mov_b32_e32 v232, 2
	s_mov_b32 s6, 3
	s_set_inst_prefetch_distance 0x1
	.p2align	6
.LBB110_44:                             ; =>This Inner Loop Header: Depth=1
	ds_load_2addr_b64 v[241:244], v233 offset1:1
	s_waitcnt lgkmcnt(1)
	v_cmp_gt_f64_e32 vcc_lo, 0, v[224:225]
	v_xor_b32_e32 v212, 0x80000000, v225
	v_cmp_gt_f64_e64 s2, 0, v[226:227]
	v_xor_b32_e32 v214, 0x80000000, v227
	v_add_nc_u32_e32 v233, 16, v233
	s_waitcnt lgkmcnt(0)
	v_cmp_gt_f64_e64 s3, 0, v[241:242]
	v_mov_b32_e32 v216, v241
	v_dual_mov_b32 v218, v243 :: v_dual_cndmask_b32 v213, v225, v212
	v_xor_b32_e32 v212, 0x80000000, v242
	v_cndmask_b32_e64 v215, v227, v214, s2
	v_xor_b32_e32 v214, 0x80000000, v244
	s_delay_alu instid0(VALU_DEP_3) | instskip(SKIP_2) | instid1(VALU_DEP_2)
	v_cndmask_b32_e64 v217, v242, v212, s3
	v_cmp_gt_f64_e64 s3, 0, v[243:244]
	v_cndmask_b32_e32 v212, v224, v224, vcc_lo
	v_cndmask_b32_e64 v219, v244, v214, s3
	v_cndmask_b32_e64 v214, v226, v226, s2
	s_delay_alu instid0(VALU_DEP_2) | instskip(NEXT) | instid1(VALU_DEP_2)
	v_add_f64 v[216:217], v[216:217], v[218:219]
	v_add_f64 v[212:213], v[212:213], v[214:215]
	s_delay_alu instid0(VALU_DEP_1) | instskip(SKIP_4) | instid1(SALU_CYCLE_1)
	v_cmp_lt_f64_e32 vcc_lo, v[212:213], v[216:217]
	v_dual_cndmask_b32 v225, v225, v242 :: v_dual_cndmask_b32 v224, v224, v241
	v_dual_cndmask_b32 v227, v227, v244 :: v_dual_cndmask_b32 v226, v226, v243
	v_cndmask_b32_e64 v232, v232, s6, vcc_lo
	s_add_i32 s6, s6, 1
	s_cmp_lg_u32 s5, s6
	s_cbranch_scc1 .LBB110_44
.LBB110_45:
	s_set_inst_prefetch_distance 0x2
	s_waitcnt lgkmcnt(0)
	v_cmp_eq_f64_e32 vcc_lo, 0, v[224:225]
	v_cmp_eq_f64_e64 s2, 0, v[226:227]
	s_delay_alu instid0(VALU_DEP_1) | instskip(NEXT) | instid1(SALU_CYCLE_1)
	s_and_b32 s2, vcc_lo, s2
	s_and_saveexec_b32 s3, s2
	s_delay_alu instid0(SALU_CYCLE_1)
	s_xor_b32 s2, exec_lo, s3
; %bb.46:
	v_cmp_ne_u32_e32 vcc_lo, 0, v237
	v_cndmask_b32_e32 v237, 3, v237, vcc_lo
; %bb.47:
	s_and_not1_saveexec_b32 s3, s2
	s_cbranch_execz .LBB110_53
; %bb.48:
	v_cmp_gt_f64_e32 vcc_lo, 0, v[224:225]
	v_cmp_gt_f64_e64 s2, 0, v[226:227]
	v_xor_b32_e32 v212, 0x80000000, v225
	v_xor_b32_e32 v214, 0x80000000, v227
	s_delay_alu instid0(VALU_DEP_2) | instskip(NEXT) | instid1(VALU_DEP_2)
	v_cndmask_b32_e32 v213, v225, v212, vcc_lo
	v_cndmask_b32_e64 v215, v227, v214, s2
	v_cndmask_b32_e32 v212, v224, v224, vcc_lo
	v_cndmask_b32_e64 v214, v226, v226, s2
	s_mov_b32 s2, exec_lo
	s_delay_alu instid0(VALU_DEP_1)
	v_cmpx_ngt_f64_e32 v[212:213], v[214:215]
	s_xor_b32 s2, exec_lo, s2
	s_cbranch_execz .LBB110_50
; %bb.49:
	v_div_scale_f64 v[212:213], null, v[226:227], v[226:227], v[224:225]
	v_div_scale_f64 v[218:219], vcc_lo, v[224:225], v[226:227], v[224:225]
	s_delay_alu instid0(VALU_DEP_2) | instskip(SKIP_2) | instid1(VALU_DEP_1)
	v_rcp_f64_e32 v[214:215], v[212:213]
	s_waitcnt_depctr 0xfff
	v_fma_f64 v[216:217], -v[212:213], v[214:215], 1.0
	v_fma_f64 v[214:215], v[214:215], v[216:217], v[214:215]
	s_delay_alu instid0(VALU_DEP_1) | instskip(NEXT) | instid1(VALU_DEP_1)
	v_fma_f64 v[216:217], -v[212:213], v[214:215], 1.0
	v_fma_f64 v[214:215], v[214:215], v[216:217], v[214:215]
	s_delay_alu instid0(VALU_DEP_1) | instskip(NEXT) | instid1(VALU_DEP_1)
	v_mul_f64 v[216:217], v[218:219], v[214:215]
	v_fma_f64 v[212:213], -v[212:213], v[216:217], v[218:219]
	s_delay_alu instid0(VALU_DEP_1) | instskip(NEXT) | instid1(VALU_DEP_1)
	v_div_fmas_f64 v[212:213], v[212:213], v[214:215], v[216:217]
	v_div_fixup_f64 v[212:213], v[212:213], v[226:227], v[224:225]
	s_delay_alu instid0(VALU_DEP_1) | instskip(NEXT) | instid1(VALU_DEP_1)
	v_fma_f64 v[214:215], v[224:225], v[212:213], v[226:227]
	v_div_scale_f64 v[216:217], null, v[214:215], v[214:215], 1.0
	s_delay_alu instid0(VALU_DEP_1) | instskip(SKIP_2) | instid1(VALU_DEP_1)
	v_rcp_f64_e32 v[218:219], v[216:217]
	s_waitcnt_depctr 0xfff
	v_fma_f64 v[220:221], -v[216:217], v[218:219], 1.0
	v_fma_f64 v[218:219], v[218:219], v[220:221], v[218:219]
	s_delay_alu instid0(VALU_DEP_1) | instskip(NEXT) | instid1(VALU_DEP_1)
	v_fma_f64 v[220:221], -v[216:217], v[218:219], 1.0
	v_fma_f64 v[218:219], v[218:219], v[220:221], v[218:219]
	v_div_scale_f64 v[220:221], vcc_lo, 1.0, v[214:215], 1.0
	s_delay_alu instid0(VALU_DEP_1) | instskip(NEXT) | instid1(VALU_DEP_1)
	v_mul_f64 v[222:223], v[220:221], v[218:219]
	v_fma_f64 v[216:217], -v[216:217], v[222:223], v[220:221]
	s_delay_alu instid0(VALU_DEP_1) | instskip(NEXT) | instid1(VALU_DEP_1)
	v_div_fmas_f64 v[216:217], v[216:217], v[218:219], v[222:223]
	v_div_fixup_f64 v[226:227], v[216:217], v[214:215], 1.0
	s_delay_alu instid0(VALU_DEP_1)
	v_mul_f64 v[224:225], v[212:213], v[226:227]
	v_xor_b32_e32 v227, 0x80000000, v227
.LBB110_50:
	s_and_not1_saveexec_b32 s2, s2
	s_cbranch_execz .LBB110_52
; %bb.51:
	s_delay_alu instid0(VALU_DEP_1) | instskip(SKIP_1) | instid1(VALU_DEP_2)
	v_div_scale_f64 v[212:213], null, v[224:225], v[224:225], v[226:227]
	v_div_scale_f64 v[218:219], vcc_lo, v[226:227], v[224:225], v[226:227]
	v_rcp_f64_e32 v[214:215], v[212:213]
	s_waitcnt_depctr 0xfff
	v_fma_f64 v[216:217], -v[212:213], v[214:215], 1.0
	s_delay_alu instid0(VALU_DEP_1) | instskip(NEXT) | instid1(VALU_DEP_1)
	v_fma_f64 v[214:215], v[214:215], v[216:217], v[214:215]
	v_fma_f64 v[216:217], -v[212:213], v[214:215], 1.0
	s_delay_alu instid0(VALU_DEP_1) | instskip(NEXT) | instid1(VALU_DEP_1)
	v_fma_f64 v[214:215], v[214:215], v[216:217], v[214:215]
	v_mul_f64 v[216:217], v[218:219], v[214:215]
	s_delay_alu instid0(VALU_DEP_1) | instskip(NEXT) | instid1(VALU_DEP_1)
	v_fma_f64 v[212:213], -v[212:213], v[216:217], v[218:219]
	v_div_fmas_f64 v[212:213], v[212:213], v[214:215], v[216:217]
	s_delay_alu instid0(VALU_DEP_1) | instskip(NEXT) | instid1(VALU_DEP_1)
	v_div_fixup_f64 v[212:213], v[212:213], v[224:225], v[226:227]
	v_fma_f64 v[214:215], v[226:227], v[212:213], v[224:225]
	s_delay_alu instid0(VALU_DEP_1) | instskip(NEXT) | instid1(VALU_DEP_1)
	v_div_scale_f64 v[216:217], null, v[214:215], v[214:215], 1.0
	v_rcp_f64_e32 v[218:219], v[216:217]
	s_waitcnt_depctr 0xfff
	v_fma_f64 v[220:221], -v[216:217], v[218:219], 1.0
	s_delay_alu instid0(VALU_DEP_1) | instskip(NEXT) | instid1(VALU_DEP_1)
	v_fma_f64 v[218:219], v[218:219], v[220:221], v[218:219]
	v_fma_f64 v[220:221], -v[216:217], v[218:219], 1.0
	s_delay_alu instid0(VALU_DEP_1) | instskip(SKIP_1) | instid1(VALU_DEP_1)
	v_fma_f64 v[218:219], v[218:219], v[220:221], v[218:219]
	v_div_scale_f64 v[220:221], vcc_lo, 1.0, v[214:215], 1.0
	v_mul_f64 v[222:223], v[220:221], v[218:219]
	s_delay_alu instid0(VALU_DEP_1) | instskip(NEXT) | instid1(VALU_DEP_1)
	v_fma_f64 v[216:217], -v[216:217], v[222:223], v[220:221]
	v_div_fmas_f64 v[216:217], v[216:217], v[218:219], v[222:223]
	s_delay_alu instid0(VALU_DEP_1) | instskip(NEXT) | instid1(VALU_DEP_1)
	v_div_fixup_f64 v[224:225], v[216:217], v[214:215], 1.0
	v_mul_f64 v[226:227], v[212:213], -v[224:225]
.LBB110_52:
	s_or_b32 exec_lo, exec_lo, s2
.LBB110_53:
	s_delay_alu instid0(SALU_CYCLE_1) | instskip(NEXT) | instid1(SALU_CYCLE_1)
	s_or_b32 exec_lo, exec_lo, s3
	s_mov_b32 s2, exec_lo
	v_cmpx_ne_u32_e64 v240, v232
	s_xor_b32 s2, exec_lo, s2
	s_cbranch_execz .LBB110_59
; %bb.54:
	s_mov_b32 s3, exec_lo
	v_cmpx_eq_u32_e32 2, v240
	s_cbranch_execz .LBB110_58
; %bb.55:
	v_cmp_ne_u32_e32 vcc_lo, 2, v232
	s_xor_b32 s6, s4, -1
	s_delay_alu instid0(SALU_CYCLE_1) | instskip(NEXT) | instid1(SALU_CYCLE_1)
	s_and_b32 s7, s6, vcc_lo
	s_and_saveexec_b32 s6, s7
	s_cbranch_execz .LBB110_57
; %bb.56:
	scratch_load_b64 v[10:11], off, off     ; 8-byte Folded Reload
	v_ashrrev_i32_e32 v233, 31, v232
	s_delay_alu instid0(VALU_DEP_1) | instskip(SKIP_1) | instid1(VALU_DEP_1)
	v_lshlrev_b64 v[212:213], 2, v[232:233]
	s_waitcnt vmcnt(0)
	v_add_co_u32 v212, vcc_lo, v10, v212
	s_delay_alu instid0(VALU_DEP_2)
	v_add_co_ci_u32_e32 v213, vcc_lo, v11, v213, vcc_lo
	s_clause 0x1
	flat_load_b32 v214, v[212:213]
	flat_load_b32 v215, v[10:11] offset:8
	s_waitcnt vmcnt(1) lgkmcnt(1)
	flat_store_b32 v[10:11], v214 offset:8
	s_waitcnt vmcnt(0) lgkmcnt(1)
	flat_store_b32 v[212:213], v215
.LBB110_57:
	s_or_b32 exec_lo, exec_lo, s6
	v_mov_b32_e32 v240, v232
	v_mov_b32_e32 v239, v232
.LBB110_58:
	s_or_b32 exec_lo, exec_lo, s3
.LBB110_59:
	s_and_not1_saveexec_b32 s2, s2
	s_cbranch_execz .LBB110_61
; %bb.60:
	v_mov_b32_e32 v240, 2
	ds_store_2addr_b64 v234, v[245:246], v[247:248] offset0:6 offset1:7
	ds_store_2addr_b64 v234, v[204:205], v[206:207] offset0:8 offset1:9
	;; [unrolled: 1-line block ×53, first 2 shown]
.LBB110_61:
	s_or_b32 exec_lo, exec_lo, s2
	s_delay_alu instid0(SALU_CYCLE_1)
	s_mov_b32 s2, exec_lo
	s_waitcnt lgkmcnt(0)
	s_waitcnt_vscnt null, 0x0
	s_barrier
	buffer_gl0_inv
	v_cmpx_lt_i32_e32 2, v240
	s_cbranch_execz .LBB110_63
; %bb.62:
	v_mul_f64 v[212:213], v[226:227], v[8:9]
	s_delay_alu instid0(VALU_DEP_1) | instskip(SKIP_1) | instid1(VALU_DEP_1)
	v_fma_f64 v[232:233], v[224:225], v[6:7], -v[212:213]
	v_mul_f64 v[212:213], v[224:225], v[8:9]
	v_fma_f64 v[8:9], v[226:227], v[6:7], v[212:213]
	ds_load_2addr_b64 v[224:227], v234 offset0:6 offset1:7
	v_dual_mov_b32 v6, v232 :: v_dual_mov_b32 v7, v233
	s_waitcnt lgkmcnt(0)
	v_mul_f64 v[212:213], v[226:227], v[8:9]
	v_mul_f64 v[214:215], v[224:225], v[8:9]
	s_delay_alu instid0(VALU_DEP_2) | instskip(NEXT) | instid1(VALU_DEP_2)
	v_fma_f64 v[212:213], v[224:225], v[232:233], -v[212:213]
	v_fma_f64 v[214:215], v[226:227], v[232:233], v[214:215]
	ds_load_2addr_b64 v[224:227], v234 offset0:8 offset1:9
	v_add_f64 v[245:246], v[245:246], -v[212:213]
	v_add_f64 v[247:248], v[247:248], -v[214:215]
	s_waitcnt lgkmcnt(0)
	v_mul_f64 v[212:213], v[226:227], v[8:9]
	v_mul_f64 v[214:215], v[224:225], v[8:9]
	s_delay_alu instid0(VALU_DEP_2) | instskip(NEXT) | instid1(VALU_DEP_2)
	v_fma_f64 v[212:213], v[224:225], v[232:233], -v[212:213]
	v_fma_f64 v[214:215], v[226:227], v[232:233], v[214:215]
	ds_load_2addr_b64 v[224:227], v234 offset0:10 offset1:11
	v_add_f64 v[204:205], v[204:205], -v[212:213]
	v_add_f64 v[206:207], v[206:207], -v[214:215]
	s_waitcnt lgkmcnt(0)
	v_mul_f64 v[212:213], v[226:227], v[8:9]
	v_mul_f64 v[214:215], v[224:225], v[8:9]
	s_delay_alu instid0(VALU_DEP_2) | instskip(NEXT) | instid1(VALU_DEP_2)
	v_fma_f64 v[212:213], v[224:225], v[232:233], -v[212:213]
	v_fma_f64 v[214:215], v[226:227], v[232:233], v[214:215]
	ds_load_2addr_b64 v[224:227], v234 offset0:12 offset1:13
	v_add_f64 v[200:201], v[200:201], -v[212:213]
	v_add_f64 v[202:203], v[202:203], -v[214:215]
	s_waitcnt lgkmcnt(0)
	v_mul_f64 v[212:213], v[226:227], v[8:9]
	v_mul_f64 v[214:215], v[224:225], v[8:9]
	s_delay_alu instid0(VALU_DEP_2) | instskip(NEXT) | instid1(VALU_DEP_2)
	v_fma_f64 v[212:213], v[224:225], v[232:233], -v[212:213]
	v_fma_f64 v[214:215], v[226:227], v[232:233], v[214:215]
	ds_load_2addr_b64 v[224:227], v234 offset0:14 offset1:15
	v_add_f64 v[196:197], v[196:197], -v[212:213]
	v_add_f64 v[198:199], v[198:199], -v[214:215]
	s_waitcnt lgkmcnt(0)
	v_mul_f64 v[212:213], v[226:227], v[8:9]
	v_mul_f64 v[214:215], v[224:225], v[8:9]
	s_delay_alu instid0(VALU_DEP_2) | instskip(NEXT) | instid1(VALU_DEP_2)
	v_fma_f64 v[212:213], v[224:225], v[232:233], -v[212:213]
	v_fma_f64 v[214:215], v[226:227], v[232:233], v[214:215]
	ds_load_2addr_b64 v[224:227], v234 offset0:16 offset1:17
	v_add_f64 v[192:193], v[192:193], -v[212:213]
	v_add_f64 v[194:195], v[194:195], -v[214:215]
	s_waitcnt lgkmcnt(0)
	v_mul_f64 v[212:213], v[226:227], v[8:9]
	v_mul_f64 v[214:215], v[224:225], v[8:9]
	s_delay_alu instid0(VALU_DEP_2) | instskip(NEXT) | instid1(VALU_DEP_2)
	v_fma_f64 v[212:213], v[224:225], v[232:233], -v[212:213]
	v_fma_f64 v[214:215], v[226:227], v[232:233], v[214:215]
	ds_load_2addr_b64 v[224:227], v234 offset0:18 offset1:19
	v_add_f64 v[188:189], v[188:189], -v[212:213]
	v_add_f64 v[190:191], v[190:191], -v[214:215]
	s_waitcnt lgkmcnt(0)
	v_mul_f64 v[212:213], v[226:227], v[8:9]
	v_mul_f64 v[214:215], v[224:225], v[8:9]
	s_delay_alu instid0(VALU_DEP_2) | instskip(NEXT) | instid1(VALU_DEP_2)
	v_fma_f64 v[212:213], v[224:225], v[232:233], -v[212:213]
	v_fma_f64 v[214:215], v[226:227], v[232:233], v[214:215]
	ds_load_2addr_b64 v[224:227], v234 offset0:20 offset1:21
	v_add_f64 v[184:185], v[184:185], -v[212:213]
	v_add_f64 v[186:187], v[186:187], -v[214:215]
	s_waitcnt lgkmcnt(0)
	v_mul_f64 v[212:213], v[226:227], v[8:9]
	v_mul_f64 v[214:215], v[224:225], v[8:9]
	s_delay_alu instid0(VALU_DEP_2) | instskip(NEXT) | instid1(VALU_DEP_2)
	v_fma_f64 v[212:213], v[224:225], v[232:233], -v[212:213]
	v_fma_f64 v[214:215], v[226:227], v[232:233], v[214:215]
	ds_load_2addr_b64 v[224:227], v234 offset0:22 offset1:23
	v_add_f64 v[180:181], v[180:181], -v[212:213]
	v_add_f64 v[182:183], v[182:183], -v[214:215]
	s_waitcnt lgkmcnt(0)
	v_mul_f64 v[212:213], v[226:227], v[8:9]
	v_mul_f64 v[214:215], v[224:225], v[8:9]
	s_delay_alu instid0(VALU_DEP_2) | instskip(NEXT) | instid1(VALU_DEP_2)
	v_fma_f64 v[212:213], v[224:225], v[232:233], -v[212:213]
	v_fma_f64 v[214:215], v[226:227], v[232:233], v[214:215]
	ds_load_2addr_b64 v[224:227], v234 offset0:24 offset1:25
	v_add_f64 v[176:177], v[176:177], -v[212:213]
	v_add_f64 v[178:179], v[178:179], -v[214:215]
	s_waitcnt lgkmcnt(0)
	v_mul_f64 v[212:213], v[226:227], v[8:9]
	v_mul_f64 v[214:215], v[224:225], v[8:9]
	s_delay_alu instid0(VALU_DEP_2) | instskip(NEXT) | instid1(VALU_DEP_2)
	v_fma_f64 v[212:213], v[224:225], v[232:233], -v[212:213]
	v_fma_f64 v[214:215], v[226:227], v[232:233], v[214:215]
	ds_load_2addr_b64 v[224:227], v234 offset0:26 offset1:27
	v_add_f64 v[172:173], v[172:173], -v[212:213]
	v_add_f64 v[174:175], v[174:175], -v[214:215]
	s_waitcnt lgkmcnt(0)
	v_mul_f64 v[212:213], v[226:227], v[8:9]
	v_mul_f64 v[214:215], v[224:225], v[8:9]
	s_delay_alu instid0(VALU_DEP_2) | instskip(NEXT) | instid1(VALU_DEP_2)
	v_fma_f64 v[212:213], v[224:225], v[232:233], -v[212:213]
	v_fma_f64 v[214:215], v[226:227], v[232:233], v[214:215]
	ds_load_2addr_b64 v[224:227], v234 offset0:28 offset1:29
	v_add_f64 v[168:169], v[168:169], -v[212:213]
	v_add_f64 v[170:171], v[170:171], -v[214:215]
	s_waitcnt lgkmcnt(0)
	v_mul_f64 v[212:213], v[226:227], v[8:9]
	v_mul_f64 v[214:215], v[224:225], v[8:9]
	s_delay_alu instid0(VALU_DEP_2) | instskip(NEXT) | instid1(VALU_DEP_2)
	v_fma_f64 v[212:213], v[224:225], v[232:233], -v[212:213]
	v_fma_f64 v[214:215], v[226:227], v[232:233], v[214:215]
	ds_load_2addr_b64 v[224:227], v234 offset0:30 offset1:31
	v_add_f64 v[164:165], v[164:165], -v[212:213]
	v_add_f64 v[166:167], v[166:167], -v[214:215]
	s_waitcnt lgkmcnt(0)
	v_mul_f64 v[212:213], v[226:227], v[8:9]
	v_mul_f64 v[214:215], v[224:225], v[8:9]
	s_delay_alu instid0(VALU_DEP_2) | instskip(NEXT) | instid1(VALU_DEP_2)
	v_fma_f64 v[212:213], v[224:225], v[232:233], -v[212:213]
	v_fma_f64 v[214:215], v[226:227], v[232:233], v[214:215]
	ds_load_2addr_b64 v[224:227], v234 offset0:32 offset1:33
	v_add_f64 v[160:161], v[160:161], -v[212:213]
	v_add_f64 v[162:163], v[162:163], -v[214:215]
	s_waitcnt lgkmcnt(0)
	v_mul_f64 v[212:213], v[226:227], v[8:9]
	v_mul_f64 v[214:215], v[224:225], v[8:9]
	s_delay_alu instid0(VALU_DEP_2) | instskip(NEXT) | instid1(VALU_DEP_2)
	v_fma_f64 v[212:213], v[224:225], v[232:233], -v[212:213]
	v_fma_f64 v[214:215], v[226:227], v[232:233], v[214:215]
	ds_load_2addr_b64 v[224:227], v234 offset0:34 offset1:35
	v_add_f64 v[156:157], v[156:157], -v[212:213]
	v_add_f64 v[158:159], v[158:159], -v[214:215]
	s_waitcnt lgkmcnt(0)
	v_mul_f64 v[212:213], v[226:227], v[8:9]
	v_mul_f64 v[214:215], v[224:225], v[8:9]
	s_delay_alu instid0(VALU_DEP_2) | instskip(NEXT) | instid1(VALU_DEP_2)
	v_fma_f64 v[212:213], v[224:225], v[232:233], -v[212:213]
	v_fma_f64 v[214:215], v[226:227], v[232:233], v[214:215]
	ds_load_2addr_b64 v[224:227], v234 offset0:36 offset1:37
	v_add_f64 v[152:153], v[152:153], -v[212:213]
	v_add_f64 v[154:155], v[154:155], -v[214:215]
	s_waitcnt lgkmcnt(0)
	v_mul_f64 v[212:213], v[226:227], v[8:9]
	v_mul_f64 v[214:215], v[224:225], v[8:9]
	s_delay_alu instid0(VALU_DEP_2) | instskip(NEXT) | instid1(VALU_DEP_2)
	v_fma_f64 v[212:213], v[224:225], v[232:233], -v[212:213]
	v_fma_f64 v[214:215], v[226:227], v[232:233], v[214:215]
	ds_load_2addr_b64 v[224:227], v234 offset0:38 offset1:39
	v_add_f64 v[148:149], v[148:149], -v[212:213]
	v_add_f64 v[150:151], v[150:151], -v[214:215]
	s_waitcnt lgkmcnt(0)
	v_mul_f64 v[212:213], v[226:227], v[8:9]
	v_mul_f64 v[214:215], v[224:225], v[8:9]
	s_delay_alu instid0(VALU_DEP_2) | instskip(NEXT) | instid1(VALU_DEP_2)
	v_fma_f64 v[212:213], v[224:225], v[232:233], -v[212:213]
	v_fma_f64 v[214:215], v[226:227], v[232:233], v[214:215]
	ds_load_2addr_b64 v[224:227], v234 offset0:40 offset1:41
	v_add_f64 v[144:145], v[144:145], -v[212:213]
	v_add_f64 v[146:147], v[146:147], -v[214:215]
	s_waitcnt lgkmcnt(0)
	v_mul_f64 v[212:213], v[226:227], v[8:9]
	v_mul_f64 v[214:215], v[224:225], v[8:9]
	s_delay_alu instid0(VALU_DEP_2) | instskip(NEXT) | instid1(VALU_DEP_2)
	v_fma_f64 v[212:213], v[224:225], v[232:233], -v[212:213]
	v_fma_f64 v[214:215], v[226:227], v[232:233], v[214:215]
	ds_load_2addr_b64 v[224:227], v234 offset0:42 offset1:43
	v_add_f64 v[140:141], v[140:141], -v[212:213]
	v_add_f64 v[142:143], v[142:143], -v[214:215]
	s_waitcnt lgkmcnt(0)
	v_mul_f64 v[212:213], v[226:227], v[8:9]
	v_mul_f64 v[214:215], v[224:225], v[8:9]
	s_delay_alu instid0(VALU_DEP_2) | instskip(NEXT) | instid1(VALU_DEP_2)
	v_fma_f64 v[212:213], v[224:225], v[232:233], -v[212:213]
	v_fma_f64 v[214:215], v[226:227], v[232:233], v[214:215]
	ds_load_2addr_b64 v[224:227], v234 offset0:44 offset1:45
	v_add_f64 v[136:137], v[136:137], -v[212:213]
	v_add_f64 v[138:139], v[138:139], -v[214:215]
	s_waitcnt lgkmcnt(0)
	v_mul_f64 v[212:213], v[226:227], v[8:9]
	v_mul_f64 v[214:215], v[224:225], v[8:9]
	s_delay_alu instid0(VALU_DEP_2) | instskip(NEXT) | instid1(VALU_DEP_2)
	v_fma_f64 v[212:213], v[224:225], v[232:233], -v[212:213]
	v_fma_f64 v[214:215], v[226:227], v[232:233], v[214:215]
	ds_load_2addr_b64 v[224:227], v234 offset0:46 offset1:47
	v_add_f64 v[132:133], v[132:133], -v[212:213]
	v_add_f64 v[134:135], v[134:135], -v[214:215]
	s_waitcnt lgkmcnt(0)
	v_mul_f64 v[212:213], v[226:227], v[8:9]
	v_mul_f64 v[214:215], v[224:225], v[8:9]
	s_delay_alu instid0(VALU_DEP_2) | instskip(NEXT) | instid1(VALU_DEP_2)
	v_fma_f64 v[212:213], v[224:225], v[232:233], -v[212:213]
	v_fma_f64 v[214:215], v[226:227], v[232:233], v[214:215]
	ds_load_2addr_b64 v[224:227], v234 offset0:48 offset1:49
	v_add_f64 v[128:129], v[128:129], -v[212:213]
	v_add_f64 v[130:131], v[130:131], -v[214:215]
	s_waitcnt lgkmcnt(0)
	v_mul_f64 v[212:213], v[226:227], v[8:9]
	v_mul_f64 v[214:215], v[224:225], v[8:9]
	s_delay_alu instid0(VALU_DEP_2) | instskip(NEXT) | instid1(VALU_DEP_2)
	v_fma_f64 v[212:213], v[224:225], v[232:233], -v[212:213]
	v_fma_f64 v[214:215], v[226:227], v[232:233], v[214:215]
	ds_load_2addr_b64 v[224:227], v234 offset0:50 offset1:51
	v_add_f64 v[124:125], v[124:125], -v[212:213]
	v_add_f64 v[126:127], v[126:127], -v[214:215]
	s_waitcnt lgkmcnt(0)
	v_mul_f64 v[212:213], v[226:227], v[8:9]
	v_mul_f64 v[214:215], v[224:225], v[8:9]
	s_delay_alu instid0(VALU_DEP_2) | instskip(NEXT) | instid1(VALU_DEP_2)
	v_fma_f64 v[212:213], v[224:225], v[232:233], -v[212:213]
	v_fma_f64 v[214:215], v[226:227], v[232:233], v[214:215]
	ds_load_2addr_b64 v[224:227], v234 offset0:52 offset1:53
	v_add_f64 v[120:121], v[120:121], -v[212:213]
	v_add_f64 v[122:123], v[122:123], -v[214:215]
	s_waitcnt lgkmcnt(0)
	v_mul_f64 v[212:213], v[226:227], v[8:9]
	v_mul_f64 v[214:215], v[224:225], v[8:9]
	s_delay_alu instid0(VALU_DEP_2) | instskip(NEXT) | instid1(VALU_DEP_2)
	v_fma_f64 v[212:213], v[224:225], v[232:233], -v[212:213]
	v_fma_f64 v[214:215], v[226:227], v[232:233], v[214:215]
	ds_load_2addr_b64 v[224:227], v234 offset0:54 offset1:55
	v_add_f64 v[116:117], v[116:117], -v[212:213]
	v_add_f64 v[118:119], v[118:119], -v[214:215]
	s_waitcnt lgkmcnt(0)
	v_mul_f64 v[212:213], v[226:227], v[8:9]
	v_mul_f64 v[214:215], v[224:225], v[8:9]
	s_delay_alu instid0(VALU_DEP_2) | instskip(NEXT) | instid1(VALU_DEP_2)
	v_fma_f64 v[212:213], v[224:225], v[232:233], -v[212:213]
	v_fma_f64 v[214:215], v[226:227], v[232:233], v[214:215]
	ds_load_2addr_b64 v[224:227], v234 offset0:56 offset1:57
	v_add_f64 v[112:113], v[112:113], -v[212:213]
	v_add_f64 v[114:115], v[114:115], -v[214:215]
	s_waitcnt lgkmcnt(0)
	v_mul_f64 v[212:213], v[226:227], v[8:9]
	v_mul_f64 v[214:215], v[224:225], v[8:9]
	s_delay_alu instid0(VALU_DEP_2) | instskip(NEXT) | instid1(VALU_DEP_2)
	v_fma_f64 v[212:213], v[224:225], v[232:233], -v[212:213]
	v_fma_f64 v[214:215], v[226:227], v[232:233], v[214:215]
	ds_load_2addr_b64 v[224:227], v234 offset0:58 offset1:59
	v_add_f64 v[108:109], v[108:109], -v[212:213]
	v_add_f64 v[110:111], v[110:111], -v[214:215]
	s_waitcnt lgkmcnt(0)
	v_mul_f64 v[212:213], v[226:227], v[8:9]
	v_mul_f64 v[214:215], v[224:225], v[8:9]
	s_delay_alu instid0(VALU_DEP_2) | instskip(NEXT) | instid1(VALU_DEP_2)
	v_fma_f64 v[212:213], v[224:225], v[232:233], -v[212:213]
	v_fma_f64 v[214:215], v[226:227], v[232:233], v[214:215]
	ds_load_2addr_b64 v[224:227], v234 offset0:60 offset1:61
	v_add_f64 v[104:105], v[104:105], -v[212:213]
	v_add_f64 v[106:107], v[106:107], -v[214:215]
	s_waitcnt lgkmcnt(0)
	v_mul_f64 v[212:213], v[226:227], v[8:9]
	v_mul_f64 v[214:215], v[224:225], v[8:9]
	s_delay_alu instid0(VALU_DEP_2) | instskip(NEXT) | instid1(VALU_DEP_2)
	v_fma_f64 v[212:213], v[224:225], v[232:233], -v[212:213]
	v_fma_f64 v[214:215], v[226:227], v[232:233], v[214:215]
	ds_load_2addr_b64 v[224:227], v234 offset0:62 offset1:63
	v_add_f64 v[100:101], v[100:101], -v[212:213]
	v_add_f64 v[102:103], v[102:103], -v[214:215]
	s_waitcnt lgkmcnt(0)
	v_mul_f64 v[212:213], v[226:227], v[8:9]
	v_mul_f64 v[214:215], v[224:225], v[8:9]
	s_delay_alu instid0(VALU_DEP_2) | instskip(NEXT) | instid1(VALU_DEP_2)
	v_fma_f64 v[212:213], v[224:225], v[232:233], -v[212:213]
	v_fma_f64 v[214:215], v[226:227], v[232:233], v[214:215]
	ds_load_2addr_b64 v[224:227], v234 offset0:64 offset1:65
	v_add_f64 v[96:97], v[96:97], -v[212:213]
	v_add_f64 v[98:99], v[98:99], -v[214:215]
	s_waitcnt lgkmcnt(0)
	v_mul_f64 v[212:213], v[226:227], v[8:9]
	v_mul_f64 v[214:215], v[224:225], v[8:9]
	s_delay_alu instid0(VALU_DEP_2) | instskip(NEXT) | instid1(VALU_DEP_2)
	v_fma_f64 v[212:213], v[224:225], v[232:233], -v[212:213]
	v_fma_f64 v[214:215], v[226:227], v[232:233], v[214:215]
	ds_load_2addr_b64 v[224:227], v234 offset0:66 offset1:67
	v_add_f64 v[92:93], v[92:93], -v[212:213]
	v_add_f64 v[94:95], v[94:95], -v[214:215]
	s_waitcnt lgkmcnt(0)
	v_mul_f64 v[212:213], v[226:227], v[8:9]
	v_mul_f64 v[214:215], v[224:225], v[8:9]
	s_delay_alu instid0(VALU_DEP_2) | instskip(NEXT) | instid1(VALU_DEP_2)
	v_fma_f64 v[212:213], v[224:225], v[232:233], -v[212:213]
	v_fma_f64 v[214:215], v[226:227], v[232:233], v[214:215]
	ds_load_2addr_b64 v[224:227], v234 offset0:68 offset1:69
	v_add_f64 v[88:89], v[88:89], -v[212:213]
	v_add_f64 v[90:91], v[90:91], -v[214:215]
	s_waitcnt lgkmcnt(0)
	v_mul_f64 v[212:213], v[226:227], v[8:9]
	v_mul_f64 v[214:215], v[224:225], v[8:9]
	s_delay_alu instid0(VALU_DEP_2) | instskip(NEXT) | instid1(VALU_DEP_2)
	v_fma_f64 v[212:213], v[224:225], v[232:233], -v[212:213]
	v_fma_f64 v[214:215], v[226:227], v[232:233], v[214:215]
	ds_load_2addr_b64 v[224:227], v234 offset0:70 offset1:71
	v_add_f64 v[84:85], v[84:85], -v[212:213]
	v_add_f64 v[86:87], v[86:87], -v[214:215]
	s_waitcnt lgkmcnt(0)
	v_mul_f64 v[212:213], v[226:227], v[8:9]
	v_mul_f64 v[214:215], v[224:225], v[8:9]
	s_delay_alu instid0(VALU_DEP_2) | instskip(NEXT) | instid1(VALU_DEP_2)
	v_fma_f64 v[212:213], v[224:225], v[232:233], -v[212:213]
	v_fma_f64 v[214:215], v[226:227], v[232:233], v[214:215]
	ds_load_2addr_b64 v[224:227], v234 offset0:72 offset1:73
	v_add_f64 v[80:81], v[80:81], -v[212:213]
	v_add_f64 v[82:83], v[82:83], -v[214:215]
	s_waitcnt lgkmcnt(0)
	v_mul_f64 v[212:213], v[226:227], v[8:9]
	v_mul_f64 v[214:215], v[224:225], v[8:9]
	s_delay_alu instid0(VALU_DEP_2) | instskip(NEXT) | instid1(VALU_DEP_2)
	v_fma_f64 v[212:213], v[224:225], v[232:233], -v[212:213]
	v_fma_f64 v[214:215], v[226:227], v[232:233], v[214:215]
	ds_load_2addr_b64 v[224:227], v234 offset0:74 offset1:75
	v_add_f64 v[76:77], v[76:77], -v[212:213]
	v_add_f64 v[78:79], v[78:79], -v[214:215]
	s_waitcnt lgkmcnt(0)
	v_mul_f64 v[212:213], v[226:227], v[8:9]
	v_mul_f64 v[214:215], v[224:225], v[8:9]
	s_delay_alu instid0(VALU_DEP_2) | instskip(NEXT) | instid1(VALU_DEP_2)
	v_fma_f64 v[212:213], v[224:225], v[232:233], -v[212:213]
	v_fma_f64 v[214:215], v[226:227], v[232:233], v[214:215]
	ds_load_2addr_b64 v[224:227], v234 offset0:76 offset1:77
	v_add_f64 v[72:73], v[72:73], -v[212:213]
	v_add_f64 v[74:75], v[74:75], -v[214:215]
	s_waitcnt lgkmcnt(0)
	v_mul_f64 v[212:213], v[226:227], v[8:9]
	v_mul_f64 v[214:215], v[224:225], v[8:9]
	s_delay_alu instid0(VALU_DEP_2) | instskip(NEXT) | instid1(VALU_DEP_2)
	v_fma_f64 v[212:213], v[224:225], v[232:233], -v[212:213]
	v_fma_f64 v[214:215], v[226:227], v[232:233], v[214:215]
	ds_load_2addr_b64 v[224:227], v234 offset0:78 offset1:79
	v_add_f64 v[68:69], v[68:69], -v[212:213]
	v_add_f64 v[70:71], v[70:71], -v[214:215]
	s_waitcnt lgkmcnt(0)
	v_mul_f64 v[212:213], v[226:227], v[8:9]
	v_mul_f64 v[214:215], v[224:225], v[8:9]
	s_delay_alu instid0(VALU_DEP_2) | instskip(NEXT) | instid1(VALU_DEP_2)
	v_fma_f64 v[212:213], v[224:225], v[232:233], -v[212:213]
	v_fma_f64 v[214:215], v[226:227], v[232:233], v[214:215]
	ds_load_2addr_b64 v[224:227], v234 offset0:80 offset1:81
	v_add_f64 v[64:65], v[64:65], -v[212:213]
	v_add_f64 v[66:67], v[66:67], -v[214:215]
	s_waitcnt lgkmcnt(0)
	v_mul_f64 v[212:213], v[226:227], v[8:9]
	v_mul_f64 v[214:215], v[224:225], v[8:9]
	s_delay_alu instid0(VALU_DEP_2) | instskip(NEXT) | instid1(VALU_DEP_2)
	v_fma_f64 v[212:213], v[224:225], v[232:233], -v[212:213]
	v_fma_f64 v[214:215], v[226:227], v[232:233], v[214:215]
	ds_load_2addr_b64 v[224:227], v234 offset0:82 offset1:83
	v_add_f64 v[60:61], v[60:61], -v[212:213]
	v_add_f64 v[62:63], v[62:63], -v[214:215]
	s_waitcnt lgkmcnt(0)
	v_mul_f64 v[212:213], v[226:227], v[8:9]
	v_mul_f64 v[214:215], v[224:225], v[8:9]
	s_delay_alu instid0(VALU_DEP_2) | instskip(NEXT) | instid1(VALU_DEP_2)
	v_fma_f64 v[212:213], v[224:225], v[232:233], -v[212:213]
	v_fma_f64 v[214:215], v[226:227], v[232:233], v[214:215]
	ds_load_2addr_b64 v[224:227], v234 offset0:84 offset1:85
	v_add_f64 v[56:57], v[56:57], -v[212:213]
	v_add_f64 v[58:59], v[58:59], -v[214:215]
	s_waitcnt lgkmcnt(0)
	v_mul_f64 v[212:213], v[226:227], v[8:9]
	v_mul_f64 v[214:215], v[224:225], v[8:9]
	s_delay_alu instid0(VALU_DEP_2) | instskip(NEXT) | instid1(VALU_DEP_2)
	v_fma_f64 v[212:213], v[224:225], v[232:233], -v[212:213]
	v_fma_f64 v[214:215], v[226:227], v[232:233], v[214:215]
	ds_load_2addr_b64 v[224:227], v234 offset0:86 offset1:87
	v_add_f64 v[52:53], v[52:53], -v[212:213]
	v_add_f64 v[54:55], v[54:55], -v[214:215]
	s_waitcnt lgkmcnt(0)
	v_mul_f64 v[212:213], v[226:227], v[8:9]
	v_mul_f64 v[214:215], v[224:225], v[8:9]
	s_delay_alu instid0(VALU_DEP_2) | instskip(NEXT) | instid1(VALU_DEP_2)
	v_fma_f64 v[212:213], v[224:225], v[232:233], -v[212:213]
	v_fma_f64 v[214:215], v[226:227], v[232:233], v[214:215]
	ds_load_2addr_b64 v[224:227], v234 offset0:88 offset1:89
	v_add_f64 v[48:49], v[48:49], -v[212:213]
	v_add_f64 v[50:51], v[50:51], -v[214:215]
	s_waitcnt lgkmcnt(0)
	v_mul_f64 v[212:213], v[226:227], v[8:9]
	v_mul_f64 v[214:215], v[224:225], v[8:9]
	s_delay_alu instid0(VALU_DEP_2) | instskip(NEXT) | instid1(VALU_DEP_2)
	v_fma_f64 v[212:213], v[224:225], v[232:233], -v[212:213]
	v_fma_f64 v[214:215], v[226:227], v[232:233], v[214:215]
	ds_load_2addr_b64 v[224:227], v234 offset0:90 offset1:91
	v_add_f64 v[44:45], v[44:45], -v[212:213]
	v_add_f64 v[46:47], v[46:47], -v[214:215]
	s_waitcnt lgkmcnt(0)
	v_mul_f64 v[212:213], v[226:227], v[8:9]
	v_mul_f64 v[214:215], v[224:225], v[8:9]
	s_delay_alu instid0(VALU_DEP_2) | instskip(NEXT) | instid1(VALU_DEP_2)
	v_fma_f64 v[212:213], v[224:225], v[232:233], -v[212:213]
	v_fma_f64 v[214:215], v[226:227], v[232:233], v[214:215]
	ds_load_2addr_b64 v[224:227], v234 offset0:92 offset1:93
	v_add_f64 v[40:41], v[40:41], -v[212:213]
	v_add_f64 v[42:43], v[42:43], -v[214:215]
	s_waitcnt lgkmcnt(0)
	v_mul_f64 v[212:213], v[226:227], v[8:9]
	v_mul_f64 v[214:215], v[224:225], v[8:9]
	s_delay_alu instid0(VALU_DEP_2) | instskip(NEXT) | instid1(VALU_DEP_2)
	v_fma_f64 v[212:213], v[224:225], v[232:233], -v[212:213]
	v_fma_f64 v[214:215], v[226:227], v[232:233], v[214:215]
	ds_load_2addr_b64 v[224:227], v234 offset0:94 offset1:95
	v_add_f64 v[36:37], v[36:37], -v[212:213]
	v_add_f64 v[38:39], v[38:39], -v[214:215]
	s_waitcnt lgkmcnt(0)
	v_mul_f64 v[212:213], v[226:227], v[8:9]
	v_mul_f64 v[214:215], v[224:225], v[8:9]
	s_delay_alu instid0(VALU_DEP_2) | instskip(NEXT) | instid1(VALU_DEP_2)
	v_fma_f64 v[212:213], v[224:225], v[232:233], -v[212:213]
	v_fma_f64 v[214:215], v[226:227], v[232:233], v[214:215]
	ds_load_2addr_b64 v[224:227], v234 offset0:96 offset1:97
	v_add_f64 v[32:33], v[32:33], -v[212:213]
	v_add_f64 v[34:35], v[34:35], -v[214:215]
	s_waitcnt lgkmcnt(0)
	v_mul_f64 v[212:213], v[226:227], v[8:9]
	v_mul_f64 v[214:215], v[224:225], v[8:9]
	s_delay_alu instid0(VALU_DEP_2) | instskip(NEXT) | instid1(VALU_DEP_2)
	v_fma_f64 v[212:213], v[224:225], v[232:233], -v[212:213]
	v_fma_f64 v[214:215], v[226:227], v[232:233], v[214:215]
	ds_load_2addr_b64 v[224:227], v234 offset0:98 offset1:99
	v_add_f64 v[28:29], v[28:29], -v[212:213]
	v_add_f64 v[30:31], v[30:31], -v[214:215]
	s_waitcnt lgkmcnt(0)
	v_mul_f64 v[212:213], v[226:227], v[8:9]
	v_mul_f64 v[214:215], v[224:225], v[8:9]
	s_delay_alu instid0(VALU_DEP_2) | instskip(NEXT) | instid1(VALU_DEP_2)
	v_fma_f64 v[212:213], v[224:225], v[232:233], -v[212:213]
	v_fma_f64 v[214:215], v[226:227], v[232:233], v[214:215]
	ds_load_2addr_b64 v[224:227], v234 offset0:100 offset1:101
	v_add_f64 v[24:25], v[24:25], -v[212:213]
	v_add_f64 v[26:27], v[26:27], -v[214:215]
	s_waitcnt lgkmcnt(0)
	v_mul_f64 v[212:213], v[226:227], v[8:9]
	v_mul_f64 v[214:215], v[224:225], v[8:9]
	s_delay_alu instid0(VALU_DEP_2) | instskip(NEXT) | instid1(VALU_DEP_2)
	v_fma_f64 v[212:213], v[224:225], v[232:233], -v[212:213]
	v_fma_f64 v[214:215], v[226:227], v[232:233], v[214:215]
	ds_load_2addr_b64 v[224:227], v234 offset0:102 offset1:103
	v_add_f64 v[20:21], v[20:21], -v[212:213]
	v_add_f64 v[22:23], v[22:23], -v[214:215]
	s_waitcnt lgkmcnt(0)
	v_mul_f64 v[212:213], v[226:227], v[8:9]
	v_mul_f64 v[214:215], v[224:225], v[8:9]
	s_delay_alu instid0(VALU_DEP_2) | instskip(NEXT) | instid1(VALU_DEP_2)
	v_fma_f64 v[212:213], v[224:225], v[232:233], -v[212:213]
	v_fma_f64 v[214:215], v[226:227], v[232:233], v[214:215]
	ds_load_2addr_b64 v[224:227], v234 offset0:104 offset1:105
	v_add_f64 v[16:17], v[16:17], -v[212:213]
	v_add_f64 v[18:19], v[18:19], -v[214:215]
	s_waitcnt lgkmcnt(0)
	v_mul_f64 v[212:213], v[226:227], v[8:9]
	v_mul_f64 v[214:215], v[224:225], v[8:9]
	s_delay_alu instid0(VALU_DEP_2) | instskip(NEXT) | instid1(VALU_DEP_2)
	v_fma_f64 v[212:213], v[224:225], v[232:233], -v[212:213]
	v_fma_f64 v[214:215], v[226:227], v[232:233], v[214:215]
	ds_load_2addr_b64 v[224:227], v234 offset0:106 offset1:107
	v_add_f64 v[12:13], v[12:13], -v[212:213]
	v_add_f64 v[14:15], v[14:15], -v[214:215]
	s_waitcnt lgkmcnt(0)
	v_mul_f64 v[212:213], v[226:227], v[8:9]
	v_mul_f64 v[214:215], v[224:225], v[8:9]
	s_delay_alu instid0(VALU_DEP_2) | instskip(NEXT) | instid1(VALU_DEP_2)
	v_fma_f64 v[212:213], v[224:225], v[232:233], -v[212:213]
	v_fma_f64 v[214:215], v[226:227], v[232:233], v[214:215]
	ds_load_2addr_b64 v[224:227], v234 offset0:108 offset1:109
	v_add_f64 v[249:250], v[249:250], -v[212:213]
	v_add_f64 v[251:252], v[251:252], -v[214:215]
	s_waitcnt lgkmcnt(0)
	v_mul_f64 v[212:213], v[226:227], v[8:9]
	v_mul_f64 v[214:215], v[224:225], v[8:9]
	s_delay_alu instid0(VALU_DEP_2) | instskip(NEXT) | instid1(VALU_DEP_2)
	v_fma_f64 v[212:213], v[224:225], v[232:233], -v[212:213]
	v_fma_f64 v[214:215], v[226:227], v[232:233], v[214:215]
	ds_load_2addr_b64 v[224:227], v234 offset0:110 offset1:111
	v_add_f64 v[228:229], v[228:229], -v[212:213]
	v_add_f64 v[230:231], v[230:231], -v[214:215]
	s_waitcnt lgkmcnt(0)
	v_mul_f64 v[212:213], v[226:227], v[8:9]
	v_mul_f64 v[214:215], v[224:225], v[8:9]
	s_delay_alu instid0(VALU_DEP_2) | instskip(NEXT) | instid1(VALU_DEP_2)
	v_fma_f64 v[212:213], v[224:225], v[232:233], -v[212:213]
	v_fma_f64 v[214:215], v[226:227], v[232:233], v[214:215]
	s_delay_alu instid0(VALU_DEP_2) | instskip(NEXT) | instid1(VALU_DEP_2)
	v_add_f64 v[0:1], v[0:1], -v[212:213]
	v_add_f64 v[2:3], v[2:3], -v[214:215]
.LBB110_63:
	s_or_b32 exec_lo, exec_lo, s2
	v_lshl_add_u32 v212, v240, 4, v234
	s_barrier
	buffer_gl0_inv
	v_mov_b32_e32 v232, 3
	ds_store_2addr_b64 v212, v[245:246], v[247:248] offset1:1
	s_waitcnt lgkmcnt(0)
	s_barrier
	buffer_gl0_inv
	ds_load_2addr_b64 v[224:227], v234 offset0:6 offset1:7
	s_cmp_lt_i32 s5, 5
	s_mov_b32 s6, 4
	s_cbranch_scc1 .LBB110_66
; %bb.64:
	v_add3_u32 v233, v238, 0, 64
	v_mov_b32_e32 v232, 3
	s_set_inst_prefetch_distance 0x1
	.p2align	6
.LBB110_65:                             ; =>This Inner Loop Header: Depth=1
	ds_load_2addr_b64 v[241:244], v233 offset1:1
	s_waitcnt lgkmcnt(1)
	v_cmp_gt_f64_e32 vcc_lo, 0, v[224:225]
	v_xor_b32_e32 v212, 0x80000000, v225
	v_cmp_gt_f64_e64 s2, 0, v[226:227]
	v_xor_b32_e32 v214, 0x80000000, v227
	v_add_nc_u32_e32 v233, 16, v233
	s_waitcnt lgkmcnt(0)
	v_cmp_gt_f64_e64 s3, 0, v[241:242]
	v_mov_b32_e32 v216, v241
	v_dual_mov_b32 v218, v243 :: v_dual_cndmask_b32 v213, v225, v212
	v_xor_b32_e32 v212, 0x80000000, v242
	v_cndmask_b32_e64 v215, v227, v214, s2
	v_xor_b32_e32 v214, 0x80000000, v244
	s_delay_alu instid0(VALU_DEP_3) | instskip(SKIP_2) | instid1(VALU_DEP_2)
	v_cndmask_b32_e64 v217, v242, v212, s3
	v_cmp_gt_f64_e64 s3, 0, v[243:244]
	v_cndmask_b32_e32 v212, v224, v224, vcc_lo
	v_cndmask_b32_e64 v219, v244, v214, s3
	v_cndmask_b32_e64 v214, v226, v226, s2
	s_delay_alu instid0(VALU_DEP_2) | instskip(NEXT) | instid1(VALU_DEP_2)
	v_add_f64 v[216:217], v[216:217], v[218:219]
	v_add_f64 v[212:213], v[212:213], v[214:215]
	s_delay_alu instid0(VALU_DEP_1) | instskip(SKIP_4) | instid1(SALU_CYCLE_1)
	v_cmp_lt_f64_e32 vcc_lo, v[212:213], v[216:217]
	v_dual_cndmask_b32 v225, v225, v242 :: v_dual_cndmask_b32 v224, v224, v241
	v_dual_cndmask_b32 v227, v227, v244 :: v_dual_cndmask_b32 v226, v226, v243
	v_cndmask_b32_e64 v232, v232, s6, vcc_lo
	s_add_i32 s6, s6, 1
	s_cmp_lg_u32 s5, s6
	s_cbranch_scc1 .LBB110_65
.LBB110_66:
	s_set_inst_prefetch_distance 0x2
	s_waitcnt lgkmcnt(0)
	v_cmp_eq_f64_e32 vcc_lo, 0, v[224:225]
	v_cmp_eq_f64_e64 s2, 0, v[226:227]
	s_delay_alu instid0(VALU_DEP_1) | instskip(NEXT) | instid1(SALU_CYCLE_1)
	s_and_b32 s2, vcc_lo, s2
	s_and_saveexec_b32 s3, s2
	s_delay_alu instid0(SALU_CYCLE_1)
	s_xor_b32 s2, exec_lo, s3
; %bb.67:
	v_cmp_ne_u32_e32 vcc_lo, 0, v237
	v_cndmask_b32_e32 v237, 4, v237, vcc_lo
; %bb.68:
	s_and_not1_saveexec_b32 s3, s2
	s_cbranch_execz .LBB110_74
; %bb.69:
	v_cmp_gt_f64_e32 vcc_lo, 0, v[224:225]
	v_cmp_gt_f64_e64 s2, 0, v[226:227]
	v_xor_b32_e32 v212, 0x80000000, v225
	v_xor_b32_e32 v214, 0x80000000, v227
	s_delay_alu instid0(VALU_DEP_2) | instskip(NEXT) | instid1(VALU_DEP_2)
	v_cndmask_b32_e32 v213, v225, v212, vcc_lo
	v_cndmask_b32_e64 v215, v227, v214, s2
	v_cndmask_b32_e32 v212, v224, v224, vcc_lo
	v_cndmask_b32_e64 v214, v226, v226, s2
	s_mov_b32 s2, exec_lo
	s_delay_alu instid0(VALU_DEP_1)
	v_cmpx_ngt_f64_e32 v[212:213], v[214:215]
	s_xor_b32 s2, exec_lo, s2
	s_cbranch_execz .LBB110_71
; %bb.70:
	v_div_scale_f64 v[212:213], null, v[226:227], v[226:227], v[224:225]
	v_div_scale_f64 v[218:219], vcc_lo, v[224:225], v[226:227], v[224:225]
	s_delay_alu instid0(VALU_DEP_2) | instskip(SKIP_2) | instid1(VALU_DEP_1)
	v_rcp_f64_e32 v[214:215], v[212:213]
	s_waitcnt_depctr 0xfff
	v_fma_f64 v[216:217], -v[212:213], v[214:215], 1.0
	v_fma_f64 v[214:215], v[214:215], v[216:217], v[214:215]
	s_delay_alu instid0(VALU_DEP_1) | instskip(NEXT) | instid1(VALU_DEP_1)
	v_fma_f64 v[216:217], -v[212:213], v[214:215], 1.0
	v_fma_f64 v[214:215], v[214:215], v[216:217], v[214:215]
	s_delay_alu instid0(VALU_DEP_1) | instskip(NEXT) | instid1(VALU_DEP_1)
	v_mul_f64 v[216:217], v[218:219], v[214:215]
	v_fma_f64 v[212:213], -v[212:213], v[216:217], v[218:219]
	s_delay_alu instid0(VALU_DEP_1) | instskip(NEXT) | instid1(VALU_DEP_1)
	v_div_fmas_f64 v[212:213], v[212:213], v[214:215], v[216:217]
	v_div_fixup_f64 v[212:213], v[212:213], v[226:227], v[224:225]
	s_delay_alu instid0(VALU_DEP_1) | instskip(NEXT) | instid1(VALU_DEP_1)
	v_fma_f64 v[214:215], v[224:225], v[212:213], v[226:227]
	v_div_scale_f64 v[216:217], null, v[214:215], v[214:215], 1.0
	s_delay_alu instid0(VALU_DEP_1) | instskip(SKIP_2) | instid1(VALU_DEP_1)
	v_rcp_f64_e32 v[218:219], v[216:217]
	s_waitcnt_depctr 0xfff
	v_fma_f64 v[220:221], -v[216:217], v[218:219], 1.0
	v_fma_f64 v[218:219], v[218:219], v[220:221], v[218:219]
	s_delay_alu instid0(VALU_DEP_1) | instskip(NEXT) | instid1(VALU_DEP_1)
	v_fma_f64 v[220:221], -v[216:217], v[218:219], 1.0
	v_fma_f64 v[218:219], v[218:219], v[220:221], v[218:219]
	v_div_scale_f64 v[220:221], vcc_lo, 1.0, v[214:215], 1.0
	s_delay_alu instid0(VALU_DEP_1) | instskip(NEXT) | instid1(VALU_DEP_1)
	v_mul_f64 v[222:223], v[220:221], v[218:219]
	v_fma_f64 v[216:217], -v[216:217], v[222:223], v[220:221]
	s_delay_alu instid0(VALU_DEP_1) | instskip(NEXT) | instid1(VALU_DEP_1)
	v_div_fmas_f64 v[216:217], v[216:217], v[218:219], v[222:223]
	v_div_fixup_f64 v[226:227], v[216:217], v[214:215], 1.0
	s_delay_alu instid0(VALU_DEP_1)
	v_mul_f64 v[224:225], v[212:213], v[226:227]
	v_xor_b32_e32 v227, 0x80000000, v227
.LBB110_71:
	s_and_not1_saveexec_b32 s2, s2
	s_cbranch_execz .LBB110_73
; %bb.72:
	s_delay_alu instid0(VALU_DEP_1) | instskip(SKIP_1) | instid1(VALU_DEP_2)
	v_div_scale_f64 v[212:213], null, v[224:225], v[224:225], v[226:227]
	v_div_scale_f64 v[218:219], vcc_lo, v[226:227], v[224:225], v[226:227]
	v_rcp_f64_e32 v[214:215], v[212:213]
	s_waitcnt_depctr 0xfff
	v_fma_f64 v[216:217], -v[212:213], v[214:215], 1.0
	s_delay_alu instid0(VALU_DEP_1) | instskip(NEXT) | instid1(VALU_DEP_1)
	v_fma_f64 v[214:215], v[214:215], v[216:217], v[214:215]
	v_fma_f64 v[216:217], -v[212:213], v[214:215], 1.0
	s_delay_alu instid0(VALU_DEP_1) | instskip(NEXT) | instid1(VALU_DEP_1)
	v_fma_f64 v[214:215], v[214:215], v[216:217], v[214:215]
	v_mul_f64 v[216:217], v[218:219], v[214:215]
	s_delay_alu instid0(VALU_DEP_1) | instskip(NEXT) | instid1(VALU_DEP_1)
	v_fma_f64 v[212:213], -v[212:213], v[216:217], v[218:219]
	v_div_fmas_f64 v[212:213], v[212:213], v[214:215], v[216:217]
	s_delay_alu instid0(VALU_DEP_1) | instskip(NEXT) | instid1(VALU_DEP_1)
	v_div_fixup_f64 v[212:213], v[212:213], v[224:225], v[226:227]
	v_fma_f64 v[214:215], v[226:227], v[212:213], v[224:225]
	s_delay_alu instid0(VALU_DEP_1) | instskip(NEXT) | instid1(VALU_DEP_1)
	v_div_scale_f64 v[216:217], null, v[214:215], v[214:215], 1.0
	v_rcp_f64_e32 v[218:219], v[216:217]
	s_waitcnt_depctr 0xfff
	v_fma_f64 v[220:221], -v[216:217], v[218:219], 1.0
	s_delay_alu instid0(VALU_DEP_1) | instskip(NEXT) | instid1(VALU_DEP_1)
	v_fma_f64 v[218:219], v[218:219], v[220:221], v[218:219]
	v_fma_f64 v[220:221], -v[216:217], v[218:219], 1.0
	s_delay_alu instid0(VALU_DEP_1) | instskip(SKIP_1) | instid1(VALU_DEP_1)
	v_fma_f64 v[218:219], v[218:219], v[220:221], v[218:219]
	v_div_scale_f64 v[220:221], vcc_lo, 1.0, v[214:215], 1.0
	v_mul_f64 v[222:223], v[220:221], v[218:219]
	s_delay_alu instid0(VALU_DEP_1) | instskip(NEXT) | instid1(VALU_DEP_1)
	v_fma_f64 v[216:217], -v[216:217], v[222:223], v[220:221]
	v_div_fmas_f64 v[216:217], v[216:217], v[218:219], v[222:223]
	s_delay_alu instid0(VALU_DEP_1) | instskip(NEXT) | instid1(VALU_DEP_1)
	v_div_fixup_f64 v[224:225], v[216:217], v[214:215], 1.0
	v_mul_f64 v[226:227], v[212:213], -v[224:225]
.LBB110_73:
	s_or_b32 exec_lo, exec_lo, s2
.LBB110_74:
	s_delay_alu instid0(SALU_CYCLE_1) | instskip(NEXT) | instid1(SALU_CYCLE_1)
	s_or_b32 exec_lo, exec_lo, s3
	s_mov_b32 s2, exec_lo
	v_cmpx_ne_u32_e64 v240, v232
	s_xor_b32 s2, exec_lo, s2
	s_cbranch_execz .LBB110_80
; %bb.75:
	s_mov_b32 s3, exec_lo
	v_cmpx_eq_u32_e32 3, v240
	s_cbranch_execz .LBB110_79
; %bb.76:
	v_cmp_ne_u32_e32 vcc_lo, 3, v232
	s_xor_b32 s6, s4, -1
	s_delay_alu instid0(SALU_CYCLE_1) | instskip(NEXT) | instid1(SALU_CYCLE_1)
	s_and_b32 s7, s6, vcc_lo
	s_and_saveexec_b32 s6, s7
	s_cbranch_execz .LBB110_78
; %bb.77:
	scratch_load_b64 v[10:11], off, off     ; 8-byte Folded Reload
	v_ashrrev_i32_e32 v233, 31, v232
	s_delay_alu instid0(VALU_DEP_1) | instskip(SKIP_1) | instid1(VALU_DEP_1)
	v_lshlrev_b64 v[212:213], 2, v[232:233]
	s_waitcnt vmcnt(0)
	v_add_co_u32 v212, vcc_lo, v10, v212
	s_delay_alu instid0(VALU_DEP_2)
	v_add_co_ci_u32_e32 v213, vcc_lo, v11, v213, vcc_lo
	s_clause 0x1
	flat_load_b32 v214, v[212:213]
	flat_load_b32 v215, v[10:11] offset:12
	s_waitcnt vmcnt(1) lgkmcnt(1)
	flat_store_b32 v[10:11], v214 offset:12
	s_waitcnt vmcnt(0) lgkmcnt(1)
	flat_store_b32 v[212:213], v215
.LBB110_78:
	s_or_b32 exec_lo, exec_lo, s6
	v_mov_b32_e32 v240, v232
	v_mov_b32_e32 v239, v232
.LBB110_79:
	s_or_b32 exec_lo, exec_lo, s3
.LBB110_80:
	s_and_not1_saveexec_b32 s2, s2
	s_cbranch_execz .LBB110_82
; %bb.81:
	v_mov_b32_e32 v240, 3
	ds_store_2addr_b64 v234, v[204:205], v[206:207] offset0:8 offset1:9
	ds_store_2addr_b64 v234, v[200:201], v[202:203] offset0:10 offset1:11
	;; [unrolled: 1-line block ×52, first 2 shown]
.LBB110_82:
	s_or_b32 exec_lo, exec_lo, s2
	s_delay_alu instid0(SALU_CYCLE_1)
	s_mov_b32 s2, exec_lo
	s_waitcnt lgkmcnt(0)
	s_waitcnt_vscnt null, 0x0
	s_barrier
	buffer_gl0_inv
	v_cmpx_lt_i32_e32 3, v240
	s_cbranch_execz .LBB110_84
; %bb.83:
	v_dual_mov_b32 v217, v211 :: v_dual_mov_b32 v216, v210
	v_dual_mov_b32 v215, v209 :: v_dual_mov_b32 v214, v208
	v_mul_f64 v[210:211], v[224:225], v[247:248]
	v_mul_f64 v[212:213], v[226:227], v[247:248]
	s_delay_alu instid0(VALU_DEP_2) | instskip(NEXT) | instid1(VALU_DEP_2)
	v_fma_f64 v[247:248], v[226:227], v[245:246], v[210:211]
	v_fma_f64 v[232:233], v[224:225], v[245:246], -v[212:213]
	ds_load_2addr_b64 v[224:227], v234 offset0:8 offset1:9
	s_waitcnt lgkmcnt(0)
	v_mul_f64 v[208:209], v[226:227], v[247:248]
	v_mul_f64 v[212:213], v[224:225], v[247:248]
	v_dual_mov_b32 v246, v233 :: v_dual_mov_b32 v245, v232
	s_delay_alu instid0(VALU_DEP_3) | instskip(NEXT) | instid1(VALU_DEP_3)
	v_fma_f64 v[208:209], v[224:225], v[232:233], -v[208:209]
	v_fma_f64 v[212:213], v[226:227], v[232:233], v[212:213]
	ds_load_2addr_b64 v[224:227], v234 offset0:10 offset1:11
	v_add_f64 v[204:205], v[204:205], -v[208:209]
	v_add_f64 v[206:207], v[206:207], -v[212:213]
	s_waitcnt lgkmcnt(0)
	v_mul_f64 v[208:209], v[226:227], v[247:248]
	v_mul_f64 v[212:213], v[224:225], v[247:248]
	s_delay_alu instid0(VALU_DEP_2) | instskip(NEXT) | instid1(VALU_DEP_2)
	v_fma_f64 v[208:209], v[224:225], v[232:233], -v[208:209]
	v_fma_f64 v[212:213], v[226:227], v[232:233], v[212:213]
	ds_load_2addr_b64 v[224:227], v234 offset0:12 offset1:13
	v_add_f64 v[200:201], v[200:201], -v[208:209]
	v_add_f64 v[202:203], v[202:203], -v[212:213]
	s_waitcnt lgkmcnt(0)
	v_mul_f64 v[208:209], v[226:227], v[247:248]
	v_mul_f64 v[212:213], v[224:225], v[247:248]
	s_delay_alu instid0(VALU_DEP_2) | instskip(NEXT) | instid1(VALU_DEP_2)
	;; [unrolled: 9-line block ×51, first 2 shown]
	v_fma_f64 v[208:209], v[224:225], v[232:233], -v[208:209]
	v_fma_f64 v[212:213], v[226:227], v[232:233], v[212:213]
	s_delay_alu instid0(VALU_DEP_2) | instskip(NEXT) | instid1(VALU_DEP_2)
	v_add_f64 v[0:1], v[0:1], -v[208:209]
	v_add_f64 v[2:3], v[2:3], -v[212:213]
	v_dual_mov_b32 v208, v214 :: v_dual_mov_b32 v209, v215
	v_dual_mov_b32 v210, v216 :: v_dual_mov_b32 v211, v217
.LBB110_84:
	s_or_b32 exec_lo, exec_lo, s2
	v_lshl_add_u32 v212, v240, 4, v234
	s_barrier
	buffer_gl0_inv
	v_mov_b32_e32 v232, 4
	ds_store_2addr_b64 v212, v[204:205], v[206:207] offset1:1
	s_waitcnt lgkmcnt(0)
	s_barrier
	buffer_gl0_inv
	ds_load_2addr_b64 v[224:227], v234 offset0:8 offset1:9
	s_cmp_lt_i32 s5, 6
	s_cbranch_scc1 .LBB110_87
; %bb.85:
	v_add3_u32 v233, v238, 0, 0x50
	v_mov_b32_e32 v232, 4
	s_mov_b32 s6, 5
	s_set_inst_prefetch_distance 0x1
	.p2align	6
.LBB110_86:                             ; =>This Inner Loop Header: Depth=1
	ds_load_2addr_b64 v[241:244], v233 offset1:1
	s_waitcnt lgkmcnt(1)
	v_cmp_gt_f64_e32 vcc_lo, 0, v[224:225]
	v_xor_b32_e32 v212, 0x80000000, v225
	v_cmp_gt_f64_e64 s2, 0, v[226:227]
	v_xor_b32_e32 v214, 0x80000000, v227
	v_add_nc_u32_e32 v233, 16, v233
	s_waitcnt lgkmcnt(0)
	v_cmp_gt_f64_e64 s3, 0, v[241:242]
	v_mov_b32_e32 v216, v241
	v_dual_mov_b32 v218, v243 :: v_dual_cndmask_b32 v213, v225, v212
	v_xor_b32_e32 v212, 0x80000000, v242
	v_cndmask_b32_e64 v215, v227, v214, s2
	v_xor_b32_e32 v214, 0x80000000, v244
	s_delay_alu instid0(VALU_DEP_3) | instskip(SKIP_2) | instid1(VALU_DEP_2)
	v_cndmask_b32_e64 v217, v242, v212, s3
	v_cmp_gt_f64_e64 s3, 0, v[243:244]
	v_cndmask_b32_e32 v212, v224, v224, vcc_lo
	v_cndmask_b32_e64 v219, v244, v214, s3
	v_cndmask_b32_e64 v214, v226, v226, s2
	s_delay_alu instid0(VALU_DEP_2) | instskip(NEXT) | instid1(VALU_DEP_2)
	v_add_f64 v[216:217], v[216:217], v[218:219]
	v_add_f64 v[212:213], v[212:213], v[214:215]
	s_delay_alu instid0(VALU_DEP_1) | instskip(SKIP_4) | instid1(SALU_CYCLE_1)
	v_cmp_lt_f64_e32 vcc_lo, v[212:213], v[216:217]
	v_dual_cndmask_b32 v225, v225, v242 :: v_dual_cndmask_b32 v224, v224, v241
	v_dual_cndmask_b32 v227, v227, v244 :: v_dual_cndmask_b32 v226, v226, v243
	v_cndmask_b32_e64 v232, v232, s6, vcc_lo
	s_add_i32 s6, s6, 1
	s_cmp_lg_u32 s5, s6
	s_cbranch_scc1 .LBB110_86
.LBB110_87:
	s_set_inst_prefetch_distance 0x2
	s_waitcnt lgkmcnt(0)
	v_cmp_eq_f64_e32 vcc_lo, 0, v[224:225]
	v_cmp_eq_f64_e64 s2, 0, v[226:227]
	s_delay_alu instid0(VALU_DEP_1) | instskip(NEXT) | instid1(SALU_CYCLE_1)
	s_and_b32 s2, vcc_lo, s2
	s_and_saveexec_b32 s3, s2
	s_delay_alu instid0(SALU_CYCLE_1)
	s_xor_b32 s2, exec_lo, s3
; %bb.88:
	v_cmp_ne_u32_e32 vcc_lo, 0, v237
	v_cndmask_b32_e32 v237, 5, v237, vcc_lo
; %bb.89:
	s_and_not1_saveexec_b32 s3, s2
	s_cbranch_execz .LBB110_95
; %bb.90:
	v_cmp_gt_f64_e32 vcc_lo, 0, v[224:225]
	v_cmp_gt_f64_e64 s2, 0, v[226:227]
	v_xor_b32_e32 v212, 0x80000000, v225
	v_xor_b32_e32 v214, 0x80000000, v227
	s_delay_alu instid0(VALU_DEP_2) | instskip(NEXT) | instid1(VALU_DEP_2)
	v_cndmask_b32_e32 v213, v225, v212, vcc_lo
	v_cndmask_b32_e64 v215, v227, v214, s2
	v_cndmask_b32_e32 v212, v224, v224, vcc_lo
	v_cndmask_b32_e64 v214, v226, v226, s2
	s_mov_b32 s2, exec_lo
	s_delay_alu instid0(VALU_DEP_1)
	v_cmpx_ngt_f64_e32 v[212:213], v[214:215]
	s_xor_b32 s2, exec_lo, s2
	s_cbranch_execz .LBB110_92
; %bb.91:
	v_div_scale_f64 v[212:213], null, v[226:227], v[226:227], v[224:225]
	v_div_scale_f64 v[218:219], vcc_lo, v[224:225], v[226:227], v[224:225]
	s_delay_alu instid0(VALU_DEP_2) | instskip(SKIP_2) | instid1(VALU_DEP_1)
	v_rcp_f64_e32 v[214:215], v[212:213]
	s_waitcnt_depctr 0xfff
	v_fma_f64 v[216:217], -v[212:213], v[214:215], 1.0
	v_fma_f64 v[214:215], v[214:215], v[216:217], v[214:215]
	s_delay_alu instid0(VALU_DEP_1) | instskip(NEXT) | instid1(VALU_DEP_1)
	v_fma_f64 v[216:217], -v[212:213], v[214:215], 1.0
	v_fma_f64 v[214:215], v[214:215], v[216:217], v[214:215]
	s_delay_alu instid0(VALU_DEP_1) | instskip(NEXT) | instid1(VALU_DEP_1)
	v_mul_f64 v[216:217], v[218:219], v[214:215]
	v_fma_f64 v[212:213], -v[212:213], v[216:217], v[218:219]
	s_delay_alu instid0(VALU_DEP_1) | instskip(NEXT) | instid1(VALU_DEP_1)
	v_div_fmas_f64 v[212:213], v[212:213], v[214:215], v[216:217]
	v_div_fixup_f64 v[212:213], v[212:213], v[226:227], v[224:225]
	s_delay_alu instid0(VALU_DEP_1) | instskip(NEXT) | instid1(VALU_DEP_1)
	v_fma_f64 v[214:215], v[224:225], v[212:213], v[226:227]
	v_div_scale_f64 v[216:217], null, v[214:215], v[214:215], 1.0
	s_delay_alu instid0(VALU_DEP_1) | instskip(SKIP_2) | instid1(VALU_DEP_1)
	v_rcp_f64_e32 v[218:219], v[216:217]
	s_waitcnt_depctr 0xfff
	v_fma_f64 v[220:221], -v[216:217], v[218:219], 1.0
	v_fma_f64 v[218:219], v[218:219], v[220:221], v[218:219]
	s_delay_alu instid0(VALU_DEP_1) | instskip(NEXT) | instid1(VALU_DEP_1)
	v_fma_f64 v[220:221], -v[216:217], v[218:219], 1.0
	v_fma_f64 v[218:219], v[218:219], v[220:221], v[218:219]
	v_div_scale_f64 v[220:221], vcc_lo, 1.0, v[214:215], 1.0
	s_delay_alu instid0(VALU_DEP_1) | instskip(NEXT) | instid1(VALU_DEP_1)
	v_mul_f64 v[222:223], v[220:221], v[218:219]
	v_fma_f64 v[216:217], -v[216:217], v[222:223], v[220:221]
	s_delay_alu instid0(VALU_DEP_1) | instskip(NEXT) | instid1(VALU_DEP_1)
	v_div_fmas_f64 v[216:217], v[216:217], v[218:219], v[222:223]
	v_div_fixup_f64 v[226:227], v[216:217], v[214:215], 1.0
	s_delay_alu instid0(VALU_DEP_1)
	v_mul_f64 v[224:225], v[212:213], v[226:227]
	v_xor_b32_e32 v227, 0x80000000, v227
.LBB110_92:
	s_and_not1_saveexec_b32 s2, s2
	s_cbranch_execz .LBB110_94
; %bb.93:
	s_delay_alu instid0(VALU_DEP_1) | instskip(SKIP_1) | instid1(VALU_DEP_2)
	v_div_scale_f64 v[212:213], null, v[224:225], v[224:225], v[226:227]
	v_div_scale_f64 v[218:219], vcc_lo, v[226:227], v[224:225], v[226:227]
	v_rcp_f64_e32 v[214:215], v[212:213]
	s_waitcnt_depctr 0xfff
	v_fma_f64 v[216:217], -v[212:213], v[214:215], 1.0
	s_delay_alu instid0(VALU_DEP_1) | instskip(NEXT) | instid1(VALU_DEP_1)
	v_fma_f64 v[214:215], v[214:215], v[216:217], v[214:215]
	v_fma_f64 v[216:217], -v[212:213], v[214:215], 1.0
	s_delay_alu instid0(VALU_DEP_1) | instskip(NEXT) | instid1(VALU_DEP_1)
	v_fma_f64 v[214:215], v[214:215], v[216:217], v[214:215]
	v_mul_f64 v[216:217], v[218:219], v[214:215]
	s_delay_alu instid0(VALU_DEP_1) | instskip(NEXT) | instid1(VALU_DEP_1)
	v_fma_f64 v[212:213], -v[212:213], v[216:217], v[218:219]
	v_div_fmas_f64 v[212:213], v[212:213], v[214:215], v[216:217]
	s_delay_alu instid0(VALU_DEP_1) | instskip(NEXT) | instid1(VALU_DEP_1)
	v_div_fixup_f64 v[212:213], v[212:213], v[224:225], v[226:227]
	v_fma_f64 v[214:215], v[226:227], v[212:213], v[224:225]
	s_delay_alu instid0(VALU_DEP_1) | instskip(NEXT) | instid1(VALU_DEP_1)
	v_div_scale_f64 v[216:217], null, v[214:215], v[214:215], 1.0
	v_rcp_f64_e32 v[218:219], v[216:217]
	s_waitcnt_depctr 0xfff
	v_fma_f64 v[220:221], -v[216:217], v[218:219], 1.0
	s_delay_alu instid0(VALU_DEP_1) | instskip(NEXT) | instid1(VALU_DEP_1)
	v_fma_f64 v[218:219], v[218:219], v[220:221], v[218:219]
	v_fma_f64 v[220:221], -v[216:217], v[218:219], 1.0
	s_delay_alu instid0(VALU_DEP_1) | instskip(SKIP_1) | instid1(VALU_DEP_1)
	v_fma_f64 v[218:219], v[218:219], v[220:221], v[218:219]
	v_div_scale_f64 v[220:221], vcc_lo, 1.0, v[214:215], 1.0
	v_mul_f64 v[222:223], v[220:221], v[218:219]
	s_delay_alu instid0(VALU_DEP_1) | instskip(NEXT) | instid1(VALU_DEP_1)
	v_fma_f64 v[216:217], -v[216:217], v[222:223], v[220:221]
	v_div_fmas_f64 v[216:217], v[216:217], v[218:219], v[222:223]
	s_delay_alu instid0(VALU_DEP_1) | instskip(NEXT) | instid1(VALU_DEP_1)
	v_div_fixup_f64 v[224:225], v[216:217], v[214:215], 1.0
	v_mul_f64 v[226:227], v[212:213], -v[224:225]
.LBB110_94:
	s_or_b32 exec_lo, exec_lo, s2
.LBB110_95:
	s_delay_alu instid0(SALU_CYCLE_1) | instskip(NEXT) | instid1(SALU_CYCLE_1)
	s_or_b32 exec_lo, exec_lo, s3
	s_mov_b32 s2, exec_lo
	v_cmpx_ne_u32_e64 v240, v232
	s_xor_b32 s2, exec_lo, s2
	s_cbranch_execz .LBB110_101
; %bb.96:
	s_mov_b32 s3, exec_lo
	v_cmpx_eq_u32_e32 4, v240
	s_cbranch_execz .LBB110_100
; %bb.97:
	v_cmp_ne_u32_e32 vcc_lo, 4, v232
	s_xor_b32 s6, s4, -1
	s_delay_alu instid0(SALU_CYCLE_1) | instskip(NEXT) | instid1(SALU_CYCLE_1)
	s_and_b32 s7, s6, vcc_lo
	s_and_saveexec_b32 s6, s7
	s_cbranch_execz .LBB110_99
; %bb.98:
	scratch_load_b64 v[10:11], off, off     ; 8-byte Folded Reload
	v_ashrrev_i32_e32 v233, 31, v232
	s_delay_alu instid0(VALU_DEP_1) | instskip(SKIP_1) | instid1(VALU_DEP_1)
	v_lshlrev_b64 v[212:213], 2, v[232:233]
	s_waitcnt vmcnt(0)
	v_add_co_u32 v212, vcc_lo, v10, v212
	s_delay_alu instid0(VALU_DEP_2)
	v_add_co_ci_u32_e32 v213, vcc_lo, v11, v213, vcc_lo
	s_clause 0x1
	flat_load_b32 v214, v[212:213]
	flat_load_b32 v215, v[10:11] offset:16
	s_waitcnt vmcnt(1) lgkmcnt(1)
	flat_store_b32 v[10:11], v214 offset:16
	s_waitcnt vmcnt(0) lgkmcnt(1)
	flat_store_b32 v[212:213], v215
.LBB110_99:
	s_or_b32 exec_lo, exec_lo, s6
	v_mov_b32_e32 v240, v232
	v_mov_b32_e32 v239, v232
.LBB110_100:
	s_or_b32 exec_lo, exec_lo, s3
.LBB110_101:
	s_and_not1_saveexec_b32 s2, s2
	s_cbranch_execz .LBB110_103
; %bb.102:
	v_mov_b32_e32 v240, 4
	ds_store_2addr_b64 v234, v[200:201], v[202:203] offset0:10 offset1:11
	ds_store_2addr_b64 v234, v[196:197], v[198:199] offset0:12 offset1:13
	;; [unrolled: 1-line block ×51, first 2 shown]
.LBB110_103:
	s_or_b32 exec_lo, exec_lo, s2
	s_delay_alu instid0(SALU_CYCLE_1)
	s_mov_b32 s2, exec_lo
	s_waitcnt lgkmcnt(0)
	s_waitcnt_vscnt null, 0x0
	s_barrier
	buffer_gl0_inv
	v_cmpx_lt_i32_e32 4, v240
	s_cbranch_execz .LBB110_105
; %bb.104:
	v_mul_f64 v[212:213], v[226:227], v[206:207]
	v_mul_f64 v[206:207], v[224:225], v[206:207]
	s_delay_alu instid0(VALU_DEP_2) | instskip(NEXT) | instid1(VALU_DEP_2)
	v_fma_f64 v[232:233], v[224:225], v[204:205], -v[212:213]
	v_fma_f64 v[206:207], v[226:227], v[204:205], v[206:207]
	ds_load_2addr_b64 v[224:227], v234 offset0:10 offset1:11
	s_waitcnt lgkmcnt(0)
	v_mul_f64 v[204:205], v[226:227], v[206:207]
	v_mul_f64 v[212:213], v[224:225], v[206:207]
	s_delay_alu instid0(VALU_DEP_2) | instskip(NEXT) | instid1(VALU_DEP_2)
	v_fma_f64 v[204:205], v[224:225], v[232:233], -v[204:205]
	v_fma_f64 v[212:213], v[226:227], v[232:233], v[212:213]
	ds_load_2addr_b64 v[224:227], v234 offset0:12 offset1:13
	v_add_f64 v[200:201], v[200:201], -v[204:205]
	v_add_f64 v[202:203], v[202:203], -v[212:213]
	s_waitcnt lgkmcnt(0)
	v_mul_f64 v[204:205], v[226:227], v[206:207]
	v_mul_f64 v[212:213], v[224:225], v[206:207]
	s_delay_alu instid0(VALU_DEP_2) | instskip(NEXT) | instid1(VALU_DEP_2)
	v_fma_f64 v[204:205], v[224:225], v[232:233], -v[204:205]
	v_fma_f64 v[212:213], v[226:227], v[232:233], v[212:213]
	ds_load_2addr_b64 v[224:227], v234 offset0:14 offset1:15
	v_add_f64 v[196:197], v[196:197], -v[204:205]
	v_add_f64 v[198:199], v[198:199], -v[212:213]
	;; [unrolled: 9-line block ×50, first 2 shown]
	s_waitcnt lgkmcnt(0)
	v_mul_f64 v[204:205], v[226:227], v[206:207]
	v_mul_f64 v[212:213], v[224:225], v[206:207]
	s_delay_alu instid0(VALU_DEP_2) | instskip(NEXT) | instid1(VALU_DEP_2)
	v_fma_f64 v[204:205], v[224:225], v[232:233], -v[204:205]
	v_fma_f64 v[212:213], v[226:227], v[232:233], v[212:213]
	s_delay_alu instid0(VALU_DEP_2) | instskip(NEXT) | instid1(VALU_DEP_2)
	v_add_f64 v[0:1], v[0:1], -v[204:205]
	v_add_f64 v[2:3], v[2:3], -v[212:213]
	v_dual_mov_b32 v204, v232 :: v_dual_mov_b32 v205, v233
.LBB110_105:
	s_or_b32 exec_lo, exec_lo, s2
	v_lshl_add_u32 v212, v240, 4, v234
	s_barrier
	buffer_gl0_inv
	v_mov_b32_e32 v232, 5
	ds_store_2addr_b64 v212, v[200:201], v[202:203] offset1:1
	s_waitcnt lgkmcnt(0)
	s_barrier
	buffer_gl0_inv
	ds_load_2addr_b64 v[224:227], v234 offset0:10 offset1:11
	s_cmp_lt_i32 s5, 7
	s_cbranch_scc1 .LBB110_108
; %bb.106:
	v_add3_u32 v233, v238, 0, 0x60
	v_mov_b32_e32 v232, 5
	s_mov_b32 s6, 6
	s_set_inst_prefetch_distance 0x1
	.p2align	6
.LBB110_107:                            ; =>This Inner Loop Header: Depth=1
	ds_load_2addr_b64 v[241:244], v233 offset1:1
	s_waitcnt lgkmcnt(1)
	v_cmp_gt_f64_e32 vcc_lo, 0, v[224:225]
	v_xor_b32_e32 v212, 0x80000000, v225
	v_cmp_gt_f64_e64 s2, 0, v[226:227]
	v_xor_b32_e32 v214, 0x80000000, v227
	v_add_nc_u32_e32 v233, 16, v233
	s_waitcnt lgkmcnt(0)
	v_cmp_gt_f64_e64 s3, 0, v[241:242]
	v_mov_b32_e32 v216, v241
	v_dual_mov_b32 v218, v243 :: v_dual_cndmask_b32 v213, v225, v212
	v_xor_b32_e32 v212, 0x80000000, v242
	v_cndmask_b32_e64 v215, v227, v214, s2
	v_xor_b32_e32 v214, 0x80000000, v244
	s_delay_alu instid0(VALU_DEP_3) | instskip(SKIP_2) | instid1(VALU_DEP_2)
	v_cndmask_b32_e64 v217, v242, v212, s3
	v_cmp_gt_f64_e64 s3, 0, v[243:244]
	v_cndmask_b32_e32 v212, v224, v224, vcc_lo
	v_cndmask_b32_e64 v219, v244, v214, s3
	v_cndmask_b32_e64 v214, v226, v226, s2
	s_delay_alu instid0(VALU_DEP_2) | instskip(NEXT) | instid1(VALU_DEP_2)
	v_add_f64 v[216:217], v[216:217], v[218:219]
	v_add_f64 v[212:213], v[212:213], v[214:215]
	s_delay_alu instid0(VALU_DEP_1) | instskip(SKIP_4) | instid1(SALU_CYCLE_1)
	v_cmp_lt_f64_e32 vcc_lo, v[212:213], v[216:217]
	v_dual_cndmask_b32 v225, v225, v242 :: v_dual_cndmask_b32 v224, v224, v241
	v_dual_cndmask_b32 v227, v227, v244 :: v_dual_cndmask_b32 v226, v226, v243
	v_cndmask_b32_e64 v232, v232, s6, vcc_lo
	s_add_i32 s6, s6, 1
	s_cmp_lg_u32 s5, s6
	s_cbranch_scc1 .LBB110_107
.LBB110_108:
	s_set_inst_prefetch_distance 0x2
	s_waitcnt lgkmcnt(0)
	v_cmp_eq_f64_e32 vcc_lo, 0, v[224:225]
	v_cmp_eq_f64_e64 s2, 0, v[226:227]
	s_delay_alu instid0(VALU_DEP_1) | instskip(NEXT) | instid1(SALU_CYCLE_1)
	s_and_b32 s2, vcc_lo, s2
	s_and_saveexec_b32 s3, s2
	s_delay_alu instid0(SALU_CYCLE_1)
	s_xor_b32 s2, exec_lo, s3
; %bb.109:
	v_cmp_ne_u32_e32 vcc_lo, 0, v237
	v_cndmask_b32_e32 v237, 6, v237, vcc_lo
; %bb.110:
	s_and_not1_saveexec_b32 s3, s2
	s_cbranch_execz .LBB110_116
; %bb.111:
	v_cmp_gt_f64_e32 vcc_lo, 0, v[224:225]
	v_cmp_gt_f64_e64 s2, 0, v[226:227]
	v_xor_b32_e32 v212, 0x80000000, v225
	v_xor_b32_e32 v214, 0x80000000, v227
	s_delay_alu instid0(VALU_DEP_2) | instskip(NEXT) | instid1(VALU_DEP_2)
	v_cndmask_b32_e32 v213, v225, v212, vcc_lo
	v_cndmask_b32_e64 v215, v227, v214, s2
	v_cndmask_b32_e32 v212, v224, v224, vcc_lo
	v_cndmask_b32_e64 v214, v226, v226, s2
	s_mov_b32 s2, exec_lo
	s_delay_alu instid0(VALU_DEP_1)
	v_cmpx_ngt_f64_e32 v[212:213], v[214:215]
	s_xor_b32 s2, exec_lo, s2
	s_cbranch_execz .LBB110_113
; %bb.112:
	v_div_scale_f64 v[212:213], null, v[226:227], v[226:227], v[224:225]
	v_div_scale_f64 v[218:219], vcc_lo, v[224:225], v[226:227], v[224:225]
	s_delay_alu instid0(VALU_DEP_2) | instskip(SKIP_2) | instid1(VALU_DEP_1)
	v_rcp_f64_e32 v[214:215], v[212:213]
	s_waitcnt_depctr 0xfff
	v_fma_f64 v[216:217], -v[212:213], v[214:215], 1.0
	v_fma_f64 v[214:215], v[214:215], v[216:217], v[214:215]
	s_delay_alu instid0(VALU_DEP_1) | instskip(NEXT) | instid1(VALU_DEP_1)
	v_fma_f64 v[216:217], -v[212:213], v[214:215], 1.0
	v_fma_f64 v[214:215], v[214:215], v[216:217], v[214:215]
	s_delay_alu instid0(VALU_DEP_1) | instskip(NEXT) | instid1(VALU_DEP_1)
	v_mul_f64 v[216:217], v[218:219], v[214:215]
	v_fma_f64 v[212:213], -v[212:213], v[216:217], v[218:219]
	s_delay_alu instid0(VALU_DEP_1) | instskip(NEXT) | instid1(VALU_DEP_1)
	v_div_fmas_f64 v[212:213], v[212:213], v[214:215], v[216:217]
	v_div_fixup_f64 v[212:213], v[212:213], v[226:227], v[224:225]
	s_delay_alu instid0(VALU_DEP_1) | instskip(NEXT) | instid1(VALU_DEP_1)
	v_fma_f64 v[214:215], v[224:225], v[212:213], v[226:227]
	v_div_scale_f64 v[216:217], null, v[214:215], v[214:215], 1.0
	s_delay_alu instid0(VALU_DEP_1) | instskip(SKIP_2) | instid1(VALU_DEP_1)
	v_rcp_f64_e32 v[218:219], v[216:217]
	s_waitcnt_depctr 0xfff
	v_fma_f64 v[220:221], -v[216:217], v[218:219], 1.0
	v_fma_f64 v[218:219], v[218:219], v[220:221], v[218:219]
	s_delay_alu instid0(VALU_DEP_1) | instskip(NEXT) | instid1(VALU_DEP_1)
	v_fma_f64 v[220:221], -v[216:217], v[218:219], 1.0
	v_fma_f64 v[218:219], v[218:219], v[220:221], v[218:219]
	v_div_scale_f64 v[220:221], vcc_lo, 1.0, v[214:215], 1.0
	s_delay_alu instid0(VALU_DEP_1) | instskip(NEXT) | instid1(VALU_DEP_1)
	v_mul_f64 v[222:223], v[220:221], v[218:219]
	v_fma_f64 v[216:217], -v[216:217], v[222:223], v[220:221]
	s_delay_alu instid0(VALU_DEP_1) | instskip(NEXT) | instid1(VALU_DEP_1)
	v_div_fmas_f64 v[216:217], v[216:217], v[218:219], v[222:223]
	v_div_fixup_f64 v[226:227], v[216:217], v[214:215], 1.0
	s_delay_alu instid0(VALU_DEP_1)
	v_mul_f64 v[224:225], v[212:213], v[226:227]
	v_xor_b32_e32 v227, 0x80000000, v227
.LBB110_113:
	s_and_not1_saveexec_b32 s2, s2
	s_cbranch_execz .LBB110_115
; %bb.114:
	s_delay_alu instid0(VALU_DEP_1) | instskip(SKIP_1) | instid1(VALU_DEP_2)
	v_div_scale_f64 v[212:213], null, v[224:225], v[224:225], v[226:227]
	v_div_scale_f64 v[218:219], vcc_lo, v[226:227], v[224:225], v[226:227]
	v_rcp_f64_e32 v[214:215], v[212:213]
	s_waitcnt_depctr 0xfff
	v_fma_f64 v[216:217], -v[212:213], v[214:215], 1.0
	s_delay_alu instid0(VALU_DEP_1) | instskip(NEXT) | instid1(VALU_DEP_1)
	v_fma_f64 v[214:215], v[214:215], v[216:217], v[214:215]
	v_fma_f64 v[216:217], -v[212:213], v[214:215], 1.0
	s_delay_alu instid0(VALU_DEP_1) | instskip(NEXT) | instid1(VALU_DEP_1)
	v_fma_f64 v[214:215], v[214:215], v[216:217], v[214:215]
	v_mul_f64 v[216:217], v[218:219], v[214:215]
	s_delay_alu instid0(VALU_DEP_1) | instskip(NEXT) | instid1(VALU_DEP_1)
	v_fma_f64 v[212:213], -v[212:213], v[216:217], v[218:219]
	v_div_fmas_f64 v[212:213], v[212:213], v[214:215], v[216:217]
	s_delay_alu instid0(VALU_DEP_1) | instskip(NEXT) | instid1(VALU_DEP_1)
	v_div_fixup_f64 v[212:213], v[212:213], v[224:225], v[226:227]
	v_fma_f64 v[214:215], v[226:227], v[212:213], v[224:225]
	s_delay_alu instid0(VALU_DEP_1) | instskip(NEXT) | instid1(VALU_DEP_1)
	v_div_scale_f64 v[216:217], null, v[214:215], v[214:215], 1.0
	v_rcp_f64_e32 v[218:219], v[216:217]
	s_waitcnt_depctr 0xfff
	v_fma_f64 v[220:221], -v[216:217], v[218:219], 1.0
	s_delay_alu instid0(VALU_DEP_1) | instskip(NEXT) | instid1(VALU_DEP_1)
	v_fma_f64 v[218:219], v[218:219], v[220:221], v[218:219]
	v_fma_f64 v[220:221], -v[216:217], v[218:219], 1.0
	s_delay_alu instid0(VALU_DEP_1) | instskip(SKIP_1) | instid1(VALU_DEP_1)
	v_fma_f64 v[218:219], v[218:219], v[220:221], v[218:219]
	v_div_scale_f64 v[220:221], vcc_lo, 1.0, v[214:215], 1.0
	v_mul_f64 v[222:223], v[220:221], v[218:219]
	s_delay_alu instid0(VALU_DEP_1) | instskip(NEXT) | instid1(VALU_DEP_1)
	v_fma_f64 v[216:217], -v[216:217], v[222:223], v[220:221]
	v_div_fmas_f64 v[216:217], v[216:217], v[218:219], v[222:223]
	s_delay_alu instid0(VALU_DEP_1) | instskip(NEXT) | instid1(VALU_DEP_1)
	v_div_fixup_f64 v[224:225], v[216:217], v[214:215], 1.0
	v_mul_f64 v[226:227], v[212:213], -v[224:225]
.LBB110_115:
	s_or_b32 exec_lo, exec_lo, s2
.LBB110_116:
	s_delay_alu instid0(SALU_CYCLE_1) | instskip(NEXT) | instid1(SALU_CYCLE_1)
	s_or_b32 exec_lo, exec_lo, s3
	s_mov_b32 s2, exec_lo
	v_cmpx_ne_u32_e64 v240, v232
	s_xor_b32 s2, exec_lo, s2
	s_cbranch_execz .LBB110_122
; %bb.117:
	s_mov_b32 s3, exec_lo
	v_cmpx_eq_u32_e32 5, v240
	s_cbranch_execz .LBB110_121
; %bb.118:
	v_cmp_ne_u32_e32 vcc_lo, 5, v232
	s_xor_b32 s6, s4, -1
	s_delay_alu instid0(SALU_CYCLE_1) | instskip(NEXT) | instid1(SALU_CYCLE_1)
	s_and_b32 s7, s6, vcc_lo
	s_and_saveexec_b32 s6, s7
	s_cbranch_execz .LBB110_120
; %bb.119:
	scratch_load_b64 v[10:11], off, off     ; 8-byte Folded Reload
	v_ashrrev_i32_e32 v233, 31, v232
	s_delay_alu instid0(VALU_DEP_1) | instskip(SKIP_1) | instid1(VALU_DEP_1)
	v_lshlrev_b64 v[212:213], 2, v[232:233]
	s_waitcnt vmcnt(0)
	v_add_co_u32 v212, vcc_lo, v10, v212
	s_delay_alu instid0(VALU_DEP_2)
	v_add_co_ci_u32_e32 v213, vcc_lo, v11, v213, vcc_lo
	s_clause 0x1
	flat_load_b32 v214, v[212:213]
	flat_load_b32 v215, v[10:11] offset:20
	s_waitcnt vmcnt(1) lgkmcnt(1)
	flat_store_b32 v[10:11], v214 offset:20
	s_waitcnt vmcnt(0) lgkmcnt(1)
	flat_store_b32 v[212:213], v215
.LBB110_120:
	s_or_b32 exec_lo, exec_lo, s6
	v_mov_b32_e32 v240, v232
	v_mov_b32_e32 v239, v232
.LBB110_121:
	s_or_b32 exec_lo, exec_lo, s3
.LBB110_122:
	s_and_not1_saveexec_b32 s2, s2
	s_cbranch_execz .LBB110_124
; %bb.123:
	v_mov_b32_e32 v240, 5
	ds_store_2addr_b64 v234, v[196:197], v[198:199] offset0:12 offset1:13
	ds_store_2addr_b64 v234, v[192:193], v[194:195] offset0:14 offset1:15
	;; [unrolled: 1-line block ×50, first 2 shown]
.LBB110_124:
	s_or_b32 exec_lo, exec_lo, s2
	s_delay_alu instid0(SALU_CYCLE_1)
	s_mov_b32 s2, exec_lo
	s_waitcnt lgkmcnt(0)
	s_waitcnt_vscnt null, 0x0
	s_barrier
	buffer_gl0_inv
	v_cmpx_lt_i32_e32 5, v240
	s_cbranch_execz .LBB110_126
; %bb.125:
	v_mul_f64 v[212:213], v[226:227], v[202:203]
	v_mul_f64 v[202:203], v[224:225], v[202:203]
	s_delay_alu instid0(VALU_DEP_2) | instskip(NEXT) | instid1(VALU_DEP_2)
	v_fma_f64 v[232:233], v[224:225], v[200:201], -v[212:213]
	v_fma_f64 v[202:203], v[226:227], v[200:201], v[202:203]
	ds_load_2addr_b64 v[224:227], v234 offset0:12 offset1:13
	s_waitcnt lgkmcnt(0)
	v_mul_f64 v[200:201], v[226:227], v[202:203]
	v_mul_f64 v[212:213], v[224:225], v[202:203]
	s_delay_alu instid0(VALU_DEP_2) | instskip(NEXT) | instid1(VALU_DEP_2)
	v_fma_f64 v[200:201], v[224:225], v[232:233], -v[200:201]
	v_fma_f64 v[212:213], v[226:227], v[232:233], v[212:213]
	ds_load_2addr_b64 v[224:227], v234 offset0:14 offset1:15
	v_add_f64 v[196:197], v[196:197], -v[200:201]
	v_add_f64 v[198:199], v[198:199], -v[212:213]
	s_waitcnt lgkmcnt(0)
	v_mul_f64 v[200:201], v[226:227], v[202:203]
	v_mul_f64 v[212:213], v[224:225], v[202:203]
	s_delay_alu instid0(VALU_DEP_2) | instskip(NEXT) | instid1(VALU_DEP_2)
	v_fma_f64 v[200:201], v[224:225], v[232:233], -v[200:201]
	v_fma_f64 v[212:213], v[226:227], v[232:233], v[212:213]
	ds_load_2addr_b64 v[224:227], v234 offset0:16 offset1:17
	v_add_f64 v[192:193], v[192:193], -v[200:201]
	v_add_f64 v[194:195], v[194:195], -v[212:213]
	;; [unrolled: 9-line block ×49, first 2 shown]
	s_waitcnt lgkmcnt(0)
	v_mul_f64 v[200:201], v[226:227], v[202:203]
	v_mul_f64 v[212:213], v[224:225], v[202:203]
	s_delay_alu instid0(VALU_DEP_2) | instskip(NEXT) | instid1(VALU_DEP_2)
	v_fma_f64 v[200:201], v[224:225], v[232:233], -v[200:201]
	v_fma_f64 v[212:213], v[226:227], v[232:233], v[212:213]
	s_delay_alu instid0(VALU_DEP_2) | instskip(NEXT) | instid1(VALU_DEP_2)
	v_add_f64 v[0:1], v[0:1], -v[200:201]
	v_add_f64 v[2:3], v[2:3], -v[212:213]
	v_dual_mov_b32 v200, v232 :: v_dual_mov_b32 v201, v233
.LBB110_126:
	s_or_b32 exec_lo, exec_lo, s2
	v_lshl_add_u32 v212, v240, 4, v234
	s_barrier
	buffer_gl0_inv
	v_mov_b32_e32 v232, 6
	ds_store_2addr_b64 v212, v[196:197], v[198:199] offset1:1
	s_waitcnt lgkmcnt(0)
	s_barrier
	buffer_gl0_inv
	ds_load_2addr_b64 v[224:227], v234 offset0:12 offset1:13
	s_cmp_lt_i32 s5, 8
	s_cbranch_scc1 .LBB110_129
; %bb.127:
	v_add3_u32 v233, v238, 0, 0x70
	v_mov_b32_e32 v232, 6
	s_mov_b32 s6, 7
	s_set_inst_prefetch_distance 0x1
	.p2align	6
.LBB110_128:                            ; =>This Inner Loop Header: Depth=1
	ds_load_2addr_b64 v[241:244], v233 offset1:1
	s_waitcnt lgkmcnt(1)
	v_cmp_gt_f64_e32 vcc_lo, 0, v[224:225]
	v_xor_b32_e32 v212, 0x80000000, v225
	v_cmp_gt_f64_e64 s2, 0, v[226:227]
	v_xor_b32_e32 v214, 0x80000000, v227
	v_add_nc_u32_e32 v233, 16, v233
	s_waitcnt lgkmcnt(0)
	v_cmp_gt_f64_e64 s3, 0, v[241:242]
	v_mov_b32_e32 v216, v241
	v_dual_mov_b32 v218, v243 :: v_dual_cndmask_b32 v213, v225, v212
	v_xor_b32_e32 v212, 0x80000000, v242
	v_cndmask_b32_e64 v215, v227, v214, s2
	v_xor_b32_e32 v214, 0x80000000, v244
	s_delay_alu instid0(VALU_DEP_3) | instskip(SKIP_2) | instid1(VALU_DEP_2)
	v_cndmask_b32_e64 v217, v242, v212, s3
	v_cmp_gt_f64_e64 s3, 0, v[243:244]
	v_cndmask_b32_e32 v212, v224, v224, vcc_lo
	v_cndmask_b32_e64 v219, v244, v214, s3
	v_cndmask_b32_e64 v214, v226, v226, s2
	s_delay_alu instid0(VALU_DEP_2) | instskip(NEXT) | instid1(VALU_DEP_2)
	v_add_f64 v[216:217], v[216:217], v[218:219]
	v_add_f64 v[212:213], v[212:213], v[214:215]
	s_delay_alu instid0(VALU_DEP_1) | instskip(SKIP_4) | instid1(SALU_CYCLE_1)
	v_cmp_lt_f64_e32 vcc_lo, v[212:213], v[216:217]
	v_dual_cndmask_b32 v225, v225, v242 :: v_dual_cndmask_b32 v224, v224, v241
	v_dual_cndmask_b32 v227, v227, v244 :: v_dual_cndmask_b32 v226, v226, v243
	v_cndmask_b32_e64 v232, v232, s6, vcc_lo
	s_add_i32 s6, s6, 1
	s_cmp_lg_u32 s5, s6
	s_cbranch_scc1 .LBB110_128
.LBB110_129:
	s_set_inst_prefetch_distance 0x2
	s_waitcnt lgkmcnt(0)
	v_cmp_eq_f64_e32 vcc_lo, 0, v[224:225]
	v_cmp_eq_f64_e64 s2, 0, v[226:227]
	s_delay_alu instid0(VALU_DEP_1) | instskip(NEXT) | instid1(SALU_CYCLE_1)
	s_and_b32 s2, vcc_lo, s2
	s_and_saveexec_b32 s3, s2
	s_delay_alu instid0(SALU_CYCLE_1)
	s_xor_b32 s2, exec_lo, s3
; %bb.130:
	v_cmp_ne_u32_e32 vcc_lo, 0, v237
	v_cndmask_b32_e32 v237, 7, v237, vcc_lo
; %bb.131:
	s_and_not1_saveexec_b32 s3, s2
	s_cbranch_execz .LBB110_137
; %bb.132:
	v_cmp_gt_f64_e32 vcc_lo, 0, v[224:225]
	v_cmp_gt_f64_e64 s2, 0, v[226:227]
	v_xor_b32_e32 v212, 0x80000000, v225
	v_xor_b32_e32 v214, 0x80000000, v227
	s_delay_alu instid0(VALU_DEP_2) | instskip(NEXT) | instid1(VALU_DEP_2)
	v_cndmask_b32_e32 v213, v225, v212, vcc_lo
	v_cndmask_b32_e64 v215, v227, v214, s2
	v_cndmask_b32_e32 v212, v224, v224, vcc_lo
	v_cndmask_b32_e64 v214, v226, v226, s2
	s_mov_b32 s2, exec_lo
	s_delay_alu instid0(VALU_DEP_1)
	v_cmpx_ngt_f64_e32 v[212:213], v[214:215]
	s_xor_b32 s2, exec_lo, s2
	s_cbranch_execz .LBB110_134
; %bb.133:
	v_div_scale_f64 v[212:213], null, v[226:227], v[226:227], v[224:225]
	v_div_scale_f64 v[218:219], vcc_lo, v[224:225], v[226:227], v[224:225]
	s_delay_alu instid0(VALU_DEP_2) | instskip(SKIP_2) | instid1(VALU_DEP_1)
	v_rcp_f64_e32 v[214:215], v[212:213]
	s_waitcnt_depctr 0xfff
	v_fma_f64 v[216:217], -v[212:213], v[214:215], 1.0
	v_fma_f64 v[214:215], v[214:215], v[216:217], v[214:215]
	s_delay_alu instid0(VALU_DEP_1) | instskip(NEXT) | instid1(VALU_DEP_1)
	v_fma_f64 v[216:217], -v[212:213], v[214:215], 1.0
	v_fma_f64 v[214:215], v[214:215], v[216:217], v[214:215]
	s_delay_alu instid0(VALU_DEP_1) | instskip(NEXT) | instid1(VALU_DEP_1)
	v_mul_f64 v[216:217], v[218:219], v[214:215]
	v_fma_f64 v[212:213], -v[212:213], v[216:217], v[218:219]
	s_delay_alu instid0(VALU_DEP_1) | instskip(NEXT) | instid1(VALU_DEP_1)
	v_div_fmas_f64 v[212:213], v[212:213], v[214:215], v[216:217]
	v_div_fixup_f64 v[212:213], v[212:213], v[226:227], v[224:225]
	s_delay_alu instid0(VALU_DEP_1) | instskip(NEXT) | instid1(VALU_DEP_1)
	v_fma_f64 v[214:215], v[224:225], v[212:213], v[226:227]
	v_div_scale_f64 v[216:217], null, v[214:215], v[214:215], 1.0
	s_delay_alu instid0(VALU_DEP_1) | instskip(SKIP_2) | instid1(VALU_DEP_1)
	v_rcp_f64_e32 v[218:219], v[216:217]
	s_waitcnt_depctr 0xfff
	v_fma_f64 v[220:221], -v[216:217], v[218:219], 1.0
	v_fma_f64 v[218:219], v[218:219], v[220:221], v[218:219]
	s_delay_alu instid0(VALU_DEP_1) | instskip(NEXT) | instid1(VALU_DEP_1)
	v_fma_f64 v[220:221], -v[216:217], v[218:219], 1.0
	v_fma_f64 v[218:219], v[218:219], v[220:221], v[218:219]
	v_div_scale_f64 v[220:221], vcc_lo, 1.0, v[214:215], 1.0
	s_delay_alu instid0(VALU_DEP_1) | instskip(NEXT) | instid1(VALU_DEP_1)
	v_mul_f64 v[222:223], v[220:221], v[218:219]
	v_fma_f64 v[216:217], -v[216:217], v[222:223], v[220:221]
	s_delay_alu instid0(VALU_DEP_1) | instskip(NEXT) | instid1(VALU_DEP_1)
	v_div_fmas_f64 v[216:217], v[216:217], v[218:219], v[222:223]
	v_div_fixup_f64 v[226:227], v[216:217], v[214:215], 1.0
	s_delay_alu instid0(VALU_DEP_1)
	v_mul_f64 v[224:225], v[212:213], v[226:227]
	v_xor_b32_e32 v227, 0x80000000, v227
.LBB110_134:
	s_and_not1_saveexec_b32 s2, s2
	s_cbranch_execz .LBB110_136
; %bb.135:
	s_delay_alu instid0(VALU_DEP_1) | instskip(SKIP_1) | instid1(VALU_DEP_2)
	v_div_scale_f64 v[212:213], null, v[224:225], v[224:225], v[226:227]
	v_div_scale_f64 v[218:219], vcc_lo, v[226:227], v[224:225], v[226:227]
	v_rcp_f64_e32 v[214:215], v[212:213]
	s_waitcnt_depctr 0xfff
	v_fma_f64 v[216:217], -v[212:213], v[214:215], 1.0
	s_delay_alu instid0(VALU_DEP_1) | instskip(NEXT) | instid1(VALU_DEP_1)
	v_fma_f64 v[214:215], v[214:215], v[216:217], v[214:215]
	v_fma_f64 v[216:217], -v[212:213], v[214:215], 1.0
	s_delay_alu instid0(VALU_DEP_1) | instskip(NEXT) | instid1(VALU_DEP_1)
	v_fma_f64 v[214:215], v[214:215], v[216:217], v[214:215]
	v_mul_f64 v[216:217], v[218:219], v[214:215]
	s_delay_alu instid0(VALU_DEP_1) | instskip(NEXT) | instid1(VALU_DEP_1)
	v_fma_f64 v[212:213], -v[212:213], v[216:217], v[218:219]
	v_div_fmas_f64 v[212:213], v[212:213], v[214:215], v[216:217]
	s_delay_alu instid0(VALU_DEP_1) | instskip(NEXT) | instid1(VALU_DEP_1)
	v_div_fixup_f64 v[212:213], v[212:213], v[224:225], v[226:227]
	v_fma_f64 v[214:215], v[226:227], v[212:213], v[224:225]
	s_delay_alu instid0(VALU_DEP_1) | instskip(NEXT) | instid1(VALU_DEP_1)
	v_div_scale_f64 v[216:217], null, v[214:215], v[214:215], 1.0
	v_rcp_f64_e32 v[218:219], v[216:217]
	s_waitcnt_depctr 0xfff
	v_fma_f64 v[220:221], -v[216:217], v[218:219], 1.0
	s_delay_alu instid0(VALU_DEP_1) | instskip(NEXT) | instid1(VALU_DEP_1)
	v_fma_f64 v[218:219], v[218:219], v[220:221], v[218:219]
	v_fma_f64 v[220:221], -v[216:217], v[218:219], 1.0
	s_delay_alu instid0(VALU_DEP_1) | instskip(SKIP_1) | instid1(VALU_DEP_1)
	v_fma_f64 v[218:219], v[218:219], v[220:221], v[218:219]
	v_div_scale_f64 v[220:221], vcc_lo, 1.0, v[214:215], 1.0
	v_mul_f64 v[222:223], v[220:221], v[218:219]
	s_delay_alu instid0(VALU_DEP_1) | instskip(NEXT) | instid1(VALU_DEP_1)
	v_fma_f64 v[216:217], -v[216:217], v[222:223], v[220:221]
	v_div_fmas_f64 v[216:217], v[216:217], v[218:219], v[222:223]
	s_delay_alu instid0(VALU_DEP_1) | instskip(NEXT) | instid1(VALU_DEP_1)
	v_div_fixup_f64 v[224:225], v[216:217], v[214:215], 1.0
	v_mul_f64 v[226:227], v[212:213], -v[224:225]
.LBB110_136:
	s_or_b32 exec_lo, exec_lo, s2
.LBB110_137:
	s_delay_alu instid0(SALU_CYCLE_1) | instskip(NEXT) | instid1(SALU_CYCLE_1)
	s_or_b32 exec_lo, exec_lo, s3
	s_mov_b32 s2, exec_lo
	v_cmpx_ne_u32_e64 v240, v232
	s_xor_b32 s2, exec_lo, s2
	s_cbranch_execz .LBB110_143
; %bb.138:
	s_mov_b32 s3, exec_lo
	v_cmpx_eq_u32_e32 6, v240
	s_cbranch_execz .LBB110_142
; %bb.139:
	v_cmp_ne_u32_e32 vcc_lo, 6, v232
	s_xor_b32 s6, s4, -1
	s_delay_alu instid0(SALU_CYCLE_1) | instskip(NEXT) | instid1(SALU_CYCLE_1)
	s_and_b32 s7, s6, vcc_lo
	s_and_saveexec_b32 s6, s7
	s_cbranch_execz .LBB110_141
; %bb.140:
	scratch_load_b64 v[10:11], off, off     ; 8-byte Folded Reload
	v_ashrrev_i32_e32 v233, 31, v232
	s_delay_alu instid0(VALU_DEP_1) | instskip(SKIP_1) | instid1(VALU_DEP_1)
	v_lshlrev_b64 v[212:213], 2, v[232:233]
	s_waitcnt vmcnt(0)
	v_add_co_u32 v212, vcc_lo, v10, v212
	s_delay_alu instid0(VALU_DEP_2)
	v_add_co_ci_u32_e32 v213, vcc_lo, v11, v213, vcc_lo
	s_clause 0x1
	flat_load_b32 v214, v[212:213]
	flat_load_b32 v215, v[10:11] offset:24
	s_waitcnt vmcnt(1) lgkmcnt(1)
	flat_store_b32 v[10:11], v214 offset:24
	s_waitcnt vmcnt(0) lgkmcnt(1)
	flat_store_b32 v[212:213], v215
.LBB110_141:
	s_or_b32 exec_lo, exec_lo, s6
	v_mov_b32_e32 v240, v232
	v_mov_b32_e32 v239, v232
.LBB110_142:
	s_or_b32 exec_lo, exec_lo, s3
.LBB110_143:
	s_and_not1_saveexec_b32 s2, s2
	s_cbranch_execz .LBB110_145
; %bb.144:
	v_mov_b32_e32 v240, 6
	ds_store_2addr_b64 v234, v[192:193], v[194:195] offset0:14 offset1:15
	ds_store_2addr_b64 v234, v[188:189], v[190:191] offset0:16 offset1:17
	;; [unrolled: 1-line block ×49, first 2 shown]
.LBB110_145:
	s_or_b32 exec_lo, exec_lo, s2
	s_delay_alu instid0(SALU_CYCLE_1)
	s_mov_b32 s2, exec_lo
	s_waitcnt lgkmcnt(0)
	s_waitcnt_vscnt null, 0x0
	s_barrier
	buffer_gl0_inv
	v_cmpx_lt_i32_e32 6, v240
	s_cbranch_execz .LBB110_147
; %bb.146:
	v_mul_f64 v[212:213], v[226:227], v[198:199]
	v_mul_f64 v[198:199], v[224:225], v[198:199]
	s_delay_alu instid0(VALU_DEP_2) | instskip(NEXT) | instid1(VALU_DEP_2)
	v_fma_f64 v[232:233], v[224:225], v[196:197], -v[212:213]
	v_fma_f64 v[198:199], v[226:227], v[196:197], v[198:199]
	ds_load_2addr_b64 v[224:227], v234 offset0:14 offset1:15
	s_waitcnt lgkmcnt(0)
	v_mul_f64 v[196:197], v[226:227], v[198:199]
	v_mul_f64 v[212:213], v[224:225], v[198:199]
	s_delay_alu instid0(VALU_DEP_2) | instskip(NEXT) | instid1(VALU_DEP_2)
	v_fma_f64 v[196:197], v[224:225], v[232:233], -v[196:197]
	v_fma_f64 v[212:213], v[226:227], v[232:233], v[212:213]
	ds_load_2addr_b64 v[224:227], v234 offset0:16 offset1:17
	v_add_f64 v[192:193], v[192:193], -v[196:197]
	v_add_f64 v[194:195], v[194:195], -v[212:213]
	s_waitcnt lgkmcnt(0)
	v_mul_f64 v[196:197], v[226:227], v[198:199]
	v_mul_f64 v[212:213], v[224:225], v[198:199]
	s_delay_alu instid0(VALU_DEP_2) | instskip(NEXT) | instid1(VALU_DEP_2)
	v_fma_f64 v[196:197], v[224:225], v[232:233], -v[196:197]
	v_fma_f64 v[212:213], v[226:227], v[232:233], v[212:213]
	ds_load_2addr_b64 v[224:227], v234 offset0:18 offset1:19
	v_add_f64 v[188:189], v[188:189], -v[196:197]
	v_add_f64 v[190:191], v[190:191], -v[212:213]
	;; [unrolled: 9-line block ×48, first 2 shown]
	s_waitcnt lgkmcnt(0)
	v_mul_f64 v[196:197], v[226:227], v[198:199]
	v_mul_f64 v[212:213], v[224:225], v[198:199]
	s_delay_alu instid0(VALU_DEP_2) | instskip(NEXT) | instid1(VALU_DEP_2)
	v_fma_f64 v[196:197], v[224:225], v[232:233], -v[196:197]
	v_fma_f64 v[212:213], v[226:227], v[232:233], v[212:213]
	s_delay_alu instid0(VALU_DEP_2) | instskip(NEXT) | instid1(VALU_DEP_2)
	v_add_f64 v[0:1], v[0:1], -v[196:197]
	v_add_f64 v[2:3], v[2:3], -v[212:213]
	v_dual_mov_b32 v196, v232 :: v_dual_mov_b32 v197, v233
.LBB110_147:
	s_or_b32 exec_lo, exec_lo, s2
	v_lshl_add_u32 v212, v240, 4, v234
	s_barrier
	buffer_gl0_inv
	v_mov_b32_e32 v232, 7
	ds_store_2addr_b64 v212, v[192:193], v[194:195] offset1:1
	s_waitcnt lgkmcnt(0)
	s_barrier
	buffer_gl0_inv
	ds_load_2addr_b64 v[224:227], v234 offset0:14 offset1:15
	s_cmp_lt_i32 s5, 9
	s_cbranch_scc1 .LBB110_150
; %bb.148:
	v_add3_u32 v233, v238, 0, 0x80
	v_mov_b32_e32 v232, 7
	s_mov_b32 s6, 8
	s_set_inst_prefetch_distance 0x1
	.p2align	6
.LBB110_149:                            ; =>This Inner Loop Header: Depth=1
	ds_load_2addr_b64 v[241:244], v233 offset1:1
	s_waitcnt lgkmcnt(1)
	v_cmp_gt_f64_e32 vcc_lo, 0, v[224:225]
	v_xor_b32_e32 v212, 0x80000000, v225
	v_cmp_gt_f64_e64 s2, 0, v[226:227]
	v_xor_b32_e32 v214, 0x80000000, v227
	v_add_nc_u32_e32 v233, 16, v233
	s_waitcnt lgkmcnt(0)
	v_cmp_gt_f64_e64 s3, 0, v[241:242]
	v_mov_b32_e32 v216, v241
	v_dual_mov_b32 v218, v243 :: v_dual_cndmask_b32 v213, v225, v212
	v_xor_b32_e32 v212, 0x80000000, v242
	v_cndmask_b32_e64 v215, v227, v214, s2
	v_xor_b32_e32 v214, 0x80000000, v244
	s_delay_alu instid0(VALU_DEP_3) | instskip(SKIP_2) | instid1(VALU_DEP_2)
	v_cndmask_b32_e64 v217, v242, v212, s3
	v_cmp_gt_f64_e64 s3, 0, v[243:244]
	v_cndmask_b32_e32 v212, v224, v224, vcc_lo
	v_cndmask_b32_e64 v219, v244, v214, s3
	v_cndmask_b32_e64 v214, v226, v226, s2
	s_delay_alu instid0(VALU_DEP_2) | instskip(NEXT) | instid1(VALU_DEP_2)
	v_add_f64 v[216:217], v[216:217], v[218:219]
	v_add_f64 v[212:213], v[212:213], v[214:215]
	s_delay_alu instid0(VALU_DEP_1) | instskip(SKIP_4) | instid1(SALU_CYCLE_1)
	v_cmp_lt_f64_e32 vcc_lo, v[212:213], v[216:217]
	v_dual_cndmask_b32 v225, v225, v242 :: v_dual_cndmask_b32 v224, v224, v241
	v_dual_cndmask_b32 v227, v227, v244 :: v_dual_cndmask_b32 v226, v226, v243
	v_cndmask_b32_e64 v232, v232, s6, vcc_lo
	s_add_i32 s6, s6, 1
	s_cmp_lg_u32 s5, s6
	s_cbranch_scc1 .LBB110_149
.LBB110_150:
	s_set_inst_prefetch_distance 0x2
	s_waitcnt lgkmcnt(0)
	v_cmp_eq_f64_e32 vcc_lo, 0, v[224:225]
	v_cmp_eq_f64_e64 s2, 0, v[226:227]
	s_delay_alu instid0(VALU_DEP_1) | instskip(NEXT) | instid1(SALU_CYCLE_1)
	s_and_b32 s2, vcc_lo, s2
	s_and_saveexec_b32 s3, s2
	s_delay_alu instid0(SALU_CYCLE_1)
	s_xor_b32 s2, exec_lo, s3
; %bb.151:
	v_cmp_ne_u32_e32 vcc_lo, 0, v237
	v_cndmask_b32_e32 v237, 8, v237, vcc_lo
; %bb.152:
	s_and_not1_saveexec_b32 s3, s2
	s_cbranch_execz .LBB110_158
; %bb.153:
	v_cmp_gt_f64_e32 vcc_lo, 0, v[224:225]
	v_cmp_gt_f64_e64 s2, 0, v[226:227]
	v_xor_b32_e32 v212, 0x80000000, v225
	v_xor_b32_e32 v214, 0x80000000, v227
	s_delay_alu instid0(VALU_DEP_2) | instskip(NEXT) | instid1(VALU_DEP_2)
	v_cndmask_b32_e32 v213, v225, v212, vcc_lo
	v_cndmask_b32_e64 v215, v227, v214, s2
	v_cndmask_b32_e32 v212, v224, v224, vcc_lo
	v_cndmask_b32_e64 v214, v226, v226, s2
	s_mov_b32 s2, exec_lo
	s_delay_alu instid0(VALU_DEP_1)
	v_cmpx_ngt_f64_e32 v[212:213], v[214:215]
	s_xor_b32 s2, exec_lo, s2
	s_cbranch_execz .LBB110_155
; %bb.154:
	v_div_scale_f64 v[212:213], null, v[226:227], v[226:227], v[224:225]
	v_div_scale_f64 v[218:219], vcc_lo, v[224:225], v[226:227], v[224:225]
	s_delay_alu instid0(VALU_DEP_2) | instskip(SKIP_2) | instid1(VALU_DEP_1)
	v_rcp_f64_e32 v[214:215], v[212:213]
	s_waitcnt_depctr 0xfff
	v_fma_f64 v[216:217], -v[212:213], v[214:215], 1.0
	v_fma_f64 v[214:215], v[214:215], v[216:217], v[214:215]
	s_delay_alu instid0(VALU_DEP_1) | instskip(NEXT) | instid1(VALU_DEP_1)
	v_fma_f64 v[216:217], -v[212:213], v[214:215], 1.0
	v_fma_f64 v[214:215], v[214:215], v[216:217], v[214:215]
	s_delay_alu instid0(VALU_DEP_1) | instskip(NEXT) | instid1(VALU_DEP_1)
	v_mul_f64 v[216:217], v[218:219], v[214:215]
	v_fma_f64 v[212:213], -v[212:213], v[216:217], v[218:219]
	s_delay_alu instid0(VALU_DEP_1) | instskip(NEXT) | instid1(VALU_DEP_1)
	v_div_fmas_f64 v[212:213], v[212:213], v[214:215], v[216:217]
	v_div_fixup_f64 v[212:213], v[212:213], v[226:227], v[224:225]
	s_delay_alu instid0(VALU_DEP_1) | instskip(NEXT) | instid1(VALU_DEP_1)
	v_fma_f64 v[214:215], v[224:225], v[212:213], v[226:227]
	v_div_scale_f64 v[216:217], null, v[214:215], v[214:215], 1.0
	s_delay_alu instid0(VALU_DEP_1) | instskip(SKIP_2) | instid1(VALU_DEP_1)
	v_rcp_f64_e32 v[218:219], v[216:217]
	s_waitcnt_depctr 0xfff
	v_fma_f64 v[220:221], -v[216:217], v[218:219], 1.0
	v_fma_f64 v[218:219], v[218:219], v[220:221], v[218:219]
	s_delay_alu instid0(VALU_DEP_1) | instskip(NEXT) | instid1(VALU_DEP_1)
	v_fma_f64 v[220:221], -v[216:217], v[218:219], 1.0
	v_fma_f64 v[218:219], v[218:219], v[220:221], v[218:219]
	v_div_scale_f64 v[220:221], vcc_lo, 1.0, v[214:215], 1.0
	s_delay_alu instid0(VALU_DEP_1) | instskip(NEXT) | instid1(VALU_DEP_1)
	v_mul_f64 v[222:223], v[220:221], v[218:219]
	v_fma_f64 v[216:217], -v[216:217], v[222:223], v[220:221]
	s_delay_alu instid0(VALU_DEP_1) | instskip(NEXT) | instid1(VALU_DEP_1)
	v_div_fmas_f64 v[216:217], v[216:217], v[218:219], v[222:223]
	v_div_fixup_f64 v[226:227], v[216:217], v[214:215], 1.0
	s_delay_alu instid0(VALU_DEP_1)
	v_mul_f64 v[224:225], v[212:213], v[226:227]
	v_xor_b32_e32 v227, 0x80000000, v227
.LBB110_155:
	s_and_not1_saveexec_b32 s2, s2
	s_cbranch_execz .LBB110_157
; %bb.156:
	s_delay_alu instid0(VALU_DEP_1) | instskip(SKIP_1) | instid1(VALU_DEP_2)
	v_div_scale_f64 v[212:213], null, v[224:225], v[224:225], v[226:227]
	v_div_scale_f64 v[218:219], vcc_lo, v[226:227], v[224:225], v[226:227]
	v_rcp_f64_e32 v[214:215], v[212:213]
	s_waitcnt_depctr 0xfff
	v_fma_f64 v[216:217], -v[212:213], v[214:215], 1.0
	s_delay_alu instid0(VALU_DEP_1) | instskip(NEXT) | instid1(VALU_DEP_1)
	v_fma_f64 v[214:215], v[214:215], v[216:217], v[214:215]
	v_fma_f64 v[216:217], -v[212:213], v[214:215], 1.0
	s_delay_alu instid0(VALU_DEP_1) | instskip(NEXT) | instid1(VALU_DEP_1)
	v_fma_f64 v[214:215], v[214:215], v[216:217], v[214:215]
	v_mul_f64 v[216:217], v[218:219], v[214:215]
	s_delay_alu instid0(VALU_DEP_1) | instskip(NEXT) | instid1(VALU_DEP_1)
	v_fma_f64 v[212:213], -v[212:213], v[216:217], v[218:219]
	v_div_fmas_f64 v[212:213], v[212:213], v[214:215], v[216:217]
	s_delay_alu instid0(VALU_DEP_1) | instskip(NEXT) | instid1(VALU_DEP_1)
	v_div_fixup_f64 v[212:213], v[212:213], v[224:225], v[226:227]
	v_fma_f64 v[214:215], v[226:227], v[212:213], v[224:225]
	s_delay_alu instid0(VALU_DEP_1) | instskip(NEXT) | instid1(VALU_DEP_1)
	v_div_scale_f64 v[216:217], null, v[214:215], v[214:215], 1.0
	v_rcp_f64_e32 v[218:219], v[216:217]
	s_waitcnt_depctr 0xfff
	v_fma_f64 v[220:221], -v[216:217], v[218:219], 1.0
	s_delay_alu instid0(VALU_DEP_1) | instskip(NEXT) | instid1(VALU_DEP_1)
	v_fma_f64 v[218:219], v[218:219], v[220:221], v[218:219]
	v_fma_f64 v[220:221], -v[216:217], v[218:219], 1.0
	s_delay_alu instid0(VALU_DEP_1) | instskip(SKIP_1) | instid1(VALU_DEP_1)
	v_fma_f64 v[218:219], v[218:219], v[220:221], v[218:219]
	v_div_scale_f64 v[220:221], vcc_lo, 1.0, v[214:215], 1.0
	v_mul_f64 v[222:223], v[220:221], v[218:219]
	s_delay_alu instid0(VALU_DEP_1) | instskip(NEXT) | instid1(VALU_DEP_1)
	v_fma_f64 v[216:217], -v[216:217], v[222:223], v[220:221]
	v_div_fmas_f64 v[216:217], v[216:217], v[218:219], v[222:223]
	s_delay_alu instid0(VALU_DEP_1) | instskip(NEXT) | instid1(VALU_DEP_1)
	v_div_fixup_f64 v[224:225], v[216:217], v[214:215], 1.0
	v_mul_f64 v[226:227], v[212:213], -v[224:225]
.LBB110_157:
	s_or_b32 exec_lo, exec_lo, s2
.LBB110_158:
	s_delay_alu instid0(SALU_CYCLE_1) | instskip(NEXT) | instid1(SALU_CYCLE_1)
	s_or_b32 exec_lo, exec_lo, s3
	s_mov_b32 s2, exec_lo
	v_cmpx_ne_u32_e64 v240, v232
	s_xor_b32 s2, exec_lo, s2
	s_cbranch_execz .LBB110_164
; %bb.159:
	s_mov_b32 s3, exec_lo
	v_cmpx_eq_u32_e32 7, v240
	s_cbranch_execz .LBB110_163
; %bb.160:
	v_cmp_ne_u32_e32 vcc_lo, 7, v232
	s_xor_b32 s6, s4, -1
	s_delay_alu instid0(SALU_CYCLE_1) | instskip(NEXT) | instid1(SALU_CYCLE_1)
	s_and_b32 s7, s6, vcc_lo
	s_and_saveexec_b32 s6, s7
	s_cbranch_execz .LBB110_162
; %bb.161:
	scratch_load_b64 v[10:11], off, off     ; 8-byte Folded Reload
	v_ashrrev_i32_e32 v233, 31, v232
	s_delay_alu instid0(VALU_DEP_1) | instskip(SKIP_1) | instid1(VALU_DEP_1)
	v_lshlrev_b64 v[212:213], 2, v[232:233]
	s_waitcnt vmcnt(0)
	v_add_co_u32 v212, vcc_lo, v10, v212
	s_delay_alu instid0(VALU_DEP_2)
	v_add_co_ci_u32_e32 v213, vcc_lo, v11, v213, vcc_lo
	s_clause 0x1
	flat_load_b32 v214, v[212:213]
	flat_load_b32 v215, v[10:11] offset:28
	s_waitcnt vmcnt(1) lgkmcnt(1)
	flat_store_b32 v[10:11], v214 offset:28
	s_waitcnt vmcnt(0) lgkmcnt(1)
	flat_store_b32 v[212:213], v215
.LBB110_162:
	s_or_b32 exec_lo, exec_lo, s6
	v_mov_b32_e32 v240, v232
	v_mov_b32_e32 v239, v232
.LBB110_163:
	s_or_b32 exec_lo, exec_lo, s3
.LBB110_164:
	s_and_not1_saveexec_b32 s2, s2
	s_cbranch_execz .LBB110_166
; %bb.165:
	v_mov_b32_e32 v240, 7
	ds_store_2addr_b64 v234, v[188:189], v[190:191] offset0:16 offset1:17
	ds_store_2addr_b64 v234, v[184:185], v[186:187] offset0:18 offset1:19
	;; [unrolled: 1-line block ×48, first 2 shown]
.LBB110_166:
	s_or_b32 exec_lo, exec_lo, s2
	s_delay_alu instid0(SALU_CYCLE_1)
	s_mov_b32 s2, exec_lo
	s_waitcnt lgkmcnt(0)
	s_waitcnt_vscnt null, 0x0
	s_barrier
	buffer_gl0_inv
	v_cmpx_lt_i32_e32 7, v240
	s_cbranch_execz .LBB110_168
; %bb.167:
	v_mul_f64 v[212:213], v[226:227], v[194:195]
	v_mul_f64 v[194:195], v[224:225], v[194:195]
	s_delay_alu instid0(VALU_DEP_2) | instskip(NEXT) | instid1(VALU_DEP_2)
	v_fma_f64 v[232:233], v[224:225], v[192:193], -v[212:213]
	v_fma_f64 v[194:195], v[226:227], v[192:193], v[194:195]
	ds_load_2addr_b64 v[224:227], v234 offset0:16 offset1:17
	s_waitcnt lgkmcnt(0)
	v_mul_f64 v[192:193], v[226:227], v[194:195]
	v_mul_f64 v[212:213], v[224:225], v[194:195]
	s_delay_alu instid0(VALU_DEP_2) | instskip(NEXT) | instid1(VALU_DEP_2)
	v_fma_f64 v[192:193], v[224:225], v[232:233], -v[192:193]
	v_fma_f64 v[212:213], v[226:227], v[232:233], v[212:213]
	ds_load_2addr_b64 v[224:227], v234 offset0:18 offset1:19
	v_add_f64 v[188:189], v[188:189], -v[192:193]
	v_add_f64 v[190:191], v[190:191], -v[212:213]
	s_waitcnt lgkmcnt(0)
	v_mul_f64 v[192:193], v[226:227], v[194:195]
	v_mul_f64 v[212:213], v[224:225], v[194:195]
	s_delay_alu instid0(VALU_DEP_2) | instskip(NEXT) | instid1(VALU_DEP_2)
	v_fma_f64 v[192:193], v[224:225], v[232:233], -v[192:193]
	v_fma_f64 v[212:213], v[226:227], v[232:233], v[212:213]
	ds_load_2addr_b64 v[224:227], v234 offset0:20 offset1:21
	v_add_f64 v[184:185], v[184:185], -v[192:193]
	v_add_f64 v[186:187], v[186:187], -v[212:213]
	;; [unrolled: 9-line block ×47, first 2 shown]
	s_waitcnt lgkmcnt(0)
	v_mul_f64 v[192:193], v[226:227], v[194:195]
	v_mul_f64 v[212:213], v[224:225], v[194:195]
	s_delay_alu instid0(VALU_DEP_2) | instskip(NEXT) | instid1(VALU_DEP_2)
	v_fma_f64 v[192:193], v[224:225], v[232:233], -v[192:193]
	v_fma_f64 v[212:213], v[226:227], v[232:233], v[212:213]
	s_delay_alu instid0(VALU_DEP_2) | instskip(NEXT) | instid1(VALU_DEP_2)
	v_add_f64 v[0:1], v[0:1], -v[192:193]
	v_add_f64 v[2:3], v[2:3], -v[212:213]
	v_dual_mov_b32 v192, v232 :: v_dual_mov_b32 v193, v233
.LBB110_168:
	s_or_b32 exec_lo, exec_lo, s2
	v_lshl_add_u32 v212, v240, 4, v234
	s_barrier
	buffer_gl0_inv
	v_mov_b32_e32 v232, 8
	ds_store_2addr_b64 v212, v[188:189], v[190:191] offset1:1
	s_waitcnt lgkmcnt(0)
	s_barrier
	buffer_gl0_inv
	ds_load_2addr_b64 v[224:227], v234 offset0:16 offset1:17
	s_cmp_lt_i32 s5, 10
	s_cbranch_scc1 .LBB110_171
; %bb.169:
	v_add3_u32 v233, v238, 0, 0x90
	v_mov_b32_e32 v232, 8
	s_mov_b32 s6, 9
	s_set_inst_prefetch_distance 0x1
	.p2align	6
.LBB110_170:                            ; =>This Inner Loop Header: Depth=1
	ds_load_2addr_b64 v[241:244], v233 offset1:1
	s_waitcnt lgkmcnt(1)
	v_cmp_gt_f64_e32 vcc_lo, 0, v[224:225]
	v_xor_b32_e32 v212, 0x80000000, v225
	v_cmp_gt_f64_e64 s2, 0, v[226:227]
	v_xor_b32_e32 v214, 0x80000000, v227
	v_add_nc_u32_e32 v233, 16, v233
	s_waitcnt lgkmcnt(0)
	v_cmp_gt_f64_e64 s3, 0, v[241:242]
	v_mov_b32_e32 v216, v241
	v_dual_mov_b32 v218, v243 :: v_dual_cndmask_b32 v213, v225, v212
	v_xor_b32_e32 v212, 0x80000000, v242
	v_cndmask_b32_e64 v215, v227, v214, s2
	v_xor_b32_e32 v214, 0x80000000, v244
	s_delay_alu instid0(VALU_DEP_3) | instskip(SKIP_2) | instid1(VALU_DEP_2)
	v_cndmask_b32_e64 v217, v242, v212, s3
	v_cmp_gt_f64_e64 s3, 0, v[243:244]
	v_cndmask_b32_e32 v212, v224, v224, vcc_lo
	v_cndmask_b32_e64 v219, v244, v214, s3
	v_cndmask_b32_e64 v214, v226, v226, s2
	s_delay_alu instid0(VALU_DEP_2) | instskip(NEXT) | instid1(VALU_DEP_2)
	v_add_f64 v[216:217], v[216:217], v[218:219]
	v_add_f64 v[212:213], v[212:213], v[214:215]
	s_delay_alu instid0(VALU_DEP_1) | instskip(SKIP_4) | instid1(SALU_CYCLE_1)
	v_cmp_lt_f64_e32 vcc_lo, v[212:213], v[216:217]
	v_dual_cndmask_b32 v225, v225, v242 :: v_dual_cndmask_b32 v224, v224, v241
	v_dual_cndmask_b32 v227, v227, v244 :: v_dual_cndmask_b32 v226, v226, v243
	v_cndmask_b32_e64 v232, v232, s6, vcc_lo
	s_add_i32 s6, s6, 1
	s_cmp_lg_u32 s5, s6
	s_cbranch_scc1 .LBB110_170
.LBB110_171:
	s_set_inst_prefetch_distance 0x2
	s_waitcnt lgkmcnt(0)
	v_cmp_eq_f64_e32 vcc_lo, 0, v[224:225]
	v_cmp_eq_f64_e64 s2, 0, v[226:227]
	s_delay_alu instid0(VALU_DEP_1) | instskip(NEXT) | instid1(SALU_CYCLE_1)
	s_and_b32 s2, vcc_lo, s2
	s_and_saveexec_b32 s3, s2
	s_delay_alu instid0(SALU_CYCLE_1)
	s_xor_b32 s2, exec_lo, s3
; %bb.172:
	v_cmp_ne_u32_e32 vcc_lo, 0, v237
	v_cndmask_b32_e32 v237, 9, v237, vcc_lo
; %bb.173:
	s_and_not1_saveexec_b32 s3, s2
	s_cbranch_execz .LBB110_179
; %bb.174:
	v_cmp_gt_f64_e32 vcc_lo, 0, v[224:225]
	v_cmp_gt_f64_e64 s2, 0, v[226:227]
	v_xor_b32_e32 v212, 0x80000000, v225
	v_xor_b32_e32 v214, 0x80000000, v227
	s_delay_alu instid0(VALU_DEP_2) | instskip(NEXT) | instid1(VALU_DEP_2)
	v_cndmask_b32_e32 v213, v225, v212, vcc_lo
	v_cndmask_b32_e64 v215, v227, v214, s2
	v_cndmask_b32_e32 v212, v224, v224, vcc_lo
	v_cndmask_b32_e64 v214, v226, v226, s2
	s_mov_b32 s2, exec_lo
	s_delay_alu instid0(VALU_DEP_1)
	v_cmpx_ngt_f64_e32 v[212:213], v[214:215]
	s_xor_b32 s2, exec_lo, s2
	s_cbranch_execz .LBB110_176
; %bb.175:
	v_div_scale_f64 v[212:213], null, v[226:227], v[226:227], v[224:225]
	v_div_scale_f64 v[218:219], vcc_lo, v[224:225], v[226:227], v[224:225]
	s_delay_alu instid0(VALU_DEP_2) | instskip(SKIP_2) | instid1(VALU_DEP_1)
	v_rcp_f64_e32 v[214:215], v[212:213]
	s_waitcnt_depctr 0xfff
	v_fma_f64 v[216:217], -v[212:213], v[214:215], 1.0
	v_fma_f64 v[214:215], v[214:215], v[216:217], v[214:215]
	s_delay_alu instid0(VALU_DEP_1) | instskip(NEXT) | instid1(VALU_DEP_1)
	v_fma_f64 v[216:217], -v[212:213], v[214:215], 1.0
	v_fma_f64 v[214:215], v[214:215], v[216:217], v[214:215]
	s_delay_alu instid0(VALU_DEP_1) | instskip(NEXT) | instid1(VALU_DEP_1)
	v_mul_f64 v[216:217], v[218:219], v[214:215]
	v_fma_f64 v[212:213], -v[212:213], v[216:217], v[218:219]
	s_delay_alu instid0(VALU_DEP_1) | instskip(NEXT) | instid1(VALU_DEP_1)
	v_div_fmas_f64 v[212:213], v[212:213], v[214:215], v[216:217]
	v_div_fixup_f64 v[212:213], v[212:213], v[226:227], v[224:225]
	s_delay_alu instid0(VALU_DEP_1) | instskip(NEXT) | instid1(VALU_DEP_1)
	v_fma_f64 v[214:215], v[224:225], v[212:213], v[226:227]
	v_div_scale_f64 v[216:217], null, v[214:215], v[214:215], 1.0
	s_delay_alu instid0(VALU_DEP_1) | instskip(SKIP_2) | instid1(VALU_DEP_1)
	v_rcp_f64_e32 v[218:219], v[216:217]
	s_waitcnt_depctr 0xfff
	v_fma_f64 v[220:221], -v[216:217], v[218:219], 1.0
	v_fma_f64 v[218:219], v[218:219], v[220:221], v[218:219]
	s_delay_alu instid0(VALU_DEP_1) | instskip(NEXT) | instid1(VALU_DEP_1)
	v_fma_f64 v[220:221], -v[216:217], v[218:219], 1.0
	v_fma_f64 v[218:219], v[218:219], v[220:221], v[218:219]
	v_div_scale_f64 v[220:221], vcc_lo, 1.0, v[214:215], 1.0
	s_delay_alu instid0(VALU_DEP_1) | instskip(NEXT) | instid1(VALU_DEP_1)
	v_mul_f64 v[222:223], v[220:221], v[218:219]
	v_fma_f64 v[216:217], -v[216:217], v[222:223], v[220:221]
	s_delay_alu instid0(VALU_DEP_1) | instskip(NEXT) | instid1(VALU_DEP_1)
	v_div_fmas_f64 v[216:217], v[216:217], v[218:219], v[222:223]
	v_div_fixup_f64 v[226:227], v[216:217], v[214:215], 1.0
	s_delay_alu instid0(VALU_DEP_1)
	v_mul_f64 v[224:225], v[212:213], v[226:227]
	v_xor_b32_e32 v227, 0x80000000, v227
.LBB110_176:
	s_and_not1_saveexec_b32 s2, s2
	s_cbranch_execz .LBB110_178
; %bb.177:
	s_delay_alu instid0(VALU_DEP_1) | instskip(SKIP_1) | instid1(VALU_DEP_2)
	v_div_scale_f64 v[212:213], null, v[224:225], v[224:225], v[226:227]
	v_div_scale_f64 v[218:219], vcc_lo, v[226:227], v[224:225], v[226:227]
	v_rcp_f64_e32 v[214:215], v[212:213]
	s_waitcnt_depctr 0xfff
	v_fma_f64 v[216:217], -v[212:213], v[214:215], 1.0
	s_delay_alu instid0(VALU_DEP_1) | instskip(NEXT) | instid1(VALU_DEP_1)
	v_fma_f64 v[214:215], v[214:215], v[216:217], v[214:215]
	v_fma_f64 v[216:217], -v[212:213], v[214:215], 1.0
	s_delay_alu instid0(VALU_DEP_1) | instskip(NEXT) | instid1(VALU_DEP_1)
	v_fma_f64 v[214:215], v[214:215], v[216:217], v[214:215]
	v_mul_f64 v[216:217], v[218:219], v[214:215]
	s_delay_alu instid0(VALU_DEP_1) | instskip(NEXT) | instid1(VALU_DEP_1)
	v_fma_f64 v[212:213], -v[212:213], v[216:217], v[218:219]
	v_div_fmas_f64 v[212:213], v[212:213], v[214:215], v[216:217]
	s_delay_alu instid0(VALU_DEP_1) | instskip(NEXT) | instid1(VALU_DEP_1)
	v_div_fixup_f64 v[212:213], v[212:213], v[224:225], v[226:227]
	v_fma_f64 v[214:215], v[226:227], v[212:213], v[224:225]
	s_delay_alu instid0(VALU_DEP_1) | instskip(NEXT) | instid1(VALU_DEP_1)
	v_div_scale_f64 v[216:217], null, v[214:215], v[214:215], 1.0
	v_rcp_f64_e32 v[218:219], v[216:217]
	s_waitcnt_depctr 0xfff
	v_fma_f64 v[220:221], -v[216:217], v[218:219], 1.0
	s_delay_alu instid0(VALU_DEP_1) | instskip(NEXT) | instid1(VALU_DEP_1)
	v_fma_f64 v[218:219], v[218:219], v[220:221], v[218:219]
	v_fma_f64 v[220:221], -v[216:217], v[218:219], 1.0
	s_delay_alu instid0(VALU_DEP_1) | instskip(SKIP_1) | instid1(VALU_DEP_1)
	v_fma_f64 v[218:219], v[218:219], v[220:221], v[218:219]
	v_div_scale_f64 v[220:221], vcc_lo, 1.0, v[214:215], 1.0
	v_mul_f64 v[222:223], v[220:221], v[218:219]
	s_delay_alu instid0(VALU_DEP_1) | instskip(NEXT) | instid1(VALU_DEP_1)
	v_fma_f64 v[216:217], -v[216:217], v[222:223], v[220:221]
	v_div_fmas_f64 v[216:217], v[216:217], v[218:219], v[222:223]
	s_delay_alu instid0(VALU_DEP_1) | instskip(NEXT) | instid1(VALU_DEP_1)
	v_div_fixup_f64 v[224:225], v[216:217], v[214:215], 1.0
	v_mul_f64 v[226:227], v[212:213], -v[224:225]
.LBB110_178:
	s_or_b32 exec_lo, exec_lo, s2
.LBB110_179:
	s_delay_alu instid0(SALU_CYCLE_1) | instskip(NEXT) | instid1(SALU_CYCLE_1)
	s_or_b32 exec_lo, exec_lo, s3
	s_mov_b32 s2, exec_lo
	v_cmpx_ne_u32_e64 v240, v232
	s_xor_b32 s2, exec_lo, s2
	s_cbranch_execz .LBB110_185
; %bb.180:
	s_mov_b32 s3, exec_lo
	v_cmpx_eq_u32_e32 8, v240
	s_cbranch_execz .LBB110_184
; %bb.181:
	v_cmp_ne_u32_e32 vcc_lo, 8, v232
	s_xor_b32 s6, s4, -1
	s_delay_alu instid0(SALU_CYCLE_1) | instskip(NEXT) | instid1(SALU_CYCLE_1)
	s_and_b32 s7, s6, vcc_lo
	s_and_saveexec_b32 s6, s7
	s_cbranch_execz .LBB110_183
; %bb.182:
	scratch_load_b64 v[10:11], off, off     ; 8-byte Folded Reload
	v_ashrrev_i32_e32 v233, 31, v232
	s_delay_alu instid0(VALU_DEP_1) | instskip(SKIP_1) | instid1(VALU_DEP_1)
	v_lshlrev_b64 v[212:213], 2, v[232:233]
	s_waitcnt vmcnt(0)
	v_add_co_u32 v212, vcc_lo, v10, v212
	s_delay_alu instid0(VALU_DEP_2)
	v_add_co_ci_u32_e32 v213, vcc_lo, v11, v213, vcc_lo
	s_clause 0x1
	flat_load_b32 v214, v[212:213]
	flat_load_b32 v215, v[10:11] offset:32
	s_waitcnt vmcnt(1) lgkmcnt(1)
	flat_store_b32 v[10:11], v214 offset:32
	s_waitcnt vmcnt(0) lgkmcnt(1)
	flat_store_b32 v[212:213], v215
.LBB110_183:
	s_or_b32 exec_lo, exec_lo, s6
	v_mov_b32_e32 v240, v232
	v_mov_b32_e32 v239, v232
.LBB110_184:
	s_or_b32 exec_lo, exec_lo, s3
.LBB110_185:
	s_and_not1_saveexec_b32 s2, s2
	s_cbranch_execz .LBB110_187
; %bb.186:
	v_mov_b32_e32 v240, 8
	ds_store_2addr_b64 v234, v[184:185], v[186:187] offset0:18 offset1:19
	ds_store_2addr_b64 v234, v[180:181], v[182:183] offset0:20 offset1:21
	;; [unrolled: 1-line block ×47, first 2 shown]
.LBB110_187:
	s_or_b32 exec_lo, exec_lo, s2
	s_delay_alu instid0(SALU_CYCLE_1)
	s_mov_b32 s2, exec_lo
	s_waitcnt lgkmcnt(0)
	s_waitcnt_vscnt null, 0x0
	s_barrier
	buffer_gl0_inv
	v_cmpx_lt_i32_e32 8, v240
	s_cbranch_execz .LBB110_189
; %bb.188:
	v_mul_f64 v[212:213], v[226:227], v[190:191]
	v_mul_f64 v[190:191], v[224:225], v[190:191]
	s_delay_alu instid0(VALU_DEP_2) | instskip(NEXT) | instid1(VALU_DEP_2)
	v_fma_f64 v[232:233], v[224:225], v[188:189], -v[212:213]
	v_fma_f64 v[190:191], v[226:227], v[188:189], v[190:191]
	ds_load_2addr_b64 v[224:227], v234 offset0:18 offset1:19
	s_waitcnt lgkmcnt(0)
	v_mul_f64 v[188:189], v[226:227], v[190:191]
	v_mul_f64 v[212:213], v[224:225], v[190:191]
	s_delay_alu instid0(VALU_DEP_2) | instskip(NEXT) | instid1(VALU_DEP_2)
	v_fma_f64 v[188:189], v[224:225], v[232:233], -v[188:189]
	v_fma_f64 v[212:213], v[226:227], v[232:233], v[212:213]
	ds_load_2addr_b64 v[224:227], v234 offset0:20 offset1:21
	v_add_f64 v[184:185], v[184:185], -v[188:189]
	v_add_f64 v[186:187], v[186:187], -v[212:213]
	s_waitcnt lgkmcnt(0)
	v_mul_f64 v[188:189], v[226:227], v[190:191]
	v_mul_f64 v[212:213], v[224:225], v[190:191]
	s_delay_alu instid0(VALU_DEP_2) | instskip(NEXT) | instid1(VALU_DEP_2)
	v_fma_f64 v[188:189], v[224:225], v[232:233], -v[188:189]
	v_fma_f64 v[212:213], v[226:227], v[232:233], v[212:213]
	ds_load_2addr_b64 v[224:227], v234 offset0:22 offset1:23
	v_add_f64 v[180:181], v[180:181], -v[188:189]
	v_add_f64 v[182:183], v[182:183], -v[212:213]
	s_waitcnt lgkmcnt(0)
	v_mul_f64 v[188:189], v[226:227], v[190:191]
	v_mul_f64 v[212:213], v[224:225], v[190:191]
	s_delay_alu instid0(VALU_DEP_2) | instskip(NEXT) | instid1(VALU_DEP_2)
	v_fma_f64 v[188:189], v[224:225], v[232:233], -v[188:189]
	v_fma_f64 v[212:213], v[226:227], v[232:233], v[212:213]
	ds_load_2addr_b64 v[224:227], v234 offset0:24 offset1:25
	v_add_f64 v[176:177], v[176:177], -v[188:189]
	v_add_f64 v[178:179], v[178:179], -v[212:213]
	s_waitcnt lgkmcnt(0)
	v_mul_f64 v[188:189], v[226:227], v[190:191]
	v_mul_f64 v[212:213], v[224:225], v[190:191]
	s_delay_alu instid0(VALU_DEP_2) | instskip(NEXT) | instid1(VALU_DEP_2)
	v_fma_f64 v[188:189], v[224:225], v[232:233], -v[188:189]
	v_fma_f64 v[212:213], v[226:227], v[232:233], v[212:213]
	ds_load_2addr_b64 v[224:227], v234 offset0:26 offset1:27
	v_add_f64 v[172:173], v[172:173], -v[188:189]
	v_add_f64 v[174:175], v[174:175], -v[212:213]
	s_waitcnt lgkmcnt(0)
	v_mul_f64 v[188:189], v[226:227], v[190:191]
	v_mul_f64 v[212:213], v[224:225], v[190:191]
	s_delay_alu instid0(VALU_DEP_2) | instskip(NEXT) | instid1(VALU_DEP_2)
	v_fma_f64 v[188:189], v[224:225], v[232:233], -v[188:189]
	v_fma_f64 v[212:213], v[226:227], v[232:233], v[212:213]
	ds_load_2addr_b64 v[224:227], v234 offset0:28 offset1:29
	v_add_f64 v[168:169], v[168:169], -v[188:189]
	v_add_f64 v[170:171], v[170:171], -v[212:213]
	s_waitcnt lgkmcnt(0)
	v_mul_f64 v[188:189], v[226:227], v[190:191]
	v_mul_f64 v[212:213], v[224:225], v[190:191]
	s_delay_alu instid0(VALU_DEP_2) | instskip(NEXT) | instid1(VALU_DEP_2)
	v_fma_f64 v[188:189], v[224:225], v[232:233], -v[188:189]
	v_fma_f64 v[212:213], v[226:227], v[232:233], v[212:213]
	ds_load_2addr_b64 v[224:227], v234 offset0:30 offset1:31
	v_add_f64 v[164:165], v[164:165], -v[188:189]
	v_add_f64 v[166:167], v[166:167], -v[212:213]
	s_waitcnt lgkmcnt(0)
	v_mul_f64 v[188:189], v[226:227], v[190:191]
	v_mul_f64 v[212:213], v[224:225], v[190:191]
	s_delay_alu instid0(VALU_DEP_2) | instskip(NEXT) | instid1(VALU_DEP_2)
	v_fma_f64 v[188:189], v[224:225], v[232:233], -v[188:189]
	v_fma_f64 v[212:213], v[226:227], v[232:233], v[212:213]
	ds_load_2addr_b64 v[224:227], v234 offset0:32 offset1:33
	v_add_f64 v[160:161], v[160:161], -v[188:189]
	v_add_f64 v[162:163], v[162:163], -v[212:213]
	s_waitcnt lgkmcnt(0)
	v_mul_f64 v[188:189], v[226:227], v[190:191]
	v_mul_f64 v[212:213], v[224:225], v[190:191]
	s_delay_alu instid0(VALU_DEP_2) | instskip(NEXT) | instid1(VALU_DEP_2)
	v_fma_f64 v[188:189], v[224:225], v[232:233], -v[188:189]
	v_fma_f64 v[212:213], v[226:227], v[232:233], v[212:213]
	ds_load_2addr_b64 v[224:227], v234 offset0:34 offset1:35
	v_add_f64 v[156:157], v[156:157], -v[188:189]
	v_add_f64 v[158:159], v[158:159], -v[212:213]
	s_waitcnt lgkmcnt(0)
	v_mul_f64 v[188:189], v[226:227], v[190:191]
	v_mul_f64 v[212:213], v[224:225], v[190:191]
	s_delay_alu instid0(VALU_DEP_2) | instskip(NEXT) | instid1(VALU_DEP_2)
	v_fma_f64 v[188:189], v[224:225], v[232:233], -v[188:189]
	v_fma_f64 v[212:213], v[226:227], v[232:233], v[212:213]
	ds_load_2addr_b64 v[224:227], v234 offset0:36 offset1:37
	v_add_f64 v[152:153], v[152:153], -v[188:189]
	v_add_f64 v[154:155], v[154:155], -v[212:213]
	s_waitcnt lgkmcnt(0)
	v_mul_f64 v[188:189], v[226:227], v[190:191]
	v_mul_f64 v[212:213], v[224:225], v[190:191]
	s_delay_alu instid0(VALU_DEP_2) | instskip(NEXT) | instid1(VALU_DEP_2)
	v_fma_f64 v[188:189], v[224:225], v[232:233], -v[188:189]
	v_fma_f64 v[212:213], v[226:227], v[232:233], v[212:213]
	ds_load_2addr_b64 v[224:227], v234 offset0:38 offset1:39
	v_add_f64 v[148:149], v[148:149], -v[188:189]
	v_add_f64 v[150:151], v[150:151], -v[212:213]
	s_waitcnt lgkmcnt(0)
	v_mul_f64 v[188:189], v[226:227], v[190:191]
	v_mul_f64 v[212:213], v[224:225], v[190:191]
	s_delay_alu instid0(VALU_DEP_2) | instskip(NEXT) | instid1(VALU_DEP_2)
	v_fma_f64 v[188:189], v[224:225], v[232:233], -v[188:189]
	v_fma_f64 v[212:213], v[226:227], v[232:233], v[212:213]
	ds_load_2addr_b64 v[224:227], v234 offset0:40 offset1:41
	v_add_f64 v[144:145], v[144:145], -v[188:189]
	v_add_f64 v[146:147], v[146:147], -v[212:213]
	s_waitcnt lgkmcnt(0)
	v_mul_f64 v[188:189], v[226:227], v[190:191]
	v_mul_f64 v[212:213], v[224:225], v[190:191]
	s_delay_alu instid0(VALU_DEP_2) | instskip(NEXT) | instid1(VALU_DEP_2)
	v_fma_f64 v[188:189], v[224:225], v[232:233], -v[188:189]
	v_fma_f64 v[212:213], v[226:227], v[232:233], v[212:213]
	ds_load_2addr_b64 v[224:227], v234 offset0:42 offset1:43
	v_add_f64 v[140:141], v[140:141], -v[188:189]
	v_add_f64 v[142:143], v[142:143], -v[212:213]
	s_waitcnt lgkmcnt(0)
	v_mul_f64 v[188:189], v[226:227], v[190:191]
	v_mul_f64 v[212:213], v[224:225], v[190:191]
	s_delay_alu instid0(VALU_DEP_2) | instskip(NEXT) | instid1(VALU_DEP_2)
	v_fma_f64 v[188:189], v[224:225], v[232:233], -v[188:189]
	v_fma_f64 v[212:213], v[226:227], v[232:233], v[212:213]
	ds_load_2addr_b64 v[224:227], v234 offset0:44 offset1:45
	v_add_f64 v[136:137], v[136:137], -v[188:189]
	v_add_f64 v[138:139], v[138:139], -v[212:213]
	s_waitcnt lgkmcnt(0)
	v_mul_f64 v[188:189], v[226:227], v[190:191]
	v_mul_f64 v[212:213], v[224:225], v[190:191]
	s_delay_alu instid0(VALU_DEP_2) | instskip(NEXT) | instid1(VALU_DEP_2)
	v_fma_f64 v[188:189], v[224:225], v[232:233], -v[188:189]
	v_fma_f64 v[212:213], v[226:227], v[232:233], v[212:213]
	ds_load_2addr_b64 v[224:227], v234 offset0:46 offset1:47
	v_add_f64 v[132:133], v[132:133], -v[188:189]
	v_add_f64 v[134:135], v[134:135], -v[212:213]
	s_waitcnt lgkmcnt(0)
	v_mul_f64 v[188:189], v[226:227], v[190:191]
	v_mul_f64 v[212:213], v[224:225], v[190:191]
	s_delay_alu instid0(VALU_DEP_2) | instskip(NEXT) | instid1(VALU_DEP_2)
	v_fma_f64 v[188:189], v[224:225], v[232:233], -v[188:189]
	v_fma_f64 v[212:213], v[226:227], v[232:233], v[212:213]
	ds_load_2addr_b64 v[224:227], v234 offset0:48 offset1:49
	v_add_f64 v[128:129], v[128:129], -v[188:189]
	v_add_f64 v[130:131], v[130:131], -v[212:213]
	s_waitcnt lgkmcnt(0)
	v_mul_f64 v[188:189], v[226:227], v[190:191]
	v_mul_f64 v[212:213], v[224:225], v[190:191]
	s_delay_alu instid0(VALU_DEP_2) | instskip(NEXT) | instid1(VALU_DEP_2)
	v_fma_f64 v[188:189], v[224:225], v[232:233], -v[188:189]
	v_fma_f64 v[212:213], v[226:227], v[232:233], v[212:213]
	ds_load_2addr_b64 v[224:227], v234 offset0:50 offset1:51
	v_add_f64 v[124:125], v[124:125], -v[188:189]
	v_add_f64 v[126:127], v[126:127], -v[212:213]
	s_waitcnt lgkmcnt(0)
	v_mul_f64 v[188:189], v[226:227], v[190:191]
	v_mul_f64 v[212:213], v[224:225], v[190:191]
	s_delay_alu instid0(VALU_DEP_2) | instskip(NEXT) | instid1(VALU_DEP_2)
	v_fma_f64 v[188:189], v[224:225], v[232:233], -v[188:189]
	v_fma_f64 v[212:213], v[226:227], v[232:233], v[212:213]
	ds_load_2addr_b64 v[224:227], v234 offset0:52 offset1:53
	v_add_f64 v[120:121], v[120:121], -v[188:189]
	v_add_f64 v[122:123], v[122:123], -v[212:213]
	s_waitcnt lgkmcnt(0)
	v_mul_f64 v[188:189], v[226:227], v[190:191]
	v_mul_f64 v[212:213], v[224:225], v[190:191]
	s_delay_alu instid0(VALU_DEP_2) | instskip(NEXT) | instid1(VALU_DEP_2)
	v_fma_f64 v[188:189], v[224:225], v[232:233], -v[188:189]
	v_fma_f64 v[212:213], v[226:227], v[232:233], v[212:213]
	ds_load_2addr_b64 v[224:227], v234 offset0:54 offset1:55
	v_add_f64 v[116:117], v[116:117], -v[188:189]
	v_add_f64 v[118:119], v[118:119], -v[212:213]
	s_waitcnt lgkmcnt(0)
	v_mul_f64 v[188:189], v[226:227], v[190:191]
	v_mul_f64 v[212:213], v[224:225], v[190:191]
	s_delay_alu instid0(VALU_DEP_2) | instskip(NEXT) | instid1(VALU_DEP_2)
	v_fma_f64 v[188:189], v[224:225], v[232:233], -v[188:189]
	v_fma_f64 v[212:213], v[226:227], v[232:233], v[212:213]
	ds_load_2addr_b64 v[224:227], v234 offset0:56 offset1:57
	v_add_f64 v[112:113], v[112:113], -v[188:189]
	v_add_f64 v[114:115], v[114:115], -v[212:213]
	s_waitcnt lgkmcnt(0)
	v_mul_f64 v[188:189], v[226:227], v[190:191]
	v_mul_f64 v[212:213], v[224:225], v[190:191]
	s_delay_alu instid0(VALU_DEP_2) | instskip(NEXT) | instid1(VALU_DEP_2)
	v_fma_f64 v[188:189], v[224:225], v[232:233], -v[188:189]
	v_fma_f64 v[212:213], v[226:227], v[232:233], v[212:213]
	ds_load_2addr_b64 v[224:227], v234 offset0:58 offset1:59
	v_add_f64 v[108:109], v[108:109], -v[188:189]
	v_add_f64 v[110:111], v[110:111], -v[212:213]
	s_waitcnt lgkmcnt(0)
	v_mul_f64 v[188:189], v[226:227], v[190:191]
	v_mul_f64 v[212:213], v[224:225], v[190:191]
	s_delay_alu instid0(VALU_DEP_2) | instskip(NEXT) | instid1(VALU_DEP_2)
	v_fma_f64 v[188:189], v[224:225], v[232:233], -v[188:189]
	v_fma_f64 v[212:213], v[226:227], v[232:233], v[212:213]
	ds_load_2addr_b64 v[224:227], v234 offset0:60 offset1:61
	v_add_f64 v[104:105], v[104:105], -v[188:189]
	v_add_f64 v[106:107], v[106:107], -v[212:213]
	s_waitcnt lgkmcnt(0)
	v_mul_f64 v[188:189], v[226:227], v[190:191]
	v_mul_f64 v[212:213], v[224:225], v[190:191]
	s_delay_alu instid0(VALU_DEP_2) | instskip(NEXT) | instid1(VALU_DEP_2)
	v_fma_f64 v[188:189], v[224:225], v[232:233], -v[188:189]
	v_fma_f64 v[212:213], v[226:227], v[232:233], v[212:213]
	ds_load_2addr_b64 v[224:227], v234 offset0:62 offset1:63
	v_add_f64 v[100:101], v[100:101], -v[188:189]
	v_add_f64 v[102:103], v[102:103], -v[212:213]
	s_waitcnt lgkmcnt(0)
	v_mul_f64 v[188:189], v[226:227], v[190:191]
	v_mul_f64 v[212:213], v[224:225], v[190:191]
	s_delay_alu instid0(VALU_DEP_2) | instskip(NEXT) | instid1(VALU_DEP_2)
	v_fma_f64 v[188:189], v[224:225], v[232:233], -v[188:189]
	v_fma_f64 v[212:213], v[226:227], v[232:233], v[212:213]
	ds_load_2addr_b64 v[224:227], v234 offset0:64 offset1:65
	v_add_f64 v[96:97], v[96:97], -v[188:189]
	v_add_f64 v[98:99], v[98:99], -v[212:213]
	s_waitcnt lgkmcnt(0)
	v_mul_f64 v[188:189], v[226:227], v[190:191]
	v_mul_f64 v[212:213], v[224:225], v[190:191]
	s_delay_alu instid0(VALU_DEP_2) | instskip(NEXT) | instid1(VALU_DEP_2)
	v_fma_f64 v[188:189], v[224:225], v[232:233], -v[188:189]
	v_fma_f64 v[212:213], v[226:227], v[232:233], v[212:213]
	ds_load_2addr_b64 v[224:227], v234 offset0:66 offset1:67
	v_add_f64 v[92:93], v[92:93], -v[188:189]
	v_add_f64 v[94:95], v[94:95], -v[212:213]
	s_waitcnt lgkmcnt(0)
	v_mul_f64 v[188:189], v[226:227], v[190:191]
	v_mul_f64 v[212:213], v[224:225], v[190:191]
	s_delay_alu instid0(VALU_DEP_2) | instskip(NEXT) | instid1(VALU_DEP_2)
	v_fma_f64 v[188:189], v[224:225], v[232:233], -v[188:189]
	v_fma_f64 v[212:213], v[226:227], v[232:233], v[212:213]
	ds_load_2addr_b64 v[224:227], v234 offset0:68 offset1:69
	v_add_f64 v[88:89], v[88:89], -v[188:189]
	v_add_f64 v[90:91], v[90:91], -v[212:213]
	s_waitcnt lgkmcnt(0)
	v_mul_f64 v[188:189], v[226:227], v[190:191]
	v_mul_f64 v[212:213], v[224:225], v[190:191]
	s_delay_alu instid0(VALU_DEP_2) | instskip(NEXT) | instid1(VALU_DEP_2)
	v_fma_f64 v[188:189], v[224:225], v[232:233], -v[188:189]
	v_fma_f64 v[212:213], v[226:227], v[232:233], v[212:213]
	ds_load_2addr_b64 v[224:227], v234 offset0:70 offset1:71
	v_add_f64 v[84:85], v[84:85], -v[188:189]
	v_add_f64 v[86:87], v[86:87], -v[212:213]
	s_waitcnt lgkmcnt(0)
	v_mul_f64 v[188:189], v[226:227], v[190:191]
	v_mul_f64 v[212:213], v[224:225], v[190:191]
	s_delay_alu instid0(VALU_DEP_2) | instskip(NEXT) | instid1(VALU_DEP_2)
	v_fma_f64 v[188:189], v[224:225], v[232:233], -v[188:189]
	v_fma_f64 v[212:213], v[226:227], v[232:233], v[212:213]
	ds_load_2addr_b64 v[224:227], v234 offset0:72 offset1:73
	v_add_f64 v[80:81], v[80:81], -v[188:189]
	v_add_f64 v[82:83], v[82:83], -v[212:213]
	s_waitcnt lgkmcnt(0)
	v_mul_f64 v[188:189], v[226:227], v[190:191]
	v_mul_f64 v[212:213], v[224:225], v[190:191]
	s_delay_alu instid0(VALU_DEP_2) | instskip(NEXT) | instid1(VALU_DEP_2)
	v_fma_f64 v[188:189], v[224:225], v[232:233], -v[188:189]
	v_fma_f64 v[212:213], v[226:227], v[232:233], v[212:213]
	ds_load_2addr_b64 v[224:227], v234 offset0:74 offset1:75
	v_add_f64 v[76:77], v[76:77], -v[188:189]
	v_add_f64 v[78:79], v[78:79], -v[212:213]
	s_waitcnt lgkmcnt(0)
	v_mul_f64 v[188:189], v[226:227], v[190:191]
	v_mul_f64 v[212:213], v[224:225], v[190:191]
	s_delay_alu instid0(VALU_DEP_2) | instskip(NEXT) | instid1(VALU_DEP_2)
	v_fma_f64 v[188:189], v[224:225], v[232:233], -v[188:189]
	v_fma_f64 v[212:213], v[226:227], v[232:233], v[212:213]
	ds_load_2addr_b64 v[224:227], v234 offset0:76 offset1:77
	v_add_f64 v[72:73], v[72:73], -v[188:189]
	v_add_f64 v[74:75], v[74:75], -v[212:213]
	s_waitcnt lgkmcnt(0)
	v_mul_f64 v[188:189], v[226:227], v[190:191]
	v_mul_f64 v[212:213], v[224:225], v[190:191]
	s_delay_alu instid0(VALU_DEP_2) | instskip(NEXT) | instid1(VALU_DEP_2)
	v_fma_f64 v[188:189], v[224:225], v[232:233], -v[188:189]
	v_fma_f64 v[212:213], v[226:227], v[232:233], v[212:213]
	ds_load_2addr_b64 v[224:227], v234 offset0:78 offset1:79
	v_add_f64 v[68:69], v[68:69], -v[188:189]
	v_add_f64 v[70:71], v[70:71], -v[212:213]
	s_waitcnt lgkmcnt(0)
	v_mul_f64 v[188:189], v[226:227], v[190:191]
	v_mul_f64 v[212:213], v[224:225], v[190:191]
	s_delay_alu instid0(VALU_DEP_2) | instskip(NEXT) | instid1(VALU_DEP_2)
	v_fma_f64 v[188:189], v[224:225], v[232:233], -v[188:189]
	v_fma_f64 v[212:213], v[226:227], v[232:233], v[212:213]
	ds_load_2addr_b64 v[224:227], v234 offset0:80 offset1:81
	v_add_f64 v[64:65], v[64:65], -v[188:189]
	v_add_f64 v[66:67], v[66:67], -v[212:213]
	s_waitcnt lgkmcnt(0)
	v_mul_f64 v[188:189], v[226:227], v[190:191]
	v_mul_f64 v[212:213], v[224:225], v[190:191]
	s_delay_alu instid0(VALU_DEP_2) | instskip(NEXT) | instid1(VALU_DEP_2)
	v_fma_f64 v[188:189], v[224:225], v[232:233], -v[188:189]
	v_fma_f64 v[212:213], v[226:227], v[232:233], v[212:213]
	ds_load_2addr_b64 v[224:227], v234 offset0:82 offset1:83
	v_add_f64 v[60:61], v[60:61], -v[188:189]
	v_add_f64 v[62:63], v[62:63], -v[212:213]
	s_waitcnt lgkmcnt(0)
	v_mul_f64 v[188:189], v[226:227], v[190:191]
	v_mul_f64 v[212:213], v[224:225], v[190:191]
	s_delay_alu instid0(VALU_DEP_2) | instskip(NEXT) | instid1(VALU_DEP_2)
	v_fma_f64 v[188:189], v[224:225], v[232:233], -v[188:189]
	v_fma_f64 v[212:213], v[226:227], v[232:233], v[212:213]
	ds_load_2addr_b64 v[224:227], v234 offset0:84 offset1:85
	v_add_f64 v[56:57], v[56:57], -v[188:189]
	v_add_f64 v[58:59], v[58:59], -v[212:213]
	s_waitcnt lgkmcnt(0)
	v_mul_f64 v[188:189], v[226:227], v[190:191]
	v_mul_f64 v[212:213], v[224:225], v[190:191]
	s_delay_alu instid0(VALU_DEP_2) | instskip(NEXT) | instid1(VALU_DEP_2)
	v_fma_f64 v[188:189], v[224:225], v[232:233], -v[188:189]
	v_fma_f64 v[212:213], v[226:227], v[232:233], v[212:213]
	ds_load_2addr_b64 v[224:227], v234 offset0:86 offset1:87
	v_add_f64 v[52:53], v[52:53], -v[188:189]
	v_add_f64 v[54:55], v[54:55], -v[212:213]
	s_waitcnt lgkmcnt(0)
	v_mul_f64 v[188:189], v[226:227], v[190:191]
	v_mul_f64 v[212:213], v[224:225], v[190:191]
	s_delay_alu instid0(VALU_DEP_2) | instskip(NEXT) | instid1(VALU_DEP_2)
	v_fma_f64 v[188:189], v[224:225], v[232:233], -v[188:189]
	v_fma_f64 v[212:213], v[226:227], v[232:233], v[212:213]
	ds_load_2addr_b64 v[224:227], v234 offset0:88 offset1:89
	v_add_f64 v[48:49], v[48:49], -v[188:189]
	v_add_f64 v[50:51], v[50:51], -v[212:213]
	s_waitcnt lgkmcnt(0)
	v_mul_f64 v[188:189], v[226:227], v[190:191]
	v_mul_f64 v[212:213], v[224:225], v[190:191]
	s_delay_alu instid0(VALU_DEP_2) | instskip(NEXT) | instid1(VALU_DEP_2)
	v_fma_f64 v[188:189], v[224:225], v[232:233], -v[188:189]
	v_fma_f64 v[212:213], v[226:227], v[232:233], v[212:213]
	ds_load_2addr_b64 v[224:227], v234 offset0:90 offset1:91
	v_add_f64 v[44:45], v[44:45], -v[188:189]
	v_add_f64 v[46:47], v[46:47], -v[212:213]
	s_waitcnt lgkmcnt(0)
	v_mul_f64 v[188:189], v[226:227], v[190:191]
	v_mul_f64 v[212:213], v[224:225], v[190:191]
	s_delay_alu instid0(VALU_DEP_2) | instskip(NEXT) | instid1(VALU_DEP_2)
	v_fma_f64 v[188:189], v[224:225], v[232:233], -v[188:189]
	v_fma_f64 v[212:213], v[226:227], v[232:233], v[212:213]
	ds_load_2addr_b64 v[224:227], v234 offset0:92 offset1:93
	v_add_f64 v[40:41], v[40:41], -v[188:189]
	v_add_f64 v[42:43], v[42:43], -v[212:213]
	s_waitcnt lgkmcnt(0)
	v_mul_f64 v[188:189], v[226:227], v[190:191]
	v_mul_f64 v[212:213], v[224:225], v[190:191]
	s_delay_alu instid0(VALU_DEP_2) | instskip(NEXT) | instid1(VALU_DEP_2)
	v_fma_f64 v[188:189], v[224:225], v[232:233], -v[188:189]
	v_fma_f64 v[212:213], v[226:227], v[232:233], v[212:213]
	ds_load_2addr_b64 v[224:227], v234 offset0:94 offset1:95
	v_add_f64 v[36:37], v[36:37], -v[188:189]
	v_add_f64 v[38:39], v[38:39], -v[212:213]
	s_waitcnt lgkmcnt(0)
	v_mul_f64 v[188:189], v[226:227], v[190:191]
	v_mul_f64 v[212:213], v[224:225], v[190:191]
	s_delay_alu instid0(VALU_DEP_2) | instskip(NEXT) | instid1(VALU_DEP_2)
	v_fma_f64 v[188:189], v[224:225], v[232:233], -v[188:189]
	v_fma_f64 v[212:213], v[226:227], v[232:233], v[212:213]
	ds_load_2addr_b64 v[224:227], v234 offset0:96 offset1:97
	v_add_f64 v[32:33], v[32:33], -v[188:189]
	v_add_f64 v[34:35], v[34:35], -v[212:213]
	s_waitcnt lgkmcnt(0)
	v_mul_f64 v[188:189], v[226:227], v[190:191]
	v_mul_f64 v[212:213], v[224:225], v[190:191]
	s_delay_alu instid0(VALU_DEP_2) | instskip(NEXT) | instid1(VALU_DEP_2)
	v_fma_f64 v[188:189], v[224:225], v[232:233], -v[188:189]
	v_fma_f64 v[212:213], v[226:227], v[232:233], v[212:213]
	ds_load_2addr_b64 v[224:227], v234 offset0:98 offset1:99
	v_add_f64 v[28:29], v[28:29], -v[188:189]
	v_add_f64 v[30:31], v[30:31], -v[212:213]
	s_waitcnt lgkmcnt(0)
	v_mul_f64 v[188:189], v[226:227], v[190:191]
	v_mul_f64 v[212:213], v[224:225], v[190:191]
	s_delay_alu instid0(VALU_DEP_2) | instskip(NEXT) | instid1(VALU_DEP_2)
	v_fma_f64 v[188:189], v[224:225], v[232:233], -v[188:189]
	v_fma_f64 v[212:213], v[226:227], v[232:233], v[212:213]
	ds_load_2addr_b64 v[224:227], v234 offset0:100 offset1:101
	v_add_f64 v[24:25], v[24:25], -v[188:189]
	v_add_f64 v[26:27], v[26:27], -v[212:213]
	s_waitcnt lgkmcnt(0)
	v_mul_f64 v[188:189], v[226:227], v[190:191]
	v_mul_f64 v[212:213], v[224:225], v[190:191]
	s_delay_alu instid0(VALU_DEP_2) | instskip(NEXT) | instid1(VALU_DEP_2)
	v_fma_f64 v[188:189], v[224:225], v[232:233], -v[188:189]
	v_fma_f64 v[212:213], v[226:227], v[232:233], v[212:213]
	ds_load_2addr_b64 v[224:227], v234 offset0:102 offset1:103
	v_add_f64 v[20:21], v[20:21], -v[188:189]
	v_add_f64 v[22:23], v[22:23], -v[212:213]
	s_waitcnt lgkmcnt(0)
	v_mul_f64 v[188:189], v[226:227], v[190:191]
	v_mul_f64 v[212:213], v[224:225], v[190:191]
	s_delay_alu instid0(VALU_DEP_2) | instskip(NEXT) | instid1(VALU_DEP_2)
	v_fma_f64 v[188:189], v[224:225], v[232:233], -v[188:189]
	v_fma_f64 v[212:213], v[226:227], v[232:233], v[212:213]
	ds_load_2addr_b64 v[224:227], v234 offset0:104 offset1:105
	v_add_f64 v[16:17], v[16:17], -v[188:189]
	v_add_f64 v[18:19], v[18:19], -v[212:213]
	s_waitcnt lgkmcnt(0)
	v_mul_f64 v[188:189], v[226:227], v[190:191]
	v_mul_f64 v[212:213], v[224:225], v[190:191]
	s_delay_alu instid0(VALU_DEP_2) | instskip(NEXT) | instid1(VALU_DEP_2)
	v_fma_f64 v[188:189], v[224:225], v[232:233], -v[188:189]
	v_fma_f64 v[212:213], v[226:227], v[232:233], v[212:213]
	ds_load_2addr_b64 v[224:227], v234 offset0:106 offset1:107
	v_add_f64 v[12:13], v[12:13], -v[188:189]
	v_add_f64 v[14:15], v[14:15], -v[212:213]
	s_waitcnt lgkmcnt(0)
	v_mul_f64 v[188:189], v[226:227], v[190:191]
	v_mul_f64 v[212:213], v[224:225], v[190:191]
	s_delay_alu instid0(VALU_DEP_2) | instskip(NEXT) | instid1(VALU_DEP_2)
	v_fma_f64 v[188:189], v[224:225], v[232:233], -v[188:189]
	v_fma_f64 v[212:213], v[226:227], v[232:233], v[212:213]
	ds_load_2addr_b64 v[224:227], v234 offset0:108 offset1:109
	v_add_f64 v[249:250], v[249:250], -v[188:189]
	v_add_f64 v[251:252], v[251:252], -v[212:213]
	s_waitcnt lgkmcnt(0)
	v_mul_f64 v[188:189], v[226:227], v[190:191]
	v_mul_f64 v[212:213], v[224:225], v[190:191]
	s_delay_alu instid0(VALU_DEP_2) | instskip(NEXT) | instid1(VALU_DEP_2)
	v_fma_f64 v[188:189], v[224:225], v[232:233], -v[188:189]
	v_fma_f64 v[212:213], v[226:227], v[232:233], v[212:213]
	ds_load_2addr_b64 v[224:227], v234 offset0:110 offset1:111
	v_add_f64 v[228:229], v[228:229], -v[188:189]
	v_add_f64 v[230:231], v[230:231], -v[212:213]
	s_waitcnt lgkmcnt(0)
	v_mul_f64 v[188:189], v[226:227], v[190:191]
	v_mul_f64 v[212:213], v[224:225], v[190:191]
	s_delay_alu instid0(VALU_DEP_2) | instskip(NEXT) | instid1(VALU_DEP_2)
	v_fma_f64 v[188:189], v[224:225], v[232:233], -v[188:189]
	v_fma_f64 v[212:213], v[226:227], v[232:233], v[212:213]
	s_delay_alu instid0(VALU_DEP_2) | instskip(NEXT) | instid1(VALU_DEP_2)
	v_add_f64 v[0:1], v[0:1], -v[188:189]
	v_add_f64 v[2:3], v[2:3], -v[212:213]
	v_dual_mov_b32 v188, v232 :: v_dual_mov_b32 v189, v233
.LBB110_189:
	s_or_b32 exec_lo, exec_lo, s2
	v_lshl_add_u32 v212, v240, 4, v234
	s_barrier
	buffer_gl0_inv
	v_mov_b32_e32 v232, 9
	ds_store_2addr_b64 v212, v[184:185], v[186:187] offset1:1
	s_waitcnt lgkmcnt(0)
	s_barrier
	buffer_gl0_inv
	ds_load_2addr_b64 v[224:227], v234 offset0:18 offset1:19
	s_cmp_lt_i32 s5, 11
	s_cbranch_scc1 .LBB110_192
; %bb.190:
	v_add3_u32 v233, v238, 0, 0xa0
	v_mov_b32_e32 v232, 9
	s_mov_b32 s6, 10
	s_set_inst_prefetch_distance 0x1
	.p2align	6
.LBB110_191:                            ; =>This Inner Loop Header: Depth=1
	ds_load_2addr_b64 v[241:244], v233 offset1:1
	s_waitcnt lgkmcnt(1)
	v_cmp_gt_f64_e32 vcc_lo, 0, v[224:225]
	v_xor_b32_e32 v212, 0x80000000, v225
	v_cmp_gt_f64_e64 s2, 0, v[226:227]
	v_xor_b32_e32 v214, 0x80000000, v227
	v_add_nc_u32_e32 v233, 16, v233
	s_waitcnt lgkmcnt(0)
	v_cmp_gt_f64_e64 s3, 0, v[241:242]
	v_mov_b32_e32 v216, v241
	v_dual_mov_b32 v218, v243 :: v_dual_cndmask_b32 v213, v225, v212
	v_xor_b32_e32 v212, 0x80000000, v242
	v_cndmask_b32_e64 v215, v227, v214, s2
	v_xor_b32_e32 v214, 0x80000000, v244
	s_delay_alu instid0(VALU_DEP_3) | instskip(SKIP_2) | instid1(VALU_DEP_2)
	v_cndmask_b32_e64 v217, v242, v212, s3
	v_cmp_gt_f64_e64 s3, 0, v[243:244]
	v_cndmask_b32_e32 v212, v224, v224, vcc_lo
	v_cndmask_b32_e64 v219, v244, v214, s3
	v_cndmask_b32_e64 v214, v226, v226, s2
	s_delay_alu instid0(VALU_DEP_2) | instskip(NEXT) | instid1(VALU_DEP_2)
	v_add_f64 v[216:217], v[216:217], v[218:219]
	v_add_f64 v[212:213], v[212:213], v[214:215]
	s_delay_alu instid0(VALU_DEP_1) | instskip(SKIP_4) | instid1(SALU_CYCLE_1)
	v_cmp_lt_f64_e32 vcc_lo, v[212:213], v[216:217]
	v_dual_cndmask_b32 v225, v225, v242 :: v_dual_cndmask_b32 v224, v224, v241
	v_dual_cndmask_b32 v227, v227, v244 :: v_dual_cndmask_b32 v226, v226, v243
	v_cndmask_b32_e64 v232, v232, s6, vcc_lo
	s_add_i32 s6, s6, 1
	s_cmp_lg_u32 s5, s6
	s_cbranch_scc1 .LBB110_191
.LBB110_192:
	s_set_inst_prefetch_distance 0x2
	s_waitcnt lgkmcnt(0)
	v_cmp_eq_f64_e32 vcc_lo, 0, v[224:225]
	v_cmp_eq_f64_e64 s2, 0, v[226:227]
	s_delay_alu instid0(VALU_DEP_1) | instskip(NEXT) | instid1(SALU_CYCLE_1)
	s_and_b32 s2, vcc_lo, s2
	s_and_saveexec_b32 s3, s2
	s_delay_alu instid0(SALU_CYCLE_1)
	s_xor_b32 s2, exec_lo, s3
; %bb.193:
	v_cmp_ne_u32_e32 vcc_lo, 0, v237
	v_cndmask_b32_e32 v237, 10, v237, vcc_lo
; %bb.194:
	s_and_not1_saveexec_b32 s3, s2
	s_cbranch_execz .LBB110_200
; %bb.195:
	v_cmp_gt_f64_e32 vcc_lo, 0, v[224:225]
	v_cmp_gt_f64_e64 s2, 0, v[226:227]
	v_xor_b32_e32 v212, 0x80000000, v225
	v_xor_b32_e32 v214, 0x80000000, v227
	s_delay_alu instid0(VALU_DEP_2) | instskip(NEXT) | instid1(VALU_DEP_2)
	v_cndmask_b32_e32 v213, v225, v212, vcc_lo
	v_cndmask_b32_e64 v215, v227, v214, s2
	v_cndmask_b32_e32 v212, v224, v224, vcc_lo
	v_cndmask_b32_e64 v214, v226, v226, s2
	s_mov_b32 s2, exec_lo
	s_delay_alu instid0(VALU_DEP_1)
	v_cmpx_ngt_f64_e32 v[212:213], v[214:215]
	s_xor_b32 s2, exec_lo, s2
	s_cbranch_execz .LBB110_197
; %bb.196:
	v_div_scale_f64 v[212:213], null, v[226:227], v[226:227], v[224:225]
	v_div_scale_f64 v[218:219], vcc_lo, v[224:225], v[226:227], v[224:225]
	s_delay_alu instid0(VALU_DEP_2) | instskip(SKIP_2) | instid1(VALU_DEP_1)
	v_rcp_f64_e32 v[214:215], v[212:213]
	s_waitcnt_depctr 0xfff
	v_fma_f64 v[216:217], -v[212:213], v[214:215], 1.0
	v_fma_f64 v[214:215], v[214:215], v[216:217], v[214:215]
	s_delay_alu instid0(VALU_DEP_1) | instskip(NEXT) | instid1(VALU_DEP_1)
	v_fma_f64 v[216:217], -v[212:213], v[214:215], 1.0
	v_fma_f64 v[214:215], v[214:215], v[216:217], v[214:215]
	s_delay_alu instid0(VALU_DEP_1) | instskip(NEXT) | instid1(VALU_DEP_1)
	v_mul_f64 v[216:217], v[218:219], v[214:215]
	v_fma_f64 v[212:213], -v[212:213], v[216:217], v[218:219]
	s_delay_alu instid0(VALU_DEP_1) | instskip(NEXT) | instid1(VALU_DEP_1)
	v_div_fmas_f64 v[212:213], v[212:213], v[214:215], v[216:217]
	v_div_fixup_f64 v[212:213], v[212:213], v[226:227], v[224:225]
	s_delay_alu instid0(VALU_DEP_1) | instskip(NEXT) | instid1(VALU_DEP_1)
	v_fma_f64 v[214:215], v[224:225], v[212:213], v[226:227]
	v_div_scale_f64 v[216:217], null, v[214:215], v[214:215], 1.0
	s_delay_alu instid0(VALU_DEP_1) | instskip(SKIP_2) | instid1(VALU_DEP_1)
	v_rcp_f64_e32 v[218:219], v[216:217]
	s_waitcnt_depctr 0xfff
	v_fma_f64 v[220:221], -v[216:217], v[218:219], 1.0
	v_fma_f64 v[218:219], v[218:219], v[220:221], v[218:219]
	s_delay_alu instid0(VALU_DEP_1) | instskip(NEXT) | instid1(VALU_DEP_1)
	v_fma_f64 v[220:221], -v[216:217], v[218:219], 1.0
	v_fma_f64 v[218:219], v[218:219], v[220:221], v[218:219]
	v_div_scale_f64 v[220:221], vcc_lo, 1.0, v[214:215], 1.0
	s_delay_alu instid0(VALU_DEP_1) | instskip(NEXT) | instid1(VALU_DEP_1)
	v_mul_f64 v[222:223], v[220:221], v[218:219]
	v_fma_f64 v[216:217], -v[216:217], v[222:223], v[220:221]
	s_delay_alu instid0(VALU_DEP_1) | instskip(NEXT) | instid1(VALU_DEP_1)
	v_div_fmas_f64 v[216:217], v[216:217], v[218:219], v[222:223]
	v_div_fixup_f64 v[226:227], v[216:217], v[214:215], 1.0
	s_delay_alu instid0(VALU_DEP_1)
	v_mul_f64 v[224:225], v[212:213], v[226:227]
	v_xor_b32_e32 v227, 0x80000000, v227
.LBB110_197:
	s_and_not1_saveexec_b32 s2, s2
	s_cbranch_execz .LBB110_199
; %bb.198:
	s_delay_alu instid0(VALU_DEP_1) | instskip(SKIP_1) | instid1(VALU_DEP_2)
	v_div_scale_f64 v[212:213], null, v[224:225], v[224:225], v[226:227]
	v_div_scale_f64 v[218:219], vcc_lo, v[226:227], v[224:225], v[226:227]
	v_rcp_f64_e32 v[214:215], v[212:213]
	s_waitcnt_depctr 0xfff
	v_fma_f64 v[216:217], -v[212:213], v[214:215], 1.0
	s_delay_alu instid0(VALU_DEP_1) | instskip(NEXT) | instid1(VALU_DEP_1)
	v_fma_f64 v[214:215], v[214:215], v[216:217], v[214:215]
	v_fma_f64 v[216:217], -v[212:213], v[214:215], 1.0
	s_delay_alu instid0(VALU_DEP_1) | instskip(NEXT) | instid1(VALU_DEP_1)
	v_fma_f64 v[214:215], v[214:215], v[216:217], v[214:215]
	v_mul_f64 v[216:217], v[218:219], v[214:215]
	s_delay_alu instid0(VALU_DEP_1) | instskip(NEXT) | instid1(VALU_DEP_1)
	v_fma_f64 v[212:213], -v[212:213], v[216:217], v[218:219]
	v_div_fmas_f64 v[212:213], v[212:213], v[214:215], v[216:217]
	s_delay_alu instid0(VALU_DEP_1) | instskip(NEXT) | instid1(VALU_DEP_1)
	v_div_fixup_f64 v[212:213], v[212:213], v[224:225], v[226:227]
	v_fma_f64 v[214:215], v[226:227], v[212:213], v[224:225]
	s_delay_alu instid0(VALU_DEP_1) | instskip(NEXT) | instid1(VALU_DEP_1)
	v_div_scale_f64 v[216:217], null, v[214:215], v[214:215], 1.0
	v_rcp_f64_e32 v[218:219], v[216:217]
	s_waitcnt_depctr 0xfff
	v_fma_f64 v[220:221], -v[216:217], v[218:219], 1.0
	s_delay_alu instid0(VALU_DEP_1) | instskip(NEXT) | instid1(VALU_DEP_1)
	v_fma_f64 v[218:219], v[218:219], v[220:221], v[218:219]
	v_fma_f64 v[220:221], -v[216:217], v[218:219], 1.0
	s_delay_alu instid0(VALU_DEP_1) | instskip(SKIP_1) | instid1(VALU_DEP_1)
	v_fma_f64 v[218:219], v[218:219], v[220:221], v[218:219]
	v_div_scale_f64 v[220:221], vcc_lo, 1.0, v[214:215], 1.0
	v_mul_f64 v[222:223], v[220:221], v[218:219]
	s_delay_alu instid0(VALU_DEP_1) | instskip(NEXT) | instid1(VALU_DEP_1)
	v_fma_f64 v[216:217], -v[216:217], v[222:223], v[220:221]
	v_div_fmas_f64 v[216:217], v[216:217], v[218:219], v[222:223]
	s_delay_alu instid0(VALU_DEP_1) | instskip(NEXT) | instid1(VALU_DEP_1)
	v_div_fixup_f64 v[224:225], v[216:217], v[214:215], 1.0
	v_mul_f64 v[226:227], v[212:213], -v[224:225]
.LBB110_199:
	s_or_b32 exec_lo, exec_lo, s2
.LBB110_200:
	s_delay_alu instid0(SALU_CYCLE_1) | instskip(NEXT) | instid1(SALU_CYCLE_1)
	s_or_b32 exec_lo, exec_lo, s3
	s_mov_b32 s2, exec_lo
	v_cmpx_ne_u32_e64 v240, v232
	s_xor_b32 s2, exec_lo, s2
	s_cbranch_execz .LBB110_206
; %bb.201:
	s_mov_b32 s3, exec_lo
	v_cmpx_eq_u32_e32 9, v240
	s_cbranch_execz .LBB110_205
; %bb.202:
	v_cmp_ne_u32_e32 vcc_lo, 9, v232
	s_xor_b32 s6, s4, -1
	s_delay_alu instid0(SALU_CYCLE_1) | instskip(NEXT) | instid1(SALU_CYCLE_1)
	s_and_b32 s7, s6, vcc_lo
	s_and_saveexec_b32 s6, s7
	s_cbranch_execz .LBB110_204
; %bb.203:
	scratch_load_b64 v[10:11], off, off     ; 8-byte Folded Reload
	v_ashrrev_i32_e32 v233, 31, v232
	s_delay_alu instid0(VALU_DEP_1) | instskip(SKIP_1) | instid1(VALU_DEP_1)
	v_lshlrev_b64 v[212:213], 2, v[232:233]
	s_waitcnt vmcnt(0)
	v_add_co_u32 v212, vcc_lo, v10, v212
	s_delay_alu instid0(VALU_DEP_2)
	v_add_co_ci_u32_e32 v213, vcc_lo, v11, v213, vcc_lo
	s_clause 0x1
	flat_load_b32 v214, v[212:213]
	flat_load_b32 v215, v[10:11] offset:36
	s_waitcnt vmcnt(1) lgkmcnt(1)
	flat_store_b32 v[10:11], v214 offset:36
	s_waitcnt vmcnt(0) lgkmcnt(1)
	flat_store_b32 v[212:213], v215
.LBB110_204:
	s_or_b32 exec_lo, exec_lo, s6
	v_mov_b32_e32 v240, v232
	v_mov_b32_e32 v239, v232
.LBB110_205:
	s_or_b32 exec_lo, exec_lo, s3
.LBB110_206:
	s_and_not1_saveexec_b32 s2, s2
	s_cbranch_execz .LBB110_208
; %bb.207:
	v_mov_b32_e32 v240, 9
	ds_store_2addr_b64 v234, v[180:181], v[182:183] offset0:20 offset1:21
	ds_store_2addr_b64 v234, v[176:177], v[178:179] offset0:22 offset1:23
	;; [unrolled: 1-line block ×46, first 2 shown]
.LBB110_208:
	s_or_b32 exec_lo, exec_lo, s2
	s_delay_alu instid0(SALU_CYCLE_1)
	s_mov_b32 s2, exec_lo
	s_waitcnt lgkmcnt(0)
	s_waitcnt_vscnt null, 0x0
	s_barrier
	buffer_gl0_inv
	v_cmpx_lt_i32_e32 9, v240
	s_cbranch_execz .LBB110_210
; %bb.209:
	v_mul_f64 v[212:213], v[226:227], v[186:187]
	v_mul_f64 v[186:187], v[224:225], v[186:187]
	s_delay_alu instid0(VALU_DEP_2) | instskip(NEXT) | instid1(VALU_DEP_2)
	v_fma_f64 v[232:233], v[224:225], v[184:185], -v[212:213]
	v_fma_f64 v[186:187], v[226:227], v[184:185], v[186:187]
	ds_load_2addr_b64 v[224:227], v234 offset0:20 offset1:21
	s_waitcnt lgkmcnt(0)
	v_mul_f64 v[184:185], v[226:227], v[186:187]
	v_mul_f64 v[212:213], v[224:225], v[186:187]
	s_delay_alu instid0(VALU_DEP_2) | instskip(NEXT) | instid1(VALU_DEP_2)
	v_fma_f64 v[184:185], v[224:225], v[232:233], -v[184:185]
	v_fma_f64 v[212:213], v[226:227], v[232:233], v[212:213]
	ds_load_2addr_b64 v[224:227], v234 offset0:22 offset1:23
	v_add_f64 v[180:181], v[180:181], -v[184:185]
	v_add_f64 v[182:183], v[182:183], -v[212:213]
	s_waitcnt lgkmcnt(0)
	v_mul_f64 v[184:185], v[226:227], v[186:187]
	v_mul_f64 v[212:213], v[224:225], v[186:187]
	s_delay_alu instid0(VALU_DEP_2) | instskip(NEXT) | instid1(VALU_DEP_2)
	v_fma_f64 v[184:185], v[224:225], v[232:233], -v[184:185]
	v_fma_f64 v[212:213], v[226:227], v[232:233], v[212:213]
	ds_load_2addr_b64 v[224:227], v234 offset0:24 offset1:25
	v_add_f64 v[176:177], v[176:177], -v[184:185]
	v_add_f64 v[178:179], v[178:179], -v[212:213]
	;; [unrolled: 9-line block ×45, first 2 shown]
	s_waitcnt lgkmcnt(0)
	v_mul_f64 v[184:185], v[226:227], v[186:187]
	v_mul_f64 v[212:213], v[224:225], v[186:187]
	s_delay_alu instid0(VALU_DEP_2) | instskip(NEXT) | instid1(VALU_DEP_2)
	v_fma_f64 v[184:185], v[224:225], v[232:233], -v[184:185]
	v_fma_f64 v[212:213], v[226:227], v[232:233], v[212:213]
	s_delay_alu instid0(VALU_DEP_2) | instskip(NEXT) | instid1(VALU_DEP_2)
	v_add_f64 v[0:1], v[0:1], -v[184:185]
	v_add_f64 v[2:3], v[2:3], -v[212:213]
	v_dual_mov_b32 v184, v232 :: v_dual_mov_b32 v185, v233
.LBB110_210:
	s_or_b32 exec_lo, exec_lo, s2
	v_lshl_add_u32 v212, v240, 4, v234
	s_barrier
	buffer_gl0_inv
	v_mov_b32_e32 v232, 10
	ds_store_2addr_b64 v212, v[180:181], v[182:183] offset1:1
	s_waitcnt lgkmcnt(0)
	s_barrier
	buffer_gl0_inv
	ds_load_2addr_b64 v[224:227], v234 offset0:20 offset1:21
	s_cmp_lt_i32 s5, 12
	s_cbranch_scc1 .LBB110_213
; %bb.211:
	v_add3_u32 v233, v238, 0, 0xb0
	v_mov_b32_e32 v232, 10
	s_mov_b32 s6, 11
	s_set_inst_prefetch_distance 0x1
	.p2align	6
.LBB110_212:                            ; =>This Inner Loop Header: Depth=1
	ds_load_2addr_b64 v[241:244], v233 offset1:1
	s_waitcnt lgkmcnt(1)
	v_cmp_gt_f64_e32 vcc_lo, 0, v[224:225]
	v_xor_b32_e32 v212, 0x80000000, v225
	v_cmp_gt_f64_e64 s2, 0, v[226:227]
	v_xor_b32_e32 v214, 0x80000000, v227
	v_add_nc_u32_e32 v233, 16, v233
	s_waitcnt lgkmcnt(0)
	v_cmp_gt_f64_e64 s3, 0, v[241:242]
	v_mov_b32_e32 v216, v241
	v_dual_mov_b32 v218, v243 :: v_dual_cndmask_b32 v213, v225, v212
	v_xor_b32_e32 v212, 0x80000000, v242
	v_cndmask_b32_e64 v215, v227, v214, s2
	v_xor_b32_e32 v214, 0x80000000, v244
	s_delay_alu instid0(VALU_DEP_3) | instskip(SKIP_2) | instid1(VALU_DEP_2)
	v_cndmask_b32_e64 v217, v242, v212, s3
	v_cmp_gt_f64_e64 s3, 0, v[243:244]
	v_cndmask_b32_e32 v212, v224, v224, vcc_lo
	v_cndmask_b32_e64 v219, v244, v214, s3
	v_cndmask_b32_e64 v214, v226, v226, s2
	s_delay_alu instid0(VALU_DEP_2) | instskip(NEXT) | instid1(VALU_DEP_2)
	v_add_f64 v[216:217], v[216:217], v[218:219]
	v_add_f64 v[212:213], v[212:213], v[214:215]
	s_delay_alu instid0(VALU_DEP_1) | instskip(SKIP_4) | instid1(SALU_CYCLE_1)
	v_cmp_lt_f64_e32 vcc_lo, v[212:213], v[216:217]
	v_dual_cndmask_b32 v225, v225, v242 :: v_dual_cndmask_b32 v224, v224, v241
	v_dual_cndmask_b32 v227, v227, v244 :: v_dual_cndmask_b32 v226, v226, v243
	v_cndmask_b32_e64 v232, v232, s6, vcc_lo
	s_add_i32 s6, s6, 1
	s_cmp_lg_u32 s5, s6
	s_cbranch_scc1 .LBB110_212
.LBB110_213:
	s_set_inst_prefetch_distance 0x2
	s_waitcnt lgkmcnt(0)
	v_cmp_eq_f64_e32 vcc_lo, 0, v[224:225]
	v_cmp_eq_f64_e64 s2, 0, v[226:227]
	s_delay_alu instid0(VALU_DEP_1) | instskip(NEXT) | instid1(SALU_CYCLE_1)
	s_and_b32 s2, vcc_lo, s2
	s_and_saveexec_b32 s3, s2
	s_delay_alu instid0(SALU_CYCLE_1)
	s_xor_b32 s2, exec_lo, s3
; %bb.214:
	v_cmp_ne_u32_e32 vcc_lo, 0, v237
	v_cndmask_b32_e32 v237, 11, v237, vcc_lo
; %bb.215:
	s_and_not1_saveexec_b32 s3, s2
	s_cbranch_execz .LBB110_221
; %bb.216:
	v_cmp_gt_f64_e32 vcc_lo, 0, v[224:225]
	v_cmp_gt_f64_e64 s2, 0, v[226:227]
	v_xor_b32_e32 v212, 0x80000000, v225
	v_xor_b32_e32 v214, 0x80000000, v227
	s_delay_alu instid0(VALU_DEP_2) | instskip(NEXT) | instid1(VALU_DEP_2)
	v_cndmask_b32_e32 v213, v225, v212, vcc_lo
	v_cndmask_b32_e64 v215, v227, v214, s2
	v_cndmask_b32_e32 v212, v224, v224, vcc_lo
	v_cndmask_b32_e64 v214, v226, v226, s2
	s_mov_b32 s2, exec_lo
	s_delay_alu instid0(VALU_DEP_1)
	v_cmpx_ngt_f64_e32 v[212:213], v[214:215]
	s_xor_b32 s2, exec_lo, s2
	s_cbranch_execz .LBB110_218
; %bb.217:
	v_div_scale_f64 v[212:213], null, v[226:227], v[226:227], v[224:225]
	v_div_scale_f64 v[218:219], vcc_lo, v[224:225], v[226:227], v[224:225]
	s_delay_alu instid0(VALU_DEP_2) | instskip(SKIP_2) | instid1(VALU_DEP_1)
	v_rcp_f64_e32 v[214:215], v[212:213]
	s_waitcnt_depctr 0xfff
	v_fma_f64 v[216:217], -v[212:213], v[214:215], 1.0
	v_fma_f64 v[214:215], v[214:215], v[216:217], v[214:215]
	s_delay_alu instid0(VALU_DEP_1) | instskip(NEXT) | instid1(VALU_DEP_1)
	v_fma_f64 v[216:217], -v[212:213], v[214:215], 1.0
	v_fma_f64 v[214:215], v[214:215], v[216:217], v[214:215]
	s_delay_alu instid0(VALU_DEP_1) | instskip(NEXT) | instid1(VALU_DEP_1)
	v_mul_f64 v[216:217], v[218:219], v[214:215]
	v_fma_f64 v[212:213], -v[212:213], v[216:217], v[218:219]
	s_delay_alu instid0(VALU_DEP_1) | instskip(NEXT) | instid1(VALU_DEP_1)
	v_div_fmas_f64 v[212:213], v[212:213], v[214:215], v[216:217]
	v_div_fixup_f64 v[212:213], v[212:213], v[226:227], v[224:225]
	s_delay_alu instid0(VALU_DEP_1) | instskip(NEXT) | instid1(VALU_DEP_1)
	v_fma_f64 v[214:215], v[224:225], v[212:213], v[226:227]
	v_div_scale_f64 v[216:217], null, v[214:215], v[214:215], 1.0
	s_delay_alu instid0(VALU_DEP_1) | instskip(SKIP_2) | instid1(VALU_DEP_1)
	v_rcp_f64_e32 v[218:219], v[216:217]
	s_waitcnt_depctr 0xfff
	v_fma_f64 v[220:221], -v[216:217], v[218:219], 1.0
	v_fma_f64 v[218:219], v[218:219], v[220:221], v[218:219]
	s_delay_alu instid0(VALU_DEP_1) | instskip(NEXT) | instid1(VALU_DEP_1)
	v_fma_f64 v[220:221], -v[216:217], v[218:219], 1.0
	v_fma_f64 v[218:219], v[218:219], v[220:221], v[218:219]
	v_div_scale_f64 v[220:221], vcc_lo, 1.0, v[214:215], 1.0
	s_delay_alu instid0(VALU_DEP_1) | instskip(NEXT) | instid1(VALU_DEP_1)
	v_mul_f64 v[222:223], v[220:221], v[218:219]
	v_fma_f64 v[216:217], -v[216:217], v[222:223], v[220:221]
	s_delay_alu instid0(VALU_DEP_1) | instskip(NEXT) | instid1(VALU_DEP_1)
	v_div_fmas_f64 v[216:217], v[216:217], v[218:219], v[222:223]
	v_div_fixup_f64 v[226:227], v[216:217], v[214:215], 1.0
	s_delay_alu instid0(VALU_DEP_1)
	v_mul_f64 v[224:225], v[212:213], v[226:227]
	v_xor_b32_e32 v227, 0x80000000, v227
.LBB110_218:
	s_and_not1_saveexec_b32 s2, s2
	s_cbranch_execz .LBB110_220
; %bb.219:
	s_delay_alu instid0(VALU_DEP_1) | instskip(SKIP_1) | instid1(VALU_DEP_2)
	v_div_scale_f64 v[212:213], null, v[224:225], v[224:225], v[226:227]
	v_div_scale_f64 v[218:219], vcc_lo, v[226:227], v[224:225], v[226:227]
	v_rcp_f64_e32 v[214:215], v[212:213]
	s_waitcnt_depctr 0xfff
	v_fma_f64 v[216:217], -v[212:213], v[214:215], 1.0
	s_delay_alu instid0(VALU_DEP_1) | instskip(NEXT) | instid1(VALU_DEP_1)
	v_fma_f64 v[214:215], v[214:215], v[216:217], v[214:215]
	v_fma_f64 v[216:217], -v[212:213], v[214:215], 1.0
	s_delay_alu instid0(VALU_DEP_1) | instskip(NEXT) | instid1(VALU_DEP_1)
	v_fma_f64 v[214:215], v[214:215], v[216:217], v[214:215]
	v_mul_f64 v[216:217], v[218:219], v[214:215]
	s_delay_alu instid0(VALU_DEP_1) | instskip(NEXT) | instid1(VALU_DEP_1)
	v_fma_f64 v[212:213], -v[212:213], v[216:217], v[218:219]
	v_div_fmas_f64 v[212:213], v[212:213], v[214:215], v[216:217]
	s_delay_alu instid0(VALU_DEP_1) | instskip(NEXT) | instid1(VALU_DEP_1)
	v_div_fixup_f64 v[212:213], v[212:213], v[224:225], v[226:227]
	v_fma_f64 v[214:215], v[226:227], v[212:213], v[224:225]
	s_delay_alu instid0(VALU_DEP_1) | instskip(NEXT) | instid1(VALU_DEP_1)
	v_div_scale_f64 v[216:217], null, v[214:215], v[214:215], 1.0
	v_rcp_f64_e32 v[218:219], v[216:217]
	s_waitcnt_depctr 0xfff
	v_fma_f64 v[220:221], -v[216:217], v[218:219], 1.0
	s_delay_alu instid0(VALU_DEP_1) | instskip(NEXT) | instid1(VALU_DEP_1)
	v_fma_f64 v[218:219], v[218:219], v[220:221], v[218:219]
	v_fma_f64 v[220:221], -v[216:217], v[218:219], 1.0
	s_delay_alu instid0(VALU_DEP_1) | instskip(SKIP_1) | instid1(VALU_DEP_1)
	v_fma_f64 v[218:219], v[218:219], v[220:221], v[218:219]
	v_div_scale_f64 v[220:221], vcc_lo, 1.0, v[214:215], 1.0
	v_mul_f64 v[222:223], v[220:221], v[218:219]
	s_delay_alu instid0(VALU_DEP_1) | instskip(NEXT) | instid1(VALU_DEP_1)
	v_fma_f64 v[216:217], -v[216:217], v[222:223], v[220:221]
	v_div_fmas_f64 v[216:217], v[216:217], v[218:219], v[222:223]
	s_delay_alu instid0(VALU_DEP_1) | instskip(NEXT) | instid1(VALU_DEP_1)
	v_div_fixup_f64 v[224:225], v[216:217], v[214:215], 1.0
	v_mul_f64 v[226:227], v[212:213], -v[224:225]
.LBB110_220:
	s_or_b32 exec_lo, exec_lo, s2
.LBB110_221:
	s_delay_alu instid0(SALU_CYCLE_1) | instskip(NEXT) | instid1(SALU_CYCLE_1)
	s_or_b32 exec_lo, exec_lo, s3
	s_mov_b32 s2, exec_lo
	v_cmpx_ne_u32_e64 v240, v232
	s_xor_b32 s2, exec_lo, s2
	s_cbranch_execz .LBB110_227
; %bb.222:
	s_mov_b32 s3, exec_lo
	v_cmpx_eq_u32_e32 10, v240
	s_cbranch_execz .LBB110_226
; %bb.223:
	v_cmp_ne_u32_e32 vcc_lo, 10, v232
	s_xor_b32 s6, s4, -1
	s_delay_alu instid0(SALU_CYCLE_1) | instskip(NEXT) | instid1(SALU_CYCLE_1)
	s_and_b32 s7, s6, vcc_lo
	s_and_saveexec_b32 s6, s7
	s_cbranch_execz .LBB110_225
; %bb.224:
	scratch_load_b64 v[10:11], off, off     ; 8-byte Folded Reload
	v_ashrrev_i32_e32 v233, 31, v232
	s_delay_alu instid0(VALU_DEP_1) | instskip(SKIP_1) | instid1(VALU_DEP_1)
	v_lshlrev_b64 v[212:213], 2, v[232:233]
	s_waitcnt vmcnt(0)
	v_add_co_u32 v212, vcc_lo, v10, v212
	s_delay_alu instid0(VALU_DEP_2)
	v_add_co_ci_u32_e32 v213, vcc_lo, v11, v213, vcc_lo
	s_clause 0x1
	flat_load_b32 v214, v[212:213]
	flat_load_b32 v215, v[10:11] offset:40
	s_waitcnt vmcnt(1) lgkmcnt(1)
	flat_store_b32 v[10:11], v214 offset:40
	s_waitcnt vmcnt(0) lgkmcnt(1)
	flat_store_b32 v[212:213], v215
.LBB110_225:
	s_or_b32 exec_lo, exec_lo, s6
	v_mov_b32_e32 v240, v232
	v_mov_b32_e32 v239, v232
.LBB110_226:
	s_or_b32 exec_lo, exec_lo, s3
.LBB110_227:
	s_and_not1_saveexec_b32 s2, s2
	s_cbranch_execz .LBB110_229
; %bb.228:
	v_mov_b32_e32 v240, 10
	ds_store_2addr_b64 v234, v[176:177], v[178:179] offset0:22 offset1:23
	ds_store_2addr_b64 v234, v[172:173], v[174:175] offset0:24 offset1:25
	;; [unrolled: 1-line block ×45, first 2 shown]
.LBB110_229:
	s_or_b32 exec_lo, exec_lo, s2
	s_delay_alu instid0(SALU_CYCLE_1)
	s_mov_b32 s2, exec_lo
	s_waitcnt lgkmcnt(0)
	s_waitcnt_vscnt null, 0x0
	s_barrier
	buffer_gl0_inv
	v_cmpx_lt_i32_e32 10, v240
	s_cbranch_execz .LBB110_231
; %bb.230:
	v_mul_f64 v[212:213], v[226:227], v[182:183]
	v_mul_f64 v[182:183], v[224:225], v[182:183]
	s_delay_alu instid0(VALU_DEP_2) | instskip(NEXT) | instid1(VALU_DEP_2)
	v_fma_f64 v[232:233], v[224:225], v[180:181], -v[212:213]
	v_fma_f64 v[182:183], v[226:227], v[180:181], v[182:183]
	ds_load_2addr_b64 v[224:227], v234 offset0:22 offset1:23
	s_waitcnt lgkmcnt(0)
	v_mul_f64 v[180:181], v[226:227], v[182:183]
	v_mul_f64 v[212:213], v[224:225], v[182:183]
	s_delay_alu instid0(VALU_DEP_2) | instskip(NEXT) | instid1(VALU_DEP_2)
	v_fma_f64 v[180:181], v[224:225], v[232:233], -v[180:181]
	v_fma_f64 v[212:213], v[226:227], v[232:233], v[212:213]
	ds_load_2addr_b64 v[224:227], v234 offset0:24 offset1:25
	v_add_f64 v[176:177], v[176:177], -v[180:181]
	v_add_f64 v[178:179], v[178:179], -v[212:213]
	s_waitcnt lgkmcnt(0)
	v_mul_f64 v[180:181], v[226:227], v[182:183]
	v_mul_f64 v[212:213], v[224:225], v[182:183]
	s_delay_alu instid0(VALU_DEP_2) | instskip(NEXT) | instid1(VALU_DEP_2)
	v_fma_f64 v[180:181], v[224:225], v[232:233], -v[180:181]
	v_fma_f64 v[212:213], v[226:227], v[232:233], v[212:213]
	ds_load_2addr_b64 v[224:227], v234 offset0:26 offset1:27
	v_add_f64 v[172:173], v[172:173], -v[180:181]
	v_add_f64 v[174:175], v[174:175], -v[212:213]
	;; [unrolled: 9-line block ×44, first 2 shown]
	s_waitcnt lgkmcnt(0)
	v_mul_f64 v[180:181], v[226:227], v[182:183]
	v_mul_f64 v[212:213], v[224:225], v[182:183]
	s_delay_alu instid0(VALU_DEP_2) | instskip(NEXT) | instid1(VALU_DEP_2)
	v_fma_f64 v[180:181], v[224:225], v[232:233], -v[180:181]
	v_fma_f64 v[212:213], v[226:227], v[232:233], v[212:213]
	s_delay_alu instid0(VALU_DEP_2) | instskip(NEXT) | instid1(VALU_DEP_2)
	v_add_f64 v[0:1], v[0:1], -v[180:181]
	v_add_f64 v[2:3], v[2:3], -v[212:213]
	v_dual_mov_b32 v180, v232 :: v_dual_mov_b32 v181, v233
.LBB110_231:
	s_or_b32 exec_lo, exec_lo, s2
	v_lshl_add_u32 v212, v240, 4, v234
	s_barrier
	buffer_gl0_inv
	v_mov_b32_e32 v232, 11
	ds_store_2addr_b64 v212, v[176:177], v[178:179] offset1:1
	s_waitcnt lgkmcnt(0)
	s_barrier
	buffer_gl0_inv
	ds_load_2addr_b64 v[224:227], v234 offset0:22 offset1:23
	s_cmp_lt_i32 s5, 13
	s_cbranch_scc1 .LBB110_234
; %bb.232:
	v_add3_u32 v233, v238, 0, 0xc0
	v_mov_b32_e32 v232, 11
	s_mov_b32 s6, 12
	s_set_inst_prefetch_distance 0x1
	.p2align	6
.LBB110_233:                            ; =>This Inner Loop Header: Depth=1
	ds_load_2addr_b64 v[241:244], v233 offset1:1
	s_waitcnt lgkmcnt(1)
	v_cmp_gt_f64_e32 vcc_lo, 0, v[224:225]
	v_xor_b32_e32 v212, 0x80000000, v225
	v_cmp_gt_f64_e64 s2, 0, v[226:227]
	v_xor_b32_e32 v214, 0x80000000, v227
	v_add_nc_u32_e32 v233, 16, v233
	s_waitcnt lgkmcnt(0)
	v_cmp_gt_f64_e64 s3, 0, v[241:242]
	v_mov_b32_e32 v216, v241
	v_dual_mov_b32 v218, v243 :: v_dual_cndmask_b32 v213, v225, v212
	v_xor_b32_e32 v212, 0x80000000, v242
	v_cndmask_b32_e64 v215, v227, v214, s2
	v_xor_b32_e32 v214, 0x80000000, v244
	s_delay_alu instid0(VALU_DEP_3) | instskip(SKIP_2) | instid1(VALU_DEP_2)
	v_cndmask_b32_e64 v217, v242, v212, s3
	v_cmp_gt_f64_e64 s3, 0, v[243:244]
	v_cndmask_b32_e32 v212, v224, v224, vcc_lo
	v_cndmask_b32_e64 v219, v244, v214, s3
	v_cndmask_b32_e64 v214, v226, v226, s2
	s_delay_alu instid0(VALU_DEP_2) | instskip(NEXT) | instid1(VALU_DEP_2)
	v_add_f64 v[216:217], v[216:217], v[218:219]
	v_add_f64 v[212:213], v[212:213], v[214:215]
	s_delay_alu instid0(VALU_DEP_1) | instskip(SKIP_4) | instid1(SALU_CYCLE_1)
	v_cmp_lt_f64_e32 vcc_lo, v[212:213], v[216:217]
	v_dual_cndmask_b32 v225, v225, v242 :: v_dual_cndmask_b32 v224, v224, v241
	v_dual_cndmask_b32 v227, v227, v244 :: v_dual_cndmask_b32 v226, v226, v243
	v_cndmask_b32_e64 v232, v232, s6, vcc_lo
	s_add_i32 s6, s6, 1
	s_cmp_lg_u32 s5, s6
	s_cbranch_scc1 .LBB110_233
.LBB110_234:
	s_set_inst_prefetch_distance 0x2
	s_waitcnt lgkmcnt(0)
	v_cmp_eq_f64_e32 vcc_lo, 0, v[224:225]
	v_cmp_eq_f64_e64 s2, 0, v[226:227]
	s_delay_alu instid0(VALU_DEP_1) | instskip(NEXT) | instid1(SALU_CYCLE_1)
	s_and_b32 s2, vcc_lo, s2
	s_and_saveexec_b32 s3, s2
	s_delay_alu instid0(SALU_CYCLE_1)
	s_xor_b32 s2, exec_lo, s3
; %bb.235:
	v_cmp_ne_u32_e32 vcc_lo, 0, v237
	v_cndmask_b32_e32 v237, 12, v237, vcc_lo
; %bb.236:
	s_and_not1_saveexec_b32 s3, s2
	s_cbranch_execz .LBB110_242
; %bb.237:
	v_cmp_gt_f64_e32 vcc_lo, 0, v[224:225]
	v_cmp_gt_f64_e64 s2, 0, v[226:227]
	v_xor_b32_e32 v212, 0x80000000, v225
	v_xor_b32_e32 v214, 0x80000000, v227
	s_delay_alu instid0(VALU_DEP_2) | instskip(NEXT) | instid1(VALU_DEP_2)
	v_cndmask_b32_e32 v213, v225, v212, vcc_lo
	v_cndmask_b32_e64 v215, v227, v214, s2
	v_cndmask_b32_e32 v212, v224, v224, vcc_lo
	v_cndmask_b32_e64 v214, v226, v226, s2
	s_mov_b32 s2, exec_lo
	s_delay_alu instid0(VALU_DEP_1)
	v_cmpx_ngt_f64_e32 v[212:213], v[214:215]
	s_xor_b32 s2, exec_lo, s2
	s_cbranch_execz .LBB110_239
; %bb.238:
	v_div_scale_f64 v[212:213], null, v[226:227], v[226:227], v[224:225]
	v_div_scale_f64 v[218:219], vcc_lo, v[224:225], v[226:227], v[224:225]
	s_delay_alu instid0(VALU_DEP_2) | instskip(SKIP_2) | instid1(VALU_DEP_1)
	v_rcp_f64_e32 v[214:215], v[212:213]
	s_waitcnt_depctr 0xfff
	v_fma_f64 v[216:217], -v[212:213], v[214:215], 1.0
	v_fma_f64 v[214:215], v[214:215], v[216:217], v[214:215]
	s_delay_alu instid0(VALU_DEP_1) | instskip(NEXT) | instid1(VALU_DEP_1)
	v_fma_f64 v[216:217], -v[212:213], v[214:215], 1.0
	v_fma_f64 v[214:215], v[214:215], v[216:217], v[214:215]
	s_delay_alu instid0(VALU_DEP_1) | instskip(NEXT) | instid1(VALU_DEP_1)
	v_mul_f64 v[216:217], v[218:219], v[214:215]
	v_fma_f64 v[212:213], -v[212:213], v[216:217], v[218:219]
	s_delay_alu instid0(VALU_DEP_1) | instskip(NEXT) | instid1(VALU_DEP_1)
	v_div_fmas_f64 v[212:213], v[212:213], v[214:215], v[216:217]
	v_div_fixup_f64 v[212:213], v[212:213], v[226:227], v[224:225]
	s_delay_alu instid0(VALU_DEP_1) | instskip(NEXT) | instid1(VALU_DEP_1)
	v_fma_f64 v[214:215], v[224:225], v[212:213], v[226:227]
	v_div_scale_f64 v[216:217], null, v[214:215], v[214:215], 1.0
	s_delay_alu instid0(VALU_DEP_1) | instskip(SKIP_2) | instid1(VALU_DEP_1)
	v_rcp_f64_e32 v[218:219], v[216:217]
	s_waitcnt_depctr 0xfff
	v_fma_f64 v[220:221], -v[216:217], v[218:219], 1.0
	v_fma_f64 v[218:219], v[218:219], v[220:221], v[218:219]
	s_delay_alu instid0(VALU_DEP_1) | instskip(NEXT) | instid1(VALU_DEP_1)
	v_fma_f64 v[220:221], -v[216:217], v[218:219], 1.0
	v_fma_f64 v[218:219], v[218:219], v[220:221], v[218:219]
	v_div_scale_f64 v[220:221], vcc_lo, 1.0, v[214:215], 1.0
	s_delay_alu instid0(VALU_DEP_1) | instskip(NEXT) | instid1(VALU_DEP_1)
	v_mul_f64 v[222:223], v[220:221], v[218:219]
	v_fma_f64 v[216:217], -v[216:217], v[222:223], v[220:221]
	s_delay_alu instid0(VALU_DEP_1) | instskip(NEXT) | instid1(VALU_DEP_1)
	v_div_fmas_f64 v[216:217], v[216:217], v[218:219], v[222:223]
	v_div_fixup_f64 v[226:227], v[216:217], v[214:215], 1.0
	s_delay_alu instid0(VALU_DEP_1)
	v_mul_f64 v[224:225], v[212:213], v[226:227]
	v_xor_b32_e32 v227, 0x80000000, v227
.LBB110_239:
	s_and_not1_saveexec_b32 s2, s2
	s_cbranch_execz .LBB110_241
; %bb.240:
	s_delay_alu instid0(VALU_DEP_1) | instskip(SKIP_1) | instid1(VALU_DEP_2)
	v_div_scale_f64 v[212:213], null, v[224:225], v[224:225], v[226:227]
	v_div_scale_f64 v[218:219], vcc_lo, v[226:227], v[224:225], v[226:227]
	v_rcp_f64_e32 v[214:215], v[212:213]
	s_waitcnt_depctr 0xfff
	v_fma_f64 v[216:217], -v[212:213], v[214:215], 1.0
	s_delay_alu instid0(VALU_DEP_1) | instskip(NEXT) | instid1(VALU_DEP_1)
	v_fma_f64 v[214:215], v[214:215], v[216:217], v[214:215]
	v_fma_f64 v[216:217], -v[212:213], v[214:215], 1.0
	s_delay_alu instid0(VALU_DEP_1) | instskip(NEXT) | instid1(VALU_DEP_1)
	v_fma_f64 v[214:215], v[214:215], v[216:217], v[214:215]
	v_mul_f64 v[216:217], v[218:219], v[214:215]
	s_delay_alu instid0(VALU_DEP_1) | instskip(NEXT) | instid1(VALU_DEP_1)
	v_fma_f64 v[212:213], -v[212:213], v[216:217], v[218:219]
	v_div_fmas_f64 v[212:213], v[212:213], v[214:215], v[216:217]
	s_delay_alu instid0(VALU_DEP_1) | instskip(NEXT) | instid1(VALU_DEP_1)
	v_div_fixup_f64 v[212:213], v[212:213], v[224:225], v[226:227]
	v_fma_f64 v[214:215], v[226:227], v[212:213], v[224:225]
	s_delay_alu instid0(VALU_DEP_1) | instskip(NEXT) | instid1(VALU_DEP_1)
	v_div_scale_f64 v[216:217], null, v[214:215], v[214:215], 1.0
	v_rcp_f64_e32 v[218:219], v[216:217]
	s_waitcnt_depctr 0xfff
	v_fma_f64 v[220:221], -v[216:217], v[218:219], 1.0
	s_delay_alu instid0(VALU_DEP_1) | instskip(NEXT) | instid1(VALU_DEP_1)
	v_fma_f64 v[218:219], v[218:219], v[220:221], v[218:219]
	v_fma_f64 v[220:221], -v[216:217], v[218:219], 1.0
	s_delay_alu instid0(VALU_DEP_1) | instskip(SKIP_1) | instid1(VALU_DEP_1)
	v_fma_f64 v[218:219], v[218:219], v[220:221], v[218:219]
	v_div_scale_f64 v[220:221], vcc_lo, 1.0, v[214:215], 1.0
	v_mul_f64 v[222:223], v[220:221], v[218:219]
	s_delay_alu instid0(VALU_DEP_1) | instskip(NEXT) | instid1(VALU_DEP_1)
	v_fma_f64 v[216:217], -v[216:217], v[222:223], v[220:221]
	v_div_fmas_f64 v[216:217], v[216:217], v[218:219], v[222:223]
	s_delay_alu instid0(VALU_DEP_1) | instskip(NEXT) | instid1(VALU_DEP_1)
	v_div_fixup_f64 v[224:225], v[216:217], v[214:215], 1.0
	v_mul_f64 v[226:227], v[212:213], -v[224:225]
.LBB110_241:
	s_or_b32 exec_lo, exec_lo, s2
.LBB110_242:
	s_delay_alu instid0(SALU_CYCLE_1) | instskip(NEXT) | instid1(SALU_CYCLE_1)
	s_or_b32 exec_lo, exec_lo, s3
	s_mov_b32 s2, exec_lo
	v_cmpx_ne_u32_e64 v240, v232
	s_xor_b32 s2, exec_lo, s2
	s_cbranch_execz .LBB110_248
; %bb.243:
	s_mov_b32 s3, exec_lo
	v_cmpx_eq_u32_e32 11, v240
	s_cbranch_execz .LBB110_247
; %bb.244:
	v_cmp_ne_u32_e32 vcc_lo, 11, v232
	s_xor_b32 s6, s4, -1
	s_delay_alu instid0(SALU_CYCLE_1) | instskip(NEXT) | instid1(SALU_CYCLE_1)
	s_and_b32 s7, s6, vcc_lo
	s_and_saveexec_b32 s6, s7
	s_cbranch_execz .LBB110_246
; %bb.245:
	scratch_load_b64 v[10:11], off, off     ; 8-byte Folded Reload
	v_ashrrev_i32_e32 v233, 31, v232
	s_delay_alu instid0(VALU_DEP_1) | instskip(SKIP_1) | instid1(VALU_DEP_1)
	v_lshlrev_b64 v[212:213], 2, v[232:233]
	s_waitcnt vmcnt(0)
	v_add_co_u32 v212, vcc_lo, v10, v212
	s_delay_alu instid0(VALU_DEP_2)
	v_add_co_ci_u32_e32 v213, vcc_lo, v11, v213, vcc_lo
	s_clause 0x1
	flat_load_b32 v214, v[212:213]
	flat_load_b32 v215, v[10:11] offset:44
	s_waitcnt vmcnt(1) lgkmcnt(1)
	flat_store_b32 v[10:11], v214 offset:44
	s_waitcnt vmcnt(0) lgkmcnt(1)
	flat_store_b32 v[212:213], v215
.LBB110_246:
	s_or_b32 exec_lo, exec_lo, s6
	v_mov_b32_e32 v240, v232
	v_mov_b32_e32 v239, v232
.LBB110_247:
	s_or_b32 exec_lo, exec_lo, s3
.LBB110_248:
	s_and_not1_saveexec_b32 s2, s2
	s_cbranch_execz .LBB110_250
; %bb.249:
	v_mov_b32_e32 v240, 11
	ds_store_2addr_b64 v234, v[172:173], v[174:175] offset0:24 offset1:25
	ds_store_2addr_b64 v234, v[168:169], v[170:171] offset0:26 offset1:27
	;; [unrolled: 1-line block ×44, first 2 shown]
.LBB110_250:
	s_or_b32 exec_lo, exec_lo, s2
	s_delay_alu instid0(SALU_CYCLE_1)
	s_mov_b32 s2, exec_lo
	s_waitcnt lgkmcnt(0)
	s_waitcnt_vscnt null, 0x0
	s_barrier
	buffer_gl0_inv
	v_cmpx_lt_i32_e32 11, v240
	s_cbranch_execz .LBB110_252
; %bb.251:
	v_mul_f64 v[212:213], v[226:227], v[178:179]
	v_mul_f64 v[178:179], v[224:225], v[178:179]
	s_delay_alu instid0(VALU_DEP_2) | instskip(NEXT) | instid1(VALU_DEP_2)
	v_fma_f64 v[232:233], v[224:225], v[176:177], -v[212:213]
	v_fma_f64 v[178:179], v[226:227], v[176:177], v[178:179]
	ds_load_2addr_b64 v[224:227], v234 offset0:24 offset1:25
	s_waitcnt lgkmcnt(0)
	v_mul_f64 v[176:177], v[226:227], v[178:179]
	v_mul_f64 v[212:213], v[224:225], v[178:179]
	s_delay_alu instid0(VALU_DEP_2) | instskip(NEXT) | instid1(VALU_DEP_2)
	v_fma_f64 v[176:177], v[224:225], v[232:233], -v[176:177]
	v_fma_f64 v[212:213], v[226:227], v[232:233], v[212:213]
	ds_load_2addr_b64 v[224:227], v234 offset0:26 offset1:27
	v_add_f64 v[172:173], v[172:173], -v[176:177]
	v_add_f64 v[174:175], v[174:175], -v[212:213]
	s_waitcnt lgkmcnt(0)
	v_mul_f64 v[176:177], v[226:227], v[178:179]
	v_mul_f64 v[212:213], v[224:225], v[178:179]
	s_delay_alu instid0(VALU_DEP_2) | instskip(NEXT) | instid1(VALU_DEP_2)
	v_fma_f64 v[176:177], v[224:225], v[232:233], -v[176:177]
	v_fma_f64 v[212:213], v[226:227], v[232:233], v[212:213]
	ds_load_2addr_b64 v[224:227], v234 offset0:28 offset1:29
	v_add_f64 v[168:169], v[168:169], -v[176:177]
	v_add_f64 v[170:171], v[170:171], -v[212:213]
	s_waitcnt lgkmcnt(0)
	v_mul_f64 v[176:177], v[226:227], v[178:179]
	v_mul_f64 v[212:213], v[224:225], v[178:179]
	s_delay_alu instid0(VALU_DEP_2) | instskip(NEXT) | instid1(VALU_DEP_2)
	v_fma_f64 v[176:177], v[224:225], v[232:233], -v[176:177]
	v_fma_f64 v[212:213], v[226:227], v[232:233], v[212:213]
	ds_load_2addr_b64 v[224:227], v234 offset0:30 offset1:31
	v_add_f64 v[164:165], v[164:165], -v[176:177]
	v_add_f64 v[166:167], v[166:167], -v[212:213]
	s_waitcnt lgkmcnt(0)
	v_mul_f64 v[176:177], v[226:227], v[178:179]
	v_mul_f64 v[212:213], v[224:225], v[178:179]
	s_delay_alu instid0(VALU_DEP_2) | instskip(NEXT) | instid1(VALU_DEP_2)
	v_fma_f64 v[176:177], v[224:225], v[232:233], -v[176:177]
	v_fma_f64 v[212:213], v[226:227], v[232:233], v[212:213]
	ds_load_2addr_b64 v[224:227], v234 offset0:32 offset1:33
	v_add_f64 v[160:161], v[160:161], -v[176:177]
	v_add_f64 v[162:163], v[162:163], -v[212:213]
	s_waitcnt lgkmcnt(0)
	v_mul_f64 v[176:177], v[226:227], v[178:179]
	v_mul_f64 v[212:213], v[224:225], v[178:179]
	s_delay_alu instid0(VALU_DEP_2) | instskip(NEXT) | instid1(VALU_DEP_2)
	v_fma_f64 v[176:177], v[224:225], v[232:233], -v[176:177]
	v_fma_f64 v[212:213], v[226:227], v[232:233], v[212:213]
	ds_load_2addr_b64 v[224:227], v234 offset0:34 offset1:35
	v_add_f64 v[156:157], v[156:157], -v[176:177]
	v_add_f64 v[158:159], v[158:159], -v[212:213]
	s_waitcnt lgkmcnt(0)
	v_mul_f64 v[176:177], v[226:227], v[178:179]
	v_mul_f64 v[212:213], v[224:225], v[178:179]
	s_delay_alu instid0(VALU_DEP_2) | instskip(NEXT) | instid1(VALU_DEP_2)
	v_fma_f64 v[176:177], v[224:225], v[232:233], -v[176:177]
	v_fma_f64 v[212:213], v[226:227], v[232:233], v[212:213]
	ds_load_2addr_b64 v[224:227], v234 offset0:36 offset1:37
	v_add_f64 v[152:153], v[152:153], -v[176:177]
	v_add_f64 v[154:155], v[154:155], -v[212:213]
	s_waitcnt lgkmcnt(0)
	v_mul_f64 v[176:177], v[226:227], v[178:179]
	v_mul_f64 v[212:213], v[224:225], v[178:179]
	s_delay_alu instid0(VALU_DEP_2) | instskip(NEXT) | instid1(VALU_DEP_2)
	v_fma_f64 v[176:177], v[224:225], v[232:233], -v[176:177]
	v_fma_f64 v[212:213], v[226:227], v[232:233], v[212:213]
	ds_load_2addr_b64 v[224:227], v234 offset0:38 offset1:39
	v_add_f64 v[148:149], v[148:149], -v[176:177]
	v_add_f64 v[150:151], v[150:151], -v[212:213]
	s_waitcnt lgkmcnt(0)
	v_mul_f64 v[176:177], v[226:227], v[178:179]
	v_mul_f64 v[212:213], v[224:225], v[178:179]
	s_delay_alu instid0(VALU_DEP_2) | instskip(NEXT) | instid1(VALU_DEP_2)
	v_fma_f64 v[176:177], v[224:225], v[232:233], -v[176:177]
	v_fma_f64 v[212:213], v[226:227], v[232:233], v[212:213]
	ds_load_2addr_b64 v[224:227], v234 offset0:40 offset1:41
	v_add_f64 v[144:145], v[144:145], -v[176:177]
	v_add_f64 v[146:147], v[146:147], -v[212:213]
	s_waitcnt lgkmcnt(0)
	v_mul_f64 v[176:177], v[226:227], v[178:179]
	v_mul_f64 v[212:213], v[224:225], v[178:179]
	s_delay_alu instid0(VALU_DEP_2) | instskip(NEXT) | instid1(VALU_DEP_2)
	v_fma_f64 v[176:177], v[224:225], v[232:233], -v[176:177]
	v_fma_f64 v[212:213], v[226:227], v[232:233], v[212:213]
	ds_load_2addr_b64 v[224:227], v234 offset0:42 offset1:43
	v_add_f64 v[140:141], v[140:141], -v[176:177]
	v_add_f64 v[142:143], v[142:143], -v[212:213]
	s_waitcnt lgkmcnt(0)
	v_mul_f64 v[176:177], v[226:227], v[178:179]
	v_mul_f64 v[212:213], v[224:225], v[178:179]
	s_delay_alu instid0(VALU_DEP_2) | instskip(NEXT) | instid1(VALU_DEP_2)
	v_fma_f64 v[176:177], v[224:225], v[232:233], -v[176:177]
	v_fma_f64 v[212:213], v[226:227], v[232:233], v[212:213]
	ds_load_2addr_b64 v[224:227], v234 offset0:44 offset1:45
	v_add_f64 v[136:137], v[136:137], -v[176:177]
	v_add_f64 v[138:139], v[138:139], -v[212:213]
	s_waitcnt lgkmcnt(0)
	v_mul_f64 v[176:177], v[226:227], v[178:179]
	v_mul_f64 v[212:213], v[224:225], v[178:179]
	s_delay_alu instid0(VALU_DEP_2) | instskip(NEXT) | instid1(VALU_DEP_2)
	v_fma_f64 v[176:177], v[224:225], v[232:233], -v[176:177]
	v_fma_f64 v[212:213], v[226:227], v[232:233], v[212:213]
	ds_load_2addr_b64 v[224:227], v234 offset0:46 offset1:47
	v_add_f64 v[132:133], v[132:133], -v[176:177]
	v_add_f64 v[134:135], v[134:135], -v[212:213]
	s_waitcnt lgkmcnt(0)
	v_mul_f64 v[176:177], v[226:227], v[178:179]
	v_mul_f64 v[212:213], v[224:225], v[178:179]
	s_delay_alu instid0(VALU_DEP_2) | instskip(NEXT) | instid1(VALU_DEP_2)
	v_fma_f64 v[176:177], v[224:225], v[232:233], -v[176:177]
	v_fma_f64 v[212:213], v[226:227], v[232:233], v[212:213]
	ds_load_2addr_b64 v[224:227], v234 offset0:48 offset1:49
	v_add_f64 v[128:129], v[128:129], -v[176:177]
	v_add_f64 v[130:131], v[130:131], -v[212:213]
	s_waitcnt lgkmcnt(0)
	v_mul_f64 v[176:177], v[226:227], v[178:179]
	v_mul_f64 v[212:213], v[224:225], v[178:179]
	s_delay_alu instid0(VALU_DEP_2) | instskip(NEXT) | instid1(VALU_DEP_2)
	v_fma_f64 v[176:177], v[224:225], v[232:233], -v[176:177]
	v_fma_f64 v[212:213], v[226:227], v[232:233], v[212:213]
	ds_load_2addr_b64 v[224:227], v234 offset0:50 offset1:51
	v_add_f64 v[124:125], v[124:125], -v[176:177]
	v_add_f64 v[126:127], v[126:127], -v[212:213]
	s_waitcnt lgkmcnt(0)
	v_mul_f64 v[176:177], v[226:227], v[178:179]
	v_mul_f64 v[212:213], v[224:225], v[178:179]
	s_delay_alu instid0(VALU_DEP_2) | instskip(NEXT) | instid1(VALU_DEP_2)
	v_fma_f64 v[176:177], v[224:225], v[232:233], -v[176:177]
	v_fma_f64 v[212:213], v[226:227], v[232:233], v[212:213]
	ds_load_2addr_b64 v[224:227], v234 offset0:52 offset1:53
	v_add_f64 v[120:121], v[120:121], -v[176:177]
	v_add_f64 v[122:123], v[122:123], -v[212:213]
	s_waitcnt lgkmcnt(0)
	v_mul_f64 v[176:177], v[226:227], v[178:179]
	v_mul_f64 v[212:213], v[224:225], v[178:179]
	s_delay_alu instid0(VALU_DEP_2) | instskip(NEXT) | instid1(VALU_DEP_2)
	v_fma_f64 v[176:177], v[224:225], v[232:233], -v[176:177]
	v_fma_f64 v[212:213], v[226:227], v[232:233], v[212:213]
	ds_load_2addr_b64 v[224:227], v234 offset0:54 offset1:55
	v_add_f64 v[116:117], v[116:117], -v[176:177]
	v_add_f64 v[118:119], v[118:119], -v[212:213]
	s_waitcnt lgkmcnt(0)
	v_mul_f64 v[176:177], v[226:227], v[178:179]
	v_mul_f64 v[212:213], v[224:225], v[178:179]
	s_delay_alu instid0(VALU_DEP_2) | instskip(NEXT) | instid1(VALU_DEP_2)
	v_fma_f64 v[176:177], v[224:225], v[232:233], -v[176:177]
	v_fma_f64 v[212:213], v[226:227], v[232:233], v[212:213]
	ds_load_2addr_b64 v[224:227], v234 offset0:56 offset1:57
	v_add_f64 v[112:113], v[112:113], -v[176:177]
	v_add_f64 v[114:115], v[114:115], -v[212:213]
	s_waitcnt lgkmcnt(0)
	v_mul_f64 v[176:177], v[226:227], v[178:179]
	v_mul_f64 v[212:213], v[224:225], v[178:179]
	s_delay_alu instid0(VALU_DEP_2) | instskip(NEXT) | instid1(VALU_DEP_2)
	v_fma_f64 v[176:177], v[224:225], v[232:233], -v[176:177]
	v_fma_f64 v[212:213], v[226:227], v[232:233], v[212:213]
	ds_load_2addr_b64 v[224:227], v234 offset0:58 offset1:59
	v_add_f64 v[108:109], v[108:109], -v[176:177]
	v_add_f64 v[110:111], v[110:111], -v[212:213]
	s_waitcnt lgkmcnt(0)
	v_mul_f64 v[176:177], v[226:227], v[178:179]
	v_mul_f64 v[212:213], v[224:225], v[178:179]
	s_delay_alu instid0(VALU_DEP_2) | instskip(NEXT) | instid1(VALU_DEP_2)
	v_fma_f64 v[176:177], v[224:225], v[232:233], -v[176:177]
	v_fma_f64 v[212:213], v[226:227], v[232:233], v[212:213]
	ds_load_2addr_b64 v[224:227], v234 offset0:60 offset1:61
	v_add_f64 v[104:105], v[104:105], -v[176:177]
	v_add_f64 v[106:107], v[106:107], -v[212:213]
	s_waitcnt lgkmcnt(0)
	v_mul_f64 v[176:177], v[226:227], v[178:179]
	v_mul_f64 v[212:213], v[224:225], v[178:179]
	s_delay_alu instid0(VALU_DEP_2) | instskip(NEXT) | instid1(VALU_DEP_2)
	v_fma_f64 v[176:177], v[224:225], v[232:233], -v[176:177]
	v_fma_f64 v[212:213], v[226:227], v[232:233], v[212:213]
	ds_load_2addr_b64 v[224:227], v234 offset0:62 offset1:63
	v_add_f64 v[100:101], v[100:101], -v[176:177]
	v_add_f64 v[102:103], v[102:103], -v[212:213]
	s_waitcnt lgkmcnt(0)
	v_mul_f64 v[176:177], v[226:227], v[178:179]
	v_mul_f64 v[212:213], v[224:225], v[178:179]
	s_delay_alu instid0(VALU_DEP_2) | instskip(NEXT) | instid1(VALU_DEP_2)
	v_fma_f64 v[176:177], v[224:225], v[232:233], -v[176:177]
	v_fma_f64 v[212:213], v[226:227], v[232:233], v[212:213]
	ds_load_2addr_b64 v[224:227], v234 offset0:64 offset1:65
	v_add_f64 v[96:97], v[96:97], -v[176:177]
	v_add_f64 v[98:99], v[98:99], -v[212:213]
	s_waitcnt lgkmcnt(0)
	v_mul_f64 v[176:177], v[226:227], v[178:179]
	v_mul_f64 v[212:213], v[224:225], v[178:179]
	s_delay_alu instid0(VALU_DEP_2) | instskip(NEXT) | instid1(VALU_DEP_2)
	v_fma_f64 v[176:177], v[224:225], v[232:233], -v[176:177]
	v_fma_f64 v[212:213], v[226:227], v[232:233], v[212:213]
	ds_load_2addr_b64 v[224:227], v234 offset0:66 offset1:67
	v_add_f64 v[92:93], v[92:93], -v[176:177]
	v_add_f64 v[94:95], v[94:95], -v[212:213]
	s_waitcnt lgkmcnt(0)
	v_mul_f64 v[176:177], v[226:227], v[178:179]
	v_mul_f64 v[212:213], v[224:225], v[178:179]
	s_delay_alu instid0(VALU_DEP_2) | instskip(NEXT) | instid1(VALU_DEP_2)
	v_fma_f64 v[176:177], v[224:225], v[232:233], -v[176:177]
	v_fma_f64 v[212:213], v[226:227], v[232:233], v[212:213]
	ds_load_2addr_b64 v[224:227], v234 offset0:68 offset1:69
	v_add_f64 v[88:89], v[88:89], -v[176:177]
	v_add_f64 v[90:91], v[90:91], -v[212:213]
	s_waitcnt lgkmcnt(0)
	v_mul_f64 v[176:177], v[226:227], v[178:179]
	v_mul_f64 v[212:213], v[224:225], v[178:179]
	s_delay_alu instid0(VALU_DEP_2) | instskip(NEXT) | instid1(VALU_DEP_2)
	v_fma_f64 v[176:177], v[224:225], v[232:233], -v[176:177]
	v_fma_f64 v[212:213], v[226:227], v[232:233], v[212:213]
	ds_load_2addr_b64 v[224:227], v234 offset0:70 offset1:71
	v_add_f64 v[84:85], v[84:85], -v[176:177]
	v_add_f64 v[86:87], v[86:87], -v[212:213]
	s_waitcnt lgkmcnt(0)
	v_mul_f64 v[176:177], v[226:227], v[178:179]
	v_mul_f64 v[212:213], v[224:225], v[178:179]
	s_delay_alu instid0(VALU_DEP_2) | instskip(NEXT) | instid1(VALU_DEP_2)
	v_fma_f64 v[176:177], v[224:225], v[232:233], -v[176:177]
	v_fma_f64 v[212:213], v[226:227], v[232:233], v[212:213]
	ds_load_2addr_b64 v[224:227], v234 offset0:72 offset1:73
	v_add_f64 v[80:81], v[80:81], -v[176:177]
	v_add_f64 v[82:83], v[82:83], -v[212:213]
	s_waitcnt lgkmcnt(0)
	v_mul_f64 v[176:177], v[226:227], v[178:179]
	v_mul_f64 v[212:213], v[224:225], v[178:179]
	s_delay_alu instid0(VALU_DEP_2) | instskip(NEXT) | instid1(VALU_DEP_2)
	v_fma_f64 v[176:177], v[224:225], v[232:233], -v[176:177]
	v_fma_f64 v[212:213], v[226:227], v[232:233], v[212:213]
	ds_load_2addr_b64 v[224:227], v234 offset0:74 offset1:75
	v_add_f64 v[76:77], v[76:77], -v[176:177]
	v_add_f64 v[78:79], v[78:79], -v[212:213]
	s_waitcnt lgkmcnt(0)
	v_mul_f64 v[176:177], v[226:227], v[178:179]
	v_mul_f64 v[212:213], v[224:225], v[178:179]
	s_delay_alu instid0(VALU_DEP_2) | instskip(NEXT) | instid1(VALU_DEP_2)
	v_fma_f64 v[176:177], v[224:225], v[232:233], -v[176:177]
	v_fma_f64 v[212:213], v[226:227], v[232:233], v[212:213]
	ds_load_2addr_b64 v[224:227], v234 offset0:76 offset1:77
	v_add_f64 v[72:73], v[72:73], -v[176:177]
	v_add_f64 v[74:75], v[74:75], -v[212:213]
	s_waitcnt lgkmcnt(0)
	v_mul_f64 v[176:177], v[226:227], v[178:179]
	v_mul_f64 v[212:213], v[224:225], v[178:179]
	s_delay_alu instid0(VALU_DEP_2) | instskip(NEXT) | instid1(VALU_DEP_2)
	v_fma_f64 v[176:177], v[224:225], v[232:233], -v[176:177]
	v_fma_f64 v[212:213], v[226:227], v[232:233], v[212:213]
	ds_load_2addr_b64 v[224:227], v234 offset0:78 offset1:79
	v_add_f64 v[68:69], v[68:69], -v[176:177]
	v_add_f64 v[70:71], v[70:71], -v[212:213]
	s_waitcnt lgkmcnt(0)
	v_mul_f64 v[176:177], v[226:227], v[178:179]
	v_mul_f64 v[212:213], v[224:225], v[178:179]
	s_delay_alu instid0(VALU_DEP_2) | instskip(NEXT) | instid1(VALU_DEP_2)
	v_fma_f64 v[176:177], v[224:225], v[232:233], -v[176:177]
	v_fma_f64 v[212:213], v[226:227], v[232:233], v[212:213]
	ds_load_2addr_b64 v[224:227], v234 offset0:80 offset1:81
	v_add_f64 v[64:65], v[64:65], -v[176:177]
	v_add_f64 v[66:67], v[66:67], -v[212:213]
	s_waitcnt lgkmcnt(0)
	v_mul_f64 v[176:177], v[226:227], v[178:179]
	v_mul_f64 v[212:213], v[224:225], v[178:179]
	s_delay_alu instid0(VALU_DEP_2) | instskip(NEXT) | instid1(VALU_DEP_2)
	v_fma_f64 v[176:177], v[224:225], v[232:233], -v[176:177]
	v_fma_f64 v[212:213], v[226:227], v[232:233], v[212:213]
	ds_load_2addr_b64 v[224:227], v234 offset0:82 offset1:83
	v_add_f64 v[60:61], v[60:61], -v[176:177]
	v_add_f64 v[62:63], v[62:63], -v[212:213]
	s_waitcnt lgkmcnt(0)
	v_mul_f64 v[176:177], v[226:227], v[178:179]
	v_mul_f64 v[212:213], v[224:225], v[178:179]
	s_delay_alu instid0(VALU_DEP_2) | instskip(NEXT) | instid1(VALU_DEP_2)
	v_fma_f64 v[176:177], v[224:225], v[232:233], -v[176:177]
	v_fma_f64 v[212:213], v[226:227], v[232:233], v[212:213]
	ds_load_2addr_b64 v[224:227], v234 offset0:84 offset1:85
	v_add_f64 v[56:57], v[56:57], -v[176:177]
	v_add_f64 v[58:59], v[58:59], -v[212:213]
	s_waitcnt lgkmcnt(0)
	v_mul_f64 v[176:177], v[226:227], v[178:179]
	v_mul_f64 v[212:213], v[224:225], v[178:179]
	s_delay_alu instid0(VALU_DEP_2) | instskip(NEXT) | instid1(VALU_DEP_2)
	v_fma_f64 v[176:177], v[224:225], v[232:233], -v[176:177]
	v_fma_f64 v[212:213], v[226:227], v[232:233], v[212:213]
	ds_load_2addr_b64 v[224:227], v234 offset0:86 offset1:87
	v_add_f64 v[52:53], v[52:53], -v[176:177]
	v_add_f64 v[54:55], v[54:55], -v[212:213]
	s_waitcnt lgkmcnt(0)
	v_mul_f64 v[176:177], v[226:227], v[178:179]
	v_mul_f64 v[212:213], v[224:225], v[178:179]
	s_delay_alu instid0(VALU_DEP_2) | instskip(NEXT) | instid1(VALU_DEP_2)
	v_fma_f64 v[176:177], v[224:225], v[232:233], -v[176:177]
	v_fma_f64 v[212:213], v[226:227], v[232:233], v[212:213]
	ds_load_2addr_b64 v[224:227], v234 offset0:88 offset1:89
	v_add_f64 v[48:49], v[48:49], -v[176:177]
	v_add_f64 v[50:51], v[50:51], -v[212:213]
	s_waitcnt lgkmcnt(0)
	v_mul_f64 v[176:177], v[226:227], v[178:179]
	v_mul_f64 v[212:213], v[224:225], v[178:179]
	s_delay_alu instid0(VALU_DEP_2) | instskip(NEXT) | instid1(VALU_DEP_2)
	v_fma_f64 v[176:177], v[224:225], v[232:233], -v[176:177]
	v_fma_f64 v[212:213], v[226:227], v[232:233], v[212:213]
	ds_load_2addr_b64 v[224:227], v234 offset0:90 offset1:91
	v_add_f64 v[44:45], v[44:45], -v[176:177]
	v_add_f64 v[46:47], v[46:47], -v[212:213]
	s_waitcnt lgkmcnt(0)
	v_mul_f64 v[176:177], v[226:227], v[178:179]
	v_mul_f64 v[212:213], v[224:225], v[178:179]
	s_delay_alu instid0(VALU_DEP_2) | instskip(NEXT) | instid1(VALU_DEP_2)
	v_fma_f64 v[176:177], v[224:225], v[232:233], -v[176:177]
	v_fma_f64 v[212:213], v[226:227], v[232:233], v[212:213]
	ds_load_2addr_b64 v[224:227], v234 offset0:92 offset1:93
	v_add_f64 v[40:41], v[40:41], -v[176:177]
	v_add_f64 v[42:43], v[42:43], -v[212:213]
	s_waitcnt lgkmcnt(0)
	v_mul_f64 v[176:177], v[226:227], v[178:179]
	v_mul_f64 v[212:213], v[224:225], v[178:179]
	s_delay_alu instid0(VALU_DEP_2) | instskip(NEXT) | instid1(VALU_DEP_2)
	v_fma_f64 v[176:177], v[224:225], v[232:233], -v[176:177]
	v_fma_f64 v[212:213], v[226:227], v[232:233], v[212:213]
	ds_load_2addr_b64 v[224:227], v234 offset0:94 offset1:95
	v_add_f64 v[36:37], v[36:37], -v[176:177]
	v_add_f64 v[38:39], v[38:39], -v[212:213]
	s_waitcnt lgkmcnt(0)
	v_mul_f64 v[176:177], v[226:227], v[178:179]
	v_mul_f64 v[212:213], v[224:225], v[178:179]
	s_delay_alu instid0(VALU_DEP_2) | instskip(NEXT) | instid1(VALU_DEP_2)
	v_fma_f64 v[176:177], v[224:225], v[232:233], -v[176:177]
	v_fma_f64 v[212:213], v[226:227], v[232:233], v[212:213]
	ds_load_2addr_b64 v[224:227], v234 offset0:96 offset1:97
	v_add_f64 v[32:33], v[32:33], -v[176:177]
	v_add_f64 v[34:35], v[34:35], -v[212:213]
	s_waitcnt lgkmcnt(0)
	v_mul_f64 v[176:177], v[226:227], v[178:179]
	v_mul_f64 v[212:213], v[224:225], v[178:179]
	s_delay_alu instid0(VALU_DEP_2) | instskip(NEXT) | instid1(VALU_DEP_2)
	v_fma_f64 v[176:177], v[224:225], v[232:233], -v[176:177]
	v_fma_f64 v[212:213], v[226:227], v[232:233], v[212:213]
	ds_load_2addr_b64 v[224:227], v234 offset0:98 offset1:99
	v_add_f64 v[28:29], v[28:29], -v[176:177]
	v_add_f64 v[30:31], v[30:31], -v[212:213]
	s_waitcnt lgkmcnt(0)
	v_mul_f64 v[176:177], v[226:227], v[178:179]
	v_mul_f64 v[212:213], v[224:225], v[178:179]
	s_delay_alu instid0(VALU_DEP_2) | instskip(NEXT) | instid1(VALU_DEP_2)
	v_fma_f64 v[176:177], v[224:225], v[232:233], -v[176:177]
	v_fma_f64 v[212:213], v[226:227], v[232:233], v[212:213]
	ds_load_2addr_b64 v[224:227], v234 offset0:100 offset1:101
	v_add_f64 v[24:25], v[24:25], -v[176:177]
	v_add_f64 v[26:27], v[26:27], -v[212:213]
	s_waitcnt lgkmcnt(0)
	v_mul_f64 v[176:177], v[226:227], v[178:179]
	v_mul_f64 v[212:213], v[224:225], v[178:179]
	s_delay_alu instid0(VALU_DEP_2) | instskip(NEXT) | instid1(VALU_DEP_2)
	v_fma_f64 v[176:177], v[224:225], v[232:233], -v[176:177]
	v_fma_f64 v[212:213], v[226:227], v[232:233], v[212:213]
	ds_load_2addr_b64 v[224:227], v234 offset0:102 offset1:103
	v_add_f64 v[20:21], v[20:21], -v[176:177]
	v_add_f64 v[22:23], v[22:23], -v[212:213]
	s_waitcnt lgkmcnt(0)
	v_mul_f64 v[176:177], v[226:227], v[178:179]
	v_mul_f64 v[212:213], v[224:225], v[178:179]
	s_delay_alu instid0(VALU_DEP_2) | instskip(NEXT) | instid1(VALU_DEP_2)
	v_fma_f64 v[176:177], v[224:225], v[232:233], -v[176:177]
	v_fma_f64 v[212:213], v[226:227], v[232:233], v[212:213]
	ds_load_2addr_b64 v[224:227], v234 offset0:104 offset1:105
	v_add_f64 v[16:17], v[16:17], -v[176:177]
	v_add_f64 v[18:19], v[18:19], -v[212:213]
	s_waitcnt lgkmcnt(0)
	v_mul_f64 v[176:177], v[226:227], v[178:179]
	v_mul_f64 v[212:213], v[224:225], v[178:179]
	s_delay_alu instid0(VALU_DEP_2) | instskip(NEXT) | instid1(VALU_DEP_2)
	v_fma_f64 v[176:177], v[224:225], v[232:233], -v[176:177]
	v_fma_f64 v[212:213], v[226:227], v[232:233], v[212:213]
	ds_load_2addr_b64 v[224:227], v234 offset0:106 offset1:107
	v_add_f64 v[12:13], v[12:13], -v[176:177]
	v_add_f64 v[14:15], v[14:15], -v[212:213]
	s_waitcnt lgkmcnt(0)
	v_mul_f64 v[176:177], v[226:227], v[178:179]
	v_mul_f64 v[212:213], v[224:225], v[178:179]
	s_delay_alu instid0(VALU_DEP_2) | instskip(NEXT) | instid1(VALU_DEP_2)
	v_fma_f64 v[176:177], v[224:225], v[232:233], -v[176:177]
	v_fma_f64 v[212:213], v[226:227], v[232:233], v[212:213]
	ds_load_2addr_b64 v[224:227], v234 offset0:108 offset1:109
	v_add_f64 v[249:250], v[249:250], -v[176:177]
	v_add_f64 v[251:252], v[251:252], -v[212:213]
	s_waitcnt lgkmcnt(0)
	v_mul_f64 v[176:177], v[226:227], v[178:179]
	v_mul_f64 v[212:213], v[224:225], v[178:179]
	s_delay_alu instid0(VALU_DEP_2) | instskip(NEXT) | instid1(VALU_DEP_2)
	v_fma_f64 v[176:177], v[224:225], v[232:233], -v[176:177]
	v_fma_f64 v[212:213], v[226:227], v[232:233], v[212:213]
	ds_load_2addr_b64 v[224:227], v234 offset0:110 offset1:111
	v_add_f64 v[228:229], v[228:229], -v[176:177]
	v_add_f64 v[230:231], v[230:231], -v[212:213]
	s_waitcnt lgkmcnt(0)
	v_mul_f64 v[176:177], v[226:227], v[178:179]
	v_mul_f64 v[212:213], v[224:225], v[178:179]
	s_delay_alu instid0(VALU_DEP_2) | instskip(NEXT) | instid1(VALU_DEP_2)
	v_fma_f64 v[176:177], v[224:225], v[232:233], -v[176:177]
	v_fma_f64 v[212:213], v[226:227], v[232:233], v[212:213]
	s_delay_alu instid0(VALU_DEP_2) | instskip(NEXT) | instid1(VALU_DEP_2)
	v_add_f64 v[0:1], v[0:1], -v[176:177]
	v_add_f64 v[2:3], v[2:3], -v[212:213]
	v_dual_mov_b32 v176, v232 :: v_dual_mov_b32 v177, v233
.LBB110_252:
	s_or_b32 exec_lo, exec_lo, s2
	v_lshl_add_u32 v212, v240, 4, v234
	s_barrier
	buffer_gl0_inv
	v_mov_b32_e32 v232, 12
	ds_store_2addr_b64 v212, v[172:173], v[174:175] offset1:1
	s_waitcnt lgkmcnt(0)
	s_barrier
	buffer_gl0_inv
	ds_load_2addr_b64 v[224:227], v234 offset0:24 offset1:25
	s_cmp_lt_i32 s5, 14
	s_cbranch_scc1 .LBB110_255
; %bb.253:
	v_add3_u32 v233, v238, 0, 0xd0
	v_mov_b32_e32 v232, 12
	s_mov_b32 s6, 13
	s_set_inst_prefetch_distance 0x1
	.p2align	6
.LBB110_254:                            ; =>This Inner Loop Header: Depth=1
	ds_load_2addr_b64 v[241:244], v233 offset1:1
	s_waitcnt lgkmcnt(1)
	v_cmp_gt_f64_e32 vcc_lo, 0, v[224:225]
	v_xor_b32_e32 v212, 0x80000000, v225
	v_cmp_gt_f64_e64 s2, 0, v[226:227]
	v_xor_b32_e32 v214, 0x80000000, v227
	v_add_nc_u32_e32 v233, 16, v233
	s_waitcnt lgkmcnt(0)
	v_cmp_gt_f64_e64 s3, 0, v[241:242]
	v_mov_b32_e32 v216, v241
	v_dual_mov_b32 v218, v243 :: v_dual_cndmask_b32 v213, v225, v212
	v_xor_b32_e32 v212, 0x80000000, v242
	v_cndmask_b32_e64 v215, v227, v214, s2
	v_xor_b32_e32 v214, 0x80000000, v244
	s_delay_alu instid0(VALU_DEP_3) | instskip(SKIP_2) | instid1(VALU_DEP_2)
	v_cndmask_b32_e64 v217, v242, v212, s3
	v_cmp_gt_f64_e64 s3, 0, v[243:244]
	v_cndmask_b32_e32 v212, v224, v224, vcc_lo
	v_cndmask_b32_e64 v219, v244, v214, s3
	v_cndmask_b32_e64 v214, v226, v226, s2
	s_delay_alu instid0(VALU_DEP_2) | instskip(NEXT) | instid1(VALU_DEP_2)
	v_add_f64 v[216:217], v[216:217], v[218:219]
	v_add_f64 v[212:213], v[212:213], v[214:215]
	s_delay_alu instid0(VALU_DEP_1) | instskip(SKIP_4) | instid1(SALU_CYCLE_1)
	v_cmp_lt_f64_e32 vcc_lo, v[212:213], v[216:217]
	v_dual_cndmask_b32 v225, v225, v242 :: v_dual_cndmask_b32 v224, v224, v241
	v_dual_cndmask_b32 v227, v227, v244 :: v_dual_cndmask_b32 v226, v226, v243
	v_cndmask_b32_e64 v232, v232, s6, vcc_lo
	s_add_i32 s6, s6, 1
	s_cmp_lg_u32 s5, s6
	s_cbranch_scc1 .LBB110_254
.LBB110_255:
	s_set_inst_prefetch_distance 0x2
	s_waitcnt lgkmcnt(0)
	v_cmp_eq_f64_e32 vcc_lo, 0, v[224:225]
	v_cmp_eq_f64_e64 s2, 0, v[226:227]
	s_delay_alu instid0(VALU_DEP_1) | instskip(NEXT) | instid1(SALU_CYCLE_1)
	s_and_b32 s2, vcc_lo, s2
	s_and_saveexec_b32 s3, s2
	s_delay_alu instid0(SALU_CYCLE_1)
	s_xor_b32 s2, exec_lo, s3
; %bb.256:
	v_cmp_ne_u32_e32 vcc_lo, 0, v237
	v_cndmask_b32_e32 v237, 13, v237, vcc_lo
; %bb.257:
	s_and_not1_saveexec_b32 s3, s2
	s_cbranch_execz .LBB110_263
; %bb.258:
	v_cmp_gt_f64_e32 vcc_lo, 0, v[224:225]
	v_cmp_gt_f64_e64 s2, 0, v[226:227]
	v_xor_b32_e32 v212, 0x80000000, v225
	v_xor_b32_e32 v214, 0x80000000, v227
	s_delay_alu instid0(VALU_DEP_2) | instskip(NEXT) | instid1(VALU_DEP_2)
	v_cndmask_b32_e32 v213, v225, v212, vcc_lo
	v_cndmask_b32_e64 v215, v227, v214, s2
	v_cndmask_b32_e32 v212, v224, v224, vcc_lo
	v_cndmask_b32_e64 v214, v226, v226, s2
	s_mov_b32 s2, exec_lo
	s_delay_alu instid0(VALU_DEP_1)
	v_cmpx_ngt_f64_e32 v[212:213], v[214:215]
	s_xor_b32 s2, exec_lo, s2
	s_cbranch_execz .LBB110_260
; %bb.259:
	v_div_scale_f64 v[212:213], null, v[226:227], v[226:227], v[224:225]
	v_div_scale_f64 v[218:219], vcc_lo, v[224:225], v[226:227], v[224:225]
	s_delay_alu instid0(VALU_DEP_2) | instskip(SKIP_2) | instid1(VALU_DEP_1)
	v_rcp_f64_e32 v[214:215], v[212:213]
	s_waitcnt_depctr 0xfff
	v_fma_f64 v[216:217], -v[212:213], v[214:215], 1.0
	v_fma_f64 v[214:215], v[214:215], v[216:217], v[214:215]
	s_delay_alu instid0(VALU_DEP_1) | instskip(NEXT) | instid1(VALU_DEP_1)
	v_fma_f64 v[216:217], -v[212:213], v[214:215], 1.0
	v_fma_f64 v[214:215], v[214:215], v[216:217], v[214:215]
	s_delay_alu instid0(VALU_DEP_1) | instskip(NEXT) | instid1(VALU_DEP_1)
	v_mul_f64 v[216:217], v[218:219], v[214:215]
	v_fma_f64 v[212:213], -v[212:213], v[216:217], v[218:219]
	s_delay_alu instid0(VALU_DEP_1) | instskip(NEXT) | instid1(VALU_DEP_1)
	v_div_fmas_f64 v[212:213], v[212:213], v[214:215], v[216:217]
	v_div_fixup_f64 v[212:213], v[212:213], v[226:227], v[224:225]
	s_delay_alu instid0(VALU_DEP_1) | instskip(NEXT) | instid1(VALU_DEP_1)
	v_fma_f64 v[214:215], v[224:225], v[212:213], v[226:227]
	v_div_scale_f64 v[216:217], null, v[214:215], v[214:215], 1.0
	s_delay_alu instid0(VALU_DEP_1) | instskip(SKIP_2) | instid1(VALU_DEP_1)
	v_rcp_f64_e32 v[218:219], v[216:217]
	s_waitcnt_depctr 0xfff
	v_fma_f64 v[220:221], -v[216:217], v[218:219], 1.0
	v_fma_f64 v[218:219], v[218:219], v[220:221], v[218:219]
	s_delay_alu instid0(VALU_DEP_1) | instskip(NEXT) | instid1(VALU_DEP_1)
	v_fma_f64 v[220:221], -v[216:217], v[218:219], 1.0
	v_fma_f64 v[218:219], v[218:219], v[220:221], v[218:219]
	v_div_scale_f64 v[220:221], vcc_lo, 1.0, v[214:215], 1.0
	s_delay_alu instid0(VALU_DEP_1) | instskip(NEXT) | instid1(VALU_DEP_1)
	v_mul_f64 v[222:223], v[220:221], v[218:219]
	v_fma_f64 v[216:217], -v[216:217], v[222:223], v[220:221]
	s_delay_alu instid0(VALU_DEP_1) | instskip(NEXT) | instid1(VALU_DEP_1)
	v_div_fmas_f64 v[216:217], v[216:217], v[218:219], v[222:223]
	v_div_fixup_f64 v[226:227], v[216:217], v[214:215], 1.0
	s_delay_alu instid0(VALU_DEP_1)
	v_mul_f64 v[224:225], v[212:213], v[226:227]
	v_xor_b32_e32 v227, 0x80000000, v227
.LBB110_260:
	s_and_not1_saveexec_b32 s2, s2
	s_cbranch_execz .LBB110_262
; %bb.261:
	s_delay_alu instid0(VALU_DEP_1) | instskip(SKIP_1) | instid1(VALU_DEP_2)
	v_div_scale_f64 v[212:213], null, v[224:225], v[224:225], v[226:227]
	v_div_scale_f64 v[218:219], vcc_lo, v[226:227], v[224:225], v[226:227]
	v_rcp_f64_e32 v[214:215], v[212:213]
	s_waitcnt_depctr 0xfff
	v_fma_f64 v[216:217], -v[212:213], v[214:215], 1.0
	s_delay_alu instid0(VALU_DEP_1) | instskip(NEXT) | instid1(VALU_DEP_1)
	v_fma_f64 v[214:215], v[214:215], v[216:217], v[214:215]
	v_fma_f64 v[216:217], -v[212:213], v[214:215], 1.0
	s_delay_alu instid0(VALU_DEP_1) | instskip(NEXT) | instid1(VALU_DEP_1)
	v_fma_f64 v[214:215], v[214:215], v[216:217], v[214:215]
	v_mul_f64 v[216:217], v[218:219], v[214:215]
	s_delay_alu instid0(VALU_DEP_1) | instskip(NEXT) | instid1(VALU_DEP_1)
	v_fma_f64 v[212:213], -v[212:213], v[216:217], v[218:219]
	v_div_fmas_f64 v[212:213], v[212:213], v[214:215], v[216:217]
	s_delay_alu instid0(VALU_DEP_1) | instskip(NEXT) | instid1(VALU_DEP_1)
	v_div_fixup_f64 v[212:213], v[212:213], v[224:225], v[226:227]
	v_fma_f64 v[214:215], v[226:227], v[212:213], v[224:225]
	s_delay_alu instid0(VALU_DEP_1) | instskip(NEXT) | instid1(VALU_DEP_1)
	v_div_scale_f64 v[216:217], null, v[214:215], v[214:215], 1.0
	v_rcp_f64_e32 v[218:219], v[216:217]
	s_waitcnt_depctr 0xfff
	v_fma_f64 v[220:221], -v[216:217], v[218:219], 1.0
	s_delay_alu instid0(VALU_DEP_1) | instskip(NEXT) | instid1(VALU_DEP_1)
	v_fma_f64 v[218:219], v[218:219], v[220:221], v[218:219]
	v_fma_f64 v[220:221], -v[216:217], v[218:219], 1.0
	s_delay_alu instid0(VALU_DEP_1) | instskip(SKIP_1) | instid1(VALU_DEP_1)
	v_fma_f64 v[218:219], v[218:219], v[220:221], v[218:219]
	v_div_scale_f64 v[220:221], vcc_lo, 1.0, v[214:215], 1.0
	v_mul_f64 v[222:223], v[220:221], v[218:219]
	s_delay_alu instid0(VALU_DEP_1) | instskip(NEXT) | instid1(VALU_DEP_1)
	v_fma_f64 v[216:217], -v[216:217], v[222:223], v[220:221]
	v_div_fmas_f64 v[216:217], v[216:217], v[218:219], v[222:223]
	s_delay_alu instid0(VALU_DEP_1) | instskip(NEXT) | instid1(VALU_DEP_1)
	v_div_fixup_f64 v[224:225], v[216:217], v[214:215], 1.0
	v_mul_f64 v[226:227], v[212:213], -v[224:225]
.LBB110_262:
	s_or_b32 exec_lo, exec_lo, s2
.LBB110_263:
	s_delay_alu instid0(SALU_CYCLE_1) | instskip(NEXT) | instid1(SALU_CYCLE_1)
	s_or_b32 exec_lo, exec_lo, s3
	s_mov_b32 s2, exec_lo
	v_cmpx_ne_u32_e64 v240, v232
	s_xor_b32 s2, exec_lo, s2
	s_cbranch_execz .LBB110_269
; %bb.264:
	s_mov_b32 s3, exec_lo
	v_cmpx_eq_u32_e32 12, v240
	s_cbranch_execz .LBB110_268
; %bb.265:
	v_cmp_ne_u32_e32 vcc_lo, 12, v232
	s_xor_b32 s6, s4, -1
	s_delay_alu instid0(SALU_CYCLE_1) | instskip(NEXT) | instid1(SALU_CYCLE_1)
	s_and_b32 s7, s6, vcc_lo
	s_and_saveexec_b32 s6, s7
	s_cbranch_execz .LBB110_267
; %bb.266:
	scratch_load_b64 v[10:11], off, off     ; 8-byte Folded Reload
	v_ashrrev_i32_e32 v233, 31, v232
	s_delay_alu instid0(VALU_DEP_1) | instskip(SKIP_1) | instid1(VALU_DEP_1)
	v_lshlrev_b64 v[212:213], 2, v[232:233]
	s_waitcnt vmcnt(0)
	v_add_co_u32 v212, vcc_lo, v10, v212
	s_delay_alu instid0(VALU_DEP_2)
	v_add_co_ci_u32_e32 v213, vcc_lo, v11, v213, vcc_lo
	s_clause 0x1
	flat_load_b32 v214, v[212:213]
	flat_load_b32 v215, v[10:11] offset:48
	s_waitcnt vmcnt(1) lgkmcnt(1)
	flat_store_b32 v[10:11], v214 offset:48
	s_waitcnt vmcnt(0) lgkmcnt(1)
	flat_store_b32 v[212:213], v215
.LBB110_267:
	s_or_b32 exec_lo, exec_lo, s6
	v_mov_b32_e32 v240, v232
	v_mov_b32_e32 v239, v232
.LBB110_268:
	s_or_b32 exec_lo, exec_lo, s3
.LBB110_269:
	s_and_not1_saveexec_b32 s2, s2
	s_cbranch_execz .LBB110_271
; %bb.270:
	v_mov_b32_e32 v240, 12
	ds_store_2addr_b64 v234, v[168:169], v[170:171] offset0:26 offset1:27
	ds_store_2addr_b64 v234, v[164:165], v[166:167] offset0:28 offset1:29
	;; [unrolled: 1-line block ×43, first 2 shown]
.LBB110_271:
	s_or_b32 exec_lo, exec_lo, s2
	s_delay_alu instid0(SALU_CYCLE_1)
	s_mov_b32 s2, exec_lo
	s_waitcnt lgkmcnt(0)
	s_waitcnt_vscnt null, 0x0
	s_barrier
	buffer_gl0_inv
	v_cmpx_lt_i32_e32 12, v240
	s_cbranch_execz .LBB110_273
; %bb.272:
	v_mul_f64 v[212:213], v[226:227], v[174:175]
	v_mul_f64 v[174:175], v[224:225], v[174:175]
	s_delay_alu instid0(VALU_DEP_2) | instskip(NEXT) | instid1(VALU_DEP_2)
	v_fma_f64 v[232:233], v[224:225], v[172:173], -v[212:213]
	v_fma_f64 v[174:175], v[226:227], v[172:173], v[174:175]
	ds_load_2addr_b64 v[224:227], v234 offset0:26 offset1:27
	s_waitcnt lgkmcnt(0)
	v_mul_f64 v[172:173], v[226:227], v[174:175]
	v_mul_f64 v[212:213], v[224:225], v[174:175]
	s_delay_alu instid0(VALU_DEP_2) | instskip(NEXT) | instid1(VALU_DEP_2)
	v_fma_f64 v[172:173], v[224:225], v[232:233], -v[172:173]
	v_fma_f64 v[212:213], v[226:227], v[232:233], v[212:213]
	ds_load_2addr_b64 v[224:227], v234 offset0:28 offset1:29
	v_add_f64 v[168:169], v[168:169], -v[172:173]
	v_add_f64 v[170:171], v[170:171], -v[212:213]
	s_waitcnt lgkmcnt(0)
	v_mul_f64 v[172:173], v[226:227], v[174:175]
	v_mul_f64 v[212:213], v[224:225], v[174:175]
	s_delay_alu instid0(VALU_DEP_2) | instskip(NEXT) | instid1(VALU_DEP_2)
	v_fma_f64 v[172:173], v[224:225], v[232:233], -v[172:173]
	v_fma_f64 v[212:213], v[226:227], v[232:233], v[212:213]
	ds_load_2addr_b64 v[224:227], v234 offset0:30 offset1:31
	v_add_f64 v[164:165], v[164:165], -v[172:173]
	v_add_f64 v[166:167], v[166:167], -v[212:213]
	;; [unrolled: 9-line block ×42, first 2 shown]
	s_waitcnt lgkmcnt(0)
	v_mul_f64 v[172:173], v[226:227], v[174:175]
	v_mul_f64 v[212:213], v[224:225], v[174:175]
	s_delay_alu instid0(VALU_DEP_2) | instskip(NEXT) | instid1(VALU_DEP_2)
	v_fma_f64 v[172:173], v[224:225], v[232:233], -v[172:173]
	v_fma_f64 v[212:213], v[226:227], v[232:233], v[212:213]
	s_delay_alu instid0(VALU_DEP_2) | instskip(NEXT) | instid1(VALU_DEP_2)
	v_add_f64 v[0:1], v[0:1], -v[172:173]
	v_add_f64 v[2:3], v[2:3], -v[212:213]
	v_dual_mov_b32 v172, v232 :: v_dual_mov_b32 v173, v233
.LBB110_273:
	s_or_b32 exec_lo, exec_lo, s2
	v_lshl_add_u32 v212, v240, 4, v234
	s_barrier
	buffer_gl0_inv
	v_mov_b32_e32 v232, 13
	ds_store_2addr_b64 v212, v[168:169], v[170:171] offset1:1
	s_waitcnt lgkmcnt(0)
	s_barrier
	buffer_gl0_inv
	ds_load_2addr_b64 v[224:227], v234 offset0:26 offset1:27
	s_cmp_lt_i32 s5, 15
	s_cbranch_scc1 .LBB110_276
; %bb.274:
	v_add3_u32 v233, v238, 0, 0xe0
	v_mov_b32_e32 v232, 13
	s_mov_b32 s6, 14
	s_set_inst_prefetch_distance 0x1
	.p2align	6
.LBB110_275:                            ; =>This Inner Loop Header: Depth=1
	ds_load_2addr_b64 v[241:244], v233 offset1:1
	s_waitcnt lgkmcnt(1)
	v_cmp_gt_f64_e32 vcc_lo, 0, v[224:225]
	v_xor_b32_e32 v212, 0x80000000, v225
	v_cmp_gt_f64_e64 s2, 0, v[226:227]
	v_xor_b32_e32 v214, 0x80000000, v227
	v_add_nc_u32_e32 v233, 16, v233
	s_waitcnt lgkmcnt(0)
	v_cmp_gt_f64_e64 s3, 0, v[241:242]
	v_mov_b32_e32 v216, v241
	v_dual_mov_b32 v218, v243 :: v_dual_cndmask_b32 v213, v225, v212
	v_xor_b32_e32 v212, 0x80000000, v242
	v_cndmask_b32_e64 v215, v227, v214, s2
	v_xor_b32_e32 v214, 0x80000000, v244
	s_delay_alu instid0(VALU_DEP_3) | instskip(SKIP_2) | instid1(VALU_DEP_2)
	v_cndmask_b32_e64 v217, v242, v212, s3
	v_cmp_gt_f64_e64 s3, 0, v[243:244]
	v_cndmask_b32_e32 v212, v224, v224, vcc_lo
	v_cndmask_b32_e64 v219, v244, v214, s3
	v_cndmask_b32_e64 v214, v226, v226, s2
	s_delay_alu instid0(VALU_DEP_2) | instskip(NEXT) | instid1(VALU_DEP_2)
	v_add_f64 v[216:217], v[216:217], v[218:219]
	v_add_f64 v[212:213], v[212:213], v[214:215]
	s_delay_alu instid0(VALU_DEP_1) | instskip(SKIP_4) | instid1(SALU_CYCLE_1)
	v_cmp_lt_f64_e32 vcc_lo, v[212:213], v[216:217]
	v_dual_cndmask_b32 v225, v225, v242 :: v_dual_cndmask_b32 v224, v224, v241
	v_dual_cndmask_b32 v227, v227, v244 :: v_dual_cndmask_b32 v226, v226, v243
	v_cndmask_b32_e64 v232, v232, s6, vcc_lo
	s_add_i32 s6, s6, 1
	s_cmp_lg_u32 s5, s6
	s_cbranch_scc1 .LBB110_275
.LBB110_276:
	s_set_inst_prefetch_distance 0x2
	s_waitcnt lgkmcnt(0)
	v_cmp_eq_f64_e32 vcc_lo, 0, v[224:225]
	v_cmp_eq_f64_e64 s2, 0, v[226:227]
	s_delay_alu instid0(VALU_DEP_1) | instskip(NEXT) | instid1(SALU_CYCLE_1)
	s_and_b32 s2, vcc_lo, s2
	s_and_saveexec_b32 s3, s2
	s_delay_alu instid0(SALU_CYCLE_1)
	s_xor_b32 s2, exec_lo, s3
; %bb.277:
	v_cmp_ne_u32_e32 vcc_lo, 0, v237
	v_cndmask_b32_e32 v237, 14, v237, vcc_lo
; %bb.278:
	s_and_not1_saveexec_b32 s3, s2
	s_cbranch_execz .LBB110_284
; %bb.279:
	v_cmp_gt_f64_e32 vcc_lo, 0, v[224:225]
	v_cmp_gt_f64_e64 s2, 0, v[226:227]
	v_xor_b32_e32 v212, 0x80000000, v225
	v_xor_b32_e32 v214, 0x80000000, v227
	s_delay_alu instid0(VALU_DEP_2) | instskip(NEXT) | instid1(VALU_DEP_2)
	v_cndmask_b32_e32 v213, v225, v212, vcc_lo
	v_cndmask_b32_e64 v215, v227, v214, s2
	v_cndmask_b32_e32 v212, v224, v224, vcc_lo
	v_cndmask_b32_e64 v214, v226, v226, s2
	s_mov_b32 s2, exec_lo
	s_delay_alu instid0(VALU_DEP_1)
	v_cmpx_ngt_f64_e32 v[212:213], v[214:215]
	s_xor_b32 s2, exec_lo, s2
	s_cbranch_execz .LBB110_281
; %bb.280:
	v_div_scale_f64 v[212:213], null, v[226:227], v[226:227], v[224:225]
	v_div_scale_f64 v[218:219], vcc_lo, v[224:225], v[226:227], v[224:225]
	s_delay_alu instid0(VALU_DEP_2) | instskip(SKIP_2) | instid1(VALU_DEP_1)
	v_rcp_f64_e32 v[214:215], v[212:213]
	s_waitcnt_depctr 0xfff
	v_fma_f64 v[216:217], -v[212:213], v[214:215], 1.0
	v_fma_f64 v[214:215], v[214:215], v[216:217], v[214:215]
	s_delay_alu instid0(VALU_DEP_1) | instskip(NEXT) | instid1(VALU_DEP_1)
	v_fma_f64 v[216:217], -v[212:213], v[214:215], 1.0
	v_fma_f64 v[214:215], v[214:215], v[216:217], v[214:215]
	s_delay_alu instid0(VALU_DEP_1) | instskip(NEXT) | instid1(VALU_DEP_1)
	v_mul_f64 v[216:217], v[218:219], v[214:215]
	v_fma_f64 v[212:213], -v[212:213], v[216:217], v[218:219]
	s_delay_alu instid0(VALU_DEP_1) | instskip(NEXT) | instid1(VALU_DEP_1)
	v_div_fmas_f64 v[212:213], v[212:213], v[214:215], v[216:217]
	v_div_fixup_f64 v[212:213], v[212:213], v[226:227], v[224:225]
	s_delay_alu instid0(VALU_DEP_1) | instskip(NEXT) | instid1(VALU_DEP_1)
	v_fma_f64 v[214:215], v[224:225], v[212:213], v[226:227]
	v_div_scale_f64 v[216:217], null, v[214:215], v[214:215], 1.0
	s_delay_alu instid0(VALU_DEP_1) | instskip(SKIP_2) | instid1(VALU_DEP_1)
	v_rcp_f64_e32 v[218:219], v[216:217]
	s_waitcnt_depctr 0xfff
	v_fma_f64 v[220:221], -v[216:217], v[218:219], 1.0
	v_fma_f64 v[218:219], v[218:219], v[220:221], v[218:219]
	s_delay_alu instid0(VALU_DEP_1) | instskip(NEXT) | instid1(VALU_DEP_1)
	v_fma_f64 v[220:221], -v[216:217], v[218:219], 1.0
	v_fma_f64 v[218:219], v[218:219], v[220:221], v[218:219]
	v_div_scale_f64 v[220:221], vcc_lo, 1.0, v[214:215], 1.0
	s_delay_alu instid0(VALU_DEP_1) | instskip(NEXT) | instid1(VALU_DEP_1)
	v_mul_f64 v[222:223], v[220:221], v[218:219]
	v_fma_f64 v[216:217], -v[216:217], v[222:223], v[220:221]
	s_delay_alu instid0(VALU_DEP_1) | instskip(NEXT) | instid1(VALU_DEP_1)
	v_div_fmas_f64 v[216:217], v[216:217], v[218:219], v[222:223]
	v_div_fixup_f64 v[226:227], v[216:217], v[214:215], 1.0
	s_delay_alu instid0(VALU_DEP_1)
	v_mul_f64 v[224:225], v[212:213], v[226:227]
	v_xor_b32_e32 v227, 0x80000000, v227
.LBB110_281:
	s_and_not1_saveexec_b32 s2, s2
	s_cbranch_execz .LBB110_283
; %bb.282:
	s_delay_alu instid0(VALU_DEP_1) | instskip(SKIP_1) | instid1(VALU_DEP_2)
	v_div_scale_f64 v[212:213], null, v[224:225], v[224:225], v[226:227]
	v_div_scale_f64 v[218:219], vcc_lo, v[226:227], v[224:225], v[226:227]
	v_rcp_f64_e32 v[214:215], v[212:213]
	s_waitcnt_depctr 0xfff
	v_fma_f64 v[216:217], -v[212:213], v[214:215], 1.0
	s_delay_alu instid0(VALU_DEP_1) | instskip(NEXT) | instid1(VALU_DEP_1)
	v_fma_f64 v[214:215], v[214:215], v[216:217], v[214:215]
	v_fma_f64 v[216:217], -v[212:213], v[214:215], 1.0
	s_delay_alu instid0(VALU_DEP_1) | instskip(NEXT) | instid1(VALU_DEP_1)
	v_fma_f64 v[214:215], v[214:215], v[216:217], v[214:215]
	v_mul_f64 v[216:217], v[218:219], v[214:215]
	s_delay_alu instid0(VALU_DEP_1) | instskip(NEXT) | instid1(VALU_DEP_1)
	v_fma_f64 v[212:213], -v[212:213], v[216:217], v[218:219]
	v_div_fmas_f64 v[212:213], v[212:213], v[214:215], v[216:217]
	s_delay_alu instid0(VALU_DEP_1) | instskip(NEXT) | instid1(VALU_DEP_1)
	v_div_fixup_f64 v[212:213], v[212:213], v[224:225], v[226:227]
	v_fma_f64 v[214:215], v[226:227], v[212:213], v[224:225]
	s_delay_alu instid0(VALU_DEP_1) | instskip(NEXT) | instid1(VALU_DEP_1)
	v_div_scale_f64 v[216:217], null, v[214:215], v[214:215], 1.0
	v_rcp_f64_e32 v[218:219], v[216:217]
	s_waitcnt_depctr 0xfff
	v_fma_f64 v[220:221], -v[216:217], v[218:219], 1.0
	s_delay_alu instid0(VALU_DEP_1) | instskip(NEXT) | instid1(VALU_DEP_1)
	v_fma_f64 v[218:219], v[218:219], v[220:221], v[218:219]
	v_fma_f64 v[220:221], -v[216:217], v[218:219], 1.0
	s_delay_alu instid0(VALU_DEP_1) | instskip(SKIP_1) | instid1(VALU_DEP_1)
	v_fma_f64 v[218:219], v[218:219], v[220:221], v[218:219]
	v_div_scale_f64 v[220:221], vcc_lo, 1.0, v[214:215], 1.0
	v_mul_f64 v[222:223], v[220:221], v[218:219]
	s_delay_alu instid0(VALU_DEP_1) | instskip(NEXT) | instid1(VALU_DEP_1)
	v_fma_f64 v[216:217], -v[216:217], v[222:223], v[220:221]
	v_div_fmas_f64 v[216:217], v[216:217], v[218:219], v[222:223]
	s_delay_alu instid0(VALU_DEP_1) | instskip(NEXT) | instid1(VALU_DEP_1)
	v_div_fixup_f64 v[224:225], v[216:217], v[214:215], 1.0
	v_mul_f64 v[226:227], v[212:213], -v[224:225]
.LBB110_283:
	s_or_b32 exec_lo, exec_lo, s2
.LBB110_284:
	s_delay_alu instid0(SALU_CYCLE_1) | instskip(NEXT) | instid1(SALU_CYCLE_1)
	s_or_b32 exec_lo, exec_lo, s3
	s_mov_b32 s2, exec_lo
	v_cmpx_ne_u32_e64 v240, v232
	s_xor_b32 s2, exec_lo, s2
	s_cbranch_execz .LBB110_290
; %bb.285:
	s_mov_b32 s3, exec_lo
	v_cmpx_eq_u32_e32 13, v240
	s_cbranch_execz .LBB110_289
; %bb.286:
	v_cmp_ne_u32_e32 vcc_lo, 13, v232
	s_xor_b32 s6, s4, -1
	s_delay_alu instid0(SALU_CYCLE_1) | instskip(NEXT) | instid1(SALU_CYCLE_1)
	s_and_b32 s7, s6, vcc_lo
	s_and_saveexec_b32 s6, s7
	s_cbranch_execz .LBB110_288
; %bb.287:
	scratch_load_b64 v[10:11], off, off     ; 8-byte Folded Reload
	v_ashrrev_i32_e32 v233, 31, v232
	s_delay_alu instid0(VALU_DEP_1) | instskip(SKIP_1) | instid1(VALU_DEP_1)
	v_lshlrev_b64 v[212:213], 2, v[232:233]
	s_waitcnt vmcnt(0)
	v_add_co_u32 v212, vcc_lo, v10, v212
	s_delay_alu instid0(VALU_DEP_2)
	v_add_co_ci_u32_e32 v213, vcc_lo, v11, v213, vcc_lo
	s_clause 0x1
	flat_load_b32 v214, v[212:213]
	flat_load_b32 v215, v[10:11] offset:52
	s_waitcnt vmcnt(1) lgkmcnt(1)
	flat_store_b32 v[10:11], v214 offset:52
	s_waitcnt vmcnt(0) lgkmcnt(1)
	flat_store_b32 v[212:213], v215
.LBB110_288:
	s_or_b32 exec_lo, exec_lo, s6
	v_mov_b32_e32 v240, v232
	v_mov_b32_e32 v239, v232
.LBB110_289:
	s_or_b32 exec_lo, exec_lo, s3
.LBB110_290:
	s_and_not1_saveexec_b32 s2, s2
	s_cbranch_execz .LBB110_292
; %bb.291:
	v_mov_b32_e32 v240, 13
	ds_store_2addr_b64 v234, v[164:165], v[166:167] offset0:28 offset1:29
	ds_store_2addr_b64 v234, v[160:161], v[162:163] offset0:30 offset1:31
	;; [unrolled: 1-line block ×42, first 2 shown]
.LBB110_292:
	s_or_b32 exec_lo, exec_lo, s2
	s_delay_alu instid0(SALU_CYCLE_1)
	s_mov_b32 s2, exec_lo
	s_waitcnt lgkmcnt(0)
	s_waitcnt_vscnt null, 0x0
	s_barrier
	buffer_gl0_inv
	v_cmpx_lt_i32_e32 13, v240
	s_cbranch_execz .LBB110_294
; %bb.293:
	v_mul_f64 v[212:213], v[226:227], v[170:171]
	v_mul_f64 v[170:171], v[224:225], v[170:171]
	s_delay_alu instid0(VALU_DEP_2) | instskip(NEXT) | instid1(VALU_DEP_2)
	v_fma_f64 v[232:233], v[224:225], v[168:169], -v[212:213]
	v_fma_f64 v[170:171], v[226:227], v[168:169], v[170:171]
	ds_load_2addr_b64 v[224:227], v234 offset0:28 offset1:29
	s_waitcnt lgkmcnt(0)
	v_mul_f64 v[168:169], v[226:227], v[170:171]
	v_mul_f64 v[212:213], v[224:225], v[170:171]
	s_delay_alu instid0(VALU_DEP_2) | instskip(NEXT) | instid1(VALU_DEP_2)
	v_fma_f64 v[168:169], v[224:225], v[232:233], -v[168:169]
	v_fma_f64 v[212:213], v[226:227], v[232:233], v[212:213]
	ds_load_2addr_b64 v[224:227], v234 offset0:30 offset1:31
	v_add_f64 v[164:165], v[164:165], -v[168:169]
	v_add_f64 v[166:167], v[166:167], -v[212:213]
	s_waitcnt lgkmcnt(0)
	v_mul_f64 v[168:169], v[226:227], v[170:171]
	v_mul_f64 v[212:213], v[224:225], v[170:171]
	s_delay_alu instid0(VALU_DEP_2) | instskip(NEXT) | instid1(VALU_DEP_2)
	v_fma_f64 v[168:169], v[224:225], v[232:233], -v[168:169]
	v_fma_f64 v[212:213], v[226:227], v[232:233], v[212:213]
	ds_load_2addr_b64 v[224:227], v234 offset0:32 offset1:33
	v_add_f64 v[160:161], v[160:161], -v[168:169]
	v_add_f64 v[162:163], v[162:163], -v[212:213]
	;; [unrolled: 9-line block ×41, first 2 shown]
	s_waitcnt lgkmcnt(0)
	v_mul_f64 v[168:169], v[226:227], v[170:171]
	v_mul_f64 v[212:213], v[224:225], v[170:171]
	s_delay_alu instid0(VALU_DEP_2) | instskip(NEXT) | instid1(VALU_DEP_2)
	v_fma_f64 v[168:169], v[224:225], v[232:233], -v[168:169]
	v_fma_f64 v[212:213], v[226:227], v[232:233], v[212:213]
	s_delay_alu instid0(VALU_DEP_2) | instskip(NEXT) | instid1(VALU_DEP_2)
	v_add_f64 v[0:1], v[0:1], -v[168:169]
	v_add_f64 v[2:3], v[2:3], -v[212:213]
	v_dual_mov_b32 v168, v232 :: v_dual_mov_b32 v169, v233
.LBB110_294:
	s_or_b32 exec_lo, exec_lo, s2
	v_lshl_add_u32 v212, v240, 4, v234
	s_barrier
	buffer_gl0_inv
	v_mov_b32_e32 v232, 14
	ds_store_2addr_b64 v212, v[164:165], v[166:167] offset1:1
	s_waitcnt lgkmcnt(0)
	s_barrier
	buffer_gl0_inv
	ds_load_2addr_b64 v[224:227], v234 offset0:28 offset1:29
	s_cmp_lt_i32 s5, 16
	s_cbranch_scc1 .LBB110_297
; %bb.295:
	v_add3_u32 v233, v238, 0, 0xf0
	v_mov_b32_e32 v232, 14
	s_mov_b32 s6, 15
	s_set_inst_prefetch_distance 0x1
	.p2align	6
.LBB110_296:                            ; =>This Inner Loop Header: Depth=1
	ds_load_2addr_b64 v[241:244], v233 offset1:1
	s_waitcnt lgkmcnt(1)
	v_cmp_gt_f64_e32 vcc_lo, 0, v[224:225]
	v_xor_b32_e32 v212, 0x80000000, v225
	v_cmp_gt_f64_e64 s2, 0, v[226:227]
	v_xor_b32_e32 v214, 0x80000000, v227
	v_add_nc_u32_e32 v233, 16, v233
	s_waitcnt lgkmcnt(0)
	v_cmp_gt_f64_e64 s3, 0, v[241:242]
	v_mov_b32_e32 v216, v241
	v_dual_mov_b32 v218, v243 :: v_dual_cndmask_b32 v213, v225, v212
	v_xor_b32_e32 v212, 0x80000000, v242
	v_cndmask_b32_e64 v215, v227, v214, s2
	v_xor_b32_e32 v214, 0x80000000, v244
	s_delay_alu instid0(VALU_DEP_3) | instskip(SKIP_2) | instid1(VALU_DEP_2)
	v_cndmask_b32_e64 v217, v242, v212, s3
	v_cmp_gt_f64_e64 s3, 0, v[243:244]
	v_cndmask_b32_e32 v212, v224, v224, vcc_lo
	v_cndmask_b32_e64 v219, v244, v214, s3
	v_cndmask_b32_e64 v214, v226, v226, s2
	s_delay_alu instid0(VALU_DEP_2) | instskip(NEXT) | instid1(VALU_DEP_2)
	v_add_f64 v[216:217], v[216:217], v[218:219]
	v_add_f64 v[212:213], v[212:213], v[214:215]
	s_delay_alu instid0(VALU_DEP_1) | instskip(SKIP_4) | instid1(SALU_CYCLE_1)
	v_cmp_lt_f64_e32 vcc_lo, v[212:213], v[216:217]
	v_dual_cndmask_b32 v225, v225, v242 :: v_dual_cndmask_b32 v224, v224, v241
	v_dual_cndmask_b32 v227, v227, v244 :: v_dual_cndmask_b32 v226, v226, v243
	v_cndmask_b32_e64 v232, v232, s6, vcc_lo
	s_add_i32 s6, s6, 1
	s_cmp_lg_u32 s5, s6
	s_cbranch_scc1 .LBB110_296
.LBB110_297:
	s_set_inst_prefetch_distance 0x2
	s_waitcnt lgkmcnt(0)
	v_cmp_eq_f64_e32 vcc_lo, 0, v[224:225]
	v_cmp_eq_f64_e64 s2, 0, v[226:227]
	s_delay_alu instid0(VALU_DEP_1) | instskip(NEXT) | instid1(SALU_CYCLE_1)
	s_and_b32 s2, vcc_lo, s2
	s_and_saveexec_b32 s3, s2
	s_delay_alu instid0(SALU_CYCLE_1)
	s_xor_b32 s2, exec_lo, s3
; %bb.298:
	v_cmp_ne_u32_e32 vcc_lo, 0, v237
	v_cndmask_b32_e32 v237, 15, v237, vcc_lo
; %bb.299:
	s_and_not1_saveexec_b32 s3, s2
	s_cbranch_execz .LBB110_305
; %bb.300:
	v_cmp_gt_f64_e32 vcc_lo, 0, v[224:225]
	v_cmp_gt_f64_e64 s2, 0, v[226:227]
	v_xor_b32_e32 v212, 0x80000000, v225
	v_xor_b32_e32 v214, 0x80000000, v227
	s_delay_alu instid0(VALU_DEP_2) | instskip(NEXT) | instid1(VALU_DEP_2)
	v_cndmask_b32_e32 v213, v225, v212, vcc_lo
	v_cndmask_b32_e64 v215, v227, v214, s2
	v_cndmask_b32_e32 v212, v224, v224, vcc_lo
	v_cndmask_b32_e64 v214, v226, v226, s2
	s_mov_b32 s2, exec_lo
	s_delay_alu instid0(VALU_DEP_1)
	v_cmpx_ngt_f64_e32 v[212:213], v[214:215]
	s_xor_b32 s2, exec_lo, s2
	s_cbranch_execz .LBB110_302
; %bb.301:
	v_div_scale_f64 v[212:213], null, v[226:227], v[226:227], v[224:225]
	v_div_scale_f64 v[218:219], vcc_lo, v[224:225], v[226:227], v[224:225]
	s_delay_alu instid0(VALU_DEP_2) | instskip(SKIP_2) | instid1(VALU_DEP_1)
	v_rcp_f64_e32 v[214:215], v[212:213]
	s_waitcnt_depctr 0xfff
	v_fma_f64 v[216:217], -v[212:213], v[214:215], 1.0
	v_fma_f64 v[214:215], v[214:215], v[216:217], v[214:215]
	s_delay_alu instid0(VALU_DEP_1) | instskip(NEXT) | instid1(VALU_DEP_1)
	v_fma_f64 v[216:217], -v[212:213], v[214:215], 1.0
	v_fma_f64 v[214:215], v[214:215], v[216:217], v[214:215]
	s_delay_alu instid0(VALU_DEP_1) | instskip(NEXT) | instid1(VALU_DEP_1)
	v_mul_f64 v[216:217], v[218:219], v[214:215]
	v_fma_f64 v[212:213], -v[212:213], v[216:217], v[218:219]
	s_delay_alu instid0(VALU_DEP_1) | instskip(NEXT) | instid1(VALU_DEP_1)
	v_div_fmas_f64 v[212:213], v[212:213], v[214:215], v[216:217]
	v_div_fixup_f64 v[212:213], v[212:213], v[226:227], v[224:225]
	s_delay_alu instid0(VALU_DEP_1) | instskip(NEXT) | instid1(VALU_DEP_1)
	v_fma_f64 v[214:215], v[224:225], v[212:213], v[226:227]
	v_div_scale_f64 v[216:217], null, v[214:215], v[214:215], 1.0
	s_delay_alu instid0(VALU_DEP_1) | instskip(SKIP_2) | instid1(VALU_DEP_1)
	v_rcp_f64_e32 v[218:219], v[216:217]
	s_waitcnt_depctr 0xfff
	v_fma_f64 v[220:221], -v[216:217], v[218:219], 1.0
	v_fma_f64 v[218:219], v[218:219], v[220:221], v[218:219]
	s_delay_alu instid0(VALU_DEP_1) | instskip(NEXT) | instid1(VALU_DEP_1)
	v_fma_f64 v[220:221], -v[216:217], v[218:219], 1.0
	v_fma_f64 v[218:219], v[218:219], v[220:221], v[218:219]
	v_div_scale_f64 v[220:221], vcc_lo, 1.0, v[214:215], 1.0
	s_delay_alu instid0(VALU_DEP_1) | instskip(NEXT) | instid1(VALU_DEP_1)
	v_mul_f64 v[222:223], v[220:221], v[218:219]
	v_fma_f64 v[216:217], -v[216:217], v[222:223], v[220:221]
	s_delay_alu instid0(VALU_DEP_1) | instskip(NEXT) | instid1(VALU_DEP_1)
	v_div_fmas_f64 v[216:217], v[216:217], v[218:219], v[222:223]
	v_div_fixup_f64 v[226:227], v[216:217], v[214:215], 1.0
	s_delay_alu instid0(VALU_DEP_1)
	v_mul_f64 v[224:225], v[212:213], v[226:227]
	v_xor_b32_e32 v227, 0x80000000, v227
.LBB110_302:
	s_and_not1_saveexec_b32 s2, s2
	s_cbranch_execz .LBB110_304
; %bb.303:
	s_delay_alu instid0(VALU_DEP_1) | instskip(SKIP_1) | instid1(VALU_DEP_2)
	v_div_scale_f64 v[212:213], null, v[224:225], v[224:225], v[226:227]
	v_div_scale_f64 v[218:219], vcc_lo, v[226:227], v[224:225], v[226:227]
	v_rcp_f64_e32 v[214:215], v[212:213]
	s_waitcnt_depctr 0xfff
	v_fma_f64 v[216:217], -v[212:213], v[214:215], 1.0
	s_delay_alu instid0(VALU_DEP_1) | instskip(NEXT) | instid1(VALU_DEP_1)
	v_fma_f64 v[214:215], v[214:215], v[216:217], v[214:215]
	v_fma_f64 v[216:217], -v[212:213], v[214:215], 1.0
	s_delay_alu instid0(VALU_DEP_1) | instskip(NEXT) | instid1(VALU_DEP_1)
	v_fma_f64 v[214:215], v[214:215], v[216:217], v[214:215]
	v_mul_f64 v[216:217], v[218:219], v[214:215]
	s_delay_alu instid0(VALU_DEP_1) | instskip(NEXT) | instid1(VALU_DEP_1)
	v_fma_f64 v[212:213], -v[212:213], v[216:217], v[218:219]
	v_div_fmas_f64 v[212:213], v[212:213], v[214:215], v[216:217]
	s_delay_alu instid0(VALU_DEP_1) | instskip(NEXT) | instid1(VALU_DEP_1)
	v_div_fixup_f64 v[212:213], v[212:213], v[224:225], v[226:227]
	v_fma_f64 v[214:215], v[226:227], v[212:213], v[224:225]
	s_delay_alu instid0(VALU_DEP_1) | instskip(NEXT) | instid1(VALU_DEP_1)
	v_div_scale_f64 v[216:217], null, v[214:215], v[214:215], 1.0
	v_rcp_f64_e32 v[218:219], v[216:217]
	s_waitcnt_depctr 0xfff
	v_fma_f64 v[220:221], -v[216:217], v[218:219], 1.0
	s_delay_alu instid0(VALU_DEP_1) | instskip(NEXT) | instid1(VALU_DEP_1)
	v_fma_f64 v[218:219], v[218:219], v[220:221], v[218:219]
	v_fma_f64 v[220:221], -v[216:217], v[218:219], 1.0
	s_delay_alu instid0(VALU_DEP_1) | instskip(SKIP_1) | instid1(VALU_DEP_1)
	v_fma_f64 v[218:219], v[218:219], v[220:221], v[218:219]
	v_div_scale_f64 v[220:221], vcc_lo, 1.0, v[214:215], 1.0
	v_mul_f64 v[222:223], v[220:221], v[218:219]
	s_delay_alu instid0(VALU_DEP_1) | instskip(NEXT) | instid1(VALU_DEP_1)
	v_fma_f64 v[216:217], -v[216:217], v[222:223], v[220:221]
	v_div_fmas_f64 v[216:217], v[216:217], v[218:219], v[222:223]
	s_delay_alu instid0(VALU_DEP_1) | instskip(NEXT) | instid1(VALU_DEP_1)
	v_div_fixup_f64 v[224:225], v[216:217], v[214:215], 1.0
	v_mul_f64 v[226:227], v[212:213], -v[224:225]
.LBB110_304:
	s_or_b32 exec_lo, exec_lo, s2
.LBB110_305:
	s_delay_alu instid0(SALU_CYCLE_1) | instskip(NEXT) | instid1(SALU_CYCLE_1)
	s_or_b32 exec_lo, exec_lo, s3
	s_mov_b32 s2, exec_lo
	v_cmpx_ne_u32_e64 v240, v232
	s_xor_b32 s2, exec_lo, s2
	s_cbranch_execz .LBB110_311
; %bb.306:
	s_mov_b32 s3, exec_lo
	v_cmpx_eq_u32_e32 14, v240
	s_cbranch_execz .LBB110_310
; %bb.307:
	v_cmp_ne_u32_e32 vcc_lo, 14, v232
	s_xor_b32 s6, s4, -1
	s_delay_alu instid0(SALU_CYCLE_1) | instskip(NEXT) | instid1(SALU_CYCLE_1)
	s_and_b32 s7, s6, vcc_lo
	s_and_saveexec_b32 s6, s7
	s_cbranch_execz .LBB110_309
; %bb.308:
	scratch_load_b64 v[10:11], off, off     ; 8-byte Folded Reload
	v_ashrrev_i32_e32 v233, 31, v232
	s_delay_alu instid0(VALU_DEP_1) | instskip(SKIP_1) | instid1(VALU_DEP_1)
	v_lshlrev_b64 v[212:213], 2, v[232:233]
	s_waitcnt vmcnt(0)
	v_add_co_u32 v212, vcc_lo, v10, v212
	s_delay_alu instid0(VALU_DEP_2)
	v_add_co_ci_u32_e32 v213, vcc_lo, v11, v213, vcc_lo
	s_clause 0x1
	flat_load_b32 v214, v[212:213]
	flat_load_b32 v215, v[10:11] offset:56
	s_waitcnt vmcnt(1) lgkmcnt(1)
	flat_store_b32 v[10:11], v214 offset:56
	s_waitcnt vmcnt(0) lgkmcnt(1)
	flat_store_b32 v[212:213], v215
.LBB110_309:
	s_or_b32 exec_lo, exec_lo, s6
	v_mov_b32_e32 v240, v232
	v_mov_b32_e32 v239, v232
.LBB110_310:
	s_or_b32 exec_lo, exec_lo, s3
.LBB110_311:
	s_and_not1_saveexec_b32 s2, s2
	s_cbranch_execz .LBB110_313
; %bb.312:
	v_mov_b32_e32 v240, 14
	ds_store_2addr_b64 v234, v[160:161], v[162:163] offset0:30 offset1:31
	ds_store_2addr_b64 v234, v[156:157], v[158:159] offset0:32 offset1:33
	;; [unrolled: 1-line block ×41, first 2 shown]
.LBB110_313:
	s_or_b32 exec_lo, exec_lo, s2
	s_delay_alu instid0(SALU_CYCLE_1)
	s_mov_b32 s2, exec_lo
	s_waitcnt lgkmcnt(0)
	s_waitcnt_vscnt null, 0x0
	s_barrier
	buffer_gl0_inv
	v_cmpx_lt_i32_e32 14, v240
	s_cbranch_execz .LBB110_315
; %bb.314:
	v_mul_f64 v[212:213], v[226:227], v[166:167]
	v_mul_f64 v[166:167], v[224:225], v[166:167]
	s_delay_alu instid0(VALU_DEP_2) | instskip(NEXT) | instid1(VALU_DEP_2)
	v_fma_f64 v[232:233], v[224:225], v[164:165], -v[212:213]
	v_fma_f64 v[166:167], v[226:227], v[164:165], v[166:167]
	ds_load_2addr_b64 v[224:227], v234 offset0:30 offset1:31
	s_waitcnt lgkmcnt(0)
	v_mul_f64 v[164:165], v[226:227], v[166:167]
	v_mul_f64 v[212:213], v[224:225], v[166:167]
	s_delay_alu instid0(VALU_DEP_2) | instskip(NEXT) | instid1(VALU_DEP_2)
	v_fma_f64 v[164:165], v[224:225], v[232:233], -v[164:165]
	v_fma_f64 v[212:213], v[226:227], v[232:233], v[212:213]
	ds_load_2addr_b64 v[224:227], v234 offset0:32 offset1:33
	v_add_f64 v[160:161], v[160:161], -v[164:165]
	v_add_f64 v[162:163], v[162:163], -v[212:213]
	s_waitcnt lgkmcnt(0)
	v_mul_f64 v[164:165], v[226:227], v[166:167]
	v_mul_f64 v[212:213], v[224:225], v[166:167]
	s_delay_alu instid0(VALU_DEP_2) | instskip(NEXT) | instid1(VALU_DEP_2)
	v_fma_f64 v[164:165], v[224:225], v[232:233], -v[164:165]
	v_fma_f64 v[212:213], v[226:227], v[232:233], v[212:213]
	ds_load_2addr_b64 v[224:227], v234 offset0:34 offset1:35
	v_add_f64 v[156:157], v[156:157], -v[164:165]
	v_add_f64 v[158:159], v[158:159], -v[212:213]
	s_waitcnt lgkmcnt(0)
	v_mul_f64 v[164:165], v[226:227], v[166:167]
	v_mul_f64 v[212:213], v[224:225], v[166:167]
	s_delay_alu instid0(VALU_DEP_2) | instskip(NEXT) | instid1(VALU_DEP_2)
	v_fma_f64 v[164:165], v[224:225], v[232:233], -v[164:165]
	v_fma_f64 v[212:213], v[226:227], v[232:233], v[212:213]
	ds_load_2addr_b64 v[224:227], v234 offset0:36 offset1:37
	v_add_f64 v[152:153], v[152:153], -v[164:165]
	v_add_f64 v[154:155], v[154:155], -v[212:213]
	s_waitcnt lgkmcnt(0)
	v_mul_f64 v[164:165], v[226:227], v[166:167]
	v_mul_f64 v[212:213], v[224:225], v[166:167]
	s_delay_alu instid0(VALU_DEP_2) | instskip(NEXT) | instid1(VALU_DEP_2)
	v_fma_f64 v[164:165], v[224:225], v[232:233], -v[164:165]
	v_fma_f64 v[212:213], v[226:227], v[232:233], v[212:213]
	ds_load_2addr_b64 v[224:227], v234 offset0:38 offset1:39
	v_add_f64 v[148:149], v[148:149], -v[164:165]
	v_add_f64 v[150:151], v[150:151], -v[212:213]
	s_waitcnt lgkmcnt(0)
	v_mul_f64 v[164:165], v[226:227], v[166:167]
	v_mul_f64 v[212:213], v[224:225], v[166:167]
	s_delay_alu instid0(VALU_DEP_2) | instskip(NEXT) | instid1(VALU_DEP_2)
	v_fma_f64 v[164:165], v[224:225], v[232:233], -v[164:165]
	v_fma_f64 v[212:213], v[226:227], v[232:233], v[212:213]
	ds_load_2addr_b64 v[224:227], v234 offset0:40 offset1:41
	v_add_f64 v[144:145], v[144:145], -v[164:165]
	v_add_f64 v[146:147], v[146:147], -v[212:213]
	s_waitcnt lgkmcnt(0)
	v_mul_f64 v[164:165], v[226:227], v[166:167]
	v_mul_f64 v[212:213], v[224:225], v[166:167]
	s_delay_alu instid0(VALU_DEP_2) | instskip(NEXT) | instid1(VALU_DEP_2)
	v_fma_f64 v[164:165], v[224:225], v[232:233], -v[164:165]
	v_fma_f64 v[212:213], v[226:227], v[232:233], v[212:213]
	ds_load_2addr_b64 v[224:227], v234 offset0:42 offset1:43
	v_add_f64 v[140:141], v[140:141], -v[164:165]
	v_add_f64 v[142:143], v[142:143], -v[212:213]
	s_waitcnt lgkmcnt(0)
	v_mul_f64 v[164:165], v[226:227], v[166:167]
	v_mul_f64 v[212:213], v[224:225], v[166:167]
	s_delay_alu instid0(VALU_DEP_2) | instskip(NEXT) | instid1(VALU_DEP_2)
	v_fma_f64 v[164:165], v[224:225], v[232:233], -v[164:165]
	v_fma_f64 v[212:213], v[226:227], v[232:233], v[212:213]
	ds_load_2addr_b64 v[224:227], v234 offset0:44 offset1:45
	v_add_f64 v[136:137], v[136:137], -v[164:165]
	v_add_f64 v[138:139], v[138:139], -v[212:213]
	s_waitcnt lgkmcnt(0)
	v_mul_f64 v[164:165], v[226:227], v[166:167]
	v_mul_f64 v[212:213], v[224:225], v[166:167]
	s_delay_alu instid0(VALU_DEP_2) | instskip(NEXT) | instid1(VALU_DEP_2)
	v_fma_f64 v[164:165], v[224:225], v[232:233], -v[164:165]
	v_fma_f64 v[212:213], v[226:227], v[232:233], v[212:213]
	ds_load_2addr_b64 v[224:227], v234 offset0:46 offset1:47
	v_add_f64 v[132:133], v[132:133], -v[164:165]
	v_add_f64 v[134:135], v[134:135], -v[212:213]
	s_waitcnt lgkmcnt(0)
	v_mul_f64 v[164:165], v[226:227], v[166:167]
	v_mul_f64 v[212:213], v[224:225], v[166:167]
	s_delay_alu instid0(VALU_DEP_2) | instskip(NEXT) | instid1(VALU_DEP_2)
	v_fma_f64 v[164:165], v[224:225], v[232:233], -v[164:165]
	v_fma_f64 v[212:213], v[226:227], v[232:233], v[212:213]
	ds_load_2addr_b64 v[224:227], v234 offset0:48 offset1:49
	v_add_f64 v[128:129], v[128:129], -v[164:165]
	v_add_f64 v[130:131], v[130:131], -v[212:213]
	s_waitcnt lgkmcnt(0)
	v_mul_f64 v[164:165], v[226:227], v[166:167]
	v_mul_f64 v[212:213], v[224:225], v[166:167]
	s_delay_alu instid0(VALU_DEP_2) | instskip(NEXT) | instid1(VALU_DEP_2)
	v_fma_f64 v[164:165], v[224:225], v[232:233], -v[164:165]
	v_fma_f64 v[212:213], v[226:227], v[232:233], v[212:213]
	ds_load_2addr_b64 v[224:227], v234 offset0:50 offset1:51
	v_add_f64 v[124:125], v[124:125], -v[164:165]
	v_add_f64 v[126:127], v[126:127], -v[212:213]
	s_waitcnt lgkmcnt(0)
	v_mul_f64 v[164:165], v[226:227], v[166:167]
	v_mul_f64 v[212:213], v[224:225], v[166:167]
	s_delay_alu instid0(VALU_DEP_2) | instskip(NEXT) | instid1(VALU_DEP_2)
	v_fma_f64 v[164:165], v[224:225], v[232:233], -v[164:165]
	v_fma_f64 v[212:213], v[226:227], v[232:233], v[212:213]
	ds_load_2addr_b64 v[224:227], v234 offset0:52 offset1:53
	v_add_f64 v[120:121], v[120:121], -v[164:165]
	v_add_f64 v[122:123], v[122:123], -v[212:213]
	s_waitcnt lgkmcnt(0)
	v_mul_f64 v[164:165], v[226:227], v[166:167]
	v_mul_f64 v[212:213], v[224:225], v[166:167]
	s_delay_alu instid0(VALU_DEP_2) | instskip(NEXT) | instid1(VALU_DEP_2)
	v_fma_f64 v[164:165], v[224:225], v[232:233], -v[164:165]
	v_fma_f64 v[212:213], v[226:227], v[232:233], v[212:213]
	ds_load_2addr_b64 v[224:227], v234 offset0:54 offset1:55
	v_add_f64 v[116:117], v[116:117], -v[164:165]
	v_add_f64 v[118:119], v[118:119], -v[212:213]
	s_waitcnt lgkmcnt(0)
	v_mul_f64 v[164:165], v[226:227], v[166:167]
	v_mul_f64 v[212:213], v[224:225], v[166:167]
	s_delay_alu instid0(VALU_DEP_2) | instskip(NEXT) | instid1(VALU_DEP_2)
	v_fma_f64 v[164:165], v[224:225], v[232:233], -v[164:165]
	v_fma_f64 v[212:213], v[226:227], v[232:233], v[212:213]
	ds_load_2addr_b64 v[224:227], v234 offset0:56 offset1:57
	v_add_f64 v[112:113], v[112:113], -v[164:165]
	v_add_f64 v[114:115], v[114:115], -v[212:213]
	s_waitcnt lgkmcnt(0)
	v_mul_f64 v[164:165], v[226:227], v[166:167]
	v_mul_f64 v[212:213], v[224:225], v[166:167]
	s_delay_alu instid0(VALU_DEP_2) | instskip(NEXT) | instid1(VALU_DEP_2)
	v_fma_f64 v[164:165], v[224:225], v[232:233], -v[164:165]
	v_fma_f64 v[212:213], v[226:227], v[232:233], v[212:213]
	ds_load_2addr_b64 v[224:227], v234 offset0:58 offset1:59
	v_add_f64 v[108:109], v[108:109], -v[164:165]
	v_add_f64 v[110:111], v[110:111], -v[212:213]
	s_waitcnt lgkmcnt(0)
	v_mul_f64 v[164:165], v[226:227], v[166:167]
	v_mul_f64 v[212:213], v[224:225], v[166:167]
	s_delay_alu instid0(VALU_DEP_2) | instskip(NEXT) | instid1(VALU_DEP_2)
	v_fma_f64 v[164:165], v[224:225], v[232:233], -v[164:165]
	v_fma_f64 v[212:213], v[226:227], v[232:233], v[212:213]
	ds_load_2addr_b64 v[224:227], v234 offset0:60 offset1:61
	v_add_f64 v[104:105], v[104:105], -v[164:165]
	v_add_f64 v[106:107], v[106:107], -v[212:213]
	s_waitcnt lgkmcnt(0)
	v_mul_f64 v[164:165], v[226:227], v[166:167]
	v_mul_f64 v[212:213], v[224:225], v[166:167]
	s_delay_alu instid0(VALU_DEP_2) | instskip(NEXT) | instid1(VALU_DEP_2)
	v_fma_f64 v[164:165], v[224:225], v[232:233], -v[164:165]
	v_fma_f64 v[212:213], v[226:227], v[232:233], v[212:213]
	ds_load_2addr_b64 v[224:227], v234 offset0:62 offset1:63
	v_add_f64 v[100:101], v[100:101], -v[164:165]
	v_add_f64 v[102:103], v[102:103], -v[212:213]
	s_waitcnt lgkmcnt(0)
	v_mul_f64 v[164:165], v[226:227], v[166:167]
	v_mul_f64 v[212:213], v[224:225], v[166:167]
	s_delay_alu instid0(VALU_DEP_2) | instskip(NEXT) | instid1(VALU_DEP_2)
	v_fma_f64 v[164:165], v[224:225], v[232:233], -v[164:165]
	v_fma_f64 v[212:213], v[226:227], v[232:233], v[212:213]
	ds_load_2addr_b64 v[224:227], v234 offset0:64 offset1:65
	v_add_f64 v[96:97], v[96:97], -v[164:165]
	v_add_f64 v[98:99], v[98:99], -v[212:213]
	s_waitcnt lgkmcnt(0)
	v_mul_f64 v[164:165], v[226:227], v[166:167]
	v_mul_f64 v[212:213], v[224:225], v[166:167]
	s_delay_alu instid0(VALU_DEP_2) | instskip(NEXT) | instid1(VALU_DEP_2)
	v_fma_f64 v[164:165], v[224:225], v[232:233], -v[164:165]
	v_fma_f64 v[212:213], v[226:227], v[232:233], v[212:213]
	ds_load_2addr_b64 v[224:227], v234 offset0:66 offset1:67
	v_add_f64 v[92:93], v[92:93], -v[164:165]
	v_add_f64 v[94:95], v[94:95], -v[212:213]
	s_waitcnt lgkmcnt(0)
	v_mul_f64 v[164:165], v[226:227], v[166:167]
	v_mul_f64 v[212:213], v[224:225], v[166:167]
	s_delay_alu instid0(VALU_DEP_2) | instskip(NEXT) | instid1(VALU_DEP_2)
	v_fma_f64 v[164:165], v[224:225], v[232:233], -v[164:165]
	v_fma_f64 v[212:213], v[226:227], v[232:233], v[212:213]
	ds_load_2addr_b64 v[224:227], v234 offset0:68 offset1:69
	v_add_f64 v[88:89], v[88:89], -v[164:165]
	v_add_f64 v[90:91], v[90:91], -v[212:213]
	s_waitcnt lgkmcnt(0)
	v_mul_f64 v[164:165], v[226:227], v[166:167]
	v_mul_f64 v[212:213], v[224:225], v[166:167]
	s_delay_alu instid0(VALU_DEP_2) | instskip(NEXT) | instid1(VALU_DEP_2)
	v_fma_f64 v[164:165], v[224:225], v[232:233], -v[164:165]
	v_fma_f64 v[212:213], v[226:227], v[232:233], v[212:213]
	ds_load_2addr_b64 v[224:227], v234 offset0:70 offset1:71
	v_add_f64 v[84:85], v[84:85], -v[164:165]
	v_add_f64 v[86:87], v[86:87], -v[212:213]
	s_waitcnt lgkmcnt(0)
	v_mul_f64 v[164:165], v[226:227], v[166:167]
	v_mul_f64 v[212:213], v[224:225], v[166:167]
	s_delay_alu instid0(VALU_DEP_2) | instskip(NEXT) | instid1(VALU_DEP_2)
	v_fma_f64 v[164:165], v[224:225], v[232:233], -v[164:165]
	v_fma_f64 v[212:213], v[226:227], v[232:233], v[212:213]
	ds_load_2addr_b64 v[224:227], v234 offset0:72 offset1:73
	v_add_f64 v[80:81], v[80:81], -v[164:165]
	v_add_f64 v[82:83], v[82:83], -v[212:213]
	s_waitcnt lgkmcnt(0)
	v_mul_f64 v[164:165], v[226:227], v[166:167]
	v_mul_f64 v[212:213], v[224:225], v[166:167]
	s_delay_alu instid0(VALU_DEP_2) | instskip(NEXT) | instid1(VALU_DEP_2)
	v_fma_f64 v[164:165], v[224:225], v[232:233], -v[164:165]
	v_fma_f64 v[212:213], v[226:227], v[232:233], v[212:213]
	ds_load_2addr_b64 v[224:227], v234 offset0:74 offset1:75
	v_add_f64 v[76:77], v[76:77], -v[164:165]
	v_add_f64 v[78:79], v[78:79], -v[212:213]
	s_waitcnt lgkmcnt(0)
	v_mul_f64 v[164:165], v[226:227], v[166:167]
	v_mul_f64 v[212:213], v[224:225], v[166:167]
	s_delay_alu instid0(VALU_DEP_2) | instskip(NEXT) | instid1(VALU_DEP_2)
	v_fma_f64 v[164:165], v[224:225], v[232:233], -v[164:165]
	v_fma_f64 v[212:213], v[226:227], v[232:233], v[212:213]
	ds_load_2addr_b64 v[224:227], v234 offset0:76 offset1:77
	v_add_f64 v[72:73], v[72:73], -v[164:165]
	v_add_f64 v[74:75], v[74:75], -v[212:213]
	s_waitcnt lgkmcnt(0)
	v_mul_f64 v[164:165], v[226:227], v[166:167]
	v_mul_f64 v[212:213], v[224:225], v[166:167]
	s_delay_alu instid0(VALU_DEP_2) | instskip(NEXT) | instid1(VALU_DEP_2)
	v_fma_f64 v[164:165], v[224:225], v[232:233], -v[164:165]
	v_fma_f64 v[212:213], v[226:227], v[232:233], v[212:213]
	ds_load_2addr_b64 v[224:227], v234 offset0:78 offset1:79
	v_add_f64 v[68:69], v[68:69], -v[164:165]
	v_add_f64 v[70:71], v[70:71], -v[212:213]
	s_waitcnt lgkmcnt(0)
	v_mul_f64 v[164:165], v[226:227], v[166:167]
	v_mul_f64 v[212:213], v[224:225], v[166:167]
	s_delay_alu instid0(VALU_DEP_2) | instskip(NEXT) | instid1(VALU_DEP_2)
	v_fma_f64 v[164:165], v[224:225], v[232:233], -v[164:165]
	v_fma_f64 v[212:213], v[226:227], v[232:233], v[212:213]
	ds_load_2addr_b64 v[224:227], v234 offset0:80 offset1:81
	v_add_f64 v[64:65], v[64:65], -v[164:165]
	v_add_f64 v[66:67], v[66:67], -v[212:213]
	s_waitcnt lgkmcnt(0)
	v_mul_f64 v[164:165], v[226:227], v[166:167]
	v_mul_f64 v[212:213], v[224:225], v[166:167]
	s_delay_alu instid0(VALU_DEP_2) | instskip(NEXT) | instid1(VALU_DEP_2)
	v_fma_f64 v[164:165], v[224:225], v[232:233], -v[164:165]
	v_fma_f64 v[212:213], v[226:227], v[232:233], v[212:213]
	ds_load_2addr_b64 v[224:227], v234 offset0:82 offset1:83
	v_add_f64 v[60:61], v[60:61], -v[164:165]
	v_add_f64 v[62:63], v[62:63], -v[212:213]
	s_waitcnt lgkmcnt(0)
	v_mul_f64 v[164:165], v[226:227], v[166:167]
	v_mul_f64 v[212:213], v[224:225], v[166:167]
	s_delay_alu instid0(VALU_DEP_2) | instskip(NEXT) | instid1(VALU_DEP_2)
	v_fma_f64 v[164:165], v[224:225], v[232:233], -v[164:165]
	v_fma_f64 v[212:213], v[226:227], v[232:233], v[212:213]
	ds_load_2addr_b64 v[224:227], v234 offset0:84 offset1:85
	v_add_f64 v[56:57], v[56:57], -v[164:165]
	v_add_f64 v[58:59], v[58:59], -v[212:213]
	s_waitcnt lgkmcnt(0)
	v_mul_f64 v[164:165], v[226:227], v[166:167]
	v_mul_f64 v[212:213], v[224:225], v[166:167]
	s_delay_alu instid0(VALU_DEP_2) | instskip(NEXT) | instid1(VALU_DEP_2)
	v_fma_f64 v[164:165], v[224:225], v[232:233], -v[164:165]
	v_fma_f64 v[212:213], v[226:227], v[232:233], v[212:213]
	ds_load_2addr_b64 v[224:227], v234 offset0:86 offset1:87
	v_add_f64 v[52:53], v[52:53], -v[164:165]
	v_add_f64 v[54:55], v[54:55], -v[212:213]
	s_waitcnt lgkmcnt(0)
	v_mul_f64 v[164:165], v[226:227], v[166:167]
	v_mul_f64 v[212:213], v[224:225], v[166:167]
	s_delay_alu instid0(VALU_DEP_2) | instskip(NEXT) | instid1(VALU_DEP_2)
	v_fma_f64 v[164:165], v[224:225], v[232:233], -v[164:165]
	v_fma_f64 v[212:213], v[226:227], v[232:233], v[212:213]
	ds_load_2addr_b64 v[224:227], v234 offset0:88 offset1:89
	v_add_f64 v[48:49], v[48:49], -v[164:165]
	v_add_f64 v[50:51], v[50:51], -v[212:213]
	s_waitcnt lgkmcnt(0)
	v_mul_f64 v[164:165], v[226:227], v[166:167]
	v_mul_f64 v[212:213], v[224:225], v[166:167]
	s_delay_alu instid0(VALU_DEP_2) | instskip(NEXT) | instid1(VALU_DEP_2)
	v_fma_f64 v[164:165], v[224:225], v[232:233], -v[164:165]
	v_fma_f64 v[212:213], v[226:227], v[232:233], v[212:213]
	ds_load_2addr_b64 v[224:227], v234 offset0:90 offset1:91
	v_add_f64 v[44:45], v[44:45], -v[164:165]
	v_add_f64 v[46:47], v[46:47], -v[212:213]
	s_waitcnt lgkmcnt(0)
	v_mul_f64 v[164:165], v[226:227], v[166:167]
	v_mul_f64 v[212:213], v[224:225], v[166:167]
	s_delay_alu instid0(VALU_DEP_2) | instskip(NEXT) | instid1(VALU_DEP_2)
	v_fma_f64 v[164:165], v[224:225], v[232:233], -v[164:165]
	v_fma_f64 v[212:213], v[226:227], v[232:233], v[212:213]
	ds_load_2addr_b64 v[224:227], v234 offset0:92 offset1:93
	v_add_f64 v[40:41], v[40:41], -v[164:165]
	v_add_f64 v[42:43], v[42:43], -v[212:213]
	s_waitcnt lgkmcnt(0)
	v_mul_f64 v[164:165], v[226:227], v[166:167]
	v_mul_f64 v[212:213], v[224:225], v[166:167]
	s_delay_alu instid0(VALU_DEP_2) | instskip(NEXT) | instid1(VALU_DEP_2)
	v_fma_f64 v[164:165], v[224:225], v[232:233], -v[164:165]
	v_fma_f64 v[212:213], v[226:227], v[232:233], v[212:213]
	ds_load_2addr_b64 v[224:227], v234 offset0:94 offset1:95
	v_add_f64 v[36:37], v[36:37], -v[164:165]
	v_add_f64 v[38:39], v[38:39], -v[212:213]
	s_waitcnt lgkmcnt(0)
	v_mul_f64 v[164:165], v[226:227], v[166:167]
	v_mul_f64 v[212:213], v[224:225], v[166:167]
	s_delay_alu instid0(VALU_DEP_2) | instskip(NEXT) | instid1(VALU_DEP_2)
	v_fma_f64 v[164:165], v[224:225], v[232:233], -v[164:165]
	v_fma_f64 v[212:213], v[226:227], v[232:233], v[212:213]
	ds_load_2addr_b64 v[224:227], v234 offset0:96 offset1:97
	v_add_f64 v[32:33], v[32:33], -v[164:165]
	v_add_f64 v[34:35], v[34:35], -v[212:213]
	s_waitcnt lgkmcnt(0)
	v_mul_f64 v[164:165], v[226:227], v[166:167]
	v_mul_f64 v[212:213], v[224:225], v[166:167]
	s_delay_alu instid0(VALU_DEP_2) | instskip(NEXT) | instid1(VALU_DEP_2)
	v_fma_f64 v[164:165], v[224:225], v[232:233], -v[164:165]
	v_fma_f64 v[212:213], v[226:227], v[232:233], v[212:213]
	ds_load_2addr_b64 v[224:227], v234 offset0:98 offset1:99
	v_add_f64 v[28:29], v[28:29], -v[164:165]
	v_add_f64 v[30:31], v[30:31], -v[212:213]
	s_waitcnt lgkmcnt(0)
	v_mul_f64 v[164:165], v[226:227], v[166:167]
	v_mul_f64 v[212:213], v[224:225], v[166:167]
	s_delay_alu instid0(VALU_DEP_2) | instskip(NEXT) | instid1(VALU_DEP_2)
	v_fma_f64 v[164:165], v[224:225], v[232:233], -v[164:165]
	v_fma_f64 v[212:213], v[226:227], v[232:233], v[212:213]
	ds_load_2addr_b64 v[224:227], v234 offset0:100 offset1:101
	v_add_f64 v[24:25], v[24:25], -v[164:165]
	v_add_f64 v[26:27], v[26:27], -v[212:213]
	s_waitcnt lgkmcnt(0)
	v_mul_f64 v[164:165], v[226:227], v[166:167]
	v_mul_f64 v[212:213], v[224:225], v[166:167]
	s_delay_alu instid0(VALU_DEP_2) | instskip(NEXT) | instid1(VALU_DEP_2)
	v_fma_f64 v[164:165], v[224:225], v[232:233], -v[164:165]
	v_fma_f64 v[212:213], v[226:227], v[232:233], v[212:213]
	ds_load_2addr_b64 v[224:227], v234 offset0:102 offset1:103
	v_add_f64 v[20:21], v[20:21], -v[164:165]
	v_add_f64 v[22:23], v[22:23], -v[212:213]
	s_waitcnt lgkmcnt(0)
	v_mul_f64 v[164:165], v[226:227], v[166:167]
	v_mul_f64 v[212:213], v[224:225], v[166:167]
	s_delay_alu instid0(VALU_DEP_2) | instskip(NEXT) | instid1(VALU_DEP_2)
	v_fma_f64 v[164:165], v[224:225], v[232:233], -v[164:165]
	v_fma_f64 v[212:213], v[226:227], v[232:233], v[212:213]
	ds_load_2addr_b64 v[224:227], v234 offset0:104 offset1:105
	v_add_f64 v[16:17], v[16:17], -v[164:165]
	v_add_f64 v[18:19], v[18:19], -v[212:213]
	s_waitcnt lgkmcnt(0)
	v_mul_f64 v[164:165], v[226:227], v[166:167]
	v_mul_f64 v[212:213], v[224:225], v[166:167]
	s_delay_alu instid0(VALU_DEP_2) | instskip(NEXT) | instid1(VALU_DEP_2)
	v_fma_f64 v[164:165], v[224:225], v[232:233], -v[164:165]
	v_fma_f64 v[212:213], v[226:227], v[232:233], v[212:213]
	ds_load_2addr_b64 v[224:227], v234 offset0:106 offset1:107
	v_add_f64 v[12:13], v[12:13], -v[164:165]
	v_add_f64 v[14:15], v[14:15], -v[212:213]
	s_waitcnt lgkmcnt(0)
	v_mul_f64 v[164:165], v[226:227], v[166:167]
	v_mul_f64 v[212:213], v[224:225], v[166:167]
	s_delay_alu instid0(VALU_DEP_2) | instskip(NEXT) | instid1(VALU_DEP_2)
	v_fma_f64 v[164:165], v[224:225], v[232:233], -v[164:165]
	v_fma_f64 v[212:213], v[226:227], v[232:233], v[212:213]
	ds_load_2addr_b64 v[224:227], v234 offset0:108 offset1:109
	v_add_f64 v[249:250], v[249:250], -v[164:165]
	v_add_f64 v[251:252], v[251:252], -v[212:213]
	s_waitcnt lgkmcnt(0)
	v_mul_f64 v[164:165], v[226:227], v[166:167]
	v_mul_f64 v[212:213], v[224:225], v[166:167]
	s_delay_alu instid0(VALU_DEP_2) | instskip(NEXT) | instid1(VALU_DEP_2)
	v_fma_f64 v[164:165], v[224:225], v[232:233], -v[164:165]
	v_fma_f64 v[212:213], v[226:227], v[232:233], v[212:213]
	ds_load_2addr_b64 v[224:227], v234 offset0:110 offset1:111
	v_add_f64 v[228:229], v[228:229], -v[164:165]
	v_add_f64 v[230:231], v[230:231], -v[212:213]
	s_waitcnt lgkmcnt(0)
	v_mul_f64 v[164:165], v[226:227], v[166:167]
	v_mul_f64 v[212:213], v[224:225], v[166:167]
	s_delay_alu instid0(VALU_DEP_2) | instskip(NEXT) | instid1(VALU_DEP_2)
	v_fma_f64 v[164:165], v[224:225], v[232:233], -v[164:165]
	v_fma_f64 v[212:213], v[226:227], v[232:233], v[212:213]
	s_delay_alu instid0(VALU_DEP_2) | instskip(NEXT) | instid1(VALU_DEP_2)
	v_add_f64 v[0:1], v[0:1], -v[164:165]
	v_add_f64 v[2:3], v[2:3], -v[212:213]
	v_dual_mov_b32 v164, v232 :: v_dual_mov_b32 v165, v233
.LBB110_315:
	s_or_b32 exec_lo, exec_lo, s2
	v_lshl_add_u32 v212, v240, 4, v234
	s_barrier
	buffer_gl0_inv
	v_mov_b32_e32 v232, 15
	ds_store_2addr_b64 v212, v[160:161], v[162:163] offset1:1
	s_waitcnt lgkmcnt(0)
	s_barrier
	buffer_gl0_inv
	ds_load_2addr_b64 v[224:227], v234 offset0:30 offset1:31
	s_cmp_lt_i32 s5, 17
	s_cbranch_scc1 .LBB110_318
; %bb.316:
	v_add3_u32 v233, v238, 0, 0x100
	v_mov_b32_e32 v232, 15
	s_mov_b32 s6, 16
	s_set_inst_prefetch_distance 0x1
	.p2align	6
.LBB110_317:                            ; =>This Inner Loop Header: Depth=1
	ds_load_2addr_b64 v[241:244], v233 offset1:1
	s_waitcnt lgkmcnt(1)
	v_cmp_gt_f64_e32 vcc_lo, 0, v[224:225]
	v_xor_b32_e32 v212, 0x80000000, v225
	v_cmp_gt_f64_e64 s2, 0, v[226:227]
	v_xor_b32_e32 v214, 0x80000000, v227
	v_add_nc_u32_e32 v233, 16, v233
	s_waitcnt lgkmcnt(0)
	v_cmp_gt_f64_e64 s3, 0, v[241:242]
	v_mov_b32_e32 v216, v241
	v_dual_mov_b32 v218, v243 :: v_dual_cndmask_b32 v213, v225, v212
	v_xor_b32_e32 v212, 0x80000000, v242
	v_cndmask_b32_e64 v215, v227, v214, s2
	v_xor_b32_e32 v214, 0x80000000, v244
	s_delay_alu instid0(VALU_DEP_3) | instskip(SKIP_2) | instid1(VALU_DEP_2)
	v_cndmask_b32_e64 v217, v242, v212, s3
	v_cmp_gt_f64_e64 s3, 0, v[243:244]
	v_cndmask_b32_e32 v212, v224, v224, vcc_lo
	v_cndmask_b32_e64 v219, v244, v214, s3
	v_cndmask_b32_e64 v214, v226, v226, s2
	s_delay_alu instid0(VALU_DEP_2) | instskip(NEXT) | instid1(VALU_DEP_2)
	v_add_f64 v[216:217], v[216:217], v[218:219]
	v_add_f64 v[212:213], v[212:213], v[214:215]
	s_delay_alu instid0(VALU_DEP_1) | instskip(SKIP_4) | instid1(SALU_CYCLE_1)
	v_cmp_lt_f64_e32 vcc_lo, v[212:213], v[216:217]
	v_dual_cndmask_b32 v225, v225, v242 :: v_dual_cndmask_b32 v224, v224, v241
	v_dual_cndmask_b32 v227, v227, v244 :: v_dual_cndmask_b32 v226, v226, v243
	v_cndmask_b32_e64 v232, v232, s6, vcc_lo
	s_add_i32 s6, s6, 1
	s_cmp_lg_u32 s5, s6
	s_cbranch_scc1 .LBB110_317
.LBB110_318:
	s_set_inst_prefetch_distance 0x2
	s_waitcnt lgkmcnt(0)
	v_cmp_eq_f64_e32 vcc_lo, 0, v[224:225]
	v_cmp_eq_f64_e64 s2, 0, v[226:227]
	s_delay_alu instid0(VALU_DEP_1) | instskip(NEXT) | instid1(SALU_CYCLE_1)
	s_and_b32 s2, vcc_lo, s2
	s_and_saveexec_b32 s3, s2
	s_delay_alu instid0(SALU_CYCLE_1)
	s_xor_b32 s2, exec_lo, s3
; %bb.319:
	v_cmp_ne_u32_e32 vcc_lo, 0, v237
	v_cndmask_b32_e32 v237, 16, v237, vcc_lo
; %bb.320:
	s_and_not1_saveexec_b32 s3, s2
	s_cbranch_execz .LBB110_326
; %bb.321:
	v_cmp_gt_f64_e32 vcc_lo, 0, v[224:225]
	v_cmp_gt_f64_e64 s2, 0, v[226:227]
	v_xor_b32_e32 v212, 0x80000000, v225
	v_xor_b32_e32 v214, 0x80000000, v227
	s_delay_alu instid0(VALU_DEP_2) | instskip(NEXT) | instid1(VALU_DEP_2)
	v_cndmask_b32_e32 v213, v225, v212, vcc_lo
	v_cndmask_b32_e64 v215, v227, v214, s2
	v_cndmask_b32_e32 v212, v224, v224, vcc_lo
	v_cndmask_b32_e64 v214, v226, v226, s2
	s_mov_b32 s2, exec_lo
	s_delay_alu instid0(VALU_DEP_1)
	v_cmpx_ngt_f64_e32 v[212:213], v[214:215]
	s_xor_b32 s2, exec_lo, s2
	s_cbranch_execz .LBB110_323
; %bb.322:
	v_div_scale_f64 v[212:213], null, v[226:227], v[226:227], v[224:225]
	v_div_scale_f64 v[218:219], vcc_lo, v[224:225], v[226:227], v[224:225]
	s_delay_alu instid0(VALU_DEP_2) | instskip(SKIP_2) | instid1(VALU_DEP_1)
	v_rcp_f64_e32 v[214:215], v[212:213]
	s_waitcnt_depctr 0xfff
	v_fma_f64 v[216:217], -v[212:213], v[214:215], 1.0
	v_fma_f64 v[214:215], v[214:215], v[216:217], v[214:215]
	s_delay_alu instid0(VALU_DEP_1) | instskip(NEXT) | instid1(VALU_DEP_1)
	v_fma_f64 v[216:217], -v[212:213], v[214:215], 1.0
	v_fma_f64 v[214:215], v[214:215], v[216:217], v[214:215]
	s_delay_alu instid0(VALU_DEP_1) | instskip(NEXT) | instid1(VALU_DEP_1)
	v_mul_f64 v[216:217], v[218:219], v[214:215]
	v_fma_f64 v[212:213], -v[212:213], v[216:217], v[218:219]
	s_delay_alu instid0(VALU_DEP_1) | instskip(NEXT) | instid1(VALU_DEP_1)
	v_div_fmas_f64 v[212:213], v[212:213], v[214:215], v[216:217]
	v_div_fixup_f64 v[212:213], v[212:213], v[226:227], v[224:225]
	s_delay_alu instid0(VALU_DEP_1) | instskip(NEXT) | instid1(VALU_DEP_1)
	v_fma_f64 v[214:215], v[224:225], v[212:213], v[226:227]
	v_div_scale_f64 v[216:217], null, v[214:215], v[214:215], 1.0
	s_delay_alu instid0(VALU_DEP_1) | instskip(SKIP_2) | instid1(VALU_DEP_1)
	v_rcp_f64_e32 v[218:219], v[216:217]
	s_waitcnt_depctr 0xfff
	v_fma_f64 v[220:221], -v[216:217], v[218:219], 1.0
	v_fma_f64 v[218:219], v[218:219], v[220:221], v[218:219]
	s_delay_alu instid0(VALU_DEP_1) | instskip(NEXT) | instid1(VALU_DEP_1)
	v_fma_f64 v[220:221], -v[216:217], v[218:219], 1.0
	v_fma_f64 v[218:219], v[218:219], v[220:221], v[218:219]
	v_div_scale_f64 v[220:221], vcc_lo, 1.0, v[214:215], 1.0
	s_delay_alu instid0(VALU_DEP_1) | instskip(NEXT) | instid1(VALU_DEP_1)
	v_mul_f64 v[222:223], v[220:221], v[218:219]
	v_fma_f64 v[216:217], -v[216:217], v[222:223], v[220:221]
	s_delay_alu instid0(VALU_DEP_1) | instskip(NEXT) | instid1(VALU_DEP_1)
	v_div_fmas_f64 v[216:217], v[216:217], v[218:219], v[222:223]
	v_div_fixup_f64 v[226:227], v[216:217], v[214:215], 1.0
	s_delay_alu instid0(VALU_DEP_1)
	v_mul_f64 v[224:225], v[212:213], v[226:227]
	v_xor_b32_e32 v227, 0x80000000, v227
.LBB110_323:
	s_and_not1_saveexec_b32 s2, s2
	s_cbranch_execz .LBB110_325
; %bb.324:
	s_delay_alu instid0(VALU_DEP_1) | instskip(SKIP_1) | instid1(VALU_DEP_2)
	v_div_scale_f64 v[212:213], null, v[224:225], v[224:225], v[226:227]
	v_div_scale_f64 v[218:219], vcc_lo, v[226:227], v[224:225], v[226:227]
	v_rcp_f64_e32 v[214:215], v[212:213]
	s_waitcnt_depctr 0xfff
	v_fma_f64 v[216:217], -v[212:213], v[214:215], 1.0
	s_delay_alu instid0(VALU_DEP_1) | instskip(NEXT) | instid1(VALU_DEP_1)
	v_fma_f64 v[214:215], v[214:215], v[216:217], v[214:215]
	v_fma_f64 v[216:217], -v[212:213], v[214:215], 1.0
	s_delay_alu instid0(VALU_DEP_1) | instskip(NEXT) | instid1(VALU_DEP_1)
	v_fma_f64 v[214:215], v[214:215], v[216:217], v[214:215]
	v_mul_f64 v[216:217], v[218:219], v[214:215]
	s_delay_alu instid0(VALU_DEP_1) | instskip(NEXT) | instid1(VALU_DEP_1)
	v_fma_f64 v[212:213], -v[212:213], v[216:217], v[218:219]
	v_div_fmas_f64 v[212:213], v[212:213], v[214:215], v[216:217]
	s_delay_alu instid0(VALU_DEP_1) | instskip(NEXT) | instid1(VALU_DEP_1)
	v_div_fixup_f64 v[212:213], v[212:213], v[224:225], v[226:227]
	v_fma_f64 v[214:215], v[226:227], v[212:213], v[224:225]
	s_delay_alu instid0(VALU_DEP_1) | instskip(NEXT) | instid1(VALU_DEP_1)
	v_div_scale_f64 v[216:217], null, v[214:215], v[214:215], 1.0
	v_rcp_f64_e32 v[218:219], v[216:217]
	s_waitcnt_depctr 0xfff
	v_fma_f64 v[220:221], -v[216:217], v[218:219], 1.0
	s_delay_alu instid0(VALU_DEP_1) | instskip(NEXT) | instid1(VALU_DEP_1)
	v_fma_f64 v[218:219], v[218:219], v[220:221], v[218:219]
	v_fma_f64 v[220:221], -v[216:217], v[218:219], 1.0
	s_delay_alu instid0(VALU_DEP_1) | instskip(SKIP_1) | instid1(VALU_DEP_1)
	v_fma_f64 v[218:219], v[218:219], v[220:221], v[218:219]
	v_div_scale_f64 v[220:221], vcc_lo, 1.0, v[214:215], 1.0
	v_mul_f64 v[222:223], v[220:221], v[218:219]
	s_delay_alu instid0(VALU_DEP_1) | instskip(NEXT) | instid1(VALU_DEP_1)
	v_fma_f64 v[216:217], -v[216:217], v[222:223], v[220:221]
	v_div_fmas_f64 v[216:217], v[216:217], v[218:219], v[222:223]
	s_delay_alu instid0(VALU_DEP_1) | instskip(NEXT) | instid1(VALU_DEP_1)
	v_div_fixup_f64 v[224:225], v[216:217], v[214:215], 1.0
	v_mul_f64 v[226:227], v[212:213], -v[224:225]
.LBB110_325:
	s_or_b32 exec_lo, exec_lo, s2
.LBB110_326:
	s_delay_alu instid0(SALU_CYCLE_1) | instskip(NEXT) | instid1(SALU_CYCLE_1)
	s_or_b32 exec_lo, exec_lo, s3
	s_mov_b32 s2, exec_lo
	v_cmpx_ne_u32_e64 v240, v232
	s_xor_b32 s2, exec_lo, s2
	s_cbranch_execz .LBB110_332
; %bb.327:
	s_mov_b32 s3, exec_lo
	v_cmpx_eq_u32_e32 15, v240
	s_cbranch_execz .LBB110_331
; %bb.328:
	v_cmp_ne_u32_e32 vcc_lo, 15, v232
	s_xor_b32 s6, s4, -1
	s_delay_alu instid0(SALU_CYCLE_1) | instskip(NEXT) | instid1(SALU_CYCLE_1)
	s_and_b32 s7, s6, vcc_lo
	s_and_saveexec_b32 s6, s7
	s_cbranch_execz .LBB110_330
; %bb.329:
	scratch_load_b64 v[10:11], off, off     ; 8-byte Folded Reload
	v_ashrrev_i32_e32 v233, 31, v232
	s_delay_alu instid0(VALU_DEP_1) | instskip(SKIP_1) | instid1(VALU_DEP_1)
	v_lshlrev_b64 v[212:213], 2, v[232:233]
	s_waitcnt vmcnt(0)
	v_add_co_u32 v212, vcc_lo, v10, v212
	s_delay_alu instid0(VALU_DEP_2)
	v_add_co_ci_u32_e32 v213, vcc_lo, v11, v213, vcc_lo
	s_clause 0x1
	flat_load_b32 v214, v[212:213]
	flat_load_b32 v215, v[10:11] offset:60
	s_waitcnt vmcnt(1) lgkmcnt(1)
	flat_store_b32 v[10:11], v214 offset:60
	s_waitcnt vmcnt(0) lgkmcnt(1)
	flat_store_b32 v[212:213], v215
.LBB110_330:
	s_or_b32 exec_lo, exec_lo, s6
	v_mov_b32_e32 v240, v232
	v_mov_b32_e32 v239, v232
.LBB110_331:
	s_or_b32 exec_lo, exec_lo, s3
.LBB110_332:
	s_and_not1_saveexec_b32 s2, s2
	s_cbranch_execz .LBB110_334
; %bb.333:
	v_mov_b32_e32 v240, 15
	ds_store_2addr_b64 v234, v[156:157], v[158:159] offset0:32 offset1:33
	ds_store_2addr_b64 v234, v[152:153], v[154:155] offset0:34 offset1:35
	;; [unrolled: 1-line block ×40, first 2 shown]
.LBB110_334:
	s_or_b32 exec_lo, exec_lo, s2
	s_delay_alu instid0(SALU_CYCLE_1)
	s_mov_b32 s2, exec_lo
	s_waitcnt lgkmcnt(0)
	s_waitcnt_vscnt null, 0x0
	s_barrier
	buffer_gl0_inv
	v_cmpx_lt_i32_e32 15, v240
	s_cbranch_execz .LBB110_336
; %bb.335:
	v_mul_f64 v[212:213], v[226:227], v[162:163]
	v_mul_f64 v[162:163], v[224:225], v[162:163]
	s_delay_alu instid0(VALU_DEP_2) | instskip(NEXT) | instid1(VALU_DEP_2)
	v_fma_f64 v[232:233], v[224:225], v[160:161], -v[212:213]
	v_fma_f64 v[162:163], v[226:227], v[160:161], v[162:163]
	ds_load_2addr_b64 v[224:227], v234 offset0:32 offset1:33
	s_waitcnt lgkmcnt(0)
	v_mul_f64 v[160:161], v[226:227], v[162:163]
	v_mul_f64 v[212:213], v[224:225], v[162:163]
	s_delay_alu instid0(VALU_DEP_2) | instskip(NEXT) | instid1(VALU_DEP_2)
	v_fma_f64 v[160:161], v[224:225], v[232:233], -v[160:161]
	v_fma_f64 v[212:213], v[226:227], v[232:233], v[212:213]
	ds_load_2addr_b64 v[224:227], v234 offset0:34 offset1:35
	v_add_f64 v[156:157], v[156:157], -v[160:161]
	v_add_f64 v[158:159], v[158:159], -v[212:213]
	s_waitcnt lgkmcnt(0)
	v_mul_f64 v[160:161], v[226:227], v[162:163]
	v_mul_f64 v[212:213], v[224:225], v[162:163]
	s_delay_alu instid0(VALU_DEP_2) | instskip(NEXT) | instid1(VALU_DEP_2)
	v_fma_f64 v[160:161], v[224:225], v[232:233], -v[160:161]
	v_fma_f64 v[212:213], v[226:227], v[232:233], v[212:213]
	ds_load_2addr_b64 v[224:227], v234 offset0:36 offset1:37
	v_add_f64 v[152:153], v[152:153], -v[160:161]
	v_add_f64 v[154:155], v[154:155], -v[212:213]
	;; [unrolled: 9-line block ×39, first 2 shown]
	s_waitcnt lgkmcnt(0)
	v_mul_f64 v[160:161], v[226:227], v[162:163]
	v_mul_f64 v[212:213], v[224:225], v[162:163]
	s_delay_alu instid0(VALU_DEP_2) | instskip(NEXT) | instid1(VALU_DEP_2)
	v_fma_f64 v[160:161], v[224:225], v[232:233], -v[160:161]
	v_fma_f64 v[212:213], v[226:227], v[232:233], v[212:213]
	s_delay_alu instid0(VALU_DEP_2) | instskip(NEXT) | instid1(VALU_DEP_2)
	v_add_f64 v[0:1], v[0:1], -v[160:161]
	v_add_f64 v[2:3], v[2:3], -v[212:213]
	v_dual_mov_b32 v160, v232 :: v_dual_mov_b32 v161, v233
.LBB110_336:
	s_or_b32 exec_lo, exec_lo, s2
	v_lshl_add_u32 v212, v240, 4, v234
	s_barrier
	buffer_gl0_inv
	v_mov_b32_e32 v232, 16
	ds_store_2addr_b64 v212, v[156:157], v[158:159] offset1:1
	s_waitcnt lgkmcnt(0)
	s_barrier
	buffer_gl0_inv
	ds_load_2addr_b64 v[224:227], v234 offset0:32 offset1:33
	s_cmp_lt_i32 s5, 18
	s_cbranch_scc1 .LBB110_339
; %bb.337:
	v_add3_u32 v233, v238, 0, 0x110
	v_mov_b32_e32 v232, 16
	s_mov_b32 s6, 17
	s_set_inst_prefetch_distance 0x1
	.p2align	6
.LBB110_338:                            ; =>This Inner Loop Header: Depth=1
	ds_load_2addr_b64 v[241:244], v233 offset1:1
	s_waitcnt lgkmcnt(1)
	v_cmp_gt_f64_e32 vcc_lo, 0, v[224:225]
	v_xor_b32_e32 v212, 0x80000000, v225
	v_cmp_gt_f64_e64 s2, 0, v[226:227]
	v_xor_b32_e32 v214, 0x80000000, v227
	v_add_nc_u32_e32 v233, 16, v233
	s_waitcnt lgkmcnt(0)
	v_cmp_gt_f64_e64 s3, 0, v[241:242]
	v_mov_b32_e32 v216, v241
	v_dual_mov_b32 v218, v243 :: v_dual_cndmask_b32 v213, v225, v212
	v_xor_b32_e32 v212, 0x80000000, v242
	v_cndmask_b32_e64 v215, v227, v214, s2
	v_xor_b32_e32 v214, 0x80000000, v244
	s_delay_alu instid0(VALU_DEP_3) | instskip(SKIP_2) | instid1(VALU_DEP_2)
	v_cndmask_b32_e64 v217, v242, v212, s3
	v_cmp_gt_f64_e64 s3, 0, v[243:244]
	v_cndmask_b32_e32 v212, v224, v224, vcc_lo
	v_cndmask_b32_e64 v219, v244, v214, s3
	v_cndmask_b32_e64 v214, v226, v226, s2
	s_delay_alu instid0(VALU_DEP_2) | instskip(NEXT) | instid1(VALU_DEP_2)
	v_add_f64 v[216:217], v[216:217], v[218:219]
	v_add_f64 v[212:213], v[212:213], v[214:215]
	s_delay_alu instid0(VALU_DEP_1) | instskip(SKIP_4) | instid1(SALU_CYCLE_1)
	v_cmp_lt_f64_e32 vcc_lo, v[212:213], v[216:217]
	v_dual_cndmask_b32 v225, v225, v242 :: v_dual_cndmask_b32 v224, v224, v241
	v_dual_cndmask_b32 v227, v227, v244 :: v_dual_cndmask_b32 v226, v226, v243
	v_cndmask_b32_e64 v232, v232, s6, vcc_lo
	s_add_i32 s6, s6, 1
	s_cmp_lg_u32 s5, s6
	s_cbranch_scc1 .LBB110_338
.LBB110_339:
	s_set_inst_prefetch_distance 0x2
	s_waitcnt lgkmcnt(0)
	v_cmp_eq_f64_e32 vcc_lo, 0, v[224:225]
	v_cmp_eq_f64_e64 s2, 0, v[226:227]
	s_delay_alu instid0(VALU_DEP_1) | instskip(NEXT) | instid1(SALU_CYCLE_1)
	s_and_b32 s2, vcc_lo, s2
	s_and_saveexec_b32 s3, s2
	s_delay_alu instid0(SALU_CYCLE_1)
	s_xor_b32 s2, exec_lo, s3
; %bb.340:
	v_cmp_ne_u32_e32 vcc_lo, 0, v237
	v_cndmask_b32_e32 v237, 17, v237, vcc_lo
; %bb.341:
	s_and_not1_saveexec_b32 s3, s2
	s_cbranch_execz .LBB110_347
; %bb.342:
	v_cmp_gt_f64_e32 vcc_lo, 0, v[224:225]
	v_cmp_gt_f64_e64 s2, 0, v[226:227]
	v_xor_b32_e32 v212, 0x80000000, v225
	v_xor_b32_e32 v214, 0x80000000, v227
	s_delay_alu instid0(VALU_DEP_2) | instskip(NEXT) | instid1(VALU_DEP_2)
	v_cndmask_b32_e32 v213, v225, v212, vcc_lo
	v_cndmask_b32_e64 v215, v227, v214, s2
	v_cndmask_b32_e32 v212, v224, v224, vcc_lo
	v_cndmask_b32_e64 v214, v226, v226, s2
	s_mov_b32 s2, exec_lo
	s_delay_alu instid0(VALU_DEP_1)
	v_cmpx_ngt_f64_e32 v[212:213], v[214:215]
	s_xor_b32 s2, exec_lo, s2
	s_cbranch_execz .LBB110_344
; %bb.343:
	v_div_scale_f64 v[212:213], null, v[226:227], v[226:227], v[224:225]
	v_div_scale_f64 v[218:219], vcc_lo, v[224:225], v[226:227], v[224:225]
	s_delay_alu instid0(VALU_DEP_2) | instskip(SKIP_2) | instid1(VALU_DEP_1)
	v_rcp_f64_e32 v[214:215], v[212:213]
	s_waitcnt_depctr 0xfff
	v_fma_f64 v[216:217], -v[212:213], v[214:215], 1.0
	v_fma_f64 v[214:215], v[214:215], v[216:217], v[214:215]
	s_delay_alu instid0(VALU_DEP_1) | instskip(NEXT) | instid1(VALU_DEP_1)
	v_fma_f64 v[216:217], -v[212:213], v[214:215], 1.0
	v_fma_f64 v[214:215], v[214:215], v[216:217], v[214:215]
	s_delay_alu instid0(VALU_DEP_1) | instskip(NEXT) | instid1(VALU_DEP_1)
	v_mul_f64 v[216:217], v[218:219], v[214:215]
	v_fma_f64 v[212:213], -v[212:213], v[216:217], v[218:219]
	s_delay_alu instid0(VALU_DEP_1) | instskip(NEXT) | instid1(VALU_DEP_1)
	v_div_fmas_f64 v[212:213], v[212:213], v[214:215], v[216:217]
	v_div_fixup_f64 v[212:213], v[212:213], v[226:227], v[224:225]
	s_delay_alu instid0(VALU_DEP_1) | instskip(NEXT) | instid1(VALU_DEP_1)
	v_fma_f64 v[214:215], v[224:225], v[212:213], v[226:227]
	v_div_scale_f64 v[216:217], null, v[214:215], v[214:215], 1.0
	s_delay_alu instid0(VALU_DEP_1) | instskip(SKIP_2) | instid1(VALU_DEP_1)
	v_rcp_f64_e32 v[218:219], v[216:217]
	s_waitcnt_depctr 0xfff
	v_fma_f64 v[220:221], -v[216:217], v[218:219], 1.0
	v_fma_f64 v[218:219], v[218:219], v[220:221], v[218:219]
	s_delay_alu instid0(VALU_DEP_1) | instskip(NEXT) | instid1(VALU_DEP_1)
	v_fma_f64 v[220:221], -v[216:217], v[218:219], 1.0
	v_fma_f64 v[218:219], v[218:219], v[220:221], v[218:219]
	v_div_scale_f64 v[220:221], vcc_lo, 1.0, v[214:215], 1.0
	s_delay_alu instid0(VALU_DEP_1) | instskip(NEXT) | instid1(VALU_DEP_1)
	v_mul_f64 v[222:223], v[220:221], v[218:219]
	v_fma_f64 v[216:217], -v[216:217], v[222:223], v[220:221]
	s_delay_alu instid0(VALU_DEP_1) | instskip(NEXT) | instid1(VALU_DEP_1)
	v_div_fmas_f64 v[216:217], v[216:217], v[218:219], v[222:223]
	v_div_fixup_f64 v[226:227], v[216:217], v[214:215], 1.0
	s_delay_alu instid0(VALU_DEP_1)
	v_mul_f64 v[224:225], v[212:213], v[226:227]
	v_xor_b32_e32 v227, 0x80000000, v227
.LBB110_344:
	s_and_not1_saveexec_b32 s2, s2
	s_cbranch_execz .LBB110_346
; %bb.345:
	s_delay_alu instid0(VALU_DEP_1) | instskip(SKIP_1) | instid1(VALU_DEP_2)
	v_div_scale_f64 v[212:213], null, v[224:225], v[224:225], v[226:227]
	v_div_scale_f64 v[218:219], vcc_lo, v[226:227], v[224:225], v[226:227]
	v_rcp_f64_e32 v[214:215], v[212:213]
	s_waitcnt_depctr 0xfff
	v_fma_f64 v[216:217], -v[212:213], v[214:215], 1.0
	s_delay_alu instid0(VALU_DEP_1) | instskip(NEXT) | instid1(VALU_DEP_1)
	v_fma_f64 v[214:215], v[214:215], v[216:217], v[214:215]
	v_fma_f64 v[216:217], -v[212:213], v[214:215], 1.0
	s_delay_alu instid0(VALU_DEP_1) | instskip(NEXT) | instid1(VALU_DEP_1)
	v_fma_f64 v[214:215], v[214:215], v[216:217], v[214:215]
	v_mul_f64 v[216:217], v[218:219], v[214:215]
	s_delay_alu instid0(VALU_DEP_1) | instskip(NEXT) | instid1(VALU_DEP_1)
	v_fma_f64 v[212:213], -v[212:213], v[216:217], v[218:219]
	v_div_fmas_f64 v[212:213], v[212:213], v[214:215], v[216:217]
	s_delay_alu instid0(VALU_DEP_1) | instskip(NEXT) | instid1(VALU_DEP_1)
	v_div_fixup_f64 v[212:213], v[212:213], v[224:225], v[226:227]
	v_fma_f64 v[214:215], v[226:227], v[212:213], v[224:225]
	s_delay_alu instid0(VALU_DEP_1) | instskip(NEXT) | instid1(VALU_DEP_1)
	v_div_scale_f64 v[216:217], null, v[214:215], v[214:215], 1.0
	v_rcp_f64_e32 v[218:219], v[216:217]
	s_waitcnt_depctr 0xfff
	v_fma_f64 v[220:221], -v[216:217], v[218:219], 1.0
	s_delay_alu instid0(VALU_DEP_1) | instskip(NEXT) | instid1(VALU_DEP_1)
	v_fma_f64 v[218:219], v[218:219], v[220:221], v[218:219]
	v_fma_f64 v[220:221], -v[216:217], v[218:219], 1.0
	s_delay_alu instid0(VALU_DEP_1) | instskip(SKIP_1) | instid1(VALU_DEP_1)
	v_fma_f64 v[218:219], v[218:219], v[220:221], v[218:219]
	v_div_scale_f64 v[220:221], vcc_lo, 1.0, v[214:215], 1.0
	v_mul_f64 v[222:223], v[220:221], v[218:219]
	s_delay_alu instid0(VALU_DEP_1) | instskip(NEXT) | instid1(VALU_DEP_1)
	v_fma_f64 v[216:217], -v[216:217], v[222:223], v[220:221]
	v_div_fmas_f64 v[216:217], v[216:217], v[218:219], v[222:223]
	s_delay_alu instid0(VALU_DEP_1) | instskip(NEXT) | instid1(VALU_DEP_1)
	v_div_fixup_f64 v[224:225], v[216:217], v[214:215], 1.0
	v_mul_f64 v[226:227], v[212:213], -v[224:225]
.LBB110_346:
	s_or_b32 exec_lo, exec_lo, s2
.LBB110_347:
	s_delay_alu instid0(SALU_CYCLE_1) | instskip(NEXT) | instid1(SALU_CYCLE_1)
	s_or_b32 exec_lo, exec_lo, s3
	s_mov_b32 s2, exec_lo
	v_cmpx_ne_u32_e64 v240, v232
	s_xor_b32 s2, exec_lo, s2
	s_cbranch_execz .LBB110_353
; %bb.348:
	s_mov_b32 s3, exec_lo
	v_cmpx_eq_u32_e32 16, v240
	s_cbranch_execz .LBB110_352
; %bb.349:
	v_cmp_ne_u32_e32 vcc_lo, 16, v232
	s_xor_b32 s6, s4, -1
	s_delay_alu instid0(SALU_CYCLE_1) | instskip(NEXT) | instid1(SALU_CYCLE_1)
	s_and_b32 s7, s6, vcc_lo
	s_and_saveexec_b32 s6, s7
	s_cbranch_execz .LBB110_351
; %bb.350:
	scratch_load_b64 v[10:11], off, off     ; 8-byte Folded Reload
	v_ashrrev_i32_e32 v233, 31, v232
	s_delay_alu instid0(VALU_DEP_1) | instskip(SKIP_1) | instid1(VALU_DEP_1)
	v_lshlrev_b64 v[212:213], 2, v[232:233]
	s_waitcnt vmcnt(0)
	v_add_co_u32 v212, vcc_lo, v10, v212
	s_delay_alu instid0(VALU_DEP_2)
	v_add_co_ci_u32_e32 v213, vcc_lo, v11, v213, vcc_lo
	s_clause 0x1
	flat_load_b32 v214, v[212:213]
	flat_load_b32 v215, v[10:11] offset:64
	s_waitcnt vmcnt(1) lgkmcnt(1)
	flat_store_b32 v[10:11], v214 offset:64
	s_waitcnt vmcnt(0) lgkmcnt(1)
	flat_store_b32 v[212:213], v215
.LBB110_351:
	s_or_b32 exec_lo, exec_lo, s6
	v_mov_b32_e32 v240, v232
	v_mov_b32_e32 v239, v232
.LBB110_352:
	s_or_b32 exec_lo, exec_lo, s3
.LBB110_353:
	s_and_not1_saveexec_b32 s2, s2
	s_cbranch_execz .LBB110_355
; %bb.354:
	v_mov_b32_e32 v240, 16
	ds_store_2addr_b64 v234, v[152:153], v[154:155] offset0:34 offset1:35
	ds_store_2addr_b64 v234, v[148:149], v[150:151] offset0:36 offset1:37
	;; [unrolled: 1-line block ×39, first 2 shown]
.LBB110_355:
	s_or_b32 exec_lo, exec_lo, s2
	s_delay_alu instid0(SALU_CYCLE_1)
	s_mov_b32 s2, exec_lo
	s_waitcnt lgkmcnt(0)
	s_waitcnt_vscnt null, 0x0
	s_barrier
	buffer_gl0_inv
	v_cmpx_lt_i32_e32 16, v240
	s_cbranch_execz .LBB110_357
; %bb.356:
	v_mul_f64 v[212:213], v[226:227], v[158:159]
	v_mul_f64 v[158:159], v[224:225], v[158:159]
	s_delay_alu instid0(VALU_DEP_2) | instskip(NEXT) | instid1(VALU_DEP_2)
	v_fma_f64 v[232:233], v[224:225], v[156:157], -v[212:213]
	v_fma_f64 v[158:159], v[226:227], v[156:157], v[158:159]
	ds_load_2addr_b64 v[224:227], v234 offset0:34 offset1:35
	s_waitcnt lgkmcnt(0)
	v_mul_f64 v[156:157], v[226:227], v[158:159]
	v_mul_f64 v[212:213], v[224:225], v[158:159]
	s_delay_alu instid0(VALU_DEP_2) | instskip(NEXT) | instid1(VALU_DEP_2)
	v_fma_f64 v[156:157], v[224:225], v[232:233], -v[156:157]
	v_fma_f64 v[212:213], v[226:227], v[232:233], v[212:213]
	ds_load_2addr_b64 v[224:227], v234 offset0:36 offset1:37
	v_add_f64 v[152:153], v[152:153], -v[156:157]
	v_add_f64 v[154:155], v[154:155], -v[212:213]
	s_waitcnt lgkmcnt(0)
	v_mul_f64 v[156:157], v[226:227], v[158:159]
	v_mul_f64 v[212:213], v[224:225], v[158:159]
	s_delay_alu instid0(VALU_DEP_2) | instskip(NEXT) | instid1(VALU_DEP_2)
	v_fma_f64 v[156:157], v[224:225], v[232:233], -v[156:157]
	v_fma_f64 v[212:213], v[226:227], v[232:233], v[212:213]
	ds_load_2addr_b64 v[224:227], v234 offset0:38 offset1:39
	v_add_f64 v[148:149], v[148:149], -v[156:157]
	v_add_f64 v[150:151], v[150:151], -v[212:213]
	;; [unrolled: 9-line block ×38, first 2 shown]
	s_waitcnt lgkmcnt(0)
	v_mul_f64 v[156:157], v[226:227], v[158:159]
	v_mul_f64 v[212:213], v[224:225], v[158:159]
	s_delay_alu instid0(VALU_DEP_2) | instskip(NEXT) | instid1(VALU_DEP_2)
	v_fma_f64 v[156:157], v[224:225], v[232:233], -v[156:157]
	v_fma_f64 v[212:213], v[226:227], v[232:233], v[212:213]
	s_delay_alu instid0(VALU_DEP_2) | instskip(NEXT) | instid1(VALU_DEP_2)
	v_add_f64 v[0:1], v[0:1], -v[156:157]
	v_add_f64 v[2:3], v[2:3], -v[212:213]
	v_dual_mov_b32 v156, v232 :: v_dual_mov_b32 v157, v233
.LBB110_357:
	s_or_b32 exec_lo, exec_lo, s2
	v_lshl_add_u32 v212, v240, 4, v234
	s_barrier
	buffer_gl0_inv
	v_mov_b32_e32 v232, 17
	ds_store_2addr_b64 v212, v[152:153], v[154:155] offset1:1
	s_waitcnt lgkmcnt(0)
	s_barrier
	buffer_gl0_inv
	ds_load_2addr_b64 v[224:227], v234 offset0:34 offset1:35
	s_cmp_lt_i32 s5, 19
	s_cbranch_scc1 .LBB110_360
; %bb.358:
	v_add3_u32 v233, v238, 0, 0x120
	v_mov_b32_e32 v232, 17
	s_mov_b32 s6, 18
	s_set_inst_prefetch_distance 0x1
	.p2align	6
.LBB110_359:                            ; =>This Inner Loop Header: Depth=1
	ds_load_2addr_b64 v[241:244], v233 offset1:1
	s_waitcnt lgkmcnt(1)
	v_cmp_gt_f64_e32 vcc_lo, 0, v[224:225]
	v_xor_b32_e32 v212, 0x80000000, v225
	v_cmp_gt_f64_e64 s2, 0, v[226:227]
	v_xor_b32_e32 v214, 0x80000000, v227
	v_add_nc_u32_e32 v233, 16, v233
	s_waitcnt lgkmcnt(0)
	v_cmp_gt_f64_e64 s3, 0, v[241:242]
	v_mov_b32_e32 v216, v241
	v_dual_mov_b32 v218, v243 :: v_dual_cndmask_b32 v213, v225, v212
	v_xor_b32_e32 v212, 0x80000000, v242
	v_cndmask_b32_e64 v215, v227, v214, s2
	v_xor_b32_e32 v214, 0x80000000, v244
	s_delay_alu instid0(VALU_DEP_3) | instskip(SKIP_2) | instid1(VALU_DEP_2)
	v_cndmask_b32_e64 v217, v242, v212, s3
	v_cmp_gt_f64_e64 s3, 0, v[243:244]
	v_cndmask_b32_e32 v212, v224, v224, vcc_lo
	v_cndmask_b32_e64 v219, v244, v214, s3
	v_cndmask_b32_e64 v214, v226, v226, s2
	s_delay_alu instid0(VALU_DEP_2) | instskip(NEXT) | instid1(VALU_DEP_2)
	v_add_f64 v[216:217], v[216:217], v[218:219]
	v_add_f64 v[212:213], v[212:213], v[214:215]
	s_delay_alu instid0(VALU_DEP_1) | instskip(SKIP_4) | instid1(SALU_CYCLE_1)
	v_cmp_lt_f64_e32 vcc_lo, v[212:213], v[216:217]
	v_dual_cndmask_b32 v225, v225, v242 :: v_dual_cndmask_b32 v224, v224, v241
	v_dual_cndmask_b32 v227, v227, v244 :: v_dual_cndmask_b32 v226, v226, v243
	v_cndmask_b32_e64 v232, v232, s6, vcc_lo
	s_add_i32 s6, s6, 1
	s_cmp_lg_u32 s5, s6
	s_cbranch_scc1 .LBB110_359
.LBB110_360:
	s_set_inst_prefetch_distance 0x2
	s_waitcnt lgkmcnt(0)
	v_cmp_eq_f64_e32 vcc_lo, 0, v[224:225]
	v_cmp_eq_f64_e64 s2, 0, v[226:227]
	s_delay_alu instid0(VALU_DEP_1) | instskip(NEXT) | instid1(SALU_CYCLE_1)
	s_and_b32 s2, vcc_lo, s2
	s_and_saveexec_b32 s3, s2
	s_delay_alu instid0(SALU_CYCLE_1)
	s_xor_b32 s2, exec_lo, s3
; %bb.361:
	v_cmp_ne_u32_e32 vcc_lo, 0, v237
	v_cndmask_b32_e32 v237, 18, v237, vcc_lo
; %bb.362:
	s_and_not1_saveexec_b32 s3, s2
	s_cbranch_execz .LBB110_368
; %bb.363:
	v_cmp_gt_f64_e32 vcc_lo, 0, v[224:225]
	v_cmp_gt_f64_e64 s2, 0, v[226:227]
	v_xor_b32_e32 v212, 0x80000000, v225
	v_xor_b32_e32 v214, 0x80000000, v227
	s_delay_alu instid0(VALU_DEP_2) | instskip(NEXT) | instid1(VALU_DEP_2)
	v_cndmask_b32_e32 v213, v225, v212, vcc_lo
	v_cndmask_b32_e64 v215, v227, v214, s2
	v_cndmask_b32_e32 v212, v224, v224, vcc_lo
	v_cndmask_b32_e64 v214, v226, v226, s2
	s_mov_b32 s2, exec_lo
	s_delay_alu instid0(VALU_DEP_1)
	v_cmpx_ngt_f64_e32 v[212:213], v[214:215]
	s_xor_b32 s2, exec_lo, s2
	s_cbranch_execz .LBB110_365
; %bb.364:
	v_div_scale_f64 v[212:213], null, v[226:227], v[226:227], v[224:225]
	v_div_scale_f64 v[218:219], vcc_lo, v[224:225], v[226:227], v[224:225]
	s_delay_alu instid0(VALU_DEP_2) | instskip(SKIP_2) | instid1(VALU_DEP_1)
	v_rcp_f64_e32 v[214:215], v[212:213]
	s_waitcnt_depctr 0xfff
	v_fma_f64 v[216:217], -v[212:213], v[214:215], 1.0
	v_fma_f64 v[214:215], v[214:215], v[216:217], v[214:215]
	s_delay_alu instid0(VALU_DEP_1) | instskip(NEXT) | instid1(VALU_DEP_1)
	v_fma_f64 v[216:217], -v[212:213], v[214:215], 1.0
	v_fma_f64 v[214:215], v[214:215], v[216:217], v[214:215]
	s_delay_alu instid0(VALU_DEP_1) | instskip(NEXT) | instid1(VALU_DEP_1)
	v_mul_f64 v[216:217], v[218:219], v[214:215]
	v_fma_f64 v[212:213], -v[212:213], v[216:217], v[218:219]
	s_delay_alu instid0(VALU_DEP_1) | instskip(NEXT) | instid1(VALU_DEP_1)
	v_div_fmas_f64 v[212:213], v[212:213], v[214:215], v[216:217]
	v_div_fixup_f64 v[212:213], v[212:213], v[226:227], v[224:225]
	s_delay_alu instid0(VALU_DEP_1) | instskip(NEXT) | instid1(VALU_DEP_1)
	v_fma_f64 v[214:215], v[224:225], v[212:213], v[226:227]
	v_div_scale_f64 v[216:217], null, v[214:215], v[214:215], 1.0
	s_delay_alu instid0(VALU_DEP_1) | instskip(SKIP_2) | instid1(VALU_DEP_1)
	v_rcp_f64_e32 v[218:219], v[216:217]
	s_waitcnt_depctr 0xfff
	v_fma_f64 v[220:221], -v[216:217], v[218:219], 1.0
	v_fma_f64 v[218:219], v[218:219], v[220:221], v[218:219]
	s_delay_alu instid0(VALU_DEP_1) | instskip(NEXT) | instid1(VALU_DEP_1)
	v_fma_f64 v[220:221], -v[216:217], v[218:219], 1.0
	v_fma_f64 v[218:219], v[218:219], v[220:221], v[218:219]
	v_div_scale_f64 v[220:221], vcc_lo, 1.0, v[214:215], 1.0
	s_delay_alu instid0(VALU_DEP_1) | instskip(NEXT) | instid1(VALU_DEP_1)
	v_mul_f64 v[222:223], v[220:221], v[218:219]
	v_fma_f64 v[216:217], -v[216:217], v[222:223], v[220:221]
	s_delay_alu instid0(VALU_DEP_1) | instskip(NEXT) | instid1(VALU_DEP_1)
	v_div_fmas_f64 v[216:217], v[216:217], v[218:219], v[222:223]
	v_div_fixup_f64 v[226:227], v[216:217], v[214:215], 1.0
	s_delay_alu instid0(VALU_DEP_1)
	v_mul_f64 v[224:225], v[212:213], v[226:227]
	v_xor_b32_e32 v227, 0x80000000, v227
.LBB110_365:
	s_and_not1_saveexec_b32 s2, s2
	s_cbranch_execz .LBB110_367
; %bb.366:
	s_delay_alu instid0(VALU_DEP_1) | instskip(SKIP_1) | instid1(VALU_DEP_2)
	v_div_scale_f64 v[212:213], null, v[224:225], v[224:225], v[226:227]
	v_div_scale_f64 v[218:219], vcc_lo, v[226:227], v[224:225], v[226:227]
	v_rcp_f64_e32 v[214:215], v[212:213]
	s_waitcnt_depctr 0xfff
	v_fma_f64 v[216:217], -v[212:213], v[214:215], 1.0
	s_delay_alu instid0(VALU_DEP_1) | instskip(NEXT) | instid1(VALU_DEP_1)
	v_fma_f64 v[214:215], v[214:215], v[216:217], v[214:215]
	v_fma_f64 v[216:217], -v[212:213], v[214:215], 1.0
	s_delay_alu instid0(VALU_DEP_1) | instskip(NEXT) | instid1(VALU_DEP_1)
	v_fma_f64 v[214:215], v[214:215], v[216:217], v[214:215]
	v_mul_f64 v[216:217], v[218:219], v[214:215]
	s_delay_alu instid0(VALU_DEP_1) | instskip(NEXT) | instid1(VALU_DEP_1)
	v_fma_f64 v[212:213], -v[212:213], v[216:217], v[218:219]
	v_div_fmas_f64 v[212:213], v[212:213], v[214:215], v[216:217]
	s_delay_alu instid0(VALU_DEP_1) | instskip(NEXT) | instid1(VALU_DEP_1)
	v_div_fixup_f64 v[212:213], v[212:213], v[224:225], v[226:227]
	v_fma_f64 v[214:215], v[226:227], v[212:213], v[224:225]
	s_delay_alu instid0(VALU_DEP_1) | instskip(NEXT) | instid1(VALU_DEP_1)
	v_div_scale_f64 v[216:217], null, v[214:215], v[214:215], 1.0
	v_rcp_f64_e32 v[218:219], v[216:217]
	s_waitcnt_depctr 0xfff
	v_fma_f64 v[220:221], -v[216:217], v[218:219], 1.0
	s_delay_alu instid0(VALU_DEP_1) | instskip(NEXT) | instid1(VALU_DEP_1)
	v_fma_f64 v[218:219], v[218:219], v[220:221], v[218:219]
	v_fma_f64 v[220:221], -v[216:217], v[218:219], 1.0
	s_delay_alu instid0(VALU_DEP_1) | instskip(SKIP_1) | instid1(VALU_DEP_1)
	v_fma_f64 v[218:219], v[218:219], v[220:221], v[218:219]
	v_div_scale_f64 v[220:221], vcc_lo, 1.0, v[214:215], 1.0
	v_mul_f64 v[222:223], v[220:221], v[218:219]
	s_delay_alu instid0(VALU_DEP_1) | instskip(NEXT) | instid1(VALU_DEP_1)
	v_fma_f64 v[216:217], -v[216:217], v[222:223], v[220:221]
	v_div_fmas_f64 v[216:217], v[216:217], v[218:219], v[222:223]
	s_delay_alu instid0(VALU_DEP_1) | instskip(NEXT) | instid1(VALU_DEP_1)
	v_div_fixup_f64 v[224:225], v[216:217], v[214:215], 1.0
	v_mul_f64 v[226:227], v[212:213], -v[224:225]
.LBB110_367:
	s_or_b32 exec_lo, exec_lo, s2
.LBB110_368:
	s_delay_alu instid0(SALU_CYCLE_1) | instskip(NEXT) | instid1(SALU_CYCLE_1)
	s_or_b32 exec_lo, exec_lo, s3
	s_mov_b32 s2, exec_lo
	v_cmpx_ne_u32_e64 v240, v232
	s_xor_b32 s2, exec_lo, s2
	s_cbranch_execz .LBB110_374
; %bb.369:
	s_mov_b32 s3, exec_lo
	v_cmpx_eq_u32_e32 17, v240
	s_cbranch_execz .LBB110_373
; %bb.370:
	v_cmp_ne_u32_e32 vcc_lo, 17, v232
	s_xor_b32 s6, s4, -1
	s_delay_alu instid0(SALU_CYCLE_1) | instskip(NEXT) | instid1(SALU_CYCLE_1)
	s_and_b32 s7, s6, vcc_lo
	s_and_saveexec_b32 s6, s7
	s_cbranch_execz .LBB110_372
; %bb.371:
	scratch_load_b64 v[10:11], off, off     ; 8-byte Folded Reload
	v_ashrrev_i32_e32 v233, 31, v232
	s_delay_alu instid0(VALU_DEP_1) | instskip(SKIP_1) | instid1(VALU_DEP_1)
	v_lshlrev_b64 v[212:213], 2, v[232:233]
	s_waitcnt vmcnt(0)
	v_add_co_u32 v212, vcc_lo, v10, v212
	s_delay_alu instid0(VALU_DEP_2)
	v_add_co_ci_u32_e32 v213, vcc_lo, v11, v213, vcc_lo
	s_clause 0x1
	flat_load_b32 v214, v[212:213]
	flat_load_b32 v215, v[10:11] offset:68
	s_waitcnt vmcnt(1) lgkmcnt(1)
	flat_store_b32 v[10:11], v214 offset:68
	s_waitcnt vmcnt(0) lgkmcnt(1)
	flat_store_b32 v[212:213], v215
.LBB110_372:
	s_or_b32 exec_lo, exec_lo, s6
	v_mov_b32_e32 v240, v232
	v_mov_b32_e32 v239, v232
.LBB110_373:
	s_or_b32 exec_lo, exec_lo, s3
.LBB110_374:
	s_and_not1_saveexec_b32 s2, s2
	s_cbranch_execz .LBB110_376
; %bb.375:
	v_mov_b32_e32 v240, 17
	ds_store_2addr_b64 v234, v[148:149], v[150:151] offset0:36 offset1:37
	ds_store_2addr_b64 v234, v[144:145], v[146:147] offset0:38 offset1:39
	;; [unrolled: 1-line block ×38, first 2 shown]
.LBB110_376:
	s_or_b32 exec_lo, exec_lo, s2
	s_delay_alu instid0(SALU_CYCLE_1)
	s_mov_b32 s2, exec_lo
	s_waitcnt lgkmcnt(0)
	s_waitcnt_vscnt null, 0x0
	s_barrier
	buffer_gl0_inv
	v_cmpx_lt_i32_e32 17, v240
	s_cbranch_execz .LBB110_378
; %bb.377:
	v_mul_f64 v[212:213], v[226:227], v[154:155]
	v_mul_f64 v[154:155], v[224:225], v[154:155]
	s_delay_alu instid0(VALU_DEP_2) | instskip(NEXT) | instid1(VALU_DEP_2)
	v_fma_f64 v[232:233], v[224:225], v[152:153], -v[212:213]
	v_fma_f64 v[154:155], v[226:227], v[152:153], v[154:155]
	ds_load_2addr_b64 v[224:227], v234 offset0:36 offset1:37
	s_waitcnt lgkmcnt(0)
	v_mul_f64 v[152:153], v[226:227], v[154:155]
	v_mul_f64 v[212:213], v[224:225], v[154:155]
	s_delay_alu instid0(VALU_DEP_2) | instskip(NEXT) | instid1(VALU_DEP_2)
	v_fma_f64 v[152:153], v[224:225], v[232:233], -v[152:153]
	v_fma_f64 v[212:213], v[226:227], v[232:233], v[212:213]
	ds_load_2addr_b64 v[224:227], v234 offset0:38 offset1:39
	v_add_f64 v[148:149], v[148:149], -v[152:153]
	v_add_f64 v[150:151], v[150:151], -v[212:213]
	s_waitcnt lgkmcnt(0)
	v_mul_f64 v[152:153], v[226:227], v[154:155]
	v_mul_f64 v[212:213], v[224:225], v[154:155]
	s_delay_alu instid0(VALU_DEP_2) | instskip(NEXT) | instid1(VALU_DEP_2)
	v_fma_f64 v[152:153], v[224:225], v[232:233], -v[152:153]
	v_fma_f64 v[212:213], v[226:227], v[232:233], v[212:213]
	ds_load_2addr_b64 v[224:227], v234 offset0:40 offset1:41
	v_add_f64 v[144:145], v[144:145], -v[152:153]
	v_add_f64 v[146:147], v[146:147], -v[212:213]
	;; [unrolled: 9-line block ×37, first 2 shown]
	s_waitcnt lgkmcnt(0)
	v_mul_f64 v[152:153], v[226:227], v[154:155]
	v_mul_f64 v[212:213], v[224:225], v[154:155]
	s_delay_alu instid0(VALU_DEP_2) | instskip(NEXT) | instid1(VALU_DEP_2)
	v_fma_f64 v[152:153], v[224:225], v[232:233], -v[152:153]
	v_fma_f64 v[212:213], v[226:227], v[232:233], v[212:213]
	s_delay_alu instid0(VALU_DEP_2) | instskip(NEXT) | instid1(VALU_DEP_2)
	v_add_f64 v[0:1], v[0:1], -v[152:153]
	v_add_f64 v[2:3], v[2:3], -v[212:213]
	v_dual_mov_b32 v152, v232 :: v_dual_mov_b32 v153, v233
.LBB110_378:
	s_or_b32 exec_lo, exec_lo, s2
	v_lshl_add_u32 v212, v240, 4, v234
	s_barrier
	buffer_gl0_inv
	v_mov_b32_e32 v232, 18
	ds_store_2addr_b64 v212, v[148:149], v[150:151] offset1:1
	s_waitcnt lgkmcnt(0)
	s_barrier
	buffer_gl0_inv
	ds_load_2addr_b64 v[224:227], v234 offset0:36 offset1:37
	s_cmp_lt_i32 s5, 20
	s_cbranch_scc1 .LBB110_381
; %bb.379:
	v_add3_u32 v233, v238, 0, 0x130
	v_mov_b32_e32 v232, 18
	s_mov_b32 s6, 19
	s_set_inst_prefetch_distance 0x1
	.p2align	6
.LBB110_380:                            ; =>This Inner Loop Header: Depth=1
	ds_load_2addr_b64 v[241:244], v233 offset1:1
	s_waitcnt lgkmcnt(1)
	v_cmp_gt_f64_e32 vcc_lo, 0, v[224:225]
	v_xor_b32_e32 v212, 0x80000000, v225
	v_cmp_gt_f64_e64 s2, 0, v[226:227]
	v_xor_b32_e32 v214, 0x80000000, v227
	v_add_nc_u32_e32 v233, 16, v233
	s_waitcnt lgkmcnt(0)
	v_cmp_gt_f64_e64 s3, 0, v[241:242]
	v_mov_b32_e32 v216, v241
	v_dual_mov_b32 v218, v243 :: v_dual_cndmask_b32 v213, v225, v212
	v_xor_b32_e32 v212, 0x80000000, v242
	v_cndmask_b32_e64 v215, v227, v214, s2
	v_xor_b32_e32 v214, 0x80000000, v244
	s_delay_alu instid0(VALU_DEP_3) | instskip(SKIP_2) | instid1(VALU_DEP_2)
	v_cndmask_b32_e64 v217, v242, v212, s3
	v_cmp_gt_f64_e64 s3, 0, v[243:244]
	v_cndmask_b32_e32 v212, v224, v224, vcc_lo
	v_cndmask_b32_e64 v219, v244, v214, s3
	v_cndmask_b32_e64 v214, v226, v226, s2
	s_delay_alu instid0(VALU_DEP_2) | instskip(NEXT) | instid1(VALU_DEP_2)
	v_add_f64 v[216:217], v[216:217], v[218:219]
	v_add_f64 v[212:213], v[212:213], v[214:215]
	s_delay_alu instid0(VALU_DEP_1) | instskip(SKIP_4) | instid1(SALU_CYCLE_1)
	v_cmp_lt_f64_e32 vcc_lo, v[212:213], v[216:217]
	v_dual_cndmask_b32 v225, v225, v242 :: v_dual_cndmask_b32 v224, v224, v241
	v_dual_cndmask_b32 v227, v227, v244 :: v_dual_cndmask_b32 v226, v226, v243
	v_cndmask_b32_e64 v232, v232, s6, vcc_lo
	s_add_i32 s6, s6, 1
	s_cmp_lg_u32 s5, s6
	s_cbranch_scc1 .LBB110_380
.LBB110_381:
	s_set_inst_prefetch_distance 0x2
	s_waitcnt lgkmcnt(0)
	v_cmp_eq_f64_e32 vcc_lo, 0, v[224:225]
	v_cmp_eq_f64_e64 s2, 0, v[226:227]
	s_delay_alu instid0(VALU_DEP_1) | instskip(NEXT) | instid1(SALU_CYCLE_1)
	s_and_b32 s2, vcc_lo, s2
	s_and_saveexec_b32 s3, s2
	s_delay_alu instid0(SALU_CYCLE_1)
	s_xor_b32 s2, exec_lo, s3
; %bb.382:
	v_cmp_ne_u32_e32 vcc_lo, 0, v237
	v_cndmask_b32_e32 v237, 19, v237, vcc_lo
; %bb.383:
	s_and_not1_saveexec_b32 s3, s2
	s_cbranch_execz .LBB110_389
; %bb.384:
	v_cmp_gt_f64_e32 vcc_lo, 0, v[224:225]
	v_cmp_gt_f64_e64 s2, 0, v[226:227]
	v_xor_b32_e32 v212, 0x80000000, v225
	v_xor_b32_e32 v214, 0x80000000, v227
	s_delay_alu instid0(VALU_DEP_2) | instskip(NEXT) | instid1(VALU_DEP_2)
	v_cndmask_b32_e32 v213, v225, v212, vcc_lo
	v_cndmask_b32_e64 v215, v227, v214, s2
	v_cndmask_b32_e32 v212, v224, v224, vcc_lo
	v_cndmask_b32_e64 v214, v226, v226, s2
	s_mov_b32 s2, exec_lo
	s_delay_alu instid0(VALU_DEP_1)
	v_cmpx_ngt_f64_e32 v[212:213], v[214:215]
	s_xor_b32 s2, exec_lo, s2
	s_cbranch_execz .LBB110_386
; %bb.385:
	v_div_scale_f64 v[212:213], null, v[226:227], v[226:227], v[224:225]
	v_div_scale_f64 v[218:219], vcc_lo, v[224:225], v[226:227], v[224:225]
	s_delay_alu instid0(VALU_DEP_2) | instskip(SKIP_2) | instid1(VALU_DEP_1)
	v_rcp_f64_e32 v[214:215], v[212:213]
	s_waitcnt_depctr 0xfff
	v_fma_f64 v[216:217], -v[212:213], v[214:215], 1.0
	v_fma_f64 v[214:215], v[214:215], v[216:217], v[214:215]
	s_delay_alu instid0(VALU_DEP_1) | instskip(NEXT) | instid1(VALU_DEP_1)
	v_fma_f64 v[216:217], -v[212:213], v[214:215], 1.0
	v_fma_f64 v[214:215], v[214:215], v[216:217], v[214:215]
	s_delay_alu instid0(VALU_DEP_1) | instskip(NEXT) | instid1(VALU_DEP_1)
	v_mul_f64 v[216:217], v[218:219], v[214:215]
	v_fma_f64 v[212:213], -v[212:213], v[216:217], v[218:219]
	s_delay_alu instid0(VALU_DEP_1) | instskip(NEXT) | instid1(VALU_DEP_1)
	v_div_fmas_f64 v[212:213], v[212:213], v[214:215], v[216:217]
	v_div_fixup_f64 v[212:213], v[212:213], v[226:227], v[224:225]
	s_delay_alu instid0(VALU_DEP_1) | instskip(NEXT) | instid1(VALU_DEP_1)
	v_fma_f64 v[214:215], v[224:225], v[212:213], v[226:227]
	v_div_scale_f64 v[216:217], null, v[214:215], v[214:215], 1.0
	s_delay_alu instid0(VALU_DEP_1) | instskip(SKIP_2) | instid1(VALU_DEP_1)
	v_rcp_f64_e32 v[218:219], v[216:217]
	s_waitcnt_depctr 0xfff
	v_fma_f64 v[220:221], -v[216:217], v[218:219], 1.0
	v_fma_f64 v[218:219], v[218:219], v[220:221], v[218:219]
	s_delay_alu instid0(VALU_DEP_1) | instskip(NEXT) | instid1(VALU_DEP_1)
	v_fma_f64 v[220:221], -v[216:217], v[218:219], 1.0
	v_fma_f64 v[218:219], v[218:219], v[220:221], v[218:219]
	v_div_scale_f64 v[220:221], vcc_lo, 1.0, v[214:215], 1.0
	s_delay_alu instid0(VALU_DEP_1) | instskip(NEXT) | instid1(VALU_DEP_1)
	v_mul_f64 v[222:223], v[220:221], v[218:219]
	v_fma_f64 v[216:217], -v[216:217], v[222:223], v[220:221]
	s_delay_alu instid0(VALU_DEP_1) | instskip(NEXT) | instid1(VALU_DEP_1)
	v_div_fmas_f64 v[216:217], v[216:217], v[218:219], v[222:223]
	v_div_fixup_f64 v[226:227], v[216:217], v[214:215], 1.0
	s_delay_alu instid0(VALU_DEP_1)
	v_mul_f64 v[224:225], v[212:213], v[226:227]
	v_xor_b32_e32 v227, 0x80000000, v227
.LBB110_386:
	s_and_not1_saveexec_b32 s2, s2
	s_cbranch_execz .LBB110_388
; %bb.387:
	s_delay_alu instid0(VALU_DEP_1) | instskip(SKIP_1) | instid1(VALU_DEP_2)
	v_div_scale_f64 v[212:213], null, v[224:225], v[224:225], v[226:227]
	v_div_scale_f64 v[218:219], vcc_lo, v[226:227], v[224:225], v[226:227]
	v_rcp_f64_e32 v[214:215], v[212:213]
	s_waitcnt_depctr 0xfff
	v_fma_f64 v[216:217], -v[212:213], v[214:215], 1.0
	s_delay_alu instid0(VALU_DEP_1) | instskip(NEXT) | instid1(VALU_DEP_1)
	v_fma_f64 v[214:215], v[214:215], v[216:217], v[214:215]
	v_fma_f64 v[216:217], -v[212:213], v[214:215], 1.0
	s_delay_alu instid0(VALU_DEP_1) | instskip(NEXT) | instid1(VALU_DEP_1)
	v_fma_f64 v[214:215], v[214:215], v[216:217], v[214:215]
	v_mul_f64 v[216:217], v[218:219], v[214:215]
	s_delay_alu instid0(VALU_DEP_1) | instskip(NEXT) | instid1(VALU_DEP_1)
	v_fma_f64 v[212:213], -v[212:213], v[216:217], v[218:219]
	v_div_fmas_f64 v[212:213], v[212:213], v[214:215], v[216:217]
	s_delay_alu instid0(VALU_DEP_1) | instskip(NEXT) | instid1(VALU_DEP_1)
	v_div_fixup_f64 v[212:213], v[212:213], v[224:225], v[226:227]
	v_fma_f64 v[214:215], v[226:227], v[212:213], v[224:225]
	s_delay_alu instid0(VALU_DEP_1) | instskip(NEXT) | instid1(VALU_DEP_1)
	v_div_scale_f64 v[216:217], null, v[214:215], v[214:215], 1.0
	v_rcp_f64_e32 v[218:219], v[216:217]
	s_waitcnt_depctr 0xfff
	v_fma_f64 v[220:221], -v[216:217], v[218:219], 1.0
	s_delay_alu instid0(VALU_DEP_1) | instskip(NEXT) | instid1(VALU_DEP_1)
	v_fma_f64 v[218:219], v[218:219], v[220:221], v[218:219]
	v_fma_f64 v[220:221], -v[216:217], v[218:219], 1.0
	s_delay_alu instid0(VALU_DEP_1) | instskip(SKIP_1) | instid1(VALU_DEP_1)
	v_fma_f64 v[218:219], v[218:219], v[220:221], v[218:219]
	v_div_scale_f64 v[220:221], vcc_lo, 1.0, v[214:215], 1.0
	v_mul_f64 v[222:223], v[220:221], v[218:219]
	s_delay_alu instid0(VALU_DEP_1) | instskip(NEXT) | instid1(VALU_DEP_1)
	v_fma_f64 v[216:217], -v[216:217], v[222:223], v[220:221]
	v_div_fmas_f64 v[216:217], v[216:217], v[218:219], v[222:223]
	s_delay_alu instid0(VALU_DEP_1) | instskip(NEXT) | instid1(VALU_DEP_1)
	v_div_fixup_f64 v[224:225], v[216:217], v[214:215], 1.0
	v_mul_f64 v[226:227], v[212:213], -v[224:225]
.LBB110_388:
	s_or_b32 exec_lo, exec_lo, s2
.LBB110_389:
	s_delay_alu instid0(SALU_CYCLE_1) | instskip(NEXT) | instid1(SALU_CYCLE_1)
	s_or_b32 exec_lo, exec_lo, s3
	s_mov_b32 s2, exec_lo
	v_cmpx_ne_u32_e64 v240, v232
	s_xor_b32 s2, exec_lo, s2
	s_cbranch_execz .LBB110_395
; %bb.390:
	s_mov_b32 s3, exec_lo
	v_cmpx_eq_u32_e32 18, v240
	s_cbranch_execz .LBB110_394
; %bb.391:
	v_cmp_ne_u32_e32 vcc_lo, 18, v232
	s_xor_b32 s6, s4, -1
	s_delay_alu instid0(SALU_CYCLE_1) | instskip(NEXT) | instid1(SALU_CYCLE_1)
	s_and_b32 s7, s6, vcc_lo
	s_and_saveexec_b32 s6, s7
	s_cbranch_execz .LBB110_393
; %bb.392:
	scratch_load_b64 v[10:11], off, off     ; 8-byte Folded Reload
	v_ashrrev_i32_e32 v233, 31, v232
	s_delay_alu instid0(VALU_DEP_1) | instskip(SKIP_1) | instid1(VALU_DEP_1)
	v_lshlrev_b64 v[212:213], 2, v[232:233]
	s_waitcnt vmcnt(0)
	v_add_co_u32 v212, vcc_lo, v10, v212
	s_delay_alu instid0(VALU_DEP_2)
	v_add_co_ci_u32_e32 v213, vcc_lo, v11, v213, vcc_lo
	s_clause 0x1
	flat_load_b32 v214, v[212:213]
	flat_load_b32 v215, v[10:11] offset:72
	s_waitcnt vmcnt(1) lgkmcnt(1)
	flat_store_b32 v[10:11], v214 offset:72
	s_waitcnt vmcnt(0) lgkmcnt(1)
	flat_store_b32 v[212:213], v215
.LBB110_393:
	s_or_b32 exec_lo, exec_lo, s6
	v_mov_b32_e32 v240, v232
	v_mov_b32_e32 v239, v232
.LBB110_394:
	s_or_b32 exec_lo, exec_lo, s3
.LBB110_395:
	s_and_not1_saveexec_b32 s2, s2
	s_cbranch_execz .LBB110_397
; %bb.396:
	v_mov_b32_e32 v240, 18
	ds_store_2addr_b64 v234, v[144:145], v[146:147] offset0:38 offset1:39
	ds_store_2addr_b64 v234, v[140:141], v[142:143] offset0:40 offset1:41
	;; [unrolled: 1-line block ×37, first 2 shown]
.LBB110_397:
	s_or_b32 exec_lo, exec_lo, s2
	s_delay_alu instid0(SALU_CYCLE_1)
	s_mov_b32 s2, exec_lo
	s_waitcnt lgkmcnt(0)
	s_waitcnt_vscnt null, 0x0
	s_barrier
	buffer_gl0_inv
	v_cmpx_lt_i32_e32 18, v240
	s_cbranch_execz .LBB110_399
; %bb.398:
	v_mul_f64 v[212:213], v[226:227], v[150:151]
	v_mul_f64 v[150:151], v[224:225], v[150:151]
	s_delay_alu instid0(VALU_DEP_2) | instskip(NEXT) | instid1(VALU_DEP_2)
	v_fma_f64 v[232:233], v[224:225], v[148:149], -v[212:213]
	v_fma_f64 v[150:151], v[226:227], v[148:149], v[150:151]
	ds_load_2addr_b64 v[224:227], v234 offset0:38 offset1:39
	s_waitcnt lgkmcnt(0)
	v_mul_f64 v[148:149], v[226:227], v[150:151]
	v_mul_f64 v[212:213], v[224:225], v[150:151]
	s_delay_alu instid0(VALU_DEP_2) | instskip(NEXT) | instid1(VALU_DEP_2)
	v_fma_f64 v[148:149], v[224:225], v[232:233], -v[148:149]
	v_fma_f64 v[212:213], v[226:227], v[232:233], v[212:213]
	ds_load_2addr_b64 v[224:227], v234 offset0:40 offset1:41
	v_add_f64 v[144:145], v[144:145], -v[148:149]
	v_add_f64 v[146:147], v[146:147], -v[212:213]
	s_waitcnt lgkmcnt(0)
	v_mul_f64 v[148:149], v[226:227], v[150:151]
	v_mul_f64 v[212:213], v[224:225], v[150:151]
	s_delay_alu instid0(VALU_DEP_2) | instskip(NEXT) | instid1(VALU_DEP_2)
	v_fma_f64 v[148:149], v[224:225], v[232:233], -v[148:149]
	v_fma_f64 v[212:213], v[226:227], v[232:233], v[212:213]
	ds_load_2addr_b64 v[224:227], v234 offset0:42 offset1:43
	v_add_f64 v[140:141], v[140:141], -v[148:149]
	v_add_f64 v[142:143], v[142:143], -v[212:213]
	;; [unrolled: 9-line block ×36, first 2 shown]
	s_waitcnt lgkmcnt(0)
	v_mul_f64 v[148:149], v[226:227], v[150:151]
	v_mul_f64 v[212:213], v[224:225], v[150:151]
	s_delay_alu instid0(VALU_DEP_2) | instskip(NEXT) | instid1(VALU_DEP_2)
	v_fma_f64 v[148:149], v[224:225], v[232:233], -v[148:149]
	v_fma_f64 v[212:213], v[226:227], v[232:233], v[212:213]
	s_delay_alu instid0(VALU_DEP_2) | instskip(NEXT) | instid1(VALU_DEP_2)
	v_add_f64 v[0:1], v[0:1], -v[148:149]
	v_add_f64 v[2:3], v[2:3], -v[212:213]
	v_dual_mov_b32 v148, v232 :: v_dual_mov_b32 v149, v233
.LBB110_399:
	s_or_b32 exec_lo, exec_lo, s2
	v_lshl_add_u32 v212, v240, 4, v234
	s_barrier
	buffer_gl0_inv
	v_mov_b32_e32 v232, 19
	ds_store_2addr_b64 v212, v[144:145], v[146:147] offset1:1
	s_waitcnt lgkmcnt(0)
	s_barrier
	buffer_gl0_inv
	ds_load_2addr_b64 v[224:227], v234 offset0:38 offset1:39
	s_cmp_lt_i32 s5, 21
	s_cbranch_scc1 .LBB110_402
; %bb.400:
	v_add3_u32 v233, v238, 0, 0x140
	v_mov_b32_e32 v232, 19
	s_mov_b32 s6, 20
	s_set_inst_prefetch_distance 0x1
	.p2align	6
.LBB110_401:                            ; =>This Inner Loop Header: Depth=1
	ds_load_2addr_b64 v[241:244], v233 offset1:1
	s_waitcnt lgkmcnt(1)
	v_cmp_gt_f64_e32 vcc_lo, 0, v[224:225]
	v_xor_b32_e32 v212, 0x80000000, v225
	v_cmp_gt_f64_e64 s2, 0, v[226:227]
	v_xor_b32_e32 v214, 0x80000000, v227
	v_add_nc_u32_e32 v233, 16, v233
	s_waitcnt lgkmcnt(0)
	v_cmp_gt_f64_e64 s3, 0, v[241:242]
	v_mov_b32_e32 v216, v241
	v_dual_mov_b32 v218, v243 :: v_dual_cndmask_b32 v213, v225, v212
	v_xor_b32_e32 v212, 0x80000000, v242
	v_cndmask_b32_e64 v215, v227, v214, s2
	v_xor_b32_e32 v214, 0x80000000, v244
	s_delay_alu instid0(VALU_DEP_3) | instskip(SKIP_2) | instid1(VALU_DEP_2)
	v_cndmask_b32_e64 v217, v242, v212, s3
	v_cmp_gt_f64_e64 s3, 0, v[243:244]
	v_cndmask_b32_e32 v212, v224, v224, vcc_lo
	v_cndmask_b32_e64 v219, v244, v214, s3
	v_cndmask_b32_e64 v214, v226, v226, s2
	s_delay_alu instid0(VALU_DEP_2) | instskip(NEXT) | instid1(VALU_DEP_2)
	v_add_f64 v[216:217], v[216:217], v[218:219]
	v_add_f64 v[212:213], v[212:213], v[214:215]
	s_delay_alu instid0(VALU_DEP_1) | instskip(SKIP_4) | instid1(SALU_CYCLE_1)
	v_cmp_lt_f64_e32 vcc_lo, v[212:213], v[216:217]
	v_dual_cndmask_b32 v225, v225, v242 :: v_dual_cndmask_b32 v224, v224, v241
	v_dual_cndmask_b32 v227, v227, v244 :: v_dual_cndmask_b32 v226, v226, v243
	v_cndmask_b32_e64 v232, v232, s6, vcc_lo
	s_add_i32 s6, s6, 1
	s_cmp_lg_u32 s5, s6
	s_cbranch_scc1 .LBB110_401
.LBB110_402:
	s_set_inst_prefetch_distance 0x2
	s_waitcnt lgkmcnt(0)
	v_cmp_eq_f64_e32 vcc_lo, 0, v[224:225]
	v_cmp_eq_f64_e64 s2, 0, v[226:227]
	s_delay_alu instid0(VALU_DEP_1) | instskip(NEXT) | instid1(SALU_CYCLE_1)
	s_and_b32 s2, vcc_lo, s2
	s_and_saveexec_b32 s3, s2
	s_delay_alu instid0(SALU_CYCLE_1)
	s_xor_b32 s2, exec_lo, s3
; %bb.403:
	v_cmp_ne_u32_e32 vcc_lo, 0, v237
	v_cndmask_b32_e32 v237, 20, v237, vcc_lo
; %bb.404:
	s_and_not1_saveexec_b32 s3, s2
	s_cbranch_execz .LBB110_410
; %bb.405:
	v_cmp_gt_f64_e32 vcc_lo, 0, v[224:225]
	v_cmp_gt_f64_e64 s2, 0, v[226:227]
	v_xor_b32_e32 v212, 0x80000000, v225
	v_xor_b32_e32 v214, 0x80000000, v227
	s_delay_alu instid0(VALU_DEP_2) | instskip(NEXT) | instid1(VALU_DEP_2)
	v_cndmask_b32_e32 v213, v225, v212, vcc_lo
	v_cndmask_b32_e64 v215, v227, v214, s2
	v_cndmask_b32_e32 v212, v224, v224, vcc_lo
	v_cndmask_b32_e64 v214, v226, v226, s2
	s_mov_b32 s2, exec_lo
	s_delay_alu instid0(VALU_DEP_1)
	v_cmpx_ngt_f64_e32 v[212:213], v[214:215]
	s_xor_b32 s2, exec_lo, s2
	s_cbranch_execz .LBB110_407
; %bb.406:
	v_div_scale_f64 v[212:213], null, v[226:227], v[226:227], v[224:225]
	v_div_scale_f64 v[218:219], vcc_lo, v[224:225], v[226:227], v[224:225]
	s_delay_alu instid0(VALU_DEP_2) | instskip(SKIP_2) | instid1(VALU_DEP_1)
	v_rcp_f64_e32 v[214:215], v[212:213]
	s_waitcnt_depctr 0xfff
	v_fma_f64 v[216:217], -v[212:213], v[214:215], 1.0
	v_fma_f64 v[214:215], v[214:215], v[216:217], v[214:215]
	s_delay_alu instid0(VALU_DEP_1) | instskip(NEXT) | instid1(VALU_DEP_1)
	v_fma_f64 v[216:217], -v[212:213], v[214:215], 1.0
	v_fma_f64 v[214:215], v[214:215], v[216:217], v[214:215]
	s_delay_alu instid0(VALU_DEP_1) | instskip(NEXT) | instid1(VALU_DEP_1)
	v_mul_f64 v[216:217], v[218:219], v[214:215]
	v_fma_f64 v[212:213], -v[212:213], v[216:217], v[218:219]
	s_delay_alu instid0(VALU_DEP_1) | instskip(NEXT) | instid1(VALU_DEP_1)
	v_div_fmas_f64 v[212:213], v[212:213], v[214:215], v[216:217]
	v_div_fixup_f64 v[212:213], v[212:213], v[226:227], v[224:225]
	s_delay_alu instid0(VALU_DEP_1) | instskip(NEXT) | instid1(VALU_DEP_1)
	v_fma_f64 v[214:215], v[224:225], v[212:213], v[226:227]
	v_div_scale_f64 v[216:217], null, v[214:215], v[214:215], 1.0
	s_delay_alu instid0(VALU_DEP_1) | instskip(SKIP_2) | instid1(VALU_DEP_1)
	v_rcp_f64_e32 v[218:219], v[216:217]
	s_waitcnt_depctr 0xfff
	v_fma_f64 v[220:221], -v[216:217], v[218:219], 1.0
	v_fma_f64 v[218:219], v[218:219], v[220:221], v[218:219]
	s_delay_alu instid0(VALU_DEP_1) | instskip(NEXT) | instid1(VALU_DEP_1)
	v_fma_f64 v[220:221], -v[216:217], v[218:219], 1.0
	v_fma_f64 v[218:219], v[218:219], v[220:221], v[218:219]
	v_div_scale_f64 v[220:221], vcc_lo, 1.0, v[214:215], 1.0
	s_delay_alu instid0(VALU_DEP_1) | instskip(NEXT) | instid1(VALU_DEP_1)
	v_mul_f64 v[222:223], v[220:221], v[218:219]
	v_fma_f64 v[216:217], -v[216:217], v[222:223], v[220:221]
	s_delay_alu instid0(VALU_DEP_1) | instskip(NEXT) | instid1(VALU_DEP_1)
	v_div_fmas_f64 v[216:217], v[216:217], v[218:219], v[222:223]
	v_div_fixup_f64 v[226:227], v[216:217], v[214:215], 1.0
	s_delay_alu instid0(VALU_DEP_1)
	v_mul_f64 v[224:225], v[212:213], v[226:227]
	v_xor_b32_e32 v227, 0x80000000, v227
.LBB110_407:
	s_and_not1_saveexec_b32 s2, s2
	s_cbranch_execz .LBB110_409
; %bb.408:
	s_delay_alu instid0(VALU_DEP_1) | instskip(SKIP_1) | instid1(VALU_DEP_2)
	v_div_scale_f64 v[212:213], null, v[224:225], v[224:225], v[226:227]
	v_div_scale_f64 v[218:219], vcc_lo, v[226:227], v[224:225], v[226:227]
	v_rcp_f64_e32 v[214:215], v[212:213]
	s_waitcnt_depctr 0xfff
	v_fma_f64 v[216:217], -v[212:213], v[214:215], 1.0
	s_delay_alu instid0(VALU_DEP_1) | instskip(NEXT) | instid1(VALU_DEP_1)
	v_fma_f64 v[214:215], v[214:215], v[216:217], v[214:215]
	v_fma_f64 v[216:217], -v[212:213], v[214:215], 1.0
	s_delay_alu instid0(VALU_DEP_1) | instskip(NEXT) | instid1(VALU_DEP_1)
	v_fma_f64 v[214:215], v[214:215], v[216:217], v[214:215]
	v_mul_f64 v[216:217], v[218:219], v[214:215]
	s_delay_alu instid0(VALU_DEP_1) | instskip(NEXT) | instid1(VALU_DEP_1)
	v_fma_f64 v[212:213], -v[212:213], v[216:217], v[218:219]
	v_div_fmas_f64 v[212:213], v[212:213], v[214:215], v[216:217]
	s_delay_alu instid0(VALU_DEP_1) | instskip(NEXT) | instid1(VALU_DEP_1)
	v_div_fixup_f64 v[212:213], v[212:213], v[224:225], v[226:227]
	v_fma_f64 v[214:215], v[226:227], v[212:213], v[224:225]
	s_delay_alu instid0(VALU_DEP_1) | instskip(NEXT) | instid1(VALU_DEP_1)
	v_div_scale_f64 v[216:217], null, v[214:215], v[214:215], 1.0
	v_rcp_f64_e32 v[218:219], v[216:217]
	s_waitcnt_depctr 0xfff
	v_fma_f64 v[220:221], -v[216:217], v[218:219], 1.0
	s_delay_alu instid0(VALU_DEP_1) | instskip(NEXT) | instid1(VALU_DEP_1)
	v_fma_f64 v[218:219], v[218:219], v[220:221], v[218:219]
	v_fma_f64 v[220:221], -v[216:217], v[218:219], 1.0
	s_delay_alu instid0(VALU_DEP_1) | instskip(SKIP_1) | instid1(VALU_DEP_1)
	v_fma_f64 v[218:219], v[218:219], v[220:221], v[218:219]
	v_div_scale_f64 v[220:221], vcc_lo, 1.0, v[214:215], 1.0
	v_mul_f64 v[222:223], v[220:221], v[218:219]
	s_delay_alu instid0(VALU_DEP_1) | instskip(NEXT) | instid1(VALU_DEP_1)
	v_fma_f64 v[216:217], -v[216:217], v[222:223], v[220:221]
	v_div_fmas_f64 v[216:217], v[216:217], v[218:219], v[222:223]
	s_delay_alu instid0(VALU_DEP_1) | instskip(NEXT) | instid1(VALU_DEP_1)
	v_div_fixup_f64 v[224:225], v[216:217], v[214:215], 1.0
	v_mul_f64 v[226:227], v[212:213], -v[224:225]
.LBB110_409:
	s_or_b32 exec_lo, exec_lo, s2
.LBB110_410:
	s_delay_alu instid0(SALU_CYCLE_1) | instskip(NEXT) | instid1(SALU_CYCLE_1)
	s_or_b32 exec_lo, exec_lo, s3
	s_mov_b32 s2, exec_lo
	v_cmpx_ne_u32_e64 v240, v232
	s_xor_b32 s2, exec_lo, s2
	s_cbranch_execz .LBB110_416
; %bb.411:
	s_mov_b32 s3, exec_lo
	v_cmpx_eq_u32_e32 19, v240
	s_cbranch_execz .LBB110_415
; %bb.412:
	v_cmp_ne_u32_e32 vcc_lo, 19, v232
	s_xor_b32 s6, s4, -1
	s_delay_alu instid0(SALU_CYCLE_1) | instskip(NEXT) | instid1(SALU_CYCLE_1)
	s_and_b32 s7, s6, vcc_lo
	s_and_saveexec_b32 s6, s7
	s_cbranch_execz .LBB110_414
; %bb.413:
	scratch_load_b64 v[10:11], off, off     ; 8-byte Folded Reload
	v_ashrrev_i32_e32 v233, 31, v232
	s_delay_alu instid0(VALU_DEP_1) | instskip(SKIP_1) | instid1(VALU_DEP_1)
	v_lshlrev_b64 v[212:213], 2, v[232:233]
	s_waitcnt vmcnt(0)
	v_add_co_u32 v212, vcc_lo, v10, v212
	s_delay_alu instid0(VALU_DEP_2)
	v_add_co_ci_u32_e32 v213, vcc_lo, v11, v213, vcc_lo
	s_clause 0x1
	flat_load_b32 v214, v[212:213]
	flat_load_b32 v215, v[10:11] offset:76
	s_waitcnt vmcnt(1) lgkmcnt(1)
	flat_store_b32 v[10:11], v214 offset:76
	s_waitcnt vmcnt(0) lgkmcnt(1)
	flat_store_b32 v[212:213], v215
.LBB110_414:
	s_or_b32 exec_lo, exec_lo, s6
	v_mov_b32_e32 v240, v232
	v_mov_b32_e32 v239, v232
.LBB110_415:
	s_or_b32 exec_lo, exec_lo, s3
.LBB110_416:
	s_and_not1_saveexec_b32 s2, s2
	s_cbranch_execz .LBB110_418
; %bb.417:
	v_mov_b32_e32 v240, 19
	ds_store_2addr_b64 v234, v[140:141], v[142:143] offset0:40 offset1:41
	ds_store_2addr_b64 v234, v[136:137], v[138:139] offset0:42 offset1:43
	;; [unrolled: 1-line block ×36, first 2 shown]
.LBB110_418:
	s_or_b32 exec_lo, exec_lo, s2
	s_delay_alu instid0(SALU_CYCLE_1)
	s_mov_b32 s2, exec_lo
	s_waitcnt lgkmcnt(0)
	s_waitcnt_vscnt null, 0x0
	s_barrier
	buffer_gl0_inv
	v_cmpx_lt_i32_e32 19, v240
	s_cbranch_execz .LBB110_420
; %bb.419:
	v_mul_f64 v[212:213], v[226:227], v[146:147]
	v_mul_f64 v[146:147], v[224:225], v[146:147]
	s_delay_alu instid0(VALU_DEP_2) | instskip(NEXT) | instid1(VALU_DEP_2)
	v_fma_f64 v[232:233], v[224:225], v[144:145], -v[212:213]
	v_fma_f64 v[146:147], v[226:227], v[144:145], v[146:147]
	ds_load_2addr_b64 v[224:227], v234 offset0:40 offset1:41
	s_waitcnt lgkmcnt(0)
	v_mul_f64 v[144:145], v[226:227], v[146:147]
	v_mul_f64 v[212:213], v[224:225], v[146:147]
	s_delay_alu instid0(VALU_DEP_2) | instskip(NEXT) | instid1(VALU_DEP_2)
	v_fma_f64 v[144:145], v[224:225], v[232:233], -v[144:145]
	v_fma_f64 v[212:213], v[226:227], v[232:233], v[212:213]
	ds_load_2addr_b64 v[224:227], v234 offset0:42 offset1:43
	v_add_f64 v[140:141], v[140:141], -v[144:145]
	v_add_f64 v[142:143], v[142:143], -v[212:213]
	s_waitcnt lgkmcnt(0)
	v_mul_f64 v[144:145], v[226:227], v[146:147]
	v_mul_f64 v[212:213], v[224:225], v[146:147]
	s_delay_alu instid0(VALU_DEP_2) | instskip(NEXT) | instid1(VALU_DEP_2)
	v_fma_f64 v[144:145], v[224:225], v[232:233], -v[144:145]
	v_fma_f64 v[212:213], v[226:227], v[232:233], v[212:213]
	ds_load_2addr_b64 v[224:227], v234 offset0:44 offset1:45
	v_add_f64 v[136:137], v[136:137], -v[144:145]
	v_add_f64 v[138:139], v[138:139], -v[212:213]
	;; [unrolled: 9-line block ×35, first 2 shown]
	s_waitcnt lgkmcnt(0)
	v_mul_f64 v[144:145], v[226:227], v[146:147]
	v_mul_f64 v[212:213], v[224:225], v[146:147]
	s_delay_alu instid0(VALU_DEP_2) | instskip(NEXT) | instid1(VALU_DEP_2)
	v_fma_f64 v[144:145], v[224:225], v[232:233], -v[144:145]
	v_fma_f64 v[212:213], v[226:227], v[232:233], v[212:213]
	s_delay_alu instid0(VALU_DEP_2) | instskip(NEXT) | instid1(VALU_DEP_2)
	v_add_f64 v[0:1], v[0:1], -v[144:145]
	v_add_f64 v[2:3], v[2:3], -v[212:213]
	v_dual_mov_b32 v144, v232 :: v_dual_mov_b32 v145, v233
.LBB110_420:
	s_or_b32 exec_lo, exec_lo, s2
	v_lshl_add_u32 v212, v240, 4, v234
	s_barrier
	buffer_gl0_inv
	v_mov_b32_e32 v232, 20
	ds_store_2addr_b64 v212, v[140:141], v[142:143] offset1:1
	s_waitcnt lgkmcnt(0)
	s_barrier
	buffer_gl0_inv
	ds_load_2addr_b64 v[224:227], v234 offset0:40 offset1:41
	s_cmp_lt_i32 s5, 22
	s_cbranch_scc1 .LBB110_423
; %bb.421:
	v_add3_u32 v233, v238, 0, 0x150
	v_mov_b32_e32 v232, 20
	s_mov_b32 s6, 21
	s_set_inst_prefetch_distance 0x1
	.p2align	6
.LBB110_422:                            ; =>This Inner Loop Header: Depth=1
	ds_load_2addr_b64 v[241:244], v233 offset1:1
	s_waitcnt lgkmcnt(1)
	v_cmp_gt_f64_e32 vcc_lo, 0, v[224:225]
	v_xor_b32_e32 v212, 0x80000000, v225
	v_cmp_gt_f64_e64 s2, 0, v[226:227]
	v_xor_b32_e32 v214, 0x80000000, v227
	v_add_nc_u32_e32 v233, 16, v233
	s_waitcnt lgkmcnt(0)
	v_cmp_gt_f64_e64 s3, 0, v[241:242]
	v_mov_b32_e32 v216, v241
	v_dual_mov_b32 v218, v243 :: v_dual_cndmask_b32 v213, v225, v212
	v_xor_b32_e32 v212, 0x80000000, v242
	v_cndmask_b32_e64 v215, v227, v214, s2
	v_xor_b32_e32 v214, 0x80000000, v244
	s_delay_alu instid0(VALU_DEP_3) | instskip(SKIP_2) | instid1(VALU_DEP_2)
	v_cndmask_b32_e64 v217, v242, v212, s3
	v_cmp_gt_f64_e64 s3, 0, v[243:244]
	v_cndmask_b32_e32 v212, v224, v224, vcc_lo
	v_cndmask_b32_e64 v219, v244, v214, s3
	v_cndmask_b32_e64 v214, v226, v226, s2
	s_delay_alu instid0(VALU_DEP_2) | instskip(NEXT) | instid1(VALU_DEP_2)
	v_add_f64 v[216:217], v[216:217], v[218:219]
	v_add_f64 v[212:213], v[212:213], v[214:215]
	s_delay_alu instid0(VALU_DEP_1) | instskip(SKIP_4) | instid1(SALU_CYCLE_1)
	v_cmp_lt_f64_e32 vcc_lo, v[212:213], v[216:217]
	v_dual_cndmask_b32 v225, v225, v242 :: v_dual_cndmask_b32 v224, v224, v241
	v_dual_cndmask_b32 v227, v227, v244 :: v_dual_cndmask_b32 v226, v226, v243
	v_cndmask_b32_e64 v232, v232, s6, vcc_lo
	s_add_i32 s6, s6, 1
	s_cmp_lg_u32 s5, s6
	s_cbranch_scc1 .LBB110_422
.LBB110_423:
	s_set_inst_prefetch_distance 0x2
	s_waitcnt lgkmcnt(0)
	v_cmp_eq_f64_e32 vcc_lo, 0, v[224:225]
	v_cmp_eq_f64_e64 s2, 0, v[226:227]
	s_delay_alu instid0(VALU_DEP_1) | instskip(NEXT) | instid1(SALU_CYCLE_1)
	s_and_b32 s2, vcc_lo, s2
	s_and_saveexec_b32 s3, s2
	s_delay_alu instid0(SALU_CYCLE_1)
	s_xor_b32 s2, exec_lo, s3
; %bb.424:
	v_cmp_ne_u32_e32 vcc_lo, 0, v237
	v_cndmask_b32_e32 v237, 21, v237, vcc_lo
; %bb.425:
	s_and_not1_saveexec_b32 s3, s2
	s_cbranch_execz .LBB110_431
; %bb.426:
	v_cmp_gt_f64_e32 vcc_lo, 0, v[224:225]
	v_cmp_gt_f64_e64 s2, 0, v[226:227]
	v_xor_b32_e32 v212, 0x80000000, v225
	v_xor_b32_e32 v214, 0x80000000, v227
	s_delay_alu instid0(VALU_DEP_2) | instskip(NEXT) | instid1(VALU_DEP_2)
	v_cndmask_b32_e32 v213, v225, v212, vcc_lo
	v_cndmask_b32_e64 v215, v227, v214, s2
	v_cndmask_b32_e32 v212, v224, v224, vcc_lo
	v_cndmask_b32_e64 v214, v226, v226, s2
	s_mov_b32 s2, exec_lo
	s_delay_alu instid0(VALU_DEP_1)
	v_cmpx_ngt_f64_e32 v[212:213], v[214:215]
	s_xor_b32 s2, exec_lo, s2
	s_cbranch_execz .LBB110_428
; %bb.427:
	v_div_scale_f64 v[212:213], null, v[226:227], v[226:227], v[224:225]
	v_div_scale_f64 v[218:219], vcc_lo, v[224:225], v[226:227], v[224:225]
	s_delay_alu instid0(VALU_DEP_2) | instskip(SKIP_2) | instid1(VALU_DEP_1)
	v_rcp_f64_e32 v[214:215], v[212:213]
	s_waitcnt_depctr 0xfff
	v_fma_f64 v[216:217], -v[212:213], v[214:215], 1.0
	v_fma_f64 v[214:215], v[214:215], v[216:217], v[214:215]
	s_delay_alu instid0(VALU_DEP_1) | instskip(NEXT) | instid1(VALU_DEP_1)
	v_fma_f64 v[216:217], -v[212:213], v[214:215], 1.0
	v_fma_f64 v[214:215], v[214:215], v[216:217], v[214:215]
	s_delay_alu instid0(VALU_DEP_1) | instskip(NEXT) | instid1(VALU_DEP_1)
	v_mul_f64 v[216:217], v[218:219], v[214:215]
	v_fma_f64 v[212:213], -v[212:213], v[216:217], v[218:219]
	s_delay_alu instid0(VALU_DEP_1) | instskip(NEXT) | instid1(VALU_DEP_1)
	v_div_fmas_f64 v[212:213], v[212:213], v[214:215], v[216:217]
	v_div_fixup_f64 v[212:213], v[212:213], v[226:227], v[224:225]
	s_delay_alu instid0(VALU_DEP_1) | instskip(NEXT) | instid1(VALU_DEP_1)
	v_fma_f64 v[214:215], v[224:225], v[212:213], v[226:227]
	v_div_scale_f64 v[216:217], null, v[214:215], v[214:215], 1.0
	s_delay_alu instid0(VALU_DEP_1) | instskip(SKIP_2) | instid1(VALU_DEP_1)
	v_rcp_f64_e32 v[218:219], v[216:217]
	s_waitcnt_depctr 0xfff
	v_fma_f64 v[220:221], -v[216:217], v[218:219], 1.0
	v_fma_f64 v[218:219], v[218:219], v[220:221], v[218:219]
	s_delay_alu instid0(VALU_DEP_1) | instskip(NEXT) | instid1(VALU_DEP_1)
	v_fma_f64 v[220:221], -v[216:217], v[218:219], 1.0
	v_fma_f64 v[218:219], v[218:219], v[220:221], v[218:219]
	v_div_scale_f64 v[220:221], vcc_lo, 1.0, v[214:215], 1.0
	s_delay_alu instid0(VALU_DEP_1) | instskip(NEXT) | instid1(VALU_DEP_1)
	v_mul_f64 v[222:223], v[220:221], v[218:219]
	v_fma_f64 v[216:217], -v[216:217], v[222:223], v[220:221]
	s_delay_alu instid0(VALU_DEP_1) | instskip(NEXT) | instid1(VALU_DEP_1)
	v_div_fmas_f64 v[216:217], v[216:217], v[218:219], v[222:223]
	v_div_fixup_f64 v[226:227], v[216:217], v[214:215], 1.0
	s_delay_alu instid0(VALU_DEP_1)
	v_mul_f64 v[224:225], v[212:213], v[226:227]
	v_xor_b32_e32 v227, 0x80000000, v227
.LBB110_428:
	s_and_not1_saveexec_b32 s2, s2
	s_cbranch_execz .LBB110_430
; %bb.429:
	s_delay_alu instid0(VALU_DEP_1) | instskip(SKIP_1) | instid1(VALU_DEP_2)
	v_div_scale_f64 v[212:213], null, v[224:225], v[224:225], v[226:227]
	v_div_scale_f64 v[218:219], vcc_lo, v[226:227], v[224:225], v[226:227]
	v_rcp_f64_e32 v[214:215], v[212:213]
	s_waitcnt_depctr 0xfff
	v_fma_f64 v[216:217], -v[212:213], v[214:215], 1.0
	s_delay_alu instid0(VALU_DEP_1) | instskip(NEXT) | instid1(VALU_DEP_1)
	v_fma_f64 v[214:215], v[214:215], v[216:217], v[214:215]
	v_fma_f64 v[216:217], -v[212:213], v[214:215], 1.0
	s_delay_alu instid0(VALU_DEP_1) | instskip(NEXT) | instid1(VALU_DEP_1)
	v_fma_f64 v[214:215], v[214:215], v[216:217], v[214:215]
	v_mul_f64 v[216:217], v[218:219], v[214:215]
	s_delay_alu instid0(VALU_DEP_1) | instskip(NEXT) | instid1(VALU_DEP_1)
	v_fma_f64 v[212:213], -v[212:213], v[216:217], v[218:219]
	v_div_fmas_f64 v[212:213], v[212:213], v[214:215], v[216:217]
	s_delay_alu instid0(VALU_DEP_1) | instskip(NEXT) | instid1(VALU_DEP_1)
	v_div_fixup_f64 v[212:213], v[212:213], v[224:225], v[226:227]
	v_fma_f64 v[214:215], v[226:227], v[212:213], v[224:225]
	s_delay_alu instid0(VALU_DEP_1) | instskip(NEXT) | instid1(VALU_DEP_1)
	v_div_scale_f64 v[216:217], null, v[214:215], v[214:215], 1.0
	v_rcp_f64_e32 v[218:219], v[216:217]
	s_waitcnt_depctr 0xfff
	v_fma_f64 v[220:221], -v[216:217], v[218:219], 1.0
	s_delay_alu instid0(VALU_DEP_1) | instskip(NEXT) | instid1(VALU_DEP_1)
	v_fma_f64 v[218:219], v[218:219], v[220:221], v[218:219]
	v_fma_f64 v[220:221], -v[216:217], v[218:219], 1.0
	s_delay_alu instid0(VALU_DEP_1) | instskip(SKIP_1) | instid1(VALU_DEP_1)
	v_fma_f64 v[218:219], v[218:219], v[220:221], v[218:219]
	v_div_scale_f64 v[220:221], vcc_lo, 1.0, v[214:215], 1.0
	v_mul_f64 v[222:223], v[220:221], v[218:219]
	s_delay_alu instid0(VALU_DEP_1) | instskip(NEXT) | instid1(VALU_DEP_1)
	v_fma_f64 v[216:217], -v[216:217], v[222:223], v[220:221]
	v_div_fmas_f64 v[216:217], v[216:217], v[218:219], v[222:223]
	s_delay_alu instid0(VALU_DEP_1) | instskip(NEXT) | instid1(VALU_DEP_1)
	v_div_fixup_f64 v[224:225], v[216:217], v[214:215], 1.0
	v_mul_f64 v[226:227], v[212:213], -v[224:225]
.LBB110_430:
	s_or_b32 exec_lo, exec_lo, s2
.LBB110_431:
	s_delay_alu instid0(SALU_CYCLE_1) | instskip(NEXT) | instid1(SALU_CYCLE_1)
	s_or_b32 exec_lo, exec_lo, s3
	s_mov_b32 s2, exec_lo
	v_cmpx_ne_u32_e64 v240, v232
	s_xor_b32 s2, exec_lo, s2
	s_cbranch_execz .LBB110_437
; %bb.432:
	s_mov_b32 s3, exec_lo
	v_cmpx_eq_u32_e32 20, v240
	s_cbranch_execz .LBB110_436
; %bb.433:
	v_cmp_ne_u32_e32 vcc_lo, 20, v232
	s_xor_b32 s6, s4, -1
	s_delay_alu instid0(SALU_CYCLE_1) | instskip(NEXT) | instid1(SALU_CYCLE_1)
	s_and_b32 s7, s6, vcc_lo
	s_and_saveexec_b32 s6, s7
	s_cbranch_execz .LBB110_435
; %bb.434:
	scratch_load_b64 v[10:11], off, off     ; 8-byte Folded Reload
	v_ashrrev_i32_e32 v233, 31, v232
	s_delay_alu instid0(VALU_DEP_1) | instskip(SKIP_1) | instid1(VALU_DEP_1)
	v_lshlrev_b64 v[212:213], 2, v[232:233]
	s_waitcnt vmcnt(0)
	v_add_co_u32 v212, vcc_lo, v10, v212
	s_delay_alu instid0(VALU_DEP_2)
	v_add_co_ci_u32_e32 v213, vcc_lo, v11, v213, vcc_lo
	s_clause 0x1
	flat_load_b32 v214, v[212:213]
	flat_load_b32 v215, v[10:11] offset:80
	s_waitcnt vmcnt(1) lgkmcnt(1)
	flat_store_b32 v[10:11], v214 offset:80
	s_waitcnt vmcnt(0) lgkmcnt(1)
	flat_store_b32 v[212:213], v215
.LBB110_435:
	s_or_b32 exec_lo, exec_lo, s6
	v_mov_b32_e32 v240, v232
	v_mov_b32_e32 v239, v232
.LBB110_436:
	s_or_b32 exec_lo, exec_lo, s3
.LBB110_437:
	s_and_not1_saveexec_b32 s2, s2
	s_cbranch_execz .LBB110_439
; %bb.438:
	v_mov_b32_e32 v240, 20
	ds_store_2addr_b64 v234, v[136:137], v[138:139] offset0:42 offset1:43
	ds_store_2addr_b64 v234, v[132:133], v[134:135] offset0:44 offset1:45
	;; [unrolled: 1-line block ×35, first 2 shown]
.LBB110_439:
	s_or_b32 exec_lo, exec_lo, s2
	s_delay_alu instid0(SALU_CYCLE_1)
	s_mov_b32 s2, exec_lo
	s_waitcnt lgkmcnt(0)
	s_waitcnt_vscnt null, 0x0
	s_barrier
	buffer_gl0_inv
	v_cmpx_lt_i32_e32 20, v240
	s_cbranch_execz .LBB110_441
; %bb.440:
	v_mul_f64 v[212:213], v[226:227], v[142:143]
	v_mul_f64 v[142:143], v[224:225], v[142:143]
	s_delay_alu instid0(VALU_DEP_2) | instskip(NEXT) | instid1(VALU_DEP_2)
	v_fma_f64 v[232:233], v[224:225], v[140:141], -v[212:213]
	v_fma_f64 v[142:143], v[226:227], v[140:141], v[142:143]
	ds_load_2addr_b64 v[224:227], v234 offset0:42 offset1:43
	s_waitcnt lgkmcnt(0)
	v_mul_f64 v[140:141], v[226:227], v[142:143]
	v_mul_f64 v[212:213], v[224:225], v[142:143]
	s_delay_alu instid0(VALU_DEP_2) | instskip(NEXT) | instid1(VALU_DEP_2)
	v_fma_f64 v[140:141], v[224:225], v[232:233], -v[140:141]
	v_fma_f64 v[212:213], v[226:227], v[232:233], v[212:213]
	ds_load_2addr_b64 v[224:227], v234 offset0:44 offset1:45
	v_add_f64 v[136:137], v[136:137], -v[140:141]
	v_add_f64 v[138:139], v[138:139], -v[212:213]
	s_waitcnt lgkmcnt(0)
	v_mul_f64 v[140:141], v[226:227], v[142:143]
	v_mul_f64 v[212:213], v[224:225], v[142:143]
	s_delay_alu instid0(VALU_DEP_2) | instskip(NEXT) | instid1(VALU_DEP_2)
	v_fma_f64 v[140:141], v[224:225], v[232:233], -v[140:141]
	v_fma_f64 v[212:213], v[226:227], v[232:233], v[212:213]
	ds_load_2addr_b64 v[224:227], v234 offset0:46 offset1:47
	v_add_f64 v[132:133], v[132:133], -v[140:141]
	v_add_f64 v[134:135], v[134:135], -v[212:213]
	;; [unrolled: 9-line block ×34, first 2 shown]
	s_waitcnt lgkmcnt(0)
	v_mul_f64 v[140:141], v[226:227], v[142:143]
	v_mul_f64 v[212:213], v[224:225], v[142:143]
	s_delay_alu instid0(VALU_DEP_2) | instskip(NEXT) | instid1(VALU_DEP_2)
	v_fma_f64 v[140:141], v[224:225], v[232:233], -v[140:141]
	v_fma_f64 v[212:213], v[226:227], v[232:233], v[212:213]
	s_delay_alu instid0(VALU_DEP_2) | instskip(NEXT) | instid1(VALU_DEP_2)
	v_add_f64 v[0:1], v[0:1], -v[140:141]
	v_add_f64 v[2:3], v[2:3], -v[212:213]
	v_dual_mov_b32 v140, v232 :: v_dual_mov_b32 v141, v233
.LBB110_441:
	s_or_b32 exec_lo, exec_lo, s2
	v_lshl_add_u32 v212, v240, 4, v234
	s_barrier
	buffer_gl0_inv
	v_mov_b32_e32 v232, 21
	ds_store_2addr_b64 v212, v[136:137], v[138:139] offset1:1
	s_waitcnt lgkmcnt(0)
	s_barrier
	buffer_gl0_inv
	ds_load_2addr_b64 v[224:227], v234 offset0:42 offset1:43
	s_cmp_lt_i32 s5, 23
	s_cbranch_scc1 .LBB110_444
; %bb.442:
	v_add3_u32 v233, v238, 0, 0x160
	v_mov_b32_e32 v232, 21
	s_mov_b32 s6, 22
	s_set_inst_prefetch_distance 0x1
	.p2align	6
.LBB110_443:                            ; =>This Inner Loop Header: Depth=1
	ds_load_2addr_b64 v[241:244], v233 offset1:1
	s_waitcnt lgkmcnt(1)
	v_cmp_gt_f64_e32 vcc_lo, 0, v[224:225]
	v_xor_b32_e32 v212, 0x80000000, v225
	v_cmp_gt_f64_e64 s2, 0, v[226:227]
	v_xor_b32_e32 v214, 0x80000000, v227
	v_add_nc_u32_e32 v233, 16, v233
	s_waitcnt lgkmcnt(0)
	v_cmp_gt_f64_e64 s3, 0, v[241:242]
	v_mov_b32_e32 v216, v241
	v_dual_mov_b32 v218, v243 :: v_dual_cndmask_b32 v213, v225, v212
	v_xor_b32_e32 v212, 0x80000000, v242
	v_cndmask_b32_e64 v215, v227, v214, s2
	v_xor_b32_e32 v214, 0x80000000, v244
	s_delay_alu instid0(VALU_DEP_3) | instskip(SKIP_2) | instid1(VALU_DEP_2)
	v_cndmask_b32_e64 v217, v242, v212, s3
	v_cmp_gt_f64_e64 s3, 0, v[243:244]
	v_cndmask_b32_e32 v212, v224, v224, vcc_lo
	v_cndmask_b32_e64 v219, v244, v214, s3
	v_cndmask_b32_e64 v214, v226, v226, s2
	s_delay_alu instid0(VALU_DEP_2) | instskip(NEXT) | instid1(VALU_DEP_2)
	v_add_f64 v[216:217], v[216:217], v[218:219]
	v_add_f64 v[212:213], v[212:213], v[214:215]
	s_delay_alu instid0(VALU_DEP_1) | instskip(SKIP_4) | instid1(SALU_CYCLE_1)
	v_cmp_lt_f64_e32 vcc_lo, v[212:213], v[216:217]
	v_dual_cndmask_b32 v225, v225, v242 :: v_dual_cndmask_b32 v224, v224, v241
	v_dual_cndmask_b32 v227, v227, v244 :: v_dual_cndmask_b32 v226, v226, v243
	v_cndmask_b32_e64 v232, v232, s6, vcc_lo
	s_add_i32 s6, s6, 1
	s_cmp_lg_u32 s5, s6
	s_cbranch_scc1 .LBB110_443
.LBB110_444:
	s_set_inst_prefetch_distance 0x2
	s_waitcnt lgkmcnt(0)
	v_cmp_eq_f64_e32 vcc_lo, 0, v[224:225]
	v_cmp_eq_f64_e64 s2, 0, v[226:227]
	s_delay_alu instid0(VALU_DEP_1) | instskip(NEXT) | instid1(SALU_CYCLE_1)
	s_and_b32 s2, vcc_lo, s2
	s_and_saveexec_b32 s3, s2
	s_delay_alu instid0(SALU_CYCLE_1)
	s_xor_b32 s2, exec_lo, s3
; %bb.445:
	v_cmp_ne_u32_e32 vcc_lo, 0, v237
	v_cndmask_b32_e32 v237, 22, v237, vcc_lo
; %bb.446:
	s_and_not1_saveexec_b32 s3, s2
	s_cbranch_execz .LBB110_452
; %bb.447:
	v_cmp_gt_f64_e32 vcc_lo, 0, v[224:225]
	v_cmp_gt_f64_e64 s2, 0, v[226:227]
	v_xor_b32_e32 v212, 0x80000000, v225
	v_xor_b32_e32 v214, 0x80000000, v227
	s_delay_alu instid0(VALU_DEP_2) | instskip(NEXT) | instid1(VALU_DEP_2)
	v_cndmask_b32_e32 v213, v225, v212, vcc_lo
	v_cndmask_b32_e64 v215, v227, v214, s2
	v_cndmask_b32_e32 v212, v224, v224, vcc_lo
	v_cndmask_b32_e64 v214, v226, v226, s2
	s_mov_b32 s2, exec_lo
	s_delay_alu instid0(VALU_DEP_1)
	v_cmpx_ngt_f64_e32 v[212:213], v[214:215]
	s_xor_b32 s2, exec_lo, s2
	s_cbranch_execz .LBB110_449
; %bb.448:
	v_div_scale_f64 v[212:213], null, v[226:227], v[226:227], v[224:225]
	v_div_scale_f64 v[218:219], vcc_lo, v[224:225], v[226:227], v[224:225]
	s_delay_alu instid0(VALU_DEP_2) | instskip(SKIP_2) | instid1(VALU_DEP_1)
	v_rcp_f64_e32 v[214:215], v[212:213]
	s_waitcnt_depctr 0xfff
	v_fma_f64 v[216:217], -v[212:213], v[214:215], 1.0
	v_fma_f64 v[214:215], v[214:215], v[216:217], v[214:215]
	s_delay_alu instid0(VALU_DEP_1) | instskip(NEXT) | instid1(VALU_DEP_1)
	v_fma_f64 v[216:217], -v[212:213], v[214:215], 1.0
	v_fma_f64 v[214:215], v[214:215], v[216:217], v[214:215]
	s_delay_alu instid0(VALU_DEP_1) | instskip(NEXT) | instid1(VALU_DEP_1)
	v_mul_f64 v[216:217], v[218:219], v[214:215]
	v_fma_f64 v[212:213], -v[212:213], v[216:217], v[218:219]
	s_delay_alu instid0(VALU_DEP_1) | instskip(NEXT) | instid1(VALU_DEP_1)
	v_div_fmas_f64 v[212:213], v[212:213], v[214:215], v[216:217]
	v_div_fixup_f64 v[212:213], v[212:213], v[226:227], v[224:225]
	s_delay_alu instid0(VALU_DEP_1) | instskip(NEXT) | instid1(VALU_DEP_1)
	v_fma_f64 v[214:215], v[224:225], v[212:213], v[226:227]
	v_div_scale_f64 v[216:217], null, v[214:215], v[214:215], 1.0
	s_delay_alu instid0(VALU_DEP_1) | instskip(SKIP_2) | instid1(VALU_DEP_1)
	v_rcp_f64_e32 v[218:219], v[216:217]
	s_waitcnt_depctr 0xfff
	v_fma_f64 v[220:221], -v[216:217], v[218:219], 1.0
	v_fma_f64 v[218:219], v[218:219], v[220:221], v[218:219]
	s_delay_alu instid0(VALU_DEP_1) | instskip(NEXT) | instid1(VALU_DEP_1)
	v_fma_f64 v[220:221], -v[216:217], v[218:219], 1.0
	v_fma_f64 v[218:219], v[218:219], v[220:221], v[218:219]
	v_div_scale_f64 v[220:221], vcc_lo, 1.0, v[214:215], 1.0
	s_delay_alu instid0(VALU_DEP_1) | instskip(NEXT) | instid1(VALU_DEP_1)
	v_mul_f64 v[222:223], v[220:221], v[218:219]
	v_fma_f64 v[216:217], -v[216:217], v[222:223], v[220:221]
	s_delay_alu instid0(VALU_DEP_1) | instskip(NEXT) | instid1(VALU_DEP_1)
	v_div_fmas_f64 v[216:217], v[216:217], v[218:219], v[222:223]
	v_div_fixup_f64 v[226:227], v[216:217], v[214:215], 1.0
	s_delay_alu instid0(VALU_DEP_1)
	v_mul_f64 v[224:225], v[212:213], v[226:227]
	v_xor_b32_e32 v227, 0x80000000, v227
.LBB110_449:
	s_and_not1_saveexec_b32 s2, s2
	s_cbranch_execz .LBB110_451
; %bb.450:
	s_delay_alu instid0(VALU_DEP_1) | instskip(SKIP_1) | instid1(VALU_DEP_2)
	v_div_scale_f64 v[212:213], null, v[224:225], v[224:225], v[226:227]
	v_div_scale_f64 v[218:219], vcc_lo, v[226:227], v[224:225], v[226:227]
	v_rcp_f64_e32 v[214:215], v[212:213]
	s_waitcnt_depctr 0xfff
	v_fma_f64 v[216:217], -v[212:213], v[214:215], 1.0
	s_delay_alu instid0(VALU_DEP_1) | instskip(NEXT) | instid1(VALU_DEP_1)
	v_fma_f64 v[214:215], v[214:215], v[216:217], v[214:215]
	v_fma_f64 v[216:217], -v[212:213], v[214:215], 1.0
	s_delay_alu instid0(VALU_DEP_1) | instskip(NEXT) | instid1(VALU_DEP_1)
	v_fma_f64 v[214:215], v[214:215], v[216:217], v[214:215]
	v_mul_f64 v[216:217], v[218:219], v[214:215]
	s_delay_alu instid0(VALU_DEP_1) | instskip(NEXT) | instid1(VALU_DEP_1)
	v_fma_f64 v[212:213], -v[212:213], v[216:217], v[218:219]
	v_div_fmas_f64 v[212:213], v[212:213], v[214:215], v[216:217]
	s_delay_alu instid0(VALU_DEP_1) | instskip(NEXT) | instid1(VALU_DEP_1)
	v_div_fixup_f64 v[212:213], v[212:213], v[224:225], v[226:227]
	v_fma_f64 v[214:215], v[226:227], v[212:213], v[224:225]
	s_delay_alu instid0(VALU_DEP_1) | instskip(NEXT) | instid1(VALU_DEP_1)
	v_div_scale_f64 v[216:217], null, v[214:215], v[214:215], 1.0
	v_rcp_f64_e32 v[218:219], v[216:217]
	s_waitcnt_depctr 0xfff
	v_fma_f64 v[220:221], -v[216:217], v[218:219], 1.0
	s_delay_alu instid0(VALU_DEP_1) | instskip(NEXT) | instid1(VALU_DEP_1)
	v_fma_f64 v[218:219], v[218:219], v[220:221], v[218:219]
	v_fma_f64 v[220:221], -v[216:217], v[218:219], 1.0
	s_delay_alu instid0(VALU_DEP_1) | instskip(SKIP_1) | instid1(VALU_DEP_1)
	v_fma_f64 v[218:219], v[218:219], v[220:221], v[218:219]
	v_div_scale_f64 v[220:221], vcc_lo, 1.0, v[214:215], 1.0
	v_mul_f64 v[222:223], v[220:221], v[218:219]
	s_delay_alu instid0(VALU_DEP_1) | instskip(NEXT) | instid1(VALU_DEP_1)
	v_fma_f64 v[216:217], -v[216:217], v[222:223], v[220:221]
	v_div_fmas_f64 v[216:217], v[216:217], v[218:219], v[222:223]
	s_delay_alu instid0(VALU_DEP_1) | instskip(NEXT) | instid1(VALU_DEP_1)
	v_div_fixup_f64 v[224:225], v[216:217], v[214:215], 1.0
	v_mul_f64 v[226:227], v[212:213], -v[224:225]
.LBB110_451:
	s_or_b32 exec_lo, exec_lo, s2
.LBB110_452:
	s_delay_alu instid0(SALU_CYCLE_1) | instskip(NEXT) | instid1(SALU_CYCLE_1)
	s_or_b32 exec_lo, exec_lo, s3
	s_mov_b32 s2, exec_lo
	v_cmpx_ne_u32_e64 v240, v232
	s_xor_b32 s2, exec_lo, s2
	s_cbranch_execz .LBB110_458
; %bb.453:
	s_mov_b32 s3, exec_lo
	v_cmpx_eq_u32_e32 21, v240
	s_cbranch_execz .LBB110_457
; %bb.454:
	v_cmp_ne_u32_e32 vcc_lo, 21, v232
	s_xor_b32 s6, s4, -1
	s_delay_alu instid0(SALU_CYCLE_1) | instskip(NEXT) | instid1(SALU_CYCLE_1)
	s_and_b32 s7, s6, vcc_lo
	s_and_saveexec_b32 s6, s7
	s_cbranch_execz .LBB110_456
; %bb.455:
	scratch_load_b64 v[10:11], off, off     ; 8-byte Folded Reload
	v_ashrrev_i32_e32 v233, 31, v232
	s_delay_alu instid0(VALU_DEP_1) | instskip(SKIP_1) | instid1(VALU_DEP_1)
	v_lshlrev_b64 v[212:213], 2, v[232:233]
	s_waitcnt vmcnt(0)
	v_add_co_u32 v212, vcc_lo, v10, v212
	s_delay_alu instid0(VALU_DEP_2)
	v_add_co_ci_u32_e32 v213, vcc_lo, v11, v213, vcc_lo
	s_clause 0x1
	flat_load_b32 v214, v[212:213]
	flat_load_b32 v215, v[10:11] offset:84
	s_waitcnt vmcnt(1) lgkmcnt(1)
	flat_store_b32 v[10:11], v214 offset:84
	s_waitcnt vmcnt(0) lgkmcnt(1)
	flat_store_b32 v[212:213], v215
.LBB110_456:
	s_or_b32 exec_lo, exec_lo, s6
	v_mov_b32_e32 v240, v232
	v_mov_b32_e32 v239, v232
.LBB110_457:
	s_or_b32 exec_lo, exec_lo, s3
.LBB110_458:
	s_and_not1_saveexec_b32 s2, s2
	s_cbranch_execz .LBB110_460
; %bb.459:
	v_mov_b32_e32 v240, 21
	ds_store_2addr_b64 v234, v[132:133], v[134:135] offset0:44 offset1:45
	ds_store_2addr_b64 v234, v[128:129], v[130:131] offset0:46 offset1:47
	;; [unrolled: 1-line block ×34, first 2 shown]
.LBB110_460:
	s_or_b32 exec_lo, exec_lo, s2
	s_delay_alu instid0(SALU_CYCLE_1)
	s_mov_b32 s2, exec_lo
	s_waitcnt lgkmcnt(0)
	s_waitcnt_vscnt null, 0x0
	s_barrier
	buffer_gl0_inv
	v_cmpx_lt_i32_e32 21, v240
	s_cbranch_execz .LBB110_462
; %bb.461:
	v_mul_f64 v[212:213], v[226:227], v[138:139]
	v_mul_f64 v[138:139], v[224:225], v[138:139]
	s_delay_alu instid0(VALU_DEP_2) | instskip(NEXT) | instid1(VALU_DEP_2)
	v_fma_f64 v[232:233], v[224:225], v[136:137], -v[212:213]
	v_fma_f64 v[138:139], v[226:227], v[136:137], v[138:139]
	ds_load_2addr_b64 v[224:227], v234 offset0:44 offset1:45
	s_waitcnt lgkmcnt(0)
	v_mul_f64 v[136:137], v[226:227], v[138:139]
	v_mul_f64 v[212:213], v[224:225], v[138:139]
	s_delay_alu instid0(VALU_DEP_2) | instskip(NEXT) | instid1(VALU_DEP_2)
	v_fma_f64 v[136:137], v[224:225], v[232:233], -v[136:137]
	v_fma_f64 v[212:213], v[226:227], v[232:233], v[212:213]
	ds_load_2addr_b64 v[224:227], v234 offset0:46 offset1:47
	v_add_f64 v[132:133], v[132:133], -v[136:137]
	v_add_f64 v[134:135], v[134:135], -v[212:213]
	s_waitcnt lgkmcnt(0)
	v_mul_f64 v[136:137], v[226:227], v[138:139]
	v_mul_f64 v[212:213], v[224:225], v[138:139]
	s_delay_alu instid0(VALU_DEP_2) | instskip(NEXT) | instid1(VALU_DEP_2)
	v_fma_f64 v[136:137], v[224:225], v[232:233], -v[136:137]
	v_fma_f64 v[212:213], v[226:227], v[232:233], v[212:213]
	ds_load_2addr_b64 v[224:227], v234 offset0:48 offset1:49
	v_add_f64 v[128:129], v[128:129], -v[136:137]
	v_add_f64 v[130:131], v[130:131], -v[212:213]
	;; [unrolled: 9-line block ×33, first 2 shown]
	s_waitcnt lgkmcnt(0)
	v_mul_f64 v[136:137], v[226:227], v[138:139]
	v_mul_f64 v[212:213], v[224:225], v[138:139]
	s_delay_alu instid0(VALU_DEP_2) | instskip(NEXT) | instid1(VALU_DEP_2)
	v_fma_f64 v[136:137], v[224:225], v[232:233], -v[136:137]
	v_fma_f64 v[212:213], v[226:227], v[232:233], v[212:213]
	s_delay_alu instid0(VALU_DEP_2) | instskip(NEXT) | instid1(VALU_DEP_2)
	v_add_f64 v[0:1], v[0:1], -v[136:137]
	v_add_f64 v[2:3], v[2:3], -v[212:213]
	v_dual_mov_b32 v136, v232 :: v_dual_mov_b32 v137, v233
.LBB110_462:
	s_or_b32 exec_lo, exec_lo, s2
	v_lshl_add_u32 v212, v240, 4, v234
	s_barrier
	buffer_gl0_inv
	v_mov_b32_e32 v232, 22
	ds_store_2addr_b64 v212, v[132:133], v[134:135] offset1:1
	s_waitcnt lgkmcnt(0)
	s_barrier
	buffer_gl0_inv
	ds_load_2addr_b64 v[224:227], v234 offset0:44 offset1:45
	s_cmp_lt_i32 s5, 24
	s_cbranch_scc1 .LBB110_465
; %bb.463:
	v_add3_u32 v233, v238, 0, 0x170
	v_mov_b32_e32 v232, 22
	s_mov_b32 s6, 23
	s_set_inst_prefetch_distance 0x1
	.p2align	6
.LBB110_464:                            ; =>This Inner Loop Header: Depth=1
	ds_load_2addr_b64 v[241:244], v233 offset1:1
	s_waitcnt lgkmcnt(1)
	v_cmp_gt_f64_e32 vcc_lo, 0, v[224:225]
	v_xor_b32_e32 v212, 0x80000000, v225
	v_cmp_gt_f64_e64 s2, 0, v[226:227]
	v_xor_b32_e32 v214, 0x80000000, v227
	v_add_nc_u32_e32 v233, 16, v233
	s_waitcnt lgkmcnt(0)
	v_cmp_gt_f64_e64 s3, 0, v[241:242]
	v_mov_b32_e32 v216, v241
	v_dual_mov_b32 v218, v243 :: v_dual_cndmask_b32 v213, v225, v212
	v_xor_b32_e32 v212, 0x80000000, v242
	v_cndmask_b32_e64 v215, v227, v214, s2
	v_xor_b32_e32 v214, 0x80000000, v244
	s_delay_alu instid0(VALU_DEP_3) | instskip(SKIP_2) | instid1(VALU_DEP_2)
	v_cndmask_b32_e64 v217, v242, v212, s3
	v_cmp_gt_f64_e64 s3, 0, v[243:244]
	v_cndmask_b32_e32 v212, v224, v224, vcc_lo
	v_cndmask_b32_e64 v219, v244, v214, s3
	v_cndmask_b32_e64 v214, v226, v226, s2
	s_delay_alu instid0(VALU_DEP_2) | instskip(NEXT) | instid1(VALU_DEP_2)
	v_add_f64 v[216:217], v[216:217], v[218:219]
	v_add_f64 v[212:213], v[212:213], v[214:215]
	s_delay_alu instid0(VALU_DEP_1) | instskip(SKIP_4) | instid1(SALU_CYCLE_1)
	v_cmp_lt_f64_e32 vcc_lo, v[212:213], v[216:217]
	v_dual_cndmask_b32 v225, v225, v242 :: v_dual_cndmask_b32 v224, v224, v241
	v_dual_cndmask_b32 v227, v227, v244 :: v_dual_cndmask_b32 v226, v226, v243
	v_cndmask_b32_e64 v232, v232, s6, vcc_lo
	s_add_i32 s6, s6, 1
	s_cmp_lg_u32 s5, s6
	s_cbranch_scc1 .LBB110_464
.LBB110_465:
	s_set_inst_prefetch_distance 0x2
	s_waitcnt lgkmcnt(0)
	v_cmp_eq_f64_e32 vcc_lo, 0, v[224:225]
	v_cmp_eq_f64_e64 s2, 0, v[226:227]
	s_delay_alu instid0(VALU_DEP_1) | instskip(NEXT) | instid1(SALU_CYCLE_1)
	s_and_b32 s2, vcc_lo, s2
	s_and_saveexec_b32 s3, s2
	s_delay_alu instid0(SALU_CYCLE_1)
	s_xor_b32 s2, exec_lo, s3
; %bb.466:
	v_cmp_ne_u32_e32 vcc_lo, 0, v237
	v_cndmask_b32_e32 v237, 23, v237, vcc_lo
; %bb.467:
	s_and_not1_saveexec_b32 s3, s2
	s_cbranch_execz .LBB110_473
; %bb.468:
	v_cmp_gt_f64_e32 vcc_lo, 0, v[224:225]
	v_cmp_gt_f64_e64 s2, 0, v[226:227]
	v_xor_b32_e32 v212, 0x80000000, v225
	v_xor_b32_e32 v214, 0x80000000, v227
	s_delay_alu instid0(VALU_DEP_2) | instskip(NEXT) | instid1(VALU_DEP_2)
	v_cndmask_b32_e32 v213, v225, v212, vcc_lo
	v_cndmask_b32_e64 v215, v227, v214, s2
	v_cndmask_b32_e32 v212, v224, v224, vcc_lo
	v_cndmask_b32_e64 v214, v226, v226, s2
	s_mov_b32 s2, exec_lo
	s_delay_alu instid0(VALU_DEP_1)
	v_cmpx_ngt_f64_e32 v[212:213], v[214:215]
	s_xor_b32 s2, exec_lo, s2
	s_cbranch_execz .LBB110_470
; %bb.469:
	v_div_scale_f64 v[212:213], null, v[226:227], v[226:227], v[224:225]
	v_div_scale_f64 v[218:219], vcc_lo, v[224:225], v[226:227], v[224:225]
	s_delay_alu instid0(VALU_DEP_2) | instskip(SKIP_2) | instid1(VALU_DEP_1)
	v_rcp_f64_e32 v[214:215], v[212:213]
	s_waitcnt_depctr 0xfff
	v_fma_f64 v[216:217], -v[212:213], v[214:215], 1.0
	v_fma_f64 v[214:215], v[214:215], v[216:217], v[214:215]
	s_delay_alu instid0(VALU_DEP_1) | instskip(NEXT) | instid1(VALU_DEP_1)
	v_fma_f64 v[216:217], -v[212:213], v[214:215], 1.0
	v_fma_f64 v[214:215], v[214:215], v[216:217], v[214:215]
	s_delay_alu instid0(VALU_DEP_1) | instskip(NEXT) | instid1(VALU_DEP_1)
	v_mul_f64 v[216:217], v[218:219], v[214:215]
	v_fma_f64 v[212:213], -v[212:213], v[216:217], v[218:219]
	s_delay_alu instid0(VALU_DEP_1) | instskip(NEXT) | instid1(VALU_DEP_1)
	v_div_fmas_f64 v[212:213], v[212:213], v[214:215], v[216:217]
	v_div_fixup_f64 v[212:213], v[212:213], v[226:227], v[224:225]
	s_delay_alu instid0(VALU_DEP_1) | instskip(NEXT) | instid1(VALU_DEP_1)
	v_fma_f64 v[214:215], v[224:225], v[212:213], v[226:227]
	v_div_scale_f64 v[216:217], null, v[214:215], v[214:215], 1.0
	s_delay_alu instid0(VALU_DEP_1) | instskip(SKIP_2) | instid1(VALU_DEP_1)
	v_rcp_f64_e32 v[218:219], v[216:217]
	s_waitcnt_depctr 0xfff
	v_fma_f64 v[220:221], -v[216:217], v[218:219], 1.0
	v_fma_f64 v[218:219], v[218:219], v[220:221], v[218:219]
	s_delay_alu instid0(VALU_DEP_1) | instskip(NEXT) | instid1(VALU_DEP_1)
	v_fma_f64 v[220:221], -v[216:217], v[218:219], 1.0
	v_fma_f64 v[218:219], v[218:219], v[220:221], v[218:219]
	v_div_scale_f64 v[220:221], vcc_lo, 1.0, v[214:215], 1.0
	s_delay_alu instid0(VALU_DEP_1) | instskip(NEXT) | instid1(VALU_DEP_1)
	v_mul_f64 v[222:223], v[220:221], v[218:219]
	v_fma_f64 v[216:217], -v[216:217], v[222:223], v[220:221]
	s_delay_alu instid0(VALU_DEP_1) | instskip(NEXT) | instid1(VALU_DEP_1)
	v_div_fmas_f64 v[216:217], v[216:217], v[218:219], v[222:223]
	v_div_fixup_f64 v[226:227], v[216:217], v[214:215], 1.0
	s_delay_alu instid0(VALU_DEP_1)
	v_mul_f64 v[224:225], v[212:213], v[226:227]
	v_xor_b32_e32 v227, 0x80000000, v227
.LBB110_470:
	s_and_not1_saveexec_b32 s2, s2
	s_cbranch_execz .LBB110_472
; %bb.471:
	s_delay_alu instid0(VALU_DEP_1) | instskip(SKIP_1) | instid1(VALU_DEP_2)
	v_div_scale_f64 v[212:213], null, v[224:225], v[224:225], v[226:227]
	v_div_scale_f64 v[218:219], vcc_lo, v[226:227], v[224:225], v[226:227]
	v_rcp_f64_e32 v[214:215], v[212:213]
	s_waitcnt_depctr 0xfff
	v_fma_f64 v[216:217], -v[212:213], v[214:215], 1.0
	s_delay_alu instid0(VALU_DEP_1) | instskip(NEXT) | instid1(VALU_DEP_1)
	v_fma_f64 v[214:215], v[214:215], v[216:217], v[214:215]
	v_fma_f64 v[216:217], -v[212:213], v[214:215], 1.0
	s_delay_alu instid0(VALU_DEP_1) | instskip(NEXT) | instid1(VALU_DEP_1)
	v_fma_f64 v[214:215], v[214:215], v[216:217], v[214:215]
	v_mul_f64 v[216:217], v[218:219], v[214:215]
	s_delay_alu instid0(VALU_DEP_1) | instskip(NEXT) | instid1(VALU_DEP_1)
	v_fma_f64 v[212:213], -v[212:213], v[216:217], v[218:219]
	v_div_fmas_f64 v[212:213], v[212:213], v[214:215], v[216:217]
	s_delay_alu instid0(VALU_DEP_1) | instskip(NEXT) | instid1(VALU_DEP_1)
	v_div_fixup_f64 v[212:213], v[212:213], v[224:225], v[226:227]
	v_fma_f64 v[214:215], v[226:227], v[212:213], v[224:225]
	s_delay_alu instid0(VALU_DEP_1) | instskip(NEXT) | instid1(VALU_DEP_1)
	v_div_scale_f64 v[216:217], null, v[214:215], v[214:215], 1.0
	v_rcp_f64_e32 v[218:219], v[216:217]
	s_waitcnt_depctr 0xfff
	v_fma_f64 v[220:221], -v[216:217], v[218:219], 1.0
	s_delay_alu instid0(VALU_DEP_1) | instskip(NEXT) | instid1(VALU_DEP_1)
	v_fma_f64 v[218:219], v[218:219], v[220:221], v[218:219]
	v_fma_f64 v[220:221], -v[216:217], v[218:219], 1.0
	s_delay_alu instid0(VALU_DEP_1) | instskip(SKIP_1) | instid1(VALU_DEP_1)
	v_fma_f64 v[218:219], v[218:219], v[220:221], v[218:219]
	v_div_scale_f64 v[220:221], vcc_lo, 1.0, v[214:215], 1.0
	v_mul_f64 v[222:223], v[220:221], v[218:219]
	s_delay_alu instid0(VALU_DEP_1) | instskip(NEXT) | instid1(VALU_DEP_1)
	v_fma_f64 v[216:217], -v[216:217], v[222:223], v[220:221]
	v_div_fmas_f64 v[216:217], v[216:217], v[218:219], v[222:223]
	s_delay_alu instid0(VALU_DEP_1) | instskip(NEXT) | instid1(VALU_DEP_1)
	v_div_fixup_f64 v[224:225], v[216:217], v[214:215], 1.0
	v_mul_f64 v[226:227], v[212:213], -v[224:225]
.LBB110_472:
	s_or_b32 exec_lo, exec_lo, s2
.LBB110_473:
	s_delay_alu instid0(SALU_CYCLE_1) | instskip(NEXT) | instid1(SALU_CYCLE_1)
	s_or_b32 exec_lo, exec_lo, s3
	s_mov_b32 s2, exec_lo
	v_cmpx_ne_u32_e64 v240, v232
	s_xor_b32 s2, exec_lo, s2
	s_cbranch_execz .LBB110_479
; %bb.474:
	s_mov_b32 s3, exec_lo
	v_cmpx_eq_u32_e32 22, v240
	s_cbranch_execz .LBB110_478
; %bb.475:
	v_cmp_ne_u32_e32 vcc_lo, 22, v232
	s_xor_b32 s6, s4, -1
	s_delay_alu instid0(SALU_CYCLE_1) | instskip(NEXT) | instid1(SALU_CYCLE_1)
	s_and_b32 s7, s6, vcc_lo
	s_and_saveexec_b32 s6, s7
	s_cbranch_execz .LBB110_477
; %bb.476:
	scratch_load_b64 v[10:11], off, off     ; 8-byte Folded Reload
	v_ashrrev_i32_e32 v233, 31, v232
	s_delay_alu instid0(VALU_DEP_1) | instskip(SKIP_1) | instid1(VALU_DEP_1)
	v_lshlrev_b64 v[212:213], 2, v[232:233]
	s_waitcnt vmcnt(0)
	v_add_co_u32 v212, vcc_lo, v10, v212
	s_delay_alu instid0(VALU_DEP_2)
	v_add_co_ci_u32_e32 v213, vcc_lo, v11, v213, vcc_lo
	s_clause 0x1
	flat_load_b32 v214, v[212:213]
	flat_load_b32 v215, v[10:11] offset:88
	s_waitcnt vmcnt(1) lgkmcnt(1)
	flat_store_b32 v[10:11], v214 offset:88
	s_waitcnt vmcnt(0) lgkmcnt(1)
	flat_store_b32 v[212:213], v215
.LBB110_477:
	s_or_b32 exec_lo, exec_lo, s6
	v_mov_b32_e32 v240, v232
	v_mov_b32_e32 v239, v232
.LBB110_478:
	s_or_b32 exec_lo, exec_lo, s3
.LBB110_479:
	s_and_not1_saveexec_b32 s2, s2
	s_cbranch_execz .LBB110_481
; %bb.480:
	v_mov_b32_e32 v240, 22
	ds_store_2addr_b64 v234, v[128:129], v[130:131] offset0:46 offset1:47
	ds_store_2addr_b64 v234, v[124:125], v[126:127] offset0:48 offset1:49
	;; [unrolled: 1-line block ×33, first 2 shown]
.LBB110_481:
	s_or_b32 exec_lo, exec_lo, s2
	s_delay_alu instid0(SALU_CYCLE_1)
	s_mov_b32 s2, exec_lo
	s_waitcnt lgkmcnt(0)
	s_waitcnt_vscnt null, 0x0
	s_barrier
	buffer_gl0_inv
	v_cmpx_lt_i32_e32 22, v240
	s_cbranch_execz .LBB110_483
; %bb.482:
	v_mul_f64 v[212:213], v[226:227], v[134:135]
	v_mul_f64 v[134:135], v[224:225], v[134:135]
	s_delay_alu instid0(VALU_DEP_2) | instskip(NEXT) | instid1(VALU_DEP_2)
	v_fma_f64 v[232:233], v[224:225], v[132:133], -v[212:213]
	v_fma_f64 v[134:135], v[226:227], v[132:133], v[134:135]
	ds_load_2addr_b64 v[224:227], v234 offset0:46 offset1:47
	s_waitcnt lgkmcnt(0)
	v_mul_f64 v[132:133], v[226:227], v[134:135]
	v_mul_f64 v[212:213], v[224:225], v[134:135]
	s_delay_alu instid0(VALU_DEP_2) | instskip(NEXT) | instid1(VALU_DEP_2)
	v_fma_f64 v[132:133], v[224:225], v[232:233], -v[132:133]
	v_fma_f64 v[212:213], v[226:227], v[232:233], v[212:213]
	ds_load_2addr_b64 v[224:227], v234 offset0:48 offset1:49
	v_add_f64 v[128:129], v[128:129], -v[132:133]
	v_add_f64 v[130:131], v[130:131], -v[212:213]
	s_waitcnt lgkmcnt(0)
	v_mul_f64 v[132:133], v[226:227], v[134:135]
	v_mul_f64 v[212:213], v[224:225], v[134:135]
	s_delay_alu instid0(VALU_DEP_2) | instskip(NEXT) | instid1(VALU_DEP_2)
	v_fma_f64 v[132:133], v[224:225], v[232:233], -v[132:133]
	v_fma_f64 v[212:213], v[226:227], v[232:233], v[212:213]
	ds_load_2addr_b64 v[224:227], v234 offset0:50 offset1:51
	v_add_f64 v[124:125], v[124:125], -v[132:133]
	v_add_f64 v[126:127], v[126:127], -v[212:213]
	;; [unrolled: 9-line block ×32, first 2 shown]
	s_waitcnt lgkmcnt(0)
	v_mul_f64 v[132:133], v[226:227], v[134:135]
	v_mul_f64 v[212:213], v[224:225], v[134:135]
	s_delay_alu instid0(VALU_DEP_2) | instskip(NEXT) | instid1(VALU_DEP_2)
	v_fma_f64 v[132:133], v[224:225], v[232:233], -v[132:133]
	v_fma_f64 v[212:213], v[226:227], v[232:233], v[212:213]
	s_delay_alu instid0(VALU_DEP_2) | instskip(NEXT) | instid1(VALU_DEP_2)
	v_add_f64 v[0:1], v[0:1], -v[132:133]
	v_add_f64 v[2:3], v[2:3], -v[212:213]
	v_dual_mov_b32 v132, v232 :: v_dual_mov_b32 v133, v233
.LBB110_483:
	s_or_b32 exec_lo, exec_lo, s2
	v_lshl_add_u32 v212, v240, 4, v234
	s_barrier
	buffer_gl0_inv
	v_mov_b32_e32 v232, 23
	ds_store_2addr_b64 v212, v[128:129], v[130:131] offset1:1
	s_waitcnt lgkmcnt(0)
	s_barrier
	buffer_gl0_inv
	ds_load_2addr_b64 v[224:227], v234 offset0:46 offset1:47
	s_cmp_lt_i32 s5, 25
	s_cbranch_scc1 .LBB110_486
; %bb.484:
	v_add3_u32 v233, v238, 0, 0x180
	v_mov_b32_e32 v232, 23
	s_mov_b32 s6, 24
	s_set_inst_prefetch_distance 0x1
	.p2align	6
.LBB110_485:                            ; =>This Inner Loop Header: Depth=1
	ds_load_2addr_b64 v[241:244], v233 offset1:1
	s_waitcnt lgkmcnt(1)
	v_cmp_gt_f64_e32 vcc_lo, 0, v[224:225]
	v_xor_b32_e32 v212, 0x80000000, v225
	v_cmp_gt_f64_e64 s2, 0, v[226:227]
	v_xor_b32_e32 v214, 0x80000000, v227
	v_add_nc_u32_e32 v233, 16, v233
	s_waitcnt lgkmcnt(0)
	v_cmp_gt_f64_e64 s3, 0, v[241:242]
	v_mov_b32_e32 v216, v241
	v_dual_mov_b32 v218, v243 :: v_dual_cndmask_b32 v213, v225, v212
	v_xor_b32_e32 v212, 0x80000000, v242
	v_cndmask_b32_e64 v215, v227, v214, s2
	v_xor_b32_e32 v214, 0x80000000, v244
	s_delay_alu instid0(VALU_DEP_3) | instskip(SKIP_2) | instid1(VALU_DEP_2)
	v_cndmask_b32_e64 v217, v242, v212, s3
	v_cmp_gt_f64_e64 s3, 0, v[243:244]
	v_cndmask_b32_e32 v212, v224, v224, vcc_lo
	v_cndmask_b32_e64 v219, v244, v214, s3
	v_cndmask_b32_e64 v214, v226, v226, s2
	s_delay_alu instid0(VALU_DEP_2) | instskip(NEXT) | instid1(VALU_DEP_2)
	v_add_f64 v[216:217], v[216:217], v[218:219]
	v_add_f64 v[212:213], v[212:213], v[214:215]
	s_delay_alu instid0(VALU_DEP_1) | instskip(SKIP_4) | instid1(SALU_CYCLE_1)
	v_cmp_lt_f64_e32 vcc_lo, v[212:213], v[216:217]
	v_dual_cndmask_b32 v225, v225, v242 :: v_dual_cndmask_b32 v224, v224, v241
	v_dual_cndmask_b32 v227, v227, v244 :: v_dual_cndmask_b32 v226, v226, v243
	v_cndmask_b32_e64 v232, v232, s6, vcc_lo
	s_add_i32 s6, s6, 1
	s_cmp_lg_u32 s5, s6
	s_cbranch_scc1 .LBB110_485
.LBB110_486:
	s_set_inst_prefetch_distance 0x2
	s_waitcnt lgkmcnt(0)
	v_cmp_eq_f64_e32 vcc_lo, 0, v[224:225]
	v_cmp_eq_f64_e64 s2, 0, v[226:227]
	s_delay_alu instid0(VALU_DEP_1) | instskip(NEXT) | instid1(SALU_CYCLE_1)
	s_and_b32 s2, vcc_lo, s2
	s_and_saveexec_b32 s3, s2
	s_delay_alu instid0(SALU_CYCLE_1)
	s_xor_b32 s2, exec_lo, s3
; %bb.487:
	v_cmp_ne_u32_e32 vcc_lo, 0, v237
	v_cndmask_b32_e32 v237, 24, v237, vcc_lo
; %bb.488:
	s_and_not1_saveexec_b32 s3, s2
	s_cbranch_execz .LBB110_494
; %bb.489:
	v_cmp_gt_f64_e32 vcc_lo, 0, v[224:225]
	v_cmp_gt_f64_e64 s2, 0, v[226:227]
	v_xor_b32_e32 v212, 0x80000000, v225
	v_xor_b32_e32 v214, 0x80000000, v227
	s_delay_alu instid0(VALU_DEP_2) | instskip(NEXT) | instid1(VALU_DEP_2)
	v_cndmask_b32_e32 v213, v225, v212, vcc_lo
	v_cndmask_b32_e64 v215, v227, v214, s2
	v_cndmask_b32_e32 v212, v224, v224, vcc_lo
	v_cndmask_b32_e64 v214, v226, v226, s2
	s_mov_b32 s2, exec_lo
	s_delay_alu instid0(VALU_DEP_1)
	v_cmpx_ngt_f64_e32 v[212:213], v[214:215]
	s_xor_b32 s2, exec_lo, s2
	s_cbranch_execz .LBB110_491
; %bb.490:
	v_div_scale_f64 v[212:213], null, v[226:227], v[226:227], v[224:225]
	v_div_scale_f64 v[218:219], vcc_lo, v[224:225], v[226:227], v[224:225]
	s_delay_alu instid0(VALU_DEP_2) | instskip(SKIP_2) | instid1(VALU_DEP_1)
	v_rcp_f64_e32 v[214:215], v[212:213]
	s_waitcnt_depctr 0xfff
	v_fma_f64 v[216:217], -v[212:213], v[214:215], 1.0
	v_fma_f64 v[214:215], v[214:215], v[216:217], v[214:215]
	s_delay_alu instid0(VALU_DEP_1) | instskip(NEXT) | instid1(VALU_DEP_1)
	v_fma_f64 v[216:217], -v[212:213], v[214:215], 1.0
	v_fma_f64 v[214:215], v[214:215], v[216:217], v[214:215]
	s_delay_alu instid0(VALU_DEP_1) | instskip(NEXT) | instid1(VALU_DEP_1)
	v_mul_f64 v[216:217], v[218:219], v[214:215]
	v_fma_f64 v[212:213], -v[212:213], v[216:217], v[218:219]
	s_delay_alu instid0(VALU_DEP_1) | instskip(NEXT) | instid1(VALU_DEP_1)
	v_div_fmas_f64 v[212:213], v[212:213], v[214:215], v[216:217]
	v_div_fixup_f64 v[212:213], v[212:213], v[226:227], v[224:225]
	s_delay_alu instid0(VALU_DEP_1) | instskip(NEXT) | instid1(VALU_DEP_1)
	v_fma_f64 v[214:215], v[224:225], v[212:213], v[226:227]
	v_div_scale_f64 v[216:217], null, v[214:215], v[214:215], 1.0
	s_delay_alu instid0(VALU_DEP_1) | instskip(SKIP_2) | instid1(VALU_DEP_1)
	v_rcp_f64_e32 v[218:219], v[216:217]
	s_waitcnt_depctr 0xfff
	v_fma_f64 v[220:221], -v[216:217], v[218:219], 1.0
	v_fma_f64 v[218:219], v[218:219], v[220:221], v[218:219]
	s_delay_alu instid0(VALU_DEP_1) | instskip(NEXT) | instid1(VALU_DEP_1)
	v_fma_f64 v[220:221], -v[216:217], v[218:219], 1.0
	v_fma_f64 v[218:219], v[218:219], v[220:221], v[218:219]
	v_div_scale_f64 v[220:221], vcc_lo, 1.0, v[214:215], 1.0
	s_delay_alu instid0(VALU_DEP_1) | instskip(NEXT) | instid1(VALU_DEP_1)
	v_mul_f64 v[222:223], v[220:221], v[218:219]
	v_fma_f64 v[216:217], -v[216:217], v[222:223], v[220:221]
	s_delay_alu instid0(VALU_DEP_1) | instskip(NEXT) | instid1(VALU_DEP_1)
	v_div_fmas_f64 v[216:217], v[216:217], v[218:219], v[222:223]
	v_div_fixup_f64 v[226:227], v[216:217], v[214:215], 1.0
	s_delay_alu instid0(VALU_DEP_1)
	v_mul_f64 v[224:225], v[212:213], v[226:227]
	v_xor_b32_e32 v227, 0x80000000, v227
.LBB110_491:
	s_and_not1_saveexec_b32 s2, s2
	s_cbranch_execz .LBB110_493
; %bb.492:
	s_delay_alu instid0(VALU_DEP_1) | instskip(SKIP_1) | instid1(VALU_DEP_2)
	v_div_scale_f64 v[212:213], null, v[224:225], v[224:225], v[226:227]
	v_div_scale_f64 v[218:219], vcc_lo, v[226:227], v[224:225], v[226:227]
	v_rcp_f64_e32 v[214:215], v[212:213]
	s_waitcnt_depctr 0xfff
	v_fma_f64 v[216:217], -v[212:213], v[214:215], 1.0
	s_delay_alu instid0(VALU_DEP_1) | instskip(NEXT) | instid1(VALU_DEP_1)
	v_fma_f64 v[214:215], v[214:215], v[216:217], v[214:215]
	v_fma_f64 v[216:217], -v[212:213], v[214:215], 1.0
	s_delay_alu instid0(VALU_DEP_1) | instskip(NEXT) | instid1(VALU_DEP_1)
	v_fma_f64 v[214:215], v[214:215], v[216:217], v[214:215]
	v_mul_f64 v[216:217], v[218:219], v[214:215]
	s_delay_alu instid0(VALU_DEP_1) | instskip(NEXT) | instid1(VALU_DEP_1)
	v_fma_f64 v[212:213], -v[212:213], v[216:217], v[218:219]
	v_div_fmas_f64 v[212:213], v[212:213], v[214:215], v[216:217]
	s_delay_alu instid0(VALU_DEP_1) | instskip(NEXT) | instid1(VALU_DEP_1)
	v_div_fixup_f64 v[212:213], v[212:213], v[224:225], v[226:227]
	v_fma_f64 v[214:215], v[226:227], v[212:213], v[224:225]
	s_delay_alu instid0(VALU_DEP_1) | instskip(NEXT) | instid1(VALU_DEP_1)
	v_div_scale_f64 v[216:217], null, v[214:215], v[214:215], 1.0
	v_rcp_f64_e32 v[218:219], v[216:217]
	s_waitcnt_depctr 0xfff
	v_fma_f64 v[220:221], -v[216:217], v[218:219], 1.0
	s_delay_alu instid0(VALU_DEP_1) | instskip(NEXT) | instid1(VALU_DEP_1)
	v_fma_f64 v[218:219], v[218:219], v[220:221], v[218:219]
	v_fma_f64 v[220:221], -v[216:217], v[218:219], 1.0
	s_delay_alu instid0(VALU_DEP_1) | instskip(SKIP_1) | instid1(VALU_DEP_1)
	v_fma_f64 v[218:219], v[218:219], v[220:221], v[218:219]
	v_div_scale_f64 v[220:221], vcc_lo, 1.0, v[214:215], 1.0
	v_mul_f64 v[222:223], v[220:221], v[218:219]
	s_delay_alu instid0(VALU_DEP_1) | instskip(NEXT) | instid1(VALU_DEP_1)
	v_fma_f64 v[216:217], -v[216:217], v[222:223], v[220:221]
	v_div_fmas_f64 v[216:217], v[216:217], v[218:219], v[222:223]
	s_delay_alu instid0(VALU_DEP_1) | instskip(NEXT) | instid1(VALU_DEP_1)
	v_div_fixup_f64 v[224:225], v[216:217], v[214:215], 1.0
	v_mul_f64 v[226:227], v[212:213], -v[224:225]
.LBB110_493:
	s_or_b32 exec_lo, exec_lo, s2
.LBB110_494:
	s_delay_alu instid0(SALU_CYCLE_1) | instskip(NEXT) | instid1(SALU_CYCLE_1)
	s_or_b32 exec_lo, exec_lo, s3
	s_mov_b32 s2, exec_lo
	v_cmpx_ne_u32_e64 v240, v232
	s_xor_b32 s2, exec_lo, s2
	s_cbranch_execz .LBB110_500
; %bb.495:
	s_mov_b32 s3, exec_lo
	v_cmpx_eq_u32_e32 23, v240
	s_cbranch_execz .LBB110_499
; %bb.496:
	v_cmp_ne_u32_e32 vcc_lo, 23, v232
	s_xor_b32 s6, s4, -1
	s_delay_alu instid0(SALU_CYCLE_1) | instskip(NEXT) | instid1(SALU_CYCLE_1)
	s_and_b32 s7, s6, vcc_lo
	s_and_saveexec_b32 s6, s7
	s_cbranch_execz .LBB110_498
; %bb.497:
	scratch_load_b64 v[10:11], off, off     ; 8-byte Folded Reload
	v_ashrrev_i32_e32 v233, 31, v232
	s_delay_alu instid0(VALU_DEP_1) | instskip(SKIP_1) | instid1(VALU_DEP_1)
	v_lshlrev_b64 v[212:213], 2, v[232:233]
	s_waitcnt vmcnt(0)
	v_add_co_u32 v212, vcc_lo, v10, v212
	s_delay_alu instid0(VALU_DEP_2)
	v_add_co_ci_u32_e32 v213, vcc_lo, v11, v213, vcc_lo
	s_clause 0x1
	flat_load_b32 v214, v[212:213]
	flat_load_b32 v215, v[10:11] offset:92
	s_waitcnt vmcnt(1) lgkmcnt(1)
	flat_store_b32 v[10:11], v214 offset:92
	s_waitcnt vmcnt(0) lgkmcnt(1)
	flat_store_b32 v[212:213], v215
.LBB110_498:
	s_or_b32 exec_lo, exec_lo, s6
	v_mov_b32_e32 v240, v232
	v_mov_b32_e32 v239, v232
.LBB110_499:
	s_or_b32 exec_lo, exec_lo, s3
.LBB110_500:
	s_and_not1_saveexec_b32 s2, s2
	s_cbranch_execz .LBB110_502
; %bb.501:
	v_mov_b32_e32 v240, 23
	ds_store_2addr_b64 v234, v[124:125], v[126:127] offset0:48 offset1:49
	ds_store_2addr_b64 v234, v[120:121], v[122:123] offset0:50 offset1:51
	;; [unrolled: 1-line block ×32, first 2 shown]
.LBB110_502:
	s_or_b32 exec_lo, exec_lo, s2
	s_delay_alu instid0(SALU_CYCLE_1)
	s_mov_b32 s2, exec_lo
	s_waitcnt lgkmcnt(0)
	s_waitcnt_vscnt null, 0x0
	s_barrier
	buffer_gl0_inv
	v_cmpx_lt_i32_e32 23, v240
	s_cbranch_execz .LBB110_504
; %bb.503:
	v_mul_f64 v[212:213], v[226:227], v[130:131]
	v_mul_f64 v[130:131], v[224:225], v[130:131]
	s_delay_alu instid0(VALU_DEP_2) | instskip(NEXT) | instid1(VALU_DEP_2)
	v_fma_f64 v[232:233], v[224:225], v[128:129], -v[212:213]
	v_fma_f64 v[130:131], v[226:227], v[128:129], v[130:131]
	ds_load_2addr_b64 v[224:227], v234 offset0:48 offset1:49
	s_waitcnt lgkmcnt(0)
	v_mul_f64 v[128:129], v[226:227], v[130:131]
	v_mul_f64 v[212:213], v[224:225], v[130:131]
	s_delay_alu instid0(VALU_DEP_2) | instskip(NEXT) | instid1(VALU_DEP_2)
	v_fma_f64 v[128:129], v[224:225], v[232:233], -v[128:129]
	v_fma_f64 v[212:213], v[226:227], v[232:233], v[212:213]
	ds_load_2addr_b64 v[224:227], v234 offset0:50 offset1:51
	v_add_f64 v[124:125], v[124:125], -v[128:129]
	v_add_f64 v[126:127], v[126:127], -v[212:213]
	s_waitcnt lgkmcnt(0)
	v_mul_f64 v[128:129], v[226:227], v[130:131]
	v_mul_f64 v[212:213], v[224:225], v[130:131]
	s_delay_alu instid0(VALU_DEP_2) | instskip(NEXT) | instid1(VALU_DEP_2)
	v_fma_f64 v[128:129], v[224:225], v[232:233], -v[128:129]
	v_fma_f64 v[212:213], v[226:227], v[232:233], v[212:213]
	ds_load_2addr_b64 v[224:227], v234 offset0:52 offset1:53
	v_add_f64 v[120:121], v[120:121], -v[128:129]
	v_add_f64 v[122:123], v[122:123], -v[212:213]
	;; [unrolled: 9-line block ×31, first 2 shown]
	s_waitcnt lgkmcnt(0)
	v_mul_f64 v[128:129], v[226:227], v[130:131]
	v_mul_f64 v[212:213], v[224:225], v[130:131]
	s_delay_alu instid0(VALU_DEP_2) | instskip(NEXT) | instid1(VALU_DEP_2)
	v_fma_f64 v[128:129], v[224:225], v[232:233], -v[128:129]
	v_fma_f64 v[212:213], v[226:227], v[232:233], v[212:213]
	s_delay_alu instid0(VALU_DEP_2) | instskip(NEXT) | instid1(VALU_DEP_2)
	v_add_f64 v[0:1], v[0:1], -v[128:129]
	v_add_f64 v[2:3], v[2:3], -v[212:213]
	v_dual_mov_b32 v128, v232 :: v_dual_mov_b32 v129, v233
.LBB110_504:
	s_or_b32 exec_lo, exec_lo, s2
	v_lshl_add_u32 v212, v240, 4, v234
	s_barrier
	buffer_gl0_inv
	v_mov_b32_e32 v232, 24
	ds_store_2addr_b64 v212, v[124:125], v[126:127] offset1:1
	s_waitcnt lgkmcnt(0)
	s_barrier
	buffer_gl0_inv
	ds_load_2addr_b64 v[224:227], v234 offset0:48 offset1:49
	s_cmp_lt_i32 s5, 26
	s_cbranch_scc1 .LBB110_507
; %bb.505:
	v_add3_u32 v233, v238, 0, 0x190
	v_mov_b32_e32 v232, 24
	s_mov_b32 s6, 25
	s_set_inst_prefetch_distance 0x1
	.p2align	6
.LBB110_506:                            ; =>This Inner Loop Header: Depth=1
	ds_load_2addr_b64 v[241:244], v233 offset1:1
	s_waitcnt lgkmcnt(1)
	v_cmp_gt_f64_e32 vcc_lo, 0, v[224:225]
	v_xor_b32_e32 v212, 0x80000000, v225
	v_cmp_gt_f64_e64 s2, 0, v[226:227]
	v_xor_b32_e32 v214, 0x80000000, v227
	v_add_nc_u32_e32 v233, 16, v233
	s_waitcnt lgkmcnt(0)
	v_cmp_gt_f64_e64 s3, 0, v[241:242]
	v_mov_b32_e32 v216, v241
	v_dual_mov_b32 v218, v243 :: v_dual_cndmask_b32 v213, v225, v212
	v_xor_b32_e32 v212, 0x80000000, v242
	v_cndmask_b32_e64 v215, v227, v214, s2
	v_xor_b32_e32 v214, 0x80000000, v244
	s_delay_alu instid0(VALU_DEP_3) | instskip(SKIP_2) | instid1(VALU_DEP_2)
	v_cndmask_b32_e64 v217, v242, v212, s3
	v_cmp_gt_f64_e64 s3, 0, v[243:244]
	v_cndmask_b32_e32 v212, v224, v224, vcc_lo
	v_cndmask_b32_e64 v219, v244, v214, s3
	v_cndmask_b32_e64 v214, v226, v226, s2
	s_delay_alu instid0(VALU_DEP_2) | instskip(NEXT) | instid1(VALU_DEP_2)
	v_add_f64 v[216:217], v[216:217], v[218:219]
	v_add_f64 v[212:213], v[212:213], v[214:215]
	s_delay_alu instid0(VALU_DEP_1) | instskip(SKIP_4) | instid1(SALU_CYCLE_1)
	v_cmp_lt_f64_e32 vcc_lo, v[212:213], v[216:217]
	v_dual_cndmask_b32 v225, v225, v242 :: v_dual_cndmask_b32 v224, v224, v241
	v_dual_cndmask_b32 v227, v227, v244 :: v_dual_cndmask_b32 v226, v226, v243
	v_cndmask_b32_e64 v232, v232, s6, vcc_lo
	s_add_i32 s6, s6, 1
	s_cmp_lg_u32 s5, s6
	s_cbranch_scc1 .LBB110_506
.LBB110_507:
	s_set_inst_prefetch_distance 0x2
	s_waitcnt lgkmcnt(0)
	v_cmp_eq_f64_e32 vcc_lo, 0, v[224:225]
	v_cmp_eq_f64_e64 s2, 0, v[226:227]
	s_delay_alu instid0(VALU_DEP_1) | instskip(NEXT) | instid1(SALU_CYCLE_1)
	s_and_b32 s2, vcc_lo, s2
	s_and_saveexec_b32 s3, s2
	s_delay_alu instid0(SALU_CYCLE_1)
	s_xor_b32 s2, exec_lo, s3
; %bb.508:
	v_cmp_ne_u32_e32 vcc_lo, 0, v237
	v_cndmask_b32_e32 v237, 25, v237, vcc_lo
; %bb.509:
	s_and_not1_saveexec_b32 s3, s2
	s_cbranch_execz .LBB110_515
; %bb.510:
	v_cmp_gt_f64_e32 vcc_lo, 0, v[224:225]
	v_cmp_gt_f64_e64 s2, 0, v[226:227]
	v_xor_b32_e32 v212, 0x80000000, v225
	v_xor_b32_e32 v214, 0x80000000, v227
	s_delay_alu instid0(VALU_DEP_2) | instskip(NEXT) | instid1(VALU_DEP_2)
	v_cndmask_b32_e32 v213, v225, v212, vcc_lo
	v_cndmask_b32_e64 v215, v227, v214, s2
	v_cndmask_b32_e32 v212, v224, v224, vcc_lo
	v_cndmask_b32_e64 v214, v226, v226, s2
	s_mov_b32 s2, exec_lo
	s_delay_alu instid0(VALU_DEP_1)
	v_cmpx_ngt_f64_e32 v[212:213], v[214:215]
	s_xor_b32 s2, exec_lo, s2
	s_cbranch_execz .LBB110_512
; %bb.511:
	v_div_scale_f64 v[212:213], null, v[226:227], v[226:227], v[224:225]
	v_div_scale_f64 v[218:219], vcc_lo, v[224:225], v[226:227], v[224:225]
	s_delay_alu instid0(VALU_DEP_2) | instskip(SKIP_2) | instid1(VALU_DEP_1)
	v_rcp_f64_e32 v[214:215], v[212:213]
	s_waitcnt_depctr 0xfff
	v_fma_f64 v[216:217], -v[212:213], v[214:215], 1.0
	v_fma_f64 v[214:215], v[214:215], v[216:217], v[214:215]
	s_delay_alu instid0(VALU_DEP_1) | instskip(NEXT) | instid1(VALU_DEP_1)
	v_fma_f64 v[216:217], -v[212:213], v[214:215], 1.0
	v_fma_f64 v[214:215], v[214:215], v[216:217], v[214:215]
	s_delay_alu instid0(VALU_DEP_1) | instskip(NEXT) | instid1(VALU_DEP_1)
	v_mul_f64 v[216:217], v[218:219], v[214:215]
	v_fma_f64 v[212:213], -v[212:213], v[216:217], v[218:219]
	s_delay_alu instid0(VALU_DEP_1) | instskip(NEXT) | instid1(VALU_DEP_1)
	v_div_fmas_f64 v[212:213], v[212:213], v[214:215], v[216:217]
	v_div_fixup_f64 v[212:213], v[212:213], v[226:227], v[224:225]
	s_delay_alu instid0(VALU_DEP_1) | instskip(NEXT) | instid1(VALU_DEP_1)
	v_fma_f64 v[214:215], v[224:225], v[212:213], v[226:227]
	v_div_scale_f64 v[216:217], null, v[214:215], v[214:215], 1.0
	s_delay_alu instid0(VALU_DEP_1) | instskip(SKIP_2) | instid1(VALU_DEP_1)
	v_rcp_f64_e32 v[218:219], v[216:217]
	s_waitcnt_depctr 0xfff
	v_fma_f64 v[220:221], -v[216:217], v[218:219], 1.0
	v_fma_f64 v[218:219], v[218:219], v[220:221], v[218:219]
	s_delay_alu instid0(VALU_DEP_1) | instskip(NEXT) | instid1(VALU_DEP_1)
	v_fma_f64 v[220:221], -v[216:217], v[218:219], 1.0
	v_fma_f64 v[218:219], v[218:219], v[220:221], v[218:219]
	v_div_scale_f64 v[220:221], vcc_lo, 1.0, v[214:215], 1.0
	s_delay_alu instid0(VALU_DEP_1) | instskip(NEXT) | instid1(VALU_DEP_1)
	v_mul_f64 v[222:223], v[220:221], v[218:219]
	v_fma_f64 v[216:217], -v[216:217], v[222:223], v[220:221]
	s_delay_alu instid0(VALU_DEP_1) | instskip(NEXT) | instid1(VALU_DEP_1)
	v_div_fmas_f64 v[216:217], v[216:217], v[218:219], v[222:223]
	v_div_fixup_f64 v[226:227], v[216:217], v[214:215], 1.0
	s_delay_alu instid0(VALU_DEP_1)
	v_mul_f64 v[224:225], v[212:213], v[226:227]
	v_xor_b32_e32 v227, 0x80000000, v227
.LBB110_512:
	s_and_not1_saveexec_b32 s2, s2
	s_cbranch_execz .LBB110_514
; %bb.513:
	s_delay_alu instid0(VALU_DEP_1) | instskip(SKIP_1) | instid1(VALU_DEP_2)
	v_div_scale_f64 v[212:213], null, v[224:225], v[224:225], v[226:227]
	v_div_scale_f64 v[218:219], vcc_lo, v[226:227], v[224:225], v[226:227]
	v_rcp_f64_e32 v[214:215], v[212:213]
	s_waitcnt_depctr 0xfff
	v_fma_f64 v[216:217], -v[212:213], v[214:215], 1.0
	s_delay_alu instid0(VALU_DEP_1) | instskip(NEXT) | instid1(VALU_DEP_1)
	v_fma_f64 v[214:215], v[214:215], v[216:217], v[214:215]
	v_fma_f64 v[216:217], -v[212:213], v[214:215], 1.0
	s_delay_alu instid0(VALU_DEP_1) | instskip(NEXT) | instid1(VALU_DEP_1)
	v_fma_f64 v[214:215], v[214:215], v[216:217], v[214:215]
	v_mul_f64 v[216:217], v[218:219], v[214:215]
	s_delay_alu instid0(VALU_DEP_1) | instskip(NEXT) | instid1(VALU_DEP_1)
	v_fma_f64 v[212:213], -v[212:213], v[216:217], v[218:219]
	v_div_fmas_f64 v[212:213], v[212:213], v[214:215], v[216:217]
	s_delay_alu instid0(VALU_DEP_1) | instskip(NEXT) | instid1(VALU_DEP_1)
	v_div_fixup_f64 v[212:213], v[212:213], v[224:225], v[226:227]
	v_fma_f64 v[214:215], v[226:227], v[212:213], v[224:225]
	s_delay_alu instid0(VALU_DEP_1) | instskip(NEXT) | instid1(VALU_DEP_1)
	v_div_scale_f64 v[216:217], null, v[214:215], v[214:215], 1.0
	v_rcp_f64_e32 v[218:219], v[216:217]
	s_waitcnt_depctr 0xfff
	v_fma_f64 v[220:221], -v[216:217], v[218:219], 1.0
	s_delay_alu instid0(VALU_DEP_1) | instskip(NEXT) | instid1(VALU_DEP_1)
	v_fma_f64 v[218:219], v[218:219], v[220:221], v[218:219]
	v_fma_f64 v[220:221], -v[216:217], v[218:219], 1.0
	s_delay_alu instid0(VALU_DEP_1) | instskip(SKIP_1) | instid1(VALU_DEP_1)
	v_fma_f64 v[218:219], v[218:219], v[220:221], v[218:219]
	v_div_scale_f64 v[220:221], vcc_lo, 1.0, v[214:215], 1.0
	v_mul_f64 v[222:223], v[220:221], v[218:219]
	s_delay_alu instid0(VALU_DEP_1) | instskip(NEXT) | instid1(VALU_DEP_1)
	v_fma_f64 v[216:217], -v[216:217], v[222:223], v[220:221]
	v_div_fmas_f64 v[216:217], v[216:217], v[218:219], v[222:223]
	s_delay_alu instid0(VALU_DEP_1) | instskip(NEXT) | instid1(VALU_DEP_1)
	v_div_fixup_f64 v[224:225], v[216:217], v[214:215], 1.0
	v_mul_f64 v[226:227], v[212:213], -v[224:225]
.LBB110_514:
	s_or_b32 exec_lo, exec_lo, s2
.LBB110_515:
	s_delay_alu instid0(SALU_CYCLE_1) | instskip(NEXT) | instid1(SALU_CYCLE_1)
	s_or_b32 exec_lo, exec_lo, s3
	s_mov_b32 s2, exec_lo
	v_cmpx_ne_u32_e64 v240, v232
	s_xor_b32 s2, exec_lo, s2
	s_cbranch_execz .LBB110_521
; %bb.516:
	s_mov_b32 s3, exec_lo
	v_cmpx_eq_u32_e32 24, v240
	s_cbranch_execz .LBB110_520
; %bb.517:
	v_cmp_ne_u32_e32 vcc_lo, 24, v232
	s_xor_b32 s6, s4, -1
	s_delay_alu instid0(SALU_CYCLE_1) | instskip(NEXT) | instid1(SALU_CYCLE_1)
	s_and_b32 s7, s6, vcc_lo
	s_and_saveexec_b32 s6, s7
	s_cbranch_execz .LBB110_519
; %bb.518:
	scratch_load_b64 v[10:11], off, off     ; 8-byte Folded Reload
	v_ashrrev_i32_e32 v233, 31, v232
	s_delay_alu instid0(VALU_DEP_1) | instskip(SKIP_1) | instid1(VALU_DEP_1)
	v_lshlrev_b64 v[212:213], 2, v[232:233]
	s_waitcnt vmcnt(0)
	v_add_co_u32 v212, vcc_lo, v10, v212
	s_delay_alu instid0(VALU_DEP_2)
	v_add_co_ci_u32_e32 v213, vcc_lo, v11, v213, vcc_lo
	s_clause 0x1
	flat_load_b32 v214, v[212:213]
	flat_load_b32 v215, v[10:11] offset:96
	s_waitcnt vmcnt(1) lgkmcnt(1)
	flat_store_b32 v[10:11], v214 offset:96
	s_waitcnt vmcnt(0) lgkmcnt(1)
	flat_store_b32 v[212:213], v215
.LBB110_519:
	s_or_b32 exec_lo, exec_lo, s6
	v_mov_b32_e32 v240, v232
	v_mov_b32_e32 v239, v232
.LBB110_520:
	s_or_b32 exec_lo, exec_lo, s3
.LBB110_521:
	s_and_not1_saveexec_b32 s2, s2
	s_cbranch_execz .LBB110_523
; %bb.522:
	v_mov_b32_e32 v240, 24
	ds_store_2addr_b64 v234, v[120:121], v[122:123] offset0:50 offset1:51
	ds_store_2addr_b64 v234, v[116:117], v[118:119] offset0:52 offset1:53
	;; [unrolled: 1-line block ×31, first 2 shown]
.LBB110_523:
	s_or_b32 exec_lo, exec_lo, s2
	s_delay_alu instid0(SALU_CYCLE_1)
	s_mov_b32 s2, exec_lo
	s_waitcnt lgkmcnt(0)
	s_waitcnt_vscnt null, 0x0
	s_barrier
	buffer_gl0_inv
	v_cmpx_lt_i32_e32 24, v240
	s_cbranch_execz .LBB110_525
; %bb.524:
	v_mul_f64 v[212:213], v[226:227], v[126:127]
	v_mul_f64 v[126:127], v[224:225], v[126:127]
	s_delay_alu instid0(VALU_DEP_2) | instskip(NEXT) | instid1(VALU_DEP_2)
	v_fma_f64 v[232:233], v[224:225], v[124:125], -v[212:213]
	v_fma_f64 v[126:127], v[226:227], v[124:125], v[126:127]
	ds_load_2addr_b64 v[224:227], v234 offset0:50 offset1:51
	s_waitcnt lgkmcnt(0)
	v_mul_f64 v[124:125], v[226:227], v[126:127]
	v_mul_f64 v[212:213], v[224:225], v[126:127]
	s_delay_alu instid0(VALU_DEP_2) | instskip(NEXT) | instid1(VALU_DEP_2)
	v_fma_f64 v[124:125], v[224:225], v[232:233], -v[124:125]
	v_fma_f64 v[212:213], v[226:227], v[232:233], v[212:213]
	ds_load_2addr_b64 v[224:227], v234 offset0:52 offset1:53
	v_add_f64 v[120:121], v[120:121], -v[124:125]
	v_add_f64 v[122:123], v[122:123], -v[212:213]
	s_waitcnt lgkmcnt(0)
	v_mul_f64 v[124:125], v[226:227], v[126:127]
	v_mul_f64 v[212:213], v[224:225], v[126:127]
	s_delay_alu instid0(VALU_DEP_2) | instskip(NEXT) | instid1(VALU_DEP_2)
	v_fma_f64 v[124:125], v[224:225], v[232:233], -v[124:125]
	v_fma_f64 v[212:213], v[226:227], v[232:233], v[212:213]
	ds_load_2addr_b64 v[224:227], v234 offset0:54 offset1:55
	v_add_f64 v[116:117], v[116:117], -v[124:125]
	v_add_f64 v[118:119], v[118:119], -v[212:213]
	;; [unrolled: 9-line block ×30, first 2 shown]
	s_waitcnt lgkmcnt(0)
	v_mul_f64 v[124:125], v[226:227], v[126:127]
	v_mul_f64 v[212:213], v[224:225], v[126:127]
	s_delay_alu instid0(VALU_DEP_2) | instskip(NEXT) | instid1(VALU_DEP_2)
	v_fma_f64 v[124:125], v[224:225], v[232:233], -v[124:125]
	v_fma_f64 v[212:213], v[226:227], v[232:233], v[212:213]
	s_delay_alu instid0(VALU_DEP_2) | instskip(NEXT) | instid1(VALU_DEP_2)
	v_add_f64 v[0:1], v[0:1], -v[124:125]
	v_add_f64 v[2:3], v[2:3], -v[212:213]
	v_dual_mov_b32 v124, v232 :: v_dual_mov_b32 v125, v233
.LBB110_525:
	s_or_b32 exec_lo, exec_lo, s2
	v_lshl_add_u32 v212, v240, 4, v234
	s_barrier
	buffer_gl0_inv
	v_mov_b32_e32 v232, 25
	ds_store_2addr_b64 v212, v[120:121], v[122:123] offset1:1
	s_waitcnt lgkmcnt(0)
	s_barrier
	buffer_gl0_inv
	ds_load_2addr_b64 v[224:227], v234 offset0:50 offset1:51
	s_cmp_lt_i32 s5, 27
	s_cbranch_scc1 .LBB110_528
; %bb.526:
	v_add3_u32 v233, v238, 0, 0x1a0
	v_mov_b32_e32 v232, 25
	s_mov_b32 s6, 26
	s_set_inst_prefetch_distance 0x1
	.p2align	6
.LBB110_527:                            ; =>This Inner Loop Header: Depth=1
	ds_load_2addr_b64 v[241:244], v233 offset1:1
	s_waitcnt lgkmcnt(1)
	v_cmp_gt_f64_e32 vcc_lo, 0, v[224:225]
	v_xor_b32_e32 v212, 0x80000000, v225
	v_cmp_gt_f64_e64 s2, 0, v[226:227]
	v_xor_b32_e32 v214, 0x80000000, v227
	v_add_nc_u32_e32 v233, 16, v233
	s_waitcnt lgkmcnt(0)
	v_cmp_gt_f64_e64 s3, 0, v[241:242]
	v_mov_b32_e32 v216, v241
	v_dual_mov_b32 v218, v243 :: v_dual_cndmask_b32 v213, v225, v212
	v_xor_b32_e32 v212, 0x80000000, v242
	v_cndmask_b32_e64 v215, v227, v214, s2
	v_xor_b32_e32 v214, 0x80000000, v244
	s_delay_alu instid0(VALU_DEP_3) | instskip(SKIP_2) | instid1(VALU_DEP_2)
	v_cndmask_b32_e64 v217, v242, v212, s3
	v_cmp_gt_f64_e64 s3, 0, v[243:244]
	v_cndmask_b32_e32 v212, v224, v224, vcc_lo
	v_cndmask_b32_e64 v219, v244, v214, s3
	v_cndmask_b32_e64 v214, v226, v226, s2
	s_delay_alu instid0(VALU_DEP_2) | instskip(NEXT) | instid1(VALU_DEP_2)
	v_add_f64 v[216:217], v[216:217], v[218:219]
	v_add_f64 v[212:213], v[212:213], v[214:215]
	s_delay_alu instid0(VALU_DEP_1) | instskip(SKIP_4) | instid1(SALU_CYCLE_1)
	v_cmp_lt_f64_e32 vcc_lo, v[212:213], v[216:217]
	v_dual_cndmask_b32 v225, v225, v242 :: v_dual_cndmask_b32 v224, v224, v241
	v_dual_cndmask_b32 v227, v227, v244 :: v_dual_cndmask_b32 v226, v226, v243
	v_cndmask_b32_e64 v232, v232, s6, vcc_lo
	s_add_i32 s6, s6, 1
	s_cmp_lg_u32 s5, s6
	s_cbranch_scc1 .LBB110_527
.LBB110_528:
	s_set_inst_prefetch_distance 0x2
	s_waitcnt lgkmcnt(0)
	v_cmp_eq_f64_e32 vcc_lo, 0, v[224:225]
	v_cmp_eq_f64_e64 s2, 0, v[226:227]
	s_delay_alu instid0(VALU_DEP_1) | instskip(NEXT) | instid1(SALU_CYCLE_1)
	s_and_b32 s2, vcc_lo, s2
	s_and_saveexec_b32 s3, s2
	s_delay_alu instid0(SALU_CYCLE_1)
	s_xor_b32 s2, exec_lo, s3
; %bb.529:
	v_cmp_ne_u32_e32 vcc_lo, 0, v237
	v_cndmask_b32_e32 v237, 26, v237, vcc_lo
; %bb.530:
	s_and_not1_saveexec_b32 s3, s2
	s_cbranch_execz .LBB110_536
; %bb.531:
	v_cmp_gt_f64_e32 vcc_lo, 0, v[224:225]
	v_cmp_gt_f64_e64 s2, 0, v[226:227]
	v_xor_b32_e32 v212, 0x80000000, v225
	v_xor_b32_e32 v214, 0x80000000, v227
	s_delay_alu instid0(VALU_DEP_2) | instskip(NEXT) | instid1(VALU_DEP_2)
	v_cndmask_b32_e32 v213, v225, v212, vcc_lo
	v_cndmask_b32_e64 v215, v227, v214, s2
	v_cndmask_b32_e32 v212, v224, v224, vcc_lo
	v_cndmask_b32_e64 v214, v226, v226, s2
	s_mov_b32 s2, exec_lo
	s_delay_alu instid0(VALU_DEP_1)
	v_cmpx_ngt_f64_e32 v[212:213], v[214:215]
	s_xor_b32 s2, exec_lo, s2
	s_cbranch_execz .LBB110_533
; %bb.532:
	v_div_scale_f64 v[212:213], null, v[226:227], v[226:227], v[224:225]
	v_div_scale_f64 v[218:219], vcc_lo, v[224:225], v[226:227], v[224:225]
	s_delay_alu instid0(VALU_DEP_2) | instskip(SKIP_2) | instid1(VALU_DEP_1)
	v_rcp_f64_e32 v[214:215], v[212:213]
	s_waitcnt_depctr 0xfff
	v_fma_f64 v[216:217], -v[212:213], v[214:215], 1.0
	v_fma_f64 v[214:215], v[214:215], v[216:217], v[214:215]
	s_delay_alu instid0(VALU_DEP_1) | instskip(NEXT) | instid1(VALU_DEP_1)
	v_fma_f64 v[216:217], -v[212:213], v[214:215], 1.0
	v_fma_f64 v[214:215], v[214:215], v[216:217], v[214:215]
	s_delay_alu instid0(VALU_DEP_1) | instskip(NEXT) | instid1(VALU_DEP_1)
	v_mul_f64 v[216:217], v[218:219], v[214:215]
	v_fma_f64 v[212:213], -v[212:213], v[216:217], v[218:219]
	s_delay_alu instid0(VALU_DEP_1) | instskip(NEXT) | instid1(VALU_DEP_1)
	v_div_fmas_f64 v[212:213], v[212:213], v[214:215], v[216:217]
	v_div_fixup_f64 v[212:213], v[212:213], v[226:227], v[224:225]
	s_delay_alu instid0(VALU_DEP_1) | instskip(NEXT) | instid1(VALU_DEP_1)
	v_fma_f64 v[214:215], v[224:225], v[212:213], v[226:227]
	v_div_scale_f64 v[216:217], null, v[214:215], v[214:215], 1.0
	s_delay_alu instid0(VALU_DEP_1) | instskip(SKIP_2) | instid1(VALU_DEP_1)
	v_rcp_f64_e32 v[218:219], v[216:217]
	s_waitcnt_depctr 0xfff
	v_fma_f64 v[220:221], -v[216:217], v[218:219], 1.0
	v_fma_f64 v[218:219], v[218:219], v[220:221], v[218:219]
	s_delay_alu instid0(VALU_DEP_1) | instskip(NEXT) | instid1(VALU_DEP_1)
	v_fma_f64 v[220:221], -v[216:217], v[218:219], 1.0
	v_fma_f64 v[218:219], v[218:219], v[220:221], v[218:219]
	v_div_scale_f64 v[220:221], vcc_lo, 1.0, v[214:215], 1.0
	s_delay_alu instid0(VALU_DEP_1) | instskip(NEXT) | instid1(VALU_DEP_1)
	v_mul_f64 v[222:223], v[220:221], v[218:219]
	v_fma_f64 v[216:217], -v[216:217], v[222:223], v[220:221]
	s_delay_alu instid0(VALU_DEP_1) | instskip(NEXT) | instid1(VALU_DEP_1)
	v_div_fmas_f64 v[216:217], v[216:217], v[218:219], v[222:223]
	v_div_fixup_f64 v[226:227], v[216:217], v[214:215], 1.0
	s_delay_alu instid0(VALU_DEP_1)
	v_mul_f64 v[224:225], v[212:213], v[226:227]
	v_xor_b32_e32 v227, 0x80000000, v227
.LBB110_533:
	s_and_not1_saveexec_b32 s2, s2
	s_cbranch_execz .LBB110_535
; %bb.534:
	s_delay_alu instid0(VALU_DEP_1) | instskip(SKIP_1) | instid1(VALU_DEP_2)
	v_div_scale_f64 v[212:213], null, v[224:225], v[224:225], v[226:227]
	v_div_scale_f64 v[218:219], vcc_lo, v[226:227], v[224:225], v[226:227]
	v_rcp_f64_e32 v[214:215], v[212:213]
	s_waitcnt_depctr 0xfff
	v_fma_f64 v[216:217], -v[212:213], v[214:215], 1.0
	s_delay_alu instid0(VALU_DEP_1) | instskip(NEXT) | instid1(VALU_DEP_1)
	v_fma_f64 v[214:215], v[214:215], v[216:217], v[214:215]
	v_fma_f64 v[216:217], -v[212:213], v[214:215], 1.0
	s_delay_alu instid0(VALU_DEP_1) | instskip(NEXT) | instid1(VALU_DEP_1)
	v_fma_f64 v[214:215], v[214:215], v[216:217], v[214:215]
	v_mul_f64 v[216:217], v[218:219], v[214:215]
	s_delay_alu instid0(VALU_DEP_1) | instskip(NEXT) | instid1(VALU_DEP_1)
	v_fma_f64 v[212:213], -v[212:213], v[216:217], v[218:219]
	v_div_fmas_f64 v[212:213], v[212:213], v[214:215], v[216:217]
	s_delay_alu instid0(VALU_DEP_1) | instskip(NEXT) | instid1(VALU_DEP_1)
	v_div_fixup_f64 v[212:213], v[212:213], v[224:225], v[226:227]
	v_fma_f64 v[214:215], v[226:227], v[212:213], v[224:225]
	s_delay_alu instid0(VALU_DEP_1) | instskip(NEXT) | instid1(VALU_DEP_1)
	v_div_scale_f64 v[216:217], null, v[214:215], v[214:215], 1.0
	v_rcp_f64_e32 v[218:219], v[216:217]
	s_waitcnt_depctr 0xfff
	v_fma_f64 v[220:221], -v[216:217], v[218:219], 1.0
	s_delay_alu instid0(VALU_DEP_1) | instskip(NEXT) | instid1(VALU_DEP_1)
	v_fma_f64 v[218:219], v[218:219], v[220:221], v[218:219]
	v_fma_f64 v[220:221], -v[216:217], v[218:219], 1.0
	s_delay_alu instid0(VALU_DEP_1) | instskip(SKIP_1) | instid1(VALU_DEP_1)
	v_fma_f64 v[218:219], v[218:219], v[220:221], v[218:219]
	v_div_scale_f64 v[220:221], vcc_lo, 1.0, v[214:215], 1.0
	v_mul_f64 v[222:223], v[220:221], v[218:219]
	s_delay_alu instid0(VALU_DEP_1) | instskip(NEXT) | instid1(VALU_DEP_1)
	v_fma_f64 v[216:217], -v[216:217], v[222:223], v[220:221]
	v_div_fmas_f64 v[216:217], v[216:217], v[218:219], v[222:223]
	s_delay_alu instid0(VALU_DEP_1) | instskip(NEXT) | instid1(VALU_DEP_1)
	v_div_fixup_f64 v[224:225], v[216:217], v[214:215], 1.0
	v_mul_f64 v[226:227], v[212:213], -v[224:225]
.LBB110_535:
	s_or_b32 exec_lo, exec_lo, s2
.LBB110_536:
	s_delay_alu instid0(SALU_CYCLE_1) | instskip(NEXT) | instid1(SALU_CYCLE_1)
	s_or_b32 exec_lo, exec_lo, s3
	s_mov_b32 s2, exec_lo
	v_cmpx_ne_u32_e64 v240, v232
	s_xor_b32 s2, exec_lo, s2
	s_cbranch_execz .LBB110_542
; %bb.537:
	s_mov_b32 s3, exec_lo
	v_cmpx_eq_u32_e32 25, v240
	s_cbranch_execz .LBB110_541
; %bb.538:
	v_cmp_ne_u32_e32 vcc_lo, 25, v232
	s_xor_b32 s6, s4, -1
	s_delay_alu instid0(SALU_CYCLE_1) | instskip(NEXT) | instid1(SALU_CYCLE_1)
	s_and_b32 s7, s6, vcc_lo
	s_and_saveexec_b32 s6, s7
	s_cbranch_execz .LBB110_540
; %bb.539:
	scratch_load_b64 v[10:11], off, off     ; 8-byte Folded Reload
	v_ashrrev_i32_e32 v233, 31, v232
	s_delay_alu instid0(VALU_DEP_1) | instskip(SKIP_1) | instid1(VALU_DEP_1)
	v_lshlrev_b64 v[212:213], 2, v[232:233]
	s_waitcnt vmcnt(0)
	v_add_co_u32 v212, vcc_lo, v10, v212
	s_delay_alu instid0(VALU_DEP_2)
	v_add_co_ci_u32_e32 v213, vcc_lo, v11, v213, vcc_lo
	s_clause 0x1
	flat_load_b32 v214, v[212:213]
	flat_load_b32 v215, v[10:11] offset:100
	s_waitcnt vmcnt(1) lgkmcnt(1)
	flat_store_b32 v[10:11], v214 offset:100
	s_waitcnt vmcnt(0) lgkmcnt(1)
	flat_store_b32 v[212:213], v215
.LBB110_540:
	s_or_b32 exec_lo, exec_lo, s6
	v_mov_b32_e32 v240, v232
	v_mov_b32_e32 v239, v232
.LBB110_541:
	s_or_b32 exec_lo, exec_lo, s3
.LBB110_542:
	s_and_not1_saveexec_b32 s2, s2
	s_cbranch_execz .LBB110_544
; %bb.543:
	v_mov_b32_e32 v240, 25
	ds_store_2addr_b64 v234, v[116:117], v[118:119] offset0:52 offset1:53
	ds_store_2addr_b64 v234, v[112:113], v[114:115] offset0:54 offset1:55
	;; [unrolled: 1-line block ×30, first 2 shown]
.LBB110_544:
	s_or_b32 exec_lo, exec_lo, s2
	s_delay_alu instid0(SALU_CYCLE_1)
	s_mov_b32 s2, exec_lo
	s_waitcnt lgkmcnt(0)
	s_waitcnt_vscnt null, 0x0
	s_barrier
	buffer_gl0_inv
	v_cmpx_lt_i32_e32 25, v240
	s_cbranch_execz .LBB110_546
; %bb.545:
	v_mul_f64 v[212:213], v[226:227], v[122:123]
	v_mul_f64 v[122:123], v[224:225], v[122:123]
	s_delay_alu instid0(VALU_DEP_2) | instskip(NEXT) | instid1(VALU_DEP_2)
	v_fma_f64 v[232:233], v[224:225], v[120:121], -v[212:213]
	v_fma_f64 v[122:123], v[226:227], v[120:121], v[122:123]
	ds_load_2addr_b64 v[224:227], v234 offset0:52 offset1:53
	s_waitcnt lgkmcnt(0)
	v_mul_f64 v[120:121], v[226:227], v[122:123]
	v_mul_f64 v[212:213], v[224:225], v[122:123]
	s_delay_alu instid0(VALU_DEP_2) | instskip(NEXT) | instid1(VALU_DEP_2)
	v_fma_f64 v[120:121], v[224:225], v[232:233], -v[120:121]
	v_fma_f64 v[212:213], v[226:227], v[232:233], v[212:213]
	ds_load_2addr_b64 v[224:227], v234 offset0:54 offset1:55
	v_add_f64 v[116:117], v[116:117], -v[120:121]
	v_add_f64 v[118:119], v[118:119], -v[212:213]
	s_waitcnt lgkmcnt(0)
	v_mul_f64 v[120:121], v[226:227], v[122:123]
	v_mul_f64 v[212:213], v[224:225], v[122:123]
	s_delay_alu instid0(VALU_DEP_2) | instskip(NEXT) | instid1(VALU_DEP_2)
	v_fma_f64 v[120:121], v[224:225], v[232:233], -v[120:121]
	v_fma_f64 v[212:213], v[226:227], v[232:233], v[212:213]
	ds_load_2addr_b64 v[224:227], v234 offset0:56 offset1:57
	v_add_f64 v[112:113], v[112:113], -v[120:121]
	v_add_f64 v[114:115], v[114:115], -v[212:213]
	;; [unrolled: 9-line block ×29, first 2 shown]
	s_waitcnt lgkmcnt(0)
	v_mul_f64 v[120:121], v[226:227], v[122:123]
	v_mul_f64 v[212:213], v[224:225], v[122:123]
	s_delay_alu instid0(VALU_DEP_2) | instskip(NEXT) | instid1(VALU_DEP_2)
	v_fma_f64 v[120:121], v[224:225], v[232:233], -v[120:121]
	v_fma_f64 v[212:213], v[226:227], v[232:233], v[212:213]
	s_delay_alu instid0(VALU_DEP_2) | instskip(NEXT) | instid1(VALU_DEP_2)
	v_add_f64 v[0:1], v[0:1], -v[120:121]
	v_add_f64 v[2:3], v[2:3], -v[212:213]
	v_dual_mov_b32 v120, v232 :: v_dual_mov_b32 v121, v233
.LBB110_546:
	s_or_b32 exec_lo, exec_lo, s2
	v_lshl_add_u32 v212, v240, 4, v234
	s_barrier
	buffer_gl0_inv
	v_mov_b32_e32 v232, 26
	ds_store_2addr_b64 v212, v[116:117], v[118:119] offset1:1
	s_waitcnt lgkmcnt(0)
	s_barrier
	buffer_gl0_inv
	ds_load_2addr_b64 v[224:227], v234 offset0:52 offset1:53
	s_cmp_lt_i32 s5, 28
	s_cbranch_scc1 .LBB110_549
; %bb.547:
	v_add3_u32 v233, v238, 0, 0x1b0
	v_mov_b32_e32 v232, 26
	s_mov_b32 s6, 27
	s_set_inst_prefetch_distance 0x1
	.p2align	6
.LBB110_548:                            ; =>This Inner Loop Header: Depth=1
	ds_load_2addr_b64 v[241:244], v233 offset1:1
	s_waitcnt lgkmcnt(1)
	v_cmp_gt_f64_e32 vcc_lo, 0, v[224:225]
	v_xor_b32_e32 v212, 0x80000000, v225
	v_cmp_gt_f64_e64 s2, 0, v[226:227]
	v_xor_b32_e32 v214, 0x80000000, v227
	v_add_nc_u32_e32 v233, 16, v233
	s_waitcnt lgkmcnt(0)
	v_cmp_gt_f64_e64 s3, 0, v[241:242]
	v_mov_b32_e32 v216, v241
	v_dual_mov_b32 v218, v243 :: v_dual_cndmask_b32 v213, v225, v212
	v_xor_b32_e32 v212, 0x80000000, v242
	v_cndmask_b32_e64 v215, v227, v214, s2
	v_xor_b32_e32 v214, 0x80000000, v244
	s_delay_alu instid0(VALU_DEP_3) | instskip(SKIP_2) | instid1(VALU_DEP_2)
	v_cndmask_b32_e64 v217, v242, v212, s3
	v_cmp_gt_f64_e64 s3, 0, v[243:244]
	v_cndmask_b32_e32 v212, v224, v224, vcc_lo
	v_cndmask_b32_e64 v219, v244, v214, s3
	v_cndmask_b32_e64 v214, v226, v226, s2
	s_delay_alu instid0(VALU_DEP_2) | instskip(NEXT) | instid1(VALU_DEP_2)
	v_add_f64 v[216:217], v[216:217], v[218:219]
	v_add_f64 v[212:213], v[212:213], v[214:215]
	s_delay_alu instid0(VALU_DEP_1) | instskip(SKIP_4) | instid1(SALU_CYCLE_1)
	v_cmp_lt_f64_e32 vcc_lo, v[212:213], v[216:217]
	v_dual_cndmask_b32 v225, v225, v242 :: v_dual_cndmask_b32 v224, v224, v241
	v_dual_cndmask_b32 v227, v227, v244 :: v_dual_cndmask_b32 v226, v226, v243
	v_cndmask_b32_e64 v232, v232, s6, vcc_lo
	s_add_i32 s6, s6, 1
	s_cmp_lg_u32 s5, s6
	s_cbranch_scc1 .LBB110_548
.LBB110_549:
	s_set_inst_prefetch_distance 0x2
	s_waitcnt lgkmcnt(0)
	v_cmp_eq_f64_e32 vcc_lo, 0, v[224:225]
	v_cmp_eq_f64_e64 s2, 0, v[226:227]
	s_delay_alu instid0(VALU_DEP_1) | instskip(NEXT) | instid1(SALU_CYCLE_1)
	s_and_b32 s2, vcc_lo, s2
	s_and_saveexec_b32 s3, s2
	s_delay_alu instid0(SALU_CYCLE_1)
	s_xor_b32 s2, exec_lo, s3
; %bb.550:
	v_cmp_ne_u32_e32 vcc_lo, 0, v237
	v_cndmask_b32_e32 v237, 27, v237, vcc_lo
; %bb.551:
	s_and_not1_saveexec_b32 s3, s2
	s_cbranch_execz .LBB110_557
; %bb.552:
	v_cmp_gt_f64_e32 vcc_lo, 0, v[224:225]
	v_cmp_gt_f64_e64 s2, 0, v[226:227]
	v_xor_b32_e32 v212, 0x80000000, v225
	v_xor_b32_e32 v214, 0x80000000, v227
	s_delay_alu instid0(VALU_DEP_2) | instskip(NEXT) | instid1(VALU_DEP_2)
	v_cndmask_b32_e32 v213, v225, v212, vcc_lo
	v_cndmask_b32_e64 v215, v227, v214, s2
	v_cndmask_b32_e32 v212, v224, v224, vcc_lo
	v_cndmask_b32_e64 v214, v226, v226, s2
	s_mov_b32 s2, exec_lo
	s_delay_alu instid0(VALU_DEP_1)
	v_cmpx_ngt_f64_e32 v[212:213], v[214:215]
	s_xor_b32 s2, exec_lo, s2
	s_cbranch_execz .LBB110_554
; %bb.553:
	v_div_scale_f64 v[212:213], null, v[226:227], v[226:227], v[224:225]
	v_div_scale_f64 v[218:219], vcc_lo, v[224:225], v[226:227], v[224:225]
	s_delay_alu instid0(VALU_DEP_2) | instskip(SKIP_2) | instid1(VALU_DEP_1)
	v_rcp_f64_e32 v[214:215], v[212:213]
	s_waitcnt_depctr 0xfff
	v_fma_f64 v[216:217], -v[212:213], v[214:215], 1.0
	v_fma_f64 v[214:215], v[214:215], v[216:217], v[214:215]
	s_delay_alu instid0(VALU_DEP_1) | instskip(NEXT) | instid1(VALU_DEP_1)
	v_fma_f64 v[216:217], -v[212:213], v[214:215], 1.0
	v_fma_f64 v[214:215], v[214:215], v[216:217], v[214:215]
	s_delay_alu instid0(VALU_DEP_1) | instskip(NEXT) | instid1(VALU_DEP_1)
	v_mul_f64 v[216:217], v[218:219], v[214:215]
	v_fma_f64 v[212:213], -v[212:213], v[216:217], v[218:219]
	s_delay_alu instid0(VALU_DEP_1) | instskip(NEXT) | instid1(VALU_DEP_1)
	v_div_fmas_f64 v[212:213], v[212:213], v[214:215], v[216:217]
	v_div_fixup_f64 v[212:213], v[212:213], v[226:227], v[224:225]
	s_delay_alu instid0(VALU_DEP_1) | instskip(NEXT) | instid1(VALU_DEP_1)
	v_fma_f64 v[214:215], v[224:225], v[212:213], v[226:227]
	v_div_scale_f64 v[216:217], null, v[214:215], v[214:215], 1.0
	s_delay_alu instid0(VALU_DEP_1) | instskip(SKIP_2) | instid1(VALU_DEP_1)
	v_rcp_f64_e32 v[218:219], v[216:217]
	s_waitcnt_depctr 0xfff
	v_fma_f64 v[220:221], -v[216:217], v[218:219], 1.0
	v_fma_f64 v[218:219], v[218:219], v[220:221], v[218:219]
	s_delay_alu instid0(VALU_DEP_1) | instskip(NEXT) | instid1(VALU_DEP_1)
	v_fma_f64 v[220:221], -v[216:217], v[218:219], 1.0
	v_fma_f64 v[218:219], v[218:219], v[220:221], v[218:219]
	v_div_scale_f64 v[220:221], vcc_lo, 1.0, v[214:215], 1.0
	s_delay_alu instid0(VALU_DEP_1) | instskip(NEXT) | instid1(VALU_DEP_1)
	v_mul_f64 v[222:223], v[220:221], v[218:219]
	v_fma_f64 v[216:217], -v[216:217], v[222:223], v[220:221]
	s_delay_alu instid0(VALU_DEP_1) | instskip(NEXT) | instid1(VALU_DEP_1)
	v_div_fmas_f64 v[216:217], v[216:217], v[218:219], v[222:223]
	v_div_fixup_f64 v[226:227], v[216:217], v[214:215], 1.0
	s_delay_alu instid0(VALU_DEP_1)
	v_mul_f64 v[224:225], v[212:213], v[226:227]
	v_xor_b32_e32 v227, 0x80000000, v227
.LBB110_554:
	s_and_not1_saveexec_b32 s2, s2
	s_cbranch_execz .LBB110_556
; %bb.555:
	s_delay_alu instid0(VALU_DEP_1) | instskip(SKIP_1) | instid1(VALU_DEP_2)
	v_div_scale_f64 v[212:213], null, v[224:225], v[224:225], v[226:227]
	v_div_scale_f64 v[218:219], vcc_lo, v[226:227], v[224:225], v[226:227]
	v_rcp_f64_e32 v[214:215], v[212:213]
	s_waitcnt_depctr 0xfff
	v_fma_f64 v[216:217], -v[212:213], v[214:215], 1.0
	s_delay_alu instid0(VALU_DEP_1) | instskip(NEXT) | instid1(VALU_DEP_1)
	v_fma_f64 v[214:215], v[214:215], v[216:217], v[214:215]
	v_fma_f64 v[216:217], -v[212:213], v[214:215], 1.0
	s_delay_alu instid0(VALU_DEP_1) | instskip(NEXT) | instid1(VALU_DEP_1)
	v_fma_f64 v[214:215], v[214:215], v[216:217], v[214:215]
	v_mul_f64 v[216:217], v[218:219], v[214:215]
	s_delay_alu instid0(VALU_DEP_1) | instskip(NEXT) | instid1(VALU_DEP_1)
	v_fma_f64 v[212:213], -v[212:213], v[216:217], v[218:219]
	v_div_fmas_f64 v[212:213], v[212:213], v[214:215], v[216:217]
	s_delay_alu instid0(VALU_DEP_1) | instskip(NEXT) | instid1(VALU_DEP_1)
	v_div_fixup_f64 v[212:213], v[212:213], v[224:225], v[226:227]
	v_fma_f64 v[214:215], v[226:227], v[212:213], v[224:225]
	s_delay_alu instid0(VALU_DEP_1) | instskip(NEXT) | instid1(VALU_DEP_1)
	v_div_scale_f64 v[216:217], null, v[214:215], v[214:215], 1.0
	v_rcp_f64_e32 v[218:219], v[216:217]
	s_waitcnt_depctr 0xfff
	v_fma_f64 v[220:221], -v[216:217], v[218:219], 1.0
	s_delay_alu instid0(VALU_DEP_1) | instskip(NEXT) | instid1(VALU_DEP_1)
	v_fma_f64 v[218:219], v[218:219], v[220:221], v[218:219]
	v_fma_f64 v[220:221], -v[216:217], v[218:219], 1.0
	s_delay_alu instid0(VALU_DEP_1) | instskip(SKIP_1) | instid1(VALU_DEP_1)
	v_fma_f64 v[218:219], v[218:219], v[220:221], v[218:219]
	v_div_scale_f64 v[220:221], vcc_lo, 1.0, v[214:215], 1.0
	v_mul_f64 v[222:223], v[220:221], v[218:219]
	s_delay_alu instid0(VALU_DEP_1) | instskip(NEXT) | instid1(VALU_DEP_1)
	v_fma_f64 v[216:217], -v[216:217], v[222:223], v[220:221]
	v_div_fmas_f64 v[216:217], v[216:217], v[218:219], v[222:223]
	s_delay_alu instid0(VALU_DEP_1) | instskip(NEXT) | instid1(VALU_DEP_1)
	v_div_fixup_f64 v[224:225], v[216:217], v[214:215], 1.0
	v_mul_f64 v[226:227], v[212:213], -v[224:225]
.LBB110_556:
	s_or_b32 exec_lo, exec_lo, s2
.LBB110_557:
	s_delay_alu instid0(SALU_CYCLE_1) | instskip(NEXT) | instid1(SALU_CYCLE_1)
	s_or_b32 exec_lo, exec_lo, s3
	s_mov_b32 s2, exec_lo
	v_cmpx_ne_u32_e64 v240, v232
	s_xor_b32 s2, exec_lo, s2
	s_cbranch_execz .LBB110_563
; %bb.558:
	s_mov_b32 s3, exec_lo
	v_cmpx_eq_u32_e32 26, v240
	s_cbranch_execz .LBB110_562
; %bb.559:
	v_cmp_ne_u32_e32 vcc_lo, 26, v232
	s_xor_b32 s6, s4, -1
	s_delay_alu instid0(SALU_CYCLE_1) | instskip(NEXT) | instid1(SALU_CYCLE_1)
	s_and_b32 s7, s6, vcc_lo
	s_and_saveexec_b32 s6, s7
	s_cbranch_execz .LBB110_561
; %bb.560:
	scratch_load_b64 v[10:11], off, off     ; 8-byte Folded Reload
	v_ashrrev_i32_e32 v233, 31, v232
	s_delay_alu instid0(VALU_DEP_1) | instskip(SKIP_1) | instid1(VALU_DEP_1)
	v_lshlrev_b64 v[212:213], 2, v[232:233]
	s_waitcnt vmcnt(0)
	v_add_co_u32 v212, vcc_lo, v10, v212
	s_delay_alu instid0(VALU_DEP_2)
	v_add_co_ci_u32_e32 v213, vcc_lo, v11, v213, vcc_lo
	s_clause 0x1
	flat_load_b32 v214, v[212:213]
	flat_load_b32 v215, v[10:11] offset:104
	s_waitcnt vmcnt(1) lgkmcnt(1)
	flat_store_b32 v[10:11], v214 offset:104
	s_waitcnt vmcnt(0) lgkmcnt(1)
	flat_store_b32 v[212:213], v215
.LBB110_561:
	s_or_b32 exec_lo, exec_lo, s6
	v_mov_b32_e32 v240, v232
	v_mov_b32_e32 v239, v232
.LBB110_562:
	s_or_b32 exec_lo, exec_lo, s3
.LBB110_563:
	s_and_not1_saveexec_b32 s2, s2
	s_cbranch_execz .LBB110_565
; %bb.564:
	v_mov_b32_e32 v240, 26
	ds_store_2addr_b64 v234, v[112:113], v[114:115] offset0:54 offset1:55
	ds_store_2addr_b64 v234, v[108:109], v[110:111] offset0:56 offset1:57
	;; [unrolled: 1-line block ×29, first 2 shown]
.LBB110_565:
	s_or_b32 exec_lo, exec_lo, s2
	s_delay_alu instid0(SALU_CYCLE_1)
	s_mov_b32 s2, exec_lo
	s_waitcnt lgkmcnt(0)
	s_waitcnt_vscnt null, 0x0
	s_barrier
	buffer_gl0_inv
	v_cmpx_lt_i32_e32 26, v240
	s_cbranch_execz .LBB110_567
; %bb.566:
	v_mul_f64 v[212:213], v[226:227], v[118:119]
	v_mul_f64 v[118:119], v[224:225], v[118:119]
	s_delay_alu instid0(VALU_DEP_2) | instskip(NEXT) | instid1(VALU_DEP_2)
	v_fma_f64 v[232:233], v[224:225], v[116:117], -v[212:213]
	v_fma_f64 v[118:119], v[226:227], v[116:117], v[118:119]
	ds_load_2addr_b64 v[224:227], v234 offset0:54 offset1:55
	s_waitcnt lgkmcnt(0)
	v_mul_f64 v[116:117], v[226:227], v[118:119]
	v_mul_f64 v[212:213], v[224:225], v[118:119]
	s_delay_alu instid0(VALU_DEP_2) | instskip(NEXT) | instid1(VALU_DEP_2)
	v_fma_f64 v[116:117], v[224:225], v[232:233], -v[116:117]
	v_fma_f64 v[212:213], v[226:227], v[232:233], v[212:213]
	ds_load_2addr_b64 v[224:227], v234 offset0:56 offset1:57
	v_add_f64 v[112:113], v[112:113], -v[116:117]
	v_add_f64 v[114:115], v[114:115], -v[212:213]
	s_waitcnt lgkmcnt(0)
	v_mul_f64 v[116:117], v[226:227], v[118:119]
	v_mul_f64 v[212:213], v[224:225], v[118:119]
	s_delay_alu instid0(VALU_DEP_2) | instskip(NEXT) | instid1(VALU_DEP_2)
	v_fma_f64 v[116:117], v[224:225], v[232:233], -v[116:117]
	v_fma_f64 v[212:213], v[226:227], v[232:233], v[212:213]
	ds_load_2addr_b64 v[224:227], v234 offset0:58 offset1:59
	v_add_f64 v[108:109], v[108:109], -v[116:117]
	v_add_f64 v[110:111], v[110:111], -v[212:213]
	;; [unrolled: 9-line block ×28, first 2 shown]
	s_waitcnt lgkmcnt(0)
	v_mul_f64 v[116:117], v[226:227], v[118:119]
	v_mul_f64 v[212:213], v[224:225], v[118:119]
	s_delay_alu instid0(VALU_DEP_2) | instskip(NEXT) | instid1(VALU_DEP_2)
	v_fma_f64 v[116:117], v[224:225], v[232:233], -v[116:117]
	v_fma_f64 v[212:213], v[226:227], v[232:233], v[212:213]
	s_delay_alu instid0(VALU_DEP_2) | instskip(NEXT) | instid1(VALU_DEP_2)
	v_add_f64 v[0:1], v[0:1], -v[116:117]
	v_add_f64 v[2:3], v[2:3], -v[212:213]
	v_dual_mov_b32 v116, v232 :: v_dual_mov_b32 v117, v233
.LBB110_567:
	s_or_b32 exec_lo, exec_lo, s2
	v_lshl_add_u32 v212, v240, 4, v234
	s_barrier
	buffer_gl0_inv
	v_mov_b32_e32 v232, 27
	ds_store_2addr_b64 v212, v[112:113], v[114:115] offset1:1
	s_waitcnt lgkmcnt(0)
	s_barrier
	buffer_gl0_inv
	ds_load_2addr_b64 v[224:227], v234 offset0:54 offset1:55
	s_cmp_lt_i32 s5, 29
	s_cbranch_scc1 .LBB110_570
; %bb.568:
	v_add3_u32 v233, v238, 0, 0x1c0
	v_mov_b32_e32 v232, 27
	s_mov_b32 s6, 28
	s_set_inst_prefetch_distance 0x1
	.p2align	6
.LBB110_569:                            ; =>This Inner Loop Header: Depth=1
	ds_load_2addr_b64 v[241:244], v233 offset1:1
	s_waitcnt lgkmcnt(1)
	v_cmp_gt_f64_e32 vcc_lo, 0, v[224:225]
	v_xor_b32_e32 v212, 0x80000000, v225
	v_cmp_gt_f64_e64 s2, 0, v[226:227]
	v_xor_b32_e32 v214, 0x80000000, v227
	v_add_nc_u32_e32 v233, 16, v233
	s_waitcnt lgkmcnt(0)
	v_cmp_gt_f64_e64 s3, 0, v[241:242]
	v_mov_b32_e32 v216, v241
	v_dual_mov_b32 v218, v243 :: v_dual_cndmask_b32 v213, v225, v212
	v_xor_b32_e32 v212, 0x80000000, v242
	v_cndmask_b32_e64 v215, v227, v214, s2
	v_xor_b32_e32 v214, 0x80000000, v244
	s_delay_alu instid0(VALU_DEP_3) | instskip(SKIP_2) | instid1(VALU_DEP_2)
	v_cndmask_b32_e64 v217, v242, v212, s3
	v_cmp_gt_f64_e64 s3, 0, v[243:244]
	v_cndmask_b32_e32 v212, v224, v224, vcc_lo
	v_cndmask_b32_e64 v219, v244, v214, s3
	v_cndmask_b32_e64 v214, v226, v226, s2
	s_delay_alu instid0(VALU_DEP_2) | instskip(NEXT) | instid1(VALU_DEP_2)
	v_add_f64 v[216:217], v[216:217], v[218:219]
	v_add_f64 v[212:213], v[212:213], v[214:215]
	s_delay_alu instid0(VALU_DEP_1) | instskip(SKIP_4) | instid1(SALU_CYCLE_1)
	v_cmp_lt_f64_e32 vcc_lo, v[212:213], v[216:217]
	v_dual_cndmask_b32 v225, v225, v242 :: v_dual_cndmask_b32 v224, v224, v241
	v_dual_cndmask_b32 v227, v227, v244 :: v_dual_cndmask_b32 v226, v226, v243
	v_cndmask_b32_e64 v232, v232, s6, vcc_lo
	s_add_i32 s6, s6, 1
	s_cmp_lg_u32 s5, s6
	s_cbranch_scc1 .LBB110_569
.LBB110_570:
	s_set_inst_prefetch_distance 0x2
	s_waitcnt lgkmcnt(0)
	v_cmp_eq_f64_e32 vcc_lo, 0, v[224:225]
	v_cmp_eq_f64_e64 s2, 0, v[226:227]
	s_delay_alu instid0(VALU_DEP_1) | instskip(NEXT) | instid1(SALU_CYCLE_1)
	s_and_b32 s2, vcc_lo, s2
	s_and_saveexec_b32 s3, s2
	s_delay_alu instid0(SALU_CYCLE_1)
	s_xor_b32 s2, exec_lo, s3
; %bb.571:
	v_cmp_ne_u32_e32 vcc_lo, 0, v237
	v_cndmask_b32_e32 v237, 28, v237, vcc_lo
; %bb.572:
	s_and_not1_saveexec_b32 s3, s2
	s_cbranch_execz .LBB110_578
; %bb.573:
	v_cmp_gt_f64_e32 vcc_lo, 0, v[224:225]
	v_cmp_gt_f64_e64 s2, 0, v[226:227]
	v_xor_b32_e32 v212, 0x80000000, v225
	v_xor_b32_e32 v214, 0x80000000, v227
	s_delay_alu instid0(VALU_DEP_2) | instskip(NEXT) | instid1(VALU_DEP_2)
	v_cndmask_b32_e32 v213, v225, v212, vcc_lo
	v_cndmask_b32_e64 v215, v227, v214, s2
	v_cndmask_b32_e32 v212, v224, v224, vcc_lo
	v_cndmask_b32_e64 v214, v226, v226, s2
	s_mov_b32 s2, exec_lo
	s_delay_alu instid0(VALU_DEP_1)
	v_cmpx_ngt_f64_e32 v[212:213], v[214:215]
	s_xor_b32 s2, exec_lo, s2
	s_cbranch_execz .LBB110_575
; %bb.574:
	v_div_scale_f64 v[212:213], null, v[226:227], v[226:227], v[224:225]
	v_div_scale_f64 v[218:219], vcc_lo, v[224:225], v[226:227], v[224:225]
	s_delay_alu instid0(VALU_DEP_2) | instskip(SKIP_2) | instid1(VALU_DEP_1)
	v_rcp_f64_e32 v[214:215], v[212:213]
	s_waitcnt_depctr 0xfff
	v_fma_f64 v[216:217], -v[212:213], v[214:215], 1.0
	v_fma_f64 v[214:215], v[214:215], v[216:217], v[214:215]
	s_delay_alu instid0(VALU_DEP_1) | instskip(NEXT) | instid1(VALU_DEP_1)
	v_fma_f64 v[216:217], -v[212:213], v[214:215], 1.0
	v_fma_f64 v[214:215], v[214:215], v[216:217], v[214:215]
	s_delay_alu instid0(VALU_DEP_1) | instskip(NEXT) | instid1(VALU_DEP_1)
	v_mul_f64 v[216:217], v[218:219], v[214:215]
	v_fma_f64 v[212:213], -v[212:213], v[216:217], v[218:219]
	s_delay_alu instid0(VALU_DEP_1) | instskip(NEXT) | instid1(VALU_DEP_1)
	v_div_fmas_f64 v[212:213], v[212:213], v[214:215], v[216:217]
	v_div_fixup_f64 v[212:213], v[212:213], v[226:227], v[224:225]
	s_delay_alu instid0(VALU_DEP_1) | instskip(NEXT) | instid1(VALU_DEP_1)
	v_fma_f64 v[214:215], v[224:225], v[212:213], v[226:227]
	v_div_scale_f64 v[216:217], null, v[214:215], v[214:215], 1.0
	s_delay_alu instid0(VALU_DEP_1) | instskip(SKIP_2) | instid1(VALU_DEP_1)
	v_rcp_f64_e32 v[218:219], v[216:217]
	s_waitcnt_depctr 0xfff
	v_fma_f64 v[220:221], -v[216:217], v[218:219], 1.0
	v_fma_f64 v[218:219], v[218:219], v[220:221], v[218:219]
	s_delay_alu instid0(VALU_DEP_1) | instskip(NEXT) | instid1(VALU_DEP_1)
	v_fma_f64 v[220:221], -v[216:217], v[218:219], 1.0
	v_fma_f64 v[218:219], v[218:219], v[220:221], v[218:219]
	v_div_scale_f64 v[220:221], vcc_lo, 1.0, v[214:215], 1.0
	s_delay_alu instid0(VALU_DEP_1) | instskip(NEXT) | instid1(VALU_DEP_1)
	v_mul_f64 v[222:223], v[220:221], v[218:219]
	v_fma_f64 v[216:217], -v[216:217], v[222:223], v[220:221]
	s_delay_alu instid0(VALU_DEP_1) | instskip(NEXT) | instid1(VALU_DEP_1)
	v_div_fmas_f64 v[216:217], v[216:217], v[218:219], v[222:223]
	v_div_fixup_f64 v[226:227], v[216:217], v[214:215], 1.0
	s_delay_alu instid0(VALU_DEP_1)
	v_mul_f64 v[224:225], v[212:213], v[226:227]
	v_xor_b32_e32 v227, 0x80000000, v227
.LBB110_575:
	s_and_not1_saveexec_b32 s2, s2
	s_cbranch_execz .LBB110_577
; %bb.576:
	s_delay_alu instid0(VALU_DEP_1) | instskip(SKIP_1) | instid1(VALU_DEP_2)
	v_div_scale_f64 v[212:213], null, v[224:225], v[224:225], v[226:227]
	v_div_scale_f64 v[218:219], vcc_lo, v[226:227], v[224:225], v[226:227]
	v_rcp_f64_e32 v[214:215], v[212:213]
	s_waitcnt_depctr 0xfff
	v_fma_f64 v[216:217], -v[212:213], v[214:215], 1.0
	s_delay_alu instid0(VALU_DEP_1) | instskip(NEXT) | instid1(VALU_DEP_1)
	v_fma_f64 v[214:215], v[214:215], v[216:217], v[214:215]
	v_fma_f64 v[216:217], -v[212:213], v[214:215], 1.0
	s_delay_alu instid0(VALU_DEP_1) | instskip(NEXT) | instid1(VALU_DEP_1)
	v_fma_f64 v[214:215], v[214:215], v[216:217], v[214:215]
	v_mul_f64 v[216:217], v[218:219], v[214:215]
	s_delay_alu instid0(VALU_DEP_1) | instskip(NEXT) | instid1(VALU_DEP_1)
	v_fma_f64 v[212:213], -v[212:213], v[216:217], v[218:219]
	v_div_fmas_f64 v[212:213], v[212:213], v[214:215], v[216:217]
	s_delay_alu instid0(VALU_DEP_1) | instskip(NEXT) | instid1(VALU_DEP_1)
	v_div_fixup_f64 v[212:213], v[212:213], v[224:225], v[226:227]
	v_fma_f64 v[214:215], v[226:227], v[212:213], v[224:225]
	s_delay_alu instid0(VALU_DEP_1) | instskip(NEXT) | instid1(VALU_DEP_1)
	v_div_scale_f64 v[216:217], null, v[214:215], v[214:215], 1.0
	v_rcp_f64_e32 v[218:219], v[216:217]
	s_waitcnt_depctr 0xfff
	v_fma_f64 v[220:221], -v[216:217], v[218:219], 1.0
	s_delay_alu instid0(VALU_DEP_1) | instskip(NEXT) | instid1(VALU_DEP_1)
	v_fma_f64 v[218:219], v[218:219], v[220:221], v[218:219]
	v_fma_f64 v[220:221], -v[216:217], v[218:219], 1.0
	s_delay_alu instid0(VALU_DEP_1) | instskip(SKIP_1) | instid1(VALU_DEP_1)
	v_fma_f64 v[218:219], v[218:219], v[220:221], v[218:219]
	v_div_scale_f64 v[220:221], vcc_lo, 1.0, v[214:215], 1.0
	v_mul_f64 v[222:223], v[220:221], v[218:219]
	s_delay_alu instid0(VALU_DEP_1) | instskip(NEXT) | instid1(VALU_DEP_1)
	v_fma_f64 v[216:217], -v[216:217], v[222:223], v[220:221]
	v_div_fmas_f64 v[216:217], v[216:217], v[218:219], v[222:223]
	s_delay_alu instid0(VALU_DEP_1) | instskip(NEXT) | instid1(VALU_DEP_1)
	v_div_fixup_f64 v[224:225], v[216:217], v[214:215], 1.0
	v_mul_f64 v[226:227], v[212:213], -v[224:225]
.LBB110_577:
	s_or_b32 exec_lo, exec_lo, s2
.LBB110_578:
	s_delay_alu instid0(SALU_CYCLE_1) | instskip(NEXT) | instid1(SALU_CYCLE_1)
	s_or_b32 exec_lo, exec_lo, s3
	s_mov_b32 s2, exec_lo
	v_cmpx_ne_u32_e64 v240, v232
	s_xor_b32 s2, exec_lo, s2
	s_cbranch_execz .LBB110_584
; %bb.579:
	s_mov_b32 s3, exec_lo
	v_cmpx_eq_u32_e32 27, v240
	s_cbranch_execz .LBB110_583
; %bb.580:
	v_cmp_ne_u32_e32 vcc_lo, 27, v232
	s_xor_b32 s6, s4, -1
	s_delay_alu instid0(SALU_CYCLE_1) | instskip(NEXT) | instid1(SALU_CYCLE_1)
	s_and_b32 s7, s6, vcc_lo
	s_and_saveexec_b32 s6, s7
	s_cbranch_execz .LBB110_582
; %bb.581:
	scratch_load_b64 v[10:11], off, off     ; 8-byte Folded Reload
	v_ashrrev_i32_e32 v233, 31, v232
	s_delay_alu instid0(VALU_DEP_1) | instskip(SKIP_1) | instid1(VALU_DEP_1)
	v_lshlrev_b64 v[212:213], 2, v[232:233]
	s_waitcnt vmcnt(0)
	v_add_co_u32 v212, vcc_lo, v10, v212
	s_delay_alu instid0(VALU_DEP_2)
	v_add_co_ci_u32_e32 v213, vcc_lo, v11, v213, vcc_lo
	s_clause 0x1
	flat_load_b32 v214, v[212:213]
	flat_load_b32 v215, v[10:11] offset:108
	s_waitcnt vmcnt(1) lgkmcnt(1)
	flat_store_b32 v[10:11], v214 offset:108
	s_waitcnt vmcnt(0) lgkmcnt(1)
	flat_store_b32 v[212:213], v215
.LBB110_582:
	s_or_b32 exec_lo, exec_lo, s6
	v_mov_b32_e32 v240, v232
	v_mov_b32_e32 v239, v232
.LBB110_583:
	s_or_b32 exec_lo, exec_lo, s3
.LBB110_584:
	s_and_not1_saveexec_b32 s2, s2
	s_cbranch_execz .LBB110_586
; %bb.585:
	v_mov_b32_e32 v240, 27
	ds_store_2addr_b64 v234, v[108:109], v[110:111] offset0:56 offset1:57
	ds_store_2addr_b64 v234, v[104:105], v[106:107] offset0:58 offset1:59
	;; [unrolled: 1-line block ×28, first 2 shown]
.LBB110_586:
	s_or_b32 exec_lo, exec_lo, s2
	s_delay_alu instid0(SALU_CYCLE_1)
	s_mov_b32 s2, exec_lo
	s_waitcnt lgkmcnt(0)
	s_waitcnt_vscnt null, 0x0
	s_barrier
	buffer_gl0_inv
	v_cmpx_lt_i32_e32 27, v240
	s_cbranch_execz .LBB110_588
; %bb.587:
	v_mul_f64 v[212:213], v[226:227], v[114:115]
	v_mul_f64 v[114:115], v[224:225], v[114:115]
	s_delay_alu instid0(VALU_DEP_2) | instskip(NEXT) | instid1(VALU_DEP_2)
	v_fma_f64 v[232:233], v[224:225], v[112:113], -v[212:213]
	v_fma_f64 v[114:115], v[226:227], v[112:113], v[114:115]
	ds_load_2addr_b64 v[224:227], v234 offset0:56 offset1:57
	s_waitcnt lgkmcnt(0)
	v_mul_f64 v[112:113], v[226:227], v[114:115]
	v_mul_f64 v[212:213], v[224:225], v[114:115]
	s_delay_alu instid0(VALU_DEP_2) | instskip(NEXT) | instid1(VALU_DEP_2)
	v_fma_f64 v[112:113], v[224:225], v[232:233], -v[112:113]
	v_fma_f64 v[212:213], v[226:227], v[232:233], v[212:213]
	ds_load_2addr_b64 v[224:227], v234 offset0:58 offset1:59
	v_add_f64 v[108:109], v[108:109], -v[112:113]
	v_add_f64 v[110:111], v[110:111], -v[212:213]
	s_waitcnt lgkmcnt(0)
	v_mul_f64 v[112:113], v[226:227], v[114:115]
	v_mul_f64 v[212:213], v[224:225], v[114:115]
	s_delay_alu instid0(VALU_DEP_2) | instskip(NEXT) | instid1(VALU_DEP_2)
	v_fma_f64 v[112:113], v[224:225], v[232:233], -v[112:113]
	v_fma_f64 v[212:213], v[226:227], v[232:233], v[212:213]
	ds_load_2addr_b64 v[224:227], v234 offset0:60 offset1:61
	v_add_f64 v[104:105], v[104:105], -v[112:113]
	v_add_f64 v[106:107], v[106:107], -v[212:213]
	;; [unrolled: 9-line block ×27, first 2 shown]
	s_waitcnt lgkmcnt(0)
	v_mul_f64 v[112:113], v[226:227], v[114:115]
	v_mul_f64 v[212:213], v[224:225], v[114:115]
	s_delay_alu instid0(VALU_DEP_2) | instskip(NEXT) | instid1(VALU_DEP_2)
	v_fma_f64 v[112:113], v[224:225], v[232:233], -v[112:113]
	v_fma_f64 v[212:213], v[226:227], v[232:233], v[212:213]
	s_delay_alu instid0(VALU_DEP_2) | instskip(NEXT) | instid1(VALU_DEP_2)
	v_add_f64 v[0:1], v[0:1], -v[112:113]
	v_add_f64 v[2:3], v[2:3], -v[212:213]
	v_dual_mov_b32 v112, v232 :: v_dual_mov_b32 v113, v233
.LBB110_588:
	s_or_b32 exec_lo, exec_lo, s2
	v_lshl_add_u32 v212, v240, 4, v234
	s_barrier
	buffer_gl0_inv
	v_mov_b32_e32 v232, 28
	ds_store_2addr_b64 v212, v[108:109], v[110:111] offset1:1
	s_waitcnt lgkmcnt(0)
	s_barrier
	buffer_gl0_inv
	ds_load_2addr_b64 v[224:227], v234 offset0:56 offset1:57
	s_cmp_lt_i32 s5, 30
	s_cbranch_scc1 .LBB110_591
; %bb.589:
	v_add3_u32 v233, v238, 0, 0x1d0
	v_mov_b32_e32 v232, 28
	s_mov_b32 s6, 29
	s_set_inst_prefetch_distance 0x1
	.p2align	6
.LBB110_590:                            ; =>This Inner Loop Header: Depth=1
	ds_load_2addr_b64 v[241:244], v233 offset1:1
	s_waitcnt lgkmcnt(1)
	v_cmp_gt_f64_e32 vcc_lo, 0, v[224:225]
	v_xor_b32_e32 v212, 0x80000000, v225
	v_cmp_gt_f64_e64 s2, 0, v[226:227]
	v_xor_b32_e32 v214, 0x80000000, v227
	v_add_nc_u32_e32 v233, 16, v233
	s_waitcnt lgkmcnt(0)
	v_cmp_gt_f64_e64 s3, 0, v[241:242]
	v_mov_b32_e32 v216, v241
	v_dual_mov_b32 v218, v243 :: v_dual_cndmask_b32 v213, v225, v212
	v_xor_b32_e32 v212, 0x80000000, v242
	v_cndmask_b32_e64 v215, v227, v214, s2
	v_xor_b32_e32 v214, 0x80000000, v244
	s_delay_alu instid0(VALU_DEP_3) | instskip(SKIP_2) | instid1(VALU_DEP_2)
	v_cndmask_b32_e64 v217, v242, v212, s3
	v_cmp_gt_f64_e64 s3, 0, v[243:244]
	v_cndmask_b32_e32 v212, v224, v224, vcc_lo
	v_cndmask_b32_e64 v219, v244, v214, s3
	v_cndmask_b32_e64 v214, v226, v226, s2
	s_delay_alu instid0(VALU_DEP_2) | instskip(NEXT) | instid1(VALU_DEP_2)
	v_add_f64 v[216:217], v[216:217], v[218:219]
	v_add_f64 v[212:213], v[212:213], v[214:215]
	s_delay_alu instid0(VALU_DEP_1) | instskip(SKIP_4) | instid1(SALU_CYCLE_1)
	v_cmp_lt_f64_e32 vcc_lo, v[212:213], v[216:217]
	v_dual_cndmask_b32 v225, v225, v242 :: v_dual_cndmask_b32 v224, v224, v241
	v_dual_cndmask_b32 v227, v227, v244 :: v_dual_cndmask_b32 v226, v226, v243
	v_cndmask_b32_e64 v232, v232, s6, vcc_lo
	s_add_i32 s6, s6, 1
	s_cmp_lg_u32 s5, s6
	s_cbranch_scc1 .LBB110_590
.LBB110_591:
	s_set_inst_prefetch_distance 0x2
	s_waitcnt lgkmcnt(0)
	v_cmp_eq_f64_e32 vcc_lo, 0, v[224:225]
	v_cmp_eq_f64_e64 s2, 0, v[226:227]
	s_delay_alu instid0(VALU_DEP_1) | instskip(NEXT) | instid1(SALU_CYCLE_1)
	s_and_b32 s2, vcc_lo, s2
	s_and_saveexec_b32 s3, s2
	s_delay_alu instid0(SALU_CYCLE_1)
	s_xor_b32 s2, exec_lo, s3
; %bb.592:
	v_cmp_ne_u32_e32 vcc_lo, 0, v237
	v_cndmask_b32_e32 v237, 29, v237, vcc_lo
; %bb.593:
	s_and_not1_saveexec_b32 s3, s2
	s_cbranch_execz .LBB110_599
; %bb.594:
	v_cmp_gt_f64_e32 vcc_lo, 0, v[224:225]
	v_cmp_gt_f64_e64 s2, 0, v[226:227]
	v_xor_b32_e32 v212, 0x80000000, v225
	v_xor_b32_e32 v214, 0x80000000, v227
	s_delay_alu instid0(VALU_DEP_2) | instskip(NEXT) | instid1(VALU_DEP_2)
	v_cndmask_b32_e32 v213, v225, v212, vcc_lo
	v_cndmask_b32_e64 v215, v227, v214, s2
	v_cndmask_b32_e32 v212, v224, v224, vcc_lo
	v_cndmask_b32_e64 v214, v226, v226, s2
	s_mov_b32 s2, exec_lo
	s_delay_alu instid0(VALU_DEP_1)
	v_cmpx_ngt_f64_e32 v[212:213], v[214:215]
	s_xor_b32 s2, exec_lo, s2
	s_cbranch_execz .LBB110_596
; %bb.595:
	v_div_scale_f64 v[212:213], null, v[226:227], v[226:227], v[224:225]
	v_div_scale_f64 v[218:219], vcc_lo, v[224:225], v[226:227], v[224:225]
	s_delay_alu instid0(VALU_DEP_2) | instskip(SKIP_2) | instid1(VALU_DEP_1)
	v_rcp_f64_e32 v[214:215], v[212:213]
	s_waitcnt_depctr 0xfff
	v_fma_f64 v[216:217], -v[212:213], v[214:215], 1.0
	v_fma_f64 v[214:215], v[214:215], v[216:217], v[214:215]
	s_delay_alu instid0(VALU_DEP_1) | instskip(NEXT) | instid1(VALU_DEP_1)
	v_fma_f64 v[216:217], -v[212:213], v[214:215], 1.0
	v_fma_f64 v[214:215], v[214:215], v[216:217], v[214:215]
	s_delay_alu instid0(VALU_DEP_1) | instskip(NEXT) | instid1(VALU_DEP_1)
	v_mul_f64 v[216:217], v[218:219], v[214:215]
	v_fma_f64 v[212:213], -v[212:213], v[216:217], v[218:219]
	s_delay_alu instid0(VALU_DEP_1) | instskip(NEXT) | instid1(VALU_DEP_1)
	v_div_fmas_f64 v[212:213], v[212:213], v[214:215], v[216:217]
	v_div_fixup_f64 v[212:213], v[212:213], v[226:227], v[224:225]
	s_delay_alu instid0(VALU_DEP_1) | instskip(NEXT) | instid1(VALU_DEP_1)
	v_fma_f64 v[214:215], v[224:225], v[212:213], v[226:227]
	v_div_scale_f64 v[216:217], null, v[214:215], v[214:215], 1.0
	s_delay_alu instid0(VALU_DEP_1) | instskip(SKIP_2) | instid1(VALU_DEP_1)
	v_rcp_f64_e32 v[218:219], v[216:217]
	s_waitcnt_depctr 0xfff
	v_fma_f64 v[220:221], -v[216:217], v[218:219], 1.0
	v_fma_f64 v[218:219], v[218:219], v[220:221], v[218:219]
	s_delay_alu instid0(VALU_DEP_1) | instskip(NEXT) | instid1(VALU_DEP_1)
	v_fma_f64 v[220:221], -v[216:217], v[218:219], 1.0
	v_fma_f64 v[218:219], v[218:219], v[220:221], v[218:219]
	v_div_scale_f64 v[220:221], vcc_lo, 1.0, v[214:215], 1.0
	s_delay_alu instid0(VALU_DEP_1) | instskip(NEXT) | instid1(VALU_DEP_1)
	v_mul_f64 v[222:223], v[220:221], v[218:219]
	v_fma_f64 v[216:217], -v[216:217], v[222:223], v[220:221]
	s_delay_alu instid0(VALU_DEP_1) | instskip(NEXT) | instid1(VALU_DEP_1)
	v_div_fmas_f64 v[216:217], v[216:217], v[218:219], v[222:223]
	v_div_fixup_f64 v[226:227], v[216:217], v[214:215], 1.0
	s_delay_alu instid0(VALU_DEP_1)
	v_mul_f64 v[224:225], v[212:213], v[226:227]
	v_xor_b32_e32 v227, 0x80000000, v227
.LBB110_596:
	s_and_not1_saveexec_b32 s2, s2
	s_cbranch_execz .LBB110_598
; %bb.597:
	s_delay_alu instid0(VALU_DEP_1) | instskip(SKIP_1) | instid1(VALU_DEP_2)
	v_div_scale_f64 v[212:213], null, v[224:225], v[224:225], v[226:227]
	v_div_scale_f64 v[218:219], vcc_lo, v[226:227], v[224:225], v[226:227]
	v_rcp_f64_e32 v[214:215], v[212:213]
	s_waitcnt_depctr 0xfff
	v_fma_f64 v[216:217], -v[212:213], v[214:215], 1.0
	s_delay_alu instid0(VALU_DEP_1) | instskip(NEXT) | instid1(VALU_DEP_1)
	v_fma_f64 v[214:215], v[214:215], v[216:217], v[214:215]
	v_fma_f64 v[216:217], -v[212:213], v[214:215], 1.0
	s_delay_alu instid0(VALU_DEP_1) | instskip(NEXT) | instid1(VALU_DEP_1)
	v_fma_f64 v[214:215], v[214:215], v[216:217], v[214:215]
	v_mul_f64 v[216:217], v[218:219], v[214:215]
	s_delay_alu instid0(VALU_DEP_1) | instskip(NEXT) | instid1(VALU_DEP_1)
	v_fma_f64 v[212:213], -v[212:213], v[216:217], v[218:219]
	v_div_fmas_f64 v[212:213], v[212:213], v[214:215], v[216:217]
	s_delay_alu instid0(VALU_DEP_1) | instskip(NEXT) | instid1(VALU_DEP_1)
	v_div_fixup_f64 v[212:213], v[212:213], v[224:225], v[226:227]
	v_fma_f64 v[214:215], v[226:227], v[212:213], v[224:225]
	s_delay_alu instid0(VALU_DEP_1) | instskip(NEXT) | instid1(VALU_DEP_1)
	v_div_scale_f64 v[216:217], null, v[214:215], v[214:215], 1.0
	v_rcp_f64_e32 v[218:219], v[216:217]
	s_waitcnt_depctr 0xfff
	v_fma_f64 v[220:221], -v[216:217], v[218:219], 1.0
	s_delay_alu instid0(VALU_DEP_1) | instskip(NEXT) | instid1(VALU_DEP_1)
	v_fma_f64 v[218:219], v[218:219], v[220:221], v[218:219]
	v_fma_f64 v[220:221], -v[216:217], v[218:219], 1.0
	s_delay_alu instid0(VALU_DEP_1) | instskip(SKIP_1) | instid1(VALU_DEP_1)
	v_fma_f64 v[218:219], v[218:219], v[220:221], v[218:219]
	v_div_scale_f64 v[220:221], vcc_lo, 1.0, v[214:215], 1.0
	v_mul_f64 v[222:223], v[220:221], v[218:219]
	s_delay_alu instid0(VALU_DEP_1) | instskip(NEXT) | instid1(VALU_DEP_1)
	v_fma_f64 v[216:217], -v[216:217], v[222:223], v[220:221]
	v_div_fmas_f64 v[216:217], v[216:217], v[218:219], v[222:223]
	s_delay_alu instid0(VALU_DEP_1) | instskip(NEXT) | instid1(VALU_DEP_1)
	v_div_fixup_f64 v[224:225], v[216:217], v[214:215], 1.0
	v_mul_f64 v[226:227], v[212:213], -v[224:225]
.LBB110_598:
	s_or_b32 exec_lo, exec_lo, s2
.LBB110_599:
	s_delay_alu instid0(SALU_CYCLE_1) | instskip(NEXT) | instid1(SALU_CYCLE_1)
	s_or_b32 exec_lo, exec_lo, s3
	s_mov_b32 s2, exec_lo
	v_cmpx_ne_u32_e64 v240, v232
	s_xor_b32 s2, exec_lo, s2
	s_cbranch_execz .LBB110_605
; %bb.600:
	s_mov_b32 s3, exec_lo
	v_cmpx_eq_u32_e32 28, v240
	s_cbranch_execz .LBB110_604
; %bb.601:
	v_cmp_ne_u32_e32 vcc_lo, 28, v232
	s_xor_b32 s6, s4, -1
	s_delay_alu instid0(SALU_CYCLE_1) | instskip(NEXT) | instid1(SALU_CYCLE_1)
	s_and_b32 s7, s6, vcc_lo
	s_and_saveexec_b32 s6, s7
	s_cbranch_execz .LBB110_603
; %bb.602:
	scratch_load_b64 v[10:11], off, off     ; 8-byte Folded Reload
	v_ashrrev_i32_e32 v233, 31, v232
	s_delay_alu instid0(VALU_DEP_1) | instskip(SKIP_1) | instid1(VALU_DEP_1)
	v_lshlrev_b64 v[212:213], 2, v[232:233]
	s_waitcnt vmcnt(0)
	v_add_co_u32 v212, vcc_lo, v10, v212
	s_delay_alu instid0(VALU_DEP_2)
	v_add_co_ci_u32_e32 v213, vcc_lo, v11, v213, vcc_lo
	s_clause 0x1
	flat_load_b32 v214, v[212:213]
	flat_load_b32 v215, v[10:11] offset:112
	s_waitcnt vmcnt(1) lgkmcnt(1)
	flat_store_b32 v[10:11], v214 offset:112
	s_waitcnt vmcnt(0) lgkmcnt(1)
	flat_store_b32 v[212:213], v215
.LBB110_603:
	s_or_b32 exec_lo, exec_lo, s6
	v_mov_b32_e32 v240, v232
	v_mov_b32_e32 v239, v232
.LBB110_604:
	s_or_b32 exec_lo, exec_lo, s3
.LBB110_605:
	s_and_not1_saveexec_b32 s2, s2
	s_cbranch_execz .LBB110_607
; %bb.606:
	v_mov_b32_e32 v240, 28
	ds_store_2addr_b64 v234, v[104:105], v[106:107] offset0:58 offset1:59
	ds_store_2addr_b64 v234, v[100:101], v[102:103] offset0:60 offset1:61
	;; [unrolled: 1-line block ×27, first 2 shown]
.LBB110_607:
	s_or_b32 exec_lo, exec_lo, s2
	s_delay_alu instid0(SALU_CYCLE_1)
	s_mov_b32 s2, exec_lo
	s_waitcnt lgkmcnt(0)
	s_waitcnt_vscnt null, 0x0
	s_barrier
	buffer_gl0_inv
	v_cmpx_lt_i32_e32 28, v240
	s_cbranch_execz .LBB110_609
; %bb.608:
	v_mul_f64 v[212:213], v[226:227], v[110:111]
	v_mul_f64 v[110:111], v[224:225], v[110:111]
	s_delay_alu instid0(VALU_DEP_2) | instskip(NEXT) | instid1(VALU_DEP_2)
	v_fma_f64 v[232:233], v[224:225], v[108:109], -v[212:213]
	v_fma_f64 v[110:111], v[226:227], v[108:109], v[110:111]
	ds_load_2addr_b64 v[224:227], v234 offset0:58 offset1:59
	s_waitcnt lgkmcnt(0)
	v_mul_f64 v[108:109], v[226:227], v[110:111]
	v_mul_f64 v[212:213], v[224:225], v[110:111]
	s_delay_alu instid0(VALU_DEP_2) | instskip(NEXT) | instid1(VALU_DEP_2)
	v_fma_f64 v[108:109], v[224:225], v[232:233], -v[108:109]
	v_fma_f64 v[212:213], v[226:227], v[232:233], v[212:213]
	ds_load_2addr_b64 v[224:227], v234 offset0:60 offset1:61
	v_add_f64 v[104:105], v[104:105], -v[108:109]
	v_add_f64 v[106:107], v[106:107], -v[212:213]
	s_waitcnt lgkmcnt(0)
	v_mul_f64 v[108:109], v[226:227], v[110:111]
	v_mul_f64 v[212:213], v[224:225], v[110:111]
	s_delay_alu instid0(VALU_DEP_2) | instskip(NEXT) | instid1(VALU_DEP_2)
	v_fma_f64 v[108:109], v[224:225], v[232:233], -v[108:109]
	v_fma_f64 v[212:213], v[226:227], v[232:233], v[212:213]
	ds_load_2addr_b64 v[224:227], v234 offset0:62 offset1:63
	v_add_f64 v[100:101], v[100:101], -v[108:109]
	v_add_f64 v[102:103], v[102:103], -v[212:213]
	;; [unrolled: 9-line block ×26, first 2 shown]
	s_waitcnt lgkmcnt(0)
	v_mul_f64 v[108:109], v[226:227], v[110:111]
	v_mul_f64 v[212:213], v[224:225], v[110:111]
	s_delay_alu instid0(VALU_DEP_2) | instskip(NEXT) | instid1(VALU_DEP_2)
	v_fma_f64 v[108:109], v[224:225], v[232:233], -v[108:109]
	v_fma_f64 v[212:213], v[226:227], v[232:233], v[212:213]
	s_delay_alu instid0(VALU_DEP_2) | instskip(NEXT) | instid1(VALU_DEP_2)
	v_add_f64 v[0:1], v[0:1], -v[108:109]
	v_add_f64 v[2:3], v[2:3], -v[212:213]
	v_dual_mov_b32 v108, v232 :: v_dual_mov_b32 v109, v233
.LBB110_609:
	s_or_b32 exec_lo, exec_lo, s2
	v_lshl_add_u32 v212, v240, 4, v234
	s_barrier
	buffer_gl0_inv
	v_mov_b32_e32 v232, 29
	ds_store_2addr_b64 v212, v[104:105], v[106:107] offset1:1
	s_waitcnt lgkmcnt(0)
	s_barrier
	buffer_gl0_inv
	ds_load_2addr_b64 v[224:227], v234 offset0:58 offset1:59
	s_cmp_lt_i32 s5, 31
	s_cbranch_scc1 .LBB110_612
; %bb.610:
	v_add3_u32 v233, v238, 0, 0x1e0
	v_mov_b32_e32 v232, 29
	s_mov_b32 s6, 30
	s_set_inst_prefetch_distance 0x1
	.p2align	6
.LBB110_611:                            ; =>This Inner Loop Header: Depth=1
	ds_load_2addr_b64 v[241:244], v233 offset1:1
	s_waitcnt lgkmcnt(1)
	v_cmp_gt_f64_e32 vcc_lo, 0, v[224:225]
	v_xor_b32_e32 v212, 0x80000000, v225
	v_cmp_gt_f64_e64 s2, 0, v[226:227]
	v_xor_b32_e32 v214, 0x80000000, v227
	v_add_nc_u32_e32 v233, 16, v233
	s_waitcnt lgkmcnt(0)
	v_cmp_gt_f64_e64 s3, 0, v[241:242]
	v_mov_b32_e32 v216, v241
	v_dual_mov_b32 v218, v243 :: v_dual_cndmask_b32 v213, v225, v212
	v_xor_b32_e32 v212, 0x80000000, v242
	v_cndmask_b32_e64 v215, v227, v214, s2
	v_xor_b32_e32 v214, 0x80000000, v244
	s_delay_alu instid0(VALU_DEP_3) | instskip(SKIP_2) | instid1(VALU_DEP_2)
	v_cndmask_b32_e64 v217, v242, v212, s3
	v_cmp_gt_f64_e64 s3, 0, v[243:244]
	v_cndmask_b32_e32 v212, v224, v224, vcc_lo
	v_cndmask_b32_e64 v219, v244, v214, s3
	v_cndmask_b32_e64 v214, v226, v226, s2
	s_delay_alu instid0(VALU_DEP_2) | instskip(NEXT) | instid1(VALU_DEP_2)
	v_add_f64 v[216:217], v[216:217], v[218:219]
	v_add_f64 v[212:213], v[212:213], v[214:215]
	s_delay_alu instid0(VALU_DEP_1) | instskip(SKIP_4) | instid1(SALU_CYCLE_1)
	v_cmp_lt_f64_e32 vcc_lo, v[212:213], v[216:217]
	v_dual_cndmask_b32 v225, v225, v242 :: v_dual_cndmask_b32 v224, v224, v241
	v_dual_cndmask_b32 v227, v227, v244 :: v_dual_cndmask_b32 v226, v226, v243
	v_cndmask_b32_e64 v232, v232, s6, vcc_lo
	s_add_i32 s6, s6, 1
	s_cmp_lg_u32 s5, s6
	s_cbranch_scc1 .LBB110_611
.LBB110_612:
	s_set_inst_prefetch_distance 0x2
	s_waitcnt lgkmcnt(0)
	v_cmp_eq_f64_e32 vcc_lo, 0, v[224:225]
	v_cmp_eq_f64_e64 s2, 0, v[226:227]
	s_delay_alu instid0(VALU_DEP_1) | instskip(NEXT) | instid1(SALU_CYCLE_1)
	s_and_b32 s2, vcc_lo, s2
	s_and_saveexec_b32 s3, s2
	s_delay_alu instid0(SALU_CYCLE_1)
	s_xor_b32 s2, exec_lo, s3
; %bb.613:
	v_cmp_ne_u32_e32 vcc_lo, 0, v237
	v_cndmask_b32_e32 v237, 30, v237, vcc_lo
; %bb.614:
	s_and_not1_saveexec_b32 s3, s2
	s_cbranch_execz .LBB110_620
; %bb.615:
	v_cmp_gt_f64_e32 vcc_lo, 0, v[224:225]
	v_cmp_gt_f64_e64 s2, 0, v[226:227]
	v_xor_b32_e32 v212, 0x80000000, v225
	v_xor_b32_e32 v214, 0x80000000, v227
	s_delay_alu instid0(VALU_DEP_2) | instskip(NEXT) | instid1(VALU_DEP_2)
	v_cndmask_b32_e32 v213, v225, v212, vcc_lo
	v_cndmask_b32_e64 v215, v227, v214, s2
	v_cndmask_b32_e32 v212, v224, v224, vcc_lo
	v_cndmask_b32_e64 v214, v226, v226, s2
	s_mov_b32 s2, exec_lo
	s_delay_alu instid0(VALU_DEP_1)
	v_cmpx_ngt_f64_e32 v[212:213], v[214:215]
	s_xor_b32 s2, exec_lo, s2
	s_cbranch_execz .LBB110_617
; %bb.616:
	v_div_scale_f64 v[212:213], null, v[226:227], v[226:227], v[224:225]
	v_div_scale_f64 v[218:219], vcc_lo, v[224:225], v[226:227], v[224:225]
	s_delay_alu instid0(VALU_DEP_2) | instskip(SKIP_2) | instid1(VALU_DEP_1)
	v_rcp_f64_e32 v[214:215], v[212:213]
	s_waitcnt_depctr 0xfff
	v_fma_f64 v[216:217], -v[212:213], v[214:215], 1.0
	v_fma_f64 v[214:215], v[214:215], v[216:217], v[214:215]
	s_delay_alu instid0(VALU_DEP_1) | instskip(NEXT) | instid1(VALU_DEP_1)
	v_fma_f64 v[216:217], -v[212:213], v[214:215], 1.0
	v_fma_f64 v[214:215], v[214:215], v[216:217], v[214:215]
	s_delay_alu instid0(VALU_DEP_1) | instskip(NEXT) | instid1(VALU_DEP_1)
	v_mul_f64 v[216:217], v[218:219], v[214:215]
	v_fma_f64 v[212:213], -v[212:213], v[216:217], v[218:219]
	s_delay_alu instid0(VALU_DEP_1) | instskip(NEXT) | instid1(VALU_DEP_1)
	v_div_fmas_f64 v[212:213], v[212:213], v[214:215], v[216:217]
	v_div_fixup_f64 v[212:213], v[212:213], v[226:227], v[224:225]
	s_delay_alu instid0(VALU_DEP_1) | instskip(NEXT) | instid1(VALU_DEP_1)
	v_fma_f64 v[214:215], v[224:225], v[212:213], v[226:227]
	v_div_scale_f64 v[216:217], null, v[214:215], v[214:215], 1.0
	s_delay_alu instid0(VALU_DEP_1) | instskip(SKIP_2) | instid1(VALU_DEP_1)
	v_rcp_f64_e32 v[218:219], v[216:217]
	s_waitcnt_depctr 0xfff
	v_fma_f64 v[220:221], -v[216:217], v[218:219], 1.0
	v_fma_f64 v[218:219], v[218:219], v[220:221], v[218:219]
	s_delay_alu instid0(VALU_DEP_1) | instskip(NEXT) | instid1(VALU_DEP_1)
	v_fma_f64 v[220:221], -v[216:217], v[218:219], 1.0
	v_fma_f64 v[218:219], v[218:219], v[220:221], v[218:219]
	v_div_scale_f64 v[220:221], vcc_lo, 1.0, v[214:215], 1.0
	s_delay_alu instid0(VALU_DEP_1) | instskip(NEXT) | instid1(VALU_DEP_1)
	v_mul_f64 v[222:223], v[220:221], v[218:219]
	v_fma_f64 v[216:217], -v[216:217], v[222:223], v[220:221]
	s_delay_alu instid0(VALU_DEP_1) | instskip(NEXT) | instid1(VALU_DEP_1)
	v_div_fmas_f64 v[216:217], v[216:217], v[218:219], v[222:223]
	v_div_fixup_f64 v[226:227], v[216:217], v[214:215], 1.0
	s_delay_alu instid0(VALU_DEP_1)
	v_mul_f64 v[224:225], v[212:213], v[226:227]
	v_xor_b32_e32 v227, 0x80000000, v227
.LBB110_617:
	s_and_not1_saveexec_b32 s2, s2
	s_cbranch_execz .LBB110_619
; %bb.618:
	s_delay_alu instid0(VALU_DEP_1) | instskip(SKIP_1) | instid1(VALU_DEP_2)
	v_div_scale_f64 v[212:213], null, v[224:225], v[224:225], v[226:227]
	v_div_scale_f64 v[218:219], vcc_lo, v[226:227], v[224:225], v[226:227]
	v_rcp_f64_e32 v[214:215], v[212:213]
	s_waitcnt_depctr 0xfff
	v_fma_f64 v[216:217], -v[212:213], v[214:215], 1.0
	s_delay_alu instid0(VALU_DEP_1) | instskip(NEXT) | instid1(VALU_DEP_1)
	v_fma_f64 v[214:215], v[214:215], v[216:217], v[214:215]
	v_fma_f64 v[216:217], -v[212:213], v[214:215], 1.0
	s_delay_alu instid0(VALU_DEP_1) | instskip(NEXT) | instid1(VALU_DEP_1)
	v_fma_f64 v[214:215], v[214:215], v[216:217], v[214:215]
	v_mul_f64 v[216:217], v[218:219], v[214:215]
	s_delay_alu instid0(VALU_DEP_1) | instskip(NEXT) | instid1(VALU_DEP_1)
	v_fma_f64 v[212:213], -v[212:213], v[216:217], v[218:219]
	v_div_fmas_f64 v[212:213], v[212:213], v[214:215], v[216:217]
	s_delay_alu instid0(VALU_DEP_1) | instskip(NEXT) | instid1(VALU_DEP_1)
	v_div_fixup_f64 v[212:213], v[212:213], v[224:225], v[226:227]
	v_fma_f64 v[214:215], v[226:227], v[212:213], v[224:225]
	s_delay_alu instid0(VALU_DEP_1) | instskip(NEXT) | instid1(VALU_DEP_1)
	v_div_scale_f64 v[216:217], null, v[214:215], v[214:215], 1.0
	v_rcp_f64_e32 v[218:219], v[216:217]
	s_waitcnt_depctr 0xfff
	v_fma_f64 v[220:221], -v[216:217], v[218:219], 1.0
	s_delay_alu instid0(VALU_DEP_1) | instskip(NEXT) | instid1(VALU_DEP_1)
	v_fma_f64 v[218:219], v[218:219], v[220:221], v[218:219]
	v_fma_f64 v[220:221], -v[216:217], v[218:219], 1.0
	s_delay_alu instid0(VALU_DEP_1) | instskip(SKIP_1) | instid1(VALU_DEP_1)
	v_fma_f64 v[218:219], v[218:219], v[220:221], v[218:219]
	v_div_scale_f64 v[220:221], vcc_lo, 1.0, v[214:215], 1.0
	v_mul_f64 v[222:223], v[220:221], v[218:219]
	s_delay_alu instid0(VALU_DEP_1) | instskip(NEXT) | instid1(VALU_DEP_1)
	v_fma_f64 v[216:217], -v[216:217], v[222:223], v[220:221]
	v_div_fmas_f64 v[216:217], v[216:217], v[218:219], v[222:223]
	s_delay_alu instid0(VALU_DEP_1) | instskip(NEXT) | instid1(VALU_DEP_1)
	v_div_fixup_f64 v[224:225], v[216:217], v[214:215], 1.0
	v_mul_f64 v[226:227], v[212:213], -v[224:225]
.LBB110_619:
	s_or_b32 exec_lo, exec_lo, s2
.LBB110_620:
	s_delay_alu instid0(SALU_CYCLE_1) | instskip(NEXT) | instid1(SALU_CYCLE_1)
	s_or_b32 exec_lo, exec_lo, s3
	s_mov_b32 s2, exec_lo
	v_cmpx_ne_u32_e64 v240, v232
	s_xor_b32 s2, exec_lo, s2
	s_cbranch_execz .LBB110_626
; %bb.621:
	s_mov_b32 s3, exec_lo
	v_cmpx_eq_u32_e32 29, v240
	s_cbranch_execz .LBB110_625
; %bb.622:
	v_cmp_ne_u32_e32 vcc_lo, 29, v232
	s_xor_b32 s6, s4, -1
	s_delay_alu instid0(SALU_CYCLE_1) | instskip(NEXT) | instid1(SALU_CYCLE_1)
	s_and_b32 s7, s6, vcc_lo
	s_and_saveexec_b32 s6, s7
	s_cbranch_execz .LBB110_624
; %bb.623:
	scratch_load_b64 v[10:11], off, off     ; 8-byte Folded Reload
	v_ashrrev_i32_e32 v233, 31, v232
	s_delay_alu instid0(VALU_DEP_1) | instskip(SKIP_1) | instid1(VALU_DEP_1)
	v_lshlrev_b64 v[212:213], 2, v[232:233]
	s_waitcnt vmcnt(0)
	v_add_co_u32 v212, vcc_lo, v10, v212
	s_delay_alu instid0(VALU_DEP_2)
	v_add_co_ci_u32_e32 v213, vcc_lo, v11, v213, vcc_lo
	s_clause 0x1
	flat_load_b32 v214, v[212:213]
	flat_load_b32 v215, v[10:11] offset:116
	s_waitcnt vmcnt(1) lgkmcnt(1)
	flat_store_b32 v[10:11], v214 offset:116
	s_waitcnt vmcnt(0) lgkmcnt(1)
	flat_store_b32 v[212:213], v215
.LBB110_624:
	s_or_b32 exec_lo, exec_lo, s6
	v_mov_b32_e32 v240, v232
	v_mov_b32_e32 v239, v232
.LBB110_625:
	s_or_b32 exec_lo, exec_lo, s3
.LBB110_626:
	s_and_not1_saveexec_b32 s2, s2
	s_cbranch_execz .LBB110_628
; %bb.627:
	v_mov_b32_e32 v240, 29
	ds_store_2addr_b64 v234, v[100:101], v[102:103] offset0:60 offset1:61
	ds_store_2addr_b64 v234, v[96:97], v[98:99] offset0:62 offset1:63
	;; [unrolled: 1-line block ×26, first 2 shown]
.LBB110_628:
	s_or_b32 exec_lo, exec_lo, s2
	s_delay_alu instid0(SALU_CYCLE_1)
	s_mov_b32 s2, exec_lo
	s_waitcnt lgkmcnt(0)
	s_waitcnt_vscnt null, 0x0
	s_barrier
	buffer_gl0_inv
	v_cmpx_lt_i32_e32 29, v240
	s_cbranch_execz .LBB110_630
; %bb.629:
	v_mul_f64 v[212:213], v[226:227], v[106:107]
	v_mul_f64 v[106:107], v[224:225], v[106:107]
	s_delay_alu instid0(VALU_DEP_2) | instskip(NEXT) | instid1(VALU_DEP_2)
	v_fma_f64 v[232:233], v[224:225], v[104:105], -v[212:213]
	v_fma_f64 v[106:107], v[226:227], v[104:105], v[106:107]
	ds_load_2addr_b64 v[224:227], v234 offset0:60 offset1:61
	s_waitcnt lgkmcnt(0)
	v_mul_f64 v[104:105], v[226:227], v[106:107]
	v_mul_f64 v[212:213], v[224:225], v[106:107]
	s_delay_alu instid0(VALU_DEP_2) | instskip(NEXT) | instid1(VALU_DEP_2)
	v_fma_f64 v[104:105], v[224:225], v[232:233], -v[104:105]
	v_fma_f64 v[212:213], v[226:227], v[232:233], v[212:213]
	ds_load_2addr_b64 v[224:227], v234 offset0:62 offset1:63
	v_add_f64 v[100:101], v[100:101], -v[104:105]
	v_add_f64 v[102:103], v[102:103], -v[212:213]
	s_waitcnt lgkmcnt(0)
	v_mul_f64 v[104:105], v[226:227], v[106:107]
	v_mul_f64 v[212:213], v[224:225], v[106:107]
	s_delay_alu instid0(VALU_DEP_2) | instskip(NEXT) | instid1(VALU_DEP_2)
	v_fma_f64 v[104:105], v[224:225], v[232:233], -v[104:105]
	v_fma_f64 v[212:213], v[226:227], v[232:233], v[212:213]
	ds_load_2addr_b64 v[224:227], v234 offset0:64 offset1:65
	v_add_f64 v[96:97], v[96:97], -v[104:105]
	v_add_f64 v[98:99], v[98:99], -v[212:213]
	;; [unrolled: 9-line block ×25, first 2 shown]
	s_waitcnt lgkmcnt(0)
	v_mul_f64 v[104:105], v[226:227], v[106:107]
	v_mul_f64 v[212:213], v[224:225], v[106:107]
	s_delay_alu instid0(VALU_DEP_2) | instskip(NEXT) | instid1(VALU_DEP_2)
	v_fma_f64 v[104:105], v[224:225], v[232:233], -v[104:105]
	v_fma_f64 v[212:213], v[226:227], v[232:233], v[212:213]
	s_delay_alu instid0(VALU_DEP_2) | instskip(NEXT) | instid1(VALU_DEP_2)
	v_add_f64 v[0:1], v[0:1], -v[104:105]
	v_add_f64 v[2:3], v[2:3], -v[212:213]
	v_dual_mov_b32 v104, v232 :: v_dual_mov_b32 v105, v233
.LBB110_630:
	s_or_b32 exec_lo, exec_lo, s2
	v_lshl_add_u32 v212, v240, 4, v234
	s_barrier
	buffer_gl0_inv
	v_mov_b32_e32 v232, 30
	ds_store_2addr_b64 v212, v[100:101], v[102:103] offset1:1
	s_waitcnt lgkmcnt(0)
	s_barrier
	buffer_gl0_inv
	ds_load_2addr_b64 v[224:227], v234 offset0:60 offset1:61
	s_cmp_lt_i32 s5, 32
	s_cbranch_scc1 .LBB110_633
; %bb.631:
	v_add3_u32 v233, v238, 0, 0x1f0
	v_mov_b32_e32 v232, 30
	s_mov_b32 s6, 31
	s_set_inst_prefetch_distance 0x1
	.p2align	6
.LBB110_632:                            ; =>This Inner Loop Header: Depth=1
	ds_load_2addr_b64 v[241:244], v233 offset1:1
	s_waitcnt lgkmcnt(1)
	v_cmp_gt_f64_e32 vcc_lo, 0, v[224:225]
	v_xor_b32_e32 v212, 0x80000000, v225
	v_cmp_gt_f64_e64 s2, 0, v[226:227]
	v_xor_b32_e32 v214, 0x80000000, v227
	v_add_nc_u32_e32 v233, 16, v233
	s_waitcnt lgkmcnt(0)
	v_cmp_gt_f64_e64 s3, 0, v[241:242]
	v_mov_b32_e32 v216, v241
	v_dual_mov_b32 v218, v243 :: v_dual_cndmask_b32 v213, v225, v212
	v_xor_b32_e32 v212, 0x80000000, v242
	v_cndmask_b32_e64 v215, v227, v214, s2
	v_xor_b32_e32 v214, 0x80000000, v244
	s_delay_alu instid0(VALU_DEP_3) | instskip(SKIP_2) | instid1(VALU_DEP_2)
	v_cndmask_b32_e64 v217, v242, v212, s3
	v_cmp_gt_f64_e64 s3, 0, v[243:244]
	v_cndmask_b32_e32 v212, v224, v224, vcc_lo
	v_cndmask_b32_e64 v219, v244, v214, s3
	v_cndmask_b32_e64 v214, v226, v226, s2
	s_delay_alu instid0(VALU_DEP_2) | instskip(NEXT) | instid1(VALU_DEP_2)
	v_add_f64 v[216:217], v[216:217], v[218:219]
	v_add_f64 v[212:213], v[212:213], v[214:215]
	s_delay_alu instid0(VALU_DEP_1) | instskip(SKIP_4) | instid1(SALU_CYCLE_1)
	v_cmp_lt_f64_e32 vcc_lo, v[212:213], v[216:217]
	v_dual_cndmask_b32 v225, v225, v242 :: v_dual_cndmask_b32 v224, v224, v241
	v_dual_cndmask_b32 v227, v227, v244 :: v_dual_cndmask_b32 v226, v226, v243
	v_cndmask_b32_e64 v232, v232, s6, vcc_lo
	s_add_i32 s6, s6, 1
	s_cmp_lg_u32 s5, s6
	s_cbranch_scc1 .LBB110_632
.LBB110_633:
	s_set_inst_prefetch_distance 0x2
	s_waitcnt lgkmcnt(0)
	v_cmp_eq_f64_e32 vcc_lo, 0, v[224:225]
	v_cmp_eq_f64_e64 s2, 0, v[226:227]
	s_delay_alu instid0(VALU_DEP_1) | instskip(NEXT) | instid1(SALU_CYCLE_1)
	s_and_b32 s2, vcc_lo, s2
	s_and_saveexec_b32 s3, s2
	s_delay_alu instid0(SALU_CYCLE_1)
	s_xor_b32 s2, exec_lo, s3
; %bb.634:
	v_cmp_ne_u32_e32 vcc_lo, 0, v237
	v_cndmask_b32_e32 v237, 31, v237, vcc_lo
; %bb.635:
	s_and_not1_saveexec_b32 s3, s2
	s_cbranch_execz .LBB110_641
; %bb.636:
	v_cmp_gt_f64_e32 vcc_lo, 0, v[224:225]
	v_cmp_gt_f64_e64 s2, 0, v[226:227]
	v_xor_b32_e32 v212, 0x80000000, v225
	v_xor_b32_e32 v214, 0x80000000, v227
	s_delay_alu instid0(VALU_DEP_2) | instskip(NEXT) | instid1(VALU_DEP_2)
	v_cndmask_b32_e32 v213, v225, v212, vcc_lo
	v_cndmask_b32_e64 v215, v227, v214, s2
	v_cndmask_b32_e32 v212, v224, v224, vcc_lo
	v_cndmask_b32_e64 v214, v226, v226, s2
	s_mov_b32 s2, exec_lo
	s_delay_alu instid0(VALU_DEP_1)
	v_cmpx_ngt_f64_e32 v[212:213], v[214:215]
	s_xor_b32 s2, exec_lo, s2
	s_cbranch_execz .LBB110_638
; %bb.637:
	v_div_scale_f64 v[212:213], null, v[226:227], v[226:227], v[224:225]
	v_div_scale_f64 v[218:219], vcc_lo, v[224:225], v[226:227], v[224:225]
	s_delay_alu instid0(VALU_DEP_2) | instskip(SKIP_2) | instid1(VALU_DEP_1)
	v_rcp_f64_e32 v[214:215], v[212:213]
	s_waitcnt_depctr 0xfff
	v_fma_f64 v[216:217], -v[212:213], v[214:215], 1.0
	v_fma_f64 v[214:215], v[214:215], v[216:217], v[214:215]
	s_delay_alu instid0(VALU_DEP_1) | instskip(NEXT) | instid1(VALU_DEP_1)
	v_fma_f64 v[216:217], -v[212:213], v[214:215], 1.0
	v_fma_f64 v[214:215], v[214:215], v[216:217], v[214:215]
	s_delay_alu instid0(VALU_DEP_1) | instskip(NEXT) | instid1(VALU_DEP_1)
	v_mul_f64 v[216:217], v[218:219], v[214:215]
	v_fma_f64 v[212:213], -v[212:213], v[216:217], v[218:219]
	s_delay_alu instid0(VALU_DEP_1) | instskip(NEXT) | instid1(VALU_DEP_1)
	v_div_fmas_f64 v[212:213], v[212:213], v[214:215], v[216:217]
	v_div_fixup_f64 v[212:213], v[212:213], v[226:227], v[224:225]
	s_delay_alu instid0(VALU_DEP_1) | instskip(NEXT) | instid1(VALU_DEP_1)
	v_fma_f64 v[214:215], v[224:225], v[212:213], v[226:227]
	v_div_scale_f64 v[216:217], null, v[214:215], v[214:215], 1.0
	s_delay_alu instid0(VALU_DEP_1) | instskip(SKIP_2) | instid1(VALU_DEP_1)
	v_rcp_f64_e32 v[218:219], v[216:217]
	s_waitcnt_depctr 0xfff
	v_fma_f64 v[220:221], -v[216:217], v[218:219], 1.0
	v_fma_f64 v[218:219], v[218:219], v[220:221], v[218:219]
	s_delay_alu instid0(VALU_DEP_1) | instskip(NEXT) | instid1(VALU_DEP_1)
	v_fma_f64 v[220:221], -v[216:217], v[218:219], 1.0
	v_fma_f64 v[218:219], v[218:219], v[220:221], v[218:219]
	v_div_scale_f64 v[220:221], vcc_lo, 1.0, v[214:215], 1.0
	s_delay_alu instid0(VALU_DEP_1) | instskip(NEXT) | instid1(VALU_DEP_1)
	v_mul_f64 v[222:223], v[220:221], v[218:219]
	v_fma_f64 v[216:217], -v[216:217], v[222:223], v[220:221]
	s_delay_alu instid0(VALU_DEP_1) | instskip(NEXT) | instid1(VALU_DEP_1)
	v_div_fmas_f64 v[216:217], v[216:217], v[218:219], v[222:223]
	v_div_fixup_f64 v[226:227], v[216:217], v[214:215], 1.0
	s_delay_alu instid0(VALU_DEP_1)
	v_mul_f64 v[224:225], v[212:213], v[226:227]
	v_xor_b32_e32 v227, 0x80000000, v227
.LBB110_638:
	s_and_not1_saveexec_b32 s2, s2
	s_cbranch_execz .LBB110_640
; %bb.639:
	s_delay_alu instid0(VALU_DEP_1) | instskip(SKIP_1) | instid1(VALU_DEP_2)
	v_div_scale_f64 v[212:213], null, v[224:225], v[224:225], v[226:227]
	v_div_scale_f64 v[218:219], vcc_lo, v[226:227], v[224:225], v[226:227]
	v_rcp_f64_e32 v[214:215], v[212:213]
	s_waitcnt_depctr 0xfff
	v_fma_f64 v[216:217], -v[212:213], v[214:215], 1.0
	s_delay_alu instid0(VALU_DEP_1) | instskip(NEXT) | instid1(VALU_DEP_1)
	v_fma_f64 v[214:215], v[214:215], v[216:217], v[214:215]
	v_fma_f64 v[216:217], -v[212:213], v[214:215], 1.0
	s_delay_alu instid0(VALU_DEP_1) | instskip(NEXT) | instid1(VALU_DEP_1)
	v_fma_f64 v[214:215], v[214:215], v[216:217], v[214:215]
	v_mul_f64 v[216:217], v[218:219], v[214:215]
	s_delay_alu instid0(VALU_DEP_1) | instskip(NEXT) | instid1(VALU_DEP_1)
	v_fma_f64 v[212:213], -v[212:213], v[216:217], v[218:219]
	v_div_fmas_f64 v[212:213], v[212:213], v[214:215], v[216:217]
	s_delay_alu instid0(VALU_DEP_1) | instskip(NEXT) | instid1(VALU_DEP_1)
	v_div_fixup_f64 v[212:213], v[212:213], v[224:225], v[226:227]
	v_fma_f64 v[214:215], v[226:227], v[212:213], v[224:225]
	s_delay_alu instid0(VALU_DEP_1) | instskip(NEXT) | instid1(VALU_DEP_1)
	v_div_scale_f64 v[216:217], null, v[214:215], v[214:215], 1.0
	v_rcp_f64_e32 v[218:219], v[216:217]
	s_waitcnt_depctr 0xfff
	v_fma_f64 v[220:221], -v[216:217], v[218:219], 1.0
	s_delay_alu instid0(VALU_DEP_1) | instskip(NEXT) | instid1(VALU_DEP_1)
	v_fma_f64 v[218:219], v[218:219], v[220:221], v[218:219]
	v_fma_f64 v[220:221], -v[216:217], v[218:219], 1.0
	s_delay_alu instid0(VALU_DEP_1) | instskip(SKIP_1) | instid1(VALU_DEP_1)
	v_fma_f64 v[218:219], v[218:219], v[220:221], v[218:219]
	v_div_scale_f64 v[220:221], vcc_lo, 1.0, v[214:215], 1.0
	v_mul_f64 v[222:223], v[220:221], v[218:219]
	s_delay_alu instid0(VALU_DEP_1) | instskip(NEXT) | instid1(VALU_DEP_1)
	v_fma_f64 v[216:217], -v[216:217], v[222:223], v[220:221]
	v_div_fmas_f64 v[216:217], v[216:217], v[218:219], v[222:223]
	s_delay_alu instid0(VALU_DEP_1) | instskip(NEXT) | instid1(VALU_DEP_1)
	v_div_fixup_f64 v[224:225], v[216:217], v[214:215], 1.0
	v_mul_f64 v[226:227], v[212:213], -v[224:225]
.LBB110_640:
	s_or_b32 exec_lo, exec_lo, s2
.LBB110_641:
	s_delay_alu instid0(SALU_CYCLE_1) | instskip(NEXT) | instid1(SALU_CYCLE_1)
	s_or_b32 exec_lo, exec_lo, s3
	s_mov_b32 s2, exec_lo
	v_cmpx_ne_u32_e64 v240, v232
	s_xor_b32 s2, exec_lo, s2
	s_cbranch_execz .LBB110_647
; %bb.642:
	s_mov_b32 s3, exec_lo
	v_cmpx_eq_u32_e32 30, v240
	s_cbranch_execz .LBB110_646
; %bb.643:
	v_cmp_ne_u32_e32 vcc_lo, 30, v232
	s_xor_b32 s6, s4, -1
	s_delay_alu instid0(SALU_CYCLE_1) | instskip(NEXT) | instid1(SALU_CYCLE_1)
	s_and_b32 s7, s6, vcc_lo
	s_and_saveexec_b32 s6, s7
	s_cbranch_execz .LBB110_645
; %bb.644:
	scratch_load_b64 v[10:11], off, off     ; 8-byte Folded Reload
	v_ashrrev_i32_e32 v233, 31, v232
	s_delay_alu instid0(VALU_DEP_1) | instskip(SKIP_1) | instid1(VALU_DEP_1)
	v_lshlrev_b64 v[212:213], 2, v[232:233]
	s_waitcnt vmcnt(0)
	v_add_co_u32 v212, vcc_lo, v10, v212
	s_delay_alu instid0(VALU_DEP_2)
	v_add_co_ci_u32_e32 v213, vcc_lo, v11, v213, vcc_lo
	s_clause 0x1
	flat_load_b32 v214, v[212:213]
	flat_load_b32 v215, v[10:11] offset:120
	s_waitcnt vmcnt(1) lgkmcnt(1)
	flat_store_b32 v[10:11], v214 offset:120
	s_waitcnt vmcnt(0) lgkmcnt(1)
	flat_store_b32 v[212:213], v215
.LBB110_645:
	s_or_b32 exec_lo, exec_lo, s6
	v_mov_b32_e32 v240, v232
	v_mov_b32_e32 v239, v232
.LBB110_646:
	s_or_b32 exec_lo, exec_lo, s3
.LBB110_647:
	s_and_not1_saveexec_b32 s2, s2
	s_cbranch_execz .LBB110_649
; %bb.648:
	v_mov_b32_e32 v240, 30
	ds_store_2addr_b64 v234, v[96:97], v[98:99] offset0:62 offset1:63
	ds_store_2addr_b64 v234, v[92:93], v[94:95] offset0:64 offset1:65
	;; [unrolled: 1-line block ×25, first 2 shown]
.LBB110_649:
	s_or_b32 exec_lo, exec_lo, s2
	s_delay_alu instid0(SALU_CYCLE_1)
	s_mov_b32 s2, exec_lo
	s_waitcnt lgkmcnt(0)
	s_waitcnt_vscnt null, 0x0
	s_barrier
	buffer_gl0_inv
	v_cmpx_lt_i32_e32 30, v240
	s_cbranch_execz .LBB110_651
; %bb.650:
	v_mul_f64 v[212:213], v[226:227], v[102:103]
	v_mul_f64 v[102:103], v[224:225], v[102:103]
	s_delay_alu instid0(VALU_DEP_2) | instskip(NEXT) | instid1(VALU_DEP_2)
	v_fma_f64 v[232:233], v[224:225], v[100:101], -v[212:213]
	v_fma_f64 v[102:103], v[226:227], v[100:101], v[102:103]
	ds_load_2addr_b64 v[224:227], v234 offset0:62 offset1:63
	s_waitcnt lgkmcnt(0)
	v_mul_f64 v[100:101], v[226:227], v[102:103]
	v_mul_f64 v[212:213], v[224:225], v[102:103]
	s_delay_alu instid0(VALU_DEP_2) | instskip(NEXT) | instid1(VALU_DEP_2)
	v_fma_f64 v[100:101], v[224:225], v[232:233], -v[100:101]
	v_fma_f64 v[212:213], v[226:227], v[232:233], v[212:213]
	ds_load_2addr_b64 v[224:227], v234 offset0:64 offset1:65
	v_add_f64 v[96:97], v[96:97], -v[100:101]
	v_add_f64 v[98:99], v[98:99], -v[212:213]
	s_waitcnt lgkmcnt(0)
	v_mul_f64 v[100:101], v[226:227], v[102:103]
	v_mul_f64 v[212:213], v[224:225], v[102:103]
	s_delay_alu instid0(VALU_DEP_2) | instskip(NEXT) | instid1(VALU_DEP_2)
	v_fma_f64 v[100:101], v[224:225], v[232:233], -v[100:101]
	v_fma_f64 v[212:213], v[226:227], v[232:233], v[212:213]
	ds_load_2addr_b64 v[224:227], v234 offset0:66 offset1:67
	v_add_f64 v[92:93], v[92:93], -v[100:101]
	v_add_f64 v[94:95], v[94:95], -v[212:213]
	;; [unrolled: 9-line block ×24, first 2 shown]
	s_waitcnt lgkmcnt(0)
	v_mul_f64 v[100:101], v[226:227], v[102:103]
	v_mul_f64 v[212:213], v[224:225], v[102:103]
	s_delay_alu instid0(VALU_DEP_2) | instskip(NEXT) | instid1(VALU_DEP_2)
	v_fma_f64 v[100:101], v[224:225], v[232:233], -v[100:101]
	v_fma_f64 v[212:213], v[226:227], v[232:233], v[212:213]
	s_delay_alu instid0(VALU_DEP_2) | instskip(NEXT) | instid1(VALU_DEP_2)
	v_add_f64 v[0:1], v[0:1], -v[100:101]
	v_add_f64 v[2:3], v[2:3], -v[212:213]
	v_dual_mov_b32 v100, v232 :: v_dual_mov_b32 v101, v233
.LBB110_651:
	s_or_b32 exec_lo, exec_lo, s2
	v_lshl_add_u32 v212, v240, 4, v234
	s_barrier
	buffer_gl0_inv
	v_mov_b32_e32 v232, 31
	ds_store_2addr_b64 v212, v[96:97], v[98:99] offset1:1
	s_waitcnt lgkmcnt(0)
	s_barrier
	buffer_gl0_inv
	ds_load_2addr_b64 v[224:227], v234 offset0:62 offset1:63
	s_cmp_lt_i32 s5, 33
	s_cbranch_scc1 .LBB110_654
; %bb.652:
	v_add3_u32 v233, v238, 0, 0x200
	v_mov_b32_e32 v232, 31
	s_mov_b32 s6, 32
	s_set_inst_prefetch_distance 0x1
	.p2align	6
.LBB110_653:                            ; =>This Inner Loop Header: Depth=1
	ds_load_2addr_b64 v[241:244], v233 offset1:1
	s_waitcnt lgkmcnt(1)
	v_cmp_gt_f64_e32 vcc_lo, 0, v[224:225]
	v_xor_b32_e32 v212, 0x80000000, v225
	v_cmp_gt_f64_e64 s2, 0, v[226:227]
	v_xor_b32_e32 v214, 0x80000000, v227
	v_add_nc_u32_e32 v233, 16, v233
	s_waitcnt lgkmcnt(0)
	v_cmp_gt_f64_e64 s3, 0, v[241:242]
	v_mov_b32_e32 v216, v241
	v_dual_mov_b32 v218, v243 :: v_dual_cndmask_b32 v213, v225, v212
	v_xor_b32_e32 v212, 0x80000000, v242
	v_cndmask_b32_e64 v215, v227, v214, s2
	v_xor_b32_e32 v214, 0x80000000, v244
	s_delay_alu instid0(VALU_DEP_3) | instskip(SKIP_2) | instid1(VALU_DEP_2)
	v_cndmask_b32_e64 v217, v242, v212, s3
	v_cmp_gt_f64_e64 s3, 0, v[243:244]
	v_cndmask_b32_e32 v212, v224, v224, vcc_lo
	v_cndmask_b32_e64 v219, v244, v214, s3
	v_cndmask_b32_e64 v214, v226, v226, s2
	s_delay_alu instid0(VALU_DEP_2) | instskip(NEXT) | instid1(VALU_DEP_2)
	v_add_f64 v[216:217], v[216:217], v[218:219]
	v_add_f64 v[212:213], v[212:213], v[214:215]
	s_delay_alu instid0(VALU_DEP_1) | instskip(SKIP_4) | instid1(SALU_CYCLE_1)
	v_cmp_lt_f64_e32 vcc_lo, v[212:213], v[216:217]
	v_dual_cndmask_b32 v225, v225, v242 :: v_dual_cndmask_b32 v224, v224, v241
	v_dual_cndmask_b32 v227, v227, v244 :: v_dual_cndmask_b32 v226, v226, v243
	v_cndmask_b32_e64 v232, v232, s6, vcc_lo
	s_add_i32 s6, s6, 1
	s_cmp_lg_u32 s5, s6
	s_cbranch_scc1 .LBB110_653
.LBB110_654:
	s_set_inst_prefetch_distance 0x2
	s_waitcnt lgkmcnt(0)
	v_cmp_eq_f64_e32 vcc_lo, 0, v[224:225]
	v_cmp_eq_f64_e64 s2, 0, v[226:227]
	s_delay_alu instid0(VALU_DEP_1) | instskip(NEXT) | instid1(SALU_CYCLE_1)
	s_and_b32 s2, vcc_lo, s2
	s_and_saveexec_b32 s3, s2
	s_delay_alu instid0(SALU_CYCLE_1)
	s_xor_b32 s2, exec_lo, s3
; %bb.655:
	v_cmp_ne_u32_e32 vcc_lo, 0, v237
	v_cndmask_b32_e32 v237, 32, v237, vcc_lo
; %bb.656:
	s_and_not1_saveexec_b32 s3, s2
	s_cbranch_execz .LBB110_662
; %bb.657:
	v_cmp_gt_f64_e32 vcc_lo, 0, v[224:225]
	v_cmp_gt_f64_e64 s2, 0, v[226:227]
	v_xor_b32_e32 v212, 0x80000000, v225
	v_xor_b32_e32 v214, 0x80000000, v227
	s_delay_alu instid0(VALU_DEP_2) | instskip(NEXT) | instid1(VALU_DEP_2)
	v_cndmask_b32_e32 v213, v225, v212, vcc_lo
	v_cndmask_b32_e64 v215, v227, v214, s2
	v_cndmask_b32_e32 v212, v224, v224, vcc_lo
	v_cndmask_b32_e64 v214, v226, v226, s2
	s_mov_b32 s2, exec_lo
	s_delay_alu instid0(VALU_DEP_1)
	v_cmpx_ngt_f64_e32 v[212:213], v[214:215]
	s_xor_b32 s2, exec_lo, s2
	s_cbranch_execz .LBB110_659
; %bb.658:
	v_div_scale_f64 v[212:213], null, v[226:227], v[226:227], v[224:225]
	v_div_scale_f64 v[218:219], vcc_lo, v[224:225], v[226:227], v[224:225]
	s_delay_alu instid0(VALU_DEP_2) | instskip(SKIP_2) | instid1(VALU_DEP_1)
	v_rcp_f64_e32 v[214:215], v[212:213]
	s_waitcnt_depctr 0xfff
	v_fma_f64 v[216:217], -v[212:213], v[214:215], 1.0
	v_fma_f64 v[214:215], v[214:215], v[216:217], v[214:215]
	s_delay_alu instid0(VALU_DEP_1) | instskip(NEXT) | instid1(VALU_DEP_1)
	v_fma_f64 v[216:217], -v[212:213], v[214:215], 1.0
	v_fma_f64 v[214:215], v[214:215], v[216:217], v[214:215]
	s_delay_alu instid0(VALU_DEP_1) | instskip(NEXT) | instid1(VALU_DEP_1)
	v_mul_f64 v[216:217], v[218:219], v[214:215]
	v_fma_f64 v[212:213], -v[212:213], v[216:217], v[218:219]
	s_delay_alu instid0(VALU_DEP_1) | instskip(NEXT) | instid1(VALU_DEP_1)
	v_div_fmas_f64 v[212:213], v[212:213], v[214:215], v[216:217]
	v_div_fixup_f64 v[212:213], v[212:213], v[226:227], v[224:225]
	s_delay_alu instid0(VALU_DEP_1) | instskip(NEXT) | instid1(VALU_DEP_1)
	v_fma_f64 v[214:215], v[224:225], v[212:213], v[226:227]
	v_div_scale_f64 v[216:217], null, v[214:215], v[214:215], 1.0
	s_delay_alu instid0(VALU_DEP_1) | instskip(SKIP_2) | instid1(VALU_DEP_1)
	v_rcp_f64_e32 v[218:219], v[216:217]
	s_waitcnt_depctr 0xfff
	v_fma_f64 v[220:221], -v[216:217], v[218:219], 1.0
	v_fma_f64 v[218:219], v[218:219], v[220:221], v[218:219]
	s_delay_alu instid0(VALU_DEP_1) | instskip(NEXT) | instid1(VALU_DEP_1)
	v_fma_f64 v[220:221], -v[216:217], v[218:219], 1.0
	v_fma_f64 v[218:219], v[218:219], v[220:221], v[218:219]
	v_div_scale_f64 v[220:221], vcc_lo, 1.0, v[214:215], 1.0
	s_delay_alu instid0(VALU_DEP_1) | instskip(NEXT) | instid1(VALU_DEP_1)
	v_mul_f64 v[222:223], v[220:221], v[218:219]
	v_fma_f64 v[216:217], -v[216:217], v[222:223], v[220:221]
	s_delay_alu instid0(VALU_DEP_1) | instskip(NEXT) | instid1(VALU_DEP_1)
	v_div_fmas_f64 v[216:217], v[216:217], v[218:219], v[222:223]
	v_div_fixup_f64 v[226:227], v[216:217], v[214:215], 1.0
	s_delay_alu instid0(VALU_DEP_1)
	v_mul_f64 v[224:225], v[212:213], v[226:227]
	v_xor_b32_e32 v227, 0x80000000, v227
.LBB110_659:
	s_and_not1_saveexec_b32 s2, s2
	s_cbranch_execz .LBB110_661
; %bb.660:
	s_delay_alu instid0(VALU_DEP_1) | instskip(SKIP_1) | instid1(VALU_DEP_2)
	v_div_scale_f64 v[212:213], null, v[224:225], v[224:225], v[226:227]
	v_div_scale_f64 v[218:219], vcc_lo, v[226:227], v[224:225], v[226:227]
	v_rcp_f64_e32 v[214:215], v[212:213]
	s_waitcnt_depctr 0xfff
	v_fma_f64 v[216:217], -v[212:213], v[214:215], 1.0
	s_delay_alu instid0(VALU_DEP_1) | instskip(NEXT) | instid1(VALU_DEP_1)
	v_fma_f64 v[214:215], v[214:215], v[216:217], v[214:215]
	v_fma_f64 v[216:217], -v[212:213], v[214:215], 1.0
	s_delay_alu instid0(VALU_DEP_1) | instskip(NEXT) | instid1(VALU_DEP_1)
	v_fma_f64 v[214:215], v[214:215], v[216:217], v[214:215]
	v_mul_f64 v[216:217], v[218:219], v[214:215]
	s_delay_alu instid0(VALU_DEP_1) | instskip(NEXT) | instid1(VALU_DEP_1)
	v_fma_f64 v[212:213], -v[212:213], v[216:217], v[218:219]
	v_div_fmas_f64 v[212:213], v[212:213], v[214:215], v[216:217]
	s_delay_alu instid0(VALU_DEP_1) | instskip(NEXT) | instid1(VALU_DEP_1)
	v_div_fixup_f64 v[212:213], v[212:213], v[224:225], v[226:227]
	v_fma_f64 v[214:215], v[226:227], v[212:213], v[224:225]
	s_delay_alu instid0(VALU_DEP_1) | instskip(NEXT) | instid1(VALU_DEP_1)
	v_div_scale_f64 v[216:217], null, v[214:215], v[214:215], 1.0
	v_rcp_f64_e32 v[218:219], v[216:217]
	s_waitcnt_depctr 0xfff
	v_fma_f64 v[220:221], -v[216:217], v[218:219], 1.0
	s_delay_alu instid0(VALU_DEP_1) | instskip(NEXT) | instid1(VALU_DEP_1)
	v_fma_f64 v[218:219], v[218:219], v[220:221], v[218:219]
	v_fma_f64 v[220:221], -v[216:217], v[218:219], 1.0
	s_delay_alu instid0(VALU_DEP_1) | instskip(SKIP_1) | instid1(VALU_DEP_1)
	v_fma_f64 v[218:219], v[218:219], v[220:221], v[218:219]
	v_div_scale_f64 v[220:221], vcc_lo, 1.0, v[214:215], 1.0
	v_mul_f64 v[222:223], v[220:221], v[218:219]
	s_delay_alu instid0(VALU_DEP_1) | instskip(NEXT) | instid1(VALU_DEP_1)
	v_fma_f64 v[216:217], -v[216:217], v[222:223], v[220:221]
	v_div_fmas_f64 v[216:217], v[216:217], v[218:219], v[222:223]
	s_delay_alu instid0(VALU_DEP_1) | instskip(NEXT) | instid1(VALU_DEP_1)
	v_div_fixup_f64 v[224:225], v[216:217], v[214:215], 1.0
	v_mul_f64 v[226:227], v[212:213], -v[224:225]
.LBB110_661:
	s_or_b32 exec_lo, exec_lo, s2
.LBB110_662:
	s_delay_alu instid0(SALU_CYCLE_1) | instskip(NEXT) | instid1(SALU_CYCLE_1)
	s_or_b32 exec_lo, exec_lo, s3
	s_mov_b32 s2, exec_lo
	v_cmpx_ne_u32_e64 v240, v232
	s_xor_b32 s2, exec_lo, s2
	s_cbranch_execz .LBB110_668
; %bb.663:
	s_mov_b32 s3, exec_lo
	v_cmpx_eq_u32_e32 31, v240
	s_cbranch_execz .LBB110_667
; %bb.664:
	v_cmp_ne_u32_e32 vcc_lo, 31, v232
	s_xor_b32 s6, s4, -1
	s_delay_alu instid0(SALU_CYCLE_1) | instskip(NEXT) | instid1(SALU_CYCLE_1)
	s_and_b32 s7, s6, vcc_lo
	s_and_saveexec_b32 s6, s7
	s_cbranch_execz .LBB110_666
; %bb.665:
	scratch_load_b64 v[10:11], off, off     ; 8-byte Folded Reload
	v_ashrrev_i32_e32 v233, 31, v232
	s_delay_alu instid0(VALU_DEP_1) | instskip(SKIP_1) | instid1(VALU_DEP_1)
	v_lshlrev_b64 v[212:213], 2, v[232:233]
	s_waitcnt vmcnt(0)
	v_add_co_u32 v212, vcc_lo, v10, v212
	s_delay_alu instid0(VALU_DEP_2)
	v_add_co_ci_u32_e32 v213, vcc_lo, v11, v213, vcc_lo
	s_clause 0x1
	flat_load_b32 v214, v[212:213]
	flat_load_b32 v215, v[10:11] offset:124
	s_waitcnt vmcnt(1) lgkmcnt(1)
	flat_store_b32 v[10:11], v214 offset:124
	s_waitcnt vmcnt(0) lgkmcnt(1)
	flat_store_b32 v[212:213], v215
.LBB110_666:
	s_or_b32 exec_lo, exec_lo, s6
	v_mov_b32_e32 v240, v232
	v_mov_b32_e32 v239, v232
.LBB110_667:
	s_or_b32 exec_lo, exec_lo, s3
.LBB110_668:
	s_and_not1_saveexec_b32 s2, s2
	s_cbranch_execz .LBB110_670
; %bb.669:
	v_mov_b32_e32 v240, 31
	ds_store_2addr_b64 v234, v[92:93], v[94:95] offset0:64 offset1:65
	ds_store_2addr_b64 v234, v[88:89], v[90:91] offset0:66 offset1:67
	;; [unrolled: 1-line block ×24, first 2 shown]
.LBB110_670:
	s_or_b32 exec_lo, exec_lo, s2
	s_delay_alu instid0(SALU_CYCLE_1)
	s_mov_b32 s2, exec_lo
	s_waitcnt lgkmcnt(0)
	s_waitcnt_vscnt null, 0x0
	s_barrier
	buffer_gl0_inv
	v_cmpx_lt_i32_e32 31, v240
	s_cbranch_execz .LBB110_672
; %bb.671:
	v_mul_f64 v[212:213], v[226:227], v[98:99]
	v_mul_f64 v[98:99], v[224:225], v[98:99]
	s_delay_alu instid0(VALU_DEP_2) | instskip(NEXT) | instid1(VALU_DEP_2)
	v_fma_f64 v[232:233], v[224:225], v[96:97], -v[212:213]
	v_fma_f64 v[98:99], v[226:227], v[96:97], v[98:99]
	ds_load_2addr_b64 v[224:227], v234 offset0:64 offset1:65
	s_waitcnt lgkmcnt(0)
	v_mul_f64 v[96:97], v[226:227], v[98:99]
	v_mul_f64 v[212:213], v[224:225], v[98:99]
	s_delay_alu instid0(VALU_DEP_2) | instskip(NEXT) | instid1(VALU_DEP_2)
	v_fma_f64 v[96:97], v[224:225], v[232:233], -v[96:97]
	v_fma_f64 v[212:213], v[226:227], v[232:233], v[212:213]
	ds_load_2addr_b64 v[224:227], v234 offset0:66 offset1:67
	v_add_f64 v[92:93], v[92:93], -v[96:97]
	v_add_f64 v[94:95], v[94:95], -v[212:213]
	s_waitcnt lgkmcnt(0)
	v_mul_f64 v[96:97], v[226:227], v[98:99]
	v_mul_f64 v[212:213], v[224:225], v[98:99]
	s_delay_alu instid0(VALU_DEP_2) | instskip(NEXT) | instid1(VALU_DEP_2)
	v_fma_f64 v[96:97], v[224:225], v[232:233], -v[96:97]
	v_fma_f64 v[212:213], v[226:227], v[232:233], v[212:213]
	ds_load_2addr_b64 v[224:227], v234 offset0:68 offset1:69
	v_add_f64 v[88:89], v[88:89], -v[96:97]
	v_add_f64 v[90:91], v[90:91], -v[212:213]
	;; [unrolled: 9-line block ×23, first 2 shown]
	s_waitcnt lgkmcnt(0)
	v_mul_f64 v[96:97], v[226:227], v[98:99]
	v_mul_f64 v[212:213], v[224:225], v[98:99]
	s_delay_alu instid0(VALU_DEP_2) | instskip(NEXT) | instid1(VALU_DEP_2)
	v_fma_f64 v[96:97], v[224:225], v[232:233], -v[96:97]
	v_fma_f64 v[212:213], v[226:227], v[232:233], v[212:213]
	s_delay_alu instid0(VALU_DEP_2) | instskip(NEXT) | instid1(VALU_DEP_2)
	v_add_f64 v[0:1], v[0:1], -v[96:97]
	v_add_f64 v[2:3], v[2:3], -v[212:213]
	v_dual_mov_b32 v96, v232 :: v_dual_mov_b32 v97, v233
.LBB110_672:
	s_or_b32 exec_lo, exec_lo, s2
	v_lshl_add_u32 v212, v240, 4, v234
	s_barrier
	buffer_gl0_inv
	v_mov_b32_e32 v232, 32
	ds_store_2addr_b64 v212, v[92:93], v[94:95] offset1:1
	s_waitcnt lgkmcnt(0)
	s_barrier
	buffer_gl0_inv
	ds_load_2addr_b64 v[224:227], v234 offset0:64 offset1:65
	s_cmp_lt_i32 s5, 34
	s_cbranch_scc1 .LBB110_675
; %bb.673:
	v_add3_u32 v233, v238, 0, 0x210
	v_mov_b32_e32 v232, 32
	s_mov_b32 s6, 33
	s_set_inst_prefetch_distance 0x1
	.p2align	6
.LBB110_674:                            ; =>This Inner Loop Header: Depth=1
	ds_load_2addr_b64 v[241:244], v233 offset1:1
	s_waitcnt lgkmcnt(1)
	v_cmp_gt_f64_e32 vcc_lo, 0, v[224:225]
	v_xor_b32_e32 v212, 0x80000000, v225
	v_cmp_gt_f64_e64 s2, 0, v[226:227]
	v_xor_b32_e32 v214, 0x80000000, v227
	v_add_nc_u32_e32 v233, 16, v233
	s_waitcnt lgkmcnt(0)
	v_cmp_gt_f64_e64 s3, 0, v[241:242]
	v_mov_b32_e32 v216, v241
	v_dual_mov_b32 v218, v243 :: v_dual_cndmask_b32 v213, v225, v212
	v_xor_b32_e32 v212, 0x80000000, v242
	v_cndmask_b32_e64 v215, v227, v214, s2
	v_xor_b32_e32 v214, 0x80000000, v244
	s_delay_alu instid0(VALU_DEP_3) | instskip(SKIP_2) | instid1(VALU_DEP_2)
	v_cndmask_b32_e64 v217, v242, v212, s3
	v_cmp_gt_f64_e64 s3, 0, v[243:244]
	v_cndmask_b32_e32 v212, v224, v224, vcc_lo
	v_cndmask_b32_e64 v219, v244, v214, s3
	v_cndmask_b32_e64 v214, v226, v226, s2
	s_delay_alu instid0(VALU_DEP_2) | instskip(NEXT) | instid1(VALU_DEP_2)
	v_add_f64 v[216:217], v[216:217], v[218:219]
	v_add_f64 v[212:213], v[212:213], v[214:215]
	s_delay_alu instid0(VALU_DEP_1) | instskip(SKIP_4) | instid1(SALU_CYCLE_1)
	v_cmp_lt_f64_e32 vcc_lo, v[212:213], v[216:217]
	v_dual_cndmask_b32 v225, v225, v242 :: v_dual_cndmask_b32 v224, v224, v241
	v_dual_cndmask_b32 v227, v227, v244 :: v_dual_cndmask_b32 v226, v226, v243
	v_cndmask_b32_e64 v232, v232, s6, vcc_lo
	s_add_i32 s6, s6, 1
	s_cmp_lg_u32 s5, s6
	s_cbranch_scc1 .LBB110_674
.LBB110_675:
	s_set_inst_prefetch_distance 0x2
	s_waitcnt lgkmcnt(0)
	v_cmp_eq_f64_e32 vcc_lo, 0, v[224:225]
	v_cmp_eq_f64_e64 s2, 0, v[226:227]
	s_delay_alu instid0(VALU_DEP_1) | instskip(NEXT) | instid1(SALU_CYCLE_1)
	s_and_b32 s2, vcc_lo, s2
	s_and_saveexec_b32 s3, s2
	s_delay_alu instid0(SALU_CYCLE_1)
	s_xor_b32 s2, exec_lo, s3
; %bb.676:
	v_cmp_ne_u32_e32 vcc_lo, 0, v237
	v_cndmask_b32_e32 v237, 33, v237, vcc_lo
; %bb.677:
	s_and_not1_saveexec_b32 s3, s2
	s_cbranch_execz .LBB110_683
; %bb.678:
	v_cmp_gt_f64_e32 vcc_lo, 0, v[224:225]
	v_cmp_gt_f64_e64 s2, 0, v[226:227]
	v_xor_b32_e32 v212, 0x80000000, v225
	v_xor_b32_e32 v214, 0x80000000, v227
	s_delay_alu instid0(VALU_DEP_2) | instskip(NEXT) | instid1(VALU_DEP_2)
	v_cndmask_b32_e32 v213, v225, v212, vcc_lo
	v_cndmask_b32_e64 v215, v227, v214, s2
	v_cndmask_b32_e32 v212, v224, v224, vcc_lo
	v_cndmask_b32_e64 v214, v226, v226, s2
	s_mov_b32 s2, exec_lo
	s_delay_alu instid0(VALU_DEP_1)
	v_cmpx_ngt_f64_e32 v[212:213], v[214:215]
	s_xor_b32 s2, exec_lo, s2
	s_cbranch_execz .LBB110_680
; %bb.679:
	v_div_scale_f64 v[212:213], null, v[226:227], v[226:227], v[224:225]
	v_div_scale_f64 v[218:219], vcc_lo, v[224:225], v[226:227], v[224:225]
	s_delay_alu instid0(VALU_DEP_2) | instskip(SKIP_2) | instid1(VALU_DEP_1)
	v_rcp_f64_e32 v[214:215], v[212:213]
	s_waitcnt_depctr 0xfff
	v_fma_f64 v[216:217], -v[212:213], v[214:215], 1.0
	v_fma_f64 v[214:215], v[214:215], v[216:217], v[214:215]
	s_delay_alu instid0(VALU_DEP_1) | instskip(NEXT) | instid1(VALU_DEP_1)
	v_fma_f64 v[216:217], -v[212:213], v[214:215], 1.0
	v_fma_f64 v[214:215], v[214:215], v[216:217], v[214:215]
	s_delay_alu instid0(VALU_DEP_1) | instskip(NEXT) | instid1(VALU_DEP_1)
	v_mul_f64 v[216:217], v[218:219], v[214:215]
	v_fma_f64 v[212:213], -v[212:213], v[216:217], v[218:219]
	s_delay_alu instid0(VALU_DEP_1) | instskip(NEXT) | instid1(VALU_DEP_1)
	v_div_fmas_f64 v[212:213], v[212:213], v[214:215], v[216:217]
	v_div_fixup_f64 v[212:213], v[212:213], v[226:227], v[224:225]
	s_delay_alu instid0(VALU_DEP_1) | instskip(NEXT) | instid1(VALU_DEP_1)
	v_fma_f64 v[214:215], v[224:225], v[212:213], v[226:227]
	v_div_scale_f64 v[216:217], null, v[214:215], v[214:215], 1.0
	s_delay_alu instid0(VALU_DEP_1) | instskip(SKIP_2) | instid1(VALU_DEP_1)
	v_rcp_f64_e32 v[218:219], v[216:217]
	s_waitcnt_depctr 0xfff
	v_fma_f64 v[220:221], -v[216:217], v[218:219], 1.0
	v_fma_f64 v[218:219], v[218:219], v[220:221], v[218:219]
	s_delay_alu instid0(VALU_DEP_1) | instskip(NEXT) | instid1(VALU_DEP_1)
	v_fma_f64 v[220:221], -v[216:217], v[218:219], 1.0
	v_fma_f64 v[218:219], v[218:219], v[220:221], v[218:219]
	v_div_scale_f64 v[220:221], vcc_lo, 1.0, v[214:215], 1.0
	s_delay_alu instid0(VALU_DEP_1) | instskip(NEXT) | instid1(VALU_DEP_1)
	v_mul_f64 v[222:223], v[220:221], v[218:219]
	v_fma_f64 v[216:217], -v[216:217], v[222:223], v[220:221]
	s_delay_alu instid0(VALU_DEP_1) | instskip(NEXT) | instid1(VALU_DEP_1)
	v_div_fmas_f64 v[216:217], v[216:217], v[218:219], v[222:223]
	v_div_fixup_f64 v[226:227], v[216:217], v[214:215], 1.0
	s_delay_alu instid0(VALU_DEP_1)
	v_mul_f64 v[224:225], v[212:213], v[226:227]
	v_xor_b32_e32 v227, 0x80000000, v227
.LBB110_680:
	s_and_not1_saveexec_b32 s2, s2
	s_cbranch_execz .LBB110_682
; %bb.681:
	s_delay_alu instid0(VALU_DEP_1) | instskip(SKIP_1) | instid1(VALU_DEP_2)
	v_div_scale_f64 v[212:213], null, v[224:225], v[224:225], v[226:227]
	v_div_scale_f64 v[218:219], vcc_lo, v[226:227], v[224:225], v[226:227]
	v_rcp_f64_e32 v[214:215], v[212:213]
	s_waitcnt_depctr 0xfff
	v_fma_f64 v[216:217], -v[212:213], v[214:215], 1.0
	s_delay_alu instid0(VALU_DEP_1) | instskip(NEXT) | instid1(VALU_DEP_1)
	v_fma_f64 v[214:215], v[214:215], v[216:217], v[214:215]
	v_fma_f64 v[216:217], -v[212:213], v[214:215], 1.0
	s_delay_alu instid0(VALU_DEP_1) | instskip(NEXT) | instid1(VALU_DEP_1)
	v_fma_f64 v[214:215], v[214:215], v[216:217], v[214:215]
	v_mul_f64 v[216:217], v[218:219], v[214:215]
	s_delay_alu instid0(VALU_DEP_1) | instskip(NEXT) | instid1(VALU_DEP_1)
	v_fma_f64 v[212:213], -v[212:213], v[216:217], v[218:219]
	v_div_fmas_f64 v[212:213], v[212:213], v[214:215], v[216:217]
	s_delay_alu instid0(VALU_DEP_1) | instskip(NEXT) | instid1(VALU_DEP_1)
	v_div_fixup_f64 v[212:213], v[212:213], v[224:225], v[226:227]
	v_fma_f64 v[214:215], v[226:227], v[212:213], v[224:225]
	s_delay_alu instid0(VALU_DEP_1) | instskip(NEXT) | instid1(VALU_DEP_1)
	v_div_scale_f64 v[216:217], null, v[214:215], v[214:215], 1.0
	v_rcp_f64_e32 v[218:219], v[216:217]
	s_waitcnt_depctr 0xfff
	v_fma_f64 v[220:221], -v[216:217], v[218:219], 1.0
	s_delay_alu instid0(VALU_DEP_1) | instskip(NEXT) | instid1(VALU_DEP_1)
	v_fma_f64 v[218:219], v[218:219], v[220:221], v[218:219]
	v_fma_f64 v[220:221], -v[216:217], v[218:219], 1.0
	s_delay_alu instid0(VALU_DEP_1) | instskip(SKIP_1) | instid1(VALU_DEP_1)
	v_fma_f64 v[218:219], v[218:219], v[220:221], v[218:219]
	v_div_scale_f64 v[220:221], vcc_lo, 1.0, v[214:215], 1.0
	v_mul_f64 v[222:223], v[220:221], v[218:219]
	s_delay_alu instid0(VALU_DEP_1) | instskip(NEXT) | instid1(VALU_DEP_1)
	v_fma_f64 v[216:217], -v[216:217], v[222:223], v[220:221]
	v_div_fmas_f64 v[216:217], v[216:217], v[218:219], v[222:223]
	s_delay_alu instid0(VALU_DEP_1) | instskip(NEXT) | instid1(VALU_DEP_1)
	v_div_fixup_f64 v[224:225], v[216:217], v[214:215], 1.0
	v_mul_f64 v[226:227], v[212:213], -v[224:225]
.LBB110_682:
	s_or_b32 exec_lo, exec_lo, s2
.LBB110_683:
	s_delay_alu instid0(SALU_CYCLE_1) | instskip(NEXT) | instid1(SALU_CYCLE_1)
	s_or_b32 exec_lo, exec_lo, s3
	s_mov_b32 s2, exec_lo
	v_cmpx_ne_u32_e64 v240, v232
	s_xor_b32 s2, exec_lo, s2
	s_cbranch_execz .LBB110_689
; %bb.684:
	s_mov_b32 s3, exec_lo
	v_cmpx_eq_u32_e32 32, v240
	s_cbranch_execz .LBB110_688
; %bb.685:
	v_cmp_ne_u32_e32 vcc_lo, 32, v232
	s_xor_b32 s6, s4, -1
	s_delay_alu instid0(SALU_CYCLE_1) | instskip(NEXT) | instid1(SALU_CYCLE_1)
	s_and_b32 s7, s6, vcc_lo
	s_and_saveexec_b32 s6, s7
	s_cbranch_execz .LBB110_687
; %bb.686:
	scratch_load_b64 v[10:11], off, off     ; 8-byte Folded Reload
	v_ashrrev_i32_e32 v233, 31, v232
	s_delay_alu instid0(VALU_DEP_1) | instskip(SKIP_1) | instid1(VALU_DEP_1)
	v_lshlrev_b64 v[212:213], 2, v[232:233]
	s_waitcnt vmcnt(0)
	v_add_co_u32 v212, vcc_lo, v10, v212
	s_delay_alu instid0(VALU_DEP_2)
	v_add_co_ci_u32_e32 v213, vcc_lo, v11, v213, vcc_lo
	s_clause 0x1
	flat_load_b32 v214, v[212:213]
	flat_load_b32 v215, v[10:11] offset:128
	s_waitcnt vmcnt(1) lgkmcnt(1)
	flat_store_b32 v[10:11], v214 offset:128
	s_waitcnt vmcnt(0) lgkmcnt(1)
	flat_store_b32 v[212:213], v215
.LBB110_687:
	s_or_b32 exec_lo, exec_lo, s6
	v_mov_b32_e32 v240, v232
	v_mov_b32_e32 v239, v232
.LBB110_688:
	s_or_b32 exec_lo, exec_lo, s3
.LBB110_689:
	s_and_not1_saveexec_b32 s2, s2
	s_cbranch_execz .LBB110_691
; %bb.690:
	v_mov_b32_e32 v240, 32
	ds_store_2addr_b64 v234, v[88:89], v[90:91] offset0:66 offset1:67
	ds_store_2addr_b64 v234, v[84:85], v[86:87] offset0:68 offset1:69
	;; [unrolled: 1-line block ×23, first 2 shown]
.LBB110_691:
	s_or_b32 exec_lo, exec_lo, s2
	s_delay_alu instid0(SALU_CYCLE_1)
	s_mov_b32 s2, exec_lo
	s_waitcnt lgkmcnt(0)
	s_waitcnt_vscnt null, 0x0
	s_barrier
	buffer_gl0_inv
	v_cmpx_lt_i32_e32 32, v240
	s_cbranch_execz .LBB110_693
; %bb.692:
	v_mul_f64 v[212:213], v[226:227], v[94:95]
	v_mul_f64 v[94:95], v[224:225], v[94:95]
	s_delay_alu instid0(VALU_DEP_2) | instskip(NEXT) | instid1(VALU_DEP_2)
	v_fma_f64 v[232:233], v[224:225], v[92:93], -v[212:213]
	v_fma_f64 v[94:95], v[226:227], v[92:93], v[94:95]
	ds_load_2addr_b64 v[224:227], v234 offset0:66 offset1:67
	s_waitcnt lgkmcnt(0)
	v_mul_f64 v[92:93], v[226:227], v[94:95]
	v_mul_f64 v[212:213], v[224:225], v[94:95]
	s_delay_alu instid0(VALU_DEP_2) | instskip(NEXT) | instid1(VALU_DEP_2)
	v_fma_f64 v[92:93], v[224:225], v[232:233], -v[92:93]
	v_fma_f64 v[212:213], v[226:227], v[232:233], v[212:213]
	ds_load_2addr_b64 v[224:227], v234 offset0:68 offset1:69
	v_add_f64 v[88:89], v[88:89], -v[92:93]
	v_add_f64 v[90:91], v[90:91], -v[212:213]
	s_waitcnt lgkmcnt(0)
	v_mul_f64 v[92:93], v[226:227], v[94:95]
	v_mul_f64 v[212:213], v[224:225], v[94:95]
	s_delay_alu instid0(VALU_DEP_2) | instskip(NEXT) | instid1(VALU_DEP_2)
	v_fma_f64 v[92:93], v[224:225], v[232:233], -v[92:93]
	v_fma_f64 v[212:213], v[226:227], v[232:233], v[212:213]
	ds_load_2addr_b64 v[224:227], v234 offset0:70 offset1:71
	v_add_f64 v[84:85], v[84:85], -v[92:93]
	v_add_f64 v[86:87], v[86:87], -v[212:213]
	;; [unrolled: 9-line block ×22, first 2 shown]
	s_waitcnt lgkmcnt(0)
	v_mul_f64 v[92:93], v[226:227], v[94:95]
	v_mul_f64 v[212:213], v[224:225], v[94:95]
	s_delay_alu instid0(VALU_DEP_2) | instskip(NEXT) | instid1(VALU_DEP_2)
	v_fma_f64 v[92:93], v[224:225], v[232:233], -v[92:93]
	v_fma_f64 v[212:213], v[226:227], v[232:233], v[212:213]
	s_delay_alu instid0(VALU_DEP_2) | instskip(NEXT) | instid1(VALU_DEP_2)
	v_add_f64 v[0:1], v[0:1], -v[92:93]
	v_add_f64 v[2:3], v[2:3], -v[212:213]
	v_dual_mov_b32 v92, v232 :: v_dual_mov_b32 v93, v233
.LBB110_693:
	s_or_b32 exec_lo, exec_lo, s2
	v_lshl_add_u32 v212, v240, 4, v234
	s_barrier
	buffer_gl0_inv
	v_mov_b32_e32 v232, 33
	ds_store_2addr_b64 v212, v[88:89], v[90:91] offset1:1
	s_waitcnt lgkmcnt(0)
	s_barrier
	buffer_gl0_inv
	ds_load_2addr_b64 v[224:227], v234 offset0:66 offset1:67
	s_cmp_lt_i32 s5, 35
	s_cbranch_scc1 .LBB110_696
; %bb.694:
	v_add3_u32 v233, v238, 0, 0x220
	v_mov_b32_e32 v232, 33
	s_mov_b32 s6, 34
	s_set_inst_prefetch_distance 0x1
	.p2align	6
.LBB110_695:                            ; =>This Inner Loop Header: Depth=1
	ds_load_2addr_b64 v[241:244], v233 offset1:1
	s_waitcnt lgkmcnt(1)
	v_cmp_gt_f64_e32 vcc_lo, 0, v[224:225]
	v_xor_b32_e32 v212, 0x80000000, v225
	v_cmp_gt_f64_e64 s2, 0, v[226:227]
	v_xor_b32_e32 v214, 0x80000000, v227
	v_add_nc_u32_e32 v233, 16, v233
	s_waitcnt lgkmcnt(0)
	v_cmp_gt_f64_e64 s3, 0, v[241:242]
	v_mov_b32_e32 v216, v241
	v_dual_mov_b32 v218, v243 :: v_dual_cndmask_b32 v213, v225, v212
	v_xor_b32_e32 v212, 0x80000000, v242
	v_cndmask_b32_e64 v215, v227, v214, s2
	v_xor_b32_e32 v214, 0x80000000, v244
	s_delay_alu instid0(VALU_DEP_3) | instskip(SKIP_2) | instid1(VALU_DEP_2)
	v_cndmask_b32_e64 v217, v242, v212, s3
	v_cmp_gt_f64_e64 s3, 0, v[243:244]
	v_cndmask_b32_e32 v212, v224, v224, vcc_lo
	v_cndmask_b32_e64 v219, v244, v214, s3
	v_cndmask_b32_e64 v214, v226, v226, s2
	s_delay_alu instid0(VALU_DEP_2) | instskip(NEXT) | instid1(VALU_DEP_2)
	v_add_f64 v[216:217], v[216:217], v[218:219]
	v_add_f64 v[212:213], v[212:213], v[214:215]
	s_delay_alu instid0(VALU_DEP_1) | instskip(SKIP_4) | instid1(SALU_CYCLE_1)
	v_cmp_lt_f64_e32 vcc_lo, v[212:213], v[216:217]
	v_dual_cndmask_b32 v225, v225, v242 :: v_dual_cndmask_b32 v224, v224, v241
	v_dual_cndmask_b32 v227, v227, v244 :: v_dual_cndmask_b32 v226, v226, v243
	v_cndmask_b32_e64 v232, v232, s6, vcc_lo
	s_add_i32 s6, s6, 1
	s_cmp_lg_u32 s5, s6
	s_cbranch_scc1 .LBB110_695
.LBB110_696:
	s_set_inst_prefetch_distance 0x2
	s_waitcnt lgkmcnt(0)
	v_cmp_eq_f64_e32 vcc_lo, 0, v[224:225]
	v_cmp_eq_f64_e64 s2, 0, v[226:227]
	s_delay_alu instid0(VALU_DEP_1) | instskip(NEXT) | instid1(SALU_CYCLE_1)
	s_and_b32 s2, vcc_lo, s2
	s_and_saveexec_b32 s3, s2
	s_delay_alu instid0(SALU_CYCLE_1)
	s_xor_b32 s2, exec_lo, s3
; %bb.697:
	v_cmp_ne_u32_e32 vcc_lo, 0, v237
	v_cndmask_b32_e32 v237, 34, v237, vcc_lo
; %bb.698:
	s_and_not1_saveexec_b32 s3, s2
	s_cbranch_execz .LBB110_704
; %bb.699:
	v_cmp_gt_f64_e32 vcc_lo, 0, v[224:225]
	v_cmp_gt_f64_e64 s2, 0, v[226:227]
	v_xor_b32_e32 v212, 0x80000000, v225
	v_xor_b32_e32 v214, 0x80000000, v227
	s_delay_alu instid0(VALU_DEP_2) | instskip(NEXT) | instid1(VALU_DEP_2)
	v_cndmask_b32_e32 v213, v225, v212, vcc_lo
	v_cndmask_b32_e64 v215, v227, v214, s2
	v_cndmask_b32_e32 v212, v224, v224, vcc_lo
	v_cndmask_b32_e64 v214, v226, v226, s2
	s_mov_b32 s2, exec_lo
	s_delay_alu instid0(VALU_DEP_1)
	v_cmpx_ngt_f64_e32 v[212:213], v[214:215]
	s_xor_b32 s2, exec_lo, s2
	s_cbranch_execz .LBB110_701
; %bb.700:
	v_div_scale_f64 v[212:213], null, v[226:227], v[226:227], v[224:225]
	v_div_scale_f64 v[218:219], vcc_lo, v[224:225], v[226:227], v[224:225]
	s_delay_alu instid0(VALU_DEP_2) | instskip(SKIP_2) | instid1(VALU_DEP_1)
	v_rcp_f64_e32 v[214:215], v[212:213]
	s_waitcnt_depctr 0xfff
	v_fma_f64 v[216:217], -v[212:213], v[214:215], 1.0
	v_fma_f64 v[214:215], v[214:215], v[216:217], v[214:215]
	s_delay_alu instid0(VALU_DEP_1) | instskip(NEXT) | instid1(VALU_DEP_1)
	v_fma_f64 v[216:217], -v[212:213], v[214:215], 1.0
	v_fma_f64 v[214:215], v[214:215], v[216:217], v[214:215]
	s_delay_alu instid0(VALU_DEP_1) | instskip(NEXT) | instid1(VALU_DEP_1)
	v_mul_f64 v[216:217], v[218:219], v[214:215]
	v_fma_f64 v[212:213], -v[212:213], v[216:217], v[218:219]
	s_delay_alu instid0(VALU_DEP_1) | instskip(NEXT) | instid1(VALU_DEP_1)
	v_div_fmas_f64 v[212:213], v[212:213], v[214:215], v[216:217]
	v_div_fixup_f64 v[212:213], v[212:213], v[226:227], v[224:225]
	s_delay_alu instid0(VALU_DEP_1) | instskip(NEXT) | instid1(VALU_DEP_1)
	v_fma_f64 v[214:215], v[224:225], v[212:213], v[226:227]
	v_div_scale_f64 v[216:217], null, v[214:215], v[214:215], 1.0
	s_delay_alu instid0(VALU_DEP_1) | instskip(SKIP_2) | instid1(VALU_DEP_1)
	v_rcp_f64_e32 v[218:219], v[216:217]
	s_waitcnt_depctr 0xfff
	v_fma_f64 v[220:221], -v[216:217], v[218:219], 1.0
	v_fma_f64 v[218:219], v[218:219], v[220:221], v[218:219]
	s_delay_alu instid0(VALU_DEP_1) | instskip(NEXT) | instid1(VALU_DEP_1)
	v_fma_f64 v[220:221], -v[216:217], v[218:219], 1.0
	v_fma_f64 v[218:219], v[218:219], v[220:221], v[218:219]
	v_div_scale_f64 v[220:221], vcc_lo, 1.0, v[214:215], 1.0
	s_delay_alu instid0(VALU_DEP_1) | instskip(NEXT) | instid1(VALU_DEP_1)
	v_mul_f64 v[222:223], v[220:221], v[218:219]
	v_fma_f64 v[216:217], -v[216:217], v[222:223], v[220:221]
	s_delay_alu instid0(VALU_DEP_1) | instskip(NEXT) | instid1(VALU_DEP_1)
	v_div_fmas_f64 v[216:217], v[216:217], v[218:219], v[222:223]
	v_div_fixup_f64 v[226:227], v[216:217], v[214:215], 1.0
	s_delay_alu instid0(VALU_DEP_1)
	v_mul_f64 v[224:225], v[212:213], v[226:227]
	v_xor_b32_e32 v227, 0x80000000, v227
.LBB110_701:
	s_and_not1_saveexec_b32 s2, s2
	s_cbranch_execz .LBB110_703
; %bb.702:
	s_delay_alu instid0(VALU_DEP_1) | instskip(SKIP_1) | instid1(VALU_DEP_2)
	v_div_scale_f64 v[212:213], null, v[224:225], v[224:225], v[226:227]
	v_div_scale_f64 v[218:219], vcc_lo, v[226:227], v[224:225], v[226:227]
	v_rcp_f64_e32 v[214:215], v[212:213]
	s_waitcnt_depctr 0xfff
	v_fma_f64 v[216:217], -v[212:213], v[214:215], 1.0
	s_delay_alu instid0(VALU_DEP_1) | instskip(NEXT) | instid1(VALU_DEP_1)
	v_fma_f64 v[214:215], v[214:215], v[216:217], v[214:215]
	v_fma_f64 v[216:217], -v[212:213], v[214:215], 1.0
	s_delay_alu instid0(VALU_DEP_1) | instskip(NEXT) | instid1(VALU_DEP_1)
	v_fma_f64 v[214:215], v[214:215], v[216:217], v[214:215]
	v_mul_f64 v[216:217], v[218:219], v[214:215]
	s_delay_alu instid0(VALU_DEP_1) | instskip(NEXT) | instid1(VALU_DEP_1)
	v_fma_f64 v[212:213], -v[212:213], v[216:217], v[218:219]
	v_div_fmas_f64 v[212:213], v[212:213], v[214:215], v[216:217]
	s_delay_alu instid0(VALU_DEP_1) | instskip(NEXT) | instid1(VALU_DEP_1)
	v_div_fixup_f64 v[212:213], v[212:213], v[224:225], v[226:227]
	v_fma_f64 v[214:215], v[226:227], v[212:213], v[224:225]
	s_delay_alu instid0(VALU_DEP_1) | instskip(NEXT) | instid1(VALU_DEP_1)
	v_div_scale_f64 v[216:217], null, v[214:215], v[214:215], 1.0
	v_rcp_f64_e32 v[218:219], v[216:217]
	s_waitcnt_depctr 0xfff
	v_fma_f64 v[220:221], -v[216:217], v[218:219], 1.0
	s_delay_alu instid0(VALU_DEP_1) | instskip(NEXT) | instid1(VALU_DEP_1)
	v_fma_f64 v[218:219], v[218:219], v[220:221], v[218:219]
	v_fma_f64 v[220:221], -v[216:217], v[218:219], 1.0
	s_delay_alu instid0(VALU_DEP_1) | instskip(SKIP_1) | instid1(VALU_DEP_1)
	v_fma_f64 v[218:219], v[218:219], v[220:221], v[218:219]
	v_div_scale_f64 v[220:221], vcc_lo, 1.0, v[214:215], 1.0
	v_mul_f64 v[222:223], v[220:221], v[218:219]
	s_delay_alu instid0(VALU_DEP_1) | instskip(NEXT) | instid1(VALU_DEP_1)
	v_fma_f64 v[216:217], -v[216:217], v[222:223], v[220:221]
	v_div_fmas_f64 v[216:217], v[216:217], v[218:219], v[222:223]
	s_delay_alu instid0(VALU_DEP_1) | instskip(NEXT) | instid1(VALU_DEP_1)
	v_div_fixup_f64 v[224:225], v[216:217], v[214:215], 1.0
	v_mul_f64 v[226:227], v[212:213], -v[224:225]
.LBB110_703:
	s_or_b32 exec_lo, exec_lo, s2
.LBB110_704:
	s_delay_alu instid0(SALU_CYCLE_1) | instskip(NEXT) | instid1(SALU_CYCLE_1)
	s_or_b32 exec_lo, exec_lo, s3
	s_mov_b32 s2, exec_lo
	v_cmpx_ne_u32_e64 v240, v232
	s_xor_b32 s2, exec_lo, s2
	s_cbranch_execz .LBB110_710
; %bb.705:
	s_mov_b32 s3, exec_lo
	v_cmpx_eq_u32_e32 33, v240
	s_cbranch_execz .LBB110_709
; %bb.706:
	v_cmp_ne_u32_e32 vcc_lo, 33, v232
	s_xor_b32 s6, s4, -1
	s_delay_alu instid0(SALU_CYCLE_1) | instskip(NEXT) | instid1(SALU_CYCLE_1)
	s_and_b32 s7, s6, vcc_lo
	s_and_saveexec_b32 s6, s7
	s_cbranch_execz .LBB110_708
; %bb.707:
	scratch_load_b64 v[10:11], off, off     ; 8-byte Folded Reload
	v_ashrrev_i32_e32 v233, 31, v232
	s_delay_alu instid0(VALU_DEP_1) | instskip(SKIP_1) | instid1(VALU_DEP_1)
	v_lshlrev_b64 v[212:213], 2, v[232:233]
	s_waitcnt vmcnt(0)
	v_add_co_u32 v212, vcc_lo, v10, v212
	s_delay_alu instid0(VALU_DEP_2)
	v_add_co_ci_u32_e32 v213, vcc_lo, v11, v213, vcc_lo
	s_clause 0x1
	flat_load_b32 v214, v[212:213]
	flat_load_b32 v215, v[10:11] offset:132
	s_waitcnt vmcnt(1) lgkmcnt(1)
	flat_store_b32 v[10:11], v214 offset:132
	s_waitcnt vmcnt(0) lgkmcnt(1)
	flat_store_b32 v[212:213], v215
.LBB110_708:
	s_or_b32 exec_lo, exec_lo, s6
	v_mov_b32_e32 v240, v232
	v_mov_b32_e32 v239, v232
.LBB110_709:
	s_or_b32 exec_lo, exec_lo, s3
.LBB110_710:
	s_and_not1_saveexec_b32 s2, s2
	s_cbranch_execz .LBB110_712
; %bb.711:
	v_mov_b32_e32 v240, 33
	ds_store_2addr_b64 v234, v[84:85], v[86:87] offset0:68 offset1:69
	ds_store_2addr_b64 v234, v[80:81], v[82:83] offset0:70 offset1:71
	;; [unrolled: 1-line block ×22, first 2 shown]
.LBB110_712:
	s_or_b32 exec_lo, exec_lo, s2
	s_delay_alu instid0(SALU_CYCLE_1)
	s_mov_b32 s2, exec_lo
	s_waitcnt lgkmcnt(0)
	s_waitcnt_vscnt null, 0x0
	s_barrier
	buffer_gl0_inv
	v_cmpx_lt_i32_e32 33, v240
	s_cbranch_execz .LBB110_714
; %bb.713:
	v_mul_f64 v[212:213], v[226:227], v[90:91]
	v_mul_f64 v[90:91], v[224:225], v[90:91]
	s_delay_alu instid0(VALU_DEP_2) | instskip(NEXT) | instid1(VALU_DEP_2)
	v_fma_f64 v[232:233], v[224:225], v[88:89], -v[212:213]
	v_fma_f64 v[90:91], v[226:227], v[88:89], v[90:91]
	ds_load_2addr_b64 v[224:227], v234 offset0:68 offset1:69
	s_waitcnt lgkmcnt(0)
	v_mul_f64 v[88:89], v[226:227], v[90:91]
	v_mul_f64 v[212:213], v[224:225], v[90:91]
	s_delay_alu instid0(VALU_DEP_2) | instskip(NEXT) | instid1(VALU_DEP_2)
	v_fma_f64 v[88:89], v[224:225], v[232:233], -v[88:89]
	v_fma_f64 v[212:213], v[226:227], v[232:233], v[212:213]
	ds_load_2addr_b64 v[224:227], v234 offset0:70 offset1:71
	v_add_f64 v[84:85], v[84:85], -v[88:89]
	v_add_f64 v[86:87], v[86:87], -v[212:213]
	s_waitcnt lgkmcnt(0)
	v_mul_f64 v[88:89], v[226:227], v[90:91]
	v_mul_f64 v[212:213], v[224:225], v[90:91]
	s_delay_alu instid0(VALU_DEP_2) | instskip(NEXT) | instid1(VALU_DEP_2)
	v_fma_f64 v[88:89], v[224:225], v[232:233], -v[88:89]
	v_fma_f64 v[212:213], v[226:227], v[232:233], v[212:213]
	ds_load_2addr_b64 v[224:227], v234 offset0:72 offset1:73
	v_add_f64 v[80:81], v[80:81], -v[88:89]
	v_add_f64 v[82:83], v[82:83], -v[212:213]
	;; [unrolled: 9-line block ×21, first 2 shown]
	s_waitcnt lgkmcnt(0)
	v_mul_f64 v[88:89], v[226:227], v[90:91]
	v_mul_f64 v[212:213], v[224:225], v[90:91]
	s_delay_alu instid0(VALU_DEP_2) | instskip(NEXT) | instid1(VALU_DEP_2)
	v_fma_f64 v[88:89], v[224:225], v[232:233], -v[88:89]
	v_fma_f64 v[212:213], v[226:227], v[232:233], v[212:213]
	s_delay_alu instid0(VALU_DEP_2) | instskip(NEXT) | instid1(VALU_DEP_2)
	v_add_f64 v[0:1], v[0:1], -v[88:89]
	v_add_f64 v[2:3], v[2:3], -v[212:213]
	v_dual_mov_b32 v88, v232 :: v_dual_mov_b32 v89, v233
.LBB110_714:
	s_or_b32 exec_lo, exec_lo, s2
	v_lshl_add_u32 v212, v240, 4, v234
	s_barrier
	buffer_gl0_inv
	v_mov_b32_e32 v232, 34
	ds_store_2addr_b64 v212, v[84:85], v[86:87] offset1:1
	s_waitcnt lgkmcnt(0)
	s_barrier
	buffer_gl0_inv
	ds_load_2addr_b64 v[224:227], v234 offset0:68 offset1:69
	s_cmp_lt_i32 s5, 36
	s_cbranch_scc1 .LBB110_717
; %bb.715:
	v_add3_u32 v233, v238, 0, 0x230
	v_mov_b32_e32 v232, 34
	s_mov_b32 s6, 35
	s_set_inst_prefetch_distance 0x1
	.p2align	6
.LBB110_716:                            ; =>This Inner Loop Header: Depth=1
	ds_load_2addr_b64 v[241:244], v233 offset1:1
	s_waitcnt lgkmcnt(1)
	v_cmp_gt_f64_e32 vcc_lo, 0, v[224:225]
	v_xor_b32_e32 v212, 0x80000000, v225
	v_cmp_gt_f64_e64 s2, 0, v[226:227]
	v_xor_b32_e32 v214, 0x80000000, v227
	v_add_nc_u32_e32 v233, 16, v233
	s_waitcnt lgkmcnt(0)
	v_cmp_gt_f64_e64 s3, 0, v[241:242]
	v_mov_b32_e32 v216, v241
	v_dual_mov_b32 v218, v243 :: v_dual_cndmask_b32 v213, v225, v212
	v_xor_b32_e32 v212, 0x80000000, v242
	v_cndmask_b32_e64 v215, v227, v214, s2
	v_xor_b32_e32 v214, 0x80000000, v244
	s_delay_alu instid0(VALU_DEP_3) | instskip(SKIP_2) | instid1(VALU_DEP_2)
	v_cndmask_b32_e64 v217, v242, v212, s3
	v_cmp_gt_f64_e64 s3, 0, v[243:244]
	v_cndmask_b32_e32 v212, v224, v224, vcc_lo
	v_cndmask_b32_e64 v219, v244, v214, s3
	v_cndmask_b32_e64 v214, v226, v226, s2
	s_delay_alu instid0(VALU_DEP_2) | instskip(NEXT) | instid1(VALU_DEP_2)
	v_add_f64 v[216:217], v[216:217], v[218:219]
	v_add_f64 v[212:213], v[212:213], v[214:215]
	s_delay_alu instid0(VALU_DEP_1) | instskip(SKIP_4) | instid1(SALU_CYCLE_1)
	v_cmp_lt_f64_e32 vcc_lo, v[212:213], v[216:217]
	v_dual_cndmask_b32 v225, v225, v242 :: v_dual_cndmask_b32 v224, v224, v241
	v_dual_cndmask_b32 v227, v227, v244 :: v_dual_cndmask_b32 v226, v226, v243
	v_cndmask_b32_e64 v232, v232, s6, vcc_lo
	s_add_i32 s6, s6, 1
	s_cmp_lg_u32 s5, s6
	s_cbranch_scc1 .LBB110_716
.LBB110_717:
	s_set_inst_prefetch_distance 0x2
	s_waitcnt lgkmcnt(0)
	v_cmp_eq_f64_e32 vcc_lo, 0, v[224:225]
	v_cmp_eq_f64_e64 s2, 0, v[226:227]
	s_delay_alu instid0(VALU_DEP_1) | instskip(NEXT) | instid1(SALU_CYCLE_1)
	s_and_b32 s2, vcc_lo, s2
	s_and_saveexec_b32 s3, s2
	s_delay_alu instid0(SALU_CYCLE_1)
	s_xor_b32 s2, exec_lo, s3
; %bb.718:
	v_cmp_ne_u32_e32 vcc_lo, 0, v237
	v_cndmask_b32_e32 v237, 35, v237, vcc_lo
; %bb.719:
	s_and_not1_saveexec_b32 s3, s2
	s_cbranch_execz .LBB110_725
; %bb.720:
	v_cmp_gt_f64_e32 vcc_lo, 0, v[224:225]
	v_cmp_gt_f64_e64 s2, 0, v[226:227]
	v_xor_b32_e32 v212, 0x80000000, v225
	v_xor_b32_e32 v214, 0x80000000, v227
	s_delay_alu instid0(VALU_DEP_2) | instskip(NEXT) | instid1(VALU_DEP_2)
	v_cndmask_b32_e32 v213, v225, v212, vcc_lo
	v_cndmask_b32_e64 v215, v227, v214, s2
	v_cndmask_b32_e32 v212, v224, v224, vcc_lo
	v_cndmask_b32_e64 v214, v226, v226, s2
	s_mov_b32 s2, exec_lo
	s_delay_alu instid0(VALU_DEP_1)
	v_cmpx_ngt_f64_e32 v[212:213], v[214:215]
	s_xor_b32 s2, exec_lo, s2
	s_cbranch_execz .LBB110_722
; %bb.721:
	v_div_scale_f64 v[212:213], null, v[226:227], v[226:227], v[224:225]
	v_div_scale_f64 v[218:219], vcc_lo, v[224:225], v[226:227], v[224:225]
	s_delay_alu instid0(VALU_DEP_2) | instskip(SKIP_2) | instid1(VALU_DEP_1)
	v_rcp_f64_e32 v[214:215], v[212:213]
	s_waitcnt_depctr 0xfff
	v_fma_f64 v[216:217], -v[212:213], v[214:215], 1.0
	v_fma_f64 v[214:215], v[214:215], v[216:217], v[214:215]
	s_delay_alu instid0(VALU_DEP_1) | instskip(NEXT) | instid1(VALU_DEP_1)
	v_fma_f64 v[216:217], -v[212:213], v[214:215], 1.0
	v_fma_f64 v[214:215], v[214:215], v[216:217], v[214:215]
	s_delay_alu instid0(VALU_DEP_1) | instskip(NEXT) | instid1(VALU_DEP_1)
	v_mul_f64 v[216:217], v[218:219], v[214:215]
	v_fma_f64 v[212:213], -v[212:213], v[216:217], v[218:219]
	s_delay_alu instid0(VALU_DEP_1) | instskip(NEXT) | instid1(VALU_DEP_1)
	v_div_fmas_f64 v[212:213], v[212:213], v[214:215], v[216:217]
	v_div_fixup_f64 v[212:213], v[212:213], v[226:227], v[224:225]
	s_delay_alu instid0(VALU_DEP_1) | instskip(NEXT) | instid1(VALU_DEP_1)
	v_fma_f64 v[214:215], v[224:225], v[212:213], v[226:227]
	v_div_scale_f64 v[216:217], null, v[214:215], v[214:215], 1.0
	s_delay_alu instid0(VALU_DEP_1) | instskip(SKIP_2) | instid1(VALU_DEP_1)
	v_rcp_f64_e32 v[218:219], v[216:217]
	s_waitcnt_depctr 0xfff
	v_fma_f64 v[220:221], -v[216:217], v[218:219], 1.0
	v_fma_f64 v[218:219], v[218:219], v[220:221], v[218:219]
	s_delay_alu instid0(VALU_DEP_1) | instskip(NEXT) | instid1(VALU_DEP_1)
	v_fma_f64 v[220:221], -v[216:217], v[218:219], 1.0
	v_fma_f64 v[218:219], v[218:219], v[220:221], v[218:219]
	v_div_scale_f64 v[220:221], vcc_lo, 1.0, v[214:215], 1.0
	s_delay_alu instid0(VALU_DEP_1) | instskip(NEXT) | instid1(VALU_DEP_1)
	v_mul_f64 v[222:223], v[220:221], v[218:219]
	v_fma_f64 v[216:217], -v[216:217], v[222:223], v[220:221]
	s_delay_alu instid0(VALU_DEP_1) | instskip(NEXT) | instid1(VALU_DEP_1)
	v_div_fmas_f64 v[216:217], v[216:217], v[218:219], v[222:223]
	v_div_fixup_f64 v[226:227], v[216:217], v[214:215], 1.0
	s_delay_alu instid0(VALU_DEP_1)
	v_mul_f64 v[224:225], v[212:213], v[226:227]
	v_xor_b32_e32 v227, 0x80000000, v227
.LBB110_722:
	s_and_not1_saveexec_b32 s2, s2
	s_cbranch_execz .LBB110_724
; %bb.723:
	s_delay_alu instid0(VALU_DEP_1) | instskip(SKIP_1) | instid1(VALU_DEP_2)
	v_div_scale_f64 v[212:213], null, v[224:225], v[224:225], v[226:227]
	v_div_scale_f64 v[218:219], vcc_lo, v[226:227], v[224:225], v[226:227]
	v_rcp_f64_e32 v[214:215], v[212:213]
	s_waitcnt_depctr 0xfff
	v_fma_f64 v[216:217], -v[212:213], v[214:215], 1.0
	s_delay_alu instid0(VALU_DEP_1) | instskip(NEXT) | instid1(VALU_DEP_1)
	v_fma_f64 v[214:215], v[214:215], v[216:217], v[214:215]
	v_fma_f64 v[216:217], -v[212:213], v[214:215], 1.0
	s_delay_alu instid0(VALU_DEP_1) | instskip(NEXT) | instid1(VALU_DEP_1)
	v_fma_f64 v[214:215], v[214:215], v[216:217], v[214:215]
	v_mul_f64 v[216:217], v[218:219], v[214:215]
	s_delay_alu instid0(VALU_DEP_1) | instskip(NEXT) | instid1(VALU_DEP_1)
	v_fma_f64 v[212:213], -v[212:213], v[216:217], v[218:219]
	v_div_fmas_f64 v[212:213], v[212:213], v[214:215], v[216:217]
	s_delay_alu instid0(VALU_DEP_1) | instskip(NEXT) | instid1(VALU_DEP_1)
	v_div_fixup_f64 v[212:213], v[212:213], v[224:225], v[226:227]
	v_fma_f64 v[214:215], v[226:227], v[212:213], v[224:225]
	s_delay_alu instid0(VALU_DEP_1) | instskip(NEXT) | instid1(VALU_DEP_1)
	v_div_scale_f64 v[216:217], null, v[214:215], v[214:215], 1.0
	v_rcp_f64_e32 v[218:219], v[216:217]
	s_waitcnt_depctr 0xfff
	v_fma_f64 v[220:221], -v[216:217], v[218:219], 1.0
	s_delay_alu instid0(VALU_DEP_1) | instskip(NEXT) | instid1(VALU_DEP_1)
	v_fma_f64 v[218:219], v[218:219], v[220:221], v[218:219]
	v_fma_f64 v[220:221], -v[216:217], v[218:219], 1.0
	s_delay_alu instid0(VALU_DEP_1) | instskip(SKIP_1) | instid1(VALU_DEP_1)
	v_fma_f64 v[218:219], v[218:219], v[220:221], v[218:219]
	v_div_scale_f64 v[220:221], vcc_lo, 1.0, v[214:215], 1.0
	v_mul_f64 v[222:223], v[220:221], v[218:219]
	s_delay_alu instid0(VALU_DEP_1) | instskip(NEXT) | instid1(VALU_DEP_1)
	v_fma_f64 v[216:217], -v[216:217], v[222:223], v[220:221]
	v_div_fmas_f64 v[216:217], v[216:217], v[218:219], v[222:223]
	s_delay_alu instid0(VALU_DEP_1) | instskip(NEXT) | instid1(VALU_DEP_1)
	v_div_fixup_f64 v[224:225], v[216:217], v[214:215], 1.0
	v_mul_f64 v[226:227], v[212:213], -v[224:225]
.LBB110_724:
	s_or_b32 exec_lo, exec_lo, s2
.LBB110_725:
	s_delay_alu instid0(SALU_CYCLE_1) | instskip(NEXT) | instid1(SALU_CYCLE_1)
	s_or_b32 exec_lo, exec_lo, s3
	s_mov_b32 s2, exec_lo
	v_cmpx_ne_u32_e64 v240, v232
	s_xor_b32 s2, exec_lo, s2
	s_cbranch_execz .LBB110_731
; %bb.726:
	s_mov_b32 s3, exec_lo
	v_cmpx_eq_u32_e32 34, v240
	s_cbranch_execz .LBB110_730
; %bb.727:
	v_cmp_ne_u32_e32 vcc_lo, 34, v232
	s_xor_b32 s6, s4, -1
	s_delay_alu instid0(SALU_CYCLE_1) | instskip(NEXT) | instid1(SALU_CYCLE_1)
	s_and_b32 s7, s6, vcc_lo
	s_and_saveexec_b32 s6, s7
	s_cbranch_execz .LBB110_729
; %bb.728:
	scratch_load_b64 v[10:11], off, off     ; 8-byte Folded Reload
	v_ashrrev_i32_e32 v233, 31, v232
	s_delay_alu instid0(VALU_DEP_1) | instskip(SKIP_1) | instid1(VALU_DEP_1)
	v_lshlrev_b64 v[212:213], 2, v[232:233]
	s_waitcnt vmcnt(0)
	v_add_co_u32 v212, vcc_lo, v10, v212
	s_delay_alu instid0(VALU_DEP_2)
	v_add_co_ci_u32_e32 v213, vcc_lo, v11, v213, vcc_lo
	s_clause 0x1
	flat_load_b32 v214, v[212:213]
	flat_load_b32 v215, v[10:11] offset:136
	s_waitcnt vmcnt(1) lgkmcnt(1)
	flat_store_b32 v[10:11], v214 offset:136
	s_waitcnt vmcnt(0) lgkmcnt(1)
	flat_store_b32 v[212:213], v215
.LBB110_729:
	s_or_b32 exec_lo, exec_lo, s6
	v_mov_b32_e32 v240, v232
	v_mov_b32_e32 v239, v232
.LBB110_730:
	s_or_b32 exec_lo, exec_lo, s3
.LBB110_731:
	s_and_not1_saveexec_b32 s2, s2
	s_cbranch_execz .LBB110_733
; %bb.732:
	v_mov_b32_e32 v240, 34
	ds_store_2addr_b64 v234, v[80:81], v[82:83] offset0:70 offset1:71
	ds_store_2addr_b64 v234, v[76:77], v[78:79] offset0:72 offset1:73
	ds_store_2addr_b64 v234, v[72:73], v[74:75] offset0:74 offset1:75
	ds_store_2addr_b64 v234, v[68:69], v[70:71] offset0:76 offset1:77
	ds_store_2addr_b64 v234, v[64:65], v[66:67] offset0:78 offset1:79
	ds_store_2addr_b64 v234, v[60:61], v[62:63] offset0:80 offset1:81
	ds_store_2addr_b64 v234, v[56:57], v[58:59] offset0:82 offset1:83
	ds_store_2addr_b64 v234, v[52:53], v[54:55] offset0:84 offset1:85
	ds_store_2addr_b64 v234, v[48:49], v[50:51] offset0:86 offset1:87
	ds_store_2addr_b64 v234, v[44:45], v[46:47] offset0:88 offset1:89
	ds_store_2addr_b64 v234, v[40:41], v[42:43] offset0:90 offset1:91
	ds_store_2addr_b64 v234, v[36:37], v[38:39] offset0:92 offset1:93
	ds_store_2addr_b64 v234, v[32:33], v[34:35] offset0:94 offset1:95
	ds_store_2addr_b64 v234, v[28:29], v[30:31] offset0:96 offset1:97
	ds_store_2addr_b64 v234, v[24:25], v[26:27] offset0:98 offset1:99
	ds_store_2addr_b64 v234, v[20:21], v[22:23] offset0:100 offset1:101
	ds_store_2addr_b64 v234, v[16:17], v[18:19] offset0:102 offset1:103
	ds_store_2addr_b64 v234, v[12:13], v[14:15] offset0:104 offset1:105
	ds_store_2addr_b64 v234, v[249:250], v[251:252] offset0:106 offset1:107
	ds_store_2addr_b64 v234, v[228:229], v[230:231] offset0:108 offset1:109
	ds_store_2addr_b64 v234, v[0:1], v[2:3] offset0:110 offset1:111
.LBB110_733:
	s_or_b32 exec_lo, exec_lo, s2
	s_delay_alu instid0(SALU_CYCLE_1)
	s_mov_b32 s2, exec_lo
	s_waitcnt lgkmcnt(0)
	s_waitcnt_vscnt null, 0x0
	s_barrier
	buffer_gl0_inv
	v_cmpx_lt_i32_e32 34, v240
	s_cbranch_execz .LBB110_735
; %bb.734:
	v_mul_f64 v[212:213], v[226:227], v[86:87]
	v_mul_f64 v[86:87], v[224:225], v[86:87]
	s_delay_alu instid0(VALU_DEP_2) | instskip(NEXT) | instid1(VALU_DEP_2)
	v_fma_f64 v[232:233], v[224:225], v[84:85], -v[212:213]
	v_fma_f64 v[86:87], v[226:227], v[84:85], v[86:87]
	ds_load_2addr_b64 v[224:227], v234 offset0:70 offset1:71
	s_waitcnt lgkmcnt(0)
	v_mul_f64 v[84:85], v[226:227], v[86:87]
	v_mul_f64 v[212:213], v[224:225], v[86:87]
	s_delay_alu instid0(VALU_DEP_2) | instskip(NEXT) | instid1(VALU_DEP_2)
	v_fma_f64 v[84:85], v[224:225], v[232:233], -v[84:85]
	v_fma_f64 v[212:213], v[226:227], v[232:233], v[212:213]
	ds_load_2addr_b64 v[224:227], v234 offset0:72 offset1:73
	v_add_f64 v[80:81], v[80:81], -v[84:85]
	v_add_f64 v[82:83], v[82:83], -v[212:213]
	s_waitcnt lgkmcnt(0)
	v_mul_f64 v[84:85], v[226:227], v[86:87]
	v_mul_f64 v[212:213], v[224:225], v[86:87]
	s_delay_alu instid0(VALU_DEP_2) | instskip(NEXT) | instid1(VALU_DEP_2)
	v_fma_f64 v[84:85], v[224:225], v[232:233], -v[84:85]
	v_fma_f64 v[212:213], v[226:227], v[232:233], v[212:213]
	ds_load_2addr_b64 v[224:227], v234 offset0:74 offset1:75
	v_add_f64 v[76:77], v[76:77], -v[84:85]
	v_add_f64 v[78:79], v[78:79], -v[212:213]
	;; [unrolled: 9-line block ×20, first 2 shown]
	s_waitcnt lgkmcnt(0)
	v_mul_f64 v[84:85], v[226:227], v[86:87]
	v_mul_f64 v[212:213], v[224:225], v[86:87]
	s_delay_alu instid0(VALU_DEP_2) | instskip(NEXT) | instid1(VALU_DEP_2)
	v_fma_f64 v[84:85], v[224:225], v[232:233], -v[84:85]
	v_fma_f64 v[212:213], v[226:227], v[232:233], v[212:213]
	s_delay_alu instid0(VALU_DEP_2) | instskip(NEXT) | instid1(VALU_DEP_2)
	v_add_f64 v[0:1], v[0:1], -v[84:85]
	v_add_f64 v[2:3], v[2:3], -v[212:213]
	v_dual_mov_b32 v84, v232 :: v_dual_mov_b32 v85, v233
.LBB110_735:
	s_or_b32 exec_lo, exec_lo, s2
	v_lshl_add_u32 v212, v240, 4, v234
	s_barrier
	buffer_gl0_inv
	v_mov_b32_e32 v232, 35
	ds_store_2addr_b64 v212, v[80:81], v[82:83] offset1:1
	s_waitcnt lgkmcnt(0)
	s_barrier
	buffer_gl0_inv
	ds_load_2addr_b64 v[224:227], v234 offset0:70 offset1:71
	s_cmp_lt_i32 s5, 37
	s_cbranch_scc1 .LBB110_738
; %bb.736:
	v_add3_u32 v233, v238, 0, 0x240
	v_mov_b32_e32 v232, 35
	s_mov_b32 s6, 36
	s_set_inst_prefetch_distance 0x1
	.p2align	6
.LBB110_737:                            ; =>This Inner Loop Header: Depth=1
	ds_load_2addr_b64 v[241:244], v233 offset1:1
	s_waitcnt lgkmcnt(1)
	v_cmp_gt_f64_e32 vcc_lo, 0, v[224:225]
	v_xor_b32_e32 v212, 0x80000000, v225
	v_cmp_gt_f64_e64 s2, 0, v[226:227]
	v_xor_b32_e32 v214, 0x80000000, v227
	v_add_nc_u32_e32 v233, 16, v233
	s_waitcnt lgkmcnt(0)
	v_cmp_gt_f64_e64 s3, 0, v[241:242]
	v_mov_b32_e32 v216, v241
	v_dual_mov_b32 v218, v243 :: v_dual_cndmask_b32 v213, v225, v212
	v_xor_b32_e32 v212, 0x80000000, v242
	v_cndmask_b32_e64 v215, v227, v214, s2
	v_xor_b32_e32 v214, 0x80000000, v244
	s_delay_alu instid0(VALU_DEP_3) | instskip(SKIP_2) | instid1(VALU_DEP_2)
	v_cndmask_b32_e64 v217, v242, v212, s3
	v_cmp_gt_f64_e64 s3, 0, v[243:244]
	v_cndmask_b32_e32 v212, v224, v224, vcc_lo
	v_cndmask_b32_e64 v219, v244, v214, s3
	v_cndmask_b32_e64 v214, v226, v226, s2
	s_delay_alu instid0(VALU_DEP_2) | instskip(NEXT) | instid1(VALU_DEP_2)
	v_add_f64 v[216:217], v[216:217], v[218:219]
	v_add_f64 v[212:213], v[212:213], v[214:215]
	s_delay_alu instid0(VALU_DEP_1) | instskip(SKIP_4) | instid1(SALU_CYCLE_1)
	v_cmp_lt_f64_e32 vcc_lo, v[212:213], v[216:217]
	v_dual_cndmask_b32 v225, v225, v242 :: v_dual_cndmask_b32 v224, v224, v241
	v_dual_cndmask_b32 v227, v227, v244 :: v_dual_cndmask_b32 v226, v226, v243
	v_cndmask_b32_e64 v232, v232, s6, vcc_lo
	s_add_i32 s6, s6, 1
	s_cmp_lg_u32 s5, s6
	s_cbranch_scc1 .LBB110_737
.LBB110_738:
	s_set_inst_prefetch_distance 0x2
	s_waitcnt lgkmcnt(0)
	v_cmp_eq_f64_e32 vcc_lo, 0, v[224:225]
	v_cmp_eq_f64_e64 s2, 0, v[226:227]
	s_delay_alu instid0(VALU_DEP_1) | instskip(NEXT) | instid1(SALU_CYCLE_1)
	s_and_b32 s2, vcc_lo, s2
	s_and_saveexec_b32 s3, s2
	s_delay_alu instid0(SALU_CYCLE_1)
	s_xor_b32 s2, exec_lo, s3
; %bb.739:
	v_cmp_ne_u32_e32 vcc_lo, 0, v237
	v_cndmask_b32_e32 v237, 36, v237, vcc_lo
; %bb.740:
	s_and_not1_saveexec_b32 s3, s2
	s_cbranch_execz .LBB110_746
; %bb.741:
	v_cmp_gt_f64_e32 vcc_lo, 0, v[224:225]
	v_cmp_gt_f64_e64 s2, 0, v[226:227]
	v_xor_b32_e32 v212, 0x80000000, v225
	v_xor_b32_e32 v214, 0x80000000, v227
	s_delay_alu instid0(VALU_DEP_2) | instskip(NEXT) | instid1(VALU_DEP_2)
	v_cndmask_b32_e32 v213, v225, v212, vcc_lo
	v_cndmask_b32_e64 v215, v227, v214, s2
	v_cndmask_b32_e32 v212, v224, v224, vcc_lo
	v_cndmask_b32_e64 v214, v226, v226, s2
	s_mov_b32 s2, exec_lo
	s_delay_alu instid0(VALU_DEP_1)
	v_cmpx_ngt_f64_e32 v[212:213], v[214:215]
	s_xor_b32 s2, exec_lo, s2
	s_cbranch_execz .LBB110_743
; %bb.742:
	v_div_scale_f64 v[212:213], null, v[226:227], v[226:227], v[224:225]
	v_div_scale_f64 v[218:219], vcc_lo, v[224:225], v[226:227], v[224:225]
	s_delay_alu instid0(VALU_DEP_2) | instskip(SKIP_2) | instid1(VALU_DEP_1)
	v_rcp_f64_e32 v[214:215], v[212:213]
	s_waitcnt_depctr 0xfff
	v_fma_f64 v[216:217], -v[212:213], v[214:215], 1.0
	v_fma_f64 v[214:215], v[214:215], v[216:217], v[214:215]
	s_delay_alu instid0(VALU_DEP_1) | instskip(NEXT) | instid1(VALU_DEP_1)
	v_fma_f64 v[216:217], -v[212:213], v[214:215], 1.0
	v_fma_f64 v[214:215], v[214:215], v[216:217], v[214:215]
	s_delay_alu instid0(VALU_DEP_1) | instskip(NEXT) | instid1(VALU_DEP_1)
	v_mul_f64 v[216:217], v[218:219], v[214:215]
	v_fma_f64 v[212:213], -v[212:213], v[216:217], v[218:219]
	s_delay_alu instid0(VALU_DEP_1) | instskip(NEXT) | instid1(VALU_DEP_1)
	v_div_fmas_f64 v[212:213], v[212:213], v[214:215], v[216:217]
	v_div_fixup_f64 v[212:213], v[212:213], v[226:227], v[224:225]
	s_delay_alu instid0(VALU_DEP_1) | instskip(NEXT) | instid1(VALU_DEP_1)
	v_fma_f64 v[214:215], v[224:225], v[212:213], v[226:227]
	v_div_scale_f64 v[216:217], null, v[214:215], v[214:215], 1.0
	s_delay_alu instid0(VALU_DEP_1) | instskip(SKIP_2) | instid1(VALU_DEP_1)
	v_rcp_f64_e32 v[218:219], v[216:217]
	s_waitcnt_depctr 0xfff
	v_fma_f64 v[220:221], -v[216:217], v[218:219], 1.0
	v_fma_f64 v[218:219], v[218:219], v[220:221], v[218:219]
	s_delay_alu instid0(VALU_DEP_1) | instskip(NEXT) | instid1(VALU_DEP_1)
	v_fma_f64 v[220:221], -v[216:217], v[218:219], 1.0
	v_fma_f64 v[218:219], v[218:219], v[220:221], v[218:219]
	v_div_scale_f64 v[220:221], vcc_lo, 1.0, v[214:215], 1.0
	s_delay_alu instid0(VALU_DEP_1) | instskip(NEXT) | instid1(VALU_DEP_1)
	v_mul_f64 v[222:223], v[220:221], v[218:219]
	v_fma_f64 v[216:217], -v[216:217], v[222:223], v[220:221]
	s_delay_alu instid0(VALU_DEP_1) | instskip(NEXT) | instid1(VALU_DEP_1)
	v_div_fmas_f64 v[216:217], v[216:217], v[218:219], v[222:223]
	v_div_fixup_f64 v[226:227], v[216:217], v[214:215], 1.0
	s_delay_alu instid0(VALU_DEP_1)
	v_mul_f64 v[224:225], v[212:213], v[226:227]
	v_xor_b32_e32 v227, 0x80000000, v227
.LBB110_743:
	s_and_not1_saveexec_b32 s2, s2
	s_cbranch_execz .LBB110_745
; %bb.744:
	s_delay_alu instid0(VALU_DEP_1) | instskip(SKIP_1) | instid1(VALU_DEP_2)
	v_div_scale_f64 v[212:213], null, v[224:225], v[224:225], v[226:227]
	v_div_scale_f64 v[218:219], vcc_lo, v[226:227], v[224:225], v[226:227]
	v_rcp_f64_e32 v[214:215], v[212:213]
	s_waitcnt_depctr 0xfff
	v_fma_f64 v[216:217], -v[212:213], v[214:215], 1.0
	s_delay_alu instid0(VALU_DEP_1) | instskip(NEXT) | instid1(VALU_DEP_1)
	v_fma_f64 v[214:215], v[214:215], v[216:217], v[214:215]
	v_fma_f64 v[216:217], -v[212:213], v[214:215], 1.0
	s_delay_alu instid0(VALU_DEP_1) | instskip(NEXT) | instid1(VALU_DEP_1)
	v_fma_f64 v[214:215], v[214:215], v[216:217], v[214:215]
	v_mul_f64 v[216:217], v[218:219], v[214:215]
	s_delay_alu instid0(VALU_DEP_1) | instskip(NEXT) | instid1(VALU_DEP_1)
	v_fma_f64 v[212:213], -v[212:213], v[216:217], v[218:219]
	v_div_fmas_f64 v[212:213], v[212:213], v[214:215], v[216:217]
	s_delay_alu instid0(VALU_DEP_1) | instskip(NEXT) | instid1(VALU_DEP_1)
	v_div_fixup_f64 v[212:213], v[212:213], v[224:225], v[226:227]
	v_fma_f64 v[214:215], v[226:227], v[212:213], v[224:225]
	s_delay_alu instid0(VALU_DEP_1) | instskip(NEXT) | instid1(VALU_DEP_1)
	v_div_scale_f64 v[216:217], null, v[214:215], v[214:215], 1.0
	v_rcp_f64_e32 v[218:219], v[216:217]
	s_waitcnt_depctr 0xfff
	v_fma_f64 v[220:221], -v[216:217], v[218:219], 1.0
	s_delay_alu instid0(VALU_DEP_1) | instskip(NEXT) | instid1(VALU_DEP_1)
	v_fma_f64 v[218:219], v[218:219], v[220:221], v[218:219]
	v_fma_f64 v[220:221], -v[216:217], v[218:219], 1.0
	s_delay_alu instid0(VALU_DEP_1) | instskip(SKIP_1) | instid1(VALU_DEP_1)
	v_fma_f64 v[218:219], v[218:219], v[220:221], v[218:219]
	v_div_scale_f64 v[220:221], vcc_lo, 1.0, v[214:215], 1.0
	v_mul_f64 v[222:223], v[220:221], v[218:219]
	s_delay_alu instid0(VALU_DEP_1) | instskip(NEXT) | instid1(VALU_DEP_1)
	v_fma_f64 v[216:217], -v[216:217], v[222:223], v[220:221]
	v_div_fmas_f64 v[216:217], v[216:217], v[218:219], v[222:223]
	s_delay_alu instid0(VALU_DEP_1) | instskip(NEXT) | instid1(VALU_DEP_1)
	v_div_fixup_f64 v[224:225], v[216:217], v[214:215], 1.0
	v_mul_f64 v[226:227], v[212:213], -v[224:225]
.LBB110_745:
	s_or_b32 exec_lo, exec_lo, s2
.LBB110_746:
	s_delay_alu instid0(SALU_CYCLE_1) | instskip(NEXT) | instid1(SALU_CYCLE_1)
	s_or_b32 exec_lo, exec_lo, s3
	s_mov_b32 s2, exec_lo
	v_cmpx_ne_u32_e64 v240, v232
	s_xor_b32 s2, exec_lo, s2
	s_cbranch_execz .LBB110_752
; %bb.747:
	s_mov_b32 s3, exec_lo
	v_cmpx_eq_u32_e32 35, v240
	s_cbranch_execz .LBB110_751
; %bb.748:
	v_cmp_ne_u32_e32 vcc_lo, 35, v232
	s_xor_b32 s6, s4, -1
	s_delay_alu instid0(SALU_CYCLE_1) | instskip(NEXT) | instid1(SALU_CYCLE_1)
	s_and_b32 s7, s6, vcc_lo
	s_and_saveexec_b32 s6, s7
	s_cbranch_execz .LBB110_750
; %bb.749:
	scratch_load_b64 v[10:11], off, off     ; 8-byte Folded Reload
	v_ashrrev_i32_e32 v233, 31, v232
	s_delay_alu instid0(VALU_DEP_1) | instskip(SKIP_1) | instid1(VALU_DEP_1)
	v_lshlrev_b64 v[212:213], 2, v[232:233]
	s_waitcnt vmcnt(0)
	v_add_co_u32 v212, vcc_lo, v10, v212
	s_delay_alu instid0(VALU_DEP_2)
	v_add_co_ci_u32_e32 v213, vcc_lo, v11, v213, vcc_lo
	s_clause 0x1
	flat_load_b32 v214, v[212:213]
	flat_load_b32 v215, v[10:11] offset:140
	s_waitcnt vmcnt(1) lgkmcnt(1)
	flat_store_b32 v[10:11], v214 offset:140
	s_waitcnt vmcnt(0) lgkmcnt(1)
	flat_store_b32 v[212:213], v215
.LBB110_750:
	s_or_b32 exec_lo, exec_lo, s6
	v_mov_b32_e32 v240, v232
	v_mov_b32_e32 v239, v232
.LBB110_751:
	s_or_b32 exec_lo, exec_lo, s3
.LBB110_752:
	s_and_not1_saveexec_b32 s2, s2
	s_cbranch_execz .LBB110_754
; %bb.753:
	v_mov_b32_e32 v240, 35
	ds_store_2addr_b64 v234, v[76:77], v[78:79] offset0:72 offset1:73
	ds_store_2addr_b64 v234, v[72:73], v[74:75] offset0:74 offset1:75
	ds_store_2addr_b64 v234, v[68:69], v[70:71] offset0:76 offset1:77
	ds_store_2addr_b64 v234, v[64:65], v[66:67] offset0:78 offset1:79
	ds_store_2addr_b64 v234, v[60:61], v[62:63] offset0:80 offset1:81
	ds_store_2addr_b64 v234, v[56:57], v[58:59] offset0:82 offset1:83
	ds_store_2addr_b64 v234, v[52:53], v[54:55] offset0:84 offset1:85
	ds_store_2addr_b64 v234, v[48:49], v[50:51] offset0:86 offset1:87
	ds_store_2addr_b64 v234, v[44:45], v[46:47] offset0:88 offset1:89
	ds_store_2addr_b64 v234, v[40:41], v[42:43] offset0:90 offset1:91
	ds_store_2addr_b64 v234, v[36:37], v[38:39] offset0:92 offset1:93
	ds_store_2addr_b64 v234, v[32:33], v[34:35] offset0:94 offset1:95
	ds_store_2addr_b64 v234, v[28:29], v[30:31] offset0:96 offset1:97
	ds_store_2addr_b64 v234, v[24:25], v[26:27] offset0:98 offset1:99
	ds_store_2addr_b64 v234, v[20:21], v[22:23] offset0:100 offset1:101
	ds_store_2addr_b64 v234, v[16:17], v[18:19] offset0:102 offset1:103
	ds_store_2addr_b64 v234, v[12:13], v[14:15] offset0:104 offset1:105
	ds_store_2addr_b64 v234, v[249:250], v[251:252] offset0:106 offset1:107
	ds_store_2addr_b64 v234, v[228:229], v[230:231] offset0:108 offset1:109
	ds_store_2addr_b64 v234, v[0:1], v[2:3] offset0:110 offset1:111
.LBB110_754:
	s_or_b32 exec_lo, exec_lo, s2
	s_delay_alu instid0(SALU_CYCLE_1)
	s_mov_b32 s2, exec_lo
	s_waitcnt lgkmcnt(0)
	s_waitcnt_vscnt null, 0x0
	s_barrier
	buffer_gl0_inv
	v_cmpx_lt_i32_e32 35, v240
	s_cbranch_execz .LBB110_756
; %bb.755:
	v_mul_f64 v[212:213], v[226:227], v[82:83]
	v_mul_f64 v[82:83], v[224:225], v[82:83]
	s_delay_alu instid0(VALU_DEP_2) | instskip(NEXT) | instid1(VALU_DEP_2)
	v_fma_f64 v[232:233], v[224:225], v[80:81], -v[212:213]
	v_fma_f64 v[82:83], v[226:227], v[80:81], v[82:83]
	ds_load_2addr_b64 v[224:227], v234 offset0:72 offset1:73
	s_waitcnt lgkmcnt(0)
	v_mul_f64 v[80:81], v[226:227], v[82:83]
	v_mul_f64 v[212:213], v[224:225], v[82:83]
	s_delay_alu instid0(VALU_DEP_2) | instskip(NEXT) | instid1(VALU_DEP_2)
	v_fma_f64 v[80:81], v[224:225], v[232:233], -v[80:81]
	v_fma_f64 v[212:213], v[226:227], v[232:233], v[212:213]
	ds_load_2addr_b64 v[224:227], v234 offset0:74 offset1:75
	v_add_f64 v[76:77], v[76:77], -v[80:81]
	v_add_f64 v[78:79], v[78:79], -v[212:213]
	s_waitcnt lgkmcnt(0)
	v_mul_f64 v[80:81], v[226:227], v[82:83]
	v_mul_f64 v[212:213], v[224:225], v[82:83]
	s_delay_alu instid0(VALU_DEP_2) | instskip(NEXT) | instid1(VALU_DEP_2)
	v_fma_f64 v[80:81], v[224:225], v[232:233], -v[80:81]
	v_fma_f64 v[212:213], v[226:227], v[232:233], v[212:213]
	ds_load_2addr_b64 v[224:227], v234 offset0:76 offset1:77
	v_add_f64 v[72:73], v[72:73], -v[80:81]
	v_add_f64 v[74:75], v[74:75], -v[212:213]
	;; [unrolled: 9-line block ×19, first 2 shown]
	s_waitcnt lgkmcnt(0)
	v_mul_f64 v[80:81], v[226:227], v[82:83]
	v_mul_f64 v[212:213], v[224:225], v[82:83]
	s_delay_alu instid0(VALU_DEP_2) | instskip(NEXT) | instid1(VALU_DEP_2)
	v_fma_f64 v[80:81], v[224:225], v[232:233], -v[80:81]
	v_fma_f64 v[212:213], v[226:227], v[232:233], v[212:213]
	s_delay_alu instid0(VALU_DEP_2) | instskip(NEXT) | instid1(VALU_DEP_2)
	v_add_f64 v[0:1], v[0:1], -v[80:81]
	v_add_f64 v[2:3], v[2:3], -v[212:213]
	v_dual_mov_b32 v80, v232 :: v_dual_mov_b32 v81, v233
.LBB110_756:
	s_or_b32 exec_lo, exec_lo, s2
	v_lshl_add_u32 v212, v240, 4, v234
	s_barrier
	buffer_gl0_inv
	v_mov_b32_e32 v232, 36
	ds_store_2addr_b64 v212, v[76:77], v[78:79] offset1:1
	s_waitcnt lgkmcnt(0)
	s_barrier
	buffer_gl0_inv
	ds_load_2addr_b64 v[224:227], v234 offset0:72 offset1:73
	s_cmp_lt_i32 s5, 38
	s_cbranch_scc1 .LBB110_759
; %bb.757:
	v_add3_u32 v233, v238, 0, 0x250
	v_mov_b32_e32 v232, 36
	s_mov_b32 s6, 37
	s_set_inst_prefetch_distance 0x1
	.p2align	6
.LBB110_758:                            ; =>This Inner Loop Header: Depth=1
	ds_load_2addr_b64 v[241:244], v233 offset1:1
	s_waitcnt lgkmcnt(1)
	v_cmp_gt_f64_e32 vcc_lo, 0, v[224:225]
	v_xor_b32_e32 v212, 0x80000000, v225
	v_cmp_gt_f64_e64 s2, 0, v[226:227]
	v_xor_b32_e32 v214, 0x80000000, v227
	v_add_nc_u32_e32 v233, 16, v233
	s_waitcnt lgkmcnt(0)
	v_cmp_gt_f64_e64 s3, 0, v[241:242]
	v_mov_b32_e32 v216, v241
	v_dual_mov_b32 v218, v243 :: v_dual_cndmask_b32 v213, v225, v212
	v_xor_b32_e32 v212, 0x80000000, v242
	v_cndmask_b32_e64 v215, v227, v214, s2
	v_xor_b32_e32 v214, 0x80000000, v244
	s_delay_alu instid0(VALU_DEP_3) | instskip(SKIP_2) | instid1(VALU_DEP_2)
	v_cndmask_b32_e64 v217, v242, v212, s3
	v_cmp_gt_f64_e64 s3, 0, v[243:244]
	v_cndmask_b32_e32 v212, v224, v224, vcc_lo
	v_cndmask_b32_e64 v219, v244, v214, s3
	v_cndmask_b32_e64 v214, v226, v226, s2
	s_delay_alu instid0(VALU_DEP_2) | instskip(NEXT) | instid1(VALU_DEP_2)
	v_add_f64 v[216:217], v[216:217], v[218:219]
	v_add_f64 v[212:213], v[212:213], v[214:215]
	s_delay_alu instid0(VALU_DEP_1) | instskip(SKIP_4) | instid1(SALU_CYCLE_1)
	v_cmp_lt_f64_e32 vcc_lo, v[212:213], v[216:217]
	v_dual_cndmask_b32 v225, v225, v242 :: v_dual_cndmask_b32 v224, v224, v241
	v_dual_cndmask_b32 v227, v227, v244 :: v_dual_cndmask_b32 v226, v226, v243
	v_cndmask_b32_e64 v232, v232, s6, vcc_lo
	s_add_i32 s6, s6, 1
	s_cmp_lg_u32 s5, s6
	s_cbranch_scc1 .LBB110_758
.LBB110_759:
	s_set_inst_prefetch_distance 0x2
	s_waitcnt lgkmcnt(0)
	v_cmp_eq_f64_e32 vcc_lo, 0, v[224:225]
	v_cmp_eq_f64_e64 s2, 0, v[226:227]
	s_delay_alu instid0(VALU_DEP_1) | instskip(NEXT) | instid1(SALU_CYCLE_1)
	s_and_b32 s2, vcc_lo, s2
	s_and_saveexec_b32 s3, s2
	s_delay_alu instid0(SALU_CYCLE_1)
	s_xor_b32 s2, exec_lo, s3
; %bb.760:
	v_cmp_ne_u32_e32 vcc_lo, 0, v237
	v_cndmask_b32_e32 v237, 37, v237, vcc_lo
; %bb.761:
	s_and_not1_saveexec_b32 s3, s2
	s_cbranch_execz .LBB110_767
; %bb.762:
	v_cmp_gt_f64_e32 vcc_lo, 0, v[224:225]
	v_cmp_gt_f64_e64 s2, 0, v[226:227]
	v_xor_b32_e32 v212, 0x80000000, v225
	v_xor_b32_e32 v214, 0x80000000, v227
	s_delay_alu instid0(VALU_DEP_2) | instskip(NEXT) | instid1(VALU_DEP_2)
	v_cndmask_b32_e32 v213, v225, v212, vcc_lo
	v_cndmask_b32_e64 v215, v227, v214, s2
	v_cndmask_b32_e32 v212, v224, v224, vcc_lo
	v_cndmask_b32_e64 v214, v226, v226, s2
	s_mov_b32 s2, exec_lo
	s_delay_alu instid0(VALU_DEP_1)
	v_cmpx_ngt_f64_e32 v[212:213], v[214:215]
	s_xor_b32 s2, exec_lo, s2
	s_cbranch_execz .LBB110_764
; %bb.763:
	v_div_scale_f64 v[212:213], null, v[226:227], v[226:227], v[224:225]
	v_div_scale_f64 v[218:219], vcc_lo, v[224:225], v[226:227], v[224:225]
	s_delay_alu instid0(VALU_DEP_2) | instskip(SKIP_2) | instid1(VALU_DEP_1)
	v_rcp_f64_e32 v[214:215], v[212:213]
	s_waitcnt_depctr 0xfff
	v_fma_f64 v[216:217], -v[212:213], v[214:215], 1.0
	v_fma_f64 v[214:215], v[214:215], v[216:217], v[214:215]
	s_delay_alu instid0(VALU_DEP_1) | instskip(NEXT) | instid1(VALU_DEP_1)
	v_fma_f64 v[216:217], -v[212:213], v[214:215], 1.0
	v_fma_f64 v[214:215], v[214:215], v[216:217], v[214:215]
	s_delay_alu instid0(VALU_DEP_1) | instskip(NEXT) | instid1(VALU_DEP_1)
	v_mul_f64 v[216:217], v[218:219], v[214:215]
	v_fma_f64 v[212:213], -v[212:213], v[216:217], v[218:219]
	s_delay_alu instid0(VALU_DEP_1) | instskip(NEXT) | instid1(VALU_DEP_1)
	v_div_fmas_f64 v[212:213], v[212:213], v[214:215], v[216:217]
	v_div_fixup_f64 v[212:213], v[212:213], v[226:227], v[224:225]
	s_delay_alu instid0(VALU_DEP_1) | instskip(NEXT) | instid1(VALU_DEP_1)
	v_fma_f64 v[214:215], v[224:225], v[212:213], v[226:227]
	v_div_scale_f64 v[216:217], null, v[214:215], v[214:215], 1.0
	s_delay_alu instid0(VALU_DEP_1) | instskip(SKIP_2) | instid1(VALU_DEP_1)
	v_rcp_f64_e32 v[218:219], v[216:217]
	s_waitcnt_depctr 0xfff
	v_fma_f64 v[220:221], -v[216:217], v[218:219], 1.0
	v_fma_f64 v[218:219], v[218:219], v[220:221], v[218:219]
	s_delay_alu instid0(VALU_DEP_1) | instskip(NEXT) | instid1(VALU_DEP_1)
	v_fma_f64 v[220:221], -v[216:217], v[218:219], 1.0
	v_fma_f64 v[218:219], v[218:219], v[220:221], v[218:219]
	v_div_scale_f64 v[220:221], vcc_lo, 1.0, v[214:215], 1.0
	s_delay_alu instid0(VALU_DEP_1) | instskip(NEXT) | instid1(VALU_DEP_1)
	v_mul_f64 v[222:223], v[220:221], v[218:219]
	v_fma_f64 v[216:217], -v[216:217], v[222:223], v[220:221]
	s_delay_alu instid0(VALU_DEP_1) | instskip(NEXT) | instid1(VALU_DEP_1)
	v_div_fmas_f64 v[216:217], v[216:217], v[218:219], v[222:223]
	v_div_fixup_f64 v[226:227], v[216:217], v[214:215], 1.0
	s_delay_alu instid0(VALU_DEP_1)
	v_mul_f64 v[224:225], v[212:213], v[226:227]
	v_xor_b32_e32 v227, 0x80000000, v227
.LBB110_764:
	s_and_not1_saveexec_b32 s2, s2
	s_cbranch_execz .LBB110_766
; %bb.765:
	s_delay_alu instid0(VALU_DEP_1) | instskip(SKIP_1) | instid1(VALU_DEP_2)
	v_div_scale_f64 v[212:213], null, v[224:225], v[224:225], v[226:227]
	v_div_scale_f64 v[218:219], vcc_lo, v[226:227], v[224:225], v[226:227]
	v_rcp_f64_e32 v[214:215], v[212:213]
	s_waitcnt_depctr 0xfff
	v_fma_f64 v[216:217], -v[212:213], v[214:215], 1.0
	s_delay_alu instid0(VALU_DEP_1) | instskip(NEXT) | instid1(VALU_DEP_1)
	v_fma_f64 v[214:215], v[214:215], v[216:217], v[214:215]
	v_fma_f64 v[216:217], -v[212:213], v[214:215], 1.0
	s_delay_alu instid0(VALU_DEP_1) | instskip(NEXT) | instid1(VALU_DEP_1)
	v_fma_f64 v[214:215], v[214:215], v[216:217], v[214:215]
	v_mul_f64 v[216:217], v[218:219], v[214:215]
	s_delay_alu instid0(VALU_DEP_1) | instskip(NEXT) | instid1(VALU_DEP_1)
	v_fma_f64 v[212:213], -v[212:213], v[216:217], v[218:219]
	v_div_fmas_f64 v[212:213], v[212:213], v[214:215], v[216:217]
	s_delay_alu instid0(VALU_DEP_1) | instskip(NEXT) | instid1(VALU_DEP_1)
	v_div_fixup_f64 v[212:213], v[212:213], v[224:225], v[226:227]
	v_fma_f64 v[214:215], v[226:227], v[212:213], v[224:225]
	s_delay_alu instid0(VALU_DEP_1) | instskip(NEXT) | instid1(VALU_DEP_1)
	v_div_scale_f64 v[216:217], null, v[214:215], v[214:215], 1.0
	v_rcp_f64_e32 v[218:219], v[216:217]
	s_waitcnt_depctr 0xfff
	v_fma_f64 v[220:221], -v[216:217], v[218:219], 1.0
	s_delay_alu instid0(VALU_DEP_1) | instskip(NEXT) | instid1(VALU_DEP_1)
	v_fma_f64 v[218:219], v[218:219], v[220:221], v[218:219]
	v_fma_f64 v[220:221], -v[216:217], v[218:219], 1.0
	s_delay_alu instid0(VALU_DEP_1) | instskip(SKIP_1) | instid1(VALU_DEP_1)
	v_fma_f64 v[218:219], v[218:219], v[220:221], v[218:219]
	v_div_scale_f64 v[220:221], vcc_lo, 1.0, v[214:215], 1.0
	v_mul_f64 v[222:223], v[220:221], v[218:219]
	s_delay_alu instid0(VALU_DEP_1) | instskip(NEXT) | instid1(VALU_DEP_1)
	v_fma_f64 v[216:217], -v[216:217], v[222:223], v[220:221]
	v_div_fmas_f64 v[216:217], v[216:217], v[218:219], v[222:223]
	s_delay_alu instid0(VALU_DEP_1) | instskip(NEXT) | instid1(VALU_DEP_1)
	v_div_fixup_f64 v[224:225], v[216:217], v[214:215], 1.0
	v_mul_f64 v[226:227], v[212:213], -v[224:225]
.LBB110_766:
	s_or_b32 exec_lo, exec_lo, s2
.LBB110_767:
	s_delay_alu instid0(SALU_CYCLE_1) | instskip(NEXT) | instid1(SALU_CYCLE_1)
	s_or_b32 exec_lo, exec_lo, s3
	s_mov_b32 s2, exec_lo
	v_cmpx_ne_u32_e64 v240, v232
	s_xor_b32 s2, exec_lo, s2
	s_cbranch_execz .LBB110_773
; %bb.768:
	s_mov_b32 s3, exec_lo
	v_cmpx_eq_u32_e32 36, v240
	s_cbranch_execz .LBB110_772
; %bb.769:
	v_cmp_ne_u32_e32 vcc_lo, 36, v232
	s_xor_b32 s6, s4, -1
	s_delay_alu instid0(SALU_CYCLE_1) | instskip(NEXT) | instid1(SALU_CYCLE_1)
	s_and_b32 s7, s6, vcc_lo
	s_and_saveexec_b32 s6, s7
	s_cbranch_execz .LBB110_771
; %bb.770:
	scratch_load_b64 v[10:11], off, off     ; 8-byte Folded Reload
	v_ashrrev_i32_e32 v233, 31, v232
	s_delay_alu instid0(VALU_DEP_1) | instskip(SKIP_1) | instid1(VALU_DEP_1)
	v_lshlrev_b64 v[212:213], 2, v[232:233]
	s_waitcnt vmcnt(0)
	v_add_co_u32 v212, vcc_lo, v10, v212
	s_delay_alu instid0(VALU_DEP_2)
	v_add_co_ci_u32_e32 v213, vcc_lo, v11, v213, vcc_lo
	s_clause 0x1
	flat_load_b32 v214, v[212:213]
	flat_load_b32 v215, v[10:11] offset:144
	s_waitcnt vmcnt(1) lgkmcnt(1)
	flat_store_b32 v[10:11], v214 offset:144
	s_waitcnt vmcnt(0) lgkmcnt(1)
	flat_store_b32 v[212:213], v215
.LBB110_771:
	s_or_b32 exec_lo, exec_lo, s6
	v_mov_b32_e32 v240, v232
	v_mov_b32_e32 v239, v232
.LBB110_772:
	s_or_b32 exec_lo, exec_lo, s3
.LBB110_773:
	s_and_not1_saveexec_b32 s2, s2
	s_cbranch_execz .LBB110_775
; %bb.774:
	v_mov_b32_e32 v240, 36
	ds_store_2addr_b64 v234, v[72:73], v[74:75] offset0:74 offset1:75
	ds_store_2addr_b64 v234, v[68:69], v[70:71] offset0:76 offset1:77
	;; [unrolled: 1-line block ×19, first 2 shown]
.LBB110_775:
	s_or_b32 exec_lo, exec_lo, s2
	s_delay_alu instid0(SALU_CYCLE_1)
	s_mov_b32 s2, exec_lo
	s_waitcnt lgkmcnt(0)
	s_waitcnt_vscnt null, 0x0
	s_barrier
	buffer_gl0_inv
	v_cmpx_lt_i32_e32 36, v240
	s_cbranch_execz .LBB110_777
; %bb.776:
	v_mul_f64 v[212:213], v[226:227], v[78:79]
	v_mul_f64 v[78:79], v[224:225], v[78:79]
	s_delay_alu instid0(VALU_DEP_2) | instskip(NEXT) | instid1(VALU_DEP_2)
	v_fma_f64 v[232:233], v[224:225], v[76:77], -v[212:213]
	v_fma_f64 v[78:79], v[226:227], v[76:77], v[78:79]
	ds_load_2addr_b64 v[224:227], v234 offset0:74 offset1:75
	s_waitcnt lgkmcnt(0)
	v_mul_f64 v[76:77], v[226:227], v[78:79]
	v_mul_f64 v[212:213], v[224:225], v[78:79]
	s_delay_alu instid0(VALU_DEP_2) | instskip(NEXT) | instid1(VALU_DEP_2)
	v_fma_f64 v[76:77], v[224:225], v[232:233], -v[76:77]
	v_fma_f64 v[212:213], v[226:227], v[232:233], v[212:213]
	ds_load_2addr_b64 v[224:227], v234 offset0:76 offset1:77
	v_add_f64 v[72:73], v[72:73], -v[76:77]
	v_add_f64 v[74:75], v[74:75], -v[212:213]
	s_waitcnt lgkmcnt(0)
	v_mul_f64 v[76:77], v[226:227], v[78:79]
	v_mul_f64 v[212:213], v[224:225], v[78:79]
	s_delay_alu instid0(VALU_DEP_2) | instskip(NEXT) | instid1(VALU_DEP_2)
	v_fma_f64 v[76:77], v[224:225], v[232:233], -v[76:77]
	v_fma_f64 v[212:213], v[226:227], v[232:233], v[212:213]
	ds_load_2addr_b64 v[224:227], v234 offset0:78 offset1:79
	v_add_f64 v[68:69], v[68:69], -v[76:77]
	v_add_f64 v[70:71], v[70:71], -v[212:213]
	;; [unrolled: 9-line block ×18, first 2 shown]
	s_waitcnt lgkmcnt(0)
	v_mul_f64 v[76:77], v[226:227], v[78:79]
	v_mul_f64 v[212:213], v[224:225], v[78:79]
	s_delay_alu instid0(VALU_DEP_2) | instskip(NEXT) | instid1(VALU_DEP_2)
	v_fma_f64 v[76:77], v[224:225], v[232:233], -v[76:77]
	v_fma_f64 v[212:213], v[226:227], v[232:233], v[212:213]
	s_delay_alu instid0(VALU_DEP_2) | instskip(NEXT) | instid1(VALU_DEP_2)
	v_add_f64 v[0:1], v[0:1], -v[76:77]
	v_add_f64 v[2:3], v[2:3], -v[212:213]
	v_dual_mov_b32 v76, v232 :: v_dual_mov_b32 v77, v233
.LBB110_777:
	s_or_b32 exec_lo, exec_lo, s2
	v_lshl_add_u32 v212, v240, 4, v234
	s_barrier
	buffer_gl0_inv
	v_mov_b32_e32 v232, 37
	ds_store_2addr_b64 v212, v[72:73], v[74:75] offset1:1
	s_waitcnt lgkmcnt(0)
	s_barrier
	buffer_gl0_inv
	ds_load_2addr_b64 v[224:227], v234 offset0:74 offset1:75
	s_cmp_lt_i32 s5, 39
	s_cbranch_scc1 .LBB110_780
; %bb.778:
	v_add3_u32 v233, v238, 0, 0x260
	v_mov_b32_e32 v232, 37
	s_mov_b32 s6, 38
	s_set_inst_prefetch_distance 0x1
	.p2align	6
.LBB110_779:                            ; =>This Inner Loop Header: Depth=1
	ds_load_2addr_b64 v[241:244], v233 offset1:1
	s_waitcnt lgkmcnt(1)
	v_cmp_gt_f64_e32 vcc_lo, 0, v[224:225]
	v_xor_b32_e32 v212, 0x80000000, v225
	v_cmp_gt_f64_e64 s2, 0, v[226:227]
	v_xor_b32_e32 v214, 0x80000000, v227
	v_add_nc_u32_e32 v233, 16, v233
	s_waitcnt lgkmcnt(0)
	v_cmp_gt_f64_e64 s3, 0, v[241:242]
	v_mov_b32_e32 v216, v241
	v_dual_mov_b32 v218, v243 :: v_dual_cndmask_b32 v213, v225, v212
	v_xor_b32_e32 v212, 0x80000000, v242
	v_cndmask_b32_e64 v215, v227, v214, s2
	v_xor_b32_e32 v214, 0x80000000, v244
	s_delay_alu instid0(VALU_DEP_3) | instskip(SKIP_2) | instid1(VALU_DEP_2)
	v_cndmask_b32_e64 v217, v242, v212, s3
	v_cmp_gt_f64_e64 s3, 0, v[243:244]
	v_cndmask_b32_e32 v212, v224, v224, vcc_lo
	v_cndmask_b32_e64 v219, v244, v214, s3
	v_cndmask_b32_e64 v214, v226, v226, s2
	s_delay_alu instid0(VALU_DEP_2) | instskip(NEXT) | instid1(VALU_DEP_2)
	v_add_f64 v[216:217], v[216:217], v[218:219]
	v_add_f64 v[212:213], v[212:213], v[214:215]
	s_delay_alu instid0(VALU_DEP_1) | instskip(SKIP_4) | instid1(SALU_CYCLE_1)
	v_cmp_lt_f64_e32 vcc_lo, v[212:213], v[216:217]
	v_dual_cndmask_b32 v225, v225, v242 :: v_dual_cndmask_b32 v224, v224, v241
	v_dual_cndmask_b32 v227, v227, v244 :: v_dual_cndmask_b32 v226, v226, v243
	v_cndmask_b32_e64 v232, v232, s6, vcc_lo
	s_add_i32 s6, s6, 1
	s_cmp_lg_u32 s5, s6
	s_cbranch_scc1 .LBB110_779
.LBB110_780:
	s_set_inst_prefetch_distance 0x2
	s_waitcnt lgkmcnt(0)
	v_cmp_eq_f64_e32 vcc_lo, 0, v[224:225]
	v_cmp_eq_f64_e64 s2, 0, v[226:227]
	s_delay_alu instid0(VALU_DEP_1) | instskip(NEXT) | instid1(SALU_CYCLE_1)
	s_and_b32 s2, vcc_lo, s2
	s_and_saveexec_b32 s3, s2
	s_delay_alu instid0(SALU_CYCLE_1)
	s_xor_b32 s2, exec_lo, s3
; %bb.781:
	v_cmp_ne_u32_e32 vcc_lo, 0, v237
	v_cndmask_b32_e32 v237, 38, v237, vcc_lo
; %bb.782:
	s_and_not1_saveexec_b32 s3, s2
	s_cbranch_execz .LBB110_788
; %bb.783:
	v_cmp_gt_f64_e32 vcc_lo, 0, v[224:225]
	v_cmp_gt_f64_e64 s2, 0, v[226:227]
	v_xor_b32_e32 v212, 0x80000000, v225
	v_xor_b32_e32 v214, 0x80000000, v227
	s_delay_alu instid0(VALU_DEP_2) | instskip(NEXT) | instid1(VALU_DEP_2)
	v_cndmask_b32_e32 v213, v225, v212, vcc_lo
	v_cndmask_b32_e64 v215, v227, v214, s2
	v_cndmask_b32_e32 v212, v224, v224, vcc_lo
	v_cndmask_b32_e64 v214, v226, v226, s2
	s_mov_b32 s2, exec_lo
	s_delay_alu instid0(VALU_DEP_1)
	v_cmpx_ngt_f64_e32 v[212:213], v[214:215]
	s_xor_b32 s2, exec_lo, s2
	s_cbranch_execz .LBB110_785
; %bb.784:
	v_div_scale_f64 v[212:213], null, v[226:227], v[226:227], v[224:225]
	v_div_scale_f64 v[218:219], vcc_lo, v[224:225], v[226:227], v[224:225]
	s_delay_alu instid0(VALU_DEP_2) | instskip(SKIP_2) | instid1(VALU_DEP_1)
	v_rcp_f64_e32 v[214:215], v[212:213]
	s_waitcnt_depctr 0xfff
	v_fma_f64 v[216:217], -v[212:213], v[214:215], 1.0
	v_fma_f64 v[214:215], v[214:215], v[216:217], v[214:215]
	s_delay_alu instid0(VALU_DEP_1) | instskip(NEXT) | instid1(VALU_DEP_1)
	v_fma_f64 v[216:217], -v[212:213], v[214:215], 1.0
	v_fma_f64 v[214:215], v[214:215], v[216:217], v[214:215]
	s_delay_alu instid0(VALU_DEP_1) | instskip(NEXT) | instid1(VALU_DEP_1)
	v_mul_f64 v[216:217], v[218:219], v[214:215]
	v_fma_f64 v[212:213], -v[212:213], v[216:217], v[218:219]
	s_delay_alu instid0(VALU_DEP_1) | instskip(NEXT) | instid1(VALU_DEP_1)
	v_div_fmas_f64 v[212:213], v[212:213], v[214:215], v[216:217]
	v_div_fixup_f64 v[212:213], v[212:213], v[226:227], v[224:225]
	s_delay_alu instid0(VALU_DEP_1) | instskip(NEXT) | instid1(VALU_DEP_1)
	v_fma_f64 v[214:215], v[224:225], v[212:213], v[226:227]
	v_div_scale_f64 v[216:217], null, v[214:215], v[214:215], 1.0
	s_delay_alu instid0(VALU_DEP_1) | instskip(SKIP_2) | instid1(VALU_DEP_1)
	v_rcp_f64_e32 v[218:219], v[216:217]
	s_waitcnt_depctr 0xfff
	v_fma_f64 v[220:221], -v[216:217], v[218:219], 1.0
	v_fma_f64 v[218:219], v[218:219], v[220:221], v[218:219]
	s_delay_alu instid0(VALU_DEP_1) | instskip(NEXT) | instid1(VALU_DEP_1)
	v_fma_f64 v[220:221], -v[216:217], v[218:219], 1.0
	v_fma_f64 v[218:219], v[218:219], v[220:221], v[218:219]
	v_div_scale_f64 v[220:221], vcc_lo, 1.0, v[214:215], 1.0
	s_delay_alu instid0(VALU_DEP_1) | instskip(NEXT) | instid1(VALU_DEP_1)
	v_mul_f64 v[222:223], v[220:221], v[218:219]
	v_fma_f64 v[216:217], -v[216:217], v[222:223], v[220:221]
	s_delay_alu instid0(VALU_DEP_1) | instskip(NEXT) | instid1(VALU_DEP_1)
	v_div_fmas_f64 v[216:217], v[216:217], v[218:219], v[222:223]
	v_div_fixup_f64 v[226:227], v[216:217], v[214:215], 1.0
	s_delay_alu instid0(VALU_DEP_1)
	v_mul_f64 v[224:225], v[212:213], v[226:227]
	v_xor_b32_e32 v227, 0x80000000, v227
.LBB110_785:
	s_and_not1_saveexec_b32 s2, s2
	s_cbranch_execz .LBB110_787
; %bb.786:
	s_delay_alu instid0(VALU_DEP_1) | instskip(SKIP_1) | instid1(VALU_DEP_2)
	v_div_scale_f64 v[212:213], null, v[224:225], v[224:225], v[226:227]
	v_div_scale_f64 v[218:219], vcc_lo, v[226:227], v[224:225], v[226:227]
	v_rcp_f64_e32 v[214:215], v[212:213]
	s_waitcnt_depctr 0xfff
	v_fma_f64 v[216:217], -v[212:213], v[214:215], 1.0
	s_delay_alu instid0(VALU_DEP_1) | instskip(NEXT) | instid1(VALU_DEP_1)
	v_fma_f64 v[214:215], v[214:215], v[216:217], v[214:215]
	v_fma_f64 v[216:217], -v[212:213], v[214:215], 1.0
	s_delay_alu instid0(VALU_DEP_1) | instskip(NEXT) | instid1(VALU_DEP_1)
	v_fma_f64 v[214:215], v[214:215], v[216:217], v[214:215]
	v_mul_f64 v[216:217], v[218:219], v[214:215]
	s_delay_alu instid0(VALU_DEP_1) | instskip(NEXT) | instid1(VALU_DEP_1)
	v_fma_f64 v[212:213], -v[212:213], v[216:217], v[218:219]
	v_div_fmas_f64 v[212:213], v[212:213], v[214:215], v[216:217]
	s_delay_alu instid0(VALU_DEP_1) | instskip(NEXT) | instid1(VALU_DEP_1)
	v_div_fixup_f64 v[212:213], v[212:213], v[224:225], v[226:227]
	v_fma_f64 v[214:215], v[226:227], v[212:213], v[224:225]
	s_delay_alu instid0(VALU_DEP_1) | instskip(NEXT) | instid1(VALU_DEP_1)
	v_div_scale_f64 v[216:217], null, v[214:215], v[214:215], 1.0
	v_rcp_f64_e32 v[218:219], v[216:217]
	s_waitcnt_depctr 0xfff
	v_fma_f64 v[220:221], -v[216:217], v[218:219], 1.0
	s_delay_alu instid0(VALU_DEP_1) | instskip(NEXT) | instid1(VALU_DEP_1)
	v_fma_f64 v[218:219], v[218:219], v[220:221], v[218:219]
	v_fma_f64 v[220:221], -v[216:217], v[218:219], 1.0
	s_delay_alu instid0(VALU_DEP_1) | instskip(SKIP_1) | instid1(VALU_DEP_1)
	v_fma_f64 v[218:219], v[218:219], v[220:221], v[218:219]
	v_div_scale_f64 v[220:221], vcc_lo, 1.0, v[214:215], 1.0
	v_mul_f64 v[222:223], v[220:221], v[218:219]
	s_delay_alu instid0(VALU_DEP_1) | instskip(NEXT) | instid1(VALU_DEP_1)
	v_fma_f64 v[216:217], -v[216:217], v[222:223], v[220:221]
	v_div_fmas_f64 v[216:217], v[216:217], v[218:219], v[222:223]
	s_delay_alu instid0(VALU_DEP_1) | instskip(NEXT) | instid1(VALU_DEP_1)
	v_div_fixup_f64 v[224:225], v[216:217], v[214:215], 1.0
	v_mul_f64 v[226:227], v[212:213], -v[224:225]
.LBB110_787:
	s_or_b32 exec_lo, exec_lo, s2
.LBB110_788:
	s_delay_alu instid0(SALU_CYCLE_1) | instskip(NEXT) | instid1(SALU_CYCLE_1)
	s_or_b32 exec_lo, exec_lo, s3
	s_mov_b32 s2, exec_lo
	v_cmpx_ne_u32_e64 v240, v232
	s_xor_b32 s2, exec_lo, s2
	s_cbranch_execz .LBB110_794
; %bb.789:
	s_mov_b32 s3, exec_lo
	v_cmpx_eq_u32_e32 37, v240
	s_cbranch_execz .LBB110_793
; %bb.790:
	v_cmp_ne_u32_e32 vcc_lo, 37, v232
	s_xor_b32 s6, s4, -1
	s_delay_alu instid0(SALU_CYCLE_1) | instskip(NEXT) | instid1(SALU_CYCLE_1)
	s_and_b32 s7, s6, vcc_lo
	s_and_saveexec_b32 s6, s7
	s_cbranch_execz .LBB110_792
; %bb.791:
	scratch_load_b64 v[10:11], off, off     ; 8-byte Folded Reload
	v_ashrrev_i32_e32 v233, 31, v232
	s_delay_alu instid0(VALU_DEP_1) | instskip(SKIP_1) | instid1(VALU_DEP_1)
	v_lshlrev_b64 v[212:213], 2, v[232:233]
	s_waitcnt vmcnt(0)
	v_add_co_u32 v212, vcc_lo, v10, v212
	s_delay_alu instid0(VALU_DEP_2)
	v_add_co_ci_u32_e32 v213, vcc_lo, v11, v213, vcc_lo
	s_clause 0x1
	flat_load_b32 v214, v[212:213]
	flat_load_b32 v215, v[10:11] offset:148
	s_waitcnt vmcnt(1) lgkmcnt(1)
	flat_store_b32 v[10:11], v214 offset:148
	s_waitcnt vmcnt(0) lgkmcnt(1)
	flat_store_b32 v[212:213], v215
.LBB110_792:
	s_or_b32 exec_lo, exec_lo, s6
	v_mov_b32_e32 v240, v232
	v_mov_b32_e32 v239, v232
.LBB110_793:
	s_or_b32 exec_lo, exec_lo, s3
.LBB110_794:
	s_and_not1_saveexec_b32 s2, s2
	s_cbranch_execz .LBB110_796
; %bb.795:
	v_mov_b32_e32 v240, 37
	ds_store_2addr_b64 v234, v[68:69], v[70:71] offset0:76 offset1:77
	ds_store_2addr_b64 v234, v[64:65], v[66:67] offset0:78 offset1:79
	;; [unrolled: 1-line block ×18, first 2 shown]
.LBB110_796:
	s_or_b32 exec_lo, exec_lo, s2
	s_delay_alu instid0(SALU_CYCLE_1)
	s_mov_b32 s2, exec_lo
	s_waitcnt lgkmcnt(0)
	s_waitcnt_vscnt null, 0x0
	s_barrier
	buffer_gl0_inv
	v_cmpx_lt_i32_e32 37, v240
	s_cbranch_execz .LBB110_798
; %bb.797:
	v_mul_f64 v[212:213], v[226:227], v[74:75]
	v_mul_f64 v[74:75], v[224:225], v[74:75]
	s_delay_alu instid0(VALU_DEP_2) | instskip(NEXT) | instid1(VALU_DEP_2)
	v_fma_f64 v[232:233], v[224:225], v[72:73], -v[212:213]
	v_fma_f64 v[74:75], v[226:227], v[72:73], v[74:75]
	ds_load_2addr_b64 v[224:227], v234 offset0:76 offset1:77
	s_waitcnt lgkmcnt(0)
	v_mul_f64 v[72:73], v[226:227], v[74:75]
	v_mul_f64 v[212:213], v[224:225], v[74:75]
	s_delay_alu instid0(VALU_DEP_2) | instskip(NEXT) | instid1(VALU_DEP_2)
	v_fma_f64 v[72:73], v[224:225], v[232:233], -v[72:73]
	v_fma_f64 v[212:213], v[226:227], v[232:233], v[212:213]
	ds_load_2addr_b64 v[224:227], v234 offset0:78 offset1:79
	v_add_f64 v[68:69], v[68:69], -v[72:73]
	v_add_f64 v[70:71], v[70:71], -v[212:213]
	s_waitcnt lgkmcnt(0)
	v_mul_f64 v[72:73], v[226:227], v[74:75]
	v_mul_f64 v[212:213], v[224:225], v[74:75]
	s_delay_alu instid0(VALU_DEP_2) | instskip(NEXT) | instid1(VALU_DEP_2)
	v_fma_f64 v[72:73], v[224:225], v[232:233], -v[72:73]
	v_fma_f64 v[212:213], v[226:227], v[232:233], v[212:213]
	ds_load_2addr_b64 v[224:227], v234 offset0:80 offset1:81
	v_add_f64 v[64:65], v[64:65], -v[72:73]
	v_add_f64 v[66:67], v[66:67], -v[212:213]
	;; [unrolled: 9-line block ×17, first 2 shown]
	s_waitcnt lgkmcnt(0)
	v_mul_f64 v[72:73], v[226:227], v[74:75]
	v_mul_f64 v[212:213], v[224:225], v[74:75]
	s_delay_alu instid0(VALU_DEP_2) | instskip(NEXT) | instid1(VALU_DEP_2)
	v_fma_f64 v[72:73], v[224:225], v[232:233], -v[72:73]
	v_fma_f64 v[212:213], v[226:227], v[232:233], v[212:213]
	s_delay_alu instid0(VALU_DEP_2) | instskip(NEXT) | instid1(VALU_DEP_2)
	v_add_f64 v[0:1], v[0:1], -v[72:73]
	v_add_f64 v[2:3], v[2:3], -v[212:213]
	v_dual_mov_b32 v72, v232 :: v_dual_mov_b32 v73, v233
.LBB110_798:
	s_or_b32 exec_lo, exec_lo, s2
	v_lshl_add_u32 v212, v240, 4, v234
	s_barrier
	buffer_gl0_inv
	v_mov_b32_e32 v232, 38
	ds_store_2addr_b64 v212, v[68:69], v[70:71] offset1:1
	s_waitcnt lgkmcnt(0)
	s_barrier
	buffer_gl0_inv
	ds_load_2addr_b64 v[224:227], v234 offset0:76 offset1:77
	s_cmp_lt_i32 s5, 40
	s_cbranch_scc1 .LBB110_801
; %bb.799:
	v_add3_u32 v233, v238, 0, 0x270
	v_mov_b32_e32 v232, 38
	s_mov_b32 s6, 39
	s_set_inst_prefetch_distance 0x1
	.p2align	6
.LBB110_800:                            ; =>This Inner Loop Header: Depth=1
	ds_load_2addr_b64 v[241:244], v233 offset1:1
	s_waitcnt lgkmcnt(1)
	v_cmp_gt_f64_e32 vcc_lo, 0, v[224:225]
	v_xor_b32_e32 v212, 0x80000000, v225
	v_cmp_gt_f64_e64 s2, 0, v[226:227]
	v_xor_b32_e32 v214, 0x80000000, v227
	v_add_nc_u32_e32 v233, 16, v233
	s_waitcnt lgkmcnt(0)
	v_cmp_gt_f64_e64 s3, 0, v[241:242]
	v_mov_b32_e32 v216, v241
	v_dual_mov_b32 v218, v243 :: v_dual_cndmask_b32 v213, v225, v212
	v_xor_b32_e32 v212, 0x80000000, v242
	v_cndmask_b32_e64 v215, v227, v214, s2
	v_xor_b32_e32 v214, 0x80000000, v244
	s_delay_alu instid0(VALU_DEP_3) | instskip(SKIP_2) | instid1(VALU_DEP_2)
	v_cndmask_b32_e64 v217, v242, v212, s3
	v_cmp_gt_f64_e64 s3, 0, v[243:244]
	v_cndmask_b32_e32 v212, v224, v224, vcc_lo
	v_cndmask_b32_e64 v219, v244, v214, s3
	v_cndmask_b32_e64 v214, v226, v226, s2
	s_delay_alu instid0(VALU_DEP_2) | instskip(NEXT) | instid1(VALU_DEP_2)
	v_add_f64 v[216:217], v[216:217], v[218:219]
	v_add_f64 v[212:213], v[212:213], v[214:215]
	s_delay_alu instid0(VALU_DEP_1) | instskip(SKIP_4) | instid1(SALU_CYCLE_1)
	v_cmp_lt_f64_e32 vcc_lo, v[212:213], v[216:217]
	v_dual_cndmask_b32 v225, v225, v242 :: v_dual_cndmask_b32 v224, v224, v241
	v_dual_cndmask_b32 v227, v227, v244 :: v_dual_cndmask_b32 v226, v226, v243
	v_cndmask_b32_e64 v232, v232, s6, vcc_lo
	s_add_i32 s6, s6, 1
	s_cmp_lg_u32 s5, s6
	s_cbranch_scc1 .LBB110_800
.LBB110_801:
	s_set_inst_prefetch_distance 0x2
	s_waitcnt lgkmcnt(0)
	v_cmp_eq_f64_e32 vcc_lo, 0, v[224:225]
	v_cmp_eq_f64_e64 s2, 0, v[226:227]
	s_delay_alu instid0(VALU_DEP_1) | instskip(NEXT) | instid1(SALU_CYCLE_1)
	s_and_b32 s2, vcc_lo, s2
	s_and_saveexec_b32 s3, s2
	s_delay_alu instid0(SALU_CYCLE_1)
	s_xor_b32 s2, exec_lo, s3
; %bb.802:
	v_cmp_ne_u32_e32 vcc_lo, 0, v237
	v_cndmask_b32_e32 v237, 39, v237, vcc_lo
; %bb.803:
	s_and_not1_saveexec_b32 s3, s2
	s_cbranch_execz .LBB110_809
; %bb.804:
	v_cmp_gt_f64_e32 vcc_lo, 0, v[224:225]
	v_cmp_gt_f64_e64 s2, 0, v[226:227]
	v_xor_b32_e32 v212, 0x80000000, v225
	v_xor_b32_e32 v214, 0x80000000, v227
	s_delay_alu instid0(VALU_DEP_2) | instskip(NEXT) | instid1(VALU_DEP_2)
	v_cndmask_b32_e32 v213, v225, v212, vcc_lo
	v_cndmask_b32_e64 v215, v227, v214, s2
	v_cndmask_b32_e32 v212, v224, v224, vcc_lo
	v_cndmask_b32_e64 v214, v226, v226, s2
	s_mov_b32 s2, exec_lo
	s_delay_alu instid0(VALU_DEP_1)
	v_cmpx_ngt_f64_e32 v[212:213], v[214:215]
	s_xor_b32 s2, exec_lo, s2
	s_cbranch_execz .LBB110_806
; %bb.805:
	v_div_scale_f64 v[212:213], null, v[226:227], v[226:227], v[224:225]
	v_div_scale_f64 v[218:219], vcc_lo, v[224:225], v[226:227], v[224:225]
	s_delay_alu instid0(VALU_DEP_2) | instskip(SKIP_2) | instid1(VALU_DEP_1)
	v_rcp_f64_e32 v[214:215], v[212:213]
	s_waitcnt_depctr 0xfff
	v_fma_f64 v[216:217], -v[212:213], v[214:215], 1.0
	v_fma_f64 v[214:215], v[214:215], v[216:217], v[214:215]
	s_delay_alu instid0(VALU_DEP_1) | instskip(NEXT) | instid1(VALU_DEP_1)
	v_fma_f64 v[216:217], -v[212:213], v[214:215], 1.0
	v_fma_f64 v[214:215], v[214:215], v[216:217], v[214:215]
	s_delay_alu instid0(VALU_DEP_1) | instskip(NEXT) | instid1(VALU_DEP_1)
	v_mul_f64 v[216:217], v[218:219], v[214:215]
	v_fma_f64 v[212:213], -v[212:213], v[216:217], v[218:219]
	s_delay_alu instid0(VALU_DEP_1) | instskip(NEXT) | instid1(VALU_DEP_1)
	v_div_fmas_f64 v[212:213], v[212:213], v[214:215], v[216:217]
	v_div_fixup_f64 v[212:213], v[212:213], v[226:227], v[224:225]
	s_delay_alu instid0(VALU_DEP_1) | instskip(NEXT) | instid1(VALU_DEP_1)
	v_fma_f64 v[214:215], v[224:225], v[212:213], v[226:227]
	v_div_scale_f64 v[216:217], null, v[214:215], v[214:215], 1.0
	s_delay_alu instid0(VALU_DEP_1) | instskip(SKIP_2) | instid1(VALU_DEP_1)
	v_rcp_f64_e32 v[218:219], v[216:217]
	s_waitcnt_depctr 0xfff
	v_fma_f64 v[220:221], -v[216:217], v[218:219], 1.0
	v_fma_f64 v[218:219], v[218:219], v[220:221], v[218:219]
	s_delay_alu instid0(VALU_DEP_1) | instskip(NEXT) | instid1(VALU_DEP_1)
	v_fma_f64 v[220:221], -v[216:217], v[218:219], 1.0
	v_fma_f64 v[218:219], v[218:219], v[220:221], v[218:219]
	v_div_scale_f64 v[220:221], vcc_lo, 1.0, v[214:215], 1.0
	s_delay_alu instid0(VALU_DEP_1) | instskip(NEXT) | instid1(VALU_DEP_1)
	v_mul_f64 v[222:223], v[220:221], v[218:219]
	v_fma_f64 v[216:217], -v[216:217], v[222:223], v[220:221]
	s_delay_alu instid0(VALU_DEP_1) | instskip(NEXT) | instid1(VALU_DEP_1)
	v_div_fmas_f64 v[216:217], v[216:217], v[218:219], v[222:223]
	v_div_fixup_f64 v[226:227], v[216:217], v[214:215], 1.0
	s_delay_alu instid0(VALU_DEP_1)
	v_mul_f64 v[224:225], v[212:213], v[226:227]
	v_xor_b32_e32 v227, 0x80000000, v227
.LBB110_806:
	s_and_not1_saveexec_b32 s2, s2
	s_cbranch_execz .LBB110_808
; %bb.807:
	s_delay_alu instid0(VALU_DEP_1) | instskip(SKIP_1) | instid1(VALU_DEP_2)
	v_div_scale_f64 v[212:213], null, v[224:225], v[224:225], v[226:227]
	v_div_scale_f64 v[218:219], vcc_lo, v[226:227], v[224:225], v[226:227]
	v_rcp_f64_e32 v[214:215], v[212:213]
	s_waitcnt_depctr 0xfff
	v_fma_f64 v[216:217], -v[212:213], v[214:215], 1.0
	s_delay_alu instid0(VALU_DEP_1) | instskip(NEXT) | instid1(VALU_DEP_1)
	v_fma_f64 v[214:215], v[214:215], v[216:217], v[214:215]
	v_fma_f64 v[216:217], -v[212:213], v[214:215], 1.0
	s_delay_alu instid0(VALU_DEP_1) | instskip(NEXT) | instid1(VALU_DEP_1)
	v_fma_f64 v[214:215], v[214:215], v[216:217], v[214:215]
	v_mul_f64 v[216:217], v[218:219], v[214:215]
	s_delay_alu instid0(VALU_DEP_1) | instskip(NEXT) | instid1(VALU_DEP_1)
	v_fma_f64 v[212:213], -v[212:213], v[216:217], v[218:219]
	v_div_fmas_f64 v[212:213], v[212:213], v[214:215], v[216:217]
	s_delay_alu instid0(VALU_DEP_1) | instskip(NEXT) | instid1(VALU_DEP_1)
	v_div_fixup_f64 v[212:213], v[212:213], v[224:225], v[226:227]
	v_fma_f64 v[214:215], v[226:227], v[212:213], v[224:225]
	s_delay_alu instid0(VALU_DEP_1) | instskip(NEXT) | instid1(VALU_DEP_1)
	v_div_scale_f64 v[216:217], null, v[214:215], v[214:215], 1.0
	v_rcp_f64_e32 v[218:219], v[216:217]
	s_waitcnt_depctr 0xfff
	v_fma_f64 v[220:221], -v[216:217], v[218:219], 1.0
	s_delay_alu instid0(VALU_DEP_1) | instskip(NEXT) | instid1(VALU_DEP_1)
	v_fma_f64 v[218:219], v[218:219], v[220:221], v[218:219]
	v_fma_f64 v[220:221], -v[216:217], v[218:219], 1.0
	s_delay_alu instid0(VALU_DEP_1) | instskip(SKIP_1) | instid1(VALU_DEP_1)
	v_fma_f64 v[218:219], v[218:219], v[220:221], v[218:219]
	v_div_scale_f64 v[220:221], vcc_lo, 1.0, v[214:215], 1.0
	v_mul_f64 v[222:223], v[220:221], v[218:219]
	s_delay_alu instid0(VALU_DEP_1) | instskip(NEXT) | instid1(VALU_DEP_1)
	v_fma_f64 v[216:217], -v[216:217], v[222:223], v[220:221]
	v_div_fmas_f64 v[216:217], v[216:217], v[218:219], v[222:223]
	s_delay_alu instid0(VALU_DEP_1) | instskip(NEXT) | instid1(VALU_DEP_1)
	v_div_fixup_f64 v[224:225], v[216:217], v[214:215], 1.0
	v_mul_f64 v[226:227], v[212:213], -v[224:225]
.LBB110_808:
	s_or_b32 exec_lo, exec_lo, s2
.LBB110_809:
	s_delay_alu instid0(SALU_CYCLE_1) | instskip(NEXT) | instid1(SALU_CYCLE_1)
	s_or_b32 exec_lo, exec_lo, s3
	s_mov_b32 s2, exec_lo
	v_cmpx_ne_u32_e64 v240, v232
	s_xor_b32 s2, exec_lo, s2
	s_cbranch_execz .LBB110_815
; %bb.810:
	s_mov_b32 s3, exec_lo
	v_cmpx_eq_u32_e32 38, v240
	s_cbranch_execz .LBB110_814
; %bb.811:
	v_cmp_ne_u32_e32 vcc_lo, 38, v232
	s_xor_b32 s6, s4, -1
	s_delay_alu instid0(SALU_CYCLE_1) | instskip(NEXT) | instid1(SALU_CYCLE_1)
	s_and_b32 s7, s6, vcc_lo
	s_and_saveexec_b32 s6, s7
	s_cbranch_execz .LBB110_813
; %bb.812:
	scratch_load_b64 v[10:11], off, off     ; 8-byte Folded Reload
	v_ashrrev_i32_e32 v233, 31, v232
	s_delay_alu instid0(VALU_DEP_1) | instskip(SKIP_1) | instid1(VALU_DEP_1)
	v_lshlrev_b64 v[212:213], 2, v[232:233]
	s_waitcnt vmcnt(0)
	v_add_co_u32 v212, vcc_lo, v10, v212
	s_delay_alu instid0(VALU_DEP_2)
	v_add_co_ci_u32_e32 v213, vcc_lo, v11, v213, vcc_lo
	s_clause 0x1
	flat_load_b32 v214, v[212:213]
	flat_load_b32 v215, v[10:11] offset:152
	s_waitcnt vmcnt(1) lgkmcnt(1)
	flat_store_b32 v[10:11], v214 offset:152
	s_waitcnt vmcnt(0) lgkmcnt(1)
	flat_store_b32 v[212:213], v215
.LBB110_813:
	s_or_b32 exec_lo, exec_lo, s6
	v_mov_b32_e32 v240, v232
	v_mov_b32_e32 v239, v232
.LBB110_814:
	s_or_b32 exec_lo, exec_lo, s3
.LBB110_815:
	s_and_not1_saveexec_b32 s2, s2
	s_cbranch_execz .LBB110_817
; %bb.816:
	v_mov_b32_e32 v240, 38
	ds_store_2addr_b64 v234, v[64:65], v[66:67] offset0:78 offset1:79
	ds_store_2addr_b64 v234, v[60:61], v[62:63] offset0:80 offset1:81
	;; [unrolled: 1-line block ×17, first 2 shown]
.LBB110_817:
	s_or_b32 exec_lo, exec_lo, s2
	s_delay_alu instid0(SALU_CYCLE_1)
	s_mov_b32 s2, exec_lo
	s_waitcnt lgkmcnt(0)
	s_waitcnt_vscnt null, 0x0
	s_barrier
	buffer_gl0_inv
	v_cmpx_lt_i32_e32 38, v240
	s_cbranch_execz .LBB110_819
; %bb.818:
	v_mul_f64 v[212:213], v[226:227], v[70:71]
	v_mul_f64 v[70:71], v[224:225], v[70:71]
	s_delay_alu instid0(VALU_DEP_2) | instskip(NEXT) | instid1(VALU_DEP_2)
	v_fma_f64 v[232:233], v[224:225], v[68:69], -v[212:213]
	v_fma_f64 v[70:71], v[226:227], v[68:69], v[70:71]
	ds_load_2addr_b64 v[224:227], v234 offset0:78 offset1:79
	s_waitcnt lgkmcnt(0)
	v_mul_f64 v[68:69], v[226:227], v[70:71]
	v_mul_f64 v[212:213], v[224:225], v[70:71]
	s_delay_alu instid0(VALU_DEP_2) | instskip(NEXT) | instid1(VALU_DEP_2)
	v_fma_f64 v[68:69], v[224:225], v[232:233], -v[68:69]
	v_fma_f64 v[212:213], v[226:227], v[232:233], v[212:213]
	ds_load_2addr_b64 v[224:227], v234 offset0:80 offset1:81
	v_add_f64 v[64:65], v[64:65], -v[68:69]
	v_add_f64 v[66:67], v[66:67], -v[212:213]
	s_waitcnt lgkmcnt(0)
	v_mul_f64 v[68:69], v[226:227], v[70:71]
	v_mul_f64 v[212:213], v[224:225], v[70:71]
	s_delay_alu instid0(VALU_DEP_2) | instskip(NEXT) | instid1(VALU_DEP_2)
	v_fma_f64 v[68:69], v[224:225], v[232:233], -v[68:69]
	v_fma_f64 v[212:213], v[226:227], v[232:233], v[212:213]
	ds_load_2addr_b64 v[224:227], v234 offset0:82 offset1:83
	v_add_f64 v[60:61], v[60:61], -v[68:69]
	v_add_f64 v[62:63], v[62:63], -v[212:213]
	;; [unrolled: 9-line block ×16, first 2 shown]
	s_waitcnt lgkmcnt(0)
	v_mul_f64 v[68:69], v[226:227], v[70:71]
	v_mul_f64 v[212:213], v[224:225], v[70:71]
	s_delay_alu instid0(VALU_DEP_2) | instskip(NEXT) | instid1(VALU_DEP_2)
	v_fma_f64 v[68:69], v[224:225], v[232:233], -v[68:69]
	v_fma_f64 v[212:213], v[226:227], v[232:233], v[212:213]
	s_delay_alu instid0(VALU_DEP_2) | instskip(NEXT) | instid1(VALU_DEP_2)
	v_add_f64 v[0:1], v[0:1], -v[68:69]
	v_add_f64 v[2:3], v[2:3], -v[212:213]
	v_dual_mov_b32 v68, v232 :: v_dual_mov_b32 v69, v233
.LBB110_819:
	s_or_b32 exec_lo, exec_lo, s2
	v_lshl_add_u32 v212, v240, 4, v234
	s_barrier
	buffer_gl0_inv
	v_mov_b32_e32 v232, 39
	ds_store_2addr_b64 v212, v[64:65], v[66:67] offset1:1
	s_waitcnt lgkmcnt(0)
	s_barrier
	buffer_gl0_inv
	ds_load_2addr_b64 v[224:227], v234 offset0:78 offset1:79
	s_cmp_lt_i32 s5, 41
	s_cbranch_scc1 .LBB110_822
; %bb.820:
	v_add3_u32 v233, v238, 0, 0x280
	v_mov_b32_e32 v232, 39
	s_mov_b32 s6, 40
	s_set_inst_prefetch_distance 0x1
	.p2align	6
.LBB110_821:                            ; =>This Inner Loop Header: Depth=1
	ds_load_2addr_b64 v[241:244], v233 offset1:1
	s_waitcnt lgkmcnt(1)
	v_cmp_gt_f64_e32 vcc_lo, 0, v[224:225]
	v_xor_b32_e32 v212, 0x80000000, v225
	v_cmp_gt_f64_e64 s2, 0, v[226:227]
	v_xor_b32_e32 v214, 0x80000000, v227
	v_add_nc_u32_e32 v233, 16, v233
	s_waitcnt lgkmcnt(0)
	v_cmp_gt_f64_e64 s3, 0, v[241:242]
	v_mov_b32_e32 v216, v241
	v_dual_mov_b32 v218, v243 :: v_dual_cndmask_b32 v213, v225, v212
	v_xor_b32_e32 v212, 0x80000000, v242
	v_cndmask_b32_e64 v215, v227, v214, s2
	v_xor_b32_e32 v214, 0x80000000, v244
	s_delay_alu instid0(VALU_DEP_3) | instskip(SKIP_2) | instid1(VALU_DEP_2)
	v_cndmask_b32_e64 v217, v242, v212, s3
	v_cmp_gt_f64_e64 s3, 0, v[243:244]
	v_cndmask_b32_e32 v212, v224, v224, vcc_lo
	v_cndmask_b32_e64 v219, v244, v214, s3
	v_cndmask_b32_e64 v214, v226, v226, s2
	s_delay_alu instid0(VALU_DEP_2) | instskip(NEXT) | instid1(VALU_DEP_2)
	v_add_f64 v[216:217], v[216:217], v[218:219]
	v_add_f64 v[212:213], v[212:213], v[214:215]
	s_delay_alu instid0(VALU_DEP_1) | instskip(SKIP_4) | instid1(SALU_CYCLE_1)
	v_cmp_lt_f64_e32 vcc_lo, v[212:213], v[216:217]
	v_dual_cndmask_b32 v225, v225, v242 :: v_dual_cndmask_b32 v224, v224, v241
	v_dual_cndmask_b32 v227, v227, v244 :: v_dual_cndmask_b32 v226, v226, v243
	v_cndmask_b32_e64 v232, v232, s6, vcc_lo
	s_add_i32 s6, s6, 1
	s_cmp_lg_u32 s5, s6
	s_cbranch_scc1 .LBB110_821
.LBB110_822:
	s_set_inst_prefetch_distance 0x2
	s_waitcnt lgkmcnt(0)
	v_cmp_eq_f64_e32 vcc_lo, 0, v[224:225]
	v_cmp_eq_f64_e64 s2, 0, v[226:227]
	s_delay_alu instid0(VALU_DEP_1) | instskip(NEXT) | instid1(SALU_CYCLE_1)
	s_and_b32 s2, vcc_lo, s2
	s_and_saveexec_b32 s3, s2
	s_delay_alu instid0(SALU_CYCLE_1)
	s_xor_b32 s2, exec_lo, s3
; %bb.823:
	v_cmp_ne_u32_e32 vcc_lo, 0, v237
	v_cndmask_b32_e32 v237, 40, v237, vcc_lo
; %bb.824:
	s_and_not1_saveexec_b32 s3, s2
	s_cbranch_execz .LBB110_830
; %bb.825:
	v_cmp_gt_f64_e32 vcc_lo, 0, v[224:225]
	v_cmp_gt_f64_e64 s2, 0, v[226:227]
	v_xor_b32_e32 v212, 0x80000000, v225
	v_xor_b32_e32 v214, 0x80000000, v227
	s_delay_alu instid0(VALU_DEP_2) | instskip(NEXT) | instid1(VALU_DEP_2)
	v_cndmask_b32_e32 v213, v225, v212, vcc_lo
	v_cndmask_b32_e64 v215, v227, v214, s2
	v_cndmask_b32_e32 v212, v224, v224, vcc_lo
	v_cndmask_b32_e64 v214, v226, v226, s2
	s_mov_b32 s2, exec_lo
	s_delay_alu instid0(VALU_DEP_1)
	v_cmpx_ngt_f64_e32 v[212:213], v[214:215]
	s_xor_b32 s2, exec_lo, s2
	s_cbranch_execz .LBB110_827
; %bb.826:
	v_div_scale_f64 v[212:213], null, v[226:227], v[226:227], v[224:225]
	v_div_scale_f64 v[218:219], vcc_lo, v[224:225], v[226:227], v[224:225]
	s_delay_alu instid0(VALU_DEP_2) | instskip(SKIP_2) | instid1(VALU_DEP_1)
	v_rcp_f64_e32 v[214:215], v[212:213]
	s_waitcnt_depctr 0xfff
	v_fma_f64 v[216:217], -v[212:213], v[214:215], 1.0
	v_fma_f64 v[214:215], v[214:215], v[216:217], v[214:215]
	s_delay_alu instid0(VALU_DEP_1) | instskip(NEXT) | instid1(VALU_DEP_1)
	v_fma_f64 v[216:217], -v[212:213], v[214:215], 1.0
	v_fma_f64 v[214:215], v[214:215], v[216:217], v[214:215]
	s_delay_alu instid0(VALU_DEP_1) | instskip(NEXT) | instid1(VALU_DEP_1)
	v_mul_f64 v[216:217], v[218:219], v[214:215]
	v_fma_f64 v[212:213], -v[212:213], v[216:217], v[218:219]
	s_delay_alu instid0(VALU_DEP_1) | instskip(NEXT) | instid1(VALU_DEP_1)
	v_div_fmas_f64 v[212:213], v[212:213], v[214:215], v[216:217]
	v_div_fixup_f64 v[212:213], v[212:213], v[226:227], v[224:225]
	s_delay_alu instid0(VALU_DEP_1) | instskip(NEXT) | instid1(VALU_DEP_1)
	v_fma_f64 v[214:215], v[224:225], v[212:213], v[226:227]
	v_div_scale_f64 v[216:217], null, v[214:215], v[214:215], 1.0
	s_delay_alu instid0(VALU_DEP_1) | instskip(SKIP_2) | instid1(VALU_DEP_1)
	v_rcp_f64_e32 v[218:219], v[216:217]
	s_waitcnt_depctr 0xfff
	v_fma_f64 v[220:221], -v[216:217], v[218:219], 1.0
	v_fma_f64 v[218:219], v[218:219], v[220:221], v[218:219]
	s_delay_alu instid0(VALU_DEP_1) | instskip(NEXT) | instid1(VALU_DEP_1)
	v_fma_f64 v[220:221], -v[216:217], v[218:219], 1.0
	v_fma_f64 v[218:219], v[218:219], v[220:221], v[218:219]
	v_div_scale_f64 v[220:221], vcc_lo, 1.0, v[214:215], 1.0
	s_delay_alu instid0(VALU_DEP_1) | instskip(NEXT) | instid1(VALU_DEP_1)
	v_mul_f64 v[222:223], v[220:221], v[218:219]
	v_fma_f64 v[216:217], -v[216:217], v[222:223], v[220:221]
	s_delay_alu instid0(VALU_DEP_1) | instskip(NEXT) | instid1(VALU_DEP_1)
	v_div_fmas_f64 v[216:217], v[216:217], v[218:219], v[222:223]
	v_div_fixup_f64 v[226:227], v[216:217], v[214:215], 1.0
	s_delay_alu instid0(VALU_DEP_1)
	v_mul_f64 v[224:225], v[212:213], v[226:227]
	v_xor_b32_e32 v227, 0x80000000, v227
.LBB110_827:
	s_and_not1_saveexec_b32 s2, s2
	s_cbranch_execz .LBB110_829
; %bb.828:
	s_delay_alu instid0(VALU_DEP_1) | instskip(SKIP_1) | instid1(VALU_DEP_2)
	v_div_scale_f64 v[212:213], null, v[224:225], v[224:225], v[226:227]
	v_div_scale_f64 v[218:219], vcc_lo, v[226:227], v[224:225], v[226:227]
	v_rcp_f64_e32 v[214:215], v[212:213]
	s_waitcnt_depctr 0xfff
	v_fma_f64 v[216:217], -v[212:213], v[214:215], 1.0
	s_delay_alu instid0(VALU_DEP_1) | instskip(NEXT) | instid1(VALU_DEP_1)
	v_fma_f64 v[214:215], v[214:215], v[216:217], v[214:215]
	v_fma_f64 v[216:217], -v[212:213], v[214:215], 1.0
	s_delay_alu instid0(VALU_DEP_1) | instskip(NEXT) | instid1(VALU_DEP_1)
	v_fma_f64 v[214:215], v[214:215], v[216:217], v[214:215]
	v_mul_f64 v[216:217], v[218:219], v[214:215]
	s_delay_alu instid0(VALU_DEP_1) | instskip(NEXT) | instid1(VALU_DEP_1)
	v_fma_f64 v[212:213], -v[212:213], v[216:217], v[218:219]
	v_div_fmas_f64 v[212:213], v[212:213], v[214:215], v[216:217]
	s_delay_alu instid0(VALU_DEP_1) | instskip(NEXT) | instid1(VALU_DEP_1)
	v_div_fixup_f64 v[212:213], v[212:213], v[224:225], v[226:227]
	v_fma_f64 v[214:215], v[226:227], v[212:213], v[224:225]
	s_delay_alu instid0(VALU_DEP_1) | instskip(NEXT) | instid1(VALU_DEP_1)
	v_div_scale_f64 v[216:217], null, v[214:215], v[214:215], 1.0
	v_rcp_f64_e32 v[218:219], v[216:217]
	s_waitcnt_depctr 0xfff
	v_fma_f64 v[220:221], -v[216:217], v[218:219], 1.0
	s_delay_alu instid0(VALU_DEP_1) | instskip(NEXT) | instid1(VALU_DEP_1)
	v_fma_f64 v[218:219], v[218:219], v[220:221], v[218:219]
	v_fma_f64 v[220:221], -v[216:217], v[218:219], 1.0
	s_delay_alu instid0(VALU_DEP_1) | instskip(SKIP_1) | instid1(VALU_DEP_1)
	v_fma_f64 v[218:219], v[218:219], v[220:221], v[218:219]
	v_div_scale_f64 v[220:221], vcc_lo, 1.0, v[214:215], 1.0
	v_mul_f64 v[222:223], v[220:221], v[218:219]
	s_delay_alu instid0(VALU_DEP_1) | instskip(NEXT) | instid1(VALU_DEP_1)
	v_fma_f64 v[216:217], -v[216:217], v[222:223], v[220:221]
	v_div_fmas_f64 v[216:217], v[216:217], v[218:219], v[222:223]
	s_delay_alu instid0(VALU_DEP_1) | instskip(NEXT) | instid1(VALU_DEP_1)
	v_div_fixup_f64 v[224:225], v[216:217], v[214:215], 1.0
	v_mul_f64 v[226:227], v[212:213], -v[224:225]
.LBB110_829:
	s_or_b32 exec_lo, exec_lo, s2
.LBB110_830:
	s_delay_alu instid0(SALU_CYCLE_1) | instskip(NEXT) | instid1(SALU_CYCLE_1)
	s_or_b32 exec_lo, exec_lo, s3
	s_mov_b32 s2, exec_lo
	v_cmpx_ne_u32_e64 v240, v232
	s_xor_b32 s2, exec_lo, s2
	s_cbranch_execz .LBB110_836
; %bb.831:
	s_mov_b32 s3, exec_lo
	v_cmpx_eq_u32_e32 39, v240
	s_cbranch_execz .LBB110_835
; %bb.832:
	v_cmp_ne_u32_e32 vcc_lo, 39, v232
	s_xor_b32 s6, s4, -1
	s_delay_alu instid0(SALU_CYCLE_1) | instskip(NEXT) | instid1(SALU_CYCLE_1)
	s_and_b32 s7, s6, vcc_lo
	s_and_saveexec_b32 s6, s7
	s_cbranch_execz .LBB110_834
; %bb.833:
	scratch_load_b64 v[10:11], off, off     ; 8-byte Folded Reload
	v_ashrrev_i32_e32 v233, 31, v232
	s_delay_alu instid0(VALU_DEP_1) | instskip(SKIP_1) | instid1(VALU_DEP_1)
	v_lshlrev_b64 v[212:213], 2, v[232:233]
	s_waitcnt vmcnt(0)
	v_add_co_u32 v212, vcc_lo, v10, v212
	s_delay_alu instid0(VALU_DEP_2)
	v_add_co_ci_u32_e32 v213, vcc_lo, v11, v213, vcc_lo
	s_clause 0x1
	flat_load_b32 v214, v[212:213]
	flat_load_b32 v215, v[10:11] offset:156
	s_waitcnt vmcnt(1) lgkmcnt(1)
	flat_store_b32 v[10:11], v214 offset:156
	s_waitcnt vmcnt(0) lgkmcnt(1)
	flat_store_b32 v[212:213], v215
.LBB110_834:
	s_or_b32 exec_lo, exec_lo, s6
	v_mov_b32_e32 v240, v232
	v_mov_b32_e32 v239, v232
.LBB110_835:
	s_or_b32 exec_lo, exec_lo, s3
.LBB110_836:
	s_and_not1_saveexec_b32 s2, s2
	s_cbranch_execz .LBB110_838
; %bb.837:
	v_mov_b32_e32 v240, 39
	ds_store_2addr_b64 v234, v[60:61], v[62:63] offset0:80 offset1:81
	ds_store_2addr_b64 v234, v[56:57], v[58:59] offset0:82 offset1:83
	;; [unrolled: 1-line block ×16, first 2 shown]
.LBB110_838:
	s_or_b32 exec_lo, exec_lo, s2
	s_delay_alu instid0(SALU_CYCLE_1)
	s_mov_b32 s2, exec_lo
	s_waitcnt lgkmcnt(0)
	s_waitcnt_vscnt null, 0x0
	s_barrier
	buffer_gl0_inv
	v_cmpx_lt_i32_e32 39, v240
	s_cbranch_execz .LBB110_840
; %bb.839:
	v_mul_f64 v[212:213], v[224:225], v[66:67]
	v_mul_f64 v[66:67], v[226:227], v[66:67]
	s_delay_alu instid0(VALU_DEP_2) | instskip(NEXT) | instid1(VALU_DEP_2)
	v_fma_f64 v[232:233], v[226:227], v[64:65], v[212:213]
	v_fma_f64 v[64:65], v[224:225], v[64:65], -v[66:67]
	ds_load_2addr_b64 v[224:227], v234 offset0:80 offset1:81
	s_waitcnt lgkmcnt(0)
	v_mul_f64 v[66:67], v[226:227], v[232:233]
	v_mul_f64 v[212:213], v[224:225], v[232:233]
	s_delay_alu instid0(VALU_DEP_2) | instskip(NEXT) | instid1(VALU_DEP_2)
	v_fma_f64 v[66:67], v[224:225], v[64:65], -v[66:67]
	v_fma_f64 v[212:213], v[226:227], v[64:65], v[212:213]
	ds_load_2addr_b64 v[224:227], v234 offset0:82 offset1:83
	v_add_f64 v[60:61], v[60:61], -v[66:67]
	v_add_f64 v[62:63], v[62:63], -v[212:213]
	s_waitcnt lgkmcnt(0)
	v_mul_f64 v[66:67], v[226:227], v[232:233]
	v_mul_f64 v[212:213], v[224:225], v[232:233]
	s_delay_alu instid0(VALU_DEP_2) | instskip(NEXT) | instid1(VALU_DEP_2)
	v_fma_f64 v[66:67], v[224:225], v[64:65], -v[66:67]
	v_fma_f64 v[212:213], v[226:227], v[64:65], v[212:213]
	ds_load_2addr_b64 v[224:227], v234 offset0:84 offset1:85
	v_add_f64 v[56:57], v[56:57], -v[66:67]
	v_add_f64 v[58:59], v[58:59], -v[212:213]
	;; [unrolled: 9-line block ×15, first 2 shown]
	s_waitcnt lgkmcnt(0)
	v_mul_f64 v[66:67], v[226:227], v[232:233]
	v_mul_f64 v[212:213], v[224:225], v[232:233]
	s_delay_alu instid0(VALU_DEP_2) | instskip(NEXT) | instid1(VALU_DEP_2)
	v_fma_f64 v[66:67], v[224:225], v[64:65], -v[66:67]
	v_fma_f64 v[212:213], v[226:227], v[64:65], v[212:213]
	s_delay_alu instid0(VALU_DEP_2) | instskip(NEXT) | instid1(VALU_DEP_2)
	v_add_f64 v[0:1], v[0:1], -v[66:67]
	v_add_f64 v[2:3], v[2:3], -v[212:213]
	v_dual_mov_b32 v66, v232 :: v_dual_mov_b32 v67, v233
.LBB110_840:
	s_or_b32 exec_lo, exec_lo, s2
	v_lshl_add_u32 v212, v240, 4, v234
	s_barrier
	buffer_gl0_inv
	v_mov_b32_e32 v232, 40
	ds_store_2addr_b64 v212, v[60:61], v[62:63] offset1:1
	s_waitcnt lgkmcnt(0)
	s_barrier
	buffer_gl0_inv
	ds_load_2addr_b64 v[224:227], v234 offset0:80 offset1:81
	s_cmp_lt_i32 s5, 42
	s_cbranch_scc1 .LBB110_843
; %bb.841:
	v_add3_u32 v233, v238, 0, 0x290
	v_mov_b32_e32 v232, 40
	s_mov_b32 s6, 41
	s_set_inst_prefetch_distance 0x1
	.p2align	6
.LBB110_842:                            ; =>This Inner Loop Header: Depth=1
	ds_load_2addr_b64 v[241:244], v233 offset1:1
	s_waitcnt lgkmcnt(1)
	v_cmp_gt_f64_e32 vcc_lo, 0, v[224:225]
	v_xor_b32_e32 v212, 0x80000000, v225
	v_cmp_gt_f64_e64 s2, 0, v[226:227]
	v_xor_b32_e32 v214, 0x80000000, v227
	v_add_nc_u32_e32 v233, 16, v233
	s_waitcnt lgkmcnt(0)
	v_cmp_gt_f64_e64 s3, 0, v[241:242]
	v_mov_b32_e32 v216, v241
	v_dual_mov_b32 v218, v243 :: v_dual_cndmask_b32 v213, v225, v212
	v_xor_b32_e32 v212, 0x80000000, v242
	v_cndmask_b32_e64 v215, v227, v214, s2
	v_xor_b32_e32 v214, 0x80000000, v244
	s_delay_alu instid0(VALU_DEP_3) | instskip(SKIP_2) | instid1(VALU_DEP_2)
	v_cndmask_b32_e64 v217, v242, v212, s3
	v_cmp_gt_f64_e64 s3, 0, v[243:244]
	v_cndmask_b32_e32 v212, v224, v224, vcc_lo
	v_cndmask_b32_e64 v219, v244, v214, s3
	v_cndmask_b32_e64 v214, v226, v226, s2
	s_delay_alu instid0(VALU_DEP_2) | instskip(NEXT) | instid1(VALU_DEP_2)
	v_add_f64 v[216:217], v[216:217], v[218:219]
	v_add_f64 v[212:213], v[212:213], v[214:215]
	s_delay_alu instid0(VALU_DEP_1) | instskip(SKIP_4) | instid1(SALU_CYCLE_1)
	v_cmp_lt_f64_e32 vcc_lo, v[212:213], v[216:217]
	v_dual_cndmask_b32 v225, v225, v242 :: v_dual_cndmask_b32 v224, v224, v241
	v_dual_cndmask_b32 v227, v227, v244 :: v_dual_cndmask_b32 v226, v226, v243
	v_cndmask_b32_e64 v232, v232, s6, vcc_lo
	s_add_i32 s6, s6, 1
	s_cmp_lg_u32 s5, s6
	s_cbranch_scc1 .LBB110_842
.LBB110_843:
	s_set_inst_prefetch_distance 0x2
	s_waitcnt lgkmcnt(0)
	v_cmp_eq_f64_e32 vcc_lo, 0, v[224:225]
	v_cmp_eq_f64_e64 s2, 0, v[226:227]
	s_delay_alu instid0(VALU_DEP_1) | instskip(NEXT) | instid1(SALU_CYCLE_1)
	s_and_b32 s2, vcc_lo, s2
	s_and_saveexec_b32 s3, s2
	s_delay_alu instid0(SALU_CYCLE_1)
	s_xor_b32 s2, exec_lo, s3
; %bb.844:
	v_cmp_ne_u32_e32 vcc_lo, 0, v237
	v_cndmask_b32_e32 v237, 41, v237, vcc_lo
; %bb.845:
	s_and_not1_saveexec_b32 s3, s2
	s_cbranch_execz .LBB110_851
; %bb.846:
	v_cmp_gt_f64_e32 vcc_lo, 0, v[224:225]
	v_cmp_gt_f64_e64 s2, 0, v[226:227]
	v_xor_b32_e32 v212, 0x80000000, v225
	v_xor_b32_e32 v214, 0x80000000, v227
	s_delay_alu instid0(VALU_DEP_2) | instskip(NEXT) | instid1(VALU_DEP_2)
	v_cndmask_b32_e32 v213, v225, v212, vcc_lo
	v_cndmask_b32_e64 v215, v227, v214, s2
	v_cndmask_b32_e32 v212, v224, v224, vcc_lo
	v_cndmask_b32_e64 v214, v226, v226, s2
	s_mov_b32 s2, exec_lo
	s_delay_alu instid0(VALU_DEP_1)
	v_cmpx_ngt_f64_e32 v[212:213], v[214:215]
	s_xor_b32 s2, exec_lo, s2
	s_cbranch_execz .LBB110_848
; %bb.847:
	v_div_scale_f64 v[212:213], null, v[226:227], v[226:227], v[224:225]
	v_div_scale_f64 v[218:219], vcc_lo, v[224:225], v[226:227], v[224:225]
	s_delay_alu instid0(VALU_DEP_2) | instskip(SKIP_2) | instid1(VALU_DEP_1)
	v_rcp_f64_e32 v[214:215], v[212:213]
	s_waitcnt_depctr 0xfff
	v_fma_f64 v[216:217], -v[212:213], v[214:215], 1.0
	v_fma_f64 v[214:215], v[214:215], v[216:217], v[214:215]
	s_delay_alu instid0(VALU_DEP_1) | instskip(NEXT) | instid1(VALU_DEP_1)
	v_fma_f64 v[216:217], -v[212:213], v[214:215], 1.0
	v_fma_f64 v[214:215], v[214:215], v[216:217], v[214:215]
	s_delay_alu instid0(VALU_DEP_1) | instskip(NEXT) | instid1(VALU_DEP_1)
	v_mul_f64 v[216:217], v[218:219], v[214:215]
	v_fma_f64 v[212:213], -v[212:213], v[216:217], v[218:219]
	s_delay_alu instid0(VALU_DEP_1) | instskip(NEXT) | instid1(VALU_DEP_1)
	v_div_fmas_f64 v[212:213], v[212:213], v[214:215], v[216:217]
	v_div_fixup_f64 v[212:213], v[212:213], v[226:227], v[224:225]
	s_delay_alu instid0(VALU_DEP_1) | instskip(NEXT) | instid1(VALU_DEP_1)
	v_fma_f64 v[214:215], v[224:225], v[212:213], v[226:227]
	v_div_scale_f64 v[216:217], null, v[214:215], v[214:215], 1.0
	s_delay_alu instid0(VALU_DEP_1) | instskip(SKIP_2) | instid1(VALU_DEP_1)
	v_rcp_f64_e32 v[218:219], v[216:217]
	s_waitcnt_depctr 0xfff
	v_fma_f64 v[220:221], -v[216:217], v[218:219], 1.0
	v_fma_f64 v[218:219], v[218:219], v[220:221], v[218:219]
	s_delay_alu instid0(VALU_DEP_1) | instskip(NEXT) | instid1(VALU_DEP_1)
	v_fma_f64 v[220:221], -v[216:217], v[218:219], 1.0
	v_fma_f64 v[218:219], v[218:219], v[220:221], v[218:219]
	v_div_scale_f64 v[220:221], vcc_lo, 1.0, v[214:215], 1.0
	s_delay_alu instid0(VALU_DEP_1) | instskip(NEXT) | instid1(VALU_DEP_1)
	v_mul_f64 v[222:223], v[220:221], v[218:219]
	v_fma_f64 v[216:217], -v[216:217], v[222:223], v[220:221]
	s_delay_alu instid0(VALU_DEP_1) | instskip(NEXT) | instid1(VALU_DEP_1)
	v_div_fmas_f64 v[216:217], v[216:217], v[218:219], v[222:223]
	v_div_fixup_f64 v[226:227], v[216:217], v[214:215], 1.0
	s_delay_alu instid0(VALU_DEP_1)
	v_mul_f64 v[224:225], v[212:213], v[226:227]
	v_xor_b32_e32 v227, 0x80000000, v227
.LBB110_848:
	s_and_not1_saveexec_b32 s2, s2
	s_cbranch_execz .LBB110_850
; %bb.849:
	s_delay_alu instid0(VALU_DEP_1) | instskip(SKIP_1) | instid1(VALU_DEP_2)
	v_div_scale_f64 v[212:213], null, v[224:225], v[224:225], v[226:227]
	v_div_scale_f64 v[218:219], vcc_lo, v[226:227], v[224:225], v[226:227]
	v_rcp_f64_e32 v[214:215], v[212:213]
	s_waitcnt_depctr 0xfff
	v_fma_f64 v[216:217], -v[212:213], v[214:215], 1.0
	s_delay_alu instid0(VALU_DEP_1) | instskip(NEXT) | instid1(VALU_DEP_1)
	v_fma_f64 v[214:215], v[214:215], v[216:217], v[214:215]
	v_fma_f64 v[216:217], -v[212:213], v[214:215], 1.0
	s_delay_alu instid0(VALU_DEP_1) | instskip(NEXT) | instid1(VALU_DEP_1)
	v_fma_f64 v[214:215], v[214:215], v[216:217], v[214:215]
	v_mul_f64 v[216:217], v[218:219], v[214:215]
	s_delay_alu instid0(VALU_DEP_1) | instskip(NEXT) | instid1(VALU_DEP_1)
	v_fma_f64 v[212:213], -v[212:213], v[216:217], v[218:219]
	v_div_fmas_f64 v[212:213], v[212:213], v[214:215], v[216:217]
	s_delay_alu instid0(VALU_DEP_1) | instskip(NEXT) | instid1(VALU_DEP_1)
	v_div_fixup_f64 v[212:213], v[212:213], v[224:225], v[226:227]
	v_fma_f64 v[214:215], v[226:227], v[212:213], v[224:225]
	s_delay_alu instid0(VALU_DEP_1) | instskip(NEXT) | instid1(VALU_DEP_1)
	v_div_scale_f64 v[216:217], null, v[214:215], v[214:215], 1.0
	v_rcp_f64_e32 v[218:219], v[216:217]
	s_waitcnt_depctr 0xfff
	v_fma_f64 v[220:221], -v[216:217], v[218:219], 1.0
	s_delay_alu instid0(VALU_DEP_1) | instskip(NEXT) | instid1(VALU_DEP_1)
	v_fma_f64 v[218:219], v[218:219], v[220:221], v[218:219]
	v_fma_f64 v[220:221], -v[216:217], v[218:219], 1.0
	s_delay_alu instid0(VALU_DEP_1) | instskip(SKIP_1) | instid1(VALU_DEP_1)
	v_fma_f64 v[218:219], v[218:219], v[220:221], v[218:219]
	v_div_scale_f64 v[220:221], vcc_lo, 1.0, v[214:215], 1.0
	v_mul_f64 v[222:223], v[220:221], v[218:219]
	s_delay_alu instid0(VALU_DEP_1) | instskip(NEXT) | instid1(VALU_DEP_1)
	v_fma_f64 v[216:217], -v[216:217], v[222:223], v[220:221]
	v_div_fmas_f64 v[216:217], v[216:217], v[218:219], v[222:223]
	s_delay_alu instid0(VALU_DEP_1) | instskip(NEXT) | instid1(VALU_DEP_1)
	v_div_fixup_f64 v[224:225], v[216:217], v[214:215], 1.0
	v_mul_f64 v[226:227], v[212:213], -v[224:225]
.LBB110_850:
	s_or_b32 exec_lo, exec_lo, s2
.LBB110_851:
	s_delay_alu instid0(SALU_CYCLE_1) | instskip(NEXT) | instid1(SALU_CYCLE_1)
	s_or_b32 exec_lo, exec_lo, s3
	s_mov_b32 s2, exec_lo
	v_cmpx_ne_u32_e64 v240, v232
	s_xor_b32 s2, exec_lo, s2
	s_cbranch_execz .LBB110_857
; %bb.852:
	s_mov_b32 s3, exec_lo
	v_cmpx_eq_u32_e32 40, v240
	s_cbranch_execz .LBB110_856
; %bb.853:
	v_cmp_ne_u32_e32 vcc_lo, 40, v232
	s_xor_b32 s6, s4, -1
	s_delay_alu instid0(SALU_CYCLE_1) | instskip(NEXT) | instid1(SALU_CYCLE_1)
	s_and_b32 s7, s6, vcc_lo
	s_and_saveexec_b32 s6, s7
	s_cbranch_execz .LBB110_855
; %bb.854:
	scratch_load_b64 v[10:11], off, off     ; 8-byte Folded Reload
	v_ashrrev_i32_e32 v233, 31, v232
	s_delay_alu instid0(VALU_DEP_1) | instskip(SKIP_1) | instid1(VALU_DEP_1)
	v_lshlrev_b64 v[212:213], 2, v[232:233]
	s_waitcnt vmcnt(0)
	v_add_co_u32 v212, vcc_lo, v10, v212
	s_delay_alu instid0(VALU_DEP_2)
	v_add_co_ci_u32_e32 v213, vcc_lo, v11, v213, vcc_lo
	s_clause 0x1
	flat_load_b32 v214, v[212:213]
	flat_load_b32 v215, v[10:11] offset:160
	s_waitcnt vmcnt(1) lgkmcnt(1)
	flat_store_b32 v[10:11], v214 offset:160
	s_waitcnt vmcnt(0) lgkmcnt(1)
	flat_store_b32 v[212:213], v215
.LBB110_855:
	s_or_b32 exec_lo, exec_lo, s6
	v_mov_b32_e32 v240, v232
	v_mov_b32_e32 v239, v232
.LBB110_856:
	s_or_b32 exec_lo, exec_lo, s3
.LBB110_857:
	s_and_not1_saveexec_b32 s2, s2
	s_cbranch_execz .LBB110_859
; %bb.858:
	v_mov_b32_e32 v240, 40
	ds_store_2addr_b64 v234, v[56:57], v[58:59] offset0:82 offset1:83
	ds_store_2addr_b64 v234, v[52:53], v[54:55] offset0:84 offset1:85
	;; [unrolled: 1-line block ×15, first 2 shown]
.LBB110_859:
	s_or_b32 exec_lo, exec_lo, s2
	s_delay_alu instid0(SALU_CYCLE_1)
	s_mov_b32 s2, exec_lo
	s_waitcnt lgkmcnt(0)
	s_waitcnt_vscnt null, 0x0
	s_barrier
	buffer_gl0_inv
	v_cmpx_lt_i32_e32 40, v240
	s_cbranch_execz .LBB110_861
; %bb.860:
	v_mul_f64 v[212:213], v[224:225], v[62:63]
	v_mul_f64 v[62:63], v[226:227], v[62:63]
	s_delay_alu instid0(VALU_DEP_2) | instskip(NEXT) | instid1(VALU_DEP_2)
	v_fma_f64 v[232:233], v[226:227], v[60:61], v[212:213]
	v_fma_f64 v[60:61], v[224:225], v[60:61], -v[62:63]
	ds_load_2addr_b64 v[224:227], v234 offset0:82 offset1:83
	s_waitcnt lgkmcnt(0)
	v_mul_f64 v[62:63], v[226:227], v[232:233]
	v_mul_f64 v[212:213], v[224:225], v[232:233]
	s_delay_alu instid0(VALU_DEP_2) | instskip(NEXT) | instid1(VALU_DEP_2)
	v_fma_f64 v[62:63], v[224:225], v[60:61], -v[62:63]
	v_fma_f64 v[212:213], v[226:227], v[60:61], v[212:213]
	ds_load_2addr_b64 v[224:227], v234 offset0:84 offset1:85
	v_add_f64 v[56:57], v[56:57], -v[62:63]
	v_add_f64 v[58:59], v[58:59], -v[212:213]
	s_waitcnt lgkmcnt(0)
	v_mul_f64 v[62:63], v[226:227], v[232:233]
	v_mul_f64 v[212:213], v[224:225], v[232:233]
	s_delay_alu instid0(VALU_DEP_2) | instskip(NEXT) | instid1(VALU_DEP_2)
	v_fma_f64 v[62:63], v[224:225], v[60:61], -v[62:63]
	v_fma_f64 v[212:213], v[226:227], v[60:61], v[212:213]
	ds_load_2addr_b64 v[224:227], v234 offset0:86 offset1:87
	v_add_f64 v[52:53], v[52:53], -v[62:63]
	v_add_f64 v[54:55], v[54:55], -v[212:213]
	;; [unrolled: 9-line block ×14, first 2 shown]
	s_waitcnt lgkmcnt(0)
	v_mul_f64 v[62:63], v[226:227], v[232:233]
	v_mul_f64 v[212:213], v[224:225], v[232:233]
	s_delay_alu instid0(VALU_DEP_2) | instskip(NEXT) | instid1(VALU_DEP_2)
	v_fma_f64 v[62:63], v[224:225], v[60:61], -v[62:63]
	v_fma_f64 v[212:213], v[226:227], v[60:61], v[212:213]
	s_delay_alu instid0(VALU_DEP_2) | instskip(NEXT) | instid1(VALU_DEP_2)
	v_add_f64 v[0:1], v[0:1], -v[62:63]
	v_add_f64 v[2:3], v[2:3], -v[212:213]
	v_dual_mov_b32 v62, v232 :: v_dual_mov_b32 v63, v233
.LBB110_861:
	s_or_b32 exec_lo, exec_lo, s2
	v_lshl_add_u32 v212, v240, 4, v234
	s_barrier
	buffer_gl0_inv
	v_mov_b32_e32 v232, 41
	ds_store_2addr_b64 v212, v[56:57], v[58:59] offset1:1
	s_waitcnt lgkmcnt(0)
	s_barrier
	buffer_gl0_inv
	ds_load_2addr_b64 v[224:227], v234 offset0:82 offset1:83
	s_cmp_lt_i32 s5, 43
	s_cbranch_scc1 .LBB110_864
; %bb.862:
	v_add3_u32 v233, v238, 0, 0x2a0
	v_mov_b32_e32 v232, 41
	s_mov_b32 s6, 42
	s_set_inst_prefetch_distance 0x1
	.p2align	6
.LBB110_863:                            ; =>This Inner Loop Header: Depth=1
	ds_load_2addr_b64 v[241:244], v233 offset1:1
	s_waitcnt lgkmcnt(1)
	v_cmp_gt_f64_e32 vcc_lo, 0, v[224:225]
	v_xor_b32_e32 v212, 0x80000000, v225
	v_cmp_gt_f64_e64 s2, 0, v[226:227]
	v_xor_b32_e32 v214, 0x80000000, v227
	v_add_nc_u32_e32 v233, 16, v233
	s_waitcnt lgkmcnt(0)
	v_cmp_gt_f64_e64 s3, 0, v[241:242]
	v_mov_b32_e32 v216, v241
	v_dual_mov_b32 v218, v243 :: v_dual_cndmask_b32 v213, v225, v212
	v_xor_b32_e32 v212, 0x80000000, v242
	v_cndmask_b32_e64 v215, v227, v214, s2
	v_xor_b32_e32 v214, 0x80000000, v244
	s_delay_alu instid0(VALU_DEP_3) | instskip(SKIP_2) | instid1(VALU_DEP_2)
	v_cndmask_b32_e64 v217, v242, v212, s3
	v_cmp_gt_f64_e64 s3, 0, v[243:244]
	v_cndmask_b32_e32 v212, v224, v224, vcc_lo
	v_cndmask_b32_e64 v219, v244, v214, s3
	v_cndmask_b32_e64 v214, v226, v226, s2
	s_delay_alu instid0(VALU_DEP_2) | instskip(NEXT) | instid1(VALU_DEP_2)
	v_add_f64 v[216:217], v[216:217], v[218:219]
	v_add_f64 v[212:213], v[212:213], v[214:215]
	s_delay_alu instid0(VALU_DEP_1) | instskip(SKIP_4) | instid1(SALU_CYCLE_1)
	v_cmp_lt_f64_e32 vcc_lo, v[212:213], v[216:217]
	v_dual_cndmask_b32 v225, v225, v242 :: v_dual_cndmask_b32 v224, v224, v241
	v_dual_cndmask_b32 v227, v227, v244 :: v_dual_cndmask_b32 v226, v226, v243
	v_cndmask_b32_e64 v232, v232, s6, vcc_lo
	s_add_i32 s6, s6, 1
	s_cmp_lg_u32 s5, s6
	s_cbranch_scc1 .LBB110_863
.LBB110_864:
	s_set_inst_prefetch_distance 0x2
	s_waitcnt lgkmcnt(0)
	v_cmp_eq_f64_e32 vcc_lo, 0, v[224:225]
	v_cmp_eq_f64_e64 s2, 0, v[226:227]
	s_delay_alu instid0(VALU_DEP_1) | instskip(NEXT) | instid1(SALU_CYCLE_1)
	s_and_b32 s2, vcc_lo, s2
	s_and_saveexec_b32 s3, s2
	s_delay_alu instid0(SALU_CYCLE_1)
	s_xor_b32 s2, exec_lo, s3
; %bb.865:
	v_cmp_ne_u32_e32 vcc_lo, 0, v237
	v_cndmask_b32_e32 v237, 42, v237, vcc_lo
; %bb.866:
	s_and_not1_saveexec_b32 s3, s2
	s_cbranch_execz .LBB110_872
; %bb.867:
	v_cmp_gt_f64_e32 vcc_lo, 0, v[224:225]
	v_cmp_gt_f64_e64 s2, 0, v[226:227]
	v_xor_b32_e32 v212, 0x80000000, v225
	v_xor_b32_e32 v214, 0x80000000, v227
	s_delay_alu instid0(VALU_DEP_2) | instskip(NEXT) | instid1(VALU_DEP_2)
	v_cndmask_b32_e32 v213, v225, v212, vcc_lo
	v_cndmask_b32_e64 v215, v227, v214, s2
	v_cndmask_b32_e32 v212, v224, v224, vcc_lo
	v_cndmask_b32_e64 v214, v226, v226, s2
	s_mov_b32 s2, exec_lo
	s_delay_alu instid0(VALU_DEP_1)
	v_cmpx_ngt_f64_e32 v[212:213], v[214:215]
	s_xor_b32 s2, exec_lo, s2
	s_cbranch_execz .LBB110_869
; %bb.868:
	v_div_scale_f64 v[212:213], null, v[226:227], v[226:227], v[224:225]
	v_div_scale_f64 v[218:219], vcc_lo, v[224:225], v[226:227], v[224:225]
	s_delay_alu instid0(VALU_DEP_2) | instskip(SKIP_2) | instid1(VALU_DEP_1)
	v_rcp_f64_e32 v[214:215], v[212:213]
	s_waitcnt_depctr 0xfff
	v_fma_f64 v[216:217], -v[212:213], v[214:215], 1.0
	v_fma_f64 v[214:215], v[214:215], v[216:217], v[214:215]
	s_delay_alu instid0(VALU_DEP_1) | instskip(NEXT) | instid1(VALU_DEP_1)
	v_fma_f64 v[216:217], -v[212:213], v[214:215], 1.0
	v_fma_f64 v[214:215], v[214:215], v[216:217], v[214:215]
	s_delay_alu instid0(VALU_DEP_1) | instskip(NEXT) | instid1(VALU_DEP_1)
	v_mul_f64 v[216:217], v[218:219], v[214:215]
	v_fma_f64 v[212:213], -v[212:213], v[216:217], v[218:219]
	s_delay_alu instid0(VALU_DEP_1) | instskip(NEXT) | instid1(VALU_DEP_1)
	v_div_fmas_f64 v[212:213], v[212:213], v[214:215], v[216:217]
	v_div_fixup_f64 v[212:213], v[212:213], v[226:227], v[224:225]
	s_delay_alu instid0(VALU_DEP_1) | instskip(NEXT) | instid1(VALU_DEP_1)
	v_fma_f64 v[214:215], v[224:225], v[212:213], v[226:227]
	v_div_scale_f64 v[216:217], null, v[214:215], v[214:215], 1.0
	s_delay_alu instid0(VALU_DEP_1) | instskip(SKIP_2) | instid1(VALU_DEP_1)
	v_rcp_f64_e32 v[218:219], v[216:217]
	s_waitcnt_depctr 0xfff
	v_fma_f64 v[220:221], -v[216:217], v[218:219], 1.0
	v_fma_f64 v[218:219], v[218:219], v[220:221], v[218:219]
	s_delay_alu instid0(VALU_DEP_1) | instskip(NEXT) | instid1(VALU_DEP_1)
	v_fma_f64 v[220:221], -v[216:217], v[218:219], 1.0
	v_fma_f64 v[218:219], v[218:219], v[220:221], v[218:219]
	v_div_scale_f64 v[220:221], vcc_lo, 1.0, v[214:215], 1.0
	s_delay_alu instid0(VALU_DEP_1) | instskip(NEXT) | instid1(VALU_DEP_1)
	v_mul_f64 v[222:223], v[220:221], v[218:219]
	v_fma_f64 v[216:217], -v[216:217], v[222:223], v[220:221]
	s_delay_alu instid0(VALU_DEP_1) | instskip(NEXT) | instid1(VALU_DEP_1)
	v_div_fmas_f64 v[216:217], v[216:217], v[218:219], v[222:223]
	v_div_fixup_f64 v[226:227], v[216:217], v[214:215], 1.0
	s_delay_alu instid0(VALU_DEP_1)
	v_mul_f64 v[224:225], v[212:213], v[226:227]
	v_xor_b32_e32 v227, 0x80000000, v227
.LBB110_869:
	s_and_not1_saveexec_b32 s2, s2
	s_cbranch_execz .LBB110_871
; %bb.870:
	s_delay_alu instid0(VALU_DEP_1) | instskip(SKIP_1) | instid1(VALU_DEP_2)
	v_div_scale_f64 v[212:213], null, v[224:225], v[224:225], v[226:227]
	v_div_scale_f64 v[218:219], vcc_lo, v[226:227], v[224:225], v[226:227]
	v_rcp_f64_e32 v[214:215], v[212:213]
	s_waitcnt_depctr 0xfff
	v_fma_f64 v[216:217], -v[212:213], v[214:215], 1.0
	s_delay_alu instid0(VALU_DEP_1) | instskip(NEXT) | instid1(VALU_DEP_1)
	v_fma_f64 v[214:215], v[214:215], v[216:217], v[214:215]
	v_fma_f64 v[216:217], -v[212:213], v[214:215], 1.0
	s_delay_alu instid0(VALU_DEP_1) | instskip(NEXT) | instid1(VALU_DEP_1)
	v_fma_f64 v[214:215], v[214:215], v[216:217], v[214:215]
	v_mul_f64 v[216:217], v[218:219], v[214:215]
	s_delay_alu instid0(VALU_DEP_1) | instskip(NEXT) | instid1(VALU_DEP_1)
	v_fma_f64 v[212:213], -v[212:213], v[216:217], v[218:219]
	v_div_fmas_f64 v[212:213], v[212:213], v[214:215], v[216:217]
	s_delay_alu instid0(VALU_DEP_1) | instskip(NEXT) | instid1(VALU_DEP_1)
	v_div_fixup_f64 v[212:213], v[212:213], v[224:225], v[226:227]
	v_fma_f64 v[214:215], v[226:227], v[212:213], v[224:225]
	s_delay_alu instid0(VALU_DEP_1) | instskip(NEXT) | instid1(VALU_DEP_1)
	v_div_scale_f64 v[216:217], null, v[214:215], v[214:215], 1.0
	v_rcp_f64_e32 v[218:219], v[216:217]
	s_waitcnt_depctr 0xfff
	v_fma_f64 v[220:221], -v[216:217], v[218:219], 1.0
	s_delay_alu instid0(VALU_DEP_1) | instskip(NEXT) | instid1(VALU_DEP_1)
	v_fma_f64 v[218:219], v[218:219], v[220:221], v[218:219]
	v_fma_f64 v[220:221], -v[216:217], v[218:219], 1.0
	s_delay_alu instid0(VALU_DEP_1) | instskip(SKIP_1) | instid1(VALU_DEP_1)
	v_fma_f64 v[218:219], v[218:219], v[220:221], v[218:219]
	v_div_scale_f64 v[220:221], vcc_lo, 1.0, v[214:215], 1.0
	v_mul_f64 v[222:223], v[220:221], v[218:219]
	s_delay_alu instid0(VALU_DEP_1) | instskip(NEXT) | instid1(VALU_DEP_1)
	v_fma_f64 v[216:217], -v[216:217], v[222:223], v[220:221]
	v_div_fmas_f64 v[216:217], v[216:217], v[218:219], v[222:223]
	s_delay_alu instid0(VALU_DEP_1) | instskip(NEXT) | instid1(VALU_DEP_1)
	v_div_fixup_f64 v[224:225], v[216:217], v[214:215], 1.0
	v_mul_f64 v[226:227], v[212:213], -v[224:225]
.LBB110_871:
	s_or_b32 exec_lo, exec_lo, s2
.LBB110_872:
	s_delay_alu instid0(SALU_CYCLE_1) | instskip(NEXT) | instid1(SALU_CYCLE_1)
	s_or_b32 exec_lo, exec_lo, s3
	s_mov_b32 s2, exec_lo
	v_cmpx_ne_u32_e64 v240, v232
	s_xor_b32 s2, exec_lo, s2
	s_cbranch_execz .LBB110_878
; %bb.873:
	s_mov_b32 s3, exec_lo
	v_cmpx_eq_u32_e32 41, v240
	s_cbranch_execz .LBB110_877
; %bb.874:
	v_cmp_ne_u32_e32 vcc_lo, 41, v232
	s_xor_b32 s6, s4, -1
	s_delay_alu instid0(SALU_CYCLE_1) | instskip(NEXT) | instid1(SALU_CYCLE_1)
	s_and_b32 s7, s6, vcc_lo
	s_and_saveexec_b32 s6, s7
	s_cbranch_execz .LBB110_876
; %bb.875:
	scratch_load_b64 v[10:11], off, off     ; 8-byte Folded Reload
	v_ashrrev_i32_e32 v233, 31, v232
	s_delay_alu instid0(VALU_DEP_1) | instskip(SKIP_1) | instid1(VALU_DEP_1)
	v_lshlrev_b64 v[212:213], 2, v[232:233]
	s_waitcnt vmcnt(0)
	v_add_co_u32 v212, vcc_lo, v10, v212
	s_delay_alu instid0(VALU_DEP_2)
	v_add_co_ci_u32_e32 v213, vcc_lo, v11, v213, vcc_lo
	s_clause 0x1
	flat_load_b32 v214, v[212:213]
	flat_load_b32 v215, v[10:11] offset:164
	s_waitcnt vmcnt(1) lgkmcnt(1)
	flat_store_b32 v[10:11], v214 offset:164
	s_waitcnt vmcnt(0) lgkmcnt(1)
	flat_store_b32 v[212:213], v215
.LBB110_876:
	s_or_b32 exec_lo, exec_lo, s6
	v_mov_b32_e32 v240, v232
	v_mov_b32_e32 v239, v232
.LBB110_877:
	s_or_b32 exec_lo, exec_lo, s3
.LBB110_878:
	s_and_not1_saveexec_b32 s2, s2
	s_cbranch_execz .LBB110_880
; %bb.879:
	v_mov_b32_e32 v240, 41
	ds_store_2addr_b64 v234, v[52:53], v[54:55] offset0:84 offset1:85
	ds_store_2addr_b64 v234, v[48:49], v[50:51] offset0:86 offset1:87
	;; [unrolled: 1-line block ×14, first 2 shown]
.LBB110_880:
	s_or_b32 exec_lo, exec_lo, s2
	s_delay_alu instid0(SALU_CYCLE_1)
	s_mov_b32 s2, exec_lo
	s_waitcnt lgkmcnt(0)
	s_waitcnt_vscnt null, 0x0
	s_barrier
	buffer_gl0_inv
	v_cmpx_lt_i32_e32 41, v240
	s_cbranch_execz .LBB110_882
; %bb.881:
	v_mul_f64 v[212:213], v[224:225], v[58:59]
	v_mul_f64 v[58:59], v[226:227], v[58:59]
	s_delay_alu instid0(VALU_DEP_2) | instskip(NEXT) | instid1(VALU_DEP_2)
	v_fma_f64 v[232:233], v[226:227], v[56:57], v[212:213]
	v_fma_f64 v[56:57], v[224:225], v[56:57], -v[58:59]
	ds_load_2addr_b64 v[224:227], v234 offset0:84 offset1:85
	s_waitcnt lgkmcnt(0)
	v_mul_f64 v[58:59], v[226:227], v[232:233]
	v_mul_f64 v[212:213], v[224:225], v[232:233]
	s_delay_alu instid0(VALU_DEP_2) | instskip(NEXT) | instid1(VALU_DEP_2)
	v_fma_f64 v[58:59], v[224:225], v[56:57], -v[58:59]
	v_fma_f64 v[212:213], v[226:227], v[56:57], v[212:213]
	ds_load_2addr_b64 v[224:227], v234 offset0:86 offset1:87
	v_add_f64 v[52:53], v[52:53], -v[58:59]
	v_add_f64 v[54:55], v[54:55], -v[212:213]
	s_waitcnt lgkmcnt(0)
	v_mul_f64 v[58:59], v[226:227], v[232:233]
	v_mul_f64 v[212:213], v[224:225], v[232:233]
	s_delay_alu instid0(VALU_DEP_2) | instskip(NEXT) | instid1(VALU_DEP_2)
	v_fma_f64 v[58:59], v[224:225], v[56:57], -v[58:59]
	v_fma_f64 v[212:213], v[226:227], v[56:57], v[212:213]
	ds_load_2addr_b64 v[224:227], v234 offset0:88 offset1:89
	v_add_f64 v[48:49], v[48:49], -v[58:59]
	v_add_f64 v[50:51], v[50:51], -v[212:213]
	;; [unrolled: 9-line block ×13, first 2 shown]
	s_waitcnt lgkmcnt(0)
	v_mul_f64 v[58:59], v[226:227], v[232:233]
	v_mul_f64 v[212:213], v[224:225], v[232:233]
	s_delay_alu instid0(VALU_DEP_2) | instskip(NEXT) | instid1(VALU_DEP_2)
	v_fma_f64 v[58:59], v[224:225], v[56:57], -v[58:59]
	v_fma_f64 v[212:213], v[226:227], v[56:57], v[212:213]
	s_delay_alu instid0(VALU_DEP_2) | instskip(NEXT) | instid1(VALU_DEP_2)
	v_add_f64 v[0:1], v[0:1], -v[58:59]
	v_add_f64 v[2:3], v[2:3], -v[212:213]
	v_dual_mov_b32 v58, v232 :: v_dual_mov_b32 v59, v233
.LBB110_882:
	s_or_b32 exec_lo, exec_lo, s2
	v_lshl_add_u32 v212, v240, 4, v234
	s_barrier
	buffer_gl0_inv
	v_mov_b32_e32 v232, 42
	ds_store_2addr_b64 v212, v[52:53], v[54:55] offset1:1
	s_waitcnt lgkmcnt(0)
	s_barrier
	buffer_gl0_inv
	ds_load_2addr_b64 v[224:227], v234 offset0:84 offset1:85
	s_cmp_lt_i32 s5, 44
	s_cbranch_scc1 .LBB110_885
; %bb.883:
	v_add3_u32 v233, v238, 0, 0x2b0
	v_mov_b32_e32 v232, 42
	s_mov_b32 s6, 43
	s_set_inst_prefetch_distance 0x1
	.p2align	6
.LBB110_884:                            ; =>This Inner Loop Header: Depth=1
	ds_load_2addr_b64 v[241:244], v233 offset1:1
	s_waitcnt lgkmcnt(1)
	v_cmp_gt_f64_e32 vcc_lo, 0, v[224:225]
	v_xor_b32_e32 v212, 0x80000000, v225
	v_cmp_gt_f64_e64 s2, 0, v[226:227]
	v_xor_b32_e32 v214, 0x80000000, v227
	v_add_nc_u32_e32 v233, 16, v233
	s_waitcnt lgkmcnt(0)
	v_cmp_gt_f64_e64 s3, 0, v[241:242]
	v_mov_b32_e32 v216, v241
	v_dual_mov_b32 v218, v243 :: v_dual_cndmask_b32 v213, v225, v212
	v_xor_b32_e32 v212, 0x80000000, v242
	v_cndmask_b32_e64 v215, v227, v214, s2
	v_xor_b32_e32 v214, 0x80000000, v244
	s_delay_alu instid0(VALU_DEP_3) | instskip(SKIP_2) | instid1(VALU_DEP_2)
	v_cndmask_b32_e64 v217, v242, v212, s3
	v_cmp_gt_f64_e64 s3, 0, v[243:244]
	v_cndmask_b32_e32 v212, v224, v224, vcc_lo
	v_cndmask_b32_e64 v219, v244, v214, s3
	v_cndmask_b32_e64 v214, v226, v226, s2
	s_delay_alu instid0(VALU_DEP_2) | instskip(NEXT) | instid1(VALU_DEP_2)
	v_add_f64 v[216:217], v[216:217], v[218:219]
	v_add_f64 v[212:213], v[212:213], v[214:215]
	s_delay_alu instid0(VALU_DEP_1) | instskip(SKIP_4) | instid1(SALU_CYCLE_1)
	v_cmp_lt_f64_e32 vcc_lo, v[212:213], v[216:217]
	v_dual_cndmask_b32 v225, v225, v242 :: v_dual_cndmask_b32 v224, v224, v241
	v_dual_cndmask_b32 v227, v227, v244 :: v_dual_cndmask_b32 v226, v226, v243
	v_cndmask_b32_e64 v232, v232, s6, vcc_lo
	s_add_i32 s6, s6, 1
	s_cmp_lg_u32 s5, s6
	s_cbranch_scc1 .LBB110_884
.LBB110_885:
	s_set_inst_prefetch_distance 0x2
	s_waitcnt lgkmcnt(0)
	v_cmp_eq_f64_e32 vcc_lo, 0, v[224:225]
	v_cmp_eq_f64_e64 s2, 0, v[226:227]
	s_delay_alu instid0(VALU_DEP_1) | instskip(NEXT) | instid1(SALU_CYCLE_1)
	s_and_b32 s2, vcc_lo, s2
	s_and_saveexec_b32 s3, s2
	s_delay_alu instid0(SALU_CYCLE_1)
	s_xor_b32 s2, exec_lo, s3
; %bb.886:
	v_cmp_ne_u32_e32 vcc_lo, 0, v237
	v_cndmask_b32_e32 v237, 43, v237, vcc_lo
; %bb.887:
	s_and_not1_saveexec_b32 s3, s2
	s_cbranch_execz .LBB110_893
; %bb.888:
	v_cmp_gt_f64_e32 vcc_lo, 0, v[224:225]
	v_cmp_gt_f64_e64 s2, 0, v[226:227]
	v_xor_b32_e32 v212, 0x80000000, v225
	v_xor_b32_e32 v214, 0x80000000, v227
	s_delay_alu instid0(VALU_DEP_2) | instskip(NEXT) | instid1(VALU_DEP_2)
	v_cndmask_b32_e32 v213, v225, v212, vcc_lo
	v_cndmask_b32_e64 v215, v227, v214, s2
	v_cndmask_b32_e32 v212, v224, v224, vcc_lo
	v_cndmask_b32_e64 v214, v226, v226, s2
	s_mov_b32 s2, exec_lo
	s_delay_alu instid0(VALU_DEP_1)
	v_cmpx_ngt_f64_e32 v[212:213], v[214:215]
	s_xor_b32 s2, exec_lo, s2
	s_cbranch_execz .LBB110_890
; %bb.889:
	v_div_scale_f64 v[212:213], null, v[226:227], v[226:227], v[224:225]
	v_div_scale_f64 v[218:219], vcc_lo, v[224:225], v[226:227], v[224:225]
	s_delay_alu instid0(VALU_DEP_2) | instskip(SKIP_2) | instid1(VALU_DEP_1)
	v_rcp_f64_e32 v[214:215], v[212:213]
	s_waitcnt_depctr 0xfff
	v_fma_f64 v[216:217], -v[212:213], v[214:215], 1.0
	v_fma_f64 v[214:215], v[214:215], v[216:217], v[214:215]
	s_delay_alu instid0(VALU_DEP_1) | instskip(NEXT) | instid1(VALU_DEP_1)
	v_fma_f64 v[216:217], -v[212:213], v[214:215], 1.0
	v_fma_f64 v[214:215], v[214:215], v[216:217], v[214:215]
	s_delay_alu instid0(VALU_DEP_1) | instskip(NEXT) | instid1(VALU_DEP_1)
	v_mul_f64 v[216:217], v[218:219], v[214:215]
	v_fma_f64 v[212:213], -v[212:213], v[216:217], v[218:219]
	s_delay_alu instid0(VALU_DEP_1) | instskip(NEXT) | instid1(VALU_DEP_1)
	v_div_fmas_f64 v[212:213], v[212:213], v[214:215], v[216:217]
	v_div_fixup_f64 v[212:213], v[212:213], v[226:227], v[224:225]
	s_delay_alu instid0(VALU_DEP_1) | instskip(NEXT) | instid1(VALU_DEP_1)
	v_fma_f64 v[214:215], v[224:225], v[212:213], v[226:227]
	v_div_scale_f64 v[216:217], null, v[214:215], v[214:215], 1.0
	s_delay_alu instid0(VALU_DEP_1) | instskip(SKIP_2) | instid1(VALU_DEP_1)
	v_rcp_f64_e32 v[218:219], v[216:217]
	s_waitcnt_depctr 0xfff
	v_fma_f64 v[220:221], -v[216:217], v[218:219], 1.0
	v_fma_f64 v[218:219], v[218:219], v[220:221], v[218:219]
	s_delay_alu instid0(VALU_DEP_1) | instskip(NEXT) | instid1(VALU_DEP_1)
	v_fma_f64 v[220:221], -v[216:217], v[218:219], 1.0
	v_fma_f64 v[218:219], v[218:219], v[220:221], v[218:219]
	v_div_scale_f64 v[220:221], vcc_lo, 1.0, v[214:215], 1.0
	s_delay_alu instid0(VALU_DEP_1) | instskip(NEXT) | instid1(VALU_DEP_1)
	v_mul_f64 v[222:223], v[220:221], v[218:219]
	v_fma_f64 v[216:217], -v[216:217], v[222:223], v[220:221]
	s_delay_alu instid0(VALU_DEP_1) | instskip(NEXT) | instid1(VALU_DEP_1)
	v_div_fmas_f64 v[216:217], v[216:217], v[218:219], v[222:223]
	v_div_fixup_f64 v[226:227], v[216:217], v[214:215], 1.0
	s_delay_alu instid0(VALU_DEP_1)
	v_mul_f64 v[224:225], v[212:213], v[226:227]
	v_xor_b32_e32 v227, 0x80000000, v227
.LBB110_890:
	s_and_not1_saveexec_b32 s2, s2
	s_cbranch_execz .LBB110_892
; %bb.891:
	s_delay_alu instid0(VALU_DEP_1) | instskip(SKIP_1) | instid1(VALU_DEP_2)
	v_div_scale_f64 v[212:213], null, v[224:225], v[224:225], v[226:227]
	v_div_scale_f64 v[218:219], vcc_lo, v[226:227], v[224:225], v[226:227]
	v_rcp_f64_e32 v[214:215], v[212:213]
	s_waitcnt_depctr 0xfff
	v_fma_f64 v[216:217], -v[212:213], v[214:215], 1.0
	s_delay_alu instid0(VALU_DEP_1) | instskip(NEXT) | instid1(VALU_DEP_1)
	v_fma_f64 v[214:215], v[214:215], v[216:217], v[214:215]
	v_fma_f64 v[216:217], -v[212:213], v[214:215], 1.0
	s_delay_alu instid0(VALU_DEP_1) | instskip(NEXT) | instid1(VALU_DEP_1)
	v_fma_f64 v[214:215], v[214:215], v[216:217], v[214:215]
	v_mul_f64 v[216:217], v[218:219], v[214:215]
	s_delay_alu instid0(VALU_DEP_1) | instskip(NEXT) | instid1(VALU_DEP_1)
	v_fma_f64 v[212:213], -v[212:213], v[216:217], v[218:219]
	v_div_fmas_f64 v[212:213], v[212:213], v[214:215], v[216:217]
	s_delay_alu instid0(VALU_DEP_1) | instskip(NEXT) | instid1(VALU_DEP_1)
	v_div_fixup_f64 v[212:213], v[212:213], v[224:225], v[226:227]
	v_fma_f64 v[214:215], v[226:227], v[212:213], v[224:225]
	s_delay_alu instid0(VALU_DEP_1) | instskip(NEXT) | instid1(VALU_DEP_1)
	v_div_scale_f64 v[216:217], null, v[214:215], v[214:215], 1.0
	v_rcp_f64_e32 v[218:219], v[216:217]
	s_waitcnt_depctr 0xfff
	v_fma_f64 v[220:221], -v[216:217], v[218:219], 1.0
	s_delay_alu instid0(VALU_DEP_1) | instskip(NEXT) | instid1(VALU_DEP_1)
	v_fma_f64 v[218:219], v[218:219], v[220:221], v[218:219]
	v_fma_f64 v[220:221], -v[216:217], v[218:219], 1.0
	s_delay_alu instid0(VALU_DEP_1) | instskip(SKIP_1) | instid1(VALU_DEP_1)
	v_fma_f64 v[218:219], v[218:219], v[220:221], v[218:219]
	v_div_scale_f64 v[220:221], vcc_lo, 1.0, v[214:215], 1.0
	v_mul_f64 v[222:223], v[220:221], v[218:219]
	s_delay_alu instid0(VALU_DEP_1) | instskip(NEXT) | instid1(VALU_DEP_1)
	v_fma_f64 v[216:217], -v[216:217], v[222:223], v[220:221]
	v_div_fmas_f64 v[216:217], v[216:217], v[218:219], v[222:223]
	s_delay_alu instid0(VALU_DEP_1) | instskip(NEXT) | instid1(VALU_DEP_1)
	v_div_fixup_f64 v[224:225], v[216:217], v[214:215], 1.0
	v_mul_f64 v[226:227], v[212:213], -v[224:225]
.LBB110_892:
	s_or_b32 exec_lo, exec_lo, s2
.LBB110_893:
	s_delay_alu instid0(SALU_CYCLE_1) | instskip(NEXT) | instid1(SALU_CYCLE_1)
	s_or_b32 exec_lo, exec_lo, s3
	s_mov_b32 s2, exec_lo
	v_cmpx_ne_u32_e64 v240, v232
	s_xor_b32 s2, exec_lo, s2
	s_cbranch_execz .LBB110_899
; %bb.894:
	s_mov_b32 s3, exec_lo
	v_cmpx_eq_u32_e32 42, v240
	s_cbranch_execz .LBB110_898
; %bb.895:
	v_cmp_ne_u32_e32 vcc_lo, 42, v232
	s_xor_b32 s6, s4, -1
	s_delay_alu instid0(SALU_CYCLE_1) | instskip(NEXT) | instid1(SALU_CYCLE_1)
	s_and_b32 s7, s6, vcc_lo
	s_and_saveexec_b32 s6, s7
	s_cbranch_execz .LBB110_897
; %bb.896:
	scratch_load_b64 v[10:11], off, off     ; 8-byte Folded Reload
	v_ashrrev_i32_e32 v233, 31, v232
	s_delay_alu instid0(VALU_DEP_1) | instskip(SKIP_1) | instid1(VALU_DEP_1)
	v_lshlrev_b64 v[212:213], 2, v[232:233]
	s_waitcnt vmcnt(0)
	v_add_co_u32 v212, vcc_lo, v10, v212
	s_delay_alu instid0(VALU_DEP_2)
	v_add_co_ci_u32_e32 v213, vcc_lo, v11, v213, vcc_lo
	s_clause 0x1
	flat_load_b32 v214, v[212:213]
	flat_load_b32 v215, v[10:11] offset:168
	s_waitcnt vmcnt(1) lgkmcnt(1)
	flat_store_b32 v[10:11], v214 offset:168
	s_waitcnt vmcnt(0) lgkmcnt(1)
	flat_store_b32 v[212:213], v215
.LBB110_897:
	s_or_b32 exec_lo, exec_lo, s6
	v_mov_b32_e32 v240, v232
	v_mov_b32_e32 v239, v232
.LBB110_898:
	s_or_b32 exec_lo, exec_lo, s3
.LBB110_899:
	s_and_not1_saveexec_b32 s2, s2
	s_cbranch_execz .LBB110_901
; %bb.900:
	v_mov_b32_e32 v240, 42
	ds_store_2addr_b64 v234, v[48:49], v[50:51] offset0:86 offset1:87
	ds_store_2addr_b64 v234, v[44:45], v[46:47] offset0:88 offset1:89
	ds_store_2addr_b64 v234, v[40:41], v[42:43] offset0:90 offset1:91
	ds_store_2addr_b64 v234, v[36:37], v[38:39] offset0:92 offset1:93
	ds_store_2addr_b64 v234, v[32:33], v[34:35] offset0:94 offset1:95
	ds_store_2addr_b64 v234, v[28:29], v[30:31] offset0:96 offset1:97
	ds_store_2addr_b64 v234, v[24:25], v[26:27] offset0:98 offset1:99
	ds_store_2addr_b64 v234, v[20:21], v[22:23] offset0:100 offset1:101
	ds_store_2addr_b64 v234, v[16:17], v[18:19] offset0:102 offset1:103
	ds_store_2addr_b64 v234, v[12:13], v[14:15] offset0:104 offset1:105
	ds_store_2addr_b64 v234, v[249:250], v[251:252] offset0:106 offset1:107
	ds_store_2addr_b64 v234, v[228:229], v[230:231] offset0:108 offset1:109
	ds_store_2addr_b64 v234, v[0:1], v[2:3] offset0:110 offset1:111
.LBB110_901:
	s_or_b32 exec_lo, exec_lo, s2
	s_delay_alu instid0(SALU_CYCLE_1)
	s_mov_b32 s2, exec_lo
	s_waitcnt lgkmcnt(0)
	s_waitcnt_vscnt null, 0x0
	s_barrier
	buffer_gl0_inv
	v_cmpx_lt_i32_e32 42, v240
	s_cbranch_execz .LBB110_903
; %bb.902:
	v_mul_f64 v[212:213], v[224:225], v[54:55]
	v_mul_f64 v[54:55], v[226:227], v[54:55]
	s_delay_alu instid0(VALU_DEP_2) | instskip(NEXT) | instid1(VALU_DEP_2)
	v_fma_f64 v[232:233], v[226:227], v[52:53], v[212:213]
	v_fma_f64 v[52:53], v[224:225], v[52:53], -v[54:55]
	ds_load_2addr_b64 v[224:227], v234 offset0:86 offset1:87
	s_waitcnt lgkmcnt(0)
	v_mul_f64 v[54:55], v[226:227], v[232:233]
	v_mul_f64 v[212:213], v[224:225], v[232:233]
	s_delay_alu instid0(VALU_DEP_2) | instskip(NEXT) | instid1(VALU_DEP_2)
	v_fma_f64 v[54:55], v[224:225], v[52:53], -v[54:55]
	v_fma_f64 v[212:213], v[226:227], v[52:53], v[212:213]
	ds_load_2addr_b64 v[224:227], v234 offset0:88 offset1:89
	v_add_f64 v[48:49], v[48:49], -v[54:55]
	v_add_f64 v[50:51], v[50:51], -v[212:213]
	s_waitcnt lgkmcnt(0)
	v_mul_f64 v[54:55], v[226:227], v[232:233]
	v_mul_f64 v[212:213], v[224:225], v[232:233]
	s_delay_alu instid0(VALU_DEP_2) | instskip(NEXT) | instid1(VALU_DEP_2)
	v_fma_f64 v[54:55], v[224:225], v[52:53], -v[54:55]
	v_fma_f64 v[212:213], v[226:227], v[52:53], v[212:213]
	ds_load_2addr_b64 v[224:227], v234 offset0:90 offset1:91
	v_add_f64 v[44:45], v[44:45], -v[54:55]
	v_add_f64 v[46:47], v[46:47], -v[212:213]
	s_waitcnt lgkmcnt(0)
	v_mul_f64 v[54:55], v[226:227], v[232:233]
	v_mul_f64 v[212:213], v[224:225], v[232:233]
	s_delay_alu instid0(VALU_DEP_2) | instskip(NEXT) | instid1(VALU_DEP_2)
	v_fma_f64 v[54:55], v[224:225], v[52:53], -v[54:55]
	v_fma_f64 v[212:213], v[226:227], v[52:53], v[212:213]
	ds_load_2addr_b64 v[224:227], v234 offset0:92 offset1:93
	v_add_f64 v[40:41], v[40:41], -v[54:55]
	v_add_f64 v[42:43], v[42:43], -v[212:213]
	s_waitcnt lgkmcnt(0)
	v_mul_f64 v[54:55], v[226:227], v[232:233]
	v_mul_f64 v[212:213], v[224:225], v[232:233]
	s_delay_alu instid0(VALU_DEP_2) | instskip(NEXT) | instid1(VALU_DEP_2)
	v_fma_f64 v[54:55], v[224:225], v[52:53], -v[54:55]
	v_fma_f64 v[212:213], v[226:227], v[52:53], v[212:213]
	ds_load_2addr_b64 v[224:227], v234 offset0:94 offset1:95
	v_add_f64 v[36:37], v[36:37], -v[54:55]
	v_add_f64 v[38:39], v[38:39], -v[212:213]
	s_waitcnt lgkmcnt(0)
	v_mul_f64 v[54:55], v[226:227], v[232:233]
	v_mul_f64 v[212:213], v[224:225], v[232:233]
	s_delay_alu instid0(VALU_DEP_2) | instskip(NEXT) | instid1(VALU_DEP_2)
	v_fma_f64 v[54:55], v[224:225], v[52:53], -v[54:55]
	v_fma_f64 v[212:213], v[226:227], v[52:53], v[212:213]
	ds_load_2addr_b64 v[224:227], v234 offset0:96 offset1:97
	v_add_f64 v[32:33], v[32:33], -v[54:55]
	v_add_f64 v[34:35], v[34:35], -v[212:213]
	s_waitcnt lgkmcnt(0)
	v_mul_f64 v[54:55], v[226:227], v[232:233]
	v_mul_f64 v[212:213], v[224:225], v[232:233]
	s_delay_alu instid0(VALU_DEP_2) | instskip(NEXT) | instid1(VALU_DEP_2)
	v_fma_f64 v[54:55], v[224:225], v[52:53], -v[54:55]
	v_fma_f64 v[212:213], v[226:227], v[52:53], v[212:213]
	ds_load_2addr_b64 v[224:227], v234 offset0:98 offset1:99
	v_add_f64 v[28:29], v[28:29], -v[54:55]
	v_add_f64 v[30:31], v[30:31], -v[212:213]
	s_waitcnt lgkmcnt(0)
	v_mul_f64 v[54:55], v[226:227], v[232:233]
	v_mul_f64 v[212:213], v[224:225], v[232:233]
	s_delay_alu instid0(VALU_DEP_2) | instskip(NEXT) | instid1(VALU_DEP_2)
	v_fma_f64 v[54:55], v[224:225], v[52:53], -v[54:55]
	v_fma_f64 v[212:213], v[226:227], v[52:53], v[212:213]
	ds_load_2addr_b64 v[224:227], v234 offset0:100 offset1:101
	v_add_f64 v[24:25], v[24:25], -v[54:55]
	v_add_f64 v[26:27], v[26:27], -v[212:213]
	s_waitcnt lgkmcnt(0)
	v_mul_f64 v[54:55], v[226:227], v[232:233]
	v_mul_f64 v[212:213], v[224:225], v[232:233]
	s_delay_alu instid0(VALU_DEP_2) | instskip(NEXT) | instid1(VALU_DEP_2)
	v_fma_f64 v[54:55], v[224:225], v[52:53], -v[54:55]
	v_fma_f64 v[212:213], v[226:227], v[52:53], v[212:213]
	ds_load_2addr_b64 v[224:227], v234 offset0:102 offset1:103
	v_add_f64 v[20:21], v[20:21], -v[54:55]
	v_add_f64 v[22:23], v[22:23], -v[212:213]
	s_waitcnt lgkmcnt(0)
	v_mul_f64 v[54:55], v[226:227], v[232:233]
	v_mul_f64 v[212:213], v[224:225], v[232:233]
	s_delay_alu instid0(VALU_DEP_2) | instskip(NEXT) | instid1(VALU_DEP_2)
	v_fma_f64 v[54:55], v[224:225], v[52:53], -v[54:55]
	v_fma_f64 v[212:213], v[226:227], v[52:53], v[212:213]
	ds_load_2addr_b64 v[224:227], v234 offset0:104 offset1:105
	v_add_f64 v[16:17], v[16:17], -v[54:55]
	v_add_f64 v[18:19], v[18:19], -v[212:213]
	s_waitcnt lgkmcnt(0)
	v_mul_f64 v[54:55], v[226:227], v[232:233]
	v_mul_f64 v[212:213], v[224:225], v[232:233]
	s_delay_alu instid0(VALU_DEP_2) | instskip(NEXT) | instid1(VALU_DEP_2)
	v_fma_f64 v[54:55], v[224:225], v[52:53], -v[54:55]
	v_fma_f64 v[212:213], v[226:227], v[52:53], v[212:213]
	ds_load_2addr_b64 v[224:227], v234 offset0:106 offset1:107
	v_add_f64 v[12:13], v[12:13], -v[54:55]
	v_add_f64 v[14:15], v[14:15], -v[212:213]
	s_waitcnt lgkmcnt(0)
	v_mul_f64 v[54:55], v[226:227], v[232:233]
	v_mul_f64 v[212:213], v[224:225], v[232:233]
	s_delay_alu instid0(VALU_DEP_2) | instskip(NEXT) | instid1(VALU_DEP_2)
	v_fma_f64 v[54:55], v[224:225], v[52:53], -v[54:55]
	v_fma_f64 v[212:213], v[226:227], v[52:53], v[212:213]
	ds_load_2addr_b64 v[224:227], v234 offset0:108 offset1:109
	v_add_f64 v[249:250], v[249:250], -v[54:55]
	v_add_f64 v[251:252], v[251:252], -v[212:213]
	s_waitcnt lgkmcnt(0)
	v_mul_f64 v[54:55], v[226:227], v[232:233]
	v_mul_f64 v[212:213], v[224:225], v[232:233]
	s_delay_alu instid0(VALU_DEP_2) | instskip(NEXT) | instid1(VALU_DEP_2)
	v_fma_f64 v[54:55], v[224:225], v[52:53], -v[54:55]
	v_fma_f64 v[212:213], v[226:227], v[52:53], v[212:213]
	ds_load_2addr_b64 v[224:227], v234 offset0:110 offset1:111
	v_add_f64 v[228:229], v[228:229], -v[54:55]
	v_add_f64 v[230:231], v[230:231], -v[212:213]
	s_waitcnt lgkmcnt(0)
	v_mul_f64 v[54:55], v[226:227], v[232:233]
	v_mul_f64 v[212:213], v[224:225], v[232:233]
	s_delay_alu instid0(VALU_DEP_2) | instskip(NEXT) | instid1(VALU_DEP_2)
	v_fma_f64 v[54:55], v[224:225], v[52:53], -v[54:55]
	v_fma_f64 v[212:213], v[226:227], v[52:53], v[212:213]
	s_delay_alu instid0(VALU_DEP_2) | instskip(NEXT) | instid1(VALU_DEP_2)
	v_add_f64 v[0:1], v[0:1], -v[54:55]
	v_add_f64 v[2:3], v[2:3], -v[212:213]
	v_dual_mov_b32 v54, v232 :: v_dual_mov_b32 v55, v233
.LBB110_903:
	s_or_b32 exec_lo, exec_lo, s2
	v_lshl_add_u32 v212, v240, 4, v234
	s_barrier
	buffer_gl0_inv
	v_mov_b32_e32 v232, 43
	ds_store_2addr_b64 v212, v[48:49], v[50:51] offset1:1
	s_waitcnt lgkmcnt(0)
	s_barrier
	buffer_gl0_inv
	ds_load_2addr_b64 v[224:227], v234 offset0:86 offset1:87
	s_cmp_lt_i32 s5, 45
	s_cbranch_scc1 .LBB110_906
; %bb.904:
	v_add3_u32 v233, v238, 0, 0x2c0
	v_mov_b32_e32 v232, 43
	s_mov_b32 s6, 44
	s_set_inst_prefetch_distance 0x1
	.p2align	6
.LBB110_905:                            ; =>This Inner Loop Header: Depth=1
	ds_load_2addr_b64 v[241:244], v233 offset1:1
	s_waitcnt lgkmcnt(1)
	v_cmp_gt_f64_e32 vcc_lo, 0, v[224:225]
	v_xor_b32_e32 v212, 0x80000000, v225
	v_cmp_gt_f64_e64 s2, 0, v[226:227]
	v_xor_b32_e32 v214, 0x80000000, v227
	v_add_nc_u32_e32 v233, 16, v233
	s_waitcnt lgkmcnt(0)
	v_cmp_gt_f64_e64 s3, 0, v[241:242]
	v_mov_b32_e32 v216, v241
	v_dual_mov_b32 v218, v243 :: v_dual_cndmask_b32 v213, v225, v212
	v_xor_b32_e32 v212, 0x80000000, v242
	v_cndmask_b32_e64 v215, v227, v214, s2
	v_xor_b32_e32 v214, 0x80000000, v244
	s_delay_alu instid0(VALU_DEP_3) | instskip(SKIP_2) | instid1(VALU_DEP_2)
	v_cndmask_b32_e64 v217, v242, v212, s3
	v_cmp_gt_f64_e64 s3, 0, v[243:244]
	v_cndmask_b32_e32 v212, v224, v224, vcc_lo
	v_cndmask_b32_e64 v219, v244, v214, s3
	v_cndmask_b32_e64 v214, v226, v226, s2
	s_delay_alu instid0(VALU_DEP_2) | instskip(NEXT) | instid1(VALU_DEP_2)
	v_add_f64 v[216:217], v[216:217], v[218:219]
	v_add_f64 v[212:213], v[212:213], v[214:215]
	s_delay_alu instid0(VALU_DEP_1) | instskip(SKIP_4) | instid1(SALU_CYCLE_1)
	v_cmp_lt_f64_e32 vcc_lo, v[212:213], v[216:217]
	v_dual_cndmask_b32 v225, v225, v242 :: v_dual_cndmask_b32 v224, v224, v241
	v_dual_cndmask_b32 v227, v227, v244 :: v_dual_cndmask_b32 v226, v226, v243
	v_cndmask_b32_e64 v232, v232, s6, vcc_lo
	s_add_i32 s6, s6, 1
	s_cmp_lg_u32 s5, s6
	s_cbranch_scc1 .LBB110_905
.LBB110_906:
	s_set_inst_prefetch_distance 0x2
	s_waitcnt lgkmcnt(0)
	v_cmp_eq_f64_e32 vcc_lo, 0, v[224:225]
	v_cmp_eq_f64_e64 s2, 0, v[226:227]
	s_delay_alu instid0(VALU_DEP_1) | instskip(NEXT) | instid1(SALU_CYCLE_1)
	s_and_b32 s2, vcc_lo, s2
	s_and_saveexec_b32 s3, s2
	s_delay_alu instid0(SALU_CYCLE_1)
	s_xor_b32 s2, exec_lo, s3
; %bb.907:
	v_cmp_ne_u32_e32 vcc_lo, 0, v237
	v_cndmask_b32_e32 v237, 44, v237, vcc_lo
; %bb.908:
	s_and_not1_saveexec_b32 s3, s2
	s_cbranch_execz .LBB110_914
; %bb.909:
	v_cmp_gt_f64_e32 vcc_lo, 0, v[224:225]
	v_cmp_gt_f64_e64 s2, 0, v[226:227]
	v_xor_b32_e32 v212, 0x80000000, v225
	v_xor_b32_e32 v214, 0x80000000, v227
	s_delay_alu instid0(VALU_DEP_2) | instskip(NEXT) | instid1(VALU_DEP_2)
	v_cndmask_b32_e32 v213, v225, v212, vcc_lo
	v_cndmask_b32_e64 v215, v227, v214, s2
	v_cndmask_b32_e32 v212, v224, v224, vcc_lo
	v_cndmask_b32_e64 v214, v226, v226, s2
	s_mov_b32 s2, exec_lo
	s_delay_alu instid0(VALU_DEP_1)
	v_cmpx_ngt_f64_e32 v[212:213], v[214:215]
	s_xor_b32 s2, exec_lo, s2
	s_cbranch_execz .LBB110_911
; %bb.910:
	v_div_scale_f64 v[212:213], null, v[226:227], v[226:227], v[224:225]
	v_div_scale_f64 v[218:219], vcc_lo, v[224:225], v[226:227], v[224:225]
	s_delay_alu instid0(VALU_DEP_2) | instskip(SKIP_2) | instid1(VALU_DEP_1)
	v_rcp_f64_e32 v[214:215], v[212:213]
	s_waitcnt_depctr 0xfff
	v_fma_f64 v[216:217], -v[212:213], v[214:215], 1.0
	v_fma_f64 v[214:215], v[214:215], v[216:217], v[214:215]
	s_delay_alu instid0(VALU_DEP_1) | instskip(NEXT) | instid1(VALU_DEP_1)
	v_fma_f64 v[216:217], -v[212:213], v[214:215], 1.0
	v_fma_f64 v[214:215], v[214:215], v[216:217], v[214:215]
	s_delay_alu instid0(VALU_DEP_1) | instskip(NEXT) | instid1(VALU_DEP_1)
	v_mul_f64 v[216:217], v[218:219], v[214:215]
	v_fma_f64 v[212:213], -v[212:213], v[216:217], v[218:219]
	s_delay_alu instid0(VALU_DEP_1) | instskip(NEXT) | instid1(VALU_DEP_1)
	v_div_fmas_f64 v[212:213], v[212:213], v[214:215], v[216:217]
	v_div_fixup_f64 v[212:213], v[212:213], v[226:227], v[224:225]
	s_delay_alu instid0(VALU_DEP_1) | instskip(NEXT) | instid1(VALU_DEP_1)
	v_fma_f64 v[214:215], v[224:225], v[212:213], v[226:227]
	v_div_scale_f64 v[216:217], null, v[214:215], v[214:215], 1.0
	s_delay_alu instid0(VALU_DEP_1) | instskip(SKIP_2) | instid1(VALU_DEP_1)
	v_rcp_f64_e32 v[218:219], v[216:217]
	s_waitcnt_depctr 0xfff
	v_fma_f64 v[220:221], -v[216:217], v[218:219], 1.0
	v_fma_f64 v[218:219], v[218:219], v[220:221], v[218:219]
	s_delay_alu instid0(VALU_DEP_1) | instskip(NEXT) | instid1(VALU_DEP_1)
	v_fma_f64 v[220:221], -v[216:217], v[218:219], 1.0
	v_fma_f64 v[218:219], v[218:219], v[220:221], v[218:219]
	v_div_scale_f64 v[220:221], vcc_lo, 1.0, v[214:215], 1.0
	s_delay_alu instid0(VALU_DEP_1) | instskip(NEXT) | instid1(VALU_DEP_1)
	v_mul_f64 v[222:223], v[220:221], v[218:219]
	v_fma_f64 v[216:217], -v[216:217], v[222:223], v[220:221]
	s_delay_alu instid0(VALU_DEP_1) | instskip(NEXT) | instid1(VALU_DEP_1)
	v_div_fmas_f64 v[216:217], v[216:217], v[218:219], v[222:223]
	v_div_fixup_f64 v[226:227], v[216:217], v[214:215], 1.0
	s_delay_alu instid0(VALU_DEP_1)
	v_mul_f64 v[224:225], v[212:213], v[226:227]
	v_xor_b32_e32 v227, 0x80000000, v227
.LBB110_911:
	s_and_not1_saveexec_b32 s2, s2
	s_cbranch_execz .LBB110_913
; %bb.912:
	s_delay_alu instid0(VALU_DEP_1) | instskip(SKIP_1) | instid1(VALU_DEP_2)
	v_div_scale_f64 v[212:213], null, v[224:225], v[224:225], v[226:227]
	v_div_scale_f64 v[218:219], vcc_lo, v[226:227], v[224:225], v[226:227]
	v_rcp_f64_e32 v[214:215], v[212:213]
	s_waitcnt_depctr 0xfff
	v_fma_f64 v[216:217], -v[212:213], v[214:215], 1.0
	s_delay_alu instid0(VALU_DEP_1) | instskip(NEXT) | instid1(VALU_DEP_1)
	v_fma_f64 v[214:215], v[214:215], v[216:217], v[214:215]
	v_fma_f64 v[216:217], -v[212:213], v[214:215], 1.0
	s_delay_alu instid0(VALU_DEP_1) | instskip(NEXT) | instid1(VALU_DEP_1)
	v_fma_f64 v[214:215], v[214:215], v[216:217], v[214:215]
	v_mul_f64 v[216:217], v[218:219], v[214:215]
	s_delay_alu instid0(VALU_DEP_1) | instskip(NEXT) | instid1(VALU_DEP_1)
	v_fma_f64 v[212:213], -v[212:213], v[216:217], v[218:219]
	v_div_fmas_f64 v[212:213], v[212:213], v[214:215], v[216:217]
	s_delay_alu instid0(VALU_DEP_1) | instskip(NEXT) | instid1(VALU_DEP_1)
	v_div_fixup_f64 v[212:213], v[212:213], v[224:225], v[226:227]
	v_fma_f64 v[214:215], v[226:227], v[212:213], v[224:225]
	s_delay_alu instid0(VALU_DEP_1) | instskip(NEXT) | instid1(VALU_DEP_1)
	v_div_scale_f64 v[216:217], null, v[214:215], v[214:215], 1.0
	v_rcp_f64_e32 v[218:219], v[216:217]
	s_waitcnt_depctr 0xfff
	v_fma_f64 v[220:221], -v[216:217], v[218:219], 1.0
	s_delay_alu instid0(VALU_DEP_1) | instskip(NEXT) | instid1(VALU_DEP_1)
	v_fma_f64 v[218:219], v[218:219], v[220:221], v[218:219]
	v_fma_f64 v[220:221], -v[216:217], v[218:219], 1.0
	s_delay_alu instid0(VALU_DEP_1) | instskip(SKIP_1) | instid1(VALU_DEP_1)
	v_fma_f64 v[218:219], v[218:219], v[220:221], v[218:219]
	v_div_scale_f64 v[220:221], vcc_lo, 1.0, v[214:215], 1.0
	v_mul_f64 v[222:223], v[220:221], v[218:219]
	s_delay_alu instid0(VALU_DEP_1) | instskip(NEXT) | instid1(VALU_DEP_1)
	v_fma_f64 v[216:217], -v[216:217], v[222:223], v[220:221]
	v_div_fmas_f64 v[216:217], v[216:217], v[218:219], v[222:223]
	s_delay_alu instid0(VALU_DEP_1) | instskip(NEXT) | instid1(VALU_DEP_1)
	v_div_fixup_f64 v[224:225], v[216:217], v[214:215], 1.0
	v_mul_f64 v[226:227], v[212:213], -v[224:225]
.LBB110_913:
	s_or_b32 exec_lo, exec_lo, s2
.LBB110_914:
	s_delay_alu instid0(SALU_CYCLE_1) | instskip(NEXT) | instid1(SALU_CYCLE_1)
	s_or_b32 exec_lo, exec_lo, s3
	s_mov_b32 s2, exec_lo
	v_cmpx_ne_u32_e64 v240, v232
	s_xor_b32 s2, exec_lo, s2
	s_cbranch_execz .LBB110_920
; %bb.915:
	s_mov_b32 s3, exec_lo
	v_cmpx_eq_u32_e32 43, v240
	s_cbranch_execz .LBB110_919
; %bb.916:
	v_cmp_ne_u32_e32 vcc_lo, 43, v232
	s_xor_b32 s6, s4, -1
	s_delay_alu instid0(SALU_CYCLE_1) | instskip(NEXT) | instid1(SALU_CYCLE_1)
	s_and_b32 s7, s6, vcc_lo
	s_and_saveexec_b32 s6, s7
	s_cbranch_execz .LBB110_918
; %bb.917:
	scratch_load_b64 v[10:11], off, off     ; 8-byte Folded Reload
	v_ashrrev_i32_e32 v233, 31, v232
	s_delay_alu instid0(VALU_DEP_1) | instskip(SKIP_1) | instid1(VALU_DEP_1)
	v_lshlrev_b64 v[212:213], 2, v[232:233]
	s_waitcnt vmcnt(0)
	v_add_co_u32 v212, vcc_lo, v10, v212
	s_delay_alu instid0(VALU_DEP_2)
	v_add_co_ci_u32_e32 v213, vcc_lo, v11, v213, vcc_lo
	s_clause 0x1
	flat_load_b32 v214, v[212:213]
	flat_load_b32 v215, v[10:11] offset:172
	s_waitcnt vmcnt(1) lgkmcnt(1)
	flat_store_b32 v[10:11], v214 offset:172
	s_waitcnt vmcnt(0) lgkmcnt(1)
	flat_store_b32 v[212:213], v215
.LBB110_918:
	s_or_b32 exec_lo, exec_lo, s6
	v_mov_b32_e32 v240, v232
	v_mov_b32_e32 v239, v232
.LBB110_919:
	s_or_b32 exec_lo, exec_lo, s3
.LBB110_920:
	s_and_not1_saveexec_b32 s2, s2
	s_cbranch_execz .LBB110_922
; %bb.921:
	v_mov_b32_e32 v240, 43
	ds_store_2addr_b64 v234, v[44:45], v[46:47] offset0:88 offset1:89
	ds_store_2addr_b64 v234, v[40:41], v[42:43] offset0:90 offset1:91
	;; [unrolled: 1-line block ×12, first 2 shown]
.LBB110_922:
	s_or_b32 exec_lo, exec_lo, s2
	s_delay_alu instid0(SALU_CYCLE_1)
	s_mov_b32 s2, exec_lo
	s_waitcnt lgkmcnt(0)
	s_waitcnt_vscnt null, 0x0
	s_barrier
	buffer_gl0_inv
	v_cmpx_lt_i32_e32 43, v240
	s_cbranch_execz .LBB110_924
; %bb.923:
	v_mul_f64 v[212:213], v[224:225], v[50:51]
	v_mul_f64 v[50:51], v[226:227], v[50:51]
	s_delay_alu instid0(VALU_DEP_2) | instskip(NEXT) | instid1(VALU_DEP_2)
	v_fma_f64 v[212:213], v[226:227], v[48:49], v[212:213]
	v_fma_f64 v[48:49], v[224:225], v[48:49], -v[50:51]
	ds_load_2addr_b64 v[224:227], v234 offset0:88 offset1:89
	s_waitcnt lgkmcnt(0)
	v_mul_f64 v[50:51], v[226:227], v[212:213]
	v_mul_f64 v[214:215], v[224:225], v[212:213]
	s_delay_alu instid0(VALU_DEP_2) | instskip(NEXT) | instid1(VALU_DEP_2)
	v_fma_f64 v[50:51], v[224:225], v[48:49], -v[50:51]
	v_fma_f64 v[214:215], v[226:227], v[48:49], v[214:215]
	ds_load_2addr_b64 v[224:227], v234 offset0:90 offset1:91
	v_add_f64 v[44:45], v[44:45], -v[50:51]
	v_add_f64 v[46:47], v[46:47], -v[214:215]
	s_waitcnt lgkmcnt(0)
	v_mul_f64 v[50:51], v[226:227], v[212:213]
	v_mul_f64 v[214:215], v[224:225], v[212:213]
	s_delay_alu instid0(VALU_DEP_2) | instskip(NEXT) | instid1(VALU_DEP_2)
	v_fma_f64 v[50:51], v[224:225], v[48:49], -v[50:51]
	v_fma_f64 v[214:215], v[226:227], v[48:49], v[214:215]
	ds_load_2addr_b64 v[224:227], v234 offset0:92 offset1:93
	v_add_f64 v[40:41], v[40:41], -v[50:51]
	v_add_f64 v[42:43], v[42:43], -v[214:215]
	;; [unrolled: 9-line block ×11, first 2 shown]
	s_waitcnt lgkmcnt(0)
	v_mul_f64 v[50:51], v[226:227], v[212:213]
	v_mul_f64 v[214:215], v[224:225], v[212:213]
	s_delay_alu instid0(VALU_DEP_2) | instskip(NEXT) | instid1(VALU_DEP_2)
	v_fma_f64 v[50:51], v[224:225], v[48:49], -v[50:51]
	v_fma_f64 v[214:215], v[226:227], v[48:49], v[214:215]
	s_delay_alu instid0(VALU_DEP_2) | instskip(NEXT) | instid1(VALU_DEP_2)
	v_add_f64 v[0:1], v[0:1], -v[50:51]
	v_add_f64 v[2:3], v[2:3], -v[214:215]
	v_dual_mov_b32 v50, v212 :: v_dual_mov_b32 v51, v213
.LBB110_924:
	s_or_b32 exec_lo, exec_lo, s2
	v_lshl_add_u32 v212, v240, 4, v234
	s_barrier
	buffer_gl0_inv
	v_mov_b32_e32 v232, 44
	ds_store_2addr_b64 v212, v[44:45], v[46:47] offset1:1
	s_waitcnt lgkmcnt(0)
	s_barrier
	buffer_gl0_inv
	ds_load_2addr_b64 v[224:227], v234 offset0:88 offset1:89
	s_cmp_lt_i32 s5, 46
	s_cbranch_scc1 .LBB110_927
; %bb.925:
	v_add3_u32 v233, v238, 0, 0x2d0
	v_mov_b32_e32 v232, 44
	s_mov_b32 s6, 45
	s_set_inst_prefetch_distance 0x1
	.p2align	6
.LBB110_926:                            ; =>This Inner Loop Header: Depth=1
	ds_load_2addr_b64 v[241:244], v233 offset1:1
	s_waitcnt lgkmcnt(1)
	v_cmp_gt_f64_e32 vcc_lo, 0, v[224:225]
	v_xor_b32_e32 v212, 0x80000000, v225
	v_cmp_gt_f64_e64 s2, 0, v[226:227]
	v_xor_b32_e32 v214, 0x80000000, v227
	v_add_nc_u32_e32 v233, 16, v233
	s_waitcnt lgkmcnt(0)
	v_cmp_gt_f64_e64 s3, 0, v[241:242]
	v_mov_b32_e32 v216, v241
	v_dual_mov_b32 v218, v243 :: v_dual_cndmask_b32 v213, v225, v212
	v_xor_b32_e32 v212, 0x80000000, v242
	v_cndmask_b32_e64 v215, v227, v214, s2
	v_xor_b32_e32 v214, 0x80000000, v244
	s_delay_alu instid0(VALU_DEP_3) | instskip(SKIP_2) | instid1(VALU_DEP_2)
	v_cndmask_b32_e64 v217, v242, v212, s3
	v_cmp_gt_f64_e64 s3, 0, v[243:244]
	v_cndmask_b32_e32 v212, v224, v224, vcc_lo
	v_cndmask_b32_e64 v219, v244, v214, s3
	v_cndmask_b32_e64 v214, v226, v226, s2
	s_delay_alu instid0(VALU_DEP_2) | instskip(NEXT) | instid1(VALU_DEP_2)
	v_add_f64 v[216:217], v[216:217], v[218:219]
	v_add_f64 v[212:213], v[212:213], v[214:215]
	s_delay_alu instid0(VALU_DEP_1) | instskip(SKIP_4) | instid1(SALU_CYCLE_1)
	v_cmp_lt_f64_e32 vcc_lo, v[212:213], v[216:217]
	v_dual_cndmask_b32 v225, v225, v242 :: v_dual_cndmask_b32 v224, v224, v241
	v_dual_cndmask_b32 v227, v227, v244 :: v_dual_cndmask_b32 v226, v226, v243
	v_cndmask_b32_e64 v232, v232, s6, vcc_lo
	s_add_i32 s6, s6, 1
	s_cmp_lg_u32 s5, s6
	s_cbranch_scc1 .LBB110_926
.LBB110_927:
	s_set_inst_prefetch_distance 0x2
	s_waitcnt lgkmcnt(0)
	v_cmp_eq_f64_e32 vcc_lo, 0, v[224:225]
	v_cmp_eq_f64_e64 s2, 0, v[226:227]
	s_delay_alu instid0(VALU_DEP_1) | instskip(NEXT) | instid1(SALU_CYCLE_1)
	s_and_b32 s2, vcc_lo, s2
	s_and_saveexec_b32 s3, s2
	s_delay_alu instid0(SALU_CYCLE_1)
	s_xor_b32 s2, exec_lo, s3
; %bb.928:
	v_cmp_ne_u32_e32 vcc_lo, 0, v237
	v_cndmask_b32_e32 v237, 45, v237, vcc_lo
; %bb.929:
	s_and_not1_saveexec_b32 s3, s2
	s_cbranch_execz .LBB110_935
; %bb.930:
	v_cmp_gt_f64_e32 vcc_lo, 0, v[224:225]
	v_cmp_gt_f64_e64 s2, 0, v[226:227]
	v_xor_b32_e32 v212, 0x80000000, v225
	v_xor_b32_e32 v214, 0x80000000, v227
	s_delay_alu instid0(VALU_DEP_2) | instskip(NEXT) | instid1(VALU_DEP_2)
	v_cndmask_b32_e32 v213, v225, v212, vcc_lo
	v_cndmask_b32_e64 v215, v227, v214, s2
	v_cndmask_b32_e32 v212, v224, v224, vcc_lo
	v_cndmask_b32_e64 v214, v226, v226, s2
	s_mov_b32 s2, exec_lo
	s_delay_alu instid0(VALU_DEP_1)
	v_cmpx_ngt_f64_e32 v[212:213], v[214:215]
	s_xor_b32 s2, exec_lo, s2
	s_cbranch_execz .LBB110_932
; %bb.931:
	v_div_scale_f64 v[212:213], null, v[226:227], v[226:227], v[224:225]
	v_div_scale_f64 v[218:219], vcc_lo, v[224:225], v[226:227], v[224:225]
	s_delay_alu instid0(VALU_DEP_2) | instskip(SKIP_2) | instid1(VALU_DEP_1)
	v_rcp_f64_e32 v[214:215], v[212:213]
	s_waitcnt_depctr 0xfff
	v_fma_f64 v[216:217], -v[212:213], v[214:215], 1.0
	v_fma_f64 v[214:215], v[214:215], v[216:217], v[214:215]
	s_delay_alu instid0(VALU_DEP_1) | instskip(NEXT) | instid1(VALU_DEP_1)
	v_fma_f64 v[216:217], -v[212:213], v[214:215], 1.0
	v_fma_f64 v[214:215], v[214:215], v[216:217], v[214:215]
	s_delay_alu instid0(VALU_DEP_1) | instskip(NEXT) | instid1(VALU_DEP_1)
	v_mul_f64 v[216:217], v[218:219], v[214:215]
	v_fma_f64 v[212:213], -v[212:213], v[216:217], v[218:219]
	s_delay_alu instid0(VALU_DEP_1) | instskip(NEXT) | instid1(VALU_DEP_1)
	v_div_fmas_f64 v[212:213], v[212:213], v[214:215], v[216:217]
	v_div_fixup_f64 v[212:213], v[212:213], v[226:227], v[224:225]
	s_delay_alu instid0(VALU_DEP_1) | instskip(NEXT) | instid1(VALU_DEP_1)
	v_fma_f64 v[214:215], v[224:225], v[212:213], v[226:227]
	v_div_scale_f64 v[216:217], null, v[214:215], v[214:215], 1.0
	s_delay_alu instid0(VALU_DEP_1) | instskip(SKIP_2) | instid1(VALU_DEP_1)
	v_rcp_f64_e32 v[218:219], v[216:217]
	s_waitcnt_depctr 0xfff
	v_fma_f64 v[220:221], -v[216:217], v[218:219], 1.0
	v_fma_f64 v[218:219], v[218:219], v[220:221], v[218:219]
	s_delay_alu instid0(VALU_DEP_1) | instskip(NEXT) | instid1(VALU_DEP_1)
	v_fma_f64 v[220:221], -v[216:217], v[218:219], 1.0
	v_fma_f64 v[218:219], v[218:219], v[220:221], v[218:219]
	v_div_scale_f64 v[220:221], vcc_lo, 1.0, v[214:215], 1.0
	s_delay_alu instid0(VALU_DEP_1) | instskip(NEXT) | instid1(VALU_DEP_1)
	v_mul_f64 v[222:223], v[220:221], v[218:219]
	v_fma_f64 v[216:217], -v[216:217], v[222:223], v[220:221]
	s_delay_alu instid0(VALU_DEP_1) | instskip(NEXT) | instid1(VALU_DEP_1)
	v_div_fmas_f64 v[216:217], v[216:217], v[218:219], v[222:223]
	v_div_fixup_f64 v[226:227], v[216:217], v[214:215], 1.0
	s_delay_alu instid0(VALU_DEP_1)
	v_mul_f64 v[224:225], v[212:213], v[226:227]
	v_xor_b32_e32 v227, 0x80000000, v227
.LBB110_932:
	s_and_not1_saveexec_b32 s2, s2
	s_cbranch_execz .LBB110_934
; %bb.933:
	s_delay_alu instid0(VALU_DEP_1) | instskip(SKIP_1) | instid1(VALU_DEP_2)
	v_div_scale_f64 v[212:213], null, v[224:225], v[224:225], v[226:227]
	v_div_scale_f64 v[218:219], vcc_lo, v[226:227], v[224:225], v[226:227]
	v_rcp_f64_e32 v[214:215], v[212:213]
	s_waitcnt_depctr 0xfff
	v_fma_f64 v[216:217], -v[212:213], v[214:215], 1.0
	s_delay_alu instid0(VALU_DEP_1) | instskip(NEXT) | instid1(VALU_DEP_1)
	v_fma_f64 v[214:215], v[214:215], v[216:217], v[214:215]
	v_fma_f64 v[216:217], -v[212:213], v[214:215], 1.0
	s_delay_alu instid0(VALU_DEP_1) | instskip(NEXT) | instid1(VALU_DEP_1)
	v_fma_f64 v[214:215], v[214:215], v[216:217], v[214:215]
	v_mul_f64 v[216:217], v[218:219], v[214:215]
	s_delay_alu instid0(VALU_DEP_1) | instskip(NEXT) | instid1(VALU_DEP_1)
	v_fma_f64 v[212:213], -v[212:213], v[216:217], v[218:219]
	v_div_fmas_f64 v[212:213], v[212:213], v[214:215], v[216:217]
	s_delay_alu instid0(VALU_DEP_1) | instskip(NEXT) | instid1(VALU_DEP_1)
	v_div_fixup_f64 v[212:213], v[212:213], v[224:225], v[226:227]
	v_fma_f64 v[214:215], v[226:227], v[212:213], v[224:225]
	s_delay_alu instid0(VALU_DEP_1) | instskip(NEXT) | instid1(VALU_DEP_1)
	v_div_scale_f64 v[216:217], null, v[214:215], v[214:215], 1.0
	v_rcp_f64_e32 v[218:219], v[216:217]
	s_waitcnt_depctr 0xfff
	v_fma_f64 v[220:221], -v[216:217], v[218:219], 1.0
	s_delay_alu instid0(VALU_DEP_1) | instskip(NEXT) | instid1(VALU_DEP_1)
	v_fma_f64 v[218:219], v[218:219], v[220:221], v[218:219]
	v_fma_f64 v[220:221], -v[216:217], v[218:219], 1.0
	s_delay_alu instid0(VALU_DEP_1) | instskip(SKIP_1) | instid1(VALU_DEP_1)
	v_fma_f64 v[218:219], v[218:219], v[220:221], v[218:219]
	v_div_scale_f64 v[220:221], vcc_lo, 1.0, v[214:215], 1.0
	v_mul_f64 v[222:223], v[220:221], v[218:219]
	s_delay_alu instid0(VALU_DEP_1) | instskip(NEXT) | instid1(VALU_DEP_1)
	v_fma_f64 v[216:217], -v[216:217], v[222:223], v[220:221]
	v_div_fmas_f64 v[216:217], v[216:217], v[218:219], v[222:223]
	s_delay_alu instid0(VALU_DEP_1) | instskip(NEXT) | instid1(VALU_DEP_1)
	v_div_fixup_f64 v[224:225], v[216:217], v[214:215], 1.0
	v_mul_f64 v[226:227], v[212:213], -v[224:225]
.LBB110_934:
	s_or_b32 exec_lo, exec_lo, s2
.LBB110_935:
	s_delay_alu instid0(SALU_CYCLE_1) | instskip(NEXT) | instid1(SALU_CYCLE_1)
	s_or_b32 exec_lo, exec_lo, s3
	s_mov_b32 s2, exec_lo
	v_cmpx_ne_u32_e64 v240, v232
	s_xor_b32 s2, exec_lo, s2
	s_cbranch_execz .LBB110_941
; %bb.936:
	s_mov_b32 s3, exec_lo
	v_cmpx_eq_u32_e32 44, v240
	s_cbranch_execz .LBB110_940
; %bb.937:
	v_cmp_ne_u32_e32 vcc_lo, 44, v232
	s_xor_b32 s6, s4, -1
	s_delay_alu instid0(SALU_CYCLE_1) | instskip(NEXT) | instid1(SALU_CYCLE_1)
	s_and_b32 s7, s6, vcc_lo
	s_and_saveexec_b32 s6, s7
	s_cbranch_execz .LBB110_939
; %bb.938:
	scratch_load_b64 v[10:11], off, off     ; 8-byte Folded Reload
	v_ashrrev_i32_e32 v233, 31, v232
	s_delay_alu instid0(VALU_DEP_1) | instskip(SKIP_1) | instid1(VALU_DEP_1)
	v_lshlrev_b64 v[212:213], 2, v[232:233]
	s_waitcnt vmcnt(0)
	v_add_co_u32 v212, vcc_lo, v10, v212
	s_delay_alu instid0(VALU_DEP_2)
	v_add_co_ci_u32_e32 v213, vcc_lo, v11, v213, vcc_lo
	s_clause 0x1
	flat_load_b32 v214, v[212:213]
	flat_load_b32 v215, v[10:11] offset:176
	s_waitcnt vmcnt(1) lgkmcnt(1)
	flat_store_b32 v[10:11], v214 offset:176
	s_waitcnt vmcnt(0) lgkmcnt(1)
	flat_store_b32 v[212:213], v215
.LBB110_939:
	s_or_b32 exec_lo, exec_lo, s6
	v_mov_b32_e32 v240, v232
	v_mov_b32_e32 v239, v232
.LBB110_940:
	s_or_b32 exec_lo, exec_lo, s3
.LBB110_941:
	s_and_not1_saveexec_b32 s2, s2
	s_cbranch_execz .LBB110_943
; %bb.942:
	v_mov_b32_e32 v240, 44
	ds_store_2addr_b64 v234, v[40:41], v[42:43] offset0:90 offset1:91
	ds_store_2addr_b64 v234, v[36:37], v[38:39] offset0:92 offset1:93
	;; [unrolled: 1-line block ×11, first 2 shown]
.LBB110_943:
	s_or_b32 exec_lo, exec_lo, s2
	s_delay_alu instid0(SALU_CYCLE_1)
	s_mov_b32 s2, exec_lo
	s_waitcnt lgkmcnt(0)
	s_waitcnt_vscnt null, 0x0
	s_barrier
	buffer_gl0_inv
	v_cmpx_lt_i32_e32 44, v240
	s_cbranch_execz .LBB110_945
; %bb.944:
	v_mul_f64 v[212:213], v[224:225], v[46:47]
	v_mul_f64 v[46:47], v[226:227], v[46:47]
	s_delay_alu instid0(VALU_DEP_2) | instskip(NEXT) | instid1(VALU_DEP_2)
	v_fma_f64 v[212:213], v[226:227], v[44:45], v[212:213]
	v_fma_f64 v[44:45], v[224:225], v[44:45], -v[46:47]
	ds_load_2addr_b64 v[224:227], v234 offset0:90 offset1:91
	s_waitcnt lgkmcnt(0)
	v_mul_f64 v[46:47], v[226:227], v[212:213]
	v_mul_f64 v[214:215], v[224:225], v[212:213]
	s_delay_alu instid0(VALU_DEP_2) | instskip(NEXT) | instid1(VALU_DEP_2)
	v_fma_f64 v[46:47], v[224:225], v[44:45], -v[46:47]
	v_fma_f64 v[214:215], v[226:227], v[44:45], v[214:215]
	ds_load_2addr_b64 v[224:227], v234 offset0:92 offset1:93
	v_add_f64 v[40:41], v[40:41], -v[46:47]
	v_add_f64 v[42:43], v[42:43], -v[214:215]
	s_waitcnt lgkmcnt(0)
	v_mul_f64 v[46:47], v[226:227], v[212:213]
	v_mul_f64 v[214:215], v[224:225], v[212:213]
	s_delay_alu instid0(VALU_DEP_2) | instskip(NEXT) | instid1(VALU_DEP_2)
	v_fma_f64 v[46:47], v[224:225], v[44:45], -v[46:47]
	v_fma_f64 v[214:215], v[226:227], v[44:45], v[214:215]
	ds_load_2addr_b64 v[224:227], v234 offset0:94 offset1:95
	v_add_f64 v[36:37], v[36:37], -v[46:47]
	v_add_f64 v[38:39], v[38:39], -v[214:215]
	;; [unrolled: 9-line block ×10, first 2 shown]
	s_waitcnt lgkmcnt(0)
	v_mul_f64 v[46:47], v[226:227], v[212:213]
	v_mul_f64 v[214:215], v[224:225], v[212:213]
	s_delay_alu instid0(VALU_DEP_2) | instskip(NEXT) | instid1(VALU_DEP_2)
	v_fma_f64 v[46:47], v[224:225], v[44:45], -v[46:47]
	v_fma_f64 v[214:215], v[226:227], v[44:45], v[214:215]
	s_delay_alu instid0(VALU_DEP_2) | instskip(NEXT) | instid1(VALU_DEP_2)
	v_add_f64 v[0:1], v[0:1], -v[46:47]
	v_add_f64 v[2:3], v[2:3], -v[214:215]
	v_dual_mov_b32 v46, v212 :: v_dual_mov_b32 v47, v213
.LBB110_945:
	s_or_b32 exec_lo, exec_lo, s2
	v_lshl_add_u32 v212, v240, 4, v234
	s_barrier
	buffer_gl0_inv
	v_mov_b32_e32 v232, 45
	ds_store_2addr_b64 v212, v[40:41], v[42:43] offset1:1
	s_waitcnt lgkmcnt(0)
	s_barrier
	buffer_gl0_inv
	ds_load_2addr_b64 v[224:227], v234 offset0:90 offset1:91
	s_cmp_lt_i32 s5, 47
	s_cbranch_scc1 .LBB110_948
; %bb.946:
	v_add3_u32 v233, v238, 0, 0x2e0
	v_mov_b32_e32 v232, 45
	s_mov_b32 s6, 46
	s_set_inst_prefetch_distance 0x1
	.p2align	6
.LBB110_947:                            ; =>This Inner Loop Header: Depth=1
	ds_load_2addr_b64 v[241:244], v233 offset1:1
	s_waitcnt lgkmcnt(1)
	v_cmp_gt_f64_e32 vcc_lo, 0, v[224:225]
	v_xor_b32_e32 v212, 0x80000000, v225
	v_cmp_gt_f64_e64 s2, 0, v[226:227]
	v_xor_b32_e32 v214, 0x80000000, v227
	v_add_nc_u32_e32 v233, 16, v233
	s_waitcnt lgkmcnt(0)
	v_cmp_gt_f64_e64 s3, 0, v[241:242]
	v_mov_b32_e32 v216, v241
	v_dual_mov_b32 v218, v243 :: v_dual_cndmask_b32 v213, v225, v212
	v_xor_b32_e32 v212, 0x80000000, v242
	v_cndmask_b32_e64 v215, v227, v214, s2
	v_xor_b32_e32 v214, 0x80000000, v244
	s_delay_alu instid0(VALU_DEP_3) | instskip(SKIP_2) | instid1(VALU_DEP_2)
	v_cndmask_b32_e64 v217, v242, v212, s3
	v_cmp_gt_f64_e64 s3, 0, v[243:244]
	v_cndmask_b32_e32 v212, v224, v224, vcc_lo
	v_cndmask_b32_e64 v219, v244, v214, s3
	v_cndmask_b32_e64 v214, v226, v226, s2
	s_delay_alu instid0(VALU_DEP_2) | instskip(NEXT) | instid1(VALU_DEP_2)
	v_add_f64 v[216:217], v[216:217], v[218:219]
	v_add_f64 v[212:213], v[212:213], v[214:215]
	s_delay_alu instid0(VALU_DEP_1) | instskip(SKIP_4) | instid1(SALU_CYCLE_1)
	v_cmp_lt_f64_e32 vcc_lo, v[212:213], v[216:217]
	v_dual_cndmask_b32 v225, v225, v242 :: v_dual_cndmask_b32 v224, v224, v241
	v_dual_cndmask_b32 v227, v227, v244 :: v_dual_cndmask_b32 v226, v226, v243
	v_cndmask_b32_e64 v232, v232, s6, vcc_lo
	s_add_i32 s6, s6, 1
	s_cmp_lg_u32 s5, s6
	s_cbranch_scc1 .LBB110_947
.LBB110_948:
	s_set_inst_prefetch_distance 0x2
	s_waitcnt lgkmcnt(0)
	v_cmp_eq_f64_e32 vcc_lo, 0, v[224:225]
	v_cmp_eq_f64_e64 s2, 0, v[226:227]
	s_delay_alu instid0(VALU_DEP_1) | instskip(NEXT) | instid1(SALU_CYCLE_1)
	s_and_b32 s2, vcc_lo, s2
	s_and_saveexec_b32 s3, s2
	s_delay_alu instid0(SALU_CYCLE_1)
	s_xor_b32 s2, exec_lo, s3
; %bb.949:
	v_cmp_ne_u32_e32 vcc_lo, 0, v237
	v_cndmask_b32_e32 v237, 46, v237, vcc_lo
; %bb.950:
	s_and_not1_saveexec_b32 s3, s2
	s_cbranch_execz .LBB110_956
; %bb.951:
	v_cmp_gt_f64_e32 vcc_lo, 0, v[224:225]
	v_cmp_gt_f64_e64 s2, 0, v[226:227]
	v_xor_b32_e32 v212, 0x80000000, v225
	v_xor_b32_e32 v214, 0x80000000, v227
	s_delay_alu instid0(VALU_DEP_2) | instskip(NEXT) | instid1(VALU_DEP_2)
	v_cndmask_b32_e32 v213, v225, v212, vcc_lo
	v_cndmask_b32_e64 v215, v227, v214, s2
	v_cndmask_b32_e32 v212, v224, v224, vcc_lo
	v_cndmask_b32_e64 v214, v226, v226, s2
	s_mov_b32 s2, exec_lo
	s_delay_alu instid0(VALU_DEP_1)
	v_cmpx_ngt_f64_e32 v[212:213], v[214:215]
	s_xor_b32 s2, exec_lo, s2
	s_cbranch_execz .LBB110_953
; %bb.952:
	v_div_scale_f64 v[212:213], null, v[226:227], v[226:227], v[224:225]
	v_div_scale_f64 v[218:219], vcc_lo, v[224:225], v[226:227], v[224:225]
	s_delay_alu instid0(VALU_DEP_2) | instskip(SKIP_2) | instid1(VALU_DEP_1)
	v_rcp_f64_e32 v[214:215], v[212:213]
	s_waitcnt_depctr 0xfff
	v_fma_f64 v[216:217], -v[212:213], v[214:215], 1.0
	v_fma_f64 v[214:215], v[214:215], v[216:217], v[214:215]
	s_delay_alu instid0(VALU_DEP_1) | instskip(NEXT) | instid1(VALU_DEP_1)
	v_fma_f64 v[216:217], -v[212:213], v[214:215], 1.0
	v_fma_f64 v[214:215], v[214:215], v[216:217], v[214:215]
	s_delay_alu instid0(VALU_DEP_1) | instskip(NEXT) | instid1(VALU_DEP_1)
	v_mul_f64 v[216:217], v[218:219], v[214:215]
	v_fma_f64 v[212:213], -v[212:213], v[216:217], v[218:219]
	s_delay_alu instid0(VALU_DEP_1) | instskip(NEXT) | instid1(VALU_DEP_1)
	v_div_fmas_f64 v[212:213], v[212:213], v[214:215], v[216:217]
	v_div_fixup_f64 v[212:213], v[212:213], v[226:227], v[224:225]
	s_delay_alu instid0(VALU_DEP_1) | instskip(NEXT) | instid1(VALU_DEP_1)
	v_fma_f64 v[214:215], v[224:225], v[212:213], v[226:227]
	v_div_scale_f64 v[216:217], null, v[214:215], v[214:215], 1.0
	s_delay_alu instid0(VALU_DEP_1) | instskip(SKIP_2) | instid1(VALU_DEP_1)
	v_rcp_f64_e32 v[218:219], v[216:217]
	s_waitcnt_depctr 0xfff
	v_fma_f64 v[220:221], -v[216:217], v[218:219], 1.0
	v_fma_f64 v[218:219], v[218:219], v[220:221], v[218:219]
	s_delay_alu instid0(VALU_DEP_1) | instskip(NEXT) | instid1(VALU_DEP_1)
	v_fma_f64 v[220:221], -v[216:217], v[218:219], 1.0
	v_fma_f64 v[218:219], v[218:219], v[220:221], v[218:219]
	v_div_scale_f64 v[220:221], vcc_lo, 1.0, v[214:215], 1.0
	s_delay_alu instid0(VALU_DEP_1) | instskip(NEXT) | instid1(VALU_DEP_1)
	v_mul_f64 v[222:223], v[220:221], v[218:219]
	v_fma_f64 v[216:217], -v[216:217], v[222:223], v[220:221]
	s_delay_alu instid0(VALU_DEP_1) | instskip(NEXT) | instid1(VALU_DEP_1)
	v_div_fmas_f64 v[216:217], v[216:217], v[218:219], v[222:223]
	v_div_fixup_f64 v[226:227], v[216:217], v[214:215], 1.0
	s_delay_alu instid0(VALU_DEP_1)
	v_mul_f64 v[224:225], v[212:213], v[226:227]
	v_xor_b32_e32 v227, 0x80000000, v227
.LBB110_953:
	s_and_not1_saveexec_b32 s2, s2
	s_cbranch_execz .LBB110_955
; %bb.954:
	s_delay_alu instid0(VALU_DEP_1) | instskip(SKIP_1) | instid1(VALU_DEP_2)
	v_div_scale_f64 v[212:213], null, v[224:225], v[224:225], v[226:227]
	v_div_scale_f64 v[218:219], vcc_lo, v[226:227], v[224:225], v[226:227]
	v_rcp_f64_e32 v[214:215], v[212:213]
	s_waitcnt_depctr 0xfff
	v_fma_f64 v[216:217], -v[212:213], v[214:215], 1.0
	s_delay_alu instid0(VALU_DEP_1) | instskip(NEXT) | instid1(VALU_DEP_1)
	v_fma_f64 v[214:215], v[214:215], v[216:217], v[214:215]
	v_fma_f64 v[216:217], -v[212:213], v[214:215], 1.0
	s_delay_alu instid0(VALU_DEP_1) | instskip(NEXT) | instid1(VALU_DEP_1)
	v_fma_f64 v[214:215], v[214:215], v[216:217], v[214:215]
	v_mul_f64 v[216:217], v[218:219], v[214:215]
	s_delay_alu instid0(VALU_DEP_1) | instskip(NEXT) | instid1(VALU_DEP_1)
	v_fma_f64 v[212:213], -v[212:213], v[216:217], v[218:219]
	v_div_fmas_f64 v[212:213], v[212:213], v[214:215], v[216:217]
	s_delay_alu instid0(VALU_DEP_1) | instskip(NEXT) | instid1(VALU_DEP_1)
	v_div_fixup_f64 v[212:213], v[212:213], v[224:225], v[226:227]
	v_fma_f64 v[214:215], v[226:227], v[212:213], v[224:225]
	s_delay_alu instid0(VALU_DEP_1) | instskip(NEXT) | instid1(VALU_DEP_1)
	v_div_scale_f64 v[216:217], null, v[214:215], v[214:215], 1.0
	v_rcp_f64_e32 v[218:219], v[216:217]
	s_waitcnt_depctr 0xfff
	v_fma_f64 v[220:221], -v[216:217], v[218:219], 1.0
	s_delay_alu instid0(VALU_DEP_1) | instskip(NEXT) | instid1(VALU_DEP_1)
	v_fma_f64 v[218:219], v[218:219], v[220:221], v[218:219]
	v_fma_f64 v[220:221], -v[216:217], v[218:219], 1.0
	s_delay_alu instid0(VALU_DEP_1) | instskip(SKIP_1) | instid1(VALU_DEP_1)
	v_fma_f64 v[218:219], v[218:219], v[220:221], v[218:219]
	v_div_scale_f64 v[220:221], vcc_lo, 1.0, v[214:215], 1.0
	v_mul_f64 v[222:223], v[220:221], v[218:219]
	s_delay_alu instid0(VALU_DEP_1) | instskip(NEXT) | instid1(VALU_DEP_1)
	v_fma_f64 v[216:217], -v[216:217], v[222:223], v[220:221]
	v_div_fmas_f64 v[216:217], v[216:217], v[218:219], v[222:223]
	s_delay_alu instid0(VALU_DEP_1) | instskip(NEXT) | instid1(VALU_DEP_1)
	v_div_fixup_f64 v[224:225], v[216:217], v[214:215], 1.0
	v_mul_f64 v[226:227], v[212:213], -v[224:225]
.LBB110_955:
	s_or_b32 exec_lo, exec_lo, s2
.LBB110_956:
	s_delay_alu instid0(SALU_CYCLE_1) | instskip(NEXT) | instid1(SALU_CYCLE_1)
	s_or_b32 exec_lo, exec_lo, s3
	s_mov_b32 s2, exec_lo
	v_cmpx_ne_u32_e64 v240, v232
	s_xor_b32 s2, exec_lo, s2
	s_cbranch_execz .LBB110_962
; %bb.957:
	s_mov_b32 s3, exec_lo
	v_cmpx_eq_u32_e32 45, v240
	s_cbranch_execz .LBB110_961
; %bb.958:
	v_cmp_ne_u32_e32 vcc_lo, 45, v232
	s_xor_b32 s6, s4, -1
	s_delay_alu instid0(SALU_CYCLE_1) | instskip(NEXT) | instid1(SALU_CYCLE_1)
	s_and_b32 s7, s6, vcc_lo
	s_and_saveexec_b32 s6, s7
	s_cbranch_execz .LBB110_960
; %bb.959:
	scratch_load_b64 v[10:11], off, off     ; 8-byte Folded Reload
	v_ashrrev_i32_e32 v233, 31, v232
	s_delay_alu instid0(VALU_DEP_1) | instskip(SKIP_1) | instid1(VALU_DEP_1)
	v_lshlrev_b64 v[212:213], 2, v[232:233]
	s_waitcnt vmcnt(0)
	v_add_co_u32 v212, vcc_lo, v10, v212
	s_delay_alu instid0(VALU_DEP_2)
	v_add_co_ci_u32_e32 v213, vcc_lo, v11, v213, vcc_lo
	s_clause 0x1
	flat_load_b32 v214, v[212:213]
	flat_load_b32 v215, v[10:11] offset:180
	s_waitcnt vmcnt(1) lgkmcnt(1)
	flat_store_b32 v[10:11], v214 offset:180
	s_waitcnt vmcnt(0) lgkmcnt(1)
	flat_store_b32 v[212:213], v215
.LBB110_960:
	s_or_b32 exec_lo, exec_lo, s6
	v_mov_b32_e32 v240, v232
	v_mov_b32_e32 v239, v232
.LBB110_961:
	s_or_b32 exec_lo, exec_lo, s3
.LBB110_962:
	s_and_not1_saveexec_b32 s2, s2
	s_cbranch_execz .LBB110_964
; %bb.963:
	v_mov_b32_e32 v240, 45
	ds_store_2addr_b64 v234, v[36:37], v[38:39] offset0:92 offset1:93
	ds_store_2addr_b64 v234, v[32:33], v[34:35] offset0:94 offset1:95
	ds_store_2addr_b64 v234, v[28:29], v[30:31] offset0:96 offset1:97
	ds_store_2addr_b64 v234, v[24:25], v[26:27] offset0:98 offset1:99
	ds_store_2addr_b64 v234, v[20:21], v[22:23] offset0:100 offset1:101
	ds_store_2addr_b64 v234, v[16:17], v[18:19] offset0:102 offset1:103
	ds_store_2addr_b64 v234, v[12:13], v[14:15] offset0:104 offset1:105
	ds_store_2addr_b64 v234, v[249:250], v[251:252] offset0:106 offset1:107
	ds_store_2addr_b64 v234, v[228:229], v[230:231] offset0:108 offset1:109
	ds_store_2addr_b64 v234, v[0:1], v[2:3] offset0:110 offset1:111
.LBB110_964:
	s_or_b32 exec_lo, exec_lo, s2
	s_delay_alu instid0(SALU_CYCLE_1)
	s_mov_b32 s2, exec_lo
	s_waitcnt lgkmcnt(0)
	s_waitcnt_vscnt null, 0x0
	s_barrier
	buffer_gl0_inv
	v_cmpx_lt_i32_e32 45, v240
	s_cbranch_execz .LBB110_966
; %bb.965:
	v_mul_f64 v[212:213], v[224:225], v[42:43]
	v_mul_f64 v[42:43], v[226:227], v[42:43]
	s_delay_alu instid0(VALU_DEP_2) | instskip(NEXT) | instid1(VALU_DEP_2)
	v_fma_f64 v[212:213], v[226:227], v[40:41], v[212:213]
	v_fma_f64 v[40:41], v[224:225], v[40:41], -v[42:43]
	ds_load_2addr_b64 v[224:227], v234 offset0:92 offset1:93
	s_waitcnt lgkmcnt(0)
	v_mul_f64 v[42:43], v[226:227], v[212:213]
	v_mul_f64 v[214:215], v[224:225], v[212:213]
	s_delay_alu instid0(VALU_DEP_2) | instskip(NEXT) | instid1(VALU_DEP_2)
	v_fma_f64 v[42:43], v[224:225], v[40:41], -v[42:43]
	v_fma_f64 v[214:215], v[226:227], v[40:41], v[214:215]
	ds_load_2addr_b64 v[224:227], v234 offset0:94 offset1:95
	v_add_f64 v[36:37], v[36:37], -v[42:43]
	v_add_f64 v[38:39], v[38:39], -v[214:215]
	s_waitcnt lgkmcnt(0)
	v_mul_f64 v[42:43], v[226:227], v[212:213]
	v_mul_f64 v[214:215], v[224:225], v[212:213]
	s_delay_alu instid0(VALU_DEP_2) | instskip(NEXT) | instid1(VALU_DEP_2)
	v_fma_f64 v[42:43], v[224:225], v[40:41], -v[42:43]
	v_fma_f64 v[214:215], v[226:227], v[40:41], v[214:215]
	ds_load_2addr_b64 v[224:227], v234 offset0:96 offset1:97
	v_add_f64 v[32:33], v[32:33], -v[42:43]
	v_add_f64 v[34:35], v[34:35], -v[214:215]
	;; [unrolled: 9-line block ×9, first 2 shown]
	s_waitcnt lgkmcnt(0)
	v_mul_f64 v[42:43], v[226:227], v[212:213]
	v_mul_f64 v[214:215], v[224:225], v[212:213]
	s_delay_alu instid0(VALU_DEP_2) | instskip(NEXT) | instid1(VALU_DEP_2)
	v_fma_f64 v[42:43], v[224:225], v[40:41], -v[42:43]
	v_fma_f64 v[214:215], v[226:227], v[40:41], v[214:215]
	s_delay_alu instid0(VALU_DEP_2) | instskip(NEXT) | instid1(VALU_DEP_2)
	v_add_f64 v[0:1], v[0:1], -v[42:43]
	v_add_f64 v[2:3], v[2:3], -v[214:215]
	v_dual_mov_b32 v42, v212 :: v_dual_mov_b32 v43, v213
.LBB110_966:
	s_or_b32 exec_lo, exec_lo, s2
	v_lshl_add_u32 v212, v240, 4, v234
	s_barrier
	buffer_gl0_inv
	v_mov_b32_e32 v232, 46
	ds_store_2addr_b64 v212, v[36:37], v[38:39] offset1:1
	s_waitcnt lgkmcnt(0)
	s_barrier
	buffer_gl0_inv
	ds_load_2addr_b64 v[224:227], v234 offset0:92 offset1:93
	s_cmp_lt_i32 s5, 48
	s_cbranch_scc1 .LBB110_969
; %bb.967:
	v_add3_u32 v233, v238, 0, 0x2f0
	v_mov_b32_e32 v232, 46
	s_mov_b32 s6, 47
	s_set_inst_prefetch_distance 0x1
	.p2align	6
.LBB110_968:                            ; =>This Inner Loop Header: Depth=1
	ds_load_2addr_b64 v[241:244], v233 offset1:1
	s_waitcnt lgkmcnt(1)
	v_cmp_gt_f64_e32 vcc_lo, 0, v[224:225]
	v_xor_b32_e32 v212, 0x80000000, v225
	v_cmp_gt_f64_e64 s2, 0, v[226:227]
	v_xor_b32_e32 v214, 0x80000000, v227
	v_add_nc_u32_e32 v233, 16, v233
	s_waitcnt lgkmcnt(0)
	v_cmp_gt_f64_e64 s3, 0, v[241:242]
	v_mov_b32_e32 v216, v241
	v_dual_mov_b32 v218, v243 :: v_dual_cndmask_b32 v213, v225, v212
	v_xor_b32_e32 v212, 0x80000000, v242
	v_cndmask_b32_e64 v215, v227, v214, s2
	v_xor_b32_e32 v214, 0x80000000, v244
	s_delay_alu instid0(VALU_DEP_3) | instskip(SKIP_2) | instid1(VALU_DEP_2)
	v_cndmask_b32_e64 v217, v242, v212, s3
	v_cmp_gt_f64_e64 s3, 0, v[243:244]
	v_cndmask_b32_e32 v212, v224, v224, vcc_lo
	v_cndmask_b32_e64 v219, v244, v214, s3
	v_cndmask_b32_e64 v214, v226, v226, s2
	s_delay_alu instid0(VALU_DEP_2) | instskip(NEXT) | instid1(VALU_DEP_2)
	v_add_f64 v[216:217], v[216:217], v[218:219]
	v_add_f64 v[212:213], v[212:213], v[214:215]
	s_delay_alu instid0(VALU_DEP_1) | instskip(SKIP_4) | instid1(SALU_CYCLE_1)
	v_cmp_lt_f64_e32 vcc_lo, v[212:213], v[216:217]
	v_dual_cndmask_b32 v225, v225, v242 :: v_dual_cndmask_b32 v224, v224, v241
	v_dual_cndmask_b32 v227, v227, v244 :: v_dual_cndmask_b32 v226, v226, v243
	v_cndmask_b32_e64 v232, v232, s6, vcc_lo
	s_add_i32 s6, s6, 1
	s_cmp_lg_u32 s5, s6
	s_cbranch_scc1 .LBB110_968
.LBB110_969:
	s_set_inst_prefetch_distance 0x2
	s_waitcnt lgkmcnt(0)
	v_cmp_eq_f64_e32 vcc_lo, 0, v[224:225]
	v_cmp_eq_f64_e64 s2, 0, v[226:227]
	s_delay_alu instid0(VALU_DEP_1) | instskip(NEXT) | instid1(SALU_CYCLE_1)
	s_and_b32 s2, vcc_lo, s2
	s_and_saveexec_b32 s3, s2
	s_delay_alu instid0(SALU_CYCLE_1)
	s_xor_b32 s2, exec_lo, s3
; %bb.970:
	v_cmp_ne_u32_e32 vcc_lo, 0, v237
	v_cndmask_b32_e32 v237, 47, v237, vcc_lo
; %bb.971:
	s_and_not1_saveexec_b32 s3, s2
	s_cbranch_execz .LBB110_977
; %bb.972:
	v_cmp_gt_f64_e32 vcc_lo, 0, v[224:225]
	v_cmp_gt_f64_e64 s2, 0, v[226:227]
	v_xor_b32_e32 v212, 0x80000000, v225
	v_xor_b32_e32 v214, 0x80000000, v227
	s_delay_alu instid0(VALU_DEP_2) | instskip(NEXT) | instid1(VALU_DEP_2)
	v_cndmask_b32_e32 v213, v225, v212, vcc_lo
	v_cndmask_b32_e64 v215, v227, v214, s2
	v_cndmask_b32_e32 v212, v224, v224, vcc_lo
	v_cndmask_b32_e64 v214, v226, v226, s2
	s_mov_b32 s2, exec_lo
	s_delay_alu instid0(VALU_DEP_1)
	v_cmpx_ngt_f64_e32 v[212:213], v[214:215]
	s_xor_b32 s2, exec_lo, s2
	s_cbranch_execz .LBB110_974
; %bb.973:
	v_div_scale_f64 v[212:213], null, v[226:227], v[226:227], v[224:225]
	v_div_scale_f64 v[218:219], vcc_lo, v[224:225], v[226:227], v[224:225]
	s_delay_alu instid0(VALU_DEP_2) | instskip(SKIP_2) | instid1(VALU_DEP_1)
	v_rcp_f64_e32 v[214:215], v[212:213]
	s_waitcnt_depctr 0xfff
	v_fma_f64 v[216:217], -v[212:213], v[214:215], 1.0
	v_fma_f64 v[214:215], v[214:215], v[216:217], v[214:215]
	s_delay_alu instid0(VALU_DEP_1) | instskip(NEXT) | instid1(VALU_DEP_1)
	v_fma_f64 v[216:217], -v[212:213], v[214:215], 1.0
	v_fma_f64 v[214:215], v[214:215], v[216:217], v[214:215]
	s_delay_alu instid0(VALU_DEP_1) | instskip(NEXT) | instid1(VALU_DEP_1)
	v_mul_f64 v[216:217], v[218:219], v[214:215]
	v_fma_f64 v[212:213], -v[212:213], v[216:217], v[218:219]
	s_delay_alu instid0(VALU_DEP_1) | instskip(NEXT) | instid1(VALU_DEP_1)
	v_div_fmas_f64 v[212:213], v[212:213], v[214:215], v[216:217]
	v_div_fixup_f64 v[212:213], v[212:213], v[226:227], v[224:225]
	s_delay_alu instid0(VALU_DEP_1) | instskip(NEXT) | instid1(VALU_DEP_1)
	v_fma_f64 v[214:215], v[224:225], v[212:213], v[226:227]
	v_div_scale_f64 v[216:217], null, v[214:215], v[214:215], 1.0
	s_delay_alu instid0(VALU_DEP_1) | instskip(SKIP_2) | instid1(VALU_DEP_1)
	v_rcp_f64_e32 v[218:219], v[216:217]
	s_waitcnt_depctr 0xfff
	v_fma_f64 v[220:221], -v[216:217], v[218:219], 1.0
	v_fma_f64 v[218:219], v[218:219], v[220:221], v[218:219]
	s_delay_alu instid0(VALU_DEP_1) | instskip(NEXT) | instid1(VALU_DEP_1)
	v_fma_f64 v[220:221], -v[216:217], v[218:219], 1.0
	v_fma_f64 v[218:219], v[218:219], v[220:221], v[218:219]
	v_div_scale_f64 v[220:221], vcc_lo, 1.0, v[214:215], 1.0
	s_delay_alu instid0(VALU_DEP_1) | instskip(NEXT) | instid1(VALU_DEP_1)
	v_mul_f64 v[222:223], v[220:221], v[218:219]
	v_fma_f64 v[216:217], -v[216:217], v[222:223], v[220:221]
	s_delay_alu instid0(VALU_DEP_1) | instskip(NEXT) | instid1(VALU_DEP_1)
	v_div_fmas_f64 v[216:217], v[216:217], v[218:219], v[222:223]
	v_div_fixup_f64 v[226:227], v[216:217], v[214:215], 1.0
	s_delay_alu instid0(VALU_DEP_1)
	v_mul_f64 v[224:225], v[212:213], v[226:227]
	v_xor_b32_e32 v227, 0x80000000, v227
.LBB110_974:
	s_and_not1_saveexec_b32 s2, s2
	s_cbranch_execz .LBB110_976
; %bb.975:
	s_delay_alu instid0(VALU_DEP_1) | instskip(SKIP_1) | instid1(VALU_DEP_2)
	v_div_scale_f64 v[212:213], null, v[224:225], v[224:225], v[226:227]
	v_div_scale_f64 v[218:219], vcc_lo, v[226:227], v[224:225], v[226:227]
	v_rcp_f64_e32 v[214:215], v[212:213]
	s_waitcnt_depctr 0xfff
	v_fma_f64 v[216:217], -v[212:213], v[214:215], 1.0
	s_delay_alu instid0(VALU_DEP_1) | instskip(NEXT) | instid1(VALU_DEP_1)
	v_fma_f64 v[214:215], v[214:215], v[216:217], v[214:215]
	v_fma_f64 v[216:217], -v[212:213], v[214:215], 1.0
	s_delay_alu instid0(VALU_DEP_1) | instskip(NEXT) | instid1(VALU_DEP_1)
	v_fma_f64 v[214:215], v[214:215], v[216:217], v[214:215]
	v_mul_f64 v[216:217], v[218:219], v[214:215]
	s_delay_alu instid0(VALU_DEP_1) | instskip(NEXT) | instid1(VALU_DEP_1)
	v_fma_f64 v[212:213], -v[212:213], v[216:217], v[218:219]
	v_div_fmas_f64 v[212:213], v[212:213], v[214:215], v[216:217]
	s_delay_alu instid0(VALU_DEP_1) | instskip(NEXT) | instid1(VALU_DEP_1)
	v_div_fixup_f64 v[212:213], v[212:213], v[224:225], v[226:227]
	v_fma_f64 v[214:215], v[226:227], v[212:213], v[224:225]
	s_delay_alu instid0(VALU_DEP_1) | instskip(NEXT) | instid1(VALU_DEP_1)
	v_div_scale_f64 v[216:217], null, v[214:215], v[214:215], 1.0
	v_rcp_f64_e32 v[218:219], v[216:217]
	s_waitcnt_depctr 0xfff
	v_fma_f64 v[220:221], -v[216:217], v[218:219], 1.0
	s_delay_alu instid0(VALU_DEP_1) | instskip(NEXT) | instid1(VALU_DEP_1)
	v_fma_f64 v[218:219], v[218:219], v[220:221], v[218:219]
	v_fma_f64 v[220:221], -v[216:217], v[218:219], 1.0
	s_delay_alu instid0(VALU_DEP_1) | instskip(SKIP_1) | instid1(VALU_DEP_1)
	v_fma_f64 v[218:219], v[218:219], v[220:221], v[218:219]
	v_div_scale_f64 v[220:221], vcc_lo, 1.0, v[214:215], 1.0
	v_mul_f64 v[222:223], v[220:221], v[218:219]
	s_delay_alu instid0(VALU_DEP_1) | instskip(NEXT) | instid1(VALU_DEP_1)
	v_fma_f64 v[216:217], -v[216:217], v[222:223], v[220:221]
	v_div_fmas_f64 v[216:217], v[216:217], v[218:219], v[222:223]
	s_delay_alu instid0(VALU_DEP_1) | instskip(NEXT) | instid1(VALU_DEP_1)
	v_div_fixup_f64 v[224:225], v[216:217], v[214:215], 1.0
	v_mul_f64 v[226:227], v[212:213], -v[224:225]
.LBB110_976:
	s_or_b32 exec_lo, exec_lo, s2
.LBB110_977:
	s_delay_alu instid0(SALU_CYCLE_1) | instskip(NEXT) | instid1(SALU_CYCLE_1)
	s_or_b32 exec_lo, exec_lo, s3
	s_mov_b32 s2, exec_lo
	v_cmpx_ne_u32_e64 v240, v232
	s_xor_b32 s2, exec_lo, s2
	s_cbranch_execz .LBB110_983
; %bb.978:
	s_mov_b32 s3, exec_lo
	v_cmpx_eq_u32_e32 46, v240
	s_cbranch_execz .LBB110_982
; %bb.979:
	v_cmp_ne_u32_e32 vcc_lo, 46, v232
	s_xor_b32 s6, s4, -1
	s_delay_alu instid0(SALU_CYCLE_1) | instskip(NEXT) | instid1(SALU_CYCLE_1)
	s_and_b32 s7, s6, vcc_lo
	s_and_saveexec_b32 s6, s7
	s_cbranch_execz .LBB110_981
; %bb.980:
	scratch_load_b64 v[10:11], off, off     ; 8-byte Folded Reload
	v_ashrrev_i32_e32 v233, 31, v232
	s_delay_alu instid0(VALU_DEP_1) | instskip(SKIP_1) | instid1(VALU_DEP_1)
	v_lshlrev_b64 v[212:213], 2, v[232:233]
	s_waitcnt vmcnt(0)
	v_add_co_u32 v212, vcc_lo, v10, v212
	s_delay_alu instid0(VALU_DEP_2)
	v_add_co_ci_u32_e32 v213, vcc_lo, v11, v213, vcc_lo
	s_clause 0x1
	flat_load_b32 v214, v[212:213]
	flat_load_b32 v215, v[10:11] offset:184
	s_waitcnt vmcnt(1) lgkmcnt(1)
	flat_store_b32 v[10:11], v214 offset:184
	s_waitcnt vmcnt(0) lgkmcnt(1)
	flat_store_b32 v[212:213], v215
.LBB110_981:
	s_or_b32 exec_lo, exec_lo, s6
	v_mov_b32_e32 v240, v232
	v_mov_b32_e32 v239, v232
.LBB110_982:
	s_or_b32 exec_lo, exec_lo, s3
.LBB110_983:
	s_and_not1_saveexec_b32 s2, s2
	s_cbranch_execz .LBB110_985
; %bb.984:
	v_mov_b32_e32 v240, 46
	ds_store_2addr_b64 v234, v[32:33], v[34:35] offset0:94 offset1:95
	ds_store_2addr_b64 v234, v[28:29], v[30:31] offset0:96 offset1:97
	;; [unrolled: 1-line block ×9, first 2 shown]
.LBB110_985:
	s_or_b32 exec_lo, exec_lo, s2
	s_delay_alu instid0(SALU_CYCLE_1)
	s_mov_b32 s2, exec_lo
	s_waitcnt lgkmcnt(0)
	s_waitcnt_vscnt null, 0x0
	s_barrier
	buffer_gl0_inv
	v_cmpx_lt_i32_e32 46, v240
	s_cbranch_execz .LBB110_987
; %bb.986:
	v_mul_f64 v[212:213], v[224:225], v[38:39]
	v_mul_f64 v[38:39], v[226:227], v[38:39]
	s_delay_alu instid0(VALU_DEP_2) | instskip(NEXT) | instid1(VALU_DEP_2)
	v_fma_f64 v[212:213], v[226:227], v[36:37], v[212:213]
	v_fma_f64 v[36:37], v[224:225], v[36:37], -v[38:39]
	ds_load_2addr_b64 v[224:227], v234 offset0:94 offset1:95
	s_waitcnt lgkmcnt(0)
	v_mul_f64 v[38:39], v[226:227], v[212:213]
	v_mul_f64 v[214:215], v[224:225], v[212:213]
	s_delay_alu instid0(VALU_DEP_2) | instskip(NEXT) | instid1(VALU_DEP_2)
	v_fma_f64 v[38:39], v[224:225], v[36:37], -v[38:39]
	v_fma_f64 v[214:215], v[226:227], v[36:37], v[214:215]
	ds_load_2addr_b64 v[224:227], v234 offset0:96 offset1:97
	v_add_f64 v[32:33], v[32:33], -v[38:39]
	v_add_f64 v[34:35], v[34:35], -v[214:215]
	s_waitcnt lgkmcnt(0)
	v_mul_f64 v[38:39], v[226:227], v[212:213]
	v_mul_f64 v[214:215], v[224:225], v[212:213]
	s_delay_alu instid0(VALU_DEP_2) | instskip(NEXT) | instid1(VALU_DEP_2)
	v_fma_f64 v[38:39], v[224:225], v[36:37], -v[38:39]
	v_fma_f64 v[214:215], v[226:227], v[36:37], v[214:215]
	ds_load_2addr_b64 v[224:227], v234 offset0:98 offset1:99
	v_add_f64 v[28:29], v[28:29], -v[38:39]
	v_add_f64 v[30:31], v[30:31], -v[214:215]
	;; [unrolled: 9-line block ×8, first 2 shown]
	s_waitcnt lgkmcnt(0)
	v_mul_f64 v[38:39], v[226:227], v[212:213]
	v_mul_f64 v[214:215], v[224:225], v[212:213]
	s_delay_alu instid0(VALU_DEP_2) | instskip(NEXT) | instid1(VALU_DEP_2)
	v_fma_f64 v[38:39], v[224:225], v[36:37], -v[38:39]
	v_fma_f64 v[214:215], v[226:227], v[36:37], v[214:215]
	s_delay_alu instid0(VALU_DEP_2) | instskip(NEXT) | instid1(VALU_DEP_2)
	v_add_f64 v[0:1], v[0:1], -v[38:39]
	v_add_f64 v[2:3], v[2:3], -v[214:215]
	v_dual_mov_b32 v38, v212 :: v_dual_mov_b32 v39, v213
.LBB110_987:
	s_or_b32 exec_lo, exec_lo, s2
	v_lshl_add_u32 v212, v240, 4, v234
	s_barrier
	buffer_gl0_inv
	v_mov_b32_e32 v232, 47
	ds_store_2addr_b64 v212, v[32:33], v[34:35] offset1:1
	s_waitcnt lgkmcnt(0)
	s_barrier
	buffer_gl0_inv
	ds_load_2addr_b64 v[224:227], v234 offset0:94 offset1:95
	s_cmp_lt_i32 s5, 49
	s_cbranch_scc1 .LBB110_990
; %bb.988:
	v_add3_u32 v233, v238, 0, 0x300
	v_mov_b32_e32 v232, 47
	s_mov_b32 s6, 48
	s_set_inst_prefetch_distance 0x1
	.p2align	6
.LBB110_989:                            ; =>This Inner Loop Header: Depth=1
	ds_load_2addr_b64 v[241:244], v233 offset1:1
	s_waitcnt lgkmcnt(1)
	v_cmp_gt_f64_e32 vcc_lo, 0, v[224:225]
	v_xor_b32_e32 v212, 0x80000000, v225
	v_cmp_gt_f64_e64 s2, 0, v[226:227]
	v_xor_b32_e32 v214, 0x80000000, v227
	v_add_nc_u32_e32 v233, 16, v233
	s_waitcnt lgkmcnt(0)
	v_cmp_gt_f64_e64 s3, 0, v[241:242]
	v_mov_b32_e32 v216, v241
	v_dual_mov_b32 v218, v243 :: v_dual_cndmask_b32 v213, v225, v212
	v_xor_b32_e32 v212, 0x80000000, v242
	v_cndmask_b32_e64 v215, v227, v214, s2
	v_xor_b32_e32 v214, 0x80000000, v244
	s_delay_alu instid0(VALU_DEP_3) | instskip(SKIP_2) | instid1(VALU_DEP_2)
	v_cndmask_b32_e64 v217, v242, v212, s3
	v_cmp_gt_f64_e64 s3, 0, v[243:244]
	v_cndmask_b32_e32 v212, v224, v224, vcc_lo
	v_cndmask_b32_e64 v219, v244, v214, s3
	v_cndmask_b32_e64 v214, v226, v226, s2
	s_delay_alu instid0(VALU_DEP_2) | instskip(NEXT) | instid1(VALU_DEP_2)
	v_add_f64 v[216:217], v[216:217], v[218:219]
	v_add_f64 v[212:213], v[212:213], v[214:215]
	s_delay_alu instid0(VALU_DEP_1) | instskip(SKIP_4) | instid1(SALU_CYCLE_1)
	v_cmp_lt_f64_e32 vcc_lo, v[212:213], v[216:217]
	v_dual_cndmask_b32 v225, v225, v242 :: v_dual_cndmask_b32 v224, v224, v241
	v_dual_cndmask_b32 v227, v227, v244 :: v_dual_cndmask_b32 v226, v226, v243
	v_cndmask_b32_e64 v232, v232, s6, vcc_lo
	s_add_i32 s6, s6, 1
	s_cmp_lg_u32 s5, s6
	s_cbranch_scc1 .LBB110_989
.LBB110_990:
	s_set_inst_prefetch_distance 0x2
	s_waitcnt lgkmcnt(0)
	v_cmp_eq_f64_e32 vcc_lo, 0, v[224:225]
	v_cmp_eq_f64_e64 s2, 0, v[226:227]
	s_delay_alu instid0(VALU_DEP_1) | instskip(NEXT) | instid1(SALU_CYCLE_1)
	s_and_b32 s2, vcc_lo, s2
	s_and_saveexec_b32 s3, s2
	s_delay_alu instid0(SALU_CYCLE_1)
	s_xor_b32 s2, exec_lo, s3
; %bb.991:
	v_cmp_ne_u32_e32 vcc_lo, 0, v237
	v_cndmask_b32_e32 v237, 48, v237, vcc_lo
; %bb.992:
	s_and_not1_saveexec_b32 s3, s2
	s_cbranch_execz .LBB110_998
; %bb.993:
	v_cmp_gt_f64_e32 vcc_lo, 0, v[224:225]
	v_cmp_gt_f64_e64 s2, 0, v[226:227]
	v_xor_b32_e32 v212, 0x80000000, v225
	v_xor_b32_e32 v214, 0x80000000, v227
	s_delay_alu instid0(VALU_DEP_2) | instskip(NEXT) | instid1(VALU_DEP_2)
	v_cndmask_b32_e32 v213, v225, v212, vcc_lo
	v_cndmask_b32_e64 v215, v227, v214, s2
	v_cndmask_b32_e32 v212, v224, v224, vcc_lo
	v_cndmask_b32_e64 v214, v226, v226, s2
	s_mov_b32 s2, exec_lo
	s_delay_alu instid0(VALU_DEP_1)
	v_cmpx_ngt_f64_e32 v[212:213], v[214:215]
	s_xor_b32 s2, exec_lo, s2
	s_cbranch_execz .LBB110_995
; %bb.994:
	v_div_scale_f64 v[212:213], null, v[226:227], v[226:227], v[224:225]
	v_div_scale_f64 v[218:219], vcc_lo, v[224:225], v[226:227], v[224:225]
	s_delay_alu instid0(VALU_DEP_2) | instskip(SKIP_2) | instid1(VALU_DEP_1)
	v_rcp_f64_e32 v[214:215], v[212:213]
	s_waitcnt_depctr 0xfff
	v_fma_f64 v[216:217], -v[212:213], v[214:215], 1.0
	v_fma_f64 v[214:215], v[214:215], v[216:217], v[214:215]
	s_delay_alu instid0(VALU_DEP_1) | instskip(NEXT) | instid1(VALU_DEP_1)
	v_fma_f64 v[216:217], -v[212:213], v[214:215], 1.0
	v_fma_f64 v[214:215], v[214:215], v[216:217], v[214:215]
	s_delay_alu instid0(VALU_DEP_1) | instskip(NEXT) | instid1(VALU_DEP_1)
	v_mul_f64 v[216:217], v[218:219], v[214:215]
	v_fma_f64 v[212:213], -v[212:213], v[216:217], v[218:219]
	s_delay_alu instid0(VALU_DEP_1) | instskip(NEXT) | instid1(VALU_DEP_1)
	v_div_fmas_f64 v[212:213], v[212:213], v[214:215], v[216:217]
	v_div_fixup_f64 v[212:213], v[212:213], v[226:227], v[224:225]
	s_delay_alu instid0(VALU_DEP_1) | instskip(NEXT) | instid1(VALU_DEP_1)
	v_fma_f64 v[214:215], v[224:225], v[212:213], v[226:227]
	v_div_scale_f64 v[216:217], null, v[214:215], v[214:215], 1.0
	s_delay_alu instid0(VALU_DEP_1) | instskip(SKIP_2) | instid1(VALU_DEP_1)
	v_rcp_f64_e32 v[218:219], v[216:217]
	s_waitcnt_depctr 0xfff
	v_fma_f64 v[220:221], -v[216:217], v[218:219], 1.0
	v_fma_f64 v[218:219], v[218:219], v[220:221], v[218:219]
	s_delay_alu instid0(VALU_DEP_1) | instskip(NEXT) | instid1(VALU_DEP_1)
	v_fma_f64 v[220:221], -v[216:217], v[218:219], 1.0
	v_fma_f64 v[218:219], v[218:219], v[220:221], v[218:219]
	v_div_scale_f64 v[220:221], vcc_lo, 1.0, v[214:215], 1.0
	s_delay_alu instid0(VALU_DEP_1) | instskip(NEXT) | instid1(VALU_DEP_1)
	v_mul_f64 v[222:223], v[220:221], v[218:219]
	v_fma_f64 v[216:217], -v[216:217], v[222:223], v[220:221]
	s_delay_alu instid0(VALU_DEP_1) | instskip(NEXT) | instid1(VALU_DEP_1)
	v_div_fmas_f64 v[216:217], v[216:217], v[218:219], v[222:223]
	v_div_fixup_f64 v[226:227], v[216:217], v[214:215], 1.0
	s_delay_alu instid0(VALU_DEP_1)
	v_mul_f64 v[224:225], v[212:213], v[226:227]
	v_xor_b32_e32 v227, 0x80000000, v227
.LBB110_995:
	s_and_not1_saveexec_b32 s2, s2
	s_cbranch_execz .LBB110_997
; %bb.996:
	s_delay_alu instid0(VALU_DEP_1) | instskip(SKIP_1) | instid1(VALU_DEP_2)
	v_div_scale_f64 v[212:213], null, v[224:225], v[224:225], v[226:227]
	v_div_scale_f64 v[218:219], vcc_lo, v[226:227], v[224:225], v[226:227]
	v_rcp_f64_e32 v[214:215], v[212:213]
	s_waitcnt_depctr 0xfff
	v_fma_f64 v[216:217], -v[212:213], v[214:215], 1.0
	s_delay_alu instid0(VALU_DEP_1) | instskip(NEXT) | instid1(VALU_DEP_1)
	v_fma_f64 v[214:215], v[214:215], v[216:217], v[214:215]
	v_fma_f64 v[216:217], -v[212:213], v[214:215], 1.0
	s_delay_alu instid0(VALU_DEP_1) | instskip(NEXT) | instid1(VALU_DEP_1)
	v_fma_f64 v[214:215], v[214:215], v[216:217], v[214:215]
	v_mul_f64 v[216:217], v[218:219], v[214:215]
	s_delay_alu instid0(VALU_DEP_1) | instskip(NEXT) | instid1(VALU_DEP_1)
	v_fma_f64 v[212:213], -v[212:213], v[216:217], v[218:219]
	v_div_fmas_f64 v[212:213], v[212:213], v[214:215], v[216:217]
	s_delay_alu instid0(VALU_DEP_1) | instskip(NEXT) | instid1(VALU_DEP_1)
	v_div_fixup_f64 v[212:213], v[212:213], v[224:225], v[226:227]
	v_fma_f64 v[214:215], v[226:227], v[212:213], v[224:225]
	s_delay_alu instid0(VALU_DEP_1) | instskip(NEXT) | instid1(VALU_DEP_1)
	v_div_scale_f64 v[216:217], null, v[214:215], v[214:215], 1.0
	v_rcp_f64_e32 v[218:219], v[216:217]
	s_waitcnt_depctr 0xfff
	v_fma_f64 v[220:221], -v[216:217], v[218:219], 1.0
	s_delay_alu instid0(VALU_DEP_1) | instskip(NEXT) | instid1(VALU_DEP_1)
	v_fma_f64 v[218:219], v[218:219], v[220:221], v[218:219]
	v_fma_f64 v[220:221], -v[216:217], v[218:219], 1.0
	s_delay_alu instid0(VALU_DEP_1) | instskip(SKIP_1) | instid1(VALU_DEP_1)
	v_fma_f64 v[218:219], v[218:219], v[220:221], v[218:219]
	v_div_scale_f64 v[220:221], vcc_lo, 1.0, v[214:215], 1.0
	v_mul_f64 v[222:223], v[220:221], v[218:219]
	s_delay_alu instid0(VALU_DEP_1) | instskip(NEXT) | instid1(VALU_DEP_1)
	v_fma_f64 v[216:217], -v[216:217], v[222:223], v[220:221]
	v_div_fmas_f64 v[216:217], v[216:217], v[218:219], v[222:223]
	s_delay_alu instid0(VALU_DEP_1) | instskip(NEXT) | instid1(VALU_DEP_1)
	v_div_fixup_f64 v[224:225], v[216:217], v[214:215], 1.0
	v_mul_f64 v[226:227], v[212:213], -v[224:225]
.LBB110_997:
	s_or_b32 exec_lo, exec_lo, s2
.LBB110_998:
	s_delay_alu instid0(SALU_CYCLE_1) | instskip(NEXT) | instid1(SALU_CYCLE_1)
	s_or_b32 exec_lo, exec_lo, s3
	s_mov_b32 s2, exec_lo
	v_cmpx_ne_u32_e64 v240, v232
	s_xor_b32 s2, exec_lo, s2
	s_cbranch_execz .LBB110_1004
; %bb.999:
	s_mov_b32 s3, exec_lo
	v_cmpx_eq_u32_e32 47, v240
	s_cbranch_execz .LBB110_1003
; %bb.1000:
	v_cmp_ne_u32_e32 vcc_lo, 47, v232
	s_xor_b32 s6, s4, -1
	s_delay_alu instid0(SALU_CYCLE_1) | instskip(NEXT) | instid1(SALU_CYCLE_1)
	s_and_b32 s7, s6, vcc_lo
	s_and_saveexec_b32 s6, s7
	s_cbranch_execz .LBB110_1002
; %bb.1001:
	scratch_load_b64 v[10:11], off, off     ; 8-byte Folded Reload
	v_ashrrev_i32_e32 v233, 31, v232
	s_delay_alu instid0(VALU_DEP_1) | instskip(SKIP_1) | instid1(VALU_DEP_1)
	v_lshlrev_b64 v[212:213], 2, v[232:233]
	s_waitcnt vmcnt(0)
	v_add_co_u32 v212, vcc_lo, v10, v212
	s_delay_alu instid0(VALU_DEP_2)
	v_add_co_ci_u32_e32 v213, vcc_lo, v11, v213, vcc_lo
	s_clause 0x1
	flat_load_b32 v214, v[212:213]
	flat_load_b32 v215, v[10:11] offset:188
	s_waitcnt vmcnt(1) lgkmcnt(1)
	flat_store_b32 v[10:11], v214 offset:188
	s_waitcnt vmcnt(0) lgkmcnt(1)
	flat_store_b32 v[212:213], v215
.LBB110_1002:
	s_or_b32 exec_lo, exec_lo, s6
	v_mov_b32_e32 v240, v232
	v_mov_b32_e32 v239, v232
.LBB110_1003:
	s_or_b32 exec_lo, exec_lo, s3
.LBB110_1004:
	s_and_not1_saveexec_b32 s2, s2
	s_cbranch_execz .LBB110_1006
; %bb.1005:
	v_mov_b32_e32 v240, 47
	ds_store_2addr_b64 v234, v[28:29], v[30:31] offset0:96 offset1:97
	ds_store_2addr_b64 v234, v[24:25], v[26:27] offset0:98 offset1:99
	;; [unrolled: 1-line block ×8, first 2 shown]
.LBB110_1006:
	s_or_b32 exec_lo, exec_lo, s2
	s_delay_alu instid0(SALU_CYCLE_1)
	s_mov_b32 s2, exec_lo
	s_waitcnt lgkmcnt(0)
	s_waitcnt_vscnt null, 0x0
	s_barrier
	buffer_gl0_inv
	v_cmpx_lt_i32_e32 47, v240
	s_cbranch_execz .LBB110_1008
; %bb.1007:
	v_mul_f64 v[212:213], v[224:225], v[34:35]
	v_mul_f64 v[34:35], v[226:227], v[34:35]
	s_delay_alu instid0(VALU_DEP_2) | instskip(NEXT) | instid1(VALU_DEP_2)
	v_fma_f64 v[212:213], v[226:227], v[32:33], v[212:213]
	v_fma_f64 v[32:33], v[224:225], v[32:33], -v[34:35]
	ds_load_2addr_b64 v[224:227], v234 offset0:96 offset1:97
	s_waitcnt lgkmcnt(0)
	v_mul_f64 v[34:35], v[226:227], v[212:213]
	v_mul_f64 v[214:215], v[224:225], v[212:213]
	s_delay_alu instid0(VALU_DEP_2) | instskip(NEXT) | instid1(VALU_DEP_2)
	v_fma_f64 v[34:35], v[224:225], v[32:33], -v[34:35]
	v_fma_f64 v[214:215], v[226:227], v[32:33], v[214:215]
	ds_load_2addr_b64 v[224:227], v234 offset0:98 offset1:99
	v_add_f64 v[28:29], v[28:29], -v[34:35]
	v_add_f64 v[30:31], v[30:31], -v[214:215]
	s_waitcnt lgkmcnt(0)
	v_mul_f64 v[34:35], v[226:227], v[212:213]
	v_mul_f64 v[214:215], v[224:225], v[212:213]
	s_delay_alu instid0(VALU_DEP_2) | instskip(NEXT) | instid1(VALU_DEP_2)
	v_fma_f64 v[34:35], v[224:225], v[32:33], -v[34:35]
	v_fma_f64 v[214:215], v[226:227], v[32:33], v[214:215]
	ds_load_2addr_b64 v[224:227], v234 offset0:100 offset1:101
	v_add_f64 v[24:25], v[24:25], -v[34:35]
	v_add_f64 v[26:27], v[26:27], -v[214:215]
	;; [unrolled: 9-line block ×7, first 2 shown]
	s_waitcnt lgkmcnt(0)
	v_mul_f64 v[34:35], v[226:227], v[212:213]
	v_mul_f64 v[214:215], v[224:225], v[212:213]
	s_delay_alu instid0(VALU_DEP_2) | instskip(NEXT) | instid1(VALU_DEP_2)
	v_fma_f64 v[34:35], v[224:225], v[32:33], -v[34:35]
	v_fma_f64 v[214:215], v[226:227], v[32:33], v[214:215]
	s_delay_alu instid0(VALU_DEP_2) | instskip(NEXT) | instid1(VALU_DEP_2)
	v_add_f64 v[0:1], v[0:1], -v[34:35]
	v_add_f64 v[2:3], v[2:3], -v[214:215]
	v_dual_mov_b32 v34, v212 :: v_dual_mov_b32 v35, v213
.LBB110_1008:
	s_or_b32 exec_lo, exec_lo, s2
	v_lshl_add_u32 v212, v240, 4, v234
	s_barrier
	buffer_gl0_inv
	v_mov_b32_e32 v232, 48
	ds_store_2addr_b64 v212, v[28:29], v[30:31] offset1:1
	s_waitcnt lgkmcnt(0)
	s_barrier
	buffer_gl0_inv
	ds_load_2addr_b64 v[224:227], v234 offset0:96 offset1:97
	s_cmp_lt_i32 s5, 50
	s_cbranch_scc1 .LBB110_1011
; %bb.1009:
	v_add3_u32 v233, v238, 0, 0x310
	v_mov_b32_e32 v232, 48
	s_mov_b32 s6, 49
	s_set_inst_prefetch_distance 0x1
	.p2align	6
.LBB110_1010:                           ; =>This Inner Loop Header: Depth=1
	ds_load_2addr_b64 v[241:244], v233 offset1:1
	s_waitcnt lgkmcnt(1)
	v_cmp_gt_f64_e32 vcc_lo, 0, v[224:225]
	v_xor_b32_e32 v212, 0x80000000, v225
	v_cmp_gt_f64_e64 s2, 0, v[226:227]
	v_xor_b32_e32 v214, 0x80000000, v227
	v_add_nc_u32_e32 v233, 16, v233
	s_waitcnt lgkmcnt(0)
	v_cmp_gt_f64_e64 s3, 0, v[241:242]
	v_mov_b32_e32 v216, v241
	v_dual_mov_b32 v218, v243 :: v_dual_cndmask_b32 v213, v225, v212
	v_xor_b32_e32 v212, 0x80000000, v242
	v_cndmask_b32_e64 v215, v227, v214, s2
	v_xor_b32_e32 v214, 0x80000000, v244
	s_delay_alu instid0(VALU_DEP_3) | instskip(SKIP_2) | instid1(VALU_DEP_2)
	v_cndmask_b32_e64 v217, v242, v212, s3
	v_cmp_gt_f64_e64 s3, 0, v[243:244]
	v_cndmask_b32_e32 v212, v224, v224, vcc_lo
	v_cndmask_b32_e64 v219, v244, v214, s3
	v_cndmask_b32_e64 v214, v226, v226, s2
	s_delay_alu instid0(VALU_DEP_2) | instskip(NEXT) | instid1(VALU_DEP_2)
	v_add_f64 v[216:217], v[216:217], v[218:219]
	v_add_f64 v[212:213], v[212:213], v[214:215]
	s_delay_alu instid0(VALU_DEP_1) | instskip(SKIP_4) | instid1(SALU_CYCLE_1)
	v_cmp_lt_f64_e32 vcc_lo, v[212:213], v[216:217]
	v_dual_cndmask_b32 v225, v225, v242 :: v_dual_cndmask_b32 v224, v224, v241
	v_dual_cndmask_b32 v227, v227, v244 :: v_dual_cndmask_b32 v226, v226, v243
	v_cndmask_b32_e64 v232, v232, s6, vcc_lo
	s_add_i32 s6, s6, 1
	s_cmp_lg_u32 s5, s6
	s_cbranch_scc1 .LBB110_1010
.LBB110_1011:
	s_set_inst_prefetch_distance 0x2
	s_waitcnt lgkmcnt(0)
	v_cmp_eq_f64_e32 vcc_lo, 0, v[224:225]
	v_cmp_eq_f64_e64 s2, 0, v[226:227]
	s_delay_alu instid0(VALU_DEP_1) | instskip(NEXT) | instid1(SALU_CYCLE_1)
	s_and_b32 s2, vcc_lo, s2
	s_and_saveexec_b32 s3, s2
	s_delay_alu instid0(SALU_CYCLE_1)
	s_xor_b32 s2, exec_lo, s3
; %bb.1012:
	v_cmp_ne_u32_e32 vcc_lo, 0, v237
	v_cndmask_b32_e32 v237, 49, v237, vcc_lo
; %bb.1013:
	s_and_not1_saveexec_b32 s3, s2
	s_cbranch_execz .LBB110_1019
; %bb.1014:
	v_cmp_gt_f64_e32 vcc_lo, 0, v[224:225]
	v_cmp_gt_f64_e64 s2, 0, v[226:227]
	v_xor_b32_e32 v212, 0x80000000, v225
	v_xor_b32_e32 v214, 0x80000000, v227
	s_delay_alu instid0(VALU_DEP_2) | instskip(NEXT) | instid1(VALU_DEP_2)
	v_cndmask_b32_e32 v213, v225, v212, vcc_lo
	v_cndmask_b32_e64 v215, v227, v214, s2
	v_cndmask_b32_e32 v212, v224, v224, vcc_lo
	v_cndmask_b32_e64 v214, v226, v226, s2
	s_mov_b32 s2, exec_lo
	s_delay_alu instid0(VALU_DEP_1)
	v_cmpx_ngt_f64_e32 v[212:213], v[214:215]
	s_xor_b32 s2, exec_lo, s2
	s_cbranch_execz .LBB110_1016
; %bb.1015:
	v_div_scale_f64 v[212:213], null, v[226:227], v[226:227], v[224:225]
	v_div_scale_f64 v[218:219], vcc_lo, v[224:225], v[226:227], v[224:225]
	s_delay_alu instid0(VALU_DEP_2) | instskip(SKIP_2) | instid1(VALU_DEP_1)
	v_rcp_f64_e32 v[214:215], v[212:213]
	s_waitcnt_depctr 0xfff
	v_fma_f64 v[216:217], -v[212:213], v[214:215], 1.0
	v_fma_f64 v[214:215], v[214:215], v[216:217], v[214:215]
	s_delay_alu instid0(VALU_DEP_1) | instskip(NEXT) | instid1(VALU_DEP_1)
	v_fma_f64 v[216:217], -v[212:213], v[214:215], 1.0
	v_fma_f64 v[214:215], v[214:215], v[216:217], v[214:215]
	s_delay_alu instid0(VALU_DEP_1) | instskip(NEXT) | instid1(VALU_DEP_1)
	v_mul_f64 v[216:217], v[218:219], v[214:215]
	v_fma_f64 v[212:213], -v[212:213], v[216:217], v[218:219]
	s_delay_alu instid0(VALU_DEP_1) | instskip(NEXT) | instid1(VALU_DEP_1)
	v_div_fmas_f64 v[212:213], v[212:213], v[214:215], v[216:217]
	v_div_fixup_f64 v[212:213], v[212:213], v[226:227], v[224:225]
	s_delay_alu instid0(VALU_DEP_1) | instskip(NEXT) | instid1(VALU_DEP_1)
	v_fma_f64 v[214:215], v[224:225], v[212:213], v[226:227]
	v_div_scale_f64 v[216:217], null, v[214:215], v[214:215], 1.0
	s_delay_alu instid0(VALU_DEP_1) | instskip(SKIP_2) | instid1(VALU_DEP_1)
	v_rcp_f64_e32 v[218:219], v[216:217]
	s_waitcnt_depctr 0xfff
	v_fma_f64 v[220:221], -v[216:217], v[218:219], 1.0
	v_fma_f64 v[218:219], v[218:219], v[220:221], v[218:219]
	s_delay_alu instid0(VALU_DEP_1) | instskip(NEXT) | instid1(VALU_DEP_1)
	v_fma_f64 v[220:221], -v[216:217], v[218:219], 1.0
	v_fma_f64 v[218:219], v[218:219], v[220:221], v[218:219]
	v_div_scale_f64 v[220:221], vcc_lo, 1.0, v[214:215], 1.0
	s_delay_alu instid0(VALU_DEP_1) | instskip(NEXT) | instid1(VALU_DEP_1)
	v_mul_f64 v[222:223], v[220:221], v[218:219]
	v_fma_f64 v[216:217], -v[216:217], v[222:223], v[220:221]
	s_delay_alu instid0(VALU_DEP_1) | instskip(NEXT) | instid1(VALU_DEP_1)
	v_div_fmas_f64 v[216:217], v[216:217], v[218:219], v[222:223]
	v_div_fixup_f64 v[226:227], v[216:217], v[214:215], 1.0
	s_delay_alu instid0(VALU_DEP_1)
	v_mul_f64 v[224:225], v[212:213], v[226:227]
	v_xor_b32_e32 v227, 0x80000000, v227
.LBB110_1016:
	s_and_not1_saveexec_b32 s2, s2
	s_cbranch_execz .LBB110_1018
; %bb.1017:
	s_delay_alu instid0(VALU_DEP_1) | instskip(SKIP_1) | instid1(VALU_DEP_2)
	v_div_scale_f64 v[212:213], null, v[224:225], v[224:225], v[226:227]
	v_div_scale_f64 v[218:219], vcc_lo, v[226:227], v[224:225], v[226:227]
	v_rcp_f64_e32 v[214:215], v[212:213]
	s_waitcnt_depctr 0xfff
	v_fma_f64 v[216:217], -v[212:213], v[214:215], 1.0
	s_delay_alu instid0(VALU_DEP_1) | instskip(NEXT) | instid1(VALU_DEP_1)
	v_fma_f64 v[214:215], v[214:215], v[216:217], v[214:215]
	v_fma_f64 v[216:217], -v[212:213], v[214:215], 1.0
	s_delay_alu instid0(VALU_DEP_1) | instskip(NEXT) | instid1(VALU_DEP_1)
	v_fma_f64 v[214:215], v[214:215], v[216:217], v[214:215]
	v_mul_f64 v[216:217], v[218:219], v[214:215]
	s_delay_alu instid0(VALU_DEP_1) | instskip(NEXT) | instid1(VALU_DEP_1)
	v_fma_f64 v[212:213], -v[212:213], v[216:217], v[218:219]
	v_div_fmas_f64 v[212:213], v[212:213], v[214:215], v[216:217]
	s_delay_alu instid0(VALU_DEP_1) | instskip(NEXT) | instid1(VALU_DEP_1)
	v_div_fixup_f64 v[212:213], v[212:213], v[224:225], v[226:227]
	v_fma_f64 v[214:215], v[226:227], v[212:213], v[224:225]
	s_delay_alu instid0(VALU_DEP_1) | instskip(NEXT) | instid1(VALU_DEP_1)
	v_div_scale_f64 v[216:217], null, v[214:215], v[214:215], 1.0
	v_rcp_f64_e32 v[218:219], v[216:217]
	s_waitcnt_depctr 0xfff
	v_fma_f64 v[220:221], -v[216:217], v[218:219], 1.0
	s_delay_alu instid0(VALU_DEP_1) | instskip(NEXT) | instid1(VALU_DEP_1)
	v_fma_f64 v[218:219], v[218:219], v[220:221], v[218:219]
	v_fma_f64 v[220:221], -v[216:217], v[218:219], 1.0
	s_delay_alu instid0(VALU_DEP_1) | instskip(SKIP_1) | instid1(VALU_DEP_1)
	v_fma_f64 v[218:219], v[218:219], v[220:221], v[218:219]
	v_div_scale_f64 v[220:221], vcc_lo, 1.0, v[214:215], 1.0
	v_mul_f64 v[222:223], v[220:221], v[218:219]
	s_delay_alu instid0(VALU_DEP_1) | instskip(NEXT) | instid1(VALU_DEP_1)
	v_fma_f64 v[216:217], -v[216:217], v[222:223], v[220:221]
	v_div_fmas_f64 v[216:217], v[216:217], v[218:219], v[222:223]
	s_delay_alu instid0(VALU_DEP_1) | instskip(NEXT) | instid1(VALU_DEP_1)
	v_div_fixup_f64 v[224:225], v[216:217], v[214:215], 1.0
	v_mul_f64 v[226:227], v[212:213], -v[224:225]
.LBB110_1018:
	s_or_b32 exec_lo, exec_lo, s2
.LBB110_1019:
	s_delay_alu instid0(SALU_CYCLE_1) | instskip(NEXT) | instid1(SALU_CYCLE_1)
	s_or_b32 exec_lo, exec_lo, s3
	s_mov_b32 s2, exec_lo
	v_cmpx_ne_u32_e64 v240, v232
	s_xor_b32 s2, exec_lo, s2
	s_cbranch_execz .LBB110_1025
; %bb.1020:
	s_mov_b32 s3, exec_lo
	v_cmpx_eq_u32_e32 48, v240
	s_cbranch_execz .LBB110_1024
; %bb.1021:
	v_cmp_ne_u32_e32 vcc_lo, 48, v232
	s_xor_b32 s6, s4, -1
	s_delay_alu instid0(SALU_CYCLE_1) | instskip(NEXT) | instid1(SALU_CYCLE_1)
	s_and_b32 s7, s6, vcc_lo
	s_and_saveexec_b32 s6, s7
	s_cbranch_execz .LBB110_1023
; %bb.1022:
	scratch_load_b64 v[10:11], off, off     ; 8-byte Folded Reload
	v_ashrrev_i32_e32 v233, 31, v232
	s_delay_alu instid0(VALU_DEP_1) | instskip(SKIP_1) | instid1(VALU_DEP_1)
	v_lshlrev_b64 v[212:213], 2, v[232:233]
	s_waitcnt vmcnt(0)
	v_add_co_u32 v212, vcc_lo, v10, v212
	s_delay_alu instid0(VALU_DEP_2)
	v_add_co_ci_u32_e32 v213, vcc_lo, v11, v213, vcc_lo
	s_clause 0x1
	flat_load_b32 v214, v[212:213]
	flat_load_b32 v215, v[10:11] offset:192
	s_waitcnt vmcnt(1) lgkmcnt(1)
	flat_store_b32 v[10:11], v214 offset:192
	s_waitcnt vmcnt(0) lgkmcnt(1)
	flat_store_b32 v[212:213], v215
.LBB110_1023:
	s_or_b32 exec_lo, exec_lo, s6
	v_mov_b32_e32 v240, v232
	v_mov_b32_e32 v239, v232
.LBB110_1024:
	s_or_b32 exec_lo, exec_lo, s3
.LBB110_1025:
	s_and_not1_saveexec_b32 s2, s2
	s_cbranch_execz .LBB110_1027
; %bb.1026:
	v_mov_b32_e32 v240, 48
	ds_store_2addr_b64 v234, v[24:25], v[26:27] offset0:98 offset1:99
	ds_store_2addr_b64 v234, v[20:21], v[22:23] offset0:100 offset1:101
	;; [unrolled: 1-line block ×7, first 2 shown]
.LBB110_1027:
	s_or_b32 exec_lo, exec_lo, s2
	s_delay_alu instid0(SALU_CYCLE_1)
	s_mov_b32 s2, exec_lo
	s_waitcnt lgkmcnt(0)
	s_waitcnt_vscnt null, 0x0
	s_barrier
	buffer_gl0_inv
	v_cmpx_lt_i32_e32 48, v240
	s_cbranch_execz .LBB110_1029
; %bb.1028:
	v_mul_f64 v[212:213], v[224:225], v[30:31]
	v_mul_f64 v[30:31], v[226:227], v[30:31]
	s_delay_alu instid0(VALU_DEP_2) | instskip(NEXT) | instid1(VALU_DEP_2)
	v_fma_f64 v[212:213], v[226:227], v[28:29], v[212:213]
	v_fma_f64 v[28:29], v[224:225], v[28:29], -v[30:31]
	ds_load_2addr_b64 v[224:227], v234 offset0:98 offset1:99
	s_waitcnt lgkmcnt(0)
	v_mul_f64 v[30:31], v[226:227], v[212:213]
	v_mul_f64 v[214:215], v[224:225], v[212:213]
	s_delay_alu instid0(VALU_DEP_2) | instskip(NEXT) | instid1(VALU_DEP_2)
	v_fma_f64 v[30:31], v[224:225], v[28:29], -v[30:31]
	v_fma_f64 v[214:215], v[226:227], v[28:29], v[214:215]
	ds_load_2addr_b64 v[224:227], v234 offset0:100 offset1:101
	v_add_f64 v[24:25], v[24:25], -v[30:31]
	v_add_f64 v[26:27], v[26:27], -v[214:215]
	s_waitcnt lgkmcnt(0)
	v_mul_f64 v[30:31], v[226:227], v[212:213]
	v_mul_f64 v[214:215], v[224:225], v[212:213]
	s_delay_alu instid0(VALU_DEP_2) | instskip(NEXT) | instid1(VALU_DEP_2)
	v_fma_f64 v[30:31], v[224:225], v[28:29], -v[30:31]
	v_fma_f64 v[214:215], v[226:227], v[28:29], v[214:215]
	ds_load_2addr_b64 v[224:227], v234 offset0:102 offset1:103
	v_add_f64 v[20:21], v[20:21], -v[30:31]
	v_add_f64 v[22:23], v[22:23], -v[214:215]
	;; [unrolled: 9-line block ×6, first 2 shown]
	s_waitcnt lgkmcnt(0)
	v_mul_f64 v[30:31], v[226:227], v[212:213]
	v_mul_f64 v[214:215], v[224:225], v[212:213]
	s_delay_alu instid0(VALU_DEP_2) | instskip(NEXT) | instid1(VALU_DEP_2)
	v_fma_f64 v[30:31], v[224:225], v[28:29], -v[30:31]
	v_fma_f64 v[214:215], v[226:227], v[28:29], v[214:215]
	s_delay_alu instid0(VALU_DEP_2) | instskip(NEXT) | instid1(VALU_DEP_2)
	v_add_f64 v[0:1], v[0:1], -v[30:31]
	v_add_f64 v[2:3], v[2:3], -v[214:215]
	v_dual_mov_b32 v30, v212 :: v_dual_mov_b32 v31, v213
.LBB110_1029:
	s_or_b32 exec_lo, exec_lo, s2
	v_lshl_add_u32 v212, v240, 4, v234
	s_barrier
	buffer_gl0_inv
	v_mov_b32_e32 v232, 49
	ds_store_2addr_b64 v212, v[24:25], v[26:27] offset1:1
	s_waitcnt lgkmcnt(0)
	s_barrier
	buffer_gl0_inv
	ds_load_2addr_b64 v[224:227], v234 offset0:98 offset1:99
	s_cmp_lt_i32 s5, 51
	s_cbranch_scc1 .LBB110_1032
; %bb.1030:
	v_add3_u32 v233, v238, 0, 0x320
	v_mov_b32_e32 v232, 49
	s_mov_b32 s6, 50
	s_set_inst_prefetch_distance 0x1
	.p2align	6
.LBB110_1031:                           ; =>This Inner Loop Header: Depth=1
	ds_load_2addr_b64 v[241:244], v233 offset1:1
	s_waitcnt lgkmcnt(1)
	v_cmp_gt_f64_e32 vcc_lo, 0, v[224:225]
	v_xor_b32_e32 v212, 0x80000000, v225
	v_cmp_gt_f64_e64 s2, 0, v[226:227]
	v_xor_b32_e32 v214, 0x80000000, v227
	v_add_nc_u32_e32 v233, 16, v233
	s_waitcnt lgkmcnt(0)
	v_cmp_gt_f64_e64 s3, 0, v[241:242]
	v_mov_b32_e32 v216, v241
	v_dual_mov_b32 v218, v243 :: v_dual_cndmask_b32 v213, v225, v212
	v_xor_b32_e32 v212, 0x80000000, v242
	v_cndmask_b32_e64 v215, v227, v214, s2
	v_xor_b32_e32 v214, 0x80000000, v244
	s_delay_alu instid0(VALU_DEP_3) | instskip(SKIP_2) | instid1(VALU_DEP_2)
	v_cndmask_b32_e64 v217, v242, v212, s3
	v_cmp_gt_f64_e64 s3, 0, v[243:244]
	v_cndmask_b32_e32 v212, v224, v224, vcc_lo
	v_cndmask_b32_e64 v219, v244, v214, s3
	v_cndmask_b32_e64 v214, v226, v226, s2
	s_delay_alu instid0(VALU_DEP_2) | instskip(NEXT) | instid1(VALU_DEP_2)
	v_add_f64 v[216:217], v[216:217], v[218:219]
	v_add_f64 v[212:213], v[212:213], v[214:215]
	s_delay_alu instid0(VALU_DEP_1) | instskip(SKIP_4) | instid1(SALU_CYCLE_1)
	v_cmp_lt_f64_e32 vcc_lo, v[212:213], v[216:217]
	v_dual_cndmask_b32 v225, v225, v242 :: v_dual_cndmask_b32 v224, v224, v241
	v_dual_cndmask_b32 v227, v227, v244 :: v_dual_cndmask_b32 v226, v226, v243
	v_cndmask_b32_e64 v232, v232, s6, vcc_lo
	s_add_i32 s6, s6, 1
	s_cmp_lg_u32 s5, s6
	s_cbranch_scc1 .LBB110_1031
.LBB110_1032:
	s_set_inst_prefetch_distance 0x2
	s_waitcnt lgkmcnt(0)
	v_cmp_eq_f64_e32 vcc_lo, 0, v[224:225]
	v_cmp_eq_f64_e64 s2, 0, v[226:227]
	s_delay_alu instid0(VALU_DEP_1) | instskip(NEXT) | instid1(SALU_CYCLE_1)
	s_and_b32 s2, vcc_lo, s2
	s_and_saveexec_b32 s3, s2
	s_delay_alu instid0(SALU_CYCLE_1)
	s_xor_b32 s2, exec_lo, s3
; %bb.1033:
	v_cmp_ne_u32_e32 vcc_lo, 0, v237
	v_cndmask_b32_e32 v237, 50, v237, vcc_lo
; %bb.1034:
	s_and_not1_saveexec_b32 s3, s2
	s_cbranch_execz .LBB110_1040
; %bb.1035:
	v_cmp_gt_f64_e32 vcc_lo, 0, v[224:225]
	v_cmp_gt_f64_e64 s2, 0, v[226:227]
	v_xor_b32_e32 v212, 0x80000000, v225
	v_xor_b32_e32 v214, 0x80000000, v227
	s_delay_alu instid0(VALU_DEP_2) | instskip(NEXT) | instid1(VALU_DEP_2)
	v_cndmask_b32_e32 v213, v225, v212, vcc_lo
	v_cndmask_b32_e64 v215, v227, v214, s2
	v_cndmask_b32_e32 v212, v224, v224, vcc_lo
	v_cndmask_b32_e64 v214, v226, v226, s2
	s_mov_b32 s2, exec_lo
	s_delay_alu instid0(VALU_DEP_1)
	v_cmpx_ngt_f64_e32 v[212:213], v[214:215]
	s_xor_b32 s2, exec_lo, s2
	s_cbranch_execz .LBB110_1037
; %bb.1036:
	v_div_scale_f64 v[212:213], null, v[226:227], v[226:227], v[224:225]
	v_div_scale_f64 v[218:219], vcc_lo, v[224:225], v[226:227], v[224:225]
	s_delay_alu instid0(VALU_DEP_2) | instskip(SKIP_2) | instid1(VALU_DEP_1)
	v_rcp_f64_e32 v[214:215], v[212:213]
	s_waitcnt_depctr 0xfff
	v_fma_f64 v[216:217], -v[212:213], v[214:215], 1.0
	v_fma_f64 v[214:215], v[214:215], v[216:217], v[214:215]
	s_delay_alu instid0(VALU_DEP_1) | instskip(NEXT) | instid1(VALU_DEP_1)
	v_fma_f64 v[216:217], -v[212:213], v[214:215], 1.0
	v_fma_f64 v[214:215], v[214:215], v[216:217], v[214:215]
	s_delay_alu instid0(VALU_DEP_1) | instskip(NEXT) | instid1(VALU_DEP_1)
	v_mul_f64 v[216:217], v[218:219], v[214:215]
	v_fma_f64 v[212:213], -v[212:213], v[216:217], v[218:219]
	s_delay_alu instid0(VALU_DEP_1) | instskip(NEXT) | instid1(VALU_DEP_1)
	v_div_fmas_f64 v[212:213], v[212:213], v[214:215], v[216:217]
	v_div_fixup_f64 v[212:213], v[212:213], v[226:227], v[224:225]
	s_delay_alu instid0(VALU_DEP_1) | instskip(NEXT) | instid1(VALU_DEP_1)
	v_fma_f64 v[214:215], v[224:225], v[212:213], v[226:227]
	v_div_scale_f64 v[216:217], null, v[214:215], v[214:215], 1.0
	s_delay_alu instid0(VALU_DEP_1) | instskip(SKIP_2) | instid1(VALU_DEP_1)
	v_rcp_f64_e32 v[218:219], v[216:217]
	s_waitcnt_depctr 0xfff
	v_fma_f64 v[220:221], -v[216:217], v[218:219], 1.0
	v_fma_f64 v[218:219], v[218:219], v[220:221], v[218:219]
	s_delay_alu instid0(VALU_DEP_1) | instskip(NEXT) | instid1(VALU_DEP_1)
	v_fma_f64 v[220:221], -v[216:217], v[218:219], 1.0
	v_fma_f64 v[218:219], v[218:219], v[220:221], v[218:219]
	v_div_scale_f64 v[220:221], vcc_lo, 1.0, v[214:215], 1.0
	s_delay_alu instid0(VALU_DEP_1) | instskip(NEXT) | instid1(VALU_DEP_1)
	v_mul_f64 v[222:223], v[220:221], v[218:219]
	v_fma_f64 v[216:217], -v[216:217], v[222:223], v[220:221]
	s_delay_alu instid0(VALU_DEP_1) | instskip(NEXT) | instid1(VALU_DEP_1)
	v_div_fmas_f64 v[216:217], v[216:217], v[218:219], v[222:223]
	v_div_fixup_f64 v[226:227], v[216:217], v[214:215], 1.0
	s_delay_alu instid0(VALU_DEP_1)
	v_mul_f64 v[224:225], v[212:213], v[226:227]
	v_xor_b32_e32 v227, 0x80000000, v227
.LBB110_1037:
	s_and_not1_saveexec_b32 s2, s2
	s_cbranch_execz .LBB110_1039
; %bb.1038:
	s_delay_alu instid0(VALU_DEP_1) | instskip(SKIP_1) | instid1(VALU_DEP_2)
	v_div_scale_f64 v[212:213], null, v[224:225], v[224:225], v[226:227]
	v_div_scale_f64 v[218:219], vcc_lo, v[226:227], v[224:225], v[226:227]
	v_rcp_f64_e32 v[214:215], v[212:213]
	s_waitcnt_depctr 0xfff
	v_fma_f64 v[216:217], -v[212:213], v[214:215], 1.0
	s_delay_alu instid0(VALU_DEP_1) | instskip(NEXT) | instid1(VALU_DEP_1)
	v_fma_f64 v[214:215], v[214:215], v[216:217], v[214:215]
	v_fma_f64 v[216:217], -v[212:213], v[214:215], 1.0
	s_delay_alu instid0(VALU_DEP_1) | instskip(NEXT) | instid1(VALU_DEP_1)
	v_fma_f64 v[214:215], v[214:215], v[216:217], v[214:215]
	v_mul_f64 v[216:217], v[218:219], v[214:215]
	s_delay_alu instid0(VALU_DEP_1) | instskip(NEXT) | instid1(VALU_DEP_1)
	v_fma_f64 v[212:213], -v[212:213], v[216:217], v[218:219]
	v_div_fmas_f64 v[212:213], v[212:213], v[214:215], v[216:217]
	s_delay_alu instid0(VALU_DEP_1) | instskip(NEXT) | instid1(VALU_DEP_1)
	v_div_fixup_f64 v[212:213], v[212:213], v[224:225], v[226:227]
	v_fma_f64 v[214:215], v[226:227], v[212:213], v[224:225]
	s_delay_alu instid0(VALU_DEP_1) | instskip(NEXT) | instid1(VALU_DEP_1)
	v_div_scale_f64 v[216:217], null, v[214:215], v[214:215], 1.0
	v_rcp_f64_e32 v[218:219], v[216:217]
	s_waitcnt_depctr 0xfff
	v_fma_f64 v[220:221], -v[216:217], v[218:219], 1.0
	s_delay_alu instid0(VALU_DEP_1) | instskip(NEXT) | instid1(VALU_DEP_1)
	v_fma_f64 v[218:219], v[218:219], v[220:221], v[218:219]
	v_fma_f64 v[220:221], -v[216:217], v[218:219], 1.0
	s_delay_alu instid0(VALU_DEP_1) | instskip(SKIP_1) | instid1(VALU_DEP_1)
	v_fma_f64 v[218:219], v[218:219], v[220:221], v[218:219]
	v_div_scale_f64 v[220:221], vcc_lo, 1.0, v[214:215], 1.0
	v_mul_f64 v[222:223], v[220:221], v[218:219]
	s_delay_alu instid0(VALU_DEP_1) | instskip(NEXT) | instid1(VALU_DEP_1)
	v_fma_f64 v[216:217], -v[216:217], v[222:223], v[220:221]
	v_div_fmas_f64 v[216:217], v[216:217], v[218:219], v[222:223]
	s_delay_alu instid0(VALU_DEP_1) | instskip(NEXT) | instid1(VALU_DEP_1)
	v_div_fixup_f64 v[224:225], v[216:217], v[214:215], 1.0
	v_mul_f64 v[226:227], v[212:213], -v[224:225]
.LBB110_1039:
	s_or_b32 exec_lo, exec_lo, s2
.LBB110_1040:
	s_delay_alu instid0(SALU_CYCLE_1) | instskip(NEXT) | instid1(SALU_CYCLE_1)
	s_or_b32 exec_lo, exec_lo, s3
	s_mov_b32 s2, exec_lo
	v_cmpx_ne_u32_e64 v240, v232
	s_xor_b32 s2, exec_lo, s2
	s_cbranch_execz .LBB110_1046
; %bb.1041:
	s_mov_b32 s3, exec_lo
	v_cmpx_eq_u32_e32 49, v240
	s_cbranch_execz .LBB110_1045
; %bb.1042:
	v_cmp_ne_u32_e32 vcc_lo, 49, v232
	s_xor_b32 s6, s4, -1
	s_delay_alu instid0(SALU_CYCLE_1) | instskip(NEXT) | instid1(SALU_CYCLE_1)
	s_and_b32 s7, s6, vcc_lo
	s_and_saveexec_b32 s6, s7
	s_cbranch_execz .LBB110_1044
; %bb.1043:
	scratch_load_b64 v[10:11], off, off     ; 8-byte Folded Reload
	v_ashrrev_i32_e32 v233, 31, v232
	s_delay_alu instid0(VALU_DEP_1) | instskip(SKIP_1) | instid1(VALU_DEP_1)
	v_lshlrev_b64 v[212:213], 2, v[232:233]
	s_waitcnt vmcnt(0)
	v_add_co_u32 v212, vcc_lo, v10, v212
	s_delay_alu instid0(VALU_DEP_2)
	v_add_co_ci_u32_e32 v213, vcc_lo, v11, v213, vcc_lo
	s_clause 0x1
	flat_load_b32 v214, v[212:213]
	flat_load_b32 v215, v[10:11] offset:196
	s_waitcnt vmcnt(1) lgkmcnt(1)
	flat_store_b32 v[10:11], v214 offset:196
	s_waitcnt vmcnt(0) lgkmcnt(1)
	flat_store_b32 v[212:213], v215
.LBB110_1044:
	s_or_b32 exec_lo, exec_lo, s6
	v_mov_b32_e32 v240, v232
	v_mov_b32_e32 v239, v232
.LBB110_1045:
	s_or_b32 exec_lo, exec_lo, s3
.LBB110_1046:
	s_and_not1_saveexec_b32 s2, s2
	s_cbranch_execz .LBB110_1048
; %bb.1047:
	v_mov_b32_e32 v240, 49
	ds_store_2addr_b64 v234, v[20:21], v[22:23] offset0:100 offset1:101
	ds_store_2addr_b64 v234, v[16:17], v[18:19] offset0:102 offset1:103
	ds_store_2addr_b64 v234, v[12:13], v[14:15] offset0:104 offset1:105
	ds_store_2addr_b64 v234, v[249:250], v[251:252] offset0:106 offset1:107
	ds_store_2addr_b64 v234, v[228:229], v[230:231] offset0:108 offset1:109
	ds_store_2addr_b64 v234, v[0:1], v[2:3] offset0:110 offset1:111
.LBB110_1048:
	s_or_b32 exec_lo, exec_lo, s2
	s_delay_alu instid0(SALU_CYCLE_1)
	s_mov_b32 s2, exec_lo
	s_waitcnt lgkmcnt(0)
	s_waitcnt_vscnt null, 0x0
	s_barrier
	buffer_gl0_inv
	v_cmpx_lt_i32_e32 49, v240
	s_cbranch_execz .LBB110_1050
; %bb.1049:
	v_mul_f64 v[212:213], v[224:225], v[26:27]
	v_mul_f64 v[26:27], v[226:227], v[26:27]
	s_delay_alu instid0(VALU_DEP_2) | instskip(NEXT) | instid1(VALU_DEP_2)
	v_fma_f64 v[212:213], v[226:227], v[24:25], v[212:213]
	v_fma_f64 v[24:25], v[224:225], v[24:25], -v[26:27]
	ds_load_2addr_b64 v[224:227], v234 offset0:100 offset1:101
	s_waitcnt lgkmcnt(0)
	v_mul_f64 v[26:27], v[226:227], v[212:213]
	v_mul_f64 v[214:215], v[224:225], v[212:213]
	s_delay_alu instid0(VALU_DEP_2) | instskip(NEXT) | instid1(VALU_DEP_2)
	v_fma_f64 v[26:27], v[224:225], v[24:25], -v[26:27]
	v_fma_f64 v[214:215], v[226:227], v[24:25], v[214:215]
	ds_load_2addr_b64 v[224:227], v234 offset0:102 offset1:103
	v_add_f64 v[20:21], v[20:21], -v[26:27]
	v_add_f64 v[22:23], v[22:23], -v[214:215]
	s_waitcnt lgkmcnt(0)
	v_mul_f64 v[26:27], v[226:227], v[212:213]
	v_mul_f64 v[214:215], v[224:225], v[212:213]
	s_delay_alu instid0(VALU_DEP_2) | instskip(NEXT) | instid1(VALU_DEP_2)
	v_fma_f64 v[26:27], v[224:225], v[24:25], -v[26:27]
	v_fma_f64 v[214:215], v[226:227], v[24:25], v[214:215]
	ds_load_2addr_b64 v[224:227], v234 offset0:104 offset1:105
	v_add_f64 v[16:17], v[16:17], -v[26:27]
	v_add_f64 v[18:19], v[18:19], -v[214:215]
	;; [unrolled: 9-line block ×5, first 2 shown]
	s_waitcnt lgkmcnt(0)
	v_mul_f64 v[26:27], v[226:227], v[212:213]
	v_mul_f64 v[214:215], v[224:225], v[212:213]
	s_delay_alu instid0(VALU_DEP_2) | instskip(NEXT) | instid1(VALU_DEP_2)
	v_fma_f64 v[26:27], v[224:225], v[24:25], -v[26:27]
	v_fma_f64 v[214:215], v[226:227], v[24:25], v[214:215]
	s_delay_alu instid0(VALU_DEP_2) | instskip(NEXT) | instid1(VALU_DEP_2)
	v_add_f64 v[0:1], v[0:1], -v[26:27]
	v_add_f64 v[2:3], v[2:3], -v[214:215]
	v_dual_mov_b32 v26, v212 :: v_dual_mov_b32 v27, v213
.LBB110_1050:
	s_or_b32 exec_lo, exec_lo, s2
	v_lshl_add_u32 v212, v240, 4, v234
	s_barrier
	buffer_gl0_inv
	v_mov_b32_e32 v232, 50
	ds_store_2addr_b64 v212, v[20:21], v[22:23] offset1:1
	s_waitcnt lgkmcnt(0)
	s_barrier
	buffer_gl0_inv
	ds_load_2addr_b64 v[224:227], v234 offset0:100 offset1:101
	s_cmp_lt_i32 s5, 52
	s_cbranch_scc1 .LBB110_1053
; %bb.1051:
	v_add3_u32 v233, v238, 0, 0x330
	v_mov_b32_e32 v232, 50
	s_mov_b32 s6, 51
	s_set_inst_prefetch_distance 0x1
	.p2align	6
.LBB110_1052:                           ; =>This Inner Loop Header: Depth=1
	ds_load_2addr_b64 v[241:244], v233 offset1:1
	s_waitcnt lgkmcnt(1)
	v_cmp_gt_f64_e32 vcc_lo, 0, v[224:225]
	v_xor_b32_e32 v212, 0x80000000, v225
	v_cmp_gt_f64_e64 s2, 0, v[226:227]
	v_xor_b32_e32 v214, 0x80000000, v227
	v_add_nc_u32_e32 v233, 16, v233
	s_waitcnt lgkmcnt(0)
	v_cmp_gt_f64_e64 s3, 0, v[241:242]
	v_mov_b32_e32 v216, v241
	v_dual_mov_b32 v218, v243 :: v_dual_cndmask_b32 v213, v225, v212
	v_xor_b32_e32 v212, 0x80000000, v242
	v_cndmask_b32_e64 v215, v227, v214, s2
	v_xor_b32_e32 v214, 0x80000000, v244
	s_delay_alu instid0(VALU_DEP_3) | instskip(SKIP_2) | instid1(VALU_DEP_2)
	v_cndmask_b32_e64 v217, v242, v212, s3
	v_cmp_gt_f64_e64 s3, 0, v[243:244]
	v_cndmask_b32_e32 v212, v224, v224, vcc_lo
	v_cndmask_b32_e64 v219, v244, v214, s3
	v_cndmask_b32_e64 v214, v226, v226, s2
	s_delay_alu instid0(VALU_DEP_2) | instskip(NEXT) | instid1(VALU_DEP_2)
	v_add_f64 v[216:217], v[216:217], v[218:219]
	v_add_f64 v[212:213], v[212:213], v[214:215]
	s_delay_alu instid0(VALU_DEP_1) | instskip(SKIP_4) | instid1(SALU_CYCLE_1)
	v_cmp_lt_f64_e32 vcc_lo, v[212:213], v[216:217]
	v_dual_cndmask_b32 v225, v225, v242 :: v_dual_cndmask_b32 v224, v224, v241
	v_dual_cndmask_b32 v227, v227, v244 :: v_dual_cndmask_b32 v226, v226, v243
	v_cndmask_b32_e64 v232, v232, s6, vcc_lo
	s_add_i32 s6, s6, 1
	s_cmp_lg_u32 s5, s6
	s_cbranch_scc1 .LBB110_1052
.LBB110_1053:
	s_set_inst_prefetch_distance 0x2
	s_waitcnt lgkmcnt(0)
	v_cmp_eq_f64_e32 vcc_lo, 0, v[224:225]
	v_cmp_eq_f64_e64 s2, 0, v[226:227]
	s_delay_alu instid0(VALU_DEP_1) | instskip(NEXT) | instid1(SALU_CYCLE_1)
	s_and_b32 s2, vcc_lo, s2
	s_and_saveexec_b32 s3, s2
	s_delay_alu instid0(SALU_CYCLE_1)
	s_xor_b32 s2, exec_lo, s3
; %bb.1054:
	v_cmp_ne_u32_e32 vcc_lo, 0, v237
	v_cndmask_b32_e32 v237, 51, v237, vcc_lo
; %bb.1055:
	s_and_not1_saveexec_b32 s3, s2
	s_cbranch_execz .LBB110_1061
; %bb.1056:
	v_cmp_gt_f64_e32 vcc_lo, 0, v[224:225]
	v_cmp_gt_f64_e64 s2, 0, v[226:227]
	v_xor_b32_e32 v212, 0x80000000, v225
	v_xor_b32_e32 v214, 0x80000000, v227
	s_delay_alu instid0(VALU_DEP_2) | instskip(NEXT) | instid1(VALU_DEP_2)
	v_cndmask_b32_e32 v213, v225, v212, vcc_lo
	v_cndmask_b32_e64 v215, v227, v214, s2
	v_cndmask_b32_e32 v212, v224, v224, vcc_lo
	v_cndmask_b32_e64 v214, v226, v226, s2
	s_mov_b32 s2, exec_lo
	s_delay_alu instid0(VALU_DEP_1)
	v_cmpx_ngt_f64_e32 v[212:213], v[214:215]
	s_xor_b32 s2, exec_lo, s2
	s_cbranch_execz .LBB110_1058
; %bb.1057:
	v_div_scale_f64 v[212:213], null, v[226:227], v[226:227], v[224:225]
	v_div_scale_f64 v[218:219], vcc_lo, v[224:225], v[226:227], v[224:225]
	s_delay_alu instid0(VALU_DEP_2) | instskip(SKIP_2) | instid1(VALU_DEP_1)
	v_rcp_f64_e32 v[214:215], v[212:213]
	s_waitcnt_depctr 0xfff
	v_fma_f64 v[216:217], -v[212:213], v[214:215], 1.0
	v_fma_f64 v[214:215], v[214:215], v[216:217], v[214:215]
	s_delay_alu instid0(VALU_DEP_1) | instskip(NEXT) | instid1(VALU_DEP_1)
	v_fma_f64 v[216:217], -v[212:213], v[214:215], 1.0
	v_fma_f64 v[214:215], v[214:215], v[216:217], v[214:215]
	s_delay_alu instid0(VALU_DEP_1) | instskip(NEXT) | instid1(VALU_DEP_1)
	v_mul_f64 v[216:217], v[218:219], v[214:215]
	v_fma_f64 v[212:213], -v[212:213], v[216:217], v[218:219]
	s_delay_alu instid0(VALU_DEP_1) | instskip(NEXT) | instid1(VALU_DEP_1)
	v_div_fmas_f64 v[212:213], v[212:213], v[214:215], v[216:217]
	v_div_fixup_f64 v[212:213], v[212:213], v[226:227], v[224:225]
	s_delay_alu instid0(VALU_DEP_1) | instskip(NEXT) | instid1(VALU_DEP_1)
	v_fma_f64 v[214:215], v[224:225], v[212:213], v[226:227]
	v_div_scale_f64 v[216:217], null, v[214:215], v[214:215], 1.0
	s_delay_alu instid0(VALU_DEP_1) | instskip(SKIP_2) | instid1(VALU_DEP_1)
	v_rcp_f64_e32 v[218:219], v[216:217]
	s_waitcnt_depctr 0xfff
	v_fma_f64 v[220:221], -v[216:217], v[218:219], 1.0
	v_fma_f64 v[218:219], v[218:219], v[220:221], v[218:219]
	s_delay_alu instid0(VALU_DEP_1) | instskip(NEXT) | instid1(VALU_DEP_1)
	v_fma_f64 v[220:221], -v[216:217], v[218:219], 1.0
	v_fma_f64 v[218:219], v[218:219], v[220:221], v[218:219]
	v_div_scale_f64 v[220:221], vcc_lo, 1.0, v[214:215], 1.0
	s_delay_alu instid0(VALU_DEP_1) | instskip(NEXT) | instid1(VALU_DEP_1)
	v_mul_f64 v[222:223], v[220:221], v[218:219]
	v_fma_f64 v[216:217], -v[216:217], v[222:223], v[220:221]
	s_delay_alu instid0(VALU_DEP_1) | instskip(NEXT) | instid1(VALU_DEP_1)
	v_div_fmas_f64 v[216:217], v[216:217], v[218:219], v[222:223]
	v_div_fixup_f64 v[226:227], v[216:217], v[214:215], 1.0
	s_delay_alu instid0(VALU_DEP_1)
	v_mul_f64 v[224:225], v[212:213], v[226:227]
	v_xor_b32_e32 v227, 0x80000000, v227
.LBB110_1058:
	s_and_not1_saveexec_b32 s2, s2
	s_cbranch_execz .LBB110_1060
; %bb.1059:
	s_delay_alu instid0(VALU_DEP_1) | instskip(SKIP_1) | instid1(VALU_DEP_2)
	v_div_scale_f64 v[212:213], null, v[224:225], v[224:225], v[226:227]
	v_div_scale_f64 v[218:219], vcc_lo, v[226:227], v[224:225], v[226:227]
	v_rcp_f64_e32 v[214:215], v[212:213]
	s_waitcnt_depctr 0xfff
	v_fma_f64 v[216:217], -v[212:213], v[214:215], 1.0
	s_delay_alu instid0(VALU_DEP_1) | instskip(NEXT) | instid1(VALU_DEP_1)
	v_fma_f64 v[214:215], v[214:215], v[216:217], v[214:215]
	v_fma_f64 v[216:217], -v[212:213], v[214:215], 1.0
	s_delay_alu instid0(VALU_DEP_1) | instskip(NEXT) | instid1(VALU_DEP_1)
	v_fma_f64 v[214:215], v[214:215], v[216:217], v[214:215]
	v_mul_f64 v[216:217], v[218:219], v[214:215]
	s_delay_alu instid0(VALU_DEP_1) | instskip(NEXT) | instid1(VALU_DEP_1)
	v_fma_f64 v[212:213], -v[212:213], v[216:217], v[218:219]
	v_div_fmas_f64 v[212:213], v[212:213], v[214:215], v[216:217]
	s_delay_alu instid0(VALU_DEP_1) | instskip(NEXT) | instid1(VALU_DEP_1)
	v_div_fixup_f64 v[212:213], v[212:213], v[224:225], v[226:227]
	v_fma_f64 v[214:215], v[226:227], v[212:213], v[224:225]
	s_delay_alu instid0(VALU_DEP_1) | instskip(NEXT) | instid1(VALU_DEP_1)
	v_div_scale_f64 v[216:217], null, v[214:215], v[214:215], 1.0
	v_rcp_f64_e32 v[218:219], v[216:217]
	s_waitcnt_depctr 0xfff
	v_fma_f64 v[220:221], -v[216:217], v[218:219], 1.0
	s_delay_alu instid0(VALU_DEP_1) | instskip(NEXT) | instid1(VALU_DEP_1)
	v_fma_f64 v[218:219], v[218:219], v[220:221], v[218:219]
	v_fma_f64 v[220:221], -v[216:217], v[218:219], 1.0
	s_delay_alu instid0(VALU_DEP_1) | instskip(SKIP_1) | instid1(VALU_DEP_1)
	v_fma_f64 v[218:219], v[218:219], v[220:221], v[218:219]
	v_div_scale_f64 v[220:221], vcc_lo, 1.0, v[214:215], 1.0
	v_mul_f64 v[222:223], v[220:221], v[218:219]
	s_delay_alu instid0(VALU_DEP_1) | instskip(NEXT) | instid1(VALU_DEP_1)
	v_fma_f64 v[216:217], -v[216:217], v[222:223], v[220:221]
	v_div_fmas_f64 v[216:217], v[216:217], v[218:219], v[222:223]
	s_delay_alu instid0(VALU_DEP_1) | instskip(NEXT) | instid1(VALU_DEP_1)
	v_div_fixup_f64 v[224:225], v[216:217], v[214:215], 1.0
	v_mul_f64 v[226:227], v[212:213], -v[224:225]
.LBB110_1060:
	s_or_b32 exec_lo, exec_lo, s2
.LBB110_1061:
	s_delay_alu instid0(SALU_CYCLE_1) | instskip(NEXT) | instid1(SALU_CYCLE_1)
	s_or_b32 exec_lo, exec_lo, s3
	s_mov_b32 s2, exec_lo
	v_cmpx_ne_u32_e64 v240, v232
	s_xor_b32 s2, exec_lo, s2
	s_cbranch_execz .LBB110_1067
; %bb.1062:
	s_mov_b32 s3, exec_lo
	v_cmpx_eq_u32_e32 50, v240
	s_cbranch_execz .LBB110_1066
; %bb.1063:
	v_cmp_ne_u32_e32 vcc_lo, 50, v232
	s_xor_b32 s6, s4, -1
	s_delay_alu instid0(SALU_CYCLE_1) | instskip(NEXT) | instid1(SALU_CYCLE_1)
	s_and_b32 s7, s6, vcc_lo
	s_and_saveexec_b32 s6, s7
	s_cbranch_execz .LBB110_1065
; %bb.1064:
	scratch_load_b64 v[10:11], off, off     ; 8-byte Folded Reload
	v_ashrrev_i32_e32 v233, 31, v232
	s_delay_alu instid0(VALU_DEP_1) | instskip(SKIP_1) | instid1(VALU_DEP_1)
	v_lshlrev_b64 v[212:213], 2, v[232:233]
	s_waitcnt vmcnt(0)
	v_add_co_u32 v212, vcc_lo, v10, v212
	s_delay_alu instid0(VALU_DEP_2)
	v_add_co_ci_u32_e32 v213, vcc_lo, v11, v213, vcc_lo
	s_clause 0x1
	flat_load_b32 v214, v[212:213]
	flat_load_b32 v215, v[10:11] offset:200
	s_waitcnt vmcnt(1) lgkmcnt(1)
	flat_store_b32 v[10:11], v214 offset:200
	s_waitcnt vmcnt(0) lgkmcnt(1)
	flat_store_b32 v[212:213], v215
.LBB110_1065:
	s_or_b32 exec_lo, exec_lo, s6
	v_mov_b32_e32 v240, v232
	v_mov_b32_e32 v239, v232
.LBB110_1066:
	s_or_b32 exec_lo, exec_lo, s3
.LBB110_1067:
	s_and_not1_saveexec_b32 s2, s2
	s_cbranch_execz .LBB110_1069
; %bb.1068:
	v_mov_b32_e32 v240, 50
	ds_store_2addr_b64 v234, v[16:17], v[18:19] offset0:102 offset1:103
	ds_store_2addr_b64 v234, v[12:13], v[14:15] offset0:104 offset1:105
	;; [unrolled: 1-line block ×5, first 2 shown]
.LBB110_1069:
	s_or_b32 exec_lo, exec_lo, s2
	s_delay_alu instid0(SALU_CYCLE_1)
	s_mov_b32 s2, exec_lo
	s_waitcnt lgkmcnt(0)
	s_waitcnt_vscnt null, 0x0
	s_barrier
	buffer_gl0_inv
	v_cmpx_lt_i32_e32 50, v240
	s_cbranch_execz .LBB110_1071
; %bb.1070:
	v_mul_f64 v[212:213], v[224:225], v[22:23]
	v_mul_f64 v[22:23], v[226:227], v[22:23]
	s_delay_alu instid0(VALU_DEP_2) | instskip(NEXT) | instid1(VALU_DEP_2)
	v_fma_f64 v[212:213], v[226:227], v[20:21], v[212:213]
	v_fma_f64 v[20:21], v[224:225], v[20:21], -v[22:23]
	ds_load_2addr_b64 v[224:227], v234 offset0:102 offset1:103
	s_waitcnt lgkmcnt(0)
	v_mul_f64 v[22:23], v[226:227], v[212:213]
	v_mul_f64 v[214:215], v[224:225], v[212:213]
	s_delay_alu instid0(VALU_DEP_2) | instskip(NEXT) | instid1(VALU_DEP_2)
	v_fma_f64 v[22:23], v[224:225], v[20:21], -v[22:23]
	v_fma_f64 v[214:215], v[226:227], v[20:21], v[214:215]
	ds_load_2addr_b64 v[224:227], v234 offset0:104 offset1:105
	v_add_f64 v[16:17], v[16:17], -v[22:23]
	v_add_f64 v[18:19], v[18:19], -v[214:215]
	s_waitcnt lgkmcnt(0)
	v_mul_f64 v[22:23], v[226:227], v[212:213]
	v_mul_f64 v[214:215], v[224:225], v[212:213]
	s_delay_alu instid0(VALU_DEP_2) | instskip(NEXT) | instid1(VALU_DEP_2)
	v_fma_f64 v[22:23], v[224:225], v[20:21], -v[22:23]
	v_fma_f64 v[214:215], v[226:227], v[20:21], v[214:215]
	ds_load_2addr_b64 v[224:227], v234 offset0:106 offset1:107
	v_add_f64 v[12:13], v[12:13], -v[22:23]
	v_add_f64 v[14:15], v[14:15], -v[214:215]
	;; [unrolled: 9-line block ×4, first 2 shown]
	s_waitcnt lgkmcnt(0)
	v_mul_f64 v[22:23], v[226:227], v[212:213]
	v_mul_f64 v[214:215], v[224:225], v[212:213]
	s_delay_alu instid0(VALU_DEP_2) | instskip(NEXT) | instid1(VALU_DEP_2)
	v_fma_f64 v[22:23], v[224:225], v[20:21], -v[22:23]
	v_fma_f64 v[214:215], v[226:227], v[20:21], v[214:215]
	s_delay_alu instid0(VALU_DEP_2) | instskip(NEXT) | instid1(VALU_DEP_2)
	v_add_f64 v[0:1], v[0:1], -v[22:23]
	v_add_f64 v[2:3], v[2:3], -v[214:215]
	v_dual_mov_b32 v22, v212 :: v_dual_mov_b32 v23, v213
.LBB110_1071:
	s_or_b32 exec_lo, exec_lo, s2
	v_lshl_add_u32 v212, v240, 4, v234
	s_barrier
	buffer_gl0_inv
	v_mov_b32_e32 v232, 51
	ds_store_2addr_b64 v212, v[16:17], v[18:19] offset1:1
	s_waitcnt lgkmcnt(0)
	s_barrier
	buffer_gl0_inv
	ds_load_2addr_b64 v[224:227], v234 offset0:102 offset1:103
	s_cmp_lt_i32 s5, 53
	s_cbranch_scc1 .LBB110_1074
; %bb.1072:
	v_add3_u32 v233, v238, 0, 0x340
	v_mov_b32_e32 v232, 51
	s_mov_b32 s6, 52
	s_set_inst_prefetch_distance 0x1
	.p2align	6
.LBB110_1073:                           ; =>This Inner Loop Header: Depth=1
	ds_load_2addr_b64 v[241:244], v233 offset1:1
	s_waitcnt lgkmcnt(1)
	v_cmp_gt_f64_e32 vcc_lo, 0, v[224:225]
	v_xor_b32_e32 v212, 0x80000000, v225
	v_cmp_gt_f64_e64 s2, 0, v[226:227]
	v_xor_b32_e32 v214, 0x80000000, v227
	v_add_nc_u32_e32 v233, 16, v233
	s_waitcnt lgkmcnt(0)
	v_cmp_gt_f64_e64 s3, 0, v[241:242]
	v_mov_b32_e32 v216, v241
	v_dual_mov_b32 v218, v243 :: v_dual_cndmask_b32 v213, v225, v212
	v_xor_b32_e32 v212, 0x80000000, v242
	v_cndmask_b32_e64 v215, v227, v214, s2
	v_xor_b32_e32 v214, 0x80000000, v244
	s_delay_alu instid0(VALU_DEP_3) | instskip(SKIP_2) | instid1(VALU_DEP_2)
	v_cndmask_b32_e64 v217, v242, v212, s3
	v_cmp_gt_f64_e64 s3, 0, v[243:244]
	v_cndmask_b32_e32 v212, v224, v224, vcc_lo
	v_cndmask_b32_e64 v219, v244, v214, s3
	v_cndmask_b32_e64 v214, v226, v226, s2
	s_delay_alu instid0(VALU_DEP_2) | instskip(NEXT) | instid1(VALU_DEP_2)
	v_add_f64 v[216:217], v[216:217], v[218:219]
	v_add_f64 v[212:213], v[212:213], v[214:215]
	s_delay_alu instid0(VALU_DEP_1) | instskip(SKIP_4) | instid1(SALU_CYCLE_1)
	v_cmp_lt_f64_e32 vcc_lo, v[212:213], v[216:217]
	v_dual_cndmask_b32 v225, v225, v242 :: v_dual_cndmask_b32 v224, v224, v241
	v_dual_cndmask_b32 v227, v227, v244 :: v_dual_cndmask_b32 v226, v226, v243
	v_cndmask_b32_e64 v232, v232, s6, vcc_lo
	s_add_i32 s6, s6, 1
	s_cmp_lg_u32 s5, s6
	s_cbranch_scc1 .LBB110_1073
.LBB110_1074:
	s_set_inst_prefetch_distance 0x2
	s_waitcnt lgkmcnt(0)
	v_cmp_eq_f64_e32 vcc_lo, 0, v[224:225]
	v_cmp_eq_f64_e64 s2, 0, v[226:227]
	s_delay_alu instid0(VALU_DEP_1) | instskip(NEXT) | instid1(SALU_CYCLE_1)
	s_and_b32 s2, vcc_lo, s2
	s_and_saveexec_b32 s3, s2
	s_delay_alu instid0(SALU_CYCLE_1)
	s_xor_b32 s2, exec_lo, s3
; %bb.1075:
	v_cmp_ne_u32_e32 vcc_lo, 0, v237
	v_cndmask_b32_e32 v237, 52, v237, vcc_lo
; %bb.1076:
	s_and_not1_saveexec_b32 s3, s2
	s_cbranch_execz .LBB110_1082
; %bb.1077:
	v_cmp_gt_f64_e32 vcc_lo, 0, v[224:225]
	v_cmp_gt_f64_e64 s2, 0, v[226:227]
	v_xor_b32_e32 v212, 0x80000000, v225
	v_xor_b32_e32 v214, 0x80000000, v227
	s_delay_alu instid0(VALU_DEP_2) | instskip(NEXT) | instid1(VALU_DEP_2)
	v_cndmask_b32_e32 v213, v225, v212, vcc_lo
	v_cndmask_b32_e64 v215, v227, v214, s2
	v_cndmask_b32_e32 v212, v224, v224, vcc_lo
	v_cndmask_b32_e64 v214, v226, v226, s2
	s_mov_b32 s2, exec_lo
	s_delay_alu instid0(VALU_DEP_1)
	v_cmpx_ngt_f64_e32 v[212:213], v[214:215]
	s_xor_b32 s2, exec_lo, s2
	s_cbranch_execz .LBB110_1079
; %bb.1078:
	v_div_scale_f64 v[212:213], null, v[226:227], v[226:227], v[224:225]
	v_div_scale_f64 v[218:219], vcc_lo, v[224:225], v[226:227], v[224:225]
	s_delay_alu instid0(VALU_DEP_2) | instskip(SKIP_2) | instid1(VALU_DEP_1)
	v_rcp_f64_e32 v[214:215], v[212:213]
	s_waitcnt_depctr 0xfff
	v_fma_f64 v[216:217], -v[212:213], v[214:215], 1.0
	v_fma_f64 v[214:215], v[214:215], v[216:217], v[214:215]
	s_delay_alu instid0(VALU_DEP_1) | instskip(NEXT) | instid1(VALU_DEP_1)
	v_fma_f64 v[216:217], -v[212:213], v[214:215], 1.0
	v_fma_f64 v[214:215], v[214:215], v[216:217], v[214:215]
	s_delay_alu instid0(VALU_DEP_1) | instskip(NEXT) | instid1(VALU_DEP_1)
	v_mul_f64 v[216:217], v[218:219], v[214:215]
	v_fma_f64 v[212:213], -v[212:213], v[216:217], v[218:219]
	s_delay_alu instid0(VALU_DEP_1) | instskip(NEXT) | instid1(VALU_DEP_1)
	v_div_fmas_f64 v[212:213], v[212:213], v[214:215], v[216:217]
	v_div_fixup_f64 v[212:213], v[212:213], v[226:227], v[224:225]
	s_delay_alu instid0(VALU_DEP_1) | instskip(NEXT) | instid1(VALU_DEP_1)
	v_fma_f64 v[214:215], v[224:225], v[212:213], v[226:227]
	v_div_scale_f64 v[216:217], null, v[214:215], v[214:215], 1.0
	s_delay_alu instid0(VALU_DEP_1) | instskip(SKIP_2) | instid1(VALU_DEP_1)
	v_rcp_f64_e32 v[218:219], v[216:217]
	s_waitcnt_depctr 0xfff
	v_fma_f64 v[220:221], -v[216:217], v[218:219], 1.0
	v_fma_f64 v[218:219], v[218:219], v[220:221], v[218:219]
	s_delay_alu instid0(VALU_DEP_1) | instskip(NEXT) | instid1(VALU_DEP_1)
	v_fma_f64 v[220:221], -v[216:217], v[218:219], 1.0
	v_fma_f64 v[218:219], v[218:219], v[220:221], v[218:219]
	v_div_scale_f64 v[220:221], vcc_lo, 1.0, v[214:215], 1.0
	s_delay_alu instid0(VALU_DEP_1) | instskip(NEXT) | instid1(VALU_DEP_1)
	v_mul_f64 v[222:223], v[220:221], v[218:219]
	v_fma_f64 v[216:217], -v[216:217], v[222:223], v[220:221]
	s_delay_alu instid0(VALU_DEP_1) | instskip(NEXT) | instid1(VALU_DEP_1)
	v_div_fmas_f64 v[216:217], v[216:217], v[218:219], v[222:223]
	v_div_fixup_f64 v[226:227], v[216:217], v[214:215], 1.0
	s_delay_alu instid0(VALU_DEP_1)
	v_mul_f64 v[224:225], v[212:213], v[226:227]
	v_xor_b32_e32 v227, 0x80000000, v227
.LBB110_1079:
	s_and_not1_saveexec_b32 s2, s2
	s_cbranch_execz .LBB110_1081
; %bb.1080:
	s_delay_alu instid0(VALU_DEP_1) | instskip(SKIP_1) | instid1(VALU_DEP_2)
	v_div_scale_f64 v[212:213], null, v[224:225], v[224:225], v[226:227]
	v_div_scale_f64 v[218:219], vcc_lo, v[226:227], v[224:225], v[226:227]
	v_rcp_f64_e32 v[214:215], v[212:213]
	s_waitcnt_depctr 0xfff
	v_fma_f64 v[216:217], -v[212:213], v[214:215], 1.0
	s_delay_alu instid0(VALU_DEP_1) | instskip(NEXT) | instid1(VALU_DEP_1)
	v_fma_f64 v[214:215], v[214:215], v[216:217], v[214:215]
	v_fma_f64 v[216:217], -v[212:213], v[214:215], 1.0
	s_delay_alu instid0(VALU_DEP_1) | instskip(NEXT) | instid1(VALU_DEP_1)
	v_fma_f64 v[214:215], v[214:215], v[216:217], v[214:215]
	v_mul_f64 v[216:217], v[218:219], v[214:215]
	s_delay_alu instid0(VALU_DEP_1) | instskip(NEXT) | instid1(VALU_DEP_1)
	v_fma_f64 v[212:213], -v[212:213], v[216:217], v[218:219]
	v_div_fmas_f64 v[212:213], v[212:213], v[214:215], v[216:217]
	s_delay_alu instid0(VALU_DEP_1) | instskip(NEXT) | instid1(VALU_DEP_1)
	v_div_fixup_f64 v[212:213], v[212:213], v[224:225], v[226:227]
	v_fma_f64 v[214:215], v[226:227], v[212:213], v[224:225]
	s_delay_alu instid0(VALU_DEP_1) | instskip(NEXT) | instid1(VALU_DEP_1)
	v_div_scale_f64 v[216:217], null, v[214:215], v[214:215], 1.0
	v_rcp_f64_e32 v[218:219], v[216:217]
	s_waitcnt_depctr 0xfff
	v_fma_f64 v[220:221], -v[216:217], v[218:219], 1.0
	s_delay_alu instid0(VALU_DEP_1) | instskip(NEXT) | instid1(VALU_DEP_1)
	v_fma_f64 v[218:219], v[218:219], v[220:221], v[218:219]
	v_fma_f64 v[220:221], -v[216:217], v[218:219], 1.0
	s_delay_alu instid0(VALU_DEP_1) | instskip(SKIP_1) | instid1(VALU_DEP_1)
	v_fma_f64 v[218:219], v[218:219], v[220:221], v[218:219]
	v_div_scale_f64 v[220:221], vcc_lo, 1.0, v[214:215], 1.0
	v_mul_f64 v[222:223], v[220:221], v[218:219]
	s_delay_alu instid0(VALU_DEP_1) | instskip(NEXT) | instid1(VALU_DEP_1)
	v_fma_f64 v[216:217], -v[216:217], v[222:223], v[220:221]
	v_div_fmas_f64 v[216:217], v[216:217], v[218:219], v[222:223]
	s_delay_alu instid0(VALU_DEP_1) | instskip(NEXT) | instid1(VALU_DEP_1)
	v_div_fixup_f64 v[224:225], v[216:217], v[214:215], 1.0
	v_mul_f64 v[226:227], v[212:213], -v[224:225]
.LBB110_1081:
	s_or_b32 exec_lo, exec_lo, s2
.LBB110_1082:
	s_delay_alu instid0(SALU_CYCLE_1) | instskip(NEXT) | instid1(SALU_CYCLE_1)
	s_or_b32 exec_lo, exec_lo, s3
	s_mov_b32 s2, exec_lo
	v_cmpx_ne_u32_e64 v240, v232
	s_xor_b32 s2, exec_lo, s2
	s_cbranch_execz .LBB110_1088
; %bb.1083:
	s_mov_b32 s3, exec_lo
	v_cmpx_eq_u32_e32 51, v240
	s_cbranch_execz .LBB110_1087
; %bb.1084:
	v_cmp_ne_u32_e32 vcc_lo, 51, v232
	s_xor_b32 s6, s4, -1
	s_delay_alu instid0(SALU_CYCLE_1) | instskip(NEXT) | instid1(SALU_CYCLE_1)
	s_and_b32 s7, s6, vcc_lo
	s_and_saveexec_b32 s6, s7
	s_cbranch_execz .LBB110_1086
; %bb.1085:
	scratch_load_b64 v[10:11], off, off     ; 8-byte Folded Reload
	v_ashrrev_i32_e32 v233, 31, v232
	s_delay_alu instid0(VALU_DEP_1) | instskip(SKIP_1) | instid1(VALU_DEP_1)
	v_lshlrev_b64 v[212:213], 2, v[232:233]
	s_waitcnt vmcnt(0)
	v_add_co_u32 v212, vcc_lo, v10, v212
	s_delay_alu instid0(VALU_DEP_2)
	v_add_co_ci_u32_e32 v213, vcc_lo, v11, v213, vcc_lo
	s_clause 0x1
	flat_load_b32 v214, v[212:213]
	flat_load_b32 v215, v[10:11] offset:204
	s_waitcnt vmcnt(1) lgkmcnt(1)
	flat_store_b32 v[10:11], v214 offset:204
	s_waitcnt vmcnt(0) lgkmcnt(1)
	flat_store_b32 v[212:213], v215
.LBB110_1086:
	s_or_b32 exec_lo, exec_lo, s6
	v_mov_b32_e32 v240, v232
	v_mov_b32_e32 v239, v232
.LBB110_1087:
	s_or_b32 exec_lo, exec_lo, s3
.LBB110_1088:
	s_and_not1_saveexec_b32 s2, s2
	s_cbranch_execz .LBB110_1090
; %bb.1089:
	v_mov_b32_e32 v240, 51
	ds_store_2addr_b64 v234, v[12:13], v[14:15] offset0:104 offset1:105
	ds_store_2addr_b64 v234, v[249:250], v[251:252] offset0:106 offset1:107
	;; [unrolled: 1-line block ×4, first 2 shown]
.LBB110_1090:
	s_or_b32 exec_lo, exec_lo, s2
	s_delay_alu instid0(SALU_CYCLE_1)
	s_mov_b32 s2, exec_lo
	s_waitcnt lgkmcnt(0)
	s_waitcnt_vscnt null, 0x0
	s_barrier
	buffer_gl0_inv
	v_cmpx_lt_i32_e32 51, v240
	s_cbranch_execz .LBB110_1092
; %bb.1091:
	v_mul_f64 v[212:213], v[224:225], v[18:19]
	v_mul_f64 v[18:19], v[226:227], v[18:19]
	s_delay_alu instid0(VALU_DEP_2) | instskip(NEXT) | instid1(VALU_DEP_2)
	v_fma_f64 v[212:213], v[226:227], v[16:17], v[212:213]
	v_fma_f64 v[16:17], v[224:225], v[16:17], -v[18:19]
	ds_load_2addr_b64 v[224:227], v234 offset0:104 offset1:105
	s_waitcnt lgkmcnt(0)
	v_mul_f64 v[18:19], v[226:227], v[212:213]
	v_mul_f64 v[214:215], v[224:225], v[212:213]
	s_delay_alu instid0(VALU_DEP_2) | instskip(NEXT) | instid1(VALU_DEP_2)
	v_fma_f64 v[18:19], v[224:225], v[16:17], -v[18:19]
	v_fma_f64 v[214:215], v[226:227], v[16:17], v[214:215]
	ds_load_2addr_b64 v[224:227], v234 offset0:106 offset1:107
	v_add_f64 v[12:13], v[12:13], -v[18:19]
	v_add_f64 v[14:15], v[14:15], -v[214:215]
	s_waitcnt lgkmcnt(0)
	v_mul_f64 v[18:19], v[226:227], v[212:213]
	v_mul_f64 v[214:215], v[224:225], v[212:213]
	s_delay_alu instid0(VALU_DEP_2) | instskip(NEXT) | instid1(VALU_DEP_2)
	v_fma_f64 v[18:19], v[224:225], v[16:17], -v[18:19]
	v_fma_f64 v[214:215], v[226:227], v[16:17], v[214:215]
	ds_load_2addr_b64 v[224:227], v234 offset0:108 offset1:109
	v_add_f64 v[249:250], v[249:250], -v[18:19]
	v_add_f64 v[251:252], v[251:252], -v[214:215]
	;; [unrolled: 9-line block ×3, first 2 shown]
	s_waitcnt lgkmcnt(0)
	v_mul_f64 v[18:19], v[226:227], v[212:213]
	v_mul_f64 v[214:215], v[224:225], v[212:213]
	s_delay_alu instid0(VALU_DEP_2) | instskip(NEXT) | instid1(VALU_DEP_2)
	v_fma_f64 v[18:19], v[224:225], v[16:17], -v[18:19]
	v_fma_f64 v[214:215], v[226:227], v[16:17], v[214:215]
	s_delay_alu instid0(VALU_DEP_2) | instskip(NEXT) | instid1(VALU_DEP_2)
	v_add_f64 v[0:1], v[0:1], -v[18:19]
	v_add_f64 v[2:3], v[2:3], -v[214:215]
	v_dual_mov_b32 v18, v212 :: v_dual_mov_b32 v19, v213
.LBB110_1092:
	s_or_b32 exec_lo, exec_lo, s2
	v_lshl_add_u32 v212, v240, 4, v234
	s_barrier
	buffer_gl0_inv
	v_mov_b32_e32 v232, 52
	ds_store_2addr_b64 v212, v[12:13], v[14:15] offset1:1
	s_waitcnt lgkmcnt(0)
	s_barrier
	buffer_gl0_inv
	ds_load_2addr_b64 v[224:227], v234 offset0:104 offset1:105
	s_cmp_lt_i32 s5, 54
	s_cbranch_scc1 .LBB110_1095
; %bb.1093:
	v_add3_u32 v233, v238, 0, 0x350
	v_mov_b32_e32 v232, 52
	s_mov_b32 s6, 53
	s_set_inst_prefetch_distance 0x1
	.p2align	6
.LBB110_1094:                           ; =>This Inner Loop Header: Depth=1
	ds_load_2addr_b64 v[241:244], v233 offset1:1
	s_waitcnt lgkmcnt(1)
	v_cmp_gt_f64_e32 vcc_lo, 0, v[224:225]
	v_xor_b32_e32 v212, 0x80000000, v225
	v_cmp_gt_f64_e64 s2, 0, v[226:227]
	v_xor_b32_e32 v214, 0x80000000, v227
	v_add_nc_u32_e32 v233, 16, v233
	s_waitcnt lgkmcnt(0)
	v_cmp_gt_f64_e64 s3, 0, v[241:242]
	v_mov_b32_e32 v216, v241
	v_dual_mov_b32 v218, v243 :: v_dual_cndmask_b32 v213, v225, v212
	v_xor_b32_e32 v212, 0x80000000, v242
	v_cndmask_b32_e64 v215, v227, v214, s2
	v_xor_b32_e32 v214, 0x80000000, v244
	s_delay_alu instid0(VALU_DEP_3) | instskip(SKIP_2) | instid1(VALU_DEP_2)
	v_cndmask_b32_e64 v217, v242, v212, s3
	v_cmp_gt_f64_e64 s3, 0, v[243:244]
	v_cndmask_b32_e32 v212, v224, v224, vcc_lo
	v_cndmask_b32_e64 v219, v244, v214, s3
	v_cndmask_b32_e64 v214, v226, v226, s2
	s_delay_alu instid0(VALU_DEP_2) | instskip(NEXT) | instid1(VALU_DEP_2)
	v_add_f64 v[216:217], v[216:217], v[218:219]
	v_add_f64 v[212:213], v[212:213], v[214:215]
	s_delay_alu instid0(VALU_DEP_1) | instskip(SKIP_4) | instid1(SALU_CYCLE_1)
	v_cmp_lt_f64_e32 vcc_lo, v[212:213], v[216:217]
	v_dual_cndmask_b32 v225, v225, v242 :: v_dual_cndmask_b32 v224, v224, v241
	v_dual_cndmask_b32 v227, v227, v244 :: v_dual_cndmask_b32 v226, v226, v243
	v_cndmask_b32_e64 v232, v232, s6, vcc_lo
	s_add_i32 s6, s6, 1
	s_cmp_lg_u32 s5, s6
	s_cbranch_scc1 .LBB110_1094
.LBB110_1095:
	s_set_inst_prefetch_distance 0x2
	s_waitcnt lgkmcnt(0)
	v_cmp_eq_f64_e32 vcc_lo, 0, v[224:225]
	v_cmp_eq_f64_e64 s2, 0, v[226:227]
	s_delay_alu instid0(VALU_DEP_1) | instskip(NEXT) | instid1(SALU_CYCLE_1)
	s_and_b32 s2, vcc_lo, s2
	s_and_saveexec_b32 s3, s2
	s_delay_alu instid0(SALU_CYCLE_1)
	s_xor_b32 s2, exec_lo, s3
; %bb.1096:
	v_cmp_ne_u32_e32 vcc_lo, 0, v237
	v_cndmask_b32_e32 v237, 53, v237, vcc_lo
; %bb.1097:
	s_and_not1_saveexec_b32 s3, s2
	s_cbranch_execz .LBB110_1103
; %bb.1098:
	v_cmp_gt_f64_e32 vcc_lo, 0, v[224:225]
	v_cmp_gt_f64_e64 s2, 0, v[226:227]
	v_xor_b32_e32 v212, 0x80000000, v225
	v_xor_b32_e32 v214, 0x80000000, v227
	s_delay_alu instid0(VALU_DEP_2) | instskip(NEXT) | instid1(VALU_DEP_2)
	v_cndmask_b32_e32 v213, v225, v212, vcc_lo
	v_cndmask_b32_e64 v215, v227, v214, s2
	v_cndmask_b32_e32 v212, v224, v224, vcc_lo
	v_cndmask_b32_e64 v214, v226, v226, s2
	s_mov_b32 s2, exec_lo
	s_delay_alu instid0(VALU_DEP_1)
	v_cmpx_ngt_f64_e32 v[212:213], v[214:215]
	s_xor_b32 s2, exec_lo, s2
	s_cbranch_execz .LBB110_1100
; %bb.1099:
	v_div_scale_f64 v[212:213], null, v[226:227], v[226:227], v[224:225]
	v_div_scale_f64 v[218:219], vcc_lo, v[224:225], v[226:227], v[224:225]
	s_delay_alu instid0(VALU_DEP_2) | instskip(SKIP_2) | instid1(VALU_DEP_1)
	v_rcp_f64_e32 v[214:215], v[212:213]
	s_waitcnt_depctr 0xfff
	v_fma_f64 v[216:217], -v[212:213], v[214:215], 1.0
	v_fma_f64 v[214:215], v[214:215], v[216:217], v[214:215]
	s_delay_alu instid0(VALU_DEP_1) | instskip(NEXT) | instid1(VALU_DEP_1)
	v_fma_f64 v[216:217], -v[212:213], v[214:215], 1.0
	v_fma_f64 v[214:215], v[214:215], v[216:217], v[214:215]
	s_delay_alu instid0(VALU_DEP_1) | instskip(NEXT) | instid1(VALU_DEP_1)
	v_mul_f64 v[216:217], v[218:219], v[214:215]
	v_fma_f64 v[212:213], -v[212:213], v[216:217], v[218:219]
	s_delay_alu instid0(VALU_DEP_1) | instskip(NEXT) | instid1(VALU_DEP_1)
	v_div_fmas_f64 v[212:213], v[212:213], v[214:215], v[216:217]
	v_div_fixup_f64 v[212:213], v[212:213], v[226:227], v[224:225]
	s_delay_alu instid0(VALU_DEP_1) | instskip(NEXT) | instid1(VALU_DEP_1)
	v_fma_f64 v[214:215], v[224:225], v[212:213], v[226:227]
	v_div_scale_f64 v[216:217], null, v[214:215], v[214:215], 1.0
	s_delay_alu instid0(VALU_DEP_1) | instskip(SKIP_2) | instid1(VALU_DEP_1)
	v_rcp_f64_e32 v[218:219], v[216:217]
	s_waitcnt_depctr 0xfff
	v_fma_f64 v[220:221], -v[216:217], v[218:219], 1.0
	v_fma_f64 v[218:219], v[218:219], v[220:221], v[218:219]
	s_delay_alu instid0(VALU_DEP_1) | instskip(NEXT) | instid1(VALU_DEP_1)
	v_fma_f64 v[220:221], -v[216:217], v[218:219], 1.0
	v_fma_f64 v[218:219], v[218:219], v[220:221], v[218:219]
	v_div_scale_f64 v[220:221], vcc_lo, 1.0, v[214:215], 1.0
	s_delay_alu instid0(VALU_DEP_1) | instskip(NEXT) | instid1(VALU_DEP_1)
	v_mul_f64 v[222:223], v[220:221], v[218:219]
	v_fma_f64 v[216:217], -v[216:217], v[222:223], v[220:221]
	s_delay_alu instid0(VALU_DEP_1) | instskip(NEXT) | instid1(VALU_DEP_1)
	v_div_fmas_f64 v[216:217], v[216:217], v[218:219], v[222:223]
	v_div_fixup_f64 v[226:227], v[216:217], v[214:215], 1.0
	s_delay_alu instid0(VALU_DEP_1)
	v_mul_f64 v[224:225], v[212:213], v[226:227]
	v_xor_b32_e32 v227, 0x80000000, v227
.LBB110_1100:
	s_and_not1_saveexec_b32 s2, s2
	s_cbranch_execz .LBB110_1102
; %bb.1101:
	s_delay_alu instid0(VALU_DEP_1) | instskip(SKIP_1) | instid1(VALU_DEP_2)
	v_div_scale_f64 v[212:213], null, v[224:225], v[224:225], v[226:227]
	v_div_scale_f64 v[218:219], vcc_lo, v[226:227], v[224:225], v[226:227]
	v_rcp_f64_e32 v[214:215], v[212:213]
	s_waitcnt_depctr 0xfff
	v_fma_f64 v[216:217], -v[212:213], v[214:215], 1.0
	s_delay_alu instid0(VALU_DEP_1) | instskip(NEXT) | instid1(VALU_DEP_1)
	v_fma_f64 v[214:215], v[214:215], v[216:217], v[214:215]
	v_fma_f64 v[216:217], -v[212:213], v[214:215], 1.0
	s_delay_alu instid0(VALU_DEP_1) | instskip(NEXT) | instid1(VALU_DEP_1)
	v_fma_f64 v[214:215], v[214:215], v[216:217], v[214:215]
	v_mul_f64 v[216:217], v[218:219], v[214:215]
	s_delay_alu instid0(VALU_DEP_1) | instskip(NEXT) | instid1(VALU_DEP_1)
	v_fma_f64 v[212:213], -v[212:213], v[216:217], v[218:219]
	v_div_fmas_f64 v[212:213], v[212:213], v[214:215], v[216:217]
	s_delay_alu instid0(VALU_DEP_1) | instskip(NEXT) | instid1(VALU_DEP_1)
	v_div_fixup_f64 v[212:213], v[212:213], v[224:225], v[226:227]
	v_fma_f64 v[214:215], v[226:227], v[212:213], v[224:225]
	s_delay_alu instid0(VALU_DEP_1) | instskip(NEXT) | instid1(VALU_DEP_1)
	v_div_scale_f64 v[216:217], null, v[214:215], v[214:215], 1.0
	v_rcp_f64_e32 v[218:219], v[216:217]
	s_waitcnt_depctr 0xfff
	v_fma_f64 v[220:221], -v[216:217], v[218:219], 1.0
	s_delay_alu instid0(VALU_DEP_1) | instskip(NEXT) | instid1(VALU_DEP_1)
	v_fma_f64 v[218:219], v[218:219], v[220:221], v[218:219]
	v_fma_f64 v[220:221], -v[216:217], v[218:219], 1.0
	s_delay_alu instid0(VALU_DEP_1) | instskip(SKIP_1) | instid1(VALU_DEP_1)
	v_fma_f64 v[218:219], v[218:219], v[220:221], v[218:219]
	v_div_scale_f64 v[220:221], vcc_lo, 1.0, v[214:215], 1.0
	v_mul_f64 v[222:223], v[220:221], v[218:219]
	s_delay_alu instid0(VALU_DEP_1) | instskip(NEXT) | instid1(VALU_DEP_1)
	v_fma_f64 v[216:217], -v[216:217], v[222:223], v[220:221]
	v_div_fmas_f64 v[216:217], v[216:217], v[218:219], v[222:223]
	s_delay_alu instid0(VALU_DEP_1) | instskip(NEXT) | instid1(VALU_DEP_1)
	v_div_fixup_f64 v[224:225], v[216:217], v[214:215], 1.0
	v_mul_f64 v[226:227], v[212:213], -v[224:225]
.LBB110_1102:
	s_or_b32 exec_lo, exec_lo, s2
.LBB110_1103:
	s_delay_alu instid0(SALU_CYCLE_1) | instskip(NEXT) | instid1(SALU_CYCLE_1)
	s_or_b32 exec_lo, exec_lo, s3
	s_mov_b32 s2, exec_lo
	v_cmpx_ne_u32_e64 v240, v232
	s_xor_b32 s2, exec_lo, s2
	s_cbranch_execz .LBB110_1109
; %bb.1104:
	s_mov_b32 s3, exec_lo
	v_cmpx_eq_u32_e32 52, v240
	s_cbranch_execz .LBB110_1108
; %bb.1105:
	v_cmp_ne_u32_e32 vcc_lo, 52, v232
	s_xor_b32 s6, s4, -1
	s_delay_alu instid0(SALU_CYCLE_1) | instskip(NEXT) | instid1(SALU_CYCLE_1)
	s_and_b32 s7, s6, vcc_lo
	s_and_saveexec_b32 s6, s7
	s_cbranch_execz .LBB110_1107
; %bb.1106:
	scratch_load_b64 v[10:11], off, off     ; 8-byte Folded Reload
	v_ashrrev_i32_e32 v233, 31, v232
	s_delay_alu instid0(VALU_DEP_1) | instskip(SKIP_1) | instid1(VALU_DEP_1)
	v_lshlrev_b64 v[212:213], 2, v[232:233]
	s_waitcnt vmcnt(0)
	v_add_co_u32 v212, vcc_lo, v10, v212
	s_delay_alu instid0(VALU_DEP_2)
	v_add_co_ci_u32_e32 v213, vcc_lo, v11, v213, vcc_lo
	s_clause 0x1
	flat_load_b32 v214, v[212:213]
	flat_load_b32 v215, v[10:11] offset:208
	s_waitcnt vmcnt(1) lgkmcnt(1)
	flat_store_b32 v[10:11], v214 offset:208
	s_waitcnt vmcnt(0) lgkmcnt(1)
	flat_store_b32 v[212:213], v215
.LBB110_1107:
	s_or_b32 exec_lo, exec_lo, s6
	v_mov_b32_e32 v240, v232
	v_mov_b32_e32 v239, v232
.LBB110_1108:
	s_or_b32 exec_lo, exec_lo, s3
.LBB110_1109:
	s_and_not1_saveexec_b32 s2, s2
	s_cbranch_execz .LBB110_1111
; %bb.1110:
	v_mov_b32_e32 v240, 52
	ds_store_2addr_b64 v234, v[249:250], v[251:252] offset0:106 offset1:107
	ds_store_2addr_b64 v234, v[228:229], v[230:231] offset0:108 offset1:109
	;; [unrolled: 1-line block ×3, first 2 shown]
.LBB110_1111:
	s_or_b32 exec_lo, exec_lo, s2
	s_delay_alu instid0(SALU_CYCLE_1)
	s_mov_b32 s2, exec_lo
	s_waitcnt lgkmcnt(0)
	s_waitcnt_vscnt null, 0x0
	s_barrier
	buffer_gl0_inv
	v_cmpx_lt_i32_e32 52, v240
	s_cbranch_execz .LBB110_1113
; %bb.1112:
	v_mul_f64 v[212:213], v[224:225], v[14:15]
	v_mul_f64 v[14:15], v[226:227], v[14:15]
	s_delay_alu instid0(VALU_DEP_2) | instskip(NEXT) | instid1(VALU_DEP_2)
	v_fma_f64 v[212:213], v[226:227], v[12:13], v[212:213]
	v_fma_f64 v[12:13], v[224:225], v[12:13], -v[14:15]
	ds_load_2addr_b64 v[224:227], v234 offset0:106 offset1:107
	s_waitcnt lgkmcnt(0)
	v_mul_f64 v[14:15], v[226:227], v[212:213]
	v_mul_f64 v[214:215], v[224:225], v[212:213]
	s_delay_alu instid0(VALU_DEP_2) | instskip(NEXT) | instid1(VALU_DEP_2)
	v_fma_f64 v[14:15], v[224:225], v[12:13], -v[14:15]
	v_fma_f64 v[214:215], v[226:227], v[12:13], v[214:215]
	ds_load_2addr_b64 v[224:227], v234 offset0:108 offset1:109
	v_add_f64 v[249:250], v[249:250], -v[14:15]
	v_add_f64 v[251:252], v[251:252], -v[214:215]
	s_waitcnt lgkmcnt(0)
	v_mul_f64 v[14:15], v[226:227], v[212:213]
	v_mul_f64 v[214:215], v[224:225], v[212:213]
	s_delay_alu instid0(VALU_DEP_2) | instskip(NEXT) | instid1(VALU_DEP_2)
	v_fma_f64 v[14:15], v[224:225], v[12:13], -v[14:15]
	v_fma_f64 v[214:215], v[226:227], v[12:13], v[214:215]
	ds_load_2addr_b64 v[224:227], v234 offset0:110 offset1:111
	v_add_f64 v[228:229], v[228:229], -v[14:15]
	v_add_f64 v[230:231], v[230:231], -v[214:215]
	s_waitcnt lgkmcnt(0)
	v_mul_f64 v[14:15], v[226:227], v[212:213]
	v_mul_f64 v[214:215], v[224:225], v[212:213]
	s_delay_alu instid0(VALU_DEP_2) | instskip(NEXT) | instid1(VALU_DEP_2)
	v_fma_f64 v[14:15], v[224:225], v[12:13], -v[14:15]
	v_fma_f64 v[214:215], v[226:227], v[12:13], v[214:215]
	s_delay_alu instid0(VALU_DEP_2) | instskip(NEXT) | instid1(VALU_DEP_2)
	v_add_f64 v[0:1], v[0:1], -v[14:15]
	v_add_f64 v[2:3], v[2:3], -v[214:215]
	v_dual_mov_b32 v14, v212 :: v_dual_mov_b32 v15, v213
.LBB110_1113:
	s_or_b32 exec_lo, exec_lo, s2
	v_lshl_add_u32 v212, v240, 4, v234
	s_barrier
	buffer_gl0_inv
	v_mov_b32_e32 v232, 53
	ds_store_2addr_b64 v212, v[249:250], v[251:252] offset1:1
	s_waitcnt lgkmcnt(0)
	s_barrier
	buffer_gl0_inv
	ds_load_2addr_b64 v[224:227], v234 offset0:106 offset1:107
	s_cmp_lt_i32 s5, 55
	s_cbranch_scc1 .LBB110_1116
; %bb.1114:
	v_add3_u32 v233, v238, 0, 0x360
	v_mov_b32_e32 v232, 53
	s_mov_b32 s6, 54
	s_set_inst_prefetch_distance 0x1
	.p2align	6
.LBB110_1115:                           ; =>This Inner Loop Header: Depth=1
	ds_load_2addr_b64 v[241:244], v233 offset1:1
	s_waitcnt lgkmcnt(1)
	v_cmp_gt_f64_e32 vcc_lo, 0, v[224:225]
	v_xor_b32_e32 v212, 0x80000000, v225
	v_cmp_gt_f64_e64 s2, 0, v[226:227]
	v_xor_b32_e32 v214, 0x80000000, v227
	v_add_nc_u32_e32 v233, 16, v233
	s_waitcnt lgkmcnt(0)
	v_cmp_gt_f64_e64 s3, 0, v[241:242]
	v_mov_b32_e32 v216, v241
	v_dual_mov_b32 v218, v243 :: v_dual_cndmask_b32 v213, v225, v212
	v_xor_b32_e32 v212, 0x80000000, v242
	v_cndmask_b32_e64 v215, v227, v214, s2
	v_xor_b32_e32 v214, 0x80000000, v244
	s_delay_alu instid0(VALU_DEP_3) | instskip(SKIP_2) | instid1(VALU_DEP_2)
	v_cndmask_b32_e64 v217, v242, v212, s3
	v_cmp_gt_f64_e64 s3, 0, v[243:244]
	v_cndmask_b32_e32 v212, v224, v224, vcc_lo
	v_cndmask_b32_e64 v219, v244, v214, s3
	v_cndmask_b32_e64 v214, v226, v226, s2
	s_delay_alu instid0(VALU_DEP_2) | instskip(NEXT) | instid1(VALU_DEP_2)
	v_add_f64 v[216:217], v[216:217], v[218:219]
	v_add_f64 v[212:213], v[212:213], v[214:215]
	s_delay_alu instid0(VALU_DEP_1) | instskip(SKIP_4) | instid1(SALU_CYCLE_1)
	v_cmp_lt_f64_e32 vcc_lo, v[212:213], v[216:217]
	v_dual_cndmask_b32 v225, v225, v242 :: v_dual_cndmask_b32 v224, v224, v241
	v_dual_cndmask_b32 v227, v227, v244 :: v_dual_cndmask_b32 v226, v226, v243
	v_cndmask_b32_e64 v232, v232, s6, vcc_lo
	s_add_i32 s6, s6, 1
	s_cmp_lg_u32 s5, s6
	s_cbranch_scc1 .LBB110_1115
.LBB110_1116:
	s_set_inst_prefetch_distance 0x2
	s_waitcnt lgkmcnt(0)
	v_cmp_eq_f64_e32 vcc_lo, 0, v[224:225]
	v_cmp_eq_f64_e64 s2, 0, v[226:227]
	s_delay_alu instid0(VALU_DEP_1) | instskip(NEXT) | instid1(SALU_CYCLE_1)
	s_and_b32 s2, vcc_lo, s2
	s_and_saveexec_b32 s3, s2
	s_delay_alu instid0(SALU_CYCLE_1)
	s_xor_b32 s2, exec_lo, s3
; %bb.1117:
	v_cmp_ne_u32_e32 vcc_lo, 0, v237
	v_cndmask_b32_e32 v237, 54, v237, vcc_lo
; %bb.1118:
	s_and_not1_saveexec_b32 s3, s2
	s_cbranch_execz .LBB110_1124
; %bb.1119:
	v_cmp_gt_f64_e32 vcc_lo, 0, v[224:225]
	v_cmp_gt_f64_e64 s2, 0, v[226:227]
	v_xor_b32_e32 v212, 0x80000000, v225
	v_xor_b32_e32 v214, 0x80000000, v227
	s_delay_alu instid0(VALU_DEP_2) | instskip(NEXT) | instid1(VALU_DEP_2)
	v_cndmask_b32_e32 v213, v225, v212, vcc_lo
	v_cndmask_b32_e64 v215, v227, v214, s2
	v_cndmask_b32_e32 v212, v224, v224, vcc_lo
	v_cndmask_b32_e64 v214, v226, v226, s2
	s_mov_b32 s2, exec_lo
	s_delay_alu instid0(VALU_DEP_1)
	v_cmpx_ngt_f64_e32 v[212:213], v[214:215]
	s_xor_b32 s2, exec_lo, s2
	s_cbranch_execz .LBB110_1121
; %bb.1120:
	v_div_scale_f64 v[212:213], null, v[226:227], v[226:227], v[224:225]
	v_div_scale_f64 v[218:219], vcc_lo, v[224:225], v[226:227], v[224:225]
	s_delay_alu instid0(VALU_DEP_2) | instskip(SKIP_2) | instid1(VALU_DEP_1)
	v_rcp_f64_e32 v[214:215], v[212:213]
	s_waitcnt_depctr 0xfff
	v_fma_f64 v[216:217], -v[212:213], v[214:215], 1.0
	v_fma_f64 v[214:215], v[214:215], v[216:217], v[214:215]
	s_delay_alu instid0(VALU_DEP_1) | instskip(NEXT) | instid1(VALU_DEP_1)
	v_fma_f64 v[216:217], -v[212:213], v[214:215], 1.0
	v_fma_f64 v[214:215], v[214:215], v[216:217], v[214:215]
	s_delay_alu instid0(VALU_DEP_1) | instskip(NEXT) | instid1(VALU_DEP_1)
	v_mul_f64 v[216:217], v[218:219], v[214:215]
	v_fma_f64 v[212:213], -v[212:213], v[216:217], v[218:219]
	s_delay_alu instid0(VALU_DEP_1) | instskip(NEXT) | instid1(VALU_DEP_1)
	v_div_fmas_f64 v[212:213], v[212:213], v[214:215], v[216:217]
	v_div_fixup_f64 v[212:213], v[212:213], v[226:227], v[224:225]
	s_delay_alu instid0(VALU_DEP_1) | instskip(NEXT) | instid1(VALU_DEP_1)
	v_fma_f64 v[214:215], v[224:225], v[212:213], v[226:227]
	v_div_scale_f64 v[216:217], null, v[214:215], v[214:215], 1.0
	s_delay_alu instid0(VALU_DEP_1) | instskip(SKIP_2) | instid1(VALU_DEP_1)
	v_rcp_f64_e32 v[218:219], v[216:217]
	s_waitcnt_depctr 0xfff
	v_fma_f64 v[220:221], -v[216:217], v[218:219], 1.0
	v_fma_f64 v[218:219], v[218:219], v[220:221], v[218:219]
	s_delay_alu instid0(VALU_DEP_1) | instskip(NEXT) | instid1(VALU_DEP_1)
	v_fma_f64 v[220:221], -v[216:217], v[218:219], 1.0
	v_fma_f64 v[218:219], v[218:219], v[220:221], v[218:219]
	v_div_scale_f64 v[220:221], vcc_lo, 1.0, v[214:215], 1.0
	s_delay_alu instid0(VALU_DEP_1) | instskip(NEXT) | instid1(VALU_DEP_1)
	v_mul_f64 v[222:223], v[220:221], v[218:219]
	v_fma_f64 v[216:217], -v[216:217], v[222:223], v[220:221]
	s_delay_alu instid0(VALU_DEP_1) | instskip(NEXT) | instid1(VALU_DEP_1)
	v_div_fmas_f64 v[216:217], v[216:217], v[218:219], v[222:223]
	v_div_fixup_f64 v[226:227], v[216:217], v[214:215], 1.0
	s_delay_alu instid0(VALU_DEP_1)
	v_mul_f64 v[224:225], v[212:213], v[226:227]
	v_xor_b32_e32 v227, 0x80000000, v227
.LBB110_1121:
	s_and_not1_saveexec_b32 s2, s2
	s_cbranch_execz .LBB110_1123
; %bb.1122:
	s_delay_alu instid0(VALU_DEP_1) | instskip(SKIP_1) | instid1(VALU_DEP_2)
	v_div_scale_f64 v[212:213], null, v[224:225], v[224:225], v[226:227]
	v_div_scale_f64 v[218:219], vcc_lo, v[226:227], v[224:225], v[226:227]
	v_rcp_f64_e32 v[214:215], v[212:213]
	s_waitcnt_depctr 0xfff
	v_fma_f64 v[216:217], -v[212:213], v[214:215], 1.0
	s_delay_alu instid0(VALU_DEP_1) | instskip(NEXT) | instid1(VALU_DEP_1)
	v_fma_f64 v[214:215], v[214:215], v[216:217], v[214:215]
	v_fma_f64 v[216:217], -v[212:213], v[214:215], 1.0
	s_delay_alu instid0(VALU_DEP_1) | instskip(NEXT) | instid1(VALU_DEP_1)
	v_fma_f64 v[214:215], v[214:215], v[216:217], v[214:215]
	v_mul_f64 v[216:217], v[218:219], v[214:215]
	s_delay_alu instid0(VALU_DEP_1) | instskip(NEXT) | instid1(VALU_DEP_1)
	v_fma_f64 v[212:213], -v[212:213], v[216:217], v[218:219]
	v_div_fmas_f64 v[212:213], v[212:213], v[214:215], v[216:217]
	s_delay_alu instid0(VALU_DEP_1) | instskip(NEXT) | instid1(VALU_DEP_1)
	v_div_fixup_f64 v[212:213], v[212:213], v[224:225], v[226:227]
	v_fma_f64 v[214:215], v[226:227], v[212:213], v[224:225]
	s_delay_alu instid0(VALU_DEP_1) | instskip(NEXT) | instid1(VALU_DEP_1)
	v_div_scale_f64 v[216:217], null, v[214:215], v[214:215], 1.0
	v_rcp_f64_e32 v[218:219], v[216:217]
	s_waitcnt_depctr 0xfff
	v_fma_f64 v[220:221], -v[216:217], v[218:219], 1.0
	s_delay_alu instid0(VALU_DEP_1) | instskip(NEXT) | instid1(VALU_DEP_1)
	v_fma_f64 v[218:219], v[218:219], v[220:221], v[218:219]
	v_fma_f64 v[220:221], -v[216:217], v[218:219], 1.0
	s_delay_alu instid0(VALU_DEP_1) | instskip(SKIP_1) | instid1(VALU_DEP_1)
	v_fma_f64 v[218:219], v[218:219], v[220:221], v[218:219]
	v_div_scale_f64 v[220:221], vcc_lo, 1.0, v[214:215], 1.0
	v_mul_f64 v[222:223], v[220:221], v[218:219]
	s_delay_alu instid0(VALU_DEP_1) | instskip(NEXT) | instid1(VALU_DEP_1)
	v_fma_f64 v[216:217], -v[216:217], v[222:223], v[220:221]
	v_div_fmas_f64 v[216:217], v[216:217], v[218:219], v[222:223]
	s_delay_alu instid0(VALU_DEP_1) | instskip(NEXT) | instid1(VALU_DEP_1)
	v_div_fixup_f64 v[224:225], v[216:217], v[214:215], 1.0
	v_mul_f64 v[226:227], v[212:213], -v[224:225]
.LBB110_1123:
	s_or_b32 exec_lo, exec_lo, s2
.LBB110_1124:
	s_delay_alu instid0(SALU_CYCLE_1) | instskip(NEXT) | instid1(SALU_CYCLE_1)
	s_or_b32 exec_lo, exec_lo, s3
	s_mov_b32 s2, exec_lo
	v_cmpx_ne_u32_e64 v240, v232
	s_xor_b32 s2, exec_lo, s2
	s_cbranch_execz .LBB110_1130
; %bb.1125:
	s_mov_b32 s3, exec_lo
	v_cmpx_eq_u32_e32 53, v240
	s_cbranch_execz .LBB110_1129
; %bb.1126:
	v_cmp_ne_u32_e32 vcc_lo, 53, v232
	s_xor_b32 s6, s4, -1
	s_delay_alu instid0(SALU_CYCLE_1) | instskip(NEXT) | instid1(SALU_CYCLE_1)
	s_and_b32 s7, s6, vcc_lo
	s_and_saveexec_b32 s6, s7
	s_cbranch_execz .LBB110_1128
; %bb.1127:
	scratch_load_b64 v[10:11], off, off     ; 8-byte Folded Reload
	v_ashrrev_i32_e32 v233, 31, v232
	s_delay_alu instid0(VALU_DEP_1) | instskip(SKIP_1) | instid1(VALU_DEP_1)
	v_lshlrev_b64 v[212:213], 2, v[232:233]
	s_waitcnt vmcnt(0)
	v_add_co_u32 v212, vcc_lo, v10, v212
	s_delay_alu instid0(VALU_DEP_2)
	v_add_co_ci_u32_e32 v213, vcc_lo, v11, v213, vcc_lo
	s_clause 0x1
	flat_load_b32 v214, v[212:213]
	flat_load_b32 v215, v[10:11] offset:212
	s_waitcnt vmcnt(1) lgkmcnt(1)
	flat_store_b32 v[10:11], v214 offset:212
	s_waitcnt vmcnt(0) lgkmcnt(1)
	flat_store_b32 v[212:213], v215
.LBB110_1128:
	s_or_b32 exec_lo, exec_lo, s6
	v_mov_b32_e32 v240, v232
	v_mov_b32_e32 v239, v232
.LBB110_1129:
	s_or_b32 exec_lo, exec_lo, s3
.LBB110_1130:
	s_and_not1_saveexec_b32 s2, s2
	s_cbranch_execz .LBB110_1132
; %bb.1131:
	v_mov_b32_e32 v240, 53
	ds_store_2addr_b64 v234, v[228:229], v[230:231] offset0:108 offset1:109
	ds_store_2addr_b64 v234, v[0:1], v[2:3] offset0:110 offset1:111
.LBB110_1132:
	s_or_b32 exec_lo, exec_lo, s2
	s_delay_alu instid0(SALU_CYCLE_1)
	s_mov_b32 s2, exec_lo
	s_waitcnt lgkmcnt(0)
	s_waitcnt_vscnt null, 0x0
	s_barrier
	buffer_gl0_inv
	v_cmpx_lt_i32_e32 53, v240
	s_cbranch_execz .LBB110_1134
; %bb.1133:
	v_mul_f64 v[212:213], v[224:225], v[251:252]
	v_mul_f64 v[10:11], v[226:227], v[251:252]
	v_dual_mov_b32 v220, v245 :: v_dual_mov_b32 v221, v246
	ds_load_2addr_b64 v[241:244], v234 offset0:108 offset1:109
	v_dual_mov_b32 v222, v247 :: v_dual_mov_b32 v223, v248
	ds_load_2addr_b64 v[245:248], v234 offset0:110 offset1:111
	v_fma_f64 v[212:213], v[226:227], v[249:250], v[212:213]
	v_fma_f64 v[249:250], v[224:225], v[249:250], -v[10:11]
	s_waitcnt lgkmcnt(1)
	s_delay_alu instid0(VALU_DEP_2)
	v_mul_f64 v[10:11], v[243:244], v[212:213]
	v_mul_f64 v[214:215], v[241:242], v[212:213]
	s_waitcnt lgkmcnt(0)
	v_mul_f64 v[216:217], v[247:248], v[212:213]
	v_mul_f64 v[218:219], v[245:246], v[212:213]
	v_dual_mov_b32 v252, v213 :: v_dual_mov_b32 v251, v212
	v_fma_f64 v[10:11], v[241:242], v[249:250], -v[10:11]
	v_fma_f64 v[214:215], v[243:244], v[249:250], v[214:215]
	v_fma_f64 v[216:217], v[245:246], v[249:250], -v[216:217]
	v_fma_f64 v[218:219], v[247:248], v[249:250], v[218:219]
	v_dual_mov_b32 v248, v223 :: v_dual_mov_b32 v247, v222
	v_dual_mov_b32 v246, v221 :: v_dual_mov_b32 v245, v220
	v_add_f64 v[228:229], v[228:229], -v[10:11]
	v_add_f64 v[230:231], v[230:231], -v[214:215]
	;; [unrolled: 1-line block ×4, first 2 shown]
.LBB110_1134:
	s_or_b32 exec_lo, exec_lo, s2
	v_lshl_add_u32 v212, v240, 4, v234
	s_barrier
	buffer_gl0_inv
	v_mov_b32_e32 v232, 54
	ds_store_2addr_b64 v212, v[228:229], v[230:231] offset1:1
	s_waitcnt lgkmcnt(0)
	s_barrier
	buffer_gl0_inv
	ds_load_2addr_b64 v[224:227], v234 offset0:108 offset1:109
	s_cmp_lt_i32 s5, 56
	s_cbranch_scc1 .LBB110_1137
; %bb.1135:
	v_add3_u32 v233, v238, 0, 0x370
	v_mov_b32_e32 v232, 54
	s_mov_b32 s6, 55
	s_set_inst_prefetch_distance 0x1
	.p2align	6
.LBB110_1136:                           ; =>This Inner Loop Header: Depth=1
	ds_load_2addr_b64 v[241:244], v233 offset1:1
	s_waitcnt lgkmcnt(1)
	v_cmp_gt_f64_e32 vcc_lo, 0, v[224:225]
	v_xor_b32_e32 v212, 0x80000000, v225
	v_cmp_gt_f64_e64 s2, 0, v[226:227]
	v_xor_b32_e32 v214, 0x80000000, v227
	v_add_nc_u32_e32 v233, 16, v233
	s_waitcnt lgkmcnt(0)
	v_cmp_gt_f64_e64 s3, 0, v[241:242]
	v_mov_b32_e32 v216, v241
	v_dual_mov_b32 v218, v243 :: v_dual_cndmask_b32 v213, v225, v212
	v_xor_b32_e32 v212, 0x80000000, v242
	v_cndmask_b32_e64 v215, v227, v214, s2
	v_xor_b32_e32 v214, 0x80000000, v244
	s_delay_alu instid0(VALU_DEP_3) | instskip(SKIP_2) | instid1(VALU_DEP_2)
	v_cndmask_b32_e64 v217, v242, v212, s3
	v_cmp_gt_f64_e64 s3, 0, v[243:244]
	v_cndmask_b32_e32 v212, v224, v224, vcc_lo
	v_cndmask_b32_e64 v219, v244, v214, s3
	v_cndmask_b32_e64 v214, v226, v226, s2
	s_delay_alu instid0(VALU_DEP_2) | instskip(NEXT) | instid1(VALU_DEP_2)
	v_add_f64 v[216:217], v[216:217], v[218:219]
	v_add_f64 v[212:213], v[212:213], v[214:215]
	s_delay_alu instid0(VALU_DEP_1) | instskip(SKIP_4) | instid1(SALU_CYCLE_1)
	v_cmp_lt_f64_e32 vcc_lo, v[212:213], v[216:217]
	v_dual_cndmask_b32 v225, v225, v242 :: v_dual_cndmask_b32 v224, v224, v241
	v_dual_cndmask_b32 v227, v227, v244 :: v_dual_cndmask_b32 v226, v226, v243
	v_cndmask_b32_e64 v232, v232, s6, vcc_lo
	s_add_i32 s6, s6, 1
	s_cmp_lg_u32 s5, s6
	s_cbranch_scc1 .LBB110_1136
.LBB110_1137:
	s_set_inst_prefetch_distance 0x2
	s_waitcnt lgkmcnt(0)
	v_cmp_eq_f64_e32 vcc_lo, 0, v[224:225]
	v_cmp_eq_f64_e64 s2, 0, v[226:227]
	s_delay_alu instid0(VALU_DEP_1) | instskip(NEXT) | instid1(SALU_CYCLE_1)
	s_and_b32 s2, vcc_lo, s2
	s_and_saveexec_b32 s3, s2
	s_delay_alu instid0(SALU_CYCLE_1)
	s_xor_b32 s2, exec_lo, s3
; %bb.1138:
	v_cmp_ne_u32_e32 vcc_lo, 0, v237
	v_cndmask_b32_e32 v237, 55, v237, vcc_lo
; %bb.1139:
	s_and_not1_saveexec_b32 s3, s2
	s_cbranch_execz .LBB110_1145
; %bb.1140:
	v_cmp_gt_f64_e32 vcc_lo, 0, v[224:225]
	v_cmp_gt_f64_e64 s2, 0, v[226:227]
	v_xor_b32_e32 v212, 0x80000000, v225
	v_xor_b32_e32 v214, 0x80000000, v227
	s_delay_alu instid0(VALU_DEP_2) | instskip(NEXT) | instid1(VALU_DEP_2)
	v_cndmask_b32_e32 v213, v225, v212, vcc_lo
	v_cndmask_b32_e64 v215, v227, v214, s2
	v_cndmask_b32_e32 v212, v224, v224, vcc_lo
	v_cndmask_b32_e64 v214, v226, v226, s2
	s_mov_b32 s2, exec_lo
	s_delay_alu instid0(VALU_DEP_1)
	v_cmpx_ngt_f64_e32 v[212:213], v[214:215]
	s_xor_b32 s2, exec_lo, s2
	s_cbranch_execz .LBB110_1142
; %bb.1141:
	v_div_scale_f64 v[212:213], null, v[226:227], v[226:227], v[224:225]
	v_div_scale_f64 v[218:219], vcc_lo, v[224:225], v[226:227], v[224:225]
	s_delay_alu instid0(VALU_DEP_2) | instskip(SKIP_2) | instid1(VALU_DEP_1)
	v_rcp_f64_e32 v[214:215], v[212:213]
	s_waitcnt_depctr 0xfff
	v_fma_f64 v[216:217], -v[212:213], v[214:215], 1.0
	v_fma_f64 v[214:215], v[214:215], v[216:217], v[214:215]
	s_delay_alu instid0(VALU_DEP_1) | instskip(NEXT) | instid1(VALU_DEP_1)
	v_fma_f64 v[216:217], -v[212:213], v[214:215], 1.0
	v_fma_f64 v[214:215], v[214:215], v[216:217], v[214:215]
	s_delay_alu instid0(VALU_DEP_1) | instskip(NEXT) | instid1(VALU_DEP_1)
	v_mul_f64 v[216:217], v[218:219], v[214:215]
	v_fma_f64 v[212:213], -v[212:213], v[216:217], v[218:219]
	s_delay_alu instid0(VALU_DEP_1) | instskip(NEXT) | instid1(VALU_DEP_1)
	v_div_fmas_f64 v[212:213], v[212:213], v[214:215], v[216:217]
	v_div_fixup_f64 v[212:213], v[212:213], v[226:227], v[224:225]
	s_delay_alu instid0(VALU_DEP_1) | instskip(NEXT) | instid1(VALU_DEP_1)
	v_fma_f64 v[214:215], v[224:225], v[212:213], v[226:227]
	v_div_scale_f64 v[216:217], null, v[214:215], v[214:215], 1.0
	s_delay_alu instid0(VALU_DEP_1) | instskip(SKIP_2) | instid1(VALU_DEP_1)
	v_rcp_f64_e32 v[218:219], v[216:217]
	s_waitcnt_depctr 0xfff
	v_fma_f64 v[220:221], -v[216:217], v[218:219], 1.0
	v_fma_f64 v[218:219], v[218:219], v[220:221], v[218:219]
	s_delay_alu instid0(VALU_DEP_1) | instskip(NEXT) | instid1(VALU_DEP_1)
	v_fma_f64 v[220:221], -v[216:217], v[218:219], 1.0
	v_fma_f64 v[218:219], v[218:219], v[220:221], v[218:219]
	v_div_scale_f64 v[220:221], vcc_lo, 1.0, v[214:215], 1.0
	s_delay_alu instid0(VALU_DEP_1) | instskip(NEXT) | instid1(VALU_DEP_1)
	v_mul_f64 v[222:223], v[220:221], v[218:219]
	v_fma_f64 v[216:217], -v[216:217], v[222:223], v[220:221]
	s_delay_alu instid0(VALU_DEP_1) | instskip(NEXT) | instid1(VALU_DEP_1)
	v_div_fmas_f64 v[216:217], v[216:217], v[218:219], v[222:223]
	v_div_fixup_f64 v[226:227], v[216:217], v[214:215], 1.0
	s_delay_alu instid0(VALU_DEP_1)
	v_mul_f64 v[224:225], v[212:213], v[226:227]
	v_xor_b32_e32 v227, 0x80000000, v227
.LBB110_1142:
	s_and_not1_saveexec_b32 s2, s2
	s_cbranch_execz .LBB110_1144
; %bb.1143:
	s_delay_alu instid0(VALU_DEP_1) | instskip(SKIP_1) | instid1(VALU_DEP_2)
	v_div_scale_f64 v[212:213], null, v[224:225], v[224:225], v[226:227]
	v_div_scale_f64 v[218:219], vcc_lo, v[226:227], v[224:225], v[226:227]
	v_rcp_f64_e32 v[214:215], v[212:213]
	s_waitcnt_depctr 0xfff
	v_fma_f64 v[216:217], -v[212:213], v[214:215], 1.0
	s_delay_alu instid0(VALU_DEP_1) | instskip(NEXT) | instid1(VALU_DEP_1)
	v_fma_f64 v[214:215], v[214:215], v[216:217], v[214:215]
	v_fma_f64 v[216:217], -v[212:213], v[214:215], 1.0
	s_delay_alu instid0(VALU_DEP_1) | instskip(NEXT) | instid1(VALU_DEP_1)
	v_fma_f64 v[214:215], v[214:215], v[216:217], v[214:215]
	v_mul_f64 v[216:217], v[218:219], v[214:215]
	s_delay_alu instid0(VALU_DEP_1) | instskip(NEXT) | instid1(VALU_DEP_1)
	v_fma_f64 v[212:213], -v[212:213], v[216:217], v[218:219]
	v_div_fmas_f64 v[212:213], v[212:213], v[214:215], v[216:217]
	s_delay_alu instid0(VALU_DEP_1) | instskip(NEXT) | instid1(VALU_DEP_1)
	v_div_fixup_f64 v[212:213], v[212:213], v[224:225], v[226:227]
	v_fma_f64 v[214:215], v[226:227], v[212:213], v[224:225]
	s_delay_alu instid0(VALU_DEP_1) | instskip(NEXT) | instid1(VALU_DEP_1)
	v_div_scale_f64 v[216:217], null, v[214:215], v[214:215], 1.0
	v_rcp_f64_e32 v[218:219], v[216:217]
	s_waitcnt_depctr 0xfff
	v_fma_f64 v[220:221], -v[216:217], v[218:219], 1.0
	s_delay_alu instid0(VALU_DEP_1) | instskip(NEXT) | instid1(VALU_DEP_1)
	v_fma_f64 v[218:219], v[218:219], v[220:221], v[218:219]
	v_fma_f64 v[220:221], -v[216:217], v[218:219], 1.0
	s_delay_alu instid0(VALU_DEP_1) | instskip(SKIP_1) | instid1(VALU_DEP_1)
	v_fma_f64 v[218:219], v[218:219], v[220:221], v[218:219]
	v_div_scale_f64 v[220:221], vcc_lo, 1.0, v[214:215], 1.0
	v_mul_f64 v[222:223], v[220:221], v[218:219]
	s_delay_alu instid0(VALU_DEP_1) | instskip(NEXT) | instid1(VALU_DEP_1)
	v_fma_f64 v[216:217], -v[216:217], v[222:223], v[220:221]
	v_div_fmas_f64 v[216:217], v[216:217], v[218:219], v[222:223]
	s_delay_alu instid0(VALU_DEP_1) | instskip(NEXT) | instid1(VALU_DEP_1)
	v_div_fixup_f64 v[224:225], v[216:217], v[214:215], 1.0
	v_mul_f64 v[226:227], v[212:213], -v[224:225]
.LBB110_1144:
	s_or_b32 exec_lo, exec_lo, s2
.LBB110_1145:
	s_delay_alu instid0(SALU_CYCLE_1) | instskip(NEXT) | instid1(SALU_CYCLE_1)
	s_or_b32 exec_lo, exec_lo, s3
	s_mov_b32 s2, exec_lo
	v_cmpx_ne_u32_e64 v240, v232
	s_xor_b32 s2, exec_lo, s2
	s_cbranch_execz .LBB110_1151
; %bb.1146:
	s_mov_b32 s3, exec_lo
	v_cmpx_eq_u32_e32 54, v240
	s_cbranch_execz .LBB110_1150
; %bb.1147:
	v_cmp_ne_u32_e32 vcc_lo, 54, v232
	s_xor_b32 s6, s4, -1
	s_delay_alu instid0(SALU_CYCLE_1) | instskip(NEXT) | instid1(SALU_CYCLE_1)
	s_and_b32 s7, s6, vcc_lo
	s_and_saveexec_b32 s6, s7
	s_cbranch_execz .LBB110_1149
; %bb.1148:
	scratch_load_b64 v[10:11], off, off     ; 8-byte Folded Reload
	v_ashrrev_i32_e32 v233, 31, v232
	s_delay_alu instid0(VALU_DEP_1) | instskip(SKIP_1) | instid1(VALU_DEP_1)
	v_lshlrev_b64 v[212:213], 2, v[232:233]
	s_waitcnt vmcnt(0)
	v_add_co_u32 v212, vcc_lo, v10, v212
	s_delay_alu instid0(VALU_DEP_2)
	v_add_co_ci_u32_e32 v213, vcc_lo, v11, v213, vcc_lo
	s_clause 0x1
	flat_load_b32 v214, v[212:213]
	flat_load_b32 v215, v[10:11] offset:216
	s_waitcnt vmcnt(1) lgkmcnt(1)
	flat_store_b32 v[10:11], v214 offset:216
	s_waitcnt vmcnt(0) lgkmcnt(1)
	flat_store_b32 v[212:213], v215
.LBB110_1149:
	s_or_b32 exec_lo, exec_lo, s6
	v_mov_b32_e32 v240, v232
	v_mov_b32_e32 v239, v232
.LBB110_1150:
	s_or_b32 exec_lo, exec_lo, s3
.LBB110_1151:
	s_and_not1_saveexec_b32 s2, s2
	s_cbranch_execz .LBB110_1153
; %bb.1152:
	v_mov_b32_e32 v240, 54
	ds_store_2addr_b64 v234, v[0:1], v[2:3] offset0:110 offset1:111
.LBB110_1153:
	s_or_b32 exec_lo, exec_lo, s2
	s_delay_alu instid0(SALU_CYCLE_1)
	s_mov_b32 s2, exec_lo
	s_waitcnt lgkmcnt(0)
	s_waitcnt_vscnt null, 0x0
	s_barrier
	buffer_gl0_inv
	v_cmpx_lt_i32_e32 54, v240
	s_cbranch_execz .LBB110_1155
; %bb.1154:
	v_mul_f64 v[212:213], v[224:225], v[230:231]
	ds_load_2addr_b64 v[241:244], v234 offset0:110 offset1:111
	v_fma_f64 v[212:213], v[226:227], v[228:229], v[212:213]
	v_mov_b32_e32 v11, v9
	v_dual_mov_b32 v10, v8 :: v_dual_mov_b32 v9, v7
	v_mov_b32_e32 v8, v6
	v_mul_f64 v[6:7], v[226:227], v[230:231]
	v_mov_b32_e32 v231, v213
	s_waitcnt lgkmcnt(0)
	v_mul_f64 v[214:215], v[241:242], v[212:213]
	v_mov_b32_e32 v230, v212
	s_delay_alu instid0(VALU_DEP_4) | instskip(SKIP_1) | instid1(VALU_DEP_2)
	v_fma_f64 v[228:229], v[224:225], v[228:229], -v[6:7]
	v_mul_f64 v[6:7], v[243:244], v[212:213]
	v_fma_f64 v[214:215], v[243:244], v[228:229], v[214:215]
	s_delay_alu instid0(VALU_DEP_2) | instskip(NEXT) | instid1(VALU_DEP_2)
	v_fma_f64 v[6:7], v[241:242], v[228:229], -v[6:7]
	v_add_f64 v[2:3], v[2:3], -v[214:215]
	s_delay_alu instid0(VALU_DEP_2)
	v_add_f64 v[0:1], v[0:1], -v[6:7]
	v_mov_b32_e32 v6, v8
	v_dual_mov_b32 v7, v9 :: v_dual_mov_b32 v8, v10
	v_mov_b32_e32 v9, v11
.LBB110_1155:
	s_or_b32 exec_lo, exec_lo, s2
	v_lshl_add_u32 v212, v240, 4, v234
	s_barrier
	buffer_gl0_inv
	v_mov_b32_e32 v232, 55
	ds_store_2addr_b64 v212, v[0:1], v[2:3] offset1:1
	s_waitcnt lgkmcnt(0)
	s_barrier
	buffer_gl0_inv
	ds_load_2addr_b64 v[224:227], v234 offset0:110 offset1:111
	s_cmp_lt_i32 s5, 57
	s_cbranch_scc1 .LBB110_1158
; %bb.1156:
	v_add3_u32 v233, v238, 0, 0x380
	v_mov_b32_e32 v232, 55
	s_mov_b32 s6, 56
	s_set_inst_prefetch_distance 0x1
	.p2align	6
.LBB110_1157:                           ; =>This Inner Loop Header: Depth=1
	ds_load_2addr_b64 v[241:244], v233 offset1:1
	s_waitcnt lgkmcnt(1)
	v_cmp_gt_f64_e32 vcc_lo, 0, v[224:225]
	v_xor_b32_e32 v212, 0x80000000, v225
	v_cmp_gt_f64_e64 s2, 0, v[226:227]
	v_xor_b32_e32 v214, 0x80000000, v227
	v_add_nc_u32_e32 v233, 16, v233
	s_waitcnt lgkmcnt(0)
	v_cmp_gt_f64_e64 s3, 0, v[241:242]
	v_mov_b32_e32 v216, v241
	v_dual_mov_b32 v218, v243 :: v_dual_cndmask_b32 v213, v225, v212
	v_xor_b32_e32 v212, 0x80000000, v242
	v_cndmask_b32_e64 v215, v227, v214, s2
	v_xor_b32_e32 v214, 0x80000000, v244
	s_delay_alu instid0(VALU_DEP_3) | instskip(SKIP_2) | instid1(VALU_DEP_2)
	v_cndmask_b32_e64 v217, v242, v212, s3
	v_cmp_gt_f64_e64 s3, 0, v[243:244]
	v_cndmask_b32_e32 v212, v224, v224, vcc_lo
	v_cndmask_b32_e64 v219, v244, v214, s3
	v_cndmask_b32_e64 v214, v226, v226, s2
	s_delay_alu instid0(VALU_DEP_2) | instskip(NEXT) | instid1(VALU_DEP_2)
	v_add_f64 v[216:217], v[216:217], v[218:219]
	v_add_f64 v[212:213], v[212:213], v[214:215]
	s_delay_alu instid0(VALU_DEP_1) | instskip(SKIP_4) | instid1(SALU_CYCLE_1)
	v_cmp_lt_f64_e32 vcc_lo, v[212:213], v[216:217]
	v_dual_cndmask_b32 v225, v225, v242 :: v_dual_cndmask_b32 v224, v224, v241
	v_dual_cndmask_b32 v227, v227, v244 :: v_dual_cndmask_b32 v226, v226, v243
	v_cndmask_b32_e64 v232, v232, s6, vcc_lo
	s_add_i32 s6, s6, 1
	s_cmp_lg_u32 s5, s6
	s_cbranch_scc1 .LBB110_1157
.LBB110_1158:
	s_set_inst_prefetch_distance 0x2
	s_waitcnt lgkmcnt(0)
	v_cmp_eq_f64_e32 vcc_lo, 0, v[224:225]
	v_cmp_eq_f64_e64 s2, 0, v[226:227]
	s_delay_alu instid0(VALU_DEP_1) | instskip(NEXT) | instid1(SALU_CYCLE_1)
	s_and_b32 s2, vcc_lo, s2
	s_and_saveexec_b32 s3, s2
	s_delay_alu instid0(SALU_CYCLE_1)
	s_xor_b32 s2, exec_lo, s3
; %bb.1159:
	v_cmp_ne_u32_e32 vcc_lo, 0, v237
	v_cndmask_b32_e32 v237, 56, v237, vcc_lo
; %bb.1160:
	s_and_not1_saveexec_b32 s3, s2
	s_cbranch_execz .LBB110_1166
; %bb.1161:
	v_cmp_gt_f64_e32 vcc_lo, 0, v[224:225]
	v_cmp_gt_f64_e64 s2, 0, v[226:227]
	v_xor_b32_e32 v212, 0x80000000, v225
	v_xor_b32_e32 v214, 0x80000000, v227
	s_delay_alu instid0(VALU_DEP_2) | instskip(NEXT) | instid1(VALU_DEP_2)
	v_cndmask_b32_e32 v213, v225, v212, vcc_lo
	v_cndmask_b32_e64 v215, v227, v214, s2
	v_cndmask_b32_e32 v212, v224, v224, vcc_lo
	v_cndmask_b32_e64 v214, v226, v226, s2
	s_mov_b32 s2, exec_lo
	s_delay_alu instid0(VALU_DEP_1)
	v_cmpx_ngt_f64_e32 v[212:213], v[214:215]
	s_xor_b32 s2, exec_lo, s2
	s_cbranch_execz .LBB110_1163
; %bb.1162:
	v_div_scale_f64 v[212:213], null, v[226:227], v[226:227], v[224:225]
	v_div_scale_f64 v[218:219], vcc_lo, v[224:225], v[226:227], v[224:225]
	s_delay_alu instid0(VALU_DEP_2) | instskip(SKIP_2) | instid1(VALU_DEP_1)
	v_rcp_f64_e32 v[214:215], v[212:213]
	s_waitcnt_depctr 0xfff
	v_fma_f64 v[216:217], -v[212:213], v[214:215], 1.0
	v_fma_f64 v[214:215], v[214:215], v[216:217], v[214:215]
	s_delay_alu instid0(VALU_DEP_1) | instskip(NEXT) | instid1(VALU_DEP_1)
	v_fma_f64 v[216:217], -v[212:213], v[214:215], 1.0
	v_fma_f64 v[214:215], v[214:215], v[216:217], v[214:215]
	s_delay_alu instid0(VALU_DEP_1) | instskip(NEXT) | instid1(VALU_DEP_1)
	v_mul_f64 v[216:217], v[218:219], v[214:215]
	v_fma_f64 v[212:213], -v[212:213], v[216:217], v[218:219]
	s_delay_alu instid0(VALU_DEP_1) | instskip(NEXT) | instid1(VALU_DEP_1)
	v_div_fmas_f64 v[212:213], v[212:213], v[214:215], v[216:217]
	v_div_fixup_f64 v[212:213], v[212:213], v[226:227], v[224:225]
	s_delay_alu instid0(VALU_DEP_1) | instskip(NEXT) | instid1(VALU_DEP_1)
	v_fma_f64 v[214:215], v[224:225], v[212:213], v[226:227]
	v_div_scale_f64 v[216:217], null, v[214:215], v[214:215], 1.0
	s_delay_alu instid0(VALU_DEP_1) | instskip(SKIP_2) | instid1(VALU_DEP_1)
	v_rcp_f64_e32 v[218:219], v[216:217]
	s_waitcnt_depctr 0xfff
	v_fma_f64 v[220:221], -v[216:217], v[218:219], 1.0
	v_fma_f64 v[218:219], v[218:219], v[220:221], v[218:219]
	s_delay_alu instid0(VALU_DEP_1) | instskip(NEXT) | instid1(VALU_DEP_1)
	v_fma_f64 v[220:221], -v[216:217], v[218:219], 1.0
	v_fma_f64 v[218:219], v[218:219], v[220:221], v[218:219]
	v_div_scale_f64 v[220:221], vcc_lo, 1.0, v[214:215], 1.0
	s_delay_alu instid0(VALU_DEP_1) | instskip(NEXT) | instid1(VALU_DEP_1)
	v_mul_f64 v[222:223], v[220:221], v[218:219]
	v_fma_f64 v[216:217], -v[216:217], v[222:223], v[220:221]
	s_delay_alu instid0(VALU_DEP_1) | instskip(NEXT) | instid1(VALU_DEP_1)
	v_div_fmas_f64 v[216:217], v[216:217], v[218:219], v[222:223]
	v_div_fixup_f64 v[226:227], v[216:217], v[214:215], 1.0
	s_delay_alu instid0(VALU_DEP_1)
	v_mul_f64 v[224:225], v[212:213], v[226:227]
	v_xor_b32_e32 v227, 0x80000000, v227
.LBB110_1163:
	s_and_not1_saveexec_b32 s2, s2
	s_cbranch_execz .LBB110_1165
; %bb.1164:
	s_delay_alu instid0(VALU_DEP_1) | instskip(SKIP_1) | instid1(VALU_DEP_2)
	v_div_scale_f64 v[212:213], null, v[224:225], v[224:225], v[226:227]
	v_div_scale_f64 v[218:219], vcc_lo, v[226:227], v[224:225], v[226:227]
	v_rcp_f64_e32 v[214:215], v[212:213]
	s_waitcnt_depctr 0xfff
	v_fma_f64 v[216:217], -v[212:213], v[214:215], 1.0
	s_delay_alu instid0(VALU_DEP_1) | instskip(NEXT) | instid1(VALU_DEP_1)
	v_fma_f64 v[214:215], v[214:215], v[216:217], v[214:215]
	v_fma_f64 v[216:217], -v[212:213], v[214:215], 1.0
	s_delay_alu instid0(VALU_DEP_1) | instskip(NEXT) | instid1(VALU_DEP_1)
	v_fma_f64 v[214:215], v[214:215], v[216:217], v[214:215]
	v_mul_f64 v[216:217], v[218:219], v[214:215]
	s_delay_alu instid0(VALU_DEP_1) | instskip(NEXT) | instid1(VALU_DEP_1)
	v_fma_f64 v[212:213], -v[212:213], v[216:217], v[218:219]
	v_div_fmas_f64 v[212:213], v[212:213], v[214:215], v[216:217]
	s_delay_alu instid0(VALU_DEP_1) | instskip(NEXT) | instid1(VALU_DEP_1)
	v_div_fixup_f64 v[212:213], v[212:213], v[224:225], v[226:227]
	v_fma_f64 v[214:215], v[226:227], v[212:213], v[224:225]
	s_delay_alu instid0(VALU_DEP_1) | instskip(NEXT) | instid1(VALU_DEP_1)
	v_div_scale_f64 v[216:217], null, v[214:215], v[214:215], 1.0
	v_rcp_f64_e32 v[218:219], v[216:217]
	s_waitcnt_depctr 0xfff
	v_fma_f64 v[220:221], -v[216:217], v[218:219], 1.0
	s_delay_alu instid0(VALU_DEP_1) | instskip(NEXT) | instid1(VALU_DEP_1)
	v_fma_f64 v[218:219], v[218:219], v[220:221], v[218:219]
	v_fma_f64 v[220:221], -v[216:217], v[218:219], 1.0
	s_delay_alu instid0(VALU_DEP_1) | instskip(SKIP_1) | instid1(VALU_DEP_1)
	v_fma_f64 v[218:219], v[218:219], v[220:221], v[218:219]
	v_div_scale_f64 v[220:221], vcc_lo, 1.0, v[214:215], 1.0
	v_mul_f64 v[222:223], v[220:221], v[218:219]
	s_delay_alu instid0(VALU_DEP_1) | instskip(NEXT) | instid1(VALU_DEP_1)
	v_fma_f64 v[216:217], -v[216:217], v[222:223], v[220:221]
	v_div_fmas_f64 v[216:217], v[216:217], v[218:219], v[222:223]
	s_delay_alu instid0(VALU_DEP_1) | instskip(NEXT) | instid1(VALU_DEP_1)
	v_div_fixup_f64 v[224:225], v[216:217], v[214:215], 1.0
	v_mul_f64 v[226:227], v[212:213], -v[224:225]
.LBB110_1165:
	s_or_b32 exec_lo, exec_lo, s2
.LBB110_1166:
	s_delay_alu instid0(SALU_CYCLE_1)
	s_or_b32 exec_lo, exec_lo, s3
	v_mov_b32_e32 v233, 55
	s_mov_b32 s2, exec_lo
	v_cmpx_ne_u32_e64 v240, v232
	s_cbranch_execz .LBB110_1172
; %bb.1167:
	s_mov_b32 s3, exec_lo
	v_cmpx_eq_u32_e32 55, v240
	s_cbranch_execz .LBB110_1171
; %bb.1168:
	v_cmp_ne_u32_e32 vcc_lo, 55, v232
	s_xor_b32 s4, s4, -1
	s_delay_alu instid0(SALU_CYCLE_1) | instskip(NEXT) | instid1(SALU_CYCLE_1)
	s_and_b32 s5, s4, vcc_lo
	s_and_saveexec_b32 s4, s5
	s_cbranch_execz .LBB110_1170
; %bb.1169:
	scratch_load_b64 v[10:11], off, off     ; 8-byte Folded Reload
	v_ashrrev_i32_e32 v233, 31, v232
	s_delay_alu instid0(VALU_DEP_1) | instskip(SKIP_1) | instid1(VALU_DEP_1)
	v_lshlrev_b64 v[212:213], 2, v[232:233]
	s_waitcnt vmcnt(0)
	v_add_co_u32 v212, vcc_lo, v10, v212
	s_delay_alu instid0(VALU_DEP_2)
	v_add_co_ci_u32_e32 v213, vcc_lo, v11, v213, vcc_lo
	s_clause 0x1
	flat_load_b32 v214, v[212:213]
	flat_load_b32 v215, v[10:11] offset:220
	s_waitcnt vmcnt(1) lgkmcnt(1)
	flat_store_b32 v[10:11], v214 offset:220
	s_waitcnt vmcnt(0) lgkmcnt(1)
	flat_store_b32 v[212:213], v215
.LBB110_1170:
	s_or_b32 exec_lo, exec_lo, s4
	v_mov_b32_e32 v240, v232
	v_mov_b32_e32 v239, v232
.LBB110_1171:
	s_or_b32 exec_lo, exec_lo, s3
	s_delay_alu instid0(VALU_DEP_2)
	v_mov_b32_e32 v233, v240
.LBB110_1172:
	s_or_b32 exec_lo, exec_lo, s2
	s_delay_alu instid0(SALU_CYCLE_1)
	s_mov_b32 s2, exec_lo
	s_waitcnt lgkmcnt(0)
	s_waitcnt_vscnt null, 0x0
	s_barrier
	buffer_gl0_inv
	v_cmpx_lt_i32_e32 55, v233
; %bb.1173:
	v_mul_f64 v[212:213], v[226:227], v[2:3]
	v_mul_f64 v[2:3], v[224:225], v[2:3]
	s_delay_alu instid0(VALU_DEP_2) | instskip(NEXT) | instid1(VALU_DEP_2)
	v_fma_f64 v[212:213], v[224:225], v[0:1], -v[212:213]
	v_fma_f64 v[2:3], v[226:227], v[0:1], v[2:3]
	s_delay_alu instid0(VALU_DEP_2)
	v_dual_mov_b32 v0, v212 :: v_dual_mov_b32 v1, v213
; %bb.1174:
	s_or_b32 exec_lo, exec_lo, s2
	s_load_b256 s[0:7], s[0:1], 0x28
	v_ashrrev_i32_e32 v234, 31, v233
	s_mov_b32 s9, exec_lo
	s_waitcnt lgkmcnt(0)
	s_barrier
	buffer_gl0_inv
	v_cmpx_gt_i32_e32 56, v233
	s_cbranch_execz .LBB110_1176
; %bb.1175:
	v_mul_lo_u32 v214, v5, s4
	v_mul_lo_u32 v215, v4, s5
	v_mad_u64_u32 v[212:213], null, v4, s4, 0
	s_lshl_b64 s[2:3], s[2:3], 2
	s_delay_alu instid0(SALU_CYCLE_1) | instskip(SKIP_1) | instid1(VALU_DEP_1)
	s_add_u32 s0, s2, s0
	s_addc_u32 s1, s3, s1
	v_add3_u32 v213, v213, v215, v214
	v_lshlrev_b64 v[214:215], 2, v[233:234]
	s_delay_alu instid0(VALU_DEP_2) | instskip(NEXT) | instid1(VALU_DEP_1)
	v_lshlrev_b64 v[212:213], 2, v[212:213]
	v_add_co_u32 v212, vcc_lo, s0, v212
	s_delay_alu instid0(VALU_DEP_2) | instskip(NEXT) | instid1(VALU_DEP_2)
	v_add_co_ci_u32_e32 v213, vcc_lo, s1, v213, vcc_lo
	v_add_co_u32 v212, vcc_lo, v212, v214
	s_delay_alu instid0(VALU_DEP_2)
	v_add_co_ci_u32_e32 v213, vcc_lo, v213, v215, vcc_lo
	v_add3_u32 v214, v239, s13, 1
	global_store_b32 v[212:213], v214, off
.LBB110_1176:
	s_or_b32 exec_lo, exec_lo, s9
	s_delay_alu instid0(SALU_CYCLE_1)
	s_mov_b32 s1, exec_lo
	v_cmpx_eq_u32_e32 0, v233
	s_cbranch_execz .LBB110_1179
; %bb.1177:
	v_lshlrev_b64 v[212:213], 2, v[4:5]
	v_cmp_lt_i32_e64 s0, 0, v237
	s_delay_alu instid0(VALU_DEP_2) | instskip(NEXT) | instid1(VALU_DEP_3)
	v_add_co_u32 v224, vcc_lo, s6, v212
	v_add_co_ci_u32_e32 v225, vcc_lo, s7, v213, vcc_lo
	global_load_b32 v212, v[224:225], off
	s_waitcnt vmcnt(0)
	v_cmp_eq_u32_e32 vcc_lo, 0, v212
	s_and_b32 s0, vcc_lo, s0
	s_delay_alu instid0(SALU_CYCLE_1)
	s_and_b32 exec_lo, exec_lo, s0
	s_cbranch_execz .LBB110_1179
; %bb.1178:
	v_add_nc_u32_e32 v212, s13, v237
	global_store_b32 v[224:225], v212, off
.LBB110_1179:
	s_or_b32 exec_lo, exec_lo, s1
	scratch_load_b128 v[218:221], off, off offset:8 ; 16-byte Folded Reload
	v_lshlrev_b64 v[214:215], 4, v[233:234]
	v_add3_u32 v212, s8, s8, v233
	s_delay_alu instid0(VALU_DEP_1) | instskip(NEXT) | instid1(VALU_DEP_3)
	v_add_nc_u32_e32 v216, s8, v212
	v_add_co_u32 v214, vcc_lo, v235, v214
	s_delay_alu instid0(VALU_DEP_4) | instskip(SKIP_1) | instid1(VALU_DEP_4)
	v_add_co_ci_u32_e32 v215, vcc_lo, v236, v215, vcc_lo
	v_ashrrev_i32_e32 v213, 31, v212
	v_ashrrev_i32_e32 v217, 31, v216
	s_delay_alu instid0(VALU_DEP_2)
	v_lshlrev_b64 v[212:213], 4, v[212:213]
	s_waitcnt vmcnt(0)
	global_store_b128 v[214:215], v[218:221], off
	v_add_nc_u32_e32 v219, s8, v216
	v_add_co_u32 v214, vcc_lo, v214, s10
	v_lshlrev_b64 v[217:218], 4, v[216:217]
	v_add_co_ci_u32_e32 v215, vcc_lo, s11, v215, vcc_lo
	s_delay_alu instid0(VALU_DEP_4)
	v_ashrrev_i32_e32 v220, 31, v219
	v_add_nc_u32_e32 v216, s8, v219
	v_add_co_u32 v212, vcc_lo, v235, v212
	v_add_co_ci_u32_e32 v213, vcc_lo, v236, v213, vcc_lo
	v_add_co_u32 v221, vcc_lo, v235, v217
	global_store_b128 v[214:215], v[208:211], off
	v_lshlrev_b64 v[214:215], 4, v[219:220]
	v_ashrrev_i32_e32 v217, 31, v216
	v_add_nc_u32_e32 v210, s8, v216
	v_add_co_ci_u32_e32 v222, vcc_lo, v236, v218, vcc_lo
	s_clause 0x1
	global_store_b128 v[212:213], v[6:9], off
	global_store_b128 v[221:222], v[245:248], off
	v_lshlrev_b64 v[208:209], 4, v[216:217]
	v_add_co_u32 v212, vcc_lo, v235, v214
	v_add_nc_u32_e32 v214, s8, v210
	v_ashrrev_i32_e32 v211, 31, v210
	v_add_co_ci_u32_e32 v213, vcc_lo, v236, v215, vcc_lo
	v_add_co_u32 v208, vcc_lo, v235, v208
	s_delay_alu instid0(VALU_DEP_4) | instskip(SKIP_3) | instid1(VALU_DEP_4)
	v_add_nc_u32_e32 v216, s8, v214
	v_ashrrev_i32_e32 v215, 31, v214
	v_add_co_ci_u32_e32 v209, vcc_lo, v236, v209, vcc_lo
	v_lshlrev_b64 v[210:211], 4, v[210:211]
	v_ashrrev_i32_e32 v217, 31, v216
	s_clause 0x1
	global_store_b128 v[212:213], v[204:207], off
	global_store_b128 v[208:209], v[200:203], off
	v_lshlrev_b64 v[200:201], 4, v[214:215]
	v_add_nc_u32_e32 v206, s8, v216
	v_add_co_u32 v202, vcc_lo, v235, v210
	v_lshlrev_b64 v[204:205], 4, v[216:217]
	v_add_co_ci_u32_e32 v203, vcc_lo, v236, v211, vcc_lo
	v_add_co_u32 v200, vcc_lo, v235, v200
	v_add_co_ci_u32_e32 v201, vcc_lo, v236, v201, vcc_lo
	s_delay_alu instid0(VALU_DEP_4)
	v_add_co_u32 v204, vcc_lo, v235, v204
	v_add_nc_u32_e32 v208, s8, v206
	v_add_co_ci_u32_e32 v205, vcc_lo, v236, v205, vcc_lo
	v_ashrrev_i32_e32 v207, 31, v206
	global_store_b128 v[202:203], v[196:199], off
	v_ashrrev_i32_e32 v209, 31, v208
	s_clause 0x1
	global_store_b128 v[200:201], v[192:195], off
	global_store_b128 v[204:205], v[188:191], off
	v_add_nc_u32_e32 v190, s8, v208
	v_lshlrev_b64 v[196:197], 4, v[206:207]
	v_lshlrev_b64 v[188:189], 4, v[208:209]
	s_delay_alu instid0(VALU_DEP_3) | instskip(SKIP_1) | instid1(VALU_DEP_4)
	v_add_nc_u32_e32 v194, s8, v190
	v_ashrrev_i32_e32 v191, 31, v190
	v_add_co_u32 v192, vcc_lo, v235, v196
	v_add_co_ci_u32_e32 v193, vcc_lo, v236, v197, vcc_lo
	s_delay_alu instid0(VALU_DEP_4)
	v_add_nc_u32_e32 v196, s8, v194
	v_add_co_u32 v188, vcc_lo, v235, v188
	v_ashrrev_i32_e32 v195, 31, v194
	v_add_co_ci_u32_e32 v189, vcc_lo, v236, v189, vcc_lo
	v_lshlrev_b64 v[190:191], 4, v[190:191]
	v_ashrrev_i32_e32 v197, 31, v196
	s_clause 0x1
	global_store_b128 v[192:193], v[184:187], off
	global_store_b128 v[188:189], v[180:183], off
	v_lshlrev_b64 v[180:181], 4, v[194:195]
	v_add_nc_u32_e32 v186, s8, v196
	v_add_co_u32 v182, vcc_lo, v235, v190
	v_lshlrev_b64 v[184:185], 4, v[196:197]
	v_add_co_ci_u32_e32 v183, vcc_lo, v236, v191, vcc_lo
	v_add_co_u32 v180, vcc_lo, v235, v180
	v_add_co_ci_u32_e32 v181, vcc_lo, v236, v181, vcc_lo
	s_delay_alu instid0(VALU_DEP_4)
	v_add_co_u32 v184, vcc_lo, v235, v184
	v_add_nc_u32_e32 v188, s8, v186
	v_add_co_ci_u32_e32 v185, vcc_lo, v236, v185, vcc_lo
	v_ashrrev_i32_e32 v187, 31, v186
	global_store_b128 v[182:183], v[176:179], off
	v_ashrrev_i32_e32 v189, 31, v188
	s_clause 0x1
	global_store_b128 v[180:181], v[172:175], off
	global_store_b128 v[184:185], v[168:171], off
	v_add_nc_u32_e32 v170, s8, v188
	v_lshlrev_b64 v[176:177], 4, v[186:187]
	v_lshlrev_b64 v[168:169], 4, v[188:189]
	s_delay_alu instid0(VALU_DEP_3) | instskip(SKIP_1) | instid1(VALU_DEP_4)
	v_add_nc_u32_e32 v174, s8, v170
	v_ashrrev_i32_e32 v171, 31, v170
	v_add_co_u32 v172, vcc_lo, v235, v176
	v_add_co_ci_u32_e32 v173, vcc_lo, v236, v177, vcc_lo
	s_delay_alu instid0(VALU_DEP_4)
	v_add_nc_u32_e32 v176, s8, v174
	v_add_co_u32 v168, vcc_lo, v235, v168
	;; [unrolled: 35-line block ×8, first 2 shown]
	v_ashrrev_i32_e32 v55, 31, v54
	v_add_co_ci_u32_e32 v49, vcc_lo, v236, v49, vcc_lo
	v_lshlrev_b64 v[50:51], 4, v[50:51]
	v_ashrrev_i32_e32 v57, 31, v56
	s_clause 0x1
	global_store_b128 v[52:53], v[44:47], off
	global_store_b128 v[48:49], v[40:43], off
	v_lshlrev_b64 v[40:41], 4, v[54:55]
	v_add_nc_u32_e32 v46, s8, v56
	v_add_co_u32 v42, vcc_lo, v235, v50
	v_lshlrev_b64 v[44:45], 4, v[56:57]
	v_add_co_ci_u32_e32 v43, vcc_lo, v236, v51, vcc_lo
	v_add_co_u32 v40, vcc_lo, v235, v40
	v_add_nc_u32_e32 v48, s8, v46
	v_add_co_ci_u32_e32 v41, vcc_lo, v236, v41, vcc_lo
	v_ashrrev_i32_e32 v47, 31, v46
	v_add_co_u32 v44, vcc_lo, v235, v44
	v_add_co_ci_u32_e32 v45, vcc_lo, v236, v45, vcc_lo
	v_ashrrev_i32_e32 v49, 31, v48
	global_store_b128 v[42:43], v[36:39], off
	v_lshlrev_b64 v[36:37], 4, v[46:47]
	s_clause 0x1
	global_store_b128 v[40:41], v[32:35], off
	global_store_b128 v[44:45], v[28:31], off
	v_add_nc_u32_e32 v30, s8, v48
	v_lshlrev_b64 v[28:29], 4, v[48:49]
	v_add_co_u32 v32, vcc_lo, v235, v36
	s_delay_alu instid0(VALU_DEP_3) | instskip(SKIP_1) | instid1(VALU_DEP_4)
	v_add_nc_u32_e32 v34, s8, v30
	v_add_co_ci_u32_e32 v33, vcc_lo, v236, v37, vcc_lo
	v_add_co_u32 v28, vcc_lo, v235, v28
	v_add_co_ci_u32_e32 v29, vcc_lo, v236, v29, vcc_lo
	s_delay_alu instid0(VALU_DEP_4)
	v_add_nc_u32_e32 v36, s8, v34
	v_ashrrev_i32_e32 v31, 31, v30
	s_clause 0x1
	global_store_b128 v[32:33], v[24:27], off
	global_store_b128 v[28:29], v[20:23], off
	v_ashrrev_i32_e32 v35, 31, v34
	v_add_nc_u32_e32 v22, s8, v36
	v_lshlrev_b64 v[24:25], 4, v[30:31]
	v_ashrrev_i32_e32 v37, 31, v36
	s_delay_alu instid0(VALU_DEP_4) | instskip(NEXT) | instid1(VALU_DEP_4)
	v_lshlrev_b64 v[20:21], 4, v[34:35]
	v_add_nc_u32_e32 v28, s8, v22
	v_ashrrev_i32_e32 v23, 31, v22
	v_add_co_u32 v24, vcc_lo, v235, v24
	v_lshlrev_b64 v[26:27], 4, v[36:37]
	s_delay_alu instid0(VALU_DEP_4)
	v_ashrrev_i32_e32 v29, 31, v28
	v_add_co_ci_u32_e32 v25, vcc_lo, v236, v25, vcc_lo
	v_add_co_u32 v20, vcc_lo, v235, v20
	v_lshlrev_b64 v[22:23], 4, v[22:23]
	v_add_co_ci_u32_e32 v21, vcc_lo, v236, v21, vcc_lo
	v_add_co_u32 v26, vcc_lo, v235, v26
	v_lshlrev_b64 v[28:29], 4, v[28:29]
	v_add_co_ci_u32_e32 v27, vcc_lo, v236, v27, vcc_lo
	v_add_co_u32 v22, vcc_lo, v235, v22
	v_add_co_ci_u32_e32 v23, vcc_lo, v236, v23, vcc_lo
	s_delay_alu instid0(VALU_DEP_4)
	v_add_co_u32 v28, vcc_lo, v235, v28
	v_add_co_ci_u32_e32 v29, vcc_lo, v236, v29, vcc_lo
	s_clause 0x4
	global_store_b128 v[24:25], v[16:19], off
	global_store_b128 v[20:21], v[12:15], off
	;; [unrolled: 1-line block ×5, first 2 shown]
.LBB110_1180:
	s_nop 0
	s_sendmsg sendmsg(MSG_DEALLOC_VGPRS)
	s_endpgm
	.section	.rodata,"a",@progbits
	.p2align	6, 0x0
	.amdhsa_kernel _ZN9rocsolver6v33100L18getf2_small_kernelILi56E19rocblas_complex_numIdEiiPKPS3_EEvT1_T3_lS7_lPS7_llPT2_S7_S7_S9_l
		.amdhsa_group_segment_fixed_size 0
		.amdhsa_private_segment_fixed_size 68
		.amdhsa_kernarg_size 352
		.amdhsa_user_sgpr_count 14
		.amdhsa_user_sgpr_dispatch_ptr 0
		.amdhsa_user_sgpr_queue_ptr 0
		.amdhsa_user_sgpr_kernarg_segment_ptr 1
		.amdhsa_user_sgpr_dispatch_id 0
		.amdhsa_user_sgpr_private_segment_size 0
		.amdhsa_wavefront_size32 1
		.amdhsa_uses_dynamic_stack 0
		.amdhsa_enable_private_segment 1
		.amdhsa_system_sgpr_workgroup_id_x 1
		.amdhsa_system_sgpr_workgroup_id_y 1
		.amdhsa_system_sgpr_workgroup_id_z 0
		.amdhsa_system_sgpr_workgroup_info 0
		.amdhsa_system_vgpr_workitem_id 1
		.amdhsa_next_free_vgpr 256
		.amdhsa_next_free_sgpr 18
		.amdhsa_reserve_vcc 1
		.amdhsa_float_round_mode_32 0
		.amdhsa_float_round_mode_16_64 0
		.amdhsa_float_denorm_mode_32 3
		.amdhsa_float_denorm_mode_16_64 3
		.amdhsa_dx10_clamp 1
		.amdhsa_ieee_mode 1
		.amdhsa_fp16_overflow 0
		.amdhsa_workgroup_processor_mode 1
		.amdhsa_memory_ordered 1
		.amdhsa_forward_progress 0
		.amdhsa_shared_vgpr_count 0
		.amdhsa_exception_fp_ieee_invalid_op 0
		.amdhsa_exception_fp_denorm_src 0
		.amdhsa_exception_fp_ieee_div_zero 0
		.amdhsa_exception_fp_ieee_overflow 0
		.amdhsa_exception_fp_ieee_underflow 0
		.amdhsa_exception_fp_ieee_inexact 0
		.amdhsa_exception_int_div_zero 0
	.end_amdhsa_kernel
	.section	.text._ZN9rocsolver6v33100L18getf2_small_kernelILi56E19rocblas_complex_numIdEiiPKPS3_EEvT1_T3_lS7_lPS7_llPT2_S7_S7_S9_l,"axG",@progbits,_ZN9rocsolver6v33100L18getf2_small_kernelILi56E19rocblas_complex_numIdEiiPKPS3_EEvT1_T3_lS7_lPS7_llPT2_S7_S7_S9_l,comdat
.Lfunc_end110:
	.size	_ZN9rocsolver6v33100L18getf2_small_kernelILi56E19rocblas_complex_numIdEiiPKPS3_EEvT1_T3_lS7_lPS7_llPT2_S7_S7_S9_l, .Lfunc_end110-_ZN9rocsolver6v33100L18getf2_small_kernelILi56E19rocblas_complex_numIdEiiPKPS3_EEvT1_T3_lS7_lPS7_llPT2_S7_S7_S9_l
                                        ; -- End function
	.section	.AMDGPU.csdata,"",@progbits
; Kernel info:
; codeLenInByte = 181728
; NumSgprs: 20
; NumVgprs: 256
; ScratchSize: 68
; MemoryBound: 0
; FloatMode: 240
; IeeeMode: 1
; LDSByteSize: 0 bytes/workgroup (compile time only)
; SGPRBlocks: 2
; VGPRBlocks: 31
; NumSGPRsForWavesPerEU: 20
; NumVGPRsForWavesPerEU: 256
; Occupancy: 5
; WaveLimiterHint : 1
; COMPUTE_PGM_RSRC2:SCRATCH_EN: 1
; COMPUTE_PGM_RSRC2:USER_SGPR: 14
; COMPUTE_PGM_RSRC2:TRAP_HANDLER: 0
; COMPUTE_PGM_RSRC2:TGID_X_EN: 1
; COMPUTE_PGM_RSRC2:TGID_Y_EN: 1
; COMPUTE_PGM_RSRC2:TGID_Z_EN: 0
; COMPUTE_PGM_RSRC2:TIDIG_COMP_CNT: 1
	.section	.text._ZN9rocsolver6v33100L23getf2_npvt_small_kernelILi56E19rocblas_complex_numIdEiiPKPS3_EEvT1_T3_lS7_lPT2_S7_S7_,"axG",@progbits,_ZN9rocsolver6v33100L23getf2_npvt_small_kernelILi56E19rocblas_complex_numIdEiiPKPS3_EEvT1_T3_lS7_lPT2_S7_S7_,comdat
	.globl	_ZN9rocsolver6v33100L23getf2_npvt_small_kernelILi56E19rocblas_complex_numIdEiiPKPS3_EEvT1_T3_lS7_lPT2_S7_S7_ ; -- Begin function _ZN9rocsolver6v33100L23getf2_npvt_small_kernelILi56E19rocblas_complex_numIdEiiPKPS3_EEvT1_T3_lS7_lPT2_S7_S7_
	.p2align	8
	.type	_ZN9rocsolver6v33100L23getf2_npvt_small_kernelILi56E19rocblas_complex_numIdEiiPKPS3_EEvT1_T3_lS7_lPT2_S7_S7_,@function
_ZN9rocsolver6v33100L23getf2_npvt_small_kernelILi56E19rocblas_complex_numIdEiiPKPS3_EEvT1_T3_lS7_lPT2_S7_S7_: ; @_ZN9rocsolver6v33100L23getf2_npvt_small_kernelILi56E19rocblas_complex_numIdEiiPKPS3_EEvT1_T3_lS7_lPT2_S7_S7_
; %bb.0:
	s_clause 0x1
	s_load_b32 s2, s[0:1], 0x44
	s_load_b64 s[12:13], s[0:1], 0x30
	v_bfe_u32 v1, v0, 10, 10
	s_waitcnt lgkmcnt(0)
	s_lshr_b32 s8, s2, 16
	s_mov_b32 s2, exec_lo
	s_delay_alu instid0(VALU_DEP_1) | instskip(NEXT) | instid1(VALU_DEP_1)
	v_mad_u64_u32 v[2:3], null, s15, s8, v[1:2]
	v_cmpx_gt_i32_e64 s12, v2
	s_cbranch_execnz .LBB111_1
; %bb.510:
	s_getpc_b64 s[16:17]
.Lpost_getpc19:
	s_add_u32 s16, s16, (.LBB111_509-.Lpost_getpc19)&4294967295
	s_addc_u32 s17, s17, (.LBB111_509-.Lpost_getpc19)>>32
	s_setpc_b64 s[16:17]
.LBB111_1:
	s_clause 0x1
	s_load_b128 s[4:7], s[0:1], 0x8
	s_load_b32 s2, s[0:1], 0x18
	v_ashrrev_i32_e32 v3, 31, v2
	v_and_b32_e32 v248, 0x3ff, v0
	s_mulk_i32 s8, 0x380
	v_mad_u32_u24 v214, 0x380, v1, 0
	scratch_store_b64 off, v[2:3], off offset:1264 ; 8-byte Folded Spill
	v_lshlrev_b64 v[2:3], 3, v[2:3]
	s_waitcnt lgkmcnt(0)
	s_delay_alu instid0(VALU_DEP_1) | instskip(NEXT) | instid1(VALU_DEP_2)
	v_add_co_u32 v2, vcc_lo, s4, v2
	v_add_co_ci_u32_e32 v3, vcc_lo, s5, v3, vcc_lo
	v_add3_u32 v4, s2, s2, v248
	s_lshl_b64 s[4:5], s[6:7], 4
	s_ashr_i32 s3, s2, 31
	global_load_b64 v[2:3], v[2:3], off
	v_add_nc_u32_e32 v8, s2, v4
	v_ashrrev_i32_e32 v5, 31, v4
	s_delay_alu instid0(VALU_DEP_2) | instskip(SKIP_1) | instid1(VALU_DEP_3)
	v_add_nc_u32_e32 v13, s2, v8
	v_ashrrev_i32_e32 v9, 31, v8
	v_lshlrev_b64 v[6:7], 4, v[4:5]
	s_delay_alu instid0(VALU_DEP_3) | instskip(SKIP_1) | instid1(VALU_DEP_4)
	v_add_nc_u32_e32 v10, s2, v13
	v_ashrrev_i32_e32 v14, 31, v13
	v_lshlrev_b64 v[8:9], 4, v[8:9]
	s_delay_alu instid0(VALU_DEP_3) | instskip(SKIP_1) | instid1(VALU_DEP_4)
	;; [unrolled: 4-line block ×11, first 2 shown]
	v_add_nc_u32_e32 v32, s2, v28
	v_ashrrev_i32_e32 v29, 31, v28
	v_lshlrev_b64 v[26:27], 4, v[26:27]
	s_delay_alu instid0(VALU_DEP_3) | instskip(NEXT) | instid1(VALU_DEP_3)
	v_add_nc_u32_e32 v39, s2, v32
	v_lshlrev_b64 v[30:31], 4, v[28:29]
	v_ashrrev_i32_e32 v33, 31, v32
	s_delay_alu instid0(VALU_DEP_3) | instskip(SKIP_1) | instid1(VALU_DEP_3)
	v_add_nc_u32_e32 v34, s2, v39
	v_ashrrev_i32_e32 v40, 31, v39
	v_lshlrev_b64 v[32:33], 4, v[32:33]
	s_delay_alu instid0(VALU_DEP_3) | instskip(NEXT) | instid1(VALU_DEP_3)
	v_add_nc_u32_e32 v38, s2, v34
	v_lshlrev_b64 v[28:29], 4, v[39:40]
	v_ashrrev_i32_e32 v35, 31, v34
	s_delay_alu instid0(VALU_DEP_3) | instskip(SKIP_1) | instid1(VALU_DEP_3)
	v_add_nc_u32_e32 v36, s2, v38
	v_ashrrev_i32_e32 v39, 31, v38
	v_lshlrev_b64 v[34:35], 4, v[34:35]
	s_delay_alu instid0(VALU_DEP_3) | instskip(SKIP_1) | instid1(VALU_DEP_4)
	v_add_nc_u32_e32 v47, s2, v36
	v_ashrrev_i32_e32 v37, 31, v36
	v_lshlrev_b64 v[38:39], 4, v[38:39]
	s_delay_alu instid0(VALU_DEP_3) | instskip(SKIP_1) | instid1(VALU_DEP_4)
	v_add_nc_u32_e32 v42, s2, v47
	v_ashrrev_i32_e32 v48, 31, v47
	v_lshlrev_b64 v[40:41], 4, v[36:37]
	s_delay_alu instid0(VALU_DEP_3) | instskip(NEXT) | instid1(VALU_DEP_3)
	v_add_nc_u32_e32 v46, s2, v42
	v_lshlrev_b64 v[36:37], 4, v[47:48]
	v_ashrrev_i32_e32 v43, 31, v42
	s_delay_alu instid0(VALU_DEP_3) | instskip(SKIP_1) | instid1(VALU_DEP_3)
	v_add_nc_u32_e32 v44, s2, v46
	v_ashrrev_i32_e32 v47, 31, v46
	v_lshlrev_b64 v[42:43], 4, v[42:43]
	s_delay_alu instid0(VALU_DEP_3) | instskip(SKIP_1) | instid1(VALU_DEP_4)
	v_add_nc_u32_e32 v50, s2, v44
	v_ashrrev_i32_e32 v45, 31, v44
	v_lshlrev_b64 v[46:47], 4, v[46:47]
	s_delay_alu instid0(VALU_DEP_3) | instskip(SKIP_1) | instid1(VALU_DEP_4)
	;; [unrolled: 4-line block ×3, first 2 shown]
	v_add_nc_u32_e32 v54, s2, v52
	v_ashrrev_i32_e32 v53, 31, v52
	v_lshlrev_b64 v[44:45], 4, v[50:51]
	s_delay_alu instid0(VALU_DEP_3) | instskip(NEXT) | instid1(VALU_DEP_3)
	v_add_nc_u32_e32 v56, s2, v54
	v_lshlrev_b64 v[50:51], 4, v[52:53]
	v_ashrrev_i32_e32 v55, 31, v54
	s_delay_alu instid0(VALU_DEP_3) | instskip(SKIP_1) | instid1(VALU_DEP_3)
	v_add_nc_u32_e32 v58, s2, v56
	v_ashrrev_i32_e32 v57, 31, v56
	v_lshlrev_b64 v[54:55], 4, v[54:55]
	s_delay_alu instid0(VALU_DEP_3) | instskip(SKIP_1) | instid1(VALU_DEP_4)
	v_add_nc_u32_e32 v60, s2, v58
	v_ashrrev_i32_e32 v59, 31, v58
	v_lshlrev_b64 v[56:57], 4, v[56:57]
	s_delay_alu instid0(VALU_DEP_3) | instskip(SKIP_1) | instid1(VALU_DEP_4)
	v_add_nc_u32_e32 v62, s2, v60
	v_ashrrev_i32_e32 v61, 31, v60
	v_lshlrev_b64 v[52:53], 4, v[58:59]
	s_delay_alu instid0(VALU_DEP_3) | instskip(NEXT) | instid1(VALU_DEP_3)
	v_add_nc_u32_e32 v64, s2, v62
	v_lshlrev_b64 v[58:59], 4, v[60:61]
	v_ashrrev_i32_e32 v63, 31, v62
	s_delay_alu instid0(VALU_DEP_3) | instskip(SKIP_1) | instid1(VALU_DEP_3)
	v_add_nc_u32_e32 v66, s2, v64
	v_ashrrev_i32_e32 v65, 31, v64
	v_lshlrev_b64 v[62:63], 4, v[62:63]
	s_delay_alu instid0(VALU_DEP_3) | instskip(SKIP_1) | instid1(VALU_DEP_4)
	v_add_nc_u32_e32 v68, s2, v66
	v_ashrrev_i32_e32 v67, 31, v66
	v_lshlrev_b64 v[64:65], 4, v[64:65]
	s_delay_alu instid0(VALU_DEP_3) | instskip(NEXT) | instid1(VALU_DEP_3)
	v_add_nc_u32_e32 v70, s2, v68
	v_lshlrev_b64 v[60:61], 4, v[66:67]
	v_ashrrev_i32_e32 v69, 31, v68
	s_delay_alu instid0(VALU_DEP_3) | instskip(SKIP_1) | instid1(VALU_DEP_3)
	v_add_nc_u32_e32 v72, s2, v70
	v_ashrrev_i32_e32 v71, 31, v70
	v_lshlrev_b64 v[68:69], 4, v[68:69]
	s_delay_alu instid0(VALU_DEP_3) | instskip(SKIP_1) | instid1(VALU_DEP_4)
	v_add_nc_u32_e32 v74, s2, v72
	v_ashrrev_i32_e32 v73, 31, v72
	v_lshlrev_b64 v[70:71], 4, v[70:71]
	s_delay_alu instid0(VALU_DEP_3) | instskip(SKIP_1) | instid1(VALU_DEP_4)
	;; [unrolled: 4-line block ×16, first 2 shown]
	v_ashrrev_i32_e32 v101, 31, v100
	v_add_nc_u32_e32 v102, s2, v100
	v_lshlrev_b64 v[98:99], 4, v[98:99]
	s_delay_alu instid0(VALU_DEP_2) | instskip(SKIP_4) | instid1(VALU_DEP_3)
	v_ashrrev_i32_e32 v103, 31, v102
	s_waitcnt vmcnt(0)
	v_add_co_u32 v0, vcc_lo, v2, s4
	v_add_co_ci_u32_e32 v104, vcc_lo, s5, v3, vcc_lo
	v_lshlrev_b64 v[2:3], 4, v[100:101]
	v_add_co_u32 v151, vcc_lo, v0, v6
	s_delay_alu instid0(VALU_DEP_3)
	v_add_co_ci_u32_e32 v152, vcc_lo, v104, v7, vcc_lo
	v_add_co_u32 v149, vcc_lo, v0, v8
	v_add_co_ci_u32_e32 v150, vcc_lo, v104, v9, vcc_lo
	v_add_co_u32 v147, vcc_lo, v0, v4
	;; [unrolled: 2-line block ×45, first 2 shown]
	v_add_co_ci_u32_e32 v13, vcc_lo, v104, v95, vcc_lo
	v_add_nc_u32_e32 v4, s2, v102
	v_add_co_u32 v10, vcc_lo, v0, v96
	v_add_co_ci_u32_e32 v11, vcc_lo, v104, v97, vcc_lo
	v_add_co_u32 v14, vcc_lo, v0, v98
	v_lshlrev_b64 v[6:7], 4, v[102:103]
	v_add_nc_u32_e32 v8, s2, v4
	v_add_co_ci_u32_e32 v15, vcc_lo, v104, v99, vcc_lo
	v_ashrrev_i32_e32 v5, 31, v4
	v_add_co_u32 v20, vcc_lo, v0, v2
	v_add_co_ci_u32_e32 v21, vcc_lo, v104, v3, vcc_lo
	v_add_co_u32 v18, vcc_lo, v0, v6
	v_add_nc_u32_e32 v6, s2, v8
	v_lshlrev_b64 v[2:3], 4, v[4:5]
	v_ashrrev_i32_e32 v9, 31, v8
	v_add_co_ci_u32_e32 v19, vcc_lo, v104, v7, vcc_lo
	s_delay_alu instid0(VALU_DEP_4) | instskip(NEXT) | instid1(VALU_DEP_3)
	v_ashrrev_i32_e32 v7, 31, v6
	v_lshlrev_b64 v[4:5], 4, v[8:9]
	v_add_co_u32 v208, vcc_lo, v0, v2
	v_add_co_ci_u32_e32 v209, vcc_lo, v104, v3, vcc_lo
	s_delay_alu instid0(VALU_DEP_4) | instskip(NEXT) | instid1(VALU_DEP_4)
	v_lshlrev_b64 v[2:3], 4, v[6:7]
	v_add_co_u32 v8, vcc_lo, v0, v4
	v_add_co_ci_u32_e32 v9, vcc_lo, v104, v5, vcc_lo
	s_delay_alu instid0(VALU_DEP_3) | instskip(SKIP_3) | instid1(VALU_DEP_2)
	v_add_co_u32 v4, vcc_lo, v0, v2
	v_add_nc_u32_e32 v2, s2, v6
	v_add_co_ci_u32_e32 v5, vcc_lo, v104, v3, vcc_lo
	s_lshl_b64 s[2:3], s[2:3], 4
	v_ashrrev_i32_e32 v3, 31, v2
	s_delay_alu instid0(VALU_DEP_1) | instskip(NEXT) | instid1(VALU_DEP_1)
	v_lshlrev_b64 v[2:3], 4, v[2:3]
	v_add_co_u32 v210, vcc_lo, v0, v2
	v_lshlrev_b32_e32 v2, 4, v248
	s_delay_alu instid0(VALU_DEP_3) | instskip(NEXT) | instid1(VALU_DEP_2)
	v_add_co_ci_u32_e32 v211, vcc_lo, v104, v3, vcc_lo
	v_add_co_u32 v2, vcc_lo, v0, v2
	v_add_co_ci_u32_e32 v3, vcc_lo, 0, v104, vcc_lo
	v_lshlrev_b32_e32 v0, 4, v1
	s_delay_alu instid0(VALU_DEP_3) | instskip(NEXT) | instid1(VALU_DEP_3)
	v_add_co_u32 v6, vcc_lo, v2, s2
	v_add_co_ci_u32_e32 v7, vcc_lo, s3, v3, vcc_lo
	s_delay_alu instid0(VALU_DEP_3)
	v_add3_u32 v251, 0, s8, v0
	scratch_store_b64 off, v[2:3], off offset:488 ; 8-byte Folded Spill
	global_load_b128 v[0:3], v[2:3], off
	v_cmp_ne_u32_e64 s3, 0, v248
	v_cmp_eq_u32_e64 s2, 0, v248
	s_waitcnt vmcnt(0)
	s_clause 0x1
	scratch_store_b128 off, v[0:3], off offset:48
	scratch_store_b64 off, v[6:7], off offset:496
	global_load_b128 v[0:3], v[6:7], off
	s_waitcnt vmcnt(0)
	s_clause 0x1
	scratch_store_b128 off, v[0:3], off offset:32
	scratch_store_b64 off, v[151:152], off offset:480
	global_load_b128 v[0:3], v[151:152], off
	;; [unrolled: 5-line block ×3, first 2 shown]
	s_waitcnt vmcnt(0)
	s_clause 0x1
	scratch_store_b128 off, v[0:3], off
	scratch_store_b64 off, v[147:148], off offset:464
	s_clause 0x1
	global_load_b128 v[204:207], v[147:148], off
	global_load_b128 v[0:3], v[210:211], off
	s_clause 0x1
	scratch_store_b64 off, v[145:146], off offset:456
	scratch_store_b64 off, v[212:213], off offset:1016
	s_clause 0x1
	global_load_b128 v[200:203], v[145:146], off
	global_load_b128 v[196:199], v[143:144], off
	s_clause 0x4
	scratch_store_b64 off, v[143:144], off offset:448
	scratch_store_b64 off, v[141:142], off offset:440
	;; [unrolled: 1-line block ×5, first 2 shown]
	s_clause 0x3
	global_load_b128 v[192:195], v[141:142], off
	global_load_b128 v[188:191], v[139:140], off
	global_load_b128 v[184:187], v[137:138], off
	global_load_b128 v[180:183], v[135:136], off
	s_clause 0x3
	scratch_store_b64 off, v[133:134], off offset:408
	scratch_store_b64 off, v[131:132], off offset:400
	scratch_store_b64 off, v[129:130], off offset:392
	scratch_store_b64 off, v[127:128], off offset:384
	s_clause 0x3
	global_load_b128 v[176:179], v[133:134], off
	global_load_b128 v[172:175], v[131:132], off
	global_load_b128 v[168:171], v[129:130], off
	global_load_b128 v[164:167], v[127:128], off
	s_clause 0x3
	scratch_store_b64 off, v[125:126], off offset:376
	scratch_store_b64 off, v[123:124], off offset:368
	scratch_store_b64 off, v[121:122], off offset:360
	scratch_store_b64 off, v[119:120], off offset:352
	;; [unrolled: 10-line block ×8, first 2 shown]
	s_clause 0x3
	global_load_b128 v[64:67], v[32:33], off
	global_load_b128 v[60:63], v[30:31], off
	;; [unrolled: 1-line block ×4, first 2 shown]
	s_clause 0x1
	scratch_store_b64 off, v[24:25], off offset:144
	scratch_store_b64 off, v[210:211], off offset:152
	s_clause 0x4
	global_load_b128 v[48:51], v[24:25], off
	global_load_b128 v[44:47], v[22:23], off
	;; [unrolled: 1-line block ×5, first 2 shown]
	s_clause 0x2
	scratch_store_b64 off, v[12:13], off offset:72
	scratch_store_b64 off, v[14:15], off offset:80
	;; [unrolled: 1-line block ×3, first 2 shown]
	s_clause 0x1
	global_load_b128 v[32:35], v[12:13], off
	global_load_b128 v[28:31], v[10:11], off
	s_clause 0x4
	scratch_store_b64 off, v[10:11], off offset:64
	scratch_store_b64 off, v[18:19], off offset:96
	;; [unrolled: 1-line block ×5, first 2 shown]
	s_clause 0x1
	global_load_b128 v[20:23], v[20:21], off
	global_load_b128 v[16:19], v[18:19], off
	s_clause 0x1
	scratch_store_b64 off, v[208:209], off offset:136
	scratch_store_b64 off, v[8:9], off offset:128
	s_clause 0x2
	global_load_b128 v[12:15], v[208:209], off
	global_load_b128 v[8:11], v[8:9], off
	;; [unrolled: 1-line block ×3, first 2 shown]
	s_and_saveexec_b32 s5, s2
	s_cbranch_execz .LBB111_8
; %bb.2:
	scratch_load_b128 v[208:211], off, off offset:48 ; 16-byte Folded Reload
	s_waitcnt vmcnt(0)
	ds_store_2addr_b64 v251, v[208:209], v[210:211] offset1:1
	scratch_load_b128 v[208:211], off, off offset:32 ; 16-byte Folded Reload
	s_waitcnt vmcnt(0)
	ds_store_2addr_b64 v214, v[208:209], v[210:211] offset0:2 offset1:3
	scratch_load_b128 v[208:211], off, off offset:16 ; 16-byte Folded Reload
	s_waitcnt vmcnt(0)
	ds_store_2addr_b64 v214, v[208:209], v[210:211] offset0:4 offset1:5
	scratch_load_b128 v[208:211], off, off  ; 16-byte Folded Reload
	s_waitcnt vmcnt(0)
	ds_store_2addr_b64 v214, v[208:209], v[210:211] offset0:6 offset1:7
	ds_store_2addr_b64 v214, v[204:205], v[206:207] offset0:8 offset1:9
	;; [unrolled: 1-line block ×53, first 2 shown]
	ds_load_2addr_b64 v[216:219], v251 offset1:1
	s_waitcnt lgkmcnt(0)
	v_cmp_neq_f64_e32 vcc_lo, 0, v[216:217]
	v_cmp_neq_f64_e64 s4, 0, v[218:219]
	s_delay_alu instid0(VALU_DEP_1) | instskip(NEXT) | instid1(SALU_CYCLE_1)
	s_or_b32 s4, vcc_lo, s4
	s_and_b32 exec_lo, exec_lo, s4
	s_cbranch_execz .LBB111_8
; %bb.3:
	v_cmp_gt_f64_e32 vcc_lo, 0, v[216:217]
	v_xor_b32_e32 v208, 0x80000000, v217
	s_delay_alu instid0(VALU_DEP_1) | instskip(SKIP_3) | instid1(VALU_DEP_1)
	v_cndmask_b32_e32 v213, v217, v208, vcc_lo
	v_cndmask_b32_e32 v212, v216, v216, vcc_lo
	v_cmp_gt_f64_e32 vcc_lo, 0, v[218:219]
	v_xor_b32_e32 v208, 0x80000000, v219
	v_dual_cndmask_b32 v220, v218, v218 :: v_dual_cndmask_b32 v221, v219, v208
	s_delay_alu instid0(VALU_DEP_1) | instskip(SKIP_1) | instid1(SALU_CYCLE_1)
	v_cmp_ngt_f64_e32 vcc_lo, v[212:213], v[220:221]
                                        ; implicit-def: $vgpr212_vgpr213
	s_and_saveexec_b32 s4, vcc_lo
	s_xor_b32 s4, exec_lo, s4
                                        ; implicit-def: $vgpr220_vgpr221_vgpr222_vgpr223
	s_cbranch_execz .LBB111_5
; %bb.4:
	v_div_scale_f64 v[212:213], null, v[218:219], v[218:219], v[216:217]
	v_div_scale_f64 v[224:225], vcc_lo, v[216:217], v[218:219], v[216:217]
	s_delay_alu instid0(VALU_DEP_2) | instskip(SKIP_2) | instid1(VALU_DEP_1)
	v_rcp_f64_e32 v[220:221], v[212:213]
	s_waitcnt_depctr 0xfff
	v_fma_f64 v[222:223], -v[212:213], v[220:221], 1.0
	v_fma_f64 v[220:221], v[220:221], v[222:223], v[220:221]
	s_delay_alu instid0(VALU_DEP_1) | instskip(NEXT) | instid1(VALU_DEP_1)
	v_fma_f64 v[222:223], -v[212:213], v[220:221], 1.0
	v_fma_f64 v[220:221], v[220:221], v[222:223], v[220:221]
	s_delay_alu instid0(VALU_DEP_1) | instskip(NEXT) | instid1(VALU_DEP_1)
	v_mul_f64 v[222:223], v[224:225], v[220:221]
	v_fma_f64 v[212:213], -v[212:213], v[222:223], v[224:225]
	s_delay_alu instid0(VALU_DEP_1) | instskip(NEXT) | instid1(VALU_DEP_1)
	v_div_fmas_f64 v[212:213], v[212:213], v[220:221], v[222:223]
	v_div_fixup_f64 v[212:213], v[212:213], v[218:219], v[216:217]
	s_delay_alu instid0(VALU_DEP_1) | instskip(NEXT) | instid1(VALU_DEP_1)
	v_fma_f64 v[216:217], v[216:217], v[212:213], v[218:219]
	v_div_scale_f64 v[218:219], null, v[216:217], v[216:217], 1.0
	s_delay_alu instid0(VALU_DEP_1) | instskip(SKIP_2) | instid1(VALU_DEP_1)
	v_rcp_f64_e32 v[220:221], v[218:219]
	s_waitcnt_depctr 0xfff
	v_fma_f64 v[222:223], -v[218:219], v[220:221], 1.0
	v_fma_f64 v[220:221], v[220:221], v[222:223], v[220:221]
	s_delay_alu instid0(VALU_DEP_1) | instskip(NEXT) | instid1(VALU_DEP_1)
	v_fma_f64 v[222:223], -v[218:219], v[220:221], 1.0
	v_fma_f64 v[220:221], v[220:221], v[222:223], v[220:221]
	v_div_scale_f64 v[222:223], vcc_lo, 1.0, v[216:217], 1.0
	s_delay_alu instid0(VALU_DEP_1) | instskip(NEXT) | instid1(VALU_DEP_1)
	v_mul_f64 v[224:225], v[222:223], v[220:221]
	v_fma_f64 v[218:219], -v[218:219], v[224:225], v[222:223]
	s_delay_alu instid0(VALU_DEP_1) | instskip(NEXT) | instid1(VALU_DEP_1)
	v_div_fmas_f64 v[218:219], v[218:219], v[220:221], v[224:225]
	v_div_fixup_f64 v[222:223], v[218:219], v[216:217], 1.0
                                        ; implicit-def: $vgpr216_vgpr217
	s_delay_alu instid0(VALU_DEP_1)
	v_mul_f64 v[212:213], v[212:213], v[222:223]
	v_xor_b32_e32 v223, 0x80000000, v223
.LBB111_5:
	s_and_not1_saveexec_b32 s4, s4
	s_cbranch_execz .LBB111_7
; %bb.6:
	v_div_scale_f64 v[212:213], null, v[216:217], v[216:217], v[218:219]
	v_div_scale_f64 v[224:225], vcc_lo, v[218:219], v[216:217], v[218:219]
	s_delay_alu instid0(VALU_DEP_2) | instskip(SKIP_2) | instid1(VALU_DEP_1)
	v_rcp_f64_e32 v[220:221], v[212:213]
	s_waitcnt_depctr 0xfff
	v_fma_f64 v[222:223], -v[212:213], v[220:221], 1.0
	v_fma_f64 v[220:221], v[220:221], v[222:223], v[220:221]
	s_delay_alu instid0(VALU_DEP_1) | instskip(NEXT) | instid1(VALU_DEP_1)
	v_fma_f64 v[222:223], -v[212:213], v[220:221], 1.0
	v_fma_f64 v[220:221], v[220:221], v[222:223], v[220:221]
	s_delay_alu instid0(VALU_DEP_1) | instskip(NEXT) | instid1(VALU_DEP_1)
	v_mul_f64 v[222:223], v[224:225], v[220:221]
	v_fma_f64 v[212:213], -v[212:213], v[222:223], v[224:225]
	s_delay_alu instid0(VALU_DEP_1) | instskip(NEXT) | instid1(VALU_DEP_1)
	v_div_fmas_f64 v[212:213], v[212:213], v[220:221], v[222:223]
	v_div_fixup_f64 v[220:221], v[212:213], v[216:217], v[218:219]
	s_delay_alu instid0(VALU_DEP_1) | instskip(NEXT) | instid1(VALU_DEP_1)
	v_fma_f64 v[212:213], v[218:219], v[220:221], v[216:217]
	v_div_scale_f64 v[216:217], null, v[212:213], v[212:213], 1.0
	s_delay_alu instid0(VALU_DEP_1) | instskip(SKIP_2) | instid1(VALU_DEP_1)
	v_rcp_f64_e32 v[218:219], v[216:217]
	s_waitcnt_depctr 0xfff
	v_fma_f64 v[222:223], -v[216:217], v[218:219], 1.0
	v_fma_f64 v[218:219], v[218:219], v[222:223], v[218:219]
	s_delay_alu instid0(VALU_DEP_1) | instskip(NEXT) | instid1(VALU_DEP_1)
	v_fma_f64 v[222:223], -v[216:217], v[218:219], 1.0
	v_fma_f64 v[218:219], v[218:219], v[222:223], v[218:219]
	v_div_scale_f64 v[222:223], vcc_lo, 1.0, v[212:213], 1.0
	s_delay_alu instid0(VALU_DEP_1) | instskip(NEXT) | instid1(VALU_DEP_1)
	v_mul_f64 v[224:225], v[222:223], v[218:219]
	v_fma_f64 v[216:217], -v[216:217], v[224:225], v[222:223]
	s_delay_alu instid0(VALU_DEP_1) | instskip(NEXT) | instid1(VALU_DEP_1)
	v_div_fmas_f64 v[216:217], v[216:217], v[218:219], v[224:225]
	v_div_fixup_f64 v[212:213], v[216:217], v[212:213], 1.0
	s_delay_alu instid0(VALU_DEP_1)
	v_mul_f64 v[222:223], v[220:221], -v[212:213]
.LBB111_7:
	s_or_b32 exec_lo, exec_lo, s4
	ds_store_2addr_b64 v251, v[212:213], v[222:223] offset1:1
.LBB111_8:
	s_or_b32 exec_lo, exec_lo, s5
	s_waitcnt vmcnt(0) lgkmcnt(0)
	s_waitcnt_vscnt null, 0x0
	s_barrier
	buffer_gl0_inv
	ds_load_2addr_b64 v[208:211], v251 offset1:1
	s_waitcnt lgkmcnt(0)
	scratch_store_b128 off, v[208:211], off offset:504 ; 16-byte Folded Spill
	s_and_saveexec_b32 s4, s3
	s_cbranch_execz .LBB111_10
; %bb.9:
	s_clause 0x1
	scratch_load_b128 v[220:223], off, off offset:48
	scratch_load_b128 v[208:211], off, off offset:504
	s_waitcnt vmcnt(0)
	v_mul_f64 v[212:213], v[210:211], v[222:223]
	s_delay_alu instid0(VALU_DEP_1) | instskip(SKIP_1) | instid1(VALU_DEP_1)
	v_fma_f64 v[216:217], v[208:209], v[220:221], -v[212:213]
	v_mul_f64 v[212:213], v[208:209], v[222:223]
	v_fma_f64 v[222:223], v[210:211], v[220:221], v[212:213]
	scratch_load_b128 v[208:211], off, off offset:32 ; 16-byte Folded Reload
	ds_load_2addr_b64 v[218:221], v214 offset0:2 offset1:3
	s_waitcnt lgkmcnt(0)
	v_mul_f64 v[212:213], v[220:221], v[222:223]
	s_delay_alu instid0(VALU_DEP_1) | instskip(SKIP_1) | instid1(VALU_DEP_1)
	v_fma_f64 v[212:213], v[218:219], v[216:217], -v[212:213]
	v_mul_f64 v[218:219], v[218:219], v[222:223]
	v_fma_f64 v[218:219], v[220:221], v[216:217], v[218:219]
	s_waitcnt vmcnt(0)
	s_delay_alu instid0(VALU_DEP_3) | instskip(NEXT) | instid1(VALU_DEP_2)
	v_add_f64 v[208:209], v[208:209], -v[212:213]
	v_add_f64 v[210:211], v[210:211], -v[218:219]
	ds_load_2addr_b64 v[218:221], v214 offset0:4 offset1:5
	s_waitcnt lgkmcnt(0)
	v_mul_f64 v[212:213], v[220:221], v[222:223]
	scratch_store_b128 off, v[208:211], off offset:32 ; 16-byte Folded Spill
	scratch_load_b128 v[208:211], off, off offset:16 ; 16-byte Folded Reload
	v_fma_f64 v[212:213], v[218:219], v[216:217], -v[212:213]
	v_mul_f64 v[218:219], v[218:219], v[222:223]
	s_delay_alu instid0(VALU_DEP_1) | instskip(SKIP_1) | instid1(VALU_DEP_3)
	v_fma_f64 v[218:219], v[220:221], v[216:217], v[218:219]
	s_waitcnt vmcnt(0)
	v_add_f64 v[208:209], v[208:209], -v[212:213]
	s_delay_alu instid0(VALU_DEP_2)
	v_add_f64 v[210:211], v[210:211], -v[218:219]
	ds_load_2addr_b64 v[218:221], v214 offset0:6 offset1:7
	s_waitcnt lgkmcnt(0)
	v_mul_f64 v[212:213], v[220:221], v[222:223]
	scratch_store_b128 off, v[208:211], off offset:16 ; 16-byte Folded Spill
	scratch_load_b128 v[208:211], off, off  ; 16-byte Folded Reload
	v_fma_f64 v[212:213], v[218:219], v[216:217], -v[212:213]
	v_mul_f64 v[218:219], v[218:219], v[222:223]
	s_delay_alu instid0(VALU_DEP_1) | instskip(SKIP_1) | instid1(VALU_DEP_1)
	v_fma_f64 v[218:219], v[220:221], v[216:217], v[218:219]
	s_waitcnt vmcnt(0)
	v_add_f64 v[210:211], v[210:211], -v[218:219]
	ds_load_2addr_b64 v[218:221], v214 offset0:8 offset1:9
	v_add_f64 v[208:209], v[208:209], -v[212:213]
	s_waitcnt lgkmcnt(0)
	v_mul_f64 v[212:213], v[220:221], v[222:223]
	s_delay_alu instid0(VALU_DEP_1) | instskip(SKIP_1) | instid1(VALU_DEP_2)
	v_fma_f64 v[212:213], v[218:219], v[216:217], -v[212:213]
	v_mul_f64 v[218:219], v[218:219], v[222:223]
	v_add_f64 v[204:205], v[204:205], -v[212:213]
	s_delay_alu instid0(VALU_DEP_2) | instskip(NEXT) | instid1(VALU_DEP_1)
	v_fma_f64 v[218:219], v[220:221], v[216:217], v[218:219]
	v_add_f64 v[206:207], v[206:207], -v[218:219]
	ds_load_2addr_b64 v[218:221], v214 offset0:10 offset1:11
	s_waitcnt lgkmcnt(0)
	v_mul_f64 v[212:213], v[220:221], v[222:223]
	s_delay_alu instid0(VALU_DEP_1) | instskip(SKIP_1) | instid1(VALU_DEP_2)
	v_fma_f64 v[212:213], v[218:219], v[216:217], -v[212:213]
	v_mul_f64 v[218:219], v[218:219], v[222:223]
	v_add_f64 v[200:201], v[200:201], -v[212:213]
	s_delay_alu instid0(VALU_DEP_2) | instskip(NEXT) | instid1(VALU_DEP_1)
	v_fma_f64 v[218:219], v[220:221], v[216:217], v[218:219]
	v_add_f64 v[202:203], v[202:203], -v[218:219]
	ds_load_2addr_b64 v[218:221], v214 offset0:12 offset1:13
	;; [unrolled: 10-line block ×51, first 2 shown]
	s_waitcnt lgkmcnt(0)
	v_mul_f64 v[212:213], v[220:221], v[222:223]
	s_delay_alu instid0(VALU_DEP_1) | instskip(SKIP_1) | instid1(VALU_DEP_2)
	v_fma_f64 v[212:213], v[218:219], v[216:217], -v[212:213]
	v_mul_f64 v[218:219], v[218:219], v[222:223]
	v_add_f64 v[0:1], v[0:1], -v[212:213]
	s_delay_alu instid0(VALU_DEP_2)
	v_fma_f64 v[218:219], v[220:221], v[216:217], v[218:219]
	v_dual_mov_b32 v221, v217 :: v_dual_mov_b32 v220, v216
	s_clause 0x1
	scratch_store_b128 off, v[208:211], off
	scratch_store_b128 off, v[220:223], off offset:48
	v_add_f64 v[2:3], v[2:3], -v[218:219]
.LBB111_10:
	s_or_b32 exec_lo, exec_lo, s4
	s_delay_alu instid0(SALU_CYCLE_1)
	s_mov_b32 s4, exec_lo
	s_waitcnt_vscnt null, 0x0
	s_barrier
	buffer_gl0_inv
	v_cmpx_eq_u32_e32 1, v248
	s_cbranch_execz .LBB111_17
; %bb.11:
	scratch_load_b128 v[208:211], off, off offset:32 ; 16-byte Folded Reload
	s_waitcnt vmcnt(0)
	ds_store_2addr_b64 v251, v[208:209], v[210:211] offset1:1
	scratch_load_b128 v[208:211], off, off offset:16 ; 16-byte Folded Reload
	s_waitcnt vmcnt(0)
	ds_store_2addr_b64 v214, v[208:209], v[210:211] offset0:4 offset1:5
	scratch_load_b128 v[208:211], off, off  ; 16-byte Folded Reload
	s_waitcnt vmcnt(0)
	ds_store_2addr_b64 v214, v[208:209], v[210:211] offset0:6 offset1:7
	ds_store_2addr_b64 v214, v[204:205], v[206:207] offset0:8 offset1:9
	ds_store_2addr_b64 v214, v[200:201], v[202:203] offset0:10 offset1:11
	ds_store_2addr_b64 v214, v[196:197], v[198:199] offset0:12 offset1:13
	ds_store_2addr_b64 v214, v[192:193], v[194:195] offset0:14 offset1:15
	ds_store_2addr_b64 v214, v[188:189], v[190:191] offset0:16 offset1:17
	ds_store_2addr_b64 v214, v[184:185], v[186:187] offset0:18 offset1:19
	ds_store_2addr_b64 v214, v[180:181], v[182:183] offset0:20 offset1:21
	ds_store_2addr_b64 v214, v[176:177], v[178:179] offset0:22 offset1:23
	ds_store_2addr_b64 v214, v[172:173], v[174:175] offset0:24 offset1:25
	ds_store_2addr_b64 v214, v[168:169], v[170:171] offset0:26 offset1:27
	ds_store_2addr_b64 v214, v[164:165], v[166:167] offset0:28 offset1:29
	ds_store_2addr_b64 v214, v[160:161], v[162:163] offset0:30 offset1:31
	ds_store_2addr_b64 v214, v[156:157], v[158:159] offset0:32 offset1:33
	ds_store_2addr_b64 v214, v[152:153], v[154:155] offset0:34 offset1:35
	ds_store_2addr_b64 v214, v[148:149], v[150:151] offset0:36 offset1:37
	ds_store_2addr_b64 v214, v[144:145], v[146:147] offset0:38 offset1:39
	ds_store_2addr_b64 v214, v[140:141], v[142:143] offset0:40 offset1:41
	ds_store_2addr_b64 v214, v[136:137], v[138:139] offset0:42 offset1:43
	ds_store_2addr_b64 v214, v[132:133], v[134:135] offset0:44 offset1:45
	ds_store_2addr_b64 v214, v[128:129], v[130:131] offset0:46 offset1:47
	ds_store_2addr_b64 v214, v[124:125], v[126:127] offset0:48 offset1:49
	ds_store_2addr_b64 v214, v[120:121], v[122:123] offset0:50 offset1:51
	ds_store_2addr_b64 v214, v[116:117], v[118:119] offset0:52 offset1:53
	ds_store_2addr_b64 v214, v[112:113], v[114:115] offset0:54 offset1:55
	ds_store_2addr_b64 v214, v[108:109], v[110:111] offset0:56 offset1:57
	ds_store_2addr_b64 v214, v[104:105], v[106:107] offset0:58 offset1:59
	ds_store_2addr_b64 v214, v[100:101], v[102:103] offset0:60 offset1:61
	ds_store_2addr_b64 v214, v[96:97], v[98:99] offset0:62 offset1:63
	ds_store_2addr_b64 v214, v[92:93], v[94:95] offset0:64 offset1:65
	ds_store_2addr_b64 v214, v[88:89], v[90:91] offset0:66 offset1:67
	ds_store_2addr_b64 v214, v[84:85], v[86:87] offset0:68 offset1:69
	ds_store_2addr_b64 v214, v[80:81], v[82:83] offset0:70 offset1:71
	ds_store_2addr_b64 v214, v[76:77], v[78:79] offset0:72 offset1:73
	ds_store_2addr_b64 v214, v[72:73], v[74:75] offset0:74 offset1:75
	ds_store_2addr_b64 v214, v[68:69], v[70:71] offset0:76 offset1:77
	ds_store_2addr_b64 v214, v[64:65], v[66:67] offset0:78 offset1:79
	ds_store_2addr_b64 v214, v[60:61], v[62:63] offset0:80 offset1:81
	ds_store_2addr_b64 v214, v[56:57], v[58:59] offset0:82 offset1:83
	ds_store_2addr_b64 v214, v[52:53], v[54:55] offset0:84 offset1:85
	ds_store_2addr_b64 v214, v[48:49], v[50:51] offset0:86 offset1:87
	ds_store_2addr_b64 v214, v[44:45], v[46:47] offset0:88 offset1:89
	ds_store_2addr_b64 v214, v[40:41], v[42:43] offset0:90 offset1:91
	ds_store_2addr_b64 v214, v[36:37], v[38:39] offset0:92 offset1:93
	ds_store_2addr_b64 v214, v[32:33], v[34:35] offset0:94 offset1:95
	ds_store_2addr_b64 v214, v[28:29], v[30:31] offset0:96 offset1:97
	ds_store_2addr_b64 v214, v[24:25], v[26:27] offset0:98 offset1:99
	ds_store_2addr_b64 v214, v[20:21], v[22:23] offset0:100 offset1:101
	ds_store_2addr_b64 v214, v[16:17], v[18:19] offset0:102 offset1:103
	ds_store_2addr_b64 v214, v[12:13], v[14:15] offset0:104 offset1:105
	ds_store_2addr_b64 v214, v[8:9], v[10:11] offset0:106 offset1:107
	ds_store_2addr_b64 v214, v[4:5], v[6:7] offset0:108 offset1:109
	ds_store_2addr_b64 v214, v[0:1], v[2:3] offset0:110 offset1:111
	ds_load_2addr_b64 v[216:219], v251 offset1:1
	s_waitcnt lgkmcnt(0)
	v_cmp_neq_f64_e32 vcc_lo, 0, v[216:217]
	v_cmp_neq_f64_e64 s3, 0, v[218:219]
	s_delay_alu instid0(VALU_DEP_1) | instskip(NEXT) | instid1(SALU_CYCLE_1)
	s_or_b32 s3, vcc_lo, s3
	s_and_b32 exec_lo, exec_lo, s3
	s_cbranch_execz .LBB111_17
; %bb.12:
	v_cmp_gt_f64_e32 vcc_lo, 0, v[216:217]
	v_xor_b32_e32 v208, 0x80000000, v217
	s_delay_alu instid0(VALU_DEP_1) | instskip(SKIP_3) | instid1(VALU_DEP_1)
	v_cndmask_b32_e32 v213, v217, v208, vcc_lo
	v_cndmask_b32_e32 v212, v216, v216, vcc_lo
	v_cmp_gt_f64_e32 vcc_lo, 0, v[218:219]
	v_xor_b32_e32 v208, 0x80000000, v219
	v_dual_cndmask_b32 v220, v218, v218 :: v_dual_cndmask_b32 v221, v219, v208
	s_delay_alu instid0(VALU_DEP_1) | instskip(SKIP_1) | instid1(SALU_CYCLE_1)
	v_cmp_ngt_f64_e32 vcc_lo, v[212:213], v[220:221]
                                        ; implicit-def: $vgpr212_vgpr213
	s_and_saveexec_b32 s3, vcc_lo
	s_xor_b32 s3, exec_lo, s3
                                        ; implicit-def: $vgpr220_vgpr221_vgpr222_vgpr223
	s_cbranch_execz .LBB111_14
; %bb.13:
	v_div_scale_f64 v[212:213], null, v[218:219], v[218:219], v[216:217]
	v_div_scale_f64 v[224:225], vcc_lo, v[216:217], v[218:219], v[216:217]
	s_delay_alu instid0(VALU_DEP_2) | instskip(SKIP_2) | instid1(VALU_DEP_1)
	v_rcp_f64_e32 v[220:221], v[212:213]
	s_waitcnt_depctr 0xfff
	v_fma_f64 v[222:223], -v[212:213], v[220:221], 1.0
	v_fma_f64 v[220:221], v[220:221], v[222:223], v[220:221]
	s_delay_alu instid0(VALU_DEP_1) | instskip(NEXT) | instid1(VALU_DEP_1)
	v_fma_f64 v[222:223], -v[212:213], v[220:221], 1.0
	v_fma_f64 v[220:221], v[220:221], v[222:223], v[220:221]
	s_delay_alu instid0(VALU_DEP_1) | instskip(NEXT) | instid1(VALU_DEP_1)
	v_mul_f64 v[222:223], v[224:225], v[220:221]
	v_fma_f64 v[212:213], -v[212:213], v[222:223], v[224:225]
	s_delay_alu instid0(VALU_DEP_1) | instskip(NEXT) | instid1(VALU_DEP_1)
	v_div_fmas_f64 v[212:213], v[212:213], v[220:221], v[222:223]
	v_div_fixup_f64 v[212:213], v[212:213], v[218:219], v[216:217]
	s_delay_alu instid0(VALU_DEP_1) | instskip(NEXT) | instid1(VALU_DEP_1)
	v_fma_f64 v[216:217], v[216:217], v[212:213], v[218:219]
	v_div_scale_f64 v[218:219], null, v[216:217], v[216:217], 1.0
	s_delay_alu instid0(VALU_DEP_1) | instskip(SKIP_2) | instid1(VALU_DEP_1)
	v_rcp_f64_e32 v[220:221], v[218:219]
	s_waitcnt_depctr 0xfff
	v_fma_f64 v[222:223], -v[218:219], v[220:221], 1.0
	v_fma_f64 v[220:221], v[220:221], v[222:223], v[220:221]
	s_delay_alu instid0(VALU_DEP_1) | instskip(NEXT) | instid1(VALU_DEP_1)
	v_fma_f64 v[222:223], -v[218:219], v[220:221], 1.0
	v_fma_f64 v[220:221], v[220:221], v[222:223], v[220:221]
	v_div_scale_f64 v[222:223], vcc_lo, 1.0, v[216:217], 1.0
	s_delay_alu instid0(VALU_DEP_1) | instskip(NEXT) | instid1(VALU_DEP_1)
	v_mul_f64 v[224:225], v[222:223], v[220:221]
	v_fma_f64 v[218:219], -v[218:219], v[224:225], v[222:223]
	s_delay_alu instid0(VALU_DEP_1) | instskip(NEXT) | instid1(VALU_DEP_1)
	v_div_fmas_f64 v[218:219], v[218:219], v[220:221], v[224:225]
	v_div_fixup_f64 v[222:223], v[218:219], v[216:217], 1.0
                                        ; implicit-def: $vgpr216_vgpr217
	s_delay_alu instid0(VALU_DEP_1)
	v_mul_f64 v[212:213], v[212:213], v[222:223]
	v_xor_b32_e32 v223, 0x80000000, v223
.LBB111_14:
	s_and_not1_saveexec_b32 s3, s3
	s_cbranch_execz .LBB111_16
; %bb.15:
	v_div_scale_f64 v[212:213], null, v[216:217], v[216:217], v[218:219]
	v_div_scale_f64 v[224:225], vcc_lo, v[218:219], v[216:217], v[218:219]
	s_delay_alu instid0(VALU_DEP_2) | instskip(SKIP_2) | instid1(VALU_DEP_1)
	v_rcp_f64_e32 v[220:221], v[212:213]
	s_waitcnt_depctr 0xfff
	v_fma_f64 v[222:223], -v[212:213], v[220:221], 1.0
	v_fma_f64 v[220:221], v[220:221], v[222:223], v[220:221]
	s_delay_alu instid0(VALU_DEP_1) | instskip(NEXT) | instid1(VALU_DEP_1)
	v_fma_f64 v[222:223], -v[212:213], v[220:221], 1.0
	v_fma_f64 v[220:221], v[220:221], v[222:223], v[220:221]
	s_delay_alu instid0(VALU_DEP_1) | instskip(NEXT) | instid1(VALU_DEP_1)
	v_mul_f64 v[222:223], v[224:225], v[220:221]
	v_fma_f64 v[212:213], -v[212:213], v[222:223], v[224:225]
	s_delay_alu instid0(VALU_DEP_1) | instskip(NEXT) | instid1(VALU_DEP_1)
	v_div_fmas_f64 v[212:213], v[212:213], v[220:221], v[222:223]
	v_div_fixup_f64 v[220:221], v[212:213], v[216:217], v[218:219]
	s_delay_alu instid0(VALU_DEP_1) | instskip(NEXT) | instid1(VALU_DEP_1)
	v_fma_f64 v[212:213], v[218:219], v[220:221], v[216:217]
	v_div_scale_f64 v[216:217], null, v[212:213], v[212:213], 1.0
	s_delay_alu instid0(VALU_DEP_1) | instskip(SKIP_2) | instid1(VALU_DEP_1)
	v_rcp_f64_e32 v[218:219], v[216:217]
	s_waitcnt_depctr 0xfff
	v_fma_f64 v[222:223], -v[216:217], v[218:219], 1.0
	v_fma_f64 v[218:219], v[218:219], v[222:223], v[218:219]
	s_delay_alu instid0(VALU_DEP_1) | instskip(NEXT) | instid1(VALU_DEP_1)
	v_fma_f64 v[222:223], -v[216:217], v[218:219], 1.0
	v_fma_f64 v[218:219], v[218:219], v[222:223], v[218:219]
	v_div_scale_f64 v[222:223], vcc_lo, 1.0, v[212:213], 1.0
	s_delay_alu instid0(VALU_DEP_1) | instskip(NEXT) | instid1(VALU_DEP_1)
	v_mul_f64 v[224:225], v[222:223], v[218:219]
	v_fma_f64 v[216:217], -v[216:217], v[224:225], v[222:223]
	s_delay_alu instid0(VALU_DEP_1) | instskip(NEXT) | instid1(VALU_DEP_1)
	v_div_fmas_f64 v[216:217], v[216:217], v[218:219], v[224:225]
	v_div_fixup_f64 v[212:213], v[216:217], v[212:213], 1.0
	s_delay_alu instid0(VALU_DEP_1)
	v_mul_f64 v[222:223], v[220:221], -v[212:213]
.LBB111_16:
	s_or_b32 exec_lo, exec_lo, s3
	ds_store_2addr_b64 v251, v[212:213], v[222:223] offset1:1
.LBB111_17:
	s_or_b32 exec_lo, exec_lo, s4
	s_waitcnt lgkmcnt(0)
	s_barrier
	buffer_gl0_inv
	ds_load_2addr_b64 v[208:211], v251 offset1:1
	s_mov_b32 s3, exec_lo
	s_waitcnt lgkmcnt(0)
	scratch_store_b128 off, v[208:211], off offset:520 ; 16-byte Folded Spill
	v_cmpx_lt_u32_e32 1, v248
	s_cbranch_execz .LBB111_19
; %bb.18:
	s_clause 0x1
	scratch_load_b128 v[220:223], off, off offset:32
	scratch_load_b128 v[208:211], off, off offset:520
	s_waitcnt vmcnt(0)
	v_mul_f64 v[212:213], v[210:211], v[222:223]
	s_delay_alu instid0(VALU_DEP_1) | instskip(SKIP_1) | instid1(VALU_DEP_1)
	v_fma_f64 v[216:217], v[208:209], v[220:221], -v[212:213]
	v_mul_f64 v[212:213], v[208:209], v[222:223]
	v_fma_f64 v[222:223], v[210:211], v[220:221], v[212:213]
	scratch_load_b128 v[208:211], off, off offset:16 ; 16-byte Folded Reload
	ds_load_2addr_b64 v[218:221], v214 offset0:4 offset1:5
	s_waitcnt lgkmcnt(0)
	v_mul_f64 v[212:213], v[220:221], v[222:223]
	s_delay_alu instid0(VALU_DEP_1) | instskip(SKIP_1) | instid1(VALU_DEP_1)
	v_fma_f64 v[212:213], v[218:219], v[216:217], -v[212:213]
	v_mul_f64 v[218:219], v[218:219], v[222:223]
	v_fma_f64 v[218:219], v[220:221], v[216:217], v[218:219]
	s_waitcnt vmcnt(0)
	s_delay_alu instid0(VALU_DEP_3) | instskip(NEXT) | instid1(VALU_DEP_2)
	v_add_f64 v[208:209], v[208:209], -v[212:213]
	v_add_f64 v[210:211], v[210:211], -v[218:219]
	ds_load_2addr_b64 v[218:221], v214 offset0:6 offset1:7
	s_waitcnt lgkmcnt(0)
	v_mul_f64 v[212:213], v[220:221], v[222:223]
	scratch_store_b128 off, v[208:211], off offset:16 ; 16-byte Folded Spill
	scratch_load_b128 v[208:211], off, off  ; 16-byte Folded Reload
	v_fma_f64 v[212:213], v[218:219], v[216:217], -v[212:213]
	v_mul_f64 v[218:219], v[218:219], v[222:223]
	s_delay_alu instid0(VALU_DEP_1) | instskip(SKIP_1) | instid1(VALU_DEP_1)
	v_fma_f64 v[218:219], v[220:221], v[216:217], v[218:219]
	s_waitcnt vmcnt(0)
	v_add_f64 v[210:211], v[210:211], -v[218:219]
	ds_load_2addr_b64 v[218:221], v214 offset0:8 offset1:9
	v_add_f64 v[208:209], v[208:209], -v[212:213]
	s_waitcnt lgkmcnt(0)
	v_mul_f64 v[212:213], v[220:221], v[222:223]
	s_delay_alu instid0(VALU_DEP_1) | instskip(SKIP_1) | instid1(VALU_DEP_2)
	v_fma_f64 v[212:213], v[218:219], v[216:217], -v[212:213]
	v_mul_f64 v[218:219], v[218:219], v[222:223]
	v_add_f64 v[204:205], v[204:205], -v[212:213]
	s_delay_alu instid0(VALU_DEP_2) | instskip(NEXT) | instid1(VALU_DEP_1)
	v_fma_f64 v[218:219], v[220:221], v[216:217], v[218:219]
	v_add_f64 v[206:207], v[206:207], -v[218:219]
	ds_load_2addr_b64 v[218:221], v214 offset0:10 offset1:11
	s_waitcnt lgkmcnt(0)
	v_mul_f64 v[212:213], v[220:221], v[222:223]
	s_delay_alu instid0(VALU_DEP_1) | instskip(SKIP_1) | instid1(VALU_DEP_2)
	v_fma_f64 v[212:213], v[218:219], v[216:217], -v[212:213]
	v_mul_f64 v[218:219], v[218:219], v[222:223]
	v_add_f64 v[200:201], v[200:201], -v[212:213]
	s_delay_alu instid0(VALU_DEP_2) | instskip(NEXT) | instid1(VALU_DEP_1)
	v_fma_f64 v[218:219], v[220:221], v[216:217], v[218:219]
	v_add_f64 v[202:203], v[202:203], -v[218:219]
	ds_load_2addr_b64 v[218:221], v214 offset0:12 offset1:13
	;; [unrolled: 10-line block ×51, first 2 shown]
	s_waitcnt lgkmcnt(0)
	v_mul_f64 v[212:213], v[220:221], v[222:223]
	s_delay_alu instid0(VALU_DEP_1) | instskip(SKIP_1) | instid1(VALU_DEP_2)
	v_fma_f64 v[212:213], v[218:219], v[216:217], -v[212:213]
	v_mul_f64 v[218:219], v[218:219], v[222:223]
	v_add_f64 v[0:1], v[0:1], -v[212:213]
	s_delay_alu instid0(VALU_DEP_2)
	v_fma_f64 v[218:219], v[220:221], v[216:217], v[218:219]
	v_dual_mov_b32 v221, v217 :: v_dual_mov_b32 v220, v216
	s_clause 0x1
	scratch_store_b128 off, v[208:211], off
	scratch_store_b128 off, v[220:223], off offset:32
	v_add_f64 v[2:3], v[2:3], -v[218:219]
.LBB111_19:
	s_or_b32 exec_lo, exec_lo, s3
	s_delay_alu instid0(SALU_CYCLE_1)
	s_mov_b32 s4, exec_lo
	s_waitcnt_vscnt null, 0x0
	s_barrier
	buffer_gl0_inv
	v_cmpx_eq_u32_e32 2, v248
	s_cbranch_execz .LBB111_26
; %bb.20:
	scratch_load_b128 v[208:211], off, off offset:16 ; 16-byte Folded Reload
	s_waitcnt vmcnt(0)
	ds_store_2addr_b64 v251, v[208:209], v[210:211] offset1:1
	scratch_load_b128 v[208:211], off, off  ; 16-byte Folded Reload
	s_waitcnt vmcnt(0)
	ds_store_2addr_b64 v214, v[208:209], v[210:211] offset0:6 offset1:7
	ds_store_2addr_b64 v214, v[204:205], v[206:207] offset0:8 offset1:9
	;; [unrolled: 1-line block ×53, first 2 shown]
	ds_load_2addr_b64 v[216:219], v251 offset1:1
	s_waitcnt lgkmcnt(0)
	v_cmp_neq_f64_e32 vcc_lo, 0, v[216:217]
	v_cmp_neq_f64_e64 s3, 0, v[218:219]
	s_delay_alu instid0(VALU_DEP_1) | instskip(NEXT) | instid1(SALU_CYCLE_1)
	s_or_b32 s3, vcc_lo, s3
	s_and_b32 exec_lo, exec_lo, s3
	s_cbranch_execz .LBB111_26
; %bb.21:
	v_cmp_gt_f64_e32 vcc_lo, 0, v[216:217]
	v_xor_b32_e32 v208, 0x80000000, v217
	s_delay_alu instid0(VALU_DEP_1) | instskip(SKIP_3) | instid1(VALU_DEP_1)
	v_cndmask_b32_e32 v213, v217, v208, vcc_lo
	v_cndmask_b32_e32 v212, v216, v216, vcc_lo
	v_cmp_gt_f64_e32 vcc_lo, 0, v[218:219]
	v_xor_b32_e32 v208, 0x80000000, v219
	v_dual_cndmask_b32 v220, v218, v218 :: v_dual_cndmask_b32 v221, v219, v208
	s_delay_alu instid0(VALU_DEP_1) | instskip(SKIP_1) | instid1(SALU_CYCLE_1)
	v_cmp_ngt_f64_e32 vcc_lo, v[212:213], v[220:221]
                                        ; implicit-def: $vgpr212_vgpr213
	s_and_saveexec_b32 s3, vcc_lo
	s_xor_b32 s3, exec_lo, s3
                                        ; implicit-def: $vgpr220_vgpr221_vgpr222_vgpr223
	s_cbranch_execz .LBB111_23
; %bb.22:
	v_div_scale_f64 v[212:213], null, v[218:219], v[218:219], v[216:217]
	v_div_scale_f64 v[224:225], vcc_lo, v[216:217], v[218:219], v[216:217]
	s_delay_alu instid0(VALU_DEP_2) | instskip(SKIP_2) | instid1(VALU_DEP_1)
	v_rcp_f64_e32 v[220:221], v[212:213]
	s_waitcnt_depctr 0xfff
	v_fma_f64 v[222:223], -v[212:213], v[220:221], 1.0
	v_fma_f64 v[220:221], v[220:221], v[222:223], v[220:221]
	s_delay_alu instid0(VALU_DEP_1) | instskip(NEXT) | instid1(VALU_DEP_1)
	v_fma_f64 v[222:223], -v[212:213], v[220:221], 1.0
	v_fma_f64 v[220:221], v[220:221], v[222:223], v[220:221]
	s_delay_alu instid0(VALU_DEP_1) | instskip(NEXT) | instid1(VALU_DEP_1)
	v_mul_f64 v[222:223], v[224:225], v[220:221]
	v_fma_f64 v[212:213], -v[212:213], v[222:223], v[224:225]
	s_delay_alu instid0(VALU_DEP_1) | instskip(NEXT) | instid1(VALU_DEP_1)
	v_div_fmas_f64 v[212:213], v[212:213], v[220:221], v[222:223]
	v_div_fixup_f64 v[212:213], v[212:213], v[218:219], v[216:217]
	s_delay_alu instid0(VALU_DEP_1) | instskip(NEXT) | instid1(VALU_DEP_1)
	v_fma_f64 v[216:217], v[216:217], v[212:213], v[218:219]
	v_div_scale_f64 v[218:219], null, v[216:217], v[216:217], 1.0
	s_delay_alu instid0(VALU_DEP_1) | instskip(SKIP_2) | instid1(VALU_DEP_1)
	v_rcp_f64_e32 v[220:221], v[218:219]
	s_waitcnt_depctr 0xfff
	v_fma_f64 v[222:223], -v[218:219], v[220:221], 1.0
	v_fma_f64 v[220:221], v[220:221], v[222:223], v[220:221]
	s_delay_alu instid0(VALU_DEP_1) | instskip(NEXT) | instid1(VALU_DEP_1)
	v_fma_f64 v[222:223], -v[218:219], v[220:221], 1.0
	v_fma_f64 v[220:221], v[220:221], v[222:223], v[220:221]
	v_div_scale_f64 v[222:223], vcc_lo, 1.0, v[216:217], 1.0
	s_delay_alu instid0(VALU_DEP_1) | instskip(NEXT) | instid1(VALU_DEP_1)
	v_mul_f64 v[224:225], v[222:223], v[220:221]
	v_fma_f64 v[218:219], -v[218:219], v[224:225], v[222:223]
	s_delay_alu instid0(VALU_DEP_1) | instskip(NEXT) | instid1(VALU_DEP_1)
	v_div_fmas_f64 v[218:219], v[218:219], v[220:221], v[224:225]
	v_div_fixup_f64 v[222:223], v[218:219], v[216:217], 1.0
                                        ; implicit-def: $vgpr216_vgpr217
	s_delay_alu instid0(VALU_DEP_1)
	v_mul_f64 v[212:213], v[212:213], v[222:223]
	v_xor_b32_e32 v223, 0x80000000, v223
.LBB111_23:
	s_and_not1_saveexec_b32 s3, s3
	s_cbranch_execz .LBB111_25
; %bb.24:
	v_div_scale_f64 v[212:213], null, v[216:217], v[216:217], v[218:219]
	v_div_scale_f64 v[224:225], vcc_lo, v[218:219], v[216:217], v[218:219]
	s_delay_alu instid0(VALU_DEP_2) | instskip(SKIP_2) | instid1(VALU_DEP_1)
	v_rcp_f64_e32 v[220:221], v[212:213]
	s_waitcnt_depctr 0xfff
	v_fma_f64 v[222:223], -v[212:213], v[220:221], 1.0
	v_fma_f64 v[220:221], v[220:221], v[222:223], v[220:221]
	s_delay_alu instid0(VALU_DEP_1) | instskip(NEXT) | instid1(VALU_DEP_1)
	v_fma_f64 v[222:223], -v[212:213], v[220:221], 1.0
	v_fma_f64 v[220:221], v[220:221], v[222:223], v[220:221]
	s_delay_alu instid0(VALU_DEP_1) | instskip(NEXT) | instid1(VALU_DEP_1)
	v_mul_f64 v[222:223], v[224:225], v[220:221]
	v_fma_f64 v[212:213], -v[212:213], v[222:223], v[224:225]
	s_delay_alu instid0(VALU_DEP_1) | instskip(NEXT) | instid1(VALU_DEP_1)
	v_div_fmas_f64 v[212:213], v[212:213], v[220:221], v[222:223]
	v_div_fixup_f64 v[220:221], v[212:213], v[216:217], v[218:219]
	s_delay_alu instid0(VALU_DEP_1) | instskip(NEXT) | instid1(VALU_DEP_1)
	v_fma_f64 v[212:213], v[218:219], v[220:221], v[216:217]
	v_div_scale_f64 v[216:217], null, v[212:213], v[212:213], 1.0
	s_delay_alu instid0(VALU_DEP_1) | instskip(SKIP_2) | instid1(VALU_DEP_1)
	v_rcp_f64_e32 v[218:219], v[216:217]
	s_waitcnt_depctr 0xfff
	v_fma_f64 v[222:223], -v[216:217], v[218:219], 1.0
	v_fma_f64 v[218:219], v[218:219], v[222:223], v[218:219]
	s_delay_alu instid0(VALU_DEP_1) | instskip(NEXT) | instid1(VALU_DEP_1)
	v_fma_f64 v[222:223], -v[216:217], v[218:219], 1.0
	v_fma_f64 v[218:219], v[218:219], v[222:223], v[218:219]
	v_div_scale_f64 v[222:223], vcc_lo, 1.0, v[212:213], 1.0
	s_delay_alu instid0(VALU_DEP_1) | instskip(NEXT) | instid1(VALU_DEP_1)
	v_mul_f64 v[224:225], v[222:223], v[218:219]
	v_fma_f64 v[216:217], -v[216:217], v[224:225], v[222:223]
	s_delay_alu instid0(VALU_DEP_1) | instskip(NEXT) | instid1(VALU_DEP_1)
	v_div_fmas_f64 v[216:217], v[216:217], v[218:219], v[224:225]
	v_div_fixup_f64 v[212:213], v[216:217], v[212:213], 1.0
	s_delay_alu instid0(VALU_DEP_1)
	v_mul_f64 v[222:223], v[220:221], -v[212:213]
.LBB111_25:
	s_or_b32 exec_lo, exec_lo, s3
	ds_store_2addr_b64 v251, v[212:213], v[222:223] offset1:1
.LBB111_26:
	s_or_b32 exec_lo, exec_lo, s4
	s_waitcnt lgkmcnt(0)
	s_barrier
	buffer_gl0_inv
	ds_load_2addr_b64 v[208:211], v251 offset1:1
	s_mov_b32 s3, exec_lo
	s_waitcnt lgkmcnt(0)
	scratch_store_b128 off, v[208:211], off offset:536 ; 16-byte Folded Spill
	v_cmpx_lt_u32_e32 2, v248
	s_cbranch_execz .LBB111_28
; %bb.27:
	s_clause 0x1
	scratch_load_b128 v[220:223], off, off offset:16
	scratch_load_b128 v[208:211], off, off offset:536
	s_waitcnt vmcnt(0)
	v_mul_f64 v[212:213], v[210:211], v[222:223]
	s_delay_alu instid0(VALU_DEP_1) | instskip(SKIP_1) | instid1(VALU_DEP_1)
	v_fma_f64 v[216:217], v[208:209], v[220:221], -v[212:213]
	v_mul_f64 v[212:213], v[208:209], v[222:223]
	v_fma_f64 v[222:223], v[210:211], v[220:221], v[212:213]
	scratch_load_b128 v[208:211], off, off  ; 16-byte Folded Reload
	ds_load_2addr_b64 v[218:221], v214 offset0:6 offset1:7
	s_waitcnt lgkmcnt(0)
	v_mul_f64 v[212:213], v[220:221], v[222:223]
	s_delay_alu instid0(VALU_DEP_1) | instskip(SKIP_1) | instid1(VALU_DEP_1)
	v_fma_f64 v[212:213], v[218:219], v[216:217], -v[212:213]
	v_mul_f64 v[218:219], v[218:219], v[222:223]
	v_fma_f64 v[218:219], v[220:221], v[216:217], v[218:219]
	s_waitcnt vmcnt(0)
	s_delay_alu instid0(VALU_DEP_1) | instskip(SKIP_4) | instid1(VALU_DEP_1)
	v_add_f64 v[210:211], v[210:211], -v[218:219]
	ds_load_2addr_b64 v[218:221], v214 offset0:8 offset1:9
	v_add_f64 v[208:209], v[208:209], -v[212:213]
	s_waitcnt lgkmcnt(0)
	v_mul_f64 v[212:213], v[220:221], v[222:223]
	v_fma_f64 v[212:213], v[218:219], v[216:217], -v[212:213]
	v_mul_f64 v[218:219], v[218:219], v[222:223]
	s_delay_alu instid0(VALU_DEP_2) | instskip(NEXT) | instid1(VALU_DEP_2)
	v_add_f64 v[204:205], v[204:205], -v[212:213]
	v_fma_f64 v[218:219], v[220:221], v[216:217], v[218:219]
	s_delay_alu instid0(VALU_DEP_1) | instskip(SKIP_3) | instid1(VALU_DEP_1)
	v_add_f64 v[206:207], v[206:207], -v[218:219]
	ds_load_2addr_b64 v[218:221], v214 offset0:10 offset1:11
	s_waitcnt lgkmcnt(0)
	v_mul_f64 v[212:213], v[220:221], v[222:223]
	v_fma_f64 v[212:213], v[218:219], v[216:217], -v[212:213]
	v_mul_f64 v[218:219], v[218:219], v[222:223]
	s_delay_alu instid0(VALU_DEP_2) | instskip(NEXT) | instid1(VALU_DEP_2)
	v_add_f64 v[200:201], v[200:201], -v[212:213]
	v_fma_f64 v[218:219], v[220:221], v[216:217], v[218:219]
	s_delay_alu instid0(VALU_DEP_1) | instskip(SKIP_3) | instid1(VALU_DEP_1)
	v_add_f64 v[202:203], v[202:203], -v[218:219]
	ds_load_2addr_b64 v[218:221], v214 offset0:12 offset1:13
	;; [unrolled: 10-line block ×51, first 2 shown]
	s_waitcnt lgkmcnt(0)
	v_mul_f64 v[212:213], v[220:221], v[222:223]
	v_fma_f64 v[212:213], v[218:219], v[216:217], -v[212:213]
	v_mul_f64 v[218:219], v[218:219], v[222:223]
	s_delay_alu instid0(VALU_DEP_2) | instskip(NEXT) | instid1(VALU_DEP_2)
	v_add_f64 v[0:1], v[0:1], -v[212:213]
	v_fma_f64 v[218:219], v[220:221], v[216:217], v[218:219]
	v_dual_mov_b32 v221, v217 :: v_dual_mov_b32 v220, v216
	s_clause 0x1
	scratch_store_b128 off, v[208:211], off
	scratch_store_b128 off, v[220:223], off offset:16
	v_add_f64 v[2:3], v[2:3], -v[218:219]
.LBB111_28:
	s_or_b32 exec_lo, exec_lo, s3
	s_delay_alu instid0(SALU_CYCLE_1)
	s_mov_b32 s4, exec_lo
	s_waitcnt_vscnt null, 0x0
	s_barrier
	buffer_gl0_inv
	v_cmpx_eq_u32_e32 3, v248
	s_cbranch_execz .LBB111_35
; %bb.29:
	scratch_load_b128 v[208:211], off, off  ; 16-byte Folded Reload
	s_waitcnt vmcnt(0)
	ds_store_2addr_b64 v251, v[208:209], v[210:211] offset1:1
	ds_store_2addr_b64 v214, v[204:205], v[206:207] offset0:8 offset1:9
	ds_store_2addr_b64 v214, v[200:201], v[202:203] offset0:10 offset1:11
	;; [unrolled: 1-line block ×52, first 2 shown]
	ds_load_2addr_b64 v[216:219], v251 offset1:1
	s_waitcnt lgkmcnt(0)
	v_cmp_neq_f64_e32 vcc_lo, 0, v[216:217]
	v_cmp_neq_f64_e64 s3, 0, v[218:219]
	s_delay_alu instid0(VALU_DEP_1) | instskip(NEXT) | instid1(SALU_CYCLE_1)
	s_or_b32 s3, vcc_lo, s3
	s_and_b32 exec_lo, exec_lo, s3
	s_cbranch_execz .LBB111_35
; %bb.30:
	v_cmp_gt_f64_e32 vcc_lo, 0, v[216:217]
	v_xor_b32_e32 v208, 0x80000000, v217
	s_delay_alu instid0(VALU_DEP_1) | instskip(SKIP_3) | instid1(VALU_DEP_1)
	v_cndmask_b32_e32 v213, v217, v208, vcc_lo
	v_cndmask_b32_e32 v212, v216, v216, vcc_lo
	v_cmp_gt_f64_e32 vcc_lo, 0, v[218:219]
	v_xor_b32_e32 v208, 0x80000000, v219
	v_dual_cndmask_b32 v220, v218, v218 :: v_dual_cndmask_b32 v221, v219, v208
	s_delay_alu instid0(VALU_DEP_1) | instskip(SKIP_1) | instid1(SALU_CYCLE_1)
	v_cmp_ngt_f64_e32 vcc_lo, v[212:213], v[220:221]
                                        ; implicit-def: $vgpr212_vgpr213
	s_and_saveexec_b32 s3, vcc_lo
	s_xor_b32 s3, exec_lo, s3
                                        ; implicit-def: $vgpr220_vgpr221_vgpr222_vgpr223
	s_cbranch_execz .LBB111_32
; %bb.31:
	v_div_scale_f64 v[212:213], null, v[218:219], v[218:219], v[216:217]
	v_div_scale_f64 v[224:225], vcc_lo, v[216:217], v[218:219], v[216:217]
	s_delay_alu instid0(VALU_DEP_2) | instskip(SKIP_2) | instid1(VALU_DEP_1)
	v_rcp_f64_e32 v[220:221], v[212:213]
	s_waitcnt_depctr 0xfff
	v_fma_f64 v[222:223], -v[212:213], v[220:221], 1.0
	v_fma_f64 v[220:221], v[220:221], v[222:223], v[220:221]
	s_delay_alu instid0(VALU_DEP_1) | instskip(NEXT) | instid1(VALU_DEP_1)
	v_fma_f64 v[222:223], -v[212:213], v[220:221], 1.0
	v_fma_f64 v[220:221], v[220:221], v[222:223], v[220:221]
	s_delay_alu instid0(VALU_DEP_1) | instskip(NEXT) | instid1(VALU_DEP_1)
	v_mul_f64 v[222:223], v[224:225], v[220:221]
	v_fma_f64 v[212:213], -v[212:213], v[222:223], v[224:225]
	s_delay_alu instid0(VALU_DEP_1) | instskip(NEXT) | instid1(VALU_DEP_1)
	v_div_fmas_f64 v[212:213], v[212:213], v[220:221], v[222:223]
	v_div_fixup_f64 v[212:213], v[212:213], v[218:219], v[216:217]
	s_delay_alu instid0(VALU_DEP_1) | instskip(NEXT) | instid1(VALU_DEP_1)
	v_fma_f64 v[216:217], v[216:217], v[212:213], v[218:219]
	v_div_scale_f64 v[218:219], null, v[216:217], v[216:217], 1.0
	s_delay_alu instid0(VALU_DEP_1) | instskip(SKIP_2) | instid1(VALU_DEP_1)
	v_rcp_f64_e32 v[220:221], v[218:219]
	s_waitcnt_depctr 0xfff
	v_fma_f64 v[222:223], -v[218:219], v[220:221], 1.0
	v_fma_f64 v[220:221], v[220:221], v[222:223], v[220:221]
	s_delay_alu instid0(VALU_DEP_1) | instskip(NEXT) | instid1(VALU_DEP_1)
	v_fma_f64 v[222:223], -v[218:219], v[220:221], 1.0
	v_fma_f64 v[220:221], v[220:221], v[222:223], v[220:221]
	v_div_scale_f64 v[222:223], vcc_lo, 1.0, v[216:217], 1.0
	s_delay_alu instid0(VALU_DEP_1) | instskip(NEXT) | instid1(VALU_DEP_1)
	v_mul_f64 v[224:225], v[222:223], v[220:221]
	v_fma_f64 v[218:219], -v[218:219], v[224:225], v[222:223]
	s_delay_alu instid0(VALU_DEP_1) | instskip(NEXT) | instid1(VALU_DEP_1)
	v_div_fmas_f64 v[218:219], v[218:219], v[220:221], v[224:225]
	v_div_fixup_f64 v[222:223], v[218:219], v[216:217], 1.0
                                        ; implicit-def: $vgpr216_vgpr217
	s_delay_alu instid0(VALU_DEP_1)
	v_mul_f64 v[212:213], v[212:213], v[222:223]
	v_xor_b32_e32 v223, 0x80000000, v223
.LBB111_32:
	s_and_not1_saveexec_b32 s3, s3
	s_cbranch_execz .LBB111_34
; %bb.33:
	v_div_scale_f64 v[212:213], null, v[216:217], v[216:217], v[218:219]
	v_div_scale_f64 v[224:225], vcc_lo, v[218:219], v[216:217], v[218:219]
	s_delay_alu instid0(VALU_DEP_2) | instskip(SKIP_2) | instid1(VALU_DEP_1)
	v_rcp_f64_e32 v[220:221], v[212:213]
	s_waitcnt_depctr 0xfff
	v_fma_f64 v[222:223], -v[212:213], v[220:221], 1.0
	v_fma_f64 v[220:221], v[220:221], v[222:223], v[220:221]
	s_delay_alu instid0(VALU_DEP_1) | instskip(NEXT) | instid1(VALU_DEP_1)
	v_fma_f64 v[222:223], -v[212:213], v[220:221], 1.0
	v_fma_f64 v[220:221], v[220:221], v[222:223], v[220:221]
	s_delay_alu instid0(VALU_DEP_1) | instskip(NEXT) | instid1(VALU_DEP_1)
	v_mul_f64 v[222:223], v[224:225], v[220:221]
	v_fma_f64 v[212:213], -v[212:213], v[222:223], v[224:225]
	s_delay_alu instid0(VALU_DEP_1) | instskip(NEXT) | instid1(VALU_DEP_1)
	v_div_fmas_f64 v[212:213], v[212:213], v[220:221], v[222:223]
	v_div_fixup_f64 v[220:221], v[212:213], v[216:217], v[218:219]
	s_delay_alu instid0(VALU_DEP_1) | instskip(NEXT) | instid1(VALU_DEP_1)
	v_fma_f64 v[212:213], v[218:219], v[220:221], v[216:217]
	v_div_scale_f64 v[216:217], null, v[212:213], v[212:213], 1.0
	s_delay_alu instid0(VALU_DEP_1) | instskip(SKIP_2) | instid1(VALU_DEP_1)
	v_rcp_f64_e32 v[218:219], v[216:217]
	s_waitcnt_depctr 0xfff
	v_fma_f64 v[222:223], -v[216:217], v[218:219], 1.0
	v_fma_f64 v[218:219], v[218:219], v[222:223], v[218:219]
	s_delay_alu instid0(VALU_DEP_1) | instskip(NEXT) | instid1(VALU_DEP_1)
	v_fma_f64 v[222:223], -v[216:217], v[218:219], 1.0
	v_fma_f64 v[218:219], v[218:219], v[222:223], v[218:219]
	v_div_scale_f64 v[222:223], vcc_lo, 1.0, v[212:213], 1.0
	s_delay_alu instid0(VALU_DEP_1) | instskip(NEXT) | instid1(VALU_DEP_1)
	v_mul_f64 v[224:225], v[222:223], v[218:219]
	v_fma_f64 v[216:217], -v[216:217], v[224:225], v[222:223]
	s_delay_alu instid0(VALU_DEP_1) | instskip(NEXT) | instid1(VALU_DEP_1)
	v_div_fmas_f64 v[216:217], v[216:217], v[218:219], v[224:225]
	v_div_fixup_f64 v[212:213], v[216:217], v[212:213], 1.0
	s_delay_alu instid0(VALU_DEP_1)
	v_mul_f64 v[222:223], v[220:221], -v[212:213]
.LBB111_34:
	s_or_b32 exec_lo, exec_lo, s3
	ds_store_2addr_b64 v251, v[212:213], v[222:223] offset1:1
.LBB111_35:
	s_or_b32 exec_lo, exec_lo, s4
	s_waitcnt lgkmcnt(0)
	s_barrier
	buffer_gl0_inv
	ds_load_2addr_b64 v[208:211], v251 offset1:1
	s_mov_b32 s3, exec_lo
	s_waitcnt lgkmcnt(0)
	scratch_store_b128 off, v[208:211], off offset:552 ; 16-byte Folded Spill
	v_cmpx_lt_u32_e32 3, v248
	s_cbranch_execz .LBB111_37
; %bb.36:
	s_clause 0x1
	scratch_load_b128 v[208:211], off, off
	scratch_load_b128 v[218:221], off, off offset:552
	s_waitcnt vmcnt(0)
	v_mul_f64 v[212:213], v[220:221], v[210:211]
	v_mul_f64 v[210:211], v[218:219], v[210:211]
	s_delay_alu instid0(VALU_DEP_2) | instskip(NEXT) | instid1(VALU_DEP_2)
	v_fma_f64 v[216:217], v[218:219], v[208:209], -v[212:213]
	v_fma_f64 v[210:211], v[220:221], v[208:209], v[210:211]
	ds_load_2addr_b64 v[218:221], v214 offset0:8 offset1:9
	s_waitcnt lgkmcnt(0)
	v_mul_f64 v[208:209], v[220:221], v[210:211]
	v_mul_f64 v[212:213], v[218:219], v[210:211]
	s_delay_alu instid0(VALU_DEP_2) | instskip(NEXT) | instid1(VALU_DEP_2)
	v_fma_f64 v[208:209], v[218:219], v[216:217], -v[208:209]
	v_fma_f64 v[212:213], v[220:221], v[216:217], v[212:213]
	ds_load_2addr_b64 v[218:221], v214 offset0:10 offset1:11
	v_add_f64 v[204:205], v[204:205], -v[208:209]
	v_add_f64 v[206:207], v[206:207], -v[212:213]
	s_waitcnt lgkmcnt(0)
	v_mul_f64 v[208:209], v[220:221], v[210:211]
	v_mul_f64 v[212:213], v[218:219], v[210:211]
	s_delay_alu instid0(VALU_DEP_2) | instskip(NEXT) | instid1(VALU_DEP_2)
	v_fma_f64 v[208:209], v[218:219], v[216:217], -v[208:209]
	v_fma_f64 v[212:213], v[220:221], v[216:217], v[212:213]
	ds_load_2addr_b64 v[218:221], v214 offset0:12 offset1:13
	v_add_f64 v[200:201], v[200:201], -v[208:209]
	v_add_f64 v[202:203], v[202:203], -v[212:213]
	;; [unrolled: 9-line block ×51, first 2 shown]
	s_waitcnt lgkmcnt(0)
	v_mul_f64 v[208:209], v[220:221], v[210:211]
	v_mul_f64 v[212:213], v[218:219], v[210:211]
	s_delay_alu instid0(VALU_DEP_2) | instskip(NEXT) | instid1(VALU_DEP_2)
	v_fma_f64 v[208:209], v[218:219], v[216:217], -v[208:209]
	v_fma_f64 v[212:213], v[220:221], v[216:217], v[212:213]
	s_delay_alu instid0(VALU_DEP_2) | instskip(NEXT) | instid1(VALU_DEP_2)
	v_add_f64 v[0:1], v[0:1], -v[208:209]
	v_add_f64 v[2:3], v[2:3], -v[212:213]
	v_dual_mov_b32 v208, v216 :: v_dual_mov_b32 v209, v217
	scratch_store_b128 off, v[208:211], off ; 16-byte Folded Spill
.LBB111_37:
	s_or_b32 exec_lo, exec_lo, s3
	s_delay_alu instid0(SALU_CYCLE_1)
	s_mov_b32 s4, exec_lo
	s_waitcnt_vscnt null, 0x0
	s_barrier
	buffer_gl0_inv
	v_cmpx_eq_u32_e32 4, v248
	s_cbranch_execz .LBB111_44
; %bb.38:
	ds_store_2addr_b64 v251, v[204:205], v[206:207] offset1:1
	ds_store_2addr_b64 v214, v[200:201], v[202:203] offset0:10 offset1:11
	ds_store_2addr_b64 v214, v[196:197], v[198:199] offset0:12 offset1:13
	;; [unrolled: 1-line block ×51, first 2 shown]
	ds_load_2addr_b64 v[216:219], v251 offset1:1
	s_waitcnt lgkmcnt(0)
	v_cmp_neq_f64_e32 vcc_lo, 0, v[216:217]
	v_cmp_neq_f64_e64 s3, 0, v[218:219]
	s_delay_alu instid0(VALU_DEP_1) | instskip(NEXT) | instid1(SALU_CYCLE_1)
	s_or_b32 s3, vcc_lo, s3
	s_and_b32 exec_lo, exec_lo, s3
	s_cbranch_execz .LBB111_44
; %bb.39:
	v_cmp_gt_f64_e32 vcc_lo, 0, v[216:217]
	v_xor_b32_e32 v208, 0x80000000, v217
	s_delay_alu instid0(VALU_DEP_1) | instskip(SKIP_3) | instid1(VALU_DEP_1)
	v_cndmask_b32_e32 v213, v217, v208, vcc_lo
	v_cndmask_b32_e32 v212, v216, v216, vcc_lo
	v_cmp_gt_f64_e32 vcc_lo, 0, v[218:219]
	v_xor_b32_e32 v208, 0x80000000, v219
	v_dual_cndmask_b32 v220, v218, v218 :: v_dual_cndmask_b32 v221, v219, v208
	s_delay_alu instid0(VALU_DEP_1) | instskip(SKIP_1) | instid1(SALU_CYCLE_1)
	v_cmp_ngt_f64_e32 vcc_lo, v[212:213], v[220:221]
                                        ; implicit-def: $vgpr212_vgpr213
	s_and_saveexec_b32 s3, vcc_lo
	s_xor_b32 s3, exec_lo, s3
                                        ; implicit-def: $vgpr220_vgpr221_vgpr222_vgpr223
	s_cbranch_execz .LBB111_41
; %bb.40:
	v_div_scale_f64 v[212:213], null, v[218:219], v[218:219], v[216:217]
	v_div_scale_f64 v[224:225], vcc_lo, v[216:217], v[218:219], v[216:217]
	s_delay_alu instid0(VALU_DEP_2) | instskip(SKIP_2) | instid1(VALU_DEP_1)
	v_rcp_f64_e32 v[220:221], v[212:213]
	s_waitcnt_depctr 0xfff
	v_fma_f64 v[222:223], -v[212:213], v[220:221], 1.0
	v_fma_f64 v[220:221], v[220:221], v[222:223], v[220:221]
	s_delay_alu instid0(VALU_DEP_1) | instskip(NEXT) | instid1(VALU_DEP_1)
	v_fma_f64 v[222:223], -v[212:213], v[220:221], 1.0
	v_fma_f64 v[220:221], v[220:221], v[222:223], v[220:221]
	s_delay_alu instid0(VALU_DEP_1) | instskip(NEXT) | instid1(VALU_DEP_1)
	v_mul_f64 v[222:223], v[224:225], v[220:221]
	v_fma_f64 v[212:213], -v[212:213], v[222:223], v[224:225]
	s_delay_alu instid0(VALU_DEP_1) | instskip(NEXT) | instid1(VALU_DEP_1)
	v_div_fmas_f64 v[212:213], v[212:213], v[220:221], v[222:223]
	v_div_fixup_f64 v[212:213], v[212:213], v[218:219], v[216:217]
	s_delay_alu instid0(VALU_DEP_1) | instskip(NEXT) | instid1(VALU_DEP_1)
	v_fma_f64 v[216:217], v[216:217], v[212:213], v[218:219]
	v_div_scale_f64 v[218:219], null, v[216:217], v[216:217], 1.0
	s_delay_alu instid0(VALU_DEP_1) | instskip(SKIP_2) | instid1(VALU_DEP_1)
	v_rcp_f64_e32 v[220:221], v[218:219]
	s_waitcnt_depctr 0xfff
	v_fma_f64 v[222:223], -v[218:219], v[220:221], 1.0
	v_fma_f64 v[220:221], v[220:221], v[222:223], v[220:221]
	s_delay_alu instid0(VALU_DEP_1) | instskip(NEXT) | instid1(VALU_DEP_1)
	v_fma_f64 v[222:223], -v[218:219], v[220:221], 1.0
	v_fma_f64 v[220:221], v[220:221], v[222:223], v[220:221]
	v_div_scale_f64 v[222:223], vcc_lo, 1.0, v[216:217], 1.0
	s_delay_alu instid0(VALU_DEP_1) | instskip(NEXT) | instid1(VALU_DEP_1)
	v_mul_f64 v[224:225], v[222:223], v[220:221]
	v_fma_f64 v[218:219], -v[218:219], v[224:225], v[222:223]
	s_delay_alu instid0(VALU_DEP_1) | instskip(NEXT) | instid1(VALU_DEP_1)
	v_div_fmas_f64 v[218:219], v[218:219], v[220:221], v[224:225]
	v_div_fixup_f64 v[222:223], v[218:219], v[216:217], 1.0
                                        ; implicit-def: $vgpr216_vgpr217
	s_delay_alu instid0(VALU_DEP_1)
	v_mul_f64 v[212:213], v[212:213], v[222:223]
	v_xor_b32_e32 v223, 0x80000000, v223
.LBB111_41:
	s_and_not1_saveexec_b32 s3, s3
	s_cbranch_execz .LBB111_43
; %bb.42:
	v_div_scale_f64 v[212:213], null, v[216:217], v[216:217], v[218:219]
	v_div_scale_f64 v[224:225], vcc_lo, v[218:219], v[216:217], v[218:219]
	s_delay_alu instid0(VALU_DEP_2) | instskip(SKIP_2) | instid1(VALU_DEP_1)
	v_rcp_f64_e32 v[220:221], v[212:213]
	s_waitcnt_depctr 0xfff
	v_fma_f64 v[222:223], -v[212:213], v[220:221], 1.0
	v_fma_f64 v[220:221], v[220:221], v[222:223], v[220:221]
	s_delay_alu instid0(VALU_DEP_1) | instskip(NEXT) | instid1(VALU_DEP_1)
	v_fma_f64 v[222:223], -v[212:213], v[220:221], 1.0
	v_fma_f64 v[220:221], v[220:221], v[222:223], v[220:221]
	s_delay_alu instid0(VALU_DEP_1) | instskip(NEXT) | instid1(VALU_DEP_1)
	v_mul_f64 v[222:223], v[224:225], v[220:221]
	v_fma_f64 v[212:213], -v[212:213], v[222:223], v[224:225]
	s_delay_alu instid0(VALU_DEP_1) | instskip(NEXT) | instid1(VALU_DEP_1)
	v_div_fmas_f64 v[212:213], v[212:213], v[220:221], v[222:223]
	v_div_fixup_f64 v[220:221], v[212:213], v[216:217], v[218:219]
	s_delay_alu instid0(VALU_DEP_1) | instskip(NEXT) | instid1(VALU_DEP_1)
	v_fma_f64 v[212:213], v[218:219], v[220:221], v[216:217]
	v_div_scale_f64 v[216:217], null, v[212:213], v[212:213], 1.0
	s_delay_alu instid0(VALU_DEP_1) | instskip(SKIP_2) | instid1(VALU_DEP_1)
	v_rcp_f64_e32 v[218:219], v[216:217]
	s_waitcnt_depctr 0xfff
	v_fma_f64 v[222:223], -v[216:217], v[218:219], 1.0
	v_fma_f64 v[218:219], v[218:219], v[222:223], v[218:219]
	s_delay_alu instid0(VALU_DEP_1) | instskip(NEXT) | instid1(VALU_DEP_1)
	v_fma_f64 v[222:223], -v[216:217], v[218:219], 1.0
	v_fma_f64 v[218:219], v[218:219], v[222:223], v[218:219]
	v_div_scale_f64 v[222:223], vcc_lo, 1.0, v[212:213], 1.0
	s_delay_alu instid0(VALU_DEP_1) | instskip(NEXT) | instid1(VALU_DEP_1)
	v_mul_f64 v[224:225], v[222:223], v[218:219]
	v_fma_f64 v[216:217], -v[216:217], v[224:225], v[222:223]
	s_delay_alu instid0(VALU_DEP_1) | instskip(NEXT) | instid1(VALU_DEP_1)
	v_div_fmas_f64 v[216:217], v[216:217], v[218:219], v[224:225]
	v_div_fixup_f64 v[212:213], v[216:217], v[212:213], 1.0
	s_delay_alu instid0(VALU_DEP_1)
	v_mul_f64 v[222:223], v[220:221], -v[212:213]
.LBB111_43:
	s_or_b32 exec_lo, exec_lo, s3
	ds_store_2addr_b64 v251, v[212:213], v[222:223] offset1:1
.LBB111_44:
	s_or_b32 exec_lo, exec_lo, s4
	s_waitcnt lgkmcnt(0)
	s_barrier
	buffer_gl0_inv
	ds_load_2addr_b64 v[208:211], v251 offset1:1
	s_mov_b32 s3, exec_lo
	s_waitcnt lgkmcnt(0)
	scratch_store_b128 off, v[208:211], off offset:568 ; 16-byte Folded Spill
	v_cmpx_lt_u32_e32 4, v248
	s_cbranch_execz .LBB111_46
; %bb.45:
	scratch_load_b128 v[208:211], off, off offset:568 ; 16-byte Folded Reload
	ds_load_2addr_b64 v[218:221], v214 offset0:10 offset1:11
	s_waitcnt vmcnt(0)
	v_mul_f64 v[212:213], v[210:211], v[206:207]
	v_mul_f64 v[206:207], v[208:209], v[206:207]
	s_delay_alu instid0(VALU_DEP_2) | instskip(NEXT) | instid1(VALU_DEP_2)
	v_fma_f64 v[216:217], v[208:209], v[204:205], -v[212:213]
	v_fma_f64 v[206:207], v[210:211], v[204:205], v[206:207]
	s_waitcnt lgkmcnt(0)
	s_delay_alu instid0(VALU_DEP_1) | instskip(SKIP_1) | instid1(VALU_DEP_2)
	v_mul_f64 v[204:205], v[220:221], v[206:207]
	v_mul_f64 v[212:213], v[218:219], v[206:207]
	v_fma_f64 v[204:205], v[218:219], v[216:217], -v[204:205]
	s_delay_alu instid0(VALU_DEP_2)
	v_fma_f64 v[212:213], v[220:221], v[216:217], v[212:213]
	ds_load_2addr_b64 v[218:221], v214 offset0:12 offset1:13
	v_add_f64 v[200:201], v[200:201], -v[204:205]
	v_add_f64 v[202:203], v[202:203], -v[212:213]
	s_waitcnt lgkmcnt(0)
	v_mul_f64 v[204:205], v[220:221], v[206:207]
	v_mul_f64 v[212:213], v[218:219], v[206:207]
	s_delay_alu instid0(VALU_DEP_2) | instskip(NEXT) | instid1(VALU_DEP_2)
	v_fma_f64 v[204:205], v[218:219], v[216:217], -v[204:205]
	v_fma_f64 v[212:213], v[220:221], v[216:217], v[212:213]
	ds_load_2addr_b64 v[218:221], v214 offset0:14 offset1:15
	v_add_f64 v[196:197], v[196:197], -v[204:205]
	v_add_f64 v[198:199], v[198:199], -v[212:213]
	s_waitcnt lgkmcnt(0)
	v_mul_f64 v[204:205], v[220:221], v[206:207]
	v_mul_f64 v[212:213], v[218:219], v[206:207]
	s_delay_alu instid0(VALU_DEP_2) | instskip(NEXT) | instid1(VALU_DEP_2)
	v_fma_f64 v[204:205], v[218:219], v[216:217], -v[204:205]
	;; [unrolled: 9-line block ×50, first 2 shown]
	v_fma_f64 v[212:213], v[220:221], v[216:217], v[212:213]
	s_delay_alu instid0(VALU_DEP_2) | instskip(NEXT) | instid1(VALU_DEP_2)
	v_add_f64 v[0:1], v[0:1], -v[204:205]
	v_add_f64 v[2:3], v[2:3], -v[212:213]
	v_dual_mov_b32 v204, v216 :: v_dual_mov_b32 v205, v217
.LBB111_46:
	s_or_b32 exec_lo, exec_lo, s3
	s_delay_alu instid0(SALU_CYCLE_1)
	s_mov_b32 s4, exec_lo
	s_waitcnt_vscnt null, 0x0
	s_barrier
	buffer_gl0_inv
	v_cmpx_eq_u32_e32 5, v248
	s_cbranch_execz .LBB111_53
; %bb.47:
	ds_store_2addr_b64 v251, v[200:201], v[202:203] offset1:1
	ds_store_2addr_b64 v214, v[196:197], v[198:199] offset0:12 offset1:13
	ds_store_2addr_b64 v214, v[192:193], v[194:195] offset0:14 offset1:15
	;; [unrolled: 1-line block ×50, first 2 shown]
	ds_load_2addr_b64 v[216:219], v251 offset1:1
	s_waitcnt lgkmcnt(0)
	v_cmp_neq_f64_e32 vcc_lo, 0, v[216:217]
	v_cmp_neq_f64_e64 s3, 0, v[218:219]
	s_delay_alu instid0(VALU_DEP_1) | instskip(NEXT) | instid1(SALU_CYCLE_1)
	s_or_b32 s3, vcc_lo, s3
	s_and_b32 exec_lo, exec_lo, s3
	s_cbranch_execz .LBB111_53
; %bb.48:
	v_cmp_gt_f64_e32 vcc_lo, 0, v[216:217]
	v_xor_b32_e32 v208, 0x80000000, v217
	s_delay_alu instid0(VALU_DEP_1) | instskip(SKIP_3) | instid1(VALU_DEP_1)
	v_cndmask_b32_e32 v213, v217, v208, vcc_lo
	v_cndmask_b32_e32 v212, v216, v216, vcc_lo
	v_cmp_gt_f64_e32 vcc_lo, 0, v[218:219]
	v_xor_b32_e32 v208, 0x80000000, v219
	v_dual_cndmask_b32 v220, v218, v218 :: v_dual_cndmask_b32 v221, v219, v208
	s_delay_alu instid0(VALU_DEP_1) | instskip(SKIP_1) | instid1(SALU_CYCLE_1)
	v_cmp_ngt_f64_e32 vcc_lo, v[212:213], v[220:221]
                                        ; implicit-def: $vgpr212_vgpr213
	s_and_saveexec_b32 s3, vcc_lo
	s_xor_b32 s3, exec_lo, s3
                                        ; implicit-def: $vgpr220_vgpr221_vgpr222_vgpr223
	s_cbranch_execz .LBB111_50
; %bb.49:
	v_div_scale_f64 v[212:213], null, v[218:219], v[218:219], v[216:217]
	v_div_scale_f64 v[224:225], vcc_lo, v[216:217], v[218:219], v[216:217]
	s_delay_alu instid0(VALU_DEP_2) | instskip(SKIP_2) | instid1(VALU_DEP_1)
	v_rcp_f64_e32 v[220:221], v[212:213]
	s_waitcnt_depctr 0xfff
	v_fma_f64 v[222:223], -v[212:213], v[220:221], 1.0
	v_fma_f64 v[220:221], v[220:221], v[222:223], v[220:221]
	s_delay_alu instid0(VALU_DEP_1) | instskip(NEXT) | instid1(VALU_DEP_1)
	v_fma_f64 v[222:223], -v[212:213], v[220:221], 1.0
	v_fma_f64 v[220:221], v[220:221], v[222:223], v[220:221]
	s_delay_alu instid0(VALU_DEP_1) | instskip(NEXT) | instid1(VALU_DEP_1)
	v_mul_f64 v[222:223], v[224:225], v[220:221]
	v_fma_f64 v[212:213], -v[212:213], v[222:223], v[224:225]
	s_delay_alu instid0(VALU_DEP_1) | instskip(NEXT) | instid1(VALU_DEP_1)
	v_div_fmas_f64 v[212:213], v[212:213], v[220:221], v[222:223]
	v_div_fixup_f64 v[212:213], v[212:213], v[218:219], v[216:217]
	s_delay_alu instid0(VALU_DEP_1) | instskip(NEXT) | instid1(VALU_DEP_1)
	v_fma_f64 v[216:217], v[216:217], v[212:213], v[218:219]
	v_div_scale_f64 v[218:219], null, v[216:217], v[216:217], 1.0
	s_delay_alu instid0(VALU_DEP_1) | instskip(SKIP_2) | instid1(VALU_DEP_1)
	v_rcp_f64_e32 v[220:221], v[218:219]
	s_waitcnt_depctr 0xfff
	v_fma_f64 v[222:223], -v[218:219], v[220:221], 1.0
	v_fma_f64 v[220:221], v[220:221], v[222:223], v[220:221]
	s_delay_alu instid0(VALU_DEP_1) | instskip(NEXT) | instid1(VALU_DEP_1)
	v_fma_f64 v[222:223], -v[218:219], v[220:221], 1.0
	v_fma_f64 v[220:221], v[220:221], v[222:223], v[220:221]
	v_div_scale_f64 v[222:223], vcc_lo, 1.0, v[216:217], 1.0
	s_delay_alu instid0(VALU_DEP_1) | instskip(NEXT) | instid1(VALU_DEP_1)
	v_mul_f64 v[224:225], v[222:223], v[220:221]
	v_fma_f64 v[218:219], -v[218:219], v[224:225], v[222:223]
	s_delay_alu instid0(VALU_DEP_1) | instskip(NEXT) | instid1(VALU_DEP_1)
	v_div_fmas_f64 v[218:219], v[218:219], v[220:221], v[224:225]
	v_div_fixup_f64 v[222:223], v[218:219], v[216:217], 1.0
                                        ; implicit-def: $vgpr216_vgpr217
	s_delay_alu instid0(VALU_DEP_1)
	v_mul_f64 v[212:213], v[212:213], v[222:223]
	v_xor_b32_e32 v223, 0x80000000, v223
.LBB111_50:
	s_and_not1_saveexec_b32 s3, s3
	s_cbranch_execz .LBB111_52
; %bb.51:
	v_div_scale_f64 v[212:213], null, v[216:217], v[216:217], v[218:219]
	v_div_scale_f64 v[224:225], vcc_lo, v[218:219], v[216:217], v[218:219]
	s_delay_alu instid0(VALU_DEP_2) | instskip(SKIP_2) | instid1(VALU_DEP_1)
	v_rcp_f64_e32 v[220:221], v[212:213]
	s_waitcnt_depctr 0xfff
	v_fma_f64 v[222:223], -v[212:213], v[220:221], 1.0
	v_fma_f64 v[220:221], v[220:221], v[222:223], v[220:221]
	s_delay_alu instid0(VALU_DEP_1) | instskip(NEXT) | instid1(VALU_DEP_1)
	v_fma_f64 v[222:223], -v[212:213], v[220:221], 1.0
	v_fma_f64 v[220:221], v[220:221], v[222:223], v[220:221]
	s_delay_alu instid0(VALU_DEP_1) | instskip(NEXT) | instid1(VALU_DEP_1)
	v_mul_f64 v[222:223], v[224:225], v[220:221]
	v_fma_f64 v[212:213], -v[212:213], v[222:223], v[224:225]
	s_delay_alu instid0(VALU_DEP_1) | instskip(NEXT) | instid1(VALU_DEP_1)
	v_div_fmas_f64 v[212:213], v[212:213], v[220:221], v[222:223]
	v_div_fixup_f64 v[220:221], v[212:213], v[216:217], v[218:219]
	s_delay_alu instid0(VALU_DEP_1) | instskip(NEXT) | instid1(VALU_DEP_1)
	v_fma_f64 v[212:213], v[218:219], v[220:221], v[216:217]
	v_div_scale_f64 v[216:217], null, v[212:213], v[212:213], 1.0
	s_delay_alu instid0(VALU_DEP_1) | instskip(SKIP_2) | instid1(VALU_DEP_1)
	v_rcp_f64_e32 v[218:219], v[216:217]
	s_waitcnt_depctr 0xfff
	v_fma_f64 v[222:223], -v[216:217], v[218:219], 1.0
	v_fma_f64 v[218:219], v[218:219], v[222:223], v[218:219]
	s_delay_alu instid0(VALU_DEP_1) | instskip(NEXT) | instid1(VALU_DEP_1)
	v_fma_f64 v[222:223], -v[216:217], v[218:219], 1.0
	v_fma_f64 v[218:219], v[218:219], v[222:223], v[218:219]
	v_div_scale_f64 v[222:223], vcc_lo, 1.0, v[212:213], 1.0
	s_delay_alu instid0(VALU_DEP_1) | instskip(NEXT) | instid1(VALU_DEP_1)
	v_mul_f64 v[224:225], v[222:223], v[218:219]
	v_fma_f64 v[216:217], -v[216:217], v[224:225], v[222:223]
	s_delay_alu instid0(VALU_DEP_1) | instskip(NEXT) | instid1(VALU_DEP_1)
	v_div_fmas_f64 v[216:217], v[216:217], v[218:219], v[224:225]
	v_div_fixup_f64 v[212:213], v[216:217], v[212:213], 1.0
	s_delay_alu instid0(VALU_DEP_1)
	v_mul_f64 v[222:223], v[220:221], -v[212:213]
.LBB111_52:
	s_or_b32 exec_lo, exec_lo, s3
	ds_store_2addr_b64 v251, v[212:213], v[222:223] offset1:1
.LBB111_53:
	s_or_b32 exec_lo, exec_lo, s4
	s_waitcnt lgkmcnt(0)
	s_barrier
	buffer_gl0_inv
	ds_load_2addr_b64 v[208:211], v251 offset1:1
	s_mov_b32 s3, exec_lo
	s_waitcnt lgkmcnt(0)
	scratch_store_b128 off, v[208:211], off offset:584 ; 16-byte Folded Spill
	v_cmpx_lt_u32_e32 5, v248
	s_cbranch_execz .LBB111_55
; %bb.54:
	scratch_load_b128 v[208:211], off, off offset:584 ; 16-byte Folded Reload
	ds_load_2addr_b64 v[218:221], v214 offset0:12 offset1:13
	s_waitcnt vmcnt(0)
	v_mul_f64 v[212:213], v[210:211], v[202:203]
	v_mul_f64 v[202:203], v[208:209], v[202:203]
	s_delay_alu instid0(VALU_DEP_2) | instskip(NEXT) | instid1(VALU_DEP_2)
	v_fma_f64 v[216:217], v[208:209], v[200:201], -v[212:213]
	v_fma_f64 v[202:203], v[210:211], v[200:201], v[202:203]
	s_waitcnt lgkmcnt(0)
	s_delay_alu instid0(VALU_DEP_1) | instskip(SKIP_1) | instid1(VALU_DEP_2)
	v_mul_f64 v[200:201], v[220:221], v[202:203]
	v_mul_f64 v[212:213], v[218:219], v[202:203]
	v_fma_f64 v[200:201], v[218:219], v[216:217], -v[200:201]
	s_delay_alu instid0(VALU_DEP_2)
	v_fma_f64 v[212:213], v[220:221], v[216:217], v[212:213]
	ds_load_2addr_b64 v[218:221], v214 offset0:14 offset1:15
	v_add_f64 v[196:197], v[196:197], -v[200:201]
	v_add_f64 v[198:199], v[198:199], -v[212:213]
	s_waitcnt lgkmcnt(0)
	v_mul_f64 v[200:201], v[220:221], v[202:203]
	v_mul_f64 v[212:213], v[218:219], v[202:203]
	s_delay_alu instid0(VALU_DEP_2) | instskip(NEXT) | instid1(VALU_DEP_2)
	v_fma_f64 v[200:201], v[218:219], v[216:217], -v[200:201]
	v_fma_f64 v[212:213], v[220:221], v[216:217], v[212:213]
	ds_load_2addr_b64 v[218:221], v214 offset0:16 offset1:17
	v_add_f64 v[192:193], v[192:193], -v[200:201]
	v_add_f64 v[194:195], v[194:195], -v[212:213]
	s_waitcnt lgkmcnt(0)
	v_mul_f64 v[200:201], v[220:221], v[202:203]
	v_mul_f64 v[212:213], v[218:219], v[202:203]
	s_delay_alu instid0(VALU_DEP_2) | instskip(NEXT) | instid1(VALU_DEP_2)
	v_fma_f64 v[200:201], v[218:219], v[216:217], -v[200:201]
	;; [unrolled: 9-line block ×49, first 2 shown]
	v_fma_f64 v[212:213], v[220:221], v[216:217], v[212:213]
	s_delay_alu instid0(VALU_DEP_2) | instskip(NEXT) | instid1(VALU_DEP_2)
	v_add_f64 v[0:1], v[0:1], -v[200:201]
	v_add_f64 v[2:3], v[2:3], -v[212:213]
	v_dual_mov_b32 v200, v216 :: v_dual_mov_b32 v201, v217
.LBB111_55:
	s_or_b32 exec_lo, exec_lo, s3
	s_delay_alu instid0(SALU_CYCLE_1)
	s_mov_b32 s4, exec_lo
	s_waitcnt_vscnt null, 0x0
	s_barrier
	buffer_gl0_inv
	v_cmpx_eq_u32_e32 6, v248
	s_cbranch_execz .LBB111_62
; %bb.56:
	ds_store_2addr_b64 v251, v[196:197], v[198:199] offset1:1
	ds_store_2addr_b64 v214, v[192:193], v[194:195] offset0:14 offset1:15
	ds_store_2addr_b64 v214, v[188:189], v[190:191] offset0:16 offset1:17
	;; [unrolled: 1-line block ×49, first 2 shown]
	ds_load_2addr_b64 v[216:219], v251 offset1:1
	s_waitcnt lgkmcnt(0)
	v_cmp_neq_f64_e32 vcc_lo, 0, v[216:217]
	v_cmp_neq_f64_e64 s3, 0, v[218:219]
	s_delay_alu instid0(VALU_DEP_1) | instskip(NEXT) | instid1(SALU_CYCLE_1)
	s_or_b32 s3, vcc_lo, s3
	s_and_b32 exec_lo, exec_lo, s3
	s_cbranch_execz .LBB111_62
; %bb.57:
	v_cmp_gt_f64_e32 vcc_lo, 0, v[216:217]
	v_xor_b32_e32 v208, 0x80000000, v217
	s_delay_alu instid0(VALU_DEP_1) | instskip(SKIP_3) | instid1(VALU_DEP_1)
	v_cndmask_b32_e32 v213, v217, v208, vcc_lo
	v_cndmask_b32_e32 v212, v216, v216, vcc_lo
	v_cmp_gt_f64_e32 vcc_lo, 0, v[218:219]
	v_xor_b32_e32 v208, 0x80000000, v219
	v_dual_cndmask_b32 v220, v218, v218 :: v_dual_cndmask_b32 v221, v219, v208
	s_delay_alu instid0(VALU_DEP_1) | instskip(SKIP_1) | instid1(SALU_CYCLE_1)
	v_cmp_ngt_f64_e32 vcc_lo, v[212:213], v[220:221]
                                        ; implicit-def: $vgpr212_vgpr213
	s_and_saveexec_b32 s3, vcc_lo
	s_xor_b32 s3, exec_lo, s3
                                        ; implicit-def: $vgpr220_vgpr221_vgpr222_vgpr223
	s_cbranch_execz .LBB111_59
; %bb.58:
	v_div_scale_f64 v[212:213], null, v[218:219], v[218:219], v[216:217]
	v_div_scale_f64 v[224:225], vcc_lo, v[216:217], v[218:219], v[216:217]
	s_delay_alu instid0(VALU_DEP_2) | instskip(SKIP_2) | instid1(VALU_DEP_1)
	v_rcp_f64_e32 v[220:221], v[212:213]
	s_waitcnt_depctr 0xfff
	v_fma_f64 v[222:223], -v[212:213], v[220:221], 1.0
	v_fma_f64 v[220:221], v[220:221], v[222:223], v[220:221]
	s_delay_alu instid0(VALU_DEP_1) | instskip(NEXT) | instid1(VALU_DEP_1)
	v_fma_f64 v[222:223], -v[212:213], v[220:221], 1.0
	v_fma_f64 v[220:221], v[220:221], v[222:223], v[220:221]
	s_delay_alu instid0(VALU_DEP_1) | instskip(NEXT) | instid1(VALU_DEP_1)
	v_mul_f64 v[222:223], v[224:225], v[220:221]
	v_fma_f64 v[212:213], -v[212:213], v[222:223], v[224:225]
	s_delay_alu instid0(VALU_DEP_1) | instskip(NEXT) | instid1(VALU_DEP_1)
	v_div_fmas_f64 v[212:213], v[212:213], v[220:221], v[222:223]
	v_div_fixup_f64 v[212:213], v[212:213], v[218:219], v[216:217]
	s_delay_alu instid0(VALU_DEP_1) | instskip(NEXT) | instid1(VALU_DEP_1)
	v_fma_f64 v[216:217], v[216:217], v[212:213], v[218:219]
	v_div_scale_f64 v[218:219], null, v[216:217], v[216:217], 1.0
	s_delay_alu instid0(VALU_DEP_1) | instskip(SKIP_2) | instid1(VALU_DEP_1)
	v_rcp_f64_e32 v[220:221], v[218:219]
	s_waitcnt_depctr 0xfff
	v_fma_f64 v[222:223], -v[218:219], v[220:221], 1.0
	v_fma_f64 v[220:221], v[220:221], v[222:223], v[220:221]
	s_delay_alu instid0(VALU_DEP_1) | instskip(NEXT) | instid1(VALU_DEP_1)
	v_fma_f64 v[222:223], -v[218:219], v[220:221], 1.0
	v_fma_f64 v[220:221], v[220:221], v[222:223], v[220:221]
	v_div_scale_f64 v[222:223], vcc_lo, 1.0, v[216:217], 1.0
	s_delay_alu instid0(VALU_DEP_1) | instskip(NEXT) | instid1(VALU_DEP_1)
	v_mul_f64 v[224:225], v[222:223], v[220:221]
	v_fma_f64 v[218:219], -v[218:219], v[224:225], v[222:223]
	s_delay_alu instid0(VALU_DEP_1) | instskip(NEXT) | instid1(VALU_DEP_1)
	v_div_fmas_f64 v[218:219], v[218:219], v[220:221], v[224:225]
	v_div_fixup_f64 v[222:223], v[218:219], v[216:217], 1.0
                                        ; implicit-def: $vgpr216_vgpr217
	s_delay_alu instid0(VALU_DEP_1)
	v_mul_f64 v[212:213], v[212:213], v[222:223]
	v_xor_b32_e32 v223, 0x80000000, v223
.LBB111_59:
	s_and_not1_saveexec_b32 s3, s3
	s_cbranch_execz .LBB111_61
; %bb.60:
	v_div_scale_f64 v[212:213], null, v[216:217], v[216:217], v[218:219]
	v_div_scale_f64 v[224:225], vcc_lo, v[218:219], v[216:217], v[218:219]
	s_delay_alu instid0(VALU_DEP_2) | instskip(SKIP_2) | instid1(VALU_DEP_1)
	v_rcp_f64_e32 v[220:221], v[212:213]
	s_waitcnt_depctr 0xfff
	v_fma_f64 v[222:223], -v[212:213], v[220:221], 1.0
	v_fma_f64 v[220:221], v[220:221], v[222:223], v[220:221]
	s_delay_alu instid0(VALU_DEP_1) | instskip(NEXT) | instid1(VALU_DEP_1)
	v_fma_f64 v[222:223], -v[212:213], v[220:221], 1.0
	v_fma_f64 v[220:221], v[220:221], v[222:223], v[220:221]
	s_delay_alu instid0(VALU_DEP_1) | instskip(NEXT) | instid1(VALU_DEP_1)
	v_mul_f64 v[222:223], v[224:225], v[220:221]
	v_fma_f64 v[212:213], -v[212:213], v[222:223], v[224:225]
	s_delay_alu instid0(VALU_DEP_1) | instskip(NEXT) | instid1(VALU_DEP_1)
	v_div_fmas_f64 v[212:213], v[212:213], v[220:221], v[222:223]
	v_div_fixup_f64 v[220:221], v[212:213], v[216:217], v[218:219]
	s_delay_alu instid0(VALU_DEP_1) | instskip(NEXT) | instid1(VALU_DEP_1)
	v_fma_f64 v[212:213], v[218:219], v[220:221], v[216:217]
	v_div_scale_f64 v[216:217], null, v[212:213], v[212:213], 1.0
	s_delay_alu instid0(VALU_DEP_1) | instskip(SKIP_2) | instid1(VALU_DEP_1)
	v_rcp_f64_e32 v[218:219], v[216:217]
	s_waitcnt_depctr 0xfff
	v_fma_f64 v[222:223], -v[216:217], v[218:219], 1.0
	v_fma_f64 v[218:219], v[218:219], v[222:223], v[218:219]
	s_delay_alu instid0(VALU_DEP_1) | instskip(NEXT) | instid1(VALU_DEP_1)
	v_fma_f64 v[222:223], -v[216:217], v[218:219], 1.0
	v_fma_f64 v[218:219], v[218:219], v[222:223], v[218:219]
	v_div_scale_f64 v[222:223], vcc_lo, 1.0, v[212:213], 1.0
	s_delay_alu instid0(VALU_DEP_1) | instskip(NEXT) | instid1(VALU_DEP_1)
	v_mul_f64 v[224:225], v[222:223], v[218:219]
	v_fma_f64 v[216:217], -v[216:217], v[224:225], v[222:223]
	s_delay_alu instid0(VALU_DEP_1) | instskip(NEXT) | instid1(VALU_DEP_1)
	v_div_fmas_f64 v[216:217], v[216:217], v[218:219], v[224:225]
	v_div_fixup_f64 v[212:213], v[216:217], v[212:213], 1.0
	s_delay_alu instid0(VALU_DEP_1)
	v_mul_f64 v[222:223], v[220:221], -v[212:213]
.LBB111_61:
	s_or_b32 exec_lo, exec_lo, s3
	ds_store_2addr_b64 v251, v[212:213], v[222:223] offset1:1
.LBB111_62:
	s_or_b32 exec_lo, exec_lo, s4
	s_waitcnt lgkmcnt(0)
	s_barrier
	buffer_gl0_inv
	ds_load_2addr_b64 v[208:211], v251 offset1:1
	s_mov_b32 s3, exec_lo
	s_waitcnt lgkmcnt(0)
	scratch_store_b128 off, v[208:211], off offset:600 ; 16-byte Folded Spill
	v_cmpx_lt_u32_e32 6, v248
	s_cbranch_execz .LBB111_64
; %bb.63:
	scratch_load_b128 v[208:211], off, off offset:600 ; 16-byte Folded Reload
	ds_load_2addr_b64 v[218:221], v214 offset0:14 offset1:15
	s_waitcnt vmcnt(0)
	v_mul_f64 v[212:213], v[210:211], v[198:199]
	v_mul_f64 v[198:199], v[208:209], v[198:199]
	s_delay_alu instid0(VALU_DEP_2) | instskip(NEXT) | instid1(VALU_DEP_2)
	v_fma_f64 v[216:217], v[208:209], v[196:197], -v[212:213]
	v_fma_f64 v[198:199], v[210:211], v[196:197], v[198:199]
	s_waitcnt lgkmcnt(0)
	s_delay_alu instid0(VALU_DEP_1) | instskip(SKIP_1) | instid1(VALU_DEP_2)
	v_mul_f64 v[196:197], v[220:221], v[198:199]
	v_mul_f64 v[212:213], v[218:219], v[198:199]
	v_fma_f64 v[196:197], v[218:219], v[216:217], -v[196:197]
	s_delay_alu instid0(VALU_DEP_2)
	v_fma_f64 v[212:213], v[220:221], v[216:217], v[212:213]
	ds_load_2addr_b64 v[218:221], v214 offset0:16 offset1:17
	v_add_f64 v[192:193], v[192:193], -v[196:197]
	v_add_f64 v[194:195], v[194:195], -v[212:213]
	s_waitcnt lgkmcnt(0)
	v_mul_f64 v[196:197], v[220:221], v[198:199]
	v_mul_f64 v[212:213], v[218:219], v[198:199]
	s_delay_alu instid0(VALU_DEP_2) | instskip(NEXT) | instid1(VALU_DEP_2)
	v_fma_f64 v[196:197], v[218:219], v[216:217], -v[196:197]
	v_fma_f64 v[212:213], v[220:221], v[216:217], v[212:213]
	ds_load_2addr_b64 v[218:221], v214 offset0:18 offset1:19
	v_add_f64 v[188:189], v[188:189], -v[196:197]
	v_add_f64 v[190:191], v[190:191], -v[212:213]
	s_waitcnt lgkmcnt(0)
	v_mul_f64 v[196:197], v[220:221], v[198:199]
	v_mul_f64 v[212:213], v[218:219], v[198:199]
	s_delay_alu instid0(VALU_DEP_2) | instskip(NEXT) | instid1(VALU_DEP_2)
	v_fma_f64 v[196:197], v[218:219], v[216:217], -v[196:197]
	;; [unrolled: 9-line block ×48, first 2 shown]
	v_fma_f64 v[212:213], v[220:221], v[216:217], v[212:213]
	s_delay_alu instid0(VALU_DEP_2) | instskip(NEXT) | instid1(VALU_DEP_2)
	v_add_f64 v[0:1], v[0:1], -v[196:197]
	v_add_f64 v[2:3], v[2:3], -v[212:213]
	v_dual_mov_b32 v196, v216 :: v_dual_mov_b32 v197, v217
.LBB111_64:
	s_or_b32 exec_lo, exec_lo, s3
	s_delay_alu instid0(SALU_CYCLE_1)
	s_mov_b32 s4, exec_lo
	s_waitcnt_vscnt null, 0x0
	s_barrier
	buffer_gl0_inv
	v_cmpx_eq_u32_e32 7, v248
	s_cbranch_execz .LBB111_71
; %bb.65:
	ds_store_2addr_b64 v251, v[192:193], v[194:195] offset1:1
	ds_store_2addr_b64 v214, v[188:189], v[190:191] offset0:16 offset1:17
	ds_store_2addr_b64 v214, v[184:185], v[186:187] offset0:18 offset1:19
	;; [unrolled: 1-line block ×48, first 2 shown]
	ds_load_2addr_b64 v[216:219], v251 offset1:1
	s_waitcnt lgkmcnt(0)
	v_cmp_neq_f64_e32 vcc_lo, 0, v[216:217]
	v_cmp_neq_f64_e64 s3, 0, v[218:219]
	s_delay_alu instid0(VALU_DEP_1) | instskip(NEXT) | instid1(SALU_CYCLE_1)
	s_or_b32 s3, vcc_lo, s3
	s_and_b32 exec_lo, exec_lo, s3
	s_cbranch_execz .LBB111_71
; %bb.66:
	v_cmp_gt_f64_e32 vcc_lo, 0, v[216:217]
	v_xor_b32_e32 v208, 0x80000000, v217
	s_delay_alu instid0(VALU_DEP_1) | instskip(SKIP_3) | instid1(VALU_DEP_1)
	v_cndmask_b32_e32 v213, v217, v208, vcc_lo
	v_cndmask_b32_e32 v212, v216, v216, vcc_lo
	v_cmp_gt_f64_e32 vcc_lo, 0, v[218:219]
	v_xor_b32_e32 v208, 0x80000000, v219
	v_dual_cndmask_b32 v220, v218, v218 :: v_dual_cndmask_b32 v221, v219, v208
	s_delay_alu instid0(VALU_DEP_1) | instskip(SKIP_1) | instid1(SALU_CYCLE_1)
	v_cmp_ngt_f64_e32 vcc_lo, v[212:213], v[220:221]
                                        ; implicit-def: $vgpr212_vgpr213
	s_and_saveexec_b32 s3, vcc_lo
	s_xor_b32 s3, exec_lo, s3
                                        ; implicit-def: $vgpr220_vgpr221_vgpr222_vgpr223
	s_cbranch_execz .LBB111_68
; %bb.67:
	v_div_scale_f64 v[212:213], null, v[218:219], v[218:219], v[216:217]
	v_div_scale_f64 v[224:225], vcc_lo, v[216:217], v[218:219], v[216:217]
	s_delay_alu instid0(VALU_DEP_2) | instskip(SKIP_2) | instid1(VALU_DEP_1)
	v_rcp_f64_e32 v[220:221], v[212:213]
	s_waitcnt_depctr 0xfff
	v_fma_f64 v[222:223], -v[212:213], v[220:221], 1.0
	v_fma_f64 v[220:221], v[220:221], v[222:223], v[220:221]
	s_delay_alu instid0(VALU_DEP_1) | instskip(NEXT) | instid1(VALU_DEP_1)
	v_fma_f64 v[222:223], -v[212:213], v[220:221], 1.0
	v_fma_f64 v[220:221], v[220:221], v[222:223], v[220:221]
	s_delay_alu instid0(VALU_DEP_1) | instskip(NEXT) | instid1(VALU_DEP_1)
	v_mul_f64 v[222:223], v[224:225], v[220:221]
	v_fma_f64 v[212:213], -v[212:213], v[222:223], v[224:225]
	s_delay_alu instid0(VALU_DEP_1) | instskip(NEXT) | instid1(VALU_DEP_1)
	v_div_fmas_f64 v[212:213], v[212:213], v[220:221], v[222:223]
	v_div_fixup_f64 v[212:213], v[212:213], v[218:219], v[216:217]
	s_delay_alu instid0(VALU_DEP_1) | instskip(NEXT) | instid1(VALU_DEP_1)
	v_fma_f64 v[216:217], v[216:217], v[212:213], v[218:219]
	v_div_scale_f64 v[218:219], null, v[216:217], v[216:217], 1.0
	s_delay_alu instid0(VALU_DEP_1) | instskip(SKIP_2) | instid1(VALU_DEP_1)
	v_rcp_f64_e32 v[220:221], v[218:219]
	s_waitcnt_depctr 0xfff
	v_fma_f64 v[222:223], -v[218:219], v[220:221], 1.0
	v_fma_f64 v[220:221], v[220:221], v[222:223], v[220:221]
	s_delay_alu instid0(VALU_DEP_1) | instskip(NEXT) | instid1(VALU_DEP_1)
	v_fma_f64 v[222:223], -v[218:219], v[220:221], 1.0
	v_fma_f64 v[220:221], v[220:221], v[222:223], v[220:221]
	v_div_scale_f64 v[222:223], vcc_lo, 1.0, v[216:217], 1.0
	s_delay_alu instid0(VALU_DEP_1) | instskip(NEXT) | instid1(VALU_DEP_1)
	v_mul_f64 v[224:225], v[222:223], v[220:221]
	v_fma_f64 v[218:219], -v[218:219], v[224:225], v[222:223]
	s_delay_alu instid0(VALU_DEP_1) | instskip(NEXT) | instid1(VALU_DEP_1)
	v_div_fmas_f64 v[218:219], v[218:219], v[220:221], v[224:225]
	v_div_fixup_f64 v[222:223], v[218:219], v[216:217], 1.0
                                        ; implicit-def: $vgpr216_vgpr217
	s_delay_alu instid0(VALU_DEP_1)
	v_mul_f64 v[212:213], v[212:213], v[222:223]
	v_xor_b32_e32 v223, 0x80000000, v223
.LBB111_68:
	s_and_not1_saveexec_b32 s3, s3
	s_cbranch_execz .LBB111_70
; %bb.69:
	v_div_scale_f64 v[212:213], null, v[216:217], v[216:217], v[218:219]
	v_div_scale_f64 v[224:225], vcc_lo, v[218:219], v[216:217], v[218:219]
	s_delay_alu instid0(VALU_DEP_2) | instskip(SKIP_2) | instid1(VALU_DEP_1)
	v_rcp_f64_e32 v[220:221], v[212:213]
	s_waitcnt_depctr 0xfff
	v_fma_f64 v[222:223], -v[212:213], v[220:221], 1.0
	v_fma_f64 v[220:221], v[220:221], v[222:223], v[220:221]
	s_delay_alu instid0(VALU_DEP_1) | instskip(NEXT) | instid1(VALU_DEP_1)
	v_fma_f64 v[222:223], -v[212:213], v[220:221], 1.0
	v_fma_f64 v[220:221], v[220:221], v[222:223], v[220:221]
	s_delay_alu instid0(VALU_DEP_1) | instskip(NEXT) | instid1(VALU_DEP_1)
	v_mul_f64 v[222:223], v[224:225], v[220:221]
	v_fma_f64 v[212:213], -v[212:213], v[222:223], v[224:225]
	s_delay_alu instid0(VALU_DEP_1) | instskip(NEXT) | instid1(VALU_DEP_1)
	v_div_fmas_f64 v[212:213], v[212:213], v[220:221], v[222:223]
	v_div_fixup_f64 v[220:221], v[212:213], v[216:217], v[218:219]
	s_delay_alu instid0(VALU_DEP_1) | instskip(NEXT) | instid1(VALU_DEP_1)
	v_fma_f64 v[212:213], v[218:219], v[220:221], v[216:217]
	v_div_scale_f64 v[216:217], null, v[212:213], v[212:213], 1.0
	s_delay_alu instid0(VALU_DEP_1) | instskip(SKIP_2) | instid1(VALU_DEP_1)
	v_rcp_f64_e32 v[218:219], v[216:217]
	s_waitcnt_depctr 0xfff
	v_fma_f64 v[222:223], -v[216:217], v[218:219], 1.0
	v_fma_f64 v[218:219], v[218:219], v[222:223], v[218:219]
	s_delay_alu instid0(VALU_DEP_1) | instskip(NEXT) | instid1(VALU_DEP_1)
	v_fma_f64 v[222:223], -v[216:217], v[218:219], 1.0
	v_fma_f64 v[218:219], v[218:219], v[222:223], v[218:219]
	v_div_scale_f64 v[222:223], vcc_lo, 1.0, v[212:213], 1.0
	s_delay_alu instid0(VALU_DEP_1) | instskip(NEXT) | instid1(VALU_DEP_1)
	v_mul_f64 v[224:225], v[222:223], v[218:219]
	v_fma_f64 v[216:217], -v[216:217], v[224:225], v[222:223]
	s_delay_alu instid0(VALU_DEP_1) | instskip(NEXT) | instid1(VALU_DEP_1)
	v_div_fmas_f64 v[216:217], v[216:217], v[218:219], v[224:225]
	v_div_fixup_f64 v[212:213], v[216:217], v[212:213], 1.0
	s_delay_alu instid0(VALU_DEP_1)
	v_mul_f64 v[222:223], v[220:221], -v[212:213]
.LBB111_70:
	s_or_b32 exec_lo, exec_lo, s3
	ds_store_2addr_b64 v251, v[212:213], v[222:223] offset1:1
.LBB111_71:
	s_or_b32 exec_lo, exec_lo, s4
	s_waitcnt lgkmcnt(0)
	s_barrier
	buffer_gl0_inv
	ds_load_2addr_b64 v[208:211], v251 offset1:1
	s_mov_b32 s3, exec_lo
	s_waitcnt lgkmcnt(0)
	scratch_store_b128 off, v[208:211], off offset:616 ; 16-byte Folded Spill
	v_cmpx_lt_u32_e32 7, v248
	s_cbranch_execz .LBB111_73
; %bb.72:
	scratch_load_b128 v[208:211], off, off offset:616 ; 16-byte Folded Reload
	ds_load_2addr_b64 v[218:221], v214 offset0:16 offset1:17
	s_waitcnt vmcnt(0)
	v_mul_f64 v[212:213], v[210:211], v[194:195]
	v_mul_f64 v[194:195], v[208:209], v[194:195]
	s_delay_alu instid0(VALU_DEP_2) | instskip(NEXT) | instid1(VALU_DEP_2)
	v_fma_f64 v[216:217], v[208:209], v[192:193], -v[212:213]
	v_fma_f64 v[194:195], v[210:211], v[192:193], v[194:195]
	s_waitcnt lgkmcnt(0)
	s_delay_alu instid0(VALU_DEP_1) | instskip(SKIP_1) | instid1(VALU_DEP_2)
	v_mul_f64 v[192:193], v[220:221], v[194:195]
	v_mul_f64 v[212:213], v[218:219], v[194:195]
	v_fma_f64 v[192:193], v[218:219], v[216:217], -v[192:193]
	s_delay_alu instid0(VALU_DEP_2)
	v_fma_f64 v[212:213], v[220:221], v[216:217], v[212:213]
	ds_load_2addr_b64 v[218:221], v214 offset0:18 offset1:19
	v_add_f64 v[188:189], v[188:189], -v[192:193]
	v_add_f64 v[190:191], v[190:191], -v[212:213]
	s_waitcnt lgkmcnt(0)
	v_mul_f64 v[192:193], v[220:221], v[194:195]
	v_mul_f64 v[212:213], v[218:219], v[194:195]
	s_delay_alu instid0(VALU_DEP_2) | instskip(NEXT) | instid1(VALU_DEP_2)
	v_fma_f64 v[192:193], v[218:219], v[216:217], -v[192:193]
	v_fma_f64 v[212:213], v[220:221], v[216:217], v[212:213]
	ds_load_2addr_b64 v[218:221], v214 offset0:20 offset1:21
	v_add_f64 v[184:185], v[184:185], -v[192:193]
	v_add_f64 v[186:187], v[186:187], -v[212:213]
	s_waitcnt lgkmcnt(0)
	v_mul_f64 v[192:193], v[220:221], v[194:195]
	v_mul_f64 v[212:213], v[218:219], v[194:195]
	s_delay_alu instid0(VALU_DEP_2) | instskip(NEXT) | instid1(VALU_DEP_2)
	v_fma_f64 v[192:193], v[218:219], v[216:217], -v[192:193]
	;; [unrolled: 9-line block ×47, first 2 shown]
	v_fma_f64 v[212:213], v[220:221], v[216:217], v[212:213]
	s_delay_alu instid0(VALU_DEP_2) | instskip(NEXT) | instid1(VALU_DEP_2)
	v_add_f64 v[0:1], v[0:1], -v[192:193]
	v_add_f64 v[2:3], v[2:3], -v[212:213]
	v_dual_mov_b32 v192, v216 :: v_dual_mov_b32 v193, v217
.LBB111_73:
	s_or_b32 exec_lo, exec_lo, s3
	s_delay_alu instid0(SALU_CYCLE_1)
	s_mov_b32 s4, exec_lo
	s_waitcnt_vscnt null, 0x0
	s_barrier
	buffer_gl0_inv
	v_cmpx_eq_u32_e32 8, v248
	s_cbranch_execz .LBB111_80
; %bb.74:
	ds_store_2addr_b64 v251, v[188:189], v[190:191] offset1:1
	ds_store_2addr_b64 v214, v[184:185], v[186:187] offset0:18 offset1:19
	ds_store_2addr_b64 v214, v[180:181], v[182:183] offset0:20 offset1:21
	;; [unrolled: 1-line block ×47, first 2 shown]
	ds_load_2addr_b64 v[216:219], v251 offset1:1
	s_waitcnt lgkmcnt(0)
	v_cmp_neq_f64_e32 vcc_lo, 0, v[216:217]
	v_cmp_neq_f64_e64 s3, 0, v[218:219]
	s_delay_alu instid0(VALU_DEP_1) | instskip(NEXT) | instid1(SALU_CYCLE_1)
	s_or_b32 s3, vcc_lo, s3
	s_and_b32 exec_lo, exec_lo, s3
	s_cbranch_execz .LBB111_80
; %bb.75:
	v_cmp_gt_f64_e32 vcc_lo, 0, v[216:217]
	v_xor_b32_e32 v208, 0x80000000, v217
	s_delay_alu instid0(VALU_DEP_1) | instskip(SKIP_3) | instid1(VALU_DEP_1)
	v_cndmask_b32_e32 v213, v217, v208, vcc_lo
	v_cndmask_b32_e32 v212, v216, v216, vcc_lo
	v_cmp_gt_f64_e32 vcc_lo, 0, v[218:219]
	v_xor_b32_e32 v208, 0x80000000, v219
	v_dual_cndmask_b32 v220, v218, v218 :: v_dual_cndmask_b32 v221, v219, v208
	s_delay_alu instid0(VALU_DEP_1) | instskip(SKIP_1) | instid1(SALU_CYCLE_1)
	v_cmp_ngt_f64_e32 vcc_lo, v[212:213], v[220:221]
                                        ; implicit-def: $vgpr212_vgpr213
	s_and_saveexec_b32 s3, vcc_lo
	s_xor_b32 s3, exec_lo, s3
                                        ; implicit-def: $vgpr220_vgpr221_vgpr222_vgpr223
	s_cbranch_execz .LBB111_77
; %bb.76:
	v_div_scale_f64 v[212:213], null, v[218:219], v[218:219], v[216:217]
	v_div_scale_f64 v[224:225], vcc_lo, v[216:217], v[218:219], v[216:217]
	s_delay_alu instid0(VALU_DEP_2) | instskip(SKIP_2) | instid1(VALU_DEP_1)
	v_rcp_f64_e32 v[220:221], v[212:213]
	s_waitcnt_depctr 0xfff
	v_fma_f64 v[222:223], -v[212:213], v[220:221], 1.0
	v_fma_f64 v[220:221], v[220:221], v[222:223], v[220:221]
	s_delay_alu instid0(VALU_DEP_1) | instskip(NEXT) | instid1(VALU_DEP_1)
	v_fma_f64 v[222:223], -v[212:213], v[220:221], 1.0
	v_fma_f64 v[220:221], v[220:221], v[222:223], v[220:221]
	s_delay_alu instid0(VALU_DEP_1) | instskip(NEXT) | instid1(VALU_DEP_1)
	v_mul_f64 v[222:223], v[224:225], v[220:221]
	v_fma_f64 v[212:213], -v[212:213], v[222:223], v[224:225]
	s_delay_alu instid0(VALU_DEP_1) | instskip(NEXT) | instid1(VALU_DEP_1)
	v_div_fmas_f64 v[212:213], v[212:213], v[220:221], v[222:223]
	v_div_fixup_f64 v[212:213], v[212:213], v[218:219], v[216:217]
	s_delay_alu instid0(VALU_DEP_1) | instskip(NEXT) | instid1(VALU_DEP_1)
	v_fma_f64 v[216:217], v[216:217], v[212:213], v[218:219]
	v_div_scale_f64 v[218:219], null, v[216:217], v[216:217], 1.0
	s_delay_alu instid0(VALU_DEP_1) | instskip(SKIP_2) | instid1(VALU_DEP_1)
	v_rcp_f64_e32 v[220:221], v[218:219]
	s_waitcnt_depctr 0xfff
	v_fma_f64 v[222:223], -v[218:219], v[220:221], 1.0
	v_fma_f64 v[220:221], v[220:221], v[222:223], v[220:221]
	s_delay_alu instid0(VALU_DEP_1) | instskip(NEXT) | instid1(VALU_DEP_1)
	v_fma_f64 v[222:223], -v[218:219], v[220:221], 1.0
	v_fma_f64 v[220:221], v[220:221], v[222:223], v[220:221]
	v_div_scale_f64 v[222:223], vcc_lo, 1.0, v[216:217], 1.0
	s_delay_alu instid0(VALU_DEP_1) | instskip(NEXT) | instid1(VALU_DEP_1)
	v_mul_f64 v[224:225], v[222:223], v[220:221]
	v_fma_f64 v[218:219], -v[218:219], v[224:225], v[222:223]
	s_delay_alu instid0(VALU_DEP_1) | instskip(NEXT) | instid1(VALU_DEP_1)
	v_div_fmas_f64 v[218:219], v[218:219], v[220:221], v[224:225]
	v_div_fixup_f64 v[222:223], v[218:219], v[216:217], 1.0
                                        ; implicit-def: $vgpr216_vgpr217
	s_delay_alu instid0(VALU_DEP_1)
	v_mul_f64 v[212:213], v[212:213], v[222:223]
	v_xor_b32_e32 v223, 0x80000000, v223
.LBB111_77:
	s_and_not1_saveexec_b32 s3, s3
	s_cbranch_execz .LBB111_79
; %bb.78:
	v_div_scale_f64 v[212:213], null, v[216:217], v[216:217], v[218:219]
	v_div_scale_f64 v[224:225], vcc_lo, v[218:219], v[216:217], v[218:219]
	s_delay_alu instid0(VALU_DEP_2) | instskip(SKIP_2) | instid1(VALU_DEP_1)
	v_rcp_f64_e32 v[220:221], v[212:213]
	s_waitcnt_depctr 0xfff
	v_fma_f64 v[222:223], -v[212:213], v[220:221], 1.0
	v_fma_f64 v[220:221], v[220:221], v[222:223], v[220:221]
	s_delay_alu instid0(VALU_DEP_1) | instskip(NEXT) | instid1(VALU_DEP_1)
	v_fma_f64 v[222:223], -v[212:213], v[220:221], 1.0
	v_fma_f64 v[220:221], v[220:221], v[222:223], v[220:221]
	s_delay_alu instid0(VALU_DEP_1) | instskip(NEXT) | instid1(VALU_DEP_1)
	v_mul_f64 v[222:223], v[224:225], v[220:221]
	v_fma_f64 v[212:213], -v[212:213], v[222:223], v[224:225]
	s_delay_alu instid0(VALU_DEP_1) | instskip(NEXT) | instid1(VALU_DEP_1)
	v_div_fmas_f64 v[212:213], v[212:213], v[220:221], v[222:223]
	v_div_fixup_f64 v[220:221], v[212:213], v[216:217], v[218:219]
	s_delay_alu instid0(VALU_DEP_1) | instskip(NEXT) | instid1(VALU_DEP_1)
	v_fma_f64 v[212:213], v[218:219], v[220:221], v[216:217]
	v_div_scale_f64 v[216:217], null, v[212:213], v[212:213], 1.0
	s_delay_alu instid0(VALU_DEP_1) | instskip(SKIP_2) | instid1(VALU_DEP_1)
	v_rcp_f64_e32 v[218:219], v[216:217]
	s_waitcnt_depctr 0xfff
	v_fma_f64 v[222:223], -v[216:217], v[218:219], 1.0
	v_fma_f64 v[218:219], v[218:219], v[222:223], v[218:219]
	s_delay_alu instid0(VALU_DEP_1) | instskip(NEXT) | instid1(VALU_DEP_1)
	v_fma_f64 v[222:223], -v[216:217], v[218:219], 1.0
	v_fma_f64 v[218:219], v[218:219], v[222:223], v[218:219]
	v_div_scale_f64 v[222:223], vcc_lo, 1.0, v[212:213], 1.0
	s_delay_alu instid0(VALU_DEP_1) | instskip(NEXT) | instid1(VALU_DEP_1)
	v_mul_f64 v[224:225], v[222:223], v[218:219]
	v_fma_f64 v[216:217], -v[216:217], v[224:225], v[222:223]
	s_delay_alu instid0(VALU_DEP_1) | instskip(NEXT) | instid1(VALU_DEP_1)
	v_div_fmas_f64 v[216:217], v[216:217], v[218:219], v[224:225]
	v_div_fixup_f64 v[212:213], v[216:217], v[212:213], 1.0
	s_delay_alu instid0(VALU_DEP_1)
	v_mul_f64 v[222:223], v[220:221], -v[212:213]
.LBB111_79:
	s_or_b32 exec_lo, exec_lo, s3
	ds_store_2addr_b64 v251, v[212:213], v[222:223] offset1:1
.LBB111_80:
	s_or_b32 exec_lo, exec_lo, s4
	s_waitcnt lgkmcnt(0)
	s_barrier
	buffer_gl0_inv
	ds_load_2addr_b64 v[208:211], v251 offset1:1
	s_mov_b32 s3, exec_lo
	s_waitcnt lgkmcnt(0)
	scratch_store_b128 off, v[208:211], off offset:632 ; 16-byte Folded Spill
	v_cmpx_lt_u32_e32 8, v248
	s_cbranch_execz .LBB111_82
; %bb.81:
	scratch_load_b128 v[208:211], off, off offset:632 ; 16-byte Folded Reload
	ds_load_2addr_b64 v[218:221], v214 offset0:18 offset1:19
	s_waitcnt vmcnt(0)
	v_mul_f64 v[212:213], v[210:211], v[190:191]
	v_mul_f64 v[190:191], v[208:209], v[190:191]
	s_delay_alu instid0(VALU_DEP_2) | instskip(NEXT) | instid1(VALU_DEP_2)
	v_fma_f64 v[216:217], v[208:209], v[188:189], -v[212:213]
	v_fma_f64 v[190:191], v[210:211], v[188:189], v[190:191]
	s_waitcnt lgkmcnt(0)
	s_delay_alu instid0(VALU_DEP_1) | instskip(SKIP_1) | instid1(VALU_DEP_2)
	v_mul_f64 v[188:189], v[220:221], v[190:191]
	v_mul_f64 v[212:213], v[218:219], v[190:191]
	v_fma_f64 v[188:189], v[218:219], v[216:217], -v[188:189]
	s_delay_alu instid0(VALU_DEP_2)
	v_fma_f64 v[212:213], v[220:221], v[216:217], v[212:213]
	ds_load_2addr_b64 v[218:221], v214 offset0:20 offset1:21
	v_add_f64 v[184:185], v[184:185], -v[188:189]
	v_add_f64 v[186:187], v[186:187], -v[212:213]
	s_waitcnt lgkmcnt(0)
	v_mul_f64 v[188:189], v[220:221], v[190:191]
	v_mul_f64 v[212:213], v[218:219], v[190:191]
	s_delay_alu instid0(VALU_DEP_2) | instskip(NEXT) | instid1(VALU_DEP_2)
	v_fma_f64 v[188:189], v[218:219], v[216:217], -v[188:189]
	v_fma_f64 v[212:213], v[220:221], v[216:217], v[212:213]
	ds_load_2addr_b64 v[218:221], v214 offset0:22 offset1:23
	v_add_f64 v[180:181], v[180:181], -v[188:189]
	v_add_f64 v[182:183], v[182:183], -v[212:213]
	s_waitcnt lgkmcnt(0)
	v_mul_f64 v[188:189], v[220:221], v[190:191]
	v_mul_f64 v[212:213], v[218:219], v[190:191]
	s_delay_alu instid0(VALU_DEP_2) | instskip(NEXT) | instid1(VALU_DEP_2)
	v_fma_f64 v[188:189], v[218:219], v[216:217], -v[188:189]
	;; [unrolled: 9-line block ×46, first 2 shown]
	v_fma_f64 v[212:213], v[220:221], v[216:217], v[212:213]
	s_delay_alu instid0(VALU_DEP_2) | instskip(NEXT) | instid1(VALU_DEP_2)
	v_add_f64 v[0:1], v[0:1], -v[188:189]
	v_add_f64 v[2:3], v[2:3], -v[212:213]
	v_dual_mov_b32 v188, v216 :: v_dual_mov_b32 v189, v217
.LBB111_82:
	s_or_b32 exec_lo, exec_lo, s3
	s_delay_alu instid0(SALU_CYCLE_1)
	s_mov_b32 s4, exec_lo
	s_waitcnt_vscnt null, 0x0
	s_barrier
	buffer_gl0_inv
	v_cmpx_eq_u32_e32 9, v248
	s_cbranch_execz .LBB111_89
; %bb.83:
	ds_store_2addr_b64 v251, v[184:185], v[186:187] offset1:1
	ds_store_2addr_b64 v214, v[180:181], v[182:183] offset0:20 offset1:21
	ds_store_2addr_b64 v214, v[176:177], v[178:179] offset0:22 offset1:23
	;; [unrolled: 1-line block ×46, first 2 shown]
	ds_load_2addr_b64 v[216:219], v251 offset1:1
	s_waitcnt lgkmcnt(0)
	v_cmp_neq_f64_e32 vcc_lo, 0, v[216:217]
	v_cmp_neq_f64_e64 s3, 0, v[218:219]
	s_delay_alu instid0(VALU_DEP_1) | instskip(NEXT) | instid1(SALU_CYCLE_1)
	s_or_b32 s3, vcc_lo, s3
	s_and_b32 exec_lo, exec_lo, s3
	s_cbranch_execz .LBB111_89
; %bb.84:
	v_cmp_gt_f64_e32 vcc_lo, 0, v[216:217]
	v_xor_b32_e32 v208, 0x80000000, v217
	s_delay_alu instid0(VALU_DEP_1) | instskip(SKIP_3) | instid1(VALU_DEP_1)
	v_cndmask_b32_e32 v213, v217, v208, vcc_lo
	v_cndmask_b32_e32 v212, v216, v216, vcc_lo
	v_cmp_gt_f64_e32 vcc_lo, 0, v[218:219]
	v_xor_b32_e32 v208, 0x80000000, v219
	v_dual_cndmask_b32 v220, v218, v218 :: v_dual_cndmask_b32 v221, v219, v208
	s_delay_alu instid0(VALU_DEP_1) | instskip(SKIP_1) | instid1(SALU_CYCLE_1)
	v_cmp_ngt_f64_e32 vcc_lo, v[212:213], v[220:221]
                                        ; implicit-def: $vgpr212_vgpr213
	s_and_saveexec_b32 s3, vcc_lo
	s_xor_b32 s3, exec_lo, s3
                                        ; implicit-def: $vgpr220_vgpr221_vgpr222_vgpr223
	s_cbranch_execz .LBB111_86
; %bb.85:
	v_div_scale_f64 v[212:213], null, v[218:219], v[218:219], v[216:217]
	v_div_scale_f64 v[224:225], vcc_lo, v[216:217], v[218:219], v[216:217]
	s_delay_alu instid0(VALU_DEP_2) | instskip(SKIP_2) | instid1(VALU_DEP_1)
	v_rcp_f64_e32 v[220:221], v[212:213]
	s_waitcnt_depctr 0xfff
	v_fma_f64 v[222:223], -v[212:213], v[220:221], 1.0
	v_fma_f64 v[220:221], v[220:221], v[222:223], v[220:221]
	s_delay_alu instid0(VALU_DEP_1) | instskip(NEXT) | instid1(VALU_DEP_1)
	v_fma_f64 v[222:223], -v[212:213], v[220:221], 1.0
	v_fma_f64 v[220:221], v[220:221], v[222:223], v[220:221]
	s_delay_alu instid0(VALU_DEP_1) | instskip(NEXT) | instid1(VALU_DEP_1)
	v_mul_f64 v[222:223], v[224:225], v[220:221]
	v_fma_f64 v[212:213], -v[212:213], v[222:223], v[224:225]
	s_delay_alu instid0(VALU_DEP_1) | instskip(NEXT) | instid1(VALU_DEP_1)
	v_div_fmas_f64 v[212:213], v[212:213], v[220:221], v[222:223]
	v_div_fixup_f64 v[212:213], v[212:213], v[218:219], v[216:217]
	s_delay_alu instid0(VALU_DEP_1) | instskip(NEXT) | instid1(VALU_DEP_1)
	v_fma_f64 v[216:217], v[216:217], v[212:213], v[218:219]
	v_div_scale_f64 v[218:219], null, v[216:217], v[216:217], 1.0
	s_delay_alu instid0(VALU_DEP_1) | instskip(SKIP_2) | instid1(VALU_DEP_1)
	v_rcp_f64_e32 v[220:221], v[218:219]
	s_waitcnt_depctr 0xfff
	v_fma_f64 v[222:223], -v[218:219], v[220:221], 1.0
	v_fma_f64 v[220:221], v[220:221], v[222:223], v[220:221]
	s_delay_alu instid0(VALU_DEP_1) | instskip(NEXT) | instid1(VALU_DEP_1)
	v_fma_f64 v[222:223], -v[218:219], v[220:221], 1.0
	v_fma_f64 v[220:221], v[220:221], v[222:223], v[220:221]
	v_div_scale_f64 v[222:223], vcc_lo, 1.0, v[216:217], 1.0
	s_delay_alu instid0(VALU_DEP_1) | instskip(NEXT) | instid1(VALU_DEP_1)
	v_mul_f64 v[224:225], v[222:223], v[220:221]
	v_fma_f64 v[218:219], -v[218:219], v[224:225], v[222:223]
	s_delay_alu instid0(VALU_DEP_1) | instskip(NEXT) | instid1(VALU_DEP_1)
	v_div_fmas_f64 v[218:219], v[218:219], v[220:221], v[224:225]
	v_div_fixup_f64 v[222:223], v[218:219], v[216:217], 1.0
                                        ; implicit-def: $vgpr216_vgpr217
	s_delay_alu instid0(VALU_DEP_1)
	v_mul_f64 v[212:213], v[212:213], v[222:223]
	v_xor_b32_e32 v223, 0x80000000, v223
.LBB111_86:
	s_and_not1_saveexec_b32 s3, s3
	s_cbranch_execz .LBB111_88
; %bb.87:
	v_div_scale_f64 v[212:213], null, v[216:217], v[216:217], v[218:219]
	v_div_scale_f64 v[224:225], vcc_lo, v[218:219], v[216:217], v[218:219]
	s_delay_alu instid0(VALU_DEP_2) | instskip(SKIP_2) | instid1(VALU_DEP_1)
	v_rcp_f64_e32 v[220:221], v[212:213]
	s_waitcnt_depctr 0xfff
	v_fma_f64 v[222:223], -v[212:213], v[220:221], 1.0
	v_fma_f64 v[220:221], v[220:221], v[222:223], v[220:221]
	s_delay_alu instid0(VALU_DEP_1) | instskip(NEXT) | instid1(VALU_DEP_1)
	v_fma_f64 v[222:223], -v[212:213], v[220:221], 1.0
	v_fma_f64 v[220:221], v[220:221], v[222:223], v[220:221]
	s_delay_alu instid0(VALU_DEP_1) | instskip(NEXT) | instid1(VALU_DEP_1)
	v_mul_f64 v[222:223], v[224:225], v[220:221]
	v_fma_f64 v[212:213], -v[212:213], v[222:223], v[224:225]
	s_delay_alu instid0(VALU_DEP_1) | instskip(NEXT) | instid1(VALU_DEP_1)
	v_div_fmas_f64 v[212:213], v[212:213], v[220:221], v[222:223]
	v_div_fixup_f64 v[220:221], v[212:213], v[216:217], v[218:219]
	s_delay_alu instid0(VALU_DEP_1) | instskip(NEXT) | instid1(VALU_DEP_1)
	v_fma_f64 v[212:213], v[218:219], v[220:221], v[216:217]
	v_div_scale_f64 v[216:217], null, v[212:213], v[212:213], 1.0
	s_delay_alu instid0(VALU_DEP_1) | instskip(SKIP_2) | instid1(VALU_DEP_1)
	v_rcp_f64_e32 v[218:219], v[216:217]
	s_waitcnt_depctr 0xfff
	v_fma_f64 v[222:223], -v[216:217], v[218:219], 1.0
	v_fma_f64 v[218:219], v[218:219], v[222:223], v[218:219]
	s_delay_alu instid0(VALU_DEP_1) | instskip(NEXT) | instid1(VALU_DEP_1)
	v_fma_f64 v[222:223], -v[216:217], v[218:219], 1.0
	v_fma_f64 v[218:219], v[218:219], v[222:223], v[218:219]
	v_div_scale_f64 v[222:223], vcc_lo, 1.0, v[212:213], 1.0
	s_delay_alu instid0(VALU_DEP_1) | instskip(NEXT) | instid1(VALU_DEP_1)
	v_mul_f64 v[224:225], v[222:223], v[218:219]
	v_fma_f64 v[216:217], -v[216:217], v[224:225], v[222:223]
	s_delay_alu instid0(VALU_DEP_1) | instskip(NEXT) | instid1(VALU_DEP_1)
	v_div_fmas_f64 v[216:217], v[216:217], v[218:219], v[224:225]
	v_div_fixup_f64 v[212:213], v[216:217], v[212:213], 1.0
	s_delay_alu instid0(VALU_DEP_1)
	v_mul_f64 v[222:223], v[220:221], -v[212:213]
.LBB111_88:
	s_or_b32 exec_lo, exec_lo, s3
	ds_store_2addr_b64 v251, v[212:213], v[222:223] offset1:1
.LBB111_89:
	s_or_b32 exec_lo, exec_lo, s4
	s_waitcnt lgkmcnt(0)
	s_barrier
	buffer_gl0_inv
	ds_load_2addr_b64 v[208:211], v251 offset1:1
	s_mov_b32 s3, exec_lo
	s_waitcnt lgkmcnt(0)
	scratch_store_b128 off, v[208:211], off offset:648 ; 16-byte Folded Spill
	v_cmpx_lt_u32_e32 9, v248
	s_cbranch_execz .LBB111_91
; %bb.90:
	scratch_load_b128 v[208:211], off, off offset:648 ; 16-byte Folded Reload
	ds_load_2addr_b64 v[218:221], v214 offset0:20 offset1:21
	s_waitcnt vmcnt(0)
	v_mul_f64 v[212:213], v[210:211], v[186:187]
	v_mul_f64 v[186:187], v[208:209], v[186:187]
	s_delay_alu instid0(VALU_DEP_2) | instskip(NEXT) | instid1(VALU_DEP_2)
	v_fma_f64 v[216:217], v[208:209], v[184:185], -v[212:213]
	v_fma_f64 v[186:187], v[210:211], v[184:185], v[186:187]
	s_waitcnt lgkmcnt(0)
	s_delay_alu instid0(VALU_DEP_1) | instskip(SKIP_1) | instid1(VALU_DEP_2)
	v_mul_f64 v[184:185], v[220:221], v[186:187]
	v_mul_f64 v[212:213], v[218:219], v[186:187]
	v_fma_f64 v[184:185], v[218:219], v[216:217], -v[184:185]
	s_delay_alu instid0(VALU_DEP_2)
	v_fma_f64 v[212:213], v[220:221], v[216:217], v[212:213]
	ds_load_2addr_b64 v[218:221], v214 offset0:22 offset1:23
	v_add_f64 v[180:181], v[180:181], -v[184:185]
	v_add_f64 v[182:183], v[182:183], -v[212:213]
	s_waitcnt lgkmcnt(0)
	v_mul_f64 v[184:185], v[220:221], v[186:187]
	v_mul_f64 v[212:213], v[218:219], v[186:187]
	s_delay_alu instid0(VALU_DEP_2) | instskip(NEXT) | instid1(VALU_DEP_2)
	v_fma_f64 v[184:185], v[218:219], v[216:217], -v[184:185]
	v_fma_f64 v[212:213], v[220:221], v[216:217], v[212:213]
	ds_load_2addr_b64 v[218:221], v214 offset0:24 offset1:25
	v_add_f64 v[176:177], v[176:177], -v[184:185]
	v_add_f64 v[178:179], v[178:179], -v[212:213]
	s_waitcnt lgkmcnt(0)
	v_mul_f64 v[184:185], v[220:221], v[186:187]
	v_mul_f64 v[212:213], v[218:219], v[186:187]
	s_delay_alu instid0(VALU_DEP_2) | instskip(NEXT) | instid1(VALU_DEP_2)
	v_fma_f64 v[184:185], v[218:219], v[216:217], -v[184:185]
	;; [unrolled: 9-line block ×45, first 2 shown]
	v_fma_f64 v[212:213], v[220:221], v[216:217], v[212:213]
	s_delay_alu instid0(VALU_DEP_2) | instskip(NEXT) | instid1(VALU_DEP_2)
	v_add_f64 v[0:1], v[0:1], -v[184:185]
	v_add_f64 v[2:3], v[2:3], -v[212:213]
	v_dual_mov_b32 v184, v216 :: v_dual_mov_b32 v185, v217
.LBB111_91:
	s_or_b32 exec_lo, exec_lo, s3
	s_delay_alu instid0(SALU_CYCLE_1)
	s_mov_b32 s4, exec_lo
	s_waitcnt_vscnt null, 0x0
	s_barrier
	buffer_gl0_inv
	v_cmpx_eq_u32_e32 10, v248
	s_cbranch_execz .LBB111_98
; %bb.92:
	ds_store_2addr_b64 v251, v[180:181], v[182:183] offset1:1
	ds_store_2addr_b64 v214, v[176:177], v[178:179] offset0:22 offset1:23
	ds_store_2addr_b64 v214, v[172:173], v[174:175] offset0:24 offset1:25
	;; [unrolled: 1-line block ×45, first 2 shown]
	ds_load_2addr_b64 v[216:219], v251 offset1:1
	s_waitcnt lgkmcnt(0)
	v_cmp_neq_f64_e32 vcc_lo, 0, v[216:217]
	v_cmp_neq_f64_e64 s3, 0, v[218:219]
	s_delay_alu instid0(VALU_DEP_1) | instskip(NEXT) | instid1(SALU_CYCLE_1)
	s_or_b32 s3, vcc_lo, s3
	s_and_b32 exec_lo, exec_lo, s3
	s_cbranch_execz .LBB111_98
; %bb.93:
	v_cmp_gt_f64_e32 vcc_lo, 0, v[216:217]
	v_xor_b32_e32 v208, 0x80000000, v217
	s_delay_alu instid0(VALU_DEP_1) | instskip(SKIP_3) | instid1(VALU_DEP_1)
	v_cndmask_b32_e32 v213, v217, v208, vcc_lo
	v_cndmask_b32_e32 v212, v216, v216, vcc_lo
	v_cmp_gt_f64_e32 vcc_lo, 0, v[218:219]
	v_xor_b32_e32 v208, 0x80000000, v219
	v_dual_cndmask_b32 v220, v218, v218 :: v_dual_cndmask_b32 v221, v219, v208
	s_delay_alu instid0(VALU_DEP_1) | instskip(SKIP_1) | instid1(SALU_CYCLE_1)
	v_cmp_ngt_f64_e32 vcc_lo, v[212:213], v[220:221]
                                        ; implicit-def: $vgpr212_vgpr213
	s_and_saveexec_b32 s3, vcc_lo
	s_xor_b32 s3, exec_lo, s3
                                        ; implicit-def: $vgpr220_vgpr221_vgpr222_vgpr223
	s_cbranch_execz .LBB111_95
; %bb.94:
	v_div_scale_f64 v[212:213], null, v[218:219], v[218:219], v[216:217]
	v_div_scale_f64 v[224:225], vcc_lo, v[216:217], v[218:219], v[216:217]
	s_delay_alu instid0(VALU_DEP_2) | instskip(SKIP_2) | instid1(VALU_DEP_1)
	v_rcp_f64_e32 v[220:221], v[212:213]
	s_waitcnt_depctr 0xfff
	v_fma_f64 v[222:223], -v[212:213], v[220:221], 1.0
	v_fma_f64 v[220:221], v[220:221], v[222:223], v[220:221]
	s_delay_alu instid0(VALU_DEP_1) | instskip(NEXT) | instid1(VALU_DEP_1)
	v_fma_f64 v[222:223], -v[212:213], v[220:221], 1.0
	v_fma_f64 v[220:221], v[220:221], v[222:223], v[220:221]
	s_delay_alu instid0(VALU_DEP_1) | instskip(NEXT) | instid1(VALU_DEP_1)
	v_mul_f64 v[222:223], v[224:225], v[220:221]
	v_fma_f64 v[212:213], -v[212:213], v[222:223], v[224:225]
	s_delay_alu instid0(VALU_DEP_1) | instskip(NEXT) | instid1(VALU_DEP_1)
	v_div_fmas_f64 v[212:213], v[212:213], v[220:221], v[222:223]
	v_div_fixup_f64 v[212:213], v[212:213], v[218:219], v[216:217]
	s_delay_alu instid0(VALU_DEP_1) | instskip(NEXT) | instid1(VALU_DEP_1)
	v_fma_f64 v[216:217], v[216:217], v[212:213], v[218:219]
	v_div_scale_f64 v[218:219], null, v[216:217], v[216:217], 1.0
	s_delay_alu instid0(VALU_DEP_1) | instskip(SKIP_2) | instid1(VALU_DEP_1)
	v_rcp_f64_e32 v[220:221], v[218:219]
	s_waitcnt_depctr 0xfff
	v_fma_f64 v[222:223], -v[218:219], v[220:221], 1.0
	v_fma_f64 v[220:221], v[220:221], v[222:223], v[220:221]
	s_delay_alu instid0(VALU_DEP_1) | instskip(NEXT) | instid1(VALU_DEP_1)
	v_fma_f64 v[222:223], -v[218:219], v[220:221], 1.0
	v_fma_f64 v[220:221], v[220:221], v[222:223], v[220:221]
	v_div_scale_f64 v[222:223], vcc_lo, 1.0, v[216:217], 1.0
	s_delay_alu instid0(VALU_DEP_1) | instskip(NEXT) | instid1(VALU_DEP_1)
	v_mul_f64 v[224:225], v[222:223], v[220:221]
	v_fma_f64 v[218:219], -v[218:219], v[224:225], v[222:223]
	s_delay_alu instid0(VALU_DEP_1) | instskip(NEXT) | instid1(VALU_DEP_1)
	v_div_fmas_f64 v[218:219], v[218:219], v[220:221], v[224:225]
	v_div_fixup_f64 v[222:223], v[218:219], v[216:217], 1.0
                                        ; implicit-def: $vgpr216_vgpr217
	s_delay_alu instid0(VALU_DEP_1)
	v_mul_f64 v[212:213], v[212:213], v[222:223]
	v_xor_b32_e32 v223, 0x80000000, v223
.LBB111_95:
	s_and_not1_saveexec_b32 s3, s3
	s_cbranch_execz .LBB111_97
; %bb.96:
	v_div_scale_f64 v[212:213], null, v[216:217], v[216:217], v[218:219]
	v_div_scale_f64 v[224:225], vcc_lo, v[218:219], v[216:217], v[218:219]
	s_delay_alu instid0(VALU_DEP_2) | instskip(SKIP_2) | instid1(VALU_DEP_1)
	v_rcp_f64_e32 v[220:221], v[212:213]
	s_waitcnt_depctr 0xfff
	v_fma_f64 v[222:223], -v[212:213], v[220:221], 1.0
	v_fma_f64 v[220:221], v[220:221], v[222:223], v[220:221]
	s_delay_alu instid0(VALU_DEP_1) | instskip(NEXT) | instid1(VALU_DEP_1)
	v_fma_f64 v[222:223], -v[212:213], v[220:221], 1.0
	v_fma_f64 v[220:221], v[220:221], v[222:223], v[220:221]
	s_delay_alu instid0(VALU_DEP_1) | instskip(NEXT) | instid1(VALU_DEP_1)
	v_mul_f64 v[222:223], v[224:225], v[220:221]
	v_fma_f64 v[212:213], -v[212:213], v[222:223], v[224:225]
	s_delay_alu instid0(VALU_DEP_1) | instskip(NEXT) | instid1(VALU_DEP_1)
	v_div_fmas_f64 v[212:213], v[212:213], v[220:221], v[222:223]
	v_div_fixup_f64 v[220:221], v[212:213], v[216:217], v[218:219]
	s_delay_alu instid0(VALU_DEP_1) | instskip(NEXT) | instid1(VALU_DEP_1)
	v_fma_f64 v[212:213], v[218:219], v[220:221], v[216:217]
	v_div_scale_f64 v[216:217], null, v[212:213], v[212:213], 1.0
	s_delay_alu instid0(VALU_DEP_1) | instskip(SKIP_2) | instid1(VALU_DEP_1)
	v_rcp_f64_e32 v[218:219], v[216:217]
	s_waitcnt_depctr 0xfff
	v_fma_f64 v[222:223], -v[216:217], v[218:219], 1.0
	v_fma_f64 v[218:219], v[218:219], v[222:223], v[218:219]
	s_delay_alu instid0(VALU_DEP_1) | instskip(NEXT) | instid1(VALU_DEP_1)
	v_fma_f64 v[222:223], -v[216:217], v[218:219], 1.0
	v_fma_f64 v[218:219], v[218:219], v[222:223], v[218:219]
	v_div_scale_f64 v[222:223], vcc_lo, 1.0, v[212:213], 1.0
	s_delay_alu instid0(VALU_DEP_1) | instskip(NEXT) | instid1(VALU_DEP_1)
	v_mul_f64 v[224:225], v[222:223], v[218:219]
	v_fma_f64 v[216:217], -v[216:217], v[224:225], v[222:223]
	s_delay_alu instid0(VALU_DEP_1) | instskip(NEXT) | instid1(VALU_DEP_1)
	v_div_fmas_f64 v[216:217], v[216:217], v[218:219], v[224:225]
	v_div_fixup_f64 v[212:213], v[216:217], v[212:213], 1.0
	s_delay_alu instid0(VALU_DEP_1)
	v_mul_f64 v[222:223], v[220:221], -v[212:213]
.LBB111_97:
	s_or_b32 exec_lo, exec_lo, s3
	ds_store_2addr_b64 v251, v[212:213], v[222:223] offset1:1
.LBB111_98:
	s_or_b32 exec_lo, exec_lo, s4
	s_waitcnt lgkmcnt(0)
	s_barrier
	buffer_gl0_inv
	ds_load_2addr_b64 v[208:211], v251 offset1:1
	s_mov_b32 s3, exec_lo
	s_waitcnt lgkmcnt(0)
	scratch_store_b128 off, v[208:211], off offset:664 ; 16-byte Folded Spill
	v_cmpx_lt_u32_e32 10, v248
	s_cbranch_execz .LBB111_100
; %bb.99:
	scratch_load_b128 v[208:211], off, off offset:664 ; 16-byte Folded Reload
	ds_load_2addr_b64 v[218:221], v214 offset0:22 offset1:23
	s_waitcnt vmcnt(0)
	v_mul_f64 v[212:213], v[210:211], v[182:183]
	v_mul_f64 v[182:183], v[208:209], v[182:183]
	s_delay_alu instid0(VALU_DEP_2) | instskip(NEXT) | instid1(VALU_DEP_2)
	v_fma_f64 v[216:217], v[208:209], v[180:181], -v[212:213]
	v_fma_f64 v[182:183], v[210:211], v[180:181], v[182:183]
	s_waitcnt lgkmcnt(0)
	s_delay_alu instid0(VALU_DEP_1) | instskip(SKIP_1) | instid1(VALU_DEP_2)
	v_mul_f64 v[180:181], v[220:221], v[182:183]
	v_mul_f64 v[212:213], v[218:219], v[182:183]
	v_fma_f64 v[180:181], v[218:219], v[216:217], -v[180:181]
	s_delay_alu instid0(VALU_DEP_2)
	v_fma_f64 v[212:213], v[220:221], v[216:217], v[212:213]
	ds_load_2addr_b64 v[218:221], v214 offset0:24 offset1:25
	v_add_f64 v[176:177], v[176:177], -v[180:181]
	v_add_f64 v[178:179], v[178:179], -v[212:213]
	s_waitcnt lgkmcnt(0)
	v_mul_f64 v[180:181], v[220:221], v[182:183]
	v_mul_f64 v[212:213], v[218:219], v[182:183]
	s_delay_alu instid0(VALU_DEP_2) | instskip(NEXT) | instid1(VALU_DEP_2)
	v_fma_f64 v[180:181], v[218:219], v[216:217], -v[180:181]
	v_fma_f64 v[212:213], v[220:221], v[216:217], v[212:213]
	ds_load_2addr_b64 v[218:221], v214 offset0:26 offset1:27
	v_add_f64 v[172:173], v[172:173], -v[180:181]
	v_add_f64 v[174:175], v[174:175], -v[212:213]
	s_waitcnt lgkmcnt(0)
	v_mul_f64 v[180:181], v[220:221], v[182:183]
	v_mul_f64 v[212:213], v[218:219], v[182:183]
	s_delay_alu instid0(VALU_DEP_2) | instskip(NEXT) | instid1(VALU_DEP_2)
	v_fma_f64 v[180:181], v[218:219], v[216:217], -v[180:181]
	;; [unrolled: 9-line block ×44, first 2 shown]
	v_fma_f64 v[212:213], v[220:221], v[216:217], v[212:213]
	s_delay_alu instid0(VALU_DEP_2) | instskip(NEXT) | instid1(VALU_DEP_2)
	v_add_f64 v[0:1], v[0:1], -v[180:181]
	v_add_f64 v[2:3], v[2:3], -v[212:213]
	v_dual_mov_b32 v180, v216 :: v_dual_mov_b32 v181, v217
.LBB111_100:
	s_or_b32 exec_lo, exec_lo, s3
	s_delay_alu instid0(SALU_CYCLE_1)
	s_mov_b32 s4, exec_lo
	s_waitcnt_vscnt null, 0x0
	s_barrier
	buffer_gl0_inv
	v_cmpx_eq_u32_e32 11, v248
	s_cbranch_execz .LBB111_107
; %bb.101:
	ds_store_2addr_b64 v251, v[176:177], v[178:179] offset1:1
	ds_store_2addr_b64 v214, v[172:173], v[174:175] offset0:24 offset1:25
	ds_store_2addr_b64 v214, v[168:169], v[170:171] offset0:26 offset1:27
	ds_store_2addr_b64 v214, v[164:165], v[166:167] offset0:28 offset1:29
	ds_store_2addr_b64 v214, v[160:161], v[162:163] offset0:30 offset1:31
	ds_store_2addr_b64 v214, v[156:157], v[158:159] offset0:32 offset1:33
	ds_store_2addr_b64 v214, v[152:153], v[154:155] offset0:34 offset1:35
	ds_store_2addr_b64 v214, v[148:149], v[150:151] offset0:36 offset1:37
	ds_store_2addr_b64 v214, v[144:145], v[146:147] offset0:38 offset1:39
	ds_store_2addr_b64 v214, v[140:141], v[142:143] offset0:40 offset1:41
	ds_store_2addr_b64 v214, v[136:137], v[138:139] offset0:42 offset1:43
	ds_store_2addr_b64 v214, v[132:133], v[134:135] offset0:44 offset1:45
	ds_store_2addr_b64 v214, v[128:129], v[130:131] offset0:46 offset1:47
	ds_store_2addr_b64 v214, v[124:125], v[126:127] offset0:48 offset1:49
	ds_store_2addr_b64 v214, v[120:121], v[122:123] offset0:50 offset1:51
	ds_store_2addr_b64 v214, v[116:117], v[118:119] offset0:52 offset1:53
	ds_store_2addr_b64 v214, v[112:113], v[114:115] offset0:54 offset1:55
	ds_store_2addr_b64 v214, v[108:109], v[110:111] offset0:56 offset1:57
	ds_store_2addr_b64 v214, v[104:105], v[106:107] offset0:58 offset1:59
	ds_store_2addr_b64 v214, v[100:101], v[102:103] offset0:60 offset1:61
	ds_store_2addr_b64 v214, v[96:97], v[98:99] offset0:62 offset1:63
	ds_store_2addr_b64 v214, v[92:93], v[94:95] offset0:64 offset1:65
	ds_store_2addr_b64 v214, v[88:89], v[90:91] offset0:66 offset1:67
	ds_store_2addr_b64 v214, v[84:85], v[86:87] offset0:68 offset1:69
	ds_store_2addr_b64 v214, v[80:81], v[82:83] offset0:70 offset1:71
	ds_store_2addr_b64 v214, v[76:77], v[78:79] offset0:72 offset1:73
	ds_store_2addr_b64 v214, v[72:73], v[74:75] offset0:74 offset1:75
	ds_store_2addr_b64 v214, v[68:69], v[70:71] offset0:76 offset1:77
	ds_store_2addr_b64 v214, v[64:65], v[66:67] offset0:78 offset1:79
	ds_store_2addr_b64 v214, v[60:61], v[62:63] offset0:80 offset1:81
	ds_store_2addr_b64 v214, v[56:57], v[58:59] offset0:82 offset1:83
	ds_store_2addr_b64 v214, v[52:53], v[54:55] offset0:84 offset1:85
	ds_store_2addr_b64 v214, v[48:49], v[50:51] offset0:86 offset1:87
	ds_store_2addr_b64 v214, v[44:45], v[46:47] offset0:88 offset1:89
	ds_store_2addr_b64 v214, v[40:41], v[42:43] offset0:90 offset1:91
	ds_store_2addr_b64 v214, v[36:37], v[38:39] offset0:92 offset1:93
	ds_store_2addr_b64 v214, v[32:33], v[34:35] offset0:94 offset1:95
	ds_store_2addr_b64 v214, v[28:29], v[30:31] offset0:96 offset1:97
	ds_store_2addr_b64 v214, v[24:25], v[26:27] offset0:98 offset1:99
	ds_store_2addr_b64 v214, v[20:21], v[22:23] offset0:100 offset1:101
	ds_store_2addr_b64 v214, v[16:17], v[18:19] offset0:102 offset1:103
	ds_store_2addr_b64 v214, v[12:13], v[14:15] offset0:104 offset1:105
	ds_store_2addr_b64 v214, v[8:9], v[10:11] offset0:106 offset1:107
	ds_store_2addr_b64 v214, v[4:5], v[6:7] offset0:108 offset1:109
	ds_store_2addr_b64 v214, v[0:1], v[2:3] offset0:110 offset1:111
	ds_load_2addr_b64 v[216:219], v251 offset1:1
	s_waitcnt lgkmcnt(0)
	v_cmp_neq_f64_e32 vcc_lo, 0, v[216:217]
	v_cmp_neq_f64_e64 s3, 0, v[218:219]
	s_delay_alu instid0(VALU_DEP_1) | instskip(NEXT) | instid1(SALU_CYCLE_1)
	s_or_b32 s3, vcc_lo, s3
	s_and_b32 exec_lo, exec_lo, s3
	s_cbranch_execz .LBB111_107
; %bb.102:
	v_cmp_gt_f64_e32 vcc_lo, 0, v[216:217]
	v_xor_b32_e32 v208, 0x80000000, v217
	s_delay_alu instid0(VALU_DEP_1) | instskip(SKIP_3) | instid1(VALU_DEP_1)
	v_cndmask_b32_e32 v213, v217, v208, vcc_lo
	v_cndmask_b32_e32 v212, v216, v216, vcc_lo
	v_cmp_gt_f64_e32 vcc_lo, 0, v[218:219]
	v_xor_b32_e32 v208, 0x80000000, v219
	v_dual_cndmask_b32 v220, v218, v218 :: v_dual_cndmask_b32 v221, v219, v208
	s_delay_alu instid0(VALU_DEP_1) | instskip(SKIP_1) | instid1(SALU_CYCLE_1)
	v_cmp_ngt_f64_e32 vcc_lo, v[212:213], v[220:221]
                                        ; implicit-def: $vgpr212_vgpr213
	s_and_saveexec_b32 s3, vcc_lo
	s_xor_b32 s3, exec_lo, s3
                                        ; implicit-def: $vgpr220_vgpr221_vgpr222_vgpr223
	s_cbranch_execz .LBB111_104
; %bb.103:
	v_div_scale_f64 v[212:213], null, v[218:219], v[218:219], v[216:217]
	v_div_scale_f64 v[224:225], vcc_lo, v[216:217], v[218:219], v[216:217]
	s_delay_alu instid0(VALU_DEP_2) | instskip(SKIP_2) | instid1(VALU_DEP_1)
	v_rcp_f64_e32 v[220:221], v[212:213]
	s_waitcnt_depctr 0xfff
	v_fma_f64 v[222:223], -v[212:213], v[220:221], 1.0
	v_fma_f64 v[220:221], v[220:221], v[222:223], v[220:221]
	s_delay_alu instid0(VALU_DEP_1) | instskip(NEXT) | instid1(VALU_DEP_1)
	v_fma_f64 v[222:223], -v[212:213], v[220:221], 1.0
	v_fma_f64 v[220:221], v[220:221], v[222:223], v[220:221]
	s_delay_alu instid0(VALU_DEP_1) | instskip(NEXT) | instid1(VALU_DEP_1)
	v_mul_f64 v[222:223], v[224:225], v[220:221]
	v_fma_f64 v[212:213], -v[212:213], v[222:223], v[224:225]
	s_delay_alu instid0(VALU_DEP_1) | instskip(NEXT) | instid1(VALU_DEP_1)
	v_div_fmas_f64 v[212:213], v[212:213], v[220:221], v[222:223]
	v_div_fixup_f64 v[212:213], v[212:213], v[218:219], v[216:217]
	s_delay_alu instid0(VALU_DEP_1) | instskip(NEXT) | instid1(VALU_DEP_1)
	v_fma_f64 v[216:217], v[216:217], v[212:213], v[218:219]
	v_div_scale_f64 v[218:219], null, v[216:217], v[216:217], 1.0
	s_delay_alu instid0(VALU_DEP_1) | instskip(SKIP_2) | instid1(VALU_DEP_1)
	v_rcp_f64_e32 v[220:221], v[218:219]
	s_waitcnt_depctr 0xfff
	v_fma_f64 v[222:223], -v[218:219], v[220:221], 1.0
	v_fma_f64 v[220:221], v[220:221], v[222:223], v[220:221]
	s_delay_alu instid0(VALU_DEP_1) | instskip(NEXT) | instid1(VALU_DEP_1)
	v_fma_f64 v[222:223], -v[218:219], v[220:221], 1.0
	v_fma_f64 v[220:221], v[220:221], v[222:223], v[220:221]
	v_div_scale_f64 v[222:223], vcc_lo, 1.0, v[216:217], 1.0
	s_delay_alu instid0(VALU_DEP_1) | instskip(NEXT) | instid1(VALU_DEP_1)
	v_mul_f64 v[224:225], v[222:223], v[220:221]
	v_fma_f64 v[218:219], -v[218:219], v[224:225], v[222:223]
	s_delay_alu instid0(VALU_DEP_1) | instskip(NEXT) | instid1(VALU_DEP_1)
	v_div_fmas_f64 v[218:219], v[218:219], v[220:221], v[224:225]
	v_div_fixup_f64 v[222:223], v[218:219], v[216:217], 1.0
                                        ; implicit-def: $vgpr216_vgpr217
	s_delay_alu instid0(VALU_DEP_1)
	v_mul_f64 v[212:213], v[212:213], v[222:223]
	v_xor_b32_e32 v223, 0x80000000, v223
.LBB111_104:
	s_and_not1_saveexec_b32 s3, s3
	s_cbranch_execz .LBB111_106
; %bb.105:
	v_div_scale_f64 v[212:213], null, v[216:217], v[216:217], v[218:219]
	v_div_scale_f64 v[224:225], vcc_lo, v[218:219], v[216:217], v[218:219]
	s_delay_alu instid0(VALU_DEP_2) | instskip(SKIP_2) | instid1(VALU_DEP_1)
	v_rcp_f64_e32 v[220:221], v[212:213]
	s_waitcnt_depctr 0xfff
	v_fma_f64 v[222:223], -v[212:213], v[220:221], 1.0
	v_fma_f64 v[220:221], v[220:221], v[222:223], v[220:221]
	s_delay_alu instid0(VALU_DEP_1) | instskip(NEXT) | instid1(VALU_DEP_1)
	v_fma_f64 v[222:223], -v[212:213], v[220:221], 1.0
	v_fma_f64 v[220:221], v[220:221], v[222:223], v[220:221]
	s_delay_alu instid0(VALU_DEP_1) | instskip(NEXT) | instid1(VALU_DEP_1)
	v_mul_f64 v[222:223], v[224:225], v[220:221]
	v_fma_f64 v[212:213], -v[212:213], v[222:223], v[224:225]
	s_delay_alu instid0(VALU_DEP_1) | instskip(NEXT) | instid1(VALU_DEP_1)
	v_div_fmas_f64 v[212:213], v[212:213], v[220:221], v[222:223]
	v_div_fixup_f64 v[220:221], v[212:213], v[216:217], v[218:219]
	s_delay_alu instid0(VALU_DEP_1) | instskip(NEXT) | instid1(VALU_DEP_1)
	v_fma_f64 v[212:213], v[218:219], v[220:221], v[216:217]
	v_div_scale_f64 v[216:217], null, v[212:213], v[212:213], 1.0
	s_delay_alu instid0(VALU_DEP_1) | instskip(SKIP_2) | instid1(VALU_DEP_1)
	v_rcp_f64_e32 v[218:219], v[216:217]
	s_waitcnt_depctr 0xfff
	v_fma_f64 v[222:223], -v[216:217], v[218:219], 1.0
	v_fma_f64 v[218:219], v[218:219], v[222:223], v[218:219]
	s_delay_alu instid0(VALU_DEP_1) | instskip(NEXT) | instid1(VALU_DEP_1)
	v_fma_f64 v[222:223], -v[216:217], v[218:219], 1.0
	v_fma_f64 v[218:219], v[218:219], v[222:223], v[218:219]
	v_div_scale_f64 v[222:223], vcc_lo, 1.0, v[212:213], 1.0
	s_delay_alu instid0(VALU_DEP_1) | instskip(NEXT) | instid1(VALU_DEP_1)
	v_mul_f64 v[224:225], v[222:223], v[218:219]
	v_fma_f64 v[216:217], -v[216:217], v[224:225], v[222:223]
	s_delay_alu instid0(VALU_DEP_1) | instskip(NEXT) | instid1(VALU_DEP_1)
	v_div_fmas_f64 v[216:217], v[216:217], v[218:219], v[224:225]
	v_div_fixup_f64 v[212:213], v[216:217], v[212:213], 1.0
	s_delay_alu instid0(VALU_DEP_1)
	v_mul_f64 v[222:223], v[220:221], -v[212:213]
.LBB111_106:
	s_or_b32 exec_lo, exec_lo, s3
	ds_store_2addr_b64 v251, v[212:213], v[222:223] offset1:1
.LBB111_107:
	s_or_b32 exec_lo, exec_lo, s4
	s_waitcnt lgkmcnt(0)
	s_barrier
	buffer_gl0_inv
	ds_load_2addr_b64 v[208:211], v251 offset1:1
	s_mov_b32 s3, exec_lo
	s_waitcnt lgkmcnt(0)
	scratch_store_b128 off, v[208:211], off offset:680 ; 16-byte Folded Spill
	v_cmpx_lt_u32_e32 11, v248
	s_cbranch_execz .LBB111_109
; %bb.108:
	scratch_load_b128 v[208:211], off, off offset:680 ; 16-byte Folded Reload
	ds_load_2addr_b64 v[218:221], v214 offset0:24 offset1:25
	s_waitcnt vmcnt(0)
	v_mul_f64 v[212:213], v[210:211], v[178:179]
	v_mul_f64 v[178:179], v[208:209], v[178:179]
	s_delay_alu instid0(VALU_DEP_2) | instskip(NEXT) | instid1(VALU_DEP_2)
	v_fma_f64 v[216:217], v[208:209], v[176:177], -v[212:213]
	v_fma_f64 v[178:179], v[210:211], v[176:177], v[178:179]
	s_waitcnt lgkmcnt(0)
	s_delay_alu instid0(VALU_DEP_1) | instskip(SKIP_1) | instid1(VALU_DEP_2)
	v_mul_f64 v[176:177], v[220:221], v[178:179]
	v_mul_f64 v[212:213], v[218:219], v[178:179]
	v_fma_f64 v[176:177], v[218:219], v[216:217], -v[176:177]
	s_delay_alu instid0(VALU_DEP_2)
	v_fma_f64 v[212:213], v[220:221], v[216:217], v[212:213]
	ds_load_2addr_b64 v[218:221], v214 offset0:26 offset1:27
	v_add_f64 v[172:173], v[172:173], -v[176:177]
	v_add_f64 v[174:175], v[174:175], -v[212:213]
	s_waitcnt lgkmcnt(0)
	v_mul_f64 v[176:177], v[220:221], v[178:179]
	v_mul_f64 v[212:213], v[218:219], v[178:179]
	s_delay_alu instid0(VALU_DEP_2) | instskip(NEXT) | instid1(VALU_DEP_2)
	v_fma_f64 v[176:177], v[218:219], v[216:217], -v[176:177]
	v_fma_f64 v[212:213], v[220:221], v[216:217], v[212:213]
	ds_load_2addr_b64 v[218:221], v214 offset0:28 offset1:29
	v_add_f64 v[168:169], v[168:169], -v[176:177]
	v_add_f64 v[170:171], v[170:171], -v[212:213]
	s_waitcnt lgkmcnt(0)
	v_mul_f64 v[176:177], v[220:221], v[178:179]
	v_mul_f64 v[212:213], v[218:219], v[178:179]
	s_delay_alu instid0(VALU_DEP_2) | instskip(NEXT) | instid1(VALU_DEP_2)
	v_fma_f64 v[176:177], v[218:219], v[216:217], -v[176:177]
	;; [unrolled: 9-line block ×43, first 2 shown]
	v_fma_f64 v[212:213], v[220:221], v[216:217], v[212:213]
	s_delay_alu instid0(VALU_DEP_2) | instskip(NEXT) | instid1(VALU_DEP_2)
	v_add_f64 v[0:1], v[0:1], -v[176:177]
	v_add_f64 v[2:3], v[2:3], -v[212:213]
	v_dual_mov_b32 v176, v216 :: v_dual_mov_b32 v177, v217
.LBB111_109:
	s_or_b32 exec_lo, exec_lo, s3
	s_delay_alu instid0(SALU_CYCLE_1)
	s_mov_b32 s4, exec_lo
	s_waitcnt_vscnt null, 0x0
	s_barrier
	buffer_gl0_inv
	v_cmpx_eq_u32_e32 12, v248
	s_cbranch_execz .LBB111_116
; %bb.110:
	ds_store_2addr_b64 v251, v[172:173], v[174:175] offset1:1
	ds_store_2addr_b64 v214, v[168:169], v[170:171] offset0:26 offset1:27
	ds_store_2addr_b64 v214, v[164:165], v[166:167] offset0:28 offset1:29
	;; [unrolled: 1-line block ×43, first 2 shown]
	ds_load_2addr_b64 v[216:219], v251 offset1:1
	s_waitcnt lgkmcnt(0)
	v_cmp_neq_f64_e32 vcc_lo, 0, v[216:217]
	v_cmp_neq_f64_e64 s3, 0, v[218:219]
	s_delay_alu instid0(VALU_DEP_1) | instskip(NEXT) | instid1(SALU_CYCLE_1)
	s_or_b32 s3, vcc_lo, s3
	s_and_b32 exec_lo, exec_lo, s3
	s_cbranch_execz .LBB111_116
; %bb.111:
	v_cmp_gt_f64_e32 vcc_lo, 0, v[216:217]
	v_xor_b32_e32 v208, 0x80000000, v217
	s_delay_alu instid0(VALU_DEP_1) | instskip(SKIP_3) | instid1(VALU_DEP_1)
	v_cndmask_b32_e32 v213, v217, v208, vcc_lo
	v_cndmask_b32_e32 v212, v216, v216, vcc_lo
	v_cmp_gt_f64_e32 vcc_lo, 0, v[218:219]
	v_xor_b32_e32 v208, 0x80000000, v219
	v_dual_cndmask_b32 v220, v218, v218 :: v_dual_cndmask_b32 v221, v219, v208
	s_delay_alu instid0(VALU_DEP_1) | instskip(SKIP_1) | instid1(SALU_CYCLE_1)
	v_cmp_ngt_f64_e32 vcc_lo, v[212:213], v[220:221]
                                        ; implicit-def: $vgpr212_vgpr213
	s_and_saveexec_b32 s3, vcc_lo
	s_xor_b32 s3, exec_lo, s3
                                        ; implicit-def: $vgpr220_vgpr221_vgpr222_vgpr223
	s_cbranch_execz .LBB111_113
; %bb.112:
	v_div_scale_f64 v[212:213], null, v[218:219], v[218:219], v[216:217]
	v_div_scale_f64 v[224:225], vcc_lo, v[216:217], v[218:219], v[216:217]
	s_delay_alu instid0(VALU_DEP_2) | instskip(SKIP_2) | instid1(VALU_DEP_1)
	v_rcp_f64_e32 v[220:221], v[212:213]
	s_waitcnt_depctr 0xfff
	v_fma_f64 v[222:223], -v[212:213], v[220:221], 1.0
	v_fma_f64 v[220:221], v[220:221], v[222:223], v[220:221]
	s_delay_alu instid0(VALU_DEP_1) | instskip(NEXT) | instid1(VALU_DEP_1)
	v_fma_f64 v[222:223], -v[212:213], v[220:221], 1.0
	v_fma_f64 v[220:221], v[220:221], v[222:223], v[220:221]
	s_delay_alu instid0(VALU_DEP_1) | instskip(NEXT) | instid1(VALU_DEP_1)
	v_mul_f64 v[222:223], v[224:225], v[220:221]
	v_fma_f64 v[212:213], -v[212:213], v[222:223], v[224:225]
	s_delay_alu instid0(VALU_DEP_1) | instskip(NEXT) | instid1(VALU_DEP_1)
	v_div_fmas_f64 v[212:213], v[212:213], v[220:221], v[222:223]
	v_div_fixup_f64 v[212:213], v[212:213], v[218:219], v[216:217]
	s_delay_alu instid0(VALU_DEP_1) | instskip(NEXT) | instid1(VALU_DEP_1)
	v_fma_f64 v[216:217], v[216:217], v[212:213], v[218:219]
	v_div_scale_f64 v[218:219], null, v[216:217], v[216:217], 1.0
	s_delay_alu instid0(VALU_DEP_1) | instskip(SKIP_2) | instid1(VALU_DEP_1)
	v_rcp_f64_e32 v[220:221], v[218:219]
	s_waitcnt_depctr 0xfff
	v_fma_f64 v[222:223], -v[218:219], v[220:221], 1.0
	v_fma_f64 v[220:221], v[220:221], v[222:223], v[220:221]
	s_delay_alu instid0(VALU_DEP_1) | instskip(NEXT) | instid1(VALU_DEP_1)
	v_fma_f64 v[222:223], -v[218:219], v[220:221], 1.0
	v_fma_f64 v[220:221], v[220:221], v[222:223], v[220:221]
	v_div_scale_f64 v[222:223], vcc_lo, 1.0, v[216:217], 1.0
	s_delay_alu instid0(VALU_DEP_1) | instskip(NEXT) | instid1(VALU_DEP_1)
	v_mul_f64 v[224:225], v[222:223], v[220:221]
	v_fma_f64 v[218:219], -v[218:219], v[224:225], v[222:223]
	s_delay_alu instid0(VALU_DEP_1) | instskip(NEXT) | instid1(VALU_DEP_1)
	v_div_fmas_f64 v[218:219], v[218:219], v[220:221], v[224:225]
	v_div_fixup_f64 v[222:223], v[218:219], v[216:217], 1.0
                                        ; implicit-def: $vgpr216_vgpr217
	s_delay_alu instid0(VALU_DEP_1)
	v_mul_f64 v[212:213], v[212:213], v[222:223]
	v_xor_b32_e32 v223, 0x80000000, v223
.LBB111_113:
	s_and_not1_saveexec_b32 s3, s3
	s_cbranch_execz .LBB111_115
; %bb.114:
	v_div_scale_f64 v[212:213], null, v[216:217], v[216:217], v[218:219]
	v_div_scale_f64 v[224:225], vcc_lo, v[218:219], v[216:217], v[218:219]
	s_delay_alu instid0(VALU_DEP_2) | instskip(SKIP_2) | instid1(VALU_DEP_1)
	v_rcp_f64_e32 v[220:221], v[212:213]
	s_waitcnt_depctr 0xfff
	v_fma_f64 v[222:223], -v[212:213], v[220:221], 1.0
	v_fma_f64 v[220:221], v[220:221], v[222:223], v[220:221]
	s_delay_alu instid0(VALU_DEP_1) | instskip(NEXT) | instid1(VALU_DEP_1)
	v_fma_f64 v[222:223], -v[212:213], v[220:221], 1.0
	v_fma_f64 v[220:221], v[220:221], v[222:223], v[220:221]
	s_delay_alu instid0(VALU_DEP_1) | instskip(NEXT) | instid1(VALU_DEP_1)
	v_mul_f64 v[222:223], v[224:225], v[220:221]
	v_fma_f64 v[212:213], -v[212:213], v[222:223], v[224:225]
	s_delay_alu instid0(VALU_DEP_1) | instskip(NEXT) | instid1(VALU_DEP_1)
	v_div_fmas_f64 v[212:213], v[212:213], v[220:221], v[222:223]
	v_div_fixup_f64 v[220:221], v[212:213], v[216:217], v[218:219]
	s_delay_alu instid0(VALU_DEP_1) | instskip(NEXT) | instid1(VALU_DEP_1)
	v_fma_f64 v[212:213], v[218:219], v[220:221], v[216:217]
	v_div_scale_f64 v[216:217], null, v[212:213], v[212:213], 1.0
	s_delay_alu instid0(VALU_DEP_1) | instskip(SKIP_2) | instid1(VALU_DEP_1)
	v_rcp_f64_e32 v[218:219], v[216:217]
	s_waitcnt_depctr 0xfff
	v_fma_f64 v[222:223], -v[216:217], v[218:219], 1.0
	v_fma_f64 v[218:219], v[218:219], v[222:223], v[218:219]
	s_delay_alu instid0(VALU_DEP_1) | instskip(NEXT) | instid1(VALU_DEP_1)
	v_fma_f64 v[222:223], -v[216:217], v[218:219], 1.0
	v_fma_f64 v[218:219], v[218:219], v[222:223], v[218:219]
	v_div_scale_f64 v[222:223], vcc_lo, 1.0, v[212:213], 1.0
	s_delay_alu instid0(VALU_DEP_1) | instskip(NEXT) | instid1(VALU_DEP_1)
	v_mul_f64 v[224:225], v[222:223], v[218:219]
	v_fma_f64 v[216:217], -v[216:217], v[224:225], v[222:223]
	s_delay_alu instid0(VALU_DEP_1) | instskip(NEXT) | instid1(VALU_DEP_1)
	v_div_fmas_f64 v[216:217], v[216:217], v[218:219], v[224:225]
	v_div_fixup_f64 v[212:213], v[216:217], v[212:213], 1.0
	s_delay_alu instid0(VALU_DEP_1)
	v_mul_f64 v[222:223], v[220:221], -v[212:213]
.LBB111_115:
	s_or_b32 exec_lo, exec_lo, s3
	ds_store_2addr_b64 v251, v[212:213], v[222:223] offset1:1
.LBB111_116:
	s_or_b32 exec_lo, exec_lo, s4
	s_waitcnt lgkmcnt(0)
	s_barrier
	buffer_gl0_inv
	ds_load_2addr_b64 v[208:211], v251 offset1:1
	s_mov_b32 s3, exec_lo
	s_waitcnt lgkmcnt(0)
	scratch_store_b128 off, v[208:211], off offset:696 ; 16-byte Folded Spill
	v_cmpx_lt_u32_e32 12, v248
	s_cbranch_execz .LBB111_118
; %bb.117:
	scratch_load_b128 v[208:211], off, off offset:696 ; 16-byte Folded Reload
	ds_load_2addr_b64 v[218:221], v214 offset0:26 offset1:27
	s_waitcnt vmcnt(0)
	v_mul_f64 v[212:213], v[210:211], v[174:175]
	v_mul_f64 v[174:175], v[208:209], v[174:175]
	s_delay_alu instid0(VALU_DEP_2) | instskip(NEXT) | instid1(VALU_DEP_2)
	v_fma_f64 v[216:217], v[208:209], v[172:173], -v[212:213]
	v_fma_f64 v[174:175], v[210:211], v[172:173], v[174:175]
	s_waitcnt lgkmcnt(0)
	s_delay_alu instid0(VALU_DEP_1) | instskip(SKIP_1) | instid1(VALU_DEP_2)
	v_mul_f64 v[172:173], v[220:221], v[174:175]
	v_mul_f64 v[212:213], v[218:219], v[174:175]
	v_fma_f64 v[172:173], v[218:219], v[216:217], -v[172:173]
	s_delay_alu instid0(VALU_DEP_2)
	v_fma_f64 v[212:213], v[220:221], v[216:217], v[212:213]
	ds_load_2addr_b64 v[218:221], v214 offset0:28 offset1:29
	v_add_f64 v[168:169], v[168:169], -v[172:173]
	v_add_f64 v[170:171], v[170:171], -v[212:213]
	s_waitcnt lgkmcnt(0)
	v_mul_f64 v[172:173], v[220:221], v[174:175]
	v_mul_f64 v[212:213], v[218:219], v[174:175]
	s_delay_alu instid0(VALU_DEP_2) | instskip(NEXT) | instid1(VALU_DEP_2)
	v_fma_f64 v[172:173], v[218:219], v[216:217], -v[172:173]
	v_fma_f64 v[212:213], v[220:221], v[216:217], v[212:213]
	ds_load_2addr_b64 v[218:221], v214 offset0:30 offset1:31
	v_add_f64 v[164:165], v[164:165], -v[172:173]
	v_add_f64 v[166:167], v[166:167], -v[212:213]
	s_waitcnt lgkmcnt(0)
	v_mul_f64 v[172:173], v[220:221], v[174:175]
	v_mul_f64 v[212:213], v[218:219], v[174:175]
	s_delay_alu instid0(VALU_DEP_2) | instskip(NEXT) | instid1(VALU_DEP_2)
	v_fma_f64 v[172:173], v[218:219], v[216:217], -v[172:173]
	;; [unrolled: 9-line block ×42, first 2 shown]
	v_fma_f64 v[212:213], v[220:221], v[216:217], v[212:213]
	s_delay_alu instid0(VALU_DEP_2) | instskip(NEXT) | instid1(VALU_DEP_2)
	v_add_f64 v[0:1], v[0:1], -v[172:173]
	v_add_f64 v[2:3], v[2:3], -v[212:213]
	v_dual_mov_b32 v172, v216 :: v_dual_mov_b32 v173, v217
.LBB111_118:
	s_or_b32 exec_lo, exec_lo, s3
	s_delay_alu instid0(SALU_CYCLE_1)
	s_mov_b32 s4, exec_lo
	s_waitcnt_vscnt null, 0x0
	s_barrier
	buffer_gl0_inv
	v_cmpx_eq_u32_e32 13, v248
	s_cbranch_execz .LBB111_125
; %bb.119:
	ds_store_2addr_b64 v251, v[168:169], v[170:171] offset1:1
	ds_store_2addr_b64 v214, v[164:165], v[166:167] offset0:28 offset1:29
	ds_store_2addr_b64 v214, v[160:161], v[162:163] offset0:30 offset1:31
	;; [unrolled: 1-line block ×42, first 2 shown]
	ds_load_2addr_b64 v[216:219], v251 offset1:1
	s_waitcnt lgkmcnt(0)
	v_cmp_neq_f64_e32 vcc_lo, 0, v[216:217]
	v_cmp_neq_f64_e64 s3, 0, v[218:219]
	s_delay_alu instid0(VALU_DEP_1) | instskip(NEXT) | instid1(SALU_CYCLE_1)
	s_or_b32 s3, vcc_lo, s3
	s_and_b32 exec_lo, exec_lo, s3
	s_cbranch_execz .LBB111_125
; %bb.120:
	v_cmp_gt_f64_e32 vcc_lo, 0, v[216:217]
	v_xor_b32_e32 v208, 0x80000000, v217
	s_delay_alu instid0(VALU_DEP_1) | instskip(SKIP_3) | instid1(VALU_DEP_1)
	v_cndmask_b32_e32 v213, v217, v208, vcc_lo
	v_cndmask_b32_e32 v212, v216, v216, vcc_lo
	v_cmp_gt_f64_e32 vcc_lo, 0, v[218:219]
	v_xor_b32_e32 v208, 0x80000000, v219
	v_dual_cndmask_b32 v220, v218, v218 :: v_dual_cndmask_b32 v221, v219, v208
	s_delay_alu instid0(VALU_DEP_1) | instskip(SKIP_1) | instid1(SALU_CYCLE_1)
	v_cmp_ngt_f64_e32 vcc_lo, v[212:213], v[220:221]
                                        ; implicit-def: $vgpr212_vgpr213
	s_and_saveexec_b32 s3, vcc_lo
	s_xor_b32 s3, exec_lo, s3
                                        ; implicit-def: $vgpr220_vgpr221_vgpr222_vgpr223
	s_cbranch_execz .LBB111_122
; %bb.121:
	v_div_scale_f64 v[212:213], null, v[218:219], v[218:219], v[216:217]
	v_div_scale_f64 v[224:225], vcc_lo, v[216:217], v[218:219], v[216:217]
	s_delay_alu instid0(VALU_DEP_2) | instskip(SKIP_2) | instid1(VALU_DEP_1)
	v_rcp_f64_e32 v[220:221], v[212:213]
	s_waitcnt_depctr 0xfff
	v_fma_f64 v[222:223], -v[212:213], v[220:221], 1.0
	v_fma_f64 v[220:221], v[220:221], v[222:223], v[220:221]
	s_delay_alu instid0(VALU_DEP_1) | instskip(NEXT) | instid1(VALU_DEP_1)
	v_fma_f64 v[222:223], -v[212:213], v[220:221], 1.0
	v_fma_f64 v[220:221], v[220:221], v[222:223], v[220:221]
	s_delay_alu instid0(VALU_DEP_1) | instskip(NEXT) | instid1(VALU_DEP_1)
	v_mul_f64 v[222:223], v[224:225], v[220:221]
	v_fma_f64 v[212:213], -v[212:213], v[222:223], v[224:225]
	s_delay_alu instid0(VALU_DEP_1) | instskip(NEXT) | instid1(VALU_DEP_1)
	v_div_fmas_f64 v[212:213], v[212:213], v[220:221], v[222:223]
	v_div_fixup_f64 v[212:213], v[212:213], v[218:219], v[216:217]
	s_delay_alu instid0(VALU_DEP_1) | instskip(NEXT) | instid1(VALU_DEP_1)
	v_fma_f64 v[216:217], v[216:217], v[212:213], v[218:219]
	v_div_scale_f64 v[218:219], null, v[216:217], v[216:217], 1.0
	s_delay_alu instid0(VALU_DEP_1) | instskip(SKIP_2) | instid1(VALU_DEP_1)
	v_rcp_f64_e32 v[220:221], v[218:219]
	s_waitcnt_depctr 0xfff
	v_fma_f64 v[222:223], -v[218:219], v[220:221], 1.0
	v_fma_f64 v[220:221], v[220:221], v[222:223], v[220:221]
	s_delay_alu instid0(VALU_DEP_1) | instskip(NEXT) | instid1(VALU_DEP_1)
	v_fma_f64 v[222:223], -v[218:219], v[220:221], 1.0
	v_fma_f64 v[220:221], v[220:221], v[222:223], v[220:221]
	v_div_scale_f64 v[222:223], vcc_lo, 1.0, v[216:217], 1.0
	s_delay_alu instid0(VALU_DEP_1) | instskip(NEXT) | instid1(VALU_DEP_1)
	v_mul_f64 v[224:225], v[222:223], v[220:221]
	v_fma_f64 v[218:219], -v[218:219], v[224:225], v[222:223]
	s_delay_alu instid0(VALU_DEP_1) | instskip(NEXT) | instid1(VALU_DEP_1)
	v_div_fmas_f64 v[218:219], v[218:219], v[220:221], v[224:225]
	v_div_fixup_f64 v[222:223], v[218:219], v[216:217], 1.0
                                        ; implicit-def: $vgpr216_vgpr217
	s_delay_alu instid0(VALU_DEP_1)
	v_mul_f64 v[212:213], v[212:213], v[222:223]
	v_xor_b32_e32 v223, 0x80000000, v223
.LBB111_122:
	s_and_not1_saveexec_b32 s3, s3
	s_cbranch_execz .LBB111_124
; %bb.123:
	v_div_scale_f64 v[212:213], null, v[216:217], v[216:217], v[218:219]
	v_div_scale_f64 v[224:225], vcc_lo, v[218:219], v[216:217], v[218:219]
	s_delay_alu instid0(VALU_DEP_2) | instskip(SKIP_2) | instid1(VALU_DEP_1)
	v_rcp_f64_e32 v[220:221], v[212:213]
	s_waitcnt_depctr 0xfff
	v_fma_f64 v[222:223], -v[212:213], v[220:221], 1.0
	v_fma_f64 v[220:221], v[220:221], v[222:223], v[220:221]
	s_delay_alu instid0(VALU_DEP_1) | instskip(NEXT) | instid1(VALU_DEP_1)
	v_fma_f64 v[222:223], -v[212:213], v[220:221], 1.0
	v_fma_f64 v[220:221], v[220:221], v[222:223], v[220:221]
	s_delay_alu instid0(VALU_DEP_1) | instskip(NEXT) | instid1(VALU_DEP_1)
	v_mul_f64 v[222:223], v[224:225], v[220:221]
	v_fma_f64 v[212:213], -v[212:213], v[222:223], v[224:225]
	s_delay_alu instid0(VALU_DEP_1) | instskip(NEXT) | instid1(VALU_DEP_1)
	v_div_fmas_f64 v[212:213], v[212:213], v[220:221], v[222:223]
	v_div_fixup_f64 v[220:221], v[212:213], v[216:217], v[218:219]
	s_delay_alu instid0(VALU_DEP_1) | instskip(NEXT) | instid1(VALU_DEP_1)
	v_fma_f64 v[212:213], v[218:219], v[220:221], v[216:217]
	v_div_scale_f64 v[216:217], null, v[212:213], v[212:213], 1.0
	s_delay_alu instid0(VALU_DEP_1) | instskip(SKIP_2) | instid1(VALU_DEP_1)
	v_rcp_f64_e32 v[218:219], v[216:217]
	s_waitcnt_depctr 0xfff
	v_fma_f64 v[222:223], -v[216:217], v[218:219], 1.0
	v_fma_f64 v[218:219], v[218:219], v[222:223], v[218:219]
	s_delay_alu instid0(VALU_DEP_1) | instskip(NEXT) | instid1(VALU_DEP_1)
	v_fma_f64 v[222:223], -v[216:217], v[218:219], 1.0
	v_fma_f64 v[218:219], v[218:219], v[222:223], v[218:219]
	v_div_scale_f64 v[222:223], vcc_lo, 1.0, v[212:213], 1.0
	s_delay_alu instid0(VALU_DEP_1) | instskip(NEXT) | instid1(VALU_DEP_1)
	v_mul_f64 v[224:225], v[222:223], v[218:219]
	v_fma_f64 v[216:217], -v[216:217], v[224:225], v[222:223]
	s_delay_alu instid0(VALU_DEP_1) | instskip(NEXT) | instid1(VALU_DEP_1)
	v_div_fmas_f64 v[216:217], v[216:217], v[218:219], v[224:225]
	v_div_fixup_f64 v[212:213], v[216:217], v[212:213], 1.0
	s_delay_alu instid0(VALU_DEP_1)
	v_mul_f64 v[222:223], v[220:221], -v[212:213]
.LBB111_124:
	s_or_b32 exec_lo, exec_lo, s3
	ds_store_2addr_b64 v251, v[212:213], v[222:223] offset1:1
.LBB111_125:
	s_or_b32 exec_lo, exec_lo, s4
	s_waitcnt lgkmcnt(0)
	s_barrier
	buffer_gl0_inv
	ds_load_2addr_b64 v[208:211], v251 offset1:1
	s_mov_b32 s3, exec_lo
	s_waitcnt lgkmcnt(0)
	scratch_store_b128 off, v[208:211], off offset:712 ; 16-byte Folded Spill
	v_cmpx_lt_u32_e32 13, v248
	s_cbranch_execz .LBB111_127
; %bb.126:
	scratch_load_b128 v[208:211], off, off offset:712 ; 16-byte Folded Reload
	ds_load_2addr_b64 v[218:221], v214 offset0:28 offset1:29
	s_waitcnt vmcnt(0)
	v_mul_f64 v[212:213], v[210:211], v[170:171]
	v_mul_f64 v[170:171], v[208:209], v[170:171]
	s_delay_alu instid0(VALU_DEP_2) | instskip(NEXT) | instid1(VALU_DEP_2)
	v_fma_f64 v[216:217], v[208:209], v[168:169], -v[212:213]
	v_fma_f64 v[170:171], v[210:211], v[168:169], v[170:171]
	s_waitcnt lgkmcnt(0)
	s_delay_alu instid0(VALU_DEP_1) | instskip(SKIP_1) | instid1(VALU_DEP_2)
	v_mul_f64 v[168:169], v[220:221], v[170:171]
	v_mul_f64 v[212:213], v[218:219], v[170:171]
	v_fma_f64 v[168:169], v[218:219], v[216:217], -v[168:169]
	s_delay_alu instid0(VALU_DEP_2)
	v_fma_f64 v[212:213], v[220:221], v[216:217], v[212:213]
	ds_load_2addr_b64 v[218:221], v214 offset0:30 offset1:31
	v_add_f64 v[164:165], v[164:165], -v[168:169]
	v_add_f64 v[166:167], v[166:167], -v[212:213]
	s_waitcnt lgkmcnt(0)
	v_mul_f64 v[168:169], v[220:221], v[170:171]
	v_mul_f64 v[212:213], v[218:219], v[170:171]
	s_delay_alu instid0(VALU_DEP_2) | instskip(NEXT) | instid1(VALU_DEP_2)
	v_fma_f64 v[168:169], v[218:219], v[216:217], -v[168:169]
	v_fma_f64 v[212:213], v[220:221], v[216:217], v[212:213]
	ds_load_2addr_b64 v[218:221], v214 offset0:32 offset1:33
	v_add_f64 v[160:161], v[160:161], -v[168:169]
	v_add_f64 v[162:163], v[162:163], -v[212:213]
	s_waitcnt lgkmcnt(0)
	v_mul_f64 v[168:169], v[220:221], v[170:171]
	v_mul_f64 v[212:213], v[218:219], v[170:171]
	s_delay_alu instid0(VALU_DEP_2) | instskip(NEXT) | instid1(VALU_DEP_2)
	v_fma_f64 v[168:169], v[218:219], v[216:217], -v[168:169]
	;; [unrolled: 9-line block ×41, first 2 shown]
	v_fma_f64 v[212:213], v[220:221], v[216:217], v[212:213]
	s_delay_alu instid0(VALU_DEP_2) | instskip(NEXT) | instid1(VALU_DEP_2)
	v_add_f64 v[0:1], v[0:1], -v[168:169]
	v_add_f64 v[2:3], v[2:3], -v[212:213]
	v_dual_mov_b32 v168, v216 :: v_dual_mov_b32 v169, v217
.LBB111_127:
	s_or_b32 exec_lo, exec_lo, s3
	s_delay_alu instid0(SALU_CYCLE_1)
	s_mov_b32 s4, exec_lo
	s_waitcnt_vscnt null, 0x0
	s_barrier
	buffer_gl0_inv
	v_cmpx_eq_u32_e32 14, v248
	s_cbranch_execz .LBB111_134
; %bb.128:
	ds_store_2addr_b64 v251, v[164:165], v[166:167] offset1:1
	ds_store_2addr_b64 v214, v[160:161], v[162:163] offset0:30 offset1:31
	ds_store_2addr_b64 v214, v[156:157], v[158:159] offset0:32 offset1:33
	;; [unrolled: 1-line block ×41, first 2 shown]
	ds_load_2addr_b64 v[216:219], v251 offset1:1
	s_waitcnt lgkmcnt(0)
	v_cmp_neq_f64_e32 vcc_lo, 0, v[216:217]
	v_cmp_neq_f64_e64 s3, 0, v[218:219]
	s_delay_alu instid0(VALU_DEP_1) | instskip(NEXT) | instid1(SALU_CYCLE_1)
	s_or_b32 s3, vcc_lo, s3
	s_and_b32 exec_lo, exec_lo, s3
	s_cbranch_execz .LBB111_134
; %bb.129:
	v_cmp_gt_f64_e32 vcc_lo, 0, v[216:217]
	v_xor_b32_e32 v208, 0x80000000, v217
	s_delay_alu instid0(VALU_DEP_1) | instskip(SKIP_3) | instid1(VALU_DEP_1)
	v_cndmask_b32_e32 v213, v217, v208, vcc_lo
	v_cndmask_b32_e32 v212, v216, v216, vcc_lo
	v_cmp_gt_f64_e32 vcc_lo, 0, v[218:219]
	v_xor_b32_e32 v208, 0x80000000, v219
	v_dual_cndmask_b32 v220, v218, v218 :: v_dual_cndmask_b32 v221, v219, v208
	s_delay_alu instid0(VALU_DEP_1) | instskip(SKIP_1) | instid1(SALU_CYCLE_1)
	v_cmp_ngt_f64_e32 vcc_lo, v[212:213], v[220:221]
                                        ; implicit-def: $vgpr212_vgpr213
	s_and_saveexec_b32 s3, vcc_lo
	s_xor_b32 s3, exec_lo, s3
                                        ; implicit-def: $vgpr220_vgpr221_vgpr222_vgpr223
	s_cbranch_execz .LBB111_131
; %bb.130:
	v_div_scale_f64 v[212:213], null, v[218:219], v[218:219], v[216:217]
	v_div_scale_f64 v[224:225], vcc_lo, v[216:217], v[218:219], v[216:217]
	s_delay_alu instid0(VALU_DEP_2) | instskip(SKIP_2) | instid1(VALU_DEP_1)
	v_rcp_f64_e32 v[220:221], v[212:213]
	s_waitcnt_depctr 0xfff
	v_fma_f64 v[222:223], -v[212:213], v[220:221], 1.0
	v_fma_f64 v[220:221], v[220:221], v[222:223], v[220:221]
	s_delay_alu instid0(VALU_DEP_1) | instskip(NEXT) | instid1(VALU_DEP_1)
	v_fma_f64 v[222:223], -v[212:213], v[220:221], 1.0
	v_fma_f64 v[220:221], v[220:221], v[222:223], v[220:221]
	s_delay_alu instid0(VALU_DEP_1) | instskip(NEXT) | instid1(VALU_DEP_1)
	v_mul_f64 v[222:223], v[224:225], v[220:221]
	v_fma_f64 v[212:213], -v[212:213], v[222:223], v[224:225]
	s_delay_alu instid0(VALU_DEP_1) | instskip(NEXT) | instid1(VALU_DEP_1)
	v_div_fmas_f64 v[212:213], v[212:213], v[220:221], v[222:223]
	v_div_fixup_f64 v[212:213], v[212:213], v[218:219], v[216:217]
	s_delay_alu instid0(VALU_DEP_1) | instskip(NEXT) | instid1(VALU_DEP_1)
	v_fma_f64 v[216:217], v[216:217], v[212:213], v[218:219]
	v_div_scale_f64 v[218:219], null, v[216:217], v[216:217], 1.0
	s_delay_alu instid0(VALU_DEP_1) | instskip(SKIP_2) | instid1(VALU_DEP_1)
	v_rcp_f64_e32 v[220:221], v[218:219]
	s_waitcnt_depctr 0xfff
	v_fma_f64 v[222:223], -v[218:219], v[220:221], 1.0
	v_fma_f64 v[220:221], v[220:221], v[222:223], v[220:221]
	s_delay_alu instid0(VALU_DEP_1) | instskip(NEXT) | instid1(VALU_DEP_1)
	v_fma_f64 v[222:223], -v[218:219], v[220:221], 1.0
	v_fma_f64 v[220:221], v[220:221], v[222:223], v[220:221]
	v_div_scale_f64 v[222:223], vcc_lo, 1.0, v[216:217], 1.0
	s_delay_alu instid0(VALU_DEP_1) | instskip(NEXT) | instid1(VALU_DEP_1)
	v_mul_f64 v[224:225], v[222:223], v[220:221]
	v_fma_f64 v[218:219], -v[218:219], v[224:225], v[222:223]
	s_delay_alu instid0(VALU_DEP_1) | instskip(NEXT) | instid1(VALU_DEP_1)
	v_div_fmas_f64 v[218:219], v[218:219], v[220:221], v[224:225]
	v_div_fixup_f64 v[222:223], v[218:219], v[216:217], 1.0
                                        ; implicit-def: $vgpr216_vgpr217
	s_delay_alu instid0(VALU_DEP_1)
	v_mul_f64 v[212:213], v[212:213], v[222:223]
	v_xor_b32_e32 v223, 0x80000000, v223
.LBB111_131:
	s_and_not1_saveexec_b32 s3, s3
	s_cbranch_execz .LBB111_133
; %bb.132:
	v_div_scale_f64 v[212:213], null, v[216:217], v[216:217], v[218:219]
	v_div_scale_f64 v[224:225], vcc_lo, v[218:219], v[216:217], v[218:219]
	s_delay_alu instid0(VALU_DEP_2) | instskip(SKIP_2) | instid1(VALU_DEP_1)
	v_rcp_f64_e32 v[220:221], v[212:213]
	s_waitcnt_depctr 0xfff
	v_fma_f64 v[222:223], -v[212:213], v[220:221], 1.0
	v_fma_f64 v[220:221], v[220:221], v[222:223], v[220:221]
	s_delay_alu instid0(VALU_DEP_1) | instskip(NEXT) | instid1(VALU_DEP_1)
	v_fma_f64 v[222:223], -v[212:213], v[220:221], 1.0
	v_fma_f64 v[220:221], v[220:221], v[222:223], v[220:221]
	s_delay_alu instid0(VALU_DEP_1) | instskip(NEXT) | instid1(VALU_DEP_1)
	v_mul_f64 v[222:223], v[224:225], v[220:221]
	v_fma_f64 v[212:213], -v[212:213], v[222:223], v[224:225]
	s_delay_alu instid0(VALU_DEP_1) | instskip(NEXT) | instid1(VALU_DEP_1)
	v_div_fmas_f64 v[212:213], v[212:213], v[220:221], v[222:223]
	v_div_fixup_f64 v[220:221], v[212:213], v[216:217], v[218:219]
	s_delay_alu instid0(VALU_DEP_1) | instskip(NEXT) | instid1(VALU_DEP_1)
	v_fma_f64 v[212:213], v[218:219], v[220:221], v[216:217]
	v_div_scale_f64 v[216:217], null, v[212:213], v[212:213], 1.0
	s_delay_alu instid0(VALU_DEP_1) | instskip(SKIP_2) | instid1(VALU_DEP_1)
	v_rcp_f64_e32 v[218:219], v[216:217]
	s_waitcnt_depctr 0xfff
	v_fma_f64 v[222:223], -v[216:217], v[218:219], 1.0
	v_fma_f64 v[218:219], v[218:219], v[222:223], v[218:219]
	s_delay_alu instid0(VALU_DEP_1) | instskip(NEXT) | instid1(VALU_DEP_1)
	v_fma_f64 v[222:223], -v[216:217], v[218:219], 1.0
	v_fma_f64 v[218:219], v[218:219], v[222:223], v[218:219]
	v_div_scale_f64 v[222:223], vcc_lo, 1.0, v[212:213], 1.0
	s_delay_alu instid0(VALU_DEP_1) | instskip(NEXT) | instid1(VALU_DEP_1)
	v_mul_f64 v[224:225], v[222:223], v[218:219]
	v_fma_f64 v[216:217], -v[216:217], v[224:225], v[222:223]
	s_delay_alu instid0(VALU_DEP_1) | instskip(NEXT) | instid1(VALU_DEP_1)
	v_div_fmas_f64 v[216:217], v[216:217], v[218:219], v[224:225]
	v_div_fixup_f64 v[212:213], v[216:217], v[212:213], 1.0
	s_delay_alu instid0(VALU_DEP_1)
	v_mul_f64 v[222:223], v[220:221], -v[212:213]
.LBB111_133:
	s_or_b32 exec_lo, exec_lo, s3
	ds_store_2addr_b64 v251, v[212:213], v[222:223] offset1:1
.LBB111_134:
	s_or_b32 exec_lo, exec_lo, s4
	s_waitcnt lgkmcnt(0)
	s_barrier
	buffer_gl0_inv
	ds_load_2addr_b64 v[208:211], v251 offset1:1
	s_mov_b32 s3, exec_lo
	s_waitcnt lgkmcnt(0)
	scratch_store_b128 off, v[208:211], off offset:728 ; 16-byte Folded Spill
	v_cmpx_lt_u32_e32 14, v248
	s_cbranch_execz .LBB111_136
; %bb.135:
	scratch_load_b128 v[208:211], off, off offset:728 ; 16-byte Folded Reload
	ds_load_2addr_b64 v[218:221], v214 offset0:30 offset1:31
	s_waitcnt vmcnt(0)
	v_mul_f64 v[212:213], v[210:211], v[166:167]
	v_mul_f64 v[166:167], v[208:209], v[166:167]
	s_delay_alu instid0(VALU_DEP_2) | instskip(NEXT) | instid1(VALU_DEP_2)
	v_fma_f64 v[216:217], v[208:209], v[164:165], -v[212:213]
	v_fma_f64 v[166:167], v[210:211], v[164:165], v[166:167]
	s_waitcnt lgkmcnt(0)
	s_delay_alu instid0(VALU_DEP_1) | instskip(SKIP_1) | instid1(VALU_DEP_2)
	v_mul_f64 v[164:165], v[220:221], v[166:167]
	v_mul_f64 v[212:213], v[218:219], v[166:167]
	v_fma_f64 v[164:165], v[218:219], v[216:217], -v[164:165]
	s_delay_alu instid0(VALU_DEP_2)
	v_fma_f64 v[212:213], v[220:221], v[216:217], v[212:213]
	ds_load_2addr_b64 v[218:221], v214 offset0:32 offset1:33
	v_add_f64 v[160:161], v[160:161], -v[164:165]
	v_add_f64 v[162:163], v[162:163], -v[212:213]
	s_waitcnt lgkmcnt(0)
	v_mul_f64 v[164:165], v[220:221], v[166:167]
	v_mul_f64 v[212:213], v[218:219], v[166:167]
	s_delay_alu instid0(VALU_DEP_2) | instskip(NEXT) | instid1(VALU_DEP_2)
	v_fma_f64 v[164:165], v[218:219], v[216:217], -v[164:165]
	v_fma_f64 v[212:213], v[220:221], v[216:217], v[212:213]
	ds_load_2addr_b64 v[218:221], v214 offset0:34 offset1:35
	v_add_f64 v[156:157], v[156:157], -v[164:165]
	v_add_f64 v[158:159], v[158:159], -v[212:213]
	s_waitcnt lgkmcnt(0)
	v_mul_f64 v[164:165], v[220:221], v[166:167]
	v_mul_f64 v[212:213], v[218:219], v[166:167]
	s_delay_alu instid0(VALU_DEP_2) | instskip(NEXT) | instid1(VALU_DEP_2)
	v_fma_f64 v[164:165], v[218:219], v[216:217], -v[164:165]
	;; [unrolled: 9-line block ×40, first 2 shown]
	v_fma_f64 v[212:213], v[220:221], v[216:217], v[212:213]
	s_delay_alu instid0(VALU_DEP_2) | instskip(NEXT) | instid1(VALU_DEP_2)
	v_add_f64 v[0:1], v[0:1], -v[164:165]
	v_add_f64 v[2:3], v[2:3], -v[212:213]
	v_dual_mov_b32 v164, v216 :: v_dual_mov_b32 v165, v217
.LBB111_136:
	s_or_b32 exec_lo, exec_lo, s3
	s_delay_alu instid0(SALU_CYCLE_1)
	s_mov_b32 s4, exec_lo
	s_waitcnt_vscnt null, 0x0
	s_barrier
	buffer_gl0_inv
	v_cmpx_eq_u32_e32 15, v248
	s_cbranch_execz .LBB111_143
; %bb.137:
	ds_store_2addr_b64 v251, v[160:161], v[162:163] offset1:1
	ds_store_2addr_b64 v214, v[156:157], v[158:159] offset0:32 offset1:33
	ds_store_2addr_b64 v214, v[152:153], v[154:155] offset0:34 offset1:35
	;; [unrolled: 1-line block ×40, first 2 shown]
	ds_load_2addr_b64 v[216:219], v251 offset1:1
	s_waitcnt lgkmcnt(0)
	v_cmp_neq_f64_e32 vcc_lo, 0, v[216:217]
	v_cmp_neq_f64_e64 s3, 0, v[218:219]
	s_delay_alu instid0(VALU_DEP_1) | instskip(NEXT) | instid1(SALU_CYCLE_1)
	s_or_b32 s3, vcc_lo, s3
	s_and_b32 exec_lo, exec_lo, s3
	s_cbranch_execz .LBB111_143
; %bb.138:
	v_cmp_gt_f64_e32 vcc_lo, 0, v[216:217]
	v_xor_b32_e32 v208, 0x80000000, v217
	s_delay_alu instid0(VALU_DEP_1) | instskip(SKIP_3) | instid1(VALU_DEP_1)
	v_cndmask_b32_e32 v213, v217, v208, vcc_lo
	v_cndmask_b32_e32 v212, v216, v216, vcc_lo
	v_cmp_gt_f64_e32 vcc_lo, 0, v[218:219]
	v_xor_b32_e32 v208, 0x80000000, v219
	v_dual_cndmask_b32 v220, v218, v218 :: v_dual_cndmask_b32 v221, v219, v208
	s_delay_alu instid0(VALU_DEP_1) | instskip(SKIP_1) | instid1(SALU_CYCLE_1)
	v_cmp_ngt_f64_e32 vcc_lo, v[212:213], v[220:221]
                                        ; implicit-def: $vgpr212_vgpr213
	s_and_saveexec_b32 s3, vcc_lo
	s_xor_b32 s3, exec_lo, s3
                                        ; implicit-def: $vgpr220_vgpr221_vgpr222_vgpr223
	s_cbranch_execz .LBB111_140
; %bb.139:
	v_div_scale_f64 v[212:213], null, v[218:219], v[218:219], v[216:217]
	v_div_scale_f64 v[224:225], vcc_lo, v[216:217], v[218:219], v[216:217]
	s_delay_alu instid0(VALU_DEP_2) | instskip(SKIP_2) | instid1(VALU_DEP_1)
	v_rcp_f64_e32 v[220:221], v[212:213]
	s_waitcnt_depctr 0xfff
	v_fma_f64 v[222:223], -v[212:213], v[220:221], 1.0
	v_fma_f64 v[220:221], v[220:221], v[222:223], v[220:221]
	s_delay_alu instid0(VALU_DEP_1) | instskip(NEXT) | instid1(VALU_DEP_1)
	v_fma_f64 v[222:223], -v[212:213], v[220:221], 1.0
	v_fma_f64 v[220:221], v[220:221], v[222:223], v[220:221]
	s_delay_alu instid0(VALU_DEP_1) | instskip(NEXT) | instid1(VALU_DEP_1)
	v_mul_f64 v[222:223], v[224:225], v[220:221]
	v_fma_f64 v[212:213], -v[212:213], v[222:223], v[224:225]
	s_delay_alu instid0(VALU_DEP_1) | instskip(NEXT) | instid1(VALU_DEP_1)
	v_div_fmas_f64 v[212:213], v[212:213], v[220:221], v[222:223]
	v_div_fixup_f64 v[212:213], v[212:213], v[218:219], v[216:217]
	s_delay_alu instid0(VALU_DEP_1) | instskip(NEXT) | instid1(VALU_DEP_1)
	v_fma_f64 v[216:217], v[216:217], v[212:213], v[218:219]
	v_div_scale_f64 v[218:219], null, v[216:217], v[216:217], 1.0
	s_delay_alu instid0(VALU_DEP_1) | instskip(SKIP_2) | instid1(VALU_DEP_1)
	v_rcp_f64_e32 v[220:221], v[218:219]
	s_waitcnt_depctr 0xfff
	v_fma_f64 v[222:223], -v[218:219], v[220:221], 1.0
	v_fma_f64 v[220:221], v[220:221], v[222:223], v[220:221]
	s_delay_alu instid0(VALU_DEP_1) | instskip(NEXT) | instid1(VALU_DEP_1)
	v_fma_f64 v[222:223], -v[218:219], v[220:221], 1.0
	v_fma_f64 v[220:221], v[220:221], v[222:223], v[220:221]
	v_div_scale_f64 v[222:223], vcc_lo, 1.0, v[216:217], 1.0
	s_delay_alu instid0(VALU_DEP_1) | instskip(NEXT) | instid1(VALU_DEP_1)
	v_mul_f64 v[224:225], v[222:223], v[220:221]
	v_fma_f64 v[218:219], -v[218:219], v[224:225], v[222:223]
	s_delay_alu instid0(VALU_DEP_1) | instskip(NEXT) | instid1(VALU_DEP_1)
	v_div_fmas_f64 v[218:219], v[218:219], v[220:221], v[224:225]
	v_div_fixup_f64 v[222:223], v[218:219], v[216:217], 1.0
                                        ; implicit-def: $vgpr216_vgpr217
	s_delay_alu instid0(VALU_DEP_1)
	v_mul_f64 v[212:213], v[212:213], v[222:223]
	v_xor_b32_e32 v223, 0x80000000, v223
.LBB111_140:
	s_and_not1_saveexec_b32 s3, s3
	s_cbranch_execz .LBB111_142
; %bb.141:
	v_div_scale_f64 v[212:213], null, v[216:217], v[216:217], v[218:219]
	v_div_scale_f64 v[224:225], vcc_lo, v[218:219], v[216:217], v[218:219]
	s_delay_alu instid0(VALU_DEP_2) | instskip(SKIP_2) | instid1(VALU_DEP_1)
	v_rcp_f64_e32 v[220:221], v[212:213]
	s_waitcnt_depctr 0xfff
	v_fma_f64 v[222:223], -v[212:213], v[220:221], 1.0
	v_fma_f64 v[220:221], v[220:221], v[222:223], v[220:221]
	s_delay_alu instid0(VALU_DEP_1) | instskip(NEXT) | instid1(VALU_DEP_1)
	v_fma_f64 v[222:223], -v[212:213], v[220:221], 1.0
	v_fma_f64 v[220:221], v[220:221], v[222:223], v[220:221]
	s_delay_alu instid0(VALU_DEP_1) | instskip(NEXT) | instid1(VALU_DEP_1)
	v_mul_f64 v[222:223], v[224:225], v[220:221]
	v_fma_f64 v[212:213], -v[212:213], v[222:223], v[224:225]
	s_delay_alu instid0(VALU_DEP_1) | instskip(NEXT) | instid1(VALU_DEP_1)
	v_div_fmas_f64 v[212:213], v[212:213], v[220:221], v[222:223]
	v_div_fixup_f64 v[220:221], v[212:213], v[216:217], v[218:219]
	s_delay_alu instid0(VALU_DEP_1) | instskip(NEXT) | instid1(VALU_DEP_1)
	v_fma_f64 v[212:213], v[218:219], v[220:221], v[216:217]
	v_div_scale_f64 v[216:217], null, v[212:213], v[212:213], 1.0
	s_delay_alu instid0(VALU_DEP_1) | instskip(SKIP_2) | instid1(VALU_DEP_1)
	v_rcp_f64_e32 v[218:219], v[216:217]
	s_waitcnt_depctr 0xfff
	v_fma_f64 v[222:223], -v[216:217], v[218:219], 1.0
	v_fma_f64 v[218:219], v[218:219], v[222:223], v[218:219]
	s_delay_alu instid0(VALU_DEP_1) | instskip(NEXT) | instid1(VALU_DEP_1)
	v_fma_f64 v[222:223], -v[216:217], v[218:219], 1.0
	v_fma_f64 v[218:219], v[218:219], v[222:223], v[218:219]
	v_div_scale_f64 v[222:223], vcc_lo, 1.0, v[212:213], 1.0
	s_delay_alu instid0(VALU_DEP_1) | instskip(NEXT) | instid1(VALU_DEP_1)
	v_mul_f64 v[224:225], v[222:223], v[218:219]
	v_fma_f64 v[216:217], -v[216:217], v[224:225], v[222:223]
	s_delay_alu instid0(VALU_DEP_1) | instskip(NEXT) | instid1(VALU_DEP_1)
	v_div_fmas_f64 v[216:217], v[216:217], v[218:219], v[224:225]
	v_div_fixup_f64 v[212:213], v[216:217], v[212:213], 1.0
	s_delay_alu instid0(VALU_DEP_1)
	v_mul_f64 v[222:223], v[220:221], -v[212:213]
.LBB111_142:
	s_or_b32 exec_lo, exec_lo, s3
	ds_store_2addr_b64 v251, v[212:213], v[222:223] offset1:1
.LBB111_143:
	s_or_b32 exec_lo, exec_lo, s4
	s_waitcnt lgkmcnt(0)
	s_barrier
	buffer_gl0_inv
	ds_load_2addr_b64 v[208:211], v251 offset1:1
	s_mov_b32 s3, exec_lo
	s_waitcnt lgkmcnt(0)
	scratch_store_b128 off, v[208:211], off offset:744 ; 16-byte Folded Spill
	v_cmpx_lt_u32_e32 15, v248
	s_cbranch_execz .LBB111_145
; %bb.144:
	scratch_load_b128 v[208:211], off, off offset:744 ; 16-byte Folded Reload
	ds_load_2addr_b64 v[218:221], v214 offset0:32 offset1:33
	s_waitcnt vmcnt(0)
	v_mul_f64 v[212:213], v[210:211], v[162:163]
	v_mul_f64 v[162:163], v[208:209], v[162:163]
	s_delay_alu instid0(VALU_DEP_2) | instskip(NEXT) | instid1(VALU_DEP_2)
	v_fma_f64 v[216:217], v[208:209], v[160:161], -v[212:213]
	v_fma_f64 v[162:163], v[210:211], v[160:161], v[162:163]
	s_waitcnt lgkmcnt(0)
	s_delay_alu instid0(VALU_DEP_1) | instskip(SKIP_1) | instid1(VALU_DEP_2)
	v_mul_f64 v[160:161], v[220:221], v[162:163]
	v_mul_f64 v[212:213], v[218:219], v[162:163]
	v_fma_f64 v[160:161], v[218:219], v[216:217], -v[160:161]
	s_delay_alu instid0(VALU_DEP_2)
	v_fma_f64 v[212:213], v[220:221], v[216:217], v[212:213]
	ds_load_2addr_b64 v[218:221], v214 offset0:34 offset1:35
	v_add_f64 v[156:157], v[156:157], -v[160:161]
	v_add_f64 v[158:159], v[158:159], -v[212:213]
	s_waitcnt lgkmcnt(0)
	v_mul_f64 v[160:161], v[220:221], v[162:163]
	v_mul_f64 v[212:213], v[218:219], v[162:163]
	s_delay_alu instid0(VALU_DEP_2) | instskip(NEXT) | instid1(VALU_DEP_2)
	v_fma_f64 v[160:161], v[218:219], v[216:217], -v[160:161]
	v_fma_f64 v[212:213], v[220:221], v[216:217], v[212:213]
	ds_load_2addr_b64 v[218:221], v214 offset0:36 offset1:37
	v_add_f64 v[152:153], v[152:153], -v[160:161]
	v_add_f64 v[154:155], v[154:155], -v[212:213]
	s_waitcnt lgkmcnt(0)
	v_mul_f64 v[160:161], v[220:221], v[162:163]
	v_mul_f64 v[212:213], v[218:219], v[162:163]
	s_delay_alu instid0(VALU_DEP_2) | instskip(NEXT) | instid1(VALU_DEP_2)
	v_fma_f64 v[160:161], v[218:219], v[216:217], -v[160:161]
	;; [unrolled: 9-line block ×39, first 2 shown]
	v_fma_f64 v[212:213], v[220:221], v[216:217], v[212:213]
	s_delay_alu instid0(VALU_DEP_2) | instskip(NEXT) | instid1(VALU_DEP_2)
	v_add_f64 v[0:1], v[0:1], -v[160:161]
	v_add_f64 v[2:3], v[2:3], -v[212:213]
	v_dual_mov_b32 v160, v216 :: v_dual_mov_b32 v161, v217
.LBB111_145:
	s_or_b32 exec_lo, exec_lo, s3
	s_delay_alu instid0(SALU_CYCLE_1)
	s_mov_b32 s4, exec_lo
	s_waitcnt_vscnt null, 0x0
	s_barrier
	buffer_gl0_inv
	v_cmpx_eq_u32_e32 16, v248
	s_cbranch_execz .LBB111_152
; %bb.146:
	ds_store_2addr_b64 v251, v[156:157], v[158:159] offset1:1
	ds_store_2addr_b64 v214, v[152:153], v[154:155] offset0:34 offset1:35
	ds_store_2addr_b64 v214, v[148:149], v[150:151] offset0:36 offset1:37
	;; [unrolled: 1-line block ×39, first 2 shown]
	ds_load_2addr_b64 v[216:219], v251 offset1:1
	s_waitcnt lgkmcnt(0)
	v_cmp_neq_f64_e32 vcc_lo, 0, v[216:217]
	v_cmp_neq_f64_e64 s3, 0, v[218:219]
	s_delay_alu instid0(VALU_DEP_1) | instskip(NEXT) | instid1(SALU_CYCLE_1)
	s_or_b32 s3, vcc_lo, s3
	s_and_b32 exec_lo, exec_lo, s3
	s_cbranch_execz .LBB111_152
; %bb.147:
	v_cmp_gt_f64_e32 vcc_lo, 0, v[216:217]
	v_xor_b32_e32 v208, 0x80000000, v217
	s_delay_alu instid0(VALU_DEP_1) | instskip(SKIP_3) | instid1(VALU_DEP_1)
	v_cndmask_b32_e32 v213, v217, v208, vcc_lo
	v_cndmask_b32_e32 v212, v216, v216, vcc_lo
	v_cmp_gt_f64_e32 vcc_lo, 0, v[218:219]
	v_xor_b32_e32 v208, 0x80000000, v219
	v_dual_cndmask_b32 v220, v218, v218 :: v_dual_cndmask_b32 v221, v219, v208
	s_delay_alu instid0(VALU_DEP_1) | instskip(SKIP_1) | instid1(SALU_CYCLE_1)
	v_cmp_ngt_f64_e32 vcc_lo, v[212:213], v[220:221]
                                        ; implicit-def: $vgpr212_vgpr213
	s_and_saveexec_b32 s3, vcc_lo
	s_xor_b32 s3, exec_lo, s3
                                        ; implicit-def: $vgpr220_vgpr221_vgpr222_vgpr223
	s_cbranch_execz .LBB111_149
; %bb.148:
	v_div_scale_f64 v[212:213], null, v[218:219], v[218:219], v[216:217]
	v_div_scale_f64 v[224:225], vcc_lo, v[216:217], v[218:219], v[216:217]
	s_delay_alu instid0(VALU_DEP_2) | instskip(SKIP_2) | instid1(VALU_DEP_1)
	v_rcp_f64_e32 v[220:221], v[212:213]
	s_waitcnt_depctr 0xfff
	v_fma_f64 v[222:223], -v[212:213], v[220:221], 1.0
	v_fma_f64 v[220:221], v[220:221], v[222:223], v[220:221]
	s_delay_alu instid0(VALU_DEP_1) | instskip(NEXT) | instid1(VALU_DEP_1)
	v_fma_f64 v[222:223], -v[212:213], v[220:221], 1.0
	v_fma_f64 v[220:221], v[220:221], v[222:223], v[220:221]
	s_delay_alu instid0(VALU_DEP_1) | instskip(NEXT) | instid1(VALU_DEP_1)
	v_mul_f64 v[222:223], v[224:225], v[220:221]
	v_fma_f64 v[212:213], -v[212:213], v[222:223], v[224:225]
	s_delay_alu instid0(VALU_DEP_1) | instskip(NEXT) | instid1(VALU_DEP_1)
	v_div_fmas_f64 v[212:213], v[212:213], v[220:221], v[222:223]
	v_div_fixup_f64 v[212:213], v[212:213], v[218:219], v[216:217]
	s_delay_alu instid0(VALU_DEP_1) | instskip(NEXT) | instid1(VALU_DEP_1)
	v_fma_f64 v[216:217], v[216:217], v[212:213], v[218:219]
	v_div_scale_f64 v[218:219], null, v[216:217], v[216:217], 1.0
	s_delay_alu instid0(VALU_DEP_1) | instskip(SKIP_2) | instid1(VALU_DEP_1)
	v_rcp_f64_e32 v[220:221], v[218:219]
	s_waitcnt_depctr 0xfff
	v_fma_f64 v[222:223], -v[218:219], v[220:221], 1.0
	v_fma_f64 v[220:221], v[220:221], v[222:223], v[220:221]
	s_delay_alu instid0(VALU_DEP_1) | instskip(NEXT) | instid1(VALU_DEP_1)
	v_fma_f64 v[222:223], -v[218:219], v[220:221], 1.0
	v_fma_f64 v[220:221], v[220:221], v[222:223], v[220:221]
	v_div_scale_f64 v[222:223], vcc_lo, 1.0, v[216:217], 1.0
	s_delay_alu instid0(VALU_DEP_1) | instskip(NEXT) | instid1(VALU_DEP_1)
	v_mul_f64 v[224:225], v[222:223], v[220:221]
	v_fma_f64 v[218:219], -v[218:219], v[224:225], v[222:223]
	s_delay_alu instid0(VALU_DEP_1) | instskip(NEXT) | instid1(VALU_DEP_1)
	v_div_fmas_f64 v[218:219], v[218:219], v[220:221], v[224:225]
	v_div_fixup_f64 v[222:223], v[218:219], v[216:217], 1.0
                                        ; implicit-def: $vgpr216_vgpr217
	s_delay_alu instid0(VALU_DEP_1)
	v_mul_f64 v[212:213], v[212:213], v[222:223]
	v_xor_b32_e32 v223, 0x80000000, v223
.LBB111_149:
	s_and_not1_saveexec_b32 s3, s3
	s_cbranch_execz .LBB111_151
; %bb.150:
	v_div_scale_f64 v[212:213], null, v[216:217], v[216:217], v[218:219]
	v_div_scale_f64 v[224:225], vcc_lo, v[218:219], v[216:217], v[218:219]
	s_delay_alu instid0(VALU_DEP_2) | instskip(SKIP_2) | instid1(VALU_DEP_1)
	v_rcp_f64_e32 v[220:221], v[212:213]
	s_waitcnt_depctr 0xfff
	v_fma_f64 v[222:223], -v[212:213], v[220:221], 1.0
	v_fma_f64 v[220:221], v[220:221], v[222:223], v[220:221]
	s_delay_alu instid0(VALU_DEP_1) | instskip(NEXT) | instid1(VALU_DEP_1)
	v_fma_f64 v[222:223], -v[212:213], v[220:221], 1.0
	v_fma_f64 v[220:221], v[220:221], v[222:223], v[220:221]
	s_delay_alu instid0(VALU_DEP_1) | instskip(NEXT) | instid1(VALU_DEP_1)
	v_mul_f64 v[222:223], v[224:225], v[220:221]
	v_fma_f64 v[212:213], -v[212:213], v[222:223], v[224:225]
	s_delay_alu instid0(VALU_DEP_1) | instskip(NEXT) | instid1(VALU_DEP_1)
	v_div_fmas_f64 v[212:213], v[212:213], v[220:221], v[222:223]
	v_div_fixup_f64 v[220:221], v[212:213], v[216:217], v[218:219]
	s_delay_alu instid0(VALU_DEP_1) | instskip(NEXT) | instid1(VALU_DEP_1)
	v_fma_f64 v[212:213], v[218:219], v[220:221], v[216:217]
	v_div_scale_f64 v[216:217], null, v[212:213], v[212:213], 1.0
	s_delay_alu instid0(VALU_DEP_1) | instskip(SKIP_2) | instid1(VALU_DEP_1)
	v_rcp_f64_e32 v[218:219], v[216:217]
	s_waitcnt_depctr 0xfff
	v_fma_f64 v[222:223], -v[216:217], v[218:219], 1.0
	v_fma_f64 v[218:219], v[218:219], v[222:223], v[218:219]
	s_delay_alu instid0(VALU_DEP_1) | instskip(NEXT) | instid1(VALU_DEP_1)
	v_fma_f64 v[222:223], -v[216:217], v[218:219], 1.0
	v_fma_f64 v[218:219], v[218:219], v[222:223], v[218:219]
	v_div_scale_f64 v[222:223], vcc_lo, 1.0, v[212:213], 1.0
	s_delay_alu instid0(VALU_DEP_1) | instskip(NEXT) | instid1(VALU_DEP_1)
	v_mul_f64 v[224:225], v[222:223], v[218:219]
	v_fma_f64 v[216:217], -v[216:217], v[224:225], v[222:223]
	s_delay_alu instid0(VALU_DEP_1) | instskip(NEXT) | instid1(VALU_DEP_1)
	v_div_fmas_f64 v[216:217], v[216:217], v[218:219], v[224:225]
	v_div_fixup_f64 v[212:213], v[216:217], v[212:213], 1.0
	s_delay_alu instid0(VALU_DEP_1)
	v_mul_f64 v[222:223], v[220:221], -v[212:213]
.LBB111_151:
	s_or_b32 exec_lo, exec_lo, s3
	ds_store_2addr_b64 v251, v[212:213], v[222:223] offset1:1
.LBB111_152:
	s_or_b32 exec_lo, exec_lo, s4
	s_waitcnt lgkmcnt(0)
	s_barrier
	buffer_gl0_inv
	ds_load_2addr_b64 v[208:211], v251 offset1:1
	s_mov_b32 s3, exec_lo
	s_waitcnt lgkmcnt(0)
	scratch_store_b128 off, v[208:211], off offset:760 ; 16-byte Folded Spill
	v_cmpx_lt_u32_e32 16, v248
	s_cbranch_execz .LBB111_154
; %bb.153:
	scratch_load_b128 v[208:211], off, off offset:760 ; 16-byte Folded Reload
	ds_load_2addr_b64 v[218:221], v214 offset0:34 offset1:35
	s_waitcnt vmcnt(0)
	v_mul_f64 v[212:213], v[210:211], v[158:159]
	v_mul_f64 v[158:159], v[208:209], v[158:159]
	s_delay_alu instid0(VALU_DEP_2) | instskip(NEXT) | instid1(VALU_DEP_2)
	v_fma_f64 v[216:217], v[208:209], v[156:157], -v[212:213]
	v_fma_f64 v[158:159], v[210:211], v[156:157], v[158:159]
	s_waitcnt lgkmcnt(0)
	s_delay_alu instid0(VALU_DEP_1) | instskip(SKIP_1) | instid1(VALU_DEP_2)
	v_mul_f64 v[156:157], v[220:221], v[158:159]
	v_mul_f64 v[212:213], v[218:219], v[158:159]
	v_fma_f64 v[156:157], v[218:219], v[216:217], -v[156:157]
	s_delay_alu instid0(VALU_DEP_2)
	v_fma_f64 v[212:213], v[220:221], v[216:217], v[212:213]
	ds_load_2addr_b64 v[218:221], v214 offset0:36 offset1:37
	v_add_f64 v[152:153], v[152:153], -v[156:157]
	v_add_f64 v[154:155], v[154:155], -v[212:213]
	s_waitcnt lgkmcnt(0)
	v_mul_f64 v[156:157], v[220:221], v[158:159]
	v_mul_f64 v[212:213], v[218:219], v[158:159]
	s_delay_alu instid0(VALU_DEP_2) | instskip(NEXT) | instid1(VALU_DEP_2)
	v_fma_f64 v[156:157], v[218:219], v[216:217], -v[156:157]
	v_fma_f64 v[212:213], v[220:221], v[216:217], v[212:213]
	ds_load_2addr_b64 v[218:221], v214 offset0:38 offset1:39
	v_add_f64 v[148:149], v[148:149], -v[156:157]
	v_add_f64 v[150:151], v[150:151], -v[212:213]
	s_waitcnt lgkmcnt(0)
	v_mul_f64 v[156:157], v[220:221], v[158:159]
	v_mul_f64 v[212:213], v[218:219], v[158:159]
	s_delay_alu instid0(VALU_DEP_2) | instskip(NEXT) | instid1(VALU_DEP_2)
	v_fma_f64 v[156:157], v[218:219], v[216:217], -v[156:157]
	;; [unrolled: 9-line block ×38, first 2 shown]
	v_fma_f64 v[212:213], v[220:221], v[216:217], v[212:213]
	s_delay_alu instid0(VALU_DEP_2) | instskip(NEXT) | instid1(VALU_DEP_2)
	v_add_f64 v[0:1], v[0:1], -v[156:157]
	v_add_f64 v[2:3], v[2:3], -v[212:213]
	v_dual_mov_b32 v156, v216 :: v_dual_mov_b32 v157, v217
.LBB111_154:
	s_or_b32 exec_lo, exec_lo, s3
	s_delay_alu instid0(SALU_CYCLE_1)
	s_mov_b32 s4, exec_lo
	s_waitcnt_vscnt null, 0x0
	s_barrier
	buffer_gl0_inv
	v_cmpx_eq_u32_e32 17, v248
	s_cbranch_execz .LBB111_161
; %bb.155:
	ds_store_2addr_b64 v251, v[152:153], v[154:155] offset1:1
	ds_store_2addr_b64 v214, v[148:149], v[150:151] offset0:36 offset1:37
	ds_store_2addr_b64 v214, v[144:145], v[146:147] offset0:38 offset1:39
	;; [unrolled: 1-line block ×38, first 2 shown]
	ds_load_2addr_b64 v[216:219], v251 offset1:1
	s_waitcnt lgkmcnt(0)
	v_cmp_neq_f64_e32 vcc_lo, 0, v[216:217]
	v_cmp_neq_f64_e64 s3, 0, v[218:219]
	s_delay_alu instid0(VALU_DEP_1) | instskip(NEXT) | instid1(SALU_CYCLE_1)
	s_or_b32 s3, vcc_lo, s3
	s_and_b32 exec_lo, exec_lo, s3
	s_cbranch_execz .LBB111_161
; %bb.156:
	v_cmp_gt_f64_e32 vcc_lo, 0, v[216:217]
	v_xor_b32_e32 v208, 0x80000000, v217
	s_delay_alu instid0(VALU_DEP_1) | instskip(SKIP_3) | instid1(VALU_DEP_1)
	v_cndmask_b32_e32 v213, v217, v208, vcc_lo
	v_cndmask_b32_e32 v212, v216, v216, vcc_lo
	v_cmp_gt_f64_e32 vcc_lo, 0, v[218:219]
	v_xor_b32_e32 v208, 0x80000000, v219
	v_dual_cndmask_b32 v220, v218, v218 :: v_dual_cndmask_b32 v221, v219, v208
	s_delay_alu instid0(VALU_DEP_1) | instskip(SKIP_1) | instid1(SALU_CYCLE_1)
	v_cmp_ngt_f64_e32 vcc_lo, v[212:213], v[220:221]
                                        ; implicit-def: $vgpr212_vgpr213
	s_and_saveexec_b32 s3, vcc_lo
	s_xor_b32 s3, exec_lo, s3
                                        ; implicit-def: $vgpr220_vgpr221_vgpr222_vgpr223
	s_cbranch_execz .LBB111_158
; %bb.157:
	v_div_scale_f64 v[212:213], null, v[218:219], v[218:219], v[216:217]
	v_div_scale_f64 v[224:225], vcc_lo, v[216:217], v[218:219], v[216:217]
	s_delay_alu instid0(VALU_DEP_2) | instskip(SKIP_2) | instid1(VALU_DEP_1)
	v_rcp_f64_e32 v[220:221], v[212:213]
	s_waitcnt_depctr 0xfff
	v_fma_f64 v[222:223], -v[212:213], v[220:221], 1.0
	v_fma_f64 v[220:221], v[220:221], v[222:223], v[220:221]
	s_delay_alu instid0(VALU_DEP_1) | instskip(NEXT) | instid1(VALU_DEP_1)
	v_fma_f64 v[222:223], -v[212:213], v[220:221], 1.0
	v_fma_f64 v[220:221], v[220:221], v[222:223], v[220:221]
	s_delay_alu instid0(VALU_DEP_1) | instskip(NEXT) | instid1(VALU_DEP_1)
	v_mul_f64 v[222:223], v[224:225], v[220:221]
	v_fma_f64 v[212:213], -v[212:213], v[222:223], v[224:225]
	s_delay_alu instid0(VALU_DEP_1) | instskip(NEXT) | instid1(VALU_DEP_1)
	v_div_fmas_f64 v[212:213], v[212:213], v[220:221], v[222:223]
	v_div_fixup_f64 v[212:213], v[212:213], v[218:219], v[216:217]
	s_delay_alu instid0(VALU_DEP_1) | instskip(NEXT) | instid1(VALU_DEP_1)
	v_fma_f64 v[216:217], v[216:217], v[212:213], v[218:219]
	v_div_scale_f64 v[218:219], null, v[216:217], v[216:217], 1.0
	s_delay_alu instid0(VALU_DEP_1) | instskip(SKIP_2) | instid1(VALU_DEP_1)
	v_rcp_f64_e32 v[220:221], v[218:219]
	s_waitcnt_depctr 0xfff
	v_fma_f64 v[222:223], -v[218:219], v[220:221], 1.0
	v_fma_f64 v[220:221], v[220:221], v[222:223], v[220:221]
	s_delay_alu instid0(VALU_DEP_1) | instskip(NEXT) | instid1(VALU_DEP_1)
	v_fma_f64 v[222:223], -v[218:219], v[220:221], 1.0
	v_fma_f64 v[220:221], v[220:221], v[222:223], v[220:221]
	v_div_scale_f64 v[222:223], vcc_lo, 1.0, v[216:217], 1.0
	s_delay_alu instid0(VALU_DEP_1) | instskip(NEXT) | instid1(VALU_DEP_1)
	v_mul_f64 v[224:225], v[222:223], v[220:221]
	v_fma_f64 v[218:219], -v[218:219], v[224:225], v[222:223]
	s_delay_alu instid0(VALU_DEP_1) | instskip(NEXT) | instid1(VALU_DEP_1)
	v_div_fmas_f64 v[218:219], v[218:219], v[220:221], v[224:225]
	v_div_fixup_f64 v[222:223], v[218:219], v[216:217], 1.0
                                        ; implicit-def: $vgpr216_vgpr217
	s_delay_alu instid0(VALU_DEP_1)
	v_mul_f64 v[212:213], v[212:213], v[222:223]
	v_xor_b32_e32 v223, 0x80000000, v223
.LBB111_158:
	s_and_not1_saveexec_b32 s3, s3
	s_cbranch_execz .LBB111_160
; %bb.159:
	v_div_scale_f64 v[212:213], null, v[216:217], v[216:217], v[218:219]
	v_div_scale_f64 v[224:225], vcc_lo, v[218:219], v[216:217], v[218:219]
	s_delay_alu instid0(VALU_DEP_2) | instskip(SKIP_2) | instid1(VALU_DEP_1)
	v_rcp_f64_e32 v[220:221], v[212:213]
	s_waitcnt_depctr 0xfff
	v_fma_f64 v[222:223], -v[212:213], v[220:221], 1.0
	v_fma_f64 v[220:221], v[220:221], v[222:223], v[220:221]
	s_delay_alu instid0(VALU_DEP_1) | instskip(NEXT) | instid1(VALU_DEP_1)
	v_fma_f64 v[222:223], -v[212:213], v[220:221], 1.0
	v_fma_f64 v[220:221], v[220:221], v[222:223], v[220:221]
	s_delay_alu instid0(VALU_DEP_1) | instskip(NEXT) | instid1(VALU_DEP_1)
	v_mul_f64 v[222:223], v[224:225], v[220:221]
	v_fma_f64 v[212:213], -v[212:213], v[222:223], v[224:225]
	s_delay_alu instid0(VALU_DEP_1) | instskip(NEXT) | instid1(VALU_DEP_1)
	v_div_fmas_f64 v[212:213], v[212:213], v[220:221], v[222:223]
	v_div_fixup_f64 v[220:221], v[212:213], v[216:217], v[218:219]
	s_delay_alu instid0(VALU_DEP_1) | instskip(NEXT) | instid1(VALU_DEP_1)
	v_fma_f64 v[212:213], v[218:219], v[220:221], v[216:217]
	v_div_scale_f64 v[216:217], null, v[212:213], v[212:213], 1.0
	s_delay_alu instid0(VALU_DEP_1) | instskip(SKIP_2) | instid1(VALU_DEP_1)
	v_rcp_f64_e32 v[218:219], v[216:217]
	s_waitcnt_depctr 0xfff
	v_fma_f64 v[222:223], -v[216:217], v[218:219], 1.0
	v_fma_f64 v[218:219], v[218:219], v[222:223], v[218:219]
	s_delay_alu instid0(VALU_DEP_1) | instskip(NEXT) | instid1(VALU_DEP_1)
	v_fma_f64 v[222:223], -v[216:217], v[218:219], 1.0
	v_fma_f64 v[218:219], v[218:219], v[222:223], v[218:219]
	v_div_scale_f64 v[222:223], vcc_lo, 1.0, v[212:213], 1.0
	s_delay_alu instid0(VALU_DEP_1) | instskip(NEXT) | instid1(VALU_DEP_1)
	v_mul_f64 v[224:225], v[222:223], v[218:219]
	v_fma_f64 v[216:217], -v[216:217], v[224:225], v[222:223]
	s_delay_alu instid0(VALU_DEP_1) | instskip(NEXT) | instid1(VALU_DEP_1)
	v_div_fmas_f64 v[216:217], v[216:217], v[218:219], v[224:225]
	v_div_fixup_f64 v[212:213], v[216:217], v[212:213], 1.0
	s_delay_alu instid0(VALU_DEP_1)
	v_mul_f64 v[222:223], v[220:221], -v[212:213]
.LBB111_160:
	s_or_b32 exec_lo, exec_lo, s3
	ds_store_2addr_b64 v251, v[212:213], v[222:223] offset1:1
.LBB111_161:
	s_or_b32 exec_lo, exec_lo, s4
	s_waitcnt lgkmcnt(0)
	s_barrier
	buffer_gl0_inv
	ds_load_2addr_b64 v[208:211], v251 offset1:1
	s_mov_b32 s3, exec_lo
	s_waitcnt lgkmcnt(0)
	scratch_store_b128 off, v[208:211], off offset:776 ; 16-byte Folded Spill
	v_cmpx_lt_u32_e32 17, v248
	s_cbranch_execz .LBB111_163
; %bb.162:
	scratch_load_b128 v[208:211], off, off offset:776 ; 16-byte Folded Reload
	ds_load_2addr_b64 v[218:221], v214 offset0:36 offset1:37
	s_waitcnt vmcnt(0)
	v_mul_f64 v[212:213], v[210:211], v[154:155]
	v_mul_f64 v[154:155], v[208:209], v[154:155]
	s_delay_alu instid0(VALU_DEP_2) | instskip(NEXT) | instid1(VALU_DEP_2)
	v_fma_f64 v[216:217], v[208:209], v[152:153], -v[212:213]
	v_fma_f64 v[154:155], v[210:211], v[152:153], v[154:155]
	s_waitcnt lgkmcnt(0)
	s_delay_alu instid0(VALU_DEP_1) | instskip(SKIP_1) | instid1(VALU_DEP_2)
	v_mul_f64 v[152:153], v[220:221], v[154:155]
	v_mul_f64 v[212:213], v[218:219], v[154:155]
	v_fma_f64 v[152:153], v[218:219], v[216:217], -v[152:153]
	s_delay_alu instid0(VALU_DEP_2)
	v_fma_f64 v[212:213], v[220:221], v[216:217], v[212:213]
	ds_load_2addr_b64 v[218:221], v214 offset0:38 offset1:39
	v_add_f64 v[148:149], v[148:149], -v[152:153]
	v_add_f64 v[150:151], v[150:151], -v[212:213]
	s_waitcnt lgkmcnt(0)
	v_mul_f64 v[152:153], v[220:221], v[154:155]
	v_mul_f64 v[212:213], v[218:219], v[154:155]
	s_delay_alu instid0(VALU_DEP_2) | instskip(NEXT) | instid1(VALU_DEP_2)
	v_fma_f64 v[152:153], v[218:219], v[216:217], -v[152:153]
	v_fma_f64 v[212:213], v[220:221], v[216:217], v[212:213]
	ds_load_2addr_b64 v[218:221], v214 offset0:40 offset1:41
	v_add_f64 v[144:145], v[144:145], -v[152:153]
	v_add_f64 v[146:147], v[146:147], -v[212:213]
	s_waitcnt lgkmcnt(0)
	v_mul_f64 v[152:153], v[220:221], v[154:155]
	v_mul_f64 v[212:213], v[218:219], v[154:155]
	s_delay_alu instid0(VALU_DEP_2) | instskip(NEXT) | instid1(VALU_DEP_2)
	v_fma_f64 v[152:153], v[218:219], v[216:217], -v[152:153]
	v_fma_f64 v[212:213], v[220:221], v[216:217], v[212:213]
	ds_load_2addr_b64 v[218:221], v214 offset0:42 offset1:43
	v_add_f64 v[140:141], v[140:141], -v[152:153]
	v_add_f64 v[142:143], v[142:143], -v[212:213]
	s_waitcnt lgkmcnt(0)
	v_mul_f64 v[152:153], v[220:221], v[154:155]
	v_mul_f64 v[212:213], v[218:219], v[154:155]
	s_delay_alu instid0(VALU_DEP_2) | instskip(NEXT) | instid1(VALU_DEP_2)
	v_fma_f64 v[152:153], v[218:219], v[216:217], -v[152:153]
	v_fma_f64 v[212:213], v[220:221], v[216:217], v[212:213]
	ds_load_2addr_b64 v[218:221], v214 offset0:44 offset1:45
	v_add_f64 v[136:137], v[136:137], -v[152:153]
	v_add_f64 v[138:139], v[138:139], -v[212:213]
	s_waitcnt lgkmcnt(0)
	v_mul_f64 v[152:153], v[220:221], v[154:155]
	v_mul_f64 v[212:213], v[218:219], v[154:155]
	s_delay_alu instid0(VALU_DEP_2) | instskip(NEXT) | instid1(VALU_DEP_2)
	v_fma_f64 v[152:153], v[218:219], v[216:217], -v[152:153]
	v_fma_f64 v[212:213], v[220:221], v[216:217], v[212:213]
	ds_load_2addr_b64 v[218:221], v214 offset0:46 offset1:47
	v_add_f64 v[132:133], v[132:133], -v[152:153]
	v_add_f64 v[134:135], v[134:135], -v[212:213]
	s_waitcnt lgkmcnt(0)
	v_mul_f64 v[152:153], v[220:221], v[154:155]
	v_mul_f64 v[212:213], v[218:219], v[154:155]
	s_delay_alu instid0(VALU_DEP_2) | instskip(NEXT) | instid1(VALU_DEP_2)
	v_fma_f64 v[152:153], v[218:219], v[216:217], -v[152:153]
	v_fma_f64 v[212:213], v[220:221], v[216:217], v[212:213]
	ds_load_2addr_b64 v[218:221], v214 offset0:48 offset1:49
	v_add_f64 v[128:129], v[128:129], -v[152:153]
	v_add_f64 v[130:131], v[130:131], -v[212:213]
	s_waitcnt lgkmcnt(0)
	v_mul_f64 v[152:153], v[220:221], v[154:155]
	v_mul_f64 v[212:213], v[218:219], v[154:155]
	s_delay_alu instid0(VALU_DEP_2) | instskip(NEXT) | instid1(VALU_DEP_2)
	v_fma_f64 v[152:153], v[218:219], v[216:217], -v[152:153]
	v_fma_f64 v[212:213], v[220:221], v[216:217], v[212:213]
	ds_load_2addr_b64 v[218:221], v214 offset0:50 offset1:51
	v_add_f64 v[124:125], v[124:125], -v[152:153]
	v_add_f64 v[126:127], v[126:127], -v[212:213]
	s_waitcnt lgkmcnt(0)
	v_mul_f64 v[152:153], v[220:221], v[154:155]
	v_mul_f64 v[212:213], v[218:219], v[154:155]
	s_delay_alu instid0(VALU_DEP_2) | instskip(NEXT) | instid1(VALU_DEP_2)
	v_fma_f64 v[152:153], v[218:219], v[216:217], -v[152:153]
	v_fma_f64 v[212:213], v[220:221], v[216:217], v[212:213]
	ds_load_2addr_b64 v[218:221], v214 offset0:52 offset1:53
	v_add_f64 v[120:121], v[120:121], -v[152:153]
	v_add_f64 v[122:123], v[122:123], -v[212:213]
	s_waitcnt lgkmcnt(0)
	v_mul_f64 v[152:153], v[220:221], v[154:155]
	v_mul_f64 v[212:213], v[218:219], v[154:155]
	s_delay_alu instid0(VALU_DEP_2) | instskip(NEXT) | instid1(VALU_DEP_2)
	v_fma_f64 v[152:153], v[218:219], v[216:217], -v[152:153]
	v_fma_f64 v[212:213], v[220:221], v[216:217], v[212:213]
	ds_load_2addr_b64 v[218:221], v214 offset0:54 offset1:55
	v_add_f64 v[116:117], v[116:117], -v[152:153]
	v_add_f64 v[118:119], v[118:119], -v[212:213]
	s_waitcnt lgkmcnt(0)
	v_mul_f64 v[152:153], v[220:221], v[154:155]
	v_mul_f64 v[212:213], v[218:219], v[154:155]
	s_delay_alu instid0(VALU_DEP_2) | instskip(NEXT) | instid1(VALU_DEP_2)
	v_fma_f64 v[152:153], v[218:219], v[216:217], -v[152:153]
	v_fma_f64 v[212:213], v[220:221], v[216:217], v[212:213]
	ds_load_2addr_b64 v[218:221], v214 offset0:56 offset1:57
	v_add_f64 v[112:113], v[112:113], -v[152:153]
	v_add_f64 v[114:115], v[114:115], -v[212:213]
	s_waitcnt lgkmcnt(0)
	v_mul_f64 v[152:153], v[220:221], v[154:155]
	v_mul_f64 v[212:213], v[218:219], v[154:155]
	s_delay_alu instid0(VALU_DEP_2) | instskip(NEXT) | instid1(VALU_DEP_2)
	v_fma_f64 v[152:153], v[218:219], v[216:217], -v[152:153]
	v_fma_f64 v[212:213], v[220:221], v[216:217], v[212:213]
	ds_load_2addr_b64 v[218:221], v214 offset0:58 offset1:59
	v_add_f64 v[108:109], v[108:109], -v[152:153]
	v_add_f64 v[110:111], v[110:111], -v[212:213]
	s_waitcnt lgkmcnt(0)
	v_mul_f64 v[152:153], v[220:221], v[154:155]
	v_mul_f64 v[212:213], v[218:219], v[154:155]
	s_delay_alu instid0(VALU_DEP_2) | instskip(NEXT) | instid1(VALU_DEP_2)
	v_fma_f64 v[152:153], v[218:219], v[216:217], -v[152:153]
	v_fma_f64 v[212:213], v[220:221], v[216:217], v[212:213]
	ds_load_2addr_b64 v[218:221], v214 offset0:60 offset1:61
	v_add_f64 v[104:105], v[104:105], -v[152:153]
	v_add_f64 v[106:107], v[106:107], -v[212:213]
	s_waitcnt lgkmcnt(0)
	v_mul_f64 v[152:153], v[220:221], v[154:155]
	v_mul_f64 v[212:213], v[218:219], v[154:155]
	s_delay_alu instid0(VALU_DEP_2) | instskip(NEXT) | instid1(VALU_DEP_2)
	v_fma_f64 v[152:153], v[218:219], v[216:217], -v[152:153]
	v_fma_f64 v[212:213], v[220:221], v[216:217], v[212:213]
	ds_load_2addr_b64 v[218:221], v214 offset0:62 offset1:63
	v_add_f64 v[100:101], v[100:101], -v[152:153]
	v_add_f64 v[102:103], v[102:103], -v[212:213]
	s_waitcnt lgkmcnt(0)
	v_mul_f64 v[152:153], v[220:221], v[154:155]
	v_mul_f64 v[212:213], v[218:219], v[154:155]
	s_delay_alu instid0(VALU_DEP_2) | instskip(NEXT) | instid1(VALU_DEP_2)
	v_fma_f64 v[152:153], v[218:219], v[216:217], -v[152:153]
	v_fma_f64 v[212:213], v[220:221], v[216:217], v[212:213]
	ds_load_2addr_b64 v[218:221], v214 offset0:64 offset1:65
	v_add_f64 v[96:97], v[96:97], -v[152:153]
	v_add_f64 v[98:99], v[98:99], -v[212:213]
	s_waitcnt lgkmcnt(0)
	v_mul_f64 v[152:153], v[220:221], v[154:155]
	v_mul_f64 v[212:213], v[218:219], v[154:155]
	s_delay_alu instid0(VALU_DEP_2) | instskip(NEXT) | instid1(VALU_DEP_2)
	v_fma_f64 v[152:153], v[218:219], v[216:217], -v[152:153]
	v_fma_f64 v[212:213], v[220:221], v[216:217], v[212:213]
	ds_load_2addr_b64 v[218:221], v214 offset0:66 offset1:67
	v_add_f64 v[92:93], v[92:93], -v[152:153]
	v_add_f64 v[94:95], v[94:95], -v[212:213]
	s_waitcnt lgkmcnt(0)
	v_mul_f64 v[152:153], v[220:221], v[154:155]
	v_mul_f64 v[212:213], v[218:219], v[154:155]
	s_delay_alu instid0(VALU_DEP_2) | instskip(NEXT) | instid1(VALU_DEP_2)
	v_fma_f64 v[152:153], v[218:219], v[216:217], -v[152:153]
	v_fma_f64 v[212:213], v[220:221], v[216:217], v[212:213]
	ds_load_2addr_b64 v[218:221], v214 offset0:68 offset1:69
	v_add_f64 v[88:89], v[88:89], -v[152:153]
	v_add_f64 v[90:91], v[90:91], -v[212:213]
	s_waitcnt lgkmcnt(0)
	v_mul_f64 v[152:153], v[220:221], v[154:155]
	v_mul_f64 v[212:213], v[218:219], v[154:155]
	s_delay_alu instid0(VALU_DEP_2) | instskip(NEXT) | instid1(VALU_DEP_2)
	v_fma_f64 v[152:153], v[218:219], v[216:217], -v[152:153]
	v_fma_f64 v[212:213], v[220:221], v[216:217], v[212:213]
	ds_load_2addr_b64 v[218:221], v214 offset0:70 offset1:71
	v_add_f64 v[84:85], v[84:85], -v[152:153]
	v_add_f64 v[86:87], v[86:87], -v[212:213]
	s_waitcnt lgkmcnt(0)
	v_mul_f64 v[152:153], v[220:221], v[154:155]
	v_mul_f64 v[212:213], v[218:219], v[154:155]
	s_delay_alu instid0(VALU_DEP_2) | instskip(NEXT) | instid1(VALU_DEP_2)
	v_fma_f64 v[152:153], v[218:219], v[216:217], -v[152:153]
	v_fma_f64 v[212:213], v[220:221], v[216:217], v[212:213]
	ds_load_2addr_b64 v[218:221], v214 offset0:72 offset1:73
	v_add_f64 v[80:81], v[80:81], -v[152:153]
	v_add_f64 v[82:83], v[82:83], -v[212:213]
	s_waitcnt lgkmcnt(0)
	v_mul_f64 v[152:153], v[220:221], v[154:155]
	v_mul_f64 v[212:213], v[218:219], v[154:155]
	s_delay_alu instid0(VALU_DEP_2) | instskip(NEXT) | instid1(VALU_DEP_2)
	v_fma_f64 v[152:153], v[218:219], v[216:217], -v[152:153]
	v_fma_f64 v[212:213], v[220:221], v[216:217], v[212:213]
	ds_load_2addr_b64 v[218:221], v214 offset0:74 offset1:75
	v_add_f64 v[76:77], v[76:77], -v[152:153]
	v_add_f64 v[78:79], v[78:79], -v[212:213]
	s_waitcnt lgkmcnt(0)
	v_mul_f64 v[152:153], v[220:221], v[154:155]
	v_mul_f64 v[212:213], v[218:219], v[154:155]
	s_delay_alu instid0(VALU_DEP_2) | instskip(NEXT) | instid1(VALU_DEP_2)
	v_fma_f64 v[152:153], v[218:219], v[216:217], -v[152:153]
	v_fma_f64 v[212:213], v[220:221], v[216:217], v[212:213]
	ds_load_2addr_b64 v[218:221], v214 offset0:76 offset1:77
	v_add_f64 v[72:73], v[72:73], -v[152:153]
	v_add_f64 v[74:75], v[74:75], -v[212:213]
	s_waitcnt lgkmcnt(0)
	v_mul_f64 v[152:153], v[220:221], v[154:155]
	v_mul_f64 v[212:213], v[218:219], v[154:155]
	s_delay_alu instid0(VALU_DEP_2) | instskip(NEXT) | instid1(VALU_DEP_2)
	v_fma_f64 v[152:153], v[218:219], v[216:217], -v[152:153]
	v_fma_f64 v[212:213], v[220:221], v[216:217], v[212:213]
	ds_load_2addr_b64 v[218:221], v214 offset0:78 offset1:79
	v_add_f64 v[68:69], v[68:69], -v[152:153]
	v_add_f64 v[70:71], v[70:71], -v[212:213]
	s_waitcnt lgkmcnt(0)
	v_mul_f64 v[152:153], v[220:221], v[154:155]
	v_mul_f64 v[212:213], v[218:219], v[154:155]
	s_delay_alu instid0(VALU_DEP_2) | instskip(NEXT) | instid1(VALU_DEP_2)
	v_fma_f64 v[152:153], v[218:219], v[216:217], -v[152:153]
	v_fma_f64 v[212:213], v[220:221], v[216:217], v[212:213]
	ds_load_2addr_b64 v[218:221], v214 offset0:80 offset1:81
	v_add_f64 v[64:65], v[64:65], -v[152:153]
	v_add_f64 v[66:67], v[66:67], -v[212:213]
	s_waitcnt lgkmcnt(0)
	v_mul_f64 v[152:153], v[220:221], v[154:155]
	v_mul_f64 v[212:213], v[218:219], v[154:155]
	s_delay_alu instid0(VALU_DEP_2) | instskip(NEXT) | instid1(VALU_DEP_2)
	v_fma_f64 v[152:153], v[218:219], v[216:217], -v[152:153]
	v_fma_f64 v[212:213], v[220:221], v[216:217], v[212:213]
	ds_load_2addr_b64 v[218:221], v214 offset0:82 offset1:83
	v_add_f64 v[60:61], v[60:61], -v[152:153]
	v_add_f64 v[62:63], v[62:63], -v[212:213]
	s_waitcnt lgkmcnt(0)
	v_mul_f64 v[152:153], v[220:221], v[154:155]
	v_mul_f64 v[212:213], v[218:219], v[154:155]
	s_delay_alu instid0(VALU_DEP_2) | instskip(NEXT) | instid1(VALU_DEP_2)
	v_fma_f64 v[152:153], v[218:219], v[216:217], -v[152:153]
	v_fma_f64 v[212:213], v[220:221], v[216:217], v[212:213]
	ds_load_2addr_b64 v[218:221], v214 offset0:84 offset1:85
	v_add_f64 v[56:57], v[56:57], -v[152:153]
	v_add_f64 v[58:59], v[58:59], -v[212:213]
	s_waitcnt lgkmcnt(0)
	v_mul_f64 v[152:153], v[220:221], v[154:155]
	v_mul_f64 v[212:213], v[218:219], v[154:155]
	s_delay_alu instid0(VALU_DEP_2) | instskip(NEXT) | instid1(VALU_DEP_2)
	v_fma_f64 v[152:153], v[218:219], v[216:217], -v[152:153]
	v_fma_f64 v[212:213], v[220:221], v[216:217], v[212:213]
	ds_load_2addr_b64 v[218:221], v214 offset0:86 offset1:87
	v_add_f64 v[52:53], v[52:53], -v[152:153]
	v_add_f64 v[54:55], v[54:55], -v[212:213]
	s_waitcnt lgkmcnt(0)
	v_mul_f64 v[152:153], v[220:221], v[154:155]
	v_mul_f64 v[212:213], v[218:219], v[154:155]
	s_delay_alu instid0(VALU_DEP_2) | instskip(NEXT) | instid1(VALU_DEP_2)
	v_fma_f64 v[152:153], v[218:219], v[216:217], -v[152:153]
	v_fma_f64 v[212:213], v[220:221], v[216:217], v[212:213]
	ds_load_2addr_b64 v[218:221], v214 offset0:88 offset1:89
	v_add_f64 v[48:49], v[48:49], -v[152:153]
	v_add_f64 v[50:51], v[50:51], -v[212:213]
	s_waitcnt lgkmcnt(0)
	v_mul_f64 v[152:153], v[220:221], v[154:155]
	v_mul_f64 v[212:213], v[218:219], v[154:155]
	s_delay_alu instid0(VALU_DEP_2) | instskip(NEXT) | instid1(VALU_DEP_2)
	v_fma_f64 v[152:153], v[218:219], v[216:217], -v[152:153]
	v_fma_f64 v[212:213], v[220:221], v[216:217], v[212:213]
	ds_load_2addr_b64 v[218:221], v214 offset0:90 offset1:91
	v_add_f64 v[44:45], v[44:45], -v[152:153]
	v_add_f64 v[46:47], v[46:47], -v[212:213]
	s_waitcnt lgkmcnt(0)
	v_mul_f64 v[152:153], v[220:221], v[154:155]
	v_mul_f64 v[212:213], v[218:219], v[154:155]
	s_delay_alu instid0(VALU_DEP_2) | instskip(NEXT) | instid1(VALU_DEP_2)
	v_fma_f64 v[152:153], v[218:219], v[216:217], -v[152:153]
	v_fma_f64 v[212:213], v[220:221], v[216:217], v[212:213]
	ds_load_2addr_b64 v[218:221], v214 offset0:92 offset1:93
	v_add_f64 v[40:41], v[40:41], -v[152:153]
	v_add_f64 v[42:43], v[42:43], -v[212:213]
	s_waitcnt lgkmcnt(0)
	v_mul_f64 v[152:153], v[220:221], v[154:155]
	v_mul_f64 v[212:213], v[218:219], v[154:155]
	s_delay_alu instid0(VALU_DEP_2) | instskip(NEXT) | instid1(VALU_DEP_2)
	v_fma_f64 v[152:153], v[218:219], v[216:217], -v[152:153]
	v_fma_f64 v[212:213], v[220:221], v[216:217], v[212:213]
	ds_load_2addr_b64 v[218:221], v214 offset0:94 offset1:95
	v_add_f64 v[36:37], v[36:37], -v[152:153]
	v_add_f64 v[38:39], v[38:39], -v[212:213]
	s_waitcnt lgkmcnt(0)
	v_mul_f64 v[152:153], v[220:221], v[154:155]
	v_mul_f64 v[212:213], v[218:219], v[154:155]
	s_delay_alu instid0(VALU_DEP_2) | instskip(NEXT) | instid1(VALU_DEP_2)
	v_fma_f64 v[152:153], v[218:219], v[216:217], -v[152:153]
	v_fma_f64 v[212:213], v[220:221], v[216:217], v[212:213]
	ds_load_2addr_b64 v[218:221], v214 offset0:96 offset1:97
	v_add_f64 v[32:33], v[32:33], -v[152:153]
	v_add_f64 v[34:35], v[34:35], -v[212:213]
	s_waitcnt lgkmcnt(0)
	v_mul_f64 v[152:153], v[220:221], v[154:155]
	v_mul_f64 v[212:213], v[218:219], v[154:155]
	s_delay_alu instid0(VALU_DEP_2) | instskip(NEXT) | instid1(VALU_DEP_2)
	v_fma_f64 v[152:153], v[218:219], v[216:217], -v[152:153]
	v_fma_f64 v[212:213], v[220:221], v[216:217], v[212:213]
	ds_load_2addr_b64 v[218:221], v214 offset0:98 offset1:99
	v_add_f64 v[28:29], v[28:29], -v[152:153]
	v_add_f64 v[30:31], v[30:31], -v[212:213]
	s_waitcnt lgkmcnt(0)
	v_mul_f64 v[152:153], v[220:221], v[154:155]
	v_mul_f64 v[212:213], v[218:219], v[154:155]
	s_delay_alu instid0(VALU_DEP_2) | instskip(NEXT) | instid1(VALU_DEP_2)
	v_fma_f64 v[152:153], v[218:219], v[216:217], -v[152:153]
	v_fma_f64 v[212:213], v[220:221], v[216:217], v[212:213]
	ds_load_2addr_b64 v[218:221], v214 offset0:100 offset1:101
	v_add_f64 v[24:25], v[24:25], -v[152:153]
	v_add_f64 v[26:27], v[26:27], -v[212:213]
	s_waitcnt lgkmcnt(0)
	v_mul_f64 v[152:153], v[220:221], v[154:155]
	v_mul_f64 v[212:213], v[218:219], v[154:155]
	s_delay_alu instid0(VALU_DEP_2) | instskip(NEXT) | instid1(VALU_DEP_2)
	v_fma_f64 v[152:153], v[218:219], v[216:217], -v[152:153]
	v_fma_f64 v[212:213], v[220:221], v[216:217], v[212:213]
	ds_load_2addr_b64 v[218:221], v214 offset0:102 offset1:103
	v_add_f64 v[20:21], v[20:21], -v[152:153]
	v_add_f64 v[22:23], v[22:23], -v[212:213]
	s_waitcnt lgkmcnt(0)
	v_mul_f64 v[152:153], v[220:221], v[154:155]
	v_mul_f64 v[212:213], v[218:219], v[154:155]
	s_delay_alu instid0(VALU_DEP_2) | instskip(NEXT) | instid1(VALU_DEP_2)
	v_fma_f64 v[152:153], v[218:219], v[216:217], -v[152:153]
	v_fma_f64 v[212:213], v[220:221], v[216:217], v[212:213]
	ds_load_2addr_b64 v[218:221], v214 offset0:104 offset1:105
	v_add_f64 v[16:17], v[16:17], -v[152:153]
	v_add_f64 v[18:19], v[18:19], -v[212:213]
	s_waitcnt lgkmcnt(0)
	v_mul_f64 v[152:153], v[220:221], v[154:155]
	v_mul_f64 v[212:213], v[218:219], v[154:155]
	s_delay_alu instid0(VALU_DEP_2) | instskip(NEXT) | instid1(VALU_DEP_2)
	v_fma_f64 v[152:153], v[218:219], v[216:217], -v[152:153]
	v_fma_f64 v[212:213], v[220:221], v[216:217], v[212:213]
	ds_load_2addr_b64 v[218:221], v214 offset0:106 offset1:107
	v_add_f64 v[12:13], v[12:13], -v[152:153]
	v_add_f64 v[14:15], v[14:15], -v[212:213]
	s_waitcnt lgkmcnt(0)
	v_mul_f64 v[152:153], v[220:221], v[154:155]
	v_mul_f64 v[212:213], v[218:219], v[154:155]
	s_delay_alu instid0(VALU_DEP_2) | instskip(NEXT) | instid1(VALU_DEP_2)
	v_fma_f64 v[152:153], v[218:219], v[216:217], -v[152:153]
	v_fma_f64 v[212:213], v[220:221], v[216:217], v[212:213]
	ds_load_2addr_b64 v[218:221], v214 offset0:108 offset1:109
	v_add_f64 v[8:9], v[8:9], -v[152:153]
	v_add_f64 v[10:11], v[10:11], -v[212:213]
	s_waitcnt lgkmcnt(0)
	v_mul_f64 v[152:153], v[220:221], v[154:155]
	v_mul_f64 v[212:213], v[218:219], v[154:155]
	s_delay_alu instid0(VALU_DEP_2) | instskip(NEXT) | instid1(VALU_DEP_2)
	v_fma_f64 v[152:153], v[218:219], v[216:217], -v[152:153]
	v_fma_f64 v[212:213], v[220:221], v[216:217], v[212:213]
	ds_load_2addr_b64 v[218:221], v214 offset0:110 offset1:111
	v_add_f64 v[4:5], v[4:5], -v[152:153]
	v_add_f64 v[6:7], v[6:7], -v[212:213]
	s_waitcnt lgkmcnt(0)
	v_mul_f64 v[152:153], v[220:221], v[154:155]
	v_mul_f64 v[212:213], v[218:219], v[154:155]
	s_delay_alu instid0(VALU_DEP_2) | instskip(NEXT) | instid1(VALU_DEP_2)
	v_fma_f64 v[152:153], v[218:219], v[216:217], -v[152:153]
	v_fma_f64 v[212:213], v[220:221], v[216:217], v[212:213]
	s_delay_alu instid0(VALU_DEP_2) | instskip(NEXT) | instid1(VALU_DEP_2)
	v_add_f64 v[0:1], v[0:1], -v[152:153]
	v_add_f64 v[2:3], v[2:3], -v[212:213]
	v_dual_mov_b32 v152, v216 :: v_dual_mov_b32 v153, v217
.LBB111_163:
	s_or_b32 exec_lo, exec_lo, s3
	s_delay_alu instid0(SALU_CYCLE_1)
	s_mov_b32 s4, exec_lo
	s_waitcnt_vscnt null, 0x0
	s_barrier
	buffer_gl0_inv
	v_cmpx_eq_u32_e32 18, v248
	s_cbranch_execz .LBB111_170
; %bb.164:
	ds_store_2addr_b64 v251, v[148:149], v[150:151] offset1:1
	ds_store_2addr_b64 v214, v[144:145], v[146:147] offset0:38 offset1:39
	ds_store_2addr_b64 v214, v[140:141], v[142:143] offset0:40 offset1:41
	;; [unrolled: 1-line block ×37, first 2 shown]
	ds_load_2addr_b64 v[216:219], v251 offset1:1
	s_waitcnt lgkmcnt(0)
	v_cmp_neq_f64_e32 vcc_lo, 0, v[216:217]
	v_cmp_neq_f64_e64 s3, 0, v[218:219]
	s_delay_alu instid0(VALU_DEP_1) | instskip(NEXT) | instid1(SALU_CYCLE_1)
	s_or_b32 s3, vcc_lo, s3
	s_and_b32 exec_lo, exec_lo, s3
	s_cbranch_execz .LBB111_170
; %bb.165:
	v_cmp_gt_f64_e32 vcc_lo, 0, v[216:217]
	v_xor_b32_e32 v208, 0x80000000, v217
	s_delay_alu instid0(VALU_DEP_1) | instskip(SKIP_3) | instid1(VALU_DEP_1)
	v_cndmask_b32_e32 v213, v217, v208, vcc_lo
	v_cndmask_b32_e32 v212, v216, v216, vcc_lo
	v_cmp_gt_f64_e32 vcc_lo, 0, v[218:219]
	v_xor_b32_e32 v208, 0x80000000, v219
	v_dual_cndmask_b32 v220, v218, v218 :: v_dual_cndmask_b32 v221, v219, v208
	s_delay_alu instid0(VALU_DEP_1) | instskip(SKIP_1) | instid1(SALU_CYCLE_1)
	v_cmp_ngt_f64_e32 vcc_lo, v[212:213], v[220:221]
                                        ; implicit-def: $vgpr212_vgpr213
	s_and_saveexec_b32 s3, vcc_lo
	s_xor_b32 s3, exec_lo, s3
                                        ; implicit-def: $vgpr220_vgpr221_vgpr222_vgpr223
	s_cbranch_execz .LBB111_167
; %bb.166:
	v_div_scale_f64 v[212:213], null, v[218:219], v[218:219], v[216:217]
	v_div_scale_f64 v[224:225], vcc_lo, v[216:217], v[218:219], v[216:217]
	s_delay_alu instid0(VALU_DEP_2) | instskip(SKIP_2) | instid1(VALU_DEP_1)
	v_rcp_f64_e32 v[220:221], v[212:213]
	s_waitcnt_depctr 0xfff
	v_fma_f64 v[222:223], -v[212:213], v[220:221], 1.0
	v_fma_f64 v[220:221], v[220:221], v[222:223], v[220:221]
	s_delay_alu instid0(VALU_DEP_1) | instskip(NEXT) | instid1(VALU_DEP_1)
	v_fma_f64 v[222:223], -v[212:213], v[220:221], 1.0
	v_fma_f64 v[220:221], v[220:221], v[222:223], v[220:221]
	s_delay_alu instid0(VALU_DEP_1) | instskip(NEXT) | instid1(VALU_DEP_1)
	v_mul_f64 v[222:223], v[224:225], v[220:221]
	v_fma_f64 v[212:213], -v[212:213], v[222:223], v[224:225]
	s_delay_alu instid0(VALU_DEP_1) | instskip(NEXT) | instid1(VALU_DEP_1)
	v_div_fmas_f64 v[212:213], v[212:213], v[220:221], v[222:223]
	v_div_fixup_f64 v[212:213], v[212:213], v[218:219], v[216:217]
	s_delay_alu instid0(VALU_DEP_1) | instskip(NEXT) | instid1(VALU_DEP_1)
	v_fma_f64 v[216:217], v[216:217], v[212:213], v[218:219]
	v_div_scale_f64 v[218:219], null, v[216:217], v[216:217], 1.0
	s_delay_alu instid0(VALU_DEP_1) | instskip(SKIP_2) | instid1(VALU_DEP_1)
	v_rcp_f64_e32 v[220:221], v[218:219]
	s_waitcnt_depctr 0xfff
	v_fma_f64 v[222:223], -v[218:219], v[220:221], 1.0
	v_fma_f64 v[220:221], v[220:221], v[222:223], v[220:221]
	s_delay_alu instid0(VALU_DEP_1) | instskip(NEXT) | instid1(VALU_DEP_1)
	v_fma_f64 v[222:223], -v[218:219], v[220:221], 1.0
	v_fma_f64 v[220:221], v[220:221], v[222:223], v[220:221]
	v_div_scale_f64 v[222:223], vcc_lo, 1.0, v[216:217], 1.0
	s_delay_alu instid0(VALU_DEP_1) | instskip(NEXT) | instid1(VALU_DEP_1)
	v_mul_f64 v[224:225], v[222:223], v[220:221]
	v_fma_f64 v[218:219], -v[218:219], v[224:225], v[222:223]
	s_delay_alu instid0(VALU_DEP_1) | instskip(NEXT) | instid1(VALU_DEP_1)
	v_div_fmas_f64 v[218:219], v[218:219], v[220:221], v[224:225]
	v_div_fixup_f64 v[222:223], v[218:219], v[216:217], 1.0
                                        ; implicit-def: $vgpr216_vgpr217
	s_delay_alu instid0(VALU_DEP_1)
	v_mul_f64 v[212:213], v[212:213], v[222:223]
	v_xor_b32_e32 v223, 0x80000000, v223
.LBB111_167:
	s_and_not1_saveexec_b32 s3, s3
	s_cbranch_execz .LBB111_169
; %bb.168:
	v_div_scale_f64 v[212:213], null, v[216:217], v[216:217], v[218:219]
	v_div_scale_f64 v[224:225], vcc_lo, v[218:219], v[216:217], v[218:219]
	s_delay_alu instid0(VALU_DEP_2) | instskip(SKIP_2) | instid1(VALU_DEP_1)
	v_rcp_f64_e32 v[220:221], v[212:213]
	s_waitcnt_depctr 0xfff
	v_fma_f64 v[222:223], -v[212:213], v[220:221], 1.0
	v_fma_f64 v[220:221], v[220:221], v[222:223], v[220:221]
	s_delay_alu instid0(VALU_DEP_1) | instskip(NEXT) | instid1(VALU_DEP_1)
	v_fma_f64 v[222:223], -v[212:213], v[220:221], 1.0
	v_fma_f64 v[220:221], v[220:221], v[222:223], v[220:221]
	s_delay_alu instid0(VALU_DEP_1) | instskip(NEXT) | instid1(VALU_DEP_1)
	v_mul_f64 v[222:223], v[224:225], v[220:221]
	v_fma_f64 v[212:213], -v[212:213], v[222:223], v[224:225]
	s_delay_alu instid0(VALU_DEP_1) | instskip(NEXT) | instid1(VALU_DEP_1)
	v_div_fmas_f64 v[212:213], v[212:213], v[220:221], v[222:223]
	v_div_fixup_f64 v[220:221], v[212:213], v[216:217], v[218:219]
	s_delay_alu instid0(VALU_DEP_1) | instskip(NEXT) | instid1(VALU_DEP_1)
	v_fma_f64 v[212:213], v[218:219], v[220:221], v[216:217]
	v_div_scale_f64 v[216:217], null, v[212:213], v[212:213], 1.0
	s_delay_alu instid0(VALU_DEP_1) | instskip(SKIP_2) | instid1(VALU_DEP_1)
	v_rcp_f64_e32 v[218:219], v[216:217]
	s_waitcnt_depctr 0xfff
	v_fma_f64 v[222:223], -v[216:217], v[218:219], 1.0
	v_fma_f64 v[218:219], v[218:219], v[222:223], v[218:219]
	s_delay_alu instid0(VALU_DEP_1) | instskip(NEXT) | instid1(VALU_DEP_1)
	v_fma_f64 v[222:223], -v[216:217], v[218:219], 1.0
	v_fma_f64 v[218:219], v[218:219], v[222:223], v[218:219]
	v_div_scale_f64 v[222:223], vcc_lo, 1.0, v[212:213], 1.0
	s_delay_alu instid0(VALU_DEP_1) | instskip(NEXT) | instid1(VALU_DEP_1)
	v_mul_f64 v[224:225], v[222:223], v[218:219]
	v_fma_f64 v[216:217], -v[216:217], v[224:225], v[222:223]
	s_delay_alu instid0(VALU_DEP_1) | instskip(NEXT) | instid1(VALU_DEP_1)
	v_div_fmas_f64 v[216:217], v[216:217], v[218:219], v[224:225]
	v_div_fixup_f64 v[212:213], v[216:217], v[212:213], 1.0
	s_delay_alu instid0(VALU_DEP_1)
	v_mul_f64 v[222:223], v[220:221], -v[212:213]
.LBB111_169:
	s_or_b32 exec_lo, exec_lo, s3
	ds_store_2addr_b64 v251, v[212:213], v[222:223] offset1:1
.LBB111_170:
	s_or_b32 exec_lo, exec_lo, s4
	s_waitcnt lgkmcnt(0)
	s_barrier
	buffer_gl0_inv
	ds_load_2addr_b64 v[208:211], v251 offset1:1
	s_mov_b32 s3, exec_lo
	s_waitcnt lgkmcnt(0)
	scratch_store_b128 off, v[208:211], off offset:792 ; 16-byte Folded Spill
	v_cmpx_lt_u32_e32 18, v248
	s_cbranch_execz .LBB111_172
; %bb.171:
	scratch_load_b128 v[208:211], off, off offset:792 ; 16-byte Folded Reload
	ds_load_2addr_b64 v[218:221], v214 offset0:38 offset1:39
	s_waitcnt vmcnt(0)
	v_mul_f64 v[212:213], v[210:211], v[150:151]
	v_mul_f64 v[150:151], v[208:209], v[150:151]
	s_delay_alu instid0(VALU_DEP_2) | instskip(NEXT) | instid1(VALU_DEP_2)
	v_fma_f64 v[216:217], v[208:209], v[148:149], -v[212:213]
	v_fma_f64 v[150:151], v[210:211], v[148:149], v[150:151]
	s_waitcnt lgkmcnt(0)
	s_delay_alu instid0(VALU_DEP_1) | instskip(SKIP_1) | instid1(VALU_DEP_2)
	v_mul_f64 v[148:149], v[220:221], v[150:151]
	v_mul_f64 v[212:213], v[218:219], v[150:151]
	v_fma_f64 v[148:149], v[218:219], v[216:217], -v[148:149]
	s_delay_alu instid0(VALU_DEP_2)
	v_fma_f64 v[212:213], v[220:221], v[216:217], v[212:213]
	ds_load_2addr_b64 v[218:221], v214 offset0:40 offset1:41
	v_add_f64 v[144:145], v[144:145], -v[148:149]
	v_add_f64 v[146:147], v[146:147], -v[212:213]
	s_waitcnt lgkmcnt(0)
	v_mul_f64 v[148:149], v[220:221], v[150:151]
	v_mul_f64 v[212:213], v[218:219], v[150:151]
	s_delay_alu instid0(VALU_DEP_2) | instskip(NEXT) | instid1(VALU_DEP_2)
	v_fma_f64 v[148:149], v[218:219], v[216:217], -v[148:149]
	v_fma_f64 v[212:213], v[220:221], v[216:217], v[212:213]
	ds_load_2addr_b64 v[218:221], v214 offset0:42 offset1:43
	v_add_f64 v[140:141], v[140:141], -v[148:149]
	v_add_f64 v[142:143], v[142:143], -v[212:213]
	s_waitcnt lgkmcnt(0)
	v_mul_f64 v[148:149], v[220:221], v[150:151]
	v_mul_f64 v[212:213], v[218:219], v[150:151]
	s_delay_alu instid0(VALU_DEP_2) | instskip(NEXT) | instid1(VALU_DEP_2)
	v_fma_f64 v[148:149], v[218:219], v[216:217], -v[148:149]
	;; [unrolled: 9-line block ×36, first 2 shown]
	v_fma_f64 v[212:213], v[220:221], v[216:217], v[212:213]
	s_delay_alu instid0(VALU_DEP_2) | instskip(NEXT) | instid1(VALU_DEP_2)
	v_add_f64 v[0:1], v[0:1], -v[148:149]
	v_add_f64 v[2:3], v[2:3], -v[212:213]
	v_dual_mov_b32 v148, v216 :: v_dual_mov_b32 v149, v217
.LBB111_172:
	s_or_b32 exec_lo, exec_lo, s3
	s_delay_alu instid0(SALU_CYCLE_1)
	s_mov_b32 s4, exec_lo
	s_waitcnt_vscnt null, 0x0
	s_barrier
	buffer_gl0_inv
	v_cmpx_eq_u32_e32 19, v248
	s_cbranch_execz .LBB111_179
; %bb.173:
	ds_store_2addr_b64 v251, v[144:145], v[146:147] offset1:1
	ds_store_2addr_b64 v214, v[140:141], v[142:143] offset0:40 offset1:41
	ds_store_2addr_b64 v214, v[136:137], v[138:139] offset0:42 offset1:43
	;; [unrolled: 1-line block ×36, first 2 shown]
	ds_load_2addr_b64 v[216:219], v251 offset1:1
	s_waitcnt lgkmcnt(0)
	v_cmp_neq_f64_e32 vcc_lo, 0, v[216:217]
	v_cmp_neq_f64_e64 s3, 0, v[218:219]
	s_delay_alu instid0(VALU_DEP_1) | instskip(NEXT) | instid1(SALU_CYCLE_1)
	s_or_b32 s3, vcc_lo, s3
	s_and_b32 exec_lo, exec_lo, s3
	s_cbranch_execz .LBB111_179
; %bb.174:
	v_cmp_gt_f64_e32 vcc_lo, 0, v[216:217]
	v_xor_b32_e32 v208, 0x80000000, v217
	s_delay_alu instid0(VALU_DEP_1) | instskip(SKIP_3) | instid1(VALU_DEP_1)
	v_cndmask_b32_e32 v213, v217, v208, vcc_lo
	v_cndmask_b32_e32 v212, v216, v216, vcc_lo
	v_cmp_gt_f64_e32 vcc_lo, 0, v[218:219]
	v_xor_b32_e32 v208, 0x80000000, v219
	v_dual_cndmask_b32 v220, v218, v218 :: v_dual_cndmask_b32 v221, v219, v208
	s_delay_alu instid0(VALU_DEP_1) | instskip(SKIP_1) | instid1(SALU_CYCLE_1)
	v_cmp_ngt_f64_e32 vcc_lo, v[212:213], v[220:221]
                                        ; implicit-def: $vgpr212_vgpr213
	s_and_saveexec_b32 s3, vcc_lo
	s_xor_b32 s3, exec_lo, s3
                                        ; implicit-def: $vgpr220_vgpr221_vgpr222_vgpr223
	s_cbranch_execz .LBB111_176
; %bb.175:
	v_div_scale_f64 v[212:213], null, v[218:219], v[218:219], v[216:217]
	v_div_scale_f64 v[224:225], vcc_lo, v[216:217], v[218:219], v[216:217]
	s_delay_alu instid0(VALU_DEP_2) | instskip(SKIP_2) | instid1(VALU_DEP_1)
	v_rcp_f64_e32 v[220:221], v[212:213]
	s_waitcnt_depctr 0xfff
	v_fma_f64 v[222:223], -v[212:213], v[220:221], 1.0
	v_fma_f64 v[220:221], v[220:221], v[222:223], v[220:221]
	s_delay_alu instid0(VALU_DEP_1) | instskip(NEXT) | instid1(VALU_DEP_1)
	v_fma_f64 v[222:223], -v[212:213], v[220:221], 1.0
	v_fma_f64 v[220:221], v[220:221], v[222:223], v[220:221]
	s_delay_alu instid0(VALU_DEP_1) | instskip(NEXT) | instid1(VALU_DEP_1)
	v_mul_f64 v[222:223], v[224:225], v[220:221]
	v_fma_f64 v[212:213], -v[212:213], v[222:223], v[224:225]
	s_delay_alu instid0(VALU_DEP_1) | instskip(NEXT) | instid1(VALU_DEP_1)
	v_div_fmas_f64 v[212:213], v[212:213], v[220:221], v[222:223]
	v_div_fixup_f64 v[212:213], v[212:213], v[218:219], v[216:217]
	s_delay_alu instid0(VALU_DEP_1) | instskip(NEXT) | instid1(VALU_DEP_1)
	v_fma_f64 v[216:217], v[216:217], v[212:213], v[218:219]
	v_div_scale_f64 v[218:219], null, v[216:217], v[216:217], 1.0
	s_delay_alu instid0(VALU_DEP_1) | instskip(SKIP_2) | instid1(VALU_DEP_1)
	v_rcp_f64_e32 v[220:221], v[218:219]
	s_waitcnt_depctr 0xfff
	v_fma_f64 v[222:223], -v[218:219], v[220:221], 1.0
	v_fma_f64 v[220:221], v[220:221], v[222:223], v[220:221]
	s_delay_alu instid0(VALU_DEP_1) | instskip(NEXT) | instid1(VALU_DEP_1)
	v_fma_f64 v[222:223], -v[218:219], v[220:221], 1.0
	v_fma_f64 v[220:221], v[220:221], v[222:223], v[220:221]
	v_div_scale_f64 v[222:223], vcc_lo, 1.0, v[216:217], 1.0
	s_delay_alu instid0(VALU_DEP_1) | instskip(NEXT) | instid1(VALU_DEP_1)
	v_mul_f64 v[224:225], v[222:223], v[220:221]
	v_fma_f64 v[218:219], -v[218:219], v[224:225], v[222:223]
	s_delay_alu instid0(VALU_DEP_1) | instskip(NEXT) | instid1(VALU_DEP_1)
	v_div_fmas_f64 v[218:219], v[218:219], v[220:221], v[224:225]
	v_div_fixup_f64 v[222:223], v[218:219], v[216:217], 1.0
                                        ; implicit-def: $vgpr216_vgpr217
	s_delay_alu instid0(VALU_DEP_1)
	v_mul_f64 v[212:213], v[212:213], v[222:223]
	v_xor_b32_e32 v223, 0x80000000, v223
.LBB111_176:
	s_and_not1_saveexec_b32 s3, s3
	s_cbranch_execz .LBB111_178
; %bb.177:
	v_div_scale_f64 v[212:213], null, v[216:217], v[216:217], v[218:219]
	v_div_scale_f64 v[224:225], vcc_lo, v[218:219], v[216:217], v[218:219]
	s_delay_alu instid0(VALU_DEP_2) | instskip(SKIP_2) | instid1(VALU_DEP_1)
	v_rcp_f64_e32 v[220:221], v[212:213]
	s_waitcnt_depctr 0xfff
	v_fma_f64 v[222:223], -v[212:213], v[220:221], 1.0
	v_fma_f64 v[220:221], v[220:221], v[222:223], v[220:221]
	s_delay_alu instid0(VALU_DEP_1) | instskip(NEXT) | instid1(VALU_DEP_1)
	v_fma_f64 v[222:223], -v[212:213], v[220:221], 1.0
	v_fma_f64 v[220:221], v[220:221], v[222:223], v[220:221]
	s_delay_alu instid0(VALU_DEP_1) | instskip(NEXT) | instid1(VALU_DEP_1)
	v_mul_f64 v[222:223], v[224:225], v[220:221]
	v_fma_f64 v[212:213], -v[212:213], v[222:223], v[224:225]
	s_delay_alu instid0(VALU_DEP_1) | instskip(NEXT) | instid1(VALU_DEP_1)
	v_div_fmas_f64 v[212:213], v[212:213], v[220:221], v[222:223]
	v_div_fixup_f64 v[220:221], v[212:213], v[216:217], v[218:219]
	s_delay_alu instid0(VALU_DEP_1) | instskip(NEXT) | instid1(VALU_DEP_1)
	v_fma_f64 v[212:213], v[218:219], v[220:221], v[216:217]
	v_div_scale_f64 v[216:217], null, v[212:213], v[212:213], 1.0
	s_delay_alu instid0(VALU_DEP_1) | instskip(SKIP_2) | instid1(VALU_DEP_1)
	v_rcp_f64_e32 v[218:219], v[216:217]
	s_waitcnt_depctr 0xfff
	v_fma_f64 v[222:223], -v[216:217], v[218:219], 1.0
	v_fma_f64 v[218:219], v[218:219], v[222:223], v[218:219]
	s_delay_alu instid0(VALU_DEP_1) | instskip(NEXT) | instid1(VALU_DEP_1)
	v_fma_f64 v[222:223], -v[216:217], v[218:219], 1.0
	v_fma_f64 v[218:219], v[218:219], v[222:223], v[218:219]
	v_div_scale_f64 v[222:223], vcc_lo, 1.0, v[212:213], 1.0
	s_delay_alu instid0(VALU_DEP_1) | instskip(NEXT) | instid1(VALU_DEP_1)
	v_mul_f64 v[224:225], v[222:223], v[218:219]
	v_fma_f64 v[216:217], -v[216:217], v[224:225], v[222:223]
	s_delay_alu instid0(VALU_DEP_1) | instskip(NEXT) | instid1(VALU_DEP_1)
	v_div_fmas_f64 v[216:217], v[216:217], v[218:219], v[224:225]
	v_div_fixup_f64 v[212:213], v[216:217], v[212:213], 1.0
	s_delay_alu instid0(VALU_DEP_1)
	v_mul_f64 v[222:223], v[220:221], -v[212:213]
.LBB111_178:
	s_or_b32 exec_lo, exec_lo, s3
	ds_store_2addr_b64 v251, v[212:213], v[222:223] offset1:1
.LBB111_179:
	s_or_b32 exec_lo, exec_lo, s4
	s_waitcnt lgkmcnt(0)
	s_barrier
	buffer_gl0_inv
	ds_load_2addr_b64 v[208:211], v251 offset1:1
	s_mov_b32 s3, exec_lo
	s_waitcnt lgkmcnt(0)
	scratch_store_b128 off, v[208:211], off offset:808 ; 16-byte Folded Spill
	v_cmpx_lt_u32_e32 19, v248
	s_cbranch_execz .LBB111_181
; %bb.180:
	scratch_load_b128 v[208:211], off, off offset:808 ; 16-byte Folded Reload
	ds_load_2addr_b64 v[218:221], v214 offset0:40 offset1:41
	s_waitcnt vmcnt(0)
	v_mul_f64 v[212:213], v[210:211], v[146:147]
	v_mul_f64 v[146:147], v[208:209], v[146:147]
	s_delay_alu instid0(VALU_DEP_2) | instskip(NEXT) | instid1(VALU_DEP_2)
	v_fma_f64 v[216:217], v[208:209], v[144:145], -v[212:213]
	v_fma_f64 v[146:147], v[210:211], v[144:145], v[146:147]
	s_waitcnt lgkmcnt(0)
	s_delay_alu instid0(VALU_DEP_1) | instskip(SKIP_1) | instid1(VALU_DEP_2)
	v_mul_f64 v[144:145], v[220:221], v[146:147]
	v_mul_f64 v[212:213], v[218:219], v[146:147]
	v_fma_f64 v[144:145], v[218:219], v[216:217], -v[144:145]
	s_delay_alu instid0(VALU_DEP_2)
	v_fma_f64 v[212:213], v[220:221], v[216:217], v[212:213]
	ds_load_2addr_b64 v[218:221], v214 offset0:42 offset1:43
	v_add_f64 v[140:141], v[140:141], -v[144:145]
	v_add_f64 v[142:143], v[142:143], -v[212:213]
	s_waitcnt lgkmcnt(0)
	v_mul_f64 v[144:145], v[220:221], v[146:147]
	v_mul_f64 v[212:213], v[218:219], v[146:147]
	s_delay_alu instid0(VALU_DEP_2) | instskip(NEXT) | instid1(VALU_DEP_2)
	v_fma_f64 v[144:145], v[218:219], v[216:217], -v[144:145]
	v_fma_f64 v[212:213], v[220:221], v[216:217], v[212:213]
	ds_load_2addr_b64 v[218:221], v214 offset0:44 offset1:45
	v_add_f64 v[136:137], v[136:137], -v[144:145]
	v_add_f64 v[138:139], v[138:139], -v[212:213]
	s_waitcnt lgkmcnt(0)
	v_mul_f64 v[144:145], v[220:221], v[146:147]
	v_mul_f64 v[212:213], v[218:219], v[146:147]
	s_delay_alu instid0(VALU_DEP_2) | instskip(NEXT) | instid1(VALU_DEP_2)
	v_fma_f64 v[144:145], v[218:219], v[216:217], -v[144:145]
	;; [unrolled: 9-line block ×35, first 2 shown]
	v_fma_f64 v[212:213], v[220:221], v[216:217], v[212:213]
	s_delay_alu instid0(VALU_DEP_2) | instskip(NEXT) | instid1(VALU_DEP_2)
	v_add_f64 v[0:1], v[0:1], -v[144:145]
	v_add_f64 v[2:3], v[2:3], -v[212:213]
	v_dual_mov_b32 v144, v216 :: v_dual_mov_b32 v145, v217
.LBB111_181:
	s_or_b32 exec_lo, exec_lo, s3
	s_delay_alu instid0(SALU_CYCLE_1)
	s_mov_b32 s4, exec_lo
	s_waitcnt_vscnt null, 0x0
	s_barrier
	buffer_gl0_inv
	v_cmpx_eq_u32_e32 20, v248
	s_cbranch_execz .LBB111_188
; %bb.182:
	ds_store_2addr_b64 v251, v[140:141], v[142:143] offset1:1
	ds_store_2addr_b64 v214, v[136:137], v[138:139] offset0:42 offset1:43
	ds_store_2addr_b64 v214, v[132:133], v[134:135] offset0:44 offset1:45
	;; [unrolled: 1-line block ×35, first 2 shown]
	ds_load_2addr_b64 v[216:219], v251 offset1:1
	s_waitcnt lgkmcnt(0)
	v_cmp_neq_f64_e32 vcc_lo, 0, v[216:217]
	v_cmp_neq_f64_e64 s3, 0, v[218:219]
	s_delay_alu instid0(VALU_DEP_1) | instskip(NEXT) | instid1(SALU_CYCLE_1)
	s_or_b32 s3, vcc_lo, s3
	s_and_b32 exec_lo, exec_lo, s3
	s_cbranch_execz .LBB111_188
; %bb.183:
	v_cmp_gt_f64_e32 vcc_lo, 0, v[216:217]
	v_xor_b32_e32 v208, 0x80000000, v217
	s_delay_alu instid0(VALU_DEP_1) | instskip(SKIP_3) | instid1(VALU_DEP_1)
	v_cndmask_b32_e32 v213, v217, v208, vcc_lo
	v_cndmask_b32_e32 v212, v216, v216, vcc_lo
	v_cmp_gt_f64_e32 vcc_lo, 0, v[218:219]
	v_xor_b32_e32 v208, 0x80000000, v219
	v_dual_cndmask_b32 v220, v218, v218 :: v_dual_cndmask_b32 v221, v219, v208
	s_delay_alu instid0(VALU_DEP_1) | instskip(SKIP_1) | instid1(SALU_CYCLE_1)
	v_cmp_ngt_f64_e32 vcc_lo, v[212:213], v[220:221]
                                        ; implicit-def: $vgpr212_vgpr213
	s_and_saveexec_b32 s3, vcc_lo
	s_xor_b32 s3, exec_lo, s3
                                        ; implicit-def: $vgpr220_vgpr221_vgpr222_vgpr223
	s_cbranch_execz .LBB111_185
; %bb.184:
	v_div_scale_f64 v[212:213], null, v[218:219], v[218:219], v[216:217]
	v_div_scale_f64 v[224:225], vcc_lo, v[216:217], v[218:219], v[216:217]
	s_delay_alu instid0(VALU_DEP_2) | instskip(SKIP_2) | instid1(VALU_DEP_1)
	v_rcp_f64_e32 v[220:221], v[212:213]
	s_waitcnt_depctr 0xfff
	v_fma_f64 v[222:223], -v[212:213], v[220:221], 1.0
	v_fma_f64 v[220:221], v[220:221], v[222:223], v[220:221]
	s_delay_alu instid0(VALU_DEP_1) | instskip(NEXT) | instid1(VALU_DEP_1)
	v_fma_f64 v[222:223], -v[212:213], v[220:221], 1.0
	v_fma_f64 v[220:221], v[220:221], v[222:223], v[220:221]
	s_delay_alu instid0(VALU_DEP_1) | instskip(NEXT) | instid1(VALU_DEP_1)
	v_mul_f64 v[222:223], v[224:225], v[220:221]
	v_fma_f64 v[212:213], -v[212:213], v[222:223], v[224:225]
	s_delay_alu instid0(VALU_DEP_1) | instskip(NEXT) | instid1(VALU_DEP_1)
	v_div_fmas_f64 v[212:213], v[212:213], v[220:221], v[222:223]
	v_div_fixup_f64 v[212:213], v[212:213], v[218:219], v[216:217]
	s_delay_alu instid0(VALU_DEP_1) | instskip(NEXT) | instid1(VALU_DEP_1)
	v_fma_f64 v[216:217], v[216:217], v[212:213], v[218:219]
	v_div_scale_f64 v[218:219], null, v[216:217], v[216:217], 1.0
	s_delay_alu instid0(VALU_DEP_1) | instskip(SKIP_2) | instid1(VALU_DEP_1)
	v_rcp_f64_e32 v[220:221], v[218:219]
	s_waitcnt_depctr 0xfff
	v_fma_f64 v[222:223], -v[218:219], v[220:221], 1.0
	v_fma_f64 v[220:221], v[220:221], v[222:223], v[220:221]
	s_delay_alu instid0(VALU_DEP_1) | instskip(NEXT) | instid1(VALU_DEP_1)
	v_fma_f64 v[222:223], -v[218:219], v[220:221], 1.0
	v_fma_f64 v[220:221], v[220:221], v[222:223], v[220:221]
	v_div_scale_f64 v[222:223], vcc_lo, 1.0, v[216:217], 1.0
	s_delay_alu instid0(VALU_DEP_1) | instskip(NEXT) | instid1(VALU_DEP_1)
	v_mul_f64 v[224:225], v[222:223], v[220:221]
	v_fma_f64 v[218:219], -v[218:219], v[224:225], v[222:223]
	s_delay_alu instid0(VALU_DEP_1) | instskip(NEXT) | instid1(VALU_DEP_1)
	v_div_fmas_f64 v[218:219], v[218:219], v[220:221], v[224:225]
	v_div_fixup_f64 v[222:223], v[218:219], v[216:217], 1.0
                                        ; implicit-def: $vgpr216_vgpr217
	s_delay_alu instid0(VALU_DEP_1)
	v_mul_f64 v[212:213], v[212:213], v[222:223]
	v_xor_b32_e32 v223, 0x80000000, v223
.LBB111_185:
	s_and_not1_saveexec_b32 s3, s3
	s_cbranch_execz .LBB111_187
; %bb.186:
	v_div_scale_f64 v[212:213], null, v[216:217], v[216:217], v[218:219]
	v_div_scale_f64 v[224:225], vcc_lo, v[218:219], v[216:217], v[218:219]
	s_delay_alu instid0(VALU_DEP_2) | instskip(SKIP_2) | instid1(VALU_DEP_1)
	v_rcp_f64_e32 v[220:221], v[212:213]
	s_waitcnt_depctr 0xfff
	v_fma_f64 v[222:223], -v[212:213], v[220:221], 1.0
	v_fma_f64 v[220:221], v[220:221], v[222:223], v[220:221]
	s_delay_alu instid0(VALU_DEP_1) | instskip(NEXT) | instid1(VALU_DEP_1)
	v_fma_f64 v[222:223], -v[212:213], v[220:221], 1.0
	v_fma_f64 v[220:221], v[220:221], v[222:223], v[220:221]
	s_delay_alu instid0(VALU_DEP_1) | instskip(NEXT) | instid1(VALU_DEP_1)
	v_mul_f64 v[222:223], v[224:225], v[220:221]
	v_fma_f64 v[212:213], -v[212:213], v[222:223], v[224:225]
	s_delay_alu instid0(VALU_DEP_1) | instskip(NEXT) | instid1(VALU_DEP_1)
	v_div_fmas_f64 v[212:213], v[212:213], v[220:221], v[222:223]
	v_div_fixup_f64 v[220:221], v[212:213], v[216:217], v[218:219]
	s_delay_alu instid0(VALU_DEP_1) | instskip(NEXT) | instid1(VALU_DEP_1)
	v_fma_f64 v[212:213], v[218:219], v[220:221], v[216:217]
	v_div_scale_f64 v[216:217], null, v[212:213], v[212:213], 1.0
	s_delay_alu instid0(VALU_DEP_1) | instskip(SKIP_2) | instid1(VALU_DEP_1)
	v_rcp_f64_e32 v[218:219], v[216:217]
	s_waitcnt_depctr 0xfff
	v_fma_f64 v[222:223], -v[216:217], v[218:219], 1.0
	v_fma_f64 v[218:219], v[218:219], v[222:223], v[218:219]
	s_delay_alu instid0(VALU_DEP_1) | instskip(NEXT) | instid1(VALU_DEP_1)
	v_fma_f64 v[222:223], -v[216:217], v[218:219], 1.0
	v_fma_f64 v[218:219], v[218:219], v[222:223], v[218:219]
	v_div_scale_f64 v[222:223], vcc_lo, 1.0, v[212:213], 1.0
	s_delay_alu instid0(VALU_DEP_1) | instskip(NEXT) | instid1(VALU_DEP_1)
	v_mul_f64 v[224:225], v[222:223], v[218:219]
	v_fma_f64 v[216:217], -v[216:217], v[224:225], v[222:223]
	s_delay_alu instid0(VALU_DEP_1) | instskip(NEXT) | instid1(VALU_DEP_1)
	v_div_fmas_f64 v[216:217], v[216:217], v[218:219], v[224:225]
	v_div_fixup_f64 v[212:213], v[216:217], v[212:213], 1.0
	s_delay_alu instid0(VALU_DEP_1)
	v_mul_f64 v[222:223], v[220:221], -v[212:213]
.LBB111_187:
	s_or_b32 exec_lo, exec_lo, s3
	ds_store_2addr_b64 v251, v[212:213], v[222:223] offset1:1
.LBB111_188:
	s_or_b32 exec_lo, exec_lo, s4
	s_waitcnt lgkmcnt(0)
	s_barrier
	buffer_gl0_inv
	ds_load_2addr_b64 v[208:211], v251 offset1:1
	s_mov_b32 s3, exec_lo
	s_waitcnt lgkmcnt(0)
	scratch_store_b128 off, v[208:211], off offset:824 ; 16-byte Folded Spill
	v_cmpx_lt_u32_e32 20, v248
	s_cbranch_execz .LBB111_190
; %bb.189:
	scratch_load_b128 v[208:211], off, off offset:824 ; 16-byte Folded Reload
	ds_load_2addr_b64 v[218:221], v214 offset0:42 offset1:43
	s_waitcnt vmcnt(0)
	v_mul_f64 v[212:213], v[210:211], v[142:143]
	v_mul_f64 v[142:143], v[208:209], v[142:143]
	s_delay_alu instid0(VALU_DEP_2) | instskip(NEXT) | instid1(VALU_DEP_2)
	v_fma_f64 v[216:217], v[208:209], v[140:141], -v[212:213]
	v_fma_f64 v[142:143], v[210:211], v[140:141], v[142:143]
	s_waitcnt lgkmcnt(0)
	s_delay_alu instid0(VALU_DEP_1) | instskip(SKIP_1) | instid1(VALU_DEP_2)
	v_mul_f64 v[140:141], v[220:221], v[142:143]
	v_mul_f64 v[212:213], v[218:219], v[142:143]
	v_fma_f64 v[140:141], v[218:219], v[216:217], -v[140:141]
	s_delay_alu instid0(VALU_DEP_2)
	v_fma_f64 v[212:213], v[220:221], v[216:217], v[212:213]
	ds_load_2addr_b64 v[218:221], v214 offset0:44 offset1:45
	v_add_f64 v[136:137], v[136:137], -v[140:141]
	v_add_f64 v[138:139], v[138:139], -v[212:213]
	s_waitcnt lgkmcnt(0)
	v_mul_f64 v[140:141], v[220:221], v[142:143]
	v_mul_f64 v[212:213], v[218:219], v[142:143]
	s_delay_alu instid0(VALU_DEP_2) | instskip(NEXT) | instid1(VALU_DEP_2)
	v_fma_f64 v[140:141], v[218:219], v[216:217], -v[140:141]
	v_fma_f64 v[212:213], v[220:221], v[216:217], v[212:213]
	ds_load_2addr_b64 v[218:221], v214 offset0:46 offset1:47
	v_add_f64 v[132:133], v[132:133], -v[140:141]
	v_add_f64 v[134:135], v[134:135], -v[212:213]
	s_waitcnt lgkmcnt(0)
	v_mul_f64 v[140:141], v[220:221], v[142:143]
	v_mul_f64 v[212:213], v[218:219], v[142:143]
	s_delay_alu instid0(VALU_DEP_2) | instskip(NEXT) | instid1(VALU_DEP_2)
	v_fma_f64 v[140:141], v[218:219], v[216:217], -v[140:141]
	;; [unrolled: 9-line block ×34, first 2 shown]
	v_fma_f64 v[212:213], v[220:221], v[216:217], v[212:213]
	s_delay_alu instid0(VALU_DEP_2) | instskip(NEXT) | instid1(VALU_DEP_2)
	v_add_f64 v[0:1], v[0:1], -v[140:141]
	v_add_f64 v[2:3], v[2:3], -v[212:213]
	v_dual_mov_b32 v140, v216 :: v_dual_mov_b32 v141, v217
.LBB111_190:
	s_or_b32 exec_lo, exec_lo, s3
	s_delay_alu instid0(SALU_CYCLE_1)
	s_mov_b32 s4, exec_lo
	s_waitcnt_vscnt null, 0x0
	s_barrier
	buffer_gl0_inv
	v_cmpx_eq_u32_e32 21, v248
	s_cbranch_execz .LBB111_197
; %bb.191:
	ds_store_2addr_b64 v251, v[136:137], v[138:139] offset1:1
	ds_store_2addr_b64 v214, v[132:133], v[134:135] offset0:44 offset1:45
	ds_store_2addr_b64 v214, v[128:129], v[130:131] offset0:46 offset1:47
	;; [unrolled: 1-line block ×34, first 2 shown]
	ds_load_2addr_b64 v[216:219], v251 offset1:1
	s_waitcnt lgkmcnt(0)
	v_cmp_neq_f64_e32 vcc_lo, 0, v[216:217]
	v_cmp_neq_f64_e64 s3, 0, v[218:219]
	s_delay_alu instid0(VALU_DEP_1) | instskip(NEXT) | instid1(SALU_CYCLE_1)
	s_or_b32 s3, vcc_lo, s3
	s_and_b32 exec_lo, exec_lo, s3
	s_cbranch_execz .LBB111_197
; %bb.192:
	v_cmp_gt_f64_e32 vcc_lo, 0, v[216:217]
	v_xor_b32_e32 v208, 0x80000000, v217
	s_delay_alu instid0(VALU_DEP_1) | instskip(SKIP_3) | instid1(VALU_DEP_1)
	v_cndmask_b32_e32 v213, v217, v208, vcc_lo
	v_cndmask_b32_e32 v212, v216, v216, vcc_lo
	v_cmp_gt_f64_e32 vcc_lo, 0, v[218:219]
	v_xor_b32_e32 v208, 0x80000000, v219
	v_dual_cndmask_b32 v220, v218, v218 :: v_dual_cndmask_b32 v221, v219, v208
	s_delay_alu instid0(VALU_DEP_1) | instskip(SKIP_1) | instid1(SALU_CYCLE_1)
	v_cmp_ngt_f64_e32 vcc_lo, v[212:213], v[220:221]
                                        ; implicit-def: $vgpr212_vgpr213
	s_and_saveexec_b32 s3, vcc_lo
	s_xor_b32 s3, exec_lo, s3
                                        ; implicit-def: $vgpr220_vgpr221_vgpr222_vgpr223
	s_cbranch_execz .LBB111_194
; %bb.193:
	v_div_scale_f64 v[212:213], null, v[218:219], v[218:219], v[216:217]
	v_div_scale_f64 v[224:225], vcc_lo, v[216:217], v[218:219], v[216:217]
	s_delay_alu instid0(VALU_DEP_2) | instskip(SKIP_2) | instid1(VALU_DEP_1)
	v_rcp_f64_e32 v[220:221], v[212:213]
	s_waitcnt_depctr 0xfff
	v_fma_f64 v[222:223], -v[212:213], v[220:221], 1.0
	v_fma_f64 v[220:221], v[220:221], v[222:223], v[220:221]
	s_delay_alu instid0(VALU_DEP_1) | instskip(NEXT) | instid1(VALU_DEP_1)
	v_fma_f64 v[222:223], -v[212:213], v[220:221], 1.0
	v_fma_f64 v[220:221], v[220:221], v[222:223], v[220:221]
	s_delay_alu instid0(VALU_DEP_1) | instskip(NEXT) | instid1(VALU_DEP_1)
	v_mul_f64 v[222:223], v[224:225], v[220:221]
	v_fma_f64 v[212:213], -v[212:213], v[222:223], v[224:225]
	s_delay_alu instid0(VALU_DEP_1) | instskip(NEXT) | instid1(VALU_DEP_1)
	v_div_fmas_f64 v[212:213], v[212:213], v[220:221], v[222:223]
	v_div_fixup_f64 v[212:213], v[212:213], v[218:219], v[216:217]
	s_delay_alu instid0(VALU_DEP_1) | instskip(NEXT) | instid1(VALU_DEP_1)
	v_fma_f64 v[216:217], v[216:217], v[212:213], v[218:219]
	v_div_scale_f64 v[218:219], null, v[216:217], v[216:217], 1.0
	s_delay_alu instid0(VALU_DEP_1) | instskip(SKIP_2) | instid1(VALU_DEP_1)
	v_rcp_f64_e32 v[220:221], v[218:219]
	s_waitcnt_depctr 0xfff
	v_fma_f64 v[222:223], -v[218:219], v[220:221], 1.0
	v_fma_f64 v[220:221], v[220:221], v[222:223], v[220:221]
	s_delay_alu instid0(VALU_DEP_1) | instskip(NEXT) | instid1(VALU_DEP_1)
	v_fma_f64 v[222:223], -v[218:219], v[220:221], 1.0
	v_fma_f64 v[220:221], v[220:221], v[222:223], v[220:221]
	v_div_scale_f64 v[222:223], vcc_lo, 1.0, v[216:217], 1.0
	s_delay_alu instid0(VALU_DEP_1) | instskip(NEXT) | instid1(VALU_DEP_1)
	v_mul_f64 v[224:225], v[222:223], v[220:221]
	v_fma_f64 v[218:219], -v[218:219], v[224:225], v[222:223]
	s_delay_alu instid0(VALU_DEP_1) | instskip(NEXT) | instid1(VALU_DEP_1)
	v_div_fmas_f64 v[218:219], v[218:219], v[220:221], v[224:225]
	v_div_fixup_f64 v[222:223], v[218:219], v[216:217], 1.0
                                        ; implicit-def: $vgpr216_vgpr217
	s_delay_alu instid0(VALU_DEP_1)
	v_mul_f64 v[212:213], v[212:213], v[222:223]
	v_xor_b32_e32 v223, 0x80000000, v223
.LBB111_194:
	s_and_not1_saveexec_b32 s3, s3
	s_cbranch_execz .LBB111_196
; %bb.195:
	v_div_scale_f64 v[212:213], null, v[216:217], v[216:217], v[218:219]
	v_div_scale_f64 v[224:225], vcc_lo, v[218:219], v[216:217], v[218:219]
	s_delay_alu instid0(VALU_DEP_2) | instskip(SKIP_2) | instid1(VALU_DEP_1)
	v_rcp_f64_e32 v[220:221], v[212:213]
	s_waitcnt_depctr 0xfff
	v_fma_f64 v[222:223], -v[212:213], v[220:221], 1.0
	v_fma_f64 v[220:221], v[220:221], v[222:223], v[220:221]
	s_delay_alu instid0(VALU_DEP_1) | instskip(NEXT) | instid1(VALU_DEP_1)
	v_fma_f64 v[222:223], -v[212:213], v[220:221], 1.0
	v_fma_f64 v[220:221], v[220:221], v[222:223], v[220:221]
	s_delay_alu instid0(VALU_DEP_1) | instskip(NEXT) | instid1(VALU_DEP_1)
	v_mul_f64 v[222:223], v[224:225], v[220:221]
	v_fma_f64 v[212:213], -v[212:213], v[222:223], v[224:225]
	s_delay_alu instid0(VALU_DEP_1) | instskip(NEXT) | instid1(VALU_DEP_1)
	v_div_fmas_f64 v[212:213], v[212:213], v[220:221], v[222:223]
	v_div_fixup_f64 v[220:221], v[212:213], v[216:217], v[218:219]
	s_delay_alu instid0(VALU_DEP_1) | instskip(NEXT) | instid1(VALU_DEP_1)
	v_fma_f64 v[212:213], v[218:219], v[220:221], v[216:217]
	v_div_scale_f64 v[216:217], null, v[212:213], v[212:213], 1.0
	s_delay_alu instid0(VALU_DEP_1) | instskip(SKIP_2) | instid1(VALU_DEP_1)
	v_rcp_f64_e32 v[218:219], v[216:217]
	s_waitcnt_depctr 0xfff
	v_fma_f64 v[222:223], -v[216:217], v[218:219], 1.0
	v_fma_f64 v[218:219], v[218:219], v[222:223], v[218:219]
	s_delay_alu instid0(VALU_DEP_1) | instskip(NEXT) | instid1(VALU_DEP_1)
	v_fma_f64 v[222:223], -v[216:217], v[218:219], 1.0
	v_fma_f64 v[218:219], v[218:219], v[222:223], v[218:219]
	v_div_scale_f64 v[222:223], vcc_lo, 1.0, v[212:213], 1.0
	s_delay_alu instid0(VALU_DEP_1) | instskip(NEXT) | instid1(VALU_DEP_1)
	v_mul_f64 v[224:225], v[222:223], v[218:219]
	v_fma_f64 v[216:217], -v[216:217], v[224:225], v[222:223]
	s_delay_alu instid0(VALU_DEP_1) | instskip(NEXT) | instid1(VALU_DEP_1)
	v_div_fmas_f64 v[216:217], v[216:217], v[218:219], v[224:225]
	v_div_fixup_f64 v[212:213], v[216:217], v[212:213], 1.0
	s_delay_alu instid0(VALU_DEP_1)
	v_mul_f64 v[222:223], v[220:221], -v[212:213]
.LBB111_196:
	s_or_b32 exec_lo, exec_lo, s3
	ds_store_2addr_b64 v251, v[212:213], v[222:223] offset1:1
.LBB111_197:
	s_or_b32 exec_lo, exec_lo, s4
	s_waitcnt lgkmcnt(0)
	s_barrier
	buffer_gl0_inv
	ds_load_2addr_b64 v[208:211], v251 offset1:1
	s_mov_b32 s3, exec_lo
	s_waitcnt lgkmcnt(0)
	scratch_store_b128 off, v[208:211], off offset:840 ; 16-byte Folded Spill
	v_cmpx_lt_u32_e32 21, v248
	s_cbranch_execz .LBB111_199
; %bb.198:
	scratch_load_b128 v[208:211], off, off offset:840 ; 16-byte Folded Reload
	ds_load_2addr_b64 v[218:221], v214 offset0:44 offset1:45
	s_waitcnt vmcnt(0)
	v_mul_f64 v[212:213], v[210:211], v[138:139]
	v_mul_f64 v[138:139], v[208:209], v[138:139]
	s_delay_alu instid0(VALU_DEP_2) | instskip(NEXT) | instid1(VALU_DEP_2)
	v_fma_f64 v[216:217], v[208:209], v[136:137], -v[212:213]
	v_fma_f64 v[138:139], v[210:211], v[136:137], v[138:139]
	s_waitcnt lgkmcnt(0)
	s_delay_alu instid0(VALU_DEP_1) | instskip(SKIP_1) | instid1(VALU_DEP_2)
	v_mul_f64 v[136:137], v[220:221], v[138:139]
	v_mul_f64 v[212:213], v[218:219], v[138:139]
	v_fma_f64 v[136:137], v[218:219], v[216:217], -v[136:137]
	s_delay_alu instid0(VALU_DEP_2)
	v_fma_f64 v[212:213], v[220:221], v[216:217], v[212:213]
	ds_load_2addr_b64 v[218:221], v214 offset0:46 offset1:47
	v_add_f64 v[132:133], v[132:133], -v[136:137]
	v_add_f64 v[134:135], v[134:135], -v[212:213]
	s_waitcnt lgkmcnt(0)
	v_mul_f64 v[136:137], v[220:221], v[138:139]
	v_mul_f64 v[212:213], v[218:219], v[138:139]
	s_delay_alu instid0(VALU_DEP_2) | instskip(NEXT) | instid1(VALU_DEP_2)
	v_fma_f64 v[136:137], v[218:219], v[216:217], -v[136:137]
	v_fma_f64 v[212:213], v[220:221], v[216:217], v[212:213]
	ds_load_2addr_b64 v[218:221], v214 offset0:48 offset1:49
	v_add_f64 v[128:129], v[128:129], -v[136:137]
	v_add_f64 v[130:131], v[130:131], -v[212:213]
	s_waitcnt lgkmcnt(0)
	v_mul_f64 v[136:137], v[220:221], v[138:139]
	v_mul_f64 v[212:213], v[218:219], v[138:139]
	s_delay_alu instid0(VALU_DEP_2) | instskip(NEXT) | instid1(VALU_DEP_2)
	v_fma_f64 v[136:137], v[218:219], v[216:217], -v[136:137]
	;; [unrolled: 9-line block ×33, first 2 shown]
	v_fma_f64 v[212:213], v[220:221], v[216:217], v[212:213]
	s_delay_alu instid0(VALU_DEP_2) | instskip(NEXT) | instid1(VALU_DEP_2)
	v_add_f64 v[0:1], v[0:1], -v[136:137]
	v_add_f64 v[2:3], v[2:3], -v[212:213]
	v_dual_mov_b32 v136, v216 :: v_dual_mov_b32 v137, v217
.LBB111_199:
	s_or_b32 exec_lo, exec_lo, s3
	s_delay_alu instid0(SALU_CYCLE_1)
	s_mov_b32 s4, exec_lo
	s_waitcnt_vscnt null, 0x0
	s_barrier
	buffer_gl0_inv
	v_cmpx_eq_u32_e32 22, v248
	s_cbranch_execz .LBB111_206
; %bb.200:
	ds_store_2addr_b64 v251, v[132:133], v[134:135] offset1:1
	ds_store_2addr_b64 v214, v[128:129], v[130:131] offset0:46 offset1:47
	ds_store_2addr_b64 v214, v[124:125], v[126:127] offset0:48 offset1:49
	;; [unrolled: 1-line block ×33, first 2 shown]
	ds_load_2addr_b64 v[216:219], v251 offset1:1
	s_waitcnt lgkmcnt(0)
	v_cmp_neq_f64_e32 vcc_lo, 0, v[216:217]
	v_cmp_neq_f64_e64 s3, 0, v[218:219]
	s_delay_alu instid0(VALU_DEP_1) | instskip(NEXT) | instid1(SALU_CYCLE_1)
	s_or_b32 s3, vcc_lo, s3
	s_and_b32 exec_lo, exec_lo, s3
	s_cbranch_execz .LBB111_206
; %bb.201:
	v_cmp_gt_f64_e32 vcc_lo, 0, v[216:217]
	v_xor_b32_e32 v208, 0x80000000, v217
	s_delay_alu instid0(VALU_DEP_1) | instskip(SKIP_3) | instid1(VALU_DEP_1)
	v_cndmask_b32_e32 v213, v217, v208, vcc_lo
	v_cndmask_b32_e32 v212, v216, v216, vcc_lo
	v_cmp_gt_f64_e32 vcc_lo, 0, v[218:219]
	v_xor_b32_e32 v208, 0x80000000, v219
	v_dual_cndmask_b32 v220, v218, v218 :: v_dual_cndmask_b32 v221, v219, v208
	s_delay_alu instid0(VALU_DEP_1) | instskip(SKIP_1) | instid1(SALU_CYCLE_1)
	v_cmp_ngt_f64_e32 vcc_lo, v[212:213], v[220:221]
                                        ; implicit-def: $vgpr212_vgpr213
	s_and_saveexec_b32 s3, vcc_lo
	s_xor_b32 s3, exec_lo, s3
                                        ; implicit-def: $vgpr220_vgpr221_vgpr222_vgpr223
	s_cbranch_execz .LBB111_203
; %bb.202:
	v_div_scale_f64 v[212:213], null, v[218:219], v[218:219], v[216:217]
	v_div_scale_f64 v[224:225], vcc_lo, v[216:217], v[218:219], v[216:217]
	s_delay_alu instid0(VALU_DEP_2) | instskip(SKIP_2) | instid1(VALU_DEP_1)
	v_rcp_f64_e32 v[220:221], v[212:213]
	s_waitcnt_depctr 0xfff
	v_fma_f64 v[222:223], -v[212:213], v[220:221], 1.0
	v_fma_f64 v[220:221], v[220:221], v[222:223], v[220:221]
	s_delay_alu instid0(VALU_DEP_1) | instskip(NEXT) | instid1(VALU_DEP_1)
	v_fma_f64 v[222:223], -v[212:213], v[220:221], 1.0
	v_fma_f64 v[220:221], v[220:221], v[222:223], v[220:221]
	s_delay_alu instid0(VALU_DEP_1) | instskip(NEXT) | instid1(VALU_DEP_1)
	v_mul_f64 v[222:223], v[224:225], v[220:221]
	v_fma_f64 v[212:213], -v[212:213], v[222:223], v[224:225]
	s_delay_alu instid0(VALU_DEP_1) | instskip(NEXT) | instid1(VALU_DEP_1)
	v_div_fmas_f64 v[212:213], v[212:213], v[220:221], v[222:223]
	v_div_fixup_f64 v[212:213], v[212:213], v[218:219], v[216:217]
	s_delay_alu instid0(VALU_DEP_1) | instskip(NEXT) | instid1(VALU_DEP_1)
	v_fma_f64 v[216:217], v[216:217], v[212:213], v[218:219]
	v_div_scale_f64 v[218:219], null, v[216:217], v[216:217], 1.0
	s_delay_alu instid0(VALU_DEP_1) | instskip(SKIP_2) | instid1(VALU_DEP_1)
	v_rcp_f64_e32 v[220:221], v[218:219]
	s_waitcnt_depctr 0xfff
	v_fma_f64 v[222:223], -v[218:219], v[220:221], 1.0
	v_fma_f64 v[220:221], v[220:221], v[222:223], v[220:221]
	s_delay_alu instid0(VALU_DEP_1) | instskip(NEXT) | instid1(VALU_DEP_1)
	v_fma_f64 v[222:223], -v[218:219], v[220:221], 1.0
	v_fma_f64 v[220:221], v[220:221], v[222:223], v[220:221]
	v_div_scale_f64 v[222:223], vcc_lo, 1.0, v[216:217], 1.0
	s_delay_alu instid0(VALU_DEP_1) | instskip(NEXT) | instid1(VALU_DEP_1)
	v_mul_f64 v[224:225], v[222:223], v[220:221]
	v_fma_f64 v[218:219], -v[218:219], v[224:225], v[222:223]
	s_delay_alu instid0(VALU_DEP_1) | instskip(NEXT) | instid1(VALU_DEP_1)
	v_div_fmas_f64 v[218:219], v[218:219], v[220:221], v[224:225]
	v_div_fixup_f64 v[222:223], v[218:219], v[216:217], 1.0
                                        ; implicit-def: $vgpr216_vgpr217
	s_delay_alu instid0(VALU_DEP_1)
	v_mul_f64 v[212:213], v[212:213], v[222:223]
	v_xor_b32_e32 v223, 0x80000000, v223
.LBB111_203:
	s_and_not1_saveexec_b32 s3, s3
	s_cbranch_execz .LBB111_205
; %bb.204:
	v_div_scale_f64 v[212:213], null, v[216:217], v[216:217], v[218:219]
	v_div_scale_f64 v[224:225], vcc_lo, v[218:219], v[216:217], v[218:219]
	s_delay_alu instid0(VALU_DEP_2) | instskip(SKIP_2) | instid1(VALU_DEP_1)
	v_rcp_f64_e32 v[220:221], v[212:213]
	s_waitcnt_depctr 0xfff
	v_fma_f64 v[222:223], -v[212:213], v[220:221], 1.0
	v_fma_f64 v[220:221], v[220:221], v[222:223], v[220:221]
	s_delay_alu instid0(VALU_DEP_1) | instskip(NEXT) | instid1(VALU_DEP_1)
	v_fma_f64 v[222:223], -v[212:213], v[220:221], 1.0
	v_fma_f64 v[220:221], v[220:221], v[222:223], v[220:221]
	s_delay_alu instid0(VALU_DEP_1) | instskip(NEXT) | instid1(VALU_DEP_1)
	v_mul_f64 v[222:223], v[224:225], v[220:221]
	v_fma_f64 v[212:213], -v[212:213], v[222:223], v[224:225]
	s_delay_alu instid0(VALU_DEP_1) | instskip(NEXT) | instid1(VALU_DEP_1)
	v_div_fmas_f64 v[212:213], v[212:213], v[220:221], v[222:223]
	v_div_fixup_f64 v[220:221], v[212:213], v[216:217], v[218:219]
	s_delay_alu instid0(VALU_DEP_1) | instskip(NEXT) | instid1(VALU_DEP_1)
	v_fma_f64 v[212:213], v[218:219], v[220:221], v[216:217]
	v_div_scale_f64 v[216:217], null, v[212:213], v[212:213], 1.0
	s_delay_alu instid0(VALU_DEP_1) | instskip(SKIP_2) | instid1(VALU_DEP_1)
	v_rcp_f64_e32 v[218:219], v[216:217]
	s_waitcnt_depctr 0xfff
	v_fma_f64 v[222:223], -v[216:217], v[218:219], 1.0
	v_fma_f64 v[218:219], v[218:219], v[222:223], v[218:219]
	s_delay_alu instid0(VALU_DEP_1) | instskip(NEXT) | instid1(VALU_DEP_1)
	v_fma_f64 v[222:223], -v[216:217], v[218:219], 1.0
	v_fma_f64 v[218:219], v[218:219], v[222:223], v[218:219]
	v_div_scale_f64 v[222:223], vcc_lo, 1.0, v[212:213], 1.0
	s_delay_alu instid0(VALU_DEP_1) | instskip(NEXT) | instid1(VALU_DEP_1)
	v_mul_f64 v[224:225], v[222:223], v[218:219]
	v_fma_f64 v[216:217], -v[216:217], v[224:225], v[222:223]
	s_delay_alu instid0(VALU_DEP_1) | instskip(NEXT) | instid1(VALU_DEP_1)
	v_div_fmas_f64 v[216:217], v[216:217], v[218:219], v[224:225]
	v_div_fixup_f64 v[212:213], v[216:217], v[212:213], 1.0
	s_delay_alu instid0(VALU_DEP_1)
	v_mul_f64 v[222:223], v[220:221], -v[212:213]
.LBB111_205:
	s_or_b32 exec_lo, exec_lo, s3
	ds_store_2addr_b64 v251, v[212:213], v[222:223] offset1:1
.LBB111_206:
	s_or_b32 exec_lo, exec_lo, s4
	s_waitcnt lgkmcnt(0)
	s_barrier
	buffer_gl0_inv
	ds_load_2addr_b64 v[208:211], v251 offset1:1
	s_mov_b32 s3, exec_lo
	s_waitcnt lgkmcnt(0)
	scratch_store_b128 off, v[208:211], off offset:856 ; 16-byte Folded Spill
	v_cmpx_lt_u32_e32 22, v248
	s_cbranch_execz .LBB111_208
; %bb.207:
	scratch_load_b128 v[208:211], off, off offset:856 ; 16-byte Folded Reload
	ds_load_2addr_b64 v[218:221], v214 offset0:46 offset1:47
	s_waitcnt vmcnt(0)
	v_mul_f64 v[212:213], v[210:211], v[134:135]
	v_mul_f64 v[134:135], v[208:209], v[134:135]
	s_delay_alu instid0(VALU_DEP_2) | instskip(NEXT) | instid1(VALU_DEP_2)
	v_fma_f64 v[216:217], v[208:209], v[132:133], -v[212:213]
	v_fma_f64 v[134:135], v[210:211], v[132:133], v[134:135]
	s_waitcnt lgkmcnt(0)
	s_delay_alu instid0(VALU_DEP_1) | instskip(SKIP_1) | instid1(VALU_DEP_2)
	v_mul_f64 v[132:133], v[220:221], v[134:135]
	v_mul_f64 v[212:213], v[218:219], v[134:135]
	v_fma_f64 v[132:133], v[218:219], v[216:217], -v[132:133]
	s_delay_alu instid0(VALU_DEP_2)
	v_fma_f64 v[212:213], v[220:221], v[216:217], v[212:213]
	ds_load_2addr_b64 v[218:221], v214 offset0:48 offset1:49
	v_add_f64 v[128:129], v[128:129], -v[132:133]
	v_add_f64 v[130:131], v[130:131], -v[212:213]
	s_waitcnt lgkmcnt(0)
	v_mul_f64 v[132:133], v[220:221], v[134:135]
	v_mul_f64 v[212:213], v[218:219], v[134:135]
	s_delay_alu instid0(VALU_DEP_2) | instskip(NEXT) | instid1(VALU_DEP_2)
	v_fma_f64 v[132:133], v[218:219], v[216:217], -v[132:133]
	v_fma_f64 v[212:213], v[220:221], v[216:217], v[212:213]
	ds_load_2addr_b64 v[218:221], v214 offset0:50 offset1:51
	v_add_f64 v[124:125], v[124:125], -v[132:133]
	v_add_f64 v[126:127], v[126:127], -v[212:213]
	s_waitcnt lgkmcnt(0)
	v_mul_f64 v[132:133], v[220:221], v[134:135]
	v_mul_f64 v[212:213], v[218:219], v[134:135]
	s_delay_alu instid0(VALU_DEP_2) | instskip(NEXT) | instid1(VALU_DEP_2)
	v_fma_f64 v[132:133], v[218:219], v[216:217], -v[132:133]
	;; [unrolled: 9-line block ×32, first 2 shown]
	v_fma_f64 v[212:213], v[220:221], v[216:217], v[212:213]
	s_delay_alu instid0(VALU_DEP_2) | instskip(NEXT) | instid1(VALU_DEP_2)
	v_add_f64 v[0:1], v[0:1], -v[132:133]
	v_add_f64 v[2:3], v[2:3], -v[212:213]
	v_dual_mov_b32 v132, v216 :: v_dual_mov_b32 v133, v217
.LBB111_208:
	s_or_b32 exec_lo, exec_lo, s3
	s_delay_alu instid0(SALU_CYCLE_1)
	s_mov_b32 s4, exec_lo
	s_waitcnt_vscnt null, 0x0
	s_barrier
	buffer_gl0_inv
	v_cmpx_eq_u32_e32 23, v248
	s_cbranch_execz .LBB111_215
; %bb.209:
	ds_store_2addr_b64 v251, v[128:129], v[130:131] offset1:1
	ds_store_2addr_b64 v214, v[124:125], v[126:127] offset0:48 offset1:49
	ds_store_2addr_b64 v214, v[120:121], v[122:123] offset0:50 offset1:51
	;; [unrolled: 1-line block ×32, first 2 shown]
	ds_load_2addr_b64 v[216:219], v251 offset1:1
	s_waitcnt lgkmcnt(0)
	v_cmp_neq_f64_e32 vcc_lo, 0, v[216:217]
	v_cmp_neq_f64_e64 s3, 0, v[218:219]
	s_delay_alu instid0(VALU_DEP_1) | instskip(NEXT) | instid1(SALU_CYCLE_1)
	s_or_b32 s3, vcc_lo, s3
	s_and_b32 exec_lo, exec_lo, s3
	s_cbranch_execz .LBB111_215
; %bb.210:
	v_cmp_gt_f64_e32 vcc_lo, 0, v[216:217]
	v_xor_b32_e32 v208, 0x80000000, v217
	s_delay_alu instid0(VALU_DEP_1) | instskip(SKIP_3) | instid1(VALU_DEP_1)
	v_cndmask_b32_e32 v213, v217, v208, vcc_lo
	v_cndmask_b32_e32 v212, v216, v216, vcc_lo
	v_cmp_gt_f64_e32 vcc_lo, 0, v[218:219]
	v_xor_b32_e32 v208, 0x80000000, v219
	v_dual_cndmask_b32 v220, v218, v218 :: v_dual_cndmask_b32 v221, v219, v208
	s_delay_alu instid0(VALU_DEP_1) | instskip(SKIP_1) | instid1(SALU_CYCLE_1)
	v_cmp_ngt_f64_e32 vcc_lo, v[212:213], v[220:221]
                                        ; implicit-def: $vgpr212_vgpr213
	s_and_saveexec_b32 s3, vcc_lo
	s_xor_b32 s3, exec_lo, s3
                                        ; implicit-def: $vgpr220_vgpr221_vgpr222_vgpr223
	s_cbranch_execz .LBB111_212
; %bb.211:
	v_div_scale_f64 v[212:213], null, v[218:219], v[218:219], v[216:217]
	v_div_scale_f64 v[224:225], vcc_lo, v[216:217], v[218:219], v[216:217]
	s_delay_alu instid0(VALU_DEP_2) | instskip(SKIP_2) | instid1(VALU_DEP_1)
	v_rcp_f64_e32 v[220:221], v[212:213]
	s_waitcnt_depctr 0xfff
	v_fma_f64 v[222:223], -v[212:213], v[220:221], 1.0
	v_fma_f64 v[220:221], v[220:221], v[222:223], v[220:221]
	s_delay_alu instid0(VALU_DEP_1) | instskip(NEXT) | instid1(VALU_DEP_1)
	v_fma_f64 v[222:223], -v[212:213], v[220:221], 1.0
	v_fma_f64 v[220:221], v[220:221], v[222:223], v[220:221]
	s_delay_alu instid0(VALU_DEP_1) | instskip(NEXT) | instid1(VALU_DEP_1)
	v_mul_f64 v[222:223], v[224:225], v[220:221]
	v_fma_f64 v[212:213], -v[212:213], v[222:223], v[224:225]
	s_delay_alu instid0(VALU_DEP_1) | instskip(NEXT) | instid1(VALU_DEP_1)
	v_div_fmas_f64 v[212:213], v[212:213], v[220:221], v[222:223]
	v_div_fixup_f64 v[212:213], v[212:213], v[218:219], v[216:217]
	s_delay_alu instid0(VALU_DEP_1) | instskip(NEXT) | instid1(VALU_DEP_1)
	v_fma_f64 v[216:217], v[216:217], v[212:213], v[218:219]
	v_div_scale_f64 v[218:219], null, v[216:217], v[216:217], 1.0
	s_delay_alu instid0(VALU_DEP_1) | instskip(SKIP_2) | instid1(VALU_DEP_1)
	v_rcp_f64_e32 v[220:221], v[218:219]
	s_waitcnt_depctr 0xfff
	v_fma_f64 v[222:223], -v[218:219], v[220:221], 1.0
	v_fma_f64 v[220:221], v[220:221], v[222:223], v[220:221]
	s_delay_alu instid0(VALU_DEP_1) | instskip(NEXT) | instid1(VALU_DEP_1)
	v_fma_f64 v[222:223], -v[218:219], v[220:221], 1.0
	v_fma_f64 v[220:221], v[220:221], v[222:223], v[220:221]
	v_div_scale_f64 v[222:223], vcc_lo, 1.0, v[216:217], 1.0
	s_delay_alu instid0(VALU_DEP_1) | instskip(NEXT) | instid1(VALU_DEP_1)
	v_mul_f64 v[224:225], v[222:223], v[220:221]
	v_fma_f64 v[218:219], -v[218:219], v[224:225], v[222:223]
	s_delay_alu instid0(VALU_DEP_1) | instskip(NEXT) | instid1(VALU_DEP_1)
	v_div_fmas_f64 v[218:219], v[218:219], v[220:221], v[224:225]
	v_div_fixup_f64 v[222:223], v[218:219], v[216:217], 1.0
                                        ; implicit-def: $vgpr216_vgpr217
	s_delay_alu instid0(VALU_DEP_1)
	v_mul_f64 v[212:213], v[212:213], v[222:223]
	v_xor_b32_e32 v223, 0x80000000, v223
.LBB111_212:
	s_and_not1_saveexec_b32 s3, s3
	s_cbranch_execz .LBB111_214
; %bb.213:
	v_div_scale_f64 v[212:213], null, v[216:217], v[216:217], v[218:219]
	v_div_scale_f64 v[224:225], vcc_lo, v[218:219], v[216:217], v[218:219]
	s_delay_alu instid0(VALU_DEP_2) | instskip(SKIP_2) | instid1(VALU_DEP_1)
	v_rcp_f64_e32 v[220:221], v[212:213]
	s_waitcnt_depctr 0xfff
	v_fma_f64 v[222:223], -v[212:213], v[220:221], 1.0
	v_fma_f64 v[220:221], v[220:221], v[222:223], v[220:221]
	s_delay_alu instid0(VALU_DEP_1) | instskip(NEXT) | instid1(VALU_DEP_1)
	v_fma_f64 v[222:223], -v[212:213], v[220:221], 1.0
	v_fma_f64 v[220:221], v[220:221], v[222:223], v[220:221]
	s_delay_alu instid0(VALU_DEP_1) | instskip(NEXT) | instid1(VALU_DEP_1)
	v_mul_f64 v[222:223], v[224:225], v[220:221]
	v_fma_f64 v[212:213], -v[212:213], v[222:223], v[224:225]
	s_delay_alu instid0(VALU_DEP_1) | instskip(NEXT) | instid1(VALU_DEP_1)
	v_div_fmas_f64 v[212:213], v[212:213], v[220:221], v[222:223]
	v_div_fixup_f64 v[220:221], v[212:213], v[216:217], v[218:219]
	s_delay_alu instid0(VALU_DEP_1) | instskip(NEXT) | instid1(VALU_DEP_1)
	v_fma_f64 v[212:213], v[218:219], v[220:221], v[216:217]
	v_div_scale_f64 v[216:217], null, v[212:213], v[212:213], 1.0
	s_delay_alu instid0(VALU_DEP_1) | instskip(SKIP_2) | instid1(VALU_DEP_1)
	v_rcp_f64_e32 v[218:219], v[216:217]
	s_waitcnt_depctr 0xfff
	v_fma_f64 v[222:223], -v[216:217], v[218:219], 1.0
	v_fma_f64 v[218:219], v[218:219], v[222:223], v[218:219]
	s_delay_alu instid0(VALU_DEP_1) | instskip(NEXT) | instid1(VALU_DEP_1)
	v_fma_f64 v[222:223], -v[216:217], v[218:219], 1.0
	v_fma_f64 v[218:219], v[218:219], v[222:223], v[218:219]
	v_div_scale_f64 v[222:223], vcc_lo, 1.0, v[212:213], 1.0
	s_delay_alu instid0(VALU_DEP_1) | instskip(NEXT) | instid1(VALU_DEP_1)
	v_mul_f64 v[224:225], v[222:223], v[218:219]
	v_fma_f64 v[216:217], -v[216:217], v[224:225], v[222:223]
	s_delay_alu instid0(VALU_DEP_1) | instskip(NEXT) | instid1(VALU_DEP_1)
	v_div_fmas_f64 v[216:217], v[216:217], v[218:219], v[224:225]
	v_div_fixup_f64 v[212:213], v[216:217], v[212:213], 1.0
	s_delay_alu instid0(VALU_DEP_1)
	v_mul_f64 v[222:223], v[220:221], -v[212:213]
.LBB111_214:
	s_or_b32 exec_lo, exec_lo, s3
	ds_store_2addr_b64 v251, v[212:213], v[222:223] offset1:1
.LBB111_215:
	s_or_b32 exec_lo, exec_lo, s4
	s_waitcnt lgkmcnt(0)
	s_barrier
	buffer_gl0_inv
	ds_load_2addr_b64 v[208:211], v251 offset1:1
	s_mov_b32 s3, exec_lo
	s_waitcnt lgkmcnt(0)
	scratch_store_b128 off, v[208:211], off offset:872 ; 16-byte Folded Spill
	v_cmpx_lt_u32_e32 23, v248
	s_cbranch_execz .LBB111_217
; %bb.216:
	scratch_load_b128 v[208:211], off, off offset:872 ; 16-byte Folded Reload
	ds_load_2addr_b64 v[218:221], v214 offset0:48 offset1:49
	s_waitcnt vmcnt(0)
	v_mul_f64 v[212:213], v[210:211], v[130:131]
	v_mul_f64 v[130:131], v[208:209], v[130:131]
	s_delay_alu instid0(VALU_DEP_2) | instskip(NEXT) | instid1(VALU_DEP_2)
	v_fma_f64 v[216:217], v[208:209], v[128:129], -v[212:213]
	v_fma_f64 v[130:131], v[210:211], v[128:129], v[130:131]
	s_waitcnt lgkmcnt(0)
	s_delay_alu instid0(VALU_DEP_1) | instskip(SKIP_1) | instid1(VALU_DEP_2)
	v_mul_f64 v[128:129], v[220:221], v[130:131]
	v_mul_f64 v[212:213], v[218:219], v[130:131]
	v_fma_f64 v[128:129], v[218:219], v[216:217], -v[128:129]
	s_delay_alu instid0(VALU_DEP_2)
	v_fma_f64 v[212:213], v[220:221], v[216:217], v[212:213]
	ds_load_2addr_b64 v[218:221], v214 offset0:50 offset1:51
	v_add_f64 v[124:125], v[124:125], -v[128:129]
	v_add_f64 v[126:127], v[126:127], -v[212:213]
	s_waitcnt lgkmcnt(0)
	v_mul_f64 v[128:129], v[220:221], v[130:131]
	v_mul_f64 v[212:213], v[218:219], v[130:131]
	s_delay_alu instid0(VALU_DEP_2) | instskip(NEXT) | instid1(VALU_DEP_2)
	v_fma_f64 v[128:129], v[218:219], v[216:217], -v[128:129]
	v_fma_f64 v[212:213], v[220:221], v[216:217], v[212:213]
	ds_load_2addr_b64 v[218:221], v214 offset0:52 offset1:53
	v_add_f64 v[120:121], v[120:121], -v[128:129]
	v_add_f64 v[122:123], v[122:123], -v[212:213]
	s_waitcnt lgkmcnt(0)
	v_mul_f64 v[128:129], v[220:221], v[130:131]
	v_mul_f64 v[212:213], v[218:219], v[130:131]
	s_delay_alu instid0(VALU_DEP_2) | instskip(NEXT) | instid1(VALU_DEP_2)
	v_fma_f64 v[128:129], v[218:219], v[216:217], -v[128:129]
	;; [unrolled: 9-line block ×31, first 2 shown]
	v_fma_f64 v[212:213], v[220:221], v[216:217], v[212:213]
	s_delay_alu instid0(VALU_DEP_2) | instskip(NEXT) | instid1(VALU_DEP_2)
	v_add_f64 v[0:1], v[0:1], -v[128:129]
	v_add_f64 v[2:3], v[2:3], -v[212:213]
	v_dual_mov_b32 v128, v216 :: v_dual_mov_b32 v129, v217
.LBB111_217:
	s_or_b32 exec_lo, exec_lo, s3
	s_delay_alu instid0(SALU_CYCLE_1)
	s_mov_b32 s4, exec_lo
	s_waitcnt_vscnt null, 0x0
	s_barrier
	buffer_gl0_inv
	v_cmpx_eq_u32_e32 24, v248
	s_cbranch_execz .LBB111_224
; %bb.218:
	ds_store_2addr_b64 v251, v[124:125], v[126:127] offset1:1
	ds_store_2addr_b64 v214, v[120:121], v[122:123] offset0:50 offset1:51
	ds_store_2addr_b64 v214, v[116:117], v[118:119] offset0:52 offset1:53
	;; [unrolled: 1-line block ×31, first 2 shown]
	ds_load_2addr_b64 v[216:219], v251 offset1:1
	s_waitcnt lgkmcnt(0)
	v_cmp_neq_f64_e32 vcc_lo, 0, v[216:217]
	v_cmp_neq_f64_e64 s3, 0, v[218:219]
	s_delay_alu instid0(VALU_DEP_1) | instskip(NEXT) | instid1(SALU_CYCLE_1)
	s_or_b32 s3, vcc_lo, s3
	s_and_b32 exec_lo, exec_lo, s3
	s_cbranch_execz .LBB111_224
; %bb.219:
	v_cmp_gt_f64_e32 vcc_lo, 0, v[216:217]
	v_xor_b32_e32 v208, 0x80000000, v217
	s_delay_alu instid0(VALU_DEP_1) | instskip(SKIP_3) | instid1(VALU_DEP_1)
	v_cndmask_b32_e32 v213, v217, v208, vcc_lo
	v_cndmask_b32_e32 v212, v216, v216, vcc_lo
	v_cmp_gt_f64_e32 vcc_lo, 0, v[218:219]
	v_xor_b32_e32 v208, 0x80000000, v219
	v_dual_cndmask_b32 v220, v218, v218 :: v_dual_cndmask_b32 v221, v219, v208
	s_delay_alu instid0(VALU_DEP_1) | instskip(SKIP_1) | instid1(SALU_CYCLE_1)
	v_cmp_ngt_f64_e32 vcc_lo, v[212:213], v[220:221]
                                        ; implicit-def: $vgpr212_vgpr213
	s_and_saveexec_b32 s3, vcc_lo
	s_xor_b32 s3, exec_lo, s3
                                        ; implicit-def: $vgpr220_vgpr221_vgpr222_vgpr223
	s_cbranch_execz .LBB111_221
; %bb.220:
	v_div_scale_f64 v[212:213], null, v[218:219], v[218:219], v[216:217]
	v_div_scale_f64 v[224:225], vcc_lo, v[216:217], v[218:219], v[216:217]
	s_delay_alu instid0(VALU_DEP_2) | instskip(SKIP_2) | instid1(VALU_DEP_1)
	v_rcp_f64_e32 v[220:221], v[212:213]
	s_waitcnt_depctr 0xfff
	v_fma_f64 v[222:223], -v[212:213], v[220:221], 1.0
	v_fma_f64 v[220:221], v[220:221], v[222:223], v[220:221]
	s_delay_alu instid0(VALU_DEP_1) | instskip(NEXT) | instid1(VALU_DEP_1)
	v_fma_f64 v[222:223], -v[212:213], v[220:221], 1.0
	v_fma_f64 v[220:221], v[220:221], v[222:223], v[220:221]
	s_delay_alu instid0(VALU_DEP_1) | instskip(NEXT) | instid1(VALU_DEP_1)
	v_mul_f64 v[222:223], v[224:225], v[220:221]
	v_fma_f64 v[212:213], -v[212:213], v[222:223], v[224:225]
	s_delay_alu instid0(VALU_DEP_1) | instskip(NEXT) | instid1(VALU_DEP_1)
	v_div_fmas_f64 v[212:213], v[212:213], v[220:221], v[222:223]
	v_div_fixup_f64 v[212:213], v[212:213], v[218:219], v[216:217]
	s_delay_alu instid0(VALU_DEP_1) | instskip(NEXT) | instid1(VALU_DEP_1)
	v_fma_f64 v[216:217], v[216:217], v[212:213], v[218:219]
	v_div_scale_f64 v[218:219], null, v[216:217], v[216:217], 1.0
	s_delay_alu instid0(VALU_DEP_1) | instskip(SKIP_2) | instid1(VALU_DEP_1)
	v_rcp_f64_e32 v[220:221], v[218:219]
	s_waitcnt_depctr 0xfff
	v_fma_f64 v[222:223], -v[218:219], v[220:221], 1.0
	v_fma_f64 v[220:221], v[220:221], v[222:223], v[220:221]
	s_delay_alu instid0(VALU_DEP_1) | instskip(NEXT) | instid1(VALU_DEP_1)
	v_fma_f64 v[222:223], -v[218:219], v[220:221], 1.0
	v_fma_f64 v[220:221], v[220:221], v[222:223], v[220:221]
	v_div_scale_f64 v[222:223], vcc_lo, 1.0, v[216:217], 1.0
	s_delay_alu instid0(VALU_DEP_1) | instskip(NEXT) | instid1(VALU_DEP_1)
	v_mul_f64 v[224:225], v[222:223], v[220:221]
	v_fma_f64 v[218:219], -v[218:219], v[224:225], v[222:223]
	s_delay_alu instid0(VALU_DEP_1) | instskip(NEXT) | instid1(VALU_DEP_1)
	v_div_fmas_f64 v[218:219], v[218:219], v[220:221], v[224:225]
	v_div_fixup_f64 v[222:223], v[218:219], v[216:217], 1.0
                                        ; implicit-def: $vgpr216_vgpr217
	s_delay_alu instid0(VALU_DEP_1)
	v_mul_f64 v[212:213], v[212:213], v[222:223]
	v_xor_b32_e32 v223, 0x80000000, v223
.LBB111_221:
	s_and_not1_saveexec_b32 s3, s3
	s_cbranch_execz .LBB111_223
; %bb.222:
	v_div_scale_f64 v[212:213], null, v[216:217], v[216:217], v[218:219]
	v_div_scale_f64 v[224:225], vcc_lo, v[218:219], v[216:217], v[218:219]
	s_delay_alu instid0(VALU_DEP_2) | instskip(SKIP_2) | instid1(VALU_DEP_1)
	v_rcp_f64_e32 v[220:221], v[212:213]
	s_waitcnt_depctr 0xfff
	v_fma_f64 v[222:223], -v[212:213], v[220:221], 1.0
	v_fma_f64 v[220:221], v[220:221], v[222:223], v[220:221]
	s_delay_alu instid0(VALU_DEP_1) | instskip(NEXT) | instid1(VALU_DEP_1)
	v_fma_f64 v[222:223], -v[212:213], v[220:221], 1.0
	v_fma_f64 v[220:221], v[220:221], v[222:223], v[220:221]
	s_delay_alu instid0(VALU_DEP_1) | instskip(NEXT) | instid1(VALU_DEP_1)
	v_mul_f64 v[222:223], v[224:225], v[220:221]
	v_fma_f64 v[212:213], -v[212:213], v[222:223], v[224:225]
	s_delay_alu instid0(VALU_DEP_1) | instskip(NEXT) | instid1(VALU_DEP_1)
	v_div_fmas_f64 v[212:213], v[212:213], v[220:221], v[222:223]
	v_div_fixup_f64 v[220:221], v[212:213], v[216:217], v[218:219]
	s_delay_alu instid0(VALU_DEP_1) | instskip(NEXT) | instid1(VALU_DEP_1)
	v_fma_f64 v[212:213], v[218:219], v[220:221], v[216:217]
	v_div_scale_f64 v[216:217], null, v[212:213], v[212:213], 1.0
	s_delay_alu instid0(VALU_DEP_1) | instskip(SKIP_2) | instid1(VALU_DEP_1)
	v_rcp_f64_e32 v[218:219], v[216:217]
	s_waitcnt_depctr 0xfff
	v_fma_f64 v[222:223], -v[216:217], v[218:219], 1.0
	v_fma_f64 v[218:219], v[218:219], v[222:223], v[218:219]
	s_delay_alu instid0(VALU_DEP_1) | instskip(NEXT) | instid1(VALU_DEP_1)
	v_fma_f64 v[222:223], -v[216:217], v[218:219], 1.0
	v_fma_f64 v[218:219], v[218:219], v[222:223], v[218:219]
	v_div_scale_f64 v[222:223], vcc_lo, 1.0, v[212:213], 1.0
	s_delay_alu instid0(VALU_DEP_1) | instskip(NEXT) | instid1(VALU_DEP_1)
	v_mul_f64 v[224:225], v[222:223], v[218:219]
	v_fma_f64 v[216:217], -v[216:217], v[224:225], v[222:223]
	s_delay_alu instid0(VALU_DEP_1) | instskip(NEXT) | instid1(VALU_DEP_1)
	v_div_fmas_f64 v[216:217], v[216:217], v[218:219], v[224:225]
	v_div_fixup_f64 v[212:213], v[216:217], v[212:213], 1.0
	s_delay_alu instid0(VALU_DEP_1)
	v_mul_f64 v[222:223], v[220:221], -v[212:213]
.LBB111_223:
	s_or_b32 exec_lo, exec_lo, s3
	ds_store_2addr_b64 v251, v[212:213], v[222:223] offset1:1
.LBB111_224:
	s_or_b32 exec_lo, exec_lo, s4
	s_waitcnt lgkmcnt(0)
	s_barrier
	buffer_gl0_inv
	ds_load_2addr_b64 v[208:211], v251 offset1:1
	s_mov_b32 s3, exec_lo
	s_waitcnt lgkmcnt(0)
	scratch_store_b128 off, v[208:211], off offset:888 ; 16-byte Folded Spill
	v_cmpx_lt_u32_e32 24, v248
	s_cbranch_execz .LBB111_226
; %bb.225:
	scratch_load_b128 v[208:211], off, off offset:888 ; 16-byte Folded Reload
	ds_load_2addr_b64 v[218:221], v214 offset0:50 offset1:51
	s_waitcnt vmcnt(0)
	v_mul_f64 v[212:213], v[210:211], v[126:127]
	v_mul_f64 v[126:127], v[208:209], v[126:127]
	s_delay_alu instid0(VALU_DEP_2) | instskip(NEXT) | instid1(VALU_DEP_2)
	v_fma_f64 v[216:217], v[208:209], v[124:125], -v[212:213]
	v_fma_f64 v[126:127], v[210:211], v[124:125], v[126:127]
	s_waitcnt lgkmcnt(0)
	s_delay_alu instid0(VALU_DEP_1) | instskip(SKIP_1) | instid1(VALU_DEP_2)
	v_mul_f64 v[124:125], v[220:221], v[126:127]
	v_mul_f64 v[212:213], v[218:219], v[126:127]
	v_fma_f64 v[124:125], v[218:219], v[216:217], -v[124:125]
	s_delay_alu instid0(VALU_DEP_2)
	v_fma_f64 v[212:213], v[220:221], v[216:217], v[212:213]
	ds_load_2addr_b64 v[218:221], v214 offset0:52 offset1:53
	v_add_f64 v[120:121], v[120:121], -v[124:125]
	v_add_f64 v[122:123], v[122:123], -v[212:213]
	s_waitcnt lgkmcnt(0)
	v_mul_f64 v[124:125], v[220:221], v[126:127]
	v_mul_f64 v[212:213], v[218:219], v[126:127]
	s_delay_alu instid0(VALU_DEP_2) | instskip(NEXT) | instid1(VALU_DEP_2)
	v_fma_f64 v[124:125], v[218:219], v[216:217], -v[124:125]
	v_fma_f64 v[212:213], v[220:221], v[216:217], v[212:213]
	ds_load_2addr_b64 v[218:221], v214 offset0:54 offset1:55
	v_add_f64 v[116:117], v[116:117], -v[124:125]
	v_add_f64 v[118:119], v[118:119], -v[212:213]
	s_waitcnt lgkmcnt(0)
	v_mul_f64 v[124:125], v[220:221], v[126:127]
	v_mul_f64 v[212:213], v[218:219], v[126:127]
	s_delay_alu instid0(VALU_DEP_2) | instskip(NEXT) | instid1(VALU_DEP_2)
	v_fma_f64 v[124:125], v[218:219], v[216:217], -v[124:125]
	;; [unrolled: 9-line block ×30, first 2 shown]
	v_fma_f64 v[212:213], v[220:221], v[216:217], v[212:213]
	s_delay_alu instid0(VALU_DEP_2) | instskip(NEXT) | instid1(VALU_DEP_2)
	v_add_f64 v[0:1], v[0:1], -v[124:125]
	v_add_f64 v[2:3], v[2:3], -v[212:213]
	v_dual_mov_b32 v124, v216 :: v_dual_mov_b32 v125, v217
.LBB111_226:
	s_or_b32 exec_lo, exec_lo, s3
	s_delay_alu instid0(SALU_CYCLE_1)
	s_mov_b32 s4, exec_lo
	s_waitcnt_vscnt null, 0x0
	s_barrier
	buffer_gl0_inv
	v_cmpx_eq_u32_e32 25, v248
	s_cbranch_execz .LBB111_233
; %bb.227:
	ds_store_2addr_b64 v251, v[120:121], v[122:123] offset1:1
	ds_store_2addr_b64 v214, v[116:117], v[118:119] offset0:52 offset1:53
	ds_store_2addr_b64 v214, v[112:113], v[114:115] offset0:54 offset1:55
	;; [unrolled: 1-line block ×30, first 2 shown]
	ds_load_2addr_b64 v[216:219], v251 offset1:1
	s_waitcnt lgkmcnt(0)
	v_cmp_neq_f64_e32 vcc_lo, 0, v[216:217]
	v_cmp_neq_f64_e64 s3, 0, v[218:219]
	s_delay_alu instid0(VALU_DEP_1) | instskip(NEXT) | instid1(SALU_CYCLE_1)
	s_or_b32 s3, vcc_lo, s3
	s_and_b32 exec_lo, exec_lo, s3
	s_cbranch_execz .LBB111_233
; %bb.228:
	v_cmp_gt_f64_e32 vcc_lo, 0, v[216:217]
	v_xor_b32_e32 v208, 0x80000000, v217
	s_delay_alu instid0(VALU_DEP_1) | instskip(SKIP_3) | instid1(VALU_DEP_1)
	v_cndmask_b32_e32 v213, v217, v208, vcc_lo
	v_cndmask_b32_e32 v212, v216, v216, vcc_lo
	v_cmp_gt_f64_e32 vcc_lo, 0, v[218:219]
	v_xor_b32_e32 v208, 0x80000000, v219
	v_dual_cndmask_b32 v220, v218, v218 :: v_dual_cndmask_b32 v221, v219, v208
	s_delay_alu instid0(VALU_DEP_1) | instskip(SKIP_1) | instid1(SALU_CYCLE_1)
	v_cmp_ngt_f64_e32 vcc_lo, v[212:213], v[220:221]
                                        ; implicit-def: $vgpr212_vgpr213
	s_and_saveexec_b32 s3, vcc_lo
	s_xor_b32 s3, exec_lo, s3
                                        ; implicit-def: $vgpr220_vgpr221_vgpr222_vgpr223
	s_cbranch_execz .LBB111_230
; %bb.229:
	v_div_scale_f64 v[212:213], null, v[218:219], v[218:219], v[216:217]
	v_div_scale_f64 v[224:225], vcc_lo, v[216:217], v[218:219], v[216:217]
	s_delay_alu instid0(VALU_DEP_2) | instskip(SKIP_2) | instid1(VALU_DEP_1)
	v_rcp_f64_e32 v[220:221], v[212:213]
	s_waitcnt_depctr 0xfff
	v_fma_f64 v[222:223], -v[212:213], v[220:221], 1.0
	v_fma_f64 v[220:221], v[220:221], v[222:223], v[220:221]
	s_delay_alu instid0(VALU_DEP_1) | instskip(NEXT) | instid1(VALU_DEP_1)
	v_fma_f64 v[222:223], -v[212:213], v[220:221], 1.0
	v_fma_f64 v[220:221], v[220:221], v[222:223], v[220:221]
	s_delay_alu instid0(VALU_DEP_1) | instskip(NEXT) | instid1(VALU_DEP_1)
	v_mul_f64 v[222:223], v[224:225], v[220:221]
	v_fma_f64 v[212:213], -v[212:213], v[222:223], v[224:225]
	s_delay_alu instid0(VALU_DEP_1) | instskip(NEXT) | instid1(VALU_DEP_1)
	v_div_fmas_f64 v[212:213], v[212:213], v[220:221], v[222:223]
	v_div_fixup_f64 v[212:213], v[212:213], v[218:219], v[216:217]
	s_delay_alu instid0(VALU_DEP_1) | instskip(NEXT) | instid1(VALU_DEP_1)
	v_fma_f64 v[216:217], v[216:217], v[212:213], v[218:219]
	v_div_scale_f64 v[218:219], null, v[216:217], v[216:217], 1.0
	s_delay_alu instid0(VALU_DEP_1) | instskip(SKIP_2) | instid1(VALU_DEP_1)
	v_rcp_f64_e32 v[220:221], v[218:219]
	s_waitcnt_depctr 0xfff
	v_fma_f64 v[222:223], -v[218:219], v[220:221], 1.0
	v_fma_f64 v[220:221], v[220:221], v[222:223], v[220:221]
	s_delay_alu instid0(VALU_DEP_1) | instskip(NEXT) | instid1(VALU_DEP_1)
	v_fma_f64 v[222:223], -v[218:219], v[220:221], 1.0
	v_fma_f64 v[220:221], v[220:221], v[222:223], v[220:221]
	v_div_scale_f64 v[222:223], vcc_lo, 1.0, v[216:217], 1.0
	s_delay_alu instid0(VALU_DEP_1) | instskip(NEXT) | instid1(VALU_DEP_1)
	v_mul_f64 v[224:225], v[222:223], v[220:221]
	v_fma_f64 v[218:219], -v[218:219], v[224:225], v[222:223]
	s_delay_alu instid0(VALU_DEP_1) | instskip(NEXT) | instid1(VALU_DEP_1)
	v_div_fmas_f64 v[218:219], v[218:219], v[220:221], v[224:225]
	v_div_fixup_f64 v[222:223], v[218:219], v[216:217], 1.0
                                        ; implicit-def: $vgpr216_vgpr217
	s_delay_alu instid0(VALU_DEP_1)
	v_mul_f64 v[212:213], v[212:213], v[222:223]
	v_xor_b32_e32 v223, 0x80000000, v223
.LBB111_230:
	s_and_not1_saveexec_b32 s3, s3
	s_cbranch_execz .LBB111_232
; %bb.231:
	v_div_scale_f64 v[212:213], null, v[216:217], v[216:217], v[218:219]
	v_div_scale_f64 v[224:225], vcc_lo, v[218:219], v[216:217], v[218:219]
	s_delay_alu instid0(VALU_DEP_2) | instskip(SKIP_2) | instid1(VALU_DEP_1)
	v_rcp_f64_e32 v[220:221], v[212:213]
	s_waitcnt_depctr 0xfff
	v_fma_f64 v[222:223], -v[212:213], v[220:221], 1.0
	v_fma_f64 v[220:221], v[220:221], v[222:223], v[220:221]
	s_delay_alu instid0(VALU_DEP_1) | instskip(NEXT) | instid1(VALU_DEP_1)
	v_fma_f64 v[222:223], -v[212:213], v[220:221], 1.0
	v_fma_f64 v[220:221], v[220:221], v[222:223], v[220:221]
	s_delay_alu instid0(VALU_DEP_1) | instskip(NEXT) | instid1(VALU_DEP_1)
	v_mul_f64 v[222:223], v[224:225], v[220:221]
	v_fma_f64 v[212:213], -v[212:213], v[222:223], v[224:225]
	s_delay_alu instid0(VALU_DEP_1) | instskip(NEXT) | instid1(VALU_DEP_1)
	v_div_fmas_f64 v[212:213], v[212:213], v[220:221], v[222:223]
	v_div_fixup_f64 v[220:221], v[212:213], v[216:217], v[218:219]
	s_delay_alu instid0(VALU_DEP_1) | instskip(NEXT) | instid1(VALU_DEP_1)
	v_fma_f64 v[212:213], v[218:219], v[220:221], v[216:217]
	v_div_scale_f64 v[216:217], null, v[212:213], v[212:213], 1.0
	s_delay_alu instid0(VALU_DEP_1) | instskip(SKIP_2) | instid1(VALU_DEP_1)
	v_rcp_f64_e32 v[218:219], v[216:217]
	s_waitcnt_depctr 0xfff
	v_fma_f64 v[222:223], -v[216:217], v[218:219], 1.0
	v_fma_f64 v[218:219], v[218:219], v[222:223], v[218:219]
	s_delay_alu instid0(VALU_DEP_1) | instskip(NEXT) | instid1(VALU_DEP_1)
	v_fma_f64 v[222:223], -v[216:217], v[218:219], 1.0
	v_fma_f64 v[218:219], v[218:219], v[222:223], v[218:219]
	v_div_scale_f64 v[222:223], vcc_lo, 1.0, v[212:213], 1.0
	s_delay_alu instid0(VALU_DEP_1) | instskip(NEXT) | instid1(VALU_DEP_1)
	v_mul_f64 v[224:225], v[222:223], v[218:219]
	v_fma_f64 v[216:217], -v[216:217], v[224:225], v[222:223]
	s_delay_alu instid0(VALU_DEP_1) | instskip(NEXT) | instid1(VALU_DEP_1)
	v_div_fmas_f64 v[216:217], v[216:217], v[218:219], v[224:225]
	v_div_fixup_f64 v[212:213], v[216:217], v[212:213], 1.0
	s_delay_alu instid0(VALU_DEP_1)
	v_mul_f64 v[222:223], v[220:221], -v[212:213]
.LBB111_232:
	s_or_b32 exec_lo, exec_lo, s3
	ds_store_2addr_b64 v251, v[212:213], v[222:223] offset1:1
.LBB111_233:
	s_or_b32 exec_lo, exec_lo, s4
	s_waitcnt lgkmcnt(0)
	s_barrier
	buffer_gl0_inv
	ds_load_2addr_b64 v[208:211], v251 offset1:1
	s_mov_b32 s3, exec_lo
	s_waitcnt lgkmcnt(0)
	scratch_store_b128 off, v[208:211], off offset:904 ; 16-byte Folded Spill
	v_cmpx_lt_u32_e32 25, v248
	s_cbranch_execz .LBB111_235
; %bb.234:
	scratch_load_b128 v[208:211], off, off offset:904 ; 16-byte Folded Reload
	ds_load_2addr_b64 v[218:221], v214 offset0:52 offset1:53
	s_waitcnt vmcnt(0)
	v_mul_f64 v[212:213], v[210:211], v[122:123]
	v_mul_f64 v[122:123], v[208:209], v[122:123]
	s_delay_alu instid0(VALU_DEP_2) | instskip(NEXT) | instid1(VALU_DEP_2)
	v_fma_f64 v[216:217], v[208:209], v[120:121], -v[212:213]
	v_fma_f64 v[122:123], v[210:211], v[120:121], v[122:123]
	s_waitcnt lgkmcnt(0)
	s_delay_alu instid0(VALU_DEP_1) | instskip(SKIP_1) | instid1(VALU_DEP_2)
	v_mul_f64 v[120:121], v[220:221], v[122:123]
	v_mul_f64 v[212:213], v[218:219], v[122:123]
	v_fma_f64 v[120:121], v[218:219], v[216:217], -v[120:121]
	s_delay_alu instid0(VALU_DEP_2)
	v_fma_f64 v[212:213], v[220:221], v[216:217], v[212:213]
	ds_load_2addr_b64 v[218:221], v214 offset0:54 offset1:55
	v_add_f64 v[116:117], v[116:117], -v[120:121]
	v_add_f64 v[118:119], v[118:119], -v[212:213]
	s_waitcnt lgkmcnt(0)
	v_mul_f64 v[120:121], v[220:221], v[122:123]
	v_mul_f64 v[212:213], v[218:219], v[122:123]
	s_delay_alu instid0(VALU_DEP_2) | instskip(NEXT) | instid1(VALU_DEP_2)
	v_fma_f64 v[120:121], v[218:219], v[216:217], -v[120:121]
	v_fma_f64 v[212:213], v[220:221], v[216:217], v[212:213]
	ds_load_2addr_b64 v[218:221], v214 offset0:56 offset1:57
	v_add_f64 v[112:113], v[112:113], -v[120:121]
	v_add_f64 v[114:115], v[114:115], -v[212:213]
	s_waitcnt lgkmcnt(0)
	v_mul_f64 v[120:121], v[220:221], v[122:123]
	v_mul_f64 v[212:213], v[218:219], v[122:123]
	s_delay_alu instid0(VALU_DEP_2) | instskip(NEXT) | instid1(VALU_DEP_2)
	v_fma_f64 v[120:121], v[218:219], v[216:217], -v[120:121]
	;; [unrolled: 9-line block ×29, first 2 shown]
	v_fma_f64 v[212:213], v[220:221], v[216:217], v[212:213]
	s_delay_alu instid0(VALU_DEP_2) | instskip(NEXT) | instid1(VALU_DEP_2)
	v_add_f64 v[0:1], v[0:1], -v[120:121]
	v_add_f64 v[2:3], v[2:3], -v[212:213]
	v_dual_mov_b32 v120, v216 :: v_dual_mov_b32 v121, v217
.LBB111_235:
	s_or_b32 exec_lo, exec_lo, s3
	s_delay_alu instid0(SALU_CYCLE_1)
	s_mov_b32 s4, exec_lo
	s_waitcnt_vscnt null, 0x0
	s_barrier
	buffer_gl0_inv
	v_cmpx_eq_u32_e32 26, v248
	s_cbranch_execz .LBB111_242
; %bb.236:
	ds_store_2addr_b64 v251, v[116:117], v[118:119] offset1:1
	ds_store_2addr_b64 v214, v[112:113], v[114:115] offset0:54 offset1:55
	ds_store_2addr_b64 v214, v[108:109], v[110:111] offset0:56 offset1:57
	;; [unrolled: 1-line block ×29, first 2 shown]
	ds_load_2addr_b64 v[216:219], v251 offset1:1
	s_waitcnt lgkmcnt(0)
	v_cmp_neq_f64_e32 vcc_lo, 0, v[216:217]
	v_cmp_neq_f64_e64 s3, 0, v[218:219]
	s_delay_alu instid0(VALU_DEP_1) | instskip(NEXT) | instid1(SALU_CYCLE_1)
	s_or_b32 s3, vcc_lo, s3
	s_and_b32 exec_lo, exec_lo, s3
	s_cbranch_execz .LBB111_242
; %bb.237:
	v_cmp_gt_f64_e32 vcc_lo, 0, v[216:217]
	v_xor_b32_e32 v208, 0x80000000, v217
	s_delay_alu instid0(VALU_DEP_1) | instskip(SKIP_3) | instid1(VALU_DEP_1)
	v_cndmask_b32_e32 v213, v217, v208, vcc_lo
	v_cndmask_b32_e32 v212, v216, v216, vcc_lo
	v_cmp_gt_f64_e32 vcc_lo, 0, v[218:219]
	v_xor_b32_e32 v208, 0x80000000, v219
	v_dual_cndmask_b32 v220, v218, v218 :: v_dual_cndmask_b32 v221, v219, v208
	s_delay_alu instid0(VALU_DEP_1) | instskip(SKIP_1) | instid1(SALU_CYCLE_1)
	v_cmp_ngt_f64_e32 vcc_lo, v[212:213], v[220:221]
                                        ; implicit-def: $vgpr212_vgpr213
	s_and_saveexec_b32 s3, vcc_lo
	s_xor_b32 s3, exec_lo, s3
                                        ; implicit-def: $vgpr220_vgpr221_vgpr222_vgpr223
	s_cbranch_execz .LBB111_239
; %bb.238:
	v_div_scale_f64 v[212:213], null, v[218:219], v[218:219], v[216:217]
	v_div_scale_f64 v[224:225], vcc_lo, v[216:217], v[218:219], v[216:217]
	s_delay_alu instid0(VALU_DEP_2) | instskip(SKIP_2) | instid1(VALU_DEP_1)
	v_rcp_f64_e32 v[220:221], v[212:213]
	s_waitcnt_depctr 0xfff
	v_fma_f64 v[222:223], -v[212:213], v[220:221], 1.0
	v_fma_f64 v[220:221], v[220:221], v[222:223], v[220:221]
	s_delay_alu instid0(VALU_DEP_1) | instskip(NEXT) | instid1(VALU_DEP_1)
	v_fma_f64 v[222:223], -v[212:213], v[220:221], 1.0
	v_fma_f64 v[220:221], v[220:221], v[222:223], v[220:221]
	s_delay_alu instid0(VALU_DEP_1) | instskip(NEXT) | instid1(VALU_DEP_1)
	v_mul_f64 v[222:223], v[224:225], v[220:221]
	v_fma_f64 v[212:213], -v[212:213], v[222:223], v[224:225]
	s_delay_alu instid0(VALU_DEP_1) | instskip(NEXT) | instid1(VALU_DEP_1)
	v_div_fmas_f64 v[212:213], v[212:213], v[220:221], v[222:223]
	v_div_fixup_f64 v[212:213], v[212:213], v[218:219], v[216:217]
	s_delay_alu instid0(VALU_DEP_1) | instskip(NEXT) | instid1(VALU_DEP_1)
	v_fma_f64 v[216:217], v[216:217], v[212:213], v[218:219]
	v_div_scale_f64 v[218:219], null, v[216:217], v[216:217], 1.0
	s_delay_alu instid0(VALU_DEP_1) | instskip(SKIP_2) | instid1(VALU_DEP_1)
	v_rcp_f64_e32 v[220:221], v[218:219]
	s_waitcnt_depctr 0xfff
	v_fma_f64 v[222:223], -v[218:219], v[220:221], 1.0
	v_fma_f64 v[220:221], v[220:221], v[222:223], v[220:221]
	s_delay_alu instid0(VALU_DEP_1) | instskip(NEXT) | instid1(VALU_DEP_1)
	v_fma_f64 v[222:223], -v[218:219], v[220:221], 1.0
	v_fma_f64 v[220:221], v[220:221], v[222:223], v[220:221]
	v_div_scale_f64 v[222:223], vcc_lo, 1.0, v[216:217], 1.0
	s_delay_alu instid0(VALU_DEP_1) | instskip(NEXT) | instid1(VALU_DEP_1)
	v_mul_f64 v[224:225], v[222:223], v[220:221]
	v_fma_f64 v[218:219], -v[218:219], v[224:225], v[222:223]
	s_delay_alu instid0(VALU_DEP_1) | instskip(NEXT) | instid1(VALU_DEP_1)
	v_div_fmas_f64 v[218:219], v[218:219], v[220:221], v[224:225]
	v_div_fixup_f64 v[222:223], v[218:219], v[216:217], 1.0
                                        ; implicit-def: $vgpr216_vgpr217
	s_delay_alu instid0(VALU_DEP_1)
	v_mul_f64 v[212:213], v[212:213], v[222:223]
	v_xor_b32_e32 v223, 0x80000000, v223
.LBB111_239:
	s_and_not1_saveexec_b32 s3, s3
	s_cbranch_execz .LBB111_241
; %bb.240:
	v_div_scale_f64 v[212:213], null, v[216:217], v[216:217], v[218:219]
	v_div_scale_f64 v[224:225], vcc_lo, v[218:219], v[216:217], v[218:219]
	s_delay_alu instid0(VALU_DEP_2) | instskip(SKIP_2) | instid1(VALU_DEP_1)
	v_rcp_f64_e32 v[220:221], v[212:213]
	s_waitcnt_depctr 0xfff
	v_fma_f64 v[222:223], -v[212:213], v[220:221], 1.0
	v_fma_f64 v[220:221], v[220:221], v[222:223], v[220:221]
	s_delay_alu instid0(VALU_DEP_1) | instskip(NEXT) | instid1(VALU_DEP_1)
	v_fma_f64 v[222:223], -v[212:213], v[220:221], 1.0
	v_fma_f64 v[220:221], v[220:221], v[222:223], v[220:221]
	s_delay_alu instid0(VALU_DEP_1) | instskip(NEXT) | instid1(VALU_DEP_1)
	v_mul_f64 v[222:223], v[224:225], v[220:221]
	v_fma_f64 v[212:213], -v[212:213], v[222:223], v[224:225]
	s_delay_alu instid0(VALU_DEP_1) | instskip(NEXT) | instid1(VALU_DEP_1)
	v_div_fmas_f64 v[212:213], v[212:213], v[220:221], v[222:223]
	v_div_fixup_f64 v[220:221], v[212:213], v[216:217], v[218:219]
	s_delay_alu instid0(VALU_DEP_1) | instskip(NEXT) | instid1(VALU_DEP_1)
	v_fma_f64 v[212:213], v[218:219], v[220:221], v[216:217]
	v_div_scale_f64 v[216:217], null, v[212:213], v[212:213], 1.0
	s_delay_alu instid0(VALU_DEP_1) | instskip(SKIP_2) | instid1(VALU_DEP_1)
	v_rcp_f64_e32 v[218:219], v[216:217]
	s_waitcnt_depctr 0xfff
	v_fma_f64 v[222:223], -v[216:217], v[218:219], 1.0
	v_fma_f64 v[218:219], v[218:219], v[222:223], v[218:219]
	s_delay_alu instid0(VALU_DEP_1) | instskip(NEXT) | instid1(VALU_DEP_1)
	v_fma_f64 v[222:223], -v[216:217], v[218:219], 1.0
	v_fma_f64 v[218:219], v[218:219], v[222:223], v[218:219]
	v_div_scale_f64 v[222:223], vcc_lo, 1.0, v[212:213], 1.0
	s_delay_alu instid0(VALU_DEP_1) | instskip(NEXT) | instid1(VALU_DEP_1)
	v_mul_f64 v[224:225], v[222:223], v[218:219]
	v_fma_f64 v[216:217], -v[216:217], v[224:225], v[222:223]
	s_delay_alu instid0(VALU_DEP_1) | instskip(NEXT) | instid1(VALU_DEP_1)
	v_div_fmas_f64 v[216:217], v[216:217], v[218:219], v[224:225]
	v_div_fixup_f64 v[212:213], v[216:217], v[212:213], 1.0
	s_delay_alu instid0(VALU_DEP_1)
	v_mul_f64 v[222:223], v[220:221], -v[212:213]
.LBB111_241:
	s_or_b32 exec_lo, exec_lo, s3
	ds_store_2addr_b64 v251, v[212:213], v[222:223] offset1:1
.LBB111_242:
	s_or_b32 exec_lo, exec_lo, s4
	s_waitcnt lgkmcnt(0)
	s_barrier
	buffer_gl0_inv
	ds_load_2addr_b64 v[208:211], v251 offset1:1
	s_mov_b32 s3, exec_lo
	s_waitcnt lgkmcnt(0)
	scratch_store_b128 off, v[208:211], off offset:920 ; 16-byte Folded Spill
	v_cmpx_lt_u32_e32 26, v248
	s_cbranch_execz .LBB111_244
; %bb.243:
	scratch_load_b128 v[208:211], off, off offset:920 ; 16-byte Folded Reload
	ds_load_2addr_b64 v[218:221], v214 offset0:54 offset1:55
	s_waitcnt vmcnt(0)
	v_mul_f64 v[212:213], v[210:211], v[118:119]
	v_mul_f64 v[118:119], v[208:209], v[118:119]
	s_delay_alu instid0(VALU_DEP_2) | instskip(NEXT) | instid1(VALU_DEP_2)
	v_fma_f64 v[216:217], v[208:209], v[116:117], -v[212:213]
	v_fma_f64 v[118:119], v[210:211], v[116:117], v[118:119]
	s_waitcnt lgkmcnt(0)
	s_delay_alu instid0(VALU_DEP_1) | instskip(SKIP_1) | instid1(VALU_DEP_2)
	v_mul_f64 v[116:117], v[220:221], v[118:119]
	v_mul_f64 v[212:213], v[218:219], v[118:119]
	v_fma_f64 v[116:117], v[218:219], v[216:217], -v[116:117]
	s_delay_alu instid0(VALU_DEP_2)
	v_fma_f64 v[212:213], v[220:221], v[216:217], v[212:213]
	ds_load_2addr_b64 v[218:221], v214 offset0:56 offset1:57
	v_add_f64 v[112:113], v[112:113], -v[116:117]
	v_add_f64 v[114:115], v[114:115], -v[212:213]
	s_waitcnt lgkmcnt(0)
	v_mul_f64 v[116:117], v[220:221], v[118:119]
	v_mul_f64 v[212:213], v[218:219], v[118:119]
	s_delay_alu instid0(VALU_DEP_2) | instskip(NEXT) | instid1(VALU_DEP_2)
	v_fma_f64 v[116:117], v[218:219], v[216:217], -v[116:117]
	v_fma_f64 v[212:213], v[220:221], v[216:217], v[212:213]
	ds_load_2addr_b64 v[218:221], v214 offset0:58 offset1:59
	v_add_f64 v[108:109], v[108:109], -v[116:117]
	v_add_f64 v[110:111], v[110:111], -v[212:213]
	s_waitcnt lgkmcnt(0)
	v_mul_f64 v[116:117], v[220:221], v[118:119]
	v_mul_f64 v[212:213], v[218:219], v[118:119]
	s_delay_alu instid0(VALU_DEP_2) | instskip(NEXT) | instid1(VALU_DEP_2)
	v_fma_f64 v[116:117], v[218:219], v[216:217], -v[116:117]
	v_fma_f64 v[212:213], v[220:221], v[216:217], v[212:213]
	ds_load_2addr_b64 v[218:221], v214 offset0:60 offset1:61
	v_add_f64 v[104:105], v[104:105], -v[116:117]
	v_add_f64 v[106:107], v[106:107], -v[212:213]
	s_waitcnt lgkmcnt(0)
	v_mul_f64 v[116:117], v[220:221], v[118:119]
	v_mul_f64 v[212:213], v[218:219], v[118:119]
	s_delay_alu instid0(VALU_DEP_2) | instskip(NEXT) | instid1(VALU_DEP_2)
	v_fma_f64 v[116:117], v[218:219], v[216:217], -v[116:117]
	v_fma_f64 v[212:213], v[220:221], v[216:217], v[212:213]
	ds_load_2addr_b64 v[218:221], v214 offset0:62 offset1:63
	v_add_f64 v[100:101], v[100:101], -v[116:117]
	v_add_f64 v[102:103], v[102:103], -v[212:213]
	s_waitcnt lgkmcnt(0)
	v_mul_f64 v[116:117], v[220:221], v[118:119]
	v_mul_f64 v[212:213], v[218:219], v[118:119]
	s_delay_alu instid0(VALU_DEP_2) | instskip(NEXT) | instid1(VALU_DEP_2)
	v_fma_f64 v[116:117], v[218:219], v[216:217], -v[116:117]
	v_fma_f64 v[212:213], v[220:221], v[216:217], v[212:213]
	ds_load_2addr_b64 v[218:221], v214 offset0:64 offset1:65
	v_add_f64 v[96:97], v[96:97], -v[116:117]
	v_add_f64 v[98:99], v[98:99], -v[212:213]
	s_waitcnt lgkmcnt(0)
	v_mul_f64 v[116:117], v[220:221], v[118:119]
	v_mul_f64 v[212:213], v[218:219], v[118:119]
	s_delay_alu instid0(VALU_DEP_2) | instskip(NEXT) | instid1(VALU_DEP_2)
	v_fma_f64 v[116:117], v[218:219], v[216:217], -v[116:117]
	v_fma_f64 v[212:213], v[220:221], v[216:217], v[212:213]
	ds_load_2addr_b64 v[218:221], v214 offset0:66 offset1:67
	v_add_f64 v[92:93], v[92:93], -v[116:117]
	v_add_f64 v[94:95], v[94:95], -v[212:213]
	s_waitcnt lgkmcnt(0)
	v_mul_f64 v[116:117], v[220:221], v[118:119]
	v_mul_f64 v[212:213], v[218:219], v[118:119]
	s_delay_alu instid0(VALU_DEP_2) | instskip(NEXT) | instid1(VALU_DEP_2)
	v_fma_f64 v[116:117], v[218:219], v[216:217], -v[116:117]
	v_fma_f64 v[212:213], v[220:221], v[216:217], v[212:213]
	ds_load_2addr_b64 v[218:221], v214 offset0:68 offset1:69
	v_add_f64 v[88:89], v[88:89], -v[116:117]
	v_add_f64 v[90:91], v[90:91], -v[212:213]
	s_waitcnt lgkmcnt(0)
	v_mul_f64 v[116:117], v[220:221], v[118:119]
	v_mul_f64 v[212:213], v[218:219], v[118:119]
	s_delay_alu instid0(VALU_DEP_2) | instskip(NEXT) | instid1(VALU_DEP_2)
	v_fma_f64 v[116:117], v[218:219], v[216:217], -v[116:117]
	v_fma_f64 v[212:213], v[220:221], v[216:217], v[212:213]
	ds_load_2addr_b64 v[218:221], v214 offset0:70 offset1:71
	v_add_f64 v[84:85], v[84:85], -v[116:117]
	v_add_f64 v[86:87], v[86:87], -v[212:213]
	s_waitcnt lgkmcnt(0)
	v_mul_f64 v[116:117], v[220:221], v[118:119]
	v_mul_f64 v[212:213], v[218:219], v[118:119]
	s_delay_alu instid0(VALU_DEP_2) | instskip(NEXT) | instid1(VALU_DEP_2)
	v_fma_f64 v[116:117], v[218:219], v[216:217], -v[116:117]
	v_fma_f64 v[212:213], v[220:221], v[216:217], v[212:213]
	ds_load_2addr_b64 v[218:221], v214 offset0:72 offset1:73
	v_add_f64 v[80:81], v[80:81], -v[116:117]
	v_add_f64 v[82:83], v[82:83], -v[212:213]
	s_waitcnt lgkmcnt(0)
	v_mul_f64 v[116:117], v[220:221], v[118:119]
	v_mul_f64 v[212:213], v[218:219], v[118:119]
	s_delay_alu instid0(VALU_DEP_2) | instskip(NEXT) | instid1(VALU_DEP_2)
	v_fma_f64 v[116:117], v[218:219], v[216:217], -v[116:117]
	v_fma_f64 v[212:213], v[220:221], v[216:217], v[212:213]
	ds_load_2addr_b64 v[218:221], v214 offset0:74 offset1:75
	v_add_f64 v[76:77], v[76:77], -v[116:117]
	v_add_f64 v[78:79], v[78:79], -v[212:213]
	s_waitcnt lgkmcnt(0)
	v_mul_f64 v[116:117], v[220:221], v[118:119]
	v_mul_f64 v[212:213], v[218:219], v[118:119]
	s_delay_alu instid0(VALU_DEP_2) | instskip(NEXT) | instid1(VALU_DEP_2)
	v_fma_f64 v[116:117], v[218:219], v[216:217], -v[116:117]
	v_fma_f64 v[212:213], v[220:221], v[216:217], v[212:213]
	ds_load_2addr_b64 v[218:221], v214 offset0:76 offset1:77
	v_add_f64 v[72:73], v[72:73], -v[116:117]
	v_add_f64 v[74:75], v[74:75], -v[212:213]
	s_waitcnt lgkmcnt(0)
	v_mul_f64 v[116:117], v[220:221], v[118:119]
	v_mul_f64 v[212:213], v[218:219], v[118:119]
	s_delay_alu instid0(VALU_DEP_2) | instskip(NEXT) | instid1(VALU_DEP_2)
	v_fma_f64 v[116:117], v[218:219], v[216:217], -v[116:117]
	v_fma_f64 v[212:213], v[220:221], v[216:217], v[212:213]
	ds_load_2addr_b64 v[218:221], v214 offset0:78 offset1:79
	v_add_f64 v[68:69], v[68:69], -v[116:117]
	v_add_f64 v[70:71], v[70:71], -v[212:213]
	s_waitcnt lgkmcnt(0)
	v_mul_f64 v[116:117], v[220:221], v[118:119]
	v_mul_f64 v[212:213], v[218:219], v[118:119]
	s_delay_alu instid0(VALU_DEP_2) | instskip(NEXT) | instid1(VALU_DEP_2)
	v_fma_f64 v[116:117], v[218:219], v[216:217], -v[116:117]
	v_fma_f64 v[212:213], v[220:221], v[216:217], v[212:213]
	ds_load_2addr_b64 v[218:221], v214 offset0:80 offset1:81
	v_add_f64 v[64:65], v[64:65], -v[116:117]
	v_add_f64 v[66:67], v[66:67], -v[212:213]
	s_waitcnt lgkmcnt(0)
	v_mul_f64 v[116:117], v[220:221], v[118:119]
	v_mul_f64 v[212:213], v[218:219], v[118:119]
	s_delay_alu instid0(VALU_DEP_2) | instskip(NEXT) | instid1(VALU_DEP_2)
	v_fma_f64 v[116:117], v[218:219], v[216:217], -v[116:117]
	v_fma_f64 v[212:213], v[220:221], v[216:217], v[212:213]
	ds_load_2addr_b64 v[218:221], v214 offset0:82 offset1:83
	v_add_f64 v[60:61], v[60:61], -v[116:117]
	v_add_f64 v[62:63], v[62:63], -v[212:213]
	s_waitcnt lgkmcnt(0)
	v_mul_f64 v[116:117], v[220:221], v[118:119]
	v_mul_f64 v[212:213], v[218:219], v[118:119]
	s_delay_alu instid0(VALU_DEP_2) | instskip(NEXT) | instid1(VALU_DEP_2)
	v_fma_f64 v[116:117], v[218:219], v[216:217], -v[116:117]
	v_fma_f64 v[212:213], v[220:221], v[216:217], v[212:213]
	ds_load_2addr_b64 v[218:221], v214 offset0:84 offset1:85
	v_add_f64 v[56:57], v[56:57], -v[116:117]
	v_add_f64 v[58:59], v[58:59], -v[212:213]
	s_waitcnt lgkmcnt(0)
	v_mul_f64 v[116:117], v[220:221], v[118:119]
	v_mul_f64 v[212:213], v[218:219], v[118:119]
	s_delay_alu instid0(VALU_DEP_2) | instskip(NEXT) | instid1(VALU_DEP_2)
	v_fma_f64 v[116:117], v[218:219], v[216:217], -v[116:117]
	v_fma_f64 v[212:213], v[220:221], v[216:217], v[212:213]
	ds_load_2addr_b64 v[218:221], v214 offset0:86 offset1:87
	v_add_f64 v[52:53], v[52:53], -v[116:117]
	v_add_f64 v[54:55], v[54:55], -v[212:213]
	s_waitcnt lgkmcnt(0)
	v_mul_f64 v[116:117], v[220:221], v[118:119]
	v_mul_f64 v[212:213], v[218:219], v[118:119]
	s_delay_alu instid0(VALU_DEP_2) | instskip(NEXT) | instid1(VALU_DEP_2)
	v_fma_f64 v[116:117], v[218:219], v[216:217], -v[116:117]
	v_fma_f64 v[212:213], v[220:221], v[216:217], v[212:213]
	ds_load_2addr_b64 v[218:221], v214 offset0:88 offset1:89
	v_add_f64 v[48:49], v[48:49], -v[116:117]
	v_add_f64 v[50:51], v[50:51], -v[212:213]
	s_waitcnt lgkmcnt(0)
	v_mul_f64 v[116:117], v[220:221], v[118:119]
	v_mul_f64 v[212:213], v[218:219], v[118:119]
	s_delay_alu instid0(VALU_DEP_2) | instskip(NEXT) | instid1(VALU_DEP_2)
	v_fma_f64 v[116:117], v[218:219], v[216:217], -v[116:117]
	v_fma_f64 v[212:213], v[220:221], v[216:217], v[212:213]
	ds_load_2addr_b64 v[218:221], v214 offset0:90 offset1:91
	v_add_f64 v[44:45], v[44:45], -v[116:117]
	v_add_f64 v[46:47], v[46:47], -v[212:213]
	s_waitcnt lgkmcnt(0)
	v_mul_f64 v[116:117], v[220:221], v[118:119]
	v_mul_f64 v[212:213], v[218:219], v[118:119]
	s_delay_alu instid0(VALU_DEP_2) | instskip(NEXT) | instid1(VALU_DEP_2)
	v_fma_f64 v[116:117], v[218:219], v[216:217], -v[116:117]
	v_fma_f64 v[212:213], v[220:221], v[216:217], v[212:213]
	ds_load_2addr_b64 v[218:221], v214 offset0:92 offset1:93
	v_add_f64 v[40:41], v[40:41], -v[116:117]
	v_add_f64 v[42:43], v[42:43], -v[212:213]
	s_waitcnt lgkmcnt(0)
	v_mul_f64 v[116:117], v[220:221], v[118:119]
	v_mul_f64 v[212:213], v[218:219], v[118:119]
	s_delay_alu instid0(VALU_DEP_2) | instskip(NEXT) | instid1(VALU_DEP_2)
	v_fma_f64 v[116:117], v[218:219], v[216:217], -v[116:117]
	v_fma_f64 v[212:213], v[220:221], v[216:217], v[212:213]
	ds_load_2addr_b64 v[218:221], v214 offset0:94 offset1:95
	v_add_f64 v[36:37], v[36:37], -v[116:117]
	v_add_f64 v[38:39], v[38:39], -v[212:213]
	s_waitcnt lgkmcnt(0)
	v_mul_f64 v[116:117], v[220:221], v[118:119]
	v_mul_f64 v[212:213], v[218:219], v[118:119]
	s_delay_alu instid0(VALU_DEP_2) | instskip(NEXT) | instid1(VALU_DEP_2)
	v_fma_f64 v[116:117], v[218:219], v[216:217], -v[116:117]
	v_fma_f64 v[212:213], v[220:221], v[216:217], v[212:213]
	ds_load_2addr_b64 v[218:221], v214 offset0:96 offset1:97
	v_add_f64 v[32:33], v[32:33], -v[116:117]
	v_add_f64 v[34:35], v[34:35], -v[212:213]
	s_waitcnt lgkmcnt(0)
	v_mul_f64 v[116:117], v[220:221], v[118:119]
	v_mul_f64 v[212:213], v[218:219], v[118:119]
	s_delay_alu instid0(VALU_DEP_2) | instskip(NEXT) | instid1(VALU_DEP_2)
	v_fma_f64 v[116:117], v[218:219], v[216:217], -v[116:117]
	v_fma_f64 v[212:213], v[220:221], v[216:217], v[212:213]
	ds_load_2addr_b64 v[218:221], v214 offset0:98 offset1:99
	v_add_f64 v[28:29], v[28:29], -v[116:117]
	v_add_f64 v[30:31], v[30:31], -v[212:213]
	s_waitcnt lgkmcnt(0)
	v_mul_f64 v[116:117], v[220:221], v[118:119]
	v_mul_f64 v[212:213], v[218:219], v[118:119]
	s_delay_alu instid0(VALU_DEP_2) | instskip(NEXT) | instid1(VALU_DEP_2)
	v_fma_f64 v[116:117], v[218:219], v[216:217], -v[116:117]
	v_fma_f64 v[212:213], v[220:221], v[216:217], v[212:213]
	ds_load_2addr_b64 v[218:221], v214 offset0:100 offset1:101
	v_add_f64 v[24:25], v[24:25], -v[116:117]
	v_add_f64 v[26:27], v[26:27], -v[212:213]
	s_waitcnt lgkmcnt(0)
	v_mul_f64 v[116:117], v[220:221], v[118:119]
	v_mul_f64 v[212:213], v[218:219], v[118:119]
	s_delay_alu instid0(VALU_DEP_2) | instskip(NEXT) | instid1(VALU_DEP_2)
	v_fma_f64 v[116:117], v[218:219], v[216:217], -v[116:117]
	v_fma_f64 v[212:213], v[220:221], v[216:217], v[212:213]
	ds_load_2addr_b64 v[218:221], v214 offset0:102 offset1:103
	v_add_f64 v[20:21], v[20:21], -v[116:117]
	v_add_f64 v[22:23], v[22:23], -v[212:213]
	s_waitcnt lgkmcnt(0)
	v_mul_f64 v[116:117], v[220:221], v[118:119]
	v_mul_f64 v[212:213], v[218:219], v[118:119]
	s_delay_alu instid0(VALU_DEP_2) | instskip(NEXT) | instid1(VALU_DEP_2)
	v_fma_f64 v[116:117], v[218:219], v[216:217], -v[116:117]
	v_fma_f64 v[212:213], v[220:221], v[216:217], v[212:213]
	ds_load_2addr_b64 v[218:221], v214 offset0:104 offset1:105
	v_add_f64 v[16:17], v[16:17], -v[116:117]
	v_add_f64 v[18:19], v[18:19], -v[212:213]
	s_waitcnt lgkmcnt(0)
	v_mul_f64 v[116:117], v[220:221], v[118:119]
	v_mul_f64 v[212:213], v[218:219], v[118:119]
	s_delay_alu instid0(VALU_DEP_2) | instskip(NEXT) | instid1(VALU_DEP_2)
	v_fma_f64 v[116:117], v[218:219], v[216:217], -v[116:117]
	v_fma_f64 v[212:213], v[220:221], v[216:217], v[212:213]
	ds_load_2addr_b64 v[218:221], v214 offset0:106 offset1:107
	v_add_f64 v[12:13], v[12:13], -v[116:117]
	v_add_f64 v[14:15], v[14:15], -v[212:213]
	s_waitcnt lgkmcnt(0)
	v_mul_f64 v[116:117], v[220:221], v[118:119]
	v_mul_f64 v[212:213], v[218:219], v[118:119]
	s_delay_alu instid0(VALU_DEP_2) | instskip(NEXT) | instid1(VALU_DEP_2)
	v_fma_f64 v[116:117], v[218:219], v[216:217], -v[116:117]
	v_fma_f64 v[212:213], v[220:221], v[216:217], v[212:213]
	ds_load_2addr_b64 v[218:221], v214 offset0:108 offset1:109
	v_add_f64 v[8:9], v[8:9], -v[116:117]
	v_add_f64 v[10:11], v[10:11], -v[212:213]
	s_waitcnt lgkmcnt(0)
	v_mul_f64 v[116:117], v[220:221], v[118:119]
	v_mul_f64 v[212:213], v[218:219], v[118:119]
	s_delay_alu instid0(VALU_DEP_2) | instskip(NEXT) | instid1(VALU_DEP_2)
	v_fma_f64 v[116:117], v[218:219], v[216:217], -v[116:117]
	v_fma_f64 v[212:213], v[220:221], v[216:217], v[212:213]
	ds_load_2addr_b64 v[218:221], v214 offset0:110 offset1:111
	v_add_f64 v[4:5], v[4:5], -v[116:117]
	v_add_f64 v[6:7], v[6:7], -v[212:213]
	s_waitcnt lgkmcnt(0)
	v_mul_f64 v[116:117], v[220:221], v[118:119]
	v_mul_f64 v[212:213], v[218:219], v[118:119]
	s_delay_alu instid0(VALU_DEP_2) | instskip(NEXT) | instid1(VALU_DEP_2)
	v_fma_f64 v[116:117], v[218:219], v[216:217], -v[116:117]
	v_fma_f64 v[212:213], v[220:221], v[216:217], v[212:213]
	s_delay_alu instid0(VALU_DEP_2) | instskip(NEXT) | instid1(VALU_DEP_2)
	v_add_f64 v[0:1], v[0:1], -v[116:117]
	v_add_f64 v[2:3], v[2:3], -v[212:213]
	v_dual_mov_b32 v116, v216 :: v_dual_mov_b32 v117, v217
.LBB111_244:
	s_or_b32 exec_lo, exec_lo, s3
	s_delay_alu instid0(SALU_CYCLE_1)
	s_mov_b32 s4, exec_lo
	s_waitcnt_vscnt null, 0x0
	s_barrier
	buffer_gl0_inv
	v_cmpx_eq_u32_e32 27, v248
	s_cbranch_execz .LBB111_251
; %bb.245:
	ds_store_2addr_b64 v251, v[112:113], v[114:115] offset1:1
	ds_store_2addr_b64 v214, v[108:109], v[110:111] offset0:56 offset1:57
	ds_store_2addr_b64 v214, v[104:105], v[106:107] offset0:58 offset1:59
	;; [unrolled: 1-line block ×28, first 2 shown]
	ds_load_2addr_b64 v[216:219], v251 offset1:1
	s_waitcnt lgkmcnt(0)
	v_cmp_neq_f64_e32 vcc_lo, 0, v[216:217]
	v_cmp_neq_f64_e64 s3, 0, v[218:219]
	s_delay_alu instid0(VALU_DEP_1) | instskip(NEXT) | instid1(SALU_CYCLE_1)
	s_or_b32 s3, vcc_lo, s3
	s_and_b32 exec_lo, exec_lo, s3
	s_cbranch_execz .LBB111_251
; %bb.246:
	v_cmp_gt_f64_e32 vcc_lo, 0, v[216:217]
	v_xor_b32_e32 v208, 0x80000000, v217
	s_delay_alu instid0(VALU_DEP_1) | instskip(SKIP_3) | instid1(VALU_DEP_1)
	v_cndmask_b32_e32 v213, v217, v208, vcc_lo
	v_cndmask_b32_e32 v212, v216, v216, vcc_lo
	v_cmp_gt_f64_e32 vcc_lo, 0, v[218:219]
	v_xor_b32_e32 v208, 0x80000000, v219
	v_dual_cndmask_b32 v220, v218, v218 :: v_dual_cndmask_b32 v221, v219, v208
	s_delay_alu instid0(VALU_DEP_1) | instskip(SKIP_1) | instid1(SALU_CYCLE_1)
	v_cmp_ngt_f64_e32 vcc_lo, v[212:213], v[220:221]
                                        ; implicit-def: $vgpr212_vgpr213
	s_and_saveexec_b32 s3, vcc_lo
	s_xor_b32 s3, exec_lo, s3
                                        ; implicit-def: $vgpr220_vgpr221_vgpr222_vgpr223
	s_cbranch_execz .LBB111_248
; %bb.247:
	v_div_scale_f64 v[212:213], null, v[218:219], v[218:219], v[216:217]
	v_div_scale_f64 v[224:225], vcc_lo, v[216:217], v[218:219], v[216:217]
	s_delay_alu instid0(VALU_DEP_2) | instskip(SKIP_2) | instid1(VALU_DEP_1)
	v_rcp_f64_e32 v[220:221], v[212:213]
	s_waitcnt_depctr 0xfff
	v_fma_f64 v[222:223], -v[212:213], v[220:221], 1.0
	v_fma_f64 v[220:221], v[220:221], v[222:223], v[220:221]
	s_delay_alu instid0(VALU_DEP_1) | instskip(NEXT) | instid1(VALU_DEP_1)
	v_fma_f64 v[222:223], -v[212:213], v[220:221], 1.0
	v_fma_f64 v[220:221], v[220:221], v[222:223], v[220:221]
	s_delay_alu instid0(VALU_DEP_1) | instskip(NEXT) | instid1(VALU_DEP_1)
	v_mul_f64 v[222:223], v[224:225], v[220:221]
	v_fma_f64 v[212:213], -v[212:213], v[222:223], v[224:225]
	s_delay_alu instid0(VALU_DEP_1) | instskip(NEXT) | instid1(VALU_DEP_1)
	v_div_fmas_f64 v[212:213], v[212:213], v[220:221], v[222:223]
	v_div_fixup_f64 v[212:213], v[212:213], v[218:219], v[216:217]
	s_delay_alu instid0(VALU_DEP_1) | instskip(NEXT) | instid1(VALU_DEP_1)
	v_fma_f64 v[216:217], v[216:217], v[212:213], v[218:219]
	v_div_scale_f64 v[218:219], null, v[216:217], v[216:217], 1.0
	s_delay_alu instid0(VALU_DEP_1) | instskip(SKIP_2) | instid1(VALU_DEP_1)
	v_rcp_f64_e32 v[220:221], v[218:219]
	s_waitcnt_depctr 0xfff
	v_fma_f64 v[222:223], -v[218:219], v[220:221], 1.0
	v_fma_f64 v[220:221], v[220:221], v[222:223], v[220:221]
	s_delay_alu instid0(VALU_DEP_1) | instskip(NEXT) | instid1(VALU_DEP_1)
	v_fma_f64 v[222:223], -v[218:219], v[220:221], 1.0
	v_fma_f64 v[220:221], v[220:221], v[222:223], v[220:221]
	v_div_scale_f64 v[222:223], vcc_lo, 1.0, v[216:217], 1.0
	s_delay_alu instid0(VALU_DEP_1) | instskip(NEXT) | instid1(VALU_DEP_1)
	v_mul_f64 v[224:225], v[222:223], v[220:221]
	v_fma_f64 v[218:219], -v[218:219], v[224:225], v[222:223]
	s_delay_alu instid0(VALU_DEP_1) | instskip(NEXT) | instid1(VALU_DEP_1)
	v_div_fmas_f64 v[218:219], v[218:219], v[220:221], v[224:225]
	v_div_fixup_f64 v[222:223], v[218:219], v[216:217], 1.0
                                        ; implicit-def: $vgpr216_vgpr217
	s_delay_alu instid0(VALU_DEP_1)
	v_mul_f64 v[212:213], v[212:213], v[222:223]
	v_xor_b32_e32 v223, 0x80000000, v223
.LBB111_248:
	s_and_not1_saveexec_b32 s3, s3
	s_cbranch_execz .LBB111_250
; %bb.249:
	v_div_scale_f64 v[212:213], null, v[216:217], v[216:217], v[218:219]
	v_div_scale_f64 v[224:225], vcc_lo, v[218:219], v[216:217], v[218:219]
	s_delay_alu instid0(VALU_DEP_2) | instskip(SKIP_2) | instid1(VALU_DEP_1)
	v_rcp_f64_e32 v[220:221], v[212:213]
	s_waitcnt_depctr 0xfff
	v_fma_f64 v[222:223], -v[212:213], v[220:221], 1.0
	v_fma_f64 v[220:221], v[220:221], v[222:223], v[220:221]
	s_delay_alu instid0(VALU_DEP_1) | instskip(NEXT) | instid1(VALU_DEP_1)
	v_fma_f64 v[222:223], -v[212:213], v[220:221], 1.0
	v_fma_f64 v[220:221], v[220:221], v[222:223], v[220:221]
	s_delay_alu instid0(VALU_DEP_1) | instskip(NEXT) | instid1(VALU_DEP_1)
	v_mul_f64 v[222:223], v[224:225], v[220:221]
	v_fma_f64 v[212:213], -v[212:213], v[222:223], v[224:225]
	s_delay_alu instid0(VALU_DEP_1) | instskip(NEXT) | instid1(VALU_DEP_1)
	v_div_fmas_f64 v[212:213], v[212:213], v[220:221], v[222:223]
	v_div_fixup_f64 v[220:221], v[212:213], v[216:217], v[218:219]
	s_delay_alu instid0(VALU_DEP_1) | instskip(NEXT) | instid1(VALU_DEP_1)
	v_fma_f64 v[212:213], v[218:219], v[220:221], v[216:217]
	v_div_scale_f64 v[216:217], null, v[212:213], v[212:213], 1.0
	s_delay_alu instid0(VALU_DEP_1) | instskip(SKIP_2) | instid1(VALU_DEP_1)
	v_rcp_f64_e32 v[218:219], v[216:217]
	s_waitcnt_depctr 0xfff
	v_fma_f64 v[222:223], -v[216:217], v[218:219], 1.0
	v_fma_f64 v[218:219], v[218:219], v[222:223], v[218:219]
	s_delay_alu instid0(VALU_DEP_1) | instskip(NEXT) | instid1(VALU_DEP_1)
	v_fma_f64 v[222:223], -v[216:217], v[218:219], 1.0
	v_fma_f64 v[218:219], v[218:219], v[222:223], v[218:219]
	v_div_scale_f64 v[222:223], vcc_lo, 1.0, v[212:213], 1.0
	s_delay_alu instid0(VALU_DEP_1) | instskip(NEXT) | instid1(VALU_DEP_1)
	v_mul_f64 v[224:225], v[222:223], v[218:219]
	v_fma_f64 v[216:217], -v[216:217], v[224:225], v[222:223]
	s_delay_alu instid0(VALU_DEP_1) | instskip(NEXT) | instid1(VALU_DEP_1)
	v_div_fmas_f64 v[216:217], v[216:217], v[218:219], v[224:225]
	v_div_fixup_f64 v[212:213], v[216:217], v[212:213], 1.0
	s_delay_alu instid0(VALU_DEP_1)
	v_mul_f64 v[222:223], v[220:221], -v[212:213]
.LBB111_250:
	s_or_b32 exec_lo, exec_lo, s3
	ds_store_2addr_b64 v251, v[212:213], v[222:223] offset1:1
.LBB111_251:
	s_or_b32 exec_lo, exec_lo, s4
	s_waitcnt lgkmcnt(0)
	s_barrier
	buffer_gl0_inv
	ds_load_2addr_b64 v[208:211], v251 offset1:1
	s_mov_b32 s3, exec_lo
	s_waitcnt lgkmcnt(0)
	scratch_store_b128 off, v[208:211], off offset:936 ; 16-byte Folded Spill
	v_cmpx_lt_u32_e32 27, v248
	s_cbranch_execz .LBB111_253
; %bb.252:
	scratch_load_b128 v[208:211], off, off offset:936 ; 16-byte Folded Reload
	ds_load_2addr_b64 v[218:221], v214 offset0:56 offset1:57
	s_waitcnt vmcnt(0)
	v_mul_f64 v[212:213], v[210:211], v[114:115]
	v_mul_f64 v[114:115], v[208:209], v[114:115]
	s_delay_alu instid0(VALU_DEP_2) | instskip(NEXT) | instid1(VALU_DEP_2)
	v_fma_f64 v[216:217], v[208:209], v[112:113], -v[212:213]
	v_fma_f64 v[114:115], v[210:211], v[112:113], v[114:115]
	s_waitcnt lgkmcnt(0)
	s_delay_alu instid0(VALU_DEP_1) | instskip(SKIP_1) | instid1(VALU_DEP_2)
	v_mul_f64 v[112:113], v[220:221], v[114:115]
	v_mul_f64 v[212:213], v[218:219], v[114:115]
	v_fma_f64 v[112:113], v[218:219], v[216:217], -v[112:113]
	s_delay_alu instid0(VALU_DEP_2)
	v_fma_f64 v[212:213], v[220:221], v[216:217], v[212:213]
	ds_load_2addr_b64 v[218:221], v214 offset0:58 offset1:59
	v_add_f64 v[108:109], v[108:109], -v[112:113]
	v_add_f64 v[110:111], v[110:111], -v[212:213]
	s_waitcnt lgkmcnt(0)
	v_mul_f64 v[112:113], v[220:221], v[114:115]
	v_mul_f64 v[212:213], v[218:219], v[114:115]
	s_delay_alu instid0(VALU_DEP_2) | instskip(NEXT) | instid1(VALU_DEP_2)
	v_fma_f64 v[112:113], v[218:219], v[216:217], -v[112:113]
	v_fma_f64 v[212:213], v[220:221], v[216:217], v[212:213]
	ds_load_2addr_b64 v[218:221], v214 offset0:60 offset1:61
	v_add_f64 v[104:105], v[104:105], -v[112:113]
	v_add_f64 v[106:107], v[106:107], -v[212:213]
	s_waitcnt lgkmcnt(0)
	v_mul_f64 v[112:113], v[220:221], v[114:115]
	v_mul_f64 v[212:213], v[218:219], v[114:115]
	s_delay_alu instid0(VALU_DEP_2) | instskip(NEXT) | instid1(VALU_DEP_2)
	v_fma_f64 v[112:113], v[218:219], v[216:217], -v[112:113]
	;; [unrolled: 9-line block ×27, first 2 shown]
	v_fma_f64 v[212:213], v[220:221], v[216:217], v[212:213]
	s_delay_alu instid0(VALU_DEP_2) | instskip(NEXT) | instid1(VALU_DEP_2)
	v_add_f64 v[0:1], v[0:1], -v[112:113]
	v_add_f64 v[2:3], v[2:3], -v[212:213]
	v_dual_mov_b32 v112, v216 :: v_dual_mov_b32 v113, v217
.LBB111_253:
	s_or_b32 exec_lo, exec_lo, s3
	s_delay_alu instid0(SALU_CYCLE_1)
	s_mov_b32 s4, exec_lo
	s_waitcnt_vscnt null, 0x0
	s_barrier
	buffer_gl0_inv
	v_cmpx_eq_u32_e32 28, v248
	s_cbranch_execz .LBB111_260
; %bb.254:
	ds_store_2addr_b64 v251, v[108:109], v[110:111] offset1:1
	ds_store_2addr_b64 v214, v[104:105], v[106:107] offset0:58 offset1:59
	ds_store_2addr_b64 v214, v[100:101], v[102:103] offset0:60 offset1:61
	;; [unrolled: 1-line block ×27, first 2 shown]
	ds_load_2addr_b64 v[216:219], v251 offset1:1
	s_waitcnt lgkmcnt(0)
	v_cmp_neq_f64_e32 vcc_lo, 0, v[216:217]
	v_cmp_neq_f64_e64 s3, 0, v[218:219]
	s_delay_alu instid0(VALU_DEP_1) | instskip(NEXT) | instid1(SALU_CYCLE_1)
	s_or_b32 s3, vcc_lo, s3
	s_and_b32 exec_lo, exec_lo, s3
	s_cbranch_execz .LBB111_260
; %bb.255:
	v_cmp_gt_f64_e32 vcc_lo, 0, v[216:217]
	v_xor_b32_e32 v208, 0x80000000, v217
	s_delay_alu instid0(VALU_DEP_1) | instskip(SKIP_3) | instid1(VALU_DEP_1)
	v_cndmask_b32_e32 v213, v217, v208, vcc_lo
	v_cndmask_b32_e32 v212, v216, v216, vcc_lo
	v_cmp_gt_f64_e32 vcc_lo, 0, v[218:219]
	v_xor_b32_e32 v208, 0x80000000, v219
	v_dual_cndmask_b32 v220, v218, v218 :: v_dual_cndmask_b32 v221, v219, v208
	s_delay_alu instid0(VALU_DEP_1) | instskip(SKIP_1) | instid1(SALU_CYCLE_1)
	v_cmp_ngt_f64_e32 vcc_lo, v[212:213], v[220:221]
                                        ; implicit-def: $vgpr212_vgpr213
	s_and_saveexec_b32 s3, vcc_lo
	s_xor_b32 s3, exec_lo, s3
                                        ; implicit-def: $vgpr220_vgpr221_vgpr222_vgpr223
	s_cbranch_execz .LBB111_257
; %bb.256:
	v_div_scale_f64 v[212:213], null, v[218:219], v[218:219], v[216:217]
	v_div_scale_f64 v[224:225], vcc_lo, v[216:217], v[218:219], v[216:217]
	s_delay_alu instid0(VALU_DEP_2) | instskip(SKIP_2) | instid1(VALU_DEP_1)
	v_rcp_f64_e32 v[220:221], v[212:213]
	s_waitcnt_depctr 0xfff
	v_fma_f64 v[222:223], -v[212:213], v[220:221], 1.0
	v_fma_f64 v[220:221], v[220:221], v[222:223], v[220:221]
	s_delay_alu instid0(VALU_DEP_1) | instskip(NEXT) | instid1(VALU_DEP_1)
	v_fma_f64 v[222:223], -v[212:213], v[220:221], 1.0
	v_fma_f64 v[220:221], v[220:221], v[222:223], v[220:221]
	s_delay_alu instid0(VALU_DEP_1) | instskip(NEXT) | instid1(VALU_DEP_1)
	v_mul_f64 v[222:223], v[224:225], v[220:221]
	v_fma_f64 v[212:213], -v[212:213], v[222:223], v[224:225]
	s_delay_alu instid0(VALU_DEP_1) | instskip(NEXT) | instid1(VALU_DEP_1)
	v_div_fmas_f64 v[212:213], v[212:213], v[220:221], v[222:223]
	v_div_fixup_f64 v[212:213], v[212:213], v[218:219], v[216:217]
	s_delay_alu instid0(VALU_DEP_1) | instskip(NEXT) | instid1(VALU_DEP_1)
	v_fma_f64 v[216:217], v[216:217], v[212:213], v[218:219]
	v_div_scale_f64 v[218:219], null, v[216:217], v[216:217], 1.0
	s_delay_alu instid0(VALU_DEP_1) | instskip(SKIP_2) | instid1(VALU_DEP_1)
	v_rcp_f64_e32 v[220:221], v[218:219]
	s_waitcnt_depctr 0xfff
	v_fma_f64 v[222:223], -v[218:219], v[220:221], 1.0
	v_fma_f64 v[220:221], v[220:221], v[222:223], v[220:221]
	s_delay_alu instid0(VALU_DEP_1) | instskip(NEXT) | instid1(VALU_DEP_1)
	v_fma_f64 v[222:223], -v[218:219], v[220:221], 1.0
	v_fma_f64 v[220:221], v[220:221], v[222:223], v[220:221]
	v_div_scale_f64 v[222:223], vcc_lo, 1.0, v[216:217], 1.0
	s_delay_alu instid0(VALU_DEP_1) | instskip(NEXT) | instid1(VALU_DEP_1)
	v_mul_f64 v[224:225], v[222:223], v[220:221]
	v_fma_f64 v[218:219], -v[218:219], v[224:225], v[222:223]
	s_delay_alu instid0(VALU_DEP_1) | instskip(NEXT) | instid1(VALU_DEP_1)
	v_div_fmas_f64 v[218:219], v[218:219], v[220:221], v[224:225]
	v_div_fixup_f64 v[222:223], v[218:219], v[216:217], 1.0
                                        ; implicit-def: $vgpr216_vgpr217
	s_delay_alu instid0(VALU_DEP_1)
	v_mul_f64 v[212:213], v[212:213], v[222:223]
	v_xor_b32_e32 v223, 0x80000000, v223
.LBB111_257:
	s_and_not1_saveexec_b32 s3, s3
	s_cbranch_execz .LBB111_259
; %bb.258:
	v_div_scale_f64 v[212:213], null, v[216:217], v[216:217], v[218:219]
	v_div_scale_f64 v[224:225], vcc_lo, v[218:219], v[216:217], v[218:219]
	s_delay_alu instid0(VALU_DEP_2) | instskip(SKIP_2) | instid1(VALU_DEP_1)
	v_rcp_f64_e32 v[220:221], v[212:213]
	s_waitcnt_depctr 0xfff
	v_fma_f64 v[222:223], -v[212:213], v[220:221], 1.0
	v_fma_f64 v[220:221], v[220:221], v[222:223], v[220:221]
	s_delay_alu instid0(VALU_DEP_1) | instskip(NEXT) | instid1(VALU_DEP_1)
	v_fma_f64 v[222:223], -v[212:213], v[220:221], 1.0
	v_fma_f64 v[220:221], v[220:221], v[222:223], v[220:221]
	s_delay_alu instid0(VALU_DEP_1) | instskip(NEXT) | instid1(VALU_DEP_1)
	v_mul_f64 v[222:223], v[224:225], v[220:221]
	v_fma_f64 v[212:213], -v[212:213], v[222:223], v[224:225]
	s_delay_alu instid0(VALU_DEP_1) | instskip(NEXT) | instid1(VALU_DEP_1)
	v_div_fmas_f64 v[212:213], v[212:213], v[220:221], v[222:223]
	v_div_fixup_f64 v[220:221], v[212:213], v[216:217], v[218:219]
	s_delay_alu instid0(VALU_DEP_1) | instskip(NEXT) | instid1(VALU_DEP_1)
	v_fma_f64 v[212:213], v[218:219], v[220:221], v[216:217]
	v_div_scale_f64 v[216:217], null, v[212:213], v[212:213], 1.0
	s_delay_alu instid0(VALU_DEP_1) | instskip(SKIP_2) | instid1(VALU_DEP_1)
	v_rcp_f64_e32 v[218:219], v[216:217]
	s_waitcnt_depctr 0xfff
	v_fma_f64 v[222:223], -v[216:217], v[218:219], 1.0
	v_fma_f64 v[218:219], v[218:219], v[222:223], v[218:219]
	s_delay_alu instid0(VALU_DEP_1) | instskip(NEXT) | instid1(VALU_DEP_1)
	v_fma_f64 v[222:223], -v[216:217], v[218:219], 1.0
	v_fma_f64 v[218:219], v[218:219], v[222:223], v[218:219]
	v_div_scale_f64 v[222:223], vcc_lo, 1.0, v[212:213], 1.0
	s_delay_alu instid0(VALU_DEP_1) | instskip(NEXT) | instid1(VALU_DEP_1)
	v_mul_f64 v[224:225], v[222:223], v[218:219]
	v_fma_f64 v[216:217], -v[216:217], v[224:225], v[222:223]
	s_delay_alu instid0(VALU_DEP_1) | instskip(NEXT) | instid1(VALU_DEP_1)
	v_div_fmas_f64 v[216:217], v[216:217], v[218:219], v[224:225]
	v_div_fixup_f64 v[212:213], v[216:217], v[212:213], 1.0
	s_delay_alu instid0(VALU_DEP_1)
	v_mul_f64 v[222:223], v[220:221], -v[212:213]
.LBB111_259:
	s_or_b32 exec_lo, exec_lo, s3
	ds_store_2addr_b64 v251, v[212:213], v[222:223] offset1:1
.LBB111_260:
	s_or_b32 exec_lo, exec_lo, s4
	s_waitcnt lgkmcnt(0)
	s_barrier
	buffer_gl0_inv
	ds_load_2addr_b64 v[208:211], v251 offset1:1
	s_mov_b32 s3, exec_lo
	s_waitcnt lgkmcnt(0)
	scratch_store_b128 off, v[208:211], off offset:952 ; 16-byte Folded Spill
	v_cmpx_lt_u32_e32 28, v248
	s_cbranch_execz .LBB111_262
; %bb.261:
	scratch_load_b128 v[208:211], off, off offset:952 ; 16-byte Folded Reload
	ds_load_2addr_b64 v[218:221], v214 offset0:58 offset1:59
	s_waitcnt vmcnt(0)
	v_mul_f64 v[212:213], v[210:211], v[110:111]
	v_mul_f64 v[110:111], v[208:209], v[110:111]
	s_delay_alu instid0(VALU_DEP_2) | instskip(NEXT) | instid1(VALU_DEP_2)
	v_fma_f64 v[216:217], v[208:209], v[108:109], -v[212:213]
	v_fma_f64 v[110:111], v[210:211], v[108:109], v[110:111]
	s_waitcnt lgkmcnt(0)
	s_delay_alu instid0(VALU_DEP_1) | instskip(SKIP_1) | instid1(VALU_DEP_2)
	v_mul_f64 v[108:109], v[220:221], v[110:111]
	v_mul_f64 v[212:213], v[218:219], v[110:111]
	v_fma_f64 v[108:109], v[218:219], v[216:217], -v[108:109]
	s_delay_alu instid0(VALU_DEP_2)
	v_fma_f64 v[212:213], v[220:221], v[216:217], v[212:213]
	ds_load_2addr_b64 v[218:221], v214 offset0:60 offset1:61
	v_add_f64 v[104:105], v[104:105], -v[108:109]
	v_add_f64 v[106:107], v[106:107], -v[212:213]
	s_waitcnt lgkmcnt(0)
	v_mul_f64 v[108:109], v[220:221], v[110:111]
	v_mul_f64 v[212:213], v[218:219], v[110:111]
	s_delay_alu instid0(VALU_DEP_2) | instskip(NEXT) | instid1(VALU_DEP_2)
	v_fma_f64 v[108:109], v[218:219], v[216:217], -v[108:109]
	v_fma_f64 v[212:213], v[220:221], v[216:217], v[212:213]
	ds_load_2addr_b64 v[218:221], v214 offset0:62 offset1:63
	v_add_f64 v[100:101], v[100:101], -v[108:109]
	v_add_f64 v[102:103], v[102:103], -v[212:213]
	s_waitcnt lgkmcnt(0)
	v_mul_f64 v[108:109], v[220:221], v[110:111]
	v_mul_f64 v[212:213], v[218:219], v[110:111]
	s_delay_alu instid0(VALU_DEP_2) | instskip(NEXT) | instid1(VALU_DEP_2)
	v_fma_f64 v[108:109], v[218:219], v[216:217], -v[108:109]
	;; [unrolled: 9-line block ×26, first 2 shown]
	v_fma_f64 v[212:213], v[220:221], v[216:217], v[212:213]
	s_delay_alu instid0(VALU_DEP_2) | instskip(NEXT) | instid1(VALU_DEP_2)
	v_add_f64 v[0:1], v[0:1], -v[108:109]
	v_add_f64 v[2:3], v[2:3], -v[212:213]
	v_dual_mov_b32 v108, v216 :: v_dual_mov_b32 v109, v217
.LBB111_262:
	s_or_b32 exec_lo, exec_lo, s3
	s_delay_alu instid0(SALU_CYCLE_1)
	s_mov_b32 s4, exec_lo
	s_waitcnt_vscnt null, 0x0
	s_barrier
	buffer_gl0_inv
	v_cmpx_eq_u32_e32 29, v248
	s_cbranch_execz .LBB111_269
; %bb.263:
	ds_store_2addr_b64 v251, v[104:105], v[106:107] offset1:1
	ds_store_2addr_b64 v214, v[100:101], v[102:103] offset0:60 offset1:61
	ds_store_2addr_b64 v214, v[96:97], v[98:99] offset0:62 offset1:63
	ds_store_2addr_b64 v214, v[92:93], v[94:95] offset0:64 offset1:65
	ds_store_2addr_b64 v214, v[88:89], v[90:91] offset0:66 offset1:67
	ds_store_2addr_b64 v214, v[84:85], v[86:87] offset0:68 offset1:69
	ds_store_2addr_b64 v214, v[80:81], v[82:83] offset0:70 offset1:71
	ds_store_2addr_b64 v214, v[76:77], v[78:79] offset0:72 offset1:73
	ds_store_2addr_b64 v214, v[72:73], v[74:75] offset0:74 offset1:75
	ds_store_2addr_b64 v214, v[68:69], v[70:71] offset0:76 offset1:77
	ds_store_2addr_b64 v214, v[64:65], v[66:67] offset0:78 offset1:79
	ds_store_2addr_b64 v214, v[60:61], v[62:63] offset0:80 offset1:81
	ds_store_2addr_b64 v214, v[56:57], v[58:59] offset0:82 offset1:83
	ds_store_2addr_b64 v214, v[52:53], v[54:55] offset0:84 offset1:85
	ds_store_2addr_b64 v214, v[48:49], v[50:51] offset0:86 offset1:87
	ds_store_2addr_b64 v214, v[44:45], v[46:47] offset0:88 offset1:89
	ds_store_2addr_b64 v214, v[40:41], v[42:43] offset0:90 offset1:91
	ds_store_2addr_b64 v214, v[36:37], v[38:39] offset0:92 offset1:93
	ds_store_2addr_b64 v214, v[32:33], v[34:35] offset0:94 offset1:95
	ds_store_2addr_b64 v214, v[28:29], v[30:31] offset0:96 offset1:97
	ds_store_2addr_b64 v214, v[24:25], v[26:27] offset0:98 offset1:99
	ds_store_2addr_b64 v214, v[20:21], v[22:23] offset0:100 offset1:101
	ds_store_2addr_b64 v214, v[16:17], v[18:19] offset0:102 offset1:103
	ds_store_2addr_b64 v214, v[12:13], v[14:15] offset0:104 offset1:105
	ds_store_2addr_b64 v214, v[8:9], v[10:11] offset0:106 offset1:107
	ds_store_2addr_b64 v214, v[4:5], v[6:7] offset0:108 offset1:109
	ds_store_2addr_b64 v214, v[0:1], v[2:3] offset0:110 offset1:111
	ds_load_2addr_b64 v[216:219], v251 offset1:1
	s_waitcnt lgkmcnt(0)
	v_cmp_neq_f64_e32 vcc_lo, 0, v[216:217]
	v_cmp_neq_f64_e64 s3, 0, v[218:219]
	s_delay_alu instid0(VALU_DEP_1) | instskip(NEXT) | instid1(SALU_CYCLE_1)
	s_or_b32 s3, vcc_lo, s3
	s_and_b32 exec_lo, exec_lo, s3
	s_cbranch_execz .LBB111_269
; %bb.264:
	v_cmp_gt_f64_e32 vcc_lo, 0, v[216:217]
	v_xor_b32_e32 v208, 0x80000000, v217
	s_delay_alu instid0(VALU_DEP_1) | instskip(SKIP_3) | instid1(VALU_DEP_1)
	v_cndmask_b32_e32 v213, v217, v208, vcc_lo
	v_cndmask_b32_e32 v212, v216, v216, vcc_lo
	v_cmp_gt_f64_e32 vcc_lo, 0, v[218:219]
	v_xor_b32_e32 v208, 0x80000000, v219
	v_dual_cndmask_b32 v220, v218, v218 :: v_dual_cndmask_b32 v221, v219, v208
	s_delay_alu instid0(VALU_DEP_1) | instskip(SKIP_1) | instid1(SALU_CYCLE_1)
	v_cmp_ngt_f64_e32 vcc_lo, v[212:213], v[220:221]
                                        ; implicit-def: $vgpr212_vgpr213
	s_and_saveexec_b32 s3, vcc_lo
	s_xor_b32 s3, exec_lo, s3
                                        ; implicit-def: $vgpr220_vgpr221_vgpr222_vgpr223
	s_cbranch_execz .LBB111_266
; %bb.265:
	v_div_scale_f64 v[212:213], null, v[218:219], v[218:219], v[216:217]
	v_div_scale_f64 v[224:225], vcc_lo, v[216:217], v[218:219], v[216:217]
	s_delay_alu instid0(VALU_DEP_2) | instskip(SKIP_2) | instid1(VALU_DEP_1)
	v_rcp_f64_e32 v[220:221], v[212:213]
	s_waitcnt_depctr 0xfff
	v_fma_f64 v[222:223], -v[212:213], v[220:221], 1.0
	v_fma_f64 v[220:221], v[220:221], v[222:223], v[220:221]
	s_delay_alu instid0(VALU_DEP_1) | instskip(NEXT) | instid1(VALU_DEP_1)
	v_fma_f64 v[222:223], -v[212:213], v[220:221], 1.0
	v_fma_f64 v[220:221], v[220:221], v[222:223], v[220:221]
	s_delay_alu instid0(VALU_DEP_1) | instskip(NEXT) | instid1(VALU_DEP_1)
	v_mul_f64 v[222:223], v[224:225], v[220:221]
	v_fma_f64 v[212:213], -v[212:213], v[222:223], v[224:225]
	s_delay_alu instid0(VALU_DEP_1) | instskip(NEXT) | instid1(VALU_DEP_1)
	v_div_fmas_f64 v[212:213], v[212:213], v[220:221], v[222:223]
	v_div_fixup_f64 v[212:213], v[212:213], v[218:219], v[216:217]
	s_delay_alu instid0(VALU_DEP_1) | instskip(NEXT) | instid1(VALU_DEP_1)
	v_fma_f64 v[216:217], v[216:217], v[212:213], v[218:219]
	v_div_scale_f64 v[218:219], null, v[216:217], v[216:217], 1.0
	s_delay_alu instid0(VALU_DEP_1) | instskip(SKIP_2) | instid1(VALU_DEP_1)
	v_rcp_f64_e32 v[220:221], v[218:219]
	s_waitcnt_depctr 0xfff
	v_fma_f64 v[222:223], -v[218:219], v[220:221], 1.0
	v_fma_f64 v[220:221], v[220:221], v[222:223], v[220:221]
	s_delay_alu instid0(VALU_DEP_1) | instskip(NEXT) | instid1(VALU_DEP_1)
	v_fma_f64 v[222:223], -v[218:219], v[220:221], 1.0
	v_fma_f64 v[220:221], v[220:221], v[222:223], v[220:221]
	v_div_scale_f64 v[222:223], vcc_lo, 1.0, v[216:217], 1.0
	s_delay_alu instid0(VALU_DEP_1) | instskip(NEXT) | instid1(VALU_DEP_1)
	v_mul_f64 v[224:225], v[222:223], v[220:221]
	v_fma_f64 v[218:219], -v[218:219], v[224:225], v[222:223]
	s_delay_alu instid0(VALU_DEP_1) | instskip(NEXT) | instid1(VALU_DEP_1)
	v_div_fmas_f64 v[218:219], v[218:219], v[220:221], v[224:225]
	v_div_fixup_f64 v[222:223], v[218:219], v[216:217], 1.0
                                        ; implicit-def: $vgpr216_vgpr217
	s_delay_alu instid0(VALU_DEP_1)
	v_mul_f64 v[212:213], v[212:213], v[222:223]
	v_xor_b32_e32 v223, 0x80000000, v223
.LBB111_266:
	s_and_not1_saveexec_b32 s3, s3
	s_cbranch_execz .LBB111_268
; %bb.267:
	v_div_scale_f64 v[212:213], null, v[216:217], v[216:217], v[218:219]
	v_div_scale_f64 v[224:225], vcc_lo, v[218:219], v[216:217], v[218:219]
	s_delay_alu instid0(VALU_DEP_2) | instskip(SKIP_2) | instid1(VALU_DEP_1)
	v_rcp_f64_e32 v[220:221], v[212:213]
	s_waitcnt_depctr 0xfff
	v_fma_f64 v[222:223], -v[212:213], v[220:221], 1.0
	v_fma_f64 v[220:221], v[220:221], v[222:223], v[220:221]
	s_delay_alu instid0(VALU_DEP_1) | instskip(NEXT) | instid1(VALU_DEP_1)
	v_fma_f64 v[222:223], -v[212:213], v[220:221], 1.0
	v_fma_f64 v[220:221], v[220:221], v[222:223], v[220:221]
	s_delay_alu instid0(VALU_DEP_1) | instskip(NEXT) | instid1(VALU_DEP_1)
	v_mul_f64 v[222:223], v[224:225], v[220:221]
	v_fma_f64 v[212:213], -v[212:213], v[222:223], v[224:225]
	s_delay_alu instid0(VALU_DEP_1) | instskip(NEXT) | instid1(VALU_DEP_1)
	v_div_fmas_f64 v[212:213], v[212:213], v[220:221], v[222:223]
	v_div_fixup_f64 v[220:221], v[212:213], v[216:217], v[218:219]
	s_delay_alu instid0(VALU_DEP_1) | instskip(NEXT) | instid1(VALU_DEP_1)
	v_fma_f64 v[212:213], v[218:219], v[220:221], v[216:217]
	v_div_scale_f64 v[216:217], null, v[212:213], v[212:213], 1.0
	s_delay_alu instid0(VALU_DEP_1) | instskip(SKIP_2) | instid1(VALU_DEP_1)
	v_rcp_f64_e32 v[218:219], v[216:217]
	s_waitcnt_depctr 0xfff
	v_fma_f64 v[222:223], -v[216:217], v[218:219], 1.0
	v_fma_f64 v[218:219], v[218:219], v[222:223], v[218:219]
	s_delay_alu instid0(VALU_DEP_1) | instskip(NEXT) | instid1(VALU_DEP_1)
	v_fma_f64 v[222:223], -v[216:217], v[218:219], 1.0
	v_fma_f64 v[218:219], v[218:219], v[222:223], v[218:219]
	v_div_scale_f64 v[222:223], vcc_lo, 1.0, v[212:213], 1.0
	s_delay_alu instid0(VALU_DEP_1) | instskip(NEXT) | instid1(VALU_DEP_1)
	v_mul_f64 v[224:225], v[222:223], v[218:219]
	v_fma_f64 v[216:217], -v[216:217], v[224:225], v[222:223]
	s_delay_alu instid0(VALU_DEP_1) | instskip(NEXT) | instid1(VALU_DEP_1)
	v_div_fmas_f64 v[216:217], v[216:217], v[218:219], v[224:225]
	v_div_fixup_f64 v[212:213], v[216:217], v[212:213], 1.0
	s_delay_alu instid0(VALU_DEP_1)
	v_mul_f64 v[222:223], v[220:221], -v[212:213]
.LBB111_268:
	s_or_b32 exec_lo, exec_lo, s3
	ds_store_2addr_b64 v251, v[212:213], v[222:223] offset1:1
.LBB111_269:
	s_or_b32 exec_lo, exec_lo, s4
	s_waitcnt lgkmcnt(0)
	s_barrier
	buffer_gl0_inv
	ds_load_2addr_b64 v[208:211], v251 offset1:1
	s_mov_b32 s3, exec_lo
	s_waitcnt lgkmcnt(0)
	scratch_store_b128 off, v[208:211], off offset:968 ; 16-byte Folded Spill
	v_cmpx_lt_u32_e32 29, v248
	s_cbranch_execz .LBB111_271
; %bb.270:
	scratch_load_b128 v[208:211], off, off offset:968 ; 16-byte Folded Reload
	ds_load_2addr_b64 v[218:221], v214 offset0:60 offset1:61
	s_waitcnt vmcnt(0)
	v_mul_f64 v[212:213], v[210:211], v[106:107]
	v_mul_f64 v[106:107], v[208:209], v[106:107]
	s_delay_alu instid0(VALU_DEP_2) | instskip(NEXT) | instid1(VALU_DEP_2)
	v_fma_f64 v[216:217], v[208:209], v[104:105], -v[212:213]
	v_fma_f64 v[106:107], v[210:211], v[104:105], v[106:107]
	s_waitcnt lgkmcnt(0)
	s_delay_alu instid0(VALU_DEP_1) | instskip(SKIP_1) | instid1(VALU_DEP_2)
	v_mul_f64 v[104:105], v[220:221], v[106:107]
	v_mul_f64 v[212:213], v[218:219], v[106:107]
	v_fma_f64 v[104:105], v[218:219], v[216:217], -v[104:105]
	s_delay_alu instid0(VALU_DEP_2)
	v_fma_f64 v[212:213], v[220:221], v[216:217], v[212:213]
	ds_load_2addr_b64 v[218:221], v214 offset0:62 offset1:63
	v_add_f64 v[100:101], v[100:101], -v[104:105]
	v_add_f64 v[102:103], v[102:103], -v[212:213]
	s_waitcnt lgkmcnt(0)
	v_mul_f64 v[104:105], v[220:221], v[106:107]
	v_mul_f64 v[212:213], v[218:219], v[106:107]
	s_delay_alu instid0(VALU_DEP_2) | instskip(NEXT) | instid1(VALU_DEP_2)
	v_fma_f64 v[104:105], v[218:219], v[216:217], -v[104:105]
	v_fma_f64 v[212:213], v[220:221], v[216:217], v[212:213]
	ds_load_2addr_b64 v[218:221], v214 offset0:64 offset1:65
	v_add_f64 v[96:97], v[96:97], -v[104:105]
	v_add_f64 v[98:99], v[98:99], -v[212:213]
	s_waitcnt lgkmcnt(0)
	v_mul_f64 v[104:105], v[220:221], v[106:107]
	v_mul_f64 v[212:213], v[218:219], v[106:107]
	s_delay_alu instid0(VALU_DEP_2) | instskip(NEXT) | instid1(VALU_DEP_2)
	v_fma_f64 v[104:105], v[218:219], v[216:217], -v[104:105]
	;; [unrolled: 9-line block ×25, first 2 shown]
	v_fma_f64 v[212:213], v[220:221], v[216:217], v[212:213]
	s_delay_alu instid0(VALU_DEP_2) | instskip(NEXT) | instid1(VALU_DEP_2)
	v_add_f64 v[0:1], v[0:1], -v[104:105]
	v_add_f64 v[2:3], v[2:3], -v[212:213]
	v_dual_mov_b32 v104, v216 :: v_dual_mov_b32 v105, v217
.LBB111_271:
	s_or_b32 exec_lo, exec_lo, s3
	s_delay_alu instid0(SALU_CYCLE_1)
	s_mov_b32 s4, exec_lo
	s_waitcnt_vscnt null, 0x0
	s_barrier
	buffer_gl0_inv
	v_cmpx_eq_u32_e32 30, v248
	s_cbranch_execz .LBB111_278
; %bb.272:
	ds_store_2addr_b64 v251, v[100:101], v[102:103] offset1:1
	ds_store_2addr_b64 v214, v[96:97], v[98:99] offset0:62 offset1:63
	ds_store_2addr_b64 v214, v[92:93], v[94:95] offset0:64 offset1:65
	ds_store_2addr_b64 v214, v[88:89], v[90:91] offset0:66 offset1:67
	ds_store_2addr_b64 v214, v[84:85], v[86:87] offset0:68 offset1:69
	ds_store_2addr_b64 v214, v[80:81], v[82:83] offset0:70 offset1:71
	ds_store_2addr_b64 v214, v[76:77], v[78:79] offset0:72 offset1:73
	ds_store_2addr_b64 v214, v[72:73], v[74:75] offset0:74 offset1:75
	ds_store_2addr_b64 v214, v[68:69], v[70:71] offset0:76 offset1:77
	ds_store_2addr_b64 v214, v[64:65], v[66:67] offset0:78 offset1:79
	ds_store_2addr_b64 v214, v[60:61], v[62:63] offset0:80 offset1:81
	ds_store_2addr_b64 v214, v[56:57], v[58:59] offset0:82 offset1:83
	ds_store_2addr_b64 v214, v[52:53], v[54:55] offset0:84 offset1:85
	ds_store_2addr_b64 v214, v[48:49], v[50:51] offset0:86 offset1:87
	ds_store_2addr_b64 v214, v[44:45], v[46:47] offset0:88 offset1:89
	ds_store_2addr_b64 v214, v[40:41], v[42:43] offset0:90 offset1:91
	ds_store_2addr_b64 v214, v[36:37], v[38:39] offset0:92 offset1:93
	ds_store_2addr_b64 v214, v[32:33], v[34:35] offset0:94 offset1:95
	ds_store_2addr_b64 v214, v[28:29], v[30:31] offset0:96 offset1:97
	ds_store_2addr_b64 v214, v[24:25], v[26:27] offset0:98 offset1:99
	ds_store_2addr_b64 v214, v[20:21], v[22:23] offset0:100 offset1:101
	ds_store_2addr_b64 v214, v[16:17], v[18:19] offset0:102 offset1:103
	ds_store_2addr_b64 v214, v[12:13], v[14:15] offset0:104 offset1:105
	ds_store_2addr_b64 v214, v[8:9], v[10:11] offset0:106 offset1:107
	ds_store_2addr_b64 v214, v[4:5], v[6:7] offset0:108 offset1:109
	ds_store_2addr_b64 v214, v[0:1], v[2:3] offset0:110 offset1:111
	ds_load_2addr_b64 v[216:219], v251 offset1:1
	s_waitcnt lgkmcnt(0)
	v_cmp_neq_f64_e32 vcc_lo, 0, v[216:217]
	v_cmp_neq_f64_e64 s3, 0, v[218:219]
	s_delay_alu instid0(VALU_DEP_1) | instskip(NEXT) | instid1(SALU_CYCLE_1)
	s_or_b32 s3, vcc_lo, s3
	s_and_b32 exec_lo, exec_lo, s3
	s_cbranch_execz .LBB111_278
; %bb.273:
	v_cmp_gt_f64_e32 vcc_lo, 0, v[216:217]
	v_xor_b32_e32 v208, 0x80000000, v217
	s_delay_alu instid0(VALU_DEP_1) | instskip(SKIP_3) | instid1(VALU_DEP_1)
	v_cndmask_b32_e32 v213, v217, v208, vcc_lo
	v_cndmask_b32_e32 v212, v216, v216, vcc_lo
	v_cmp_gt_f64_e32 vcc_lo, 0, v[218:219]
	v_xor_b32_e32 v208, 0x80000000, v219
	v_dual_cndmask_b32 v220, v218, v218 :: v_dual_cndmask_b32 v221, v219, v208
	s_delay_alu instid0(VALU_DEP_1) | instskip(SKIP_1) | instid1(SALU_CYCLE_1)
	v_cmp_ngt_f64_e32 vcc_lo, v[212:213], v[220:221]
                                        ; implicit-def: $vgpr212_vgpr213
	s_and_saveexec_b32 s3, vcc_lo
	s_xor_b32 s3, exec_lo, s3
                                        ; implicit-def: $vgpr220_vgpr221_vgpr222_vgpr223
	s_cbranch_execz .LBB111_275
; %bb.274:
	v_div_scale_f64 v[212:213], null, v[218:219], v[218:219], v[216:217]
	v_div_scale_f64 v[224:225], vcc_lo, v[216:217], v[218:219], v[216:217]
	s_delay_alu instid0(VALU_DEP_2) | instskip(SKIP_2) | instid1(VALU_DEP_1)
	v_rcp_f64_e32 v[220:221], v[212:213]
	s_waitcnt_depctr 0xfff
	v_fma_f64 v[222:223], -v[212:213], v[220:221], 1.0
	v_fma_f64 v[220:221], v[220:221], v[222:223], v[220:221]
	s_delay_alu instid0(VALU_DEP_1) | instskip(NEXT) | instid1(VALU_DEP_1)
	v_fma_f64 v[222:223], -v[212:213], v[220:221], 1.0
	v_fma_f64 v[220:221], v[220:221], v[222:223], v[220:221]
	s_delay_alu instid0(VALU_DEP_1) | instskip(NEXT) | instid1(VALU_DEP_1)
	v_mul_f64 v[222:223], v[224:225], v[220:221]
	v_fma_f64 v[212:213], -v[212:213], v[222:223], v[224:225]
	s_delay_alu instid0(VALU_DEP_1) | instskip(NEXT) | instid1(VALU_DEP_1)
	v_div_fmas_f64 v[212:213], v[212:213], v[220:221], v[222:223]
	v_div_fixup_f64 v[212:213], v[212:213], v[218:219], v[216:217]
	s_delay_alu instid0(VALU_DEP_1) | instskip(NEXT) | instid1(VALU_DEP_1)
	v_fma_f64 v[216:217], v[216:217], v[212:213], v[218:219]
	v_div_scale_f64 v[218:219], null, v[216:217], v[216:217], 1.0
	s_delay_alu instid0(VALU_DEP_1) | instskip(SKIP_2) | instid1(VALU_DEP_1)
	v_rcp_f64_e32 v[220:221], v[218:219]
	s_waitcnt_depctr 0xfff
	v_fma_f64 v[222:223], -v[218:219], v[220:221], 1.0
	v_fma_f64 v[220:221], v[220:221], v[222:223], v[220:221]
	s_delay_alu instid0(VALU_DEP_1) | instskip(NEXT) | instid1(VALU_DEP_1)
	v_fma_f64 v[222:223], -v[218:219], v[220:221], 1.0
	v_fma_f64 v[220:221], v[220:221], v[222:223], v[220:221]
	v_div_scale_f64 v[222:223], vcc_lo, 1.0, v[216:217], 1.0
	s_delay_alu instid0(VALU_DEP_1) | instskip(NEXT) | instid1(VALU_DEP_1)
	v_mul_f64 v[224:225], v[222:223], v[220:221]
	v_fma_f64 v[218:219], -v[218:219], v[224:225], v[222:223]
	s_delay_alu instid0(VALU_DEP_1) | instskip(NEXT) | instid1(VALU_DEP_1)
	v_div_fmas_f64 v[218:219], v[218:219], v[220:221], v[224:225]
	v_div_fixup_f64 v[222:223], v[218:219], v[216:217], 1.0
                                        ; implicit-def: $vgpr216_vgpr217
	s_delay_alu instid0(VALU_DEP_1)
	v_mul_f64 v[212:213], v[212:213], v[222:223]
	v_xor_b32_e32 v223, 0x80000000, v223
.LBB111_275:
	s_and_not1_saveexec_b32 s3, s3
	s_cbranch_execz .LBB111_277
; %bb.276:
	v_div_scale_f64 v[212:213], null, v[216:217], v[216:217], v[218:219]
	v_div_scale_f64 v[224:225], vcc_lo, v[218:219], v[216:217], v[218:219]
	s_delay_alu instid0(VALU_DEP_2) | instskip(SKIP_2) | instid1(VALU_DEP_1)
	v_rcp_f64_e32 v[220:221], v[212:213]
	s_waitcnt_depctr 0xfff
	v_fma_f64 v[222:223], -v[212:213], v[220:221], 1.0
	v_fma_f64 v[220:221], v[220:221], v[222:223], v[220:221]
	s_delay_alu instid0(VALU_DEP_1) | instskip(NEXT) | instid1(VALU_DEP_1)
	v_fma_f64 v[222:223], -v[212:213], v[220:221], 1.0
	v_fma_f64 v[220:221], v[220:221], v[222:223], v[220:221]
	s_delay_alu instid0(VALU_DEP_1) | instskip(NEXT) | instid1(VALU_DEP_1)
	v_mul_f64 v[222:223], v[224:225], v[220:221]
	v_fma_f64 v[212:213], -v[212:213], v[222:223], v[224:225]
	s_delay_alu instid0(VALU_DEP_1) | instskip(NEXT) | instid1(VALU_DEP_1)
	v_div_fmas_f64 v[212:213], v[212:213], v[220:221], v[222:223]
	v_div_fixup_f64 v[220:221], v[212:213], v[216:217], v[218:219]
	s_delay_alu instid0(VALU_DEP_1) | instskip(NEXT) | instid1(VALU_DEP_1)
	v_fma_f64 v[212:213], v[218:219], v[220:221], v[216:217]
	v_div_scale_f64 v[216:217], null, v[212:213], v[212:213], 1.0
	s_delay_alu instid0(VALU_DEP_1) | instskip(SKIP_2) | instid1(VALU_DEP_1)
	v_rcp_f64_e32 v[218:219], v[216:217]
	s_waitcnt_depctr 0xfff
	v_fma_f64 v[222:223], -v[216:217], v[218:219], 1.0
	v_fma_f64 v[218:219], v[218:219], v[222:223], v[218:219]
	s_delay_alu instid0(VALU_DEP_1) | instskip(NEXT) | instid1(VALU_DEP_1)
	v_fma_f64 v[222:223], -v[216:217], v[218:219], 1.0
	v_fma_f64 v[218:219], v[218:219], v[222:223], v[218:219]
	v_div_scale_f64 v[222:223], vcc_lo, 1.0, v[212:213], 1.0
	s_delay_alu instid0(VALU_DEP_1) | instskip(NEXT) | instid1(VALU_DEP_1)
	v_mul_f64 v[224:225], v[222:223], v[218:219]
	v_fma_f64 v[216:217], -v[216:217], v[224:225], v[222:223]
	s_delay_alu instid0(VALU_DEP_1) | instskip(NEXT) | instid1(VALU_DEP_1)
	v_div_fmas_f64 v[216:217], v[216:217], v[218:219], v[224:225]
	v_div_fixup_f64 v[212:213], v[216:217], v[212:213], 1.0
	s_delay_alu instid0(VALU_DEP_1)
	v_mul_f64 v[222:223], v[220:221], -v[212:213]
.LBB111_277:
	s_or_b32 exec_lo, exec_lo, s3
	ds_store_2addr_b64 v251, v[212:213], v[222:223] offset1:1
.LBB111_278:
	s_or_b32 exec_lo, exec_lo, s4
	s_waitcnt lgkmcnt(0)
	s_barrier
	buffer_gl0_inv
	ds_load_2addr_b64 v[208:211], v251 offset1:1
	s_mov_b32 s3, exec_lo
	s_waitcnt lgkmcnt(0)
	scratch_store_b128 off, v[208:211], off offset:984 ; 16-byte Folded Spill
	v_cmpx_lt_u32_e32 30, v248
	s_cbranch_execz .LBB111_280
; %bb.279:
	scratch_load_b128 v[208:211], off, off offset:984 ; 16-byte Folded Reload
	ds_load_2addr_b64 v[218:221], v214 offset0:62 offset1:63
	s_waitcnt vmcnt(0)
	v_mul_f64 v[212:213], v[210:211], v[102:103]
	v_mul_f64 v[102:103], v[208:209], v[102:103]
	s_delay_alu instid0(VALU_DEP_2) | instskip(NEXT) | instid1(VALU_DEP_2)
	v_fma_f64 v[216:217], v[208:209], v[100:101], -v[212:213]
	v_fma_f64 v[102:103], v[210:211], v[100:101], v[102:103]
	s_waitcnt lgkmcnt(0)
	s_delay_alu instid0(VALU_DEP_1) | instskip(SKIP_1) | instid1(VALU_DEP_2)
	v_mul_f64 v[100:101], v[220:221], v[102:103]
	v_mul_f64 v[212:213], v[218:219], v[102:103]
	v_fma_f64 v[100:101], v[218:219], v[216:217], -v[100:101]
	s_delay_alu instid0(VALU_DEP_2)
	v_fma_f64 v[212:213], v[220:221], v[216:217], v[212:213]
	ds_load_2addr_b64 v[218:221], v214 offset0:64 offset1:65
	v_add_f64 v[96:97], v[96:97], -v[100:101]
	v_add_f64 v[98:99], v[98:99], -v[212:213]
	s_waitcnt lgkmcnt(0)
	v_mul_f64 v[100:101], v[220:221], v[102:103]
	v_mul_f64 v[212:213], v[218:219], v[102:103]
	s_delay_alu instid0(VALU_DEP_2) | instskip(NEXT) | instid1(VALU_DEP_2)
	v_fma_f64 v[100:101], v[218:219], v[216:217], -v[100:101]
	v_fma_f64 v[212:213], v[220:221], v[216:217], v[212:213]
	ds_load_2addr_b64 v[218:221], v214 offset0:66 offset1:67
	v_add_f64 v[92:93], v[92:93], -v[100:101]
	v_add_f64 v[94:95], v[94:95], -v[212:213]
	s_waitcnt lgkmcnt(0)
	v_mul_f64 v[100:101], v[220:221], v[102:103]
	v_mul_f64 v[212:213], v[218:219], v[102:103]
	s_delay_alu instid0(VALU_DEP_2) | instskip(NEXT) | instid1(VALU_DEP_2)
	v_fma_f64 v[100:101], v[218:219], v[216:217], -v[100:101]
	v_fma_f64 v[212:213], v[220:221], v[216:217], v[212:213]
	ds_load_2addr_b64 v[218:221], v214 offset0:68 offset1:69
	v_add_f64 v[88:89], v[88:89], -v[100:101]
	v_add_f64 v[90:91], v[90:91], -v[212:213]
	s_waitcnt lgkmcnt(0)
	v_mul_f64 v[100:101], v[220:221], v[102:103]
	v_mul_f64 v[212:213], v[218:219], v[102:103]
	s_delay_alu instid0(VALU_DEP_2) | instskip(NEXT) | instid1(VALU_DEP_2)
	v_fma_f64 v[100:101], v[218:219], v[216:217], -v[100:101]
	v_fma_f64 v[212:213], v[220:221], v[216:217], v[212:213]
	ds_load_2addr_b64 v[218:221], v214 offset0:70 offset1:71
	v_add_f64 v[84:85], v[84:85], -v[100:101]
	v_add_f64 v[86:87], v[86:87], -v[212:213]
	s_waitcnt lgkmcnt(0)
	v_mul_f64 v[100:101], v[220:221], v[102:103]
	v_mul_f64 v[212:213], v[218:219], v[102:103]
	s_delay_alu instid0(VALU_DEP_2) | instskip(NEXT) | instid1(VALU_DEP_2)
	v_fma_f64 v[100:101], v[218:219], v[216:217], -v[100:101]
	v_fma_f64 v[212:213], v[220:221], v[216:217], v[212:213]
	ds_load_2addr_b64 v[218:221], v214 offset0:72 offset1:73
	v_add_f64 v[80:81], v[80:81], -v[100:101]
	v_add_f64 v[82:83], v[82:83], -v[212:213]
	s_waitcnt lgkmcnt(0)
	v_mul_f64 v[100:101], v[220:221], v[102:103]
	v_mul_f64 v[212:213], v[218:219], v[102:103]
	s_delay_alu instid0(VALU_DEP_2) | instskip(NEXT) | instid1(VALU_DEP_2)
	v_fma_f64 v[100:101], v[218:219], v[216:217], -v[100:101]
	v_fma_f64 v[212:213], v[220:221], v[216:217], v[212:213]
	ds_load_2addr_b64 v[218:221], v214 offset0:74 offset1:75
	v_add_f64 v[76:77], v[76:77], -v[100:101]
	v_add_f64 v[78:79], v[78:79], -v[212:213]
	s_waitcnt lgkmcnt(0)
	v_mul_f64 v[100:101], v[220:221], v[102:103]
	v_mul_f64 v[212:213], v[218:219], v[102:103]
	s_delay_alu instid0(VALU_DEP_2) | instskip(NEXT) | instid1(VALU_DEP_2)
	v_fma_f64 v[100:101], v[218:219], v[216:217], -v[100:101]
	v_fma_f64 v[212:213], v[220:221], v[216:217], v[212:213]
	ds_load_2addr_b64 v[218:221], v214 offset0:76 offset1:77
	v_add_f64 v[72:73], v[72:73], -v[100:101]
	v_add_f64 v[74:75], v[74:75], -v[212:213]
	s_waitcnt lgkmcnt(0)
	v_mul_f64 v[100:101], v[220:221], v[102:103]
	v_mul_f64 v[212:213], v[218:219], v[102:103]
	s_delay_alu instid0(VALU_DEP_2) | instskip(NEXT) | instid1(VALU_DEP_2)
	v_fma_f64 v[100:101], v[218:219], v[216:217], -v[100:101]
	v_fma_f64 v[212:213], v[220:221], v[216:217], v[212:213]
	ds_load_2addr_b64 v[218:221], v214 offset0:78 offset1:79
	v_add_f64 v[68:69], v[68:69], -v[100:101]
	v_add_f64 v[70:71], v[70:71], -v[212:213]
	s_waitcnt lgkmcnt(0)
	v_mul_f64 v[100:101], v[220:221], v[102:103]
	v_mul_f64 v[212:213], v[218:219], v[102:103]
	s_delay_alu instid0(VALU_DEP_2) | instskip(NEXT) | instid1(VALU_DEP_2)
	v_fma_f64 v[100:101], v[218:219], v[216:217], -v[100:101]
	v_fma_f64 v[212:213], v[220:221], v[216:217], v[212:213]
	ds_load_2addr_b64 v[218:221], v214 offset0:80 offset1:81
	v_add_f64 v[64:65], v[64:65], -v[100:101]
	v_add_f64 v[66:67], v[66:67], -v[212:213]
	s_waitcnt lgkmcnt(0)
	v_mul_f64 v[100:101], v[220:221], v[102:103]
	v_mul_f64 v[212:213], v[218:219], v[102:103]
	s_delay_alu instid0(VALU_DEP_2) | instskip(NEXT) | instid1(VALU_DEP_2)
	v_fma_f64 v[100:101], v[218:219], v[216:217], -v[100:101]
	v_fma_f64 v[212:213], v[220:221], v[216:217], v[212:213]
	ds_load_2addr_b64 v[218:221], v214 offset0:82 offset1:83
	v_add_f64 v[60:61], v[60:61], -v[100:101]
	v_add_f64 v[62:63], v[62:63], -v[212:213]
	s_waitcnt lgkmcnt(0)
	v_mul_f64 v[100:101], v[220:221], v[102:103]
	v_mul_f64 v[212:213], v[218:219], v[102:103]
	s_delay_alu instid0(VALU_DEP_2) | instskip(NEXT) | instid1(VALU_DEP_2)
	v_fma_f64 v[100:101], v[218:219], v[216:217], -v[100:101]
	v_fma_f64 v[212:213], v[220:221], v[216:217], v[212:213]
	ds_load_2addr_b64 v[218:221], v214 offset0:84 offset1:85
	v_add_f64 v[56:57], v[56:57], -v[100:101]
	v_add_f64 v[58:59], v[58:59], -v[212:213]
	s_waitcnt lgkmcnt(0)
	v_mul_f64 v[100:101], v[220:221], v[102:103]
	v_mul_f64 v[212:213], v[218:219], v[102:103]
	s_delay_alu instid0(VALU_DEP_2) | instskip(NEXT) | instid1(VALU_DEP_2)
	v_fma_f64 v[100:101], v[218:219], v[216:217], -v[100:101]
	v_fma_f64 v[212:213], v[220:221], v[216:217], v[212:213]
	ds_load_2addr_b64 v[218:221], v214 offset0:86 offset1:87
	v_add_f64 v[52:53], v[52:53], -v[100:101]
	v_add_f64 v[54:55], v[54:55], -v[212:213]
	s_waitcnt lgkmcnt(0)
	v_mul_f64 v[100:101], v[220:221], v[102:103]
	v_mul_f64 v[212:213], v[218:219], v[102:103]
	s_delay_alu instid0(VALU_DEP_2) | instskip(NEXT) | instid1(VALU_DEP_2)
	v_fma_f64 v[100:101], v[218:219], v[216:217], -v[100:101]
	v_fma_f64 v[212:213], v[220:221], v[216:217], v[212:213]
	ds_load_2addr_b64 v[218:221], v214 offset0:88 offset1:89
	v_add_f64 v[48:49], v[48:49], -v[100:101]
	v_add_f64 v[50:51], v[50:51], -v[212:213]
	s_waitcnt lgkmcnt(0)
	v_mul_f64 v[100:101], v[220:221], v[102:103]
	v_mul_f64 v[212:213], v[218:219], v[102:103]
	s_delay_alu instid0(VALU_DEP_2) | instskip(NEXT) | instid1(VALU_DEP_2)
	v_fma_f64 v[100:101], v[218:219], v[216:217], -v[100:101]
	v_fma_f64 v[212:213], v[220:221], v[216:217], v[212:213]
	ds_load_2addr_b64 v[218:221], v214 offset0:90 offset1:91
	v_add_f64 v[44:45], v[44:45], -v[100:101]
	v_add_f64 v[46:47], v[46:47], -v[212:213]
	s_waitcnt lgkmcnt(0)
	v_mul_f64 v[100:101], v[220:221], v[102:103]
	v_mul_f64 v[212:213], v[218:219], v[102:103]
	s_delay_alu instid0(VALU_DEP_2) | instskip(NEXT) | instid1(VALU_DEP_2)
	v_fma_f64 v[100:101], v[218:219], v[216:217], -v[100:101]
	v_fma_f64 v[212:213], v[220:221], v[216:217], v[212:213]
	ds_load_2addr_b64 v[218:221], v214 offset0:92 offset1:93
	v_add_f64 v[40:41], v[40:41], -v[100:101]
	v_add_f64 v[42:43], v[42:43], -v[212:213]
	s_waitcnt lgkmcnt(0)
	v_mul_f64 v[100:101], v[220:221], v[102:103]
	v_mul_f64 v[212:213], v[218:219], v[102:103]
	s_delay_alu instid0(VALU_DEP_2) | instskip(NEXT) | instid1(VALU_DEP_2)
	v_fma_f64 v[100:101], v[218:219], v[216:217], -v[100:101]
	v_fma_f64 v[212:213], v[220:221], v[216:217], v[212:213]
	ds_load_2addr_b64 v[218:221], v214 offset0:94 offset1:95
	v_add_f64 v[36:37], v[36:37], -v[100:101]
	v_add_f64 v[38:39], v[38:39], -v[212:213]
	s_waitcnt lgkmcnt(0)
	v_mul_f64 v[100:101], v[220:221], v[102:103]
	v_mul_f64 v[212:213], v[218:219], v[102:103]
	s_delay_alu instid0(VALU_DEP_2) | instskip(NEXT) | instid1(VALU_DEP_2)
	v_fma_f64 v[100:101], v[218:219], v[216:217], -v[100:101]
	v_fma_f64 v[212:213], v[220:221], v[216:217], v[212:213]
	ds_load_2addr_b64 v[218:221], v214 offset0:96 offset1:97
	v_add_f64 v[32:33], v[32:33], -v[100:101]
	v_add_f64 v[34:35], v[34:35], -v[212:213]
	s_waitcnt lgkmcnt(0)
	v_mul_f64 v[100:101], v[220:221], v[102:103]
	v_mul_f64 v[212:213], v[218:219], v[102:103]
	s_delay_alu instid0(VALU_DEP_2) | instskip(NEXT) | instid1(VALU_DEP_2)
	v_fma_f64 v[100:101], v[218:219], v[216:217], -v[100:101]
	v_fma_f64 v[212:213], v[220:221], v[216:217], v[212:213]
	ds_load_2addr_b64 v[218:221], v214 offset0:98 offset1:99
	v_add_f64 v[28:29], v[28:29], -v[100:101]
	v_add_f64 v[30:31], v[30:31], -v[212:213]
	s_waitcnt lgkmcnt(0)
	v_mul_f64 v[100:101], v[220:221], v[102:103]
	v_mul_f64 v[212:213], v[218:219], v[102:103]
	s_delay_alu instid0(VALU_DEP_2) | instskip(NEXT) | instid1(VALU_DEP_2)
	v_fma_f64 v[100:101], v[218:219], v[216:217], -v[100:101]
	v_fma_f64 v[212:213], v[220:221], v[216:217], v[212:213]
	ds_load_2addr_b64 v[218:221], v214 offset0:100 offset1:101
	v_add_f64 v[24:25], v[24:25], -v[100:101]
	v_add_f64 v[26:27], v[26:27], -v[212:213]
	s_waitcnt lgkmcnt(0)
	v_mul_f64 v[100:101], v[220:221], v[102:103]
	v_mul_f64 v[212:213], v[218:219], v[102:103]
	s_delay_alu instid0(VALU_DEP_2) | instskip(NEXT) | instid1(VALU_DEP_2)
	v_fma_f64 v[100:101], v[218:219], v[216:217], -v[100:101]
	v_fma_f64 v[212:213], v[220:221], v[216:217], v[212:213]
	ds_load_2addr_b64 v[218:221], v214 offset0:102 offset1:103
	v_add_f64 v[20:21], v[20:21], -v[100:101]
	v_add_f64 v[22:23], v[22:23], -v[212:213]
	s_waitcnt lgkmcnt(0)
	v_mul_f64 v[100:101], v[220:221], v[102:103]
	v_mul_f64 v[212:213], v[218:219], v[102:103]
	s_delay_alu instid0(VALU_DEP_2) | instskip(NEXT) | instid1(VALU_DEP_2)
	v_fma_f64 v[100:101], v[218:219], v[216:217], -v[100:101]
	v_fma_f64 v[212:213], v[220:221], v[216:217], v[212:213]
	ds_load_2addr_b64 v[218:221], v214 offset0:104 offset1:105
	v_add_f64 v[16:17], v[16:17], -v[100:101]
	v_add_f64 v[18:19], v[18:19], -v[212:213]
	s_waitcnt lgkmcnt(0)
	v_mul_f64 v[100:101], v[220:221], v[102:103]
	v_mul_f64 v[212:213], v[218:219], v[102:103]
	s_delay_alu instid0(VALU_DEP_2) | instskip(NEXT) | instid1(VALU_DEP_2)
	v_fma_f64 v[100:101], v[218:219], v[216:217], -v[100:101]
	v_fma_f64 v[212:213], v[220:221], v[216:217], v[212:213]
	ds_load_2addr_b64 v[218:221], v214 offset0:106 offset1:107
	v_add_f64 v[12:13], v[12:13], -v[100:101]
	v_add_f64 v[14:15], v[14:15], -v[212:213]
	s_waitcnt lgkmcnt(0)
	v_mul_f64 v[100:101], v[220:221], v[102:103]
	v_mul_f64 v[212:213], v[218:219], v[102:103]
	s_delay_alu instid0(VALU_DEP_2) | instskip(NEXT) | instid1(VALU_DEP_2)
	v_fma_f64 v[100:101], v[218:219], v[216:217], -v[100:101]
	v_fma_f64 v[212:213], v[220:221], v[216:217], v[212:213]
	ds_load_2addr_b64 v[218:221], v214 offset0:108 offset1:109
	v_add_f64 v[8:9], v[8:9], -v[100:101]
	v_add_f64 v[10:11], v[10:11], -v[212:213]
	s_waitcnt lgkmcnt(0)
	v_mul_f64 v[100:101], v[220:221], v[102:103]
	v_mul_f64 v[212:213], v[218:219], v[102:103]
	s_delay_alu instid0(VALU_DEP_2) | instskip(NEXT) | instid1(VALU_DEP_2)
	v_fma_f64 v[100:101], v[218:219], v[216:217], -v[100:101]
	v_fma_f64 v[212:213], v[220:221], v[216:217], v[212:213]
	ds_load_2addr_b64 v[218:221], v214 offset0:110 offset1:111
	v_add_f64 v[4:5], v[4:5], -v[100:101]
	v_add_f64 v[6:7], v[6:7], -v[212:213]
	s_waitcnt lgkmcnt(0)
	v_mul_f64 v[100:101], v[220:221], v[102:103]
	v_mul_f64 v[212:213], v[218:219], v[102:103]
	s_delay_alu instid0(VALU_DEP_2) | instskip(NEXT) | instid1(VALU_DEP_2)
	v_fma_f64 v[100:101], v[218:219], v[216:217], -v[100:101]
	v_fma_f64 v[212:213], v[220:221], v[216:217], v[212:213]
	s_delay_alu instid0(VALU_DEP_2) | instskip(NEXT) | instid1(VALU_DEP_2)
	v_add_f64 v[0:1], v[0:1], -v[100:101]
	v_add_f64 v[2:3], v[2:3], -v[212:213]
	v_dual_mov_b32 v100, v216 :: v_dual_mov_b32 v101, v217
.LBB111_280:
	s_or_b32 exec_lo, exec_lo, s3
	s_delay_alu instid0(SALU_CYCLE_1)
	s_mov_b32 s4, exec_lo
	s_waitcnt_vscnt null, 0x0
	s_barrier
	buffer_gl0_inv
	v_cmpx_eq_u32_e32 31, v248
	s_cbranch_execz .LBB111_287
; %bb.281:
	ds_store_2addr_b64 v251, v[96:97], v[98:99] offset1:1
	ds_store_2addr_b64 v214, v[92:93], v[94:95] offset0:64 offset1:65
	ds_store_2addr_b64 v214, v[88:89], v[90:91] offset0:66 offset1:67
	;; [unrolled: 1-line block ×24, first 2 shown]
	ds_load_2addr_b64 v[216:219], v251 offset1:1
	s_waitcnt lgkmcnt(0)
	v_cmp_neq_f64_e32 vcc_lo, 0, v[216:217]
	v_cmp_neq_f64_e64 s3, 0, v[218:219]
	s_delay_alu instid0(VALU_DEP_1) | instskip(NEXT) | instid1(SALU_CYCLE_1)
	s_or_b32 s3, vcc_lo, s3
	s_and_b32 exec_lo, exec_lo, s3
	s_cbranch_execz .LBB111_287
; %bb.282:
	v_cmp_gt_f64_e32 vcc_lo, 0, v[216:217]
	v_xor_b32_e32 v208, 0x80000000, v217
	s_delay_alu instid0(VALU_DEP_1) | instskip(SKIP_3) | instid1(VALU_DEP_1)
	v_cndmask_b32_e32 v213, v217, v208, vcc_lo
	v_cndmask_b32_e32 v212, v216, v216, vcc_lo
	v_cmp_gt_f64_e32 vcc_lo, 0, v[218:219]
	v_xor_b32_e32 v208, 0x80000000, v219
	v_dual_cndmask_b32 v220, v218, v218 :: v_dual_cndmask_b32 v221, v219, v208
	s_delay_alu instid0(VALU_DEP_1) | instskip(SKIP_1) | instid1(SALU_CYCLE_1)
	v_cmp_ngt_f64_e32 vcc_lo, v[212:213], v[220:221]
                                        ; implicit-def: $vgpr212_vgpr213
	s_and_saveexec_b32 s3, vcc_lo
	s_xor_b32 s3, exec_lo, s3
                                        ; implicit-def: $vgpr220_vgpr221_vgpr222_vgpr223
	s_cbranch_execz .LBB111_284
; %bb.283:
	v_div_scale_f64 v[212:213], null, v[218:219], v[218:219], v[216:217]
	v_div_scale_f64 v[224:225], vcc_lo, v[216:217], v[218:219], v[216:217]
	s_delay_alu instid0(VALU_DEP_2) | instskip(SKIP_2) | instid1(VALU_DEP_1)
	v_rcp_f64_e32 v[220:221], v[212:213]
	s_waitcnt_depctr 0xfff
	v_fma_f64 v[222:223], -v[212:213], v[220:221], 1.0
	v_fma_f64 v[220:221], v[220:221], v[222:223], v[220:221]
	s_delay_alu instid0(VALU_DEP_1) | instskip(NEXT) | instid1(VALU_DEP_1)
	v_fma_f64 v[222:223], -v[212:213], v[220:221], 1.0
	v_fma_f64 v[220:221], v[220:221], v[222:223], v[220:221]
	s_delay_alu instid0(VALU_DEP_1) | instskip(NEXT) | instid1(VALU_DEP_1)
	v_mul_f64 v[222:223], v[224:225], v[220:221]
	v_fma_f64 v[212:213], -v[212:213], v[222:223], v[224:225]
	s_delay_alu instid0(VALU_DEP_1) | instskip(NEXT) | instid1(VALU_DEP_1)
	v_div_fmas_f64 v[212:213], v[212:213], v[220:221], v[222:223]
	v_div_fixup_f64 v[212:213], v[212:213], v[218:219], v[216:217]
	s_delay_alu instid0(VALU_DEP_1) | instskip(NEXT) | instid1(VALU_DEP_1)
	v_fma_f64 v[216:217], v[216:217], v[212:213], v[218:219]
	v_div_scale_f64 v[218:219], null, v[216:217], v[216:217], 1.0
	s_delay_alu instid0(VALU_DEP_1) | instskip(SKIP_2) | instid1(VALU_DEP_1)
	v_rcp_f64_e32 v[220:221], v[218:219]
	s_waitcnt_depctr 0xfff
	v_fma_f64 v[222:223], -v[218:219], v[220:221], 1.0
	v_fma_f64 v[220:221], v[220:221], v[222:223], v[220:221]
	s_delay_alu instid0(VALU_DEP_1) | instskip(NEXT) | instid1(VALU_DEP_1)
	v_fma_f64 v[222:223], -v[218:219], v[220:221], 1.0
	v_fma_f64 v[220:221], v[220:221], v[222:223], v[220:221]
	v_div_scale_f64 v[222:223], vcc_lo, 1.0, v[216:217], 1.0
	s_delay_alu instid0(VALU_DEP_1) | instskip(NEXT) | instid1(VALU_DEP_1)
	v_mul_f64 v[224:225], v[222:223], v[220:221]
	v_fma_f64 v[218:219], -v[218:219], v[224:225], v[222:223]
	s_delay_alu instid0(VALU_DEP_1) | instskip(NEXT) | instid1(VALU_DEP_1)
	v_div_fmas_f64 v[218:219], v[218:219], v[220:221], v[224:225]
	v_div_fixup_f64 v[222:223], v[218:219], v[216:217], 1.0
                                        ; implicit-def: $vgpr216_vgpr217
	s_delay_alu instid0(VALU_DEP_1)
	v_mul_f64 v[212:213], v[212:213], v[222:223]
	v_xor_b32_e32 v223, 0x80000000, v223
.LBB111_284:
	s_and_not1_saveexec_b32 s3, s3
	s_cbranch_execz .LBB111_286
; %bb.285:
	v_div_scale_f64 v[212:213], null, v[216:217], v[216:217], v[218:219]
	v_div_scale_f64 v[224:225], vcc_lo, v[218:219], v[216:217], v[218:219]
	s_delay_alu instid0(VALU_DEP_2) | instskip(SKIP_2) | instid1(VALU_DEP_1)
	v_rcp_f64_e32 v[220:221], v[212:213]
	s_waitcnt_depctr 0xfff
	v_fma_f64 v[222:223], -v[212:213], v[220:221], 1.0
	v_fma_f64 v[220:221], v[220:221], v[222:223], v[220:221]
	s_delay_alu instid0(VALU_DEP_1) | instskip(NEXT) | instid1(VALU_DEP_1)
	v_fma_f64 v[222:223], -v[212:213], v[220:221], 1.0
	v_fma_f64 v[220:221], v[220:221], v[222:223], v[220:221]
	s_delay_alu instid0(VALU_DEP_1) | instskip(NEXT) | instid1(VALU_DEP_1)
	v_mul_f64 v[222:223], v[224:225], v[220:221]
	v_fma_f64 v[212:213], -v[212:213], v[222:223], v[224:225]
	s_delay_alu instid0(VALU_DEP_1) | instskip(NEXT) | instid1(VALU_DEP_1)
	v_div_fmas_f64 v[212:213], v[212:213], v[220:221], v[222:223]
	v_div_fixup_f64 v[220:221], v[212:213], v[216:217], v[218:219]
	s_delay_alu instid0(VALU_DEP_1) | instskip(NEXT) | instid1(VALU_DEP_1)
	v_fma_f64 v[212:213], v[218:219], v[220:221], v[216:217]
	v_div_scale_f64 v[216:217], null, v[212:213], v[212:213], 1.0
	s_delay_alu instid0(VALU_DEP_1) | instskip(SKIP_2) | instid1(VALU_DEP_1)
	v_rcp_f64_e32 v[218:219], v[216:217]
	s_waitcnt_depctr 0xfff
	v_fma_f64 v[222:223], -v[216:217], v[218:219], 1.0
	v_fma_f64 v[218:219], v[218:219], v[222:223], v[218:219]
	s_delay_alu instid0(VALU_DEP_1) | instskip(NEXT) | instid1(VALU_DEP_1)
	v_fma_f64 v[222:223], -v[216:217], v[218:219], 1.0
	v_fma_f64 v[218:219], v[218:219], v[222:223], v[218:219]
	v_div_scale_f64 v[222:223], vcc_lo, 1.0, v[212:213], 1.0
	s_delay_alu instid0(VALU_DEP_1) | instskip(NEXT) | instid1(VALU_DEP_1)
	v_mul_f64 v[224:225], v[222:223], v[218:219]
	v_fma_f64 v[216:217], -v[216:217], v[224:225], v[222:223]
	s_delay_alu instid0(VALU_DEP_1) | instskip(NEXT) | instid1(VALU_DEP_1)
	v_div_fmas_f64 v[216:217], v[216:217], v[218:219], v[224:225]
	v_div_fixup_f64 v[212:213], v[216:217], v[212:213], 1.0
	s_delay_alu instid0(VALU_DEP_1)
	v_mul_f64 v[222:223], v[220:221], -v[212:213]
.LBB111_286:
	s_or_b32 exec_lo, exec_lo, s3
	ds_store_2addr_b64 v251, v[212:213], v[222:223] offset1:1
.LBB111_287:
	s_or_b32 exec_lo, exec_lo, s4
	s_waitcnt lgkmcnt(0)
	s_barrier
	buffer_gl0_inv
	ds_load_2addr_b64 v[208:211], v251 offset1:1
	s_mov_b32 s3, exec_lo
	s_waitcnt lgkmcnt(0)
	scratch_store_b128 off, v[208:211], off offset:1000 ; 16-byte Folded Spill
	v_cmpx_lt_u32_e32 31, v248
	s_cbranch_execz .LBB111_289
; %bb.288:
	scratch_load_b128 v[208:211], off, off offset:1000 ; 16-byte Folded Reload
	ds_load_2addr_b64 v[218:221], v214 offset0:64 offset1:65
	s_waitcnt vmcnt(0)
	v_mul_f64 v[212:213], v[210:211], v[98:99]
	v_mul_f64 v[98:99], v[208:209], v[98:99]
	s_delay_alu instid0(VALU_DEP_2) | instskip(NEXT) | instid1(VALU_DEP_2)
	v_fma_f64 v[216:217], v[208:209], v[96:97], -v[212:213]
	v_fma_f64 v[98:99], v[210:211], v[96:97], v[98:99]
	s_waitcnt lgkmcnt(0)
	s_delay_alu instid0(VALU_DEP_1) | instskip(SKIP_1) | instid1(VALU_DEP_2)
	v_mul_f64 v[96:97], v[220:221], v[98:99]
	v_mul_f64 v[212:213], v[218:219], v[98:99]
	v_fma_f64 v[96:97], v[218:219], v[216:217], -v[96:97]
	s_delay_alu instid0(VALU_DEP_2)
	v_fma_f64 v[212:213], v[220:221], v[216:217], v[212:213]
	ds_load_2addr_b64 v[218:221], v214 offset0:66 offset1:67
	v_add_f64 v[92:93], v[92:93], -v[96:97]
	v_add_f64 v[94:95], v[94:95], -v[212:213]
	s_waitcnt lgkmcnt(0)
	v_mul_f64 v[96:97], v[220:221], v[98:99]
	v_mul_f64 v[212:213], v[218:219], v[98:99]
	s_delay_alu instid0(VALU_DEP_2) | instskip(NEXT) | instid1(VALU_DEP_2)
	v_fma_f64 v[96:97], v[218:219], v[216:217], -v[96:97]
	v_fma_f64 v[212:213], v[220:221], v[216:217], v[212:213]
	ds_load_2addr_b64 v[218:221], v214 offset0:68 offset1:69
	v_add_f64 v[88:89], v[88:89], -v[96:97]
	v_add_f64 v[90:91], v[90:91], -v[212:213]
	s_waitcnt lgkmcnt(0)
	v_mul_f64 v[96:97], v[220:221], v[98:99]
	v_mul_f64 v[212:213], v[218:219], v[98:99]
	s_delay_alu instid0(VALU_DEP_2) | instskip(NEXT) | instid1(VALU_DEP_2)
	v_fma_f64 v[96:97], v[218:219], v[216:217], -v[96:97]
	;; [unrolled: 9-line block ×23, first 2 shown]
	v_fma_f64 v[212:213], v[220:221], v[216:217], v[212:213]
	s_delay_alu instid0(VALU_DEP_2) | instskip(NEXT) | instid1(VALU_DEP_2)
	v_add_f64 v[0:1], v[0:1], -v[96:97]
	v_add_f64 v[2:3], v[2:3], -v[212:213]
	v_dual_mov_b32 v96, v216 :: v_dual_mov_b32 v97, v217
.LBB111_289:
	s_or_b32 exec_lo, exec_lo, s3
	s_delay_alu instid0(SALU_CYCLE_1)
	s_mov_b32 s4, exec_lo
	s_waitcnt_vscnt null, 0x0
	s_barrier
	buffer_gl0_inv
	v_cmpx_eq_u32_e32 32, v248
	s_cbranch_execz .LBB111_296
; %bb.290:
	ds_store_2addr_b64 v251, v[92:93], v[94:95] offset1:1
	ds_store_2addr_b64 v214, v[88:89], v[90:91] offset0:66 offset1:67
	ds_store_2addr_b64 v214, v[84:85], v[86:87] offset0:68 offset1:69
	;; [unrolled: 1-line block ×23, first 2 shown]
	ds_load_2addr_b64 v[216:219], v251 offset1:1
	s_waitcnt lgkmcnt(0)
	v_cmp_neq_f64_e32 vcc_lo, 0, v[216:217]
	v_cmp_neq_f64_e64 s3, 0, v[218:219]
	s_delay_alu instid0(VALU_DEP_1) | instskip(NEXT) | instid1(SALU_CYCLE_1)
	s_or_b32 s3, vcc_lo, s3
	s_and_b32 exec_lo, exec_lo, s3
	s_cbranch_execz .LBB111_296
; %bb.291:
	v_cmp_gt_f64_e32 vcc_lo, 0, v[216:217]
	v_xor_b32_e32 v208, 0x80000000, v217
	s_delay_alu instid0(VALU_DEP_1) | instskip(SKIP_3) | instid1(VALU_DEP_1)
	v_cndmask_b32_e32 v213, v217, v208, vcc_lo
	v_cndmask_b32_e32 v212, v216, v216, vcc_lo
	v_cmp_gt_f64_e32 vcc_lo, 0, v[218:219]
	v_xor_b32_e32 v208, 0x80000000, v219
	v_dual_cndmask_b32 v220, v218, v218 :: v_dual_cndmask_b32 v221, v219, v208
	s_delay_alu instid0(VALU_DEP_1) | instskip(SKIP_1) | instid1(SALU_CYCLE_1)
	v_cmp_ngt_f64_e32 vcc_lo, v[212:213], v[220:221]
                                        ; implicit-def: $vgpr212_vgpr213
	s_and_saveexec_b32 s3, vcc_lo
	s_xor_b32 s3, exec_lo, s3
                                        ; implicit-def: $vgpr220_vgpr221_vgpr222_vgpr223
	s_cbranch_execz .LBB111_293
; %bb.292:
	v_div_scale_f64 v[212:213], null, v[218:219], v[218:219], v[216:217]
	v_div_scale_f64 v[224:225], vcc_lo, v[216:217], v[218:219], v[216:217]
	s_delay_alu instid0(VALU_DEP_2) | instskip(SKIP_2) | instid1(VALU_DEP_1)
	v_rcp_f64_e32 v[220:221], v[212:213]
	s_waitcnt_depctr 0xfff
	v_fma_f64 v[222:223], -v[212:213], v[220:221], 1.0
	v_fma_f64 v[220:221], v[220:221], v[222:223], v[220:221]
	s_delay_alu instid0(VALU_DEP_1) | instskip(NEXT) | instid1(VALU_DEP_1)
	v_fma_f64 v[222:223], -v[212:213], v[220:221], 1.0
	v_fma_f64 v[220:221], v[220:221], v[222:223], v[220:221]
	s_delay_alu instid0(VALU_DEP_1) | instskip(NEXT) | instid1(VALU_DEP_1)
	v_mul_f64 v[222:223], v[224:225], v[220:221]
	v_fma_f64 v[212:213], -v[212:213], v[222:223], v[224:225]
	s_delay_alu instid0(VALU_DEP_1) | instskip(NEXT) | instid1(VALU_DEP_1)
	v_div_fmas_f64 v[212:213], v[212:213], v[220:221], v[222:223]
	v_div_fixup_f64 v[212:213], v[212:213], v[218:219], v[216:217]
	s_delay_alu instid0(VALU_DEP_1) | instskip(NEXT) | instid1(VALU_DEP_1)
	v_fma_f64 v[216:217], v[216:217], v[212:213], v[218:219]
	v_div_scale_f64 v[218:219], null, v[216:217], v[216:217], 1.0
	s_delay_alu instid0(VALU_DEP_1) | instskip(SKIP_2) | instid1(VALU_DEP_1)
	v_rcp_f64_e32 v[220:221], v[218:219]
	s_waitcnt_depctr 0xfff
	v_fma_f64 v[222:223], -v[218:219], v[220:221], 1.0
	v_fma_f64 v[220:221], v[220:221], v[222:223], v[220:221]
	s_delay_alu instid0(VALU_DEP_1) | instskip(NEXT) | instid1(VALU_DEP_1)
	v_fma_f64 v[222:223], -v[218:219], v[220:221], 1.0
	v_fma_f64 v[220:221], v[220:221], v[222:223], v[220:221]
	v_div_scale_f64 v[222:223], vcc_lo, 1.0, v[216:217], 1.0
	s_delay_alu instid0(VALU_DEP_1) | instskip(NEXT) | instid1(VALU_DEP_1)
	v_mul_f64 v[224:225], v[222:223], v[220:221]
	v_fma_f64 v[218:219], -v[218:219], v[224:225], v[222:223]
	s_delay_alu instid0(VALU_DEP_1) | instskip(NEXT) | instid1(VALU_DEP_1)
	v_div_fmas_f64 v[218:219], v[218:219], v[220:221], v[224:225]
	v_div_fixup_f64 v[222:223], v[218:219], v[216:217], 1.0
                                        ; implicit-def: $vgpr216_vgpr217
	s_delay_alu instid0(VALU_DEP_1)
	v_mul_f64 v[212:213], v[212:213], v[222:223]
	v_xor_b32_e32 v223, 0x80000000, v223
.LBB111_293:
	s_and_not1_saveexec_b32 s3, s3
	s_cbranch_execz .LBB111_295
; %bb.294:
	v_div_scale_f64 v[212:213], null, v[216:217], v[216:217], v[218:219]
	v_div_scale_f64 v[224:225], vcc_lo, v[218:219], v[216:217], v[218:219]
	s_delay_alu instid0(VALU_DEP_2) | instskip(SKIP_2) | instid1(VALU_DEP_1)
	v_rcp_f64_e32 v[220:221], v[212:213]
	s_waitcnt_depctr 0xfff
	v_fma_f64 v[222:223], -v[212:213], v[220:221], 1.0
	v_fma_f64 v[220:221], v[220:221], v[222:223], v[220:221]
	s_delay_alu instid0(VALU_DEP_1) | instskip(NEXT) | instid1(VALU_DEP_1)
	v_fma_f64 v[222:223], -v[212:213], v[220:221], 1.0
	v_fma_f64 v[220:221], v[220:221], v[222:223], v[220:221]
	s_delay_alu instid0(VALU_DEP_1) | instskip(NEXT) | instid1(VALU_DEP_1)
	v_mul_f64 v[222:223], v[224:225], v[220:221]
	v_fma_f64 v[212:213], -v[212:213], v[222:223], v[224:225]
	s_delay_alu instid0(VALU_DEP_1) | instskip(NEXT) | instid1(VALU_DEP_1)
	v_div_fmas_f64 v[212:213], v[212:213], v[220:221], v[222:223]
	v_div_fixup_f64 v[220:221], v[212:213], v[216:217], v[218:219]
	s_delay_alu instid0(VALU_DEP_1) | instskip(NEXT) | instid1(VALU_DEP_1)
	v_fma_f64 v[212:213], v[218:219], v[220:221], v[216:217]
	v_div_scale_f64 v[216:217], null, v[212:213], v[212:213], 1.0
	s_delay_alu instid0(VALU_DEP_1) | instskip(SKIP_2) | instid1(VALU_DEP_1)
	v_rcp_f64_e32 v[218:219], v[216:217]
	s_waitcnt_depctr 0xfff
	v_fma_f64 v[222:223], -v[216:217], v[218:219], 1.0
	v_fma_f64 v[218:219], v[218:219], v[222:223], v[218:219]
	s_delay_alu instid0(VALU_DEP_1) | instskip(NEXT) | instid1(VALU_DEP_1)
	v_fma_f64 v[222:223], -v[216:217], v[218:219], 1.0
	v_fma_f64 v[218:219], v[218:219], v[222:223], v[218:219]
	v_div_scale_f64 v[222:223], vcc_lo, 1.0, v[212:213], 1.0
	s_delay_alu instid0(VALU_DEP_1) | instskip(NEXT) | instid1(VALU_DEP_1)
	v_mul_f64 v[224:225], v[222:223], v[218:219]
	v_fma_f64 v[216:217], -v[216:217], v[224:225], v[222:223]
	s_delay_alu instid0(VALU_DEP_1) | instskip(NEXT) | instid1(VALU_DEP_1)
	v_div_fmas_f64 v[216:217], v[216:217], v[218:219], v[224:225]
	v_div_fixup_f64 v[212:213], v[216:217], v[212:213], 1.0
	s_delay_alu instid0(VALU_DEP_1)
	v_mul_f64 v[222:223], v[220:221], -v[212:213]
.LBB111_295:
	s_or_b32 exec_lo, exec_lo, s3
	ds_store_2addr_b64 v251, v[212:213], v[222:223] offset1:1
.LBB111_296:
	s_or_b32 exec_lo, exec_lo, s4
	s_waitcnt lgkmcnt(0)
	s_barrier
	buffer_gl0_inv
	ds_load_2addr_b64 v[208:211], v251 offset1:1
	s_mov_b32 s3, exec_lo
	s_waitcnt lgkmcnt(0)
	scratch_store_b128 off, v[208:211], off offset:1024 ; 16-byte Folded Spill
	v_cmpx_lt_u32_e32 32, v248
	s_cbranch_execz .LBB111_298
; %bb.297:
	scratch_load_b128 v[208:211], off, off offset:1024 ; 16-byte Folded Reload
	ds_load_2addr_b64 v[218:221], v214 offset0:66 offset1:67
	s_waitcnt vmcnt(0)
	v_mul_f64 v[212:213], v[210:211], v[94:95]
	v_mul_f64 v[94:95], v[208:209], v[94:95]
	s_delay_alu instid0(VALU_DEP_2) | instskip(NEXT) | instid1(VALU_DEP_2)
	v_fma_f64 v[216:217], v[208:209], v[92:93], -v[212:213]
	v_fma_f64 v[94:95], v[210:211], v[92:93], v[94:95]
	s_waitcnt lgkmcnt(0)
	s_delay_alu instid0(VALU_DEP_1) | instskip(SKIP_1) | instid1(VALU_DEP_2)
	v_mul_f64 v[92:93], v[220:221], v[94:95]
	v_mul_f64 v[212:213], v[218:219], v[94:95]
	v_fma_f64 v[92:93], v[218:219], v[216:217], -v[92:93]
	s_delay_alu instid0(VALU_DEP_2)
	v_fma_f64 v[212:213], v[220:221], v[216:217], v[212:213]
	ds_load_2addr_b64 v[218:221], v214 offset0:68 offset1:69
	v_add_f64 v[88:89], v[88:89], -v[92:93]
	v_add_f64 v[90:91], v[90:91], -v[212:213]
	s_waitcnt lgkmcnt(0)
	v_mul_f64 v[92:93], v[220:221], v[94:95]
	v_mul_f64 v[212:213], v[218:219], v[94:95]
	s_delay_alu instid0(VALU_DEP_2) | instskip(NEXT) | instid1(VALU_DEP_2)
	v_fma_f64 v[92:93], v[218:219], v[216:217], -v[92:93]
	v_fma_f64 v[212:213], v[220:221], v[216:217], v[212:213]
	ds_load_2addr_b64 v[218:221], v214 offset0:70 offset1:71
	v_add_f64 v[84:85], v[84:85], -v[92:93]
	v_add_f64 v[86:87], v[86:87], -v[212:213]
	s_waitcnt lgkmcnt(0)
	v_mul_f64 v[92:93], v[220:221], v[94:95]
	v_mul_f64 v[212:213], v[218:219], v[94:95]
	s_delay_alu instid0(VALU_DEP_2) | instskip(NEXT) | instid1(VALU_DEP_2)
	v_fma_f64 v[92:93], v[218:219], v[216:217], -v[92:93]
	;; [unrolled: 9-line block ×22, first 2 shown]
	v_fma_f64 v[212:213], v[220:221], v[216:217], v[212:213]
	s_delay_alu instid0(VALU_DEP_2) | instskip(NEXT) | instid1(VALU_DEP_2)
	v_add_f64 v[0:1], v[0:1], -v[92:93]
	v_add_f64 v[2:3], v[2:3], -v[212:213]
	v_dual_mov_b32 v92, v216 :: v_dual_mov_b32 v93, v217
.LBB111_298:
	s_or_b32 exec_lo, exec_lo, s3
	s_delay_alu instid0(SALU_CYCLE_1)
	s_mov_b32 s4, exec_lo
	s_waitcnt_vscnt null, 0x0
	s_barrier
	buffer_gl0_inv
	v_cmpx_eq_u32_e32 33, v248
	s_cbranch_execz .LBB111_305
; %bb.299:
	ds_store_2addr_b64 v251, v[88:89], v[90:91] offset1:1
	ds_store_2addr_b64 v214, v[84:85], v[86:87] offset0:68 offset1:69
	ds_store_2addr_b64 v214, v[80:81], v[82:83] offset0:70 offset1:71
	;; [unrolled: 1-line block ×22, first 2 shown]
	ds_load_2addr_b64 v[216:219], v251 offset1:1
	s_waitcnt lgkmcnt(0)
	v_cmp_neq_f64_e32 vcc_lo, 0, v[216:217]
	v_cmp_neq_f64_e64 s3, 0, v[218:219]
	s_delay_alu instid0(VALU_DEP_1) | instskip(NEXT) | instid1(SALU_CYCLE_1)
	s_or_b32 s3, vcc_lo, s3
	s_and_b32 exec_lo, exec_lo, s3
	s_cbranch_execz .LBB111_305
; %bb.300:
	v_cmp_gt_f64_e32 vcc_lo, 0, v[216:217]
	v_xor_b32_e32 v208, 0x80000000, v217
	s_delay_alu instid0(VALU_DEP_1) | instskip(SKIP_3) | instid1(VALU_DEP_1)
	v_cndmask_b32_e32 v213, v217, v208, vcc_lo
	v_cndmask_b32_e32 v212, v216, v216, vcc_lo
	v_cmp_gt_f64_e32 vcc_lo, 0, v[218:219]
	v_xor_b32_e32 v208, 0x80000000, v219
	v_dual_cndmask_b32 v220, v218, v218 :: v_dual_cndmask_b32 v221, v219, v208
	s_delay_alu instid0(VALU_DEP_1) | instskip(SKIP_1) | instid1(SALU_CYCLE_1)
	v_cmp_ngt_f64_e32 vcc_lo, v[212:213], v[220:221]
                                        ; implicit-def: $vgpr212_vgpr213
	s_and_saveexec_b32 s3, vcc_lo
	s_xor_b32 s3, exec_lo, s3
                                        ; implicit-def: $vgpr220_vgpr221_vgpr222_vgpr223
	s_cbranch_execz .LBB111_302
; %bb.301:
	v_div_scale_f64 v[212:213], null, v[218:219], v[218:219], v[216:217]
	v_div_scale_f64 v[224:225], vcc_lo, v[216:217], v[218:219], v[216:217]
	s_delay_alu instid0(VALU_DEP_2) | instskip(SKIP_2) | instid1(VALU_DEP_1)
	v_rcp_f64_e32 v[220:221], v[212:213]
	s_waitcnt_depctr 0xfff
	v_fma_f64 v[222:223], -v[212:213], v[220:221], 1.0
	v_fma_f64 v[220:221], v[220:221], v[222:223], v[220:221]
	s_delay_alu instid0(VALU_DEP_1) | instskip(NEXT) | instid1(VALU_DEP_1)
	v_fma_f64 v[222:223], -v[212:213], v[220:221], 1.0
	v_fma_f64 v[220:221], v[220:221], v[222:223], v[220:221]
	s_delay_alu instid0(VALU_DEP_1) | instskip(NEXT) | instid1(VALU_DEP_1)
	v_mul_f64 v[222:223], v[224:225], v[220:221]
	v_fma_f64 v[212:213], -v[212:213], v[222:223], v[224:225]
	s_delay_alu instid0(VALU_DEP_1) | instskip(NEXT) | instid1(VALU_DEP_1)
	v_div_fmas_f64 v[212:213], v[212:213], v[220:221], v[222:223]
	v_div_fixup_f64 v[212:213], v[212:213], v[218:219], v[216:217]
	s_delay_alu instid0(VALU_DEP_1) | instskip(NEXT) | instid1(VALU_DEP_1)
	v_fma_f64 v[216:217], v[216:217], v[212:213], v[218:219]
	v_div_scale_f64 v[218:219], null, v[216:217], v[216:217], 1.0
	s_delay_alu instid0(VALU_DEP_1) | instskip(SKIP_2) | instid1(VALU_DEP_1)
	v_rcp_f64_e32 v[220:221], v[218:219]
	s_waitcnt_depctr 0xfff
	v_fma_f64 v[222:223], -v[218:219], v[220:221], 1.0
	v_fma_f64 v[220:221], v[220:221], v[222:223], v[220:221]
	s_delay_alu instid0(VALU_DEP_1) | instskip(NEXT) | instid1(VALU_DEP_1)
	v_fma_f64 v[222:223], -v[218:219], v[220:221], 1.0
	v_fma_f64 v[220:221], v[220:221], v[222:223], v[220:221]
	v_div_scale_f64 v[222:223], vcc_lo, 1.0, v[216:217], 1.0
	s_delay_alu instid0(VALU_DEP_1) | instskip(NEXT) | instid1(VALU_DEP_1)
	v_mul_f64 v[224:225], v[222:223], v[220:221]
	v_fma_f64 v[218:219], -v[218:219], v[224:225], v[222:223]
	s_delay_alu instid0(VALU_DEP_1) | instskip(NEXT) | instid1(VALU_DEP_1)
	v_div_fmas_f64 v[218:219], v[218:219], v[220:221], v[224:225]
	v_div_fixup_f64 v[222:223], v[218:219], v[216:217], 1.0
                                        ; implicit-def: $vgpr216_vgpr217
	s_delay_alu instid0(VALU_DEP_1)
	v_mul_f64 v[212:213], v[212:213], v[222:223]
	v_xor_b32_e32 v223, 0x80000000, v223
.LBB111_302:
	s_and_not1_saveexec_b32 s3, s3
	s_cbranch_execz .LBB111_304
; %bb.303:
	v_div_scale_f64 v[212:213], null, v[216:217], v[216:217], v[218:219]
	v_div_scale_f64 v[224:225], vcc_lo, v[218:219], v[216:217], v[218:219]
	s_delay_alu instid0(VALU_DEP_2) | instskip(SKIP_2) | instid1(VALU_DEP_1)
	v_rcp_f64_e32 v[220:221], v[212:213]
	s_waitcnt_depctr 0xfff
	v_fma_f64 v[222:223], -v[212:213], v[220:221], 1.0
	v_fma_f64 v[220:221], v[220:221], v[222:223], v[220:221]
	s_delay_alu instid0(VALU_DEP_1) | instskip(NEXT) | instid1(VALU_DEP_1)
	v_fma_f64 v[222:223], -v[212:213], v[220:221], 1.0
	v_fma_f64 v[220:221], v[220:221], v[222:223], v[220:221]
	s_delay_alu instid0(VALU_DEP_1) | instskip(NEXT) | instid1(VALU_DEP_1)
	v_mul_f64 v[222:223], v[224:225], v[220:221]
	v_fma_f64 v[212:213], -v[212:213], v[222:223], v[224:225]
	s_delay_alu instid0(VALU_DEP_1) | instskip(NEXT) | instid1(VALU_DEP_1)
	v_div_fmas_f64 v[212:213], v[212:213], v[220:221], v[222:223]
	v_div_fixup_f64 v[220:221], v[212:213], v[216:217], v[218:219]
	s_delay_alu instid0(VALU_DEP_1) | instskip(NEXT) | instid1(VALU_DEP_1)
	v_fma_f64 v[212:213], v[218:219], v[220:221], v[216:217]
	v_div_scale_f64 v[216:217], null, v[212:213], v[212:213], 1.0
	s_delay_alu instid0(VALU_DEP_1) | instskip(SKIP_2) | instid1(VALU_DEP_1)
	v_rcp_f64_e32 v[218:219], v[216:217]
	s_waitcnt_depctr 0xfff
	v_fma_f64 v[222:223], -v[216:217], v[218:219], 1.0
	v_fma_f64 v[218:219], v[218:219], v[222:223], v[218:219]
	s_delay_alu instid0(VALU_DEP_1) | instskip(NEXT) | instid1(VALU_DEP_1)
	v_fma_f64 v[222:223], -v[216:217], v[218:219], 1.0
	v_fma_f64 v[218:219], v[218:219], v[222:223], v[218:219]
	v_div_scale_f64 v[222:223], vcc_lo, 1.0, v[212:213], 1.0
	s_delay_alu instid0(VALU_DEP_1) | instskip(NEXT) | instid1(VALU_DEP_1)
	v_mul_f64 v[224:225], v[222:223], v[218:219]
	v_fma_f64 v[216:217], -v[216:217], v[224:225], v[222:223]
	s_delay_alu instid0(VALU_DEP_1) | instskip(NEXT) | instid1(VALU_DEP_1)
	v_div_fmas_f64 v[216:217], v[216:217], v[218:219], v[224:225]
	v_div_fixup_f64 v[212:213], v[216:217], v[212:213], 1.0
	s_delay_alu instid0(VALU_DEP_1)
	v_mul_f64 v[222:223], v[220:221], -v[212:213]
.LBB111_304:
	s_or_b32 exec_lo, exec_lo, s3
	ds_store_2addr_b64 v251, v[212:213], v[222:223] offset1:1
.LBB111_305:
	s_or_b32 exec_lo, exec_lo, s4
	s_waitcnt lgkmcnt(0)
	s_barrier
	buffer_gl0_inv
	ds_load_2addr_b64 v[208:211], v251 offset1:1
	s_mov_b32 s3, exec_lo
	s_waitcnt lgkmcnt(0)
	scratch_store_b128 off, v[208:211], off offset:1040 ; 16-byte Folded Spill
	v_cmpx_lt_u32_e32 33, v248
	s_cbranch_execz .LBB111_307
; %bb.306:
	scratch_load_b128 v[208:211], off, off offset:1040 ; 16-byte Folded Reload
	ds_load_2addr_b64 v[218:221], v214 offset0:68 offset1:69
	s_waitcnt vmcnt(0)
	v_mul_f64 v[212:213], v[210:211], v[90:91]
	v_mul_f64 v[90:91], v[208:209], v[90:91]
	s_delay_alu instid0(VALU_DEP_2) | instskip(NEXT) | instid1(VALU_DEP_2)
	v_fma_f64 v[216:217], v[208:209], v[88:89], -v[212:213]
	v_fma_f64 v[90:91], v[210:211], v[88:89], v[90:91]
	s_waitcnt lgkmcnt(0)
	s_delay_alu instid0(VALU_DEP_1) | instskip(SKIP_1) | instid1(VALU_DEP_2)
	v_mul_f64 v[88:89], v[220:221], v[90:91]
	v_mul_f64 v[212:213], v[218:219], v[90:91]
	v_fma_f64 v[88:89], v[218:219], v[216:217], -v[88:89]
	s_delay_alu instid0(VALU_DEP_2)
	v_fma_f64 v[212:213], v[220:221], v[216:217], v[212:213]
	ds_load_2addr_b64 v[218:221], v214 offset0:70 offset1:71
	v_add_f64 v[84:85], v[84:85], -v[88:89]
	v_add_f64 v[86:87], v[86:87], -v[212:213]
	s_waitcnt lgkmcnt(0)
	v_mul_f64 v[88:89], v[220:221], v[90:91]
	v_mul_f64 v[212:213], v[218:219], v[90:91]
	s_delay_alu instid0(VALU_DEP_2) | instskip(NEXT) | instid1(VALU_DEP_2)
	v_fma_f64 v[88:89], v[218:219], v[216:217], -v[88:89]
	v_fma_f64 v[212:213], v[220:221], v[216:217], v[212:213]
	ds_load_2addr_b64 v[218:221], v214 offset0:72 offset1:73
	v_add_f64 v[80:81], v[80:81], -v[88:89]
	v_add_f64 v[82:83], v[82:83], -v[212:213]
	s_waitcnt lgkmcnt(0)
	v_mul_f64 v[88:89], v[220:221], v[90:91]
	v_mul_f64 v[212:213], v[218:219], v[90:91]
	s_delay_alu instid0(VALU_DEP_2) | instskip(NEXT) | instid1(VALU_DEP_2)
	v_fma_f64 v[88:89], v[218:219], v[216:217], -v[88:89]
	;; [unrolled: 9-line block ×21, first 2 shown]
	v_fma_f64 v[212:213], v[220:221], v[216:217], v[212:213]
	s_delay_alu instid0(VALU_DEP_2) | instskip(NEXT) | instid1(VALU_DEP_2)
	v_add_f64 v[0:1], v[0:1], -v[88:89]
	v_add_f64 v[2:3], v[2:3], -v[212:213]
	v_dual_mov_b32 v88, v216 :: v_dual_mov_b32 v89, v217
.LBB111_307:
	s_or_b32 exec_lo, exec_lo, s3
	s_delay_alu instid0(SALU_CYCLE_1)
	s_mov_b32 s4, exec_lo
	s_waitcnt_vscnt null, 0x0
	s_barrier
	buffer_gl0_inv
	v_cmpx_eq_u32_e32 34, v248
	s_cbranch_execz .LBB111_314
; %bb.308:
	ds_store_2addr_b64 v251, v[84:85], v[86:87] offset1:1
	ds_store_2addr_b64 v214, v[80:81], v[82:83] offset0:70 offset1:71
	ds_store_2addr_b64 v214, v[76:77], v[78:79] offset0:72 offset1:73
	;; [unrolled: 1-line block ×21, first 2 shown]
	ds_load_2addr_b64 v[216:219], v251 offset1:1
	s_waitcnt lgkmcnt(0)
	v_cmp_neq_f64_e32 vcc_lo, 0, v[216:217]
	v_cmp_neq_f64_e64 s3, 0, v[218:219]
	s_delay_alu instid0(VALU_DEP_1) | instskip(NEXT) | instid1(SALU_CYCLE_1)
	s_or_b32 s3, vcc_lo, s3
	s_and_b32 exec_lo, exec_lo, s3
	s_cbranch_execz .LBB111_314
; %bb.309:
	v_cmp_gt_f64_e32 vcc_lo, 0, v[216:217]
	v_xor_b32_e32 v208, 0x80000000, v217
	s_delay_alu instid0(VALU_DEP_1) | instskip(SKIP_3) | instid1(VALU_DEP_1)
	v_cndmask_b32_e32 v213, v217, v208, vcc_lo
	v_cndmask_b32_e32 v212, v216, v216, vcc_lo
	v_cmp_gt_f64_e32 vcc_lo, 0, v[218:219]
	v_xor_b32_e32 v208, 0x80000000, v219
	v_dual_cndmask_b32 v220, v218, v218 :: v_dual_cndmask_b32 v221, v219, v208
	s_delay_alu instid0(VALU_DEP_1) | instskip(SKIP_1) | instid1(SALU_CYCLE_1)
	v_cmp_ngt_f64_e32 vcc_lo, v[212:213], v[220:221]
                                        ; implicit-def: $vgpr212_vgpr213
	s_and_saveexec_b32 s3, vcc_lo
	s_xor_b32 s3, exec_lo, s3
                                        ; implicit-def: $vgpr220_vgpr221_vgpr222_vgpr223
	s_cbranch_execz .LBB111_311
; %bb.310:
	v_div_scale_f64 v[212:213], null, v[218:219], v[218:219], v[216:217]
	v_div_scale_f64 v[224:225], vcc_lo, v[216:217], v[218:219], v[216:217]
	s_delay_alu instid0(VALU_DEP_2) | instskip(SKIP_2) | instid1(VALU_DEP_1)
	v_rcp_f64_e32 v[220:221], v[212:213]
	s_waitcnt_depctr 0xfff
	v_fma_f64 v[222:223], -v[212:213], v[220:221], 1.0
	v_fma_f64 v[220:221], v[220:221], v[222:223], v[220:221]
	s_delay_alu instid0(VALU_DEP_1) | instskip(NEXT) | instid1(VALU_DEP_1)
	v_fma_f64 v[222:223], -v[212:213], v[220:221], 1.0
	v_fma_f64 v[220:221], v[220:221], v[222:223], v[220:221]
	s_delay_alu instid0(VALU_DEP_1) | instskip(NEXT) | instid1(VALU_DEP_1)
	v_mul_f64 v[222:223], v[224:225], v[220:221]
	v_fma_f64 v[212:213], -v[212:213], v[222:223], v[224:225]
	s_delay_alu instid0(VALU_DEP_1) | instskip(NEXT) | instid1(VALU_DEP_1)
	v_div_fmas_f64 v[212:213], v[212:213], v[220:221], v[222:223]
	v_div_fixup_f64 v[212:213], v[212:213], v[218:219], v[216:217]
	s_delay_alu instid0(VALU_DEP_1) | instskip(NEXT) | instid1(VALU_DEP_1)
	v_fma_f64 v[216:217], v[216:217], v[212:213], v[218:219]
	v_div_scale_f64 v[218:219], null, v[216:217], v[216:217], 1.0
	s_delay_alu instid0(VALU_DEP_1) | instskip(SKIP_2) | instid1(VALU_DEP_1)
	v_rcp_f64_e32 v[220:221], v[218:219]
	s_waitcnt_depctr 0xfff
	v_fma_f64 v[222:223], -v[218:219], v[220:221], 1.0
	v_fma_f64 v[220:221], v[220:221], v[222:223], v[220:221]
	s_delay_alu instid0(VALU_DEP_1) | instskip(NEXT) | instid1(VALU_DEP_1)
	v_fma_f64 v[222:223], -v[218:219], v[220:221], 1.0
	v_fma_f64 v[220:221], v[220:221], v[222:223], v[220:221]
	v_div_scale_f64 v[222:223], vcc_lo, 1.0, v[216:217], 1.0
	s_delay_alu instid0(VALU_DEP_1) | instskip(NEXT) | instid1(VALU_DEP_1)
	v_mul_f64 v[224:225], v[222:223], v[220:221]
	v_fma_f64 v[218:219], -v[218:219], v[224:225], v[222:223]
	s_delay_alu instid0(VALU_DEP_1) | instskip(NEXT) | instid1(VALU_DEP_1)
	v_div_fmas_f64 v[218:219], v[218:219], v[220:221], v[224:225]
	v_div_fixup_f64 v[222:223], v[218:219], v[216:217], 1.0
                                        ; implicit-def: $vgpr216_vgpr217
	s_delay_alu instid0(VALU_DEP_1)
	v_mul_f64 v[212:213], v[212:213], v[222:223]
	v_xor_b32_e32 v223, 0x80000000, v223
.LBB111_311:
	s_and_not1_saveexec_b32 s3, s3
	s_cbranch_execz .LBB111_313
; %bb.312:
	v_div_scale_f64 v[212:213], null, v[216:217], v[216:217], v[218:219]
	v_div_scale_f64 v[224:225], vcc_lo, v[218:219], v[216:217], v[218:219]
	s_delay_alu instid0(VALU_DEP_2) | instskip(SKIP_2) | instid1(VALU_DEP_1)
	v_rcp_f64_e32 v[220:221], v[212:213]
	s_waitcnt_depctr 0xfff
	v_fma_f64 v[222:223], -v[212:213], v[220:221], 1.0
	v_fma_f64 v[220:221], v[220:221], v[222:223], v[220:221]
	s_delay_alu instid0(VALU_DEP_1) | instskip(NEXT) | instid1(VALU_DEP_1)
	v_fma_f64 v[222:223], -v[212:213], v[220:221], 1.0
	v_fma_f64 v[220:221], v[220:221], v[222:223], v[220:221]
	s_delay_alu instid0(VALU_DEP_1) | instskip(NEXT) | instid1(VALU_DEP_1)
	v_mul_f64 v[222:223], v[224:225], v[220:221]
	v_fma_f64 v[212:213], -v[212:213], v[222:223], v[224:225]
	s_delay_alu instid0(VALU_DEP_1) | instskip(NEXT) | instid1(VALU_DEP_1)
	v_div_fmas_f64 v[212:213], v[212:213], v[220:221], v[222:223]
	v_div_fixup_f64 v[220:221], v[212:213], v[216:217], v[218:219]
	s_delay_alu instid0(VALU_DEP_1) | instskip(NEXT) | instid1(VALU_DEP_1)
	v_fma_f64 v[212:213], v[218:219], v[220:221], v[216:217]
	v_div_scale_f64 v[216:217], null, v[212:213], v[212:213], 1.0
	s_delay_alu instid0(VALU_DEP_1) | instskip(SKIP_2) | instid1(VALU_DEP_1)
	v_rcp_f64_e32 v[218:219], v[216:217]
	s_waitcnt_depctr 0xfff
	v_fma_f64 v[222:223], -v[216:217], v[218:219], 1.0
	v_fma_f64 v[218:219], v[218:219], v[222:223], v[218:219]
	s_delay_alu instid0(VALU_DEP_1) | instskip(NEXT) | instid1(VALU_DEP_1)
	v_fma_f64 v[222:223], -v[216:217], v[218:219], 1.0
	v_fma_f64 v[218:219], v[218:219], v[222:223], v[218:219]
	v_div_scale_f64 v[222:223], vcc_lo, 1.0, v[212:213], 1.0
	s_delay_alu instid0(VALU_DEP_1) | instskip(NEXT) | instid1(VALU_DEP_1)
	v_mul_f64 v[224:225], v[222:223], v[218:219]
	v_fma_f64 v[216:217], -v[216:217], v[224:225], v[222:223]
	s_delay_alu instid0(VALU_DEP_1) | instskip(NEXT) | instid1(VALU_DEP_1)
	v_div_fmas_f64 v[216:217], v[216:217], v[218:219], v[224:225]
	v_div_fixup_f64 v[212:213], v[216:217], v[212:213], 1.0
	s_delay_alu instid0(VALU_DEP_1)
	v_mul_f64 v[222:223], v[220:221], -v[212:213]
.LBB111_313:
	s_or_b32 exec_lo, exec_lo, s3
	ds_store_2addr_b64 v251, v[212:213], v[222:223] offset1:1
.LBB111_314:
	s_or_b32 exec_lo, exec_lo, s4
	s_waitcnt lgkmcnt(0)
	s_barrier
	buffer_gl0_inv
	ds_load_2addr_b64 v[208:211], v251 offset1:1
	s_mov_b32 s3, exec_lo
	s_waitcnt lgkmcnt(0)
	scratch_store_b128 off, v[208:211], off offset:1056 ; 16-byte Folded Spill
	v_cmpx_lt_u32_e32 34, v248
	s_cbranch_execz .LBB111_316
; %bb.315:
	scratch_load_b128 v[208:211], off, off offset:1056 ; 16-byte Folded Reload
	ds_load_2addr_b64 v[218:221], v214 offset0:70 offset1:71
	s_waitcnt vmcnt(0)
	v_mul_f64 v[212:213], v[210:211], v[86:87]
	v_mul_f64 v[86:87], v[208:209], v[86:87]
	s_delay_alu instid0(VALU_DEP_2) | instskip(NEXT) | instid1(VALU_DEP_2)
	v_fma_f64 v[216:217], v[208:209], v[84:85], -v[212:213]
	v_fma_f64 v[86:87], v[210:211], v[84:85], v[86:87]
	s_waitcnt lgkmcnt(0)
	s_delay_alu instid0(VALU_DEP_1) | instskip(SKIP_1) | instid1(VALU_DEP_2)
	v_mul_f64 v[84:85], v[220:221], v[86:87]
	v_mul_f64 v[212:213], v[218:219], v[86:87]
	v_fma_f64 v[84:85], v[218:219], v[216:217], -v[84:85]
	s_delay_alu instid0(VALU_DEP_2)
	v_fma_f64 v[212:213], v[220:221], v[216:217], v[212:213]
	ds_load_2addr_b64 v[218:221], v214 offset0:72 offset1:73
	v_add_f64 v[80:81], v[80:81], -v[84:85]
	v_add_f64 v[82:83], v[82:83], -v[212:213]
	s_waitcnt lgkmcnt(0)
	v_mul_f64 v[84:85], v[220:221], v[86:87]
	v_mul_f64 v[212:213], v[218:219], v[86:87]
	s_delay_alu instid0(VALU_DEP_2) | instskip(NEXT) | instid1(VALU_DEP_2)
	v_fma_f64 v[84:85], v[218:219], v[216:217], -v[84:85]
	v_fma_f64 v[212:213], v[220:221], v[216:217], v[212:213]
	ds_load_2addr_b64 v[218:221], v214 offset0:74 offset1:75
	v_add_f64 v[76:77], v[76:77], -v[84:85]
	v_add_f64 v[78:79], v[78:79], -v[212:213]
	s_waitcnt lgkmcnt(0)
	v_mul_f64 v[84:85], v[220:221], v[86:87]
	v_mul_f64 v[212:213], v[218:219], v[86:87]
	s_delay_alu instid0(VALU_DEP_2) | instskip(NEXT) | instid1(VALU_DEP_2)
	v_fma_f64 v[84:85], v[218:219], v[216:217], -v[84:85]
	;; [unrolled: 9-line block ×20, first 2 shown]
	v_fma_f64 v[212:213], v[220:221], v[216:217], v[212:213]
	s_delay_alu instid0(VALU_DEP_2) | instskip(NEXT) | instid1(VALU_DEP_2)
	v_add_f64 v[0:1], v[0:1], -v[84:85]
	v_add_f64 v[2:3], v[2:3], -v[212:213]
	v_dual_mov_b32 v84, v216 :: v_dual_mov_b32 v85, v217
.LBB111_316:
	s_or_b32 exec_lo, exec_lo, s3
	s_delay_alu instid0(SALU_CYCLE_1)
	s_mov_b32 s4, exec_lo
	s_waitcnt_vscnt null, 0x0
	s_barrier
	buffer_gl0_inv
	v_cmpx_eq_u32_e32 35, v248
	s_cbranch_execz .LBB111_323
; %bb.317:
	ds_store_2addr_b64 v251, v[80:81], v[82:83] offset1:1
	ds_store_2addr_b64 v214, v[76:77], v[78:79] offset0:72 offset1:73
	ds_store_2addr_b64 v214, v[72:73], v[74:75] offset0:74 offset1:75
	;; [unrolled: 1-line block ×20, first 2 shown]
	ds_load_2addr_b64 v[216:219], v251 offset1:1
	s_waitcnt lgkmcnt(0)
	v_cmp_neq_f64_e32 vcc_lo, 0, v[216:217]
	v_cmp_neq_f64_e64 s3, 0, v[218:219]
	s_delay_alu instid0(VALU_DEP_1) | instskip(NEXT) | instid1(SALU_CYCLE_1)
	s_or_b32 s3, vcc_lo, s3
	s_and_b32 exec_lo, exec_lo, s3
	s_cbranch_execz .LBB111_323
; %bb.318:
	v_cmp_gt_f64_e32 vcc_lo, 0, v[216:217]
	v_xor_b32_e32 v208, 0x80000000, v217
	s_delay_alu instid0(VALU_DEP_1) | instskip(SKIP_3) | instid1(VALU_DEP_1)
	v_cndmask_b32_e32 v213, v217, v208, vcc_lo
	v_cndmask_b32_e32 v212, v216, v216, vcc_lo
	v_cmp_gt_f64_e32 vcc_lo, 0, v[218:219]
	v_xor_b32_e32 v208, 0x80000000, v219
	v_dual_cndmask_b32 v220, v218, v218 :: v_dual_cndmask_b32 v221, v219, v208
	s_delay_alu instid0(VALU_DEP_1) | instskip(SKIP_1) | instid1(SALU_CYCLE_1)
	v_cmp_ngt_f64_e32 vcc_lo, v[212:213], v[220:221]
                                        ; implicit-def: $vgpr212_vgpr213
	s_and_saveexec_b32 s3, vcc_lo
	s_xor_b32 s3, exec_lo, s3
                                        ; implicit-def: $vgpr220_vgpr221_vgpr222_vgpr223
	s_cbranch_execz .LBB111_320
; %bb.319:
	v_div_scale_f64 v[212:213], null, v[218:219], v[218:219], v[216:217]
	v_div_scale_f64 v[224:225], vcc_lo, v[216:217], v[218:219], v[216:217]
	s_delay_alu instid0(VALU_DEP_2) | instskip(SKIP_2) | instid1(VALU_DEP_1)
	v_rcp_f64_e32 v[220:221], v[212:213]
	s_waitcnt_depctr 0xfff
	v_fma_f64 v[222:223], -v[212:213], v[220:221], 1.0
	v_fma_f64 v[220:221], v[220:221], v[222:223], v[220:221]
	s_delay_alu instid0(VALU_DEP_1) | instskip(NEXT) | instid1(VALU_DEP_1)
	v_fma_f64 v[222:223], -v[212:213], v[220:221], 1.0
	v_fma_f64 v[220:221], v[220:221], v[222:223], v[220:221]
	s_delay_alu instid0(VALU_DEP_1) | instskip(NEXT) | instid1(VALU_DEP_1)
	v_mul_f64 v[222:223], v[224:225], v[220:221]
	v_fma_f64 v[212:213], -v[212:213], v[222:223], v[224:225]
	s_delay_alu instid0(VALU_DEP_1) | instskip(NEXT) | instid1(VALU_DEP_1)
	v_div_fmas_f64 v[212:213], v[212:213], v[220:221], v[222:223]
	v_div_fixup_f64 v[212:213], v[212:213], v[218:219], v[216:217]
	s_delay_alu instid0(VALU_DEP_1) | instskip(NEXT) | instid1(VALU_DEP_1)
	v_fma_f64 v[216:217], v[216:217], v[212:213], v[218:219]
	v_div_scale_f64 v[218:219], null, v[216:217], v[216:217], 1.0
	s_delay_alu instid0(VALU_DEP_1) | instskip(SKIP_2) | instid1(VALU_DEP_1)
	v_rcp_f64_e32 v[220:221], v[218:219]
	s_waitcnt_depctr 0xfff
	v_fma_f64 v[222:223], -v[218:219], v[220:221], 1.0
	v_fma_f64 v[220:221], v[220:221], v[222:223], v[220:221]
	s_delay_alu instid0(VALU_DEP_1) | instskip(NEXT) | instid1(VALU_DEP_1)
	v_fma_f64 v[222:223], -v[218:219], v[220:221], 1.0
	v_fma_f64 v[220:221], v[220:221], v[222:223], v[220:221]
	v_div_scale_f64 v[222:223], vcc_lo, 1.0, v[216:217], 1.0
	s_delay_alu instid0(VALU_DEP_1) | instskip(NEXT) | instid1(VALU_DEP_1)
	v_mul_f64 v[224:225], v[222:223], v[220:221]
	v_fma_f64 v[218:219], -v[218:219], v[224:225], v[222:223]
	s_delay_alu instid0(VALU_DEP_1) | instskip(NEXT) | instid1(VALU_DEP_1)
	v_div_fmas_f64 v[218:219], v[218:219], v[220:221], v[224:225]
	v_div_fixup_f64 v[222:223], v[218:219], v[216:217], 1.0
                                        ; implicit-def: $vgpr216_vgpr217
	s_delay_alu instid0(VALU_DEP_1)
	v_mul_f64 v[212:213], v[212:213], v[222:223]
	v_xor_b32_e32 v223, 0x80000000, v223
.LBB111_320:
	s_and_not1_saveexec_b32 s3, s3
	s_cbranch_execz .LBB111_322
; %bb.321:
	v_div_scale_f64 v[212:213], null, v[216:217], v[216:217], v[218:219]
	v_div_scale_f64 v[224:225], vcc_lo, v[218:219], v[216:217], v[218:219]
	s_delay_alu instid0(VALU_DEP_2) | instskip(SKIP_2) | instid1(VALU_DEP_1)
	v_rcp_f64_e32 v[220:221], v[212:213]
	s_waitcnt_depctr 0xfff
	v_fma_f64 v[222:223], -v[212:213], v[220:221], 1.0
	v_fma_f64 v[220:221], v[220:221], v[222:223], v[220:221]
	s_delay_alu instid0(VALU_DEP_1) | instskip(NEXT) | instid1(VALU_DEP_1)
	v_fma_f64 v[222:223], -v[212:213], v[220:221], 1.0
	v_fma_f64 v[220:221], v[220:221], v[222:223], v[220:221]
	s_delay_alu instid0(VALU_DEP_1) | instskip(NEXT) | instid1(VALU_DEP_1)
	v_mul_f64 v[222:223], v[224:225], v[220:221]
	v_fma_f64 v[212:213], -v[212:213], v[222:223], v[224:225]
	s_delay_alu instid0(VALU_DEP_1) | instskip(NEXT) | instid1(VALU_DEP_1)
	v_div_fmas_f64 v[212:213], v[212:213], v[220:221], v[222:223]
	v_div_fixup_f64 v[220:221], v[212:213], v[216:217], v[218:219]
	s_delay_alu instid0(VALU_DEP_1) | instskip(NEXT) | instid1(VALU_DEP_1)
	v_fma_f64 v[212:213], v[218:219], v[220:221], v[216:217]
	v_div_scale_f64 v[216:217], null, v[212:213], v[212:213], 1.0
	s_delay_alu instid0(VALU_DEP_1) | instskip(SKIP_2) | instid1(VALU_DEP_1)
	v_rcp_f64_e32 v[218:219], v[216:217]
	s_waitcnt_depctr 0xfff
	v_fma_f64 v[222:223], -v[216:217], v[218:219], 1.0
	v_fma_f64 v[218:219], v[218:219], v[222:223], v[218:219]
	s_delay_alu instid0(VALU_DEP_1) | instskip(NEXT) | instid1(VALU_DEP_1)
	v_fma_f64 v[222:223], -v[216:217], v[218:219], 1.0
	v_fma_f64 v[218:219], v[218:219], v[222:223], v[218:219]
	v_div_scale_f64 v[222:223], vcc_lo, 1.0, v[212:213], 1.0
	s_delay_alu instid0(VALU_DEP_1) | instskip(NEXT) | instid1(VALU_DEP_1)
	v_mul_f64 v[224:225], v[222:223], v[218:219]
	v_fma_f64 v[216:217], -v[216:217], v[224:225], v[222:223]
	s_delay_alu instid0(VALU_DEP_1) | instskip(NEXT) | instid1(VALU_DEP_1)
	v_div_fmas_f64 v[216:217], v[216:217], v[218:219], v[224:225]
	v_div_fixup_f64 v[212:213], v[216:217], v[212:213], 1.0
	s_delay_alu instid0(VALU_DEP_1)
	v_mul_f64 v[222:223], v[220:221], -v[212:213]
.LBB111_322:
	s_or_b32 exec_lo, exec_lo, s3
	ds_store_2addr_b64 v251, v[212:213], v[222:223] offset1:1
.LBB111_323:
	s_or_b32 exec_lo, exec_lo, s4
	s_waitcnt lgkmcnt(0)
	s_barrier
	buffer_gl0_inv
	ds_load_2addr_b64 v[208:211], v251 offset1:1
	s_mov_b32 s3, exec_lo
	s_waitcnt lgkmcnt(0)
	scratch_store_b128 off, v[208:211], off offset:1072 ; 16-byte Folded Spill
	v_cmpx_lt_u32_e32 35, v248
	s_cbranch_execz .LBB111_325
; %bb.324:
	scratch_load_b128 v[208:211], off, off offset:1072 ; 16-byte Folded Reload
	ds_load_2addr_b64 v[218:221], v214 offset0:72 offset1:73
	s_waitcnt vmcnt(0)
	v_mul_f64 v[212:213], v[210:211], v[82:83]
	v_mul_f64 v[82:83], v[208:209], v[82:83]
	s_delay_alu instid0(VALU_DEP_2) | instskip(NEXT) | instid1(VALU_DEP_2)
	v_fma_f64 v[216:217], v[208:209], v[80:81], -v[212:213]
	v_fma_f64 v[82:83], v[210:211], v[80:81], v[82:83]
	s_waitcnt lgkmcnt(0)
	s_delay_alu instid0(VALU_DEP_1) | instskip(SKIP_1) | instid1(VALU_DEP_2)
	v_mul_f64 v[80:81], v[220:221], v[82:83]
	v_mul_f64 v[212:213], v[218:219], v[82:83]
	v_fma_f64 v[80:81], v[218:219], v[216:217], -v[80:81]
	s_delay_alu instid0(VALU_DEP_2)
	v_fma_f64 v[212:213], v[220:221], v[216:217], v[212:213]
	ds_load_2addr_b64 v[218:221], v214 offset0:74 offset1:75
	v_add_f64 v[76:77], v[76:77], -v[80:81]
	v_add_f64 v[78:79], v[78:79], -v[212:213]
	s_waitcnt lgkmcnt(0)
	v_mul_f64 v[80:81], v[220:221], v[82:83]
	v_mul_f64 v[212:213], v[218:219], v[82:83]
	s_delay_alu instid0(VALU_DEP_2) | instskip(NEXT) | instid1(VALU_DEP_2)
	v_fma_f64 v[80:81], v[218:219], v[216:217], -v[80:81]
	v_fma_f64 v[212:213], v[220:221], v[216:217], v[212:213]
	ds_load_2addr_b64 v[218:221], v214 offset0:76 offset1:77
	v_add_f64 v[72:73], v[72:73], -v[80:81]
	v_add_f64 v[74:75], v[74:75], -v[212:213]
	s_waitcnt lgkmcnt(0)
	v_mul_f64 v[80:81], v[220:221], v[82:83]
	v_mul_f64 v[212:213], v[218:219], v[82:83]
	s_delay_alu instid0(VALU_DEP_2) | instskip(NEXT) | instid1(VALU_DEP_2)
	v_fma_f64 v[80:81], v[218:219], v[216:217], -v[80:81]
	;; [unrolled: 9-line block ×19, first 2 shown]
	v_fma_f64 v[212:213], v[220:221], v[216:217], v[212:213]
	s_delay_alu instid0(VALU_DEP_2) | instskip(NEXT) | instid1(VALU_DEP_2)
	v_add_f64 v[0:1], v[0:1], -v[80:81]
	v_add_f64 v[2:3], v[2:3], -v[212:213]
	v_dual_mov_b32 v80, v216 :: v_dual_mov_b32 v81, v217
.LBB111_325:
	s_or_b32 exec_lo, exec_lo, s3
	s_delay_alu instid0(SALU_CYCLE_1)
	s_mov_b32 s4, exec_lo
	s_waitcnt_vscnt null, 0x0
	s_barrier
	buffer_gl0_inv
	v_cmpx_eq_u32_e32 36, v248
	s_cbranch_execz .LBB111_332
; %bb.326:
	ds_store_2addr_b64 v251, v[76:77], v[78:79] offset1:1
	ds_store_2addr_b64 v214, v[72:73], v[74:75] offset0:74 offset1:75
	ds_store_2addr_b64 v214, v[68:69], v[70:71] offset0:76 offset1:77
	;; [unrolled: 1-line block ×19, first 2 shown]
	ds_load_2addr_b64 v[216:219], v251 offset1:1
	s_waitcnt lgkmcnt(0)
	v_cmp_neq_f64_e32 vcc_lo, 0, v[216:217]
	v_cmp_neq_f64_e64 s3, 0, v[218:219]
	s_delay_alu instid0(VALU_DEP_1) | instskip(NEXT) | instid1(SALU_CYCLE_1)
	s_or_b32 s3, vcc_lo, s3
	s_and_b32 exec_lo, exec_lo, s3
	s_cbranch_execz .LBB111_332
; %bb.327:
	v_cmp_gt_f64_e32 vcc_lo, 0, v[216:217]
	v_xor_b32_e32 v208, 0x80000000, v217
	s_delay_alu instid0(VALU_DEP_1) | instskip(SKIP_3) | instid1(VALU_DEP_1)
	v_cndmask_b32_e32 v213, v217, v208, vcc_lo
	v_cndmask_b32_e32 v212, v216, v216, vcc_lo
	v_cmp_gt_f64_e32 vcc_lo, 0, v[218:219]
	v_xor_b32_e32 v208, 0x80000000, v219
	v_dual_cndmask_b32 v220, v218, v218 :: v_dual_cndmask_b32 v221, v219, v208
	s_delay_alu instid0(VALU_DEP_1) | instskip(SKIP_1) | instid1(SALU_CYCLE_1)
	v_cmp_ngt_f64_e32 vcc_lo, v[212:213], v[220:221]
                                        ; implicit-def: $vgpr212_vgpr213
	s_and_saveexec_b32 s3, vcc_lo
	s_xor_b32 s3, exec_lo, s3
                                        ; implicit-def: $vgpr220_vgpr221_vgpr222_vgpr223
	s_cbranch_execz .LBB111_329
; %bb.328:
	v_div_scale_f64 v[212:213], null, v[218:219], v[218:219], v[216:217]
	v_div_scale_f64 v[224:225], vcc_lo, v[216:217], v[218:219], v[216:217]
	s_delay_alu instid0(VALU_DEP_2) | instskip(SKIP_2) | instid1(VALU_DEP_1)
	v_rcp_f64_e32 v[220:221], v[212:213]
	s_waitcnt_depctr 0xfff
	v_fma_f64 v[222:223], -v[212:213], v[220:221], 1.0
	v_fma_f64 v[220:221], v[220:221], v[222:223], v[220:221]
	s_delay_alu instid0(VALU_DEP_1) | instskip(NEXT) | instid1(VALU_DEP_1)
	v_fma_f64 v[222:223], -v[212:213], v[220:221], 1.0
	v_fma_f64 v[220:221], v[220:221], v[222:223], v[220:221]
	s_delay_alu instid0(VALU_DEP_1) | instskip(NEXT) | instid1(VALU_DEP_1)
	v_mul_f64 v[222:223], v[224:225], v[220:221]
	v_fma_f64 v[212:213], -v[212:213], v[222:223], v[224:225]
	s_delay_alu instid0(VALU_DEP_1) | instskip(NEXT) | instid1(VALU_DEP_1)
	v_div_fmas_f64 v[212:213], v[212:213], v[220:221], v[222:223]
	v_div_fixup_f64 v[212:213], v[212:213], v[218:219], v[216:217]
	s_delay_alu instid0(VALU_DEP_1) | instskip(NEXT) | instid1(VALU_DEP_1)
	v_fma_f64 v[216:217], v[216:217], v[212:213], v[218:219]
	v_div_scale_f64 v[218:219], null, v[216:217], v[216:217], 1.0
	s_delay_alu instid0(VALU_DEP_1) | instskip(SKIP_2) | instid1(VALU_DEP_1)
	v_rcp_f64_e32 v[220:221], v[218:219]
	s_waitcnt_depctr 0xfff
	v_fma_f64 v[222:223], -v[218:219], v[220:221], 1.0
	v_fma_f64 v[220:221], v[220:221], v[222:223], v[220:221]
	s_delay_alu instid0(VALU_DEP_1) | instskip(NEXT) | instid1(VALU_DEP_1)
	v_fma_f64 v[222:223], -v[218:219], v[220:221], 1.0
	v_fma_f64 v[220:221], v[220:221], v[222:223], v[220:221]
	v_div_scale_f64 v[222:223], vcc_lo, 1.0, v[216:217], 1.0
	s_delay_alu instid0(VALU_DEP_1) | instskip(NEXT) | instid1(VALU_DEP_1)
	v_mul_f64 v[224:225], v[222:223], v[220:221]
	v_fma_f64 v[218:219], -v[218:219], v[224:225], v[222:223]
	s_delay_alu instid0(VALU_DEP_1) | instskip(NEXT) | instid1(VALU_DEP_1)
	v_div_fmas_f64 v[218:219], v[218:219], v[220:221], v[224:225]
	v_div_fixup_f64 v[222:223], v[218:219], v[216:217], 1.0
                                        ; implicit-def: $vgpr216_vgpr217
	s_delay_alu instid0(VALU_DEP_1)
	v_mul_f64 v[212:213], v[212:213], v[222:223]
	v_xor_b32_e32 v223, 0x80000000, v223
.LBB111_329:
	s_and_not1_saveexec_b32 s3, s3
	s_cbranch_execz .LBB111_331
; %bb.330:
	v_div_scale_f64 v[212:213], null, v[216:217], v[216:217], v[218:219]
	v_div_scale_f64 v[224:225], vcc_lo, v[218:219], v[216:217], v[218:219]
	s_delay_alu instid0(VALU_DEP_2) | instskip(SKIP_2) | instid1(VALU_DEP_1)
	v_rcp_f64_e32 v[220:221], v[212:213]
	s_waitcnt_depctr 0xfff
	v_fma_f64 v[222:223], -v[212:213], v[220:221], 1.0
	v_fma_f64 v[220:221], v[220:221], v[222:223], v[220:221]
	s_delay_alu instid0(VALU_DEP_1) | instskip(NEXT) | instid1(VALU_DEP_1)
	v_fma_f64 v[222:223], -v[212:213], v[220:221], 1.0
	v_fma_f64 v[220:221], v[220:221], v[222:223], v[220:221]
	s_delay_alu instid0(VALU_DEP_1) | instskip(NEXT) | instid1(VALU_DEP_1)
	v_mul_f64 v[222:223], v[224:225], v[220:221]
	v_fma_f64 v[212:213], -v[212:213], v[222:223], v[224:225]
	s_delay_alu instid0(VALU_DEP_1) | instskip(NEXT) | instid1(VALU_DEP_1)
	v_div_fmas_f64 v[212:213], v[212:213], v[220:221], v[222:223]
	v_div_fixup_f64 v[220:221], v[212:213], v[216:217], v[218:219]
	s_delay_alu instid0(VALU_DEP_1) | instskip(NEXT) | instid1(VALU_DEP_1)
	v_fma_f64 v[212:213], v[218:219], v[220:221], v[216:217]
	v_div_scale_f64 v[216:217], null, v[212:213], v[212:213], 1.0
	s_delay_alu instid0(VALU_DEP_1) | instskip(SKIP_2) | instid1(VALU_DEP_1)
	v_rcp_f64_e32 v[218:219], v[216:217]
	s_waitcnt_depctr 0xfff
	v_fma_f64 v[222:223], -v[216:217], v[218:219], 1.0
	v_fma_f64 v[218:219], v[218:219], v[222:223], v[218:219]
	s_delay_alu instid0(VALU_DEP_1) | instskip(NEXT) | instid1(VALU_DEP_1)
	v_fma_f64 v[222:223], -v[216:217], v[218:219], 1.0
	v_fma_f64 v[218:219], v[218:219], v[222:223], v[218:219]
	v_div_scale_f64 v[222:223], vcc_lo, 1.0, v[212:213], 1.0
	s_delay_alu instid0(VALU_DEP_1) | instskip(NEXT) | instid1(VALU_DEP_1)
	v_mul_f64 v[224:225], v[222:223], v[218:219]
	v_fma_f64 v[216:217], -v[216:217], v[224:225], v[222:223]
	s_delay_alu instid0(VALU_DEP_1) | instskip(NEXT) | instid1(VALU_DEP_1)
	v_div_fmas_f64 v[216:217], v[216:217], v[218:219], v[224:225]
	v_div_fixup_f64 v[212:213], v[216:217], v[212:213], 1.0
	s_delay_alu instid0(VALU_DEP_1)
	v_mul_f64 v[222:223], v[220:221], -v[212:213]
.LBB111_331:
	s_or_b32 exec_lo, exec_lo, s3
	ds_store_2addr_b64 v251, v[212:213], v[222:223] offset1:1
.LBB111_332:
	s_or_b32 exec_lo, exec_lo, s4
	s_waitcnt lgkmcnt(0)
	s_barrier
	buffer_gl0_inv
	ds_load_2addr_b64 v[208:211], v251 offset1:1
	s_mov_b32 s3, exec_lo
	s_waitcnt lgkmcnt(0)
	scratch_store_b128 off, v[208:211], off offset:1088 ; 16-byte Folded Spill
	v_cmpx_lt_u32_e32 36, v248
	s_cbranch_execz .LBB111_334
; %bb.333:
	scratch_load_b128 v[208:211], off, off offset:1088 ; 16-byte Folded Reload
	ds_load_2addr_b64 v[218:221], v214 offset0:74 offset1:75
	s_waitcnt vmcnt(0)
	v_mul_f64 v[212:213], v[210:211], v[78:79]
	v_mul_f64 v[78:79], v[208:209], v[78:79]
	s_delay_alu instid0(VALU_DEP_2) | instskip(NEXT) | instid1(VALU_DEP_2)
	v_fma_f64 v[216:217], v[208:209], v[76:77], -v[212:213]
	v_fma_f64 v[78:79], v[210:211], v[76:77], v[78:79]
	s_waitcnt lgkmcnt(0)
	s_delay_alu instid0(VALU_DEP_1) | instskip(SKIP_1) | instid1(VALU_DEP_2)
	v_mul_f64 v[76:77], v[220:221], v[78:79]
	v_mul_f64 v[212:213], v[218:219], v[78:79]
	v_fma_f64 v[76:77], v[218:219], v[216:217], -v[76:77]
	s_delay_alu instid0(VALU_DEP_2)
	v_fma_f64 v[212:213], v[220:221], v[216:217], v[212:213]
	ds_load_2addr_b64 v[218:221], v214 offset0:76 offset1:77
	v_add_f64 v[72:73], v[72:73], -v[76:77]
	v_add_f64 v[74:75], v[74:75], -v[212:213]
	s_waitcnt lgkmcnt(0)
	v_mul_f64 v[76:77], v[220:221], v[78:79]
	v_mul_f64 v[212:213], v[218:219], v[78:79]
	s_delay_alu instid0(VALU_DEP_2) | instskip(NEXT) | instid1(VALU_DEP_2)
	v_fma_f64 v[76:77], v[218:219], v[216:217], -v[76:77]
	v_fma_f64 v[212:213], v[220:221], v[216:217], v[212:213]
	ds_load_2addr_b64 v[218:221], v214 offset0:78 offset1:79
	v_add_f64 v[68:69], v[68:69], -v[76:77]
	v_add_f64 v[70:71], v[70:71], -v[212:213]
	s_waitcnt lgkmcnt(0)
	v_mul_f64 v[76:77], v[220:221], v[78:79]
	v_mul_f64 v[212:213], v[218:219], v[78:79]
	s_delay_alu instid0(VALU_DEP_2) | instskip(NEXT) | instid1(VALU_DEP_2)
	v_fma_f64 v[76:77], v[218:219], v[216:217], -v[76:77]
	;; [unrolled: 9-line block ×18, first 2 shown]
	v_fma_f64 v[212:213], v[220:221], v[216:217], v[212:213]
	s_delay_alu instid0(VALU_DEP_2) | instskip(NEXT) | instid1(VALU_DEP_2)
	v_add_f64 v[0:1], v[0:1], -v[76:77]
	v_add_f64 v[2:3], v[2:3], -v[212:213]
	v_dual_mov_b32 v76, v216 :: v_dual_mov_b32 v77, v217
.LBB111_334:
	s_or_b32 exec_lo, exec_lo, s3
	s_delay_alu instid0(SALU_CYCLE_1)
	s_mov_b32 s4, exec_lo
	s_waitcnt_vscnt null, 0x0
	s_barrier
	buffer_gl0_inv
	v_cmpx_eq_u32_e32 37, v248
	s_cbranch_execz .LBB111_341
; %bb.335:
	ds_store_2addr_b64 v251, v[72:73], v[74:75] offset1:1
	ds_store_2addr_b64 v214, v[68:69], v[70:71] offset0:76 offset1:77
	ds_store_2addr_b64 v214, v[64:65], v[66:67] offset0:78 offset1:79
	;; [unrolled: 1-line block ×18, first 2 shown]
	ds_load_2addr_b64 v[216:219], v251 offset1:1
	s_waitcnt lgkmcnt(0)
	v_cmp_neq_f64_e32 vcc_lo, 0, v[216:217]
	v_cmp_neq_f64_e64 s3, 0, v[218:219]
	s_delay_alu instid0(VALU_DEP_1) | instskip(NEXT) | instid1(SALU_CYCLE_1)
	s_or_b32 s3, vcc_lo, s3
	s_and_b32 exec_lo, exec_lo, s3
	s_cbranch_execz .LBB111_341
; %bb.336:
	v_cmp_gt_f64_e32 vcc_lo, 0, v[216:217]
	v_xor_b32_e32 v208, 0x80000000, v217
	s_delay_alu instid0(VALU_DEP_1) | instskip(SKIP_3) | instid1(VALU_DEP_1)
	v_cndmask_b32_e32 v213, v217, v208, vcc_lo
	v_cndmask_b32_e32 v212, v216, v216, vcc_lo
	v_cmp_gt_f64_e32 vcc_lo, 0, v[218:219]
	v_xor_b32_e32 v208, 0x80000000, v219
	v_dual_cndmask_b32 v220, v218, v218 :: v_dual_cndmask_b32 v221, v219, v208
	s_delay_alu instid0(VALU_DEP_1) | instskip(SKIP_1) | instid1(SALU_CYCLE_1)
	v_cmp_ngt_f64_e32 vcc_lo, v[212:213], v[220:221]
                                        ; implicit-def: $vgpr212_vgpr213
	s_and_saveexec_b32 s3, vcc_lo
	s_xor_b32 s3, exec_lo, s3
                                        ; implicit-def: $vgpr220_vgpr221_vgpr222_vgpr223
	s_cbranch_execz .LBB111_338
; %bb.337:
	v_div_scale_f64 v[212:213], null, v[218:219], v[218:219], v[216:217]
	v_div_scale_f64 v[224:225], vcc_lo, v[216:217], v[218:219], v[216:217]
	s_delay_alu instid0(VALU_DEP_2) | instskip(SKIP_2) | instid1(VALU_DEP_1)
	v_rcp_f64_e32 v[220:221], v[212:213]
	s_waitcnt_depctr 0xfff
	v_fma_f64 v[222:223], -v[212:213], v[220:221], 1.0
	v_fma_f64 v[220:221], v[220:221], v[222:223], v[220:221]
	s_delay_alu instid0(VALU_DEP_1) | instskip(NEXT) | instid1(VALU_DEP_1)
	v_fma_f64 v[222:223], -v[212:213], v[220:221], 1.0
	v_fma_f64 v[220:221], v[220:221], v[222:223], v[220:221]
	s_delay_alu instid0(VALU_DEP_1) | instskip(NEXT) | instid1(VALU_DEP_1)
	v_mul_f64 v[222:223], v[224:225], v[220:221]
	v_fma_f64 v[212:213], -v[212:213], v[222:223], v[224:225]
	s_delay_alu instid0(VALU_DEP_1) | instskip(NEXT) | instid1(VALU_DEP_1)
	v_div_fmas_f64 v[212:213], v[212:213], v[220:221], v[222:223]
	v_div_fixup_f64 v[212:213], v[212:213], v[218:219], v[216:217]
	s_delay_alu instid0(VALU_DEP_1) | instskip(NEXT) | instid1(VALU_DEP_1)
	v_fma_f64 v[216:217], v[216:217], v[212:213], v[218:219]
	v_div_scale_f64 v[218:219], null, v[216:217], v[216:217], 1.0
	s_delay_alu instid0(VALU_DEP_1) | instskip(SKIP_2) | instid1(VALU_DEP_1)
	v_rcp_f64_e32 v[220:221], v[218:219]
	s_waitcnt_depctr 0xfff
	v_fma_f64 v[222:223], -v[218:219], v[220:221], 1.0
	v_fma_f64 v[220:221], v[220:221], v[222:223], v[220:221]
	s_delay_alu instid0(VALU_DEP_1) | instskip(NEXT) | instid1(VALU_DEP_1)
	v_fma_f64 v[222:223], -v[218:219], v[220:221], 1.0
	v_fma_f64 v[220:221], v[220:221], v[222:223], v[220:221]
	v_div_scale_f64 v[222:223], vcc_lo, 1.0, v[216:217], 1.0
	s_delay_alu instid0(VALU_DEP_1) | instskip(NEXT) | instid1(VALU_DEP_1)
	v_mul_f64 v[224:225], v[222:223], v[220:221]
	v_fma_f64 v[218:219], -v[218:219], v[224:225], v[222:223]
	s_delay_alu instid0(VALU_DEP_1) | instskip(NEXT) | instid1(VALU_DEP_1)
	v_div_fmas_f64 v[218:219], v[218:219], v[220:221], v[224:225]
	v_div_fixup_f64 v[222:223], v[218:219], v[216:217], 1.0
                                        ; implicit-def: $vgpr216_vgpr217
	s_delay_alu instid0(VALU_DEP_1)
	v_mul_f64 v[212:213], v[212:213], v[222:223]
	v_xor_b32_e32 v223, 0x80000000, v223
.LBB111_338:
	s_and_not1_saveexec_b32 s3, s3
	s_cbranch_execz .LBB111_340
; %bb.339:
	v_div_scale_f64 v[212:213], null, v[216:217], v[216:217], v[218:219]
	v_div_scale_f64 v[224:225], vcc_lo, v[218:219], v[216:217], v[218:219]
	s_delay_alu instid0(VALU_DEP_2) | instskip(SKIP_2) | instid1(VALU_DEP_1)
	v_rcp_f64_e32 v[220:221], v[212:213]
	s_waitcnt_depctr 0xfff
	v_fma_f64 v[222:223], -v[212:213], v[220:221], 1.0
	v_fma_f64 v[220:221], v[220:221], v[222:223], v[220:221]
	s_delay_alu instid0(VALU_DEP_1) | instskip(NEXT) | instid1(VALU_DEP_1)
	v_fma_f64 v[222:223], -v[212:213], v[220:221], 1.0
	v_fma_f64 v[220:221], v[220:221], v[222:223], v[220:221]
	s_delay_alu instid0(VALU_DEP_1) | instskip(NEXT) | instid1(VALU_DEP_1)
	v_mul_f64 v[222:223], v[224:225], v[220:221]
	v_fma_f64 v[212:213], -v[212:213], v[222:223], v[224:225]
	s_delay_alu instid0(VALU_DEP_1) | instskip(NEXT) | instid1(VALU_DEP_1)
	v_div_fmas_f64 v[212:213], v[212:213], v[220:221], v[222:223]
	v_div_fixup_f64 v[220:221], v[212:213], v[216:217], v[218:219]
	s_delay_alu instid0(VALU_DEP_1) | instskip(NEXT) | instid1(VALU_DEP_1)
	v_fma_f64 v[212:213], v[218:219], v[220:221], v[216:217]
	v_div_scale_f64 v[216:217], null, v[212:213], v[212:213], 1.0
	s_delay_alu instid0(VALU_DEP_1) | instskip(SKIP_2) | instid1(VALU_DEP_1)
	v_rcp_f64_e32 v[218:219], v[216:217]
	s_waitcnt_depctr 0xfff
	v_fma_f64 v[222:223], -v[216:217], v[218:219], 1.0
	v_fma_f64 v[218:219], v[218:219], v[222:223], v[218:219]
	s_delay_alu instid0(VALU_DEP_1) | instskip(NEXT) | instid1(VALU_DEP_1)
	v_fma_f64 v[222:223], -v[216:217], v[218:219], 1.0
	v_fma_f64 v[218:219], v[218:219], v[222:223], v[218:219]
	v_div_scale_f64 v[222:223], vcc_lo, 1.0, v[212:213], 1.0
	s_delay_alu instid0(VALU_DEP_1) | instskip(NEXT) | instid1(VALU_DEP_1)
	v_mul_f64 v[224:225], v[222:223], v[218:219]
	v_fma_f64 v[216:217], -v[216:217], v[224:225], v[222:223]
	s_delay_alu instid0(VALU_DEP_1) | instskip(NEXT) | instid1(VALU_DEP_1)
	v_div_fmas_f64 v[216:217], v[216:217], v[218:219], v[224:225]
	v_div_fixup_f64 v[212:213], v[216:217], v[212:213], 1.0
	s_delay_alu instid0(VALU_DEP_1)
	v_mul_f64 v[222:223], v[220:221], -v[212:213]
.LBB111_340:
	s_or_b32 exec_lo, exec_lo, s3
	ds_store_2addr_b64 v251, v[212:213], v[222:223] offset1:1
.LBB111_341:
	s_or_b32 exec_lo, exec_lo, s4
	s_waitcnt lgkmcnt(0)
	s_barrier
	buffer_gl0_inv
	ds_load_2addr_b64 v[208:211], v251 offset1:1
	s_mov_b32 s3, exec_lo
	s_waitcnt lgkmcnt(0)
	scratch_store_b128 off, v[208:211], off offset:1104 ; 16-byte Folded Spill
	v_cmpx_lt_u32_e32 37, v248
	s_cbranch_execz .LBB111_343
; %bb.342:
	scratch_load_b128 v[208:211], off, off offset:1104 ; 16-byte Folded Reload
	ds_load_2addr_b64 v[218:221], v214 offset0:76 offset1:77
	s_waitcnt vmcnt(0)
	v_mul_f64 v[212:213], v[210:211], v[74:75]
	v_mul_f64 v[74:75], v[208:209], v[74:75]
	s_delay_alu instid0(VALU_DEP_2) | instskip(NEXT) | instid1(VALU_DEP_2)
	v_fma_f64 v[216:217], v[208:209], v[72:73], -v[212:213]
	v_fma_f64 v[74:75], v[210:211], v[72:73], v[74:75]
	s_waitcnt lgkmcnt(0)
	s_delay_alu instid0(VALU_DEP_1) | instskip(SKIP_1) | instid1(VALU_DEP_2)
	v_mul_f64 v[72:73], v[220:221], v[74:75]
	v_mul_f64 v[212:213], v[218:219], v[74:75]
	v_fma_f64 v[72:73], v[218:219], v[216:217], -v[72:73]
	s_delay_alu instid0(VALU_DEP_2)
	v_fma_f64 v[212:213], v[220:221], v[216:217], v[212:213]
	ds_load_2addr_b64 v[218:221], v214 offset0:78 offset1:79
	v_add_f64 v[68:69], v[68:69], -v[72:73]
	v_add_f64 v[70:71], v[70:71], -v[212:213]
	s_waitcnt lgkmcnt(0)
	v_mul_f64 v[72:73], v[220:221], v[74:75]
	v_mul_f64 v[212:213], v[218:219], v[74:75]
	s_delay_alu instid0(VALU_DEP_2) | instskip(NEXT) | instid1(VALU_DEP_2)
	v_fma_f64 v[72:73], v[218:219], v[216:217], -v[72:73]
	v_fma_f64 v[212:213], v[220:221], v[216:217], v[212:213]
	ds_load_2addr_b64 v[218:221], v214 offset0:80 offset1:81
	v_add_f64 v[64:65], v[64:65], -v[72:73]
	v_add_f64 v[66:67], v[66:67], -v[212:213]
	s_waitcnt lgkmcnt(0)
	v_mul_f64 v[72:73], v[220:221], v[74:75]
	v_mul_f64 v[212:213], v[218:219], v[74:75]
	s_delay_alu instid0(VALU_DEP_2) | instskip(NEXT) | instid1(VALU_DEP_2)
	v_fma_f64 v[72:73], v[218:219], v[216:217], -v[72:73]
	v_fma_f64 v[212:213], v[220:221], v[216:217], v[212:213]
	ds_load_2addr_b64 v[218:221], v214 offset0:82 offset1:83
	v_add_f64 v[60:61], v[60:61], -v[72:73]
	v_add_f64 v[62:63], v[62:63], -v[212:213]
	s_waitcnt lgkmcnt(0)
	v_mul_f64 v[72:73], v[220:221], v[74:75]
	v_mul_f64 v[212:213], v[218:219], v[74:75]
	s_delay_alu instid0(VALU_DEP_2) | instskip(NEXT) | instid1(VALU_DEP_2)
	v_fma_f64 v[72:73], v[218:219], v[216:217], -v[72:73]
	v_fma_f64 v[212:213], v[220:221], v[216:217], v[212:213]
	ds_load_2addr_b64 v[218:221], v214 offset0:84 offset1:85
	v_add_f64 v[56:57], v[56:57], -v[72:73]
	v_add_f64 v[58:59], v[58:59], -v[212:213]
	s_waitcnt lgkmcnt(0)
	v_mul_f64 v[72:73], v[220:221], v[74:75]
	v_mul_f64 v[212:213], v[218:219], v[74:75]
	s_delay_alu instid0(VALU_DEP_2) | instskip(NEXT) | instid1(VALU_DEP_2)
	v_fma_f64 v[72:73], v[218:219], v[216:217], -v[72:73]
	v_fma_f64 v[212:213], v[220:221], v[216:217], v[212:213]
	ds_load_2addr_b64 v[218:221], v214 offset0:86 offset1:87
	v_add_f64 v[52:53], v[52:53], -v[72:73]
	v_add_f64 v[54:55], v[54:55], -v[212:213]
	s_waitcnt lgkmcnt(0)
	v_mul_f64 v[72:73], v[220:221], v[74:75]
	v_mul_f64 v[212:213], v[218:219], v[74:75]
	s_delay_alu instid0(VALU_DEP_2) | instskip(NEXT) | instid1(VALU_DEP_2)
	v_fma_f64 v[72:73], v[218:219], v[216:217], -v[72:73]
	v_fma_f64 v[212:213], v[220:221], v[216:217], v[212:213]
	ds_load_2addr_b64 v[218:221], v214 offset0:88 offset1:89
	v_add_f64 v[48:49], v[48:49], -v[72:73]
	v_add_f64 v[50:51], v[50:51], -v[212:213]
	s_waitcnt lgkmcnt(0)
	v_mul_f64 v[72:73], v[220:221], v[74:75]
	v_mul_f64 v[212:213], v[218:219], v[74:75]
	s_delay_alu instid0(VALU_DEP_2) | instskip(NEXT) | instid1(VALU_DEP_2)
	v_fma_f64 v[72:73], v[218:219], v[216:217], -v[72:73]
	v_fma_f64 v[212:213], v[220:221], v[216:217], v[212:213]
	ds_load_2addr_b64 v[218:221], v214 offset0:90 offset1:91
	v_add_f64 v[44:45], v[44:45], -v[72:73]
	v_add_f64 v[46:47], v[46:47], -v[212:213]
	s_waitcnt lgkmcnt(0)
	v_mul_f64 v[72:73], v[220:221], v[74:75]
	v_mul_f64 v[212:213], v[218:219], v[74:75]
	s_delay_alu instid0(VALU_DEP_2) | instskip(NEXT) | instid1(VALU_DEP_2)
	v_fma_f64 v[72:73], v[218:219], v[216:217], -v[72:73]
	v_fma_f64 v[212:213], v[220:221], v[216:217], v[212:213]
	ds_load_2addr_b64 v[218:221], v214 offset0:92 offset1:93
	v_add_f64 v[40:41], v[40:41], -v[72:73]
	v_add_f64 v[42:43], v[42:43], -v[212:213]
	s_waitcnt lgkmcnt(0)
	v_mul_f64 v[72:73], v[220:221], v[74:75]
	v_mul_f64 v[212:213], v[218:219], v[74:75]
	s_delay_alu instid0(VALU_DEP_2) | instskip(NEXT) | instid1(VALU_DEP_2)
	v_fma_f64 v[72:73], v[218:219], v[216:217], -v[72:73]
	v_fma_f64 v[212:213], v[220:221], v[216:217], v[212:213]
	ds_load_2addr_b64 v[218:221], v214 offset0:94 offset1:95
	v_add_f64 v[36:37], v[36:37], -v[72:73]
	v_add_f64 v[38:39], v[38:39], -v[212:213]
	s_waitcnt lgkmcnt(0)
	v_mul_f64 v[72:73], v[220:221], v[74:75]
	v_mul_f64 v[212:213], v[218:219], v[74:75]
	s_delay_alu instid0(VALU_DEP_2) | instskip(NEXT) | instid1(VALU_DEP_2)
	v_fma_f64 v[72:73], v[218:219], v[216:217], -v[72:73]
	v_fma_f64 v[212:213], v[220:221], v[216:217], v[212:213]
	ds_load_2addr_b64 v[218:221], v214 offset0:96 offset1:97
	v_add_f64 v[32:33], v[32:33], -v[72:73]
	v_add_f64 v[34:35], v[34:35], -v[212:213]
	s_waitcnt lgkmcnt(0)
	v_mul_f64 v[72:73], v[220:221], v[74:75]
	v_mul_f64 v[212:213], v[218:219], v[74:75]
	s_delay_alu instid0(VALU_DEP_2) | instskip(NEXT) | instid1(VALU_DEP_2)
	v_fma_f64 v[72:73], v[218:219], v[216:217], -v[72:73]
	v_fma_f64 v[212:213], v[220:221], v[216:217], v[212:213]
	ds_load_2addr_b64 v[218:221], v214 offset0:98 offset1:99
	v_add_f64 v[28:29], v[28:29], -v[72:73]
	v_add_f64 v[30:31], v[30:31], -v[212:213]
	s_waitcnt lgkmcnt(0)
	v_mul_f64 v[72:73], v[220:221], v[74:75]
	v_mul_f64 v[212:213], v[218:219], v[74:75]
	s_delay_alu instid0(VALU_DEP_2) | instskip(NEXT) | instid1(VALU_DEP_2)
	v_fma_f64 v[72:73], v[218:219], v[216:217], -v[72:73]
	v_fma_f64 v[212:213], v[220:221], v[216:217], v[212:213]
	ds_load_2addr_b64 v[218:221], v214 offset0:100 offset1:101
	v_add_f64 v[24:25], v[24:25], -v[72:73]
	v_add_f64 v[26:27], v[26:27], -v[212:213]
	s_waitcnt lgkmcnt(0)
	v_mul_f64 v[72:73], v[220:221], v[74:75]
	v_mul_f64 v[212:213], v[218:219], v[74:75]
	s_delay_alu instid0(VALU_DEP_2) | instskip(NEXT) | instid1(VALU_DEP_2)
	v_fma_f64 v[72:73], v[218:219], v[216:217], -v[72:73]
	v_fma_f64 v[212:213], v[220:221], v[216:217], v[212:213]
	ds_load_2addr_b64 v[218:221], v214 offset0:102 offset1:103
	v_add_f64 v[20:21], v[20:21], -v[72:73]
	v_add_f64 v[22:23], v[22:23], -v[212:213]
	s_waitcnt lgkmcnt(0)
	v_mul_f64 v[72:73], v[220:221], v[74:75]
	v_mul_f64 v[212:213], v[218:219], v[74:75]
	s_delay_alu instid0(VALU_DEP_2) | instskip(NEXT) | instid1(VALU_DEP_2)
	v_fma_f64 v[72:73], v[218:219], v[216:217], -v[72:73]
	v_fma_f64 v[212:213], v[220:221], v[216:217], v[212:213]
	ds_load_2addr_b64 v[218:221], v214 offset0:104 offset1:105
	v_add_f64 v[16:17], v[16:17], -v[72:73]
	v_add_f64 v[18:19], v[18:19], -v[212:213]
	s_waitcnt lgkmcnt(0)
	v_mul_f64 v[72:73], v[220:221], v[74:75]
	v_mul_f64 v[212:213], v[218:219], v[74:75]
	s_delay_alu instid0(VALU_DEP_2) | instskip(NEXT) | instid1(VALU_DEP_2)
	v_fma_f64 v[72:73], v[218:219], v[216:217], -v[72:73]
	v_fma_f64 v[212:213], v[220:221], v[216:217], v[212:213]
	ds_load_2addr_b64 v[218:221], v214 offset0:106 offset1:107
	v_add_f64 v[12:13], v[12:13], -v[72:73]
	v_add_f64 v[14:15], v[14:15], -v[212:213]
	s_waitcnt lgkmcnt(0)
	v_mul_f64 v[72:73], v[220:221], v[74:75]
	v_mul_f64 v[212:213], v[218:219], v[74:75]
	s_delay_alu instid0(VALU_DEP_2) | instskip(NEXT) | instid1(VALU_DEP_2)
	v_fma_f64 v[72:73], v[218:219], v[216:217], -v[72:73]
	v_fma_f64 v[212:213], v[220:221], v[216:217], v[212:213]
	ds_load_2addr_b64 v[218:221], v214 offset0:108 offset1:109
	v_add_f64 v[8:9], v[8:9], -v[72:73]
	v_add_f64 v[10:11], v[10:11], -v[212:213]
	s_waitcnt lgkmcnt(0)
	v_mul_f64 v[72:73], v[220:221], v[74:75]
	v_mul_f64 v[212:213], v[218:219], v[74:75]
	s_delay_alu instid0(VALU_DEP_2) | instskip(NEXT) | instid1(VALU_DEP_2)
	v_fma_f64 v[72:73], v[218:219], v[216:217], -v[72:73]
	v_fma_f64 v[212:213], v[220:221], v[216:217], v[212:213]
	ds_load_2addr_b64 v[218:221], v214 offset0:110 offset1:111
	v_add_f64 v[4:5], v[4:5], -v[72:73]
	v_add_f64 v[6:7], v[6:7], -v[212:213]
	s_waitcnt lgkmcnt(0)
	v_mul_f64 v[72:73], v[220:221], v[74:75]
	v_mul_f64 v[212:213], v[218:219], v[74:75]
	s_delay_alu instid0(VALU_DEP_2) | instskip(NEXT) | instid1(VALU_DEP_2)
	v_fma_f64 v[72:73], v[218:219], v[216:217], -v[72:73]
	v_fma_f64 v[212:213], v[220:221], v[216:217], v[212:213]
	s_delay_alu instid0(VALU_DEP_2) | instskip(NEXT) | instid1(VALU_DEP_2)
	v_add_f64 v[0:1], v[0:1], -v[72:73]
	v_add_f64 v[2:3], v[2:3], -v[212:213]
	v_dual_mov_b32 v72, v216 :: v_dual_mov_b32 v73, v217
.LBB111_343:
	s_or_b32 exec_lo, exec_lo, s3
	s_delay_alu instid0(SALU_CYCLE_1)
	s_mov_b32 s4, exec_lo
	s_waitcnt_vscnt null, 0x0
	s_barrier
	buffer_gl0_inv
	v_cmpx_eq_u32_e32 38, v248
	s_cbranch_execz .LBB111_350
; %bb.344:
	ds_store_2addr_b64 v251, v[68:69], v[70:71] offset1:1
	ds_store_2addr_b64 v214, v[64:65], v[66:67] offset0:78 offset1:79
	ds_store_2addr_b64 v214, v[60:61], v[62:63] offset0:80 offset1:81
	;; [unrolled: 1-line block ×17, first 2 shown]
	ds_load_2addr_b64 v[216:219], v251 offset1:1
	s_waitcnt lgkmcnt(0)
	v_cmp_neq_f64_e32 vcc_lo, 0, v[216:217]
	v_cmp_neq_f64_e64 s3, 0, v[218:219]
	s_delay_alu instid0(VALU_DEP_1) | instskip(NEXT) | instid1(SALU_CYCLE_1)
	s_or_b32 s3, vcc_lo, s3
	s_and_b32 exec_lo, exec_lo, s3
	s_cbranch_execz .LBB111_350
; %bb.345:
	v_cmp_gt_f64_e32 vcc_lo, 0, v[216:217]
	v_xor_b32_e32 v208, 0x80000000, v217
	s_delay_alu instid0(VALU_DEP_1) | instskip(SKIP_3) | instid1(VALU_DEP_1)
	v_cndmask_b32_e32 v213, v217, v208, vcc_lo
	v_cndmask_b32_e32 v212, v216, v216, vcc_lo
	v_cmp_gt_f64_e32 vcc_lo, 0, v[218:219]
	v_xor_b32_e32 v208, 0x80000000, v219
	v_dual_cndmask_b32 v220, v218, v218 :: v_dual_cndmask_b32 v221, v219, v208
	s_delay_alu instid0(VALU_DEP_1) | instskip(SKIP_1) | instid1(SALU_CYCLE_1)
	v_cmp_ngt_f64_e32 vcc_lo, v[212:213], v[220:221]
                                        ; implicit-def: $vgpr212_vgpr213
	s_and_saveexec_b32 s3, vcc_lo
	s_xor_b32 s3, exec_lo, s3
                                        ; implicit-def: $vgpr220_vgpr221_vgpr222_vgpr223
	s_cbranch_execz .LBB111_347
; %bb.346:
	v_div_scale_f64 v[212:213], null, v[218:219], v[218:219], v[216:217]
	v_div_scale_f64 v[224:225], vcc_lo, v[216:217], v[218:219], v[216:217]
	s_delay_alu instid0(VALU_DEP_2) | instskip(SKIP_2) | instid1(VALU_DEP_1)
	v_rcp_f64_e32 v[220:221], v[212:213]
	s_waitcnt_depctr 0xfff
	v_fma_f64 v[222:223], -v[212:213], v[220:221], 1.0
	v_fma_f64 v[220:221], v[220:221], v[222:223], v[220:221]
	s_delay_alu instid0(VALU_DEP_1) | instskip(NEXT) | instid1(VALU_DEP_1)
	v_fma_f64 v[222:223], -v[212:213], v[220:221], 1.0
	v_fma_f64 v[220:221], v[220:221], v[222:223], v[220:221]
	s_delay_alu instid0(VALU_DEP_1) | instskip(NEXT) | instid1(VALU_DEP_1)
	v_mul_f64 v[222:223], v[224:225], v[220:221]
	v_fma_f64 v[212:213], -v[212:213], v[222:223], v[224:225]
	s_delay_alu instid0(VALU_DEP_1) | instskip(NEXT) | instid1(VALU_DEP_1)
	v_div_fmas_f64 v[212:213], v[212:213], v[220:221], v[222:223]
	v_div_fixup_f64 v[212:213], v[212:213], v[218:219], v[216:217]
	s_delay_alu instid0(VALU_DEP_1) | instskip(NEXT) | instid1(VALU_DEP_1)
	v_fma_f64 v[216:217], v[216:217], v[212:213], v[218:219]
	v_div_scale_f64 v[218:219], null, v[216:217], v[216:217], 1.0
	s_delay_alu instid0(VALU_DEP_1) | instskip(SKIP_2) | instid1(VALU_DEP_1)
	v_rcp_f64_e32 v[220:221], v[218:219]
	s_waitcnt_depctr 0xfff
	v_fma_f64 v[222:223], -v[218:219], v[220:221], 1.0
	v_fma_f64 v[220:221], v[220:221], v[222:223], v[220:221]
	s_delay_alu instid0(VALU_DEP_1) | instskip(NEXT) | instid1(VALU_DEP_1)
	v_fma_f64 v[222:223], -v[218:219], v[220:221], 1.0
	v_fma_f64 v[220:221], v[220:221], v[222:223], v[220:221]
	v_div_scale_f64 v[222:223], vcc_lo, 1.0, v[216:217], 1.0
	s_delay_alu instid0(VALU_DEP_1) | instskip(NEXT) | instid1(VALU_DEP_1)
	v_mul_f64 v[224:225], v[222:223], v[220:221]
	v_fma_f64 v[218:219], -v[218:219], v[224:225], v[222:223]
	s_delay_alu instid0(VALU_DEP_1) | instskip(NEXT) | instid1(VALU_DEP_1)
	v_div_fmas_f64 v[218:219], v[218:219], v[220:221], v[224:225]
	v_div_fixup_f64 v[222:223], v[218:219], v[216:217], 1.0
                                        ; implicit-def: $vgpr216_vgpr217
	s_delay_alu instid0(VALU_DEP_1)
	v_mul_f64 v[212:213], v[212:213], v[222:223]
	v_xor_b32_e32 v223, 0x80000000, v223
.LBB111_347:
	s_and_not1_saveexec_b32 s3, s3
	s_cbranch_execz .LBB111_349
; %bb.348:
	v_div_scale_f64 v[212:213], null, v[216:217], v[216:217], v[218:219]
	v_div_scale_f64 v[224:225], vcc_lo, v[218:219], v[216:217], v[218:219]
	s_delay_alu instid0(VALU_DEP_2) | instskip(SKIP_2) | instid1(VALU_DEP_1)
	v_rcp_f64_e32 v[220:221], v[212:213]
	s_waitcnt_depctr 0xfff
	v_fma_f64 v[222:223], -v[212:213], v[220:221], 1.0
	v_fma_f64 v[220:221], v[220:221], v[222:223], v[220:221]
	s_delay_alu instid0(VALU_DEP_1) | instskip(NEXT) | instid1(VALU_DEP_1)
	v_fma_f64 v[222:223], -v[212:213], v[220:221], 1.0
	v_fma_f64 v[220:221], v[220:221], v[222:223], v[220:221]
	s_delay_alu instid0(VALU_DEP_1) | instskip(NEXT) | instid1(VALU_DEP_1)
	v_mul_f64 v[222:223], v[224:225], v[220:221]
	v_fma_f64 v[212:213], -v[212:213], v[222:223], v[224:225]
	s_delay_alu instid0(VALU_DEP_1) | instskip(NEXT) | instid1(VALU_DEP_1)
	v_div_fmas_f64 v[212:213], v[212:213], v[220:221], v[222:223]
	v_div_fixup_f64 v[220:221], v[212:213], v[216:217], v[218:219]
	s_delay_alu instid0(VALU_DEP_1) | instskip(NEXT) | instid1(VALU_DEP_1)
	v_fma_f64 v[212:213], v[218:219], v[220:221], v[216:217]
	v_div_scale_f64 v[216:217], null, v[212:213], v[212:213], 1.0
	s_delay_alu instid0(VALU_DEP_1) | instskip(SKIP_2) | instid1(VALU_DEP_1)
	v_rcp_f64_e32 v[218:219], v[216:217]
	s_waitcnt_depctr 0xfff
	v_fma_f64 v[222:223], -v[216:217], v[218:219], 1.0
	v_fma_f64 v[218:219], v[218:219], v[222:223], v[218:219]
	s_delay_alu instid0(VALU_DEP_1) | instskip(NEXT) | instid1(VALU_DEP_1)
	v_fma_f64 v[222:223], -v[216:217], v[218:219], 1.0
	v_fma_f64 v[218:219], v[218:219], v[222:223], v[218:219]
	v_div_scale_f64 v[222:223], vcc_lo, 1.0, v[212:213], 1.0
	s_delay_alu instid0(VALU_DEP_1) | instskip(NEXT) | instid1(VALU_DEP_1)
	v_mul_f64 v[224:225], v[222:223], v[218:219]
	v_fma_f64 v[216:217], -v[216:217], v[224:225], v[222:223]
	s_delay_alu instid0(VALU_DEP_1) | instskip(NEXT) | instid1(VALU_DEP_1)
	v_div_fmas_f64 v[216:217], v[216:217], v[218:219], v[224:225]
	v_div_fixup_f64 v[212:213], v[216:217], v[212:213], 1.0
	s_delay_alu instid0(VALU_DEP_1)
	v_mul_f64 v[222:223], v[220:221], -v[212:213]
.LBB111_349:
	s_or_b32 exec_lo, exec_lo, s3
	ds_store_2addr_b64 v251, v[212:213], v[222:223] offset1:1
.LBB111_350:
	s_or_b32 exec_lo, exec_lo, s4
	s_waitcnt lgkmcnt(0)
	s_barrier
	buffer_gl0_inv
	ds_load_2addr_b64 v[208:211], v251 offset1:1
	s_mov_b32 s3, exec_lo
	s_waitcnt lgkmcnt(0)
	scratch_store_b128 off, v[208:211], off offset:1120 ; 16-byte Folded Spill
	v_cmpx_lt_u32_e32 38, v248
	s_cbranch_execz .LBB111_352
; %bb.351:
	scratch_load_b128 v[208:211], off, off offset:1120 ; 16-byte Folded Reload
	ds_load_2addr_b64 v[218:221], v214 offset0:78 offset1:79
	s_waitcnt vmcnt(0)
	v_mul_f64 v[212:213], v[210:211], v[70:71]
	v_mul_f64 v[70:71], v[208:209], v[70:71]
	s_delay_alu instid0(VALU_DEP_2) | instskip(NEXT) | instid1(VALU_DEP_2)
	v_fma_f64 v[216:217], v[208:209], v[68:69], -v[212:213]
	v_fma_f64 v[70:71], v[210:211], v[68:69], v[70:71]
	s_waitcnt lgkmcnt(0)
	s_delay_alu instid0(VALU_DEP_1) | instskip(SKIP_1) | instid1(VALU_DEP_2)
	v_mul_f64 v[68:69], v[220:221], v[70:71]
	v_mul_f64 v[212:213], v[218:219], v[70:71]
	v_fma_f64 v[68:69], v[218:219], v[216:217], -v[68:69]
	s_delay_alu instid0(VALU_DEP_2)
	v_fma_f64 v[212:213], v[220:221], v[216:217], v[212:213]
	ds_load_2addr_b64 v[218:221], v214 offset0:80 offset1:81
	v_add_f64 v[64:65], v[64:65], -v[68:69]
	v_add_f64 v[66:67], v[66:67], -v[212:213]
	s_waitcnt lgkmcnt(0)
	v_mul_f64 v[68:69], v[220:221], v[70:71]
	v_mul_f64 v[212:213], v[218:219], v[70:71]
	s_delay_alu instid0(VALU_DEP_2) | instskip(NEXT) | instid1(VALU_DEP_2)
	v_fma_f64 v[68:69], v[218:219], v[216:217], -v[68:69]
	v_fma_f64 v[212:213], v[220:221], v[216:217], v[212:213]
	ds_load_2addr_b64 v[218:221], v214 offset0:82 offset1:83
	v_add_f64 v[60:61], v[60:61], -v[68:69]
	v_add_f64 v[62:63], v[62:63], -v[212:213]
	s_waitcnt lgkmcnt(0)
	v_mul_f64 v[68:69], v[220:221], v[70:71]
	v_mul_f64 v[212:213], v[218:219], v[70:71]
	s_delay_alu instid0(VALU_DEP_2) | instskip(NEXT) | instid1(VALU_DEP_2)
	v_fma_f64 v[68:69], v[218:219], v[216:217], -v[68:69]
	v_fma_f64 v[212:213], v[220:221], v[216:217], v[212:213]
	ds_load_2addr_b64 v[218:221], v214 offset0:84 offset1:85
	v_add_f64 v[56:57], v[56:57], -v[68:69]
	v_add_f64 v[58:59], v[58:59], -v[212:213]
	s_waitcnt lgkmcnt(0)
	v_mul_f64 v[68:69], v[220:221], v[70:71]
	v_mul_f64 v[212:213], v[218:219], v[70:71]
	s_delay_alu instid0(VALU_DEP_2) | instskip(NEXT) | instid1(VALU_DEP_2)
	v_fma_f64 v[68:69], v[218:219], v[216:217], -v[68:69]
	v_fma_f64 v[212:213], v[220:221], v[216:217], v[212:213]
	ds_load_2addr_b64 v[218:221], v214 offset0:86 offset1:87
	v_add_f64 v[52:53], v[52:53], -v[68:69]
	v_add_f64 v[54:55], v[54:55], -v[212:213]
	s_waitcnt lgkmcnt(0)
	v_mul_f64 v[68:69], v[220:221], v[70:71]
	v_mul_f64 v[212:213], v[218:219], v[70:71]
	s_delay_alu instid0(VALU_DEP_2) | instskip(NEXT) | instid1(VALU_DEP_2)
	v_fma_f64 v[68:69], v[218:219], v[216:217], -v[68:69]
	v_fma_f64 v[212:213], v[220:221], v[216:217], v[212:213]
	ds_load_2addr_b64 v[218:221], v214 offset0:88 offset1:89
	v_add_f64 v[48:49], v[48:49], -v[68:69]
	v_add_f64 v[50:51], v[50:51], -v[212:213]
	s_waitcnt lgkmcnt(0)
	v_mul_f64 v[68:69], v[220:221], v[70:71]
	v_mul_f64 v[212:213], v[218:219], v[70:71]
	s_delay_alu instid0(VALU_DEP_2) | instskip(NEXT) | instid1(VALU_DEP_2)
	v_fma_f64 v[68:69], v[218:219], v[216:217], -v[68:69]
	v_fma_f64 v[212:213], v[220:221], v[216:217], v[212:213]
	ds_load_2addr_b64 v[218:221], v214 offset0:90 offset1:91
	v_add_f64 v[44:45], v[44:45], -v[68:69]
	v_add_f64 v[46:47], v[46:47], -v[212:213]
	s_waitcnt lgkmcnt(0)
	v_mul_f64 v[68:69], v[220:221], v[70:71]
	v_mul_f64 v[212:213], v[218:219], v[70:71]
	s_delay_alu instid0(VALU_DEP_2) | instskip(NEXT) | instid1(VALU_DEP_2)
	v_fma_f64 v[68:69], v[218:219], v[216:217], -v[68:69]
	v_fma_f64 v[212:213], v[220:221], v[216:217], v[212:213]
	ds_load_2addr_b64 v[218:221], v214 offset0:92 offset1:93
	v_add_f64 v[40:41], v[40:41], -v[68:69]
	v_add_f64 v[42:43], v[42:43], -v[212:213]
	s_waitcnt lgkmcnt(0)
	v_mul_f64 v[68:69], v[220:221], v[70:71]
	v_mul_f64 v[212:213], v[218:219], v[70:71]
	s_delay_alu instid0(VALU_DEP_2) | instskip(NEXT) | instid1(VALU_DEP_2)
	v_fma_f64 v[68:69], v[218:219], v[216:217], -v[68:69]
	v_fma_f64 v[212:213], v[220:221], v[216:217], v[212:213]
	ds_load_2addr_b64 v[218:221], v214 offset0:94 offset1:95
	v_add_f64 v[36:37], v[36:37], -v[68:69]
	v_add_f64 v[38:39], v[38:39], -v[212:213]
	s_waitcnt lgkmcnt(0)
	v_mul_f64 v[68:69], v[220:221], v[70:71]
	v_mul_f64 v[212:213], v[218:219], v[70:71]
	s_delay_alu instid0(VALU_DEP_2) | instskip(NEXT) | instid1(VALU_DEP_2)
	v_fma_f64 v[68:69], v[218:219], v[216:217], -v[68:69]
	v_fma_f64 v[212:213], v[220:221], v[216:217], v[212:213]
	ds_load_2addr_b64 v[218:221], v214 offset0:96 offset1:97
	v_add_f64 v[32:33], v[32:33], -v[68:69]
	v_add_f64 v[34:35], v[34:35], -v[212:213]
	s_waitcnt lgkmcnt(0)
	v_mul_f64 v[68:69], v[220:221], v[70:71]
	v_mul_f64 v[212:213], v[218:219], v[70:71]
	s_delay_alu instid0(VALU_DEP_2) | instskip(NEXT) | instid1(VALU_DEP_2)
	v_fma_f64 v[68:69], v[218:219], v[216:217], -v[68:69]
	v_fma_f64 v[212:213], v[220:221], v[216:217], v[212:213]
	ds_load_2addr_b64 v[218:221], v214 offset0:98 offset1:99
	v_add_f64 v[28:29], v[28:29], -v[68:69]
	v_add_f64 v[30:31], v[30:31], -v[212:213]
	s_waitcnt lgkmcnt(0)
	v_mul_f64 v[68:69], v[220:221], v[70:71]
	v_mul_f64 v[212:213], v[218:219], v[70:71]
	s_delay_alu instid0(VALU_DEP_2) | instskip(NEXT) | instid1(VALU_DEP_2)
	v_fma_f64 v[68:69], v[218:219], v[216:217], -v[68:69]
	v_fma_f64 v[212:213], v[220:221], v[216:217], v[212:213]
	ds_load_2addr_b64 v[218:221], v214 offset0:100 offset1:101
	v_add_f64 v[24:25], v[24:25], -v[68:69]
	v_add_f64 v[26:27], v[26:27], -v[212:213]
	s_waitcnt lgkmcnt(0)
	v_mul_f64 v[68:69], v[220:221], v[70:71]
	v_mul_f64 v[212:213], v[218:219], v[70:71]
	s_delay_alu instid0(VALU_DEP_2) | instskip(NEXT) | instid1(VALU_DEP_2)
	v_fma_f64 v[68:69], v[218:219], v[216:217], -v[68:69]
	v_fma_f64 v[212:213], v[220:221], v[216:217], v[212:213]
	ds_load_2addr_b64 v[218:221], v214 offset0:102 offset1:103
	v_add_f64 v[20:21], v[20:21], -v[68:69]
	v_add_f64 v[22:23], v[22:23], -v[212:213]
	s_waitcnt lgkmcnt(0)
	v_mul_f64 v[68:69], v[220:221], v[70:71]
	v_mul_f64 v[212:213], v[218:219], v[70:71]
	s_delay_alu instid0(VALU_DEP_2) | instskip(NEXT) | instid1(VALU_DEP_2)
	v_fma_f64 v[68:69], v[218:219], v[216:217], -v[68:69]
	v_fma_f64 v[212:213], v[220:221], v[216:217], v[212:213]
	ds_load_2addr_b64 v[218:221], v214 offset0:104 offset1:105
	v_add_f64 v[16:17], v[16:17], -v[68:69]
	v_add_f64 v[18:19], v[18:19], -v[212:213]
	s_waitcnt lgkmcnt(0)
	v_mul_f64 v[68:69], v[220:221], v[70:71]
	v_mul_f64 v[212:213], v[218:219], v[70:71]
	s_delay_alu instid0(VALU_DEP_2) | instskip(NEXT) | instid1(VALU_DEP_2)
	v_fma_f64 v[68:69], v[218:219], v[216:217], -v[68:69]
	v_fma_f64 v[212:213], v[220:221], v[216:217], v[212:213]
	ds_load_2addr_b64 v[218:221], v214 offset0:106 offset1:107
	v_add_f64 v[12:13], v[12:13], -v[68:69]
	v_add_f64 v[14:15], v[14:15], -v[212:213]
	s_waitcnt lgkmcnt(0)
	v_mul_f64 v[68:69], v[220:221], v[70:71]
	v_mul_f64 v[212:213], v[218:219], v[70:71]
	s_delay_alu instid0(VALU_DEP_2) | instskip(NEXT) | instid1(VALU_DEP_2)
	v_fma_f64 v[68:69], v[218:219], v[216:217], -v[68:69]
	v_fma_f64 v[212:213], v[220:221], v[216:217], v[212:213]
	ds_load_2addr_b64 v[218:221], v214 offset0:108 offset1:109
	v_add_f64 v[8:9], v[8:9], -v[68:69]
	v_add_f64 v[10:11], v[10:11], -v[212:213]
	s_waitcnt lgkmcnt(0)
	v_mul_f64 v[68:69], v[220:221], v[70:71]
	v_mul_f64 v[212:213], v[218:219], v[70:71]
	s_delay_alu instid0(VALU_DEP_2) | instskip(NEXT) | instid1(VALU_DEP_2)
	v_fma_f64 v[68:69], v[218:219], v[216:217], -v[68:69]
	v_fma_f64 v[212:213], v[220:221], v[216:217], v[212:213]
	ds_load_2addr_b64 v[218:221], v214 offset0:110 offset1:111
	v_add_f64 v[4:5], v[4:5], -v[68:69]
	v_add_f64 v[6:7], v[6:7], -v[212:213]
	s_waitcnt lgkmcnt(0)
	v_mul_f64 v[68:69], v[220:221], v[70:71]
	v_mul_f64 v[212:213], v[218:219], v[70:71]
	s_delay_alu instid0(VALU_DEP_2) | instskip(NEXT) | instid1(VALU_DEP_2)
	v_fma_f64 v[68:69], v[218:219], v[216:217], -v[68:69]
	v_fma_f64 v[212:213], v[220:221], v[216:217], v[212:213]
	s_delay_alu instid0(VALU_DEP_2) | instskip(NEXT) | instid1(VALU_DEP_2)
	v_add_f64 v[0:1], v[0:1], -v[68:69]
	v_add_f64 v[2:3], v[2:3], -v[212:213]
	v_dual_mov_b32 v68, v216 :: v_dual_mov_b32 v69, v217
.LBB111_352:
	s_or_b32 exec_lo, exec_lo, s3
	s_delay_alu instid0(SALU_CYCLE_1)
	s_mov_b32 s4, exec_lo
	s_waitcnt_vscnt null, 0x0
	s_barrier
	buffer_gl0_inv
	v_cmpx_eq_u32_e32 39, v248
	s_cbranch_execz .LBB111_359
; %bb.353:
	ds_store_2addr_b64 v251, v[64:65], v[66:67] offset1:1
	ds_store_2addr_b64 v214, v[60:61], v[62:63] offset0:80 offset1:81
	ds_store_2addr_b64 v214, v[56:57], v[58:59] offset0:82 offset1:83
	;; [unrolled: 1-line block ×16, first 2 shown]
	ds_load_2addr_b64 v[216:219], v251 offset1:1
	s_waitcnt lgkmcnt(0)
	v_cmp_neq_f64_e32 vcc_lo, 0, v[216:217]
	v_cmp_neq_f64_e64 s3, 0, v[218:219]
	s_delay_alu instid0(VALU_DEP_1) | instskip(NEXT) | instid1(SALU_CYCLE_1)
	s_or_b32 s3, vcc_lo, s3
	s_and_b32 exec_lo, exec_lo, s3
	s_cbranch_execz .LBB111_359
; %bb.354:
	v_cmp_gt_f64_e32 vcc_lo, 0, v[216:217]
	v_xor_b32_e32 v208, 0x80000000, v217
	s_delay_alu instid0(VALU_DEP_1) | instskip(SKIP_3) | instid1(VALU_DEP_1)
	v_cndmask_b32_e32 v213, v217, v208, vcc_lo
	v_cndmask_b32_e32 v212, v216, v216, vcc_lo
	v_cmp_gt_f64_e32 vcc_lo, 0, v[218:219]
	v_xor_b32_e32 v208, 0x80000000, v219
	v_dual_cndmask_b32 v220, v218, v218 :: v_dual_cndmask_b32 v221, v219, v208
	s_delay_alu instid0(VALU_DEP_1) | instskip(SKIP_1) | instid1(SALU_CYCLE_1)
	v_cmp_ngt_f64_e32 vcc_lo, v[212:213], v[220:221]
                                        ; implicit-def: $vgpr212_vgpr213
	s_and_saveexec_b32 s3, vcc_lo
	s_xor_b32 s3, exec_lo, s3
                                        ; implicit-def: $vgpr220_vgpr221_vgpr222_vgpr223
	s_cbranch_execz .LBB111_356
; %bb.355:
	v_div_scale_f64 v[212:213], null, v[218:219], v[218:219], v[216:217]
	v_div_scale_f64 v[224:225], vcc_lo, v[216:217], v[218:219], v[216:217]
	s_delay_alu instid0(VALU_DEP_2) | instskip(SKIP_2) | instid1(VALU_DEP_1)
	v_rcp_f64_e32 v[220:221], v[212:213]
	s_waitcnt_depctr 0xfff
	v_fma_f64 v[222:223], -v[212:213], v[220:221], 1.0
	v_fma_f64 v[220:221], v[220:221], v[222:223], v[220:221]
	s_delay_alu instid0(VALU_DEP_1) | instskip(NEXT) | instid1(VALU_DEP_1)
	v_fma_f64 v[222:223], -v[212:213], v[220:221], 1.0
	v_fma_f64 v[220:221], v[220:221], v[222:223], v[220:221]
	s_delay_alu instid0(VALU_DEP_1) | instskip(NEXT) | instid1(VALU_DEP_1)
	v_mul_f64 v[222:223], v[224:225], v[220:221]
	v_fma_f64 v[212:213], -v[212:213], v[222:223], v[224:225]
	s_delay_alu instid0(VALU_DEP_1) | instskip(NEXT) | instid1(VALU_DEP_1)
	v_div_fmas_f64 v[212:213], v[212:213], v[220:221], v[222:223]
	v_div_fixup_f64 v[212:213], v[212:213], v[218:219], v[216:217]
	s_delay_alu instid0(VALU_DEP_1) | instskip(NEXT) | instid1(VALU_DEP_1)
	v_fma_f64 v[216:217], v[216:217], v[212:213], v[218:219]
	v_div_scale_f64 v[218:219], null, v[216:217], v[216:217], 1.0
	s_delay_alu instid0(VALU_DEP_1) | instskip(SKIP_2) | instid1(VALU_DEP_1)
	v_rcp_f64_e32 v[220:221], v[218:219]
	s_waitcnt_depctr 0xfff
	v_fma_f64 v[222:223], -v[218:219], v[220:221], 1.0
	v_fma_f64 v[220:221], v[220:221], v[222:223], v[220:221]
	s_delay_alu instid0(VALU_DEP_1) | instskip(NEXT) | instid1(VALU_DEP_1)
	v_fma_f64 v[222:223], -v[218:219], v[220:221], 1.0
	v_fma_f64 v[220:221], v[220:221], v[222:223], v[220:221]
	v_div_scale_f64 v[222:223], vcc_lo, 1.0, v[216:217], 1.0
	s_delay_alu instid0(VALU_DEP_1) | instskip(NEXT) | instid1(VALU_DEP_1)
	v_mul_f64 v[224:225], v[222:223], v[220:221]
	v_fma_f64 v[218:219], -v[218:219], v[224:225], v[222:223]
	s_delay_alu instid0(VALU_DEP_1) | instskip(NEXT) | instid1(VALU_DEP_1)
	v_div_fmas_f64 v[218:219], v[218:219], v[220:221], v[224:225]
	v_div_fixup_f64 v[222:223], v[218:219], v[216:217], 1.0
                                        ; implicit-def: $vgpr216_vgpr217
	s_delay_alu instid0(VALU_DEP_1)
	v_mul_f64 v[212:213], v[212:213], v[222:223]
	v_xor_b32_e32 v223, 0x80000000, v223
.LBB111_356:
	s_and_not1_saveexec_b32 s3, s3
	s_cbranch_execz .LBB111_358
; %bb.357:
	v_div_scale_f64 v[212:213], null, v[216:217], v[216:217], v[218:219]
	v_div_scale_f64 v[224:225], vcc_lo, v[218:219], v[216:217], v[218:219]
	s_delay_alu instid0(VALU_DEP_2) | instskip(SKIP_2) | instid1(VALU_DEP_1)
	v_rcp_f64_e32 v[220:221], v[212:213]
	s_waitcnt_depctr 0xfff
	v_fma_f64 v[222:223], -v[212:213], v[220:221], 1.0
	v_fma_f64 v[220:221], v[220:221], v[222:223], v[220:221]
	s_delay_alu instid0(VALU_DEP_1) | instskip(NEXT) | instid1(VALU_DEP_1)
	v_fma_f64 v[222:223], -v[212:213], v[220:221], 1.0
	v_fma_f64 v[220:221], v[220:221], v[222:223], v[220:221]
	s_delay_alu instid0(VALU_DEP_1) | instskip(NEXT) | instid1(VALU_DEP_1)
	v_mul_f64 v[222:223], v[224:225], v[220:221]
	v_fma_f64 v[212:213], -v[212:213], v[222:223], v[224:225]
	s_delay_alu instid0(VALU_DEP_1) | instskip(NEXT) | instid1(VALU_DEP_1)
	v_div_fmas_f64 v[212:213], v[212:213], v[220:221], v[222:223]
	v_div_fixup_f64 v[220:221], v[212:213], v[216:217], v[218:219]
	s_delay_alu instid0(VALU_DEP_1) | instskip(NEXT) | instid1(VALU_DEP_1)
	v_fma_f64 v[212:213], v[218:219], v[220:221], v[216:217]
	v_div_scale_f64 v[216:217], null, v[212:213], v[212:213], 1.0
	s_delay_alu instid0(VALU_DEP_1) | instskip(SKIP_2) | instid1(VALU_DEP_1)
	v_rcp_f64_e32 v[218:219], v[216:217]
	s_waitcnt_depctr 0xfff
	v_fma_f64 v[222:223], -v[216:217], v[218:219], 1.0
	v_fma_f64 v[218:219], v[218:219], v[222:223], v[218:219]
	s_delay_alu instid0(VALU_DEP_1) | instskip(NEXT) | instid1(VALU_DEP_1)
	v_fma_f64 v[222:223], -v[216:217], v[218:219], 1.0
	v_fma_f64 v[218:219], v[218:219], v[222:223], v[218:219]
	v_div_scale_f64 v[222:223], vcc_lo, 1.0, v[212:213], 1.0
	s_delay_alu instid0(VALU_DEP_1) | instskip(NEXT) | instid1(VALU_DEP_1)
	v_mul_f64 v[224:225], v[222:223], v[218:219]
	v_fma_f64 v[216:217], -v[216:217], v[224:225], v[222:223]
	s_delay_alu instid0(VALU_DEP_1) | instskip(NEXT) | instid1(VALU_DEP_1)
	v_div_fmas_f64 v[216:217], v[216:217], v[218:219], v[224:225]
	v_div_fixup_f64 v[212:213], v[216:217], v[212:213], 1.0
	s_delay_alu instid0(VALU_DEP_1)
	v_mul_f64 v[222:223], v[220:221], -v[212:213]
.LBB111_358:
	s_or_b32 exec_lo, exec_lo, s3
	ds_store_2addr_b64 v251, v[212:213], v[222:223] offset1:1
.LBB111_359:
	s_or_b32 exec_lo, exec_lo, s4
	s_waitcnt lgkmcnt(0)
	s_barrier
	buffer_gl0_inv
	ds_load_2addr_b64 v[208:211], v251 offset1:1
	s_mov_b32 s3, exec_lo
	s_waitcnt lgkmcnt(0)
	scratch_store_b128 off, v[208:211], off offset:1136 ; 16-byte Folded Spill
	v_cmpx_lt_u32_e32 39, v248
	s_cbranch_execz .LBB111_361
; %bb.360:
	scratch_load_b128 v[208:211], off, off offset:1136 ; 16-byte Folded Reload
	ds_load_2addr_b64 v[218:221], v214 offset0:80 offset1:81
	s_waitcnt vmcnt(0)
	v_mul_f64 v[212:213], v[208:209], v[66:67]
	v_mul_f64 v[66:67], v[210:211], v[66:67]
	s_delay_alu instid0(VALU_DEP_2) | instskip(NEXT) | instid1(VALU_DEP_2)
	v_fma_f64 v[216:217], v[210:211], v[64:65], v[212:213]
	v_fma_f64 v[64:65], v[208:209], v[64:65], -v[66:67]
	s_waitcnt lgkmcnt(0)
	s_delay_alu instid0(VALU_DEP_2) | instskip(SKIP_1) | instid1(VALU_DEP_2)
	v_mul_f64 v[66:67], v[220:221], v[216:217]
	v_mul_f64 v[212:213], v[218:219], v[216:217]
	v_fma_f64 v[66:67], v[218:219], v[64:65], -v[66:67]
	s_delay_alu instid0(VALU_DEP_2)
	v_fma_f64 v[212:213], v[220:221], v[64:65], v[212:213]
	ds_load_2addr_b64 v[218:221], v214 offset0:82 offset1:83
	v_add_f64 v[60:61], v[60:61], -v[66:67]
	v_add_f64 v[62:63], v[62:63], -v[212:213]
	s_waitcnt lgkmcnt(0)
	v_mul_f64 v[66:67], v[220:221], v[216:217]
	v_mul_f64 v[212:213], v[218:219], v[216:217]
	s_delay_alu instid0(VALU_DEP_2) | instskip(NEXT) | instid1(VALU_DEP_2)
	v_fma_f64 v[66:67], v[218:219], v[64:65], -v[66:67]
	v_fma_f64 v[212:213], v[220:221], v[64:65], v[212:213]
	ds_load_2addr_b64 v[218:221], v214 offset0:84 offset1:85
	v_add_f64 v[56:57], v[56:57], -v[66:67]
	v_add_f64 v[58:59], v[58:59], -v[212:213]
	s_waitcnt lgkmcnt(0)
	v_mul_f64 v[66:67], v[220:221], v[216:217]
	v_mul_f64 v[212:213], v[218:219], v[216:217]
	s_delay_alu instid0(VALU_DEP_2) | instskip(NEXT) | instid1(VALU_DEP_2)
	v_fma_f64 v[66:67], v[218:219], v[64:65], -v[66:67]
	;; [unrolled: 9-line block ×15, first 2 shown]
	v_fma_f64 v[212:213], v[220:221], v[64:65], v[212:213]
	s_delay_alu instid0(VALU_DEP_2) | instskip(NEXT) | instid1(VALU_DEP_2)
	v_add_f64 v[0:1], v[0:1], -v[66:67]
	v_add_f64 v[2:3], v[2:3], -v[212:213]
	v_dual_mov_b32 v66, v216 :: v_dual_mov_b32 v67, v217
.LBB111_361:
	s_or_b32 exec_lo, exec_lo, s3
	s_delay_alu instid0(SALU_CYCLE_1)
	s_mov_b32 s4, exec_lo
	s_waitcnt_vscnt null, 0x0
	s_barrier
	buffer_gl0_inv
	v_cmpx_eq_u32_e32 40, v248
	s_cbranch_execz .LBB111_368
; %bb.362:
	ds_store_2addr_b64 v251, v[60:61], v[62:63] offset1:1
	ds_store_2addr_b64 v214, v[56:57], v[58:59] offset0:82 offset1:83
	ds_store_2addr_b64 v214, v[52:53], v[54:55] offset0:84 offset1:85
	ds_store_2addr_b64 v214, v[48:49], v[50:51] offset0:86 offset1:87
	ds_store_2addr_b64 v214, v[44:45], v[46:47] offset0:88 offset1:89
	ds_store_2addr_b64 v214, v[40:41], v[42:43] offset0:90 offset1:91
	ds_store_2addr_b64 v214, v[36:37], v[38:39] offset0:92 offset1:93
	ds_store_2addr_b64 v214, v[32:33], v[34:35] offset0:94 offset1:95
	ds_store_2addr_b64 v214, v[28:29], v[30:31] offset0:96 offset1:97
	ds_store_2addr_b64 v214, v[24:25], v[26:27] offset0:98 offset1:99
	ds_store_2addr_b64 v214, v[20:21], v[22:23] offset0:100 offset1:101
	ds_store_2addr_b64 v214, v[16:17], v[18:19] offset0:102 offset1:103
	ds_store_2addr_b64 v214, v[12:13], v[14:15] offset0:104 offset1:105
	ds_store_2addr_b64 v214, v[8:9], v[10:11] offset0:106 offset1:107
	ds_store_2addr_b64 v214, v[4:5], v[6:7] offset0:108 offset1:109
	ds_store_2addr_b64 v214, v[0:1], v[2:3] offset0:110 offset1:111
	ds_load_2addr_b64 v[216:219], v251 offset1:1
	s_waitcnt lgkmcnt(0)
	v_cmp_neq_f64_e32 vcc_lo, 0, v[216:217]
	v_cmp_neq_f64_e64 s3, 0, v[218:219]
	s_delay_alu instid0(VALU_DEP_1) | instskip(NEXT) | instid1(SALU_CYCLE_1)
	s_or_b32 s3, vcc_lo, s3
	s_and_b32 exec_lo, exec_lo, s3
	s_cbranch_execz .LBB111_368
; %bb.363:
	v_cmp_gt_f64_e32 vcc_lo, 0, v[216:217]
	v_xor_b32_e32 v208, 0x80000000, v217
	s_delay_alu instid0(VALU_DEP_1) | instskip(SKIP_3) | instid1(VALU_DEP_1)
	v_cndmask_b32_e32 v213, v217, v208, vcc_lo
	v_cndmask_b32_e32 v212, v216, v216, vcc_lo
	v_cmp_gt_f64_e32 vcc_lo, 0, v[218:219]
	v_xor_b32_e32 v208, 0x80000000, v219
	v_dual_cndmask_b32 v220, v218, v218 :: v_dual_cndmask_b32 v221, v219, v208
	s_delay_alu instid0(VALU_DEP_1) | instskip(SKIP_1) | instid1(SALU_CYCLE_1)
	v_cmp_ngt_f64_e32 vcc_lo, v[212:213], v[220:221]
                                        ; implicit-def: $vgpr212_vgpr213
	s_and_saveexec_b32 s3, vcc_lo
	s_xor_b32 s3, exec_lo, s3
                                        ; implicit-def: $vgpr220_vgpr221_vgpr222_vgpr223
	s_cbranch_execz .LBB111_365
; %bb.364:
	v_div_scale_f64 v[212:213], null, v[218:219], v[218:219], v[216:217]
	v_div_scale_f64 v[224:225], vcc_lo, v[216:217], v[218:219], v[216:217]
	s_delay_alu instid0(VALU_DEP_2) | instskip(SKIP_2) | instid1(VALU_DEP_1)
	v_rcp_f64_e32 v[220:221], v[212:213]
	s_waitcnt_depctr 0xfff
	v_fma_f64 v[222:223], -v[212:213], v[220:221], 1.0
	v_fma_f64 v[220:221], v[220:221], v[222:223], v[220:221]
	s_delay_alu instid0(VALU_DEP_1) | instskip(NEXT) | instid1(VALU_DEP_1)
	v_fma_f64 v[222:223], -v[212:213], v[220:221], 1.0
	v_fma_f64 v[220:221], v[220:221], v[222:223], v[220:221]
	s_delay_alu instid0(VALU_DEP_1) | instskip(NEXT) | instid1(VALU_DEP_1)
	v_mul_f64 v[222:223], v[224:225], v[220:221]
	v_fma_f64 v[212:213], -v[212:213], v[222:223], v[224:225]
	s_delay_alu instid0(VALU_DEP_1) | instskip(NEXT) | instid1(VALU_DEP_1)
	v_div_fmas_f64 v[212:213], v[212:213], v[220:221], v[222:223]
	v_div_fixup_f64 v[212:213], v[212:213], v[218:219], v[216:217]
	s_delay_alu instid0(VALU_DEP_1) | instskip(NEXT) | instid1(VALU_DEP_1)
	v_fma_f64 v[216:217], v[216:217], v[212:213], v[218:219]
	v_div_scale_f64 v[218:219], null, v[216:217], v[216:217], 1.0
	s_delay_alu instid0(VALU_DEP_1) | instskip(SKIP_2) | instid1(VALU_DEP_1)
	v_rcp_f64_e32 v[220:221], v[218:219]
	s_waitcnt_depctr 0xfff
	v_fma_f64 v[222:223], -v[218:219], v[220:221], 1.0
	v_fma_f64 v[220:221], v[220:221], v[222:223], v[220:221]
	s_delay_alu instid0(VALU_DEP_1) | instskip(NEXT) | instid1(VALU_DEP_1)
	v_fma_f64 v[222:223], -v[218:219], v[220:221], 1.0
	v_fma_f64 v[220:221], v[220:221], v[222:223], v[220:221]
	v_div_scale_f64 v[222:223], vcc_lo, 1.0, v[216:217], 1.0
	s_delay_alu instid0(VALU_DEP_1) | instskip(NEXT) | instid1(VALU_DEP_1)
	v_mul_f64 v[224:225], v[222:223], v[220:221]
	v_fma_f64 v[218:219], -v[218:219], v[224:225], v[222:223]
	s_delay_alu instid0(VALU_DEP_1) | instskip(NEXT) | instid1(VALU_DEP_1)
	v_div_fmas_f64 v[218:219], v[218:219], v[220:221], v[224:225]
	v_div_fixup_f64 v[222:223], v[218:219], v[216:217], 1.0
                                        ; implicit-def: $vgpr216_vgpr217
	s_delay_alu instid0(VALU_DEP_1)
	v_mul_f64 v[212:213], v[212:213], v[222:223]
	v_xor_b32_e32 v223, 0x80000000, v223
.LBB111_365:
	s_and_not1_saveexec_b32 s3, s3
	s_cbranch_execz .LBB111_367
; %bb.366:
	v_div_scale_f64 v[212:213], null, v[216:217], v[216:217], v[218:219]
	v_div_scale_f64 v[224:225], vcc_lo, v[218:219], v[216:217], v[218:219]
	s_delay_alu instid0(VALU_DEP_2) | instskip(SKIP_2) | instid1(VALU_DEP_1)
	v_rcp_f64_e32 v[220:221], v[212:213]
	s_waitcnt_depctr 0xfff
	v_fma_f64 v[222:223], -v[212:213], v[220:221], 1.0
	v_fma_f64 v[220:221], v[220:221], v[222:223], v[220:221]
	s_delay_alu instid0(VALU_DEP_1) | instskip(NEXT) | instid1(VALU_DEP_1)
	v_fma_f64 v[222:223], -v[212:213], v[220:221], 1.0
	v_fma_f64 v[220:221], v[220:221], v[222:223], v[220:221]
	s_delay_alu instid0(VALU_DEP_1) | instskip(NEXT) | instid1(VALU_DEP_1)
	v_mul_f64 v[222:223], v[224:225], v[220:221]
	v_fma_f64 v[212:213], -v[212:213], v[222:223], v[224:225]
	s_delay_alu instid0(VALU_DEP_1) | instskip(NEXT) | instid1(VALU_DEP_1)
	v_div_fmas_f64 v[212:213], v[212:213], v[220:221], v[222:223]
	v_div_fixup_f64 v[220:221], v[212:213], v[216:217], v[218:219]
	s_delay_alu instid0(VALU_DEP_1) | instskip(NEXT) | instid1(VALU_DEP_1)
	v_fma_f64 v[212:213], v[218:219], v[220:221], v[216:217]
	v_div_scale_f64 v[216:217], null, v[212:213], v[212:213], 1.0
	s_delay_alu instid0(VALU_DEP_1) | instskip(SKIP_2) | instid1(VALU_DEP_1)
	v_rcp_f64_e32 v[218:219], v[216:217]
	s_waitcnt_depctr 0xfff
	v_fma_f64 v[222:223], -v[216:217], v[218:219], 1.0
	v_fma_f64 v[218:219], v[218:219], v[222:223], v[218:219]
	s_delay_alu instid0(VALU_DEP_1) | instskip(NEXT) | instid1(VALU_DEP_1)
	v_fma_f64 v[222:223], -v[216:217], v[218:219], 1.0
	v_fma_f64 v[218:219], v[218:219], v[222:223], v[218:219]
	v_div_scale_f64 v[222:223], vcc_lo, 1.0, v[212:213], 1.0
	s_delay_alu instid0(VALU_DEP_1) | instskip(NEXT) | instid1(VALU_DEP_1)
	v_mul_f64 v[224:225], v[222:223], v[218:219]
	v_fma_f64 v[216:217], -v[216:217], v[224:225], v[222:223]
	s_delay_alu instid0(VALU_DEP_1) | instskip(NEXT) | instid1(VALU_DEP_1)
	v_div_fmas_f64 v[216:217], v[216:217], v[218:219], v[224:225]
	v_div_fixup_f64 v[212:213], v[216:217], v[212:213], 1.0
	s_delay_alu instid0(VALU_DEP_1)
	v_mul_f64 v[222:223], v[220:221], -v[212:213]
.LBB111_367:
	s_or_b32 exec_lo, exec_lo, s3
	ds_store_2addr_b64 v251, v[212:213], v[222:223] offset1:1
.LBB111_368:
	s_or_b32 exec_lo, exec_lo, s4
	s_waitcnt lgkmcnt(0)
	s_barrier
	buffer_gl0_inv
	ds_load_2addr_b64 v[208:211], v251 offset1:1
	s_mov_b32 s3, exec_lo
	s_waitcnt lgkmcnt(0)
	scratch_store_b128 off, v[208:211], off offset:1152 ; 16-byte Folded Spill
	v_cmpx_lt_u32_e32 40, v248
	s_cbranch_execz .LBB111_370
; %bb.369:
	scratch_load_b128 v[208:211], off, off offset:1152 ; 16-byte Folded Reload
	ds_load_2addr_b64 v[218:221], v214 offset0:82 offset1:83
	s_waitcnt vmcnt(0)
	v_mul_f64 v[212:213], v[208:209], v[62:63]
	v_mul_f64 v[62:63], v[210:211], v[62:63]
	s_delay_alu instid0(VALU_DEP_2) | instskip(NEXT) | instid1(VALU_DEP_2)
	v_fma_f64 v[216:217], v[210:211], v[60:61], v[212:213]
	v_fma_f64 v[60:61], v[208:209], v[60:61], -v[62:63]
	s_waitcnt lgkmcnt(0)
	s_delay_alu instid0(VALU_DEP_2) | instskip(SKIP_1) | instid1(VALU_DEP_2)
	v_mul_f64 v[62:63], v[220:221], v[216:217]
	v_mul_f64 v[212:213], v[218:219], v[216:217]
	v_fma_f64 v[62:63], v[218:219], v[60:61], -v[62:63]
	s_delay_alu instid0(VALU_DEP_2)
	v_fma_f64 v[212:213], v[220:221], v[60:61], v[212:213]
	ds_load_2addr_b64 v[218:221], v214 offset0:84 offset1:85
	v_add_f64 v[56:57], v[56:57], -v[62:63]
	v_add_f64 v[58:59], v[58:59], -v[212:213]
	s_waitcnt lgkmcnt(0)
	v_mul_f64 v[62:63], v[220:221], v[216:217]
	v_mul_f64 v[212:213], v[218:219], v[216:217]
	s_delay_alu instid0(VALU_DEP_2) | instskip(NEXT) | instid1(VALU_DEP_2)
	v_fma_f64 v[62:63], v[218:219], v[60:61], -v[62:63]
	v_fma_f64 v[212:213], v[220:221], v[60:61], v[212:213]
	ds_load_2addr_b64 v[218:221], v214 offset0:86 offset1:87
	v_add_f64 v[52:53], v[52:53], -v[62:63]
	v_add_f64 v[54:55], v[54:55], -v[212:213]
	s_waitcnt lgkmcnt(0)
	v_mul_f64 v[62:63], v[220:221], v[216:217]
	v_mul_f64 v[212:213], v[218:219], v[216:217]
	s_delay_alu instid0(VALU_DEP_2) | instskip(NEXT) | instid1(VALU_DEP_2)
	v_fma_f64 v[62:63], v[218:219], v[60:61], -v[62:63]
	;; [unrolled: 9-line block ×14, first 2 shown]
	v_fma_f64 v[212:213], v[220:221], v[60:61], v[212:213]
	s_delay_alu instid0(VALU_DEP_2) | instskip(NEXT) | instid1(VALU_DEP_2)
	v_add_f64 v[0:1], v[0:1], -v[62:63]
	v_add_f64 v[2:3], v[2:3], -v[212:213]
	v_dual_mov_b32 v62, v216 :: v_dual_mov_b32 v63, v217
.LBB111_370:
	s_or_b32 exec_lo, exec_lo, s3
	s_delay_alu instid0(SALU_CYCLE_1)
	s_mov_b32 s4, exec_lo
	s_waitcnt_vscnt null, 0x0
	s_barrier
	buffer_gl0_inv
	v_cmpx_eq_u32_e32 41, v248
	s_cbranch_execz .LBB111_377
; %bb.371:
	ds_store_2addr_b64 v251, v[56:57], v[58:59] offset1:1
	ds_store_2addr_b64 v214, v[52:53], v[54:55] offset0:84 offset1:85
	ds_store_2addr_b64 v214, v[48:49], v[50:51] offset0:86 offset1:87
	;; [unrolled: 1-line block ×14, first 2 shown]
	ds_load_2addr_b64 v[216:219], v251 offset1:1
	s_waitcnt lgkmcnt(0)
	v_cmp_neq_f64_e32 vcc_lo, 0, v[216:217]
	v_cmp_neq_f64_e64 s3, 0, v[218:219]
	s_delay_alu instid0(VALU_DEP_1) | instskip(NEXT) | instid1(SALU_CYCLE_1)
	s_or_b32 s3, vcc_lo, s3
	s_and_b32 exec_lo, exec_lo, s3
	s_cbranch_execz .LBB111_377
; %bb.372:
	v_cmp_gt_f64_e32 vcc_lo, 0, v[216:217]
	v_xor_b32_e32 v208, 0x80000000, v217
	s_delay_alu instid0(VALU_DEP_1) | instskip(SKIP_3) | instid1(VALU_DEP_1)
	v_cndmask_b32_e32 v213, v217, v208, vcc_lo
	v_cndmask_b32_e32 v212, v216, v216, vcc_lo
	v_cmp_gt_f64_e32 vcc_lo, 0, v[218:219]
	v_xor_b32_e32 v208, 0x80000000, v219
	v_dual_cndmask_b32 v220, v218, v218 :: v_dual_cndmask_b32 v221, v219, v208
	s_delay_alu instid0(VALU_DEP_1) | instskip(SKIP_1) | instid1(SALU_CYCLE_1)
	v_cmp_ngt_f64_e32 vcc_lo, v[212:213], v[220:221]
                                        ; implicit-def: $vgpr212_vgpr213
	s_and_saveexec_b32 s3, vcc_lo
	s_xor_b32 s3, exec_lo, s3
                                        ; implicit-def: $vgpr220_vgpr221_vgpr222_vgpr223
	s_cbranch_execz .LBB111_374
; %bb.373:
	v_div_scale_f64 v[212:213], null, v[218:219], v[218:219], v[216:217]
	v_div_scale_f64 v[224:225], vcc_lo, v[216:217], v[218:219], v[216:217]
	s_delay_alu instid0(VALU_DEP_2) | instskip(SKIP_2) | instid1(VALU_DEP_1)
	v_rcp_f64_e32 v[220:221], v[212:213]
	s_waitcnt_depctr 0xfff
	v_fma_f64 v[222:223], -v[212:213], v[220:221], 1.0
	v_fma_f64 v[220:221], v[220:221], v[222:223], v[220:221]
	s_delay_alu instid0(VALU_DEP_1) | instskip(NEXT) | instid1(VALU_DEP_1)
	v_fma_f64 v[222:223], -v[212:213], v[220:221], 1.0
	v_fma_f64 v[220:221], v[220:221], v[222:223], v[220:221]
	s_delay_alu instid0(VALU_DEP_1) | instskip(NEXT) | instid1(VALU_DEP_1)
	v_mul_f64 v[222:223], v[224:225], v[220:221]
	v_fma_f64 v[212:213], -v[212:213], v[222:223], v[224:225]
	s_delay_alu instid0(VALU_DEP_1) | instskip(NEXT) | instid1(VALU_DEP_1)
	v_div_fmas_f64 v[212:213], v[212:213], v[220:221], v[222:223]
	v_div_fixup_f64 v[212:213], v[212:213], v[218:219], v[216:217]
	s_delay_alu instid0(VALU_DEP_1) | instskip(NEXT) | instid1(VALU_DEP_1)
	v_fma_f64 v[216:217], v[216:217], v[212:213], v[218:219]
	v_div_scale_f64 v[218:219], null, v[216:217], v[216:217], 1.0
	s_delay_alu instid0(VALU_DEP_1) | instskip(SKIP_2) | instid1(VALU_DEP_1)
	v_rcp_f64_e32 v[220:221], v[218:219]
	s_waitcnt_depctr 0xfff
	v_fma_f64 v[222:223], -v[218:219], v[220:221], 1.0
	v_fma_f64 v[220:221], v[220:221], v[222:223], v[220:221]
	s_delay_alu instid0(VALU_DEP_1) | instskip(NEXT) | instid1(VALU_DEP_1)
	v_fma_f64 v[222:223], -v[218:219], v[220:221], 1.0
	v_fma_f64 v[220:221], v[220:221], v[222:223], v[220:221]
	v_div_scale_f64 v[222:223], vcc_lo, 1.0, v[216:217], 1.0
	s_delay_alu instid0(VALU_DEP_1) | instskip(NEXT) | instid1(VALU_DEP_1)
	v_mul_f64 v[224:225], v[222:223], v[220:221]
	v_fma_f64 v[218:219], -v[218:219], v[224:225], v[222:223]
	s_delay_alu instid0(VALU_DEP_1) | instskip(NEXT) | instid1(VALU_DEP_1)
	v_div_fmas_f64 v[218:219], v[218:219], v[220:221], v[224:225]
	v_div_fixup_f64 v[222:223], v[218:219], v[216:217], 1.0
                                        ; implicit-def: $vgpr216_vgpr217
	s_delay_alu instid0(VALU_DEP_1)
	v_mul_f64 v[212:213], v[212:213], v[222:223]
	v_xor_b32_e32 v223, 0x80000000, v223
.LBB111_374:
	s_and_not1_saveexec_b32 s3, s3
	s_cbranch_execz .LBB111_376
; %bb.375:
	v_div_scale_f64 v[212:213], null, v[216:217], v[216:217], v[218:219]
	v_div_scale_f64 v[224:225], vcc_lo, v[218:219], v[216:217], v[218:219]
	s_delay_alu instid0(VALU_DEP_2) | instskip(SKIP_2) | instid1(VALU_DEP_1)
	v_rcp_f64_e32 v[220:221], v[212:213]
	s_waitcnt_depctr 0xfff
	v_fma_f64 v[222:223], -v[212:213], v[220:221], 1.0
	v_fma_f64 v[220:221], v[220:221], v[222:223], v[220:221]
	s_delay_alu instid0(VALU_DEP_1) | instskip(NEXT) | instid1(VALU_DEP_1)
	v_fma_f64 v[222:223], -v[212:213], v[220:221], 1.0
	v_fma_f64 v[220:221], v[220:221], v[222:223], v[220:221]
	s_delay_alu instid0(VALU_DEP_1) | instskip(NEXT) | instid1(VALU_DEP_1)
	v_mul_f64 v[222:223], v[224:225], v[220:221]
	v_fma_f64 v[212:213], -v[212:213], v[222:223], v[224:225]
	s_delay_alu instid0(VALU_DEP_1) | instskip(NEXT) | instid1(VALU_DEP_1)
	v_div_fmas_f64 v[212:213], v[212:213], v[220:221], v[222:223]
	v_div_fixup_f64 v[220:221], v[212:213], v[216:217], v[218:219]
	s_delay_alu instid0(VALU_DEP_1) | instskip(NEXT) | instid1(VALU_DEP_1)
	v_fma_f64 v[212:213], v[218:219], v[220:221], v[216:217]
	v_div_scale_f64 v[216:217], null, v[212:213], v[212:213], 1.0
	s_delay_alu instid0(VALU_DEP_1) | instskip(SKIP_2) | instid1(VALU_DEP_1)
	v_rcp_f64_e32 v[218:219], v[216:217]
	s_waitcnt_depctr 0xfff
	v_fma_f64 v[222:223], -v[216:217], v[218:219], 1.0
	v_fma_f64 v[218:219], v[218:219], v[222:223], v[218:219]
	s_delay_alu instid0(VALU_DEP_1) | instskip(NEXT) | instid1(VALU_DEP_1)
	v_fma_f64 v[222:223], -v[216:217], v[218:219], 1.0
	v_fma_f64 v[218:219], v[218:219], v[222:223], v[218:219]
	v_div_scale_f64 v[222:223], vcc_lo, 1.0, v[212:213], 1.0
	s_delay_alu instid0(VALU_DEP_1) | instskip(NEXT) | instid1(VALU_DEP_1)
	v_mul_f64 v[224:225], v[222:223], v[218:219]
	v_fma_f64 v[216:217], -v[216:217], v[224:225], v[222:223]
	s_delay_alu instid0(VALU_DEP_1) | instskip(NEXT) | instid1(VALU_DEP_1)
	v_div_fmas_f64 v[216:217], v[216:217], v[218:219], v[224:225]
	v_div_fixup_f64 v[212:213], v[216:217], v[212:213], 1.0
	s_delay_alu instid0(VALU_DEP_1)
	v_mul_f64 v[222:223], v[220:221], -v[212:213]
.LBB111_376:
	s_or_b32 exec_lo, exec_lo, s3
	ds_store_2addr_b64 v251, v[212:213], v[222:223] offset1:1
.LBB111_377:
	s_or_b32 exec_lo, exec_lo, s4
	s_waitcnt lgkmcnt(0)
	s_barrier
	buffer_gl0_inv
	ds_load_2addr_b64 v[208:211], v251 offset1:1
	s_mov_b32 s3, exec_lo
	s_waitcnt lgkmcnt(0)
	scratch_store_b128 off, v[208:211], off offset:1168 ; 16-byte Folded Spill
	v_cmpx_lt_u32_e32 41, v248
	s_cbranch_execz .LBB111_379
; %bb.378:
	scratch_load_b128 v[208:211], off, off offset:1168 ; 16-byte Folded Reload
	ds_load_2addr_b64 v[218:221], v214 offset0:84 offset1:85
	s_waitcnt vmcnt(0)
	v_mul_f64 v[212:213], v[208:209], v[58:59]
	v_mul_f64 v[58:59], v[210:211], v[58:59]
	s_delay_alu instid0(VALU_DEP_2) | instskip(NEXT) | instid1(VALU_DEP_2)
	v_fma_f64 v[216:217], v[210:211], v[56:57], v[212:213]
	v_fma_f64 v[56:57], v[208:209], v[56:57], -v[58:59]
	s_waitcnt lgkmcnt(0)
	s_delay_alu instid0(VALU_DEP_2) | instskip(SKIP_1) | instid1(VALU_DEP_2)
	v_mul_f64 v[58:59], v[220:221], v[216:217]
	v_mul_f64 v[212:213], v[218:219], v[216:217]
	v_fma_f64 v[58:59], v[218:219], v[56:57], -v[58:59]
	s_delay_alu instid0(VALU_DEP_2)
	v_fma_f64 v[212:213], v[220:221], v[56:57], v[212:213]
	ds_load_2addr_b64 v[218:221], v214 offset0:86 offset1:87
	v_add_f64 v[52:53], v[52:53], -v[58:59]
	v_add_f64 v[54:55], v[54:55], -v[212:213]
	s_waitcnt lgkmcnt(0)
	v_mul_f64 v[58:59], v[220:221], v[216:217]
	v_mul_f64 v[212:213], v[218:219], v[216:217]
	s_delay_alu instid0(VALU_DEP_2) | instskip(NEXT) | instid1(VALU_DEP_2)
	v_fma_f64 v[58:59], v[218:219], v[56:57], -v[58:59]
	v_fma_f64 v[212:213], v[220:221], v[56:57], v[212:213]
	ds_load_2addr_b64 v[218:221], v214 offset0:88 offset1:89
	v_add_f64 v[48:49], v[48:49], -v[58:59]
	v_add_f64 v[50:51], v[50:51], -v[212:213]
	s_waitcnt lgkmcnt(0)
	v_mul_f64 v[58:59], v[220:221], v[216:217]
	v_mul_f64 v[212:213], v[218:219], v[216:217]
	s_delay_alu instid0(VALU_DEP_2) | instskip(NEXT) | instid1(VALU_DEP_2)
	v_fma_f64 v[58:59], v[218:219], v[56:57], -v[58:59]
	;; [unrolled: 9-line block ×13, first 2 shown]
	v_fma_f64 v[212:213], v[220:221], v[56:57], v[212:213]
	s_delay_alu instid0(VALU_DEP_2) | instskip(NEXT) | instid1(VALU_DEP_2)
	v_add_f64 v[0:1], v[0:1], -v[58:59]
	v_add_f64 v[2:3], v[2:3], -v[212:213]
	v_dual_mov_b32 v58, v216 :: v_dual_mov_b32 v59, v217
.LBB111_379:
	s_or_b32 exec_lo, exec_lo, s3
	s_delay_alu instid0(SALU_CYCLE_1)
	s_mov_b32 s4, exec_lo
	s_waitcnt_vscnt null, 0x0
	s_barrier
	buffer_gl0_inv
	v_cmpx_eq_u32_e32 42, v248
	s_cbranch_execz .LBB111_386
; %bb.380:
	ds_store_2addr_b64 v251, v[52:53], v[54:55] offset1:1
	ds_store_2addr_b64 v214, v[48:49], v[50:51] offset0:86 offset1:87
	ds_store_2addr_b64 v214, v[44:45], v[46:47] offset0:88 offset1:89
	;; [unrolled: 1-line block ×13, first 2 shown]
	ds_load_2addr_b64 v[216:219], v251 offset1:1
	s_waitcnt lgkmcnt(0)
	v_cmp_neq_f64_e32 vcc_lo, 0, v[216:217]
	v_cmp_neq_f64_e64 s3, 0, v[218:219]
	s_delay_alu instid0(VALU_DEP_1) | instskip(NEXT) | instid1(SALU_CYCLE_1)
	s_or_b32 s3, vcc_lo, s3
	s_and_b32 exec_lo, exec_lo, s3
	s_cbranch_execz .LBB111_386
; %bb.381:
	v_cmp_gt_f64_e32 vcc_lo, 0, v[216:217]
	v_xor_b32_e32 v208, 0x80000000, v217
	s_delay_alu instid0(VALU_DEP_1) | instskip(SKIP_3) | instid1(VALU_DEP_1)
	v_cndmask_b32_e32 v213, v217, v208, vcc_lo
	v_cndmask_b32_e32 v212, v216, v216, vcc_lo
	v_cmp_gt_f64_e32 vcc_lo, 0, v[218:219]
	v_xor_b32_e32 v208, 0x80000000, v219
	v_dual_cndmask_b32 v220, v218, v218 :: v_dual_cndmask_b32 v221, v219, v208
	s_delay_alu instid0(VALU_DEP_1) | instskip(SKIP_1) | instid1(SALU_CYCLE_1)
	v_cmp_ngt_f64_e32 vcc_lo, v[212:213], v[220:221]
                                        ; implicit-def: $vgpr212_vgpr213
	s_and_saveexec_b32 s3, vcc_lo
	s_xor_b32 s3, exec_lo, s3
                                        ; implicit-def: $vgpr220_vgpr221_vgpr222_vgpr223
	s_cbranch_execz .LBB111_383
; %bb.382:
	v_div_scale_f64 v[212:213], null, v[218:219], v[218:219], v[216:217]
	v_div_scale_f64 v[224:225], vcc_lo, v[216:217], v[218:219], v[216:217]
	s_delay_alu instid0(VALU_DEP_2) | instskip(SKIP_2) | instid1(VALU_DEP_1)
	v_rcp_f64_e32 v[220:221], v[212:213]
	s_waitcnt_depctr 0xfff
	v_fma_f64 v[222:223], -v[212:213], v[220:221], 1.0
	v_fma_f64 v[220:221], v[220:221], v[222:223], v[220:221]
	s_delay_alu instid0(VALU_DEP_1) | instskip(NEXT) | instid1(VALU_DEP_1)
	v_fma_f64 v[222:223], -v[212:213], v[220:221], 1.0
	v_fma_f64 v[220:221], v[220:221], v[222:223], v[220:221]
	s_delay_alu instid0(VALU_DEP_1) | instskip(NEXT) | instid1(VALU_DEP_1)
	v_mul_f64 v[222:223], v[224:225], v[220:221]
	v_fma_f64 v[212:213], -v[212:213], v[222:223], v[224:225]
	s_delay_alu instid0(VALU_DEP_1) | instskip(NEXT) | instid1(VALU_DEP_1)
	v_div_fmas_f64 v[212:213], v[212:213], v[220:221], v[222:223]
	v_div_fixup_f64 v[212:213], v[212:213], v[218:219], v[216:217]
	s_delay_alu instid0(VALU_DEP_1) | instskip(NEXT) | instid1(VALU_DEP_1)
	v_fma_f64 v[216:217], v[216:217], v[212:213], v[218:219]
	v_div_scale_f64 v[218:219], null, v[216:217], v[216:217], 1.0
	s_delay_alu instid0(VALU_DEP_1) | instskip(SKIP_2) | instid1(VALU_DEP_1)
	v_rcp_f64_e32 v[220:221], v[218:219]
	s_waitcnt_depctr 0xfff
	v_fma_f64 v[222:223], -v[218:219], v[220:221], 1.0
	v_fma_f64 v[220:221], v[220:221], v[222:223], v[220:221]
	s_delay_alu instid0(VALU_DEP_1) | instskip(NEXT) | instid1(VALU_DEP_1)
	v_fma_f64 v[222:223], -v[218:219], v[220:221], 1.0
	v_fma_f64 v[220:221], v[220:221], v[222:223], v[220:221]
	v_div_scale_f64 v[222:223], vcc_lo, 1.0, v[216:217], 1.0
	s_delay_alu instid0(VALU_DEP_1) | instskip(NEXT) | instid1(VALU_DEP_1)
	v_mul_f64 v[224:225], v[222:223], v[220:221]
	v_fma_f64 v[218:219], -v[218:219], v[224:225], v[222:223]
	s_delay_alu instid0(VALU_DEP_1) | instskip(NEXT) | instid1(VALU_DEP_1)
	v_div_fmas_f64 v[218:219], v[218:219], v[220:221], v[224:225]
	v_div_fixup_f64 v[222:223], v[218:219], v[216:217], 1.0
                                        ; implicit-def: $vgpr216_vgpr217
	s_delay_alu instid0(VALU_DEP_1)
	v_mul_f64 v[212:213], v[212:213], v[222:223]
	v_xor_b32_e32 v223, 0x80000000, v223
.LBB111_383:
	s_and_not1_saveexec_b32 s3, s3
	s_cbranch_execz .LBB111_385
; %bb.384:
	v_div_scale_f64 v[212:213], null, v[216:217], v[216:217], v[218:219]
	v_div_scale_f64 v[224:225], vcc_lo, v[218:219], v[216:217], v[218:219]
	s_delay_alu instid0(VALU_DEP_2) | instskip(SKIP_2) | instid1(VALU_DEP_1)
	v_rcp_f64_e32 v[220:221], v[212:213]
	s_waitcnt_depctr 0xfff
	v_fma_f64 v[222:223], -v[212:213], v[220:221], 1.0
	v_fma_f64 v[220:221], v[220:221], v[222:223], v[220:221]
	s_delay_alu instid0(VALU_DEP_1) | instskip(NEXT) | instid1(VALU_DEP_1)
	v_fma_f64 v[222:223], -v[212:213], v[220:221], 1.0
	v_fma_f64 v[220:221], v[220:221], v[222:223], v[220:221]
	s_delay_alu instid0(VALU_DEP_1) | instskip(NEXT) | instid1(VALU_DEP_1)
	v_mul_f64 v[222:223], v[224:225], v[220:221]
	v_fma_f64 v[212:213], -v[212:213], v[222:223], v[224:225]
	s_delay_alu instid0(VALU_DEP_1) | instskip(NEXT) | instid1(VALU_DEP_1)
	v_div_fmas_f64 v[212:213], v[212:213], v[220:221], v[222:223]
	v_div_fixup_f64 v[220:221], v[212:213], v[216:217], v[218:219]
	s_delay_alu instid0(VALU_DEP_1) | instskip(NEXT) | instid1(VALU_DEP_1)
	v_fma_f64 v[212:213], v[218:219], v[220:221], v[216:217]
	v_div_scale_f64 v[216:217], null, v[212:213], v[212:213], 1.0
	s_delay_alu instid0(VALU_DEP_1) | instskip(SKIP_2) | instid1(VALU_DEP_1)
	v_rcp_f64_e32 v[218:219], v[216:217]
	s_waitcnt_depctr 0xfff
	v_fma_f64 v[222:223], -v[216:217], v[218:219], 1.0
	v_fma_f64 v[218:219], v[218:219], v[222:223], v[218:219]
	s_delay_alu instid0(VALU_DEP_1) | instskip(NEXT) | instid1(VALU_DEP_1)
	v_fma_f64 v[222:223], -v[216:217], v[218:219], 1.0
	v_fma_f64 v[218:219], v[218:219], v[222:223], v[218:219]
	v_div_scale_f64 v[222:223], vcc_lo, 1.0, v[212:213], 1.0
	s_delay_alu instid0(VALU_DEP_1) | instskip(NEXT) | instid1(VALU_DEP_1)
	v_mul_f64 v[224:225], v[222:223], v[218:219]
	v_fma_f64 v[216:217], -v[216:217], v[224:225], v[222:223]
	s_delay_alu instid0(VALU_DEP_1) | instskip(NEXT) | instid1(VALU_DEP_1)
	v_div_fmas_f64 v[216:217], v[216:217], v[218:219], v[224:225]
	v_div_fixup_f64 v[212:213], v[216:217], v[212:213], 1.0
	s_delay_alu instid0(VALU_DEP_1)
	v_mul_f64 v[222:223], v[220:221], -v[212:213]
.LBB111_385:
	s_or_b32 exec_lo, exec_lo, s3
	ds_store_2addr_b64 v251, v[212:213], v[222:223] offset1:1
.LBB111_386:
	s_or_b32 exec_lo, exec_lo, s4
	s_waitcnt lgkmcnt(0)
	s_barrier
	buffer_gl0_inv
	ds_load_2addr_b64 v[208:211], v251 offset1:1
	s_mov_b32 s3, exec_lo
	s_waitcnt lgkmcnt(0)
	scratch_store_b128 off, v[208:211], off offset:1184 ; 16-byte Folded Spill
	v_cmpx_lt_u32_e32 42, v248
	s_cbranch_execz .LBB111_388
; %bb.387:
	scratch_load_b128 v[208:211], off, off offset:1184 ; 16-byte Folded Reload
	ds_load_2addr_b64 v[218:221], v214 offset0:86 offset1:87
	s_waitcnt vmcnt(0)
	v_mul_f64 v[212:213], v[208:209], v[54:55]
	v_mul_f64 v[54:55], v[210:211], v[54:55]
	s_delay_alu instid0(VALU_DEP_2) | instskip(NEXT) | instid1(VALU_DEP_2)
	v_fma_f64 v[216:217], v[210:211], v[52:53], v[212:213]
	v_fma_f64 v[52:53], v[208:209], v[52:53], -v[54:55]
	s_waitcnt lgkmcnt(0)
	s_delay_alu instid0(VALU_DEP_2) | instskip(SKIP_1) | instid1(VALU_DEP_2)
	v_mul_f64 v[54:55], v[220:221], v[216:217]
	v_mul_f64 v[212:213], v[218:219], v[216:217]
	v_fma_f64 v[54:55], v[218:219], v[52:53], -v[54:55]
	s_delay_alu instid0(VALU_DEP_2)
	v_fma_f64 v[212:213], v[220:221], v[52:53], v[212:213]
	ds_load_2addr_b64 v[218:221], v214 offset0:88 offset1:89
	v_add_f64 v[48:49], v[48:49], -v[54:55]
	v_add_f64 v[50:51], v[50:51], -v[212:213]
	s_waitcnt lgkmcnt(0)
	v_mul_f64 v[54:55], v[220:221], v[216:217]
	v_mul_f64 v[212:213], v[218:219], v[216:217]
	s_delay_alu instid0(VALU_DEP_2) | instskip(NEXT) | instid1(VALU_DEP_2)
	v_fma_f64 v[54:55], v[218:219], v[52:53], -v[54:55]
	v_fma_f64 v[212:213], v[220:221], v[52:53], v[212:213]
	ds_load_2addr_b64 v[218:221], v214 offset0:90 offset1:91
	v_add_f64 v[44:45], v[44:45], -v[54:55]
	v_add_f64 v[46:47], v[46:47], -v[212:213]
	s_waitcnt lgkmcnt(0)
	v_mul_f64 v[54:55], v[220:221], v[216:217]
	v_mul_f64 v[212:213], v[218:219], v[216:217]
	s_delay_alu instid0(VALU_DEP_2) | instskip(NEXT) | instid1(VALU_DEP_2)
	v_fma_f64 v[54:55], v[218:219], v[52:53], -v[54:55]
	;; [unrolled: 9-line block ×12, first 2 shown]
	v_fma_f64 v[212:213], v[220:221], v[52:53], v[212:213]
	s_delay_alu instid0(VALU_DEP_2) | instskip(NEXT) | instid1(VALU_DEP_2)
	v_add_f64 v[0:1], v[0:1], -v[54:55]
	v_add_f64 v[2:3], v[2:3], -v[212:213]
	v_dual_mov_b32 v54, v216 :: v_dual_mov_b32 v55, v217
.LBB111_388:
	s_or_b32 exec_lo, exec_lo, s3
	s_delay_alu instid0(SALU_CYCLE_1)
	s_mov_b32 s4, exec_lo
	s_waitcnt_vscnt null, 0x0
	s_barrier
	buffer_gl0_inv
	v_cmpx_eq_u32_e32 43, v248
	s_cbranch_execz .LBB111_395
; %bb.389:
	ds_store_2addr_b64 v251, v[48:49], v[50:51] offset1:1
	ds_store_2addr_b64 v214, v[44:45], v[46:47] offset0:88 offset1:89
	ds_store_2addr_b64 v214, v[40:41], v[42:43] offset0:90 offset1:91
	;; [unrolled: 1-line block ×12, first 2 shown]
	ds_load_2addr_b64 v[216:219], v251 offset1:1
	s_waitcnt lgkmcnt(0)
	v_cmp_neq_f64_e32 vcc_lo, 0, v[216:217]
	v_cmp_neq_f64_e64 s3, 0, v[218:219]
	s_delay_alu instid0(VALU_DEP_1) | instskip(NEXT) | instid1(SALU_CYCLE_1)
	s_or_b32 s3, vcc_lo, s3
	s_and_b32 exec_lo, exec_lo, s3
	s_cbranch_execz .LBB111_395
; %bb.390:
	v_cmp_gt_f64_e32 vcc_lo, 0, v[216:217]
	v_xor_b32_e32 v208, 0x80000000, v217
	s_delay_alu instid0(VALU_DEP_1) | instskip(SKIP_3) | instid1(VALU_DEP_1)
	v_cndmask_b32_e32 v213, v217, v208, vcc_lo
	v_cndmask_b32_e32 v212, v216, v216, vcc_lo
	v_cmp_gt_f64_e32 vcc_lo, 0, v[218:219]
	v_xor_b32_e32 v208, 0x80000000, v219
	v_dual_cndmask_b32 v220, v218, v218 :: v_dual_cndmask_b32 v221, v219, v208
	s_delay_alu instid0(VALU_DEP_1) | instskip(SKIP_1) | instid1(SALU_CYCLE_1)
	v_cmp_ngt_f64_e32 vcc_lo, v[212:213], v[220:221]
                                        ; implicit-def: $vgpr212_vgpr213
	s_and_saveexec_b32 s3, vcc_lo
	s_xor_b32 s3, exec_lo, s3
                                        ; implicit-def: $vgpr220_vgpr221_vgpr222_vgpr223
	s_cbranch_execz .LBB111_392
; %bb.391:
	v_div_scale_f64 v[212:213], null, v[218:219], v[218:219], v[216:217]
	v_div_scale_f64 v[224:225], vcc_lo, v[216:217], v[218:219], v[216:217]
	s_delay_alu instid0(VALU_DEP_2) | instskip(SKIP_2) | instid1(VALU_DEP_1)
	v_rcp_f64_e32 v[220:221], v[212:213]
	s_waitcnt_depctr 0xfff
	v_fma_f64 v[222:223], -v[212:213], v[220:221], 1.0
	v_fma_f64 v[220:221], v[220:221], v[222:223], v[220:221]
	s_delay_alu instid0(VALU_DEP_1) | instskip(NEXT) | instid1(VALU_DEP_1)
	v_fma_f64 v[222:223], -v[212:213], v[220:221], 1.0
	v_fma_f64 v[220:221], v[220:221], v[222:223], v[220:221]
	s_delay_alu instid0(VALU_DEP_1) | instskip(NEXT) | instid1(VALU_DEP_1)
	v_mul_f64 v[222:223], v[224:225], v[220:221]
	v_fma_f64 v[212:213], -v[212:213], v[222:223], v[224:225]
	s_delay_alu instid0(VALU_DEP_1) | instskip(NEXT) | instid1(VALU_DEP_1)
	v_div_fmas_f64 v[212:213], v[212:213], v[220:221], v[222:223]
	v_div_fixup_f64 v[212:213], v[212:213], v[218:219], v[216:217]
	s_delay_alu instid0(VALU_DEP_1) | instskip(NEXT) | instid1(VALU_DEP_1)
	v_fma_f64 v[216:217], v[216:217], v[212:213], v[218:219]
	v_div_scale_f64 v[218:219], null, v[216:217], v[216:217], 1.0
	s_delay_alu instid0(VALU_DEP_1) | instskip(SKIP_2) | instid1(VALU_DEP_1)
	v_rcp_f64_e32 v[220:221], v[218:219]
	s_waitcnt_depctr 0xfff
	v_fma_f64 v[222:223], -v[218:219], v[220:221], 1.0
	v_fma_f64 v[220:221], v[220:221], v[222:223], v[220:221]
	s_delay_alu instid0(VALU_DEP_1) | instskip(NEXT) | instid1(VALU_DEP_1)
	v_fma_f64 v[222:223], -v[218:219], v[220:221], 1.0
	v_fma_f64 v[220:221], v[220:221], v[222:223], v[220:221]
	v_div_scale_f64 v[222:223], vcc_lo, 1.0, v[216:217], 1.0
	s_delay_alu instid0(VALU_DEP_1) | instskip(NEXT) | instid1(VALU_DEP_1)
	v_mul_f64 v[224:225], v[222:223], v[220:221]
	v_fma_f64 v[218:219], -v[218:219], v[224:225], v[222:223]
	s_delay_alu instid0(VALU_DEP_1) | instskip(NEXT) | instid1(VALU_DEP_1)
	v_div_fmas_f64 v[218:219], v[218:219], v[220:221], v[224:225]
	v_div_fixup_f64 v[222:223], v[218:219], v[216:217], 1.0
                                        ; implicit-def: $vgpr216_vgpr217
	s_delay_alu instid0(VALU_DEP_1)
	v_mul_f64 v[212:213], v[212:213], v[222:223]
	v_xor_b32_e32 v223, 0x80000000, v223
.LBB111_392:
	s_and_not1_saveexec_b32 s3, s3
	s_cbranch_execz .LBB111_394
; %bb.393:
	v_div_scale_f64 v[212:213], null, v[216:217], v[216:217], v[218:219]
	v_div_scale_f64 v[224:225], vcc_lo, v[218:219], v[216:217], v[218:219]
	s_delay_alu instid0(VALU_DEP_2) | instskip(SKIP_2) | instid1(VALU_DEP_1)
	v_rcp_f64_e32 v[220:221], v[212:213]
	s_waitcnt_depctr 0xfff
	v_fma_f64 v[222:223], -v[212:213], v[220:221], 1.0
	v_fma_f64 v[220:221], v[220:221], v[222:223], v[220:221]
	s_delay_alu instid0(VALU_DEP_1) | instskip(NEXT) | instid1(VALU_DEP_1)
	v_fma_f64 v[222:223], -v[212:213], v[220:221], 1.0
	v_fma_f64 v[220:221], v[220:221], v[222:223], v[220:221]
	s_delay_alu instid0(VALU_DEP_1) | instskip(NEXT) | instid1(VALU_DEP_1)
	v_mul_f64 v[222:223], v[224:225], v[220:221]
	v_fma_f64 v[212:213], -v[212:213], v[222:223], v[224:225]
	s_delay_alu instid0(VALU_DEP_1) | instskip(NEXT) | instid1(VALU_DEP_1)
	v_div_fmas_f64 v[212:213], v[212:213], v[220:221], v[222:223]
	v_div_fixup_f64 v[220:221], v[212:213], v[216:217], v[218:219]
	s_delay_alu instid0(VALU_DEP_1) | instskip(NEXT) | instid1(VALU_DEP_1)
	v_fma_f64 v[212:213], v[218:219], v[220:221], v[216:217]
	v_div_scale_f64 v[216:217], null, v[212:213], v[212:213], 1.0
	s_delay_alu instid0(VALU_DEP_1) | instskip(SKIP_2) | instid1(VALU_DEP_1)
	v_rcp_f64_e32 v[218:219], v[216:217]
	s_waitcnt_depctr 0xfff
	v_fma_f64 v[222:223], -v[216:217], v[218:219], 1.0
	v_fma_f64 v[218:219], v[218:219], v[222:223], v[218:219]
	s_delay_alu instid0(VALU_DEP_1) | instskip(NEXT) | instid1(VALU_DEP_1)
	v_fma_f64 v[222:223], -v[216:217], v[218:219], 1.0
	v_fma_f64 v[218:219], v[218:219], v[222:223], v[218:219]
	v_div_scale_f64 v[222:223], vcc_lo, 1.0, v[212:213], 1.0
	s_delay_alu instid0(VALU_DEP_1) | instskip(NEXT) | instid1(VALU_DEP_1)
	v_mul_f64 v[224:225], v[222:223], v[218:219]
	v_fma_f64 v[216:217], -v[216:217], v[224:225], v[222:223]
	s_delay_alu instid0(VALU_DEP_1) | instskip(NEXT) | instid1(VALU_DEP_1)
	v_div_fmas_f64 v[216:217], v[216:217], v[218:219], v[224:225]
	v_div_fixup_f64 v[212:213], v[216:217], v[212:213], 1.0
	s_delay_alu instid0(VALU_DEP_1)
	v_mul_f64 v[222:223], v[220:221], -v[212:213]
.LBB111_394:
	s_or_b32 exec_lo, exec_lo, s3
	ds_store_2addr_b64 v251, v[212:213], v[222:223] offset1:1
.LBB111_395:
	s_or_b32 exec_lo, exec_lo, s4
	s_waitcnt lgkmcnt(0)
	s_barrier
	buffer_gl0_inv
	ds_load_2addr_b64 v[208:211], v251 offset1:1
	s_mov_b32 s3, exec_lo
	s_waitcnt lgkmcnt(0)
	scratch_store_b128 off, v[208:211], off offset:1200 ; 16-byte Folded Spill
	v_cmpx_lt_u32_e32 43, v248
	s_cbranch_execz .LBB111_397
; %bb.396:
	scratch_load_b128 v[208:211], off, off offset:1200 ; 16-byte Folded Reload
	ds_load_2addr_b64 v[218:221], v214 offset0:88 offset1:89
	s_waitcnt vmcnt(0)
	v_mul_f64 v[212:213], v[208:209], v[50:51]
	v_mul_f64 v[50:51], v[210:211], v[50:51]
	s_delay_alu instid0(VALU_DEP_2) | instskip(NEXT) | instid1(VALU_DEP_2)
	v_fma_f64 v[216:217], v[210:211], v[48:49], v[212:213]
	v_fma_f64 v[48:49], v[208:209], v[48:49], -v[50:51]
	s_waitcnt lgkmcnt(0)
	s_delay_alu instid0(VALU_DEP_2) | instskip(SKIP_1) | instid1(VALU_DEP_2)
	v_mul_f64 v[50:51], v[220:221], v[216:217]
	v_mul_f64 v[212:213], v[218:219], v[216:217]
	v_fma_f64 v[50:51], v[218:219], v[48:49], -v[50:51]
	s_delay_alu instid0(VALU_DEP_2)
	v_fma_f64 v[212:213], v[220:221], v[48:49], v[212:213]
	ds_load_2addr_b64 v[218:221], v214 offset0:90 offset1:91
	v_add_f64 v[44:45], v[44:45], -v[50:51]
	v_add_f64 v[46:47], v[46:47], -v[212:213]
	s_waitcnt lgkmcnt(0)
	v_mul_f64 v[50:51], v[220:221], v[216:217]
	v_mul_f64 v[212:213], v[218:219], v[216:217]
	s_delay_alu instid0(VALU_DEP_2) | instskip(NEXT) | instid1(VALU_DEP_2)
	v_fma_f64 v[50:51], v[218:219], v[48:49], -v[50:51]
	v_fma_f64 v[212:213], v[220:221], v[48:49], v[212:213]
	ds_load_2addr_b64 v[218:221], v214 offset0:92 offset1:93
	v_add_f64 v[40:41], v[40:41], -v[50:51]
	v_add_f64 v[42:43], v[42:43], -v[212:213]
	s_waitcnt lgkmcnt(0)
	v_mul_f64 v[50:51], v[220:221], v[216:217]
	v_mul_f64 v[212:213], v[218:219], v[216:217]
	s_delay_alu instid0(VALU_DEP_2) | instskip(NEXT) | instid1(VALU_DEP_2)
	v_fma_f64 v[50:51], v[218:219], v[48:49], -v[50:51]
	;; [unrolled: 9-line block ×11, first 2 shown]
	v_fma_f64 v[212:213], v[220:221], v[48:49], v[212:213]
	s_delay_alu instid0(VALU_DEP_2) | instskip(NEXT) | instid1(VALU_DEP_2)
	v_add_f64 v[0:1], v[0:1], -v[50:51]
	v_add_f64 v[2:3], v[2:3], -v[212:213]
	v_dual_mov_b32 v50, v216 :: v_dual_mov_b32 v51, v217
.LBB111_397:
	s_or_b32 exec_lo, exec_lo, s3
	s_delay_alu instid0(SALU_CYCLE_1)
	s_mov_b32 s4, exec_lo
	s_waitcnt_vscnt null, 0x0
	s_barrier
	buffer_gl0_inv
	v_cmpx_eq_u32_e32 44, v248
	s_cbranch_execz .LBB111_404
; %bb.398:
	ds_store_2addr_b64 v251, v[44:45], v[46:47] offset1:1
	ds_store_2addr_b64 v214, v[40:41], v[42:43] offset0:90 offset1:91
	ds_store_2addr_b64 v214, v[36:37], v[38:39] offset0:92 offset1:93
	;; [unrolled: 1-line block ×11, first 2 shown]
	ds_load_2addr_b64 v[216:219], v251 offset1:1
	s_waitcnt lgkmcnt(0)
	v_cmp_neq_f64_e32 vcc_lo, 0, v[216:217]
	v_cmp_neq_f64_e64 s3, 0, v[218:219]
	s_delay_alu instid0(VALU_DEP_1) | instskip(NEXT) | instid1(SALU_CYCLE_1)
	s_or_b32 s3, vcc_lo, s3
	s_and_b32 exec_lo, exec_lo, s3
	s_cbranch_execz .LBB111_404
; %bb.399:
	v_cmp_gt_f64_e32 vcc_lo, 0, v[216:217]
	v_xor_b32_e32 v208, 0x80000000, v217
	s_delay_alu instid0(VALU_DEP_1) | instskip(SKIP_3) | instid1(VALU_DEP_1)
	v_cndmask_b32_e32 v213, v217, v208, vcc_lo
	v_cndmask_b32_e32 v212, v216, v216, vcc_lo
	v_cmp_gt_f64_e32 vcc_lo, 0, v[218:219]
	v_xor_b32_e32 v208, 0x80000000, v219
	v_dual_cndmask_b32 v220, v218, v218 :: v_dual_cndmask_b32 v221, v219, v208
	s_delay_alu instid0(VALU_DEP_1) | instskip(SKIP_1) | instid1(SALU_CYCLE_1)
	v_cmp_ngt_f64_e32 vcc_lo, v[212:213], v[220:221]
                                        ; implicit-def: $vgpr212_vgpr213
	s_and_saveexec_b32 s3, vcc_lo
	s_xor_b32 s3, exec_lo, s3
                                        ; implicit-def: $vgpr220_vgpr221_vgpr222_vgpr223
	s_cbranch_execz .LBB111_401
; %bb.400:
	v_div_scale_f64 v[212:213], null, v[218:219], v[218:219], v[216:217]
	v_div_scale_f64 v[224:225], vcc_lo, v[216:217], v[218:219], v[216:217]
	s_delay_alu instid0(VALU_DEP_2) | instskip(SKIP_2) | instid1(VALU_DEP_1)
	v_rcp_f64_e32 v[220:221], v[212:213]
	s_waitcnt_depctr 0xfff
	v_fma_f64 v[222:223], -v[212:213], v[220:221], 1.0
	v_fma_f64 v[220:221], v[220:221], v[222:223], v[220:221]
	s_delay_alu instid0(VALU_DEP_1) | instskip(NEXT) | instid1(VALU_DEP_1)
	v_fma_f64 v[222:223], -v[212:213], v[220:221], 1.0
	v_fma_f64 v[220:221], v[220:221], v[222:223], v[220:221]
	s_delay_alu instid0(VALU_DEP_1) | instskip(NEXT) | instid1(VALU_DEP_1)
	v_mul_f64 v[222:223], v[224:225], v[220:221]
	v_fma_f64 v[212:213], -v[212:213], v[222:223], v[224:225]
	s_delay_alu instid0(VALU_DEP_1) | instskip(NEXT) | instid1(VALU_DEP_1)
	v_div_fmas_f64 v[212:213], v[212:213], v[220:221], v[222:223]
	v_div_fixup_f64 v[212:213], v[212:213], v[218:219], v[216:217]
	s_delay_alu instid0(VALU_DEP_1) | instskip(NEXT) | instid1(VALU_DEP_1)
	v_fma_f64 v[216:217], v[216:217], v[212:213], v[218:219]
	v_div_scale_f64 v[218:219], null, v[216:217], v[216:217], 1.0
	s_delay_alu instid0(VALU_DEP_1) | instskip(SKIP_2) | instid1(VALU_DEP_1)
	v_rcp_f64_e32 v[220:221], v[218:219]
	s_waitcnt_depctr 0xfff
	v_fma_f64 v[222:223], -v[218:219], v[220:221], 1.0
	v_fma_f64 v[220:221], v[220:221], v[222:223], v[220:221]
	s_delay_alu instid0(VALU_DEP_1) | instskip(NEXT) | instid1(VALU_DEP_1)
	v_fma_f64 v[222:223], -v[218:219], v[220:221], 1.0
	v_fma_f64 v[220:221], v[220:221], v[222:223], v[220:221]
	v_div_scale_f64 v[222:223], vcc_lo, 1.0, v[216:217], 1.0
	s_delay_alu instid0(VALU_DEP_1) | instskip(NEXT) | instid1(VALU_DEP_1)
	v_mul_f64 v[224:225], v[222:223], v[220:221]
	v_fma_f64 v[218:219], -v[218:219], v[224:225], v[222:223]
	s_delay_alu instid0(VALU_DEP_1) | instskip(NEXT) | instid1(VALU_DEP_1)
	v_div_fmas_f64 v[218:219], v[218:219], v[220:221], v[224:225]
	v_div_fixup_f64 v[222:223], v[218:219], v[216:217], 1.0
                                        ; implicit-def: $vgpr216_vgpr217
	s_delay_alu instid0(VALU_DEP_1)
	v_mul_f64 v[212:213], v[212:213], v[222:223]
	v_xor_b32_e32 v223, 0x80000000, v223
.LBB111_401:
	s_and_not1_saveexec_b32 s3, s3
	s_cbranch_execz .LBB111_403
; %bb.402:
	v_div_scale_f64 v[212:213], null, v[216:217], v[216:217], v[218:219]
	v_div_scale_f64 v[224:225], vcc_lo, v[218:219], v[216:217], v[218:219]
	s_delay_alu instid0(VALU_DEP_2) | instskip(SKIP_2) | instid1(VALU_DEP_1)
	v_rcp_f64_e32 v[220:221], v[212:213]
	s_waitcnt_depctr 0xfff
	v_fma_f64 v[222:223], -v[212:213], v[220:221], 1.0
	v_fma_f64 v[220:221], v[220:221], v[222:223], v[220:221]
	s_delay_alu instid0(VALU_DEP_1) | instskip(NEXT) | instid1(VALU_DEP_1)
	v_fma_f64 v[222:223], -v[212:213], v[220:221], 1.0
	v_fma_f64 v[220:221], v[220:221], v[222:223], v[220:221]
	s_delay_alu instid0(VALU_DEP_1) | instskip(NEXT) | instid1(VALU_DEP_1)
	v_mul_f64 v[222:223], v[224:225], v[220:221]
	v_fma_f64 v[212:213], -v[212:213], v[222:223], v[224:225]
	s_delay_alu instid0(VALU_DEP_1) | instskip(NEXT) | instid1(VALU_DEP_1)
	v_div_fmas_f64 v[212:213], v[212:213], v[220:221], v[222:223]
	v_div_fixup_f64 v[220:221], v[212:213], v[216:217], v[218:219]
	s_delay_alu instid0(VALU_DEP_1) | instskip(NEXT) | instid1(VALU_DEP_1)
	v_fma_f64 v[212:213], v[218:219], v[220:221], v[216:217]
	v_div_scale_f64 v[216:217], null, v[212:213], v[212:213], 1.0
	s_delay_alu instid0(VALU_DEP_1) | instskip(SKIP_2) | instid1(VALU_DEP_1)
	v_rcp_f64_e32 v[218:219], v[216:217]
	s_waitcnt_depctr 0xfff
	v_fma_f64 v[222:223], -v[216:217], v[218:219], 1.0
	v_fma_f64 v[218:219], v[218:219], v[222:223], v[218:219]
	s_delay_alu instid0(VALU_DEP_1) | instskip(NEXT) | instid1(VALU_DEP_1)
	v_fma_f64 v[222:223], -v[216:217], v[218:219], 1.0
	v_fma_f64 v[218:219], v[218:219], v[222:223], v[218:219]
	v_div_scale_f64 v[222:223], vcc_lo, 1.0, v[212:213], 1.0
	s_delay_alu instid0(VALU_DEP_1) | instskip(NEXT) | instid1(VALU_DEP_1)
	v_mul_f64 v[224:225], v[222:223], v[218:219]
	v_fma_f64 v[216:217], -v[216:217], v[224:225], v[222:223]
	s_delay_alu instid0(VALU_DEP_1) | instskip(NEXT) | instid1(VALU_DEP_1)
	v_div_fmas_f64 v[216:217], v[216:217], v[218:219], v[224:225]
	v_div_fixup_f64 v[212:213], v[216:217], v[212:213], 1.0
	s_delay_alu instid0(VALU_DEP_1)
	v_mul_f64 v[222:223], v[220:221], -v[212:213]
.LBB111_403:
	s_or_b32 exec_lo, exec_lo, s3
	ds_store_2addr_b64 v251, v[212:213], v[222:223] offset1:1
.LBB111_404:
	s_or_b32 exec_lo, exec_lo, s4
	s_waitcnt lgkmcnt(0)
	s_barrier
	buffer_gl0_inv
	ds_load_2addr_b64 v[208:211], v251 offset1:1
	s_mov_b32 s3, exec_lo
	s_waitcnt lgkmcnt(0)
	scratch_store_b128 off, v[208:211], off offset:1216 ; 16-byte Folded Spill
	v_cmpx_lt_u32_e32 44, v248
	s_cbranch_execz .LBB111_406
; %bb.405:
	scratch_load_b128 v[208:211], off, off offset:1216 ; 16-byte Folded Reload
	ds_load_2addr_b64 v[218:221], v214 offset0:90 offset1:91
	s_waitcnt vmcnt(0)
	v_mul_f64 v[212:213], v[208:209], v[46:47]
	v_mul_f64 v[46:47], v[210:211], v[46:47]
	s_delay_alu instid0(VALU_DEP_2) | instskip(NEXT) | instid1(VALU_DEP_2)
	v_fma_f64 v[216:217], v[210:211], v[44:45], v[212:213]
	v_fma_f64 v[44:45], v[208:209], v[44:45], -v[46:47]
	s_waitcnt lgkmcnt(0)
	s_delay_alu instid0(VALU_DEP_2) | instskip(SKIP_1) | instid1(VALU_DEP_2)
	v_mul_f64 v[46:47], v[220:221], v[216:217]
	v_mul_f64 v[212:213], v[218:219], v[216:217]
	v_fma_f64 v[46:47], v[218:219], v[44:45], -v[46:47]
	s_delay_alu instid0(VALU_DEP_2)
	v_fma_f64 v[212:213], v[220:221], v[44:45], v[212:213]
	ds_load_2addr_b64 v[218:221], v214 offset0:92 offset1:93
	v_add_f64 v[40:41], v[40:41], -v[46:47]
	v_add_f64 v[42:43], v[42:43], -v[212:213]
	s_waitcnt lgkmcnt(0)
	v_mul_f64 v[46:47], v[220:221], v[216:217]
	v_mul_f64 v[212:213], v[218:219], v[216:217]
	s_delay_alu instid0(VALU_DEP_2) | instskip(NEXT) | instid1(VALU_DEP_2)
	v_fma_f64 v[46:47], v[218:219], v[44:45], -v[46:47]
	v_fma_f64 v[212:213], v[220:221], v[44:45], v[212:213]
	ds_load_2addr_b64 v[218:221], v214 offset0:94 offset1:95
	v_add_f64 v[36:37], v[36:37], -v[46:47]
	v_add_f64 v[38:39], v[38:39], -v[212:213]
	s_waitcnt lgkmcnt(0)
	v_mul_f64 v[46:47], v[220:221], v[216:217]
	v_mul_f64 v[212:213], v[218:219], v[216:217]
	s_delay_alu instid0(VALU_DEP_2) | instskip(NEXT) | instid1(VALU_DEP_2)
	v_fma_f64 v[46:47], v[218:219], v[44:45], -v[46:47]
	;; [unrolled: 9-line block ×10, first 2 shown]
	v_fma_f64 v[212:213], v[220:221], v[44:45], v[212:213]
	s_delay_alu instid0(VALU_DEP_2) | instskip(NEXT) | instid1(VALU_DEP_2)
	v_add_f64 v[0:1], v[0:1], -v[46:47]
	v_add_f64 v[2:3], v[2:3], -v[212:213]
	v_dual_mov_b32 v46, v216 :: v_dual_mov_b32 v47, v217
.LBB111_406:
	s_or_b32 exec_lo, exec_lo, s3
	s_delay_alu instid0(SALU_CYCLE_1)
	s_mov_b32 s4, exec_lo
	s_waitcnt_vscnt null, 0x0
	s_barrier
	buffer_gl0_inv
	v_cmpx_eq_u32_e32 45, v248
	s_cbranch_execz .LBB111_413
; %bb.407:
	ds_store_2addr_b64 v251, v[40:41], v[42:43] offset1:1
	ds_store_2addr_b64 v214, v[36:37], v[38:39] offset0:92 offset1:93
	ds_store_2addr_b64 v214, v[32:33], v[34:35] offset0:94 offset1:95
	;; [unrolled: 1-line block ×10, first 2 shown]
	ds_load_2addr_b64 v[216:219], v251 offset1:1
	s_waitcnt lgkmcnt(0)
	v_cmp_neq_f64_e32 vcc_lo, 0, v[216:217]
	v_cmp_neq_f64_e64 s3, 0, v[218:219]
	s_delay_alu instid0(VALU_DEP_1) | instskip(NEXT) | instid1(SALU_CYCLE_1)
	s_or_b32 s3, vcc_lo, s3
	s_and_b32 exec_lo, exec_lo, s3
	s_cbranch_execz .LBB111_413
; %bb.408:
	v_cmp_gt_f64_e32 vcc_lo, 0, v[216:217]
	v_xor_b32_e32 v208, 0x80000000, v217
	s_delay_alu instid0(VALU_DEP_1) | instskip(SKIP_3) | instid1(VALU_DEP_1)
	v_cndmask_b32_e32 v213, v217, v208, vcc_lo
	v_cndmask_b32_e32 v212, v216, v216, vcc_lo
	v_cmp_gt_f64_e32 vcc_lo, 0, v[218:219]
	v_xor_b32_e32 v208, 0x80000000, v219
	v_dual_cndmask_b32 v220, v218, v218 :: v_dual_cndmask_b32 v221, v219, v208
	s_delay_alu instid0(VALU_DEP_1) | instskip(SKIP_1) | instid1(SALU_CYCLE_1)
	v_cmp_ngt_f64_e32 vcc_lo, v[212:213], v[220:221]
                                        ; implicit-def: $vgpr212_vgpr213
	s_and_saveexec_b32 s3, vcc_lo
	s_xor_b32 s3, exec_lo, s3
                                        ; implicit-def: $vgpr220_vgpr221_vgpr222_vgpr223
	s_cbranch_execz .LBB111_410
; %bb.409:
	v_div_scale_f64 v[212:213], null, v[218:219], v[218:219], v[216:217]
	v_div_scale_f64 v[224:225], vcc_lo, v[216:217], v[218:219], v[216:217]
	s_delay_alu instid0(VALU_DEP_2) | instskip(SKIP_2) | instid1(VALU_DEP_1)
	v_rcp_f64_e32 v[220:221], v[212:213]
	s_waitcnt_depctr 0xfff
	v_fma_f64 v[222:223], -v[212:213], v[220:221], 1.0
	v_fma_f64 v[220:221], v[220:221], v[222:223], v[220:221]
	s_delay_alu instid0(VALU_DEP_1) | instskip(NEXT) | instid1(VALU_DEP_1)
	v_fma_f64 v[222:223], -v[212:213], v[220:221], 1.0
	v_fma_f64 v[220:221], v[220:221], v[222:223], v[220:221]
	s_delay_alu instid0(VALU_DEP_1) | instskip(NEXT) | instid1(VALU_DEP_1)
	v_mul_f64 v[222:223], v[224:225], v[220:221]
	v_fma_f64 v[212:213], -v[212:213], v[222:223], v[224:225]
	s_delay_alu instid0(VALU_DEP_1) | instskip(NEXT) | instid1(VALU_DEP_1)
	v_div_fmas_f64 v[212:213], v[212:213], v[220:221], v[222:223]
	v_div_fixup_f64 v[212:213], v[212:213], v[218:219], v[216:217]
	s_delay_alu instid0(VALU_DEP_1) | instskip(NEXT) | instid1(VALU_DEP_1)
	v_fma_f64 v[216:217], v[216:217], v[212:213], v[218:219]
	v_div_scale_f64 v[218:219], null, v[216:217], v[216:217], 1.0
	s_delay_alu instid0(VALU_DEP_1) | instskip(SKIP_2) | instid1(VALU_DEP_1)
	v_rcp_f64_e32 v[220:221], v[218:219]
	s_waitcnt_depctr 0xfff
	v_fma_f64 v[222:223], -v[218:219], v[220:221], 1.0
	v_fma_f64 v[220:221], v[220:221], v[222:223], v[220:221]
	s_delay_alu instid0(VALU_DEP_1) | instskip(NEXT) | instid1(VALU_DEP_1)
	v_fma_f64 v[222:223], -v[218:219], v[220:221], 1.0
	v_fma_f64 v[220:221], v[220:221], v[222:223], v[220:221]
	v_div_scale_f64 v[222:223], vcc_lo, 1.0, v[216:217], 1.0
	s_delay_alu instid0(VALU_DEP_1) | instskip(NEXT) | instid1(VALU_DEP_1)
	v_mul_f64 v[224:225], v[222:223], v[220:221]
	v_fma_f64 v[218:219], -v[218:219], v[224:225], v[222:223]
	s_delay_alu instid0(VALU_DEP_1) | instskip(NEXT) | instid1(VALU_DEP_1)
	v_div_fmas_f64 v[218:219], v[218:219], v[220:221], v[224:225]
	v_div_fixup_f64 v[222:223], v[218:219], v[216:217], 1.0
                                        ; implicit-def: $vgpr216_vgpr217
	s_delay_alu instid0(VALU_DEP_1)
	v_mul_f64 v[212:213], v[212:213], v[222:223]
	v_xor_b32_e32 v223, 0x80000000, v223
.LBB111_410:
	s_and_not1_saveexec_b32 s3, s3
	s_cbranch_execz .LBB111_412
; %bb.411:
	v_div_scale_f64 v[212:213], null, v[216:217], v[216:217], v[218:219]
	v_div_scale_f64 v[224:225], vcc_lo, v[218:219], v[216:217], v[218:219]
	s_delay_alu instid0(VALU_DEP_2) | instskip(SKIP_2) | instid1(VALU_DEP_1)
	v_rcp_f64_e32 v[220:221], v[212:213]
	s_waitcnt_depctr 0xfff
	v_fma_f64 v[222:223], -v[212:213], v[220:221], 1.0
	v_fma_f64 v[220:221], v[220:221], v[222:223], v[220:221]
	s_delay_alu instid0(VALU_DEP_1) | instskip(NEXT) | instid1(VALU_DEP_1)
	v_fma_f64 v[222:223], -v[212:213], v[220:221], 1.0
	v_fma_f64 v[220:221], v[220:221], v[222:223], v[220:221]
	s_delay_alu instid0(VALU_DEP_1) | instskip(NEXT) | instid1(VALU_DEP_1)
	v_mul_f64 v[222:223], v[224:225], v[220:221]
	v_fma_f64 v[212:213], -v[212:213], v[222:223], v[224:225]
	s_delay_alu instid0(VALU_DEP_1) | instskip(NEXT) | instid1(VALU_DEP_1)
	v_div_fmas_f64 v[212:213], v[212:213], v[220:221], v[222:223]
	v_div_fixup_f64 v[220:221], v[212:213], v[216:217], v[218:219]
	s_delay_alu instid0(VALU_DEP_1) | instskip(NEXT) | instid1(VALU_DEP_1)
	v_fma_f64 v[212:213], v[218:219], v[220:221], v[216:217]
	v_div_scale_f64 v[216:217], null, v[212:213], v[212:213], 1.0
	s_delay_alu instid0(VALU_DEP_1) | instskip(SKIP_2) | instid1(VALU_DEP_1)
	v_rcp_f64_e32 v[218:219], v[216:217]
	s_waitcnt_depctr 0xfff
	v_fma_f64 v[222:223], -v[216:217], v[218:219], 1.0
	v_fma_f64 v[218:219], v[218:219], v[222:223], v[218:219]
	s_delay_alu instid0(VALU_DEP_1) | instskip(NEXT) | instid1(VALU_DEP_1)
	v_fma_f64 v[222:223], -v[216:217], v[218:219], 1.0
	v_fma_f64 v[218:219], v[218:219], v[222:223], v[218:219]
	v_div_scale_f64 v[222:223], vcc_lo, 1.0, v[212:213], 1.0
	s_delay_alu instid0(VALU_DEP_1) | instskip(NEXT) | instid1(VALU_DEP_1)
	v_mul_f64 v[224:225], v[222:223], v[218:219]
	v_fma_f64 v[216:217], -v[216:217], v[224:225], v[222:223]
	s_delay_alu instid0(VALU_DEP_1) | instskip(NEXT) | instid1(VALU_DEP_1)
	v_div_fmas_f64 v[216:217], v[216:217], v[218:219], v[224:225]
	v_div_fixup_f64 v[212:213], v[216:217], v[212:213], 1.0
	s_delay_alu instid0(VALU_DEP_1)
	v_mul_f64 v[222:223], v[220:221], -v[212:213]
.LBB111_412:
	s_or_b32 exec_lo, exec_lo, s3
	ds_store_2addr_b64 v251, v[212:213], v[222:223] offset1:1
.LBB111_413:
	s_or_b32 exec_lo, exec_lo, s4
	s_waitcnt lgkmcnt(0)
	s_barrier
	buffer_gl0_inv
	ds_load_2addr_b64 v[208:211], v251 offset1:1
	s_mov_b32 s3, exec_lo
	s_waitcnt lgkmcnt(0)
	scratch_store_b128 off, v[208:211], off offset:1232 ; 16-byte Folded Spill
	v_cmpx_lt_u32_e32 45, v248
	s_cbranch_execz .LBB111_415
; %bb.414:
	scratch_load_b128 v[208:211], off, off offset:1232 ; 16-byte Folded Reload
	ds_load_2addr_b64 v[216:219], v214 offset0:92 offset1:93
	s_waitcnt vmcnt(0)
	v_mul_f64 v[212:213], v[208:209], v[42:43]
	v_mul_f64 v[42:43], v[210:211], v[42:43]
	s_delay_alu instid0(VALU_DEP_2) | instskip(NEXT) | instid1(VALU_DEP_2)
	v_fma_f64 v[212:213], v[210:211], v[40:41], v[212:213]
	v_fma_f64 v[40:41], v[208:209], v[40:41], -v[42:43]
	s_waitcnt lgkmcnt(0)
	s_delay_alu instid0(VALU_DEP_2) | instskip(NEXT) | instid1(VALU_DEP_1)
	v_mul_f64 v[42:43], v[218:219], v[212:213]
	v_fma_f64 v[42:43], v[216:217], v[40:41], -v[42:43]
	v_mul_f64 v[216:217], v[216:217], v[212:213]
	s_delay_alu instid0(VALU_DEP_2) | instskip(NEXT) | instid1(VALU_DEP_2)
	v_add_f64 v[36:37], v[36:37], -v[42:43]
	v_fma_f64 v[216:217], v[218:219], v[40:41], v[216:217]
	s_delay_alu instid0(VALU_DEP_1) | instskip(SKIP_3) | instid1(VALU_DEP_1)
	v_add_f64 v[38:39], v[38:39], -v[216:217]
	ds_load_2addr_b64 v[216:219], v214 offset0:94 offset1:95
	s_waitcnt lgkmcnt(0)
	v_mul_f64 v[42:43], v[218:219], v[212:213]
	v_fma_f64 v[42:43], v[216:217], v[40:41], -v[42:43]
	v_mul_f64 v[216:217], v[216:217], v[212:213]
	s_delay_alu instid0(VALU_DEP_2) | instskip(NEXT) | instid1(VALU_DEP_2)
	v_add_f64 v[32:33], v[32:33], -v[42:43]
	v_fma_f64 v[216:217], v[218:219], v[40:41], v[216:217]
	s_delay_alu instid0(VALU_DEP_1) | instskip(SKIP_3) | instid1(VALU_DEP_1)
	v_add_f64 v[34:35], v[34:35], -v[216:217]
	ds_load_2addr_b64 v[216:219], v214 offset0:96 offset1:97
	s_waitcnt lgkmcnt(0)
	;; [unrolled: 10-line block ×9, first 2 shown]
	v_mul_f64 v[42:43], v[218:219], v[212:213]
	v_fma_f64 v[42:43], v[216:217], v[40:41], -v[42:43]
	v_mul_f64 v[216:217], v[216:217], v[212:213]
	s_delay_alu instid0(VALU_DEP_2) | instskip(NEXT) | instid1(VALU_DEP_2)
	v_add_f64 v[0:1], v[0:1], -v[42:43]
	v_fma_f64 v[216:217], v[218:219], v[40:41], v[216:217]
	v_dual_mov_b32 v42, v212 :: v_dual_mov_b32 v43, v213
	s_delay_alu instid0(VALU_DEP_2)
	v_add_f64 v[2:3], v[2:3], -v[216:217]
.LBB111_415:
	s_or_b32 exec_lo, exec_lo, s3
	s_delay_alu instid0(SALU_CYCLE_1)
	s_mov_b32 s4, exec_lo
	s_waitcnt_vscnt null, 0x0
	s_barrier
	buffer_gl0_inv
	v_cmpx_eq_u32_e32 46, v248
	s_cbranch_execz .LBB111_422
; %bb.416:
	ds_store_2addr_b64 v251, v[36:37], v[38:39] offset1:1
	ds_store_2addr_b64 v214, v[32:33], v[34:35] offset0:94 offset1:95
	ds_store_2addr_b64 v214, v[28:29], v[30:31] offset0:96 offset1:97
	;; [unrolled: 1-line block ×9, first 2 shown]
	ds_load_2addr_b64 v[216:219], v251 offset1:1
	s_waitcnt lgkmcnt(0)
	v_cmp_neq_f64_e32 vcc_lo, 0, v[216:217]
	v_cmp_neq_f64_e64 s3, 0, v[218:219]
	s_delay_alu instid0(VALU_DEP_1) | instskip(NEXT) | instid1(SALU_CYCLE_1)
	s_or_b32 s3, vcc_lo, s3
	s_and_b32 exec_lo, exec_lo, s3
	s_cbranch_execz .LBB111_422
; %bb.417:
	v_cmp_gt_f64_e32 vcc_lo, 0, v[216:217]
	v_xor_b32_e32 v208, 0x80000000, v217
	s_delay_alu instid0(VALU_DEP_1) | instskip(SKIP_3) | instid1(VALU_DEP_1)
	v_cndmask_b32_e32 v213, v217, v208, vcc_lo
	v_cndmask_b32_e32 v212, v216, v216, vcc_lo
	v_cmp_gt_f64_e32 vcc_lo, 0, v[218:219]
	v_xor_b32_e32 v208, 0x80000000, v219
	v_dual_cndmask_b32 v220, v218, v218 :: v_dual_cndmask_b32 v221, v219, v208
	s_delay_alu instid0(VALU_DEP_1) | instskip(SKIP_1) | instid1(SALU_CYCLE_1)
	v_cmp_ngt_f64_e32 vcc_lo, v[212:213], v[220:221]
                                        ; implicit-def: $vgpr212_vgpr213
	s_and_saveexec_b32 s3, vcc_lo
	s_xor_b32 s3, exec_lo, s3
                                        ; implicit-def: $vgpr220_vgpr221_vgpr222_vgpr223
	s_cbranch_execz .LBB111_419
; %bb.418:
	v_div_scale_f64 v[212:213], null, v[218:219], v[218:219], v[216:217]
	v_div_scale_f64 v[224:225], vcc_lo, v[216:217], v[218:219], v[216:217]
	s_delay_alu instid0(VALU_DEP_2) | instskip(SKIP_2) | instid1(VALU_DEP_1)
	v_rcp_f64_e32 v[220:221], v[212:213]
	s_waitcnt_depctr 0xfff
	v_fma_f64 v[222:223], -v[212:213], v[220:221], 1.0
	v_fma_f64 v[220:221], v[220:221], v[222:223], v[220:221]
	s_delay_alu instid0(VALU_DEP_1) | instskip(NEXT) | instid1(VALU_DEP_1)
	v_fma_f64 v[222:223], -v[212:213], v[220:221], 1.0
	v_fma_f64 v[220:221], v[220:221], v[222:223], v[220:221]
	s_delay_alu instid0(VALU_DEP_1) | instskip(NEXT) | instid1(VALU_DEP_1)
	v_mul_f64 v[222:223], v[224:225], v[220:221]
	v_fma_f64 v[212:213], -v[212:213], v[222:223], v[224:225]
	s_delay_alu instid0(VALU_DEP_1) | instskip(NEXT) | instid1(VALU_DEP_1)
	v_div_fmas_f64 v[212:213], v[212:213], v[220:221], v[222:223]
	v_div_fixup_f64 v[212:213], v[212:213], v[218:219], v[216:217]
	s_delay_alu instid0(VALU_DEP_1) | instskip(NEXT) | instid1(VALU_DEP_1)
	v_fma_f64 v[216:217], v[216:217], v[212:213], v[218:219]
	v_div_scale_f64 v[218:219], null, v[216:217], v[216:217], 1.0
	s_delay_alu instid0(VALU_DEP_1) | instskip(SKIP_2) | instid1(VALU_DEP_1)
	v_rcp_f64_e32 v[220:221], v[218:219]
	s_waitcnt_depctr 0xfff
	v_fma_f64 v[222:223], -v[218:219], v[220:221], 1.0
	v_fma_f64 v[220:221], v[220:221], v[222:223], v[220:221]
	s_delay_alu instid0(VALU_DEP_1) | instskip(NEXT) | instid1(VALU_DEP_1)
	v_fma_f64 v[222:223], -v[218:219], v[220:221], 1.0
	v_fma_f64 v[220:221], v[220:221], v[222:223], v[220:221]
	v_div_scale_f64 v[222:223], vcc_lo, 1.0, v[216:217], 1.0
	s_delay_alu instid0(VALU_DEP_1) | instskip(NEXT) | instid1(VALU_DEP_1)
	v_mul_f64 v[224:225], v[222:223], v[220:221]
	v_fma_f64 v[218:219], -v[218:219], v[224:225], v[222:223]
	s_delay_alu instid0(VALU_DEP_1) | instskip(NEXT) | instid1(VALU_DEP_1)
	v_div_fmas_f64 v[218:219], v[218:219], v[220:221], v[224:225]
	v_div_fixup_f64 v[222:223], v[218:219], v[216:217], 1.0
                                        ; implicit-def: $vgpr216_vgpr217
	s_delay_alu instid0(VALU_DEP_1)
	v_mul_f64 v[212:213], v[212:213], v[222:223]
	v_xor_b32_e32 v223, 0x80000000, v223
.LBB111_419:
	s_and_not1_saveexec_b32 s3, s3
	s_cbranch_execz .LBB111_421
; %bb.420:
	v_div_scale_f64 v[212:213], null, v[216:217], v[216:217], v[218:219]
	v_div_scale_f64 v[224:225], vcc_lo, v[218:219], v[216:217], v[218:219]
	s_delay_alu instid0(VALU_DEP_2) | instskip(SKIP_2) | instid1(VALU_DEP_1)
	v_rcp_f64_e32 v[220:221], v[212:213]
	s_waitcnt_depctr 0xfff
	v_fma_f64 v[222:223], -v[212:213], v[220:221], 1.0
	v_fma_f64 v[220:221], v[220:221], v[222:223], v[220:221]
	s_delay_alu instid0(VALU_DEP_1) | instskip(NEXT) | instid1(VALU_DEP_1)
	v_fma_f64 v[222:223], -v[212:213], v[220:221], 1.0
	v_fma_f64 v[220:221], v[220:221], v[222:223], v[220:221]
	s_delay_alu instid0(VALU_DEP_1) | instskip(NEXT) | instid1(VALU_DEP_1)
	v_mul_f64 v[222:223], v[224:225], v[220:221]
	v_fma_f64 v[212:213], -v[212:213], v[222:223], v[224:225]
	s_delay_alu instid0(VALU_DEP_1) | instskip(NEXT) | instid1(VALU_DEP_1)
	v_div_fmas_f64 v[212:213], v[212:213], v[220:221], v[222:223]
	v_div_fixup_f64 v[220:221], v[212:213], v[216:217], v[218:219]
	s_delay_alu instid0(VALU_DEP_1) | instskip(NEXT) | instid1(VALU_DEP_1)
	v_fma_f64 v[212:213], v[218:219], v[220:221], v[216:217]
	v_div_scale_f64 v[216:217], null, v[212:213], v[212:213], 1.0
	s_delay_alu instid0(VALU_DEP_1) | instskip(SKIP_2) | instid1(VALU_DEP_1)
	v_rcp_f64_e32 v[218:219], v[216:217]
	s_waitcnt_depctr 0xfff
	v_fma_f64 v[222:223], -v[216:217], v[218:219], 1.0
	v_fma_f64 v[218:219], v[218:219], v[222:223], v[218:219]
	s_delay_alu instid0(VALU_DEP_1) | instskip(NEXT) | instid1(VALU_DEP_1)
	v_fma_f64 v[222:223], -v[216:217], v[218:219], 1.0
	v_fma_f64 v[218:219], v[218:219], v[222:223], v[218:219]
	v_div_scale_f64 v[222:223], vcc_lo, 1.0, v[212:213], 1.0
	s_delay_alu instid0(VALU_DEP_1) | instskip(NEXT) | instid1(VALU_DEP_1)
	v_mul_f64 v[224:225], v[222:223], v[218:219]
	v_fma_f64 v[216:217], -v[216:217], v[224:225], v[222:223]
	s_delay_alu instid0(VALU_DEP_1) | instskip(NEXT) | instid1(VALU_DEP_1)
	v_div_fmas_f64 v[216:217], v[216:217], v[218:219], v[224:225]
	v_div_fixup_f64 v[212:213], v[216:217], v[212:213], 1.0
	s_delay_alu instid0(VALU_DEP_1)
	v_mul_f64 v[222:223], v[220:221], -v[212:213]
.LBB111_421:
	s_or_b32 exec_lo, exec_lo, s3
	ds_store_2addr_b64 v251, v[212:213], v[222:223] offset1:1
.LBB111_422:
	s_or_b32 exec_lo, exec_lo, s4
	s_waitcnt lgkmcnt(0)
	s_barrier
	buffer_gl0_inv
	ds_load_2addr_b64 v[208:211], v251 offset1:1
	s_mov_b32 s3, exec_lo
	s_waitcnt lgkmcnt(0)
	scratch_store_b128 off, v[208:211], off offset:1248 ; 16-byte Folded Spill
	v_cmpx_lt_u32_e32 46, v248
	s_cbranch_execz .LBB111_424
; %bb.423:
	scratch_load_b128 v[208:211], off, off offset:1248 ; 16-byte Folded Reload
	ds_load_2addr_b64 v[216:219], v214 offset0:94 offset1:95
	s_waitcnt vmcnt(0)
	v_mul_f64 v[212:213], v[208:209], v[38:39]
	v_mul_f64 v[38:39], v[210:211], v[38:39]
	s_delay_alu instid0(VALU_DEP_2) | instskip(NEXT) | instid1(VALU_DEP_2)
	v_fma_f64 v[212:213], v[210:211], v[36:37], v[212:213]
	v_fma_f64 v[36:37], v[208:209], v[36:37], -v[38:39]
	s_waitcnt lgkmcnt(0)
	s_delay_alu instid0(VALU_DEP_2) | instskip(NEXT) | instid1(VALU_DEP_1)
	v_mul_f64 v[38:39], v[218:219], v[212:213]
	v_fma_f64 v[38:39], v[216:217], v[36:37], -v[38:39]
	v_mul_f64 v[216:217], v[216:217], v[212:213]
	s_delay_alu instid0(VALU_DEP_2) | instskip(NEXT) | instid1(VALU_DEP_2)
	v_add_f64 v[32:33], v[32:33], -v[38:39]
	v_fma_f64 v[216:217], v[218:219], v[36:37], v[216:217]
	s_delay_alu instid0(VALU_DEP_1) | instskip(SKIP_3) | instid1(VALU_DEP_1)
	v_add_f64 v[34:35], v[34:35], -v[216:217]
	ds_load_2addr_b64 v[216:219], v214 offset0:96 offset1:97
	s_waitcnt lgkmcnt(0)
	v_mul_f64 v[38:39], v[218:219], v[212:213]
	v_fma_f64 v[38:39], v[216:217], v[36:37], -v[38:39]
	v_mul_f64 v[216:217], v[216:217], v[212:213]
	s_delay_alu instid0(VALU_DEP_2) | instskip(NEXT) | instid1(VALU_DEP_2)
	v_add_f64 v[28:29], v[28:29], -v[38:39]
	v_fma_f64 v[216:217], v[218:219], v[36:37], v[216:217]
	s_delay_alu instid0(VALU_DEP_1) | instskip(SKIP_3) | instid1(VALU_DEP_1)
	v_add_f64 v[30:31], v[30:31], -v[216:217]
	ds_load_2addr_b64 v[216:219], v214 offset0:98 offset1:99
	s_waitcnt lgkmcnt(0)
	;; [unrolled: 10-line block ×8, first 2 shown]
	v_mul_f64 v[38:39], v[218:219], v[212:213]
	v_fma_f64 v[38:39], v[216:217], v[36:37], -v[38:39]
	v_mul_f64 v[216:217], v[216:217], v[212:213]
	s_delay_alu instid0(VALU_DEP_2) | instskip(NEXT) | instid1(VALU_DEP_2)
	v_add_f64 v[0:1], v[0:1], -v[38:39]
	v_fma_f64 v[216:217], v[218:219], v[36:37], v[216:217]
	v_dual_mov_b32 v38, v212 :: v_dual_mov_b32 v39, v213
	s_delay_alu instid0(VALU_DEP_2)
	v_add_f64 v[2:3], v[2:3], -v[216:217]
.LBB111_424:
	s_or_b32 exec_lo, exec_lo, s3
	s_delay_alu instid0(SALU_CYCLE_1)
	s_mov_b32 s4, exec_lo
	s_waitcnt_vscnt null, 0x0
	s_barrier
	buffer_gl0_inv
	v_cmpx_eq_u32_e32 47, v248
	s_cbranch_execz .LBB111_431
; %bb.425:
	ds_store_2addr_b64 v251, v[32:33], v[34:35] offset1:1
	ds_store_2addr_b64 v214, v[28:29], v[30:31] offset0:96 offset1:97
	ds_store_2addr_b64 v214, v[24:25], v[26:27] offset0:98 offset1:99
	;; [unrolled: 1-line block ×8, first 2 shown]
	ds_load_2addr_b64 v[216:219], v251 offset1:1
	s_waitcnt lgkmcnt(0)
	v_cmp_neq_f64_e32 vcc_lo, 0, v[216:217]
	v_cmp_neq_f64_e64 s3, 0, v[218:219]
	s_delay_alu instid0(VALU_DEP_1) | instskip(NEXT) | instid1(SALU_CYCLE_1)
	s_or_b32 s3, vcc_lo, s3
	s_and_b32 exec_lo, exec_lo, s3
	s_cbranch_execz .LBB111_431
; %bb.426:
	v_cmp_gt_f64_e32 vcc_lo, 0, v[216:217]
	v_xor_b32_e32 v208, 0x80000000, v217
	s_delay_alu instid0(VALU_DEP_1) | instskip(SKIP_3) | instid1(VALU_DEP_1)
	v_cndmask_b32_e32 v213, v217, v208, vcc_lo
	v_cndmask_b32_e32 v212, v216, v216, vcc_lo
	v_cmp_gt_f64_e32 vcc_lo, 0, v[218:219]
	v_xor_b32_e32 v208, 0x80000000, v219
	v_dual_cndmask_b32 v220, v218, v218 :: v_dual_cndmask_b32 v221, v219, v208
	s_delay_alu instid0(VALU_DEP_1) | instskip(SKIP_1) | instid1(SALU_CYCLE_1)
	v_cmp_ngt_f64_e32 vcc_lo, v[212:213], v[220:221]
                                        ; implicit-def: $vgpr212_vgpr213
	s_and_saveexec_b32 s3, vcc_lo
	s_xor_b32 s3, exec_lo, s3
                                        ; implicit-def: $vgpr220_vgpr221_vgpr222_vgpr223
	s_cbranch_execz .LBB111_428
; %bb.427:
	v_div_scale_f64 v[212:213], null, v[218:219], v[218:219], v[216:217]
	v_div_scale_f64 v[224:225], vcc_lo, v[216:217], v[218:219], v[216:217]
	s_delay_alu instid0(VALU_DEP_2) | instskip(SKIP_2) | instid1(VALU_DEP_1)
	v_rcp_f64_e32 v[220:221], v[212:213]
	s_waitcnt_depctr 0xfff
	v_fma_f64 v[222:223], -v[212:213], v[220:221], 1.0
	v_fma_f64 v[220:221], v[220:221], v[222:223], v[220:221]
	s_delay_alu instid0(VALU_DEP_1) | instskip(NEXT) | instid1(VALU_DEP_1)
	v_fma_f64 v[222:223], -v[212:213], v[220:221], 1.0
	v_fma_f64 v[220:221], v[220:221], v[222:223], v[220:221]
	s_delay_alu instid0(VALU_DEP_1) | instskip(NEXT) | instid1(VALU_DEP_1)
	v_mul_f64 v[222:223], v[224:225], v[220:221]
	v_fma_f64 v[212:213], -v[212:213], v[222:223], v[224:225]
	s_delay_alu instid0(VALU_DEP_1) | instskip(NEXT) | instid1(VALU_DEP_1)
	v_div_fmas_f64 v[212:213], v[212:213], v[220:221], v[222:223]
	v_div_fixup_f64 v[212:213], v[212:213], v[218:219], v[216:217]
	s_delay_alu instid0(VALU_DEP_1) | instskip(NEXT) | instid1(VALU_DEP_1)
	v_fma_f64 v[216:217], v[216:217], v[212:213], v[218:219]
	v_div_scale_f64 v[218:219], null, v[216:217], v[216:217], 1.0
	s_delay_alu instid0(VALU_DEP_1) | instskip(SKIP_2) | instid1(VALU_DEP_1)
	v_rcp_f64_e32 v[220:221], v[218:219]
	s_waitcnt_depctr 0xfff
	v_fma_f64 v[222:223], -v[218:219], v[220:221], 1.0
	v_fma_f64 v[220:221], v[220:221], v[222:223], v[220:221]
	s_delay_alu instid0(VALU_DEP_1) | instskip(NEXT) | instid1(VALU_DEP_1)
	v_fma_f64 v[222:223], -v[218:219], v[220:221], 1.0
	v_fma_f64 v[220:221], v[220:221], v[222:223], v[220:221]
	v_div_scale_f64 v[222:223], vcc_lo, 1.0, v[216:217], 1.0
	s_delay_alu instid0(VALU_DEP_1) | instskip(NEXT) | instid1(VALU_DEP_1)
	v_mul_f64 v[224:225], v[222:223], v[220:221]
	v_fma_f64 v[218:219], -v[218:219], v[224:225], v[222:223]
	s_delay_alu instid0(VALU_DEP_1) | instskip(NEXT) | instid1(VALU_DEP_1)
	v_div_fmas_f64 v[218:219], v[218:219], v[220:221], v[224:225]
	v_div_fixup_f64 v[222:223], v[218:219], v[216:217], 1.0
                                        ; implicit-def: $vgpr216_vgpr217
	s_delay_alu instid0(VALU_DEP_1)
	v_mul_f64 v[212:213], v[212:213], v[222:223]
	v_xor_b32_e32 v223, 0x80000000, v223
.LBB111_428:
	s_and_not1_saveexec_b32 s3, s3
	s_cbranch_execz .LBB111_430
; %bb.429:
	v_div_scale_f64 v[212:213], null, v[216:217], v[216:217], v[218:219]
	v_div_scale_f64 v[224:225], vcc_lo, v[218:219], v[216:217], v[218:219]
	s_delay_alu instid0(VALU_DEP_2) | instskip(SKIP_2) | instid1(VALU_DEP_1)
	v_rcp_f64_e32 v[220:221], v[212:213]
	s_waitcnt_depctr 0xfff
	v_fma_f64 v[222:223], -v[212:213], v[220:221], 1.0
	v_fma_f64 v[220:221], v[220:221], v[222:223], v[220:221]
	s_delay_alu instid0(VALU_DEP_1) | instskip(NEXT) | instid1(VALU_DEP_1)
	v_fma_f64 v[222:223], -v[212:213], v[220:221], 1.0
	v_fma_f64 v[220:221], v[220:221], v[222:223], v[220:221]
	s_delay_alu instid0(VALU_DEP_1) | instskip(NEXT) | instid1(VALU_DEP_1)
	v_mul_f64 v[222:223], v[224:225], v[220:221]
	v_fma_f64 v[212:213], -v[212:213], v[222:223], v[224:225]
	s_delay_alu instid0(VALU_DEP_1) | instskip(NEXT) | instid1(VALU_DEP_1)
	v_div_fmas_f64 v[212:213], v[212:213], v[220:221], v[222:223]
	v_div_fixup_f64 v[220:221], v[212:213], v[216:217], v[218:219]
	s_delay_alu instid0(VALU_DEP_1) | instskip(NEXT) | instid1(VALU_DEP_1)
	v_fma_f64 v[212:213], v[218:219], v[220:221], v[216:217]
	v_div_scale_f64 v[216:217], null, v[212:213], v[212:213], 1.0
	s_delay_alu instid0(VALU_DEP_1) | instskip(SKIP_2) | instid1(VALU_DEP_1)
	v_rcp_f64_e32 v[218:219], v[216:217]
	s_waitcnt_depctr 0xfff
	v_fma_f64 v[222:223], -v[216:217], v[218:219], 1.0
	v_fma_f64 v[218:219], v[218:219], v[222:223], v[218:219]
	s_delay_alu instid0(VALU_DEP_1) | instskip(NEXT) | instid1(VALU_DEP_1)
	v_fma_f64 v[222:223], -v[216:217], v[218:219], 1.0
	v_fma_f64 v[218:219], v[218:219], v[222:223], v[218:219]
	v_div_scale_f64 v[222:223], vcc_lo, 1.0, v[212:213], 1.0
	s_delay_alu instid0(VALU_DEP_1) | instskip(NEXT) | instid1(VALU_DEP_1)
	v_mul_f64 v[224:225], v[222:223], v[218:219]
	v_fma_f64 v[216:217], -v[216:217], v[224:225], v[222:223]
	s_delay_alu instid0(VALU_DEP_1) | instskip(NEXT) | instid1(VALU_DEP_1)
	v_div_fmas_f64 v[216:217], v[216:217], v[218:219], v[224:225]
	v_div_fixup_f64 v[212:213], v[216:217], v[212:213], 1.0
	s_delay_alu instid0(VALU_DEP_1)
	v_mul_f64 v[222:223], v[220:221], -v[212:213]
.LBB111_430:
	s_or_b32 exec_lo, exec_lo, s3
	ds_store_2addr_b64 v251, v[212:213], v[222:223] offset1:1
.LBB111_431:
	s_or_b32 exec_lo, exec_lo, s4
	s_waitcnt lgkmcnt(0)
	s_barrier
	buffer_gl0_inv
	ds_load_2addr_b64 v[252:255], v251 offset1:1
	s_mov_b32 s3, exec_lo
	v_cmpx_lt_u32_e32 47, v248
	s_cbranch_execz .LBB111_433
; %bb.432:
	s_waitcnt lgkmcnt(0)
	v_mul_f64 v[212:213], v[252:253], v[34:35]
	v_mul_f64 v[34:35], v[254:255], v[34:35]
	ds_load_2addr_b64 v[216:219], v214 offset0:96 offset1:97
	v_fma_f64 v[212:213], v[254:255], v[32:33], v[212:213]
	v_fma_f64 v[32:33], v[252:253], v[32:33], -v[34:35]
	s_waitcnt lgkmcnt(0)
	s_delay_alu instid0(VALU_DEP_2) | instskip(NEXT) | instid1(VALU_DEP_1)
	v_mul_f64 v[34:35], v[218:219], v[212:213]
	v_fma_f64 v[34:35], v[216:217], v[32:33], -v[34:35]
	v_mul_f64 v[216:217], v[216:217], v[212:213]
	s_delay_alu instid0(VALU_DEP_2) | instskip(NEXT) | instid1(VALU_DEP_2)
	v_add_f64 v[28:29], v[28:29], -v[34:35]
	v_fma_f64 v[216:217], v[218:219], v[32:33], v[216:217]
	s_delay_alu instid0(VALU_DEP_1) | instskip(SKIP_3) | instid1(VALU_DEP_1)
	v_add_f64 v[30:31], v[30:31], -v[216:217]
	ds_load_2addr_b64 v[216:219], v214 offset0:98 offset1:99
	s_waitcnt lgkmcnt(0)
	v_mul_f64 v[34:35], v[218:219], v[212:213]
	v_fma_f64 v[34:35], v[216:217], v[32:33], -v[34:35]
	v_mul_f64 v[216:217], v[216:217], v[212:213]
	s_delay_alu instid0(VALU_DEP_2) | instskip(NEXT) | instid1(VALU_DEP_2)
	v_add_f64 v[24:25], v[24:25], -v[34:35]
	v_fma_f64 v[216:217], v[218:219], v[32:33], v[216:217]
	s_delay_alu instid0(VALU_DEP_1) | instskip(SKIP_3) | instid1(VALU_DEP_1)
	v_add_f64 v[26:27], v[26:27], -v[216:217]
	ds_load_2addr_b64 v[216:219], v214 offset0:100 offset1:101
	s_waitcnt lgkmcnt(0)
	;; [unrolled: 10-line block ×7, first 2 shown]
	v_mul_f64 v[34:35], v[218:219], v[212:213]
	v_fma_f64 v[34:35], v[216:217], v[32:33], -v[34:35]
	v_mul_f64 v[216:217], v[216:217], v[212:213]
	s_delay_alu instid0(VALU_DEP_2) | instskip(NEXT) | instid1(VALU_DEP_2)
	v_add_f64 v[0:1], v[0:1], -v[34:35]
	v_fma_f64 v[216:217], v[218:219], v[32:33], v[216:217]
	v_dual_mov_b32 v34, v212 :: v_dual_mov_b32 v35, v213
	s_delay_alu instid0(VALU_DEP_2)
	v_add_f64 v[2:3], v[2:3], -v[216:217]
.LBB111_433:
	s_or_b32 exec_lo, exec_lo, s3
	s_delay_alu instid0(SALU_CYCLE_1)
	s_mov_b32 s4, exec_lo
	s_waitcnt lgkmcnt(0)
	s_barrier
	buffer_gl0_inv
	v_cmpx_eq_u32_e32 48, v248
	s_cbranch_execz .LBB111_440
; %bb.434:
	ds_store_2addr_b64 v251, v[28:29], v[30:31] offset1:1
	ds_store_2addr_b64 v214, v[24:25], v[26:27] offset0:98 offset1:99
	ds_store_2addr_b64 v214, v[20:21], v[22:23] offset0:100 offset1:101
	;; [unrolled: 1-line block ×7, first 2 shown]
	ds_load_2addr_b64 v[216:219], v251 offset1:1
	s_waitcnt lgkmcnt(0)
	v_cmp_neq_f64_e32 vcc_lo, 0, v[216:217]
	v_cmp_neq_f64_e64 s3, 0, v[218:219]
	s_delay_alu instid0(VALU_DEP_1) | instskip(NEXT) | instid1(SALU_CYCLE_1)
	s_or_b32 s3, vcc_lo, s3
	s_and_b32 exec_lo, exec_lo, s3
	s_cbranch_execz .LBB111_440
; %bb.435:
	v_cmp_gt_f64_e32 vcc_lo, 0, v[216:217]
	v_xor_b32_e32 v208, 0x80000000, v217
	s_delay_alu instid0(VALU_DEP_1) | instskip(SKIP_3) | instid1(VALU_DEP_1)
	v_cndmask_b32_e32 v213, v217, v208, vcc_lo
	v_cndmask_b32_e32 v212, v216, v216, vcc_lo
	v_cmp_gt_f64_e32 vcc_lo, 0, v[218:219]
	v_xor_b32_e32 v208, 0x80000000, v219
	v_dual_cndmask_b32 v220, v218, v218 :: v_dual_cndmask_b32 v221, v219, v208
	s_delay_alu instid0(VALU_DEP_1) | instskip(SKIP_1) | instid1(SALU_CYCLE_1)
	v_cmp_ngt_f64_e32 vcc_lo, v[212:213], v[220:221]
                                        ; implicit-def: $vgpr212_vgpr213
	s_and_saveexec_b32 s3, vcc_lo
	s_xor_b32 s3, exec_lo, s3
                                        ; implicit-def: $vgpr220_vgpr221_vgpr222_vgpr223
	s_cbranch_execz .LBB111_437
; %bb.436:
	v_div_scale_f64 v[212:213], null, v[218:219], v[218:219], v[216:217]
	v_div_scale_f64 v[224:225], vcc_lo, v[216:217], v[218:219], v[216:217]
	s_delay_alu instid0(VALU_DEP_2) | instskip(SKIP_2) | instid1(VALU_DEP_1)
	v_rcp_f64_e32 v[220:221], v[212:213]
	s_waitcnt_depctr 0xfff
	v_fma_f64 v[222:223], -v[212:213], v[220:221], 1.0
	v_fma_f64 v[220:221], v[220:221], v[222:223], v[220:221]
	s_delay_alu instid0(VALU_DEP_1) | instskip(NEXT) | instid1(VALU_DEP_1)
	v_fma_f64 v[222:223], -v[212:213], v[220:221], 1.0
	v_fma_f64 v[220:221], v[220:221], v[222:223], v[220:221]
	s_delay_alu instid0(VALU_DEP_1) | instskip(NEXT) | instid1(VALU_DEP_1)
	v_mul_f64 v[222:223], v[224:225], v[220:221]
	v_fma_f64 v[212:213], -v[212:213], v[222:223], v[224:225]
	s_delay_alu instid0(VALU_DEP_1) | instskip(NEXT) | instid1(VALU_DEP_1)
	v_div_fmas_f64 v[212:213], v[212:213], v[220:221], v[222:223]
	v_div_fixup_f64 v[212:213], v[212:213], v[218:219], v[216:217]
	s_delay_alu instid0(VALU_DEP_1) | instskip(NEXT) | instid1(VALU_DEP_1)
	v_fma_f64 v[216:217], v[216:217], v[212:213], v[218:219]
	v_div_scale_f64 v[218:219], null, v[216:217], v[216:217], 1.0
	s_delay_alu instid0(VALU_DEP_1) | instskip(SKIP_2) | instid1(VALU_DEP_1)
	v_rcp_f64_e32 v[220:221], v[218:219]
	s_waitcnt_depctr 0xfff
	v_fma_f64 v[222:223], -v[218:219], v[220:221], 1.0
	v_fma_f64 v[220:221], v[220:221], v[222:223], v[220:221]
	s_delay_alu instid0(VALU_DEP_1) | instskip(NEXT) | instid1(VALU_DEP_1)
	v_fma_f64 v[222:223], -v[218:219], v[220:221], 1.0
	v_fma_f64 v[220:221], v[220:221], v[222:223], v[220:221]
	v_div_scale_f64 v[222:223], vcc_lo, 1.0, v[216:217], 1.0
	s_delay_alu instid0(VALU_DEP_1) | instskip(NEXT) | instid1(VALU_DEP_1)
	v_mul_f64 v[224:225], v[222:223], v[220:221]
	v_fma_f64 v[218:219], -v[218:219], v[224:225], v[222:223]
	s_delay_alu instid0(VALU_DEP_1) | instskip(NEXT) | instid1(VALU_DEP_1)
	v_div_fmas_f64 v[218:219], v[218:219], v[220:221], v[224:225]
	v_div_fixup_f64 v[222:223], v[218:219], v[216:217], 1.0
                                        ; implicit-def: $vgpr216_vgpr217
	s_delay_alu instid0(VALU_DEP_1)
	v_mul_f64 v[212:213], v[212:213], v[222:223]
	v_xor_b32_e32 v223, 0x80000000, v223
.LBB111_437:
	s_and_not1_saveexec_b32 s3, s3
	s_cbranch_execz .LBB111_439
; %bb.438:
	v_div_scale_f64 v[212:213], null, v[216:217], v[216:217], v[218:219]
	v_div_scale_f64 v[224:225], vcc_lo, v[218:219], v[216:217], v[218:219]
	s_delay_alu instid0(VALU_DEP_2) | instskip(SKIP_2) | instid1(VALU_DEP_1)
	v_rcp_f64_e32 v[220:221], v[212:213]
	s_waitcnt_depctr 0xfff
	v_fma_f64 v[222:223], -v[212:213], v[220:221], 1.0
	v_fma_f64 v[220:221], v[220:221], v[222:223], v[220:221]
	s_delay_alu instid0(VALU_DEP_1) | instskip(NEXT) | instid1(VALU_DEP_1)
	v_fma_f64 v[222:223], -v[212:213], v[220:221], 1.0
	v_fma_f64 v[220:221], v[220:221], v[222:223], v[220:221]
	s_delay_alu instid0(VALU_DEP_1) | instskip(NEXT) | instid1(VALU_DEP_1)
	v_mul_f64 v[222:223], v[224:225], v[220:221]
	v_fma_f64 v[212:213], -v[212:213], v[222:223], v[224:225]
	s_delay_alu instid0(VALU_DEP_1) | instskip(NEXT) | instid1(VALU_DEP_1)
	v_div_fmas_f64 v[212:213], v[212:213], v[220:221], v[222:223]
	v_div_fixup_f64 v[220:221], v[212:213], v[216:217], v[218:219]
	s_delay_alu instid0(VALU_DEP_1) | instskip(NEXT) | instid1(VALU_DEP_1)
	v_fma_f64 v[212:213], v[218:219], v[220:221], v[216:217]
	v_div_scale_f64 v[216:217], null, v[212:213], v[212:213], 1.0
	s_delay_alu instid0(VALU_DEP_1) | instskip(SKIP_2) | instid1(VALU_DEP_1)
	v_rcp_f64_e32 v[218:219], v[216:217]
	s_waitcnt_depctr 0xfff
	v_fma_f64 v[222:223], -v[216:217], v[218:219], 1.0
	v_fma_f64 v[218:219], v[218:219], v[222:223], v[218:219]
	s_delay_alu instid0(VALU_DEP_1) | instskip(NEXT) | instid1(VALU_DEP_1)
	v_fma_f64 v[222:223], -v[216:217], v[218:219], 1.0
	v_fma_f64 v[218:219], v[218:219], v[222:223], v[218:219]
	v_div_scale_f64 v[222:223], vcc_lo, 1.0, v[212:213], 1.0
	s_delay_alu instid0(VALU_DEP_1) | instskip(NEXT) | instid1(VALU_DEP_1)
	v_mul_f64 v[224:225], v[222:223], v[218:219]
	v_fma_f64 v[216:217], -v[216:217], v[224:225], v[222:223]
	s_delay_alu instid0(VALU_DEP_1) | instskip(NEXT) | instid1(VALU_DEP_1)
	v_div_fmas_f64 v[216:217], v[216:217], v[218:219], v[224:225]
	v_div_fixup_f64 v[212:213], v[216:217], v[212:213], 1.0
	s_delay_alu instid0(VALU_DEP_1)
	v_mul_f64 v[222:223], v[220:221], -v[212:213]
.LBB111_439:
	s_or_b32 exec_lo, exec_lo, s3
	ds_store_2addr_b64 v251, v[212:213], v[222:223] offset1:1
.LBB111_440:
	s_or_b32 exec_lo, exec_lo, s4
	s_waitcnt lgkmcnt(0)
	s_barrier
	buffer_gl0_inv
	ds_load_2addr_b64 v[224:227], v251 offset1:1
	s_mov_b32 s3, exec_lo
	v_cmpx_lt_u32_e32 48, v248
	s_cbranch_execz .LBB111_442
; %bb.441:
	s_waitcnt lgkmcnt(0)
	v_mul_f64 v[212:213], v[224:225], v[30:31]
	v_mul_f64 v[30:31], v[226:227], v[30:31]
	ds_load_2addr_b64 v[216:219], v214 offset0:98 offset1:99
	v_fma_f64 v[212:213], v[226:227], v[28:29], v[212:213]
	v_fma_f64 v[28:29], v[224:225], v[28:29], -v[30:31]
	s_waitcnt lgkmcnt(0)
	s_delay_alu instid0(VALU_DEP_2) | instskip(NEXT) | instid1(VALU_DEP_1)
	v_mul_f64 v[30:31], v[218:219], v[212:213]
	v_fma_f64 v[30:31], v[216:217], v[28:29], -v[30:31]
	v_mul_f64 v[216:217], v[216:217], v[212:213]
	s_delay_alu instid0(VALU_DEP_2) | instskip(NEXT) | instid1(VALU_DEP_2)
	v_add_f64 v[24:25], v[24:25], -v[30:31]
	v_fma_f64 v[216:217], v[218:219], v[28:29], v[216:217]
	s_delay_alu instid0(VALU_DEP_1) | instskip(SKIP_3) | instid1(VALU_DEP_1)
	v_add_f64 v[26:27], v[26:27], -v[216:217]
	ds_load_2addr_b64 v[216:219], v214 offset0:100 offset1:101
	s_waitcnt lgkmcnt(0)
	v_mul_f64 v[30:31], v[218:219], v[212:213]
	v_fma_f64 v[30:31], v[216:217], v[28:29], -v[30:31]
	v_mul_f64 v[216:217], v[216:217], v[212:213]
	s_delay_alu instid0(VALU_DEP_2) | instskip(NEXT) | instid1(VALU_DEP_2)
	v_add_f64 v[20:21], v[20:21], -v[30:31]
	v_fma_f64 v[216:217], v[218:219], v[28:29], v[216:217]
	s_delay_alu instid0(VALU_DEP_1) | instskip(SKIP_3) | instid1(VALU_DEP_1)
	v_add_f64 v[22:23], v[22:23], -v[216:217]
	ds_load_2addr_b64 v[216:219], v214 offset0:102 offset1:103
	s_waitcnt lgkmcnt(0)
	;; [unrolled: 10-line block ×6, first 2 shown]
	v_mul_f64 v[30:31], v[218:219], v[212:213]
	v_fma_f64 v[30:31], v[216:217], v[28:29], -v[30:31]
	v_mul_f64 v[216:217], v[216:217], v[212:213]
	s_delay_alu instid0(VALU_DEP_2) | instskip(NEXT) | instid1(VALU_DEP_2)
	v_add_f64 v[0:1], v[0:1], -v[30:31]
	v_fma_f64 v[216:217], v[218:219], v[28:29], v[216:217]
	v_dual_mov_b32 v30, v212 :: v_dual_mov_b32 v31, v213
	s_delay_alu instid0(VALU_DEP_2)
	v_add_f64 v[2:3], v[2:3], -v[216:217]
.LBB111_442:
	s_or_b32 exec_lo, exec_lo, s3
	s_delay_alu instid0(SALU_CYCLE_1)
	s_mov_b32 s4, exec_lo
	s_waitcnt lgkmcnt(0)
	s_barrier
	buffer_gl0_inv
	v_cmpx_eq_u32_e32 49, v248
	s_cbranch_execz .LBB111_449
; %bb.443:
	ds_store_2addr_b64 v251, v[24:25], v[26:27] offset1:1
	ds_store_2addr_b64 v214, v[20:21], v[22:23] offset0:100 offset1:101
	ds_store_2addr_b64 v214, v[16:17], v[18:19] offset0:102 offset1:103
	ds_store_2addr_b64 v214, v[12:13], v[14:15] offset0:104 offset1:105
	ds_store_2addr_b64 v214, v[8:9], v[10:11] offset0:106 offset1:107
	ds_store_2addr_b64 v214, v[4:5], v[6:7] offset0:108 offset1:109
	ds_store_2addr_b64 v214, v[0:1], v[2:3] offset0:110 offset1:111
	ds_load_2addr_b64 v[216:219], v251 offset1:1
	s_waitcnt lgkmcnt(0)
	v_cmp_neq_f64_e32 vcc_lo, 0, v[216:217]
	v_cmp_neq_f64_e64 s3, 0, v[218:219]
	s_delay_alu instid0(VALU_DEP_1) | instskip(NEXT) | instid1(SALU_CYCLE_1)
	s_or_b32 s3, vcc_lo, s3
	s_and_b32 exec_lo, exec_lo, s3
	s_cbranch_execz .LBB111_449
; %bb.444:
	v_cmp_gt_f64_e32 vcc_lo, 0, v[216:217]
	v_xor_b32_e32 v208, 0x80000000, v217
	s_delay_alu instid0(VALU_DEP_1) | instskip(SKIP_3) | instid1(VALU_DEP_1)
	v_cndmask_b32_e32 v213, v217, v208, vcc_lo
	v_cndmask_b32_e32 v212, v216, v216, vcc_lo
	v_cmp_gt_f64_e32 vcc_lo, 0, v[218:219]
	v_xor_b32_e32 v208, 0x80000000, v219
	v_dual_cndmask_b32 v220, v218, v218 :: v_dual_cndmask_b32 v221, v219, v208
	s_delay_alu instid0(VALU_DEP_1) | instskip(SKIP_1) | instid1(SALU_CYCLE_1)
	v_cmp_ngt_f64_e32 vcc_lo, v[212:213], v[220:221]
                                        ; implicit-def: $vgpr212_vgpr213
	s_and_saveexec_b32 s3, vcc_lo
	s_xor_b32 s3, exec_lo, s3
                                        ; implicit-def: $vgpr220_vgpr221_vgpr222_vgpr223
	s_cbranch_execz .LBB111_446
; %bb.445:
	v_div_scale_f64 v[212:213], null, v[218:219], v[218:219], v[216:217]
	v_div_scale_f64 v[228:229], vcc_lo, v[216:217], v[218:219], v[216:217]
	s_delay_alu instid0(VALU_DEP_2) | instskip(SKIP_2) | instid1(VALU_DEP_1)
	v_rcp_f64_e32 v[220:221], v[212:213]
	s_waitcnt_depctr 0xfff
	v_fma_f64 v[222:223], -v[212:213], v[220:221], 1.0
	v_fma_f64 v[220:221], v[220:221], v[222:223], v[220:221]
	s_delay_alu instid0(VALU_DEP_1) | instskip(NEXT) | instid1(VALU_DEP_1)
	v_fma_f64 v[222:223], -v[212:213], v[220:221], 1.0
	v_fma_f64 v[220:221], v[220:221], v[222:223], v[220:221]
	s_delay_alu instid0(VALU_DEP_1) | instskip(NEXT) | instid1(VALU_DEP_1)
	v_mul_f64 v[222:223], v[228:229], v[220:221]
	v_fma_f64 v[212:213], -v[212:213], v[222:223], v[228:229]
	s_delay_alu instid0(VALU_DEP_1) | instskip(NEXT) | instid1(VALU_DEP_1)
	v_div_fmas_f64 v[212:213], v[212:213], v[220:221], v[222:223]
	v_div_fixup_f64 v[212:213], v[212:213], v[218:219], v[216:217]
	s_delay_alu instid0(VALU_DEP_1) | instskip(NEXT) | instid1(VALU_DEP_1)
	v_fma_f64 v[216:217], v[216:217], v[212:213], v[218:219]
	v_div_scale_f64 v[218:219], null, v[216:217], v[216:217], 1.0
	s_delay_alu instid0(VALU_DEP_1) | instskip(SKIP_2) | instid1(VALU_DEP_1)
	v_rcp_f64_e32 v[220:221], v[218:219]
	s_waitcnt_depctr 0xfff
	v_fma_f64 v[222:223], -v[218:219], v[220:221], 1.0
	v_fma_f64 v[220:221], v[220:221], v[222:223], v[220:221]
	s_delay_alu instid0(VALU_DEP_1) | instskip(NEXT) | instid1(VALU_DEP_1)
	v_fma_f64 v[222:223], -v[218:219], v[220:221], 1.0
	v_fma_f64 v[220:221], v[220:221], v[222:223], v[220:221]
	v_div_scale_f64 v[222:223], vcc_lo, 1.0, v[216:217], 1.0
	s_delay_alu instid0(VALU_DEP_1) | instskip(NEXT) | instid1(VALU_DEP_1)
	v_mul_f64 v[228:229], v[222:223], v[220:221]
	v_fma_f64 v[218:219], -v[218:219], v[228:229], v[222:223]
	s_delay_alu instid0(VALU_DEP_1) | instskip(NEXT) | instid1(VALU_DEP_1)
	v_div_fmas_f64 v[218:219], v[218:219], v[220:221], v[228:229]
	v_div_fixup_f64 v[222:223], v[218:219], v[216:217], 1.0
                                        ; implicit-def: $vgpr216_vgpr217
	s_delay_alu instid0(VALU_DEP_1)
	v_mul_f64 v[212:213], v[212:213], v[222:223]
	v_xor_b32_e32 v223, 0x80000000, v223
.LBB111_446:
	s_and_not1_saveexec_b32 s3, s3
	s_cbranch_execz .LBB111_448
; %bb.447:
	v_div_scale_f64 v[212:213], null, v[216:217], v[216:217], v[218:219]
	v_div_scale_f64 v[228:229], vcc_lo, v[218:219], v[216:217], v[218:219]
	s_delay_alu instid0(VALU_DEP_2) | instskip(SKIP_2) | instid1(VALU_DEP_1)
	v_rcp_f64_e32 v[220:221], v[212:213]
	s_waitcnt_depctr 0xfff
	v_fma_f64 v[222:223], -v[212:213], v[220:221], 1.0
	v_fma_f64 v[220:221], v[220:221], v[222:223], v[220:221]
	s_delay_alu instid0(VALU_DEP_1) | instskip(NEXT) | instid1(VALU_DEP_1)
	v_fma_f64 v[222:223], -v[212:213], v[220:221], 1.0
	v_fma_f64 v[220:221], v[220:221], v[222:223], v[220:221]
	s_delay_alu instid0(VALU_DEP_1) | instskip(NEXT) | instid1(VALU_DEP_1)
	v_mul_f64 v[222:223], v[228:229], v[220:221]
	v_fma_f64 v[212:213], -v[212:213], v[222:223], v[228:229]
	s_delay_alu instid0(VALU_DEP_1) | instskip(NEXT) | instid1(VALU_DEP_1)
	v_div_fmas_f64 v[212:213], v[212:213], v[220:221], v[222:223]
	v_div_fixup_f64 v[220:221], v[212:213], v[216:217], v[218:219]
	s_delay_alu instid0(VALU_DEP_1) | instskip(NEXT) | instid1(VALU_DEP_1)
	v_fma_f64 v[212:213], v[218:219], v[220:221], v[216:217]
	v_div_scale_f64 v[216:217], null, v[212:213], v[212:213], 1.0
	s_delay_alu instid0(VALU_DEP_1) | instskip(SKIP_2) | instid1(VALU_DEP_1)
	v_rcp_f64_e32 v[218:219], v[216:217]
	s_waitcnt_depctr 0xfff
	v_fma_f64 v[222:223], -v[216:217], v[218:219], 1.0
	v_fma_f64 v[218:219], v[218:219], v[222:223], v[218:219]
	s_delay_alu instid0(VALU_DEP_1) | instskip(NEXT) | instid1(VALU_DEP_1)
	v_fma_f64 v[222:223], -v[216:217], v[218:219], 1.0
	v_fma_f64 v[218:219], v[218:219], v[222:223], v[218:219]
	v_div_scale_f64 v[222:223], vcc_lo, 1.0, v[212:213], 1.0
	s_delay_alu instid0(VALU_DEP_1) | instskip(NEXT) | instid1(VALU_DEP_1)
	v_mul_f64 v[228:229], v[222:223], v[218:219]
	v_fma_f64 v[216:217], -v[216:217], v[228:229], v[222:223]
	s_delay_alu instid0(VALU_DEP_1) | instskip(NEXT) | instid1(VALU_DEP_1)
	v_div_fmas_f64 v[216:217], v[216:217], v[218:219], v[228:229]
	v_div_fixup_f64 v[212:213], v[216:217], v[212:213], 1.0
	s_delay_alu instid0(VALU_DEP_1)
	v_mul_f64 v[222:223], v[220:221], -v[212:213]
.LBB111_448:
	s_or_b32 exec_lo, exec_lo, s3
	ds_store_2addr_b64 v251, v[212:213], v[222:223] offset1:1
.LBB111_449:
	s_or_b32 exec_lo, exec_lo, s4
	s_waitcnt lgkmcnt(0)
	s_barrier
	buffer_gl0_inv
	ds_load_2addr_b64 v[228:231], v251 offset1:1
	s_mov_b32 s3, exec_lo
	v_cmpx_lt_u32_e32 49, v248
	s_cbranch_execz .LBB111_451
; %bb.450:
	s_waitcnt lgkmcnt(0)
	v_mul_f64 v[212:213], v[228:229], v[26:27]
	v_mul_f64 v[26:27], v[230:231], v[26:27]
	ds_load_2addr_b64 v[216:219], v214 offset0:100 offset1:101
	v_fma_f64 v[212:213], v[230:231], v[24:25], v[212:213]
	v_fma_f64 v[24:25], v[228:229], v[24:25], -v[26:27]
	s_waitcnt lgkmcnt(0)
	s_delay_alu instid0(VALU_DEP_2) | instskip(NEXT) | instid1(VALU_DEP_1)
	v_mul_f64 v[26:27], v[218:219], v[212:213]
	v_fma_f64 v[26:27], v[216:217], v[24:25], -v[26:27]
	v_mul_f64 v[216:217], v[216:217], v[212:213]
	s_delay_alu instid0(VALU_DEP_2) | instskip(NEXT) | instid1(VALU_DEP_2)
	v_add_f64 v[20:21], v[20:21], -v[26:27]
	v_fma_f64 v[216:217], v[218:219], v[24:25], v[216:217]
	s_delay_alu instid0(VALU_DEP_1) | instskip(SKIP_3) | instid1(VALU_DEP_1)
	v_add_f64 v[22:23], v[22:23], -v[216:217]
	ds_load_2addr_b64 v[216:219], v214 offset0:102 offset1:103
	s_waitcnt lgkmcnt(0)
	v_mul_f64 v[26:27], v[218:219], v[212:213]
	v_fma_f64 v[26:27], v[216:217], v[24:25], -v[26:27]
	v_mul_f64 v[216:217], v[216:217], v[212:213]
	s_delay_alu instid0(VALU_DEP_2) | instskip(NEXT) | instid1(VALU_DEP_2)
	v_add_f64 v[16:17], v[16:17], -v[26:27]
	v_fma_f64 v[216:217], v[218:219], v[24:25], v[216:217]
	s_delay_alu instid0(VALU_DEP_1) | instskip(SKIP_3) | instid1(VALU_DEP_1)
	v_add_f64 v[18:19], v[18:19], -v[216:217]
	ds_load_2addr_b64 v[216:219], v214 offset0:104 offset1:105
	s_waitcnt lgkmcnt(0)
	;; [unrolled: 10-line block ×5, first 2 shown]
	v_mul_f64 v[26:27], v[218:219], v[212:213]
	v_fma_f64 v[26:27], v[216:217], v[24:25], -v[26:27]
	v_mul_f64 v[216:217], v[216:217], v[212:213]
	s_delay_alu instid0(VALU_DEP_2) | instskip(NEXT) | instid1(VALU_DEP_2)
	v_add_f64 v[0:1], v[0:1], -v[26:27]
	v_fma_f64 v[216:217], v[218:219], v[24:25], v[216:217]
	v_dual_mov_b32 v26, v212 :: v_dual_mov_b32 v27, v213
	s_delay_alu instid0(VALU_DEP_2)
	v_add_f64 v[2:3], v[2:3], -v[216:217]
.LBB111_451:
	s_or_b32 exec_lo, exec_lo, s3
	s_delay_alu instid0(SALU_CYCLE_1)
	s_mov_b32 s4, exec_lo
	s_waitcnt lgkmcnt(0)
	s_barrier
	buffer_gl0_inv
	v_cmpx_eq_u32_e32 50, v248
	s_cbranch_execz .LBB111_458
; %bb.452:
	ds_store_2addr_b64 v251, v[20:21], v[22:23] offset1:1
	ds_store_2addr_b64 v214, v[16:17], v[18:19] offset0:102 offset1:103
	ds_store_2addr_b64 v214, v[12:13], v[14:15] offset0:104 offset1:105
	;; [unrolled: 1-line block ×5, first 2 shown]
	ds_load_2addr_b64 v[216:219], v251 offset1:1
	s_waitcnt lgkmcnt(0)
	v_cmp_neq_f64_e32 vcc_lo, 0, v[216:217]
	v_cmp_neq_f64_e64 s3, 0, v[218:219]
	s_delay_alu instid0(VALU_DEP_1) | instskip(NEXT) | instid1(SALU_CYCLE_1)
	s_or_b32 s3, vcc_lo, s3
	s_and_b32 exec_lo, exec_lo, s3
	s_cbranch_execz .LBB111_458
; %bb.453:
	v_cmp_gt_f64_e32 vcc_lo, 0, v[216:217]
	v_xor_b32_e32 v208, 0x80000000, v217
	s_delay_alu instid0(VALU_DEP_1) | instskip(SKIP_3) | instid1(VALU_DEP_1)
	v_cndmask_b32_e32 v213, v217, v208, vcc_lo
	v_cndmask_b32_e32 v212, v216, v216, vcc_lo
	v_cmp_gt_f64_e32 vcc_lo, 0, v[218:219]
	v_xor_b32_e32 v208, 0x80000000, v219
	v_dual_cndmask_b32 v220, v218, v218 :: v_dual_cndmask_b32 v221, v219, v208
	s_delay_alu instid0(VALU_DEP_1) | instskip(SKIP_1) | instid1(SALU_CYCLE_1)
	v_cmp_ngt_f64_e32 vcc_lo, v[212:213], v[220:221]
                                        ; implicit-def: $vgpr212_vgpr213
	s_and_saveexec_b32 s3, vcc_lo
	s_xor_b32 s3, exec_lo, s3
                                        ; implicit-def: $vgpr220_vgpr221_vgpr222_vgpr223
	s_cbranch_execz .LBB111_455
; %bb.454:
	v_div_scale_f64 v[212:213], null, v[218:219], v[218:219], v[216:217]
	v_div_scale_f64 v[232:233], vcc_lo, v[216:217], v[218:219], v[216:217]
	s_delay_alu instid0(VALU_DEP_2) | instskip(SKIP_2) | instid1(VALU_DEP_1)
	v_rcp_f64_e32 v[220:221], v[212:213]
	s_waitcnt_depctr 0xfff
	v_fma_f64 v[222:223], -v[212:213], v[220:221], 1.0
	v_fma_f64 v[220:221], v[220:221], v[222:223], v[220:221]
	s_delay_alu instid0(VALU_DEP_1) | instskip(NEXT) | instid1(VALU_DEP_1)
	v_fma_f64 v[222:223], -v[212:213], v[220:221], 1.0
	v_fma_f64 v[220:221], v[220:221], v[222:223], v[220:221]
	s_delay_alu instid0(VALU_DEP_1) | instskip(NEXT) | instid1(VALU_DEP_1)
	v_mul_f64 v[222:223], v[232:233], v[220:221]
	v_fma_f64 v[212:213], -v[212:213], v[222:223], v[232:233]
	s_delay_alu instid0(VALU_DEP_1) | instskip(NEXT) | instid1(VALU_DEP_1)
	v_div_fmas_f64 v[212:213], v[212:213], v[220:221], v[222:223]
	v_div_fixup_f64 v[212:213], v[212:213], v[218:219], v[216:217]
	s_delay_alu instid0(VALU_DEP_1) | instskip(NEXT) | instid1(VALU_DEP_1)
	v_fma_f64 v[216:217], v[216:217], v[212:213], v[218:219]
	v_div_scale_f64 v[218:219], null, v[216:217], v[216:217], 1.0
	s_delay_alu instid0(VALU_DEP_1) | instskip(SKIP_2) | instid1(VALU_DEP_1)
	v_rcp_f64_e32 v[220:221], v[218:219]
	s_waitcnt_depctr 0xfff
	v_fma_f64 v[222:223], -v[218:219], v[220:221], 1.0
	v_fma_f64 v[220:221], v[220:221], v[222:223], v[220:221]
	s_delay_alu instid0(VALU_DEP_1) | instskip(NEXT) | instid1(VALU_DEP_1)
	v_fma_f64 v[222:223], -v[218:219], v[220:221], 1.0
	v_fma_f64 v[220:221], v[220:221], v[222:223], v[220:221]
	v_div_scale_f64 v[222:223], vcc_lo, 1.0, v[216:217], 1.0
	s_delay_alu instid0(VALU_DEP_1) | instskip(NEXT) | instid1(VALU_DEP_1)
	v_mul_f64 v[232:233], v[222:223], v[220:221]
	v_fma_f64 v[218:219], -v[218:219], v[232:233], v[222:223]
	s_delay_alu instid0(VALU_DEP_1) | instskip(NEXT) | instid1(VALU_DEP_1)
	v_div_fmas_f64 v[218:219], v[218:219], v[220:221], v[232:233]
	v_div_fixup_f64 v[222:223], v[218:219], v[216:217], 1.0
                                        ; implicit-def: $vgpr216_vgpr217
	s_delay_alu instid0(VALU_DEP_1)
	v_mul_f64 v[212:213], v[212:213], v[222:223]
	v_xor_b32_e32 v223, 0x80000000, v223
.LBB111_455:
	s_and_not1_saveexec_b32 s3, s3
	s_cbranch_execz .LBB111_457
; %bb.456:
	v_div_scale_f64 v[212:213], null, v[216:217], v[216:217], v[218:219]
	v_div_scale_f64 v[232:233], vcc_lo, v[218:219], v[216:217], v[218:219]
	s_delay_alu instid0(VALU_DEP_2) | instskip(SKIP_2) | instid1(VALU_DEP_1)
	v_rcp_f64_e32 v[220:221], v[212:213]
	s_waitcnt_depctr 0xfff
	v_fma_f64 v[222:223], -v[212:213], v[220:221], 1.0
	v_fma_f64 v[220:221], v[220:221], v[222:223], v[220:221]
	s_delay_alu instid0(VALU_DEP_1) | instskip(NEXT) | instid1(VALU_DEP_1)
	v_fma_f64 v[222:223], -v[212:213], v[220:221], 1.0
	v_fma_f64 v[220:221], v[220:221], v[222:223], v[220:221]
	s_delay_alu instid0(VALU_DEP_1) | instskip(NEXT) | instid1(VALU_DEP_1)
	v_mul_f64 v[222:223], v[232:233], v[220:221]
	v_fma_f64 v[212:213], -v[212:213], v[222:223], v[232:233]
	s_delay_alu instid0(VALU_DEP_1) | instskip(NEXT) | instid1(VALU_DEP_1)
	v_div_fmas_f64 v[212:213], v[212:213], v[220:221], v[222:223]
	v_div_fixup_f64 v[220:221], v[212:213], v[216:217], v[218:219]
	s_delay_alu instid0(VALU_DEP_1) | instskip(NEXT) | instid1(VALU_DEP_1)
	v_fma_f64 v[212:213], v[218:219], v[220:221], v[216:217]
	v_div_scale_f64 v[216:217], null, v[212:213], v[212:213], 1.0
	s_delay_alu instid0(VALU_DEP_1) | instskip(SKIP_2) | instid1(VALU_DEP_1)
	v_rcp_f64_e32 v[218:219], v[216:217]
	s_waitcnt_depctr 0xfff
	v_fma_f64 v[222:223], -v[216:217], v[218:219], 1.0
	v_fma_f64 v[218:219], v[218:219], v[222:223], v[218:219]
	s_delay_alu instid0(VALU_DEP_1) | instskip(NEXT) | instid1(VALU_DEP_1)
	v_fma_f64 v[222:223], -v[216:217], v[218:219], 1.0
	v_fma_f64 v[218:219], v[218:219], v[222:223], v[218:219]
	v_div_scale_f64 v[222:223], vcc_lo, 1.0, v[212:213], 1.0
	s_delay_alu instid0(VALU_DEP_1) | instskip(NEXT) | instid1(VALU_DEP_1)
	v_mul_f64 v[232:233], v[222:223], v[218:219]
	v_fma_f64 v[216:217], -v[216:217], v[232:233], v[222:223]
	s_delay_alu instid0(VALU_DEP_1) | instskip(NEXT) | instid1(VALU_DEP_1)
	v_div_fmas_f64 v[216:217], v[216:217], v[218:219], v[232:233]
	v_div_fixup_f64 v[212:213], v[216:217], v[212:213], 1.0
	s_delay_alu instid0(VALU_DEP_1)
	v_mul_f64 v[222:223], v[220:221], -v[212:213]
.LBB111_457:
	s_or_b32 exec_lo, exec_lo, s3
	ds_store_2addr_b64 v251, v[212:213], v[222:223] offset1:1
.LBB111_458:
	s_or_b32 exec_lo, exec_lo, s4
	s_waitcnt lgkmcnt(0)
	s_barrier
	buffer_gl0_inv
	ds_load_2addr_b64 v[232:235], v251 offset1:1
	s_mov_b32 s3, exec_lo
	v_cmpx_lt_u32_e32 50, v248
	s_cbranch_execz .LBB111_460
; %bb.459:
	s_waitcnt lgkmcnt(0)
	v_mul_f64 v[212:213], v[232:233], v[22:23]
	v_mul_f64 v[22:23], v[234:235], v[22:23]
	ds_load_2addr_b64 v[216:219], v214 offset0:102 offset1:103
	v_fma_f64 v[212:213], v[234:235], v[20:21], v[212:213]
	v_fma_f64 v[20:21], v[232:233], v[20:21], -v[22:23]
	s_waitcnt lgkmcnt(0)
	s_delay_alu instid0(VALU_DEP_2) | instskip(NEXT) | instid1(VALU_DEP_1)
	v_mul_f64 v[22:23], v[218:219], v[212:213]
	v_fma_f64 v[22:23], v[216:217], v[20:21], -v[22:23]
	v_mul_f64 v[216:217], v[216:217], v[212:213]
	s_delay_alu instid0(VALU_DEP_2) | instskip(NEXT) | instid1(VALU_DEP_2)
	v_add_f64 v[16:17], v[16:17], -v[22:23]
	v_fma_f64 v[216:217], v[218:219], v[20:21], v[216:217]
	s_delay_alu instid0(VALU_DEP_1) | instskip(SKIP_3) | instid1(VALU_DEP_1)
	v_add_f64 v[18:19], v[18:19], -v[216:217]
	ds_load_2addr_b64 v[216:219], v214 offset0:104 offset1:105
	s_waitcnt lgkmcnt(0)
	v_mul_f64 v[22:23], v[218:219], v[212:213]
	v_fma_f64 v[22:23], v[216:217], v[20:21], -v[22:23]
	v_mul_f64 v[216:217], v[216:217], v[212:213]
	s_delay_alu instid0(VALU_DEP_2) | instskip(NEXT) | instid1(VALU_DEP_2)
	v_add_f64 v[12:13], v[12:13], -v[22:23]
	v_fma_f64 v[216:217], v[218:219], v[20:21], v[216:217]
	s_delay_alu instid0(VALU_DEP_1) | instskip(SKIP_3) | instid1(VALU_DEP_1)
	v_add_f64 v[14:15], v[14:15], -v[216:217]
	ds_load_2addr_b64 v[216:219], v214 offset0:106 offset1:107
	s_waitcnt lgkmcnt(0)
	;; [unrolled: 10-line block ×4, first 2 shown]
	v_mul_f64 v[22:23], v[218:219], v[212:213]
	v_fma_f64 v[22:23], v[216:217], v[20:21], -v[22:23]
	v_mul_f64 v[216:217], v[216:217], v[212:213]
	s_delay_alu instid0(VALU_DEP_2) | instskip(NEXT) | instid1(VALU_DEP_2)
	v_add_f64 v[0:1], v[0:1], -v[22:23]
	v_fma_f64 v[216:217], v[218:219], v[20:21], v[216:217]
	v_dual_mov_b32 v22, v212 :: v_dual_mov_b32 v23, v213
	s_delay_alu instid0(VALU_DEP_2)
	v_add_f64 v[2:3], v[2:3], -v[216:217]
.LBB111_460:
	s_or_b32 exec_lo, exec_lo, s3
	s_delay_alu instid0(SALU_CYCLE_1)
	s_mov_b32 s4, exec_lo
	s_waitcnt lgkmcnt(0)
	s_barrier
	buffer_gl0_inv
	v_cmpx_eq_u32_e32 51, v248
	s_cbranch_execz .LBB111_467
; %bb.461:
	ds_store_2addr_b64 v251, v[16:17], v[18:19] offset1:1
	ds_store_2addr_b64 v214, v[12:13], v[14:15] offset0:104 offset1:105
	ds_store_2addr_b64 v214, v[8:9], v[10:11] offset0:106 offset1:107
	;; [unrolled: 1-line block ×4, first 2 shown]
	ds_load_2addr_b64 v[216:219], v251 offset1:1
	s_waitcnt lgkmcnt(0)
	v_cmp_neq_f64_e32 vcc_lo, 0, v[216:217]
	v_cmp_neq_f64_e64 s3, 0, v[218:219]
	s_delay_alu instid0(VALU_DEP_1) | instskip(NEXT) | instid1(SALU_CYCLE_1)
	s_or_b32 s3, vcc_lo, s3
	s_and_b32 exec_lo, exec_lo, s3
	s_cbranch_execz .LBB111_467
; %bb.462:
	v_cmp_gt_f64_e32 vcc_lo, 0, v[216:217]
	v_xor_b32_e32 v208, 0x80000000, v217
	s_delay_alu instid0(VALU_DEP_1) | instskip(SKIP_3) | instid1(VALU_DEP_1)
	v_cndmask_b32_e32 v213, v217, v208, vcc_lo
	v_cndmask_b32_e32 v212, v216, v216, vcc_lo
	v_cmp_gt_f64_e32 vcc_lo, 0, v[218:219]
	v_xor_b32_e32 v208, 0x80000000, v219
	v_dual_cndmask_b32 v220, v218, v218 :: v_dual_cndmask_b32 v221, v219, v208
	s_delay_alu instid0(VALU_DEP_1) | instskip(SKIP_1) | instid1(SALU_CYCLE_1)
	v_cmp_ngt_f64_e32 vcc_lo, v[212:213], v[220:221]
                                        ; implicit-def: $vgpr212_vgpr213
	s_and_saveexec_b32 s3, vcc_lo
	s_xor_b32 s3, exec_lo, s3
                                        ; implicit-def: $vgpr220_vgpr221_vgpr222_vgpr223
	s_cbranch_execz .LBB111_464
; %bb.463:
	v_div_scale_f64 v[212:213], null, v[218:219], v[218:219], v[216:217]
	v_div_scale_f64 v[236:237], vcc_lo, v[216:217], v[218:219], v[216:217]
	s_delay_alu instid0(VALU_DEP_2) | instskip(SKIP_2) | instid1(VALU_DEP_1)
	v_rcp_f64_e32 v[220:221], v[212:213]
	s_waitcnt_depctr 0xfff
	v_fma_f64 v[222:223], -v[212:213], v[220:221], 1.0
	v_fma_f64 v[220:221], v[220:221], v[222:223], v[220:221]
	s_delay_alu instid0(VALU_DEP_1) | instskip(NEXT) | instid1(VALU_DEP_1)
	v_fma_f64 v[222:223], -v[212:213], v[220:221], 1.0
	v_fma_f64 v[220:221], v[220:221], v[222:223], v[220:221]
	s_delay_alu instid0(VALU_DEP_1) | instskip(NEXT) | instid1(VALU_DEP_1)
	v_mul_f64 v[222:223], v[236:237], v[220:221]
	v_fma_f64 v[212:213], -v[212:213], v[222:223], v[236:237]
	s_delay_alu instid0(VALU_DEP_1) | instskip(NEXT) | instid1(VALU_DEP_1)
	v_div_fmas_f64 v[212:213], v[212:213], v[220:221], v[222:223]
	v_div_fixup_f64 v[212:213], v[212:213], v[218:219], v[216:217]
	s_delay_alu instid0(VALU_DEP_1) | instskip(NEXT) | instid1(VALU_DEP_1)
	v_fma_f64 v[216:217], v[216:217], v[212:213], v[218:219]
	v_div_scale_f64 v[218:219], null, v[216:217], v[216:217], 1.0
	s_delay_alu instid0(VALU_DEP_1) | instskip(SKIP_2) | instid1(VALU_DEP_1)
	v_rcp_f64_e32 v[220:221], v[218:219]
	s_waitcnt_depctr 0xfff
	v_fma_f64 v[222:223], -v[218:219], v[220:221], 1.0
	v_fma_f64 v[220:221], v[220:221], v[222:223], v[220:221]
	s_delay_alu instid0(VALU_DEP_1) | instskip(NEXT) | instid1(VALU_DEP_1)
	v_fma_f64 v[222:223], -v[218:219], v[220:221], 1.0
	v_fma_f64 v[220:221], v[220:221], v[222:223], v[220:221]
	v_div_scale_f64 v[222:223], vcc_lo, 1.0, v[216:217], 1.0
	s_delay_alu instid0(VALU_DEP_1) | instskip(NEXT) | instid1(VALU_DEP_1)
	v_mul_f64 v[236:237], v[222:223], v[220:221]
	v_fma_f64 v[218:219], -v[218:219], v[236:237], v[222:223]
	s_delay_alu instid0(VALU_DEP_1) | instskip(NEXT) | instid1(VALU_DEP_1)
	v_div_fmas_f64 v[218:219], v[218:219], v[220:221], v[236:237]
	v_div_fixup_f64 v[222:223], v[218:219], v[216:217], 1.0
                                        ; implicit-def: $vgpr216_vgpr217
	s_delay_alu instid0(VALU_DEP_1)
	v_mul_f64 v[212:213], v[212:213], v[222:223]
	v_xor_b32_e32 v223, 0x80000000, v223
.LBB111_464:
	s_and_not1_saveexec_b32 s3, s3
	s_cbranch_execz .LBB111_466
; %bb.465:
	v_div_scale_f64 v[212:213], null, v[216:217], v[216:217], v[218:219]
	v_div_scale_f64 v[236:237], vcc_lo, v[218:219], v[216:217], v[218:219]
	s_delay_alu instid0(VALU_DEP_2) | instskip(SKIP_2) | instid1(VALU_DEP_1)
	v_rcp_f64_e32 v[220:221], v[212:213]
	s_waitcnt_depctr 0xfff
	v_fma_f64 v[222:223], -v[212:213], v[220:221], 1.0
	v_fma_f64 v[220:221], v[220:221], v[222:223], v[220:221]
	s_delay_alu instid0(VALU_DEP_1) | instskip(NEXT) | instid1(VALU_DEP_1)
	v_fma_f64 v[222:223], -v[212:213], v[220:221], 1.0
	v_fma_f64 v[220:221], v[220:221], v[222:223], v[220:221]
	s_delay_alu instid0(VALU_DEP_1) | instskip(NEXT) | instid1(VALU_DEP_1)
	v_mul_f64 v[222:223], v[236:237], v[220:221]
	v_fma_f64 v[212:213], -v[212:213], v[222:223], v[236:237]
	s_delay_alu instid0(VALU_DEP_1) | instskip(NEXT) | instid1(VALU_DEP_1)
	v_div_fmas_f64 v[212:213], v[212:213], v[220:221], v[222:223]
	v_div_fixup_f64 v[220:221], v[212:213], v[216:217], v[218:219]
	s_delay_alu instid0(VALU_DEP_1) | instskip(NEXT) | instid1(VALU_DEP_1)
	v_fma_f64 v[212:213], v[218:219], v[220:221], v[216:217]
	v_div_scale_f64 v[216:217], null, v[212:213], v[212:213], 1.0
	s_delay_alu instid0(VALU_DEP_1) | instskip(SKIP_2) | instid1(VALU_DEP_1)
	v_rcp_f64_e32 v[218:219], v[216:217]
	s_waitcnt_depctr 0xfff
	v_fma_f64 v[222:223], -v[216:217], v[218:219], 1.0
	v_fma_f64 v[218:219], v[218:219], v[222:223], v[218:219]
	s_delay_alu instid0(VALU_DEP_1) | instskip(NEXT) | instid1(VALU_DEP_1)
	v_fma_f64 v[222:223], -v[216:217], v[218:219], 1.0
	v_fma_f64 v[218:219], v[218:219], v[222:223], v[218:219]
	v_div_scale_f64 v[222:223], vcc_lo, 1.0, v[212:213], 1.0
	s_delay_alu instid0(VALU_DEP_1) | instskip(NEXT) | instid1(VALU_DEP_1)
	v_mul_f64 v[236:237], v[222:223], v[218:219]
	v_fma_f64 v[216:217], -v[216:217], v[236:237], v[222:223]
	s_delay_alu instid0(VALU_DEP_1) | instskip(NEXT) | instid1(VALU_DEP_1)
	v_div_fmas_f64 v[216:217], v[216:217], v[218:219], v[236:237]
	v_div_fixup_f64 v[212:213], v[216:217], v[212:213], 1.0
	s_delay_alu instid0(VALU_DEP_1)
	v_mul_f64 v[222:223], v[220:221], -v[212:213]
.LBB111_466:
	s_or_b32 exec_lo, exec_lo, s3
	ds_store_2addr_b64 v251, v[212:213], v[222:223] offset1:1
.LBB111_467:
	s_or_b32 exec_lo, exec_lo, s4
	s_waitcnt lgkmcnt(0)
	s_barrier
	buffer_gl0_inv
	ds_load_2addr_b64 v[236:239], v251 offset1:1
	s_mov_b32 s3, exec_lo
	v_cmpx_lt_u32_e32 51, v248
	s_cbranch_execz .LBB111_469
; %bb.468:
	s_waitcnt lgkmcnt(0)
	v_mul_f64 v[212:213], v[236:237], v[18:19]
	v_mul_f64 v[18:19], v[238:239], v[18:19]
	ds_load_2addr_b64 v[216:219], v214 offset0:104 offset1:105
	v_fma_f64 v[212:213], v[238:239], v[16:17], v[212:213]
	v_fma_f64 v[16:17], v[236:237], v[16:17], -v[18:19]
	s_waitcnt lgkmcnt(0)
	s_delay_alu instid0(VALU_DEP_2) | instskip(NEXT) | instid1(VALU_DEP_1)
	v_mul_f64 v[18:19], v[218:219], v[212:213]
	v_fma_f64 v[18:19], v[216:217], v[16:17], -v[18:19]
	v_mul_f64 v[216:217], v[216:217], v[212:213]
	s_delay_alu instid0(VALU_DEP_2) | instskip(NEXT) | instid1(VALU_DEP_2)
	v_add_f64 v[12:13], v[12:13], -v[18:19]
	v_fma_f64 v[216:217], v[218:219], v[16:17], v[216:217]
	s_delay_alu instid0(VALU_DEP_1) | instskip(SKIP_3) | instid1(VALU_DEP_1)
	v_add_f64 v[14:15], v[14:15], -v[216:217]
	ds_load_2addr_b64 v[216:219], v214 offset0:106 offset1:107
	s_waitcnt lgkmcnt(0)
	v_mul_f64 v[18:19], v[218:219], v[212:213]
	v_fma_f64 v[18:19], v[216:217], v[16:17], -v[18:19]
	v_mul_f64 v[216:217], v[216:217], v[212:213]
	s_delay_alu instid0(VALU_DEP_2) | instskip(NEXT) | instid1(VALU_DEP_2)
	v_add_f64 v[8:9], v[8:9], -v[18:19]
	v_fma_f64 v[216:217], v[218:219], v[16:17], v[216:217]
	s_delay_alu instid0(VALU_DEP_1) | instskip(SKIP_3) | instid1(VALU_DEP_1)
	v_add_f64 v[10:11], v[10:11], -v[216:217]
	ds_load_2addr_b64 v[216:219], v214 offset0:108 offset1:109
	s_waitcnt lgkmcnt(0)
	;; [unrolled: 10-line block ×3, first 2 shown]
	v_mul_f64 v[18:19], v[218:219], v[212:213]
	v_fma_f64 v[18:19], v[216:217], v[16:17], -v[18:19]
	v_mul_f64 v[216:217], v[216:217], v[212:213]
	s_delay_alu instid0(VALU_DEP_2) | instskip(NEXT) | instid1(VALU_DEP_2)
	v_add_f64 v[0:1], v[0:1], -v[18:19]
	v_fma_f64 v[216:217], v[218:219], v[16:17], v[216:217]
	v_dual_mov_b32 v18, v212 :: v_dual_mov_b32 v19, v213
	s_delay_alu instid0(VALU_DEP_2)
	v_add_f64 v[2:3], v[2:3], -v[216:217]
.LBB111_469:
	s_or_b32 exec_lo, exec_lo, s3
	s_delay_alu instid0(SALU_CYCLE_1)
	s_mov_b32 s4, exec_lo
	s_waitcnt lgkmcnt(0)
	s_barrier
	buffer_gl0_inv
	v_cmpx_eq_u32_e32 52, v248
	s_cbranch_execz .LBB111_476
; %bb.470:
	ds_store_2addr_b64 v251, v[12:13], v[14:15] offset1:1
	ds_store_2addr_b64 v214, v[8:9], v[10:11] offset0:106 offset1:107
	ds_store_2addr_b64 v214, v[4:5], v[6:7] offset0:108 offset1:109
	;; [unrolled: 1-line block ×3, first 2 shown]
	ds_load_2addr_b64 v[216:219], v251 offset1:1
	s_waitcnt lgkmcnt(0)
	v_cmp_neq_f64_e32 vcc_lo, 0, v[216:217]
	v_cmp_neq_f64_e64 s3, 0, v[218:219]
	s_delay_alu instid0(VALU_DEP_1) | instskip(NEXT) | instid1(SALU_CYCLE_1)
	s_or_b32 s3, vcc_lo, s3
	s_and_b32 exec_lo, exec_lo, s3
	s_cbranch_execz .LBB111_476
; %bb.471:
	v_cmp_gt_f64_e32 vcc_lo, 0, v[216:217]
	v_xor_b32_e32 v208, 0x80000000, v217
	s_delay_alu instid0(VALU_DEP_1) | instskip(SKIP_3) | instid1(VALU_DEP_1)
	v_cndmask_b32_e32 v213, v217, v208, vcc_lo
	v_cndmask_b32_e32 v212, v216, v216, vcc_lo
	v_cmp_gt_f64_e32 vcc_lo, 0, v[218:219]
	v_xor_b32_e32 v208, 0x80000000, v219
	v_dual_cndmask_b32 v220, v218, v218 :: v_dual_cndmask_b32 v221, v219, v208
	s_delay_alu instid0(VALU_DEP_1) | instskip(SKIP_1) | instid1(SALU_CYCLE_1)
	v_cmp_ngt_f64_e32 vcc_lo, v[212:213], v[220:221]
                                        ; implicit-def: $vgpr212_vgpr213
	s_and_saveexec_b32 s3, vcc_lo
	s_xor_b32 s3, exec_lo, s3
                                        ; implicit-def: $vgpr220_vgpr221_vgpr222_vgpr223
	s_cbranch_execz .LBB111_473
; %bb.472:
	v_div_scale_f64 v[212:213], null, v[218:219], v[218:219], v[216:217]
	v_div_scale_f64 v[240:241], vcc_lo, v[216:217], v[218:219], v[216:217]
	s_delay_alu instid0(VALU_DEP_2) | instskip(SKIP_2) | instid1(VALU_DEP_1)
	v_rcp_f64_e32 v[220:221], v[212:213]
	s_waitcnt_depctr 0xfff
	v_fma_f64 v[222:223], -v[212:213], v[220:221], 1.0
	v_fma_f64 v[220:221], v[220:221], v[222:223], v[220:221]
	s_delay_alu instid0(VALU_DEP_1) | instskip(NEXT) | instid1(VALU_DEP_1)
	v_fma_f64 v[222:223], -v[212:213], v[220:221], 1.0
	v_fma_f64 v[220:221], v[220:221], v[222:223], v[220:221]
	s_delay_alu instid0(VALU_DEP_1) | instskip(NEXT) | instid1(VALU_DEP_1)
	v_mul_f64 v[222:223], v[240:241], v[220:221]
	v_fma_f64 v[212:213], -v[212:213], v[222:223], v[240:241]
	s_delay_alu instid0(VALU_DEP_1) | instskip(NEXT) | instid1(VALU_DEP_1)
	v_div_fmas_f64 v[212:213], v[212:213], v[220:221], v[222:223]
	v_div_fixup_f64 v[212:213], v[212:213], v[218:219], v[216:217]
	s_delay_alu instid0(VALU_DEP_1) | instskip(NEXT) | instid1(VALU_DEP_1)
	v_fma_f64 v[216:217], v[216:217], v[212:213], v[218:219]
	v_div_scale_f64 v[218:219], null, v[216:217], v[216:217], 1.0
	s_delay_alu instid0(VALU_DEP_1) | instskip(SKIP_2) | instid1(VALU_DEP_1)
	v_rcp_f64_e32 v[220:221], v[218:219]
	s_waitcnt_depctr 0xfff
	v_fma_f64 v[222:223], -v[218:219], v[220:221], 1.0
	v_fma_f64 v[220:221], v[220:221], v[222:223], v[220:221]
	s_delay_alu instid0(VALU_DEP_1) | instskip(NEXT) | instid1(VALU_DEP_1)
	v_fma_f64 v[222:223], -v[218:219], v[220:221], 1.0
	v_fma_f64 v[220:221], v[220:221], v[222:223], v[220:221]
	v_div_scale_f64 v[222:223], vcc_lo, 1.0, v[216:217], 1.0
	s_delay_alu instid0(VALU_DEP_1) | instskip(NEXT) | instid1(VALU_DEP_1)
	v_mul_f64 v[240:241], v[222:223], v[220:221]
	v_fma_f64 v[218:219], -v[218:219], v[240:241], v[222:223]
	s_delay_alu instid0(VALU_DEP_1) | instskip(NEXT) | instid1(VALU_DEP_1)
	v_div_fmas_f64 v[218:219], v[218:219], v[220:221], v[240:241]
	v_div_fixup_f64 v[222:223], v[218:219], v[216:217], 1.0
                                        ; implicit-def: $vgpr216_vgpr217
	s_delay_alu instid0(VALU_DEP_1)
	v_mul_f64 v[212:213], v[212:213], v[222:223]
	v_xor_b32_e32 v223, 0x80000000, v223
.LBB111_473:
	s_and_not1_saveexec_b32 s3, s3
	s_cbranch_execz .LBB111_475
; %bb.474:
	v_div_scale_f64 v[212:213], null, v[216:217], v[216:217], v[218:219]
	v_div_scale_f64 v[240:241], vcc_lo, v[218:219], v[216:217], v[218:219]
	s_delay_alu instid0(VALU_DEP_2) | instskip(SKIP_2) | instid1(VALU_DEP_1)
	v_rcp_f64_e32 v[220:221], v[212:213]
	s_waitcnt_depctr 0xfff
	v_fma_f64 v[222:223], -v[212:213], v[220:221], 1.0
	v_fma_f64 v[220:221], v[220:221], v[222:223], v[220:221]
	s_delay_alu instid0(VALU_DEP_1) | instskip(NEXT) | instid1(VALU_DEP_1)
	v_fma_f64 v[222:223], -v[212:213], v[220:221], 1.0
	v_fma_f64 v[220:221], v[220:221], v[222:223], v[220:221]
	s_delay_alu instid0(VALU_DEP_1) | instskip(NEXT) | instid1(VALU_DEP_1)
	v_mul_f64 v[222:223], v[240:241], v[220:221]
	v_fma_f64 v[212:213], -v[212:213], v[222:223], v[240:241]
	s_delay_alu instid0(VALU_DEP_1) | instskip(NEXT) | instid1(VALU_DEP_1)
	v_div_fmas_f64 v[212:213], v[212:213], v[220:221], v[222:223]
	v_div_fixup_f64 v[220:221], v[212:213], v[216:217], v[218:219]
	s_delay_alu instid0(VALU_DEP_1) | instskip(NEXT) | instid1(VALU_DEP_1)
	v_fma_f64 v[212:213], v[218:219], v[220:221], v[216:217]
	v_div_scale_f64 v[216:217], null, v[212:213], v[212:213], 1.0
	s_delay_alu instid0(VALU_DEP_1) | instskip(SKIP_2) | instid1(VALU_DEP_1)
	v_rcp_f64_e32 v[218:219], v[216:217]
	s_waitcnt_depctr 0xfff
	v_fma_f64 v[222:223], -v[216:217], v[218:219], 1.0
	v_fma_f64 v[218:219], v[218:219], v[222:223], v[218:219]
	s_delay_alu instid0(VALU_DEP_1) | instskip(NEXT) | instid1(VALU_DEP_1)
	v_fma_f64 v[222:223], -v[216:217], v[218:219], 1.0
	v_fma_f64 v[218:219], v[218:219], v[222:223], v[218:219]
	v_div_scale_f64 v[222:223], vcc_lo, 1.0, v[212:213], 1.0
	s_delay_alu instid0(VALU_DEP_1) | instskip(NEXT) | instid1(VALU_DEP_1)
	v_mul_f64 v[240:241], v[222:223], v[218:219]
	v_fma_f64 v[216:217], -v[216:217], v[240:241], v[222:223]
	s_delay_alu instid0(VALU_DEP_1) | instskip(NEXT) | instid1(VALU_DEP_1)
	v_div_fmas_f64 v[216:217], v[216:217], v[218:219], v[240:241]
	v_div_fixup_f64 v[212:213], v[216:217], v[212:213], 1.0
	s_delay_alu instid0(VALU_DEP_1)
	v_mul_f64 v[222:223], v[220:221], -v[212:213]
.LBB111_475:
	s_or_b32 exec_lo, exec_lo, s3
	ds_store_2addr_b64 v251, v[212:213], v[222:223] offset1:1
.LBB111_476:
	s_or_b32 exec_lo, exec_lo, s4
	s_waitcnt lgkmcnt(0)
	s_barrier
	buffer_gl0_inv
	ds_load_2addr_b64 v[240:243], v251 offset1:1
	s_mov_b32 s3, exec_lo
	v_cmpx_lt_u32_e32 52, v248
	s_cbranch_execz .LBB111_478
; %bb.477:
	s_waitcnt lgkmcnt(0)
	v_mul_f64 v[212:213], v[240:241], v[14:15]
	v_mul_f64 v[14:15], v[242:243], v[14:15]
	ds_load_2addr_b64 v[216:219], v214 offset0:106 offset1:107
	v_fma_f64 v[212:213], v[242:243], v[12:13], v[212:213]
	v_fma_f64 v[12:13], v[240:241], v[12:13], -v[14:15]
	s_waitcnt lgkmcnt(0)
	s_delay_alu instid0(VALU_DEP_2) | instskip(NEXT) | instid1(VALU_DEP_1)
	v_mul_f64 v[14:15], v[218:219], v[212:213]
	v_fma_f64 v[14:15], v[216:217], v[12:13], -v[14:15]
	v_mul_f64 v[216:217], v[216:217], v[212:213]
	s_delay_alu instid0(VALU_DEP_2) | instskip(NEXT) | instid1(VALU_DEP_2)
	v_add_f64 v[8:9], v[8:9], -v[14:15]
	v_fma_f64 v[216:217], v[218:219], v[12:13], v[216:217]
	s_delay_alu instid0(VALU_DEP_1) | instskip(SKIP_3) | instid1(VALU_DEP_1)
	v_add_f64 v[10:11], v[10:11], -v[216:217]
	ds_load_2addr_b64 v[216:219], v214 offset0:108 offset1:109
	s_waitcnt lgkmcnt(0)
	v_mul_f64 v[14:15], v[218:219], v[212:213]
	v_fma_f64 v[14:15], v[216:217], v[12:13], -v[14:15]
	v_mul_f64 v[216:217], v[216:217], v[212:213]
	s_delay_alu instid0(VALU_DEP_2) | instskip(NEXT) | instid1(VALU_DEP_2)
	v_add_f64 v[4:5], v[4:5], -v[14:15]
	v_fma_f64 v[216:217], v[218:219], v[12:13], v[216:217]
	s_delay_alu instid0(VALU_DEP_1) | instskip(SKIP_3) | instid1(VALU_DEP_1)
	v_add_f64 v[6:7], v[6:7], -v[216:217]
	ds_load_2addr_b64 v[216:219], v214 offset0:110 offset1:111
	s_waitcnt lgkmcnt(0)
	v_mul_f64 v[14:15], v[218:219], v[212:213]
	v_fma_f64 v[14:15], v[216:217], v[12:13], -v[14:15]
	v_mul_f64 v[216:217], v[216:217], v[212:213]
	s_delay_alu instid0(VALU_DEP_2) | instskip(NEXT) | instid1(VALU_DEP_2)
	v_add_f64 v[0:1], v[0:1], -v[14:15]
	v_fma_f64 v[216:217], v[218:219], v[12:13], v[216:217]
	v_dual_mov_b32 v14, v212 :: v_dual_mov_b32 v15, v213
	s_delay_alu instid0(VALU_DEP_2)
	v_add_f64 v[2:3], v[2:3], -v[216:217]
.LBB111_478:
	s_or_b32 exec_lo, exec_lo, s3
	s_delay_alu instid0(SALU_CYCLE_1)
	s_mov_b32 s4, exec_lo
	s_waitcnt lgkmcnt(0)
	s_barrier
	buffer_gl0_inv
	v_cmpx_eq_u32_e32 53, v248
	s_cbranch_execz .LBB111_485
; %bb.479:
	ds_store_2addr_b64 v251, v[8:9], v[10:11] offset1:1
	ds_store_2addr_b64 v214, v[4:5], v[6:7] offset0:108 offset1:109
	ds_store_2addr_b64 v214, v[0:1], v[2:3] offset0:110 offset1:111
	ds_load_2addr_b64 v[216:219], v251 offset1:1
	s_waitcnt lgkmcnt(0)
	v_cmp_neq_f64_e32 vcc_lo, 0, v[216:217]
	v_cmp_neq_f64_e64 s3, 0, v[218:219]
	s_delay_alu instid0(VALU_DEP_1) | instskip(NEXT) | instid1(SALU_CYCLE_1)
	s_or_b32 s3, vcc_lo, s3
	s_and_b32 exec_lo, exec_lo, s3
	s_cbranch_execz .LBB111_485
; %bb.480:
	v_cmp_gt_f64_e32 vcc_lo, 0, v[216:217]
	v_xor_b32_e32 v208, 0x80000000, v217
	s_delay_alu instid0(VALU_DEP_1) | instskip(SKIP_3) | instid1(VALU_DEP_1)
	v_cndmask_b32_e32 v213, v217, v208, vcc_lo
	v_cndmask_b32_e32 v212, v216, v216, vcc_lo
	v_cmp_gt_f64_e32 vcc_lo, 0, v[218:219]
	v_xor_b32_e32 v208, 0x80000000, v219
	v_dual_cndmask_b32 v220, v218, v218 :: v_dual_cndmask_b32 v221, v219, v208
	s_delay_alu instid0(VALU_DEP_1) | instskip(SKIP_1) | instid1(SALU_CYCLE_1)
	v_cmp_ngt_f64_e32 vcc_lo, v[212:213], v[220:221]
                                        ; implicit-def: $vgpr212_vgpr213
	s_and_saveexec_b32 s3, vcc_lo
	s_xor_b32 s3, exec_lo, s3
                                        ; implicit-def: $vgpr220_vgpr221_vgpr222_vgpr223
	s_cbranch_execz .LBB111_482
; %bb.481:
	v_div_scale_f64 v[212:213], null, v[218:219], v[218:219], v[216:217]
	v_div_scale_f64 v[244:245], vcc_lo, v[216:217], v[218:219], v[216:217]
	s_delay_alu instid0(VALU_DEP_2) | instskip(SKIP_2) | instid1(VALU_DEP_1)
	v_rcp_f64_e32 v[220:221], v[212:213]
	s_waitcnt_depctr 0xfff
	v_fma_f64 v[222:223], -v[212:213], v[220:221], 1.0
	v_fma_f64 v[220:221], v[220:221], v[222:223], v[220:221]
	s_delay_alu instid0(VALU_DEP_1) | instskip(NEXT) | instid1(VALU_DEP_1)
	v_fma_f64 v[222:223], -v[212:213], v[220:221], 1.0
	v_fma_f64 v[220:221], v[220:221], v[222:223], v[220:221]
	s_delay_alu instid0(VALU_DEP_1) | instskip(NEXT) | instid1(VALU_DEP_1)
	v_mul_f64 v[222:223], v[244:245], v[220:221]
	v_fma_f64 v[212:213], -v[212:213], v[222:223], v[244:245]
	s_delay_alu instid0(VALU_DEP_1) | instskip(NEXT) | instid1(VALU_DEP_1)
	v_div_fmas_f64 v[212:213], v[212:213], v[220:221], v[222:223]
	v_div_fixup_f64 v[212:213], v[212:213], v[218:219], v[216:217]
	s_delay_alu instid0(VALU_DEP_1) | instskip(NEXT) | instid1(VALU_DEP_1)
	v_fma_f64 v[216:217], v[216:217], v[212:213], v[218:219]
	v_div_scale_f64 v[218:219], null, v[216:217], v[216:217], 1.0
	s_delay_alu instid0(VALU_DEP_1) | instskip(SKIP_2) | instid1(VALU_DEP_1)
	v_rcp_f64_e32 v[220:221], v[218:219]
	s_waitcnt_depctr 0xfff
	v_fma_f64 v[222:223], -v[218:219], v[220:221], 1.0
	v_fma_f64 v[220:221], v[220:221], v[222:223], v[220:221]
	s_delay_alu instid0(VALU_DEP_1) | instskip(NEXT) | instid1(VALU_DEP_1)
	v_fma_f64 v[222:223], -v[218:219], v[220:221], 1.0
	v_fma_f64 v[220:221], v[220:221], v[222:223], v[220:221]
	v_div_scale_f64 v[222:223], vcc_lo, 1.0, v[216:217], 1.0
	s_delay_alu instid0(VALU_DEP_1) | instskip(NEXT) | instid1(VALU_DEP_1)
	v_mul_f64 v[244:245], v[222:223], v[220:221]
	v_fma_f64 v[218:219], -v[218:219], v[244:245], v[222:223]
	s_delay_alu instid0(VALU_DEP_1) | instskip(NEXT) | instid1(VALU_DEP_1)
	v_div_fmas_f64 v[218:219], v[218:219], v[220:221], v[244:245]
	v_div_fixup_f64 v[222:223], v[218:219], v[216:217], 1.0
                                        ; implicit-def: $vgpr216_vgpr217
	s_delay_alu instid0(VALU_DEP_1)
	v_mul_f64 v[212:213], v[212:213], v[222:223]
	v_xor_b32_e32 v223, 0x80000000, v223
.LBB111_482:
	s_and_not1_saveexec_b32 s3, s3
	s_cbranch_execz .LBB111_484
; %bb.483:
	v_div_scale_f64 v[212:213], null, v[216:217], v[216:217], v[218:219]
	v_div_scale_f64 v[244:245], vcc_lo, v[218:219], v[216:217], v[218:219]
	s_delay_alu instid0(VALU_DEP_2) | instskip(SKIP_2) | instid1(VALU_DEP_1)
	v_rcp_f64_e32 v[220:221], v[212:213]
	s_waitcnt_depctr 0xfff
	v_fma_f64 v[222:223], -v[212:213], v[220:221], 1.0
	v_fma_f64 v[220:221], v[220:221], v[222:223], v[220:221]
	s_delay_alu instid0(VALU_DEP_1) | instskip(NEXT) | instid1(VALU_DEP_1)
	v_fma_f64 v[222:223], -v[212:213], v[220:221], 1.0
	v_fma_f64 v[220:221], v[220:221], v[222:223], v[220:221]
	s_delay_alu instid0(VALU_DEP_1) | instskip(NEXT) | instid1(VALU_DEP_1)
	v_mul_f64 v[222:223], v[244:245], v[220:221]
	v_fma_f64 v[212:213], -v[212:213], v[222:223], v[244:245]
	s_delay_alu instid0(VALU_DEP_1) | instskip(NEXT) | instid1(VALU_DEP_1)
	v_div_fmas_f64 v[212:213], v[212:213], v[220:221], v[222:223]
	v_div_fixup_f64 v[220:221], v[212:213], v[216:217], v[218:219]
	s_delay_alu instid0(VALU_DEP_1) | instskip(NEXT) | instid1(VALU_DEP_1)
	v_fma_f64 v[212:213], v[218:219], v[220:221], v[216:217]
	v_div_scale_f64 v[216:217], null, v[212:213], v[212:213], 1.0
	s_delay_alu instid0(VALU_DEP_1) | instskip(SKIP_2) | instid1(VALU_DEP_1)
	v_rcp_f64_e32 v[218:219], v[216:217]
	s_waitcnt_depctr 0xfff
	v_fma_f64 v[222:223], -v[216:217], v[218:219], 1.0
	v_fma_f64 v[218:219], v[218:219], v[222:223], v[218:219]
	s_delay_alu instid0(VALU_DEP_1) | instskip(NEXT) | instid1(VALU_DEP_1)
	v_fma_f64 v[222:223], -v[216:217], v[218:219], 1.0
	v_fma_f64 v[218:219], v[218:219], v[222:223], v[218:219]
	v_div_scale_f64 v[222:223], vcc_lo, 1.0, v[212:213], 1.0
	s_delay_alu instid0(VALU_DEP_1) | instskip(NEXT) | instid1(VALU_DEP_1)
	v_mul_f64 v[244:245], v[222:223], v[218:219]
	v_fma_f64 v[216:217], -v[216:217], v[244:245], v[222:223]
	s_delay_alu instid0(VALU_DEP_1) | instskip(NEXT) | instid1(VALU_DEP_1)
	v_div_fmas_f64 v[216:217], v[216:217], v[218:219], v[244:245]
	v_div_fixup_f64 v[212:213], v[216:217], v[212:213], 1.0
	s_delay_alu instid0(VALU_DEP_1)
	v_mul_f64 v[222:223], v[220:221], -v[212:213]
.LBB111_484:
	s_or_b32 exec_lo, exec_lo, s3
	ds_store_2addr_b64 v251, v[212:213], v[222:223] offset1:1
.LBB111_485:
	s_or_b32 exec_lo, exec_lo, s4
	s_waitcnt lgkmcnt(0)
	s_barrier
	buffer_gl0_inv
	ds_load_2addr_b64 v[244:247], v251 offset1:1
	s_mov_b32 s3, exec_lo
	v_cmpx_lt_u32_e32 53, v248
	s_cbranch_execz .LBB111_487
; %bb.486:
	s_waitcnt lgkmcnt(0)
	v_mul_f64 v[212:213], v[244:245], v[10:11]
	v_mul_f64 v[10:11], v[246:247], v[10:11]
	ds_load_2addr_b64 v[216:219], v214 offset0:108 offset1:109
	v_fma_f64 v[212:213], v[246:247], v[8:9], v[212:213]
	v_fma_f64 v[8:9], v[244:245], v[8:9], -v[10:11]
	s_waitcnt lgkmcnt(0)
	s_delay_alu instid0(VALU_DEP_2) | instskip(NEXT) | instid1(VALU_DEP_1)
	v_mul_f64 v[10:11], v[218:219], v[212:213]
	v_fma_f64 v[10:11], v[216:217], v[8:9], -v[10:11]
	v_mul_f64 v[216:217], v[216:217], v[212:213]
	s_delay_alu instid0(VALU_DEP_2) | instskip(NEXT) | instid1(VALU_DEP_2)
	v_add_f64 v[4:5], v[4:5], -v[10:11]
	v_fma_f64 v[216:217], v[218:219], v[8:9], v[216:217]
	s_delay_alu instid0(VALU_DEP_1) | instskip(SKIP_3) | instid1(VALU_DEP_1)
	v_add_f64 v[6:7], v[6:7], -v[216:217]
	ds_load_2addr_b64 v[216:219], v214 offset0:110 offset1:111
	s_waitcnt lgkmcnt(0)
	v_mul_f64 v[10:11], v[218:219], v[212:213]
	v_fma_f64 v[10:11], v[216:217], v[8:9], -v[10:11]
	v_mul_f64 v[216:217], v[216:217], v[212:213]
	s_delay_alu instid0(VALU_DEP_2) | instskip(NEXT) | instid1(VALU_DEP_2)
	v_add_f64 v[0:1], v[0:1], -v[10:11]
	v_fma_f64 v[216:217], v[218:219], v[8:9], v[216:217]
	v_dual_mov_b32 v10, v212 :: v_dual_mov_b32 v11, v213
	s_delay_alu instid0(VALU_DEP_2)
	v_add_f64 v[2:3], v[2:3], -v[216:217]
.LBB111_487:
	s_or_b32 exec_lo, exec_lo, s3
	s_delay_alu instid0(SALU_CYCLE_1)
	s_mov_b32 s4, exec_lo
	s_waitcnt lgkmcnt(0)
	s_barrier
	buffer_gl0_inv
	v_cmpx_eq_u32_e32 54, v248
	s_cbranch_execz .LBB111_494
; %bb.488:
	ds_store_2addr_b64 v251, v[4:5], v[6:7] offset1:1
	ds_store_2addr_b64 v214, v[0:1], v[2:3] offset0:110 offset1:111
	ds_load_2addr_b64 v[216:219], v251 offset1:1
	s_waitcnt lgkmcnt(0)
	v_cmp_neq_f64_e32 vcc_lo, 0, v[216:217]
	v_cmp_neq_f64_e64 s3, 0, v[218:219]
	s_delay_alu instid0(VALU_DEP_1) | instskip(NEXT) | instid1(SALU_CYCLE_1)
	s_or_b32 s3, vcc_lo, s3
	s_and_b32 exec_lo, exec_lo, s3
	s_cbranch_execz .LBB111_494
; %bb.489:
	v_cmp_gt_f64_e32 vcc_lo, 0, v[216:217]
	v_xor_b32_e32 v208, 0x80000000, v217
	s_delay_alu instid0(VALU_DEP_1) | instskip(SKIP_3) | instid1(VALU_DEP_1)
	v_cndmask_b32_e32 v213, v217, v208, vcc_lo
	v_cndmask_b32_e32 v212, v216, v216, vcc_lo
	v_cmp_gt_f64_e32 vcc_lo, 0, v[218:219]
	v_xor_b32_e32 v208, 0x80000000, v219
	v_dual_cndmask_b32 v220, v218, v218 :: v_dual_cndmask_b32 v221, v219, v208
	s_delay_alu instid0(VALU_DEP_1) | instskip(SKIP_1) | instid1(SALU_CYCLE_1)
	v_cmp_ngt_f64_e32 vcc_lo, v[212:213], v[220:221]
                                        ; implicit-def: $vgpr212_vgpr213
	s_and_saveexec_b32 s3, vcc_lo
	s_xor_b32 s3, exec_lo, s3
                                        ; implicit-def: $vgpr220_vgpr221_vgpr222_vgpr223
	s_cbranch_execz .LBB111_491
; %bb.490:
	v_div_scale_f64 v[212:213], null, v[218:219], v[218:219], v[216:217]
	v_div_scale_f64 v[208:209], vcc_lo, v[216:217], v[218:219], v[216:217]
	s_delay_alu instid0(VALU_DEP_2) | instskip(SKIP_2) | instid1(VALU_DEP_1)
	v_rcp_f64_e32 v[220:221], v[212:213]
	s_waitcnt_depctr 0xfff
	v_fma_f64 v[222:223], -v[212:213], v[220:221], 1.0
	v_fma_f64 v[220:221], v[220:221], v[222:223], v[220:221]
	s_delay_alu instid0(VALU_DEP_1) | instskip(NEXT) | instid1(VALU_DEP_1)
	v_fma_f64 v[222:223], -v[212:213], v[220:221], 1.0
	v_fma_f64 v[210:211], v[220:221], v[222:223], v[220:221]
	s_delay_alu instid0(VALU_DEP_1) | instskip(NEXT) | instid1(VALU_DEP_1)
	v_mul_f64 v[220:221], v[208:209], v[210:211]
	v_fma_f64 v[208:209], -v[212:213], v[220:221], v[208:209]
	s_delay_alu instid0(VALU_DEP_1) | instskip(NEXT) | instid1(VALU_DEP_1)
	v_div_fmas_f64 v[208:209], v[208:209], v[210:211], v[220:221]
	v_div_fixup_f64 v[208:209], v[208:209], v[218:219], v[216:217]
	s_delay_alu instid0(VALU_DEP_1) | instskip(NEXT) | instid1(VALU_DEP_1)
	v_fma_f64 v[210:211], v[216:217], v[208:209], v[218:219]
	v_div_scale_f64 v[212:213], null, v[210:211], v[210:211], 1.0
	s_delay_alu instid0(VALU_DEP_1) | instskip(SKIP_2) | instid1(VALU_DEP_1)
	v_rcp_f64_e32 v[216:217], v[212:213]
	s_waitcnt_depctr 0xfff
	v_fma_f64 v[218:219], -v[212:213], v[216:217], 1.0
	v_fma_f64 v[216:217], v[216:217], v[218:219], v[216:217]
	s_delay_alu instid0(VALU_DEP_1) | instskip(NEXT) | instid1(VALU_DEP_1)
	v_fma_f64 v[218:219], -v[212:213], v[216:217], 1.0
	v_fma_f64 v[216:217], v[216:217], v[218:219], v[216:217]
	v_div_scale_f64 v[218:219], vcc_lo, 1.0, v[210:211], 1.0
	s_delay_alu instid0(VALU_DEP_1) | instskip(NEXT) | instid1(VALU_DEP_1)
	v_mul_f64 v[220:221], v[218:219], v[216:217]
	v_fma_f64 v[212:213], -v[212:213], v[220:221], v[218:219]
	s_delay_alu instid0(VALU_DEP_1) | instskip(NEXT) | instid1(VALU_DEP_1)
	v_div_fmas_f64 v[212:213], v[212:213], v[216:217], v[220:221]
                                        ; implicit-def: $vgpr216_vgpr217
	v_div_fixup_f64 v[222:223], v[212:213], v[210:211], 1.0
	s_delay_alu instid0(VALU_DEP_1)
	v_mul_f64 v[212:213], v[208:209], v[222:223]
	v_xor_b32_e32 v223, 0x80000000, v223
.LBB111_491:
	s_and_not1_saveexec_b32 s3, s3
	s_cbranch_execz .LBB111_493
; %bb.492:
	v_div_scale_f64 v[208:209], null, v[216:217], v[216:217], v[218:219]
	v_div_scale_f64 v[220:221], vcc_lo, v[218:219], v[216:217], v[218:219]
	s_delay_alu instid0(VALU_DEP_2) | instskip(SKIP_2) | instid1(VALU_DEP_1)
	v_rcp_f64_e32 v[210:211], v[208:209]
	s_waitcnt_depctr 0xfff
	v_fma_f64 v[212:213], -v[208:209], v[210:211], 1.0
	v_fma_f64 v[210:211], v[210:211], v[212:213], v[210:211]
	s_delay_alu instid0(VALU_DEP_1) | instskip(NEXT) | instid1(VALU_DEP_1)
	v_fma_f64 v[212:213], -v[208:209], v[210:211], 1.0
	v_fma_f64 v[210:211], v[210:211], v[212:213], v[210:211]
	s_delay_alu instid0(VALU_DEP_1) | instskip(NEXT) | instid1(VALU_DEP_1)
	v_mul_f64 v[212:213], v[220:221], v[210:211]
	v_fma_f64 v[208:209], -v[208:209], v[212:213], v[220:221]
	s_delay_alu instid0(VALU_DEP_1) | instskip(NEXT) | instid1(VALU_DEP_1)
	v_div_fmas_f64 v[208:209], v[208:209], v[210:211], v[212:213]
	v_div_fixup_f64 v[208:209], v[208:209], v[216:217], v[218:219]
	s_delay_alu instid0(VALU_DEP_1) | instskip(NEXT) | instid1(VALU_DEP_1)
	v_fma_f64 v[210:211], v[218:219], v[208:209], v[216:217]
	v_div_scale_f64 v[212:213], null, v[210:211], v[210:211], 1.0
	s_delay_alu instid0(VALU_DEP_1) | instskip(SKIP_2) | instid1(VALU_DEP_1)
	v_rcp_f64_e32 v[216:217], v[212:213]
	s_waitcnt_depctr 0xfff
	v_fma_f64 v[218:219], -v[212:213], v[216:217], 1.0
	v_fma_f64 v[216:217], v[216:217], v[218:219], v[216:217]
	s_delay_alu instid0(VALU_DEP_1) | instskip(NEXT) | instid1(VALU_DEP_1)
	v_fma_f64 v[218:219], -v[212:213], v[216:217], 1.0
	v_fma_f64 v[216:217], v[216:217], v[218:219], v[216:217]
	v_div_scale_f64 v[218:219], vcc_lo, 1.0, v[210:211], 1.0
	s_delay_alu instid0(VALU_DEP_1) | instskip(NEXT) | instid1(VALU_DEP_1)
	v_mul_f64 v[220:221], v[218:219], v[216:217]
	v_fma_f64 v[212:213], -v[212:213], v[220:221], v[218:219]
	s_delay_alu instid0(VALU_DEP_1) | instskip(NEXT) | instid1(VALU_DEP_1)
	v_div_fmas_f64 v[212:213], v[212:213], v[216:217], v[220:221]
	v_div_fixup_f64 v[212:213], v[212:213], v[210:211], 1.0
	s_delay_alu instid0(VALU_DEP_1)
	v_mul_f64 v[222:223], v[208:209], -v[212:213]
.LBB111_493:
	s_or_b32 exec_lo, exec_lo, s3
	ds_store_2addr_b64 v251, v[212:213], v[222:223] offset1:1
.LBB111_494:
	s_or_b32 exec_lo, exec_lo, s4
	s_waitcnt lgkmcnt(0)
	s_barrier
	buffer_gl0_inv
	ds_load_2addr_b64 v[220:223], v251 offset1:1
	s_mov_b32 s3, exec_lo
	v_cmpx_lt_u32_e32 54, v248
	s_cbranch_execz .LBB111_496
; %bb.495:
	s_waitcnt lgkmcnt(0)
	v_mul_f64 v[208:209], v[220:221], v[6:7]
	v_mul_f64 v[6:7], v[222:223], v[6:7]
	ds_load_2addr_b64 v[216:219], v214 offset0:110 offset1:111
	v_fma_f64 v[208:209], v[222:223], v[4:5], v[208:209]
	v_fma_f64 v[4:5], v[220:221], v[4:5], -v[6:7]
	s_waitcnt lgkmcnt(0)
	s_delay_alu instid0(VALU_DEP_2) | instskip(SKIP_1) | instid1(VALU_DEP_2)
	v_mul_f64 v[6:7], v[218:219], v[208:209]
	v_mul_f64 v[210:211], v[216:217], v[208:209]
	v_fma_f64 v[6:7], v[216:217], v[4:5], -v[6:7]
	s_delay_alu instid0(VALU_DEP_2) | instskip(NEXT) | instid1(VALU_DEP_2)
	v_fma_f64 v[210:211], v[218:219], v[4:5], v[210:211]
	v_add_f64 v[0:1], v[0:1], -v[6:7]
	s_delay_alu instid0(VALU_DEP_2)
	v_add_f64 v[2:3], v[2:3], -v[210:211]
	v_dual_mov_b32 v6, v208 :: v_dual_mov_b32 v7, v209
.LBB111_496:
	s_or_b32 exec_lo, exec_lo, s3
	s_delay_alu instid0(SALU_CYCLE_1)
	s_mov_b32 s4, exec_lo
	s_waitcnt lgkmcnt(0)
	s_barrier
	buffer_gl0_inv
	v_cmpx_eq_u32_e32 55, v248
	s_cbranch_execz .LBB111_503
; %bb.497:
	v_cmp_neq_f64_e32 vcc_lo, 0, v[0:1]
	v_cmp_neq_f64_e64 s3, 0, v[2:3]
	ds_store_2addr_b64 v251, v[0:1], v[2:3] offset1:1
	s_or_b32 s3, vcc_lo, s3
	s_delay_alu instid0(SALU_CYCLE_1)
	s_and_b32 exec_lo, exec_lo, s3
	s_cbranch_execz .LBB111_503
; %bb.498:
	v_cmp_gt_f64_e32 vcc_lo, 0, v[0:1]
	v_xor_b32_e32 v208, 0x80000000, v1
	v_xor_b32_e32 v210, 0x80000000, v3
	s_mov_b32 s3, exec_lo
                                        ; implicit-def: $vgpr212_vgpr213
	s_delay_alu instid0(VALU_DEP_2) | instskip(SKIP_4) | instid1(VALU_DEP_1)
	v_cndmask_b32_e32 v209, v1, v208, vcc_lo
	v_cndmask_b32_e32 v208, v0, v0, vcc_lo
	v_cmp_gt_f64_e32 vcc_lo, 0, v[2:3]
	v_cndmask_b32_e32 v211, v3, v210, vcc_lo
	v_cndmask_b32_e32 v210, v2, v2, vcc_lo
	v_cmpx_ngt_f64_e32 v[208:209], v[210:211]
	s_xor_b32 s3, exec_lo, s3
                                        ; implicit-def: $vgpr216_vgpr217_vgpr218_vgpr219
	s_cbranch_execz .LBB111_500
; %bb.499:
	v_div_scale_f64 v[208:209], null, v[2:3], v[2:3], v[0:1]
	v_div_scale_f64 v[216:217], vcc_lo, v[0:1], v[2:3], v[0:1]
	s_delay_alu instid0(VALU_DEP_2) | instskip(SKIP_2) | instid1(VALU_DEP_1)
	v_rcp_f64_e32 v[210:211], v[208:209]
	s_waitcnt_depctr 0xfff
	v_fma_f64 v[212:213], -v[208:209], v[210:211], 1.0
	v_fma_f64 v[210:211], v[210:211], v[212:213], v[210:211]
	s_delay_alu instid0(VALU_DEP_1) | instskip(NEXT) | instid1(VALU_DEP_1)
	v_fma_f64 v[212:213], -v[208:209], v[210:211], 1.0
	v_fma_f64 v[210:211], v[210:211], v[212:213], v[210:211]
	s_delay_alu instid0(VALU_DEP_1) | instskip(NEXT) | instid1(VALU_DEP_1)
	v_mul_f64 v[212:213], v[216:217], v[210:211]
	v_fma_f64 v[208:209], -v[208:209], v[212:213], v[216:217]
	s_delay_alu instid0(VALU_DEP_1) | instskip(NEXT) | instid1(VALU_DEP_1)
	v_div_fmas_f64 v[208:209], v[208:209], v[210:211], v[212:213]
	v_div_fixup_f64 v[208:209], v[208:209], v[2:3], v[0:1]
	s_delay_alu instid0(VALU_DEP_1) | instskip(NEXT) | instid1(VALU_DEP_1)
	v_fma_f64 v[210:211], v[0:1], v[208:209], v[2:3]
	v_div_scale_f64 v[212:213], null, v[210:211], v[210:211], 1.0
	s_delay_alu instid0(VALU_DEP_1) | instskip(SKIP_2) | instid1(VALU_DEP_1)
	v_rcp_f64_e32 v[216:217], v[212:213]
	s_waitcnt_depctr 0xfff
	v_fma_f64 v[218:219], -v[212:213], v[216:217], 1.0
	v_fma_f64 v[216:217], v[216:217], v[218:219], v[216:217]
	s_delay_alu instid0(VALU_DEP_1) | instskip(NEXT) | instid1(VALU_DEP_1)
	v_fma_f64 v[218:219], -v[212:213], v[216:217], 1.0
	v_fma_f64 v[216:217], v[216:217], v[218:219], v[216:217]
	v_div_scale_f64 v[218:219], vcc_lo, 1.0, v[210:211], 1.0
	s_delay_alu instid0(VALU_DEP_1) | instskip(NEXT) | instid1(VALU_DEP_1)
	v_mul_f64 v[214:215], v[218:219], v[216:217]
	v_fma_f64 v[212:213], -v[212:213], v[214:215], v[218:219]
	s_delay_alu instid0(VALU_DEP_1) | instskip(NEXT) | instid1(VALU_DEP_1)
	v_div_fmas_f64 v[212:213], v[212:213], v[216:217], v[214:215]
	v_div_fixup_f64 v[218:219], v[212:213], v[210:211], 1.0
	s_delay_alu instid0(VALU_DEP_1)
	v_mul_f64 v[212:213], v[208:209], v[218:219]
	v_xor_b32_e32 v219, 0x80000000, v219
.LBB111_500:
	s_and_not1_saveexec_b32 s3, s3
	s_cbranch_execz .LBB111_502
; %bb.501:
	v_div_scale_f64 v[208:209], null, v[0:1], v[0:1], v[2:3]
	v_div_scale_f64 v[214:215], vcc_lo, v[2:3], v[0:1], v[2:3]
	s_delay_alu instid0(VALU_DEP_2) | instskip(SKIP_2) | instid1(VALU_DEP_1)
	v_rcp_f64_e32 v[210:211], v[208:209]
	s_waitcnt_depctr 0xfff
	v_fma_f64 v[212:213], -v[208:209], v[210:211], 1.0
	v_fma_f64 v[210:211], v[210:211], v[212:213], v[210:211]
	s_delay_alu instid0(VALU_DEP_1) | instskip(NEXT) | instid1(VALU_DEP_1)
	v_fma_f64 v[212:213], -v[208:209], v[210:211], 1.0
	v_fma_f64 v[210:211], v[210:211], v[212:213], v[210:211]
	s_delay_alu instid0(VALU_DEP_1) | instskip(NEXT) | instid1(VALU_DEP_1)
	v_mul_f64 v[212:213], v[214:215], v[210:211]
	v_fma_f64 v[208:209], -v[208:209], v[212:213], v[214:215]
	s_delay_alu instid0(VALU_DEP_1) | instskip(NEXT) | instid1(VALU_DEP_1)
	v_div_fmas_f64 v[208:209], v[208:209], v[210:211], v[212:213]
	v_div_fixup_f64 v[208:209], v[208:209], v[0:1], v[2:3]
	s_delay_alu instid0(VALU_DEP_1) | instskip(NEXT) | instid1(VALU_DEP_1)
	v_fma_f64 v[210:211], v[2:3], v[208:209], v[0:1]
	v_div_scale_f64 v[212:213], null, v[210:211], v[210:211], 1.0
	s_delay_alu instid0(VALU_DEP_1) | instskip(SKIP_2) | instid1(VALU_DEP_1)
	v_rcp_f64_e32 v[214:215], v[212:213]
	s_waitcnt_depctr 0xfff
	v_fma_f64 v[216:217], -v[212:213], v[214:215], 1.0
	v_fma_f64 v[214:215], v[214:215], v[216:217], v[214:215]
	s_delay_alu instid0(VALU_DEP_1) | instskip(NEXT) | instid1(VALU_DEP_1)
	v_fma_f64 v[216:217], -v[212:213], v[214:215], 1.0
	v_fma_f64 v[214:215], v[214:215], v[216:217], v[214:215]
	v_div_scale_f64 v[216:217], vcc_lo, 1.0, v[210:211], 1.0
	s_delay_alu instid0(VALU_DEP_1) | instskip(NEXT) | instid1(VALU_DEP_1)
	v_mul_f64 v[218:219], v[216:217], v[214:215]
	v_fma_f64 v[212:213], -v[212:213], v[218:219], v[216:217]
	s_delay_alu instid0(VALU_DEP_1) | instskip(NEXT) | instid1(VALU_DEP_1)
	v_div_fmas_f64 v[212:213], v[212:213], v[214:215], v[218:219]
	v_div_fixup_f64 v[212:213], v[212:213], v[210:211], 1.0
	s_delay_alu instid0(VALU_DEP_1)
	v_mul_f64 v[218:219], v[208:209], -v[212:213]
.LBB111_502:
	s_or_b32 exec_lo, exec_lo, s3
	ds_store_2addr_b64 v251, v[212:213], v[218:219] offset1:1
.LBB111_503:
	s_or_b32 exec_lo, exec_lo, s4
	s_waitcnt lgkmcnt(0)
	s_barrier
	buffer_gl0_inv
	ds_load_2addr_b64 v[216:219], v251 offset1:1
	s_mov_b32 s3, exec_lo
	v_cmpx_lt_u32_e32 55, v248
	s_cbranch_execz .LBB111_505
; %bb.504:
	s_waitcnt lgkmcnt(0)
	v_mul_f64 v[208:209], v[218:219], v[2:3]
	v_mul_f64 v[2:3], v[216:217], v[2:3]
	s_delay_alu instid0(VALU_DEP_2) | instskip(NEXT) | instid1(VALU_DEP_2)
	v_fma_f64 v[208:209], v[216:217], v[0:1], -v[208:209]
	v_fma_f64 v[2:3], v[218:219], v[0:1], v[2:3]
	s_delay_alu instid0(VALU_DEP_2)
	v_dual_mov_b32 v0, v208 :: v_dual_mov_b32 v1, v209
.LBB111_505:
	s_or_b32 exec_lo, exec_lo, s3
	s_waitcnt lgkmcnt(0)
	s_barrier
	buffer_gl0_inv
	s_and_saveexec_b32 s14, s2
	s_cbranch_execz .LBB111_508
; %bb.506:
	s_clause 0x1
	scratch_load_b128 v[208:211], off, off offset:504
	scratch_load_b128 v[248:251], off, off offset:984
	s_waitcnt vmcnt(1)
	v_cmp_eq_f64_e32 vcc_lo, 0, v[208:209]
	v_cmp_eq_f64_e64 s2, 0, v[210:211]
	scratch_load_b128 v[208:211], off, off offset:520 ; 16-byte Folded Reload
	s_and_b32 s2, vcc_lo, s2
	s_waitcnt vmcnt(0)
	v_cmp_neq_f64_e64 s3, 0, v[208:209]
	v_cmp_neq_f64_e64 s4, 0, v[210:211]
	scratch_load_b128 v[208:211], off, off offset:536 ; 16-byte Folded Reload
	s_or_b32 s3, s3, s4
	s_delay_alu instid0(SALU_CYCLE_1)
	s_or_b32 vcc_lo, s3, s2
	s_waitcnt vmcnt(0)
	v_cmp_eq_f64_e64 s5, 0, v[208:209]
	v_cmp_eq_f64_e64 s6, 0, v[210:211]
	scratch_load_b128 v[208:211], off, off offset:552 ; 16-byte Folded Reload
	s_and_b32 s4, s5, s6
	s_waitcnt vmcnt(0)
	v_cmp_eq_f64_e64 s7, 0, v[208:209]
	v_cmp_eq_f64_e64 s8, 0, v[210:211]
	scratch_load_b128 v[208:211], off, off offset:568 ; 16-byte Folded Reload
	s_and_b32 s6, s7, s8
	s_waitcnt vmcnt(0)
	v_cmp_eq_f64_e64 s9, 0, v[208:209]
	v_cmp_eq_f64_e64 s10, 0, v[210:211]
	scratch_load_b128 v[209:212], off, off offset:584 ; 16-byte Folded Reload
	v_cndmask_b32_e64 v208, 0, 1, s2
	s_delay_alu instid0(VALU_DEP_1) | instskip(NEXT) | instid1(VALU_DEP_1)
	v_cndmask_b32_e32 v208, 2, v208, vcc_lo
	v_cmp_eq_u32_e64 s3, 0, v208
	s_delay_alu instid0(VALU_DEP_1) | instskip(NEXT) | instid1(SALU_CYCLE_1)
	s_and_b32 s3, s4, s3
	v_cndmask_b32_e64 v208, v208, 3, s3
	s_delay_alu instid0(VALU_DEP_1) | instskip(NEXT) | instid1(VALU_DEP_1)
	v_cmp_eq_u32_e64 s5, 0, v208
	s_and_b32 s5, s6, s5
	s_delay_alu instid0(SALU_CYCLE_1) | instskip(NEXT) | instid1(VALU_DEP_1)
	v_cndmask_b32_e64 v208, v208, 4, s5
	v_cmp_eq_u32_e64 s7, 0, v208
	s_and_b32 s8, s9, s10
	s_delay_alu instid0(VALU_DEP_1) | instid1(SALU_CYCLE_1)
	s_and_b32 s7, s8, s7
	s_delay_alu instid0(SALU_CYCLE_1) | instskip(NEXT) | instid1(VALU_DEP_1)
	v_cndmask_b32_e64 v208, v208, 5, s7
	v_cmp_eq_u32_e64 s9, 0, v208
	s_waitcnt vmcnt(0)
	v_cmp_eq_f64_e32 vcc_lo, 0, v[209:210]
	v_cmp_eq_f64_e64 s2, 0, v[211:212]
	scratch_load_b128 v[209:212], off, off offset:600 ; 16-byte Folded Reload
	s_and_b32 s2, vcc_lo, s2
	s_delay_alu instid0(SALU_CYCLE_1) | instskip(NEXT) | instid1(SALU_CYCLE_1)
	s_and_b32 s2, s2, s9
	v_cndmask_b32_e64 v208, v208, 6, s2
	s_delay_alu instid0(VALU_DEP_1)
	v_cmp_eq_u32_e64 s9, 0, v208
	s_waitcnt vmcnt(0)
	v_cmp_eq_f64_e64 s3, 0, v[209:210]
	v_cmp_eq_f64_e64 s4, 0, v[211:212]
	scratch_load_b128 v[209:212], off, off offset:616 ; 16-byte Folded Reload
	s_and_b32 s3, s3, s4
	s_delay_alu instid0(SALU_CYCLE_1) | instskip(NEXT) | instid1(SALU_CYCLE_1)
	s_and_b32 s3, s3, s9
	v_cndmask_b32_e64 v208, v208, 7, s3
	s_delay_alu instid0(VALU_DEP_1)
	v_cmp_eq_u32_e64 s9, 0, v208
	s_waitcnt vmcnt(0)
	v_cmp_eq_f64_e64 s5, 0, v[209:210]
	v_cmp_eq_f64_e64 s6, 0, v[211:212]
	scratch_load_b128 v[209:212], off, off offset:632 ; 16-byte Folded Reload
	s_and_b32 s5, s5, s6
	s_delay_alu instid0(SALU_CYCLE_1) | instskip(NEXT) | instid1(SALU_CYCLE_1)
	s_and_b32 s5, s5, s9
	v_cndmask_b32_e64 v208, v208, 8, s5
	s_delay_alu instid0(VALU_DEP_1)
	v_cmp_eq_u32_e64 s9, 0, v208
	s_waitcnt vmcnt(0)
	v_cmp_eq_f64_e64 s7, 0, v[209:210]
	v_cmp_eq_f64_e64 s8, 0, v[211:212]
	scratch_load_b128 v[209:212], off, off offset:648 ; 16-byte Folded Reload
	s_and_b32 s7, s7, s8
	s_delay_alu instid0(SALU_CYCLE_1) | instskip(NEXT) | instid1(SALU_CYCLE_1)
	s_and_b32 s7, s7, s9
	v_cndmask_b32_e64 v208, v208, 9, s7
	s_delay_alu instid0(VALU_DEP_1)
	v_cmp_eq_u32_e64 s9, 0, v208
	s_waitcnt vmcnt(0)
	v_cmp_eq_f64_e32 vcc_lo, 0, v[209:210]
	v_cmp_eq_f64_e64 s2, 0, v[211:212]
	scratch_load_b128 v[209:212], off, off offset:664 ; 16-byte Folded Reload
	s_and_b32 s2, vcc_lo, s2
	s_delay_alu instid0(SALU_CYCLE_1) | instskip(NEXT) | instid1(SALU_CYCLE_1)
	s_and_b32 s2, s2, s9
	v_cndmask_b32_e64 v208, v208, 10, s2
	s_delay_alu instid0(VALU_DEP_1)
	v_cmp_eq_u32_e64 s9, 0, v208
	s_waitcnt vmcnt(0)
	v_cmp_eq_f64_e64 s3, 0, v[209:210]
	v_cmp_eq_f64_e64 s4, 0, v[211:212]
	scratch_load_b128 v[209:212], off, off offset:680 ; 16-byte Folded Reload
	s_and_b32 s3, s3, s4
	s_delay_alu instid0(SALU_CYCLE_1) | instskip(NEXT) | instid1(SALU_CYCLE_1)
	s_and_b32 s3, s3, s9
	v_cndmask_b32_e64 v208, v208, 11, s3
	s_delay_alu instid0(VALU_DEP_1)
	v_cmp_eq_u32_e64 s9, 0, v208
	s_waitcnt vmcnt(0)
	v_cmp_eq_f64_e64 s5, 0, v[209:210]
	v_cmp_eq_f64_e64 s6, 0, v[211:212]
	scratch_load_b128 v[209:212], off, off offset:696 ; 16-byte Folded Reload
	s_and_b32 s5, s5, s6
	s_delay_alu instid0(SALU_CYCLE_1) | instskip(NEXT) | instid1(SALU_CYCLE_1)
	s_and_b32 s5, s5, s9
	v_cndmask_b32_e64 v208, v208, 12, s5
	s_delay_alu instid0(VALU_DEP_1)
	v_cmp_eq_u32_e64 s9, 0, v208
	s_waitcnt vmcnt(0)
	v_cmp_eq_f64_e64 s7, 0, v[209:210]
	v_cmp_eq_f64_e64 s8, 0, v[211:212]
	scratch_load_b128 v[209:212], off, off offset:712 ; 16-byte Folded Reload
	s_and_b32 s7, s7, s8
	s_delay_alu instid0(SALU_CYCLE_1) | instskip(NEXT) | instid1(SALU_CYCLE_1)
	s_and_b32 s7, s7, s9
	v_cndmask_b32_e64 v208, v208, 13, s7
	s_delay_alu instid0(VALU_DEP_1)
	;; [unrolled: 40-line block ×4, first 2 shown]
	v_cmp_eq_u32_e64 s9, 0, v208
	s_waitcnt vmcnt(0)
	v_cmp_eq_f64_e32 vcc_lo, 0, v[209:210]
	v_cmp_eq_f64_e64 s2, 0, v[211:212]
	scratch_load_b128 v[209:212], off, off offset:856 ; 16-byte Folded Reload
	s_and_b32 s2, vcc_lo, s2
	s_delay_alu instid0(SALU_CYCLE_1) | instskip(NEXT) | instid1(SALU_CYCLE_1)
	s_and_b32 s2, s2, s9
	v_cndmask_b32_e64 v208, v208, 22, s2
	s_delay_alu instid0(VALU_DEP_1)
	v_cmp_eq_u32_e32 vcc_lo, 0, v208
	s_waitcnt vmcnt(0)
	v_cmp_eq_f64_e64 s3, 0, v[209:210]
	v_cmp_eq_f64_e64 s4, 0, v[211:212]
	scratch_load_b128 v[209:212], off, off offset:872 ; 16-byte Folded Reload
	s_and_b32 s2, s3, s4
	s_delay_alu instid0(SALU_CYCLE_1) | instskip(NEXT) | instid1(SALU_CYCLE_1)
	s_and_b32 s2, s2, vcc_lo
	v_cndmask_b32_e64 v208, v208, 23, s2
	s_delay_alu instid0(VALU_DEP_1)
	v_cmp_eq_u32_e32 vcc_lo, 0, v208
	s_waitcnt vmcnt(0)
	v_cmp_eq_f64_e64 s5, 0, v[209:210]
	v_cmp_eq_f64_e64 s6, 0, v[211:212]
	scratch_load_b128 v[209:212], off, off offset:888 ; 16-byte Folded Reload
	s_and_b32 s2, s5, s6
	s_delay_alu instid0(SALU_CYCLE_1) | instskip(NEXT) | instid1(SALU_CYCLE_1)
	s_and_b32 s2, s2, vcc_lo
	v_cndmask_b32_e64 v208, v208, 24, s2
	s_delay_alu instid0(VALU_DEP_1)
	v_cmp_eq_u32_e64 s3, 0, v208
	s_waitcnt vmcnt(0)
	v_cmp_eq_f64_e64 s7, 0, v[209:210]
	v_cmp_eq_f64_e64 s8, 0, v[211:212]
	scratch_load_b128 v[209:212], off, off offset:904 ; 16-byte Folded Reload
	s_and_b32 s4, s7, s8
	s_load_b64 s[6:7], s[0:1], 0x28
	s_and_b32 s0, s4, s3
	s_delay_alu instid0(SALU_CYCLE_1) | instskip(NEXT) | instid1(VALU_DEP_1)
	v_cndmask_b32_e64 v208, v208, 25, s0
	v_cmp_eq_u32_e64 s3, 0, v208
	s_waitcnt vmcnt(0)
	v_cmp_eq_f64_e64 s9, 0, v[209:210]
	v_cmp_eq_f64_e64 s10, 0, v[211:212]
	scratch_load_b128 v[209:212], off, off offset:920 ; 16-byte Folded Reload
	s_and_b32 s4, s9, s10
	s_delay_alu instid0(SALU_CYCLE_1)
	s_and_b32 s3, s4, s3
	s_waitcnt vmcnt(0)
	v_cmp_eq_f64_e64 s11, 0, v[209:210]
	v_cmp_eq_f64_e64 s12, 0, v[211:212]
	scratch_load_b128 v[209:212], off, off offset:936 ; 16-byte Folded Reload
	s_and_b32 s8, s11, s12
	s_waitcnt vmcnt(0)
	v_cmp_eq_f64_e32 vcc_lo, 0, v[209:210]
	v_cmp_eq_f64_e64 s2, 0, v[211:212]
	scratch_load_b128 v[209:212], off, off offset:952 ; 16-byte Folded Reload
	s_and_b32 s2, vcc_lo, s2
	s_waitcnt vmcnt(0)
	v_cmp_eq_f64_e64 s0, 0, v[209:210]
	v_cndmask_b32_e64 v210, v208, 26, s3
	scratch_load_b64 v[208:209], off, off offset:1264 ; 8-byte Folded Reload
	v_cmp_eq_f64_e64 s1, 0, v[211:212]
	scratch_load_b128 v[211:214], off, off offset:968 ; 16-byte Folded Reload
	v_cmp_eq_u32_e64 s5, 0, v210
	s_delay_alu instid0(VALU_DEP_1)
	s_and_b32 s5, s8, s5
	s_and_b32 s0, s0, s1
	s_waitcnt vmcnt(1)
	v_lshlrev_b64 v[208:209], 2, v[208:209]
	s_waitcnt vmcnt(0)
	v_cmp_eq_f64_e64 s3, 0, v[211:212]
	v_cmp_eq_f64_e64 s4, 0, v[213:214]
	s_waitcnt lgkmcnt(0)
	s_delay_alu instid0(VALU_DEP_3) | instskip(NEXT) | instid1(VALU_DEP_1)
	v_add_co_u32 v212, s6, s6, v208
	v_add_co_ci_u32_e64 v213, s6, s7, v209, s6
	v_cndmask_b32_e64 v208, v210, 27, s5
	v_cmp_eq_f64_e64 s5, 0, v[248:249]
	v_cmp_eq_f64_e64 s6, 0, v[250:251]
	scratch_load_b128 v[248:251], off, off offset:1000 ; 16-byte Folded Reload
	global_load_b32 v209, v[212:213], off
	v_cmp_eq_u32_e64 s7, 0, v208
	s_delay_alu instid0(VALU_DEP_1) | instskip(NEXT) | instid1(SALU_CYCLE_1)
	s_and_b32 s2, s2, s7
	v_cndmask_b32_e64 v208, v208, 28, s2
	s_delay_alu instid0(VALU_DEP_1) | instskip(NEXT) | instid1(VALU_DEP_1)
	v_cmp_eq_u32_e64 s7, 0, v208
	s_and_b32 s0, s0, s7
	s_delay_alu instid0(SALU_CYCLE_1) | instskip(NEXT) | instid1(VALU_DEP_1)
	v_cndmask_b32_e64 v208, v208, 29, s0
	v_cmp_eq_u32_e64 s7, 0, v208
	s_and_b32 s3, s3, s4
	s_delay_alu instid0(VALU_DEP_1) | instid1(SALU_CYCLE_1)
	s_and_b32 s3, s3, s7
	s_delay_alu instid0(SALU_CYCLE_1) | instskip(SKIP_1) | instid1(VALU_DEP_1)
	v_cndmask_b32_e64 v208, v208, 30, s3
	s_and_b32 s5, s5, s6
	v_cmp_eq_u32_e64 s7, 0, v208
	s_delay_alu instid0(VALU_DEP_1) | instskip(NEXT) | instid1(SALU_CYCLE_1)
	s_and_b32 s5, s5, s7
	v_cndmask_b32_e64 v208, v208, 31, s5
	s_delay_alu instid0(VALU_DEP_1)
	v_cmp_eq_u32_e64 s7, 0, v208
	s_waitcnt vmcnt(1)
	v_cmp_eq_f64_e32 vcc_lo, 0, v[248:249]
	v_cmp_eq_f64_e64 s2, 0, v[250:251]
	scratch_load_b128 v[248:251], off, off offset:1024 ; 16-byte Folded Reload
	s_and_b32 s2, vcc_lo, s2
	s_delay_alu instid0(SALU_CYCLE_1) | instskip(NEXT) | instid1(SALU_CYCLE_1)
	s_and_b32 s2, s2, s7
	v_cndmask_b32_e64 v208, v208, 32, s2
	s_delay_alu instid0(VALU_DEP_1)
	v_cmp_eq_u32_e64 s7, 0, v208
	s_waitcnt vmcnt(0)
	v_cmp_eq_f64_e64 s0, 0, v[248:249]
	v_cmp_eq_f64_e64 s1, 0, v[250:251]
	scratch_load_b128 v[248:251], off, off offset:1040 ; 16-byte Folded Reload
	s_and_b32 s0, s0, s1
	s_delay_alu instid0(SALU_CYCLE_1) | instskip(NEXT) | instid1(SALU_CYCLE_1)
	s_and_b32 s0, s0, s7
	v_cndmask_b32_e64 v208, v208, 33, s0
	s_delay_alu instid0(VALU_DEP_1)
	v_cmp_eq_u32_e64 s7, 0, v208
	s_waitcnt vmcnt(0)
	v_cmp_eq_f64_e64 s3, 0, v[248:249]
	v_cmp_eq_f64_e64 s4, 0, v[250:251]
	scratch_load_b128 v[248:251], off, off offset:1056 ; 16-byte Folded Reload
	s_and_b32 s3, s3, s4
	s_delay_alu instid0(SALU_CYCLE_1) | instskip(NEXT) | instid1(SALU_CYCLE_1)
	s_and_b32 s3, s3, s7
	v_cndmask_b32_e64 v208, v208, 34, s3
	s_delay_alu instid0(VALU_DEP_1)
	v_cmp_eq_u32_e64 s7, 0, v208
	s_waitcnt vmcnt(0)
	v_cmp_eq_f64_e64 s5, 0, v[248:249]
	v_cmp_eq_f64_e64 s6, 0, v[250:251]
	scratch_load_b128 v[248:251], off, off offset:1072 ; 16-byte Folded Reload
	s_and_b32 s5, s5, s6
	s_delay_alu instid0(SALU_CYCLE_1) | instskip(NEXT) | instid1(SALU_CYCLE_1)
	s_and_b32 s5, s5, s7
	v_cndmask_b32_e64 v208, v208, 35, s5
	s_delay_alu instid0(VALU_DEP_1)
	v_cmp_eq_u32_e64 s7, 0, v208
	s_waitcnt vmcnt(0)
	v_cmp_eq_f64_e32 vcc_lo, 0, v[248:249]
	v_cmp_eq_f64_e64 s2, 0, v[250:251]
	scratch_load_b128 v[248:251], off, off offset:1088 ; 16-byte Folded Reload
	s_and_b32 s2, vcc_lo, s2
	s_delay_alu instid0(SALU_CYCLE_1) | instskip(NEXT) | instid1(SALU_CYCLE_1)
	s_and_b32 s2, s2, s7
	v_cndmask_b32_e64 v208, v208, 36, s2
	s_delay_alu instid0(VALU_DEP_1)
	v_cmp_eq_u32_e64 s7, 0, v208
	s_waitcnt vmcnt(0)
	v_cmp_eq_f64_e64 s0, 0, v[248:249]
	v_cmp_eq_f64_e64 s1, 0, v[250:251]
	scratch_load_b128 v[248:251], off, off offset:1104 ; 16-byte Folded Reload
	s_and_b32 s0, s0, s1
	s_delay_alu instid0(SALU_CYCLE_1) | instskip(NEXT) | instid1(SALU_CYCLE_1)
	s_and_b32 s0, s0, s7
	v_cndmask_b32_e64 v208, v208, 37, s0
	s_delay_alu instid0(VALU_DEP_1)
	v_cmp_eq_u32_e64 s7, 0, v208
	s_waitcnt vmcnt(0)
	v_cmp_eq_f64_e64 s3, 0, v[248:249]
	v_cmp_eq_f64_e64 s4, 0, v[250:251]
	scratch_load_b128 v[248:251], off, off offset:1120 ; 16-byte Folded Reload
	s_and_b32 s3, s3, s4
	s_delay_alu instid0(SALU_CYCLE_1) | instskip(NEXT) | instid1(SALU_CYCLE_1)
	s_and_b32 s3, s3, s7
	v_cndmask_b32_e64 v208, v208, 38, s3
	s_delay_alu instid0(VALU_DEP_1)
	v_cmp_eq_u32_e64 s7, 0, v208
	s_waitcnt vmcnt(0)
	v_cmp_eq_f64_e64 s5, 0, v[248:249]
	v_cmp_eq_f64_e64 s6, 0, v[250:251]
	scratch_load_b128 v[248:251], off, off offset:1136 ; 16-byte Folded Reload
	s_and_b32 s5, s5, s6
	s_delay_alu instid0(SALU_CYCLE_1) | instskip(NEXT) | instid1(SALU_CYCLE_1)
	;; [unrolled: 40-line block ×3, first 2 shown]
	s_and_b32 s5, s5, s7
	v_cndmask_b32_e64 v208, v208, 43, s5
	s_delay_alu instid0(VALU_DEP_1)
	v_cmp_eq_u32_e64 s7, 0, v208
	s_waitcnt vmcnt(0)
	v_cmp_eq_f64_e32 vcc_lo, 0, v[248:249]
	v_cmp_eq_f64_e64 s2, 0, v[250:251]
	scratch_load_b128 v[248:251], off, off offset:1216 ; 16-byte Folded Reload
	s_and_b32 s2, vcc_lo, s2
	v_cmp_eq_f64_e32 vcc_lo, 0, v[252:253]
	s_and_b32 s2, s2, s7
	s_delay_alu instid0(SALU_CYCLE_1) | instskip(SKIP_1) | instid1(VALU_DEP_2)
	v_cndmask_b32_e64 v208, v208, 44, s2
	v_cmp_eq_f64_e64 s2, 0, v[254:255]
	v_cmp_eq_u32_e64 s7, 0, v208
	s_delay_alu instid0(VALU_DEP_2)
	s_and_b32 s2, vcc_lo, s2
	v_cmp_eq_f64_e32 vcc_lo, 0, v[236:237]
	s_waitcnt vmcnt(0)
	v_cmp_eq_f64_e64 s0, 0, v[248:249]
	v_cmp_eq_f64_e64 s1, 0, v[250:251]
	scratch_load_b128 v[248:251], off, off offset:1232 ; 16-byte Folded Reload
	s_and_b32 s0, s0, s1
	v_cmp_eq_f64_e64 s1, 0, v[226:227]
	s_and_b32 s0, s0, s7
	s_delay_alu instid0(SALU_CYCLE_1) | instskip(SKIP_1) | instid1(VALU_DEP_2)
	v_cndmask_b32_e64 v208, v208, 45, s0
	v_cmp_eq_f64_e64 s0, 0, v[224:225]
	v_cmp_eq_u32_e64 s7, 0, v208
	s_delay_alu instid0(VALU_DEP_2)
	s_and_b32 s0, s0, s1
	v_cmp_eq_f64_e64 s1, 0, v[242:243]
	s_waitcnt vmcnt(0)
	v_cmp_eq_f64_e64 s3, 0, v[248:249]
	v_cmp_eq_f64_e64 s4, 0, v[250:251]
	scratch_load_b128 v[248:251], off, off offset:1248 ; 16-byte Folded Reload
	s_and_b32 s3, s3, s4
	v_cmp_eq_f64_e64 s4, 0, v[230:231]
	s_and_b32 s3, s3, s7
	s_delay_alu instid0(SALU_CYCLE_1) | instskip(SKIP_1) | instid1(VALU_DEP_2)
	v_cndmask_b32_e64 v208, v208, 46, s3
	v_cmp_eq_f64_e64 s3, 0, v[228:229]
	v_cmp_eq_u32_e64 s7, 0, v208
	s_delay_alu instid0(VALU_DEP_2) | instskip(SKIP_4) | instid1(VALU_DEP_1)
	s_and_b32 s3, s3, s4
	v_cmp_eq_f64_e64 s4, 0, v[246:247]
	s_waitcnt vmcnt(0)
	v_cmp_eq_f64_e64 s5, 0, v[248:249]
	v_cmp_eq_f64_e64 s6, 0, v[250:251]
	s_and_b32 s5, s5, s6
	v_cmp_eq_f64_e64 s6, 0, v[234:235]
	s_and_b32 s5, s5, s7
	s_delay_alu instid0(SALU_CYCLE_1) | instskip(SKIP_1) | instid1(VALU_DEP_2)
	v_cndmask_b32_e64 v208, v208, 47, s5
	v_cmp_eq_f64_e64 s5, 0, v[232:233]
	v_cmp_eq_u32_e64 s7, 0, v208
	s_delay_alu instid0(VALU_DEP_1) | instskip(NEXT) | instid1(SALU_CYCLE_1)
	s_and_b32 s2, s2, s7
	v_cndmask_b32_e64 v208, v208, 48, s2
	v_cmp_eq_f64_e64 s2, 0, v[238:239]
	s_delay_alu instid0(VALU_DEP_2) | instskip(NEXT) | instid1(VALU_DEP_1)
	v_cmp_eq_u32_e64 s7, 0, v208
	s_and_b32 s0, s0, s7
	s_delay_alu instid0(SALU_CYCLE_1) | instskip(SKIP_1) | instid1(VALU_DEP_2)
	v_cndmask_b32_e64 v208, v208, 49, s0
	v_cmp_eq_f64_e64 s0, 0, v[240:241]
	v_cmp_eq_u32_e64 s7, 0, v208
	s_delay_alu instid0(VALU_DEP_1) | instskip(NEXT) | instid1(SALU_CYCLE_1)
	s_and_b32 s3, s3, s7
	v_cndmask_b32_e64 v208, v208, 50, s3
	v_cmp_eq_f64_e64 s3, 0, v[244:245]
	s_and_b32 s5, s5, s6
	v_cmp_eq_f64_e64 s6, 0, v[222:223]
	s_delay_alu instid0(VALU_DEP_3) | instskip(NEXT) | instid1(VALU_DEP_1)
	v_cmp_eq_u32_e64 s7, 0, v208
	s_and_b32 s5, s5, s7
	s_delay_alu instid0(SALU_CYCLE_1) | instskip(SKIP_3) | instid1(VALU_DEP_3)
	v_cndmask_b32_e64 v208, v208, 51, s5
	v_cmp_eq_f64_e64 s5, 0, v[220:221]
	s_and_b32 s2, vcc_lo, s2
	v_cmp_eq_f64_e32 vcc_lo, 0, v[216:217]
	v_cmp_eq_u32_e64 s7, 0, v208
	s_delay_alu instid0(VALU_DEP_1) | instskip(NEXT) | instid1(SALU_CYCLE_1)
	s_and_b32 s2, s2, s7
	v_cndmask_b32_e64 v208, v208, 52, s2
	v_cmp_eq_f64_e64 s2, 0, v[218:219]
	s_and_b32 s0, s0, s1
	s_delay_alu instid0(VALU_DEP_2) | instskip(NEXT) | instid1(VALU_DEP_1)
	v_cmp_eq_u32_e64 s7, 0, v208
	s_and_b32 s0, s0, s7
	s_delay_alu instid0(SALU_CYCLE_1) | instskip(SKIP_1) | instid1(VALU_DEP_1)
	v_cndmask_b32_e64 v208, v208, 53, s0
	s_and_b32 s1, s3, s4
	v_cmp_eq_u32_e64 s0, 0, v208
	s_delay_alu instid0(VALU_DEP_1) | instskip(NEXT) | instid1(SALU_CYCLE_1)
	s_and_b32 s0, s1, s0
	v_cndmask_b32_e64 v208, v208, 54, s0
	s_and_b32 s1, s5, s6
	s_delay_alu instid0(VALU_DEP_1) | instskip(NEXT) | instid1(VALU_DEP_1)
	v_cmp_eq_u32_e64 s0, 0, v208
	s_and_b32 s0, s1, s0
	s_delay_alu instid0(SALU_CYCLE_1) | instskip(SKIP_2) | instid1(VALU_DEP_2)
	v_cndmask_b32_e64 v208, v208, 55, s0
	s_and_b32 s1, vcc_lo, s2
	v_cmp_eq_u32_e32 vcc_lo, 0, v209
	v_cmp_eq_u32_e64 s0, 0, v208
	s_delay_alu instid0(VALU_DEP_1) | instskip(NEXT) | instid1(SALU_CYCLE_1)
	s_and_b32 s0, s1, s0
	v_cndmask_b32_e64 v214, v208, 56, s0
	s_delay_alu instid0(VALU_DEP_1) | instskip(NEXT) | instid1(VALU_DEP_1)
	v_cmp_ne_u32_e64 s0, 0, v214
	s_and_b32 s0, vcc_lo, s0
	s_delay_alu instid0(SALU_CYCLE_1)
	s_and_b32 exec_lo, exec_lo, s0
	s_cbranch_execz .LBB111_508
; %bb.507:
	v_add_nc_u32_e32 v208, s13, v214
	global_store_b32 v[212:213], v208, off
.LBB111_508:
	s_or_b32 exec_lo, exec_lo, s14
	s_clause 0x1
	scratch_load_b64 v[208:209], off, off offset:488
	scratch_load_b128 v[210:213], off, off offset:48
	s_waitcnt vmcnt(0)
	global_store_b128 v[208:209], v[210:213], off
	s_clause 0x1
	scratch_load_b64 v[208:209], off, off offset:496
	scratch_load_b128 v[210:213], off, off offset:32
	s_waitcnt vmcnt(0)
	global_store_b128 v[208:209], v[210:213], off
	;; [unrolled: 5-line block ×3, first 2 shown]
	s_clause 0x1
	scratch_load_b64 v[208:209], off, off offset:472
	scratch_load_b128 v[210:213], off, off
	s_waitcnt vmcnt(0)
	global_store_b128 v[208:209], v[210:213], off
	scratch_load_b64 v[208:209], off, off offset:464 ; 8-byte Folded Reload
	s_waitcnt vmcnt(0)
	global_store_b128 v[208:209], v[204:207], off
	scratch_load_b64 v[204:205], off, off offset:456 ; 8-byte Folded Reload
	;; [unrolled: 3-line block ×52, first 2 shown]
	s_waitcnt vmcnt(0)
	global_store_b128 v[4:5], v[0:3], off
.LBB111_509:
	s_nop 0
	s_sendmsg sendmsg(MSG_DEALLOC_VGPRS)
	s_endpgm
	.section	.rodata,"a",@progbits
	.p2align	6, 0x0
	.amdhsa_kernel _ZN9rocsolver6v33100L23getf2_npvt_small_kernelILi56E19rocblas_complex_numIdEiiPKPS3_EEvT1_T3_lS7_lPT2_S7_S7_
		.amdhsa_group_segment_fixed_size 0
		.amdhsa_private_segment_fixed_size 1276
		.amdhsa_kernarg_size 312
		.amdhsa_user_sgpr_count 14
		.amdhsa_user_sgpr_dispatch_ptr 0
		.amdhsa_user_sgpr_queue_ptr 0
		.amdhsa_user_sgpr_kernarg_segment_ptr 1
		.amdhsa_user_sgpr_dispatch_id 0
		.amdhsa_user_sgpr_private_segment_size 0
		.amdhsa_wavefront_size32 1
		.amdhsa_uses_dynamic_stack 0
		.amdhsa_enable_private_segment 1
		.amdhsa_system_sgpr_workgroup_id_x 1
		.amdhsa_system_sgpr_workgroup_id_y 1
		.amdhsa_system_sgpr_workgroup_id_z 0
		.amdhsa_system_sgpr_workgroup_info 0
		.amdhsa_system_vgpr_workitem_id 1
		.amdhsa_next_free_vgpr 256
		.amdhsa_next_free_sgpr 18
		.amdhsa_reserve_vcc 1
		.amdhsa_float_round_mode_32 0
		.amdhsa_float_round_mode_16_64 0
		.amdhsa_float_denorm_mode_32 3
		.amdhsa_float_denorm_mode_16_64 3
		.amdhsa_dx10_clamp 1
		.amdhsa_ieee_mode 1
		.amdhsa_fp16_overflow 0
		.amdhsa_workgroup_processor_mode 1
		.amdhsa_memory_ordered 1
		.amdhsa_forward_progress 0
		.amdhsa_shared_vgpr_count 0
		.amdhsa_exception_fp_ieee_invalid_op 0
		.amdhsa_exception_fp_denorm_src 0
		.amdhsa_exception_fp_ieee_div_zero 0
		.amdhsa_exception_fp_ieee_overflow 0
		.amdhsa_exception_fp_ieee_underflow 0
		.amdhsa_exception_fp_ieee_inexact 0
		.amdhsa_exception_int_div_zero 0
	.end_amdhsa_kernel
	.section	.text._ZN9rocsolver6v33100L23getf2_npvt_small_kernelILi56E19rocblas_complex_numIdEiiPKPS3_EEvT1_T3_lS7_lPT2_S7_S7_,"axG",@progbits,_ZN9rocsolver6v33100L23getf2_npvt_small_kernelILi56E19rocblas_complex_numIdEiiPKPS3_EEvT1_T3_lS7_lPT2_S7_S7_,comdat
.Lfunc_end111:
	.size	_ZN9rocsolver6v33100L23getf2_npvt_small_kernelILi56E19rocblas_complex_numIdEiiPKPS3_EEvT1_T3_lS7_lPT2_S7_S7_, .Lfunc_end111-_ZN9rocsolver6v33100L23getf2_npvt_small_kernelILi56E19rocblas_complex_numIdEiiPKPS3_EEvT1_T3_lS7_lPT2_S7_S7_
                                        ; -- End function
	.section	.AMDGPU.csdata,"",@progbits
; Kernel info:
; codeLenInByte = 161588
; NumSgprs: 20
; NumVgprs: 256
; ScratchSize: 1276
; MemoryBound: 1
; FloatMode: 240
; IeeeMode: 1
; LDSByteSize: 0 bytes/workgroup (compile time only)
; SGPRBlocks: 2
; VGPRBlocks: 31
; NumSGPRsForWavesPerEU: 20
; NumVGPRsForWavesPerEU: 256
; Occupancy: 5
; WaveLimiterHint : 1
; COMPUTE_PGM_RSRC2:SCRATCH_EN: 1
; COMPUTE_PGM_RSRC2:USER_SGPR: 14
; COMPUTE_PGM_RSRC2:TRAP_HANDLER: 0
; COMPUTE_PGM_RSRC2:TGID_X_EN: 1
; COMPUTE_PGM_RSRC2:TGID_Y_EN: 1
; COMPUTE_PGM_RSRC2:TGID_Z_EN: 0
; COMPUTE_PGM_RSRC2:TIDIG_COMP_CNT: 1
	.section	.text._ZN9rocsolver6v33100L18getf2_small_kernelILi57E19rocblas_complex_numIdEiiPKPS3_EEvT1_T3_lS7_lPS7_llPT2_S7_S7_S9_l,"axG",@progbits,_ZN9rocsolver6v33100L18getf2_small_kernelILi57E19rocblas_complex_numIdEiiPKPS3_EEvT1_T3_lS7_lPS7_llPT2_S7_S7_S9_l,comdat
	.globl	_ZN9rocsolver6v33100L18getf2_small_kernelILi57E19rocblas_complex_numIdEiiPKPS3_EEvT1_T3_lS7_lPS7_llPT2_S7_S7_S9_l ; -- Begin function _ZN9rocsolver6v33100L18getf2_small_kernelILi57E19rocblas_complex_numIdEiiPKPS3_EEvT1_T3_lS7_lPS7_llPT2_S7_S7_S9_l
	.p2align	8
	.type	_ZN9rocsolver6v33100L18getf2_small_kernelILi57E19rocblas_complex_numIdEiiPKPS3_EEvT1_T3_lS7_lPS7_llPT2_S7_S7_S9_l,@function
_ZN9rocsolver6v33100L18getf2_small_kernelILi57E19rocblas_complex_numIdEiiPKPS3_EEvT1_T3_lS7_lPS7_llPT2_S7_S7_S9_l: ; @_ZN9rocsolver6v33100L18getf2_small_kernelILi57E19rocblas_complex_numIdEiiPKPS3_EEvT1_T3_lS7_lPS7_llPT2_S7_S7_S9_l
; %bb.0:
	s_clause 0x1
	s_load_b32 s2, s[0:1], 0x6c
	s_load_b64 s[12:13], s[0:1], 0x48
	v_bfe_u32 v228, v0, 10, 10
	s_waitcnt lgkmcnt(0)
	s_lshr_b32 s2, s2, 16
	s_delay_alu instid0(VALU_DEP_1) | instid1(SALU_CYCLE_1)
	v_mad_u64_u32 v[208:209], null, s15, s2, v[228:229]
	s_mov_b32 s2, exec_lo
	s_delay_alu instid0(VALU_DEP_1)
	v_cmpx_gt_i32_e64 s12, v208
	s_cbranch_execnz .LBB112_1
; %bb.1201:
	s_getpc_b64 s[16:17]
.Lpost_getpc20:
	s_add_u32 s16, s16, (.LBB112_1200-.Lpost_getpc20)&4294967295
	s_addc_u32 s17, s17, (.LBB112_1200-.Lpost_getpc20)>>32
	s_setpc_b64 s[16:17]
.LBB112_1:
	s_clause 0x1
	s_load_b128 s[4:7], s[0:1], 0x8
	s_load_b128 s[8:11], s[0:1], 0x50
	v_ashrrev_i32_e32 v209, 31, v208
	v_mov_b32_e32 v3, 0
	v_mov_b32_e32 v4, 0
	s_delay_alu instid0(VALU_DEP_3)
	v_lshlrev_b64 v[1:2], 3, v[208:209]
	scratch_store_b64 off, v[3:4], off      ; 8-byte Folded Spill
	s_waitcnt lgkmcnt(0)
	v_add_co_u32 v1, vcc_lo, s4, v1
	v_add_co_ci_u32_e32 v2, vcc_lo, s5, v2, vcc_lo
	s_cmp_eq_u64 s[8:9], 0
	s_cselect_b32 s5, -1, 0
	global_load_b64 v[1:2], v[1:2], off
	s_and_b32 vcc_lo, exec_lo, s5
	s_cbranch_vccnz .LBB112_3
; %bb.2:
	v_mul_lo_u32 v5, v209, s10
	v_mul_lo_u32 v6, v208, s11
	v_mad_u64_u32 v[3:4], null, v208, s10, 0
	s_delay_alu instid0(VALU_DEP_1) | instskip(NEXT) | instid1(VALU_DEP_1)
	v_add3_u32 v4, v4, v6, v5
	v_lshlrev_b64 v[3:4], 2, v[3:4]
	s_delay_alu instid0(VALU_DEP_1) | instskip(NEXT) | instid1(VALU_DEP_2)
	v_add_co_u32 v3, vcc_lo, s8, v3
	v_add_co_ci_u32_e32 v4, vcc_lo, s9, v4, vcc_lo
	scratch_store_b64 off, v[3:4], off      ; 8-byte Folded Spill
.LBB112_3:
	s_clause 0x1
	s_load_b32 s8, s[0:1], 0x18
	s_load_b32 s12, s[0:1], 0x0
	v_and_b32_e32 v243, 0x3ff, v0
	s_lshl_b64 s[2:3], s[6:7], 4
	scratch_store_b64 off, v[208:209], off offset:40 ; 8-byte Folded Spill
	s_waitcnt vmcnt(0)
	v_add_co_u32 v239, vcc_lo, v1, s2
	v_add_co_ci_u32_e32 v240, vcc_lo, s3, v2, vcc_lo
	v_lshlrev_b32_e32 v214, 4, v243
	s_waitcnt lgkmcnt(0)
	v_add3_u32 v3, s8, s8, v243
	s_ashr_i32 s9, s8, 31
	s_max_i32 s2, s12, 57
	s_lshl_b64 s[10:11], s[8:9], 4
	s_cmp_lt_i32 s12, 2
	v_add_nc_u32_e32 v5, s8, v3
	v_ashrrev_i32_e32 v4, 31, v3
	s_delay_alu instid0(VALU_DEP_2) | instskip(NEXT) | instid1(VALU_DEP_2)
	v_add_nc_u32_e32 v0, s8, v5
	v_lshlrev_b64 v[3:4], 4, v[3:4]
	v_ashrrev_i32_e32 v6, 31, v5
	s_delay_alu instid0(VALU_DEP_3) | instskip(SKIP_1) | instid1(VALU_DEP_4)
	v_add_nc_u32_e32 v2, s8, v0
	v_ashrrev_i32_e32 v1, 31, v0
	v_add_co_u32 v7, vcc_lo, v239, v3
	v_add_co_ci_u32_e32 v8, vcc_lo, v240, v4, vcc_lo
	s_delay_alu instid0(VALU_DEP_4) | instskip(SKIP_3) | instid1(VALU_DEP_4)
	v_add_nc_u32_e32 v4, s8, v2
	v_lshlrev_b64 v[5:6], 4, v[5:6]
	v_ashrrev_i32_e32 v3, 31, v2
	v_lshlrev_b64 v[0:1], 4, v[0:1]
	v_add_nc_u32_e32 v11, s8, v4
	s_delay_alu instid0(VALU_DEP_4) | instskip(SKIP_1) | instid1(VALU_DEP_3)
	v_add_co_u32 v9, vcc_lo, v239, v5
	v_ashrrev_i32_e32 v5, 31, v4
	v_add_nc_u32_e32 v13, s8, v11
	v_lshlrev_b64 v[2:3], 4, v[2:3]
	v_ashrrev_i32_e32 v12, 31, v11
	v_add_co_ci_u32_e32 v10, vcc_lo, v240, v6, vcc_lo
	s_delay_alu instid0(VALU_DEP_4) | instskip(SKIP_3) | instid1(VALU_DEP_4)
	v_add_nc_u32_e32 v15, s8, v13
	v_add_co_u32 v0, vcc_lo, v239, v0
	v_lshlrev_b64 v[4:5], 4, v[4:5]
	v_ashrrev_i32_e32 v14, 31, v13
	v_add_nc_u32_e32 v17, s8, v15
	v_add_co_ci_u32_e32 v1, vcc_lo, v240, v1, vcc_lo
	v_add_co_u32 v2, vcc_lo, v239, v2
	s_delay_alu instid0(VALU_DEP_3) | instskip(SKIP_3) | instid1(VALU_DEP_4)
	v_add_nc_u32_e32 v19, s8, v17
	v_lshlrev_b64 v[11:12], 4, v[11:12]
	v_ashrrev_i32_e32 v16, 31, v15
	v_add_co_ci_u32_e32 v3, vcc_lo, v240, v3, vcc_lo
	v_add_nc_u32_e32 v21, s8, v19
	v_add_co_u32 v4, vcc_lo, v239, v4
	v_lshlrev_b64 v[13:14], 4, v[13:14]
	v_ashrrev_i32_e32 v18, 31, v17
	s_delay_alu instid0(VALU_DEP_4) | instskip(SKIP_2) | instid1(VALU_DEP_3)
	v_add_nc_u32_e32 v23, s8, v21
	v_add_co_ci_u32_e32 v5, vcc_lo, v240, v5, vcc_lo
	v_add_co_u32 v11, vcc_lo, v239, v11
	v_add_nc_u32_e32 v25, s8, v23
	v_lshlrev_b64 v[15:16], 4, v[15:16]
	v_ashrrev_i32_e32 v20, 31, v19
	v_add_co_ci_u32_e32 v12, vcc_lo, v240, v12, vcc_lo
	s_delay_alu instid0(VALU_DEP_4) | instskip(SKIP_3) | instid1(VALU_DEP_4)
	v_add_nc_u32_e32 v27, s8, v25
	v_add_co_u32 v13, vcc_lo, v239, v13
	v_lshlrev_b64 v[17:18], 4, v[17:18]
	v_ashrrev_i32_e32 v22, 31, v21
	v_add_nc_u32_e32 v29, s8, v27
	v_add_co_ci_u32_e32 v14, vcc_lo, v240, v14, vcc_lo
	v_add_co_u32 v15, vcc_lo, v239, v15
	s_delay_alu instid0(VALU_DEP_3) | instskip(SKIP_3) | instid1(VALU_DEP_4)
	v_add_nc_u32_e32 v31, s8, v29
	v_lshlrev_b64 v[19:20], 4, v[19:20]
	v_ashrrev_i32_e32 v24, 31, v23
	v_add_co_ci_u32_e32 v16, vcc_lo, v240, v16, vcc_lo
	v_add_nc_u32_e32 v33, s8, v31
	v_add_co_u32 v17, vcc_lo, v239, v17
	v_lshlrev_b64 v[21:22], 4, v[21:22]
	v_ashrrev_i32_e32 v26, 31, v25
	s_delay_alu instid0(VALU_DEP_4) | instskip(SKIP_2) | instid1(VALU_DEP_3)
	v_add_nc_u32_e32 v35, s8, v33
	v_add_co_ci_u32_e32 v18, vcc_lo, v240, v18, vcc_lo
	v_add_co_u32 v19, vcc_lo, v239, v19
	;; [unrolled: 25-line block ×3, first 2 shown]
	v_add_nc_u32_e32 v49, s8, v47
	v_lshlrev_b64 v[31:32], 4, v[31:32]
	v_ashrrev_i32_e32 v36, 31, v35
	v_add_co_ci_u32_e32 v28, vcc_lo, v240, v28, vcc_lo
	s_delay_alu instid0(VALU_DEP_4) | instskip(SKIP_3) | instid1(VALU_DEP_4)
	v_add_nc_u32_e32 v51, s8, v49
	v_add_co_u32 v29, vcc_lo, v239, v29
	v_lshlrev_b64 v[33:34], 4, v[33:34]
	v_ashrrev_i32_e32 v38, 31, v37
	v_add_nc_u32_e32 v53, s8, v51
	v_add_co_ci_u32_e32 v30, vcc_lo, v240, v30, vcc_lo
	v_add_co_u32 v31, vcc_lo, v239, v31
	s_delay_alu instid0(VALU_DEP_3)
	v_add_nc_u32_e32 v55, s8, v53
	v_lshlrev_b64 v[35:36], 4, v[35:36]
	v_ashrrev_i32_e32 v40, 31, v39
	v_add_co_ci_u32_e32 v32, vcc_lo, v240, v32, vcc_lo
	v_add_co_u32 v33, vcc_lo, v239, v33
	v_lshlrev_b64 v[37:38], 4, v[37:38]
	v_add_nc_u32_e32 v57, s8, v55
	v_ashrrev_i32_e32 v42, 31, v41
	v_add_co_ci_u32_e32 v34, vcc_lo, v240, v34, vcc_lo
	v_add_co_u32 v35, vcc_lo, v239, v35
	v_lshlrev_b64 v[39:40], 4, v[39:40]
	v_ashrrev_i32_e32 v44, 31, v43
	v_add_co_ci_u32_e32 v36, vcc_lo, v240, v36, vcc_lo
	v_add_nc_u32_e32 v59, s8, v57
	v_add_co_u32 v37, vcc_lo, v239, v37
	v_lshlrev_b64 v[41:42], 4, v[41:42]
	v_ashrrev_i32_e32 v46, 31, v45
	v_add_co_ci_u32_e32 v38, vcc_lo, v240, v38, vcc_lo
	v_add_co_u32 v39, vcc_lo, v239, v39
	v_lshlrev_b64 v[43:44], 4, v[43:44]
	v_ashrrev_i32_e32 v48, 31, v47
	v_add_nc_u32_e32 v61, s8, v59
	v_add_co_ci_u32_e32 v40, vcc_lo, v240, v40, vcc_lo
	v_add_co_u32 v41, vcc_lo, v239, v41
	v_lshlrev_b64 v[45:46], 4, v[45:46]
	v_ashrrev_i32_e32 v50, 31, v49
	v_add_co_ci_u32_e32 v42, vcc_lo, v240, v42, vcc_lo
	v_add_co_u32 v43, vcc_lo, v239, v43
	v_lshlrev_b64 v[47:48], 4, v[47:48]
	v_add_nc_u32_e32 v63, s8, v61
	v_ashrrev_i32_e32 v52, 31, v51
	v_add_co_ci_u32_e32 v44, vcc_lo, v240, v44, vcc_lo
	v_add_co_u32 v45, vcc_lo, v239, v45
	v_lshlrev_b64 v[49:50], 4, v[49:50]
	v_ashrrev_i32_e32 v54, 31, v53
	v_add_co_ci_u32_e32 v46, vcc_lo, v240, v46, vcc_lo
	v_add_nc_u32_e32 v65, s8, v63
	v_add_co_u32 v47, vcc_lo, v239, v47
	v_lshlrev_b64 v[51:52], 4, v[51:52]
	v_ashrrev_i32_e32 v56, 31, v55
	v_add_co_ci_u32_e32 v48, vcc_lo, v240, v48, vcc_lo
	v_add_co_u32 v49, vcc_lo, v239, v49
	v_lshlrev_b64 v[53:54], 4, v[53:54]
	v_ashrrev_i32_e32 v58, 31, v57
	v_add_nc_u32_e32 v67, s8, v65
	v_add_co_ci_u32_e32 v50, vcc_lo, v240, v50, vcc_lo
	v_add_co_u32 v51, vcc_lo, v239, v51
	;; [unrolled: 23-line block ×3, first 2 shown]
	v_lshlrev_b64 v[65:66], 4, v[65:66]
	v_ashrrev_i32_e32 v70, 31, v69
	v_add_co_ci_u32_e32 v62, vcc_lo, v240, v62, vcc_lo
	v_add_co_u32 v63, vcc_lo, v239, v63
	v_lshlrev_b64 v[67:68], 4, v[67:68]
	v_add_nc_u32_e32 v75, s8, v73
	v_ashrrev_i32_e32 v72, 31, v71
	v_add_co_ci_u32_e32 v64, vcc_lo, v240, v64, vcc_lo
	v_add_co_u32 v65, vcc_lo, v239, v65
	v_lshlrev_b64 v[69:70], 4, v[69:70]
	v_ashrrev_i32_e32 v74, 31, v73
	v_add_co_ci_u32_e32 v66, vcc_lo, v240, v66, vcc_lo
	v_add_nc_u32_e32 v77, s8, v75
	v_add_co_u32 v67, vcc_lo, v239, v67
	v_lshlrev_b64 v[71:72], 4, v[71:72]
	v_ashrrev_i32_e32 v76, 31, v75
	v_add_co_ci_u32_e32 v68, vcc_lo, v240, v68, vcc_lo
	v_add_co_u32 v69, vcc_lo, v239, v69
	v_lshlrev_b64 v[73:74], 4, v[73:74]
	v_add_nc_u32_e32 v79, s8, v77
	v_add_co_ci_u32_e32 v70, vcc_lo, v240, v70, vcc_lo
	v_add_co_u32 v71, vcc_lo, v239, v71
	v_lshlrev_b64 v[75:76], 4, v[75:76]
	v_ashrrev_i32_e32 v78, 31, v77
	v_add_co_ci_u32_e32 v72, vcc_lo, v240, v72, vcc_lo
	v_add_co_u32 v73, vcc_lo, v239, v73
	v_ashrrev_i32_e32 v80, 31, v79
	v_add_nc_u32_e32 v81, s8, v79
	v_add_co_ci_u32_e32 v74, vcc_lo, v240, v74, vcc_lo
	v_lshlrev_b64 v[77:78], 4, v[77:78]
	v_add_co_u32 v229, vcc_lo, v239, v75
	v_add_co_ci_u32_e32 v230, vcc_lo, v240, v76, vcc_lo
	v_lshlrev_b64 v[75:76], 4, v[79:80]
	v_ashrrev_i32_e32 v82, 31, v81
	v_add_nc_u32_e32 v79, s8, v81
	v_add_co_u32 v236, vcc_lo, v239, v77
	v_add_co_ci_u32_e32 v237, vcc_lo, v240, v78, vcc_lo
	s_delay_alu instid0(VALU_DEP_4) | instskip(NEXT) | instid1(VALU_DEP_4)
	v_lshlrev_b64 v[77:78], 4, v[81:82]
	v_ashrrev_i32_e32 v80, 31, v79
	v_add_nc_u32_e32 v81, s8, v79
	v_add_co_u32 v241, vcc_lo, v239, v75
	v_add_co_ci_u32_e32 v242, vcc_lo, v240, v76, vcc_lo
	s_delay_alu instid0(VALU_DEP_4) | instskip(NEXT) | instid1(VALU_DEP_4)
	;; [unrolled: 6-line block ×12, first 2 shown]
	v_lshlrev_b64 v[75:76], 4, v[79:80]
	v_add_nc_u32_e32 v79, s8, v81
	v_ashrrev_i32_e32 v82, 31, v81
	v_add_co_u32 v224, vcc_lo, v239, v77
	v_add_co_ci_u32_e32 v225, vcc_lo, v240, v78, vcc_lo
	s_delay_alu instid0(VALU_DEP_4) | instskip(NEXT) | instid1(VALU_DEP_4)
	v_ashrrev_i32_e32 v80, 31, v79
	v_lshlrev_b64 v[77:78], 4, v[81:82]
	v_add_co_u32 v226, vcc_lo, v239, v75
	v_add_co_ci_u32_e32 v227, vcc_lo, v240, v76, vcc_lo
	s_delay_alu instid0(VALU_DEP_4) | instskip(SKIP_3) | instid1(VALU_DEP_4)
	v_lshlrev_b64 v[75:76], 4, v[79:80]
	v_add_nc_u32_e32 v79, s8, v79
	v_add_co_u32 v216, vcc_lo, v239, v77
	v_add_co_ci_u32_e32 v217, vcc_lo, v240, v78, vcc_lo
	v_add_co_u32 v218, vcc_lo, v239, v75
	s_delay_alu instid0(VALU_DEP_4) | instskip(SKIP_3) | instid1(VALU_DEP_4)
	v_ashrrev_i32_e32 v80, 31, v79
	v_add_co_ci_u32_e32 v219, vcc_lo, v240, v76, vcc_lo
	v_add_co_u32 v77, vcc_lo, v239, v214
	v_add_co_ci_u32_e32 v78, vcc_lo, 0, v240, vcc_lo
	v_lshlrev_b64 v[75:76], 4, v[79:80]
	s_delay_alu instid0(VALU_DEP_3) | instskip(NEXT) | instid1(VALU_DEP_3)
	v_add_co_u32 v79, vcc_lo, v77, s10
	v_add_co_ci_u32_e32 v80, vcc_lo, s11, v78, vcc_lo
	s_delay_alu instid0(VALU_DEP_3) | instskip(NEXT) | instid1(VALU_DEP_4)
	v_add_co_u32 v212, vcc_lo, v239, v75
	v_add_co_ci_u32_e32 v213, vcc_lo, v240, v76, vcc_lo
	s_clause 0x1
	global_load_b128 v[208:211], v[77:78], off
	global_load_b128 v[75:78], v[79:80], off
	s_waitcnt vmcnt(0)
	scratch_store_b128 off, v[75:78], off offset:8 ; 16-byte Folded Spill
	s_clause 0x1
	global_load_b128 v[75:78], v[7:8], off
	global_load_b128 v[6:9], v[9:10], off
	s_waitcnt vmcnt(1)
	scratch_store_b128 off, v[75:78], off offset:48 ; 16-byte Folded Spill
	s_waitcnt vmcnt(0)
	scratch_store_b128 off, v[6:9], off offset:64 ; 16-byte Folded Spill
	s_clause 0x1f
	global_load_b128 v[204:207], v[0:1], off
	global_load_b128 v[6:9], v[2:3], off
	global_load_b128 v[200:203], v[4:5], off
	global_load_b128 v[196:199], v[11:12], off
	global_load_b128 v[192:195], v[13:14], off
	global_load_b128 v[188:191], v[15:16], off
	global_load_b128 v[184:187], v[17:18], off
	global_load_b128 v[180:183], v[19:20], off
	global_load_b128 v[176:179], v[21:22], off
	global_load_b128 v[172:175], v[23:24], off
	global_load_b128 v[168:171], v[25:26], off
	global_load_b128 v[164:167], v[27:28], off
	global_load_b128 v[160:163], v[29:30], off
	global_load_b128 v[156:159], v[31:32], off
	global_load_b128 v[152:155], v[33:34], off
	global_load_b128 v[148:151], v[35:36], off
	global_load_b128 v[144:147], v[37:38], off
	global_load_b128 v[140:143], v[39:40], off
	global_load_b128 v[136:139], v[41:42], off
	global_load_b128 v[132:135], v[43:44], off
	global_load_b128 v[128:131], v[45:46], off
	global_load_b128 v[124:127], v[47:48], off
	global_load_b128 v[120:123], v[49:50], off
	global_load_b128 v[116:119], v[51:52], off
	global_load_b128 v[112:115], v[53:54], off
	global_load_b128 v[108:111], v[55:56], off
	global_load_b128 v[104:107], v[57:58], off
	global_load_b128 v[100:103], v[59:60], off
	global_load_b128 v[96:99], v[61:62], off
	global_load_b128 v[92:95], v[63:64], off
	global_load_b128 v[88:91], v[65:66], off
	global_load_b128 v[84:87], v[67:68], off
	s_clause 0x14
	global_load_b128 v[80:83], v[69:70], off
	global_load_b128 v[76:79], v[71:72], off
	;; [unrolled: 1-line block ×21, first 2 shown]
	v_mul_lo_u32 v212, s2, v228
	scratch_store_b128 off, v[208:211], off offset:24 ; 16-byte Folded Spill
	v_mov_b32_e32 v236, 0
	v_lshl_add_u32 v238, v212, 4, 0
	v_lshlrev_b32_e32 v242, 4, v212
	s_delay_alu instid0(VALU_DEP_2)
	v_add_nc_u32_e32 v213, v238, v214
	ds_store_2addr_b64 v213, v[208:209], v[210:211] offset1:1
	s_waitcnt vmcnt(0) lgkmcnt(0)
	s_waitcnt_vscnt null, 0x0
	s_barrier
	buffer_gl0_inv
	ds_load_2addr_b64 v[228:231], v238 offset1:1
	s_cbranch_scc1 .LBB112_6
; %bb.4:
	v_add3_u32 v237, v242, 0, 16
	v_mov_b32_e32 v236, 0
	s_mov_b32 s6, 1
	s_set_inst_prefetch_distance 0x1
	.p2align	6
.LBB112_5:                              ; =>This Inner Loop Header: Depth=1
	ds_load_2addr_b64 v[244:247], v237 offset1:1
	s_waitcnt lgkmcnt(1)
	v_cmp_gt_f64_e32 vcc_lo, 0, v[228:229]
	v_cmp_gt_f64_e64 s2, 0, v[230:231]
	v_xor_b32_e32 v213, 0x80000000, v229
	v_xor_b32_e32 v215, 0x80000000, v231
	v_add_nc_u32_e32 v237, 16, v237
	s_waitcnt lgkmcnt(0)
	v_cmp_gt_f64_e64 s3, 0, v[244:245]
	v_cmp_gt_f64_e64 s4, 0, v[246:247]
	v_xor_b32_e32 v219, 0x80000000, v245
	v_xor_b32_e32 v220, 0x80000000, v247
	v_mov_b32_e32 v214, v246
	v_mov_b32_e32 v212, v244
	v_cndmask_b32_e32 v216, v229, v213, vcc_lo
	v_cndmask_b32_e64 v218, v231, v215, s2
	v_cndmask_b32_e32 v215, v228, v228, vcc_lo
	v_cndmask_b32_e64 v217, v230, v230, s2
	s_delay_alu instid0(VALU_DEP_1) | instskip(SKIP_2) | instid1(VALU_DEP_1)
	v_add_f64 v[216:217], v[215:216], v[217:218]
	v_cndmask_b32_e64 v213, v245, v219, s3
	v_cndmask_b32_e64 v215, v247, v220, s4
	v_add_f64 v[212:213], v[212:213], v[214:215]
	s_delay_alu instid0(VALU_DEP_1)
	v_cmp_lt_f64_e32 vcc_lo, v[216:217], v[212:213]
	v_cndmask_b32_e32 v231, v231, v247, vcc_lo
	v_dual_cndmask_b32 v229, v229, v245 :: v_dual_cndmask_b32 v228, v228, v244
	v_cndmask_b32_e32 v230, v230, v246, vcc_lo
	v_cndmask_b32_e64 v236, v236, s6, vcc_lo
	s_add_i32 s6, s6, 1
	s_delay_alu instid0(SALU_CYCLE_1)
	s_cmp_eq_u32 s12, s6
	s_cbranch_scc0 .LBB112_5
.LBB112_6:
	s_set_inst_prefetch_distance 0x2
	v_dual_mov_b32 v235, v207 :: v_dual_mov_b32 v234, v206
	v_dual_mov_b32 v233, v205 :: v_dual_mov_b32 v232, v204
	;; [unrolled: 1-line block ×3, first 2 shown]
	scratch_load_b64 v[4:5], off, off offset:40 ; 8-byte Folded Reload
	v_dual_mov_b32 v205, v7 :: v_dual_mov_b32 v204, v6
	scratch_load_b128 v[6:9], off, off offset:64 ; 16-byte Folded Reload
	s_waitcnt lgkmcnt(0)
	v_cmp_neq_f64_e32 vcc_lo, 0, v[228:229]
	v_cmp_neq_f64_e64 s2, 0, v[230:231]
	v_mov_b32_e32 v241, 1
	v_mov_b32_e32 v245, 1
	s_delay_alu instid0(VALU_DEP_3) | instskip(SKIP_3) | instid1(SALU_CYCLE_1)
	s_or_b32 s2, vcc_lo, s2
	s_mov_b32 s3, exec_lo
	scratch_load_b128 v[208:211], off, off offset:48 ; 16-byte Folded Reload
	s_and_b32 s2, s3, s2
	s_mov_b32 exec_lo, s2
	s_cbranch_execz .LBB112_12
; %bb.7:
	v_cmp_gt_f64_e32 vcc_lo, 0, v[228:229]
	v_cmp_gt_f64_e64 s2, 0, v[230:231]
	v_xor_b32_e32 v212, 0x80000000, v229
	v_xor_b32_e32 v214, 0x80000000, v231
                                        ; implicit-def: $sgpr4
                                        ; implicit-def: $sgpr6
	s_delay_alu instid0(VALU_DEP_2) | instskip(NEXT) | instid1(VALU_DEP_2)
	v_cndmask_b32_e32 v213, v229, v212, vcc_lo
	v_cndmask_b32_e64 v215, v231, v214, s2
	v_cndmask_b32_e32 v212, v228, v228, vcc_lo
	v_cndmask_b32_e64 v214, v230, v230, s2
	s_mov_b32 s2, exec_lo
	s_delay_alu instid0(VALU_DEP_1)
	v_cmpx_ngt_f64_e32 v[212:213], v[214:215]
	s_xor_b32 s2, exec_lo, s2
	s_cbranch_execz .LBB112_9
; %bb.8:
	v_div_scale_f64 v[212:213], null, v[230:231], v[230:231], v[228:229]
	v_div_scale_f64 v[218:219], vcc_lo, v[228:229], v[230:231], v[228:229]
	s_mov_b32 s6, 2
	s_mov_b32 s4, 0
	s_delay_alu instid0(VALU_DEP_2) | instskip(SKIP_2) | instid1(VALU_DEP_1)
	v_rcp_f64_e32 v[214:215], v[212:213]
	s_waitcnt_depctr 0xfff
	v_fma_f64 v[216:217], -v[212:213], v[214:215], 1.0
	v_fma_f64 v[214:215], v[214:215], v[216:217], v[214:215]
	s_delay_alu instid0(VALU_DEP_1) | instskip(NEXT) | instid1(VALU_DEP_1)
	v_fma_f64 v[216:217], -v[212:213], v[214:215], 1.0
	v_fma_f64 v[214:215], v[214:215], v[216:217], v[214:215]
	s_delay_alu instid0(VALU_DEP_1) | instskip(NEXT) | instid1(VALU_DEP_1)
	v_mul_f64 v[216:217], v[218:219], v[214:215]
	v_fma_f64 v[212:213], -v[212:213], v[216:217], v[218:219]
	s_delay_alu instid0(VALU_DEP_1) | instskip(NEXT) | instid1(VALU_DEP_1)
	v_div_fmas_f64 v[212:213], v[212:213], v[214:215], v[216:217]
	v_div_fixup_f64 v[212:213], v[212:213], v[230:231], v[228:229]
	s_delay_alu instid0(VALU_DEP_1) | instskip(NEXT) | instid1(VALU_DEP_1)
	v_fma_f64 v[214:215], v[228:229], v[212:213], v[230:231]
	v_div_scale_f64 v[216:217], null, v[214:215], v[214:215], 1.0
	s_delay_alu instid0(VALU_DEP_1) | instskip(SKIP_2) | instid1(VALU_DEP_1)
	v_rcp_f64_e32 v[218:219], v[216:217]
	s_waitcnt_depctr 0xfff
	v_fma_f64 v[220:221], -v[216:217], v[218:219], 1.0
	v_fma_f64 v[218:219], v[218:219], v[220:221], v[218:219]
	s_delay_alu instid0(VALU_DEP_1) | instskip(NEXT) | instid1(VALU_DEP_1)
	v_fma_f64 v[220:221], -v[216:217], v[218:219], 1.0
	v_fma_f64 v[218:219], v[218:219], v[220:221], v[218:219]
	v_div_scale_f64 v[220:221], vcc_lo, 1.0, v[214:215], 1.0
	s_delay_alu instid0(VALU_DEP_1) | instskip(NEXT) | instid1(VALU_DEP_1)
	v_mul_f64 v[222:223], v[220:221], v[218:219]
	v_fma_f64 v[216:217], -v[216:217], v[222:223], v[220:221]
	s_delay_alu instid0(VALU_DEP_1) | instskip(NEXT) | instid1(VALU_DEP_1)
	v_div_fmas_f64 v[216:217], v[216:217], v[218:219], v[222:223]
	v_div_fixup_f64 v[230:231], v[216:217], v[214:215], 1.0
	s_delay_alu instid0(VALU_DEP_1)
	v_mul_f64 v[228:229], v[212:213], v[230:231]
	v_xor_b32_e32 v231, 0x80000000, v231
.LBB112_9:
	s_or_saveexec_b32 s2, s2
	v_mov_b32_e32 v245, s4
	v_mov_b32_e32 v241, s6
	s_xor_b32 exec_lo, exec_lo, s2
	s_cbranch_execz .LBB112_11
; %bb.10:
	s_delay_alu instid0(VALU_DEP_4) | instskip(SKIP_3) | instid1(VALU_DEP_4)
	v_div_scale_f64 v[212:213], null, v[228:229], v[228:229], v[230:231]
	v_div_scale_f64 v[218:219], vcc_lo, v[230:231], v[228:229], v[230:231]
	v_mov_b32_e32 v245, 0
	v_mov_b32_e32 v241, 2
	v_rcp_f64_e32 v[214:215], v[212:213]
	s_waitcnt_depctr 0xfff
	v_fma_f64 v[216:217], -v[212:213], v[214:215], 1.0
	s_delay_alu instid0(VALU_DEP_1) | instskip(NEXT) | instid1(VALU_DEP_1)
	v_fma_f64 v[214:215], v[214:215], v[216:217], v[214:215]
	v_fma_f64 v[216:217], -v[212:213], v[214:215], 1.0
	s_delay_alu instid0(VALU_DEP_1) | instskip(NEXT) | instid1(VALU_DEP_1)
	v_fma_f64 v[214:215], v[214:215], v[216:217], v[214:215]
	v_mul_f64 v[216:217], v[218:219], v[214:215]
	s_delay_alu instid0(VALU_DEP_1) | instskip(NEXT) | instid1(VALU_DEP_1)
	v_fma_f64 v[212:213], -v[212:213], v[216:217], v[218:219]
	v_div_fmas_f64 v[212:213], v[212:213], v[214:215], v[216:217]
	s_delay_alu instid0(VALU_DEP_1) | instskip(NEXT) | instid1(VALU_DEP_1)
	v_div_fixup_f64 v[212:213], v[212:213], v[228:229], v[230:231]
	v_fma_f64 v[214:215], v[230:231], v[212:213], v[228:229]
	s_delay_alu instid0(VALU_DEP_1) | instskip(NEXT) | instid1(VALU_DEP_1)
	v_div_scale_f64 v[216:217], null, v[214:215], v[214:215], 1.0
	v_rcp_f64_e32 v[218:219], v[216:217]
	s_waitcnt_depctr 0xfff
	v_fma_f64 v[220:221], -v[216:217], v[218:219], 1.0
	s_delay_alu instid0(VALU_DEP_1) | instskip(NEXT) | instid1(VALU_DEP_1)
	v_fma_f64 v[218:219], v[218:219], v[220:221], v[218:219]
	v_fma_f64 v[220:221], -v[216:217], v[218:219], 1.0
	s_delay_alu instid0(VALU_DEP_1) | instskip(SKIP_1) | instid1(VALU_DEP_1)
	v_fma_f64 v[218:219], v[218:219], v[220:221], v[218:219]
	v_div_scale_f64 v[220:221], vcc_lo, 1.0, v[214:215], 1.0
	v_mul_f64 v[222:223], v[220:221], v[218:219]
	s_delay_alu instid0(VALU_DEP_1) | instskip(NEXT) | instid1(VALU_DEP_1)
	v_fma_f64 v[216:217], -v[216:217], v[222:223], v[220:221]
	v_div_fmas_f64 v[216:217], v[216:217], v[218:219], v[222:223]
	s_delay_alu instid0(VALU_DEP_1) | instskip(NEXT) | instid1(VALU_DEP_1)
	v_div_fixup_f64 v[228:229], v[216:217], v[214:215], 1.0
	v_mul_f64 v[230:231], v[212:213], -v[228:229]
.LBB112_11:
	s_or_b32 exec_lo, exec_lo, s2
.LBB112_12:
	s_delay_alu instid0(SALU_CYCLE_1) | instskip(NEXT) | instid1(SALU_CYCLE_1)
	s_or_b32 exec_lo, exec_lo, s3
	s_mov_b32 s2, exec_lo
	v_cmpx_ne_u32_e64 v243, v236
	s_xor_b32 s2, exec_lo, s2
	s_cbranch_execz .LBB112_18
; %bb.13:
	s_mov_b32 s3, exec_lo
	v_cmpx_eq_u32_e32 0, v243
	s_cbranch_execz .LBB112_17
; %bb.14:
	v_cmp_ne_u32_e32 vcc_lo, 0, v236
	s_xor_b32 s4, s5, -1
	s_delay_alu instid0(SALU_CYCLE_1) | instskip(NEXT) | instid1(SALU_CYCLE_1)
	s_and_b32 s6, s4, vcc_lo
	s_and_saveexec_b32 s4, s6
	s_cbranch_execz .LBB112_16
; %bb.15:
	scratch_load_b64 v[10:11], off, off     ; 8-byte Folded Reload
	v_ashrrev_i32_e32 v237, 31, v236
	s_delay_alu instid0(VALU_DEP_1) | instskip(SKIP_1) | instid1(VALU_DEP_1)
	v_lshlrev_b64 v[212:213], 2, v[236:237]
	s_waitcnt vmcnt(0)
	v_add_co_u32 v212, vcc_lo, v10, v212
	s_delay_alu instid0(VALU_DEP_2)
	v_add_co_ci_u32_e32 v213, vcc_lo, v11, v213, vcc_lo
	s_clause 0x1
	flat_load_b32 v214, v[212:213]
	flat_load_b32 v215, v[10:11]
	s_waitcnt vmcnt(1) lgkmcnt(1)
	flat_store_b32 v[10:11], v214
	s_waitcnt vmcnt(0) lgkmcnt(1)
	flat_store_b32 v[212:213], v215
.LBB112_16:
	s_or_b32 exec_lo, exec_lo, s4
	v_mov_b32_e32 v243, v236
.LBB112_17:
	s_or_b32 exec_lo, exec_lo, s3
.LBB112_18:
	s_or_saveexec_b32 s2, s2
	s_delay_alu instid0(VALU_DEP_1)
	v_mov_b32_e32 v244, v243
	s_xor_b32 exec_lo, exec_lo, s2
	s_cbranch_execz .LBB112_20
; %bb.19:
	scratch_load_b128 v[212:215], off, off offset:8 ; 16-byte Folded Reload
	v_mov_b32_e32 v244, 0
	s_waitcnt vmcnt(0)
	ds_store_2addr_b64 v238, v[212:213], v[214:215] offset0:2 offset1:3
	ds_store_2addr_b64 v238, v[208:209], v[210:211] offset0:4 offset1:5
	ds_store_2addr_b64 v238, v[6:7], v[8:9] offset0:6 offset1:7
	ds_store_2addr_b64 v238, v[232:233], v[234:235] offset0:8 offset1:9
	ds_store_2addr_b64 v238, v[204:205], v[206:207] offset0:10 offset1:11
	ds_store_2addr_b64 v238, v[200:201], v[202:203] offset0:12 offset1:13
	ds_store_2addr_b64 v238, v[196:197], v[198:199] offset0:14 offset1:15
	ds_store_2addr_b64 v238, v[192:193], v[194:195] offset0:16 offset1:17
	ds_store_2addr_b64 v238, v[188:189], v[190:191] offset0:18 offset1:19
	ds_store_2addr_b64 v238, v[184:185], v[186:187] offset0:20 offset1:21
	ds_store_2addr_b64 v238, v[180:181], v[182:183] offset0:22 offset1:23
	ds_store_2addr_b64 v238, v[176:177], v[178:179] offset0:24 offset1:25
	ds_store_2addr_b64 v238, v[172:173], v[174:175] offset0:26 offset1:27
	ds_store_2addr_b64 v238, v[168:169], v[170:171] offset0:28 offset1:29
	ds_store_2addr_b64 v238, v[164:165], v[166:167] offset0:30 offset1:31
	ds_store_2addr_b64 v238, v[160:161], v[162:163] offset0:32 offset1:33
	ds_store_2addr_b64 v238, v[156:157], v[158:159] offset0:34 offset1:35
	ds_store_2addr_b64 v238, v[152:153], v[154:155] offset0:36 offset1:37
	ds_store_2addr_b64 v238, v[148:149], v[150:151] offset0:38 offset1:39
	ds_store_2addr_b64 v238, v[144:145], v[146:147] offset0:40 offset1:41
	ds_store_2addr_b64 v238, v[140:141], v[142:143] offset0:42 offset1:43
	ds_store_2addr_b64 v238, v[136:137], v[138:139] offset0:44 offset1:45
	ds_store_2addr_b64 v238, v[132:133], v[134:135] offset0:46 offset1:47
	ds_store_2addr_b64 v238, v[128:129], v[130:131] offset0:48 offset1:49
	ds_store_2addr_b64 v238, v[124:125], v[126:127] offset0:50 offset1:51
	ds_store_2addr_b64 v238, v[120:121], v[122:123] offset0:52 offset1:53
	ds_store_2addr_b64 v238, v[116:117], v[118:119] offset0:54 offset1:55
	ds_store_2addr_b64 v238, v[112:113], v[114:115] offset0:56 offset1:57
	ds_store_2addr_b64 v238, v[108:109], v[110:111] offset0:58 offset1:59
	ds_store_2addr_b64 v238, v[104:105], v[106:107] offset0:60 offset1:61
	ds_store_2addr_b64 v238, v[100:101], v[102:103] offset0:62 offset1:63
	ds_store_2addr_b64 v238, v[96:97], v[98:99] offset0:64 offset1:65
	ds_store_2addr_b64 v238, v[92:93], v[94:95] offset0:66 offset1:67
	ds_store_2addr_b64 v238, v[88:89], v[90:91] offset0:68 offset1:69
	ds_store_2addr_b64 v238, v[84:85], v[86:87] offset0:70 offset1:71
	ds_store_2addr_b64 v238, v[80:81], v[82:83] offset0:72 offset1:73
	ds_store_2addr_b64 v238, v[76:77], v[78:79] offset0:74 offset1:75
	ds_store_2addr_b64 v238, v[72:73], v[74:75] offset0:76 offset1:77
	ds_store_2addr_b64 v238, v[68:69], v[70:71] offset0:78 offset1:79
	ds_store_2addr_b64 v238, v[64:65], v[66:67] offset0:80 offset1:81
	ds_store_2addr_b64 v238, v[60:61], v[62:63] offset0:82 offset1:83
	ds_store_2addr_b64 v238, v[56:57], v[58:59] offset0:84 offset1:85
	ds_store_2addr_b64 v238, v[52:53], v[54:55] offset0:86 offset1:87
	ds_store_2addr_b64 v238, v[48:49], v[50:51] offset0:88 offset1:89
	ds_store_2addr_b64 v238, v[44:45], v[46:47] offset0:90 offset1:91
	ds_store_2addr_b64 v238, v[40:41], v[42:43] offset0:92 offset1:93
	ds_store_2addr_b64 v238, v[36:37], v[38:39] offset0:94 offset1:95
	ds_store_2addr_b64 v238, v[32:33], v[34:35] offset0:96 offset1:97
	ds_store_2addr_b64 v238, v[28:29], v[30:31] offset0:98 offset1:99
	ds_store_2addr_b64 v238, v[24:25], v[26:27] offset0:100 offset1:101
	ds_store_2addr_b64 v238, v[20:21], v[22:23] offset0:102 offset1:103
	ds_store_2addr_b64 v238, v[16:17], v[18:19] offset0:104 offset1:105
	ds_store_2addr_b64 v238, v[12:13], v[14:15] offset0:106 offset1:107
	ds_store_2addr_b64 v238, v[224:225], v[226:227] offset0:108 offset1:109
	ds_store_2addr_b64 v238, v[250:251], v[252:253] offset0:110 offset1:111
	ds_store_2addr_b64 v238, v[0:1], v[2:3] offset0:112 offset1:113
.LBB112_20:
	s_or_b32 exec_lo, exec_lo, s2
	s_delay_alu instid0(SALU_CYCLE_1)
	s_mov_b32 s2, exec_lo
	s_waitcnt vmcnt(0) lgkmcnt(0)
	s_waitcnt_vscnt null, 0x0
	s_barrier
	buffer_gl0_inv
	v_cmpx_lt_i32_e32 0, v244
	s_cbranch_execz .LBB112_22
; %bb.21:
	s_clause 0x1
	scratch_load_b128 v[214:217], off, off offset:24
	scratch_load_b128 v[218:221], off, off offset:8
	s_waitcnt vmcnt(1)
	v_mul_f64 v[212:213], v[230:231], v[216:217]
	s_delay_alu instid0(VALU_DEP_1) | instskip(SKIP_1) | instid1(VALU_DEP_1)
	v_fma_f64 v[236:237], v[228:229], v[214:215], -v[212:213]
	v_mul_f64 v[212:213], v[228:229], v[216:217]
	v_fma_f64 v[216:217], v[230:231], v[214:215], v[212:213]
	ds_load_2addr_b64 v[228:231], v238 offset0:2 offset1:3
	s_waitcnt lgkmcnt(0)
	v_mul_f64 v[212:213], v[230:231], v[216:217]
	v_mul_f64 v[214:215], v[228:229], v[216:217]
	s_delay_alu instid0(VALU_DEP_2) | instskip(NEXT) | instid1(VALU_DEP_2)
	v_fma_f64 v[212:213], v[228:229], v[236:237], -v[212:213]
	v_fma_f64 v[214:215], v[230:231], v[236:237], v[214:215]
	ds_load_2addr_b64 v[228:231], v238 offset0:4 offset1:5
	s_waitcnt vmcnt(0)
	v_add_f64 v[218:219], v[218:219], -v[212:213]
	v_add_f64 v[220:221], v[220:221], -v[214:215]
	s_waitcnt lgkmcnt(0)
	v_mul_f64 v[212:213], v[230:231], v[216:217]
	v_mul_f64 v[214:215], v[228:229], v[216:217]
	s_delay_alu instid0(VALU_DEP_2) | instskip(NEXT) | instid1(VALU_DEP_2)
	v_fma_f64 v[212:213], v[228:229], v[236:237], -v[212:213]
	v_fma_f64 v[214:215], v[230:231], v[236:237], v[214:215]
	ds_load_2addr_b64 v[228:231], v238 offset0:6 offset1:7
	v_add_f64 v[208:209], v[208:209], -v[212:213]
	v_add_f64 v[210:211], v[210:211], -v[214:215]
	s_waitcnt lgkmcnt(0)
	v_mul_f64 v[212:213], v[230:231], v[216:217]
	v_mul_f64 v[214:215], v[228:229], v[216:217]
	s_delay_alu instid0(VALU_DEP_2) | instskip(NEXT) | instid1(VALU_DEP_2)
	v_fma_f64 v[212:213], v[228:229], v[236:237], -v[212:213]
	v_fma_f64 v[214:215], v[230:231], v[236:237], v[214:215]
	ds_load_2addr_b64 v[228:231], v238 offset0:8 offset1:9
	;; [unrolled: 9-line block ×54, first 2 shown]
	v_add_f64 v[250:251], v[250:251], -v[212:213]
	v_add_f64 v[252:253], v[252:253], -v[214:215]
	s_waitcnt lgkmcnt(0)
	v_mul_f64 v[212:213], v[230:231], v[216:217]
	v_mul_f64 v[214:215], v[228:229], v[216:217]
	s_delay_alu instid0(VALU_DEP_2) | instskip(NEXT) | instid1(VALU_DEP_2)
	v_fma_f64 v[212:213], v[228:229], v[236:237], -v[212:213]
	v_fma_f64 v[214:215], v[230:231], v[236:237], v[214:215]
	s_delay_alu instid0(VALU_DEP_2) | instskip(NEXT) | instid1(VALU_DEP_2)
	v_add_f64 v[0:1], v[0:1], -v[212:213]
	v_add_f64 v[2:3], v[2:3], -v[214:215]
	v_dual_mov_b32 v214, v236 :: v_dual_mov_b32 v215, v237
	s_clause 0x1
	scratch_store_b128 off, v[218:221], off offset:8
	scratch_store_b128 off, v[214:217], off offset:24
.LBB112_22:
	s_or_b32 exec_lo, exec_lo, s2
	s_waitcnt_vscnt null, 0x0
	s_barrier
	buffer_gl0_inv
	scratch_load_b128 v[213:216], off, off offset:8 ; 16-byte Folded Reload
	v_lshl_add_u32 v212, v244, 4, v238
	v_mov_b32_e32 v236, 1
	s_cmp_lt_i32 s12, 3
	s_waitcnt vmcnt(0)
	ds_store_2addr_b64 v212, v[213:214], v[215:216] offset1:1
	s_waitcnt lgkmcnt(0)
	s_barrier
	buffer_gl0_inv
	ds_load_2addr_b64 v[228:231], v238 offset0:2 offset1:3
	s_cbranch_scc1 .LBB112_25
; %bb.23:
	v_add3_u32 v237, v242, 0, 32
	v_mov_b32_e32 v236, 1
	s_mov_b32 s6, 2
	s_set_inst_prefetch_distance 0x1
	.p2align	6
.LBB112_24:                             ; =>This Inner Loop Header: Depth=1
	ds_load_2addr_b64 v[246:249], v237 offset1:1
	s_waitcnt lgkmcnt(1)
	v_cmp_gt_f64_e32 vcc_lo, 0, v[228:229]
	v_cmp_gt_f64_e64 s2, 0, v[230:231]
	v_xor_b32_e32 v213, 0x80000000, v229
	v_xor_b32_e32 v215, 0x80000000, v231
	v_add_nc_u32_e32 v237, 16, v237
	s_waitcnt lgkmcnt(0)
	v_cmp_gt_f64_e64 s3, 0, v[246:247]
	v_cmp_gt_f64_e64 s4, 0, v[248:249]
	v_xor_b32_e32 v219, 0x80000000, v247
	v_mov_b32_e32 v212, v246
	v_xor_b32_e32 v220, 0x80000000, v249
	v_mov_b32_e32 v214, v248
	v_cndmask_b32_e32 v216, v229, v213, vcc_lo
	v_cndmask_b32_e64 v218, v231, v215, s2
	v_cndmask_b32_e32 v215, v228, v228, vcc_lo
	v_cndmask_b32_e64 v217, v230, v230, s2
	s_delay_alu instid0(VALU_DEP_1) | instskip(SKIP_2) | instid1(VALU_DEP_1)
	v_add_f64 v[216:217], v[215:216], v[217:218]
	v_cndmask_b32_e64 v213, v247, v219, s3
	v_cndmask_b32_e64 v215, v249, v220, s4
	v_add_f64 v[212:213], v[212:213], v[214:215]
	s_delay_alu instid0(VALU_DEP_1) | instskip(SKIP_4) | instid1(SALU_CYCLE_1)
	v_cmp_lt_f64_e32 vcc_lo, v[216:217], v[212:213]
	v_dual_cndmask_b32 v229, v229, v247 :: v_dual_cndmask_b32 v228, v228, v246
	v_dual_cndmask_b32 v231, v231, v249 :: v_dual_cndmask_b32 v230, v230, v248
	v_cndmask_b32_e64 v236, v236, s6, vcc_lo
	s_add_i32 s6, s6, 1
	s_cmp_lg_u32 s12, s6
	s_cbranch_scc1 .LBB112_24
.LBB112_25:
	s_set_inst_prefetch_distance 0x2
	s_waitcnt lgkmcnt(0)
	v_cmp_neq_f64_e32 vcc_lo, 0, v[228:229]
	v_cmp_neq_f64_e64 s2, 0, v[230:231]
	s_delay_alu instid0(VALU_DEP_1) | instskip(NEXT) | instid1(SALU_CYCLE_1)
	s_or_b32 s2, vcc_lo, s2
	s_and_saveexec_b32 s3, s2
	s_cbranch_execz .LBB112_31
; %bb.26:
	v_cmp_gt_f64_e32 vcc_lo, 0, v[228:229]
	v_cmp_gt_f64_e64 s2, 0, v[230:231]
	v_xor_b32_e32 v212, 0x80000000, v229
	v_xor_b32_e32 v214, 0x80000000, v231
	s_delay_alu instid0(VALU_DEP_2) | instskip(NEXT) | instid1(VALU_DEP_2)
	v_cndmask_b32_e32 v213, v229, v212, vcc_lo
	v_cndmask_b32_e64 v215, v231, v214, s2
	v_cndmask_b32_e32 v212, v228, v228, vcc_lo
	v_cndmask_b32_e64 v214, v230, v230, s2
	s_mov_b32 s2, exec_lo
	s_delay_alu instid0(VALU_DEP_1)
	v_cmpx_ngt_f64_e32 v[212:213], v[214:215]
	s_xor_b32 s2, exec_lo, s2
	s_cbranch_execz .LBB112_28
; %bb.27:
	v_div_scale_f64 v[212:213], null, v[230:231], v[230:231], v[228:229]
	v_div_scale_f64 v[218:219], vcc_lo, v[228:229], v[230:231], v[228:229]
	s_delay_alu instid0(VALU_DEP_2) | instskip(SKIP_2) | instid1(VALU_DEP_1)
	v_rcp_f64_e32 v[214:215], v[212:213]
	s_waitcnt_depctr 0xfff
	v_fma_f64 v[216:217], -v[212:213], v[214:215], 1.0
	v_fma_f64 v[214:215], v[214:215], v[216:217], v[214:215]
	s_delay_alu instid0(VALU_DEP_1) | instskip(NEXT) | instid1(VALU_DEP_1)
	v_fma_f64 v[216:217], -v[212:213], v[214:215], 1.0
	v_fma_f64 v[214:215], v[214:215], v[216:217], v[214:215]
	s_delay_alu instid0(VALU_DEP_1) | instskip(NEXT) | instid1(VALU_DEP_1)
	v_mul_f64 v[216:217], v[218:219], v[214:215]
	v_fma_f64 v[212:213], -v[212:213], v[216:217], v[218:219]
	s_delay_alu instid0(VALU_DEP_1) | instskip(NEXT) | instid1(VALU_DEP_1)
	v_div_fmas_f64 v[212:213], v[212:213], v[214:215], v[216:217]
	v_div_fixup_f64 v[212:213], v[212:213], v[230:231], v[228:229]
	s_delay_alu instid0(VALU_DEP_1) | instskip(NEXT) | instid1(VALU_DEP_1)
	v_fma_f64 v[214:215], v[228:229], v[212:213], v[230:231]
	v_div_scale_f64 v[216:217], null, v[214:215], v[214:215], 1.0
	s_delay_alu instid0(VALU_DEP_1) | instskip(SKIP_2) | instid1(VALU_DEP_1)
	v_rcp_f64_e32 v[218:219], v[216:217]
	s_waitcnt_depctr 0xfff
	v_fma_f64 v[220:221], -v[216:217], v[218:219], 1.0
	v_fma_f64 v[218:219], v[218:219], v[220:221], v[218:219]
	s_delay_alu instid0(VALU_DEP_1) | instskip(NEXT) | instid1(VALU_DEP_1)
	v_fma_f64 v[220:221], -v[216:217], v[218:219], 1.0
	v_fma_f64 v[218:219], v[218:219], v[220:221], v[218:219]
	v_div_scale_f64 v[220:221], vcc_lo, 1.0, v[214:215], 1.0
	s_delay_alu instid0(VALU_DEP_1) | instskip(NEXT) | instid1(VALU_DEP_1)
	v_mul_f64 v[222:223], v[220:221], v[218:219]
	v_fma_f64 v[216:217], -v[216:217], v[222:223], v[220:221]
	s_delay_alu instid0(VALU_DEP_1) | instskip(NEXT) | instid1(VALU_DEP_1)
	v_div_fmas_f64 v[216:217], v[216:217], v[218:219], v[222:223]
	v_div_fixup_f64 v[230:231], v[216:217], v[214:215], 1.0
	s_delay_alu instid0(VALU_DEP_1)
	v_mul_f64 v[228:229], v[212:213], v[230:231]
	v_xor_b32_e32 v231, 0x80000000, v231
.LBB112_28:
	s_and_not1_saveexec_b32 s2, s2
	s_cbranch_execz .LBB112_30
; %bb.29:
	s_delay_alu instid0(VALU_DEP_1) | instskip(SKIP_1) | instid1(VALU_DEP_2)
	v_div_scale_f64 v[212:213], null, v[228:229], v[228:229], v[230:231]
	v_div_scale_f64 v[218:219], vcc_lo, v[230:231], v[228:229], v[230:231]
	v_rcp_f64_e32 v[214:215], v[212:213]
	s_waitcnt_depctr 0xfff
	v_fma_f64 v[216:217], -v[212:213], v[214:215], 1.0
	s_delay_alu instid0(VALU_DEP_1) | instskip(NEXT) | instid1(VALU_DEP_1)
	v_fma_f64 v[214:215], v[214:215], v[216:217], v[214:215]
	v_fma_f64 v[216:217], -v[212:213], v[214:215], 1.0
	s_delay_alu instid0(VALU_DEP_1) | instskip(NEXT) | instid1(VALU_DEP_1)
	v_fma_f64 v[214:215], v[214:215], v[216:217], v[214:215]
	v_mul_f64 v[216:217], v[218:219], v[214:215]
	s_delay_alu instid0(VALU_DEP_1) | instskip(NEXT) | instid1(VALU_DEP_1)
	v_fma_f64 v[212:213], -v[212:213], v[216:217], v[218:219]
	v_div_fmas_f64 v[212:213], v[212:213], v[214:215], v[216:217]
	s_delay_alu instid0(VALU_DEP_1) | instskip(NEXT) | instid1(VALU_DEP_1)
	v_div_fixup_f64 v[212:213], v[212:213], v[228:229], v[230:231]
	v_fma_f64 v[214:215], v[230:231], v[212:213], v[228:229]
	s_delay_alu instid0(VALU_DEP_1) | instskip(NEXT) | instid1(VALU_DEP_1)
	v_div_scale_f64 v[216:217], null, v[214:215], v[214:215], 1.0
	v_rcp_f64_e32 v[218:219], v[216:217]
	s_waitcnt_depctr 0xfff
	v_fma_f64 v[220:221], -v[216:217], v[218:219], 1.0
	s_delay_alu instid0(VALU_DEP_1) | instskip(NEXT) | instid1(VALU_DEP_1)
	v_fma_f64 v[218:219], v[218:219], v[220:221], v[218:219]
	v_fma_f64 v[220:221], -v[216:217], v[218:219], 1.0
	s_delay_alu instid0(VALU_DEP_1) | instskip(SKIP_1) | instid1(VALU_DEP_1)
	v_fma_f64 v[218:219], v[218:219], v[220:221], v[218:219]
	v_div_scale_f64 v[220:221], vcc_lo, 1.0, v[214:215], 1.0
	v_mul_f64 v[222:223], v[220:221], v[218:219]
	s_delay_alu instid0(VALU_DEP_1) | instskip(NEXT) | instid1(VALU_DEP_1)
	v_fma_f64 v[216:217], -v[216:217], v[222:223], v[220:221]
	v_div_fmas_f64 v[216:217], v[216:217], v[218:219], v[222:223]
	s_delay_alu instid0(VALU_DEP_1) | instskip(NEXT) | instid1(VALU_DEP_1)
	v_div_fixup_f64 v[228:229], v[216:217], v[214:215], 1.0
	v_mul_f64 v[230:231], v[212:213], -v[228:229]
.LBB112_30:
	s_or_b32 exec_lo, exec_lo, s2
	v_mov_b32_e32 v241, v245
.LBB112_31:
	s_or_b32 exec_lo, exec_lo, s3
	s_delay_alu instid0(SALU_CYCLE_1)
	s_mov_b32 s2, exec_lo
	v_cmpx_ne_u32_e64 v244, v236
	s_xor_b32 s2, exec_lo, s2
	s_cbranch_execz .LBB112_37
; %bb.32:
	s_mov_b32 s3, exec_lo
	v_cmpx_eq_u32_e32 1, v244
	s_cbranch_execz .LBB112_36
; %bb.33:
	v_cmp_ne_u32_e32 vcc_lo, 1, v236
	s_xor_b32 s4, s5, -1
	s_delay_alu instid0(SALU_CYCLE_1) | instskip(NEXT) | instid1(SALU_CYCLE_1)
	s_and_b32 s6, s4, vcc_lo
	s_and_saveexec_b32 s4, s6
	s_cbranch_execz .LBB112_35
; %bb.34:
	scratch_load_b64 v[10:11], off, off     ; 8-byte Folded Reload
	v_ashrrev_i32_e32 v237, 31, v236
	s_delay_alu instid0(VALU_DEP_1) | instskip(SKIP_1) | instid1(VALU_DEP_1)
	v_lshlrev_b64 v[212:213], 2, v[236:237]
	s_waitcnt vmcnt(0)
	v_add_co_u32 v212, vcc_lo, v10, v212
	s_delay_alu instid0(VALU_DEP_2)
	v_add_co_ci_u32_e32 v213, vcc_lo, v11, v213, vcc_lo
	s_clause 0x1
	flat_load_b32 v214, v[212:213]
	flat_load_b32 v215, v[10:11] offset:4
	s_waitcnt vmcnt(1) lgkmcnt(1)
	flat_store_b32 v[10:11], v214 offset:4
	s_waitcnt vmcnt(0) lgkmcnt(1)
	flat_store_b32 v[212:213], v215
.LBB112_35:
	s_or_b32 exec_lo, exec_lo, s4
	v_mov_b32_e32 v244, v236
	v_mov_b32_e32 v243, v236
.LBB112_36:
	s_or_b32 exec_lo, exec_lo, s3
.LBB112_37:
	s_and_not1_saveexec_b32 s2, s2
	s_cbranch_execz .LBB112_39
; %bb.38:
	v_mov_b32_e32 v244, 1
	ds_store_2addr_b64 v238, v[208:209], v[210:211] offset0:4 offset1:5
	ds_store_2addr_b64 v238, v[6:7], v[8:9] offset0:6 offset1:7
	ds_store_2addr_b64 v238, v[232:233], v[234:235] offset0:8 offset1:9
	ds_store_2addr_b64 v238, v[204:205], v[206:207] offset0:10 offset1:11
	ds_store_2addr_b64 v238, v[200:201], v[202:203] offset0:12 offset1:13
	ds_store_2addr_b64 v238, v[196:197], v[198:199] offset0:14 offset1:15
	ds_store_2addr_b64 v238, v[192:193], v[194:195] offset0:16 offset1:17
	ds_store_2addr_b64 v238, v[188:189], v[190:191] offset0:18 offset1:19
	ds_store_2addr_b64 v238, v[184:185], v[186:187] offset0:20 offset1:21
	ds_store_2addr_b64 v238, v[180:181], v[182:183] offset0:22 offset1:23
	ds_store_2addr_b64 v238, v[176:177], v[178:179] offset0:24 offset1:25
	ds_store_2addr_b64 v238, v[172:173], v[174:175] offset0:26 offset1:27
	ds_store_2addr_b64 v238, v[168:169], v[170:171] offset0:28 offset1:29
	ds_store_2addr_b64 v238, v[164:165], v[166:167] offset0:30 offset1:31
	ds_store_2addr_b64 v238, v[160:161], v[162:163] offset0:32 offset1:33
	ds_store_2addr_b64 v238, v[156:157], v[158:159] offset0:34 offset1:35
	ds_store_2addr_b64 v238, v[152:153], v[154:155] offset0:36 offset1:37
	ds_store_2addr_b64 v238, v[148:149], v[150:151] offset0:38 offset1:39
	ds_store_2addr_b64 v238, v[144:145], v[146:147] offset0:40 offset1:41
	ds_store_2addr_b64 v238, v[140:141], v[142:143] offset0:42 offset1:43
	ds_store_2addr_b64 v238, v[136:137], v[138:139] offset0:44 offset1:45
	ds_store_2addr_b64 v238, v[132:133], v[134:135] offset0:46 offset1:47
	ds_store_2addr_b64 v238, v[128:129], v[130:131] offset0:48 offset1:49
	ds_store_2addr_b64 v238, v[124:125], v[126:127] offset0:50 offset1:51
	ds_store_2addr_b64 v238, v[120:121], v[122:123] offset0:52 offset1:53
	ds_store_2addr_b64 v238, v[116:117], v[118:119] offset0:54 offset1:55
	ds_store_2addr_b64 v238, v[112:113], v[114:115] offset0:56 offset1:57
	ds_store_2addr_b64 v238, v[108:109], v[110:111] offset0:58 offset1:59
	ds_store_2addr_b64 v238, v[104:105], v[106:107] offset0:60 offset1:61
	ds_store_2addr_b64 v238, v[100:101], v[102:103] offset0:62 offset1:63
	ds_store_2addr_b64 v238, v[96:97], v[98:99] offset0:64 offset1:65
	ds_store_2addr_b64 v238, v[92:93], v[94:95] offset0:66 offset1:67
	ds_store_2addr_b64 v238, v[88:89], v[90:91] offset0:68 offset1:69
	ds_store_2addr_b64 v238, v[84:85], v[86:87] offset0:70 offset1:71
	ds_store_2addr_b64 v238, v[80:81], v[82:83] offset0:72 offset1:73
	ds_store_2addr_b64 v238, v[76:77], v[78:79] offset0:74 offset1:75
	ds_store_2addr_b64 v238, v[72:73], v[74:75] offset0:76 offset1:77
	ds_store_2addr_b64 v238, v[68:69], v[70:71] offset0:78 offset1:79
	ds_store_2addr_b64 v238, v[64:65], v[66:67] offset0:80 offset1:81
	ds_store_2addr_b64 v238, v[60:61], v[62:63] offset0:82 offset1:83
	ds_store_2addr_b64 v238, v[56:57], v[58:59] offset0:84 offset1:85
	ds_store_2addr_b64 v238, v[52:53], v[54:55] offset0:86 offset1:87
	ds_store_2addr_b64 v238, v[48:49], v[50:51] offset0:88 offset1:89
	ds_store_2addr_b64 v238, v[44:45], v[46:47] offset0:90 offset1:91
	ds_store_2addr_b64 v238, v[40:41], v[42:43] offset0:92 offset1:93
	ds_store_2addr_b64 v238, v[36:37], v[38:39] offset0:94 offset1:95
	ds_store_2addr_b64 v238, v[32:33], v[34:35] offset0:96 offset1:97
	ds_store_2addr_b64 v238, v[28:29], v[30:31] offset0:98 offset1:99
	ds_store_2addr_b64 v238, v[24:25], v[26:27] offset0:100 offset1:101
	ds_store_2addr_b64 v238, v[20:21], v[22:23] offset0:102 offset1:103
	ds_store_2addr_b64 v238, v[16:17], v[18:19] offset0:104 offset1:105
	ds_store_2addr_b64 v238, v[12:13], v[14:15] offset0:106 offset1:107
	ds_store_2addr_b64 v238, v[224:225], v[226:227] offset0:108 offset1:109
	ds_store_2addr_b64 v238, v[250:251], v[252:253] offset0:110 offset1:111
	ds_store_2addr_b64 v238, v[0:1], v[2:3] offset0:112 offset1:113
.LBB112_39:
	s_or_b32 exec_lo, exec_lo, s2
	s_delay_alu instid0(SALU_CYCLE_1)
	s_mov_b32 s2, exec_lo
	s_waitcnt lgkmcnt(0)
	s_waitcnt_vscnt null, 0x0
	s_barrier
	buffer_gl0_inv
	v_cmpx_lt_i32_e32 1, v244
	s_cbranch_execz .LBB112_41
; %bb.40:
	scratch_load_b128 v[214:217], off, off offset:8 ; 16-byte Folded Reload
	s_waitcnt vmcnt(0)
	v_mul_f64 v[212:213], v[230:231], v[216:217]
	s_delay_alu instid0(VALU_DEP_1) | instskip(SKIP_1) | instid1(VALU_DEP_1)
	v_fma_f64 v[236:237], v[228:229], v[214:215], -v[212:213]
	v_mul_f64 v[212:213], v[228:229], v[216:217]
	v_fma_f64 v[216:217], v[230:231], v[214:215], v[212:213]
	ds_load_2addr_b64 v[228:231], v238 offset0:4 offset1:5
	s_waitcnt lgkmcnt(0)
	v_mul_f64 v[212:213], v[230:231], v[216:217]
	v_mul_f64 v[214:215], v[228:229], v[216:217]
	s_delay_alu instid0(VALU_DEP_2) | instskip(NEXT) | instid1(VALU_DEP_2)
	v_fma_f64 v[212:213], v[228:229], v[236:237], -v[212:213]
	v_fma_f64 v[214:215], v[230:231], v[236:237], v[214:215]
	ds_load_2addr_b64 v[228:231], v238 offset0:6 offset1:7
	v_add_f64 v[208:209], v[208:209], -v[212:213]
	v_add_f64 v[210:211], v[210:211], -v[214:215]
	s_waitcnt lgkmcnt(0)
	v_mul_f64 v[212:213], v[230:231], v[216:217]
	v_mul_f64 v[214:215], v[228:229], v[216:217]
	s_delay_alu instid0(VALU_DEP_2) | instskip(NEXT) | instid1(VALU_DEP_2)
	v_fma_f64 v[212:213], v[228:229], v[236:237], -v[212:213]
	v_fma_f64 v[214:215], v[230:231], v[236:237], v[214:215]
	ds_load_2addr_b64 v[228:231], v238 offset0:8 offset1:9
	v_add_f64 v[6:7], v[6:7], -v[212:213]
	v_add_f64 v[8:9], v[8:9], -v[214:215]
	;; [unrolled: 9-line block ×54, first 2 shown]
	s_waitcnt lgkmcnt(0)
	v_mul_f64 v[212:213], v[230:231], v[216:217]
	v_mul_f64 v[214:215], v[228:229], v[216:217]
	s_delay_alu instid0(VALU_DEP_2) | instskip(NEXT) | instid1(VALU_DEP_2)
	v_fma_f64 v[212:213], v[228:229], v[236:237], -v[212:213]
	v_fma_f64 v[214:215], v[230:231], v[236:237], v[214:215]
	s_delay_alu instid0(VALU_DEP_2) | instskip(NEXT) | instid1(VALU_DEP_2)
	v_add_f64 v[0:1], v[0:1], -v[212:213]
	v_add_f64 v[2:3], v[2:3], -v[214:215]
	v_dual_mov_b32 v214, v236 :: v_dual_mov_b32 v215, v237
	scratch_store_b128 off, v[214:217], off offset:8 ; 16-byte Folded Spill
.LBB112_41:
	s_or_b32 exec_lo, exec_lo, s2
	v_lshl_add_u32 v212, v244, 4, v238
	s_waitcnt_vscnt null, 0x0
	s_barrier
	buffer_gl0_inv
	v_mov_b32_e32 v236, 2
	ds_store_2addr_b64 v212, v[208:209], v[210:211] offset1:1
	s_waitcnt lgkmcnt(0)
	s_barrier
	buffer_gl0_inv
	ds_load_2addr_b64 v[228:231], v238 offset0:4 offset1:5
	s_cmp_lt_i32 s12, 4
	s_cbranch_scc1 .LBB112_44
; %bb.42:
	v_add3_u32 v237, v242, 0, 48
	v_mov_b32_e32 v236, 2
	s_mov_b32 s6, 3
	s_set_inst_prefetch_distance 0x1
	.p2align	6
.LBB112_43:                             ; =>This Inner Loop Header: Depth=1
	ds_load_2addr_b64 v[245:248], v237 offset1:1
	s_waitcnt lgkmcnt(1)
	v_cmp_gt_f64_e32 vcc_lo, 0, v[228:229]
	v_cmp_gt_f64_e64 s2, 0, v[230:231]
	v_xor_b32_e32 v213, 0x80000000, v229
	v_xor_b32_e32 v215, 0x80000000, v231
	v_add_nc_u32_e32 v237, 16, v237
	s_waitcnt lgkmcnt(0)
	v_cmp_gt_f64_e64 s3, 0, v[245:246]
	v_cmp_gt_f64_e64 s4, 0, v[247:248]
	v_xor_b32_e32 v219, 0x80000000, v246
	v_mov_b32_e32 v212, v245
	v_xor_b32_e32 v220, 0x80000000, v248
	v_mov_b32_e32 v214, v247
	v_cndmask_b32_e32 v216, v229, v213, vcc_lo
	v_cndmask_b32_e64 v218, v231, v215, s2
	v_cndmask_b32_e32 v215, v228, v228, vcc_lo
	v_cndmask_b32_e64 v217, v230, v230, s2
	s_delay_alu instid0(VALU_DEP_1) | instskip(SKIP_2) | instid1(VALU_DEP_1)
	v_add_f64 v[216:217], v[215:216], v[217:218]
	v_cndmask_b32_e64 v213, v246, v219, s3
	v_cndmask_b32_e64 v215, v248, v220, s4
	v_add_f64 v[212:213], v[212:213], v[214:215]
	s_delay_alu instid0(VALU_DEP_1)
	v_cmp_lt_f64_e32 vcc_lo, v[216:217], v[212:213]
	v_cndmask_b32_e32 v231, v231, v248, vcc_lo
	v_dual_cndmask_b32 v229, v229, v246 :: v_dual_cndmask_b32 v228, v228, v245
	v_cndmask_b32_e32 v230, v230, v247, vcc_lo
	v_cndmask_b32_e64 v236, v236, s6, vcc_lo
	s_add_i32 s6, s6, 1
	s_delay_alu instid0(SALU_CYCLE_1)
	s_cmp_lg_u32 s12, s6
	s_cbranch_scc1 .LBB112_43
.LBB112_44:
	s_set_inst_prefetch_distance 0x2
	s_waitcnt lgkmcnt(0)
	v_cmp_eq_f64_e32 vcc_lo, 0, v[228:229]
	v_cmp_eq_f64_e64 s2, 0, v[230:231]
	s_delay_alu instid0(VALU_DEP_1) | instskip(NEXT) | instid1(SALU_CYCLE_1)
	s_and_b32 s2, vcc_lo, s2
	s_and_saveexec_b32 s3, s2
	s_delay_alu instid0(SALU_CYCLE_1)
	s_xor_b32 s2, exec_lo, s3
; %bb.45:
	v_cmp_ne_u32_e32 vcc_lo, 0, v241
	v_cndmask_b32_e32 v241, 3, v241, vcc_lo
; %bb.46:
	s_and_not1_saveexec_b32 s3, s2
	s_cbranch_execz .LBB112_52
; %bb.47:
	v_cmp_gt_f64_e32 vcc_lo, 0, v[228:229]
	v_cmp_gt_f64_e64 s2, 0, v[230:231]
	v_xor_b32_e32 v212, 0x80000000, v229
	v_xor_b32_e32 v214, 0x80000000, v231
	s_delay_alu instid0(VALU_DEP_2) | instskip(NEXT) | instid1(VALU_DEP_2)
	v_cndmask_b32_e32 v213, v229, v212, vcc_lo
	v_cndmask_b32_e64 v215, v231, v214, s2
	v_cndmask_b32_e32 v212, v228, v228, vcc_lo
	v_cndmask_b32_e64 v214, v230, v230, s2
	s_mov_b32 s2, exec_lo
	s_delay_alu instid0(VALU_DEP_1)
	v_cmpx_ngt_f64_e32 v[212:213], v[214:215]
	s_xor_b32 s2, exec_lo, s2
	s_cbranch_execz .LBB112_49
; %bb.48:
	v_div_scale_f64 v[212:213], null, v[230:231], v[230:231], v[228:229]
	v_div_scale_f64 v[218:219], vcc_lo, v[228:229], v[230:231], v[228:229]
	s_delay_alu instid0(VALU_DEP_2) | instskip(SKIP_2) | instid1(VALU_DEP_1)
	v_rcp_f64_e32 v[214:215], v[212:213]
	s_waitcnt_depctr 0xfff
	v_fma_f64 v[216:217], -v[212:213], v[214:215], 1.0
	v_fma_f64 v[214:215], v[214:215], v[216:217], v[214:215]
	s_delay_alu instid0(VALU_DEP_1) | instskip(NEXT) | instid1(VALU_DEP_1)
	v_fma_f64 v[216:217], -v[212:213], v[214:215], 1.0
	v_fma_f64 v[214:215], v[214:215], v[216:217], v[214:215]
	s_delay_alu instid0(VALU_DEP_1) | instskip(NEXT) | instid1(VALU_DEP_1)
	v_mul_f64 v[216:217], v[218:219], v[214:215]
	v_fma_f64 v[212:213], -v[212:213], v[216:217], v[218:219]
	s_delay_alu instid0(VALU_DEP_1) | instskip(NEXT) | instid1(VALU_DEP_1)
	v_div_fmas_f64 v[212:213], v[212:213], v[214:215], v[216:217]
	v_div_fixup_f64 v[212:213], v[212:213], v[230:231], v[228:229]
	s_delay_alu instid0(VALU_DEP_1) | instskip(NEXT) | instid1(VALU_DEP_1)
	v_fma_f64 v[214:215], v[228:229], v[212:213], v[230:231]
	v_div_scale_f64 v[216:217], null, v[214:215], v[214:215], 1.0
	s_delay_alu instid0(VALU_DEP_1) | instskip(SKIP_2) | instid1(VALU_DEP_1)
	v_rcp_f64_e32 v[218:219], v[216:217]
	s_waitcnt_depctr 0xfff
	v_fma_f64 v[220:221], -v[216:217], v[218:219], 1.0
	v_fma_f64 v[218:219], v[218:219], v[220:221], v[218:219]
	s_delay_alu instid0(VALU_DEP_1) | instskip(NEXT) | instid1(VALU_DEP_1)
	v_fma_f64 v[220:221], -v[216:217], v[218:219], 1.0
	v_fma_f64 v[218:219], v[218:219], v[220:221], v[218:219]
	v_div_scale_f64 v[220:221], vcc_lo, 1.0, v[214:215], 1.0
	s_delay_alu instid0(VALU_DEP_1) | instskip(NEXT) | instid1(VALU_DEP_1)
	v_mul_f64 v[222:223], v[220:221], v[218:219]
	v_fma_f64 v[216:217], -v[216:217], v[222:223], v[220:221]
	s_delay_alu instid0(VALU_DEP_1) | instskip(NEXT) | instid1(VALU_DEP_1)
	v_div_fmas_f64 v[216:217], v[216:217], v[218:219], v[222:223]
	v_div_fixup_f64 v[230:231], v[216:217], v[214:215], 1.0
	s_delay_alu instid0(VALU_DEP_1)
	v_mul_f64 v[228:229], v[212:213], v[230:231]
	v_xor_b32_e32 v231, 0x80000000, v231
.LBB112_49:
	s_and_not1_saveexec_b32 s2, s2
	s_cbranch_execz .LBB112_51
; %bb.50:
	s_delay_alu instid0(VALU_DEP_1) | instskip(SKIP_1) | instid1(VALU_DEP_2)
	v_div_scale_f64 v[212:213], null, v[228:229], v[228:229], v[230:231]
	v_div_scale_f64 v[218:219], vcc_lo, v[230:231], v[228:229], v[230:231]
	v_rcp_f64_e32 v[214:215], v[212:213]
	s_waitcnt_depctr 0xfff
	v_fma_f64 v[216:217], -v[212:213], v[214:215], 1.0
	s_delay_alu instid0(VALU_DEP_1) | instskip(NEXT) | instid1(VALU_DEP_1)
	v_fma_f64 v[214:215], v[214:215], v[216:217], v[214:215]
	v_fma_f64 v[216:217], -v[212:213], v[214:215], 1.0
	s_delay_alu instid0(VALU_DEP_1) | instskip(NEXT) | instid1(VALU_DEP_1)
	v_fma_f64 v[214:215], v[214:215], v[216:217], v[214:215]
	v_mul_f64 v[216:217], v[218:219], v[214:215]
	s_delay_alu instid0(VALU_DEP_1) | instskip(NEXT) | instid1(VALU_DEP_1)
	v_fma_f64 v[212:213], -v[212:213], v[216:217], v[218:219]
	v_div_fmas_f64 v[212:213], v[212:213], v[214:215], v[216:217]
	s_delay_alu instid0(VALU_DEP_1) | instskip(NEXT) | instid1(VALU_DEP_1)
	v_div_fixup_f64 v[212:213], v[212:213], v[228:229], v[230:231]
	v_fma_f64 v[214:215], v[230:231], v[212:213], v[228:229]
	s_delay_alu instid0(VALU_DEP_1) | instskip(NEXT) | instid1(VALU_DEP_1)
	v_div_scale_f64 v[216:217], null, v[214:215], v[214:215], 1.0
	v_rcp_f64_e32 v[218:219], v[216:217]
	s_waitcnt_depctr 0xfff
	v_fma_f64 v[220:221], -v[216:217], v[218:219], 1.0
	s_delay_alu instid0(VALU_DEP_1) | instskip(NEXT) | instid1(VALU_DEP_1)
	v_fma_f64 v[218:219], v[218:219], v[220:221], v[218:219]
	v_fma_f64 v[220:221], -v[216:217], v[218:219], 1.0
	s_delay_alu instid0(VALU_DEP_1) | instskip(SKIP_1) | instid1(VALU_DEP_1)
	v_fma_f64 v[218:219], v[218:219], v[220:221], v[218:219]
	v_div_scale_f64 v[220:221], vcc_lo, 1.0, v[214:215], 1.0
	v_mul_f64 v[222:223], v[220:221], v[218:219]
	s_delay_alu instid0(VALU_DEP_1) | instskip(NEXT) | instid1(VALU_DEP_1)
	v_fma_f64 v[216:217], -v[216:217], v[222:223], v[220:221]
	v_div_fmas_f64 v[216:217], v[216:217], v[218:219], v[222:223]
	s_delay_alu instid0(VALU_DEP_1) | instskip(NEXT) | instid1(VALU_DEP_1)
	v_div_fixup_f64 v[228:229], v[216:217], v[214:215], 1.0
	v_mul_f64 v[230:231], v[212:213], -v[228:229]
.LBB112_51:
	s_or_b32 exec_lo, exec_lo, s2
.LBB112_52:
	s_delay_alu instid0(SALU_CYCLE_1) | instskip(NEXT) | instid1(SALU_CYCLE_1)
	s_or_b32 exec_lo, exec_lo, s3
	s_mov_b32 s2, exec_lo
	v_cmpx_ne_u32_e64 v244, v236
	s_xor_b32 s2, exec_lo, s2
	s_cbranch_execz .LBB112_58
; %bb.53:
	s_mov_b32 s3, exec_lo
	v_cmpx_eq_u32_e32 2, v244
	s_cbranch_execz .LBB112_57
; %bb.54:
	v_cmp_ne_u32_e32 vcc_lo, 2, v236
	s_xor_b32 s4, s5, -1
	s_delay_alu instid0(SALU_CYCLE_1) | instskip(NEXT) | instid1(SALU_CYCLE_1)
	s_and_b32 s6, s4, vcc_lo
	s_and_saveexec_b32 s4, s6
	s_cbranch_execz .LBB112_56
; %bb.55:
	scratch_load_b64 v[10:11], off, off     ; 8-byte Folded Reload
	v_ashrrev_i32_e32 v237, 31, v236
	s_delay_alu instid0(VALU_DEP_1) | instskip(SKIP_1) | instid1(VALU_DEP_1)
	v_lshlrev_b64 v[212:213], 2, v[236:237]
	s_waitcnt vmcnt(0)
	v_add_co_u32 v212, vcc_lo, v10, v212
	s_delay_alu instid0(VALU_DEP_2)
	v_add_co_ci_u32_e32 v213, vcc_lo, v11, v213, vcc_lo
	s_clause 0x1
	flat_load_b32 v214, v[212:213]
	flat_load_b32 v215, v[10:11] offset:8
	s_waitcnt vmcnt(1) lgkmcnt(1)
	flat_store_b32 v[10:11], v214 offset:8
	s_waitcnt vmcnt(0) lgkmcnt(1)
	flat_store_b32 v[212:213], v215
.LBB112_56:
	s_or_b32 exec_lo, exec_lo, s4
	v_mov_b32_e32 v244, v236
	v_mov_b32_e32 v243, v236
.LBB112_57:
	s_or_b32 exec_lo, exec_lo, s3
.LBB112_58:
	s_and_not1_saveexec_b32 s2, s2
	s_cbranch_execz .LBB112_60
; %bb.59:
	v_mov_b32_e32 v244, 2
	ds_store_2addr_b64 v238, v[6:7], v[8:9] offset0:6 offset1:7
	ds_store_2addr_b64 v238, v[232:233], v[234:235] offset0:8 offset1:9
	;; [unrolled: 1-line block ×54, first 2 shown]
.LBB112_60:
	s_or_b32 exec_lo, exec_lo, s2
	s_delay_alu instid0(SALU_CYCLE_1)
	s_mov_b32 s2, exec_lo
	s_waitcnt lgkmcnt(0)
	s_waitcnt_vscnt null, 0x0
	s_barrier
	buffer_gl0_inv
	v_cmpx_lt_i32_e32 2, v244
	s_cbranch_execz .LBB112_62
; %bb.61:
	v_mul_f64 v[212:213], v[230:231], v[210:211]
	s_delay_alu instid0(VALU_DEP_1) | instskip(SKIP_1) | instid1(VALU_DEP_1)
	v_fma_f64 v[236:237], v[228:229], v[208:209], -v[212:213]
	v_mul_f64 v[212:213], v[228:229], v[210:211]
	v_fma_f64 v[210:211], v[230:231], v[208:209], v[212:213]
	ds_load_2addr_b64 v[228:231], v238 offset0:6 offset1:7
	v_dual_mov_b32 v208, v236 :: v_dual_mov_b32 v209, v237
	s_waitcnt lgkmcnt(0)
	v_mul_f64 v[212:213], v[230:231], v[210:211]
	v_mul_f64 v[214:215], v[228:229], v[210:211]
	s_delay_alu instid0(VALU_DEP_2) | instskip(NEXT) | instid1(VALU_DEP_2)
	v_fma_f64 v[212:213], v[228:229], v[236:237], -v[212:213]
	v_fma_f64 v[214:215], v[230:231], v[236:237], v[214:215]
	ds_load_2addr_b64 v[228:231], v238 offset0:8 offset1:9
	v_add_f64 v[6:7], v[6:7], -v[212:213]
	v_add_f64 v[8:9], v[8:9], -v[214:215]
	s_waitcnt lgkmcnt(0)
	v_mul_f64 v[212:213], v[230:231], v[210:211]
	v_mul_f64 v[214:215], v[228:229], v[210:211]
	s_delay_alu instid0(VALU_DEP_2) | instskip(NEXT) | instid1(VALU_DEP_2)
	v_fma_f64 v[212:213], v[228:229], v[236:237], -v[212:213]
	v_fma_f64 v[214:215], v[230:231], v[236:237], v[214:215]
	ds_load_2addr_b64 v[228:231], v238 offset0:10 offset1:11
	v_add_f64 v[232:233], v[232:233], -v[212:213]
	v_add_f64 v[234:235], v[234:235], -v[214:215]
	;; [unrolled: 9-line block ×53, first 2 shown]
	s_waitcnt lgkmcnt(0)
	v_mul_f64 v[212:213], v[230:231], v[210:211]
	v_mul_f64 v[214:215], v[228:229], v[210:211]
	s_delay_alu instid0(VALU_DEP_2) | instskip(NEXT) | instid1(VALU_DEP_2)
	v_fma_f64 v[212:213], v[228:229], v[236:237], -v[212:213]
	v_fma_f64 v[214:215], v[230:231], v[236:237], v[214:215]
	s_delay_alu instid0(VALU_DEP_2) | instskip(NEXT) | instid1(VALU_DEP_2)
	v_add_f64 v[0:1], v[0:1], -v[212:213]
	v_add_f64 v[2:3], v[2:3], -v[214:215]
.LBB112_62:
	s_or_b32 exec_lo, exec_lo, s2
	v_lshl_add_u32 v212, v244, 4, v238
	s_barrier
	buffer_gl0_inv
	v_mov_b32_e32 v236, 3
	ds_store_2addr_b64 v212, v[6:7], v[8:9] offset1:1
	s_waitcnt lgkmcnt(0)
	s_barrier
	buffer_gl0_inv
	ds_load_2addr_b64 v[228:231], v238 offset0:6 offset1:7
	s_cmp_lt_i32 s12, 5
	s_mov_b32 s6, 4
	s_cbranch_scc1 .LBB112_65
; %bb.63:
	v_add3_u32 v237, v242, 0, 64
	v_mov_b32_e32 v236, 3
	s_set_inst_prefetch_distance 0x1
	.p2align	6
.LBB112_64:                             ; =>This Inner Loop Header: Depth=1
	ds_load_2addr_b64 v[245:248], v237 offset1:1
	s_waitcnt lgkmcnt(1)
	v_cmp_gt_f64_e32 vcc_lo, 0, v[228:229]
	v_cmp_gt_f64_e64 s2, 0, v[230:231]
	v_xor_b32_e32 v213, 0x80000000, v229
	v_xor_b32_e32 v215, 0x80000000, v231
	v_add_nc_u32_e32 v237, 16, v237
	s_waitcnt lgkmcnt(0)
	v_cmp_gt_f64_e64 s3, 0, v[245:246]
	v_cmp_gt_f64_e64 s4, 0, v[247:248]
	v_xor_b32_e32 v219, 0x80000000, v246
	v_mov_b32_e32 v212, v245
	v_xor_b32_e32 v220, 0x80000000, v248
	v_mov_b32_e32 v214, v247
	v_cndmask_b32_e32 v216, v229, v213, vcc_lo
	v_cndmask_b32_e64 v218, v231, v215, s2
	v_cndmask_b32_e32 v215, v228, v228, vcc_lo
	v_cndmask_b32_e64 v217, v230, v230, s2
	s_delay_alu instid0(VALU_DEP_1) | instskip(SKIP_2) | instid1(VALU_DEP_1)
	v_add_f64 v[216:217], v[215:216], v[217:218]
	v_cndmask_b32_e64 v213, v246, v219, s3
	v_cndmask_b32_e64 v215, v248, v220, s4
	v_add_f64 v[212:213], v[212:213], v[214:215]
	s_delay_alu instid0(VALU_DEP_1)
	v_cmp_lt_f64_e32 vcc_lo, v[216:217], v[212:213]
	v_cndmask_b32_e32 v231, v231, v248, vcc_lo
	v_dual_cndmask_b32 v229, v229, v246 :: v_dual_cndmask_b32 v228, v228, v245
	v_cndmask_b32_e32 v230, v230, v247, vcc_lo
	v_cndmask_b32_e64 v236, v236, s6, vcc_lo
	s_add_i32 s6, s6, 1
	s_delay_alu instid0(SALU_CYCLE_1)
	s_cmp_lg_u32 s12, s6
	s_cbranch_scc1 .LBB112_64
.LBB112_65:
	s_set_inst_prefetch_distance 0x2
	s_waitcnt lgkmcnt(0)
	v_cmp_eq_f64_e32 vcc_lo, 0, v[228:229]
	v_cmp_eq_f64_e64 s2, 0, v[230:231]
	s_delay_alu instid0(VALU_DEP_1) | instskip(NEXT) | instid1(SALU_CYCLE_1)
	s_and_b32 s2, vcc_lo, s2
	s_and_saveexec_b32 s3, s2
	s_delay_alu instid0(SALU_CYCLE_1)
	s_xor_b32 s2, exec_lo, s3
; %bb.66:
	v_cmp_ne_u32_e32 vcc_lo, 0, v241
	v_cndmask_b32_e32 v241, 4, v241, vcc_lo
; %bb.67:
	s_and_not1_saveexec_b32 s3, s2
	s_cbranch_execz .LBB112_73
; %bb.68:
	v_cmp_gt_f64_e32 vcc_lo, 0, v[228:229]
	v_cmp_gt_f64_e64 s2, 0, v[230:231]
	v_xor_b32_e32 v212, 0x80000000, v229
	v_xor_b32_e32 v214, 0x80000000, v231
	s_delay_alu instid0(VALU_DEP_2) | instskip(NEXT) | instid1(VALU_DEP_2)
	v_cndmask_b32_e32 v213, v229, v212, vcc_lo
	v_cndmask_b32_e64 v215, v231, v214, s2
	v_cndmask_b32_e32 v212, v228, v228, vcc_lo
	v_cndmask_b32_e64 v214, v230, v230, s2
	s_mov_b32 s2, exec_lo
	s_delay_alu instid0(VALU_DEP_1)
	v_cmpx_ngt_f64_e32 v[212:213], v[214:215]
	s_xor_b32 s2, exec_lo, s2
	s_cbranch_execz .LBB112_70
; %bb.69:
	v_div_scale_f64 v[212:213], null, v[230:231], v[230:231], v[228:229]
	v_div_scale_f64 v[218:219], vcc_lo, v[228:229], v[230:231], v[228:229]
	s_delay_alu instid0(VALU_DEP_2) | instskip(SKIP_2) | instid1(VALU_DEP_1)
	v_rcp_f64_e32 v[214:215], v[212:213]
	s_waitcnt_depctr 0xfff
	v_fma_f64 v[216:217], -v[212:213], v[214:215], 1.0
	v_fma_f64 v[214:215], v[214:215], v[216:217], v[214:215]
	s_delay_alu instid0(VALU_DEP_1) | instskip(NEXT) | instid1(VALU_DEP_1)
	v_fma_f64 v[216:217], -v[212:213], v[214:215], 1.0
	v_fma_f64 v[214:215], v[214:215], v[216:217], v[214:215]
	s_delay_alu instid0(VALU_DEP_1) | instskip(NEXT) | instid1(VALU_DEP_1)
	v_mul_f64 v[216:217], v[218:219], v[214:215]
	v_fma_f64 v[212:213], -v[212:213], v[216:217], v[218:219]
	s_delay_alu instid0(VALU_DEP_1) | instskip(NEXT) | instid1(VALU_DEP_1)
	v_div_fmas_f64 v[212:213], v[212:213], v[214:215], v[216:217]
	v_div_fixup_f64 v[212:213], v[212:213], v[230:231], v[228:229]
	s_delay_alu instid0(VALU_DEP_1) | instskip(NEXT) | instid1(VALU_DEP_1)
	v_fma_f64 v[214:215], v[228:229], v[212:213], v[230:231]
	v_div_scale_f64 v[216:217], null, v[214:215], v[214:215], 1.0
	s_delay_alu instid0(VALU_DEP_1) | instskip(SKIP_2) | instid1(VALU_DEP_1)
	v_rcp_f64_e32 v[218:219], v[216:217]
	s_waitcnt_depctr 0xfff
	v_fma_f64 v[220:221], -v[216:217], v[218:219], 1.0
	v_fma_f64 v[218:219], v[218:219], v[220:221], v[218:219]
	s_delay_alu instid0(VALU_DEP_1) | instskip(NEXT) | instid1(VALU_DEP_1)
	v_fma_f64 v[220:221], -v[216:217], v[218:219], 1.0
	v_fma_f64 v[218:219], v[218:219], v[220:221], v[218:219]
	v_div_scale_f64 v[220:221], vcc_lo, 1.0, v[214:215], 1.0
	s_delay_alu instid0(VALU_DEP_1) | instskip(NEXT) | instid1(VALU_DEP_1)
	v_mul_f64 v[222:223], v[220:221], v[218:219]
	v_fma_f64 v[216:217], -v[216:217], v[222:223], v[220:221]
	s_delay_alu instid0(VALU_DEP_1) | instskip(NEXT) | instid1(VALU_DEP_1)
	v_div_fmas_f64 v[216:217], v[216:217], v[218:219], v[222:223]
	v_div_fixup_f64 v[230:231], v[216:217], v[214:215], 1.0
	s_delay_alu instid0(VALU_DEP_1)
	v_mul_f64 v[228:229], v[212:213], v[230:231]
	v_xor_b32_e32 v231, 0x80000000, v231
.LBB112_70:
	s_and_not1_saveexec_b32 s2, s2
	s_cbranch_execz .LBB112_72
; %bb.71:
	s_delay_alu instid0(VALU_DEP_1) | instskip(SKIP_1) | instid1(VALU_DEP_2)
	v_div_scale_f64 v[212:213], null, v[228:229], v[228:229], v[230:231]
	v_div_scale_f64 v[218:219], vcc_lo, v[230:231], v[228:229], v[230:231]
	v_rcp_f64_e32 v[214:215], v[212:213]
	s_waitcnt_depctr 0xfff
	v_fma_f64 v[216:217], -v[212:213], v[214:215], 1.0
	s_delay_alu instid0(VALU_DEP_1) | instskip(NEXT) | instid1(VALU_DEP_1)
	v_fma_f64 v[214:215], v[214:215], v[216:217], v[214:215]
	v_fma_f64 v[216:217], -v[212:213], v[214:215], 1.0
	s_delay_alu instid0(VALU_DEP_1) | instskip(NEXT) | instid1(VALU_DEP_1)
	v_fma_f64 v[214:215], v[214:215], v[216:217], v[214:215]
	v_mul_f64 v[216:217], v[218:219], v[214:215]
	s_delay_alu instid0(VALU_DEP_1) | instskip(NEXT) | instid1(VALU_DEP_1)
	v_fma_f64 v[212:213], -v[212:213], v[216:217], v[218:219]
	v_div_fmas_f64 v[212:213], v[212:213], v[214:215], v[216:217]
	s_delay_alu instid0(VALU_DEP_1) | instskip(NEXT) | instid1(VALU_DEP_1)
	v_div_fixup_f64 v[212:213], v[212:213], v[228:229], v[230:231]
	v_fma_f64 v[214:215], v[230:231], v[212:213], v[228:229]
	s_delay_alu instid0(VALU_DEP_1) | instskip(NEXT) | instid1(VALU_DEP_1)
	v_div_scale_f64 v[216:217], null, v[214:215], v[214:215], 1.0
	v_rcp_f64_e32 v[218:219], v[216:217]
	s_waitcnt_depctr 0xfff
	v_fma_f64 v[220:221], -v[216:217], v[218:219], 1.0
	s_delay_alu instid0(VALU_DEP_1) | instskip(NEXT) | instid1(VALU_DEP_1)
	v_fma_f64 v[218:219], v[218:219], v[220:221], v[218:219]
	v_fma_f64 v[220:221], -v[216:217], v[218:219], 1.0
	s_delay_alu instid0(VALU_DEP_1) | instskip(SKIP_1) | instid1(VALU_DEP_1)
	v_fma_f64 v[218:219], v[218:219], v[220:221], v[218:219]
	v_div_scale_f64 v[220:221], vcc_lo, 1.0, v[214:215], 1.0
	v_mul_f64 v[222:223], v[220:221], v[218:219]
	s_delay_alu instid0(VALU_DEP_1) | instskip(NEXT) | instid1(VALU_DEP_1)
	v_fma_f64 v[216:217], -v[216:217], v[222:223], v[220:221]
	v_div_fmas_f64 v[216:217], v[216:217], v[218:219], v[222:223]
	s_delay_alu instid0(VALU_DEP_1) | instskip(NEXT) | instid1(VALU_DEP_1)
	v_div_fixup_f64 v[228:229], v[216:217], v[214:215], 1.0
	v_mul_f64 v[230:231], v[212:213], -v[228:229]
.LBB112_72:
	s_or_b32 exec_lo, exec_lo, s2
.LBB112_73:
	s_delay_alu instid0(SALU_CYCLE_1) | instskip(NEXT) | instid1(SALU_CYCLE_1)
	s_or_b32 exec_lo, exec_lo, s3
	s_mov_b32 s2, exec_lo
	v_cmpx_ne_u32_e64 v244, v236
	s_xor_b32 s2, exec_lo, s2
	s_cbranch_execz .LBB112_79
; %bb.74:
	s_mov_b32 s3, exec_lo
	v_cmpx_eq_u32_e32 3, v244
	s_cbranch_execz .LBB112_78
; %bb.75:
	v_cmp_ne_u32_e32 vcc_lo, 3, v236
	s_xor_b32 s4, s5, -1
	s_delay_alu instid0(SALU_CYCLE_1) | instskip(NEXT) | instid1(SALU_CYCLE_1)
	s_and_b32 s6, s4, vcc_lo
	s_and_saveexec_b32 s4, s6
	s_cbranch_execz .LBB112_77
; %bb.76:
	scratch_load_b64 v[10:11], off, off     ; 8-byte Folded Reload
	v_ashrrev_i32_e32 v237, 31, v236
	s_delay_alu instid0(VALU_DEP_1) | instskip(SKIP_1) | instid1(VALU_DEP_1)
	v_lshlrev_b64 v[212:213], 2, v[236:237]
	s_waitcnt vmcnt(0)
	v_add_co_u32 v212, vcc_lo, v10, v212
	s_delay_alu instid0(VALU_DEP_2)
	v_add_co_ci_u32_e32 v213, vcc_lo, v11, v213, vcc_lo
	s_clause 0x1
	flat_load_b32 v214, v[212:213]
	flat_load_b32 v215, v[10:11] offset:12
	s_waitcnt vmcnt(1) lgkmcnt(1)
	flat_store_b32 v[10:11], v214 offset:12
	s_waitcnt vmcnt(0) lgkmcnt(1)
	flat_store_b32 v[212:213], v215
.LBB112_77:
	s_or_b32 exec_lo, exec_lo, s4
	v_mov_b32_e32 v244, v236
	v_mov_b32_e32 v243, v236
.LBB112_78:
	s_or_b32 exec_lo, exec_lo, s3
.LBB112_79:
	s_and_not1_saveexec_b32 s2, s2
	s_cbranch_execz .LBB112_81
; %bb.80:
	v_mov_b32_e32 v244, 3
	ds_store_2addr_b64 v238, v[232:233], v[234:235] offset0:8 offset1:9
	ds_store_2addr_b64 v238, v[204:205], v[206:207] offset0:10 offset1:11
	;; [unrolled: 1-line block ×53, first 2 shown]
.LBB112_81:
	s_or_b32 exec_lo, exec_lo, s2
	s_delay_alu instid0(SALU_CYCLE_1)
	s_mov_b32 s2, exec_lo
	s_waitcnt lgkmcnt(0)
	s_waitcnt_vscnt null, 0x0
	s_barrier
	buffer_gl0_inv
	v_cmpx_lt_i32_e32 3, v244
	s_cbranch_execz .LBB112_83
; %bb.82:
	v_mul_f64 v[212:213], v[230:231], v[8:9]
	s_delay_alu instid0(VALU_DEP_1) | instskip(SKIP_1) | instid1(VALU_DEP_1)
	v_fma_f64 v[236:237], v[228:229], v[6:7], -v[212:213]
	v_mul_f64 v[212:213], v[228:229], v[8:9]
	v_fma_f64 v[8:9], v[230:231], v[6:7], v[212:213]
	ds_load_2addr_b64 v[228:231], v238 offset0:8 offset1:9
	v_dual_mov_b32 v6, v236 :: v_dual_mov_b32 v7, v237
	s_waitcnt lgkmcnt(0)
	v_mul_f64 v[212:213], v[230:231], v[8:9]
	v_mul_f64 v[214:215], v[228:229], v[8:9]
	s_delay_alu instid0(VALU_DEP_2) | instskip(NEXT) | instid1(VALU_DEP_2)
	v_fma_f64 v[212:213], v[228:229], v[236:237], -v[212:213]
	v_fma_f64 v[214:215], v[230:231], v[236:237], v[214:215]
	ds_load_2addr_b64 v[228:231], v238 offset0:10 offset1:11
	v_add_f64 v[232:233], v[232:233], -v[212:213]
	v_add_f64 v[234:235], v[234:235], -v[214:215]
	s_waitcnt lgkmcnt(0)
	v_mul_f64 v[212:213], v[230:231], v[8:9]
	v_mul_f64 v[214:215], v[228:229], v[8:9]
	s_delay_alu instid0(VALU_DEP_2) | instskip(NEXT) | instid1(VALU_DEP_2)
	v_fma_f64 v[212:213], v[228:229], v[236:237], -v[212:213]
	v_fma_f64 v[214:215], v[230:231], v[236:237], v[214:215]
	ds_load_2addr_b64 v[228:231], v238 offset0:12 offset1:13
	v_add_f64 v[204:205], v[204:205], -v[212:213]
	v_add_f64 v[206:207], v[206:207], -v[214:215]
	;; [unrolled: 9-line block ×52, first 2 shown]
	s_waitcnt lgkmcnt(0)
	v_mul_f64 v[212:213], v[230:231], v[8:9]
	v_mul_f64 v[214:215], v[228:229], v[8:9]
	s_delay_alu instid0(VALU_DEP_2) | instskip(NEXT) | instid1(VALU_DEP_2)
	v_fma_f64 v[212:213], v[228:229], v[236:237], -v[212:213]
	v_fma_f64 v[214:215], v[230:231], v[236:237], v[214:215]
	s_delay_alu instid0(VALU_DEP_2) | instskip(NEXT) | instid1(VALU_DEP_2)
	v_add_f64 v[0:1], v[0:1], -v[212:213]
	v_add_f64 v[2:3], v[2:3], -v[214:215]
.LBB112_83:
	s_or_b32 exec_lo, exec_lo, s2
	v_lshl_add_u32 v212, v244, 4, v238
	s_barrier
	buffer_gl0_inv
	v_mov_b32_e32 v236, 4
	ds_store_2addr_b64 v212, v[232:233], v[234:235] offset1:1
	s_waitcnt lgkmcnt(0)
	s_barrier
	buffer_gl0_inv
	ds_load_2addr_b64 v[228:231], v238 offset0:8 offset1:9
	s_cmp_lt_i32 s12, 6
	s_cbranch_scc1 .LBB112_86
; %bb.84:
	v_add3_u32 v237, v242, 0, 0x50
	v_mov_b32_e32 v236, 4
	s_mov_b32 s6, 5
	s_set_inst_prefetch_distance 0x1
	.p2align	6
.LBB112_85:                             ; =>This Inner Loop Header: Depth=1
	ds_load_2addr_b64 v[245:248], v237 offset1:1
	s_waitcnt lgkmcnt(1)
	v_cmp_gt_f64_e32 vcc_lo, 0, v[228:229]
	v_cmp_gt_f64_e64 s2, 0, v[230:231]
	v_xor_b32_e32 v213, 0x80000000, v229
	v_xor_b32_e32 v215, 0x80000000, v231
	v_add_nc_u32_e32 v237, 16, v237
	s_waitcnt lgkmcnt(0)
	v_cmp_gt_f64_e64 s3, 0, v[245:246]
	v_cmp_gt_f64_e64 s4, 0, v[247:248]
	v_xor_b32_e32 v219, 0x80000000, v246
	v_mov_b32_e32 v212, v245
	v_xor_b32_e32 v220, 0x80000000, v248
	v_mov_b32_e32 v214, v247
	v_cndmask_b32_e32 v216, v229, v213, vcc_lo
	v_cndmask_b32_e64 v218, v231, v215, s2
	v_cndmask_b32_e32 v215, v228, v228, vcc_lo
	v_cndmask_b32_e64 v217, v230, v230, s2
	s_delay_alu instid0(VALU_DEP_1) | instskip(SKIP_2) | instid1(VALU_DEP_1)
	v_add_f64 v[216:217], v[215:216], v[217:218]
	v_cndmask_b32_e64 v213, v246, v219, s3
	v_cndmask_b32_e64 v215, v248, v220, s4
	v_add_f64 v[212:213], v[212:213], v[214:215]
	s_delay_alu instid0(VALU_DEP_1)
	v_cmp_lt_f64_e32 vcc_lo, v[216:217], v[212:213]
	v_cndmask_b32_e32 v231, v231, v248, vcc_lo
	v_dual_cndmask_b32 v229, v229, v246 :: v_dual_cndmask_b32 v228, v228, v245
	v_cndmask_b32_e32 v230, v230, v247, vcc_lo
	v_cndmask_b32_e64 v236, v236, s6, vcc_lo
	s_add_i32 s6, s6, 1
	s_delay_alu instid0(SALU_CYCLE_1)
	s_cmp_lg_u32 s12, s6
	s_cbranch_scc1 .LBB112_85
.LBB112_86:
	s_set_inst_prefetch_distance 0x2
	s_waitcnt lgkmcnt(0)
	v_cmp_eq_f64_e32 vcc_lo, 0, v[228:229]
	v_cmp_eq_f64_e64 s2, 0, v[230:231]
	s_delay_alu instid0(VALU_DEP_1) | instskip(NEXT) | instid1(SALU_CYCLE_1)
	s_and_b32 s2, vcc_lo, s2
	s_and_saveexec_b32 s3, s2
	s_delay_alu instid0(SALU_CYCLE_1)
	s_xor_b32 s2, exec_lo, s3
; %bb.87:
	v_cmp_ne_u32_e32 vcc_lo, 0, v241
	v_cndmask_b32_e32 v241, 5, v241, vcc_lo
; %bb.88:
	s_and_not1_saveexec_b32 s3, s2
	s_cbranch_execz .LBB112_94
; %bb.89:
	v_cmp_gt_f64_e32 vcc_lo, 0, v[228:229]
	v_cmp_gt_f64_e64 s2, 0, v[230:231]
	v_xor_b32_e32 v212, 0x80000000, v229
	v_xor_b32_e32 v214, 0x80000000, v231
	s_delay_alu instid0(VALU_DEP_2) | instskip(NEXT) | instid1(VALU_DEP_2)
	v_cndmask_b32_e32 v213, v229, v212, vcc_lo
	v_cndmask_b32_e64 v215, v231, v214, s2
	v_cndmask_b32_e32 v212, v228, v228, vcc_lo
	v_cndmask_b32_e64 v214, v230, v230, s2
	s_mov_b32 s2, exec_lo
	s_delay_alu instid0(VALU_DEP_1)
	v_cmpx_ngt_f64_e32 v[212:213], v[214:215]
	s_xor_b32 s2, exec_lo, s2
	s_cbranch_execz .LBB112_91
; %bb.90:
	v_div_scale_f64 v[212:213], null, v[230:231], v[230:231], v[228:229]
	v_div_scale_f64 v[218:219], vcc_lo, v[228:229], v[230:231], v[228:229]
	s_delay_alu instid0(VALU_DEP_2) | instskip(SKIP_2) | instid1(VALU_DEP_1)
	v_rcp_f64_e32 v[214:215], v[212:213]
	s_waitcnt_depctr 0xfff
	v_fma_f64 v[216:217], -v[212:213], v[214:215], 1.0
	v_fma_f64 v[214:215], v[214:215], v[216:217], v[214:215]
	s_delay_alu instid0(VALU_DEP_1) | instskip(NEXT) | instid1(VALU_DEP_1)
	v_fma_f64 v[216:217], -v[212:213], v[214:215], 1.0
	v_fma_f64 v[214:215], v[214:215], v[216:217], v[214:215]
	s_delay_alu instid0(VALU_DEP_1) | instskip(NEXT) | instid1(VALU_DEP_1)
	v_mul_f64 v[216:217], v[218:219], v[214:215]
	v_fma_f64 v[212:213], -v[212:213], v[216:217], v[218:219]
	s_delay_alu instid0(VALU_DEP_1) | instskip(NEXT) | instid1(VALU_DEP_1)
	v_div_fmas_f64 v[212:213], v[212:213], v[214:215], v[216:217]
	v_div_fixup_f64 v[212:213], v[212:213], v[230:231], v[228:229]
	s_delay_alu instid0(VALU_DEP_1) | instskip(NEXT) | instid1(VALU_DEP_1)
	v_fma_f64 v[214:215], v[228:229], v[212:213], v[230:231]
	v_div_scale_f64 v[216:217], null, v[214:215], v[214:215], 1.0
	s_delay_alu instid0(VALU_DEP_1) | instskip(SKIP_2) | instid1(VALU_DEP_1)
	v_rcp_f64_e32 v[218:219], v[216:217]
	s_waitcnt_depctr 0xfff
	v_fma_f64 v[220:221], -v[216:217], v[218:219], 1.0
	v_fma_f64 v[218:219], v[218:219], v[220:221], v[218:219]
	s_delay_alu instid0(VALU_DEP_1) | instskip(NEXT) | instid1(VALU_DEP_1)
	v_fma_f64 v[220:221], -v[216:217], v[218:219], 1.0
	v_fma_f64 v[218:219], v[218:219], v[220:221], v[218:219]
	v_div_scale_f64 v[220:221], vcc_lo, 1.0, v[214:215], 1.0
	s_delay_alu instid0(VALU_DEP_1) | instskip(NEXT) | instid1(VALU_DEP_1)
	v_mul_f64 v[222:223], v[220:221], v[218:219]
	v_fma_f64 v[216:217], -v[216:217], v[222:223], v[220:221]
	s_delay_alu instid0(VALU_DEP_1) | instskip(NEXT) | instid1(VALU_DEP_1)
	v_div_fmas_f64 v[216:217], v[216:217], v[218:219], v[222:223]
	v_div_fixup_f64 v[230:231], v[216:217], v[214:215], 1.0
	s_delay_alu instid0(VALU_DEP_1)
	v_mul_f64 v[228:229], v[212:213], v[230:231]
	v_xor_b32_e32 v231, 0x80000000, v231
.LBB112_91:
	s_and_not1_saveexec_b32 s2, s2
	s_cbranch_execz .LBB112_93
; %bb.92:
	s_delay_alu instid0(VALU_DEP_1) | instskip(SKIP_1) | instid1(VALU_DEP_2)
	v_div_scale_f64 v[212:213], null, v[228:229], v[228:229], v[230:231]
	v_div_scale_f64 v[218:219], vcc_lo, v[230:231], v[228:229], v[230:231]
	v_rcp_f64_e32 v[214:215], v[212:213]
	s_waitcnt_depctr 0xfff
	v_fma_f64 v[216:217], -v[212:213], v[214:215], 1.0
	s_delay_alu instid0(VALU_DEP_1) | instskip(NEXT) | instid1(VALU_DEP_1)
	v_fma_f64 v[214:215], v[214:215], v[216:217], v[214:215]
	v_fma_f64 v[216:217], -v[212:213], v[214:215], 1.0
	s_delay_alu instid0(VALU_DEP_1) | instskip(NEXT) | instid1(VALU_DEP_1)
	v_fma_f64 v[214:215], v[214:215], v[216:217], v[214:215]
	v_mul_f64 v[216:217], v[218:219], v[214:215]
	s_delay_alu instid0(VALU_DEP_1) | instskip(NEXT) | instid1(VALU_DEP_1)
	v_fma_f64 v[212:213], -v[212:213], v[216:217], v[218:219]
	v_div_fmas_f64 v[212:213], v[212:213], v[214:215], v[216:217]
	s_delay_alu instid0(VALU_DEP_1) | instskip(NEXT) | instid1(VALU_DEP_1)
	v_div_fixup_f64 v[212:213], v[212:213], v[228:229], v[230:231]
	v_fma_f64 v[214:215], v[230:231], v[212:213], v[228:229]
	s_delay_alu instid0(VALU_DEP_1) | instskip(NEXT) | instid1(VALU_DEP_1)
	v_div_scale_f64 v[216:217], null, v[214:215], v[214:215], 1.0
	v_rcp_f64_e32 v[218:219], v[216:217]
	s_waitcnt_depctr 0xfff
	v_fma_f64 v[220:221], -v[216:217], v[218:219], 1.0
	s_delay_alu instid0(VALU_DEP_1) | instskip(NEXT) | instid1(VALU_DEP_1)
	v_fma_f64 v[218:219], v[218:219], v[220:221], v[218:219]
	v_fma_f64 v[220:221], -v[216:217], v[218:219], 1.0
	s_delay_alu instid0(VALU_DEP_1) | instskip(SKIP_1) | instid1(VALU_DEP_1)
	v_fma_f64 v[218:219], v[218:219], v[220:221], v[218:219]
	v_div_scale_f64 v[220:221], vcc_lo, 1.0, v[214:215], 1.0
	v_mul_f64 v[222:223], v[220:221], v[218:219]
	s_delay_alu instid0(VALU_DEP_1) | instskip(NEXT) | instid1(VALU_DEP_1)
	v_fma_f64 v[216:217], -v[216:217], v[222:223], v[220:221]
	v_div_fmas_f64 v[216:217], v[216:217], v[218:219], v[222:223]
	s_delay_alu instid0(VALU_DEP_1) | instskip(NEXT) | instid1(VALU_DEP_1)
	v_div_fixup_f64 v[228:229], v[216:217], v[214:215], 1.0
	v_mul_f64 v[230:231], v[212:213], -v[228:229]
.LBB112_93:
	s_or_b32 exec_lo, exec_lo, s2
.LBB112_94:
	s_delay_alu instid0(SALU_CYCLE_1) | instskip(NEXT) | instid1(SALU_CYCLE_1)
	s_or_b32 exec_lo, exec_lo, s3
	s_mov_b32 s2, exec_lo
	v_cmpx_ne_u32_e64 v244, v236
	s_xor_b32 s2, exec_lo, s2
	s_cbranch_execz .LBB112_100
; %bb.95:
	s_mov_b32 s3, exec_lo
	v_cmpx_eq_u32_e32 4, v244
	s_cbranch_execz .LBB112_99
; %bb.96:
	v_cmp_ne_u32_e32 vcc_lo, 4, v236
	s_xor_b32 s4, s5, -1
	s_delay_alu instid0(SALU_CYCLE_1) | instskip(NEXT) | instid1(SALU_CYCLE_1)
	s_and_b32 s6, s4, vcc_lo
	s_and_saveexec_b32 s4, s6
	s_cbranch_execz .LBB112_98
; %bb.97:
	scratch_load_b64 v[10:11], off, off     ; 8-byte Folded Reload
	v_ashrrev_i32_e32 v237, 31, v236
	s_delay_alu instid0(VALU_DEP_1) | instskip(SKIP_1) | instid1(VALU_DEP_1)
	v_lshlrev_b64 v[212:213], 2, v[236:237]
	s_waitcnt vmcnt(0)
	v_add_co_u32 v212, vcc_lo, v10, v212
	s_delay_alu instid0(VALU_DEP_2)
	v_add_co_ci_u32_e32 v213, vcc_lo, v11, v213, vcc_lo
	s_clause 0x1
	flat_load_b32 v214, v[212:213]
	flat_load_b32 v215, v[10:11] offset:16
	s_waitcnt vmcnt(1) lgkmcnt(1)
	flat_store_b32 v[10:11], v214 offset:16
	s_waitcnt vmcnt(0) lgkmcnt(1)
	flat_store_b32 v[212:213], v215
.LBB112_98:
	s_or_b32 exec_lo, exec_lo, s4
	v_mov_b32_e32 v244, v236
	v_mov_b32_e32 v243, v236
.LBB112_99:
	s_or_b32 exec_lo, exec_lo, s3
.LBB112_100:
	s_and_not1_saveexec_b32 s2, s2
	s_cbranch_execz .LBB112_102
; %bb.101:
	v_mov_b32_e32 v244, 4
	ds_store_2addr_b64 v238, v[204:205], v[206:207] offset0:10 offset1:11
	ds_store_2addr_b64 v238, v[200:201], v[202:203] offset0:12 offset1:13
	;; [unrolled: 1-line block ×52, first 2 shown]
.LBB112_102:
	s_or_b32 exec_lo, exec_lo, s2
	s_delay_alu instid0(SALU_CYCLE_1)
	s_mov_b32 s2, exec_lo
	s_waitcnt lgkmcnt(0)
	s_waitcnt_vscnt null, 0x0
	s_barrier
	buffer_gl0_inv
	v_cmpx_lt_i32_e32 4, v244
	s_cbranch_execz .LBB112_104
; %bb.103:
	v_dual_mov_b32 v217, v211 :: v_dual_mov_b32 v216, v210
	v_dual_mov_b32 v215, v209 :: v_dual_mov_b32 v214, v208
	v_mul_f64 v[210:211], v[228:229], v[234:235]
	v_mul_f64 v[212:213], v[230:231], v[234:235]
	s_delay_alu instid0(VALU_DEP_2) | instskip(NEXT) | instid1(VALU_DEP_2)
	v_fma_f64 v[234:235], v[230:231], v[232:233], v[210:211]
	v_fma_f64 v[236:237], v[228:229], v[232:233], -v[212:213]
	ds_load_2addr_b64 v[228:231], v238 offset0:10 offset1:11
	s_waitcnt lgkmcnt(0)
	v_mul_f64 v[208:209], v[230:231], v[234:235]
	v_mul_f64 v[212:213], v[228:229], v[234:235]
	v_dual_mov_b32 v232, v236 :: v_dual_mov_b32 v233, v237
	s_delay_alu instid0(VALU_DEP_3) | instskip(NEXT) | instid1(VALU_DEP_3)
	v_fma_f64 v[208:209], v[228:229], v[236:237], -v[208:209]
	v_fma_f64 v[212:213], v[230:231], v[236:237], v[212:213]
	ds_load_2addr_b64 v[228:231], v238 offset0:12 offset1:13
	v_add_f64 v[204:205], v[204:205], -v[208:209]
	v_add_f64 v[206:207], v[206:207], -v[212:213]
	s_waitcnt lgkmcnt(0)
	v_mul_f64 v[208:209], v[230:231], v[234:235]
	v_mul_f64 v[212:213], v[228:229], v[234:235]
	s_delay_alu instid0(VALU_DEP_2) | instskip(NEXT) | instid1(VALU_DEP_2)
	v_fma_f64 v[208:209], v[228:229], v[236:237], -v[208:209]
	v_fma_f64 v[212:213], v[230:231], v[236:237], v[212:213]
	ds_load_2addr_b64 v[228:231], v238 offset0:14 offset1:15
	v_add_f64 v[200:201], v[200:201], -v[208:209]
	v_add_f64 v[202:203], v[202:203], -v[212:213]
	s_waitcnt lgkmcnt(0)
	v_mul_f64 v[208:209], v[230:231], v[234:235]
	v_mul_f64 v[212:213], v[228:229], v[234:235]
	s_delay_alu instid0(VALU_DEP_2) | instskip(NEXT) | instid1(VALU_DEP_2)
	v_fma_f64 v[208:209], v[228:229], v[236:237], -v[208:209]
	v_fma_f64 v[212:213], v[230:231], v[236:237], v[212:213]
	ds_load_2addr_b64 v[228:231], v238 offset0:16 offset1:17
	v_add_f64 v[196:197], v[196:197], -v[208:209]
	v_add_f64 v[198:199], v[198:199], -v[212:213]
	s_waitcnt lgkmcnt(0)
	v_mul_f64 v[208:209], v[230:231], v[234:235]
	v_mul_f64 v[212:213], v[228:229], v[234:235]
	s_delay_alu instid0(VALU_DEP_2) | instskip(NEXT) | instid1(VALU_DEP_2)
	v_fma_f64 v[208:209], v[228:229], v[236:237], -v[208:209]
	v_fma_f64 v[212:213], v[230:231], v[236:237], v[212:213]
	ds_load_2addr_b64 v[228:231], v238 offset0:18 offset1:19
	v_add_f64 v[192:193], v[192:193], -v[208:209]
	v_add_f64 v[194:195], v[194:195], -v[212:213]
	s_waitcnt lgkmcnt(0)
	v_mul_f64 v[208:209], v[230:231], v[234:235]
	v_mul_f64 v[212:213], v[228:229], v[234:235]
	s_delay_alu instid0(VALU_DEP_2) | instskip(NEXT) | instid1(VALU_DEP_2)
	v_fma_f64 v[208:209], v[228:229], v[236:237], -v[208:209]
	v_fma_f64 v[212:213], v[230:231], v[236:237], v[212:213]
	ds_load_2addr_b64 v[228:231], v238 offset0:20 offset1:21
	v_add_f64 v[188:189], v[188:189], -v[208:209]
	v_add_f64 v[190:191], v[190:191], -v[212:213]
	s_waitcnt lgkmcnt(0)
	v_mul_f64 v[208:209], v[230:231], v[234:235]
	v_mul_f64 v[212:213], v[228:229], v[234:235]
	s_delay_alu instid0(VALU_DEP_2) | instskip(NEXT) | instid1(VALU_DEP_2)
	v_fma_f64 v[208:209], v[228:229], v[236:237], -v[208:209]
	v_fma_f64 v[212:213], v[230:231], v[236:237], v[212:213]
	ds_load_2addr_b64 v[228:231], v238 offset0:22 offset1:23
	v_add_f64 v[184:185], v[184:185], -v[208:209]
	v_add_f64 v[186:187], v[186:187], -v[212:213]
	s_waitcnt lgkmcnt(0)
	v_mul_f64 v[208:209], v[230:231], v[234:235]
	v_mul_f64 v[212:213], v[228:229], v[234:235]
	s_delay_alu instid0(VALU_DEP_2) | instskip(NEXT) | instid1(VALU_DEP_2)
	v_fma_f64 v[208:209], v[228:229], v[236:237], -v[208:209]
	v_fma_f64 v[212:213], v[230:231], v[236:237], v[212:213]
	ds_load_2addr_b64 v[228:231], v238 offset0:24 offset1:25
	v_add_f64 v[180:181], v[180:181], -v[208:209]
	v_add_f64 v[182:183], v[182:183], -v[212:213]
	s_waitcnt lgkmcnt(0)
	v_mul_f64 v[208:209], v[230:231], v[234:235]
	v_mul_f64 v[212:213], v[228:229], v[234:235]
	s_delay_alu instid0(VALU_DEP_2) | instskip(NEXT) | instid1(VALU_DEP_2)
	v_fma_f64 v[208:209], v[228:229], v[236:237], -v[208:209]
	v_fma_f64 v[212:213], v[230:231], v[236:237], v[212:213]
	ds_load_2addr_b64 v[228:231], v238 offset0:26 offset1:27
	v_add_f64 v[176:177], v[176:177], -v[208:209]
	v_add_f64 v[178:179], v[178:179], -v[212:213]
	s_waitcnt lgkmcnt(0)
	v_mul_f64 v[208:209], v[230:231], v[234:235]
	v_mul_f64 v[212:213], v[228:229], v[234:235]
	s_delay_alu instid0(VALU_DEP_2) | instskip(NEXT) | instid1(VALU_DEP_2)
	v_fma_f64 v[208:209], v[228:229], v[236:237], -v[208:209]
	v_fma_f64 v[212:213], v[230:231], v[236:237], v[212:213]
	ds_load_2addr_b64 v[228:231], v238 offset0:28 offset1:29
	v_add_f64 v[172:173], v[172:173], -v[208:209]
	v_add_f64 v[174:175], v[174:175], -v[212:213]
	s_waitcnt lgkmcnt(0)
	v_mul_f64 v[208:209], v[230:231], v[234:235]
	v_mul_f64 v[212:213], v[228:229], v[234:235]
	s_delay_alu instid0(VALU_DEP_2) | instskip(NEXT) | instid1(VALU_DEP_2)
	v_fma_f64 v[208:209], v[228:229], v[236:237], -v[208:209]
	v_fma_f64 v[212:213], v[230:231], v[236:237], v[212:213]
	ds_load_2addr_b64 v[228:231], v238 offset0:30 offset1:31
	v_add_f64 v[168:169], v[168:169], -v[208:209]
	v_add_f64 v[170:171], v[170:171], -v[212:213]
	s_waitcnt lgkmcnt(0)
	v_mul_f64 v[208:209], v[230:231], v[234:235]
	v_mul_f64 v[212:213], v[228:229], v[234:235]
	s_delay_alu instid0(VALU_DEP_2) | instskip(NEXT) | instid1(VALU_DEP_2)
	v_fma_f64 v[208:209], v[228:229], v[236:237], -v[208:209]
	v_fma_f64 v[212:213], v[230:231], v[236:237], v[212:213]
	ds_load_2addr_b64 v[228:231], v238 offset0:32 offset1:33
	v_add_f64 v[164:165], v[164:165], -v[208:209]
	v_add_f64 v[166:167], v[166:167], -v[212:213]
	s_waitcnt lgkmcnt(0)
	v_mul_f64 v[208:209], v[230:231], v[234:235]
	v_mul_f64 v[212:213], v[228:229], v[234:235]
	s_delay_alu instid0(VALU_DEP_2) | instskip(NEXT) | instid1(VALU_DEP_2)
	v_fma_f64 v[208:209], v[228:229], v[236:237], -v[208:209]
	v_fma_f64 v[212:213], v[230:231], v[236:237], v[212:213]
	ds_load_2addr_b64 v[228:231], v238 offset0:34 offset1:35
	v_add_f64 v[160:161], v[160:161], -v[208:209]
	v_add_f64 v[162:163], v[162:163], -v[212:213]
	s_waitcnt lgkmcnt(0)
	v_mul_f64 v[208:209], v[230:231], v[234:235]
	v_mul_f64 v[212:213], v[228:229], v[234:235]
	s_delay_alu instid0(VALU_DEP_2) | instskip(NEXT) | instid1(VALU_DEP_2)
	v_fma_f64 v[208:209], v[228:229], v[236:237], -v[208:209]
	v_fma_f64 v[212:213], v[230:231], v[236:237], v[212:213]
	ds_load_2addr_b64 v[228:231], v238 offset0:36 offset1:37
	v_add_f64 v[156:157], v[156:157], -v[208:209]
	v_add_f64 v[158:159], v[158:159], -v[212:213]
	s_waitcnt lgkmcnt(0)
	v_mul_f64 v[208:209], v[230:231], v[234:235]
	v_mul_f64 v[212:213], v[228:229], v[234:235]
	s_delay_alu instid0(VALU_DEP_2) | instskip(NEXT) | instid1(VALU_DEP_2)
	v_fma_f64 v[208:209], v[228:229], v[236:237], -v[208:209]
	v_fma_f64 v[212:213], v[230:231], v[236:237], v[212:213]
	ds_load_2addr_b64 v[228:231], v238 offset0:38 offset1:39
	v_add_f64 v[152:153], v[152:153], -v[208:209]
	v_add_f64 v[154:155], v[154:155], -v[212:213]
	s_waitcnt lgkmcnt(0)
	v_mul_f64 v[208:209], v[230:231], v[234:235]
	v_mul_f64 v[212:213], v[228:229], v[234:235]
	s_delay_alu instid0(VALU_DEP_2) | instskip(NEXT) | instid1(VALU_DEP_2)
	v_fma_f64 v[208:209], v[228:229], v[236:237], -v[208:209]
	v_fma_f64 v[212:213], v[230:231], v[236:237], v[212:213]
	ds_load_2addr_b64 v[228:231], v238 offset0:40 offset1:41
	v_add_f64 v[148:149], v[148:149], -v[208:209]
	v_add_f64 v[150:151], v[150:151], -v[212:213]
	s_waitcnt lgkmcnt(0)
	v_mul_f64 v[208:209], v[230:231], v[234:235]
	v_mul_f64 v[212:213], v[228:229], v[234:235]
	s_delay_alu instid0(VALU_DEP_2) | instskip(NEXT) | instid1(VALU_DEP_2)
	v_fma_f64 v[208:209], v[228:229], v[236:237], -v[208:209]
	v_fma_f64 v[212:213], v[230:231], v[236:237], v[212:213]
	ds_load_2addr_b64 v[228:231], v238 offset0:42 offset1:43
	v_add_f64 v[144:145], v[144:145], -v[208:209]
	v_add_f64 v[146:147], v[146:147], -v[212:213]
	s_waitcnt lgkmcnt(0)
	v_mul_f64 v[208:209], v[230:231], v[234:235]
	v_mul_f64 v[212:213], v[228:229], v[234:235]
	s_delay_alu instid0(VALU_DEP_2) | instskip(NEXT) | instid1(VALU_DEP_2)
	v_fma_f64 v[208:209], v[228:229], v[236:237], -v[208:209]
	v_fma_f64 v[212:213], v[230:231], v[236:237], v[212:213]
	ds_load_2addr_b64 v[228:231], v238 offset0:44 offset1:45
	v_add_f64 v[140:141], v[140:141], -v[208:209]
	v_add_f64 v[142:143], v[142:143], -v[212:213]
	s_waitcnt lgkmcnt(0)
	v_mul_f64 v[208:209], v[230:231], v[234:235]
	v_mul_f64 v[212:213], v[228:229], v[234:235]
	s_delay_alu instid0(VALU_DEP_2) | instskip(NEXT) | instid1(VALU_DEP_2)
	v_fma_f64 v[208:209], v[228:229], v[236:237], -v[208:209]
	v_fma_f64 v[212:213], v[230:231], v[236:237], v[212:213]
	ds_load_2addr_b64 v[228:231], v238 offset0:46 offset1:47
	v_add_f64 v[136:137], v[136:137], -v[208:209]
	v_add_f64 v[138:139], v[138:139], -v[212:213]
	s_waitcnt lgkmcnt(0)
	v_mul_f64 v[208:209], v[230:231], v[234:235]
	v_mul_f64 v[212:213], v[228:229], v[234:235]
	s_delay_alu instid0(VALU_DEP_2) | instskip(NEXT) | instid1(VALU_DEP_2)
	v_fma_f64 v[208:209], v[228:229], v[236:237], -v[208:209]
	v_fma_f64 v[212:213], v[230:231], v[236:237], v[212:213]
	ds_load_2addr_b64 v[228:231], v238 offset0:48 offset1:49
	v_add_f64 v[132:133], v[132:133], -v[208:209]
	v_add_f64 v[134:135], v[134:135], -v[212:213]
	s_waitcnt lgkmcnt(0)
	v_mul_f64 v[208:209], v[230:231], v[234:235]
	v_mul_f64 v[212:213], v[228:229], v[234:235]
	s_delay_alu instid0(VALU_DEP_2) | instskip(NEXT) | instid1(VALU_DEP_2)
	v_fma_f64 v[208:209], v[228:229], v[236:237], -v[208:209]
	v_fma_f64 v[212:213], v[230:231], v[236:237], v[212:213]
	ds_load_2addr_b64 v[228:231], v238 offset0:50 offset1:51
	v_add_f64 v[128:129], v[128:129], -v[208:209]
	v_add_f64 v[130:131], v[130:131], -v[212:213]
	s_waitcnt lgkmcnt(0)
	v_mul_f64 v[208:209], v[230:231], v[234:235]
	v_mul_f64 v[212:213], v[228:229], v[234:235]
	s_delay_alu instid0(VALU_DEP_2) | instskip(NEXT) | instid1(VALU_DEP_2)
	v_fma_f64 v[208:209], v[228:229], v[236:237], -v[208:209]
	v_fma_f64 v[212:213], v[230:231], v[236:237], v[212:213]
	ds_load_2addr_b64 v[228:231], v238 offset0:52 offset1:53
	v_add_f64 v[124:125], v[124:125], -v[208:209]
	v_add_f64 v[126:127], v[126:127], -v[212:213]
	s_waitcnt lgkmcnt(0)
	v_mul_f64 v[208:209], v[230:231], v[234:235]
	v_mul_f64 v[212:213], v[228:229], v[234:235]
	s_delay_alu instid0(VALU_DEP_2) | instskip(NEXT) | instid1(VALU_DEP_2)
	v_fma_f64 v[208:209], v[228:229], v[236:237], -v[208:209]
	v_fma_f64 v[212:213], v[230:231], v[236:237], v[212:213]
	ds_load_2addr_b64 v[228:231], v238 offset0:54 offset1:55
	v_add_f64 v[120:121], v[120:121], -v[208:209]
	v_add_f64 v[122:123], v[122:123], -v[212:213]
	s_waitcnt lgkmcnt(0)
	v_mul_f64 v[208:209], v[230:231], v[234:235]
	v_mul_f64 v[212:213], v[228:229], v[234:235]
	s_delay_alu instid0(VALU_DEP_2) | instskip(NEXT) | instid1(VALU_DEP_2)
	v_fma_f64 v[208:209], v[228:229], v[236:237], -v[208:209]
	v_fma_f64 v[212:213], v[230:231], v[236:237], v[212:213]
	ds_load_2addr_b64 v[228:231], v238 offset0:56 offset1:57
	v_add_f64 v[116:117], v[116:117], -v[208:209]
	v_add_f64 v[118:119], v[118:119], -v[212:213]
	s_waitcnt lgkmcnt(0)
	v_mul_f64 v[208:209], v[230:231], v[234:235]
	v_mul_f64 v[212:213], v[228:229], v[234:235]
	s_delay_alu instid0(VALU_DEP_2) | instskip(NEXT) | instid1(VALU_DEP_2)
	v_fma_f64 v[208:209], v[228:229], v[236:237], -v[208:209]
	v_fma_f64 v[212:213], v[230:231], v[236:237], v[212:213]
	ds_load_2addr_b64 v[228:231], v238 offset0:58 offset1:59
	v_add_f64 v[112:113], v[112:113], -v[208:209]
	v_add_f64 v[114:115], v[114:115], -v[212:213]
	s_waitcnt lgkmcnt(0)
	v_mul_f64 v[208:209], v[230:231], v[234:235]
	v_mul_f64 v[212:213], v[228:229], v[234:235]
	s_delay_alu instid0(VALU_DEP_2) | instskip(NEXT) | instid1(VALU_DEP_2)
	v_fma_f64 v[208:209], v[228:229], v[236:237], -v[208:209]
	v_fma_f64 v[212:213], v[230:231], v[236:237], v[212:213]
	ds_load_2addr_b64 v[228:231], v238 offset0:60 offset1:61
	v_add_f64 v[108:109], v[108:109], -v[208:209]
	v_add_f64 v[110:111], v[110:111], -v[212:213]
	s_waitcnt lgkmcnt(0)
	v_mul_f64 v[208:209], v[230:231], v[234:235]
	v_mul_f64 v[212:213], v[228:229], v[234:235]
	s_delay_alu instid0(VALU_DEP_2) | instskip(NEXT) | instid1(VALU_DEP_2)
	v_fma_f64 v[208:209], v[228:229], v[236:237], -v[208:209]
	v_fma_f64 v[212:213], v[230:231], v[236:237], v[212:213]
	ds_load_2addr_b64 v[228:231], v238 offset0:62 offset1:63
	v_add_f64 v[104:105], v[104:105], -v[208:209]
	v_add_f64 v[106:107], v[106:107], -v[212:213]
	s_waitcnt lgkmcnt(0)
	v_mul_f64 v[208:209], v[230:231], v[234:235]
	v_mul_f64 v[212:213], v[228:229], v[234:235]
	s_delay_alu instid0(VALU_DEP_2) | instskip(NEXT) | instid1(VALU_DEP_2)
	v_fma_f64 v[208:209], v[228:229], v[236:237], -v[208:209]
	v_fma_f64 v[212:213], v[230:231], v[236:237], v[212:213]
	ds_load_2addr_b64 v[228:231], v238 offset0:64 offset1:65
	v_add_f64 v[100:101], v[100:101], -v[208:209]
	v_add_f64 v[102:103], v[102:103], -v[212:213]
	s_waitcnt lgkmcnt(0)
	v_mul_f64 v[208:209], v[230:231], v[234:235]
	v_mul_f64 v[212:213], v[228:229], v[234:235]
	s_delay_alu instid0(VALU_DEP_2) | instskip(NEXT) | instid1(VALU_DEP_2)
	v_fma_f64 v[208:209], v[228:229], v[236:237], -v[208:209]
	v_fma_f64 v[212:213], v[230:231], v[236:237], v[212:213]
	ds_load_2addr_b64 v[228:231], v238 offset0:66 offset1:67
	v_add_f64 v[96:97], v[96:97], -v[208:209]
	v_add_f64 v[98:99], v[98:99], -v[212:213]
	s_waitcnt lgkmcnt(0)
	v_mul_f64 v[208:209], v[230:231], v[234:235]
	v_mul_f64 v[212:213], v[228:229], v[234:235]
	s_delay_alu instid0(VALU_DEP_2) | instskip(NEXT) | instid1(VALU_DEP_2)
	v_fma_f64 v[208:209], v[228:229], v[236:237], -v[208:209]
	v_fma_f64 v[212:213], v[230:231], v[236:237], v[212:213]
	ds_load_2addr_b64 v[228:231], v238 offset0:68 offset1:69
	v_add_f64 v[92:93], v[92:93], -v[208:209]
	v_add_f64 v[94:95], v[94:95], -v[212:213]
	s_waitcnt lgkmcnt(0)
	v_mul_f64 v[208:209], v[230:231], v[234:235]
	v_mul_f64 v[212:213], v[228:229], v[234:235]
	s_delay_alu instid0(VALU_DEP_2) | instskip(NEXT) | instid1(VALU_DEP_2)
	v_fma_f64 v[208:209], v[228:229], v[236:237], -v[208:209]
	v_fma_f64 v[212:213], v[230:231], v[236:237], v[212:213]
	ds_load_2addr_b64 v[228:231], v238 offset0:70 offset1:71
	v_add_f64 v[88:89], v[88:89], -v[208:209]
	v_add_f64 v[90:91], v[90:91], -v[212:213]
	s_waitcnt lgkmcnt(0)
	v_mul_f64 v[208:209], v[230:231], v[234:235]
	v_mul_f64 v[212:213], v[228:229], v[234:235]
	s_delay_alu instid0(VALU_DEP_2) | instskip(NEXT) | instid1(VALU_DEP_2)
	v_fma_f64 v[208:209], v[228:229], v[236:237], -v[208:209]
	v_fma_f64 v[212:213], v[230:231], v[236:237], v[212:213]
	ds_load_2addr_b64 v[228:231], v238 offset0:72 offset1:73
	v_add_f64 v[84:85], v[84:85], -v[208:209]
	v_add_f64 v[86:87], v[86:87], -v[212:213]
	s_waitcnt lgkmcnt(0)
	v_mul_f64 v[208:209], v[230:231], v[234:235]
	v_mul_f64 v[212:213], v[228:229], v[234:235]
	s_delay_alu instid0(VALU_DEP_2) | instskip(NEXT) | instid1(VALU_DEP_2)
	v_fma_f64 v[208:209], v[228:229], v[236:237], -v[208:209]
	v_fma_f64 v[212:213], v[230:231], v[236:237], v[212:213]
	ds_load_2addr_b64 v[228:231], v238 offset0:74 offset1:75
	v_add_f64 v[80:81], v[80:81], -v[208:209]
	v_add_f64 v[82:83], v[82:83], -v[212:213]
	s_waitcnt lgkmcnt(0)
	v_mul_f64 v[208:209], v[230:231], v[234:235]
	v_mul_f64 v[212:213], v[228:229], v[234:235]
	s_delay_alu instid0(VALU_DEP_2) | instskip(NEXT) | instid1(VALU_DEP_2)
	v_fma_f64 v[208:209], v[228:229], v[236:237], -v[208:209]
	v_fma_f64 v[212:213], v[230:231], v[236:237], v[212:213]
	ds_load_2addr_b64 v[228:231], v238 offset0:76 offset1:77
	v_add_f64 v[76:77], v[76:77], -v[208:209]
	v_add_f64 v[78:79], v[78:79], -v[212:213]
	s_waitcnt lgkmcnt(0)
	v_mul_f64 v[208:209], v[230:231], v[234:235]
	v_mul_f64 v[212:213], v[228:229], v[234:235]
	s_delay_alu instid0(VALU_DEP_2) | instskip(NEXT) | instid1(VALU_DEP_2)
	v_fma_f64 v[208:209], v[228:229], v[236:237], -v[208:209]
	v_fma_f64 v[212:213], v[230:231], v[236:237], v[212:213]
	ds_load_2addr_b64 v[228:231], v238 offset0:78 offset1:79
	v_add_f64 v[72:73], v[72:73], -v[208:209]
	v_add_f64 v[74:75], v[74:75], -v[212:213]
	s_waitcnt lgkmcnt(0)
	v_mul_f64 v[208:209], v[230:231], v[234:235]
	v_mul_f64 v[212:213], v[228:229], v[234:235]
	s_delay_alu instid0(VALU_DEP_2) | instskip(NEXT) | instid1(VALU_DEP_2)
	v_fma_f64 v[208:209], v[228:229], v[236:237], -v[208:209]
	v_fma_f64 v[212:213], v[230:231], v[236:237], v[212:213]
	ds_load_2addr_b64 v[228:231], v238 offset0:80 offset1:81
	v_add_f64 v[68:69], v[68:69], -v[208:209]
	v_add_f64 v[70:71], v[70:71], -v[212:213]
	s_waitcnt lgkmcnt(0)
	v_mul_f64 v[208:209], v[230:231], v[234:235]
	v_mul_f64 v[212:213], v[228:229], v[234:235]
	s_delay_alu instid0(VALU_DEP_2) | instskip(NEXT) | instid1(VALU_DEP_2)
	v_fma_f64 v[208:209], v[228:229], v[236:237], -v[208:209]
	v_fma_f64 v[212:213], v[230:231], v[236:237], v[212:213]
	ds_load_2addr_b64 v[228:231], v238 offset0:82 offset1:83
	v_add_f64 v[64:65], v[64:65], -v[208:209]
	v_add_f64 v[66:67], v[66:67], -v[212:213]
	s_waitcnt lgkmcnt(0)
	v_mul_f64 v[208:209], v[230:231], v[234:235]
	v_mul_f64 v[212:213], v[228:229], v[234:235]
	s_delay_alu instid0(VALU_DEP_2) | instskip(NEXT) | instid1(VALU_DEP_2)
	v_fma_f64 v[208:209], v[228:229], v[236:237], -v[208:209]
	v_fma_f64 v[212:213], v[230:231], v[236:237], v[212:213]
	ds_load_2addr_b64 v[228:231], v238 offset0:84 offset1:85
	v_add_f64 v[60:61], v[60:61], -v[208:209]
	v_add_f64 v[62:63], v[62:63], -v[212:213]
	s_waitcnt lgkmcnt(0)
	v_mul_f64 v[208:209], v[230:231], v[234:235]
	v_mul_f64 v[212:213], v[228:229], v[234:235]
	s_delay_alu instid0(VALU_DEP_2) | instskip(NEXT) | instid1(VALU_DEP_2)
	v_fma_f64 v[208:209], v[228:229], v[236:237], -v[208:209]
	v_fma_f64 v[212:213], v[230:231], v[236:237], v[212:213]
	ds_load_2addr_b64 v[228:231], v238 offset0:86 offset1:87
	v_add_f64 v[56:57], v[56:57], -v[208:209]
	v_add_f64 v[58:59], v[58:59], -v[212:213]
	s_waitcnt lgkmcnt(0)
	v_mul_f64 v[208:209], v[230:231], v[234:235]
	v_mul_f64 v[212:213], v[228:229], v[234:235]
	s_delay_alu instid0(VALU_DEP_2) | instskip(NEXT) | instid1(VALU_DEP_2)
	v_fma_f64 v[208:209], v[228:229], v[236:237], -v[208:209]
	v_fma_f64 v[212:213], v[230:231], v[236:237], v[212:213]
	ds_load_2addr_b64 v[228:231], v238 offset0:88 offset1:89
	v_add_f64 v[52:53], v[52:53], -v[208:209]
	v_add_f64 v[54:55], v[54:55], -v[212:213]
	s_waitcnt lgkmcnt(0)
	v_mul_f64 v[208:209], v[230:231], v[234:235]
	v_mul_f64 v[212:213], v[228:229], v[234:235]
	s_delay_alu instid0(VALU_DEP_2) | instskip(NEXT) | instid1(VALU_DEP_2)
	v_fma_f64 v[208:209], v[228:229], v[236:237], -v[208:209]
	v_fma_f64 v[212:213], v[230:231], v[236:237], v[212:213]
	ds_load_2addr_b64 v[228:231], v238 offset0:90 offset1:91
	v_add_f64 v[48:49], v[48:49], -v[208:209]
	v_add_f64 v[50:51], v[50:51], -v[212:213]
	s_waitcnt lgkmcnt(0)
	v_mul_f64 v[208:209], v[230:231], v[234:235]
	v_mul_f64 v[212:213], v[228:229], v[234:235]
	s_delay_alu instid0(VALU_DEP_2) | instskip(NEXT) | instid1(VALU_DEP_2)
	v_fma_f64 v[208:209], v[228:229], v[236:237], -v[208:209]
	v_fma_f64 v[212:213], v[230:231], v[236:237], v[212:213]
	ds_load_2addr_b64 v[228:231], v238 offset0:92 offset1:93
	v_add_f64 v[44:45], v[44:45], -v[208:209]
	v_add_f64 v[46:47], v[46:47], -v[212:213]
	s_waitcnt lgkmcnt(0)
	v_mul_f64 v[208:209], v[230:231], v[234:235]
	v_mul_f64 v[212:213], v[228:229], v[234:235]
	s_delay_alu instid0(VALU_DEP_2) | instskip(NEXT) | instid1(VALU_DEP_2)
	v_fma_f64 v[208:209], v[228:229], v[236:237], -v[208:209]
	v_fma_f64 v[212:213], v[230:231], v[236:237], v[212:213]
	ds_load_2addr_b64 v[228:231], v238 offset0:94 offset1:95
	v_add_f64 v[40:41], v[40:41], -v[208:209]
	v_add_f64 v[42:43], v[42:43], -v[212:213]
	s_waitcnt lgkmcnt(0)
	v_mul_f64 v[208:209], v[230:231], v[234:235]
	v_mul_f64 v[212:213], v[228:229], v[234:235]
	s_delay_alu instid0(VALU_DEP_2) | instskip(NEXT) | instid1(VALU_DEP_2)
	v_fma_f64 v[208:209], v[228:229], v[236:237], -v[208:209]
	v_fma_f64 v[212:213], v[230:231], v[236:237], v[212:213]
	ds_load_2addr_b64 v[228:231], v238 offset0:96 offset1:97
	v_add_f64 v[36:37], v[36:37], -v[208:209]
	v_add_f64 v[38:39], v[38:39], -v[212:213]
	s_waitcnt lgkmcnt(0)
	v_mul_f64 v[208:209], v[230:231], v[234:235]
	v_mul_f64 v[212:213], v[228:229], v[234:235]
	s_delay_alu instid0(VALU_DEP_2) | instskip(NEXT) | instid1(VALU_DEP_2)
	v_fma_f64 v[208:209], v[228:229], v[236:237], -v[208:209]
	v_fma_f64 v[212:213], v[230:231], v[236:237], v[212:213]
	ds_load_2addr_b64 v[228:231], v238 offset0:98 offset1:99
	v_add_f64 v[32:33], v[32:33], -v[208:209]
	v_add_f64 v[34:35], v[34:35], -v[212:213]
	s_waitcnt lgkmcnt(0)
	v_mul_f64 v[208:209], v[230:231], v[234:235]
	v_mul_f64 v[212:213], v[228:229], v[234:235]
	s_delay_alu instid0(VALU_DEP_2) | instskip(NEXT) | instid1(VALU_DEP_2)
	v_fma_f64 v[208:209], v[228:229], v[236:237], -v[208:209]
	v_fma_f64 v[212:213], v[230:231], v[236:237], v[212:213]
	ds_load_2addr_b64 v[228:231], v238 offset0:100 offset1:101
	v_add_f64 v[28:29], v[28:29], -v[208:209]
	v_add_f64 v[30:31], v[30:31], -v[212:213]
	s_waitcnt lgkmcnt(0)
	v_mul_f64 v[208:209], v[230:231], v[234:235]
	v_mul_f64 v[212:213], v[228:229], v[234:235]
	s_delay_alu instid0(VALU_DEP_2) | instskip(NEXT) | instid1(VALU_DEP_2)
	v_fma_f64 v[208:209], v[228:229], v[236:237], -v[208:209]
	v_fma_f64 v[212:213], v[230:231], v[236:237], v[212:213]
	ds_load_2addr_b64 v[228:231], v238 offset0:102 offset1:103
	v_add_f64 v[24:25], v[24:25], -v[208:209]
	v_add_f64 v[26:27], v[26:27], -v[212:213]
	s_waitcnt lgkmcnt(0)
	v_mul_f64 v[208:209], v[230:231], v[234:235]
	v_mul_f64 v[212:213], v[228:229], v[234:235]
	s_delay_alu instid0(VALU_DEP_2) | instskip(NEXT) | instid1(VALU_DEP_2)
	v_fma_f64 v[208:209], v[228:229], v[236:237], -v[208:209]
	v_fma_f64 v[212:213], v[230:231], v[236:237], v[212:213]
	ds_load_2addr_b64 v[228:231], v238 offset0:104 offset1:105
	v_add_f64 v[20:21], v[20:21], -v[208:209]
	v_add_f64 v[22:23], v[22:23], -v[212:213]
	s_waitcnt lgkmcnt(0)
	v_mul_f64 v[208:209], v[230:231], v[234:235]
	v_mul_f64 v[212:213], v[228:229], v[234:235]
	s_delay_alu instid0(VALU_DEP_2) | instskip(NEXT) | instid1(VALU_DEP_2)
	v_fma_f64 v[208:209], v[228:229], v[236:237], -v[208:209]
	v_fma_f64 v[212:213], v[230:231], v[236:237], v[212:213]
	ds_load_2addr_b64 v[228:231], v238 offset0:106 offset1:107
	v_add_f64 v[16:17], v[16:17], -v[208:209]
	v_add_f64 v[18:19], v[18:19], -v[212:213]
	s_waitcnt lgkmcnt(0)
	v_mul_f64 v[208:209], v[230:231], v[234:235]
	v_mul_f64 v[212:213], v[228:229], v[234:235]
	s_delay_alu instid0(VALU_DEP_2) | instskip(NEXT) | instid1(VALU_DEP_2)
	v_fma_f64 v[208:209], v[228:229], v[236:237], -v[208:209]
	v_fma_f64 v[212:213], v[230:231], v[236:237], v[212:213]
	ds_load_2addr_b64 v[228:231], v238 offset0:108 offset1:109
	v_add_f64 v[12:13], v[12:13], -v[208:209]
	v_add_f64 v[14:15], v[14:15], -v[212:213]
	s_waitcnt lgkmcnt(0)
	v_mul_f64 v[208:209], v[230:231], v[234:235]
	v_mul_f64 v[212:213], v[228:229], v[234:235]
	s_delay_alu instid0(VALU_DEP_2) | instskip(NEXT) | instid1(VALU_DEP_2)
	v_fma_f64 v[208:209], v[228:229], v[236:237], -v[208:209]
	v_fma_f64 v[212:213], v[230:231], v[236:237], v[212:213]
	ds_load_2addr_b64 v[228:231], v238 offset0:110 offset1:111
	v_add_f64 v[224:225], v[224:225], -v[208:209]
	v_add_f64 v[226:227], v[226:227], -v[212:213]
	s_waitcnt lgkmcnt(0)
	v_mul_f64 v[208:209], v[230:231], v[234:235]
	v_mul_f64 v[212:213], v[228:229], v[234:235]
	s_delay_alu instid0(VALU_DEP_2) | instskip(NEXT) | instid1(VALU_DEP_2)
	v_fma_f64 v[208:209], v[228:229], v[236:237], -v[208:209]
	v_fma_f64 v[212:213], v[230:231], v[236:237], v[212:213]
	ds_load_2addr_b64 v[228:231], v238 offset0:112 offset1:113
	v_add_f64 v[250:251], v[250:251], -v[208:209]
	v_add_f64 v[252:253], v[252:253], -v[212:213]
	s_waitcnt lgkmcnt(0)
	v_mul_f64 v[208:209], v[230:231], v[234:235]
	v_mul_f64 v[212:213], v[228:229], v[234:235]
	s_delay_alu instid0(VALU_DEP_2) | instskip(NEXT) | instid1(VALU_DEP_2)
	v_fma_f64 v[208:209], v[228:229], v[236:237], -v[208:209]
	v_fma_f64 v[212:213], v[230:231], v[236:237], v[212:213]
	s_delay_alu instid0(VALU_DEP_2) | instskip(NEXT) | instid1(VALU_DEP_2)
	v_add_f64 v[0:1], v[0:1], -v[208:209]
	v_add_f64 v[2:3], v[2:3], -v[212:213]
	v_dual_mov_b32 v208, v214 :: v_dual_mov_b32 v209, v215
	v_dual_mov_b32 v210, v216 :: v_dual_mov_b32 v211, v217
.LBB112_104:
	s_or_b32 exec_lo, exec_lo, s2
	v_lshl_add_u32 v212, v244, 4, v238
	s_barrier
	buffer_gl0_inv
	v_mov_b32_e32 v236, 5
	ds_store_2addr_b64 v212, v[204:205], v[206:207] offset1:1
	s_waitcnt lgkmcnt(0)
	s_barrier
	buffer_gl0_inv
	ds_load_2addr_b64 v[228:231], v238 offset0:10 offset1:11
	s_cmp_lt_i32 s12, 7
	s_cbranch_scc1 .LBB112_107
; %bb.105:
	v_add3_u32 v237, v242, 0, 0x60
	v_mov_b32_e32 v236, 5
	s_mov_b32 s6, 6
	s_set_inst_prefetch_distance 0x1
	.p2align	6
.LBB112_106:                            ; =>This Inner Loop Header: Depth=1
	ds_load_2addr_b64 v[245:248], v237 offset1:1
	s_waitcnt lgkmcnt(1)
	v_cmp_gt_f64_e32 vcc_lo, 0, v[228:229]
	v_cmp_gt_f64_e64 s2, 0, v[230:231]
	v_xor_b32_e32 v213, 0x80000000, v229
	v_xor_b32_e32 v215, 0x80000000, v231
	v_add_nc_u32_e32 v237, 16, v237
	s_waitcnt lgkmcnt(0)
	v_cmp_gt_f64_e64 s3, 0, v[245:246]
	v_cmp_gt_f64_e64 s4, 0, v[247:248]
	v_xor_b32_e32 v219, 0x80000000, v246
	v_mov_b32_e32 v212, v245
	v_xor_b32_e32 v220, 0x80000000, v248
	v_mov_b32_e32 v214, v247
	v_cndmask_b32_e32 v216, v229, v213, vcc_lo
	v_cndmask_b32_e64 v218, v231, v215, s2
	v_cndmask_b32_e32 v215, v228, v228, vcc_lo
	v_cndmask_b32_e64 v217, v230, v230, s2
	s_delay_alu instid0(VALU_DEP_1) | instskip(SKIP_2) | instid1(VALU_DEP_1)
	v_add_f64 v[216:217], v[215:216], v[217:218]
	v_cndmask_b32_e64 v213, v246, v219, s3
	v_cndmask_b32_e64 v215, v248, v220, s4
	v_add_f64 v[212:213], v[212:213], v[214:215]
	s_delay_alu instid0(VALU_DEP_1)
	v_cmp_lt_f64_e32 vcc_lo, v[216:217], v[212:213]
	v_cndmask_b32_e32 v231, v231, v248, vcc_lo
	v_dual_cndmask_b32 v229, v229, v246 :: v_dual_cndmask_b32 v228, v228, v245
	v_cndmask_b32_e32 v230, v230, v247, vcc_lo
	v_cndmask_b32_e64 v236, v236, s6, vcc_lo
	s_add_i32 s6, s6, 1
	s_delay_alu instid0(SALU_CYCLE_1)
	s_cmp_lg_u32 s12, s6
	s_cbranch_scc1 .LBB112_106
.LBB112_107:
	s_set_inst_prefetch_distance 0x2
	s_waitcnt lgkmcnt(0)
	v_cmp_eq_f64_e32 vcc_lo, 0, v[228:229]
	v_cmp_eq_f64_e64 s2, 0, v[230:231]
	s_delay_alu instid0(VALU_DEP_1) | instskip(NEXT) | instid1(SALU_CYCLE_1)
	s_and_b32 s2, vcc_lo, s2
	s_and_saveexec_b32 s3, s2
	s_delay_alu instid0(SALU_CYCLE_1)
	s_xor_b32 s2, exec_lo, s3
; %bb.108:
	v_cmp_ne_u32_e32 vcc_lo, 0, v241
	v_cndmask_b32_e32 v241, 6, v241, vcc_lo
; %bb.109:
	s_and_not1_saveexec_b32 s3, s2
	s_cbranch_execz .LBB112_115
; %bb.110:
	v_cmp_gt_f64_e32 vcc_lo, 0, v[228:229]
	v_cmp_gt_f64_e64 s2, 0, v[230:231]
	v_xor_b32_e32 v212, 0x80000000, v229
	v_xor_b32_e32 v214, 0x80000000, v231
	s_delay_alu instid0(VALU_DEP_2) | instskip(NEXT) | instid1(VALU_DEP_2)
	v_cndmask_b32_e32 v213, v229, v212, vcc_lo
	v_cndmask_b32_e64 v215, v231, v214, s2
	v_cndmask_b32_e32 v212, v228, v228, vcc_lo
	v_cndmask_b32_e64 v214, v230, v230, s2
	s_mov_b32 s2, exec_lo
	s_delay_alu instid0(VALU_DEP_1)
	v_cmpx_ngt_f64_e32 v[212:213], v[214:215]
	s_xor_b32 s2, exec_lo, s2
	s_cbranch_execz .LBB112_112
; %bb.111:
	v_div_scale_f64 v[212:213], null, v[230:231], v[230:231], v[228:229]
	v_div_scale_f64 v[218:219], vcc_lo, v[228:229], v[230:231], v[228:229]
	s_delay_alu instid0(VALU_DEP_2) | instskip(SKIP_2) | instid1(VALU_DEP_1)
	v_rcp_f64_e32 v[214:215], v[212:213]
	s_waitcnt_depctr 0xfff
	v_fma_f64 v[216:217], -v[212:213], v[214:215], 1.0
	v_fma_f64 v[214:215], v[214:215], v[216:217], v[214:215]
	s_delay_alu instid0(VALU_DEP_1) | instskip(NEXT) | instid1(VALU_DEP_1)
	v_fma_f64 v[216:217], -v[212:213], v[214:215], 1.0
	v_fma_f64 v[214:215], v[214:215], v[216:217], v[214:215]
	s_delay_alu instid0(VALU_DEP_1) | instskip(NEXT) | instid1(VALU_DEP_1)
	v_mul_f64 v[216:217], v[218:219], v[214:215]
	v_fma_f64 v[212:213], -v[212:213], v[216:217], v[218:219]
	s_delay_alu instid0(VALU_DEP_1) | instskip(NEXT) | instid1(VALU_DEP_1)
	v_div_fmas_f64 v[212:213], v[212:213], v[214:215], v[216:217]
	v_div_fixup_f64 v[212:213], v[212:213], v[230:231], v[228:229]
	s_delay_alu instid0(VALU_DEP_1) | instskip(NEXT) | instid1(VALU_DEP_1)
	v_fma_f64 v[214:215], v[228:229], v[212:213], v[230:231]
	v_div_scale_f64 v[216:217], null, v[214:215], v[214:215], 1.0
	s_delay_alu instid0(VALU_DEP_1) | instskip(SKIP_2) | instid1(VALU_DEP_1)
	v_rcp_f64_e32 v[218:219], v[216:217]
	s_waitcnt_depctr 0xfff
	v_fma_f64 v[220:221], -v[216:217], v[218:219], 1.0
	v_fma_f64 v[218:219], v[218:219], v[220:221], v[218:219]
	s_delay_alu instid0(VALU_DEP_1) | instskip(NEXT) | instid1(VALU_DEP_1)
	v_fma_f64 v[220:221], -v[216:217], v[218:219], 1.0
	v_fma_f64 v[218:219], v[218:219], v[220:221], v[218:219]
	v_div_scale_f64 v[220:221], vcc_lo, 1.0, v[214:215], 1.0
	s_delay_alu instid0(VALU_DEP_1) | instskip(NEXT) | instid1(VALU_DEP_1)
	v_mul_f64 v[222:223], v[220:221], v[218:219]
	v_fma_f64 v[216:217], -v[216:217], v[222:223], v[220:221]
	s_delay_alu instid0(VALU_DEP_1) | instskip(NEXT) | instid1(VALU_DEP_1)
	v_div_fmas_f64 v[216:217], v[216:217], v[218:219], v[222:223]
	v_div_fixup_f64 v[230:231], v[216:217], v[214:215], 1.0
	s_delay_alu instid0(VALU_DEP_1)
	v_mul_f64 v[228:229], v[212:213], v[230:231]
	v_xor_b32_e32 v231, 0x80000000, v231
.LBB112_112:
	s_and_not1_saveexec_b32 s2, s2
	s_cbranch_execz .LBB112_114
; %bb.113:
	s_delay_alu instid0(VALU_DEP_1) | instskip(SKIP_1) | instid1(VALU_DEP_2)
	v_div_scale_f64 v[212:213], null, v[228:229], v[228:229], v[230:231]
	v_div_scale_f64 v[218:219], vcc_lo, v[230:231], v[228:229], v[230:231]
	v_rcp_f64_e32 v[214:215], v[212:213]
	s_waitcnt_depctr 0xfff
	v_fma_f64 v[216:217], -v[212:213], v[214:215], 1.0
	s_delay_alu instid0(VALU_DEP_1) | instskip(NEXT) | instid1(VALU_DEP_1)
	v_fma_f64 v[214:215], v[214:215], v[216:217], v[214:215]
	v_fma_f64 v[216:217], -v[212:213], v[214:215], 1.0
	s_delay_alu instid0(VALU_DEP_1) | instskip(NEXT) | instid1(VALU_DEP_1)
	v_fma_f64 v[214:215], v[214:215], v[216:217], v[214:215]
	v_mul_f64 v[216:217], v[218:219], v[214:215]
	s_delay_alu instid0(VALU_DEP_1) | instskip(NEXT) | instid1(VALU_DEP_1)
	v_fma_f64 v[212:213], -v[212:213], v[216:217], v[218:219]
	v_div_fmas_f64 v[212:213], v[212:213], v[214:215], v[216:217]
	s_delay_alu instid0(VALU_DEP_1) | instskip(NEXT) | instid1(VALU_DEP_1)
	v_div_fixup_f64 v[212:213], v[212:213], v[228:229], v[230:231]
	v_fma_f64 v[214:215], v[230:231], v[212:213], v[228:229]
	s_delay_alu instid0(VALU_DEP_1) | instskip(NEXT) | instid1(VALU_DEP_1)
	v_div_scale_f64 v[216:217], null, v[214:215], v[214:215], 1.0
	v_rcp_f64_e32 v[218:219], v[216:217]
	s_waitcnt_depctr 0xfff
	v_fma_f64 v[220:221], -v[216:217], v[218:219], 1.0
	s_delay_alu instid0(VALU_DEP_1) | instskip(NEXT) | instid1(VALU_DEP_1)
	v_fma_f64 v[218:219], v[218:219], v[220:221], v[218:219]
	v_fma_f64 v[220:221], -v[216:217], v[218:219], 1.0
	s_delay_alu instid0(VALU_DEP_1) | instskip(SKIP_1) | instid1(VALU_DEP_1)
	v_fma_f64 v[218:219], v[218:219], v[220:221], v[218:219]
	v_div_scale_f64 v[220:221], vcc_lo, 1.0, v[214:215], 1.0
	v_mul_f64 v[222:223], v[220:221], v[218:219]
	s_delay_alu instid0(VALU_DEP_1) | instskip(NEXT) | instid1(VALU_DEP_1)
	v_fma_f64 v[216:217], -v[216:217], v[222:223], v[220:221]
	v_div_fmas_f64 v[216:217], v[216:217], v[218:219], v[222:223]
	s_delay_alu instid0(VALU_DEP_1) | instskip(NEXT) | instid1(VALU_DEP_1)
	v_div_fixup_f64 v[228:229], v[216:217], v[214:215], 1.0
	v_mul_f64 v[230:231], v[212:213], -v[228:229]
.LBB112_114:
	s_or_b32 exec_lo, exec_lo, s2
.LBB112_115:
	s_delay_alu instid0(SALU_CYCLE_1) | instskip(NEXT) | instid1(SALU_CYCLE_1)
	s_or_b32 exec_lo, exec_lo, s3
	s_mov_b32 s2, exec_lo
	v_cmpx_ne_u32_e64 v244, v236
	s_xor_b32 s2, exec_lo, s2
	s_cbranch_execz .LBB112_121
; %bb.116:
	s_mov_b32 s3, exec_lo
	v_cmpx_eq_u32_e32 5, v244
	s_cbranch_execz .LBB112_120
; %bb.117:
	v_cmp_ne_u32_e32 vcc_lo, 5, v236
	s_xor_b32 s4, s5, -1
	s_delay_alu instid0(SALU_CYCLE_1) | instskip(NEXT) | instid1(SALU_CYCLE_1)
	s_and_b32 s6, s4, vcc_lo
	s_and_saveexec_b32 s4, s6
	s_cbranch_execz .LBB112_119
; %bb.118:
	scratch_load_b64 v[10:11], off, off     ; 8-byte Folded Reload
	v_ashrrev_i32_e32 v237, 31, v236
	s_delay_alu instid0(VALU_DEP_1) | instskip(SKIP_1) | instid1(VALU_DEP_1)
	v_lshlrev_b64 v[212:213], 2, v[236:237]
	s_waitcnt vmcnt(0)
	v_add_co_u32 v212, vcc_lo, v10, v212
	s_delay_alu instid0(VALU_DEP_2)
	v_add_co_ci_u32_e32 v213, vcc_lo, v11, v213, vcc_lo
	s_clause 0x1
	flat_load_b32 v214, v[212:213]
	flat_load_b32 v215, v[10:11] offset:20
	s_waitcnt vmcnt(1) lgkmcnt(1)
	flat_store_b32 v[10:11], v214 offset:20
	s_waitcnt vmcnt(0) lgkmcnt(1)
	flat_store_b32 v[212:213], v215
.LBB112_119:
	s_or_b32 exec_lo, exec_lo, s4
	v_mov_b32_e32 v244, v236
	v_mov_b32_e32 v243, v236
.LBB112_120:
	s_or_b32 exec_lo, exec_lo, s3
.LBB112_121:
	s_and_not1_saveexec_b32 s2, s2
	s_cbranch_execz .LBB112_123
; %bb.122:
	v_mov_b32_e32 v244, 5
	ds_store_2addr_b64 v238, v[200:201], v[202:203] offset0:12 offset1:13
	ds_store_2addr_b64 v238, v[196:197], v[198:199] offset0:14 offset1:15
	ds_store_2addr_b64 v238, v[192:193], v[194:195] offset0:16 offset1:17
	ds_store_2addr_b64 v238, v[188:189], v[190:191] offset0:18 offset1:19
	ds_store_2addr_b64 v238, v[184:185], v[186:187] offset0:20 offset1:21
	ds_store_2addr_b64 v238, v[180:181], v[182:183] offset0:22 offset1:23
	ds_store_2addr_b64 v238, v[176:177], v[178:179] offset0:24 offset1:25
	ds_store_2addr_b64 v238, v[172:173], v[174:175] offset0:26 offset1:27
	ds_store_2addr_b64 v238, v[168:169], v[170:171] offset0:28 offset1:29
	ds_store_2addr_b64 v238, v[164:165], v[166:167] offset0:30 offset1:31
	ds_store_2addr_b64 v238, v[160:161], v[162:163] offset0:32 offset1:33
	ds_store_2addr_b64 v238, v[156:157], v[158:159] offset0:34 offset1:35
	ds_store_2addr_b64 v238, v[152:153], v[154:155] offset0:36 offset1:37
	ds_store_2addr_b64 v238, v[148:149], v[150:151] offset0:38 offset1:39
	ds_store_2addr_b64 v238, v[144:145], v[146:147] offset0:40 offset1:41
	ds_store_2addr_b64 v238, v[140:141], v[142:143] offset0:42 offset1:43
	ds_store_2addr_b64 v238, v[136:137], v[138:139] offset0:44 offset1:45
	ds_store_2addr_b64 v238, v[132:133], v[134:135] offset0:46 offset1:47
	ds_store_2addr_b64 v238, v[128:129], v[130:131] offset0:48 offset1:49
	ds_store_2addr_b64 v238, v[124:125], v[126:127] offset0:50 offset1:51
	ds_store_2addr_b64 v238, v[120:121], v[122:123] offset0:52 offset1:53
	ds_store_2addr_b64 v238, v[116:117], v[118:119] offset0:54 offset1:55
	ds_store_2addr_b64 v238, v[112:113], v[114:115] offset0:56 offset1:57
	ds_store_2addr_b64 v238, v[108:109], v[110:111] offset0:58 offset1:59
	ds_store_2addr_b64 v238, v[104:105], v[106:107] offset0:60 offset1:61
	ds_store_2addr_b64 v238, v[100:101], v[102:103] offset0:62 offset1:63
	ds_store_2addr_b64 v238, v[96:97], v[98:99] offset0:64 offset1:65
	ds_store_2addr_b64 v238, v[92:93], v[94:95] offset0:66 offset1:67
	ds_store_2addr_b64 v238, v[88:89], v[90:91] offset0:68 offset1:69
	ds_store_2addr_b64 v238, v[84:85], v[86:87] offset0:70 offset1:71
	ds_store_2addr_b64 v238, v[80:81], v[82:83] offset0:72 offset1:73
	ds_store_2addr_b64 v238, v[76:77], v[78:79] offset0:74 offset1:75
	ds_store_2addr_b64 v238, v[72:73], v[74:75] offset0:76 offset1:77
	ds_store_2addr_b64 v238, v[68:69], v[70:71] offset0:78 offset1:79
	ds_store_2addr_b64 v238, v[64:65], v[66:67] offset0:80 offset1:81
	ds_store_2addr_b64 v238, v[60:61], v[62:63] offset0:82 offset1:83
	ds_store_2addr_b64 v238, v[56:57], v[58:59] offset0:84 offset1:85
	ds_store_2addr_b64 v238, v[52:53], v[54:55] offset0:86 offset1:87
	ds_store_2addr_b64 v238, v[48:49], v[50:51] offset0:88 offset1:89
	ds_store_2addr_b64 v238, v[44:45], v[46:47] offset0:90 offset1:91
	ds_store_2addr_b64 v238, v[40:41], v[42:43] offset0:92 offset1:93
	ds_store_2addr_b64 v238, v[36:37], v[38:39] offset0:94 offset1:95
	ds_store_2addr_b64 v238, v[32:33], v[34:35] offset0:96 offset1:97
	ds_store_2addr_b64 v238, v[28:29], v[30:31] offset0:98 offset1:99
	ds_store_2addr_b64 v238, v[24:25], v[26:27] offset0:100 offset1:101
	ds_store_2addr_b64 v238, v[20:21], v[22:23] offset0:102 offset1:103
	ds_store_2addr_b64 v238, v[16:17], v[18:19] offset0:104 offset1:105
	ds_store_2addr_b64 v238, v[12:13], v[14:15] offset0:106 offset1:107
	ds_store_2addr_b64 v238, v[224:225], v[226:227] offset0:108 offset1:109
	ds_store_2addr_b64 v238, v[250:251], v[252:253] offset0:110 offset1:111
	ds_store_2addr_b64 v238, v[0:1], v[2:3] offset0:112 offset1:113
.LBB112_123:
	s_or_b32 exec_lo, exec_lo, s2
	s_delay_alu instid0(SALU_CYCLE_1)
	s_mov_b32 s2, exec_lo
	s_waitcnt lgkmcnt(0)
	s_waitcnt_vscnt null, 0x0
	s_barrier
	buffer_gl0_inv
	v_cmpx_lt_i32_e32 5, v244
	s_cbranch_execz .LBB112_125
; %bb.124:
	v_mul_f64 v[212:213], v[230:231], v[206:207]
	v_mul_f64 v[206:207], v[228:229], v[206:207]
	s_delay_alu instid0(VALU_DEP_2) | instskip(NEXT) | instid1(VALU_DEP_2)
	v_fma_f64 v[236:237], v[228:229], v[204:205], -v[212:213]
	v_fma_f64 v[206:207], v[230:231], v[204:205], v[206:207]
	ds_load_2addr_b64 v[228:231], v238 offset0:12 offset1:13
	s_waitcnt lgkmcnt(0)
	v_mul_f64 v[204:205], v[230:231], v[206:207]
	v_mul_f64 v[212:213], v[228:229], v[206:207]
	s_delay_alu instid0(VALU_DEP_2) | instskip(NEXT) | instid1(VALU_DEP_2)
	v_fma_f64 v[204:205], v[228:229], v[236:237], -v[204:205]
	v_fma_f64 v[212:213], v[230:231], v[236:237], v[212:213]
	ds_load_2addr_b64 v[228:231], v238 offset0:14 offset1:15
	v_add_f64 v[200:201], v[200:201], -v[204:205]
	v_add_f64 v[202:203], v[202:203], -v[212:213]
	s_waitcnt lgkmcnt(0)
	v_mul_f64 v[204:205], v[230:231], v[206:207]
	v_mul_f64 v[212:213], v[228:229], v[206:207]
	s_delay_alu instid0(VALU_DEP_2) | instskip(NEXT) | instid1(VALU_DEP_2)
	v_fma_f64 v[204:205], v[228:229], v[236:237], -v[204:205]
	v_fma_f64 v[212:213], v[230:231], v[236:237], v[212:213]
	ds_load_2addr_b64 v[228:231], v238 offset0:16 offset1:17
	v_add_f64 v[196:197], v[196:197], -v[204:205]
	v_add_f64 v[198:199], v[198:199], -v[212:213]
	;; [unrolled: 9-line block ×50, first 2 shown]
	s_waitcnt lgkmcnt(0)
	v_mul_f64 v[204:205], v[230:231], v[206:207]
	v_mul_f64 v[212:213], v[228:229], v[206:207]
	s_delay_alu instid0(VALU_DEP_2) | instskip(NEXT) | instid1(VALU_DEP_2)
	v_fma_f64 v[204:205], v[228:229], v[236:237], -v[204:205]
	v_fma_f64 v[212:213], v[230:231], v[236:237], v[212:213]
	s_delay_alu instid0(VALU_DEP_2) | instskip(NEXT) | instid1(VALU_DEP_2)
	v_add_f64 v[0:1], v[0:1], -v[204:205]
	v_add_f64 v[2:3], v[2:3], -v[212:213]
	v_dual_mov_b32 v204, v236 :: v_dual_mov_b32 v205, v237
.LBB112_125:
	s_or_b32 exec_lo, exec_lo, s2
	v_lshl_add_u32 v212, v244, 4, v238
	s_barrier
	buffer_gl0_inv
	v_mov_b32_e32 v236, 6
	ds_store_2addr_b64 v212, v[200:201], v[202:203] offset1:1
	s_waitcnt lgkmcnt(0)
	s_barrier
	buffer_gl0_inv
	ds_load_2addr_b64 v[228:231], v238 offset0:12 offset1:13
	s_cmp_lt_i32 s12, 8
	s_cbranch_scc1 .LBB112_128
; %bb.126:
	v_add3_u32 v237, v242, 0, 0x70
	v_mov_b32_e32 v236, 6
	s_mov_b32 s6, 7
	s_set_inst_prefetch_distance 0x1
	.p2align	6
.LBB112_127:                            ; =>This Inner Loop Header: Depth=1
	ds_load_2addr_b64 v[245:248], v237 offset1:1
	s_waitcnt lgkmcnt(1)
	v_cmp_gt_f64_e32 vcc_lo, 0, v[228:229]
	v_cmp_gt_f64_e64 s2, 0, v[230:231]
	v_xor_b32_e32 v213, 0x80000000, v229
	v_xor_b32_e32 v215, 0x80000000, v231
	v_add_nc_u32_e32 v237, 16, v237
	s_waitcnt lgkmcnt(0)
	v_cmp_gt_f64_e64 s3, 0, v[245:246]
	v_cmp_gt_f64_e64 s4, 0, v[247:248]
	v_xor_b32_e32 v219, 0x80000000, v246
	v_mov_b32_e32 v212, v245
	v_xor_b32_e32 v220, 0x80000000, v248
	v_mov_b32_e32 v214, v247
	v_cndmask_b32_e32 v216, v229, v213, vcc_lo
	v_cndmask_b32_e64 v218, v231, v215, s2
	v_cndmask_b32_e32 v215, v228, v228, vcc_lo
	v_cndmask_b32_e64 v217, v230, v230, s2
	s_delay_alu instid0(VALU_DEP_1) | instskip(SKIP_2) | instid1(VALU_DEP_1)
	v_add_f64 v[216:217], v[215:216], v[217:218]
	v_cndmask_b32_e64 v213, v246, v219, s3
	v_cndmask_b32_e64 v215, v248, v220, s4
	v_add_f64 v[212:213], v[212:213], v[214:215]
	s_delay_alu instid0(VALU_DEP_1)
	v_cmp_lt_f64_e32 vcc_lo, v[216:217], v[212:213]
	v_cndmask_b32_e32 v231, v231, v248, vcc_lo
	v_dual_cndmask_b32 v229, v229, v246 :: v_dual_cndmask_b32 v228, v228, v245
	v_cndmask_b32_e32 v230, v230, v247, vcc_lo
	v_cndmask_b32_e64 v236, v236, s6, vcc_lo
	s_add_i32 s6, s6, 1
	s_delay_alu instid0(SALU_CYCLE_1)
	s_cmp_lg_u32 s12, s6
	s_cbranch_scc1 .LBB112_127
.LBB112_128:
	s_set_inst_prefetch_distance 0x2
	s_waitcnt lgkmcnt(0)
	v_cmp_eq_f64_e32 vcc_lo, 0, v[228:229]
	v_cmp_eq_f64_e64 s2, 0, v[230:231]
	s_delay_alu instid0(VALU_DEP_1) | instskip(NEXT) | instid1(SALU_CYCLE_1)
	s_and_b32 s2, vcc_lo, s2
	s_and_saveexec_b32 s3, s2
	s_delay_alu instid0(SALU_CYCLE_1)
	s_xor_b32 s2, exec_lo, s3
; %bb.129:
	v_cmp_ne_u32_e32 vcc_lo, 0, v241
	v_cndmask_b32_e32 v241, 7, v241, vcc_lo
; %bb.130:
	s_and_not1_saveexec_b32 s3, s2
	s_cbranch_execz .LBB112_136
; %bb.131:
	v_cmp_gt_f64_e32 vcc_lo, 0, v[228:229]
	v_cmp_gt_f64_e64 s2, 0, v[230:231]
	v_xor_b32_e32 v212, 0x80000000, v229
	v_xor_b32_e32 v214, 0x80000000, v231
	s_delay_alu instid0(VALU_DEP_2) | instskip(NEXT) | instid1(VALU_DEP_2)
	v_cndmask_b32_e32 v213, v229, v212, vcc_lo
	v_cndmask_b32_e64 v215, v231, v214, s2
	v_cndmask_b32_e32 v212, v228, v228, vcc_lo
	v_cndmask_b32_e64 v214, v230, v230, s2
	s_mov_b32 s2, exec_lo
	s_delay_alu instid0(VALU_DEP_1)
	v_cmpx_ngt_f64_e32 v[212:213], v[214:215]
	s_xor_b32 s2, exec_lo, s2
	s_cbranch_execz .LBB112_133
; %bb.132:
	v_div_scale_f64 v[212:213], null, v[230:231], v[230:231], v[228:229]
	v_div_scale_f64 v[218:219], vcc_lo, v[228:229], v[230:231], v[228:229]
	s_delay_alu instid0(VALU_DEP_2) | instskip(SKIP_2) | instid1(VALU_DEP_1)
	v_rcp_f64_e32 v[214:215], v[212:213]
	s_waitcnt_depctr 0xfff
	v_fma_f64 v[216:217], -v[212:213], v[214:215], 1.0
	v_fma_f64 v[214:215], v[214:215], v[216:217], v[214:215]
	s_delay_alu instid0(VALU_DEP_1) | instskip(NEXT) | instid1(VALU_DEP_1)
	v_fma_f64 v[216:217], -v[212:213], v[214:215], 1.0
	v_fma_f64 v[214:215], v[214:215], v[216:217], v[214:215]
	s_delay_alu instid0(VALU_DEP_1) | instskip(NEXT) | instid1(VALU_DEP_1)
	v_mul_f64 v[216:217], v[218:219], v[214:215]
	v_fma_f64 v[212:213], -v[212:213], v[216:217], v[218:219]
	s_delay_alu instid0(VALU_DEP_1) | instskip(NEXT) | instid1(VALU_DEP_1)
	v_div_fmas_f64 v[212:213], v[212:213], v[214:215], v[216:217]
	v_div_fixup_f64 v[212:213], v[212:213], v[230:231], v[228:229]
	s_delay_alu instid0(VALU_DEP_1) | instskip(NEXT) | instid1(VALU_DEP_1)
	v_fma_f64 v[214:215], v[228:229], v[212:213], v[230:231]
	v_div_scale_f64 v[216:217], null, v[214:215], v[214:215], 1.0
	s_delay_alu instid0(VALU_DEP_1) | instskip(SKIP_2) | instid1(VALU_DEP_1)
	v_rcp_f64_e32 v[218:219], v[216:217]
	s_waitcnt_depctr 0xfff
	v_fma_f64 v[220:221], -v[216:217], v[218:219], 1.0
	v_fma_f64 v[218:219], v[218:219], v[220:221], v[218:219]
	s_delay_alu instid0(VALU_DEP_1) | instskip(NEXT) | instid1(VALU_DEP_1)
	v_fma_f64 v[220:221], -v[216:217], v[218:219], 1.0
	v_fma_f64 v[218:219], v[218:219], v[220:221], v[218:219]
	v_div_scale_f64 v[220:221], vcc_lo, 1.0, v[214:215], 1.0
	s_delay_alu instid0(VALU_DEP_1) | instskip(NEXT) | instid1(VALU_DEP_1)
	v_mul_f64 v[222:223], v[220:221], v[218:219]
	v_fma_f64 v[216:217], -v[216:217], v[222:223], v[220:221]
	s_delay_alu instid0(VALU_DEP_1) | instskip(NEXT) | instid1(VALU_DEP_1)
	v_div_fmas_f64 v[216:217], v[216:217], v[218:219], v[222:223]
	v_div_fixup_f64 v[230:231], v[216:217], v[214:215], 1.0
	s_delay_alu instid0(VALU_DEP_1)
	v_mul_f64 v[228:229], v[212:213], v[230:231]
	v_xor_b32_e32 v231, 0x80000000, v231
.LBB112_133:
	s_and_not1_saveexec_b32 s2, s2
	s_cbranch_execz .LBB112_135
; %bb.134:
	s_delay_alu instid0(VALU_DEP_1) | instskip(SKIP_1) | instid1(VALU_DEP_2)
	v_div_scale_f64 v[212:213], null, v[228:229], v[228:229], v[230:231]
	v_div_scale_f64 v[218:219], vcc_lo, v[230:231], v[228:229], v[230:231]
	v_rcp_f64_e32 v[214:215], v[212:213]
	s_waitcnt_depctr 0xfff
	v_fma_f64 v[216:217], -v[212:213], v[214:215], 1.0
	s_delay_alu instid0(VALU_DEP_1) | instskip(NEXT) | instid1(VALU_DEP_1)
	v_fma_f64 v[214:215], v[214:215], v[216:217], v[214:215]
	v_fma_f64 v[216:217], -v[212:213], v[214:215], 1.0
	s_delay_alu instid0(VALU_DEP_1) | instskip(NEXT) | instid1(VALU_DEP_1)
	v_fma_f64 v[214:215], v[214:215], v[216:217], v[214:215]
	v_mul_f64 v[216:217], v[218:219], v[214:215]
	s_delay_alu instid0(VALU_DEP_1) | instskip(NEXT) | instid1(VALU_DEP_1)
	v_fma_f64 v[212:213], -v[212:213], v[216:217], v[218:219]
	v_div_fmas_f64 v[212:213], v[212:213], v[214:215], v[216:217]
	s_delay_alu instid0(VALU_DEP_1) | instskip(NEXT) | instid1(VALU_DEP_1)
	v_div_fixup_f64 v[212:213], v[212:213], v[228:229], v[230:231]
	v_fma_f64 v[214:215], v[230:231], v[212:213], v[228:229]
	s_delay_alu instid0(VALU_DEP_1) | instskip(NEXT) | instid1(VALU_DEP_1)
	v_div_scale_f64 v[216:217], null, v[214:215], v[214:215], 1.0
	v_rcp_f64_e32 v[218:219], v[216:217]
	s_waitcnt_depctr 0xfff
	v_fma_f64 v[220:221], -v[216:217], v[218:219], 1.0
	s_delay_alu instid0(VALU_DEP_1) | instskip(NEXT) | instid1(VALU_DEP_1)
	v_fma_f64 v[218:219], v[218:219], v[220:221], v[218:219]
	v_fma_f64 v[220:221], -v[216:217], v[218:219], 1.0
	s_delay_alu instid0(VALU_DEP_1) | instskip(SKIP_1) | instid1(VALU_DEP_1)
	v_fma_f64 v[218:219], v[218:219], v[220:221], v[218:219]
	v_div_scale_f64 v[220:221], vcc_lo, 1.0, v[214:215], 1.0
	v_mul_f64 v[222:223], v[220:221], v[218:219]
	s_delay_alu instid0(VALU_DEP_1) | instskip(NEXT) | instid1(VALU_DEP_1)
	v_fma_f64 v[216:217], -v[216:217], v[222:223], v[220:221]
	v_div_fmas_f64 v[216:217], v[216:217], v[218:219], v[222:223]
	s_delay_alu instid0(VALU_DEP_1) | instskip(NEXT) | instid1(VALU_DEP_1)
	v_div_fixup_f64 v[228:229], v[216:217], v[214:215], 1.0
	v_mul_f64 v[230:231], v[212:213], -v[228:229]
.LBB112_135:
	s_or_b32 exec_lo, exec_lo, s2
.LBB112_136:
	s_delay_alu instid0(SALU_CYCLE_1) | instskip(NEXT) | instid1(SALU_CYCLE_1)
	s_or_b32 exec_lo, exec_lo, s3
	s_mov_b32 s2, exec_lo
	v_cmpx_ne_u32_e64 v244, v236
	s_xor_b32 s2, exec_lo, s2
	s_cbranch_execz .LBB112_142
; %bb.137:
	s_mov_b32 s3, exec_lo
	v_cmpx_eq_u32_e32 6, v244
	s_cbranch_execz .LBB112_141
; %bb.138:
	v_cmp_ne_u32_e32 vcc_lo, 6, v236
	s_xor_b32 s4, s5, -1
	s_delay_alu instid0(SALU_CYCLE_1) | instskip(NEXT) | instid1(SALU_CYCLE_1)
	s_and_b32 s6, s4, vcc_lo
	s_and_saveexec_b32 s4, s6
	s_cbranch_execz .LBB112_140
; %bb.139:
	scratch_load_b64 v[10:11], off, off     ; 8-byte Folded Reload
	v_ashrrev_i32_e32 v237, 31, v236
	s_delay_alu instid0(VALU_DEP_1) | instskip(SKIP_1) | instid1(VALU_DEP_1)
	v_lshlrev_b64 v[212:213], 2, v[236:237]
	s_waitcnt vmcnt(0)
	v_add_co_u32 v212, vcc_lo, v10, v212
	s_delay_alu instid0(VALU_DEP_2)
	v_add_co_ci_u32_e32 v213, vcc_lo, v11, v213, vcc_lo
	s_clause 0x1
	flat_load_b32 v214, v[212:213]
	flat_load_b32 v215, v[10:11] offset:24
	s_waitcnt vmcnt(1) lgkmcnt(1)
	flat_store_b32 v[10:11], v214 offset:24
	s_waitcnt vmcnt(0) lgkmcnt(1)
	flat_store_b32 v[212:213], v215
.LBB112_140:
	s_or_b32 exec_lo, exec_lo, s4
	v_mov_b32_e32 v244, v236
	v_mov_b32_e32 v243, v236
.LBB112_141:
	s_or_b32 exec_lo, exec_lo, s3
.LBB112_142:
	s_and_not1_saveexec_b32 s2, s2
	s_cbranch_execz .LBB112_144
; %bb.143:
	v_mov_b32_e32 v244, 6
	ds_store_2addr_b64 v238, v[196:197], v[198:199] offset0:14 offset1:15
	ds_store_2addr_b64 v238, v[192:193], v[194:195] offset0:16 offset1:17
	ds_store_2addr_b64 v238, v[188:189], v[190:191] offset0:18 offset1:19
	ds_store_2addr_b64 v238, v[184:185], v[186:187] offset0:20 offset1:21
	ds_store_2addr_b64 v238, v[180:181], v[182:183] offset0:22 offset1:23
	ds_store_2addr_b64 v238, v[176:177], v[178:179] offset0:24 offset1:25
	ds_store_2addr_b64 v238, v[172:173], v[174:175] offset0:26 offset1:27
	ds_store_2addr_b64 v238, v[168:169], v[170:171] offset0:28 offset1:29
	ds_store_2addr_b64 v238, v[164:165], v[166:167] offset0:30 offset1:31
	ds_store_2addr_b64 v238, v[160:161], v[162:163] offset0:32 offset1:33
	ds_store_2addr_b64 v238, v[156:157], v[158:159] offset0:34 offset1:35
	ds_store_2addr_b64 v238, v[152:153], v[154:155] offset0:36 offset1:37
	ds_store_2addr_b64 v238, v[148:149], v[150:151] offset0:38 offset1:39
	ds_store_2addr_b64 v238, v[144:145], v[146:147] offset0:40 offset1:41
	ds_store_2addr_b64 v238, v[140:141], v[142:143] offset0:42 offset1:43
	ds_store_2addr_b64 v238, v[136:137], v[138:139] offset0:44 offset1:45
	ds_store_2addr_b64 v238, v[132:133], v[134:135] offset0:46 offset1:47
	ds_store_2addr_b64 v238, v[128:129], v[130:131] offset0:48 offset1:49
	ds_store_2addr_b64 v238, v[124:125], v[126:127] offset0:50 offset1:51
	ds_store_2addr_b64 v238, v[120:121], v[122:123] offset0:52 offset1:53
	ds_store_2addr_b64 v238, v[116:117], v[118:119] offset0:54 offset1:55
	ds_store_2addr_b64 v238, v[112:113], v[114:115] offset0:56 offset1:57
	ds_store_2addr_b64 v238, v[108:109], v[110:111] offset0:58 offset1:59
	ds_store_2addr_b64 v238, v[104:105], v[106:107] offset0:60 offset1:61
	ds_store_2addr_b64 v238, v[100:101], v[102:103] offset0:62 offset1:63
	ds_store_2addr_b64 v238, v[96:97], v[98:99] offset0:64 offset1:65
	ds_store_2addr_b64 v238, v[92:93], v[94:95] offset0:66 offset1:67
	ds_store_2addr_b64 v238, v[88:89], v[90:91] offset0:68 offset1:69
	ds_store_2addr_b64 v238, v[84:85], v[86:87] offset0:70 offset1:71
	ds_store_2addr_b64 v238, v[80:81], v[82:83] offset0:72 offset1:73
	ds_store_2addr_b64 v238, v[76:77], v[78:79] offset0:74 offset1:75
	ds_store_2addr_b64 v238, v[72:73], v[74:75] offset0:76 offset1:77
	ds_store_2addr_b64 v238, v[68:69], v[70:71] offset0:78 offset1:79
	ds_store_2addr_b64 v238, v[64:65], v[66:67] offset0:80 offset1:81
	ds_store_2addr_b64 v238, v[60:61], v[62:63] offset0:82 offset1:83
	ds_store_2addr_b64 v238, v[56:57], v[58:59] offset0:84 offset1:85
	ds_store_2addr_b64 v238, v[52:53], v[54:55] offset0:86 offset1:87
	ds_store_2addr_b64 v238, v[48:49], v[50:51] offset0:88 offset1:89
	ds_store_2addr_b64 v238, v[44:45], v[46:47] offset0:90 offset1:91
	ds_store_2addr_b64 v238, v[40:41], v[42:43] offset0:92 offset1:93
	ds_store_2addr_b64 v238, v[36:37], v[38:39] offset0:94 offset1:95
	ds_store_2addr_b64 v238, v[32:33], v[34:35] offset0:96 offset1:97
	ds_store_2addr_b64 v238, v[28:29], v[30:31] offset0:98 offset1:99
	ds_store_2addr_b64 v238, v[24:25], v[26:27] offset0:100 offset1:101
	ds_store_2addr_b64 v238, v[20:21], v[22:23] offset0:102 offset1:103
	ds_store_2addr_b64 v238, v[16:17], v[18:19] offset0:104 offset1:105
	ds_store_2addr_b64 v238, v[12:13], v[14:15] offset0:106 offset1:107
	ds_store_2addr_b64 v238, v[224:225], v[226:227] offset0:108 offset1:109
	ds_store_2addr_b64 v238, v[250:251], v[252:253] offset0:110 offset1:111
	ds_store_2addr_b64 v238, v[0:1], v[2:3] offset0:112 offset1:113
.LBB112_144:
	s_or_b32 exec_lo, exec_lo, s2
	s_delay_alu instid0(SALU_CYCLE_1)
	s_mov_b32 s2, exec_lo
	s_waitcnt lgkmcnt(0)
	s_waitcnt_vscnt null, 0x0
	s_barrier
	buffer_gl0_inv
	v_cmpx_lt_i32_e32 6, v244
	s_cbranch_execz .LBB112_146
; %bb.145:
	v_mul_f64 v[212:213], v[230:231], v[202:203]
	v_mul_f64 v[202:203], v[228:229], v[202:203]
	s_delay_alu instid0(VALU_DEP_2) | instskip(NEXT) | instid1(VALU_DEP_2)
	v_fma_f64 v[236:237], v[228:229], v[200:201], -v[212:213]
	v_fma_f64 v[202:203], v[230:231], v[200:201], v[202:203]
	ds_load_2addr_b64 v[228:231], v238 offset0:14 offset1:15
	s_waitcnt lgkmcnt(0)
	v_mul_f64 v[200:201], v[230:231], v[202:203]
	v_mul_f64 v[212:213], v[228:229], v[202:203]
	s_delay_alu instid0(VALU_DEP_2) | instskip(NEXT) | instid1(VALU_DEP_2)
	v_fma_f64 v[200:201], v[228:229], v[236:237], -v[200:201]
	v_fma_f64 v[212:213], v[230:231], v[236:237], v[212:213]
	ds_load_2addr_b64 v[228:231], v238 offset0:16 offset1:17
	v_add_f64 v[196:197], v[196:197], -v[200:201]
	v_add_f64 v[198:199], v[198:199], -v[212:213]
	s_waitcnt lgkmcnt(0)
	v_mul_f64 v[200:201], v[230:231], v[202:203]
	v_mul_f64 v[212:213], v[228:229], v[202:203]
	s_delay_alu instid0(VALU_DEP_2) | instskip(NEXT) | instid1(VALU_DEP_2)
	v_fma_f64 v[200:201], v[228:229], v[236:237], -v[200:201]
	v_fma_f64 v[212:213], v[230:231], v[236:237], v[212:213]
	ds_load_2addr_b64 v[228:231], v238 offset0:18 offset1:19
	v_add_f64 v[192:193], v[192:193], -v[200:201]
	v_add_f64 v[194:195], v[194:195], -v[212:213]
	;; [unrolled: 9-line block ×49, first 2 shown]
	s_waitcnt lgkmcnt(0)
	v_mul_f64 v[200:201], v[230:231], v[202:203]
	v_mul_f64 v[212:213], v[228:229], v[202:203]
	s_delay_alu instid0(VALU_DEP_2) | instskip(NEXT) | instid1(VALU_DEP_2)
	v_fma_f64 v[200:201], v[228:229], v[236:237], -v[200:201]
	v_fma_f64 v[212:213], v[230:231], v[236:237], v[212:213]
	s_delay_alu instid0(VALU_DEP_2) | instskip(NEXT) | instid1(VALU_DEP_2)
	v_add_f64 v[0:1], v[0:1], -v[200:201]
	v_add_f64 v[2:3], v[2:3], -v[212:213]
	v_dual_mov_b32 v200, v236 :: v_dual_mov_b32 v201, v237
.LBB112_146:
	s_or_b32 exec_lo, exec_lo, s2
	v_lshl_add_u32 v212, v244, 4, v238
	s_barrier
	buffer_gl0_inv
	v_mov_b32_e32 v236, 7
	ds_store_2addr_b64 v212, v[196:197], v[198:199] offset1:1
	s_waitcnt lgkmcnt(0)
	s_barrier
	buffer_gl0_inv
	ds_load_2addr_b64 v[228:231], v238 offset0:14 offset1:15
	s_cmp_lt_i32 s12, 9
	s_cbranch_scc1 .LBB112_149
; %bb.147:
	v_add3_u32 v237, v242, 0, 0x80
	v_mov_b32_e32 v236, 7
	s_mov_b32 s6, 8
	s_set_inst_prefetch_distance 0x1
	.p2align	6
.LBB112_148:                            ; =>This Inner Loop Header: Depth=1
	ds_load_2addr_b64 v[245:248], v237 offset1:1
	s_waitcnt lgkmcnt(1)
	v_cmp_gt_f64_e32 vcc_lo, 0, v[228:229]
	v_cmp_gt_f64_e64 s2, 0, v[230:231]
	v_xor_b32_e32 v213, 0x80000000, v229
	v_xor_b32_e32 v215, 0x80000000, v231
	v_add_nc_u32_e32 v237, 16, v237
	s_waitcnt lgkmcnt(0)
	v_cmp_gt_f64_e64 s3, 0, v[245:246]
	v_cmp_gt_f64_e64 s4, 0, v[247:248]
	v_xor_b32_e32 v219, 0x80000000, v246
	v_mov_b32_e32 v212, v245
	v_xor_b32_e32 v220, 0x80000000, v248
	v_mov_b32_e32 v214, v247
	v_cndmask_b32_e32 v216, v229, v213, vcc_lo
	v_cndmask_b32_e64 v218, v231, v215, s2
	v_cndmask_b32_e32 v215, v228, v228, vcc_lo
	v_cndmask_b32_e64 v217, v230, v230, s2
	s_delay_alu instid0(VALU_DEP_1) | instskip(SKIP_2) | instid1(VALU_DEP_1)
	v_add_f64 v[216:217], v[215:216], v[217:218]
	v_cndmask_b32_e64 v213, v246, v219, s3
	v_cndmask_b32_e64 v215, v248, v220, s4
	v_add_f64 v[212:213], v[212:213], v[214:215]
	s_delay_alu instid0(VALU_DEP_1)
	v_cmp_lt_f64_e32 vcc_lo, v[216:217], v[212:213]
	v_cndmask_b32_e32 v231, v231, v248, vcc_lo
	v_dual_cndmask_b32 v229, v229, v246 :: v_dual_cndmask_b32 v228, v228, v245
	v_cndmask_b32_e32 v230, v230, v247, vcc_lo
	v_cndmask_b32_e64 v236, v236, s6, vcc_lo
	s_add_i32 s6, s6, 1
	s_delay_alu instid0(SALU_CYCLE_1)
	s_cmp_lg_u32 s12, s6
	s_cbranch_scc1 .LBB112_148
.LBB112_149:
	s_set_inst_prefetch_distance 0x2
	s_waitcnt lgkmcnt(0)
	v_cmp_eq_f64_e32 vcc_lo, 0, v[228:229]
	v_cmp_eq_f64_e64 s2, 0, v[230:231]
	s_delay_alu instid0(VALU_DEP_1) | instskip(NEXT) | instid1(SALU_CYCLE_1)
	s_and_b32 s2, vcc_lo, s2
	s_and_saveexec_b32 s3, s2
	s_delay_alu instid0(SALU_CYCLE_1)
	s_xor_b32 s2, exec_lo, s3
; %bb.150:
	v_cmp_ne_u32_e32 vcc_lo, 0, v241
	v_cndmask_b32_e32 v241, 8, v241, vcc_lo
; %bb.151:
	s_and_not1_saveexec_b32 s3, s2
	s_cbranch_execz .LBB112_157
; %bb.152:
	v_cmp_gt_f64_e32 vcc_lo, 0, v[228:229]
	v_cmp_gt_f64_e64 s2, 0, v[230:231]
	v_xor_b32_e32 v212, 0x80000000, v229
	v_xor_b32_e32 v214, 0x80000000, v231
	s_delay_alu instid0(VALU_DEP_2) | instskip(NEXT) | instid1(VALU_DEP_2)
	v_cndmask_b32_e32 v213, v229, v212, vcc_lo
	v_cndmask_b32_e64 v215, v231, v214, s2
	v_cndmask_b32_e32 v212, v228, v228, vcc_lo
	v_cndmask_b32_e64 v214, v230, v230, s2
	s_mov_b32 s2, exec_lo
	s_delay_alu instid0(VALU_DEP_1)
	v_cmpx_ngt_f64_e32 v[212:213], v[214:215]
	s_xor_b32 s2, exec_lo, s2
	s_cbranch_execz .LBB112_154
; %bb.153:
	v_div_scale_f64 v[212:213], null, v[230:231], v[230:231], v[228:229]
	v_div_scale_f64 v[218:219], vcc_lo, v[228:229], v[230:231], v[228:229]
	s_delay_alu instid0(VALU_DEP_2) | instskip(SKIP_2) | instid1(VALU_DEP_1)
	v_rcp_f64_e32 v[214:215], v[212:213]
	s_waitcnt_depctr 0xfff
	v_fma_f64 v[216:217], -v[212:213], v[214:215], 1.0
	v_fma_f64 v[214:215], v[214:215], v[216:217], v[214:215]
	s_delay_alu instid0(VALU_DEP_1) | instskip(NEXT) | instid1(VALU_DEP_1)
	v_fma_f64 v[216:217], -v[212:213], v[214:215], 1.0
	v_fma_f64 v[214:215], v[214:215], v[216:217], v[214:215]
	s_delay_alu instid0(VALU_DEP_1) | instskip(NEXT) | instid1(VALU_DEP_1)
	v_mul_f64 v[216:217], v[218:219], v[214:215]
	v_fma_f64 v[212:213], -v[212:213], v[216:217], v[218:219]
	s_delay_alu instid0(VALU_DEP_1) | instskip(NEXT) | instid1(VALU_DEP_1)
	v_div_fmas_f64 v[212:213], v[212:213], v[214:215], v[216:217]
	v_div_fixup_f64 v[212:213], v[212:213], v[230:231], v[228:229]
	s_delay_alu instid0(VALU_DEP_1) | instskip(NEXT) | instid1(VALU_DEP_1)
	v_fma_f64 v[214:215], v[228:229], v[212:213], v[230:231]
	v_div_scale_f64 v[216:217], null, v[214:215], v[214:215], 1.0
	s_delay_alu instid0(VALU_DEP_1) | instskip(SKIP_2) | instid1(VALU_DEP_1)
	v_rcp_f64_e32 v[218:219], v[216:217]
	s_waitcnt_depctr 0xfff
	v_fma_f64 v[220:221], -v[216:217], v[218:219], 1.0
	v_fma_f64 v[218:219], v[218:219], v[220:221], v[218:219]
	s_delay_alu instid0(VALU_DEP_1) | instskip(NEXT) | instid1(VALU_DEP_1)
	v_fma_f64 v[220:221], -v[216:217], v[218:219], 1.0
	v_fma_f64 v[218:219], v[218:219], v[220:221], v[218:219]
	v_div_scale_f64 v[220:221], vcc_lo, 1.0, v[214:215], 1.0
	s_delay_alu instid0(VALU_DEP_1) | instskip(NEXT) | instid1(VALU_DEP_1)
	v_mul_f64 v[222:223], v[220:221], v[218:219]
	v_fma_f64 v[216:217], -v[216:217], v[222:223], v[220:221]
	s_delay_alu instid0(VALU_DEP_1) | instskip(NEXT) | instid1(VALU_DEP_1)
	v_div_fmas_f64 v[216:217], v[216:217], v[218:219], v[222:223]
	v_div_fixup_f64 v[230:231], v[216:217], v[214:215], 1.0
	s_delay_alu instid0(VALU_DEP_1)
	v_mul_f64 v[228:229], v[212:213], v[230:231]
	v_xor_b32_e32 v231, 0x80000000, v231
.LBB112_154:
	s_and_not1_saveexec_b32 s2, s2
	s_cbranch_execz .LBB112_156
; %bb.155:
	s_delay_alu instid0(VALU_DEP_1) | instskip(SKIP_1) | instid1(VALU_DEP_2)
	v_div_scale_f64 v[212:213], null, v[228:229], v[228:229], v[230:231]
	v_div_scale_f64 v[218:219], vcc_lo, v[230:231], v[228:229], v[230:231]
	v_rcp_f64_e32 v[214:215], v[212:213]
	s_waitcnt_depctr 0xfff
	v_fma_f64 v[216:217], -v[212:213], v[214:215], 1.0
	s_delay_alu instid0(VALU_DEP_1) | instskip(NEXT) | instid1(VALU_DEP_1)
	v_fma_f64 v[214:215], v[214:215], v[216:217], v[214:215]
	v_fma_f64 v[216:217], -v[212:213], v[214:215], 1.0
	s_delay_alu instid0(VALU_DEP_1) | instskip(NEXT) | instid1(VALU_DEP_1)
	v_fma_f64 v[214:215], v[214:215], v[216:217], v[214:215]
	v_mul_f64 v[216:217], v[218:219], v[214:215]
	s_delay_alu instid0(VALU_DEP_1) | instskip(NEXT) | instid1(VALU_DEP_1)
	v_fma_f64 v[212:213], -v[212:213], v[216:217], v[218:219]
	v_div_fmas_f64 v[212:213], v[212:213], v[214:215], v[216:217]
	s_delay_alu instid0(VALU_DEP_1) | instskip(NEXT) | instid1(VALU_DEP_1)
	v_div_fixup_f64 v[212:213], v[212:213], v[228:229], v[230:231]
	v_fma_f64 v[214:215], v[230:231], v[212:213], v[228:229]
	s_delay_alu instid0(VALU_DEP_1) | instskip(NEXT) | instid1(VALU_DEP_1)
	v_div_scale_f64 v[216:217], null, v[214:215], v[214:215], 1.0
	v_rcp_f64_e32 v[218:219], v[216:217]
	s_waitcnt_depctr 0xfff
	v_fma_f64 v[220:221], -v[216:217], v[218:219], 1.0
	s_delay_alu instid0(VALU_DEP_1) | instskip(NEXT) | instid1(VALU_DEP_1)
	v_fma_f64 v[218:219], v[218:219], v[220:221], v[218:219]
	v_fma_f64 v[220:221], -v[216:217], v[218:219], 1.0
	s_delay_alu instid0(VALU_DEP_1) | instskip(SKIP_1) | instid1(VALU_DEP_1)
	v_fma_f64 v[218:219], v[218:219], v[220:221], v[218:219]
	v_div_scale_f64 v[220:221], vcc_lo, 1.0, v[214:215], 1.0
	v_mul_f64 v[222:223], v[220:221], v[218:219]
	s_delay_alu instid0(VALU_DEP_1) | instskip(NEXT) | instid1(VALU_DEP_1)
	v_fma_f64 v[216:217], -v[216:217], v[222:223], v[220:221]
	v_div_fmas_f64 v[216:217], v[216:217], v[218:219], v[222:223]
	s_delay_alu instid0(VALU_DEP_1) | instskip(NEXT) | instid1(VALU_DEP_1)
	v_div_fixup_f64 v[228:229], v[216:217], v[214:215], 1.0
	v_mul_f64 v[230:231], v[212:213], -v[228:229]
.LBB112_156:
	s_or_b32 exec_lo, exec_lo, s2
.LBB112_157:
	s_delay_alu instid0(SALU_CYCLE_1) | instskip(NEXT) | instid1(SALU_CYCLE_1)
	s_or_b32 exec_lo, exec_lo, s3
	s_mov_b32 s2, exec_lo
	v_cmpx_ne_u32_e64 v244, v236
	s_xor_b32 s2, exec_lo, s2
	s_cbranch_execz .LBB112_163
; %bb.158:
	s_mov_b32 s3, exec_lo
	v_cmpx_eq_u32_e32 7, v244
	s_cbranch_execz .LBB112_162
; %bb.159:
	v_cmp_ne_u32_e32 vcc_lo, 7, v236
	s_xor_b32 s4, s5, -1
	s_delay_alu instid0(SALU_CYCLE_1) | instskip(NEXT) | instid1(SALU_CYCLE_1)
	s_and_b32 s6, s4, vcc_lo
	s_and_saveexec_b32 s4, s6
	s_cbranch_execz .LBB112_161
; %bb.160:
	scratch_load_b64 v[10:11], off, off     ; 8-byte Folded Reload
	v_ashrrev_i32_e32 v237, 31, v236
	s_delay_alu instid0(VALU_DEP_1) | instskip(SKIP_1) | instid1(VALU_DEP_1)
	v_lshlrev_b64 v[212:213], 2, v[236:237]
	s_waitcnt vmcnt(0)
	v_add_co_u32 v212, vcc_lo, v10, v212
	s_delay_alu instid0(VALU_DEP_2)
	v_add_co_ci_u32_e32 v213, vcc_lo, v11, v213, vcc_lo
	s_clause 0x1
	flat_load_b32 v214, v[212:213]
	flat_load_b32 v215, v[10:11] offset:28
	s_waitcnt vmcnt(1) lgkmcnt(1)
	flat_store_b32 v[10:11], v214 offset:28
	s_waitcnt vmcnt(0) lgkmcnt(1)
	flat_store_b32 v[212:213], v215
.LBB112_161:
	s_or_b32 exec_lo, exec_lo, s4
	v_mov_b32_e32 v244, v236
	v_mov_b32_e32 v243, v236
.LBB112_162:
	s_or_b32 exec_lo, exec_lo, s3
.LBB112_163:
	s_and_not1_saveexec_b32 s2, s2
	s_cbranch_execz .LBB112_165
; %bb.164:
	v_mov_b32_e32 v244, 7
	ds_store_2addr_b64 v238, v[192:193], v[194:195] offset0:16 offset1:17
	ds_store_2addr_b64 v238, v[188:189], v[190:191] offset0:18 offset1:19
	;; [unrolled: 1-line block ×49, first 2 shown]
.LBB112_165:
	s_or_b32 exec_lo, exec_lo, s2
	s_delay_alu instid0(SALU_CYCLE_1)
	s_mov_b32 s2, exec_lo
	s_waitcnt lgkmcnt(0)
	s_waitcnt_vscnt null, 0x0
	s_barrier
	buffer_gl0_inv
	v_cmpx_lt_i32_e32 7, v244
	s_cbranch_execz .LBB112_167
; %bb.166:
	v_mul_f64 v[212:213], v[230:231], v[198:199]
	v_mul_f64 v[198:199], v[228:229], v[198:199]
	s_delay_alu instid0(VALU_DEP_2) | instskip(NEXT) | instid1(VALU_DEP_2)
	v_fma_f64 v[236:237], v[228:229], v[196:197], -v[212:213]
	v_fma_f64 v[198:199], v[230:231], v[196:197], v[198:199]
	ds_load_2addr_b64 v[228:231], v238 offset0:16 offset1:17
	s_waitcnt lgkmcnt(0)
	v_mul_f64 v[196:197], v[230:231], v[198:199]
	v_mul_f64 v[212:213], v[228:229], v[198:199]
	s_delay_alu instid0(VALU_DEP_2) | instskip(NEXT) | instid1(VALU_DEP_2)
	v_fma_f64 v[196:197], v[228:229], v[236:237], -v[196:197]
	v_fma_f64 v[212:213], v[230:231], v[236:237], v[212:213]
	ds_load_2addr_b64 v[228:231], v238 offset0:18 offset1:19
	v_add_f64 v[192:193], v[192:193], -v[196:197]
	v_add_f64 v[194:195], v[194:195], -v[212:213]
	s_waitcnt lgkmcnt(0)
	v_mul_f64 v[196:197], v[230:231], v[198:199]
	v_mul_f64 v[212:213], v[228:229], v[198:199]
	s_delay_alu instid0(VALU_DEP_2) | instskip(NEXT) | instid1(VALU_DEP_2)
	v_fma_f64 v[196:197], v[228:229], v[236:237], -v[196:197]
	v_fma_f64 v[212:213], v[230:231], v[236:237], v[212:213]
	ds_load_2addr_b64 v[228:231], v238 offset0:20 offset1:21
	v_add_f64 v[188:189], v[188:189], -v[196:197]
	v_add_f64 v[190:191], v[190:191], -v[212:213]
	;; [unrolled: 9-line block ×48, first 2 shown]
	s_waitcnt lgkmcnt(0)
	v_mul_f64 v[196:197], v[230:231], v[198:199]
	v_mul_f64 v[212:213], v[228:229], v[198:199]
	s_delay_alu instid0(VALU_DEP_2) | instskip(NEXT) | instid1(VALU_DEP_2)
	v_fma_f64 v[196:197], v[228:229], v[236:237], -v[196:197]
	v_fma_f64 v[212:213], v[230:231], v[236:237], v[212:213]
	s_delay_alu instid0(VALU_DEP_2) | instskip(NEXT) | instid1(VALU_DEP_2)
	v_add_f64 v[0:1], v[0:1], -v[196:197]
	v_add_f64 v[2:3], v[2:3], -v[212:213]
	v_dual_mov_b32 v196, v236 :: v_dual_mov_b32 v197, v237
.LBB112_167:
	s_or_b32 exec_lo, exec_lo, s2
	v_lshl_add_u32 v212, v244, 4, v238
	s_barrier
	buffer_gl0_inv
	v_mov_b32_e32 v236, 8
	ds_store_2addr_b64 v212, v[192:193], v[194:195] offset1:1
	s_waitcnt lgkmcnt(0)
	s_barrier
	buffer_gl0_inv
	ds_load_2addr_b64 v[228:231], v238 offset0:16 offset1:17
	s_cmp_lt_i32 s12, 10
	s_cbranch_scc1 .LBB112_170
; %bb.168:
	v_add3_u32 v237, v242, 0, 0x90
	v_mov_b32_e32 v236, 8
	s_mov_b32 s6, 9
	s_set_inst_prefetch_distance 0x1
	.p2align	6
.LBB112_169:                            ; =>This Inner Loop Header: Depth=1
	ds_load_2addr_b64 v[245:248], v237 offset1:1
	s_waitcnt lgkmcnt(1)
	v_cmp_gt_f64_e32 vcc_lo, 0, v[228:229]
	v_cmp_gt_f64_e64 s2, 0, v[230:231]
	v_xor_b32_e32 v213, 0x80000000, v229
	v_xor_b32_e32 v215, 0x80000000, v231
	v_add_nc_u32_e32 v237, 16, v237
	s_waitcnt lgkmcnt(0)
	v_cmp_gt_f64_e64 s3, 0, v[245:246]
	v_cmp_gt_f64_e64 s4, 0, v[247:248]
	v_xor_b32_e32 v219, 0x80000000, v246
	v_mov_b32_e32 v212, v245
	v_xor_b32_e32 v220, 0x80000000, v248
	v_mov_b32_e32 v214, v247
	v_cndmask_b32_e32 v216, v229, v213, vcc_lo
	v_cndmask_b32_e64 v218, v231, v215, s2
	v_cndmask_b32_e32 v215, v228, v228, vcc_lo
	v_cndmask_b32_e64 v217, v230, v230, s2
	s_delay_alu instid0(VALU_DEP_1) | instskip(SKIP_2) | instid1(VALU_DEP_1)
	v_add_f64 v[216:217], v[215:216], v[217:218]
	v_cndmask_b32_e64 v213, v246, v219, s3
	v_cndmask_b32_e64 v215, v248, v220, s4
	v_add_f64 v[212:213], v[212:213], v[214:215]
	s_delay_alu instid0(VALU_DEP_1)
	v_cmp_lt_f64_e32 vcc_lo, v[216:217], v[212:213]
	v_cndmask_b32_e32 v231, v231, v248, vcc_lo
	v_dual_cndmask_b32 v229, v229, v246 :: v_dual_cndmask_b32 v228, v228, v245
	v_cndmask_b32_e32 v230, v230, v247, vcc_lo
	v_cndmask_b32_e64 v236, v236, s6, vcc_lo
	s_add_i32 s6, s6, 1
	s_delay_alu instid0(SALU_CYCLE_1)
	s_cmp_lg_u32 s12, s6
	s_cbranch_scc1 .LBB112_169
.LBB112_170:
	s_set_inst_prefetch_distance 0x2
	s_waitcnt lgkmcnt(0)
	v_cmp_eq_f64_e32 vcc_lo, 0, v[228:229]
	v_cmp_eq_f64_e64 s2, 0, v[230:231]
	s_delay_alu instid0(VALU_DEP_1) | instskip(NEXT) | instid1(SALU_CYCLE_1)
	s_and_b32 s2, vcc_lo, s2
	s_and_saveexec_b32 s3, s2
	s_delay_alu instid0(SALU_CYCLE_1)
	s_xor_b32 s2, exec_lo, s3
; %bb.171:
	v_cmp_ne_u32_e32 vcc_lo, 0, v241
	v_cndmask_b32_e32 v241, 9, v241, vcc_lo
; %bb.172:
	s_and_not1_saveexec_b32 s3, s2
	s_cbranch_execz .LBB112_178
; %bb.173:
	v_cmp_gt_f64_e32 vcc_lo, 0, v[228:229]
	v_cmp_gt_f64_e64 s2, 0, v[230:231]
	v_xor_b32_e32 v212, 0x80000000, v229
	v_xor_b32_e32 v214, 0x80000000, v231
	s_delay_alu instid0(VALU_DEP_2) | instskip(NEXT) | instid1(VALU_DEP_2)
	v_cndmask_b32_e32 v213, v229, v212, vcc_lo
	v_cndmask_b32_e64 v215, v231, v214, s2
	v_cndmask_b32_e32 v212, v228, v228, vcc_lo
	v_cndmask_b32_e64 v214, v230, v230, s2
	s_mov_b32 s2, exec_lo
	s_delay_alu instid0(VALU_DEP_1)
	v_cmpx_ngt_f64_e32 v[212:213], v[214:215]
	s_xor_b32 s2, exec_lo, s2
	s_cbranch_execz .LBB112_175
; %bb.174:
	v_div_scale_f64 v[212:213], null, v[230:231], v[230:231], v[228:229]
	v_div_scale_f64 v[218:219], vcc_lo, v[228:229], v[230:231], v[228:229]
	s_delay_alu instid0(VALU_DEP_2) | instskip(SKIP_2) | instid1(VALU_DEP_1)
	v_rcp_f64_e32 v[214:215], v[212:213]
	s_waitcnt_depctr 0xfff
	v_fma_f64 v[216:217], -v[212:213], v[214:215], 1.0
	v_fma_f64 v[214:215], v[214:215], v[216:217], v[214:215]
	s_delay_alu instid0(VALU_DEP_1) | instskip(NEXT) | instid1(VALU_DEP_1)
	v_fma_f64 v[216:217], -v[212:213], v[214:215], 1.0
	v_fma_f64 v[214:215], v[214:215], v[216:217], v[214:215]
	s_delay_alu instid0(VALU_DEP_1) | instskip(NEXT) | instid1(VALU_DEP_1)
	v_mul_f64 v[216:217], v[218:219], v[214:215]
	v_fma_f64 v[212:213], -v[212:213], v[216:217], v[218:219]
	s_delay_alu instid0(VALU_DEP_1) | instskip(NEXT) | instid1(VALU_DEP_1)
	v_div_fmas_f64 v[212:213], v[212:213], v[214:215], v[216:217]
	v_div_fixup_f64 v[212:213], v[212:213], v[230:231], v[228:229]
	s_delay_alu instid0(VALU_DEP_1) | instskip(NEXT) | instid1(VALU_DEP_1)
	v_fma_f64 v[214:215], v[228:229], v[212:213], v[230:231]
	v_div_scale_f64 v[216:217], null, v[214:215], v[214:215], 1.0
	s_delay_alu instid0(VALU_DEP_1) | instskip(SKIP_2) | instid1(VALU_DEP_1)
	v_rcp_f64_e32 v[218:219], v[216:217]
	s_waitcnt_depctr 0xfff
	v_fma_f64 v[220:221], -v[216:217], v[218:219], 1.0
	v_fma_f64 v[218:219], v[218:219], v[220:221], v[218:219]
	s_delay_alu instid0(VALU_DEP_1) | instskip(NEXT) | instid1(VALU_DEP_1)
	v_fma_f64 v[220:221], -v[216:217], v[218:219], 1.0
	v_fma_f64 v[218:219], v[218:219], v[220:221], v[218:219]
	v_div_scale_f64 v[220:221], vcc_lo, 1.0, v[214:215], 1.0
	s_delay_alu instid0(VALU_DEP_1) | instskip(NEXT) | instid1(VALU_DEP_1)
	v_mul_f64 v[222:223], v[220:221], v[218:219]
	v_fma_f64 v[216:217], -v[216:217], v[222:223], v[220:221]
	s_delay_alu instid0(VALU_DEP_1) | instskip(NEXT) | instid1(VALU_DEP_1)
	v_div_fmas_f64 v[216:217], v[216:217], v[218:219], v[222:223]
	v_div_fixup_f64 v[230:231], v[216:217], v[214:215], 1.0
	s_delay_alu instid0(VALU_DEP_1)
	v_mul_f64 v[228:229], v[212:213], v[230:231]
	v_xor_b32_e32 v231, 0x80000000, v231
.LBB112_175:
	s_and_not1_saveexec_b32 s2, s2
	s_cbranch_execz .LBB112_177
; %bb.176:
	s_delay_alu instid0(VALU_DEP_1) | instskip(SKIP_1) | instid1(VALU_DEP_2)
	v_div_scale_f64 v[212:213], null, v[228:229], v[228:229], v[230:231]
	v_div_scale_f64 v[218:219], vcc_lo, v[230:231], v[228:229], v[230:231]
	v_rcp_f64_e32 v[214:215], v[212:213]
	s_waitcnt_depctr 0xfff
	v_fma_f64 v[216:217], -v[212:213], v[214:215], 1.0
	s_delay_alu instid0(VALU_DEP_1) | instskip(NEXT) | instid1(VALU_DEP_1)
	v_fma_f64 v[214:215], v[214:215], v[216:217], v[214:215]
	v_fma_f64 v[216:217], -v[212:213], v[214:215], 1.0
	s_delay_alu instid0(VALU_DEP_1) | instskip(NEXT) | instid1(VALU_DEP_1)
	v_fma_f64 v[214:215], v[214:215], v[216:217], v[214:215]
	v_mul_f64 v[216:217], v[218:219], v[214:215]
	s_delay_alu instid0(VALU_DEP_1) | instskip(NEXT) | instid1(VALU_DEP_1)
	v_fma_f64 v[212:213], -v[212:213], v[216:217], v[218:219]
	v_div_fmas_f64 v[212:213], v[212:213], v[214:215], v[216:217]
	s_delay_alu instid0(VALU_DEP_1) | instskip(NEXT) | instid1(VALU_DEP_1)
	v_div_fixup_f64 v[212:213], v[212:213], v[228:229], v[230:231]
	v_fma_f64 v[214:215], v[230:231], v[212:213], v[228:229]
	s_delay_alu instid0(VALU_DEP_1) | instskip(NEXT) | instid1(VALU_DEP_1)
	v_div_scale_f64 v[216:217], null, v[214:215], v[214:215], 1.0
	v_rcp_f64_e32 v[218:219], v[216:217]
	s_waitcnt_depctr 0xfff
	v_fma_f64 v[220:221], -v[216:217], v[218:219], 1.0
	s_delay_alu instid0(VALU_DEP_1) | instskip(NEXT) | instid1(VALU_DEP_1)
	v_fma_f64 v[218:219], v[218:219], v[220:221], v[218:219]
	v_fma_f64 v[220:221], -v[216:217], v[218:219], 1.0
	s_delay_alu instid0(VALU_DEP_1) | instskip(SKIP_1) | instid1(VALU_DEP_1)
	v_fma_f64 v[218:219], v[218:219], v[220:221], v[218:219]
	v_div_scale_f64 v[220:221], vcc_lo, 1.0, v[214:215], 1.0
	v_mul_f64 v[222:223], v[220:221], v[218:219]
	s_delay_alu instid0(VALU_DEP_1) | instskip(NEXT) | instid1(VALU_DEP_1)
	v_fma_f64 v[216:217], -v[216:217], v[222:223], v[220:221]
	v_div_fmas_f64 v[216:217], v[216:217], v[218:219], v[222:223]
	s_delay_alu instid0(VALU_DEP_1) | instskip(NEXT) | instid1(VALU_DEP_1)
	v_div_fixup_f64 v[228:229], v[216:217], v[214:215], 1.0
	v_mul_f64 v[230:231], v[212:213], -v[228:229]
.LBB112_177:
	s_or_b32 exec_lo, exec_lo, s2
.LBB112_178:
	s_delay_alu instid0(SALU_CYCLE_1) | instskip(NEXT) | instid1(SALU_CYCLE_1)
	s_or_b32 exec_lo, exec_lo, s3
	s_mov_b32 s2, exec_lo
	v_cmpx_ne_u32_e64 v244, v236
	s_xor_b32 s2, exec_lo, s2
	s_cbranch_execz .LBB112_184
; %bb.179:
	s_mov_b32 s3, exec_lo
	v_cmpx_eq_u32_e32 8, v244
	s_cbranch_execz .LBB112_183
; %bb.180:
	v_cmp_ne_u32_e32 vcc_lo, 8, v236
	s_xor_b32 s4, s5, -1
	s_delay_alu instid0(SALU_CYCLE_1) | instskip(NEXT) | instid1(SALU_CYCLE_1)
	s_and_b32 s6, s4, vcc_lo
	s_and_saveexec_b32 s4, s6
	s_cbranch_execz .LBB112_182
; %bb.181:
	scratch_load_b64 v[10:11], off, off     ; 8-byte Folded Reload
	v_ashrrev_i32_e32 v237, 31, v236
	s_delay_alu instid0(VALU_DEP_1) | instskip(SKIP_1) | instid1(VALU_DEP_1)
	v_lshlrev_b64 v[212:213], 2, v[236:237]
	s_waitcnt vmcnt(0)
	v_add_co_u32 v212, vcc_lo, v10, v212
	s_delay_alu instid0(VALU_DEP_2)
	v_add_co_ci_u32_e32 v213, vcc_lo, v11, v213, vcc_lo
	s_clause 0x1
	flat_load_b32 v214, v[212:213]
	flat_load_b32 v215, v[10:11] offset:32
	s_waitcnt vmcnt(1) lgkmcnt(1)
	flat_store_b32 v[10:11], v214 offset:32
	s_waitcnt vmcnt(0) lgkmcnt(1)
	flat_store_b32 v[212:213], v215
.LBB112_182:
	s_or_b32 exec_lo, exec_lo, s4
	v_mov_b32_e32 v244, v236
	v_mov_b32_e32 v243, v236
.LBB112_183:
	s_or_b32 exec_lo, exec_lo, s3
.LBB112_184:
	s_and_not1_saveexec_b32 s2, s2
	s_cbranch_execz .LBB112_186
; %bb.185:
	v_mov_b32_e32 v244, 8
	ds_store_2addr_b64 v238, v[188:189], v[190:191] offset0:18 offset1:19
	ds_store_2addr_b64 v238, v[184:185], v[186:187] offset0:20 offset1:21
	;; [unrolled: 1-line block ×48, first 2 shown]
.LBB112_186:
	s_or_b32 exec_lo, exec_lo, s2
	s_delay_alu instid0(SALU_CYCLE_1)
	s_mov_b32 s2, exec_lo
	s_waitcnt lgkmcnt(0)
	s_waitcnt_vscnt null, 0x0
	s_barrier
	buffer_gl0_inv
	v_cmpx_lt_i32_e32 8, v244
	s_cbranch_execz .LBB112_188
; %bb.187:
	v_mul_f64 v[212:213], v[230:231], v[194:195]
	v_mul_f64 v[194:195], v[228:229], v[194:195]
	s_delay_alu instid0(VALU_DEP_2) | instskip(NEXT) | instid1(VALU_DEP_2)
	v_fma_f64 v[236:237], v[228:229], v[192:193], -v[212:213]
	v_fma_f64 v[194:195], v[230:231], v[192:193], v[194:195]
	ds_load_2addr_b64 v[228:231], v238 offset0:18 offset1:19
	s_waitcnt lgkmcnt(0)
	v_mul_f64 v[192:193], v[230:231], v[194:195]
	v_mul_f64 v[212:213], v[228:229], v[194:195]
	s_delay_alu instid0(VALU_DEP_2) | instskip(NEXT) | instid1(VALU_DEP_2)
	v_fma_f64 v[192:193], v[228:229], v[236:237], -v[192:193]
	v_fma_f64 v[212:213], v[230:231], v[236:237], v[212:213]
	ds_load_2addr_b64 v[228:231], v238 offset0:20 offset1:21
	v_add_f64 v[188:189], v[188:189], -v[192:193]
	v_add_f64 v[190:191], v[190:191], -v[212:213]
	s_waitcnt lgkmcnt(0)
	v_mul_f64 v[192:193], v[230:231], v[194:195]
	v_mul_f64 v[212:213], v[228:229], v[194:195]
	s_delay_alu instid0(VALU_DEP_2) | instskip(NEXT) | instid1(VALU_DEP_2)
	v_fma_f64 v[192:193], v[228:229], v[236:237], -v[192:193]
	v_fma_f64 v[212:213], v[230:231], v[236:237], v[212:213]
	ds_load_2addr_b64 v[228:231], v238 offset0:22 offset1:23
	v_add_f64 v[184:185], v[184:185], -v[192:193]
	v_add_f64 v[186:187], v[186:187], -v[212:213]
	;; [unrolled: 9-line block ×47, first 2 shown]
	s_waitcnt lgkmcnt(0)
	v_mul_f64 v[192:193], v[230:231], v[194:195]
	v_mul_f64 v[212:213], v[228:229], v[194:195]
	s_delay_alu instid0(VALU_DEP_2) | instskip(NEXT) | instid1(VALU_DEP_2)
	v_fma_f64 v[192:193], v[228:229], v[236:237], -v[192:193]
	v_fma_f64 v[212:213], v[230:231], v[236:237], v[212:213]
	s_delay_alu instid0(VALU_DEP_2) | instskip(NEXT) | instid1(VALU_DEP_2)
	v_add_f64 v[0:1], v[0:1], -v[192:193]
	v_add_f64 v[2:3], v[2:3], -v[212:213]
	v_dual_mov_b32 v192, v236 :: v_dual_mov_b32 v193, v237
.LBB112_188:
	s_or_b32 exec_lo, exec_lo, s2
	v_lshl_add_u32 v212, v244, 4, v238
	s_barrier
	buffer_gl0_inv
	v_mov_b32_e32 v236, 9
	ds_store_2addr_b64 v212, v[188:189], v[190:191] offset1:1
	s_waitcnt lgkmcnt(0)
	s_barrier
	buffer_gl0_inv
	ds_load_2addr_b64 v[228:231], v238 offset0:18 offset1:19
	s_cmp_lt_i32 s12, 11
	s_cbranch_scc1 .LBB112_191
; %bb.189:
	v_add3_u32 v237, v242, 0, 0xa0
	v_mov_b32_e32 v236, 9
	s_mov_b32 s6, 10
	s_set_inst_prefetch_distance 0x1
	.p2align	6
.LBB112_190:                            ; =>This Inner Loop Header: Depth=1
	ds_load_2addr_b64 v[245:248], v237 offset1:1
	s_waitcnt lgkmcnt(1)
	v_cmp_gt_f64_e32 vcc_lo, 0, v[228:229]
	v_cmp_gt_f64_e64 s2, 0, v[230:231]
	v_xor_b32_e32 v213, 0x80000000, v229
	v_xor_b32_e32 v215, 0x80000000, v231
	v_add_nc_u32_e32 v237, 16, v237
	s_waitcnt lgkmcnt(0)
	v_cmp_gt_f64_e64 s3, 0, v[245:246]
	v_cmp_gt_f64_e64 s4, 0, v[247:248]
	v_xor_b32_e32 v219, 0x80000000, v246
	v_mov_b32_e32 v212, v245
	v_xor_b32_e32 v220, 0x80000000, v248
	v_mov_b32_e32 v214, v247
	v_cndmask_b32_e32 v216, v229, v213, vcc_lo
	v_cndmask_b32_e64 v218, v231, v215, s2
	v_cndmask_b32_e32 v215, v228, v228, vcc_lo
	v_cndmask_b32_e64 v217, v230, v230, s2
	s_delay_alu instid0(VALU_DEP_1) | instskip(SKIP_2) | instid1(VALU_DEP_1)
	v_add_f64 v[216:217], v[215:216], v[217:218]
	v_cndmask_b32_e64 v213, v246, v219, s3
	v_cndmask_b32_e64 v215, v248, v220, s4
	v_add_f64 v[212:213], v[212:213], v[214:215]
	s_delay_alu instid0(VALU_DEP_1)
	v_cmp_lt_f64_e32 vcc_lo, v[216:217], v[212:213]
	v_cndmask_b32_e32 v231, v231, v248, vcc_lo
	v_dual_cndmask_b32 v229, v229, v246 :: v_dual_cndmask_b32 v228, v228, v245
	v_cndmask_b32_e32 v230, v230, v247, vcc_lo
	v_cndmask_b32_e64 v236, v236, s6, vcc_lo
	s_add_i32 s6, s6, 1
	s_delay_alu instid0(SALU_CYCLE_1)
	s_cmp_lg_u32 s12, s6
	s_cbranch_scc1 .LBB112_190
.LBB112_191:
	s_set_inst_prefetch_distance 0x2
	s_waitcnt lgkmcnt(0)
	v_cmp_eq_f64_e32 vcc_lo, 0, v[228:229]
	v_cmp_eq_f64_e64 s2, 0, v[230:231]
	s_delay_alu instid0(VALU_DEP_1) | instskip(NEXT) | instid1(SALU_CYCLE_1)
	s_and_b32 s2, vcc_lo, s2
	s_and_saveexec_b32 s3, s2
	s_delay_alu instid0(SALU_CYCLE_1)
	s_xor_b32 s2, exec_lo, s3
; %bb.192:
	v_cmp_ne_u32_e32 vcc_lo, 0, v241
	v_cndmask_b32_e32 v241, 10, v241, vcc_lo
; %bb.193:
	s_and_not1_saveexec_b32 s3, s2
	s_cbranch_execz .LBB112_199
; %bb.194:
	v_cmp_gt_f64_e32 vcc_lo, 0, v[228:229]
	v_cmp_gt_f64_e64 s2, 0, v[230:231]
	v_xor_b32_e32 v212, 0x80000000, v229
	v_xor_b32_e32 v214, 0x80000000, v231
	s_delay_alu instid0(VALU_DEP_2) | instskip(NEXT) | instid1(VALU_DEP_2)
	v_cndmask_b32_e32 v213, v229, v212, vcc_lo
	v_cndmask_b32_e64 v215, v231, v214, s2
	v_cndmask_b32_e32 v212, v228, v228, vcc_lo
	v_cndmask_b32_e64 v214, v230, v230, s2
	s_mov_b32 s2, exec_lo
	s_delay_alu instid0(VALU_DEP_1)
	v_cmpx_ngt_f64_e32 v[212:213], v[214:215]
	s_xor_b32 s2, exec_lo, s2
	s_cbranch_execz .LBB112_196
; %bb.195:
	v_div_scale_f64 v[212:213], null, v[230:231], v[230:231], v[228:229]
	v_div_scale_f64 v[218:219], vcc_lo, v[228:229], v[230:231], v[228:229]
	s_delay_alu instid0(VALU_DEP_2) | instskip(SKIP_2) | instid1(VALU_DEP_1)
	v_rcp_f64_e32 v[214:215], v[212:213]
	s_waitcnt_depctr 0xfff
	v_fma_f64 v[216:217], -v[212:213], v[214:215], 1.0
	v_fma_f64 v[214:215], v[214:215], v[216:217], v[214:215]
	s_delay_alu instid0(VALU_DEP_1) | instskip(NEXT) | instid1(VALU_DEP_1)
	v_fma_f64 v[216:217], -v[212:213], v[214:215], 1.0
	v_fma_f64 v[214:215], v[214:215], v[216:217], v[214:215]
	s_delay_alu instid0(VALU_DEP_1) | instskip(NEXT) | instid1(VALU_DEP_1)
	v_mul_f64 v[216:217], v[218:219], v[214:215]
	v_fma_f64 v[212:213], -v[212:213], v[216:217], v[218:219]
	s_delay_alu instid0(VALU_DEP_1) | instskip(NEXT) | instid1(VALU_DEP_1)
	v_div_fmas_f64 v[212:213], v[212:213], v[214:215], v[216:217]
	v_div_fixup_f64 v[212:213], v[212:213], v[230:231], v[228:229]
	s_delay_alu instid0(VALU_DEP_1) | instskip(NEXT) | instid1(VALU_DEP_1)
	v_fma_f64 v[214:215], v[228:229], v[212:213], v[230:231]
	v_div_scale_f64 v[216:217], null, v[214:215], v[214:215], 1.0
	s_delay_alu instid0(VALU_DEP_1) | instskip(SKIP_2) | instid1(VALU_DEP_1)
	v_rcp_f64_e32 v[218:219], v[216:217]
	s_waitcnt_depctr 0xfff
	v_fma_f64 v[220:221], -v[216:217], v[218:219], 1.0
	v_fma_f64 v[218:219], v[218:219], v[220:221], v[218:219]
	s_delay_alu instid0(VALU_DEP_1) | instskip(NEXT) | instid1(VALU_DEP_1)
	v_fma_f64 v[220:221], -v[216:217], v[218:219], 1.0
	v_fma_f64 v[218:219], v[218:219], v[220:221], v[218:219]
	v_div_scale_f64 v[220:221], vcc_lo, 1.0, v[214:215], 1.0
	s_delay_alu instid0(VALU_DEP_1) | instskip(NEXT) | instid1(VALU_DEP_1)
	v_mul_f64 v[222:223], v[220:221], v[218:219]
	v_fma_f64 v[216:217], -v[216:217], v[222:223], v[220:221]
	s_delay_alu instid0(VALU_DEP_1) | instskip(NEXT) | instid1(VALU_DEP_1)
	v_div_fmas_f64 v[216:217], v[216:217], v[218:219], v[222:223]
	v_div_fixup_f64 v[230:231], v[216:217], v[214:215], 1.0
	s_delay_alu instid0(VALU_DEP_1)
	v_mul_f64 v[228:229], v[212:213], v[230:231]
	v_xor_b32_e32 v231, 0x80000000, v231
.LBB112_196:
	s_and_not1_saveexec_b32 s2, s2
	s_cbranch_execz .LBB112_198
; %bb.197:
	s_delay_alu instid0(VALU_DEP_1) | instskip(SKIP_1) | instid1(VALU_DEP_2)
	v_div_scale_f64 v[212:213], null, v[228:229], v[228:229], v[230:231]
	v_div_scale_f64 v[218:219], vcc_lo, v[230:231], v[228:229], v[230:231]
	v_rcp_f64_e32 v[214:215], v[212:213]
	s_waitcnt_depctr 0xfff
	v_fma_f64 v[216:217], -v[212:213], v[214:215], 1.0
	s_delay_alu instid0(VALU_DEP_1) | instskip(NEXT) | instid1(VALU_DEP_1)
	v_fma_f64 v[214:215], v[214:215], v[216:217], v[214:215]
	v_fma_f64 v[216:217], -v[212:213], v[214:215], 1.0
	s_delay_alu instid0(VALU_DEP_1) | instskip(NEXT) | instid1(VALU_DEP_1)
	v_fma_f64 v[214:215], v[214:215], v[216:217], v[214:215]
	v_mul_f64 v[216:217], v[218:219], v[214:215]
	s_delay_alu instid0(VALU_DEP_1) | instskip(NEXT) | instid1(VALU_DEP_1)
	v_fma_f64 v[212:213], -v[212:213], v[216:217], v[218:219]
	v_div_fmas_f64 v[212:213], v[212:213], v[214:215], v[216:217]
	s_delay_alu instid0(VALU_DEP_1) | instskip(NEXT) | instid1(VALU_DEP_1)
	v_div_fixup_f64 v[212:213], v[212:213], v[228:229], v[230:231]
	v_fma_f64 v[214:215], v[230:231], v[212:213], v[228:229]
	s_delay_alu instid0(VALU_DEP_1) | instskip(NEXT) | instid1(VALU_DEP_1)
	v_div_scale_f64 v[216:217], null, v[214:215], v[214:215], 1.0
	v_rcp_f64_e32 v[218:219], v[216:217]
	s_waitcnt_depctr 0xfff
	v_fma_f64 v[220:221], -v[216:217], v[218:219], 1.0
	s_delay_alu instid0(VALU_DEP_1) | instskip(NEXT) | instid1(VALU_DEP_1)
	v_fma_f64 v[218:219], v[218:219], v[220:221], v[218:219]
	v_fma_f64 v[220:221], -v[216:217], v[218:219], 1.0
	s_delay_alu instid0(VALU_DEP_1) | instskip(SKIP_1) | instid1(VALU_DEP_1)
	v_fma_f64 v[218:219], v[218:219], v[220:221], v[218:219]
	v_div_scale_f64 v[220:221], vcc_lo, 1.0, v[214:215], 1.0
	v_mul_f64 v[222:223], v[220:221], v[218:219]
	s_delay_alu instid0(VALU_DEP_1) | instskip(NEXT) | instid1(VALU_DEP_1)
	v_fma_f64 v[216:217], -v[216:217], v[222:223], v[220:221]
	v_div_fmas_f64 v[216:217], v[216:217], v[218:219], v[222:223]
	s_delay_alu instid0(VALU_DEP_1) | instskip(NEXT) | instid1(VALU_DEP_1)
	v_div_fixup_f64 v[228:229], v[216:217], v[214:215], 1.0
	v_mul_f64 v[230:231], v[212:213], -v[228:229]
.LBB112_198:
	s_or_b32 exec_lo, exec_lo, s2
.LBB112_199:
	s_delay_alu instid0(SALU_CYCLE_1) | instskip(NEXT) | instid1(SALU_CYCLE_1)
	s_or_b32 exec_lo, exec_lo, s3
	s_mov_b32 s2, exec_lo
	v_cmpx_ne_u32_e64 v244, v236
	s_xor_b32 s2, exec_lo, s2
	s_cbranch_execz .LBB112_205
; %bb.200:
	s_mov_b32 s3, exec_lo
	v_cmpx_eq_u32_e32 9, v244
	s_cbranch_execz .LBB112_204
; %bb.201:
	v_cmp_ne_u32_e32 vcc_lo, 9, v236
	s_xor_b32 s4, s5, -1
	s_delay_alu instid0(SALU_CYCLE_1) | instskip(NEXT) | instid1(SALU_CYCLE_1)
	s_and_b32 s6, s4, vcc_lo
	s_and_saveexec_b32 s4, s6
	s_cbranch_execz .LBB112_203
; %bb.202:
	scratch_load_b64 v[10:11], off, off     ; 8-byte Folded Reload
	v_ashrrev_i32_e32 v237, 31, v236
	s_delay_alu instid0(VALU_DEP_1) | instskip(SKIP_1) | instid1(VALU_DEP_1)
	v_lshlrev_b64 v[212:213], 2, v[236:237]
	s_waitcnt vmcnt(0)
	v_add_co_u32 v212, vcc_lo, v10, v212
	s_delay_alu instid0(VALU_DEP_2)
	v_add_co_ci_u32_e32 v213, vcc_lo, v11, v213, vcc_lo
	s_clause 0x1
	flat_load_b32 v214, v[212:213]
	flat_load_b32 v215, v[10:11] offset:36
	s_waitcnt vmcnt(1) lgkmcnt(1)
	flat_store_b32 v[10:11], v214 offset:36
	s_waitcnt vmcnt(0) lgkmcnt(1)
	flat_store_b32 v[212:213], v215
.LBB112_203:
	s_or_b32 exec_lo, exec_lo, s4
	v_mov_b32_e32 v244, v236
	v_mov_b32_e32 v243, v236
.LBB112_204:
	s_or_b32 exec_lo, exec_lo, s3
.LBB112_205:
	s_and_not1_saveexec_b32 s2, s2
	s_cbranch_execz .LBB112_207
; %bb.206:
	v_mov_b32_e32 v244, 9
	ds_store_2addr_b64 v238, v[184:185], v[186:187] offset0:20 offset1:21
	ds_store_2addr_b64 v238, v[180:181], v[182:183] offset0:22 offset1:23
	;; [unrolled: 1-line block ×47, first 2 shown]
.LBB112_207:
	s_or_b32 exec_lo, exec_lo, s2
	s_delay_alu instid0(SALU_CYCLE_1)
	s_mov_b32 s2, exec_lo
	s_waitcnt lgkmcnt(0)
	s_waitcnt_vscnt null, 0x0
	s_barrier
	buffer_gl0_inv
	v_cmpx_lt_i32_e32 9, v244
	s_cbranch_execz .LBB112_209
; %bb.208:
	v_mul_f64 v[212:213], v[230:231], v[190:191]
	v_mul_f64 v[190:191], v[228:229], v[190:191]
	s_delay_alu instid0(VALU_DEP_2) | instskip(NEXT) | instid1(VALU_DEP_2)
	v_fma_f64 v[236:237], v[228:229], v[188:189], -v[212:213]
	v_fma_f64 v[190:191], v[230:231], v[188:189], v[190:191]
	ds_load_2addr_b64 v[228:231], v238 offset0:20 offset1:21
	s_waitcnt lgkmcnt(0)
	v_mul_f64 v[188:189], v[230:231], v[190:191]
	v_mul_f64 v[212:213], v[228:229], v[190:191]
	s_delay_alu instid0(VALU_DEP_2) | instskip(NEXT) | instid1(VALU_DEP_2)
	v_fma_f64 v[188:189], v[228:229], v[236:237], -v[188:189]
	v_fma_f64 v[212:213], v[230:231], v[236:237], v[212:213]
	ds_load_2addr_b64 v[228:231], v238 offset0:22 offset1:23
	v_add_f64 v[184:185], v[184:185], -v[188:189]
	v_add_f64 v[186:187], v[186:187], -v[212:213]
	s_waitcnt lgkmcnt(0)
	v_mul_f64 v[188:189], v[230:231], v[190:191]
	v_mul_f64 v[212:213], v[228:229], v[190:191]
	s_delay_alu instid0(VALU_DEP_2) | instskip(NEXT) | instid1(VALU_DEP_2)
	v_fma_f64 v[188:189], v[228:229], v[236:237], -v[188:189]
	v_fma_f64 v[212:213], v[230:231], v[236:237], v[212:213]
	ds_load_2addr_b64 v[228:231], v238 offset0:24 offset1:25
	v_add_f64 v[180:181], v[180:181], -v[188:189]
	v_add_f64 v[182:183], v[182:183], -v[212:213]
	;; [unrolled: 9-line block ×46, first 2 shown]
	s_waitcnt lgkmcnt(0)
	v_mul_f64 v[188:189], v[230:231], v[190:191]
	v_mul_f64 v[212:213], v[228:229], v[190:191]
	s_delay_alu instid0(VALU_DEP_2) | instskip(NEXT) | instid1(VALU_DEP_2)
	v_fma_f64 v[188:189], v[228:229], v[236:237], -v[188:189]
	v_fma_f64 v[212:213], v[230:231], v[236:237], v[212:213]
	s_delay_alu instid0(VALU_DEP_2) | instskip(NEXT) | instid1(VALU_DEP_2)
	v_add_f64 v[0:1], v[0:1], -v[188:189]
	v_add_f64 v[2:3], v[2:3], -v[212:213]
	v_dual_mov_b32 v188, v236 :: v_dual_mov_b32 v189, v237
.LBB112_209:
	s_or_b32 exec_lo, exec_lo, s2
	v_lshl_add_u32 v212, v244, 4, v238
	s_barrier
	buffer_gl0_inv
	v_mov_b32_e32 v236, 10
	ds_store_2addr_b64 v212, v[184:185], v[186:187] offset1:1
	s_waitcnt lgkmcnt(0)
	s_barrier
	buffer_gl0_inv
	ds_load_2addr_b64 v[228:231], v238 offset0:20 offset1:21
	s_cmp_lt_i32 s12, 12
	s_cbranch_scc1 .LBB112_212
; %bb.210:
	v_add3_u32 v237, v242, 0, 0xb0
	v_mov_b32_e32 v236, 10
	s_mov_b32 s6, 11
	s_set_inst_prefetch_distance 0x1
	.p2align	6
.LBB112_211:                            ; =>This Inner Loop Header: Depth=1
	ds_load_2addr_b64 v[245:248], v237 offset1:1
	s_waitcnt lgkmcnt(1)
	v_cmp_gt_f64_e32 vcc_lo, 0, v[228:229]
	v_cmp_gt_f64_e64 s2, 0, v[230:231]
	v_xor_b32_e32 v213, 0x80000000, v229
	v_xor_b32_e32 v215, 0x80000000, v231
	v_add_nc_u32_e32 v237, 16, v237
	s_waitcnt lgkmcnt(0)
	v_cmp_gt_f64_e64 s3, 0, v[245:246]
	v_cmp_gt_f64_e64 s4, 0, v[247:248]
	v_xor_b32_e32 v219, 0x80000000, v246
	v_mov_b32_e32 v212, v245
	v_xor_b32_e32 v220, 0x80000000, v248
	v_mov_b32_e32 v214, v247
	v_cndmask_b32_e32 v216, v229, v213, vcc_lo
	v_cndmask_b32_e64 v218, v231, v215, s2
	v_cndmask_b32_e32 v215, v228, v228, vcc_lo
	v_cndmask_b32_e64 v217, v230, v230, s2
	s_delay_alu instid0(VALU_DEP_1) | instskip(SKIP_2) | instid1(VALU_DEP_1)
	v_add_f64 v[216:217], v[215:216], v[217:218]
	v_cndmask_b32_e64 v213, v246, v219, s3
	v_cndmask_b32_e64 v215, v248, v220, s4
	v_add_f64 v[212:213], v[212:213], v[214:215]
	s_delay_alu instid0(VALU_DEP_1)
	v_cmp_lt_f64_e32 vcc_lo, v[216:217], v[212:213]
	v_cndmask_b32_e32 v231, v231, v248, vcc_lo
	v_dual_cndmask_b32 v229, v229, v246 :: v_dual_cndmask_b32 v228, v228, v245
	v_cndmask_b32_e32 v230, v230, v247, vcc_lo
	v_cndmask_b32_e64 v236, v236, s6, vcc_lo
	s_add_i32 s6, s6, 1
	s_delay_alu instid0(SALU_CYCLE_1)
	s_cmp_lg_u32 s12, s6
	s_cbranch_scc1 .LBB112_211
.LBB112_212:
	s_set_inst_prefetch_distance 0x2
	s_waitcnt lgkmcnt(0)
	v_cmp_eq_f64_e32 vcc_lo, 0, v[228:229]
	v_cmp_eq_f64_e64 s2, 0, v[230:231]
	s_delay_alu instid0(VALU_DEP_1) | instskip(NEXT) | instid1(SALU_CYCLE_1)
	s_and_b32 s2, vcc_lo, s2
	s_and_saveexec_b32 s3, s2
	s_delay_alu instid0(SALU_CYCLE_1)
	s_xor_b32 s2, exec_lo, s3
; %bb.213:
	v_cmp_ne_u32_e32 vcc_lo, 0, v241
	v_cndmask_b32_e32 v241, 11, v241, vcc_lo
; %bb.214:
	s_and_not1_saveexec_b32 s3, s2
	s_cbranch_execz .LBB112_220
; %bb.215:
	v_cmp_gt_f64_e32 vcc_lo, 0, v[228:229]
	v_cmp_gt_f64_e64 s2, 0, v[230:231]
	v_xor_b32_e32 v212, 0x80000000, v229
	v_xor_b32_e32 v214, 0x80000000, v231
	s_delay_alu instid0(VALU_DEP_2) | instskip(NEXT) | instid1(VALU_DEP_2)
	v_cndmask_b32_e32 v213, v229, v212, vcc_lo
	v_cndmask_b32_e64 v215, v231, v214, s2
	v_cndmask_b32_e32 v212, v228, v228, vcc_lo
	v_cndmask_b32_e64 v214, v230, v230, s2
	s_mov_b32 s2, exec_lo
	s_delay_alu instid0(VALU_DEP_1)
	v_cmpx_ngt_f64_e32 v[212:213], v[214:215]
	s_xor_b32 s2, exec_lo, s2
	s_cbranch_execz .LBB112_217
; %bb.216:
	v_div_scale_f64 v[212:213], null, v[230:231], v[230:231], v[228:229]
	v_div_scale_f64 v[218:219], vcc_lo, v[228:229], v[230:231], v[228:229]
	s_delay_alu instid0(VALU_DEP_2) | instskip(SKIP_2) | instid1(VALU_DEP_1)
	v_rcp_f64_e32 v[214:215], v[212:213]
	s_waitcnt_depctr 0xfff
	v_fma_f64 v[216:217], -v[212:213], v[214:215], 1.0
	v_fma_f64 v[214:215], v[214:215], v[216:217], v[214:215]
	s_delay_alu instid0(VALU_DEP_1) | instskip(NEXT) | instid1(VALU_DEP_1)
	v_fma_f64 v[216:217], -v[212:213], v[214:215], 1.0
	v_fma_f64 v[214:215], v[214:215], v[216:217], v[214:215]
	s_delay_alu instid0(VALU_DEP_1) | instskip(NEXT) | instid1(VALU_DEP_1)
	v_mul_f64 v[216:217], v[218:219], v[214:215]
	v_fma_f64 v[212:213], -v[212:213], v[216:217], v[218:219]
	s_delay_alu instid0(VALU_DEP_1) | instskip(NEXT) | instid1(VALU_DEP_1)
	v_div_fmas_f64 v[212:213], v[212:213], v[214:215], v[216:217]
	v_div_fixup_f64 v[212:213], v[212:213], v[230:231], v[228:229]
	s_delay_alu instid0(VALU_DEP_1) | instskip(NEXT) | instid1(VALU_DEP_1)
	v_fma_f64 v[214:215], v[228:229], v[212:213], v[230:231]
	v_div_scale_f64 v[216:217], null, v[214:215], v[214:215], 1.0
	s_delay_alu instid0(VALU_DEP_1) | instskip(SKIP_2) | instid1(VALU_DEP_1)
	v_rcp_f64_e32 v[218:219], v[216:217]
	s_waitcnt_depctr 0xfff
	v_fma_f64 v[220:221], -v[216:217], v[218:219], 1.0
	v_fma_f64 v[218:219], v[218:219], v[220:221], v[218:219]
	s_delay_alu instid0(VALU_DEP_1) | instskip(NEXT) | instid1(VALU_DEP_1)
	v_fma_f64 v[220:221], -v[216:217], v[218:219], 1.0
	v_fma_f64 v[218:219], v[218:219], v[220:221], v[218:219]
	v_div_scale_f64 v[220:221], vcc_lo, 1.0, v[214:215], 1.0
	s_delay_alu instid0(VALU_DEP_1) | instskip(NEXT) | instid1(VALU_DEP_1)
	v_mul_f64 v[222:223], v[220:221], v[218:219]
	v_fma_f64 v[216:217], -v[216:217], v[222:223], v[220:221]
	s_delay_alu instid0(VALU_DEP_1) | instskip(NEXT) | instid1(VALU_DEP_1)
	v_div_fmas_f64 v[216:217], v[216:217], v[218:219], v[222:223]
	v_div_fixup_f64 v[230:231], v[216:217], v[214:215], 1.0
	s_delay_alu instid0(VALU_DEP_1)
	v_mul_f64 v[228:229], v[212:213], v[230:231]
	v_xor_b32_e32 v231, 0x80000000, v231
.LBB112_217:
	s_and_not1_saveexec_b32 s2, s2
	s_cbranch_execz .LBB112_219
; %bb.218:
	s_delay_alu instid0(VALU_DEP_1) | instskip(SKIP_1) | instid1(VALU_DEP_2)
	v_div_scale_f64 v[212:213], null, v[228:229], v[228:229], v[230:231]
	v_div_scale_f64 v[218:219], vcc_lo, v[230:231], v[228:229], v[230:231]
	v_rcp_f64_e32 v[214:215], v[212:213]
	s_waitcnt_depctr 0xfff
	v_fma_f64 v[216:217], -v[212:213], v[214:215], 1.0
	s_delay_alu instid0(VALU_DEP_1) | instskip(NEXT) | instid1(VALU_DEP_1)
	v_fma_f64 v[214:215], v[214:215], v[216:217], v[214:215]
	v_fma_f64 v[216:217], -v[212:213], v[214:215], 1.0
	s_delay_alu instid0(VALU_DEP_1) | instskip(NEXT) | instid1(VALU_DEP_1)
	v_fma_f64 v[214:215], v[214:215], v[216:217], v[214:215]
	v_mul_f64 v[216:217], v[218:219], v[214:215]
	s_delay_alu instid0(VALU_DEP_1) | instskip(NEXT) | instid1(VALU_DEP_1)
	v_fma_f64 v[212:213], -v[212:213], v[216:217], v[218:219]
	v_div_fmas_f64 v[212:213], v[212:213], v[214:215], v[216:217]
	s_delay_alu instid0(VALU_DEP_1) | instskip(NEXT) | instid1(VALU_DEP_1)
	v_div_fixup_f64 v[212:213], v[212:213], v[228:229], v[230:231]
	v_fma_f64 v[214:215], v[230:231], v[212:213], v[228:229]
	s_delay_alu instid0(VALU_DEP_1) | instskip(NEXT) | instid1(VALU_DEP_1)
	v_div_scale_f64 v[216:217], null, v[214:215], v[214:215], 1.0
	v_rcp_f64_e32 v[218:219], v[216:217]
	s_waitcnt_depctr 0xfff
	v_fma_f64 v[220:221], -v[216:217], v[218:219], 1.0
	s_delay_alu instid0(VALU_DEP_1) | instskip(NEXT) | instid1(VALU_DEP_1)
	v_fma_f64 v[218:219], v[218:219], v[220:221], v[218:219]
	v_fma_f64 v[220:221], -v[216:217], v[218:219], 1.0
	s_delay_alu instid0(VALU_DEP_1) | instskip(SKIP_1) | instid1(VALU_DEP_1)
	v_fma_f64 v[218:219], v[218:219], v[220:221], v[218:219]
	v_div_scale_f64 v[220:221], vcc_lo, 1.0, v[214:215], 1.0
	v_mul_f64 v[222:223], v[220:221], v[218:219]
	s_delay_alu instid0(VALU_DEP_1) | instskip(NEXT) | instid1(VALU_DEP_1)
	v_fma_f64 v[216:217], -v[216:217], v[222:223], v[220:221]
	v_div_fmas_f64 v[216:217], v[216:217], v[218:219], v[222:223]
	s_delay_alu instid0(VALU_DEP_1) | instskip(NEXT) | instid1(VALU_DEP_1)
	v_div_fixup_f64 v[228:229], v[216:217], v[214:215], 1.0
	v_mul_f64 v[230:231], v[212:213], -v[228:229]
.LBB112_219:
	s_or_b32 exec_lo, exec_lo, s2
.LBB112_220:
	s_delay_alu instid0(SALU_CYCLE_1) | instskip(NEXT) | instid1(SALU_CYCLE_1)
	s_or_b32 exec_lo, exec_lo, s3
	s_mov_b32 s2, exec_lo
	v_cmpx_ne_u32_e64 v244, v236
	s_xor_b32 s2, exec_lo, s2
	s_cbranch_execz .LBB112_226
; %bb.221:
	s_mov_b32 s3, exec_lo
	v_cmpx_eq_u32_e32 10, v244
	s_cbranch_execz .LBB112_225
; %bb.222:
	v_cmp_ne_u32_e32 vcc_lo, 10, v236
	s_xor_b32 s4, s5, -1
	s_delay_alu instid0(SALU_CYCLE_1) | instskip(NEXT) | instid1(SALU_CYCLE_1)
	s_and_b32 s6, s4, vcc_lo
	s_and_saveexec_b32 s4, s6
	s_cbranch_execz .LBB112_224
; %bb.223:
	scratch_load_b64 v[10:11], off, off     ; 8-byte Folded Reload
	v_ashrrev_i32_e32 v237, 31, v236
	s_delay_alu instid0(VALU_DEP_1) | instskip(SKIP_1) | instid1(VALU_DEP_1)
	v_lshlrev_b64 v[212:213], 2, v[236:237]
	s_waitcnt vmcnt(0)
	v_add_co_u32 v212, vcc_lo, v10, v212
	s_delay_alu instid0(VALU_DEP_2)
	v_add_co_ci_u32_e32 v213, vcc_lo, v11, v213, vcc_lo
	s_clause 0x1
	flat_load_b32 v214, v[212:213]
	flat_load_b32 v215, v[10:11] offset:40
	s_waitcnt vmcnt(1) lgkmcnt(1)
	flat_store_b32 v[10:11], v214 offset:40
	s_waitcnt vmcnt(0) lgkmcnt(1)
	flat_store_b32 v[212:213], v215
.LBB112_224:
	s_or_b32 exec_lo, exec_lo, s4
	v_mov_b32_e32 v244, v236
	v_mov_b32_e32 v243, v236
.LBB112_225:
	s_or_b32 exec_lo, exec_lo, s3
.LBB112_226:
	s_and_not1_saveexec_b32 s2, s2
	s_cbranch_execz .LBB112_228
; %bb.227:
	v_mov_b32_e32 v244, 10
	ds_store_2addr_b64 v238, v[180:181], v[182:183] offset0:22 offset1:23
	ds_store_2addr_b64 v238, v[176:177], v[178:179] offset0:24 offset1:25
	;; [unrolled: 1-line block ×46, first 2 shown]
.LBB112_228:
	s_or_b32 exec_lo, exec_lo, s2
	s_delay_alu instid0(SALU_CYCLE_1)
	s_mov_b32 s2, exec_lo
	s_waitcnt lgkmcnt(0)
	s_waitcnt_vscnt null, 0x0
	s_barrier
	buffer_gl0_inv
	v_cmpx_lt_i32_e32 10, v244
	s_cbranch_execz .LBB112_230
; %bb.229:
	v_mul_f64 v[212:213], v[230:231], v[186:187]
	v_mul_f64 v[186:187], v[228:229], v[186:187]
	s_delay_alu instid0(VALU_DEP_2) | instskip(NEXT) | instid1(VALU_DEP_2)
	v_fma_f64 v[236:237], v[228:229], v[184:185], -v[212:213]
	v_fma_f64 v[186:187], v[230:231], v[184:185], v[186:187]
	ds_load_2addr_b64 v[228:231], v238 offset0:22 offset1:23
	s_waitcnt lgkmcnt(0)
	v_mul_f64 v[184:185], v[230:231], v[186:187]
	v_mul_f64 v[212:213], v[228:229], v[186:187]
	s_delay_alu instid0(VALU_DEP_2) | instskip(NEXT) | instid1(VALU_DEP_2)
	v_fma_f64 v[184:185], v[228:229], v[236:237], -v[184:185]
	v_fma_f64 v[212:213], v[230:231], v[236:237], v[212:213]
	ds_load_2addr_b64 v[228:231], v238 offset0:24 offset1:25
	v_add_f64 v[180:181], v[180:181], -v[184:185]
	v_add_f64 v[182:183], v[182:183], -v[212:213]
	s_waitcnt lgkmcnt(0)
	v_mul_f64 v[184:185], v[230:231], v[186:187]
	v_mul_f64 v[212:213], v[228:229], v[186:187]
	s_delay_alu instid0(VALU_DEP_2) | instskip(NEXT) | instid1(VALU_DEP_2)
	v_fma_f64 v[184:185], v[228:229], v[236:237], -v[184:185]
	v_fma_f64 v[212:213], v[230:231], v[236:237], v[212:213]
	ds_load_2addr_b64 v[228:231], v238 offset0:26 offset1:27
	v_add_f64 v[176:177], v[176:177], -v[184:185]
	v_add_f64 v[178:179], v[178:179], -v[212:213]
	;; [unrolled: 9-line block ×45, first 2 shown]
	s_waitcnt lgkmcnt(0)
	v_mul_f64 v[184:185], v[230:231], v[186:187]
	v_mul_f64 v[212:213], v[228:229], v[186:187]
	s_delay_alu instid0(VALU_DEP_2) | instskip(NEXT) | instid1(VALU_DEP_2)
	v_fma_f64 v[184:185], v[228:229], v[236:237], -v[184:185]
	v_fma_f64 v[212:213], v[230:231], v[236:237], v[212:213]
	s_delay_alu instid0(VALU_DEP_2) | instskip(NEXT) | instid1(VALU_DEP_2)
	v_add_f64 v[0:1], v[0:1], -v[184:185]
	v_add_f64 v[2:3], v[2:3], -v[212:213]
	v_dual_mov_b32 v184, v236 :: v_dual_mov_b32 v185, v237
.LBB112_230:
	s_or_b32 exec_lo, exec_lo, s2
	v_lshl_add_u32 v212, v244, 4, v238
	s_barrier
	buffer_gl0_inv
	v_mov_b32_e32 v236, 11
	ds_store_2addr_b64 v212, v[180:181], v[182:183] offset1:1
	s_waitcnt lgkmcnt(0)
	s_barrier
	buffer_gl0_inv
	ds_load_2addr_b64 v[228:231], v238 offset0:22 offset1:23
	s_cmp_lt_i32 s12, 13
	s_cbranch_scc1 .LBB112_233
; %bb.231:
	v_add3_u32 v237, v242, 0, 0xc0
	v_mov_b32_e32 v236, 11
	s_mov_b32 s6, 12
	s_set_inst_prefetch_distance 0x1
	.p2align	6
.LBB112_232:                            ; =>This Inner Loop Header: Depth=1
	ds_load_2addr_b64 v[245:248], v237 offset1:1
	s_waitcnt lgkmcnt(1)
	v_cmp_gt_f64_e32 vcc_lo, 0, v[228:229]
	v_cmp_gt_f64_e64 s2, 0, v[230:231]
	v_xor_b32_e32 v213, 0x80000000, v229
	v_xor_b32_e32 v215, 0x80000000, v231
	v_add_nc_u32_e32 v237, 16, v237
	s_waitcnt lgkmcnt(0)
	v_cmp_gt_f64_e64 s3, 0, v[245:246]
	v_cmp_gt_f64_e64 s4, 0, v[247:248]
	v_xor_b32_e32 v219, 0x80000000, v246
	v_mov_b32_e32 v212, v245
	v_xor_b32_e32 v220, 0x80000000, v248
	v_mov_b32_e32 v214, v247
	v_cndmask_b32_e32 v216, v229, v213, vcc_lo
	v_cndmask_b32_e64 v218, v231, v215, s2
	v_cndmask_b32_e32 v215, v228, v228, vcc_lo
	v_cndmask_b32_e64 v217, v230, v230, s2
	s_delay_alu instid0(VALU_DEP_1) | instskip(SKIP_2) | instid1(VALU_DEP_1)
	v_add_f64 v[216:217], v[215:216], v[217:218]
	v_cndmask_b32_e64 v213, v246, v219, s3
	v_cndmask_b32_e64 v215, v248, v220, s4
	v_add_f64 v[212:213], v[212:213], v[214:215]
	s_delay_alu instid0(VALU_DEP_1)
	v_cmp_lt_f64_e32 vcc_lo, v[216:217], v[212:213]
	v_cndmask_b32_e32 v231, v231, v248, vcc_lo
	v_dual_cndmask_b32 v229, v229, v246 :: v_dual_cndmask_b32 v228, v228, v245
	v_cndmask_b32_e32 v230, v230, v247, vcc_lo
	v_cndmask_b32_e64 v236, v236, s6, vcc_lo
	s_add_i32 s6, s6, 1
	s_delay_alu instid0(SALU_CYCLE_1)
	s_cmp_lg_u32 s12, s6
	s_cbranch_scc1 .LBB112_232
.LBB112_233:
	s_set_inst_prefetch_distance 0x2
	s_waitcnt lgkmcnt(0)
	v_cmp_eq_f64_e32 vcc_lo, 0, v[228:229]
	v_cmp_eq_f64_e64 s2, 0, v[230:231]
	s_delay_alu instid0(VALU_DEP_1) | instskip(NEXT) | instid1(SALU_CYCLE_1)
	s_and_b32 s2, vcc_lo, s2
	s_and_saveexec_b32 s3, s2
	s_delay_alu instid0(SALU_CYCLE_1)
	s_xor_b32 s2, exec_lo, s3
; %bb.234:
	v_cmp_ne_u32_e32 vcc_lo, 0, v241
	v_cndmask_b32_e32 v241, 12, v241, vcc_lo
; %bb.235:
	s_and_not1_saveexec_b32 s3, s2
	s_cbranch_execz .LBB112_241
; %bb.236:
	v_cmp_gt_f64_e32 vcc_lo, 0, v[228:229]
	v_cmp_gt_f64_e64 s2, 0, v[230:231]
	v_xor_b32_e32 v212, 0x80000000, v229
	v_xor_b32_e32 v214, 0x80000000, v231
	s_delay_alu instid0(VALU_DEP_2) | instskip(NEXT) | instid1(VALU_DEP_2)
	v_cndmask_b32_e32 v213, v229, v212, vcc_lo
	v_cndmask_b32_e64 v215, v231, v214, s2
	v_cndmask_b32_e32 v212, v228, v228, vcc_lo
	v_cndmask_b32_e64 v214, v230, v230, s2
	s_mov_b32 s2, exec_lo
	s_delay_alu instid0(VALU_DEP_1)
	v_cmpx_ngt_f64_e32 v[212:213], v[214:215]
	s_xor_b32 s2, exec_lo, s2
	s_cbranch_execz .LBB112_238
; %bb.237:
	v_div_scale_f64 v[212:213], null, v[230:231], v[230:231], v[228:229]
	v_div_scale_f64 v[218:219], vcc_lo, v[228:229], v[230:231], v[228:229]
	s_delay_alu instid0(VALU_DEP_2) | instskip(SKIP_2) | instid1(VALU_DEP_1)
	v_rcp_f64_e32 v[214:215], v[212:213]
	s_waitcnt_depctr 0xfff
	v_fma_f64 v[216:217], -v[212:213], v[214:215], 1.0
	v_fma_f64 v[214:215], v[214:215], v[216:217], v[214:215]
	s_delay_alu instid0(VALU_DEP_1) | instskip(NEXT) | instid1(VALU_DEP_1)
	v_fma_f64 v[216:217], -v[212:213], v[214:215], 1.0
	v_fma_f64 v[214:215], v[214:215], v[216:217], v[214:215]
	s_delay_alu instid0(VALU_DEP_1) | instskip(NEXT) | instid1(VALU_DEP_1)
	v_mul_f64 v[216:217], v[218:219], v[214:215]
	v_fma_f64 v[212:213], -v[212:213], v[216:217], v[218:219]
	s_delay_alu instid0(VALU_DEP_1) | instskip(NEXT) | instid1(VALU_DEP_1)
	v_div_fmas_f64 v[212:213], v[212:213], v[214:215], v[216:217]
	v_div_fixup_f64 v[212:213], v[212:213], v[230:231], v[228:229]
	s_delay_alu instid0(VALU_DEP_1) | instskip(NEXT) | instid1(VALU_DEP_1)
	v_fma_f64 v[214:215], v[228:229], v[212:213], v[230:231]
	v_div_scale_f64 v[216:217], null, v[214:215], v[214:215], 1.0
	s_delay_alu instid0(VALU_DEP_1) | instskip(SKIP_2) | instid1(VALU_DEP_1)
	v_rcp_f64_e32 v[218:219], v[216:217]
	s_waitcnt_depctr 0xfff
	v_fma_f64 v[220:221], -v[216:217], v[218:219], 1.0
	v_fma_f64 v[218:219], v[218:219], v[220:221], v[218:219]
	s_delay_alu instid0(VALU_DEP_1) | instskip(NEXT) | instid1(VALU_DEP_1)
	v_fma_f64 v[220:221], -v[216:217], v[218:219], 1.0
	v_fma_f64 v[218:219], v[218:219], v[220:221], v[218:219]
	v_div_scale_f64 v[220:221], vcc_lo, 1.0, v[214:215], 1.0
	s_delay_alu instid0(VALU_DEP_1) | instskip(NEXT) | instid1(VALU_DEP_1)
	v_mul_f64 v[222:223], v[220:221], v[218:219]
	v_fma_f64 v[216:217], -v[216:217], v[222:223], v[220:221]
	s_delay_alu instid0(VALU_DEP_1) | instskip(NEXT) | instid1(VALU_DEP_1)
	v_div_fmas_f64 v[216:217], v[216:217], v[218:219], v[222:223]
	v_div_fixup_f64 v[230:231], v[216:217], v[214:215], 1.0
	s_delay_alu instid0(VALU_DEP_1)
	v_mul_f64 v[228:229], v[212:213], v[230:231]
	v_xor_b32_e32 v231, 0x80000000, v231
.LBB112_238:
	s_and_not1_saveexec_b32 s2, s2
	s_cbranch_execz .LBB112_240
; %bb.239:
	s_delay_alu instid0(VALU_DEP_1) | instskip(SKIP_1) | instid1(VALU_DEP_2)
	v_div_scale_f64 v[212:213], null, v[228:229], v[228:229], v[230:231]
	v_div_scale_f64 v[218:219], vcc_lo, v[230:231], v[228:229], v[230:231]
	v_rcp_f64_e32 v[214:215], v[212:213]
	s_waitcnt_depctr 0xfff
	v_fma_f64 v[216:217], -v[212:213], v[214:215], 1.0
	s_delay_alu instid0(VALU_DEP_1) | instskip(NEXT) | instid1(VALU_DEP_1)
	v_fma_f64 v[214:215], v[214:215], v[216:217], v[214:215]
	v_fma_f64 v[216:217], -v[212:213], v[214:215], 1.0
	s_delay_alu instid0(VALU_DEP_1) | instskip(NEXT) | instid1(VALU_DEP_1)
	v_fma_f64 v[214:215], v[214:215], v[216:217], v[214:215]
	v_mul_f64 v[216:217], v[218:219], v[214:215]
	s_delay_alu instid0(VALU_DEP_1) | instskip(NEXT) | instid1(VALU_DEP_1)
	v_fma_f64 v[212:213], -v[212:213], v[216:217], v[218:219]
	v_div_fmas_f64 v[212:213], v[212:213], v[214:215], v[216:217]
	s_delay_alu instid0(VALU_DEP_1) | instskip(NEXT) | instid1(VALU_DEP_1)
	v_div_fixup_f64 v[212:213], v[212:213], v[228:229], v[230:231]
	v_fma_f64 v[214:215], v[230:231], v[212:213], v[228:229]
	s_delay_alu instid0(VALU_DEP_1) | instskip(NEXT) | instid1(VALU_DEP_1)
	v_div_scale_f64 v[216:217], null, v[214:215], v[214:215], 1.0
	v_rcp_f64_e32 v[218:219], v[216:217]
	s_waitcnt_depctr 0xfff
	v_fma_f64 v[220:221], -v[216:217], v[218:219], 1.0
	s_delay_alu instid0(VALU_DEP_1) | instskip(NEXT) | instid1(VALU_DEP_1)
	v_fma_f64 v[218:219], v[218:219], v[220:221], v[218:219]
	v_fma_f64 v[220:221], -v[216:217], v[218:219], 1.0
	s_delay_alu instid0(VALU_DEP_1) | instskip(SKIP_1) | instid1(VALU_DEP_1)
	v_fma_f64 v[218:219], v[218:219], v[220:221], v[218:219]
	v_div_scale_f64 v[220:221], vcc_lo, 1.0, v[214:215], 1.0
	v_mul_f64 v[222:223], v[220:221], v[218:219]
	s_delay_alu instid0(VALU_DEP_1) | instskip(NEXT) | instid1(VALU_DEP_1)
	v_fma_f64 v[216:217], -v[216:217], v[222:223], v[220:221]
	v_div_fmas_f64 v[216:217], v[216:217], v[218:219], v[222:223]
	s_delay_alu instid0(VALU_DEP_1) | instskip(NEXT) | instid1(VALU_DEP_1)
	v_div_fixup_f64 v[228:229], v[216:217], v[214:215], 1.0
	v_mul_f64 v[230:231], v[212:213], -v[228:229]
.LBB112_240:
	s_or_b32 exec_lo, exec_lo, s2
.LBB112_241:
	s_delay_alu instid0(SALU_CYCLE_1) | instskip(NEXT) | instid1(SALU_CYCLE_1)
	s_or_b32 exec_lo, exec_lo, s3
	s_mov_b32 s2, exec_lo
	v_cmpx_ne_u32_e64 v244, v236
	s_xor_b32 s2, exec_lo, s2
	s_cbranch_execz .LBB112_247
; %bb.242:
	s_mov_b32 s3, exec_lo
	v_cmpx_eq_u32_e32 11, v244
	s_cbranch_execz .LBB112_246
; %bb.243:
	v_cmp_ne_u32_e32 vcc_lo, 11, v236
	s_xor_b32 s4, s5, -1
	s_delay_alu instid0(SALU_CYCLE_1) | instskip(NEXT) | instid1(SALU_CYCLE_1)
	s_and_b32 s6, s4, vcc_lo
	s_and_saveexec_b32 s4, s6
	s_cbranch_execz .LBB112_245
; %bb.244:
	scratch_load_b64 v[10:11], off, off     ; 8-byte Folded Reload
	v_ashrrev_i32_e32 v237, 31, v236
	s_delay_alu instid0(VALU_DEP_1) | instskip(SKIP_1) | instid1(VALU_DEP_1)
	v_lshlrev_b64 v[212:213], 2, v[236:237]
	s_waitcnt vmcnt(0)
	v_add_co_u32 v212, vcc_lo, v10, v212
	s_delay_alu instid0(VALU_DEP_2)
	v_add_co_ci_u32_e32 v213, vcc_lo, v11, v213, vcc_lo
	s_clause 0x1
	flat_load_b32 v214, v[212:213]
	flat_load_b32 v215, v[10:11] offset:44
	s_waitcnt vmcnt(1) lgkmcnt(1)
	flat_store_b32 v[10:11], v214 offset:44
	s_waitcnt vmcnt(0) lgkmcnt(1)
	flat_store_b32 v[212:213], v215
.LBB112_245:
	s_or_b32 exec_lo, exec_lo, s4
	v_mov_b32_e32 v244, v236
	v_mov_b32_e32 v243, v236
.LBB112_246:
	s_or_b32 exec_lo, exec_lo, s3
.LBB112_247:
	s_and_not1_saveexec_b32 s2, s2
	s_cbranch_execz .LBB112_249
; %bb.248:
	v_mov_b32_e32 v244, 11
	ds_store_2addr_b64 v238, v[176:177], v[178:179] offset0:24 offset1:25
	ds_store_2addr_b64 v238, v[172:173], v[174:175] offset0:26 offset1:27
	;; [unrolled: 1-line block ×45, first 2 shown]
.LBB112_249:
	s_or_b32 exec_lo, exec_lo, s2
	s_delay_alu instid0(SALU_CYCLE_1)
	s_mov_b32 s2, exec_lo
	s_waitcnt lgkmcnt(0)
	s_waitcnt_vscnt null, 0x0
	s_barrier
	buffer_gl0_inv
	v_cmpx_lt_i32_e32 11, v244
	s_cbranch_execz .LBB112_251
; %bb.250:
	v_mul_f64 v[212:213], v[230:231], v[182:183]
	v_mul_f64 v[182:183], v[228:229], v[182:183]
	s_delay_alu instid0(VALU_DEP_2) | instskip(NEXT) | instid1(VALU_DEP_2)
	v_fma_f64 v[236:237], v[228:229], v[180:181], -v[212:213]
	v_fma_f64 v[182:183], v[230:231], v[180:181], v[182:183]
	ds_load_2addr_b64 v[228:231], v238 offset0:24 offset1:25
	s_waitcnt lgkmcnt(0)
	v_mul_f64 v[180:181], v[230:231], v[182:183]
	v_mul_f64 v[212:213], v[228:229], v[182:183]
	s_delay_alu instid0(VALU_DEP_2) | instskip(NEXT) | instid1(VALU_DEP_2)
	v_fma_f64 v[180:181], v[228:229], v[236:237], -v[180:181]
	v_fma_f64 v[212:213], v[230:231], v[236:237], v[212:213]
	ds_load_2addr_b64 v[228:231], v238 offset0:26 offset1:27
	v_add_f64 v[176:177], v[176:177], -v[180:181]
	v_add_f64 v[178:179], v[178:179], -v[212:213]
	s_waitcnt lgkmcnt(0)
	v_mul_f64 v[180:181], v[230:231], v[182:183]
	v_mul_f64 v[212:213], v[228:229], v[182:183]
	s_delay_alu instid0(VALU_DEP_2) | instskip(NEXT) | instid1(VALU_DEP_2)
	v_fma_f64 v[180:181], v[228:229], v[236:237], -v[180:181]
	v_fma_f64 v[212:213], v[230:231], v[236:237], v[212:213]
	ds_load_2addr_b64 v[228:231], v238 offset0:28 offset1:29
	v_add_f64 v[172:173], v[172:173], -v[180:181]
	v_add_f64 v[174:175], v[174:175], -v[212:213]
	;; [unrolled: 9-line block ×44, first 2 shown]
	s_waitcnt lgkmcnt(0)
	v_mul_f64 v[180:181], v[230:231], v[182:183]
	v_mul_f64 v[212:213], v[228:229], v[182:183]
	s_delay_alu instid0(VALU_DEP_2) | instskip(NEXT) | instid1(VALU_DEP_2)
	v_fma_f64 v[180:181], v[228:229], v[236:237], -v[180:181]
	v_fma_f64 v[212:213], v[230:231], v[236:237], v[212:213]
	s_delay_alu instid0(VALU_DEP_2) | instskip(NEXT) | instid1(VALU_DEP_2)
	v_add_f64 v[0:1], v[0:1], -v[180:181]
	v_add_f64 v[2:3], v[2:3], -v[212:213]
	v_dual_mov_b32 v180, v236 :: v_dual_mov_b32 v181, v237
.LBB112_251:
	s_or_b32 exec_lo, exec_lo, s2
	v_lshl_add_u32 v212, v244, 4, v238
	s_barrier
	buffer_gl0_inv
	v_mov_b32_e32 v236, 12
	ds_store_2addr_b64 v212, v[176:177], v[178:179] offset1:1
	s_waitcnt lgkmcnt(0)
	s_barrier
	buffer_gl0_inv
	ds_load_2addr_b64 v[228:231], v238 offset0:24 offset1:25
	s_cmp_lt_i32 s12, 14
	s_cbranch_scc1 .LBB112_254
; %bb.252:
	v_add3_u32 v237, v242, 0, 0xd0
	v_mov_b32_e32 v236, 12
	s_mov_b32 s6, 13
	s_set_inst_prefetch_distance 0x1
	.p2align	6
.LBB112_253:                            ; =>This Inner Loop Header: Depth=1
	ds_load_2addr_b64 v[245:248], v237 offset1:1
	s_waitcnt lgkmcnt(1)
	v_cmp_gt_f64_e32 vcc_lo, 0, v[228:229]
	v_cmp_gt_f64_e64 s2, 0, v[230:231]
	v_xor_b32_e32 v213, 0x80000000, v229
	v_xor_b32_e32 v215, 0x80000000, v231
	v_add_nc_u32_e32 v237, 16, v237
	s_waitcnt lgkmcnt(0)
	v_cmp_gt_f64_e64 s3, 0, v[245:246]
	v_cmp_gt_f64_e64 s4, 0, v[247:248]
	v_xor_b32_e32 v219, 0x80000000, v246
	v_mov_b32_e32 v212, v245
	v_xor_b32_e32 v220, 0x80000000, v248
	v_mov_b32_e32 v214, v247
	v_cndmask_b32_e32 v216, v229, v213, vcc_lo
	v_cndmask_b32_e64 v218, v231, v215, s2
	v_cndmask_b32_e32 v215, v228, v228, vcc_lo
	v_cndmask_b32_e64 v217, v230, v230, s2
	s_delay_alu instid0(VALU_DEP_1) | instskip(SKIP_2) | instid1(VALU_DEP_1)
	v_add_f64 v[216:217], v[215:216], v[217:218]
	v_cndmask_b32_e64 v213, v246, v219, s3
	v_cndmask_b32_e64 v215, v248, v220, s4
	v_add_f64 v[212:213], v[212:213], v[214:215]
	s_delay_alu instid0(VALU_DEP_1)
	v_cmp_lt_f64_e32 vcc_lo, v[216:217], v[212:213]
	v_cndmask_b32_e32 v231, v231, v248, vcc_lo
	v_dual_cndmask_b32 v229, v229, v246 :: v_dual_cndmask_b32 v228, v228, v245
	v_cndmask_b32_e32 v230, v230, v247, vcc_lo
	v_cndmask_b32_e64 v236, v236, s6, vcc_lo
	s_add_i32 s6, s6, 1
	s_delay_alu instid0(SALU_CYCLE_1)
	s_cmp_lg_u32 s12, s6
	s_cbranch_scc1 .LBB112_253
.LBB112_254:
	s_set_inst_prefetch_distance 0x2
	s_waitcnt lgkmcnt(0)
	v_cmp_eq_f64_e32 vcc_lo, 0, v[228:229]
	v_cmp_eq_f64_e64 s2, 0, v[230:231]
	s_delay_alu instid0(VALU_DEP_1) | instskip(NEXT) | instid1(SALU_CYCLE_1)
	s_and_b32 s2, vcc_lo, s2
	s_and_saveexec_b32 s3, s2
	s_delay_alu instid0(SALU_CYCLE_1)
	s_xor_b32 s2, exec_lo, s3
; %bb.255:
	v_cmp_ne_u32_e32 vcc_lo, 0, v241
	v_cndmask_b32_e32 v241, 13, v241, vcc_lo
; %bb.256:
	s_and_not1_saveexec_b32 s3, s2
	s_cbranch_execz .LBB112_262
; %bb.257:
	v_cmp_gt_f64_e32 vcc_lo, 0, v[228:229]
	v_cmp_gt_f64_e64 s2, 0, v[230:231]
	v_xor_b32_e32 v212, 0x80000000, v229
	v_xor_b32_e32 v214, 0x80000000, v231
	s_delay_alu instid0(VALU_DEP_2) | instskip(NEXT) | instid1(VALU_DEP_2)
	v_cndmask_b32_e32 v213, v229, v212, vcc_lo
	v_cndmask_b32_e64 v215, v231, v214, s2
	v_cndmask_b32_e32 v212, v228, v228, vcc_lo
	v_cndmask_b32_e64 v214, v230, v230, s2
	s_mov_b32 s2, exec_lo
	s_delay_alu instid0(VALU_DEP_1)
	v_cmpx_ngt_f64_e32 v[212:213], v[214:215]
	s_xor_b32 s2, exec_lo, s2
	s_cbranch_execz .LBB112_259
; %bb.258:
	v_div_scale_f64 v[212:213], null, v[230:231], v[230:231], v[228:229]
	v_div_scale_f64 v[218:219], vcc_lo, v[228:229], v[230:231], v[228:229]
	s_delay_alu instid0(VALU_DEP_2) | instskip(SKIP_2) | instid1(VALU_DEP_1)
	v_rcp_f64_e32 v[214:215], v[212:213]
	s_waitcnt_depctr 0xfff
	v_fma_f64 v[216:217], -v[212:213], v[214:215], 1.0
	v_fma_f64 v[214:215], v[214:215], v[216:217], v[214:215]
	s_delay_alu instid0(VALU_DEP_1) | instskip(NEXT) | instid1(VALU_DEP_1)
	v_fma_f64 v[216:217], -v[212:213], v[214:215], 1.0
	v_fma_f64 v[214:215], v[214:215], v[216:217], v[214:215]
	s_delay_alu instid0(VALU_DEP_1) | instskip(NEXT) | instid1(VALU_DEP_1)
	v_mul_f64 v[216:217], v[218:219], v[214:215]
	v_fma_f64 v[212:213], -v[212:213], v[216:217], v[218:219]
	s_delay_alu instid0(VALU_DEP_1) | instskip(NEXT) | instid1(VALU_DEP_1)
	v_div_fmas_f64 v[212:213], v[212:213], v[214:215], v[216:217]
	v_div_fixup_f64 v[212:213], v[212:213], v[230:231], v[228:229]
	s_delay_alu instid0(VALU_DEP_1) | instskip(NEXT) | instid1(VALU_DEP_1)
	v_fma_f64 v[214:215], v[228:229], v[212:213], v[230:231]
	v_div_scale_f64 v[216:217], null, v[214:215], v[214:215], 1.0
	s_delay_alu instid0(VALU_DEP_1) | instskip(SKIP_2) | instid1(VALU_DEP_1)
	v_rcp_f64_e32 v[218:219], v[216:217]
	s_waitcnt_depctr 0xfff
	v_fma_f64 v[220:221], -v[216:217], v[218:219], 1.0
	v_fma_f64 v[218:219], v[218:219], v[220:221], v[218:219]
	s_delay_alu instid0(VALU_DEP_1) | instskip(NEXT) | instid1(VALU_DEP_1)
	v_fma_f64 v[220:221], -v[216:217], v[218:219], 1.0
	v_fma_f64 v[218:219], v[218:219], v[220:221], v[218:219]
	v_div_scale_f64 v[220:221], vcc_lo, 1.0, v[214:215], 1.0
	s_delay_alu instid0(VALU_DEP_1) | instskip(NEXT) | instid1(VALU_DEP_1)
	v_mul_f64 v[222:223], v[220:221], v[218:219]
	v_fma_f64 v[216:217], -v[216:217], v[222:223], v[220:221]
	s_delay_alu instid0(VALU_DEP_1) | instskip(NEXT) | instid1(VALU_DEP_1)
	v_div_fmas_f64 v[216:217], v[216:217], v[218:219], v[222:223]
	v_div_fixup_f64 v[230:231], v[216:217], v[214:215], 1.0
	s_delay_alu instid0(VALU_DEP_1)
	v_mul_f64 v[228:229], v[212:213], v[230:231]
	v_xor_b32_e32 v231, 0x80000000, v231
.LBB112_259:
	s_and_not1_saveexec_b32 s2, s2
	s_cbranch_execz .LBB112_261
; %bb.260:
	s_delay_alu instid0(VALU_DEP_1) | instskip(SKIP_1) | instid1(VALU_DEP_2)
	v_div_scale_f64 v[212:213], null, v[228:229], v[228:229], v[230:231]
	v_div_scale_f64 v[218:219], vcc_lo, v[230:231], v[228:229], v[230:231]
	v_rcp_f64_e32 v[214:215], v[212:213]
	s_waitcnt_depctr 0xfff
	v_fma_f64 v[216:217], -v[212:213], v[214:215], 1.0
	s_delay_alu instid0(VALU_DEP_1) | instskip(NEXT) | instid1(VALU_DEP_1)
	v_fma_f64 v[214:215], v[214:215], v[216:217], v[214:215]
	v_fma_f64 v[216:217], -v[212:213], v[214:215], 1.0
	s_delay_alu instid0(VALU_DEP_1) | instskip(NEXT) | instid1(VALU_DEP_1)
	v_fma_f64 v[214:215], v[214:215], v[216:217], v[214:215]
	v_mul_f64 v[216:217], v[218:219], v[214:215]
	s_delay_alu instid0(VALU_DEP_1) | instskip(NEXT) | instid1(VALU_DEP_1)
	v_fma_f64 v[212:213], -v[212:213], v[216:217], v[218:219]
	v_div_fmas_f64 v[212:213], v[212:213], v[214:215], v[216:217]
	s_delay_alu instid0(VALU_DEP_1) | instskip(NEXT) | instid1(VALU_DEP_1)
	v_div_fixup_f64 v[212:213], v[212:213], v[228:229], v[230:231]
	v_fma_f64 v[214:215], v[230:231], v[212:213], v[228:229]
	s_delay_alu instid0(VALU_DEP_1) | instskip(NEXT) | instid1(VALU_DEP_1)
	v_div_scale_f64 v[216:217], null, v[214:215], v[214:215], 1.0
	v_rcp_f64_e32 v[218:219], v[216:217]
	s_waitcnt_depctr 0xfff
	v_fma_f64 v[220:221], -v[216:217], v[218:219], 1.0
	s_delay_alu instid0(VALU_DEP_1) | instskip(NEXT) | instid1(VALU_DEP_1)
	v_fma_f64 v[218:219], v[218:219], v[220:221], v[218:219]
	v_fma_f64 v[220:221], -v[216:217], v[218:219], 1.0
	s_delay_alu instid0(VALU_DEP_1) | instskip(SKIP_1) | instid1(VALU_DEP_1)
	v_fma_f64 v[218:219], v[218:219], v[220:221], v[218:219]
	v_div_scale_f64 v[220:221], vcc_lo, 1.0, v[214:215], 1.0
	v_mul_f64 v[222:223], v[220:221], v[218:219]
	s_delay_alu instid0(VALU_DEP_1) | instskip(NEXT) | instid1(VALU_DEP_1)
	v_fma_f64 v[216:217], -v[216:217], v[222:223], v[220:221]
	v_div_fmas_f64 v[216:217], v[216:217], v[218:219], v[222:223]
	s_delay_alu instid0(VALU_DEP_1) | instskip(NEXT) | instid1(VALU_DEP_1)
	v_div_fixup_f64 v[228:229], v[216:217], v[214:215], 1.0
	v_mul_f64 v[230:231], v[212:213], -v[228:229]
.LBB112_261:
	s_or_b32 exec_lo, exec_lo, s2
.LBB112_262:
	s_delay_alu instid0(SALU_CYCLE_1) | instskip(NEXT) | instid1(SALU_CYCLE_1)
	s_or_b32 exec_lo, exec_lo, s3
	s_mov_b32 s2, exec_lo
	v_cmpx_ne_u32_e64 v244, v236
	s_xor_b32 s2, exec_lo, s2
	s_cbranch_execz .LBB112_268
; %bb.263:
	s_mov_b32 s3, exec_lo
	v_cmpx_eq_u32_e32 12, v244
	s_cbranch_execz .LBB112_267
; %bb.264:
	v_cmp_ne_u32_e32 vcc_lo, 12, v236
	s_xor_b32 s4, s5, -1
	s_delay_alu instid0(SALU_CYCLE_1) | instskip(NEXT) | instid1(SALU_CYCLE_1)
	s_and_b32 s6, s4, vcc_lo
	s_and_saveexec_b32 s4, s6
	s_cbranch_execz .LBB112_266
; %bb.265:
	scratch_load_b64 v[10:11], off, off     ; 8-byte Folded Reload
	v_ashrrev_i32_e32 v237, 31, v236
	s_delay_alu instid0(VALU_DEP_1) | instskip(SKIP_1) | instid1(VALU_DEP_1)
	v_lshlrev_b64 v[212:213], 2, v[236:237]
	s_waitcnt vmcnt(0)
	v_add_co_u32 v212, vcc_lo, v10, v212
	s_delay_alu instid0(VALU_DEP_2)
	v_add_co_ci_u32_e32 v213, vcc_lo, v11, v213, vcc_lo
	s_clause 0x1
	flat_load_b32 v214, v[212:213]
	flat_load_b32 v215, v[10:11] offset:48
	s_waitcnt vmcnt(1) lgkmcnt(1)
	flat_store_b32 v[10:11], v214 offset:48
	s_waitcnt vmcnt(0) lgkmcnt(1)
	flat_store_b32 v[212:213], v215
.LBB112_266:
	s_or_b32 exec_lo, exec_lo, s4
	v_mov_b32_e32 v244, v236
	v_mov_b32_e32 v243, v236
.LBB112_267:
	s_or_b32 exec_lo, exec_lo, s3
.LBB112_268:
	s_and_not1_saveexec_b32 s2, s2
	s_cbranch_execz .LBB112_270
; %bb.269:
	v_mov_b32_e32 v244, 12
	ds_store_2addr_b64 v238, v[172:173], v[174:175] offset0:26 offset1:27
	ds_store_2addr_b64 v238, v[168:169], v[170:171] offset0:28 offset1:29
	ds_store_2addr_b64 v238, v[164:165], v[166:167] offset0:30 offset1:31
	ds_store_2addr_b64 v238, v[160:161], v[162:163] offset0:32 offset1:33
	ds_store_2addr_b64 v238, v[156:157], v[158:159] offset0:34 offset1:35
	ds_store_2addr_b64 v238, v[152:153], v[154:155] offset0:36 offset1:37
	ds_store_2addr_b64 v238, v[148:149], v[150:151] offset0:38 offset1:39
	ds_store_2addr_b64 v238, v[144:145], v[146:147] offset0:40 offset1:41
	ds_store_2addr_b64 v238, v[140:141], v[142:143] offset0:42 offset1:43
	ds_store_2addr_b64 v238, v[136:137], v[138:139] offset0:44 offset1:45
	ds_store_2addr_b64 v238, v[132:133], v[134:135] offset0:46 offset1:47
	ds_store_2addr_b64 v238, v[128:129], v[130:131] offset0:48 offset1:49
	ds_store_2addr_b64 v238, v[124:125], v[126:127] offset0:50 offset1:51
	ds_store_2addr_b64 v238, v[120:121], v[122:123] offset0:52 offset1:53
	ds_store_2addr_b64 v238, v[116:117], v[118:119] offset0:54 offset1:55
	ds_store_2addr_b64 v238, v[112:113], v[114:115] offset0:56 offset1:57
	ds_store_2addr_b64 v238, v[108:109], v[110:111] offset0:58 offset1:59
	ds_store_2addr_b64 v238, v[104:105], v[106:107] offset0:60 offset1:61
	ds_store_2addr_b64 v238, v[100:101], v[102:103] offset0:62 offset1:63
	ds_store_2addr_b64 v238, v[96:97], v[98:99] offset0:64 offset1:65
	ds_store_2addr_b64 v238, v[92:93], v[94:95] offset0:66 offset1:67
	ds_store_2addr_b64 v238, v[88:89], v[90:91] offset0:68 offset1:69
	ds_store_2addr_b64 v238, v[84:85], v[86:87] offset0:70 offset1:71
	ds_store_2addr_b64 v238, v[80:81], v[82:83] offset0:72 offset1:73
	ds_store_2addr_b64 v238, v[76:77], v[78:79] offset0:74 offset1:75
	ds_store_2addr_b64 v238, v[72:73], v[74:75] offset0:76 offset1:77
	ds_store_2addr_b64 v238, v[68:69], v[70:71] offset0:78 offset1:79
	ds_store_2addr_b64 v238, v[64:65], v[66:67] offset0:80 offset1:81
	ds_store_2addr_b64 v238, v[60:61], v[62:63] offset0:82 offset1:83
	ds_store_2addr_b64 v238, v[56:57], v[58:59] offset0:84 offset1:85
	ds_store_2addr_b64 v238, v[52:53], v[54:55] offset0:86 offset1:87
	ds_store_2addr_b64 v238, v[48:49], v[50:51] offset0:88 offset1:89
	ds_store_2addr_b64 v238, v[44:45], v[46:47] offset0:90 offset1:91
	ds_store_2addr_b64 v238, v[40:41], v[42:43] offset0:92 offset1:93
	ds_store_2addr_b64 v238, v[36:37], v[38:39] offset0:94 offset1:95
	ds_store_2addr_b64 v238, v[32:33], v[34:35] offset0:96 offset1:97
	ds_store_2addr_b64 v238, v[28:29], v[30:31] offset0:98 offset1:99
	ds_store_2addr_b64 v238, v[24:25], v[26:27] offset0:100 offset1:101
	ds_store_2addr_b64 v238, v[20:21], v[22:23] offset0:102 offset1:103
	ds_store_2addr_b64 v238, v[16:17], v[18:19] offset0:104 offset1:105
	ds_store_2addr_b64 v238, v[12:13], v[14:15] offset0:106 offset1:107
	ds_store_2addr_b64 v238, v[224:225], v[226:227] offset0:108 offset1:109
	ds_store_2addr_b64 v238, v[250:251], v[252:253] offset0:110 offset1:111
	ds_store_2addr_b64 v238, v[0:1], v[2:3] offset0:112 offset1:113
.LBB112_270:
	s_or_b32 exec_lo, exec_lo, s2
	s_delay_alu instid0(SALU_CYCLE_1)
	s_mov_b32 s2, exec_lo
	s_waitcnt lgkmcnt(0)
	s_waitcnt_vscnt null, 0x0
	s_barrier
	buffer_gl0_inv
	v_cmpx_lt_i32_e32 12, v244
	s_cbranch_execz .LBB112_272
; %bb.271:
	v_mul_f64 v[212:213], v[230:231], v[178:179]
	v_mul_f64 v[178:179], v[228:229], v[178:179]
	s_delay_alu instid0(VALU_DEP_2) | instskip(NEXT) | instid1(VALU_DEP_2)
	v_fma_f64 v[236:237], v[228:229], v[176:177], -v[212:213]
	v_fma_f64 v[178:179], v[230:231], v[176:177], v[178:179]
	ds_load_2addr_b64 v[228:231], v238 offset0:26 offset1:27
	s_waitcnt lgkmcnt(0)
	v_mul_f64 v[176:177], v[230:231], v[178:179]
	v_mul_f64 v[212:213], v[228:229], v[178:179]
	s_delay_alu instid0(VALU_DEP_2) | instskip(NEXT) | instid1(VALU_DEP_2)
	v_fma_f64 v[176:177], v[228:229], v[236:237], -v[176:177]
	v_fma_f64 v[212:213], v[230:231], v[236:237], v[212:213]
	ds_load_2addr_b64 v[228:231], v238 offset0:28 offset1:29
	v_add_f64 v[172:173], v[172:173], -v[176:177]
	v_add_f64 v[174:175], v[174:175], -v[212:213]
	s_waitcnt lgkmcnt(0)
	v_mul_f64 v[176:177], v[230:231], v[178:179]
	v_mul_f64 v[212:213], v[228:229], v[178:179]
	s_delay_alu instid0(VALU_DEP_2) | instskip(NEXT) | instid1(VALU_DEP_2)
	v_fma_f64 v[176:177], v[228:229], v[236:237], -v[176:177]
	v_fma_f64 v[212:213], v[230:231], v[236:237], v[212:213]
	ds_load_2addr_b64 v[228:231], v238 offset0:30 offset1:31
	v_add_f64 v[168:169], v[168:169], -v[176:177]
	v_add_f64 v[170:171], v[170:171], -v[212:213]
	s_waitcnt lgkmcnt(0)
	v_mul_f64 v[176:177], v[230:231], v[178:179]
	v_mul_f64 v[212:213], v[228:229], v[178:179]
	s_delay_alu instid0(VALU_DEP_2) | instskip(NEXT) | instid1(VALU_DEP_2)
	v_fma_f64 v[176:177], v[228:229], v[236:237], -v[176:177]
	v_fma_f64 v[212:213], v[230:231], v[236:237], v[212:213]
	ds_load_2addr_b64 v[228:231], v238 offset0:32 offset1:33
	v_add_f64 v[164:165], v[164:165], -v[176:177]
	v_add_f64 v[166:167], v[166:167], -v[212:213]
	s_waitcnt lgkmcnt(0)
	v_mul_f64 v[176:177], v[230:231], v[178:179]
	v_mul_f64 v[212:213], v[228:229], v[178:179]
	s_delay_alu instid0(VALU_DEP_2) | instskip(NEXT) | instid1(VALU_DEP_2)
	v_fma_f64 v[176:177], v[228:229], v[236:237], -v[176:177]
	v_fma_f64 v[212:213], v[230:231], v[236:237], v[212:213]
	ds_load_2addr_b64 v[228:231], v238 offset0:34 offset1:35
	v_add_f64 v[160:161], v[160:161], -v[176:177]
	v_add_f64 v[162:163], v[162:163], -v[212:213]
	s_waitcnt lgkmcnt(0)
	v_mul_f64 v[176:177], v[230:231], v[178:179]
	v_mul_f64 v[212:213], v[228:229], v[178:179]
	s_delay_alu instid0(VALU_DEP_2) | instskip(NEXT) | instid1(VALU_DEP_2)
	v_fma_f64 v[176:177], v[228:229], v[236:237], -v[176:177]
	v_fma_f64 v[212:213], v[230:231], v[236:237], v[212:213]
	ds_load_2addr_b64 v[228:231], v238 offset0:36 offset1:37
	v_add_f64 v[156:157], v[156:157], -v[176:177]
	v_add_f64 v[158:159], v[158:159], -v[212:213]
	s_waitcnt lgkmcnt(0)
	v_mul_f64 v[176:177], v[230:231], v[178:179]
	v_mul_f64 v[212:213], v[228:229], v[178:179]
	s_delay_alu instid0(VALU_DEP_2) | instskip(NEXT) | instid1(VALU_DEP_2)
	v_fma_f64 v[176:177], v[228:229], v[236:237], -v[176:177]
	v_fma_f64 v[212:213], v[230:231], v[236:237], v[212:213]
	ds_load_2addr_b64 v[228:231], v238 offset0:38 offset1:39
	v_add_f64 v[152:153], v[152:153], -v[176:177]
	v_add_f64 v[154:155], v[154:155], -v[212:213]
	s_waitcnt lgkmcnt(0)
	v_mul_f64 v[176:177], v[230:231], v[178:179]
	v_mul_f64 v[212:213], v[228:229], v[178:179]
	s_delay_alu instid0(VALU_DEP_2) | instskip(NEXT) | instid1(VALU_DEP_2)
	v_fma_f64 v[176:177], v[228:229], v[236:237], -v[176:177]
	v_fma_f64 v[212:213], v[230:231], v[236:237], v[212:213]
	ds_load_2addr_b64 v[228:231], v238 offset0:40 offset1:41
	v_add_f64 v[148:149], v[148:149], -v[176:177]
	v_add_f64 v[150:151], v[150:151], -v[212:213]
	s_waitcnt lgkmcnt(0)
	v_mul_f64 v[176:177], v[230:231], v[178:179]
	v_mul_f64 v[212:213], v[228:229], v[178:179]
	s_delay_alu instid0(VALU_DEP_2) | instskip(NEXT) | instid1(VALU_DEP_2)
	v_fma_f64 v[176:177], v[228:229], v[236:237], -v[176:177]
	v_fma_f64 v[212:213], v[230:231], v[236:237], v[212:213]
	ds_load_2addr_b64 v[228:231], v238 offset0:42 offset1:43
	v_add_f64 v[144:145], v[144:145], -v[176:177]
	v_add_f64 v[146:147], v[146:147], -v[212:213]
	s_waitcnt lgkmcnt(0)
	v_mul_f64 v[176:177], v[230:231], v[178:179]
	v_mul_f64 v[212:213], v[228:229], v[178:179]
	s_delay_alu instid0(VALU_DEP_2) | instskip(NEXT) | instid1(VALU_DEP_2)
	v_fma_f64 v[176:177], v[228:229], v[236:237], -v[176:177]
	v_fma_f64 v[212:213], v[230:231], v[236:237], v[212:213]
	ds_load_2addr_b64 v[228:231], v238 offset0:44 offset1:45
	v_add_f64 v[140:141], v[140:141], -v[176:177]
	v_add_f64 v[142:143], v[142:143], -v[212:213]
	s_waitcnt lgkmcnt(0)
	v_mul_f64 v[176:177], v[230:231], v[178:179]
	v_mul_f64 v[212:213], v[228:229], v[178:179]
	s_delay_alu instid0(VALU_DEP_2) | instskip(NEXT) | instid1(VALU_DEP_2)
	v_fma_f64 v[176:177], v[228:229], v[236:237], -v[176:177]
	v_fma_f64 v[212:213], v[230:231], v[236:237], v[212:213]
	ds_load_2addr_b64 v[228:231], v238 offset0:46 offset1:47
	v_add_f64 v[136:137], v[136:137], -v[176:177]
	v_add_f64 v[138:139], v[138:139], -v[212:213]
	s_waitcnt lgkmcnt(0)
	v_mul_f64 v[176:177], v[230:231], v[178:179]
	v_mul_f64 v[212:213], v[228:229], v[178:179]
	s_delay_alu instid0(VALU_DEP_2) | instskip(NEXT) | instid1(VALU_DEP_2)
	v_fma_f64 v[176:177], v[228:229], v[236:237], -v[176:177]
	v_fma_f64 v[212:213], v[230:231], v[236:237], v[212:213]
	ds_load_2addr_b64 v[228:231], v238 offset0:48 offset1:49
	v_add_f64 v[132:133], v[132:133], -v[176:177]
	v_add_f64 v[134:135], v[134:135], -v[212:213]
	s_waitcnt lgkmcnt(0)
	v_mul_f64 v[176:177], v[230:231], v[178:179]
	v_mul_f64 v[212:213], v[228:229], v[178:179]
	s_delay_alu instid0(VALU_DEP_2) | instskip(NEXT) | instid1(VALU_DEP_2)
	v_fma_f64 v[176:177], v[228:229], v[236:237], -v[176:177]
	v_fma_f64 v[212:213], v[230:231], v[236:237], v[212:213]
	ds_load_2addr_b64 v[228:231], v238 offset0:50 offset1:51
	v_add_f64 v[128:129], v[128:129], -v[176:177]
	v_add_f64 v[130:131], v[130:131], -v[212:213]
	s_waitcnt lgkmcnt(0)
	v_mul_f64 v[176:177], v[230:231], v[178:179]
	v_mul_f64 v[212:213], v[228:229], v[178:179]
	s_delay_alu instid0(VALU_DEP_2) | instskip(NEXT) | instid1(VALU_DEP_2)
	v_fma_f64 v[176:177], v[228:229], v[236:237], -v[176:177]
	v_fma_f64 v[212:213], v[230:231], v[236:237], v[212:213]
	ds_load_2addr_b64 v[228:231], v238 offset0:52 offset1:53
	v_add_f64 v[124:125], v[124:125], -v[176:177]
	v_add_f64 v[126:127], v[126:127], -v[212:213]
	s_waitcnt lgkmcnt(0)
	v_mul_f64 v[176:177], v[230:231], v[178:179]
	v_mul_f64 v[212:213], v[228:229], v[178:179]
	s_delay_alu instid0(VALU_DEP_2) | instskip(NEXT) | instid1(VALU_DEP_2)
	v_fma_f64 v[176:177], v[228:229], v[236:237], -v[176:177]
	v_fma_f64 v[212:213], v[230:231], v[236:237], v[212:213]
	ds_load_2addr_b64 v[228:231], v238 offset0:54 offset1:55
	v_add_f64 v[120:121], v[120:121], -v[176:177]
	v_add_f64 v[122:123], v[122:123], -v[212:213]
	s_waitcnt lgkmcnt(0)
	v_mul_f64 v[176:177], v[230:231], v[178:179]
	v_mul_f64 v[212:213], v[228:229], v[178:179]
	s_delay_alu instid0(VALU_DEP_2) | instskip(NEXT) | instid1(VALU_DEP_2)
	v_fma_f64 v[176:177], v[228:229], v[236:237], -v[176:177]
	v_fma_f64 v[212:213], v[230:231], v[236:237], v[212:213]
	ds_load_2addr_b64 v[228:231], v238 offset0:56 offset1:57
	v_add_f64 v[116:117], v[116:117], -v[176:177]
	v_add_f64 v[118:119], v[118:119], -v[212:213]
	s_waitcnt lgkmcnt(0)
	v_mul_f64 v[176:177], v[230:231], v[178:179]
	v_mul_f64 v[212:213], v[228:229], v[178:179]
	s_delay_alu instid0(VALU_DEP_2) | instskip(NEXT) | instid1(VALU_DEP_2)
	v_fma_f64 v[176:177], v[228:229], v[236:237], -v[176:177]
	v_fma_f64 v[212:213], v[230:231], v[236:237], v[212:213]
	ds_load_2addr_b64 v[228:231], v238 offset0:58 offset1:59
	v_add_f64 v[112:113], v[112:113], -v[176:177]
	v_add_f64 v[114:115], v[114:115], -v[212:213]
	s_waitcnt lgkmcnt(0)
	v_mul_f64 v[176:177], v[230:231], v[178:179]
	v_mul_f64 v[212:213], v[228:229], v[178:179]
	s_delay_alu instid0(VALU_DEP_2) | instskip(NEXT) | instid1(VALU_DEP_2)
	v_fma_f64 v[176:177], v[228:229], v[236:237], -v[176:177]
	v_fma_f64 v[212:213], v[230:231], v[236:237], v[212:213]
	ds_load_2addr_b64 v[228:231], v238 offset0:60 offset1:61
	v_add_f64 v[108:109], v[108:109], -v[176:177]
	v_add_f64 v[110:111], v[110:111], -v[212:213]
	s_waitcnt lgkmcnt(0)
	v_mul_f64 v[176:177], v[230:231], v[178:179]
	v_mul_f64 v[212:213], v[228:229], v[178:179]
	s_delay_alu instid0(VALU_DEP_2) | instskip(NEXT) | instid1(VALU_DEP_2)
	v_fma_f64 v[176:177], v[228:229], v[236:237], -v[176:177]
	v_fma_f64 v[212:213], v[230:231], v[236:237], v[212:213]
	ds_load_2addr_b64 v[228:231], v238 offset0:62 offset1:63
	v_add_f64 v[104:105], v[104:105], -v[176:177]
	v_add_f64 v[106:107], v[106:107], -v[212:213]
	s_waitcnt lgkmcnt(0)
	v_mul_f64 v[176:177], v[230:231], v[178:179]
	v_mul_f64 v[212:213], v[228:229], v[178:179]
	s_delay_alu instid0(VALU_DEP_2) | instskip(NEXT) | instid1(VALU_DEP_2)
	v_fma_f64 v[176:177], v[228:229], v[236:237], -v[176:177]
	v_fma_f64 v[212:213], v[230:231], v[236:237], v[212:213]
	ds_load_2addr_b64 v[228:231], v238 offset0:64 offset1:65
	v_add_f64 v[100:101], v[100:101], -v[176:177]
	v_add_f64 v[102:103], v[102:103], -v[212:213]
	s_waitcnt lgkmcnt(0)
	v_mul_f64 v[176:177], v[230:231], v[178:179]
	v_mul_f64 v[212:213], v[228:229], v[178:179]
	s_delay_alu instid0(VALU_DEP_2) | instskip(NEXT) | instid1(VALU_DEP_2)
	v_fma_f64 v[176:177], v[228:229], v[236:237], -v[176:177]
	v_fma_f64 v[212:213], v[230:231], v[236:237], v[212:213]
	ds_load_2addr_b64 v[228:231], v238 offset0:66 offset1:67
	v_add_f64 v[96:97], v[96:97], -v[176:177]
	v_add_f64 v[98:99], v[98:99], -v[212:213]
	s_waitcnt lgkmcnt(0)
	v_mul_f64 v[176:177], v[230:231], v[178:179]
	v_mul_f64 v[212:213], v[228:229], v[178:179]
	s_delay_alu instid0(VALU_DEP_2) | instskip(NEXT) | instid1(VALU_DEP_2)
	v_fma_f64 v[176:177], v[228:229], v[236:237], -v[176:177]
	v_fma_f64 v[212:213], v[230:231], v[236:237], v[212:213]
	ds_load_2addr_b64 v[228:231], v238 offset0:68 offset1:69
	v_add_f64 v[92:93], v[92:93], -v[176:177]
	v_add_f64 v[94:95], v[94:95], -v[212:213]
	s_waitcnt lgkmcnt(0)
	v_mul_f64 v[176:177], v[230:231], v[178:179]
	v_mul_f64 v[212:213], v[228:229], v[178:179]
	s_delay_alu instid0(VALU_DEP_2) | instskip(NEXT) | instid1(VALU_DEP_2)
	v_fma_f64 v[176:177], v[228:229], v[236:237], -v[176:177]
	v_fma_f64 v[212:213], v[230:231], v[236:237], v[212:213]
	ds_load_2addr_b64 v[228:231], v238 offset0:70 offset1:71
	v_add_f64 v[88:89], v[88:89], -v[176:177]
	v_add_f64 v[90:91], v[90:91], -v[212:213]
	s_waitcnt lgkmcnt(0)
	v_mul_f64 v[176:177], v[230:231], v[178:179]
	v_mul_f64 v[212:213], v[228:229], v[178:179]
	s_delay_alu instid0(VALU_DEP_2) | instskip(NEXT) | instid1(VALU_DEP_2)
	v_fma_f64 v[176:177], v[228:229], v[236:237], -v[176:177]
	v_fma_f64 v[212:213], v[230:231], v[236:237], v[212:213]
	ds_load_2addr_b64 v[228:231], v238 offset0:72 offset1:73
	v_add_f64 v[84:85], v[84:85], -v[176:177]
	v_add_f64 v[86:87], v[86:87], -v[212:213]
	s_waitcnt lgkmcnt(0)
	v_mul_f64 v[176:177], v[230:231], v[178:179]
	v_mul_f64 v[212:213], v[228:229], v[178:179]
	s_delay_alu instid0(VALU_DEP_2) | instskip(NEXT) | instid1(VALU_DEP_2)
	v_fma_f64 v[176:177], v[228:229], v[236:237], -v[176:177]
	v_fma_f64 v[212:213], v[230:231], v[236:237], v[212:213]
	ds_load_2addr_b64 v[228:231], v238 offset0:74 offset1:75
	v_add_f64 v[80:81], v[80:81], -v[176:177]
	v_add_f64 v[82:83], v[82:83], -v[212:213]
	s_waitcnt lgkmcnt(0)
	v_mul_f64 v[176:177], v[230:231], v[178:179]
	v_mul_f64 v[212:213], v[228:229], v[178:179]
	s_delay_alu instid0(VALU_DEP_2) | instskip(NEXT) | instid1(VALU_DEP_2)
	v_fma_f64 v[176:177], v[228:229], v[236:237], -v[176:177]
	v_fma_f64 v[212:213], v[230:231], v[236:237], v[212:213]
	ds_load_2addr_b64 v[228:231], v238 offset0:76 offset1:77
	v_add_f64 v[76:77], v[76:77], -v[176:177]
	v_add_f64 v[78:79], v[78:79], -v[212:213]
	s_waitcnt lgkmcnt(0)
	v_mul_f64 v[176:177], v[230:231], v[178:179]
	v_mul_f64 v[212:213], v[228:229], v[178:179]
	s_delay_alu instid0(VALU_DEP_2) | instskip(NEXT) | instid1(VALU_DEP_2)
	v_fma_f64 v[176:177], v[228:229], v[236:237], -v[176:177]
	v_fma_f64 v[212:213], v[230:231], v[236:237], v[212:213]
	ds_load_2addr_b64 v[228:231], v238 offset0:78 offset1:79
	v_add_f64 v[72:73], v[72:73], -v[176:177]
	v_add_f64 v[74:75], v[74:75], -v[212:213]
	s_waitcnt lgkmcnt(0)
	v_mul_f64 v[176:177], v[230:231], v[178:179]
	v_mul_f64 v[212:213], v[228:229], v[178:179]
	s_delay_alu instid0(VALU_DEP_2) | instskip(NEXT) | instid1(VALU_DEP_2)
	v_fma_f64 v[176:177], v[228:229], v[236:237], -v[176:177]
	v_fma_f64 v[212:213], v[230:231], v[236:237], v[212:213]
	ds_load_2addr_b64 v[228:231], v238 offset0:80 offset1:81
	v_add_f64 v[68:69], v[68:69], -v[176:177]
	v_add_f64 v[70:71], v[70:71], -v[212:213]
	s_waitcnt lgkmcnt(0)
	v_mul_f64 v[176:177], v[230:231], v[178:179]
	v_mul_f64 v[212:213], v[228:229], v[178:179]
	s_delay_alu instid0(VALU_DEP_2) | instskip(NEXT) | instid1(VALU_DEP_2)
	v_fma_f64 v[176:177], v[228:229], v[236:237], -v[176:177]
	v_fma_f64 v[212:213], v[230:231], v[236:237], v[212:213]
	ds_load_2addr_b64 v[228:231], v238 offset0:82 offset1:83
	v_add_f64 v[64:65], v[64:65], -v[176:177]
	v_add_f64 v[66:67], v[66:67], -v[212:213]
	s_waitcnt lgkmcnt(0)
	v_mul_f64 v[176:177], v[230:231], v[178:179]
	v_mul_f64 v[212:213], v[228:229], v[178:179]
	s_delay_alu instid0(VALU_DEP_2) | instskip(NEXT) | instid1(VALU_DEP_2)
	v_fma_f64 v[176:177], v[228:229], v[236:237], -v[176:177]
	v_fma_f64 v[212:213], v[230:231], v[236:237], v[212:213]
	ds_load_2addr_b64 v[228:231], v238 offset0:84 offset1:85
	v_add_f64 v[60:61], v[60:61], -v[176:177]
	v_add_f64 v[62:63], v[62:63], -v[212:213]
	s_waitcnt lgkmcnt(0)
	v_mul_f64 v[176:177], v[230:231], v[178:179]
	v_mul_f64 v[212:213], v[228:229], v[178:179]
	s_delay_alu instid0(VALU_DEP_2) | instskip(NEXT) | instid1(VALU_DEP_2)
	v_fma_f64 v[176:177], v[228:229], v[236:237], -v[176:177]
	v_fma_f64 v[212:213], v[230:231], v[236:237], v[212:213]
	ds_load_2addr_b64 v[228:231], v238 offset0:86 offset1:87
	v_add_f64 v[56:57], v[56:57], -v[176:177]
	v_add_f64 v[58:59], v[58:59], -v[212:213]
	s_waitcnt lgkmcnt(0)
	v_mul_f64 v[176:177], v[230:231], v[178:179]
	v_mul_f64 v[212:213], v[228:229], v[178:179]
	s_delay_alu instid0(VALU_DEP_2) | instskip(NEXT) | instid1(VALU_DEP_2)
	v_fma_f64 v[176:177], v[228:229], v[236:237], -v[176:177]
	v_fma_f64 v[212:213], v[230:231], v[236:237], v[212:213]
	ds_load_2addr_b64 v[228:231], v238 offset0:88 offset1:89
	v_add_f64 v[52:53], v[52:53], -v[176:177]
	v_add_f64 v[54:55], v[54:55], -v[212:213]
	s_waitcnt lgkmcnt(0)
	v_mul_f64 v[176:177], v[230:231], v[178:179]
	v_mul_f64 v[212:213], v[228:229], v[178:179]
	s_delay_alu instid0(VALU_DEP_2) | instskip(NEXT) | instid1(VALU_DEP_2)
	v_fma_f64 v[176:177], v[228:229], v[236:237], -v[176:177]
	v_fma_f64 v[212:213], v[230:231], v[236:237], v[212:213]
	ds_load_2addr_b64 v[228:231], v238 offset0:90 offset1:91
	v_add_f64 v[48:49], v[48:49], -v[176:177]
	v_add_f64 v[50:51], v[50:51], -v[212:213]
	s_waitcnt lgkmcnt(0)
	v_mul_f64 v[176:177], v[230:231], v[178:179]
	v_mul_f64 v[212:213], v[228:229], v[178:179]
	s_delay_alu instid0(VALU_DEP_2) | instskip(NEXT) | instid1(VALU_DEP_2)
	v_fma_f64 v[176:177], v[228:229], v[236:237], -v[176:177]
	v_fma_f64 v[212:213], v[230:231], v[236:237], v[212:213]
	ds_load_2addr_b64 v[228:231], v238 offset0:92 offset1:93
	v_add_f64 v[44:45], v[44:45], -v[176:177]
	v_add_f64 v[46:47], v[46:47], -v[212:213]
	s_waitcnt lgkmcnt(0)
	v_mul_f64 v[176:177], v[230:231], v[178:179]
	v_mul_f64 v[212:213], v[228:229], v[178:179]
	s_delay_alu instid0(VALU_DEP_2) | instskip(NEXT) | instid1(VALU_DEP_2)
	v_fma_f64 v[176:177], v[228:229], v[236:237], -v[176:177]
	v_fma_f64 v[212:213], v[230:231], v[236:237], v[212:213]
	ds_load_2addr_b64 v[228:231], v238 offset0:94 offset1:95
	v_add_f64 v[40:41], v[40:41], -v[176:177]
	v_add_f64 v[42:43], v[42:43], -v[212:213]
	s_waitcnt lgkmcnt(0)
	v_mul_f64 v[176:177], v[230:231], v[178:179]
	v_mul_f64 v[212:213], v[228:229], v[178:179]
	s_delay_alu instid0(VALU_DEP_2) | instskip(NEXT) | instid1(VALU_DEP_2)
	v_fma_f64 v[176:177], v[228:229], v[236:237], -v[176:177]
	v_fma_f64 v[212:213], v[230:231], v[236:237], v[212:213]
	ds_load_2addr_b64 v[228:231], v238 offset0:96 offset1:97
	v_add_f64 v[36:37], v[36:37], -v[176:177]
	v_add_f64 v[38:39], v[38:39], -v[212:213]
	s_waitcnt lgkmcnt(0)
	v_mul_f64 v[176:177], v[230:231], v[178:179]
	v_mul_f64 v[212:213], v[228:229], v[178:179]
	s_delay_alu instid0(VALU_DEP_2) | instskip(NEXT) | instid1(VALU_DEP_2)
	v_fma_f64 v[176:177], v[228:229], v[236:237], -v[176:177]
	v_fma_f64 v[212:213], v[230:231], v[236:237], v[212:213]
	ds_load_2addr_b64 v[228:231], v238 offset0:98 offset1:99
	v_add_f64 v[32:33], v[32:33], -v[176:177]
	v_add_f64 v[34:35], v[34:35], -v[212:213]
	s_waitcnt lgkmcnt(0)
	v_mul_f64 v[176:177], v[230:231], v[178:179]
	v_mul_f64 v[212:213], v[228:229], v[178:179]
	s_delay_alu instid0(VALU_DEP_2) | instskip(NEXT) | instid1(VALU_DEP_2)
	v_fma_f64 v[176:177], v[228:229], v[236:237], -v[176:177]
	v_fma_f64 v[212:213], v[230:231], v[236:237], v[212:213]
	ds_load_2addr_b64 v[228:231], v238 offset0:100 offset1:101
	v_add_f64 v[28:29], v[28:29], -v[176:177]
	v_add_f64 v[30:31], v[30:31], -v[212:213]
	s_waitcnt lgkmcnt(0)
	v_mul_f64 v[176:177], v[230:231], v[178:179]
	v_mul_f64 v[212:213], v[228:229], v[178:179]
	s_delay_alu instid0(VALU_DEP_2) | instskip(NEXT) | instid1(VALU_DEP_2)
	v_fma_f64 v[176:177], v[228:229], v[236:237], -v[176:177]
	v_fma_f64 v[212:213], v[230:231], v[236:237], v[212:213]
	ds_load_2addr_b64 v[228:231], v238 offset0:102 offset1:103
	v_add_f64 v[24:25], v[24:25], -v[176:177]
	v_add_f64 v[26:27], v[26:27], -v[212:213]
	s_waitcnt lgkmcnt(0)
	v_mul_f64 v[176:177], v[230:231], v[178:179]
	v_mul_f64 v[212:213], v[228:229], v[178:179]
	s_delay_alu instid0(VALU_DEP_2) | instskip(NEXT) | instid1(VALU_DEP_2)
	v_fma_f64 v[176:177], v[228:229], v[236:237], -v[176:177]
	v_fma_f64 v[212:213], v[230:231], v[236:237], v[212:213]
	ds_load_2addr_b64 v[228:231], v238 offset0:104 offset1:105
	v_add_f64 v[20:21], v[20:21], -v[176:177]
	v_add_f64 v[22:23], v[22:23], -v[212:213]
	s_waitcnt lgkmcnt(0)
	v_mul_f64 v[176:177], v[230:231], v[178:179]
	v_mul_f64 v[212:213], v[228:229], v[178:179]
	s_delay_alu instid0(VALU_DEP_2) | instskip(NEXT) | instid1(VALU_DEP_2)
	v_fma_f64 v[176:177], v[228:229], v[236:237], -v[176:177]
	v_fma_f64 v[212:213], v[230:231], v[236:237], v[212:213]
	ds_load_2addr_b64 v[228:231], v238 offset0:106 offset1:107
	v_add_f64 v[16:17], v[16:17], -v[176:177]
	v_add_f64 v[18:19], v[18:19], -v[212:213]
	s_waitcnt lgkmcnt(0)
	v_mul_f64 v[176:177], v[230:231], v[178:179]
	v_mul_f64 v[212:213], v[228:229], v[178:179]
	s_delay_alu instid0(VALU_DEP_2) | instskip(NEXT) | instid1(VALU_DEP_2)
	v_fma_f64 v[176:177], v[228:229], v[236:237], -v[176:177]
	v_fma_f64 v[212:213], v[230:231], v[236:237], v[212:213]
	ds_load_2addr_b64 v[228:231], v238 offset0:108 offset1:109
	v_add_f64 v[12:13], v[12:13], -v[176:177]
	v_add_f64 v[14:15], v[14:15], -v[212:213]
	s_waitcnt lgkmcnt(0)
	v_mul_f64 v[176:177], v[230:231], v[178:179]
	v_mul_f64 v[212:213], v[228:229], v[178:179]
	s_delay_alu instid0(VALU_DEP_2) | instskip(NEXT) | instid1(VALU_DEP_2)
	v_fma_f64 v[176:177], v[228:229], v[236:237], -v[176:177]
	v_fma_f64 v[212:213], v[230:231], v[236:237], v[212:213]
	ds_load_2addr_b64 v[228:231], v238 offset0:110 offset1:111
	v_add_f64 v[224:225], v[224:225], -v[176:177]
	v_add_f64 v[226:227], v[226:227], -v[212:213]
	s_waitcnt lgkmcnt(0)
	v_mul_f64 v[176:177], v[230:231], v[178:179]
	v_mul_f64 v[212:213], v[228:229], v[178:179]
	s_delay_alu instid0(VALU_DEP_2) | instskip(NEXT) | instid1(VALU_DEP_2)
	v_fma_f64 v[176:177], v[228:229], v[236:237], -v[176:177]
	v_fma_f64 v[212:213], v[230:231], v[236:237], v[212:213]
	ds_load_2addr_b64 v[228:231], v238 offset0:112 offset1:113
	v_add_f64 v[250:251], v[250:251], -v[176:177]
	v_add_f64 v[252:253], v[252:253], -v[212:213]
	s_waitcnt lgkmcnt(0)
	v_mul_f64 v[176:177], v[230:231], v[178:179]
	v_mul_f64 v[212:213], v[228:229], v[178:179]
	s_delay_alu instid0(VALU_DEP_2) | instskip(NEXT) | instid1(VALU_DEP_2)
	v_fma_f64 v[176:177], v[228:229], v[236:237], -v[176:177]
	v_fma_f64 v[212:213], v[230:231], v[236:237], v[212:213]
	s_delay_alu instid0(VALU_DEP_2) | instskip(NEXT) | instid1(VALU_DEP_2)
	v_add_f64 v[0:1], v[0:1], -v[176:177]
	v_add_f64 v[2:3], v[2:3], -v[212:213]
	v_dual_mov_b32 v176, v236 :: v_dual_mov_b32 v177, v237
.LBB112_272:
	s_or_b32 exec_lo, exec_lo, s2
	v_lshl_add_u32 v212, v244, 4, v238
	s_barrier
	buffer_gl0_inv
	v_mov_b32_e32 v236, 13
	ds_store_2addr_b64 v212, v[172:173], v[174:175] offset1:1
	s_waitcnt lgkmcnt(0)
	s_barrier
	buffer_gl0_inv
	ds_load_2addr_b64 v[228:231], v238 offset0:26 offset1:27
	s_cmp_lt_i32 s12, 15
	s_cbranch_scc1 .LBB112_275
; %bb.273:
	v_add3_u32 v237, v242, 0, 0xe0
	v_mov_b32_e32 v236, 13
	s_mov_b32 s6, 14
	s_set_inst_prefetch_distance 0x1
	.p2align	6
.LBB112_274:                            ; =>This Inner Loop Header: Depth=1
	ds_load_2addr_b64 v[245:248], v237 offset1:1
	s_waitcnt lgkmcnt(1)
	v_cmp_gt_f64_e32 vcc_lo, 0, v[228:229]
	v_cmp_gt_f64_e64 s2, 0, v[230:231]
	v_xor_b32_e32 v213, 0x80000000, v229
	v_xor_b32_e32 v215, 0x80000000, v231
	v_add_nc_u32_e32 v237, 16, v237
	s_waitcnt lgkmcnt(0)
	v_cmp_gt_f64_e64 s3, 0, v[245:246]
	v_cmp_gt_f64_e64 s4, 0, v[247:248]
	v_xor_b32_e32 v219, 0x80000000, v246
	v_mov_b32_e32 v212, v245
	v_xor_b32_e32 v220, 0x80000000, v248
	v_mov_b32_e32 v214, v247
	v_cndmask_b32_e32 v216, v229, v213, vcc_lo
	v_cndmask_b32_e64 v218, v231, v215, s2
	v_cndmask_b32_e32 v215, v228, v228, vcc_lo
	v_cndmask_b32_e64 v217, v230, v230, s2
	s_delay_alu instid0(VALU_DEP_1) | instskip(SKIP_2) | instid1(VALU_DEP_1)
	v_add_f64 v[216:217], v[215:216], v[217:218]
	v_cndmask_b32_e64 v213, v246, v219, s3
	v_cndmask_b32_e64 v215, v248, v220, s4
	v_add_f64 v[212:213], v[212:213], v[214:215]
	s_delay_alu instid0(VALU_DEP_1)
	v_cmp_lt_f64_e32 vcc_lo, v[216:217], v[212:213]
	v_cndmask_b32_e32 v231, v231, v248, vcc_lo
	v_dual_cndmask_b32 v229, v229, v246 :: v_dual_cndmask_b32 v228, v228, v245
	v_cndmask_b32_e32 v230, v230, v247, vcc_lo
	v_cndmask_b32_e64 v236, v236, s6, vcc_lo
	s_add_i32 s6, s6, 1
	s_delay_alu instid0(SALU_CYCLE_1)
	s_cmp_lg_u32 s12, s6
	s_cbranch_scc1 .LBB112_274
.LBB112_275:
	s_set_inst_prefetch_distance 0x2
	s_waitcnt lgkmcnt(0)
	v_cmp_eq_f64_e32 vcc_lo, 0, v[228:229]
	v_cmp_eq_f64_e64 s2, 0, v[230:231]
	s_delay_alu instid0(VALU_DEP_1) | instskip(NEXT) | instid1(SALU_CYCLE_1)
	s_and_b32 s2, vcc_lo, s2
	s_and_saveexec_b32 s3, s2
	s_delay_alu instid0(SALU_CYCLE_1)
	s_xor_b32 s2, exec_lo, s3
; %bb.276:
	v_cmp_ne_u32_e32 vcc_lo, 0, v241
	v_cndmask_b32_e32 v241, 14, v241, vcc_lo
; %bb.277:
	s_and_not1_saveexec_b32 s3, s2
	s_cbranch_execz .LBB112_283
; %bb.278:
	v_cmp_gt_f64_e32 vcc_lo, 0, v[228:229]
	v_cmp_gt_f64_e64 s2, 0, v[230:231]
	v_xor_b32_e32 v212, 0x80000000, v229
	v_xor_b32_e32 v214, 0x80000000, v231
	s_delay_alu instid0(VALU_DEP_2) | instskip(NEXT) | instid1(VALU_DEP_2)
	v_cndmask_b32_e32 v213, v229, v212, vcc_lo
	v_cndmask_b32_e64 v215, v231, v214, s2
	v_cndmask_b32_e32 v212, v228, v228, vcc_lo
	v_cndmask_b32_e64 v214, v230, v230, s2
	s_mov_b32 s2, exec_lo
	s_delay_alu instid0(VALU_DEP_1)
	v_cmpx_ngt_f64_e32 v[212:213], v[214:215]
	s_xor_b32 s2, exec_lo, s2
	s_cbranch_execz .LBB112_280
; %bb.279:
	v_div_scale_f64 v[212:213], null, v[230:231], v[230:231], v[228:229]
	v_div_scale_f64 v[218:219], vcc_lo, v[228:229], v[230:231], v[228:229]
	s_delay_alu instid0(VALU_DEP_2) | instskip(SKIP_2) | instid1(VALU_DEP_1)
	v_rcp_f64_e32 v[214:215], v[212:213]
	s_waitcnt_depctr 0xfff
	v_fma_f64 v[216:217], -v[212:213], v[214:215], 1.0
	v_fma_f64 v[214:215], v[214:215], v[216:217], v[214:215]
	s_delay_alu instid0(VALU_DEP_1) | instskip(NEXT) | instid1(VALU_DEP_1)
	v_fma_f64 v[216:217], -v[212:213], v[214:215], 1.0
	v_fma_f64 v[214:215], v[214:215], v[216:217], v[214:215]
	s_delay_alu instid0(VALU_DEP_1) | instskip(NEXT) | instid1(VALU_DEP_1)
	v_mul_f64 v[216:217], v[218:219], v[214:215]
	v_fma_f64 v[212:213], -v[212:213], v[216:217], v[218:219]
	s_delay_alu instid0(VALU_DEP_1) | instskip(NEXT) | instid1(VALU_DEP_1)
	v_div_fmas_f64 v[212:213], v[212:213], v[214:215], v[216:217]
	v_div_fixup_f64 v[212:213], v[212:213], v[230:231], v[228:229]
	s_delay_alu instid0(VALU_DEP_1) | instskip(NEXT) | instid1(VALU_DEP_1)
	v_fma_f64 v[214:215], v[228:229], v[212:213], v[230:231]
	v_div_scale_f64 v[216:217], null, v[214:215], v[214:215], 1.0
	s_delay_alu instid0(VALU_DEP_1) | instskip(SKIP_2) | instid1(VALU_DEP_1)
	v_rcp_f64_e32 v[218:219], v[216:217]
	s_waitcnt_depctr 0xfff
	v_fma_f64 v[220:221], -v[216:217], v[218:219], 1.0
	v_fma_f64 v[218:219], v[218:219], v[220:221], v[218:219]
	s_delay_alu instid0(VALU_DEP_1) | instskip(NEXT) | instid1(VALU_DEP_1)
	v_fma_f64 v[220:221], -v[216:217], v[218:219], 1.0
	v_fma_f64 v[218:219], v[218:219], v[220:221], v[218:219]
	v_div_scale_f64 v[220:221], vcc_lo, 1.0, v[214:215], 1.0
	s_delay_alu instid0(VALU_DEP_1) | instskip(NEXT) | instid1(VALU_DEP_1)
	v_mul_f64 v[222:223], v[220:221], v[218:219]
	v_fma_f64 v[216:217], -v[216:217], v[222:223], v[220:221]
	s_delay_alu instid0(VALU_DEP_1) | instskip(NEXT) | instid1(VALU_DEP_1)
	v_div_fmas_f64 v[216:217], v[216:217], v[218:219], v[222:223]
	v_div_fixup_f64 v[230:231], v[216:217], v[214:215], 1.0
	s_delay_alu instid0(VALU_DEP_1)
	v_mul_f64 v[228:229], v[212:213], v[230:231]
	v_xor_b32_e32 v231, 0x80000000, v231
.LBB112_280:
	s_and_not1_saveexec_b32 s2, s2
	s_cbranch_execz .LBB112_282
; %bb.281:
	s_delay_alu instid0(VALU_DEP_1) | instskip(SKIP_1) | instid1(VALU_DEP_2)
	v_div_scale_f64 v[212:213], null, v[228:229], v[228:229], v[230:231]
	v_div_scale_f64 v[218:219], vcc_lo, v[230:231], v[228:229], v[230:231]
	v_rcp_f64_e32 v[214:215], v[212:213]
	s_waitcnt_depctr 0xfff
	v_fma_f64 v[216:217], -v[212:213], v[214:215], 1.0
	s_delay_alu instid0(VALU_DEP_1) | instskip(NEXT) | instid1(VALU_DEP_1)
	v_fma_f64 v[214:215], v[214:215], v[216:217], v[214:215]
	v_fma_f64 v[216:217], -v[212:213], v[214:215], 1.0
	s_delay_alu instid0(VALU_DEP_1) | instskip(NEXT) | instid1(VALU_DEP_1)
	v_fma_f64 v[214:215], v[214:215], v[216:217], v[214:215]
	v_mul_f64 v[216:217], v[218:219], v[214:215]
	s_delay_alu instid0(VALU_DEP_1) | instskip(NEXT) | instid1(VALU_DEP_1)
	v_fma_f64 v[212:213], -v[212:213], v[216:217], v[218:219]
	v_div_fmas_f64 v[212:213], v[212:213], v[214:215], v[216:217]
	s_delay_alu instid0(VALU_DEP_1) | instskip(NEXT) | instid1(VALU_DEP_1)
	v_div_fixup_f64 v[212:213], v[212:213], v[228:229], v[230:231]
	v_fma_f64 v[214:215], v[230:231], v[212:213], v[228:229]
	s_delay_alu instid0(VALU_DEP_1) | instskip(NEXT) | instid1(VALU_DEP_1)
	v_div_scale_f64 v[216:217], null, v[214:215], v[214:215], 1.0
	v_rcp_f64_e32 v[218:219], v[216:217]
	s_waitcnt_depctr 0xfff
	v_fma_f64 v[220:221], -v[216:217], v[218:219], 1.0
	s_delay_alu instid0(VALU_DEP_1) | instskip(NEXT) | instid1(VALU_DEP_1)
	v_fma_f64 v[218:219], v[218:219], v[220:221], v[218:219]
	v_fma_f64 v[220:221], -v[216:217], v[218:219], 1.0
	s_delay_alu instid0(VALU_DEP_1) | instskip(SKIP_1) | instid1(VALU_DEP_1)
	v_fma_f64 v[218:219], v[218:219], v[220:221], v[218:219]
	v_div_scale_f64 v[220:221], vcc_lo, 1.0, v[214:215], 1.0
	v_mul_f64 v[222:223], v[220:221], v[218:219]
	s_delay_alu instid0(VALU_DEP_1) | instskip(NEXT) | instid1(VALU_DEP_1)
	v_fma_f64 v[216:217], -v[216:217], v[222:223], v[220:221]
	v_div_fmas_f64 v[216:217], v[216:217], v[218:219], v[222:223]
	s_delay_alu instid0(VALU_DEP_1) | instskip(NEXT) | instid1(VALU_DEP_1)
	v_div_fixup_f64 v[228:229], v[216:217], v[214:215], 1.0
	v_mul_f64 v[230:231], v[212:213], -v[228:229]
.LBB112_282:
	s_or_b32 exec_lo, exec_lo, s2
.LBB112_283:
	s_delay_alu instid0(SALU_CYCLE_1) | instskip(NEXT) | instid1(SALU_CYCLE_1)
	s_or_b32 exec_lo, exec_lo, s3
	s_mov_b32 s2, exec_lo
	v_cmpx_ne_u32_e64 v244, v236
	s_xor_b32 s2, exec_lo, s2
	s_cbranch_execz .LBB112_289
; %bb.284:
	s_mov_b32 s3, exec_lo
	v_cmpx_eq_u32_e32 13, v244
	s_cbranch_execz .LBB112_288
; %bb.285:
	v_cmp_ne_u32_e32 vcc_lo, 13, v236
	s_xor_b32 s4, s5, -1
	s_delay_alu instid0(SALU_CYCLE_1) | instskip(NEXT) | instid1(SALU_CYCLE_1)
	s_and_b32 s6, s4, vcc_lo
	s_and_saveexec_b32 s4, s6
	s_cbranch_execz .LBB112_287
; %bb.286:
	scratch_load_b64 v[10:11], off, off     ; 8-byte Folded Reload
	v_ashrrev_i32_e32 v237, 31, v236
	s_delay_alu instid0(VALU_DEP_1) | instskip(SKIP_1) | instid1(VALU_DEP_1)
	v_lshlrev_b64 v[212:213], 2, v[236:237]
	s_waitcnt vmcnt(0)
	v_add_co_u32 v212, vcc_lo, v10, v212
	s_delay_alu instid0(VALU_DEP_2)
	v_add_co_ci_u32_e32 v213, vcc_lo, v11, v213, vcc_lo
	s_clause 0x1
	flat_load_b32 v214, v[212:213]
	flat_load_b32 v215, v[10:11] offset:52
	s_waitcnt vmcnt(1) lgkmcnt(1)
	flat_store_b32 v[10:11], v214 offset:52
	s_waitcnt vmcnt(0) lgkmcnt(1)
	flat_store_b32 v[212:213], v215
.LBB112_287:
	s_or_b32 exec_lo, exec_lo, s4
	v_mov_b32_e32 v244, v236
	v_mov_b32_e32 v243, v236
.LBB112_288:
	s_or_b32 exec_lo, exec_lo, s3
.LBB112_289:
	s_and_not1_saveexec_b32 s2, s2
	s_cbranch_execz .LBB112_291
; %bb.290:
	v_mov_b32_e32 v244, 13
	ds_store_2addr_b64 v238, v[168:169], v[170:171] offset0:28 offset1:29
	ds_store_2addr_b64 v238, v[164:165], v[166:167] offset0:30 offset1:31
	;; [unrolled: 1-line block ×43, first 2 shown]
.LBB112_291:
	s_or_b32 exec_lo, exec_lo, s2
	s_delay_alu instid0(SALU_CYCLE_1)
	s_mov_b32 s2, exec_lo
	s_waitcnt lgkmcnt(0)
	s_waitcnt_vscnt null, 0x0
	s_barrier
	buffer_gl0_inv
	v_cmpx_lt_i32_e32 13, v244
	s_cbranch_execz .LBB112_293
; %bb.292:
	v_mul_f64 v[212:213], v[230:231], v[174:175]
	v_mul_f64 v[174:175], v[228:229], v[174:175]
	s_delay_alu instid0(VALU_DEP_2) | instskip(NEXT) | instid1(VALU_DEP_2)
	v_fma_f64 v[236:237], v[228:229], v[172:173], -v[212:213]
	v_fma_f64 v[174:175], v[230:231], v[172:173], v[174:175]
	ds_load_2addr_b64 v[228:231], v238 offset0:28 offset1:29
	s_waitcnt lgkmcnt(0)
	v_mul_f64 v[172:173], v[230:231], v[174:175]
	v_mul_f64 v[212:213], v[228:229], v[174:175]
	s_delay_alu instid0(VALU_DEP_2) | instskip(NEXT) | instid1(VALU_DEP_2)
	v_fma_f64 v[172:173], v[228:229], v[236:237], -v[172:173]
	v_fma_f64 v[212:213], v[230:231], v[236:237], v[212:213]
	ds_load_2addr_b64 v[228:231], v238 offset0:30 offset1:31
	v_add_f64 v[168:169], v[168:169], -v[172:173]
	v_add_f64 v[170:171], v[170:171], -v[212:213]
	s_waitcnt lgkmcnt(0)
	v_mul_f64 v[172:173], v[230:231], v[174:175]
	v_mul_f64 v[212:213], v[228:229], v[174:175]
	s_delay_alu instid0(VALU_DEP_2) | instskip(NEXT) | instid1(VALU_DEP_2)
	v_fma_f64 v[172:173], v[228:229], v[236:237], -v[172:173]
	v_fma_f64 v[212:213], v[230:231], v[236:237], v[212:213]
	ds_load_2addr_b64 v[228:231], v238 offset0:32 offset1:33
	v_add_f64 v[164:165], v[164:165], -v[172:173]
	v_add_f64 v[166:167], v[166:167], -v[212:213]
	;; [unrolled: 9-line block ×42, first 2 shown]
	s_waitcnt lgkmcnt(0)
	v_mul_f64 v[172:173], v[230:231], v[174:175]
	v_mul_f64 v[212:213], v[228:229], v[174:175]
	s_delay_alu instid0(VALU_DEP_2) | instskip(NEXT) | instid1(VALU_DEP_2)
	v_fma_f64 v[172:173], v[228:229], v[236:237], -v[172:173]
	v_fma_f64 v[212:213], v[230:231], v[236:237], v[212:213]
	s_delay_alu instid0(VALU_DEP_2) | instskip(NEXT) | instid1(VALU_DEP_2)
	v_add_f64 v[0:1], v[0:1], -v[172:173]
	v_add_f64 v[2:3], v[2:3], -v[212:213]
	v_dual_mov_b32 v172, v236 :: v_dual_mov_b32 v173, v237
.LBB112_293:
	s_or_b32 exec_lo, exec_lo, s2
	v_lshl_add_u32 v212, v244, 4, v238
	s_barrier
	buffer_gl0_inv
	v_mov_b32_e32 v236, 14
	ds_store_2addr_b64 v212, v[168:169], v[170:171] offset1:1
	s_waitcnt lgkmcnt(0)
	s_barrier
	buffer_gl0_inv
	ds_load_2addr_b64 v[228:231], v238 offset0:28 offset1:29
	s_cmp_lt_i32 s12, 16
	s_cbranch_scc1 .LBB112_296
; %bb.294:
	v_add3_u32 v237, v242, 0, 0xf0
	v_mov_b32_e32 v236, 14
	s_mov_b32 s6, 15
	s_set_inst_prefetch_distance 0x1
	.p2align	6
.LBB112_295:                            ; =>This Inner Loop Header: Depth=1
	ds_load_2addr_b64 v[245:248], v237 offset1:1
	s_waitcnt lgkmcnt(1)
	v_cmp_gt_f64_e32 vcc_lo, 0, v[228:229]
	v_cmp_gt_f64_e64 s2, 0, v[230:231]
	v_xor_b32_e32 v213, 0x80000000, v229
	v_xor_b32_e32 v215, 0x80000000, v231
	v_add_nc_u32_e32 v237, 16, v237
	s_waitcnt lgkmcnt(0)
	v_cmp_gt_f64_e64 s3, 0, v[245:246]
	v_cmp_gt_f64_e64 s4, 0, v[247:248]
	v_xor_b32_e32 v219, 0x80000000, v246
	v_mov_b32_e32 v212, v245
	v_xor_b32_e32 v220, 0x80000000, v248
	v_mov_b32_e32 v214, v247
	v_cndmask_b32_e32 v216, v229, v213, vcc_lo
	v_cndmask_b32_e64 v218, v231, v215, s2
	v_cndmask_b32_e32 v215, v228, v228, vcc_lo
	v_cndmask_b32_e64 v217, v230, v230, s2
	s_delay_alu instid0(VALU_DEP_1) | instskip(SKIP_2) | instid1(VALU_DEP_1)
	v_add_f64 v[216:217], v[215:216], v[217:218]
	v_cndmask_b32_e64 v213, v246, v219, s3
	v_cndmask_b32_e64 v215, v248, v220, s4
	v_add_f64 v[212:213], v[212:213], v[214:215]
	s_delay_alu instid0(VALU_DEP_1)
	v_cmp_lt_f64_e32 vcc_lo, v[216:217], v[212:213]
	v_cndmask_b32_e32 v231, v231, v248, vcc_lo
	v_dual_cndmask_b32 v229, v229, v246 :: v_dual_cndmask_b32 v228, v228, v245
	v_cndmask_b32_e32 v230, v230, v247, vcc_lo
	v_cndmask_b32_e64 v236, v236, s6, vcc_lo
	s_add_i32 s6, s6, 1
	s_delay_alu instid0(SALU_CYCLE_1)
	s_cmp_lg_u32 s12, s6
	s_cbranch_scc1 .LBB112_295
.LBB112_296:
	s_set_inst_prefetch_distance 0x2
	s_waitcnt lgkmcnt(0)
	v_cmp_eq_f64_e32 vcc_lo, 0, v[228:229]
	v_cmp_eq_f64_e64 s2, 0, v[230:231]
	s_delay_alu instid0(VALU_DEP_1) | instskip(NEXT) | instid1(SALU_CYCLE_1)
	s_and_b32 s2, vcc_lo, s2
	s_and_saveexec_b32 s3, s2
	s_delay_alu instid0(SALU_CYCLE_1)
	s_xor_b32 s2, exec_lo, s3
; %bb.297:
	v_cmp_ne_u32_e32 vcc_lo, 0, v241
	v_cndmask_b32_e32 v241, 15, v241, vcc_lo
; %bb.298:
	s_and_not1_saveexec_b32 s3, s2
	s_cbranch_execz .LBB112_304
; %bb.299:
	v_cmp_gt_f64_e32 vcc_lo, 0, v[228:229]
	v_cmp_gt_f64_e64 s2, 0, v[230:231]
	v_xor_b32_e32 v212, 0x80000000, v229
	v_xor_b32_e32 v214, 0x80000000, v231
	s_delay_alu instid0(VALU_DEP_2) | instskip(NEXT) | instid1(VALU_DEP_2)
	v_cndmask_b32_e32 v213, v229, v212, vcc_lo
	v_cndmask_b32_e64 v215, v231, v214, s2
	v_cndmask_b32_e32 v212, v228, v228, vcc_lo
	v_cndmask_b32_e64 v214, v230, v230, s2
	s_mov_b32 s2, exec_lo
	s_delay_alu instid0(VALU_DEP_1)
	v_cmpx_ngt_f64_e32 v[212:213], v[214:215]
	s_xor_b32 s2, exec_lo, s2
	s_cbranch_execz .LBB112_301
; %bb.300:
	v_div_scale_f64 v[212:213], null, v[230:231], v[230:231], v[228:229]
	v_div_scale_f64 v[218:219], vcc_lo, v[228:229], v[230:231], v[228:229]
	s_delay_alu instid0(VALU_DEP_2) | instskip(SKIP_2) | instid1(VALU_DEP_1)
	v_rcp_f64_e32 v[214:215], v[212:213]
	s_waitcnt_depctr 0xfff
	v_fma_f64 v[216:217], -v[212:213], v[214:215], 1.0
	v_fma_f64 v[214:215], v[214:215], v[216:217], v[214:215]
	s_delay_alu instid0(VALU_DEP_1) | instskip(NEXT) | instid1(VALU_DEP_1)
	v_fma_f64 v[216:217], -v[212:213], v[214:215], 1.0
	v_fma_f64 v[214:215], v[214:215], v[216:217], v[214:215]
	s_delay_alu instid0(VALU_DEP_1) | instskip(NEXT) | instid1(VALU_DEP_1)
	v_mul_f64 v[216:217], v[218:219], v[214:215]
	v_fma_f64 v[212:213], -v[212:213], v[216:217], v[218:219]
	s_delay_alu instid0(VALU_DEP_1) | instskip(NEXT) | instid1(VALU_DEP_1)
	v_div_fmas_f64 v[212:213], v[212:213], v[214:215], v[216:217]
	v_div_fixup_f64 v[212:213], v[212:213], v[230:231], v[228:229]
	s_delay_alu instid0(VALU_DEP_1) | instskip(NEXT) | instid1(VALU_DEP_1)
	v_fma_f64 v[214:215], v[228:229], v[212:213], v[230:231]
	v_div_scale_f64 v[216:217], null, v[214:215], v[214:215], 1.0
	s_delay_alu instid0(VALU_DEP_1) | instskip(SKIP_2) | instid1(VALU_DEP_1)
	v_rcp_f64_e32 v[218:219], v[216:217]
	s_waitcnt_depctr 0xfff
	v_fma_f64 v[220:221], -v[216:217], v[218:219], 1.0
	v_fma_f64 v[218:219], v[218:219], v[220:221], v[218:219]
	s_delay_alu instid0(VALU_DEP_1) | instskip(NEXT) | instid1(VALU_DEP_1)
	v_fma_f64 v[220:221], -v[216:217], v[218:219], 1.0
	v_fma_f64 v[218:219], v[218:219], v[220:221], v[218:219]
	v_div_scale_f64 v[220:221], vcc_lo, 1.0, v[214:215], 1.0
	s_delay_alu instid0(VALU_DEP_1) | instskip(NEXT) | instid1(VALU_DEP_1)
	v_mul_f64 v[222:223], v[220:221], v[218:219]
	v_fma_f64 v[216:217], -v[216:217], v[222:223], v[220:221]
	s_delay_alu instid0(VALU_DEP_1) | instskip(NEXT) | instid1(VALU_DEP_1)
	v_div_fmas_f64 v[216:217], v[216:217], v[218:219], v[222:223]
	v_div_fixup_f64 v[230:231], v[216:217], v[214:215], 1.0
	s_delay_alu instid0(VALU_DEP_1)
	v_mul_f64 v[228:229], v[212:213], v[230:231]
	v_xor_b32_e32 v231, 0x80000000, v231
.LBB112_301:
	s_and_not1_saveexec_b32 s2, s2
	s_cbranch_execz .LBB112_303
; %bb.302:
	s_delay_alu instid0(VALU_DEP_1) | instskip(SKIP_1) | instid1(VALU_DEP_2)
	v_div_scale_f64 v[212:213], null, v[228:229], v[228:229], v[230:231]
	v_div_scale_f64 v[218:219], vcc_lo, v[230:231], v[228:229], v[230:231]
	v_rcp_f64_e32 v[214:215], v[212:213]
	s_waitcnt_depctr 0xfff
	v_fma_f64 v[216:217], -v[212:213], v[214:215], 1.0
	s_delay_alu instid0(VALU_DEP_1) | instskip(NEXT) | instid1(VALU_DEP_1)
	v_fma_f64 v[214:215], v[214:215], v[216:217], v[214:215]
	v_fma_f64 v[216:217], -v[212:213], v[214:215], 1.0
	s_delay_alu instid0(VALU_DEP_1) | instskip(NEXT) | instid1(VALU_DEP_1)
	v_fma_f64 v[214:215], v[214:215], v[216:217], v[214:215]
	v_mul_f64 v[216:217], v[218:219], v[214:215]
	s_delay_alu instid0(VALU_DEP_1) | instskip(NEXT) | instid1(VALU_DEP_1)
	v_fma_f64 v[212:213], -v[212:213], v[216:217], v[218:219]
	v_div_fmas_f64 v[212:213], v[212:213], v[214:215], v[216:217]
	s_delay_alu instid0(VALU_DEP_1) | instskip(NEXT) | instid1(VALU_DEP_1)
	v_div_fixup_f64 v[212:213], v[212:213], v[228:229], v[230:231]
	v_fma_f64 v[214:215], v[230:231], v[212:213], v[228:229]
	s_delay_alu instid0(VALU_DEP_1) | instskip(NEXT) | instid1(VALU_DEP_1)
	v_div_scale_f64 v[216:217], null, v[214:215], v[214:215], 1.0
	v_rcp_f64_e32 v[218:219], v[216:217]
	s_waitcnt_depctr 0xfff
	v_fma_f64 v[220:221], -v[216:217], v[218:219], 1.0
	s_delay_alu instid0(VALU_DEP_1) | instskip(NEXT) | instid1(VALU_DEP_1)
	v_fma_f64 v[218:219], v[218:219], v[220:221], v[218:219]
	v_fma_f64 v[220:221], -v[216:217], v[218:219], 1.0
	s_delay_alu instid0(VALU_DEP_1) | instskip(SKIP_1) | instid1(VALU_DEP_1)
	v_fma_f64 v[218:219], v[218:219], v[220:221], v[218:219]
	v_div_scale_f64 v[220:221], vcc_lo, 1.0, v[214:215], 1.0
	v_mul_f64 v[222:223], v[220:221], v[218:219]
	s_delay_alu instid0(VALU_DEP_1) | instskip(NEXT) | instid1(VALU_DEP_1)
	v_fma_f64 v[216:217], -v[216:217], v[222:223], v[220:221]
	v_div_fmas_f64 v[216:217], v[216:217], v[218:219], v[222:223]
	s_delay_alu instid0(VALU_DEP_1) | instskip(NEXT) | instid1(VALU_DEP_1)
	v_div_fixup_f64 v[228:229], v[216:217], v[214:215], 1.0
	v_mul_f64 v[230:231], v[212:213], -v[228:229]
.LBB112_303:
	s_or_b32 exec_lo, exec_lo, s2
.LBB112_304:
	s_delay_alu instid0(SALU_CYCLE_1) | instskip(NEXT) | instid1(SALU_CYCLE_1)
	s_or_b32 exec_lo, exec_lo, s3
	s_mov_b32 s2, exec_lo
	v_cmpx_ne_u32_e64 v244, v236
	s_xor_b32 s2, exec_lo, s2
	s_cbranch_execz .LBB112_310
; %bb.305:
	s_mov_b32 s3, exec_lo
	v_cmpx_eq_u32_e32 14, v244
	s_cbranch_execz .LBB112_309
; %bb.306:
	v_cmp_ne_u32_e32 vcc_lo, 14, v236
	s_xor_b32 s4, s5, -1
	s_delay_alu instid0(SALU_CYCLE_1) | instskip(NEXT) | instid1(SALU_CYCLE_1)
	s_and_b32 s6, s4, vcc_lo
	s_and_saveexec_b32 s4, s6
	s_cbranch_execz .LBB112_308
; %bb.307:
	scratch_load_b64 v[10:11], off, off     ; 8-byte Folded Reload
	v_ashrrev_i32_e32 v237, 31, v236
	s_delay_alu instid0(VALU_DEP_1) | instskip(SKIP_1) | instid1(VALU_DEP_1)
	v_lshlrev_b64 v[212:213], 2, v[236:237]
	s_waitcnt vmcnt(0)
	v_add_co_u32 v212, vcc_lo, v10, v212
	s_delay_alu instid0(VALU_DEP_2)
	v_add_co_ci_u32_e32 v213, vcc_lo, v11, v213, vcc_lo
	s_clause 0x1
	flat_load_b32 v214, v[212:213]
	flat_load_b32 v215, v[10:11] offset:56
	s_waitcnt vmcnt(1) lgkmcnt(1)
	flat_store_b32 v[10:11], v214 offset:56
	s_waitcnt vmcnt(0) lgkmcnt(1)
	flat_store_b32 v[212:213], v215
.LBB112_308:
	s_or_b32 exec_lo, exec_lo, s4
	v_mov_b32_e32 v244, v236
	v_mov_b32_e32 v243, v236
.LBB112_309:
	s_or_b32 exec_lo, exec_lo, s3
.LBB112_310:
	s_and_not1_saveexec_b32 s2, s2
	s_cbranch_execz .LBB112_312
; %bb.311:
	v_mov_b32_e32 v244, 14
	ds_store_2addr_b64 v238, v[164:165], v[166:167] offset0:30 offset1:31
	ds_store_2addr_b64 v238, v[160:161], v[162:163] offset0:32 offset1:33
	;; [unrolled: 1-line block ×42, first 2 shown]
.LBB112_312:
	s_or_b32 exec_lo, exec_lo, s2
	s_delay_alu instid0(SALU_CYCLE_1)
	s_mov_b32 s2, exec_lo
	s_waitcnt lgkmcnt(0)
	s_waitcnt_vscnt null, 0x0
	s_barrier
	buffer_gl0_inv
	v_cmpx_lt_i32_e32 14, v244
	s_cbranch_execz .LBB112_314
; %bb.313:
	v_mul_f64 v[212:213], v[230:231], v[170:171]
	v_mul_f64 v[170:171], v[228:229], v[170:171]
	s_delay_alu instid0(VALU_DEP_2) | instskip(NEXT) | instid1(VALU_DEP_2)
	v_fma_f64 v[236:237], v[228:229], v[168:169], -v[212:213]
	v_fma_f64 v[170:171], v[230:231], v[168:169], v[170:171]
	ds_load_2addr_b64 v[228:231], v238 offset0:30 offset1:31
	s_waitcnt lgkmcnt(0)
	v_mul_f64 v[168:169], v[230:231], v[170:171]
	v_mul_f64 v[212:213], v[228:229], v[170:171]
	s_delay_alu instid0(VALU_DEP_2) | instskip(NEXT) | instid1(VALU_DEP_2)
	v_fma_f64 v[168:169], v[228:229], v[236:237], -v[168:169]
	v_fma_f64 v[212:213], v[230:231], v[236:237], v[212:213]
	ds_load_2addr_b64 v[228:231], v238 offset0:32 offset1:33
	v_add_f64 v[164:165], v[164:165], -v[168:169]
	v_add_f64 v[166:167], v[166:167], -v[212:213]
	s_waitcnt lgkmcnt(0)
	v_mul_f64 v[168:169], v[230:231], v[170:171]
	v_mul_f64 v[212:213], v[228:229], v[170:171]
	s_delay_alu instid0(VALU_DEP_2) | instskip(NEXT) | instid1(VALU_DEP_2)
	v_fma_f64 v[168:169], v[228:229], v[236:237], -v[168:169]
	v_fma_f64 v[212:213], v[230:231], v[236:237], v[212:213]
	ds_load_2addr_b64 v[228:231], v238 offset0:34 offset1:35
	v_add_f64 v[160:161], v[160:161], -v[168:169]
	v_add_f64 v[162:163], v[162:163], -v[212:213]
	;; [unrolled: 9-line block ×41, first 2 shown]
	s_waitcnt lgkmcnt(0)
	v_mul_f64 v[168:169], v[230:231], v[170:171]
	v_mul_f64 v[212:213], v[228:229], v[170:171]
	s_delay_alu instid0(VALU_DEP_2) | instskip(NEXT) | instid1(VALU_DEP_2)
	v_fma_f64 v[168:169], v[228:229], v[236:237], -v[168:169]
	v_fma_f64 v[212:213], v[230:231], v[236:237], v[212:213]
	s_delay_alu instid0(VALU_DEP_2) | instskip(NEXT) | instid1(VALU_DEP_2)
	v_add_f64 v[0:1], v[0:1], -v[168:169]
	v_add_f64 v[2:3], v[2:3], -v[212:213]
	v_dual_mov_b32 v168, v236 :: v_dual_mov_b32 v169, v237
.LBB112_314:
	s_or_b32 exec_lo, exec_lo, s2
	v_lshl_add_u32 v212, v244, 4, v238
	s_barrier
	buffer_gl0_inv
	v_mov_b32_e32 v236, 15
	ds_store_2addr_b64 v212, v[164:165], v[166:167] offset1:1
	s_waitcnt lgkmcnt(0)
	s_barrier
	buffer_gl0_inv
	ds_load_2addr_b64 v[228:231], v238 offset0:30 offset1:31
	s_cmp_lt_i32 s12, 17
	s_cbranch_scc1 .LBB112_317
; %bb.315:
	v_add3_u32 v237, v242, 0, 0x100
	v_mov_b32_e32 v236, 15
	s_mov_b32 s6, 16
	s_set_inst_prefetch_distance 0x1
	.p2align	6
.LBB112_316:                            ; =>This Inner Loop Header: Depth=1
	ds_load_2addr_b64 v[245:248], v237 offset1:1
	s_waitcnt lgkmcnt(1)
	v_cmp_gt_f64_e32 vcc_lo, 0, v[228:229]
	v_cmp_gt_f64_e64 s2, 0, v[230:231]
	v_xor_b32_e32 v213, 0x80000000, v229
	v_xor_b32_e32 v215, 0x80000000, v231
	v_add_nc_u32_e32 v237, 16, v237
	s_waitcnt lgkmcnt(0)
	v_cmp_gt_f64_e64 s3, 0, v[245:246]
	v_cmp_gt_f64_e64 s4, 0, v[247:248]
	v_xor_b32_e32 v219, 0x80000000, v246
	v_mov_b32_e32 v212, v245
	v_xor_b32_e32 v220, 0x80000000, v248
	v_mov_b32_e32 v214, v247
	v_cndmask_b32_e32 v216, v229, v213, vcc_lo
	v_cndmask_b32_e64 v218, v231, v215, s2
	v_cndmask_b32_e32 v215, v228, v228, vcc_lo
	v_cndmask_b32_e64 v217, v230, v230, s2
	s_delay_alu instid0(VALU_DEP_1) | instskip(SKIP_2) | instid1(VALU_DEP_1)
	v_add_f64 v[216:217], v[215:216], v[217:218]
	v_cndmask_b32_e64 v213, v246, v219, s3
	v_cndmask_b32_e64 v215, v248, v220, s4
	v_add_f64 v[212:213], v[212:213], v[214:215]
	s_delay_alu instid0(VALU_DEP_1)
	v_cmp_lt_f64_e32 vcc_lo, v[216:217], v[212:213]
	v_cndmask_b32_e32 v231, v231, v248, vcc_lo
	v_dual_cndmask_b32 v229, v229, v246 :: v_dual_cndmask_b32 v228, v228, v245
	v_cndmask_b32_e32 v230, v230, v247, vcc_lo
	v_cndmask_b32_e64 v236, v236, s6, vcc_lo
	s_add_i32 s6, s6, 1
	s_delay_alu instid0(SALU_CYCLE_1)
	s_cmp_lg_u32 s12, s6
	s_cbranch_scc1 .LBB112_316
.LBB112_317:
	s_set_inst_prefetch_distance 0x2
	s_waitcnt lgkmcnt(0)
	v_cmp_eq_f64_e32 vcc_lo, 0, v[228:229]
	v_cmp_eq_f64_e64 s2, 0, v[230:231]
	s_delay_alu instid0(VALU_DEP_1) | instskip(NEXT) | instid1(SALU_CYCLE_1)
	s_and_b32 s2, vcc_lo, s2
	s_and_saveexec_b32 s3, s2
	s_delay_alu instid0(SALU_CYCLE_1)
	s_xor_b32 s2, exec_lo, s3
; %bb.318:
	v_cmp_ne_u32_e32 vcc_lo, 0, v241
	v_cndmask_b32_e32 v241, 16, v241, vcc_lo
; %bb.319:
	s_and_not1_saveexec_b32 s3, s2
	s_cbranch_execz .LBB112_325
; %bb.320:
	v_cmp_gt_f64_e32 vcc_lo, 0, v[228:229]
	v_cmp_gt_f64_e64 s2, 0, v[230:231]
	v_xor_b32_e32 v212, 0x80000000, v229
	v_xor_b32_e32 v214, 0x80000000, v231
	s_delay_alu instid0(VALU_DEP_2) | instskip(NEXT) | instid1(VALU_DEP_2)
	v_cndmask_b32_e32 v213, v229, v212, vcc_lo
	v_cndmask_b32_e64 v215, v231, v214, s2
	v_cndmask_b32_e32 v212, v228, v228, vcc_lo
	v_cndmask_b32_e64 v214, v230, v230, s2
	s_mov_b32 s2, exec_lo
	s_delay_alu instid0(VALU_DEP_1)
	v_cmpx_ngt_f64_e32 v[212:213], v[214:215]
	s_xor_b32 s2, exec_lo, s2
	s_cbranch_execz .LBB112_322
; %bb.321:
	v_div_scale_f64 v[212:213], null, v[230:231], v[230:231], v[228:229]
	v_div_scale_f64 v[218:219], vcc_lo, v[228:229], v[230:231], v[228:229]
	s_delay_alu instid0(VALU_DEP_2) | instskip(SKIP_2) | instid1(VALU_DEP_1)
	v_rcp_f64_e32 v[214:215], v[212:213]
	s_waitcnt_depctr 0xfff
	v_fma_f64 v[216:217], -v[212:213], v[214:215], 1.0
	v_fma_f64 v[214:215], v[214:215], v[216:217], v[214:215]
	s_delay_alu instid0(VALU_DEP_1) | instskip(NEXT) | instid1(VALU_DEP_1)
	v_fma_f64 v[216:217], -v[212:213], v[214:215], 1.0
	v_fma_f64 v[214:215], v[214:215], v[216:217], v[214:215]
	s_delay_alu instid0(VALU_DEP_1) | instskip(NEXT) | instid1(VALU_DEP_1)
	v_mul_f64 v[216:217], v[218:219], v[214:215]
	v_fma_f64 v[212:213], -v[212:213], v[216:217], v[218:219]
	s_delay_alu instid0(VALU_DEP_1) | instskip(NEXT) | instid1(VALU_DEP_1)
	v_div_fmas_f64 v[212:213], v[212:213], v[214:215], v[216:217]
	v_div_fixup_f64 v[212:213], v[212:213], v[230:231], v[228:229]
	s_delay_alu instid0(VALU_DEP_1) | instskip(NEXT) | instid1(VALU_DEP_1)
	v_fma_f64 v[214:215], v[228:229], v[212:213], v[230:231]
	v_div_scale_f64 v[216:217], null, v[214:215], v[214:215], 1.0
	s_delay_alu instid0(VALU_DEP_1) | instskip(SKIP_2) | instid1(VALU_DEP_1)
	v_rcp_f64_e32 v[218:219], v[216:217]
	s_waitcnt_depctr 0xfff
	v_fma_f64 v[220:221], -v[216:217], v[218:219], 1.0
	v_fma_f64 v[218:219], v[218:219], v[220:221], v[218:219]
	s_delay_alu instid0(VALU_DEP_1) | instskip(NEXT) | instid1(VALU_DEP_1)
	v_fma_f64 v[220:221], -v[216:217], v[218:219], 1.0
	v_fma_f64 v[218:219], v[218:219], v[220:221], v[218:219]
	v_div_scale_f64 v[220:221], vcc_lo, 1.0, v[214:215], 1.0
	s_delay_alu instid0(VALU_DEP_1) | instskip(NEXT) | instid1(VALU_DEP_1)
	v_mul_f64 v[222:223], v[220:221], v[218:219]
	v_fma_f64 v[216:217], -v[216:217], v[222:223], v[220:221]
	s_delay_alu instid0(VALU_DEP_1) | instskip(NEXT) | instid1(VALU_DEP_1)
	v_div_fmas_f64 v[216:217], v[216:217], v[218:219], v[222:223]
	v_div_fixup_f64 v[230:231], v[216:217], v[214:215], 1.0
	s_delay_alu instid0(VALU_DEP_1)
	v_mul_f64 v[228:229], v[212:213], v[230:231]
	v_xor_b32_e32 v231, 0x80000000, v231
.LBB112_322:
	s_and_not1_saveexec_b32 s2, s2
	s_cbranch_execz .LBB112_324
; %bb.323:
	s_delay_alu instid0(VALU_DEP_1) | instskip(SKIP_1) | instid1(VALU_DEP_2)
	v_div_scale_f64 v[212:213], null, v[228:229], v[228:229], v[230:231]
	v_div_scale_f64 v[218:219], vcc_lo, v[230:231], v[228:229], v[230:231]
	v_rcp_f64_e32 v[214:215], v[212:213]
	s_waitcnt_depctr 0xfff
	v_fma_f64 v[216:217], -v[212:213], v[214:215], 1.0
	s_delay_alu instid0(VALU_DEP_1) | instskip(NEXT) | instid1(VALU_DEP_1)
	v_fma_f64 v[214:215], v[214:215], v[216:217], v[214:215]
	v_fma_f64 v[216:217], -v[212:213], v[214:215], 1.0
	s_delay_alu instid0(VALU_DEP_1) | instskip(NEXT) | instid1(VALU_DEP_1)
	v_fma_f64 v[214:215], v[214:215], v[216:217], v[214:215]
	v_mul_f64 v[216:217], v[218:219], v[214:215]
	s_delay_alu instid0(VALU_DEP_1) | instskip(NEXT) | instid1(VALU_DEP_1)
	v_fma_f64 v[212:213], -v[212:213], v[216:217], v[218:219]
	v_div_fmas_f64 v[212:213], v[212:213], v[214:215], v[216:217]
	s_delay_alu instid0(VALU_DEP_1) | instskip(NEXT) | instid1(VALU_DEP_1)
	v_div_fixup_f64 v[212:213], v[212:213], v[228:229], v[230:231]
	v_fma_f64 v[214:215], v[230:231], v[212:213], v[228:229]
	s_delay_alu instid0(VALU_DEP_1) | instskip(NEXT) | instid1(VALU_DEP_1)
	v_div_scale_f64 v[216:217], null, v[214:215], v[214:215], 1.0
	v_rcp_f64_e32 v[218:219], v[216:217]
	s_waitcnt_depctr 0xfff
	v_fma_f64 v[220:221], -v[216:217], v[218:219], 1.0
	s_delay_alu instid0(VALU_DEP_1) | instskip(NEXT) | instid1(VALU_DEP_1)
	v_fma_f64 v[218:219], v[218:219], v[220:221], v[218:219]
	v_fma_f64 v[220:221], -v[216:217], v[218:219], 1.0
	s_delay_alu instid0(VALU_DEP_1) | instskip(SKIP_1) | instid1(VALU_DEP_1)
	v_fma_f64 v[218:219], v[218:219], v[220:221], v[218:219]
	v_div_scale_f64 v[220:221], vcc_lo, 1.0, v[214:215], 1.0
	v_mul_f64 v[222:223], v[220:221], v[218:219]
	s_delay_alu instid0(VALU_DEP_1) | instskip(NEXT) | instid1(VALU_DEP_1)
	v_fma_f64 v[216:217], -v[216:217], v[222:223], v[220:221]
	v_div_fmas_f64 v[216:217], v[216:217], v[218:219], v[222:223]
	s_delay_alu instid0(VALU_DEP_1) | instskip(NEXT) | instid1(VALU_DEP_1)
	v_div_fixup_f64 v[228:229], v[216:217], v[214:215], 1.0
	v_mul_f64 v[230:231], v[212:213], -v[228:229]
.LBB112_324:
	s_or_b32 exec_lo, exec_lo, s2
.LBB112_325:
	s_delay_alu instid0(SALU_CYCLE_1) | instskip(NEXT) | instid1(SALU_CYCLE_1)
	s_or_b32 exec_lo, exec_lo, s3
	s_mov_b32 s2, exec_lo
	v_cmpx_ne_u32_e64 v244, v236
	s_xor_b32 s2, exec_lo, s2
	s_cbranch_execz .LBB112_331
; %bb.326:
	s_mov_b32 s3, exec_lo
	v_cmpx_eq_u32_e32 15, v244
	s_cbranch_execz .LBB112_330
; %bb.327:
	v_cmp_ne_u32_e32 vcc_lo, 15, v236
	s_xor_b32 s4, s5, -1
	s_delay_alu instid0(SALU_CYCLE_1) | instskip(NEXT) | instid1(SALU_CYCLE_1)
	s_and_b32 s6, s4, vcc_lo
	s_and_saveexec_b32 s4, s6
	s_cbranch_execz .LBB112_329
; %bb.328:
	scratch_load_b64 v[10:11], off, off     ; 8-byte Folded Reload
	v_ashrrev_i32_e32 v237, 31, v236
	s_delay_alu instid0(VALU_DEP_1) | instskip(SKIP_1) | instid1(VALU_DEP_1)
	v_lshlrev_b64 v[212:213], 2, v[236:237]
	s_waitcnt vmcnt(0)
	v_add_co_u32 v212, vcc_lo, v10, v212
	s_delay_alu instid0(VALU_DEP_2)
	v_add_co_ci_u32_e32 v213, vcc_lo, v11, v213, vcc_lo
	s_clause 0x1
	flat_load_b32 v214, v[212:213]
	flat_load_b32 v215, v[10:11] offset:60
	s_waitcnt vmcnt(1) lgkmcnt(1)
	flat_store_b32 v[10:11], v214 offset:60
	s_waitcnt vmcnt(0) lgkmcnt(1)
	flat_store_b32 v[212:213], v215
.LBB112_329:
	s_or_b32 exec_lo, exec_lo, s4
	v_mov_b32_e32 v244, v236
	v_mov_b32_e32 v243, v236
.LBB112_330:
	s_or_b32 exec_lo, exec_lo, s3
.LBB112_331:
	s_and_not1_saveexec_b32 s2, s2
	s_cbranch_execz .LBB112_333
; %bb.332:
	v_mov_b32_e32 v244, 15
	ds_store_2addr_b64 v238, v[160:161], v[162:163] offset0:32 offset1:33
	ds_store_2addr_b64 v238, v[156:157], v[158:159] offset0:34 offset1:35
	;; [unrolled: 1-line block ×41, first 2 shown]
.LBB112_333:
	s_or_b32 exec_lo, exec_lo, s2
	s_delay_alu instid0(SALU_CYCLE_1)
	s_mov_b32 s2, exec_lo
	s_waitcnt lgkmcnt(0)
	s_waitcnt_vscnt null, 0x0
	s_barrier
	buffer_gl0_inv
	v_cmpx_lt_i32_e32 15, v244
	s_cbranch_execz .LBB112_335
; %bb.334:
	v_mul_f64 v[212:213], v[230:231], v[166:167]
	v_mul_f64 v[166:167], v[228:229], v[166:167]
	s_delay_alu instid0(VALU_DEP_2) | instskip(NEXT) | instid1(VALU_DEP_2)
	v_fma_f64 v[236:237], v[228:229], v[164:165], -v[212:213]
	v_fma_f64 v[166:167], v[230:231], v[164:165], v[166:167]
	ds_load_2addr_b64 v[228:231], v238 offset0:32 offset1:33
	s_waitcnt lgkmcnt(0)
	v_mul_f64 v[164:165], v[230:231], v[166:167]
	v_mul_f64 v[212:213], v[228:229], v[166:167]
	s_delay_alu instid0(VALU_DEP_2) | instskip(NEXT) | instid1(VALU_DEP_2)
	v_fma_f64 v[164:165], v[228:229], v[236:237], -v[164:165]
	v_fma_f64 v[212:213], v[230:231], v[236:237], v[212:213]
	ds_load_2addr_b64 v[228:231], v238 offset0:34 offset1:35
	v_add_f64 v[160:161], v[160:161], -v[164:165]
	v_add_f64 v[162:163], v[162:163], -v[212:213]
	s_waitcnt lgkmcnt(0)
	v_mul_f64 v[164:165], v[230:231], v[166:167]
	v_mul_f64 v[212:213], v[228:229], v[166:167]
	s_delay_alu instid0(VALU_DEP_2) | instskip(NEXT) | instid1(VALU_DEP_2)
	v_fma_f64 v[164:165], v[228:229], v[236:237], -v[164:165]
	v_fma_f64 v[212:213], v[230:231], v[236:237], v[212:213]
	ds_load_2addr_b64 v[228:231], v238 offset0:36 offset1:37
	v_add_f64 v[156:157], v[156:157], -v[164:165]
	v_add_f64 v[158:159], v[158:159], -v[212:213]
	;; [unrolled: 9-line block ×40, first 2 shown]
	s_waitcnt lgkmcnt(0)
	v_mul_f64 v[164:165], v[230:231], v[166:167]
	v_mul_f64 v[212:213], v[228:229], v[166:167]
	s_delay_alu instid0(VALU_DEP_2) | instskip(NEXT) | instid1(VALU_DEP_2)
	v_fma_f64 v[164:165], v[228:229], v[236:237], -v[164:165]
	v_fma_f64 v[212:213], v[230:231], v[236:237], v[212:213]
	s_delay_alu instid0(VALU_DEP_2) | instskip(NEXT) | instid1(VALU_DEP_2)
	v_add_f64 v[0:1], v[0:1], -v[164:165]
	v_add_f64 v[2:3], v[2:3], -v[212:213]
	v_dual_mov_b32 v164, v236 :: v_dual_mov_b32 v165, v237
.LBB112_335:
	s_or_b32 exec_lo, exec_lo, s2
	v_lshl_add_u32 v212, v244, 4, v238
	s_barrier
	buffer_gl0_inv
	v_mov_b32_e32 v236, 16
	ds_store_2addr_b64 v212, v[160:161], v[162:163] offset1:1
	s_waitcnt lgkmcnt(0)
	s_barrier
	buffer_gl0_inv
	ds_load_2addr_b64 v[228:231], v238 offset0:32 offset1:33
	s_cmp_lt_i32 s12, 18
	s_cbranch_scc1 .LBB112_338
; %bb.336:
	v_add3_u32 v237, v242, 0, 0x110
	v_mov_b32_e32 v236, 16
	s_mov_b32 s6, 17
	s_set_inst_prefetch_distance 0x1
	.p2align	6
.LBB112_337:                            ; =>This Inner Loop Header: Depth=1
	ds_load_2addr_b64 v[245:248], v237 offset1:1
	s_waitcnt lgkmcnt(1)
	v_cmp_gt_f64_e32 vcc_lo, 0, v[228:229]
	v_cmp_gt_f64_e64 s2, 0, v[230:231]
	v_xor_b32_e32 v213, 0x80000000, v229
	v_xor_b32_e32 v217, 0x80000000, v231
	v_add_nc_u32_e32 v237, 16, v237
	s_waitcnt lgkmcnt(0)
	v_cmp_gt_f64_e64 s3, 0, v[245:246]
	v_cmp_gt_f64_e64 s4, 0, v[247:248]
	v_xor_b32_e32 v219, 0x80000000, v246
	v_mov_b32_e32 v212, v245
	v_xor_b32_e32 v220, 0x80000000, v248
	v_mov_b32_e32 v214, v247
	v_dual_cndmask_b32 v216, v229, v213 :: v_dual_cndmask_b32 v215, v228, v228
	v_cndmask_b32_e64 v218, v231, v217, s2
	v_cndmask_b32_e64 v217, v230, v230, s2
	s_delay_alu instid0(VALU_DEP_1) | instskip(SKIP_2) | instid1(VALU_DEP_1)
	v_add_f64 v[216:217], v[215:216], v[217:218]
	v_cndmask_b32_e64 v213, v246, v219, s3
	v_cndmask_b32_e64 v215, v248, v220, s4
	v_add_f64 v[212:213], v[212:213], v[214:215]
	s_delay_alu instid0(VALU_DEP_1)
	v_cmp_lt_f64_e32 vcc_lo, v[216:217], v[212:213]
	v_cndmask_b32_e32 v231, v231, v248, vcc_lo
	v_dual_cndmask_b32 v229, v229, v246 :: v_dual_cndmask_b32 v228, v228, v245
	v_cndmask_b32_e32 v230, v230, v247, vcc_lo
	v_cndmask_b32_e64 v236, v236, s6, vcc_lo
	s_add_i32 s6, s6, 1
	s_delay_alu instid0(SALU_CYCLE_1)
	s_cmp_lg_u32 s12, s6
	s_cbranch_scc1 .LBB112_337
.LBB112_338:
	s_set_inst_prefetch_distance 0x2
	s_waitcnt lgkmcnt(0)
	v_cmp_eq_f64_e32 vcc_lo, 0, v[228:229]
	v_cmp_eq_f64_e64 s2, 0, v[230:231]
	s_delay_alu instid0(VALU_DEP_1) | instskip(NEXT) | instid1(SALU_CYCLE_1)
	s_and_b32 s2, vcc_lo, s2
	s_and_saveexec_b32 s3, s2
	s_delay_alu instid0(SALU_CYCLE_1)
	s_xor_b32 s2, exec_lo, s3
; %bb.339:
	v_cmp_ne_u32_e32 vcc_lo, 0, v241
	v_cndmask_b32_e32 v241, 17, v241, vcc_lo
; %bb.340:
	s_and_not1_saveexec_b32 s3, s2
	s_cbranch_execz .LBB112_346
; %bb.341:
	v_cmp_gt_f64_e32 vcc_lo, 0, v[228:229]
	v_cmp_gt_f64_e64 s2, 0, v[230:231]
	v_xor_b32_e32 v212, 0x80000000, v229
	v_xor_b32_e32 v214, 0x80000000, v231
	s_delay_alu instid0(VALU_DEP_2) | instskip(NEXT) | instid1(VALU_DEP_2)
	v_cndmask_b32_e32 v213, v229, v212, vcc_lo
	v_cndmask_b32_e64 v215, v231, v214, s2
	v_cndmask_b32_e32 v212, v228, v228, vcc_lo
	v_cndmask_b32_e64 v214, v230, v230, s2
	s_mov_b32 s2, exec_lo
	s_delay_alu instid0(VALU_DEP_1)
	v_cmpx_ngt_f64_e32 v[212:213], v[214:215]
	s_xor_b32 s2, exec_lo, s2
	s_cbranch_execz .LBB112_343
; %bb.342:
	v_div_scale_f64 v[212:213], null, v[230:231], v[230:231], v[228:229]
	v_div_scale_f64 v[218:219], vcc_lo, v[228:229], v[230:231], v[228:229]
	s_delay_alu instid0(VALU_DEP_2) | instskip(SKIP_2) | instid1(VALU_DEP_1)
	v_rcp_f64_e32 v[214:215], v[212:213]
	s_waitcnt_depctr 0xfff
	v_fma_f64 v[216:217], -v[212:213], v[214:215], 1.0
	v_fma_f64 v[214:215], v[214:215], v[216:217], v[214:215]
	s_delay_alu instid0(VALU_DEP_1) | instskip(NEXT) | instid1(VALU_DEP_1)
	v_fma_f64 v[216:217], -v[212:213], v[214:215], 1.0
	v_fma_f64 v[214:215], v[214:215], v[216:217], v[214:215]
	s_delay_alu instid0(VALU_DEP_1) | instskip(NEXT) | instid1(VALU_DEP_1)
	v_mul_f64 v[216:217], v[218:219], v[214:215]
	v_fma_f64 v[212:213], -v[212:213], v[216:217], v[218:219]
	s_delay_alu instid0(VALU_DEP_1) | instskip(NEXT) | instid1(VALU_DEP_1)
	v_div_fmas_f64 v[212:213], v[212:213], v[214:215], v[216:217]
	v_div_fixup_f64 v[212:213], v[212:213], v[230:231], v[228:229]
	s_delay_alu instid0(VALU_DEP_1) | instskip(NEXT) | instid1(VALU_DEP_1)
	v_fma_f64 v[214:215], v[228:229], v[212:213], v[230:231]
	v_div_scale_f64 v[216:217], null, v[214:215], v[214:215], 1.0
	s_delay_alu instid0(VALU_DEP_1) | instskip(SKIP_2) | instid1(VALU_DEP_1)
	v_rcp_f64_e32 v[218:219], v[216:217]
	s_waitcnt_depctr 0xfff
	v_fma_f64 v[220:221], -v[216:217], v[218:219], 1.0
	v_fma_f64 v[218:219], v[218:219], v[220:221], v[218:219]
	s_delay_alu instid0(VALU_DEP_1) | instskip(NEXT) | instid1(VALU_DEP_1)
	v_fma_f64 v[220:221], -v[216:217], v[218:219], 1.0
	v_fma_f64 v[218:219], v[218:219], v[220:221], v[218:219]
	v_div_scale_f64 v[220:221], vcc_lo, 1.0, v[214:215], 1.0
	s_delay_alu instid0(VALU_DEP_1) | instskip(NEXT) | instid1(VALU_DEP_1)
	v_mul_f64 v[222:223], v[220:221], v[218:219]
	v_fma_f64 v[216:217], -v[216:217], v[222:223], v[220:221]
	s_delay_alu instid0(VALU_DEP_1) | instskip(NEXT) | instid1(VALU_DEP_1)
	v_div_fmas_f64 v[216:217], v[216:217], v[218:219], v[222:223]
	v_div_fixup_f64 v[230:231], v[216:217], v[214:215], 1.0
	s_delay_alu instid0(VALU_DEP_1)
	v_mul_f64 v[228:229], v[212:213], v[230:231]
	v_xor_b32_e32 v231, 0x80000000, v231
.LBB112_343:
	s_and_not1_saveexec_b32 s2, s2
	s_cbranch_execz .LBB112_345
; %bb.344:
	s_delay_alu instid0(VALU_DEP_1) | instskip(SKIP_1) | instid1(VALU_DEP_2)
	v_div_scale_f64 v[212:213], null, v[228:229], v[228:229], v[230:231]
	v_div_scale_f64 v[218:219], vcc_lo, v[230:231], v[228:229], v[230:231]
	v_rcp_f64_e32 v[214:215], v[212:213]
	s_waitcnt_depctr 0xfff
	v_fma_f64 v[216:217], -v[212:213], v[214:215], 1.0
	s_delay_alu instid0(VALU_DEP_1) | instskip(NEXT) | instid1(VALU_DEP_1)
	v_fma_f64 v[214:215], v[214:215], v[216:217], v[214:215]
	v_fma_f64 v[216:217], -v[212:213], v[214:215], 1.0
	s_delay_alu instid0(VALU_DEP_1) | instskip(NEXT) | instid1(VALU_DEP_1)
	v_fma_f64 v[214:215], v[214:215], v[216:217], v[214:215]
	v_mul_f64 v[216:217], v[218:219], v[214:215]
	s_delay_alu instid0(VALU_DEP_1) | instskip(NEXT) | instid1(VALU_DEP_1)
	v_fma_f64 v[212:213], -v[212:213], v[216:217], v[218:219]
	v_div_fmas_f64 v[212:213], v[212:213], v[214:215], v[216:217]
	s_delay_alu instid0(VALU_DEP_1) | instskip(NEXT) | instid1(VALU_DEP_1)
	v_div_fixup_f64 v[212:213], v[212:213], v[228:229], v[230:231]
	v_fma_f64 v[214:215], v[230:231], v[212:213], v[228:229]
	s_delay_alu instid0(VALU_DEP_1) | instskip(NEXT) | instid1(VALU_DEP_1)
	v_div_scale_f64 v[216:217], null, v[214:215], v[214:215], 1.0
	v_rcp_f64_e32 v[218:219], v[216:217]
	s_waitcnt_depctr 0xfff
	v_fma_f64 v[220:221], -v[216:217], v[218:219], 1.0
	s_delay_alu instid0(VALU_DEP_1) | instskip(NEXT) | instid1(VALU_DEP_1)
	v_fma_f64 v[218:219], v[218:219], v[220:221], v[218:219]
	v_fma_f64 v[220:221], -v[216:217], v[218:219], 1.0
	s_delay_alu instid0(VALU_DEP_1) | instskip(SKIP_1) | instid1(VALU_DEP_1)
	v_fma_f64 v[218:219], v[218:219], v[220:221], v[218:219]
	v_div_scale_f64 v[220:221], vcc_lo, 1.0, v[214:215], 1.0
	v_mul_f64 v[222:223], v[220:221], v[218:219]
	s_delay_alu instid0(VALU_DEP_1) | instskip(NEXT) | instid1(VALU_DEP_1)
	v_fma_f64 v[216:217], -v[216:217], v[222:223], v[220:221]
	v_div_fmas_f64 v[216:217], v[216:217], v[218:219], v[222:223]
	s_delay_alu instid0(VALU_DEP_1) | instskip(NEXT) | instid1(VALU_DEP_1)
	v_div_fixup_f64 v[228:229], v[216:217], v[214:215], 1.0
	v_mul_f64 v[230:231], v[212:213], -v[228:229]
.LBB112_345:
	s_or_b32 exec_lo, exec_lo, s2
.LBB112_346:
	s_delay_alu instid0(SALU_CYCLE_1) | instskip(NEXT) | instid1(SALU_CYCLE_1)
	s_or_b32 exec_lo, exec_lo, s3
	s_mov_b32 s2, exec_lo
	v_cmpx_ne_u32_e64 v244, v236
	s_xor_b32 s2, exec_lo, s2
	s_cbranch_execz .LBB112_352
; %bb.347:
	s_mov_b32 s3, exec_lo
	v_cmpx_eq_u32_e32 16, v244
	s_cbranch_execz .LBB112_351
; %bb.348:
	v_cmp_ne_u32_e32 vcc_lo, 16, v236
	s_xor_b32 s4, s5, -1
	s_delay_alu instid0(SALU_CYCLE_1) | instskip(NEXT) | instid1(SALU_CYCLE_1)
	s_and_b32 s6, s4, vcc_lo
	s_and_saveexec_b32 s4, s6
	s_cbranch_execz .LBB112_350
; %bb.349:
	scratch_load_b64 v[10:11], off, off     ; 8-byte Folded Reload
	v_ashrrev_i32_e32 v237, 31, v236
	s_delay_alu instid0(VALU_DEP_1) | instskip(SKIP_1) | instid1(VALU_DEP_1)
	v_lshlrev_b64 v[212:213], 2, v[236:237]
	s_waitcnt vmcnt(0)
	v_add_co_u32 v212, vcc_lo, v10, v212
	s_delay_alu instid0(VALU_DEP_2)
	v_add_co_ci_u32_e32 v213, vcc_lo, v11, v213, vcc_lo
	s_clause 0x1
	flat_load_b32 v214, v[212:213]
	flat_load_b32 v215, v[10:11] offset:64
	s_waitcnt vmcnt(1) lgkmcnt(1)
	flat_store_b32 v[10:11], v214 offset:64
	s_waitcnt vmcnt(0) lgkmcnt(1)
	flat_store_b32 v[212:213], v215
.LBB112_350:
	s_or_b32 exec_lo, exec_lo, s4
	v_mov_b32_e32 v244, v236
	v_mov_b32_e32 v243, v236
.LBB112_351:
	s_or_b32 exec_lo, exec_lo, s3
.LBB112_352:
	s_and_not1_saveexec_b32 s2, s2
	s_cbranch_execz .LBB112_354
; %bb.353:
	v_mov_b32_e32 v244, 16
	ds_store_2addr_b64 v238, v[156:157], v[158:159] offset0:34 offset1:35
	ds_store_2addr_b64 v238, v[152:153], v[154:155] offset0:36 offset1:37
	;; [unrolled: 1-line block ×40, first 2 shown]
.LBB112_354:
	s_or_b32 exec_lo, exec_lo, s2
	s_delay_alu instid0(SALU_CYCLE_1)
	s_mov_b32 s2, exec_lo
	s_waitcnt lgkmcnt(0)
	s_waitcnt_vscnt null, 0x0
	s_barrier
	buffer_gl0_inv
	v_cmpx_lt_i32_e32 16, v244
	s_cbranch_execz .LBB112_356
; %bb.355:
	v_mul_f64 v[212:213], v[230:231], v[162:163]
	v_mul_f64 v[162:163], v[228:229], v[162:163]
	s_delay_alu instid0(VALU_DEP_2) | instskip(NEXT) | instid1(VALU_DEP_2)
	v_fma_f64 v[236:237], v[228:229], v[160:161], -v[212:213]
	v_fma_f64 v[162:163], v[230:231], v[160:161], v[162:163]
	ds_load_2addr_b64 v[228:231], v238 offset0:34 offset1:35
	s_waitcnt lgkmcnt(0)
	v_mul_f64 v[160:161], v[230:231], v[162:163]
	v_mul_f64 v[212:213], v[228:229], v[162:163]
	s_delay_alu instid0(VALU_DEP_2) | instskip(NEXT) | instid1(VALU_DEP_2)
	v_fma_f64 v[160:161], v[228:229], v[236:237], -v[160:161]
	v_fma_f64 v[212:213], v[230:231], v[236:237], v[212:213]
	ds_load_2addr_b64 v[228:231], v238 offset0:36 offset1:37
	v_add_f64 v[156:157], v[156:157], -v[160:161]
	v_add_f64 v[158:159], v[158:159], -v[212:213]
	s_waitcnt lgkmcnt(0)
	v_mul_f64 v[160:161], v[230:231], v[162:163]
	v_mul_f64 v[212:213], v[228:229], v[162:163]
	s_delay_alu instid0(VALU_DEP_2) | instskip(NEXT) | instid1(VALU_DEP_2)
	v_fma_f64 v[160:161], v[228:229], v[236:237], -v[160:161]
	v_fma_f64 v[212:213], v[230:231], v[236:237], v[212:213]
	ds_load_2addr_b64 v[228:231], v238 offset0:38 offset1:39
	v_add_f64 v[152:153], v[152:153], -v[160:161]
	v_add_f64 v[154:155], v[154:155], -v[212:213]
	;; [unrolled: 9-line block ×39, first 2 shown]
	s_waitcnt lgkmcnt(0)
	v_mul_f64 v[160:161], v[230:231], v[162:163]
	v_mul_f64 v[212:213], v[228:229], v[162:163]
	s_delay_alu instid0(VALU_DEP_2) | instskip(NEXT) | instid1(VALU_DEP_2)
	v_fma_f64 v[160:161], v[228:229], v[236:237], -v[160:161]
	v_fma_f64 v[212:213], v[230:231], v[236:237], v[212:213]
	s_delay_alu instid0(VALU_DEP_2) | instskip(NEXT) | instid1(VALU_DEP_2)
	v_add_f64 v[0:1], v[0:1], -v[160:161]
	v_add_f64 v[2:3], v[2:3], -v[212:213]
	v_dual_mov_b32 v160, v236 :: v_dual_mov_b32 v161, v237
.LBB112_356:
	s_or_b32 exec_lo, exec_lo, s2
	v_lshl_add_u32 v212, v244, 4, v238
	s_barrier
	buffer_gl0_inv
	v_mov_b32_e32 v236, 17
	ds_store_2addr_b64 v212, v[156:157], v[158:159] offset1:1
	s_waitcnt lgkmcnt(0)
	s_barrier
	buffer_gl0_inv
	ds_load_2addr_b64 v[228:231], v238 offset0:34 offset1:35
	s_cmp_lt_i32 s12, 19
	s_cbranch_scc1 .LBB112_359
; %bb.357:
	v_add3_u32 v237, v242, 0, 0x120
	v_mov_b32_e32 v236, 17
	s_mov_b32 s6, 18
	s_set_inst_prefetch_distance 0x1
	.p2align	6
.LBB112_358:                            ; =>This Inner Loop Header: Depth=1
	ds_load_2addr_b64 v[245:248], v237 offset1:1
	s_waitcnt lgkmcnt(1)
	v_cmp_gt_f64_e32 vcc_lo, 0, v[228:229]
	v_cmp_gt_f64_e64 s2, 0, v[230:231]
	v_xor_b32_e32 v213, 0x80000000, v229
	v_xor_b32_e32 v217, 0x80000000, v231
	v_add_nc_u32_e32 v237, 16, v237
	s_waitcnt lgkmcnt(0)
	v_cmp_gt_f64_e64 s3, 0, v[245:246]
	v_cmp_gt_f64_e64 s4, 0, v[247:248]
	v_xor_b32_e32 v219, 0x80000000, v246
	v_mov_b32_e32 v212, v245
	v_xor_b32_e32 v220, 0x80000000, v248
	v_mov_b32_e32 v214, v247
	v_dual_cndmask_b32 v216, v229, v213 :: v_dual_cndmask_b32 v215, v228, v228
	v_cndmask_b32_e64 v218, v231, v217, s2
	v_cndmask_b32_e64 v217, v230, v230, s2
	s_delay_alu instid0(VALU_DEP_1) | instskip(SKIP_2) | instid1(VALU_DEP_1)
	v_add_f64 v[216:217], v[215:216], v[217:218]
	v_cndmask_b32_e64 v213, v246, v219, s3
	v_cndmask_b32_e64 v215, v248, v220, s4
	v_add_f64 v[212:213], v[212:213], v[214:215]
	s_delay_alu instid0(VALU_DEP_1)
	v_cmp_lt_f64_e32 vcc_lo, v[216:217], v[212:213]
	v_cndmask_b32_e32 v231, v231, v248, vcc_lo
	v_dual_cndmask_b32 v229, v229, v246 :: v_dual_cndmask_b32 v228, v228, v245
	v_cndmask_b32_e32 v230, v230, v247, vcc_lo
	v_cndmask_b32_e64 v236, v236, s6, vcc_lo
	s_add_i32 s6, s6, 1
	s_delay_alu instid0(SALU_CYCLE_1)
	s_cmp_lg_u32 s12, s6
	s_cbranch_scc1 .LBB112_358
.LBB112_359:
	s_set_inst_prefetch_distance 0x2
	s_waitcnt lgkmcnt(0)
	v_cmp_eq_f64_e32 vcc_lo, 0, v[228:229]
	v_cmp_eq_f64_e64 s2, 0, v[230:231]
	s_delay_alu instid0(VALU_DEP_1) | instskip(NEXT) | instid1(SALU_CYCLE_1)
	s_and_b32 s2, vcc_lo, s2
	s_and_saveexec_b32 s3, s2
	s_delay_alu instid0(SALU_CYCLE_1)
	s_xor_b32 s2, exec_lo, s3
; %bb.360:
	v_cmp_ne_u32_e32 vcc_lo, 0, v241
	v_cndmask_b32_e32 v241, 18, v241, vcc_lo
; %bb.361:
	s_and_not1_saveexec_b32 s3, s2
	s_cbranch_execz .LBB112_367
; %bb.362:
	v_cmp_gt_f64_e32 vcc_lo, 0, v[228:229]
	v_cmp_gt_f64_e64 s2, 0, v[230:231]
	v_xor_b32_e32 v212, 0x80000000, v229
	v_xor_b32_e32 v214, 0x80000000, v231
	s_delay_alu instid0(VALU_DEP_2) | instskip(NEXT) | instid1(VALU_DEP_2)
	v_cndmask_b32_e32 v213, v229, v212, vcc_lo
	v_cndmask_b32_e64 v215, v231, v214, s2
	v_cndmask_b32_e32 v212, v228, v228, vcc_lo
	v_cndmask_b32_e64 v214, v230, v230, s2
	s_mov_b32 s2, exec_lo
	s_delay_alu instid0(VALU_DEP_1)
	v_cmpx_ngt_f64_e32 v[212:213], v[214:215]
	s_xor_b32 s2, exec_lo, s2
	s_cbranch_execz .LBB112_364
; %bb.363:
	v_div_scale_f64 v[212:213], null, v[230:231], v[230:231], v[228:229]
	v_div_scale_f64 v[218:219], vcc_lo, v[228:229], v[230:231], v[228:229]
	s_delay_alu instid0(VALU_DEP_2) | instskip(SKIP_2) | instid1(VALU_DEP_1)
	v_rcp_f64_e32 v[214:215], v[212:213]
	s_waitcnt_depctr 0xfff
	v_fma_f64 v[216:217], -v[212:213], v[214:215], 1.0
	v_fma_f64 v[214:215], v[214:215], v[216:217], v[214:215]
	s_delay_alu instid0(VALU_DEP_1) | instskip(NEXT) | instid1(VALU_DEP_1)
	v_fma_f64 v[216:217], -v[212:213], v[214:215], 1.0
	v_fma_f64 v[214:215], v[214:215], v[216:217], v[214:215]
	s_delay_alu instid0(VALU_DEP_1) | instskip(NEXT) | instid1(VALU_DEP_1)
	v_mul_f64 v[216:217], v[218:219], v[214:215]
	v_fma_f64 v[212:213], -v[212:213], v[216:217], v[218:219]
	s_delay_alu instid0(VALU_DEP_1) | instskip(NEXT) | instid1(VALU_DEP_1)
	v_div_fmas_f64 v[212:213], v[212:213], v[214:215], v[216:217]
	v_div_fixup_f64 v[212:213], v[212:213], v[230:231], v[228:229]
	s_delay_alu instid0(VALU_DEP_1) | instskip(NEXT) | instid1(VALU_DEP_1)
	v_fma_f64 v[214:215], v[228:229], v[212:213], v[230:231]
	v_div_scale_f64 v[216:217], null, v[214:215], v[214:215], 1.0
	s_delay_alu instid0(VALU_DEP_1) | instskip(SKIP_2) | instid1(VALU_DEP_1)
	v_rcp_f64_e32 v[218:219], v[216:217]
	s_waitcnt_depctr 0xfff
	v_fma_f64 v[220:221], -v[216:217], v[218:219], 1.0
	v_fma_f64 v[218:219], v[218:219], v[220:221], v[218:219]
	s_delay_alu instid0(VALU_DEP_1) | instskip(NEXT) | instid1(VALU_DEP_1)
	v_fma_f64 v[220:221], -v[216:217], v[218:219], 1.0
	v_fma_f64 v[218:219], v[218:219], v[220:221], v[218:219]
	v_div_scale_f64 v[220:221], vcc_lo, 1.0, v[214:215], 1.0
	s_delay_alu instid0(VALU_DEP_1) | instskip(NEXT) | instid1(VALU_DEP_1)
	v_mul_f64 v[222:223], v[220:221], v[218:219]
	v_fma_f64 v[216:217], -v[216:217], v[222:223], v[220:221]
	s_delay_alu instid0(VALU_DEP_1) | instskip(NEXT) | instid1(VALU_DEP_1)
	v_div_fmas_f64 v[216:217], v[216:217], v[218:219], v[222:223]
	v_div_fixup_f64 v[230:231], v[216:217], v[214:215], 1.0
	s_delay_alu instid0(VALU_DEP_1)
	v_mul_f64 v[228:229], v[212:213], v[230:231]
	v_xor_b32_e32 v231, 0x80000000, v231
.LBB112_364:
	s_and_not1_saveexec_b32 s2, s2
	s_cbranch_execz .LBB112_366
; %bb.365:
	s_delay_alu instid0(VALU_DEP_1) | instskip(SKIP_1) | instid1(VALU_DEP_2)
	v_div_scale_f64 v[212:213], null, v[228:229], v[228:229], v[230:231]
	v_div_scale_f64 v[218:219], vcc_lo, v[230:231], v[228:229], v[230:231]
	v_rcp_f64_e32 v[214:215], v[212:213]
	s_waitcnt_depctr 0xfff
	v_fma_f64 v[216:217], -v[212:213], v[214:215], 1.0
	s_delay_alu instid0(VALU_DEP_1) | instskip(NEXT) | instid1(VALU_DEP_1)
	v_fma_f64 v[214:215], v[214:215], v[216:217], v[214:215]
	v_fma_f64 v[216:217], -v[212:213], v[214:215], 1.0
	s_delay_alu instid0(VALU_DEP_1) | instskip(NEXT) | instid1(VALU_DEP_1)
	v_fma_f64 v[214:215], v[214:215], v[216:217], v[214:215]
	v_mul_f64 v[216:217], v[218:219], v[214:215]
	s_delay_alu instid0(VALU_DEP_1) | instskip(NEXT) | instid1(VALU_DEP_1)
	v_fma_f64 v[212:213], -v[212:213], v[216:217], v[218:219]
	v_div_fmas_f64 v[212:213], v[212:213], v[214:215], v[216:217]
	s_delay_alu instid0(VALU_DEP_1) | instskip(NEXT) | instid1(VALU_DEP_1)
	v_div_fixup_f64 v[212:213], v[212:213], v[228:229], v[230:231]
	v_fma_f64 v[214:215], v[230:231], v[212:213], v[228:229]
	s_delay_alu instid0(VALU_DEP_1) | instskip(NEXT) | instid1(VALU_DEP_1)
	v_div_scale_f64 v[216:217], null, v[214:215], v[214:215], 1.0
	v_rcp_f64_e32 v[218:219], v[216:217]
	s_waitcnt_depctr 0xfff
	v_fma_f64 v[220:221], -v[216:217], v[218:219], 1.0
	s_delay_alu instid0(VALU_DEP_1) | instskip(NEXT) | instid1(VALU_DEP_1)
	v_fma_f64 v[218:219], v[218:219], v[220:221], v[218:219]
	v_fma_f64 v[220:221], -v[216:217], v[218:219], 1.0
	s_delay_alu instid0(VALU_DEP_1) | instskip(SKIP_1) | instid1(VALU_DEP_1)
	v_fma_f64 v[218:219], v[218:219], v[220:221], v[218:219]
	v_div_scale_f64 v[220:221], vcc_lo, 1.0, v[214:215], 1.0
	v_mul_f64 v[222:223], v[220:221], v[218:219]
	s_delay_alu instid0(VALU_DEP_1) | instskip(NEXT) | instid1(VALU_DEP_1)
	v_fma_f64 v[216:217], -v[216:217], v[222:223], v[220:221]
	v_div_fmas_f64 v[216:217], v[216:217], v[218:219], v[222:223]
	s_delay_alu instid0(VALU_DEP_1) | instskip(NEXT) | instid1(VALU_DEP_1)
	v_div_fixup_f64 v[228:229], v[216:217], v[214:215], 1.0
	v_mul_f64 v[230:231], v[212:213], -v[228:229]
.LBB112_366:
	s_or_b32 exec_lo, exec_lo, s2
.LBB112_367:
	s_delay_alu instid0(SALU_CYCLE_1) | instskip(NEXT) | instid1(SALU_CYCLE_1)
	s_or_b32 exec_lo, exec_lo, s3
	s_mov_b32 s2, exec_lo
	v_cmpx_ne_u32_e64 v244, v236
	s_xor_b32 s2, exec_lo, s2
	s_cbranch_execz .LBB112_373
; %bb.368:
	s_mov_b32 s3, exec_lo
	v_cmpx_eq_u32_e32 17, v244
	s_cbranch_execz .LBB112_372
; %bb.369:
	v_cmp_ne_u32_e32 vcc_lo, 17, v236
	s_xor_b32 s4, s5, -1
	s_delay_alu instid0(SALU_CYCLE_1) | instskip(NEXT) | instid1(SALU_CYCLE_1)
	s_and_b32 s6, s4, vcc_lo
	s_and_saveexec_b32 s4, s6
	s_cbranch_execz .LBB112_371
; %bb.370:
	scratch_load_b64 v[10:11], off, off     ; 8-byte Folded Reload
	v_ashrrev_i32_e32 v237, 31, v236
	s_delay_alu instid0(VALU_DEP_1) | instskip(SKIP_1) | instid1(VALU_DEP_1)
	v_lshlrev_b64 v[212:213], 2, v[236:237]
	s_waitcnt vmcnt(0)
	v_add_co_u32 v212, vcc_lo, v10, v212
	s_delay_alu instid0(VALU_DEP_2)
	v_add_co_ci_u32_e32 v213, vcc_lo, v11, v213, vcc_lo
	s_clause 0x1
	flat_load_b32 v214, v[212:213]
	flat_load_b32 v215, v[10:11] offset:68
	s_waitcnt vmcnt(1) lgkmcnt(1)
	flat_store_b32 v[10:11], v214 offset:68
	s_waitcnt vmcnt(0) lgkmcnt(1)
	flat_store_b32 v[212:213], v215
.LBB112_371:
	s_or_b32 exec_lo, exec_lo, s4
	v_mov_b32_e32 v244, v236
	v_mov_b32_e32 v243, v236
.LBB112_372:
	s_or_b32 exec_lo, exec_lo, s3
.LBB112_373:
	s_and_not1_saveexec_b32 s2, s2
	s_cbranch_execz .LBB112_375
; %bb.374:
	v_mov_b32_e32 v244, 17
	ds_store_2addr_b64 v238, v[152:153], v[154:155] offset0:36 offset1:37
	ds_store_2addr_b64 v238, v[148:149], v[150:151] offset0:38 offset1:39
	;; [unrolled: 1-line block ×39, first 2 shown]
.LBB112_375:
	s_or_b32 exec_lo, exec_lo, s2
	s_delay_alu instid0(SALU_CYCLE_1)
	s_mov_b32 s2, exec_lo
	s_waitcnt lgkmcnt(0)
	s_waitcnt_vscnt null, 0x0
	s_barrier
	buffer_gl0_inv
	v_cmpx_lt_i32_e32 17, v244
	s_cbranch_execz .LBB112_377
; %bb.376:
	v_mul_f64 v[212:213], v[230:231], v[158:159]
	v_mul_f64 v[158:159], v[228:229], v[158:159]
	s_delay_alu instid0(VALU_DEP_2) | instskip(NEXT) | instid1(VALU_DEP_2)
	v_fma_f64 v[236:237], v[228:229], v[156:157], -v[212:213]
	v_fma_f64 v[158:159], v[230:231], v[156:157], v[158:159]
	ds_load_2addr_b64 v[228:231], v238 offset0:36 offset1:37
	s_waitcnt lgkmcnt(0)
	v_mul_f64 v[156:157], v[230:231], v[158:159]
	v_mul_f64 v[212:213], v[228:229], v[158:159]
	s_delay_alu instid0(VALU_DEP_2) | instskip(NEXT) | instid1(VALU_DEP_2)
	v_fma_f64 v[156:157], v[228:229], v[236:237], -v[156:157]
	v_fma_f64 v[212:213], v[230:231], v[236:237], v[212:213]
	ds_load_2addr_b64 v[228:231], v238 offset0:38 offset1:39
	v_add_f64 v[152:153], v[152:153], -v[156:157]
	v_add_f64 v[154:155], v[154:155], -v[212:213]
	s_waitcnt lgkmcnt(0)
	v_mul_f64 v[156:157], v[230:231], v[158:159]
	v_mul_f64 v[212:213], v[228:229], v[158:159]
	s_delay_alu instid0(VALU_DEP_2) | instskip(NEXT) | instid1(VALU_DEP_2)
	v_fma_f64 v[156:157], v[228:229], v[236:237], -v[156:157]
	v_fma_f64 v[212:213], v[230:231], v[236:237], v[212:213]
	ds_load_2addr_b64 v[228:231], v238 offset0:40 offset1:41
	v_add_f64 v[148:149], v[148:149], -v[156:157]
	v_add_f64 v[150:151], v[150:151], -v[212:213]
	s_waitcnt lgkmcnt(0)
	v_mul_f64 v[156:157], v[230:231], v[158:159]
	v_mul_f64 v[212:213], v[228:229], v[158:159]
	s_delay_alu instid0(VALU_DEP_2) | instskip(NEXT) | instid1(VALU_DEP_2)
	v_fma_f64 v[156:157], v[228:229], v[236:237], -v[156:157]
	v_fma_f64 v[212:213], v[230:231], v[236:237], v[212:213]
	ds_load_2addr_b64 v[228:231], v238 offset0:42 offset1:43
	v_add_f64 v[144:145], v[144:145], -v[156:157]
	v_add_f64 v[146:147], v[146:147], -v[212:213]
	s_waitcnt lgkmcnt(0)
	v_mul_f64 v[156:157], v[230:231], v[158:159]
	v_mul_f64 v[212:213], v[228:229], v[158:159]
	s_delay_alu instid0(VALU_DEP_2) | instskip(NEXT) | instid1(VALU_DEP_2)
	v_fma_f64 v[156:157], v[228:229], v[236:237], -v[156:157]
	v_fma_f64 v[212:213], v[230:231], v[236:237], v[212:213]
	ds_load_2addr_b64 v[228:231], v238 offset0:44 offset1:45
	v_add_f64 v[140:141], v[140:141], -v[156:157]
	v_add_f64 v[142:143], v[142:143], -v[212:213]
	s_waitcnt lgkmcnt(0)
	v_mul_f64 v[156:157], v[230:231], v[158:159]
	v_mul_f64 v[212:213], v[228:229], v[158:159]
	s_delay_alu instid0(VALU_DEP_2) | instskip(NEXT) | instid1(VALU_DEP_2)
	v_fma_f64 v[156:157], v[228:229], v[236:237], -v[156:157]
	v_fma_f64 v[212:213], v[230:231], v[236:237], v[212:213]
	ds_load_2addr_b64 v[228:231], v238 offset0:46 offset1:47
	v_add_f64 v[136:137], v[136:137], -v[156:157]
	v_add_f64 v[138:139], v[138:139], -v[212:213]
	s_waitcnt lgkmcnt(0)
	v_mul_f64 v[156:157], v[230:231], v[158:159]
	v_mul_f64 v[212:213], v[228:229], v[158:159]
	s_delay_alu instid0(VALU_DEP_2) | instskip(NEXT) | instid1(VALU_DEP_2)
	v_fma_f64 v[156:157], v[228:229], v[236:237], -v[156:157]
	v_fma_f64 v[212:213], v[230:231], v[236:237], v[212:213]
	ds_load_2addr_b64 v[228:231], v238 offset0:48 offset1:49
	v_add_f64 v[132:133], v[132:133], -v[156:157]
	v_add_f64 v[134:135], v[134:135], -v[212:213]
	s_waitcnt lgkmcnt(0)
	v_mul_f64 v[156:157], v[230:231], v[158:159]
	v_mul_f64 v[212:213], v[228:229], v[158:159]
	s_delay_alu instid0(VALU_DEP_2) | instskip(NEXT) | instid1(VALU_DEP_2)
	v_fma_f64 v[156:157], v[228:229], v[236:237], -v[156:157]
	v_fma_f64 v[212:213], v[230:231], v[236:237], v[212:213]
	ds_load_2addr_b64 v[228:231], v238 offset0:50 offset1:51
	v_add_f64 v[128:129], v[128:129], -v[156:157]
	v_add_f64 v[130:131], v[130:131], -v[212:213]
	s_waitcnt lgkmcnt(0)
	v_mul_f64 v[156:157], v[230:231], v[158:159]
	v_mul_f64 v[212:213], v[228:229], v[158:159]
	s_delay_alu instid0(VALU_DEP_2) | instskip(NEXT) | instid1(VALU_DEP_2)
	v_fma_f64 v[156:157], v[228:229], v[236:237], -v[156:157]
	v_fma_f64 v[212:213], v[230:231], v[236:237], v[212:213]
	ds_load_2addr_b64 v[228:231], v238 offset0:52 offset1:53
	v_add_f64 v[124:125], v[124:125], -v[156:157]
	v_add_f64 v[126:127], v[126:127], -v[212:213]
	s_waitcnt lgkmcnt(0)
	v_mul_f64 v[156:157], v[230:231], v[158:159]
	v_mul_f64 v[212:213], v[228:229], v[158:159]
	s_delay_alu instid0(VALU_DEP_2) | instskip(NEXT) | instid1(VALU_DEP_2)
	v_fma_f64 v[156:157], v[228:229], v[236:237], -v[156:157]
	v_fma_f64 v[212:213], v[230:231], v[236:237], v[212:213]
	ds_load_2addr_b64 v[228:231], v238 offset0:54 offset1:55
	v_add_f64 v[120:121], v[120:121], -v[156:157]
	v_add_f64 v[122:123], v[122:123], -v[212:213]
	s_waitcnt lgkmcnt(0)
	v_mul_f64 v[156:157], v[230:231], v[158:159]
	v_mul_f64 v[212:213], v[228:229], v[158:159]
	s_delay_alu instid0(VALU_DEP_2) | instskip(NEXT) | instid1(VALU_DEP_2)
	v_fma_f64 v[156:157], v[228:229], v[236:237], -v[156:157]
	v_fma_f64 v[212:213], v[230:231], v[236:237], v[212:213]
	ds_load_2addr_b64 v[228:231], v238 offset0:56 offset1:57
	v_add_f64 v[116:117], v[116:117], -v[156:157]
	v_add_f64 v[118:119], v[118:119], -v[212:213]
	s_waitcnt lgkmcnt(0)
	v_mul_f64 v[156:157], v[230:231], v[158:159]
	v_mul_f64 v[212:213], v[228:229], v[158:159]
	s_delay_alu instid0(VALU_DEP_2) | instskip(NEXT) | instid1(VALU_DEP_2)
	v_fma_f64 v[156:157], v[228:229], v[236:237], -v[156:157]
	v_fma_f64 v[212:213], v[230:231], v[236:237], v[212:213]
	ds_load_2addr_b64 v[228:231], v238 offset0:58 offset1:59
	v_add_f64 v[112:113], v[112:113], -v[156:157]
	v_add_f64 v[114:115], v[114:115], -v[212:213]
	s_waitcnt lgkmcnt(0)
	v_mul_f64 v[156:157], v[230:231], v[158:159]
	v_mul_f64 v[212:213], v[228:229], v[158:159]
	s_delay_alu instid0(VALU_DEP_2) | instskip(NEXT) | instid1(VALU_DEP_2)
	v_fma_f64 v[156:157], v[228:229], v[236:237], -v[156:157]
	v_fma_f64 v[212:213], v[230:231], v[236:237], v[212:213]
	ds_load_2addr_b64 v[228:231], v238 offset0:60 offset1:61
	v_add_f64 v[108:109], v[108:109], -v[156:157]
	v_add_f64 v[110:111], v[110:111], -v[212:213]
	s_waitcnt lgkmcnt(0)
	v_mul_f64 v[156:157], v[230:231], v[158:159]
	v_mul_f64 v[212:213], v[228:229], v[158:159]
	s_delay_alu instid0(VALU_DEP_2) | instskip(NEXT) | instid1(VALU_DEP_2)
	v_fma_f64 v[156:157], v[228:229], v[236:237], -v[156:157]
	v_fma_f64 v[212:213], v[230:231], v[236:237], v[212:213]
	ds_load_2addr_b64 v[228:231], v238 offset0:62 offset1:63
	v_add_f64 v[104:105], v[104:105], -v[156:157]
	v_add_f64 v[106:107], v[106:107], -v[212:213]
	s_waitcnt lgkmcnt(0)
	v_mul_f64 v[156:157], v[230:231], v[158:159]
	v_mul_f64 v[212:213], v[228:229], v[158:159]
	s_delay_alu instid0(VALU_DEP_2) | instskip(NEXT) | instid1(VALU_DEP_2)
	v_fma_f64 v[156:157], v[228:229], v[236:237], -v[156:157]
	v_fma_f64 v[212:213], v[230:231], v[236:237], v[212:213]
	ds_load_2addr_b64 v[228:231], v238 offset0:64 offset1:65
	v_add_f64 v[100:101], v[100:101], -v[156:157]
	v_add_f64 v[102:103], v[102:103], -v[212:213]
	s_waitcnt lgkmcnt(0)
	v_mul_f64 v[156:157], v[230:231], v[158:159]
	v_mul_f64 v[212:213], v[228:229], v[158:159]
	s_delay_alu instid0(VALU_DEP_2) | instskip(NEXT) | instid1(VALU_DEP_2)
	v_fma_f64 v[156:157], v[228:229], v[236:237], -v[156:157]
	v_fma_f64 v[212:213], v[230:231], v[236:237], v[212:213]
	ds_load_2addr_b64 v[228:231], v238 offset0:66 offset1:67
	v_add_f64 v[96:97], v[96:97], -v[156:157]
	v_add_f64 v[98:99], v[98:99], -v[212:213]
	s_waitcnt lgkmcnt(0)
	v_mul_f64 v[156:157], v[230:231], v[158:159]
	v_mul_f64 v[212:213], v[228:229], v[158:159]
	s_delay_alu instid0(VALU_DEP_2) | instskip(NEXT) | instid1(VALU_DEP_2)
	v_fma_f64 v[156:157], v[228:229], v[236:237], -v[156:157]
	v_fma_f64 v[212:213], v[230:231], v[236:237], v[212:213]
	ds_load_2addr_b64 v[228:231], v238 offset0:68 offset1:69
	v_add_f64 v[92:93], v[92:93], -v[156:157]
	v_add_f64 v[94:95], v[94:95], -v[212:213]
	s_waitcnt lgkmcnt(0)
	v_mul_f64 v[156:157], v[230:231], v[158:159]
	v_mul_f64 v[212:213], v[228:229], v[158:159]
	s_delay_alu instid0(VALU_DEP_2) | instskip(NEXT) | instid1(VALU_DEP_2)
	v_fma_f64 v[156:157], v[228:229], v[236:237], -v[156:157]
	v_fma_f64 v[212:213], v[230:231], v[236:237], v[212:213]
	ds_load_2addr_b64 v[228:231], v238 offset0:70 offset1:71
	v_add_f64 v[88:89], v[88:89], -v[156:157]
	v_add_f64 v[90:91], v[90:91], -v[212:213]
	s_waitcnt lgkmcnt(0)
	v_mul_f64 v[156:157], v[230:231], v[158:159]
	v_mul_f64 v[212:213], v[228:229], v[158:159]
	s_delay_alu instid0(VALU_DEP_2) | instskip(NEXT) | instid1(VALU_DEP_2)
	v_fma_f64 v[156:157], v[228:229], v[236:237], -v[156:157]
	v_fma_f64 v[212:213], v[230:231], v[236:237], v[212:213]
	ds_load_2addr_b64 v[228:231], v238 offset0:72 offset1:73
	v_add_f64 v[84:85], v[84:85], -v[156:157]
	v_add_f64 v[86:87], v[86:87], -v[212:213]
	s_waitcnt lgkmcnt(0)
	v_mul_f64 v[156:157], v[230:231], v[158:159]
	v_mul_f64 v[212:213], v[228:229], v[158:159]
	s_delay_alu instid0(VALU_DEP_2) | instskip(NEXT) | instid1(VALU_DEP_2)
	v_fma_f64 v[156:157], v[228:229], v[236:237], -v[156:157]
	v_fma_f64 v[212:213], v[230:231], v[236:237], v[212:213]
	ds_load_2addr_b64 v[228:231], v238 offset0:74 offset1:75
	v_add_f64 v[80:81], v[80:81], -v[156:157]
	v_add_f64 v[82:83], v[82:83], -v[212:213]
	s_waitcnt lgkmcnt(0)
	v_mul_f64 v[156:157], v[230:231], v[158:159]
	v_mul_f64 v[212:213], v[228:229], v[158:159]
	s_delay_alu instid0(VALU_DEP_2) | instskip(NEXT) | instid1(VALU_DEP_2)
	v_fma_f64 v[156:157], v[228:229], v[236:237], -v[156:157]
	v_fma_f64 v[212:213], v[230:231], v[236:237], v[212:213]
	ds_load_2addr_b64 v[228:231], v238 offset0:76 offset1:77
	v_add_f64 v[76:77], v[76:77], -v[156:157]
	v_add_f64 v[78:79], v[78:79], -v[212:213]
	s_waitcnt lgkmcnt(0)
	v_mul_f64 v[156:157], v[230:231], v[158:159]
	v_mul_f64 v[212:213], v[228:229], v[158:159]
	s_delay_alu instid0(VALU_DEP_2) | instskip(NEXT) | instid1(VALU_DEP_2)
	v_fma_f64 v[156:157], v[228:229], v[236:237], -v[156:157]
	v_fma_f64 v[212:213], v[230:231], v[236:237], v[212:213]
	ds_load_2addr_b64 v[228:231], v238 offset0:78 offset1:79
	v_add_f64 v[72:73], v[72:73], -v[156:157]
	v_add_f64 v[74:75], v[74:75], -v[212:213]
	s_waitcnt lgkmcnt(0)
	v_mul_f64 v[156:157], v[230:231], v[158:159]
	v_mul_f64 v[212:213], v[228:229], v[158:159]
	s_delay_alu instid0(VALU_DEP_2) | instskip(NEXT) | instid1(VALU_DEP_2)
	v_fma_f64 v[156:157], v[228:229], v[236:237], -v[156:157]
	v_fma_f64 v[212:213], v[230:231], v[236:237], v[212:213]
	ds_load_2addr_b64 v[228:231], v238 offset0:80 offset1:81
	v_add_f64 v[68:69], v[68:69], -v[156:157]
	v_add_f64 v[70:71], v[70:71], -v[212:213]
	s_waitcnt lgkmcnt(0)
	v_mul_f64 v[156:157], v[230:231], v[158:159]
	v_mul_f64 v[212:213], v[228:229], v[158:159]
	s_delay_alu instid0(VALU_DEP_2) | instskip(NEXT) | instid1(VALU_DEP_2)
	v_fma_f64 v[156:157], v[228:229], v[236:237], -v[156:157]
	v_fma_f64 v[212:213], v[230:231], v[236:237], v[212:213]
	ds_load_2addr_b64 v[228:231], v238 offset0:82 offset1:83
	v_add_f64 v[64:65], v[64:65], -v[156:157]
	v_add_f64 v[66:67], v[66:67], -v[212:213]
	s_waitcnt lgkmcnt(0)
	v_mul_f64 v[156:157], v[230:231], v[158:159]
	v_mul_f64 v[212:213], v[228:229], v[158:159]
	s_delay_alu instid0(VALU_DEP_2) | instskip(NEXT) | instid1(VALU_DEP_2)
	v_fma_f64 v[156:157], v[228:229], v[236:237], -v[156:157]
	v_fma_f64 v[212:213], v[230:231], v[236:237], v[212:213]
	ds_load_2addr_b64 v[228:231], v238 offset0:84 offset1:85
	v_add_f64 v[60:61], v[60:61], -v[156:157]
	v_add_f64 v[62:63], v[62:63], -v[212:213]
	s_waitcnt lgkmcnt(0)
	v_mul_f64 v[156:157], v[230:231], v[158:159]
	v_mul_f64 v[212:213], v[228:229], v[158:159]
	s_delay_alu instid0(VALU_DEP_2) | instskip(NEXT) | instid1(VALU_DEP_2)
	v_fma_f64 v[156:157], v[228:229], v[236:237], -v[156:157]
	v_fma_f64 v[212:213], v[230:231], v[236:237], v[212:213]
	ds_load_2addr_b64 v[228:231], v238 offset0:86 offset1:87
	v_add_f64 v[56:57], v[56:57], -v[156:157]
	v_add_f64 v[58:59], v[58:59], -v[212:213]
	s_waitcnt lgkmcnt(0)
	v_mul_f64 v[156:157], v[230:231], v[158:159]
	v_mul_f64 v[212:213], v[228:229], v[158:159]
	s_delay_alu instid0(VALU_DEP_2) | instskip(NEXT) | instid1(VALU_DEP_2)
	v_fma_f64 v[156:157], v[228:229], v[236:237], -v[156:157]
	v_fma_f64 v[212:213], v[230:231], v[236:237], v[212:213]
	ds_load_2addr_b64 v[228:231], v238 offset0:88 offset1:89
	v_add_f64 v[52:53], v[52:53], -v[156:157]
	v_add_f64 v[54:55], v[54:55], -v[212:213]
	s_waitcnt lgkmcnt(0)
	v_mul_f64 v[156:157], v[230:231], v[158:159]
	v_mul_f64 v[212:213], v[228:229], v[158:159]
	s_delay_alu instid0(VALU_DEP_2) | instskip(NEXT) | instid1(VALU_DEP_2)
	v_fma_f64 v[156:157], v[228:229], v[236:237], -v[156:157]
	v_fma_f64 v[212:213], v[230:231], v[236:237], v[212:213]
	ds_load_2addr_b64 v[228:231], v238 offset0:90 offset1:91
	v_add_f64 v[48:49], v[48:49], -v[156:157]
	v_add_f64 v[50:51], v[50:51], -v[212:213]
	s_waitcnt lgkmcnt(0)
	v_mul_f64 v[156:157], v[230:231], v[158:159]
	v_mul_f64 v[212:213], v[228:229], v[158:159]
	s_delay_alu instid0(VALU_DEP_2) | instskip(NEXT) | instid1(VALU_DEP_2)
	v_fma_f64 v[156:157], v[228:229], v[236:237], -v[156:157]
	v_fma_f64 v[212:213], v[230:231], v[236:237], v[212:213]
	ds_load_2addr_b64 v[228:231], v238 offset0:92 offset1:93
	v_add_f64 v[44:45], v[44:45], -v[156:157]
	v_add_f64 v[46:47], v[46:47], -v[212:213]
	s_waitcnt lgkmcnt(0)
	v_mul_f64 v[156:157], v[230:231], v[158:159]
	v_mul_f64 v[212:213], v[228:229], v[158:159]
	s_delay_alu instid0(VALU_DEP_2) | instskip(NEXT) | instid1(VALU_DEP_2)
	v_fma_f64 v[156:157], v[228:229], v[236:237], -v[156:157]
	v_fma_f64 v[212:213], v[230:231], v[236:237], v[212:213]
	ds_load_2addr_b64 v[228:231], v238 offset0:94 offset1:95
	v_add_f64 v[40:41], v[40:41], -v[156:157]
	v_add_f64 v[42:43], v[42:43], -v[212:213]
	s_waitcnt lgkmcnt(0)
	v_mul_f64 v[156:157], v[230:231], v[158:159]
	v_mul_f64 v[212:213], v[228:229], v[158:159]
	s_delay_alu instid0(VALU_DEP_2) | instskip(NEXT) | instid1(VALU_DEP_2)
	v_fma_f64 v[156:157], v[228:229], v[236:237], -v[156:157]
	v_fma_f64 v[212:213], v[230:231], v[236:237], v[212:213]
	ds_load_2addr_b64 v[228:231], v238 offset0:96 offset1:97
	v_add_f64 v[36:37], v[36:37], -v[156:157]
	v_add_f64 v[38:39], v[38:39], -v[212:213]
	s_waitcnt lgkmcnt(0)
	v_mul_f64 v[156:157], v[230:231], v[158:159]
	v_mul_f64 v[212:213], v[228:229], v[158:159]
	s_delay_alu instid0(VALU_DEP_2) | instskip(NEXT) | instid1(VALU_DEP_2)
	v_fma_f64 v[156:157], v[228:229], v[236:237], -v[156:157]
	v_fma_f64 v[212:213], v[230:231], v[236:237], v[212:213]
	ds_load_2addr_b64 v[228:231], v238 offset0:98 offset1:99
	v_add_f64 v[32:33], v[32:33], -v[156:157]
	v_add_f64 v[34:35], v[34:35], -v[212:213]
	s_waitcnt lgkmcnt(0)
	v_mul_f64 v[156:157], v[230:231], v[158:159]
	v_mul_f64 v[212:213], v[228:229], v[158:159]
	s_delay_alu instid0(VALU_DEP_2) | instskip(NEXT) | instid1(VALU_DEP_2)
	v_fma_f64 v[156:157], v[228:229], v[236:237], -v[156:157]
	v_fma_f64 v[212:213], v[230:231], v[236:237], v[212:213]
	ds_load_2addr_b64 v[228:231], v238 offset0:100 offset1:101
	v_add_f64 v[28:29], v[28:29], -v[156:157]
	v_add_f64 v[30:31], v[30:31], -v[212:213]
	s_waitcnt lgkmcnt(0)
	v_mul_f64 v[156:157], v[230:231], v[158:159]
	v_mul_f64 v[212:213], v[228:229], v[158:159]
	s_delay_alu instid0(VALU_DEP_2) | instskip(NEXT) | instid1(VALU_DEP_2)
	v_fma_f64 v[156:157], v[228:229], v[236:237], -v[156:157]
	v_fma_f64 v[212:213], v[230:231], v[236:237], v[212:213]
	ds_load_2addr_b64 v[228:231], v238 offset0:102 offset1:103
	v_add_f64 v[24:25], v[24:25], -v[156:157]
	v_add_f64 v[26:27], v[26:27], -v[212:213]
	s_waitcnt lgkmcnt(0)
	v_mul_f64 v[156:157], v[230:231], v[158:159]
	v_mul_f64 v[212:213], v[228:229], v[158:159]
	s_delay_alu instid0(VALU_DEP_2) | instskip(NEXT) | instid1(VALU_DEP_2)
	v_fma_f64 v[156:157], v[228:229], v[236:237], -v[156:157]
	v_fma_f64 v[212:213], v[230:231], v[236:237], v[212:213]
	ds_load_2addr_b64 v[228:231], v238 offset0:104 offset1:105
	v_add_f64 v[20:21], v[20:21], -v[156:157]
	v_add_f64 v[22:23], v[22:23], -v[212:213]
	s_waitcnt lgkmcnt(0)
	v_mul_f64 v[156:157], v[230:231], v[158:159]
	v_mul_f64 v[212:213], v[228:229], v[158:159]
	s_delay_alu instid0(VALU_DEP_2) | instskip(NEXT) | instid1(VALU_DEP_2)
	v_fma_f64 v[156:157], v[228:229], v[236:237], -v[156:157]
	v_fma_f64 v[212:213], v[230:231], v[236:237], v[212:213]
	ds_load_2addr_b64 v[228:231], v238 offset0:106 offset1:107
	v_add_f64 v[16:17], v[16:17], -v[156:157]
	v_add_f64 v[18:19], v[18:19], -v[212:213]
	s_waitcnt lgkmcnt(0)
	v_mul_f64 v[156:157], v[230:231], v[158:159]
	v_mul_f64 v[212:213], v[228:229], v[158:159]
	s_delay_alu instid0(VALU_DEP_2) | instskip(NEXT) | instid1(VALU_DEP_2)
	v_fma_f64 v[156:157], v[228:229], v[236:237], -v[156:157]
	v_fma_f64 v[212:213], v[230:231], v[236:237], v[212:213]
	ds_load_2addr_b64 v[228:231], v238 offset0:108 offset1:109
	v_add_f64 v[12:13], v[12:13], -v[156:157]
	v_add_f64 v[14:15], v[14:15], -v[212:213]
	s_waitcnt lgkmcnt(0)
	v_mul_f64 v[156:157], v[230:231], v[158:159]
	v_mul_f64 v[212:213], v[228:229], v[158:159]
	s_delay_alu instid0(VALU_DEP_2) | instskip(NEXT) | instid1(VALU_DEP_2)
	v_fma_f64 v[156:157], v[228:229], v[236:237], -v[156:157]
	v_fma_f64 v[212:213], v[230:231], v[236:237], v[212:213]
	ds_load_2addr_b64 v[228:231], v238 offset0:110 offset1:111
	v_add_f64 v[224:225], v[224:225], -v[156:157]
	v_add_f64 v[226:227], v[226:227], -v[212:213]
	s_waitcnt lgkmcnt(0)
	v_mul_f64 v[156:157], v[230:231], v[158:159]
	v_mul_f64 v[212:213], v[228:229], v[158:159]
	s_delay_alu instid0(VALU_DEP_2) | instskip(NEXT) | instid1(VALU_DEP_2)
	v_fma_f64 v[156:157], v[228:229], v[236:237], -v[156:157]
	v_fma_f64 v[212:213], v[230:231], v[236:237], v[212:213]
	ds_load_2addr_b64 v[228:231], v238 offset0:112 offset1:113
	v_add_f64 v[250:251], v[250:251], -v[156:157]
	v_add_f64 v[252:253], v[252:253], -v[212:213]
	s_waitcnt lgkmcnt(0)
	v_mul_f64 v[156:157], v[230:231], v[158:159]
	v_mul_f64 v[212:213], v[228:229], v[158:159]
	s_delay_alu instid0(VALU_DEP_2) | instskip(NEXT) | instid1(VALU_DEP_2)
	v_fma_f64 v[156:157], v[228:229], v[236:237], -v[156:157]
	v_fma_f64 v[212:213], v[230:231], v[236:237], v[212:213]
	s_delay_alu instid0(VALU_DEP_2) | instskip(NEXT) | instid1(VALU_DEP_2)
	v_add_f64 v[0:1], v[0:1], -v[156:157]
	v_add_f64 v[2:3], v[2:3], -v[212:213]
	v_dual_mov_b32 v156, v236 :: v_dual_mov_b32 v157, v237
.LBB112_377:
	s_or_b32 exec_lo, exec_lo, s2
	v_lshl_add_u32 v212, v244, 4, v238
	s_barrier
	buffer_gl0_inv
	v_mov_b32_e32 v236, 18
	ds_store_2addr_b64 v212, v[152:153], v[154:155] offset1:1
	s_waitcnt lgkmcnt(0)
	s_barrier
	buffer_gl0_inv
	ds_load_2addr_b64 v[228:231], v238 offset0:36 offset1:37
	s_cmp_lt_i32 s12, 20
	s_cbranch_scc1 .LBB112_380
; %bb.378:
	v_add3_u32 v237, v242, 0, 0x130
	v_mov_b32_e32 v236, 18
	s_mov_b32 s6, 19
	s_set_inst_prefetch_distance 0x1
	.p2align	6
.LBB112_379:                            ; =>This Inner Loop Header: Depth=1
	ds_load_2addr_b64 v[245:248], v237 offset1:1
	s_waitcnt lgkmcnt(1)
	v_cmp_gt_f64_e32 vcc_lo, 0, v[228:229]
	v_cmp_gt_f64_e64 s2, 0, v[230:231]
	v_xor_b32_e32 v213, 0x80000000, v229
	v_xor_b32_e32 v217, 0x80000000, v231
	v_add_nc_u32_e32 v237, 16, v237
	s_waitcnt lgkmcnt(0)
	v_cmp_gt_f64_e64 s3, 0, v[245:246]
	v_cmp_gt_f64_e64 s4, 0, v[247:248]
	v_xor_b32_e32 v219, 0x80000000, v246
	v_mov_b32_e32 v212, v245
	v_xor_b32_e32 v220, 0x80000000, v248
	v_mov_b32_e32 v214, v247
	v_dual_cndmask_b32 v216, v229, v213 :: v_dual_cndmask_b32 v215, v228, v228
	v_cndmask_b32_e64 v218, v231, v217, s2
	v_cndmask_b32_e64 v217, v230, v230, s2
	s_delay_alu instid0(VALU_DEP_1) | instskip(SKIP_2) | instid1(VALU_DEP_1)
	v_add_f64 v[216:217], v[215:216], v[217:218]
	v_cndmask_b32_e64 v213, v246, v219, s3
	v_cndmask_b32_e64 v215, v248, v220, s4
	v_add_f64 v[212:213], v[212:213], v[214:215]
	s_delay_alu instid0(VALU_DEP_1)
	v_cmp_lt_f64_e32 vcc_lo, v[216:217], v[212:213]
	v_cndmask_b32_e32 v231, v231, v248, vcc_lo
	v_dual_cndmask_b32 v229, v229, v246 :: v_dual_cndmask_b32 v228, v228, v245
	v_cndmask_b32_e32 v230, v230, v247, vcc_lo
	v_cndmask_b32_e64 v236, v236, s6, vcc_lo
	s_add_i32 s6, s6, 1
	s_delay_alu instid0(SALU_CYCLE_1)
	s_cmp_lg_u32 s12, s6
	s_cbranch_scc1 .LBB112_379
.LBB112_380:
	s_set_inst_prefetch_distance 0x2
	s_waitcnt lgkmcnt(0)
	v_cmp_eq_f64_e32 vcc_lo, 0, v[228:229]
	v_cmp_eq_f64_e64 s2, 0, v[230:231]
	s_delay_alu instid0(VALU_DEP_1) | instskip(NEXT) | instid1(SALU_CYCLE_1)
	s_and_b32 s2, vcc_lo, s2
	s_and_saveexec_b32 s3, s2
	s_delay_alu instid0(SALU_CYCLE_1)
	s_xor_b32 s2, exec_lo, s3
; %bb.381:
	v_cmp_ne_u32_e32 vcc_lo, 0, v241
	v_cndmask_b32_e32 v241, 19, v241, vcc_lo
; %bb.382:
	s_and_not1_saveexec_b32 s3, s2
	s_cbranch_execz .LBB112_388
; %bb.383:
	v_cmp_gt_f64_e32 vcc_lo, 0, v[228:229]
	v_cmp_gt_f64_e64 s2, 0, v[230:231]
	v_xor_b32_e32 v212, 0x80000000, v229
	v_xor_b32_e32 v214, 0x80000000, v231
	s_delay_alu instid0(VALU_DEP_2) | instskip(NEXT) | instid1(VALU_DEP_2)
	v_cndmask_b32_e32 v213, v229, v212, vcc_lo
	v_cndmask_b32_e64 v215, v231, v214, s2
	v_cndmask_b32_e32 v212, v228, v228, vcc_lo
	v_cndmask_b32_e64 v214, v230, v230, s2
	s_mov_b32 s2, exec_lo
	s_delay_alu instid0(VALU_DEP_1)
	v_cmpx_ngt_f64_e32 v[212:213], v[214:215]
	s_xor_b32 s2, exec_lo, s2
	s_cbranch_execz .LBB112_385
; %bb.384:
	v_div_scale_f64 v[212:213], null, v[230:231], v[230:231], v[228:229]
	v_div_scale_f64 v[218:219], vcc_lo, v[228:229], v[230:231], v[228:229]
	s_delay_alu instid0(VALU_DEP_2) | instskip(SKIP_2) | instid1(VALU_DEP_1)
	v_rcp_f64_e32 v[214:215], v[212:213]
	s_waitcnt_depctr 0xfff
	v_fma_f64 v[216:217], -v[212:213], v[214:215], 1.0
	v_fma_f64 v[214:215], v[214:215], v[216:217], v[214:215]
	s_delay_alu instid0(VALU_DEP_1) | instskip(NEXT) | instid1(VALU_DEP_1)
	v_fma_f64 v[216:217], -v[212:213], v[214:215], 1.0
	v_fma_f64 v[214:215], v[214:215], v[216:217], v[214:215]
	s_delay_alu instid0(VALU_DEP_1) | instskip(NEXT) | instid1(VALU_DEP_1)
	v_mul_f64 v[216:217], v[218:219], v[214:215]
	v_fma_f64 v[212:213], -v[212:213], v[216:217], v[218:219]
	s_delay_alu instid0(VALU_DEP_1) | instskip(NEXT) | instid1(VALU_DEP_1)
	v_div_fmas_f64 v[212:213], v[212:213], v[214:215], v[216:217]
	v_div_fixup_f64 v[212:213], v[212:213], v[230:231], v[228:229]
	s_delay_alu instid0(VALU_DEP_1) | instskip(NEXT) | instid1(VALU_DEP_1)
	v_fma_f64 v[214:215], v[228:229], v[212:213], v[230:231]
	v_div_scale_f64 v[216:217], null, v[214:215], v[214:215], 1.0
	s_delay_alu instid0(VALU_DEP_1) | instskip(SKIP_2) | instid1(VALU_DEP_1)
	v_rcp_f64_e32 v[218:219], v[216:217]
	s_waitcnt_depctr 0xfff
	v_fma_f64 v[220:221], -v[216:217], v[218:219], 1.0
	v_fma_f64 v[218:219], v[218:219], v[220:221], v[218:219]
	s_delay_alu instid0(VALU_DEP_1) | instskip(NEXT) | instid1(VALU_DEP_1)
	v_fma_f64 v[220:221], -v[216:217], v[218:219], 1.0
	v_fma_f64 v[218:219], v[218:219], v[220:221], v[218:219]
	v_div_scale_f64 v[220:221], vcc_lo, 1.0, v[214:215], 1.0
	s_delay_alu instid0(VALU_DEP_1) | instskip(NEXT) | instid1(VALU_DEP_1)
	v_mul_f64 v[222:223], v[220:221], v[218:219]
	v_fma_f64 v[216:217], -v[216:217], v[222:223], v[220:221]
	s_delay_alu instid0(VALU_DEP_1) | instskip(NEXT) | instid1(VALU_DEP_1)
	v_div_fmas_f64 v[216:217], v[216:217], v[218:219], v[222:223]
	v_div_fixup_f64 v[230:231], v[216:217], v[214:215], 1.0
	s_delay_alu instid0(VALU_DEP_1)
	v_mul_f64 v[228:229], v[212:213], v[230:231]
	v_xor_b32_e32 v231, 0x80000000, v231
.LBB112_385:
	s_and_not1_saveexec_b32 s2, s2
	s_cbranch_execz .LBB112_387
; %bb.386:
	s_delay_alu instid0(VALU_DEP_1) | instskip(SKIP_1) | instid1(VALU_DEP_2)
	v_div_scale_f64 v[212:213], null, v[228:229], v[228:229], v[230:231]
	v_div_scale_f64 v[218:219], vcc_lo, v[230:231], v[228:229], v[230:231]
	v_rcp_f64_e32 v[214:215], v[212:213]
	s_waitcnt_depctr 0xfff
	v_fma_f64 v[216:217], -v[212:213], v[214:215], 1.0
	s_delay_alu instid0(VALU_DEP_1) | instskip(NEXT) | instid1(VALU_DEP_1)
	v_fma_f64 v[214:215], v[214:215], v[216:217], v[214:215]
	v_fma_f64 v[216:217], -v[212:213], v[214:215], 1.0
	s_delay_alu instid0(VALU_DEP_1) | instskip(NEXT) | instid1(VALU_DEP_1)
	v_fma_f64 v[214:215], v[214:215], v[216:217], v[214:215]
	v_mul_f64 v[216:217], v[218:219], v[214:215]
	s_delay_alu instid0(VALU_DEP_1) | instskip(NEXT) | instid1(VALU_DEP_1)
	v_fma_f64 v[212:213], -v[212:213], v[216:217], v[218:219]
	v_div_fmas_f64 v[212:213], v[212:213], v[214:215], v[216:217]
	s_delay_alu instid0(VALU_DEP_1) | instskip(NEXT) | instid1(VALU_DEP_1)
	v_div_fixup_f64 v[212:213], v[212:213], v[228:229], v[230:231]
	v_fma_f64 v[214:215], v[230:231], v[212:213], v[228:229]
	s_delay_alu instid0(VALU_DEP_1) | instskip(NEXT) | instid1(VALU_DEP_1)
	v_div_scale_f64 v[216:217], null, v[214:215], v[214:215], 1.0
	v_rcp_f64_e32 v[218:219], v[216:217]
	s_waitcnt_depctr 0xfff
	v_fma_f64 v[220:221], -v[216:217], v[218:219], 1.0
	s_delay_alu instid0(VALU_DEP_1) | instskip(NEXT) | instid1(VALU_DEP_1)
	v_fma_f64 v[218:219], v[218:219], v[220:221], v[218:219]
	v_fma_f64 v[220:221], -v[216:217], v[218:219], 1.0
	s_delay_alu instid0(VALU_DEP_1) | instskip(SKIP_1) | instid1(VALU_DEP_1)
	v_fma_f64 v[218:219], v[218:219], v[220:221], v[218:219]
	v_div_scale_f64 v[220:221], vcc_lo, 1.0, v[214:215], 1.0
	v_mul_f64 v[222:223], v[220:221], v[218:219]
	s_delay_alu instid0(VALU_DEP_1) | instskip(NEXT) | instid1(VALU_DEP_1)
	v_fma_f64 v[216:217], -v[216:217], v[222:223], v[220:221]
	v_div_fmas_f64 v[216:217], v[216:217], v[218:219], v[222:223]
	s_delay_alu instid0(VALU_DEP_1) | instskip(NEXT) | instid1(VALU_DEP_1)
	v_div_fixup_f64 v[228:229], v[216:217], v[214:215], 1.0
	v_mul_f64 v[230:231], v[212:213], -v[228:229]
.LBB112_387:
	s_or_b32 exec_lo, exec_lo, s2
.LBB112_388:
	s_delay_alu instid0(SALU_CYCLE_1) | instskip(NEXT) | instid1(SALU_CYCLE_1)
	s_or_b32 exec_lo, exec_lo, s3
	s_mov_b32 s2, exec_lo
	v_cmpx_ne_u32_e64 v244, v236
	s_xor_b32 s2, exec_lo, s2
	s_cbranch_execz .LBB112_394
; %bb.389:
	s_mov_b32 s3, exec_lo
	v_cmpx_eq_u32_e32 18, v244
	s_cbranch_execz .LBB112_393
; %bb.390:
	v_cmp_ne_u32_e32 vcc_lo, 18, v236
	s_xor_b32 s4, s5, -1
	s_delay_alu instid0(SALU_CYCLE_1) | instskip(NEXT) | instid1(SALU_CYCLE_1)
	s_and_b32 s6, s4, vcc_lo
	s_and_saveexec_b32 s4, s6
	s_cbranch_execz .LBB112_392
; %bb.391:
	scratch_load_b64 v[10:11], off, off     ; 8-byte Folded Reload
	v_ashrrev_i32_e32 v237, 31, v236
	s_delay_alu instid0(VALU_DEP_1) | instskip(SKIP_1) | instid1(VALU_DEP_1)
	v_lshlrev_b64 v[212:213], 2, v[236:237]
	s_waitcnt vmcnt(0)
	v_add_co_u32 v212, vcc_lo, v10, v212
	s_delay_alu instid0(VALU_DEP_2)
	v_add_co_ci_u32_e32 v213, vcc_lo, v11, v213, vcc_lo
	s_clause 0x1
	flat_load_b32 v214, v[212:213]
	flat_load_b32 v215, v[10:11] offset:72
	s_waitcnt vmcnt(1) lgkmcnt(1)
	flat_store_b32 v[10:11], v214 offset:72
	s_waitcnt vmcnt(0) lgkmcnt(1)
	flat_store_b32 v[212:213], v215
.LBB112_392:
	s_or_b32 exec_lo, exec_lo, s4
	v_mov_b32_e32 v244, v236
	v_mov_b32_e32 v243, v236
.LBB112_393:
	s_or_b32 exec_lo, exec_lo, s3
.LBB112_394:
	s_and_not1_saveexec_b32 s2, s2
	s_cbranch_execz .LBB112_396
; %bb.395:
	v_mov_b32_e32 v244, 18
	ds_store_2addr_b64 v238, v[148:149], v[150:151] offset0:38 offset1:39
	ds_store_2addr_b64 v238, v[144:145], v[146:147] offset0:40 offset1:41
	;; [unrolled: 1-line block ×38, first 2 shown]
.LBB112_396:
	s_or_b32 exec_lo, exec_lo, s2
	s_delay_alu instid0(SALU_CYCLE_1)
	s_mov_b32 s2, exec_lo
	s_waitcnt lgkmcnt(0)
	s_waitcnt_vscnt null, 0x0
	s_barrier
	buffer_gl0_inv
	v_cmpx_lt_i32_e32 18, v244
	s_cbranch_execz .LBB112_398
; %bb.397:
	v_mul_f64 v[212:213], v[230:231], v[154:155]
	v_mul_f64 v[154:155], v[228:229], v[154:155]
	s_delay_alu instid0(VALU_DEP_2) | instskip(NEXT) | instid1(VALU_DEP_2)
	v_fma_f64 v[236:237], v[228:229], v[152:153], -v[212:213]
	v_fma_f64 v[154:155], v[230:231], v[152:153], v[154:155]
	ds_load_2addr_b64 v[228:231], v238 offset0:38 offset1:39
	s_waitcnt lgkmcnt(0)
	v_mul_f64 v[152:153], v[230:231], v[154:155]
	v_mul_f64 v[212:213], v[228:229], v[154:155]
	s_delay_alu instid0(VALU_DEP_2) | instskip(NEXT) | instid1(VALU_DEP_2)
	v_fma_f64 v[152:153], v[228:229], v[236:237], -v[152:153]
	v_fma_f64 v[212:213], v[230:231], v[236:237], v[212:213]
	ds_load_2addr_b64 v[228:231], v238 offset0:40 offset1:41
	v_add_f64 v[148:149], v[148:149], -v[152:153]
	v_add_f64 v[150:151], v[150:151], -v[212:213]
	s_waitcnt lgkmcnt(0)
	v_mul_f64 v[152:153], v[230:231], v[154:155]
	v_mul_f64 v[212:213], v[228:229], v[154:155]
	s_delay_alu instid0(VALU_DEP_2) | instskip(NEXT) | instid1(VALU_DEP_2)
	v_fma_f64 v[152:153], v[228:229], v[236:237], -v[152:153]
	v_fma_f64 v[212:213], v[230:231], v[236:237], v[212:213]
	ds_load_2addr_b64 v[228:231], v238 offset0:42 offset1:43
	v_add_f64 v[144:145], v[144:145], -v[152:153]
	v_add_f64 v[146:147], v[146:147], -v[212:213]
	;; [unrolled: 9-line block ×37, first 2 shown]
	s_waitcnt lgkmcnt(0)
	v_mul_f64 v[152:153], v[230:231], v[154:155]
	v_mul_f64 v[212:213], v[228:229], v[154:155]
	s_delay_alu instid0(VALU_DEP_2) | instskip(NEXT) | instid1(VALU_DEP_2)
	v_fma_f64 v[152:153], v[228:229], v[236:237], -v[152:153]
	v_fma_f64 v[212:213], v[230:231], v[236:237], v[212:213]
	s_delay_alu instid0(VALU_DEP_2) | instskip(NEXT) | instid1(VALU_DEP_2)
	v_add_f64 v[0:1], v[0:1], -v[152:153]
	v_add_f64 v[2:3], v[2:3], -v[212:213]
	v_dual_mov_b32 v152, v236 :: v_dual_mov_b32 v153, v237
.LBB112_398:
	s_or_b32 exec_lo, exec_lo, s2
	v_lshl_add_u32 v212, v244, 4, v238
	s_barrier
	buffer_gl0_inv
	v_mov_b32_e32 v236, 19
	ds_store_2addr_b64 v212, v[148:149], v[150:151] offset1:1
	s_waitcnt lgkmcnt(0)
	s_barrier
	buffer_gl0_inv
	ds_load_2addr_b64 v[228:231], v238 offset0:38 offset1:39
	s_cmp_lt_i32 s12, 21
	s_cbranch_scc1 .LBB112_401
; %bb.399:
	v_add3_u32 v237, v242, 0, 0x140
	v_mov_b32_e32 v236, 19
	s_mov_b32 s6, 20
	s_set_inst_prefetch_distance 0x1
	.p2align	6
.LBB112_400:                            ; =>This Inner Loop Header: Depth=1
	ds_load_2addr_b64 v[245:248], v237 offset1:1
	s_waitcnt lgkmcnt(1)
	v_cmp_gt_f64_e32 vcc_lo, 0, v[228:229]
	v_cmp_gt_f64_e64 s2, 0, v[230:231]
	v_xor_b32_e32 v213, 0x80000000, v229
	v_xor_b32_e32 v217, 0x80000000, v231
	v_add_nc_u32_e32 v237, 16, v237
	s_waitcnt lgkmcnt(0)
	v_cmp_gt_f64_e64 s3, 0, v[245:246]
	v_cmp_gt_f64_e64 s4, 0, v[247:248]
	v_xor_b32_e32 v219, 0x80000000, v246
	v_mov_b32_e32 v212, v245
	v_xor_b32_e32 v220, 0x80000000, v248
	v_mov_b32_e32 v214, v247
	v_dual_cndmask_b32 v216, v229, v213 :: v_dual_cndmask_b32 v215, v228, v228
	v_cndmask_b32_e64 v218, v231, v217, s2
	v_cndmask_b32_e64 v217, v230, v230, s2
	s_delay_alu instid0(VALU_DEP_1) | instskip(SKIP_2) | instid1(VALU_DEP_1)
	v_add_f64 v[216:217], v[215:216], v[217:218]
	v_cndmask_b32_e64 v213, v246, v219, s3
	v_cndmask_b32_e64 v215, v248, v220, s4
	v_add_f64 v[212:213], v[212:213], v[214:215]
	s_delay_alu instid0(VALU_DEP_1)
	v_cmp_lt_f64_e32 vcc_lo, v[216:217], v[212:213]
	v_cndmask_b32_e32 v231, v231, v248, vcc_lo
	v_dual_cndmask_b32 v229, v229, v246 :: v_dual_cndmask_b32 v228, v228, v245
	v_cndmask_b32_e32 v230, v230, v247, vcc_lo
	v_cndmask_b32_e64 v236, v236, s6, vcc_lo
	s_add_i32 s6, s6, 1
	s_delay_alu instid0(SALU_CYCLE_1)
	s_cmp_lg_u32 s12, s6
	s_cbranch_scc1 .LBB112_400
.LBB112_401:
	s_set_inst_prefetch_distance 0x2
	s_waitcnt lgkmcnt(0)
	v_cmp_eq_f64_e32 vcc_lo, 0, v[228:229]
	v_cmp_eq_f64_e64 s2, 0, v[230:231]
	s_delay_alu instid0(VALU_DEP_1) | instskip(NEXT) | instid1(SALU_CYCLE_1)
	s_and_b32 s2, vcc_lo, s2
	s_and_saveexec_b32 s3, s2
	s_delay_alu instid0(SALU_CYCLE_1)
	s_xor_b32 s2, exec_lo, s3
; %bb.402:
	v_cmp_ne_u32_e32 vcc_lo, 0, v241
	v_cndmask_b32_e32 v241, 20, v241, vcc_lo
; %bb.403:
	s_and_not1_saveexec_b32 s3, s2
	s_cbranch_execz .LBB112_409
; %bb.404:
	v_cmp_gt_f64_e32 vcc_lo, 0, v[228:229]
	v_cmp_gt_f64_e64 s2, 0, v[230:231]
	v_xor_b32_e32 v212, 0x80000000, v229
	v_xor_b32_e32 v214, 0x80000000, v231
	s_delay_alu instid0(VALU_DEP_2) | instskip(NEXT) | instid1(VALU_DEP_2)
	v_cndmask_b32_e32 v213, v229, v212, vcc_lo
	v_cndmask_b32_e64 v215, v231, v214, s2
	v_cndmask_b32_e32 v212, v228, v228, vcc_lo
	v_cndmask_b32_e64 v214, v230, v230, s2
	s_mov_b32 s2, exec_lo
	s_delay_alu instid0(VALU_DEP_1)
	v_cmpx_ngt_f64_e32 v[212:213], v[214:215]
	s_xor_b32 s2, exec_lo, s2
	s_cbranch_execz .LBB112_406
; %bb.405:
	v_div_scale_f64 v[212:213], null, v[230:231], v[230:231], v[228:229]
	v_div_scale_f64 v[218:219], vcc_lo, v[228:229], v[230:231], v[228:229]
	s_delay_alu instid0(VALU_DEP_2) | instskip(SKIP_2) | instid1(VALU_DEP_1)
	v_rcp_f64_e32 v[214:215], v[212:213]
	s_waitcnt_depctr 0xfff
	v_fma_f64 v[216:217], -v[212:213], v[214:215], 1.0
	v_fma_f64 v[214:215], v[214:215], v[216:217], v[214:215]
	s_delay_alu instid0(VALU_DEP_1) | instskip(NEXT) | instid1(VALU_DEP_1)
	v_fma_f64 v[216:217], -v[212:213], v[214:215], 1.0
	v_fma_f64 v[214:215], v[214:215], v[216:217], v[214:215]
	s_delay_alu instid0(VALU_DEP_1) | instskip(NEXT) | instid1(VALU_DEP_1)
	v_mul_f64 v[216:217], v[218:219], v[214:215]
	v_fma_f64 v[212:213], -v[212:213], v[216:217], v[218:219]
	s_delay_alu instid0(VALU_DEP_1) | instskip(NEXT) | instid1(VALU_DEP_1)
	v_div_fmas_f64 v[212:213], v[212:213], v[214:215], v[216:217]
	v_div_fixup_f64 v[212:213], v[212:213], v[230:231], v[228:229]
	s_delay_alu instid0(VALU_DEP_1) | instskip(NEXT) | instid1(VALU_DEP_1)
	v_fma_f64 v[214:215], v[228:229], v[212:213], v[230:231]
	v_div_scale_f64 v[216:217], null, v[214:215], v[214:215], 1.0
	s_delay_alu instid0(VALU_DEP_1) | instskip(SKIP_2) | instid1(VALU_DEP_1)
	v_rcp_f64_e32 v[218:219], v[216:217]
	s_waitcnt_depctr 0xfff
	v_fma_f64 v[220:221], -v[216:217], v[218:219], 1.0
	v_fma_f64 v[218:219], v[218:219], v[220:221], v[218:219]
	s_delay_alu instid0(VALU_DEP_1) | instskip(NEXT) | instid1(VALU_DEP_1)
	v_fma_f64 v[220:221], -v[216:217], v[218:219], 1.0
	v_fma_f64 v[218:219], v[218:219], v[220:221], v[218:219]
	v_div_scale_f64 v[220:221], vcc_lo, 1.0, v[214:215], 1.0
	s_delay_alu instid0(VALU_DEP_1) | instskip(NEXT) | instid1(VALU_DEP_1)
	v_mul_f64 v[222:223], v[220:221], v[218:219]
	v_fma_f64 v[216:217], -v[216:217], v[222:223], v[220:221]
	s_delay_alu instid0(VALU_DEP_1) | instskip(NEXT) | instid1(VALU_DEP_1)
	v_div_fmas_f64 v[216:217], v[216:217], v[218:219], v[222:223]
	v_div_fixup_f64 v[230:231], v[216:217], v[214:215], 1.0
	s_delay_alu instid0(VALU_DEP_1)
	v_mul_f64 v[228:229], v[212:213], v[230:231]
	v_xor_b32_e32 v231, 0x80000000, v231
.LBB112_406:
	s_and_not1_saveexec_b32 s2, s2
	s_cbranch_execz .LBB112_408
; %bb.407:
	s_delay_alu instid0(VALU_DEP_1) | instskip(SKIP_1) | instid1(VALU_DEP_2)
	v_div_scale_f64 v[212:213], null, v[228:229], v[228:229], v[230:231]
	v_div_scale_f64 v[218:219], vcc_lo, v[230:231], v[228:229], v[230:231]
	v_rcp_f64_e32 v[214:215], v[212:213]
	s_waitcnt_depctr 0xfff
	v_fma_f64 v[216:217], -v[212:213], v[214:215], 1.0
	s_delay_alu instid0(VALU_DEP_1) | instskip(NEXT) | instid1(VALU_DEP_1)
	v_fma_f64 v[214:215], v[214:215], v[216:217], v[214:215]
	v_fma_f64 v[216:217], -v[212:213], v[214:215], 1.0
	s_delay_alu instid0(VALU_DEP_1) | instskip(NEXT) | instid1(VALU_DEP_1)
	v_fma_f64 v[214:215], v[214:215], v[216:217], v[214:215]
	v_mul_f64 v[216:217], v[218:219], v[214:215]
	s_delay_alu instid0(VALU_DEP_1) | instskip(NEXT) | instid1(VALU_DEP_1)
	v_fma_f64 v[212:213], -v[212:213], v[216:217], v[218:219]
	v_div_fmas_f64 v[212:213], v[212:213], v[214:215], v[216:217]
	s_delay_alu instid0(VALU_DEP_1) | instskip(NEXT) | instid1(VALU_DEP_1)
	v_div_fixup_f64 v[212:213], v[212:213], v[228:229], v[230:231]
	v_fma_f64 v[214:215], v[230:231], v[212:213], v[228:229]
	s_delay_alu instid0(VALU_DEP_1) | instskip(NEXT) | instid1(VALU_DEP_1)
	v_div_scale_f64 v[216:217], null, v[214:215], v[214:215], 1.0
	v_rcp_f64_e32 v[218:219], v[216:217]
	s_waitcnt_depctr 0xfff
	v_fma_f64 v[220:221], -v[216:217], v[218:219], 1.0
	s_delay_alu instid0(VALU_DEP_1) | instskip(NEXT) | instid1(VALU_DEP_1)
	v_fma_f64 v[218:219], v[218:219], v[220:221], v[218:219]
	v_fma_f64 v[220:221], -v[216:217], v[218:219], 1.0
	s_delay_alu instid0(VALU_DEP_1) | instskip(SKIP_1) | instid1(VALU_DEP_1)
	v_fma_f64 v[218:219], v[218:219], v[220:221], v[218:219]
	v_div_scale_f64 v[220:221], vcc_lo, 1.0, v[214:215], 1.0
	v_mul_f64 v[222:223], v[220:221], v[218:219]
	s_delay_alu instid0(VALU_DEP_1) | instskip(NEXT) | instid1(VALU_DEP_1)
	v_fma_f64 v[216:217], -v[216:217], v[222:223], v[220:221]
	v_div_fmas_f64 v[216:217], v[216:217], v[218:219], v[222:223]
	s_delay_alu instid0(VALU_DEP_1) | instskip(NEXT) | instid1(VALU_DEP_1)
	v_div_fixup_f64 v[228:229], v[216:217], v[214:215], 1.0
	v_mul_f64 v[230:231], v[212:213], -v[228:229]
.LBB112_408:
	s_or_b32 exec_lo, exec_lo, s2
.LBB112_409:
	s_delay_alu instid0(SALU_CYCLE_1) | instskip(NEXT) | instid1(SALU_CYCLE_1)
	s_or_b32 exec_lo, exec_lo, s3
	s_mov_b32 s2, exec_lo
	v_cmpx_ne_u32_e64 v244, v236
	s_xor_b32 s2, exec_lo, s2
	s_cbranch_execz .LBB112_415
; %bb.410:
	s_mov_b32 s3, exec_lo
	v_cmpx_eq_u32_e32 19, v244
	s_cbranch_execz .LBB112_414
; %bb.411:
	v_cmp_ne_u32_e32 vcc_lo, 19, v236
	s_xor_b32 s4, s5, -1
	s_delay_alu instid0(SALU_CYCLE_1) | instskip(NEXT) | instid1(SALU_CYCLE_1)
	s_and_b32 s6, s4, vcc_lo
	s_and_saveexec_b32 s4, s6
	s_cbranch_execz .LBB112_413
; %bb.412:
	scratch_load_b64 v[10:11], off, off     ; 8-byte Folded Reload
	v_ashrrev_i32_e32 v237, 31, v236
	s_delay_alu instid0(VALU_DEP_1) | instskip(SKIP_1) | instid1(VALU_DEP_1)
	v_lshlrev_b64 v[212:213], 2, v[236:237]
	s_waitcnt vmcnt(0)
	v_add_co_u32 v212, vcc_lo, v10, v212
	s_delay_alu instid0(VALU_DEP_2)
	v_add_co_ci_u32_e32 v213, vcc_lo, v11, v213, vcc_lo
	s_clause 0x1
	flat_load_b32 v214, v[212:213]
	flat_load_b32 v215, v[10:11] offset:76
	s_waitcnt vmcnt(1) lgkmcnt(1)
	flat_store_b32 v[10:11], v214 offset:76
	s_waitcnt vmcnt(0) lgkmcnt(1)
	flat_store_b32 v[212:213], v215
.LBB112_413:
	s_or_b32 exec_lo, exec_lo, s4
	v_mov_b32_e32 v244, v236
	v_mov_b32_e32 v243, v236
.LBB112_414:
	s_or_b32 exec_lo, exec_lo, s3
.LBB112_415:
	s_and_not1_saveexec_b32 s2, s2
	s_cbranch_execz .LBB112_417
; %bb.416:
	v_mov_b32_e32 v244, 19
	ds_store_2addr_b64 v238, v[144:145], v[146:147] offset0:40 offset1:41
	ds_store_2addr_b64 v238, v[140:141], v[142:143] offset0:42 offset1:43
	;; [unrolled: 1-line block ×37, first 2 shown]
.LBB112_417:
	s_or_b32 exec_lo, exec_lo, s2
	s_delay_alu instid0(SALU_CYCLE_1)
	s_mov_b32 s2, exec_lo
	s_waitcnt lgkmcnt(0)
	s_waitcnt_vscnt null, 0x0
	s_barrier
	buffer_gl0_inv
	v_cmpx_lt_i32_e32 19, v244
	s_cbranch_execz .LBB112_419
; %bb.418:
	v_mul_f64 v[212:213], v[230:231], v[150:151]
	v_mul_f64 v[150:151], v[228:229], v[150:151]
	s_delay_alu instid0(VALU_DEP_2) | instskip(NEXT) | instid1(VALU_DEP_2)
	v_fma_f64 v[236:237], v[228:229], v[148:149], -v[212:213]
	v_fma_f64 v[150:151], v[230:231], v[148:149], v[150:151]
	ds_load_2addr_b64 v[228:231], v238 offset0:40 offset1:41
	s_waitcnt lgkmcnt(0)
	v_mul_f64 v[148:149], v[230:231], v[150:151]
	v_mul_f64 v[212:213], v[228:229], v[150:151]
	s_delay_alu instid0(VALU_DEP_2) | instskip(NEXT) | instid1(VALU_DEP_2)
	v_fma_f64 v[148:149], v[228:229], v[236:237], -v[148:149]
	v_fma_f64 v[212:213], v[230:231], v[236:237], v[212:213]
	ds_load_2addr_b64 v[228:231], v238 offset0:42 offset1:43
	v_add_f64 v[144:145], v[144:145], -v[148:149]
	v_add_f64 v[146:147], v[146:147], -v[212:213]
	s_waitcnt lgkmcnt(0)
	v_mul_f64 v[148:149], v[230:231], v[150:151]
	v_mul_f64 v[212:213], v[228:229], v[150:151]
	s_delay_alu instid0(VALU_DEP_2) | instskip(NEXT) | instid1(VALU_DEP_2)
	v_fma_f64 v[148:149], v[228:229], v[236:237], -v[148:149]
	v_fma_f64 v[212:213], v[230:231], v[236:237], v[212:213]
	ds_load_2addr_b64 v[228:231], v238 offset0:44 offset1:45
	v_add_f64 v[140:141], v[140:141], -v[148:149]
	v_add_f64 v[142:143], v[142:143], -v[212:213]
	;; [unrolled: 9-line block ×36, first 2 shown]
	s_waitcnt lgkmcnt(0)
	v_mul_f64 v[148:149], v[230:231], v[150:151]
	v_mul_f64 v[212:213], v[228:229], v[150:151]
	s_delay_alu instid0(VALU_DEP_2) | instskip(NEXT) | instid1(VALU_DEP_2)
	v_fma_f64 v[148:149], v[228:229], v[236:237], -v[148:149]
	v_fma_f64 v[212:213], v[230:231], v[236:237], v[212:213]
	s_delay_alu instid0(VALU_DEP_2) | instskip(NEXT) | instid1(VALU_DEP_2)
	v_add_f64 v[0:1], v[0:1], -v[148:149]
	v_add_f64 v[2:3], v[2:3], -v[212:213]
	v_dual_mov_b32 v148, v236 :: v_dual_mov_b32 v149, v237
.LBB112_419:
	s_or_b32 exec_lo, exec_lo, s2
	v_lshl_add_u32 v212, v244, 4, v238
	s_barrier
	buffer_gl0_inv
	v_mov_b32_e32 v236, 20
	ds_store_2addr_b64 v212, v[144:145], v[146:147] offset1:1
	s_waitcnt lgkmcnt(0)
	s_barrier
	buffer_gl0_inv
	ds_load_2addr_b64 v[228:231], v238 offset0:40 offset1:41
	s_cmp_lt_i32 s12, 22
	s_cbranch_scc1 .LBB112_422
; %bb.420:
	v_add3_u32 v237, v242, 0, 0x150
	v_mov_b32_e32 v236, 20
	s_mov_b32 s6, 21
	s_set_inst_prefetch_distance 0x1
	.p2align	6
.LBB112_421:                            ; =>This Inner Loop Header: Depth=1
	ds_load_2addr_b64 v[245:248], v237 offset1:1
	s_waitcnt lgkmcnt(1)
	v_cmp_gt_f64_e32 vcc_lo, 0, v[228:229]
	v_cmp_gt_f64_e64 s2, 0, v[230:231]
	v_xor_b32_e32 v213, 0x80000000, v229
	v_xor_b32_e32 v217, 0x80000000, v231
	v_add_nc_u32_e32 v237, 16, v237
	s_waitcnt lgkmcnt(0)
	v_cmp_gt_f64_e64 s3, 0, v[245:246]
	v_cmp_gt_f64_e64 s4, 0, v[247:248]
	v_xor_b32_e32 v219, 0x80000000, v246
	v_mov_b32_e32 v212, v245
	v_xor_b32_e32 v220, 0x80000000, v248
	v_mov_b32_e32 v214, v247
	v_dual_cndmask_b32 v216, v229, v213 :: v_dual_cndmask_b32 v215, v228, v228
	v_cndmask_b32_e64 v218, v231, v217, s2
	v_cndmask_b32_e64 v217, v230, v230, s2
	s_delay_alu instid0(VALU_DEP_1) | instskip(SKIP_2) | instid1(VALU_DEP_1)
	v_add_f64 v[216:217], v[215:216], v[217:218]
	v_cndmask_b32_e64 v213, v246, v219, s3
	v_cndmask_b32_e64 v215, v248, v220, s4
	v_add_f64 v[212:213], v[212:213], v[214:215]
	s_delay_alu instid0(VALU_DEP_1)
	v_cmp_lt_f64_e32 vcc_lo, v[216:217], v[212:213]
	v_cndmask_b32_e32 v231, v231, v248, vcc_lo
	v_dual_cndmask_b32 v229, v229, v246 :: v_dual_cndmask_b32 v228, v228, v245
	v_cndmask_b32_e32 v230, v230, v247, vcc_lo
	v_cndmask_b32_e64 v236, v236, s6, vcc_lo
	s_add_i32 s6, s6, 1
	s_delay_alu instid0(SALU_CYCLE_1)
	s_cmp_lg_u32 s12, s6
	s_cbranch_scc1 .LBB112_421
.LBB112_422:
	s_set_inst_prefetch_distance 0x2
	s_waitcnt lgkmcnt(0)
	v_cmp_eq_f64_e32 vcc_lo, 0, v[228:229]
	v_cmp_eq_f64_e64 s2, 0, v[230:231]
	s_delay_alu instid0(VALU_DEP_1) | instskip(NEXT) | instid1(SALU_CYCLE_1)
	s_and_b32 s2, vcc_lo, s2
	s_and_saveexec_b32 s3, s2
	s_delay_alu instid0(SALU_CYCLE_1)
	s_xor_b32 s2, exec_lo, s3
; %bb.423:
	v_cmp_ne_u32_e32 vcc_lo, 0, v241
	v_cndmask_b32_e32 v241, 21, v241, vcc_lo
; %bb.424:
	s_and_not1_saveexec_b32 s3, s2
	s_cbranch_execz .LBB112_430
; %bb.425:
	v_cmp_gt_f64_e32 vcc_lo, 0, v[228:229]
	v_cmp_gt_f64_e64 s2, 0, v[230:231]
	v_xor_b32_e32 v212, 0x80000000, v229
	v_xor_b32_e32 v214, 0x80000000, v231
	s_delay_alu instid0(VALU_DEP_2) | instskip(NEXT) | instid1(VALU_DEP_2)
	v_cndmask_b32_e32 v213, v229, v212, vcc_lo
	v_cndmask_b32_e64 v215, v231, v214, s2
	v_cndmask_b32_e32 v212, v228, v228, vcc_lo
	v_cndmask_b32_e64 v214, v230, v230, s2
	s_mov_b32 s2, exec_lo
	s_delay_alu instid0(VALU_DEP_1)
	v_cmpx_ngt_f64_e32 v[212:213], v[214:215]
	s_xor_b32 s2, exec_lo, s2
	s_cbranch_execz .LBB112_427
; %bb.426:
	v_div_scale_f64 v[212:213], null, v[230:231], v[230:231], v[228:229]
	v_div_scale_f64 v[218:219], vcc_lo, v[228:229], v[230:231], v[228:229]
	s_delay_alu instid0(VALU_DEP_2) | instskip(SKIP_2) | instid1(VALU_DEP_1)
	v_rcp_f64_e32 v[214:215], v[212:213]
	s_waitcnt_depctr 0xfff
	v_fma_f64 v[216:217], -v[212:213], v[214:215], 1.0
	v_fma_f64 v[214:215], v[214:215], v[216:217], v[214:215]
	s_delay_alu instid0(VALU_DEP_1) | instskip(NEXT) | instid1(VALU_DEP_1)
	v_fma_f64 v[216:217], -v[212:213], v[214:215], 1.0
	v_fma_f64 v[214:215], v[214:215], v[216:217], v[214:215]
	s_delay_alu instid0(VALU_DEP_1) | instskip(NEXT) | instid1(VALU_DEP_1)
	v_mul_f64 v[216:217], v[218:219], v[214:215]
	v_fma_f64 v[212:213], -v[212:213], v[216:217], v[218:219]
	s_delay_alu instid0(VALU_DEP_1) | instskip(NEXT) | instid1(VALU_DEP_1)
	v_div_fmas_f64 v[212:213], v[212:213], v[214:215], v[216:217]
	v_div_fixup_f64 v[212:213], v[212:213], v[230:231], v[228:229]
	s_delay_alu instid0(VALU_DEP_1) | instskip(NEXT) | instid1(VALU_DEP_1)
	v_fma_f64 v[214:215], v[228:229], v[212:213], v[230:231]
	v_div_scale_f64 v[216:217], null, v[214:215], v[214:215], 1.0
	s_delay_alu instid0(VALU_DEP_1) | instskip(SKIP_2) | instid1(VALU_DEP_1)
	v_rcp_f64_e32 v[218:219], v[216:217]
	s_waitcnt_depctr 0xfff
	v_fma_f64 v[220:221], -v[216:217], v[218:219], 1.0
	v_fma_f64 v[218:219], v[218:219], v[220:221], v[218:219]
	s_delay_alu instid0(VALU_DEP_1) | instskip(NEXT) | instid1(VALU_DEP_1)
	v_fma_f64 v[220:221], -v[216:217], v[218:219], 1.0
	v_fma_f64 v[218:219], v[218:219], v[220:221], v[218:219]
	v_div_scale_f64 v[220:221], vcc_lo, 1.0, v[214:215], 1.0
	s_delay_alu instid0(VALU_DEP_1) | instskip(NEXT) | instid1(VALU_DEP_1)
	v_mul_f64 v[222:223], v[220:221], v[218:219]
	v_fma_f64 v[216:217], -v[216:217], v[222:223], v[220:221]
	s_delay_alu instid0(VALU_DEP_1) | instskip(NEXT) | instid1(VALU_DEP_1)
	v_div_fmas_f64 v[216:217], v[216:217], v[218:219], v[222:223]
	v_div_fixup_f64 v[230:231], v[216:217], v[214:215], 1.0
	s_delay_alu instid0(VALU_DEP_1)
	v_mul_f64 v[228:229], v[212:213], v[230:231]
	v_xor_b32_e32 v231, 0x80000000, v231
.LBB112_427:
	s_and_not1_saveexec_b32 s2, s2
	s_cbranch_execz .LBB112_429
; %bb.428:
	s_delay_alu instid0(VALU_DEP_1) | instskip(SKIP_1) | instid1(VALU_DEP_2)
	v_div_scale_f64 v[212:213], null, v[228:229], v[228:229], v[230:231]
	v_div_scale_f64 v[218:219], vcc_lo, v[230:231], v[228:229], v[230:231]
	v_rcp_f64_e32 v[214:215], v[212:213]
	s_waitcnt_depctr 0xfff
	v_fma_f64 v[216:217], -v[212:213], v[214:215], 1.0
	s_delay_alu instid0(VALU_DEP_1) | instskip(NEXT) | instid1(VALU_DEP_1)
	v_fma_f64 v[214:215], v[214:215], v[216:217], v[214:215]
	v_fma_f64 v[216:217], -v[212:213], v[214:215], 1.0
	s_delay_alu instid0(VALU_DEP_1) | instskip(NEXT) | instid1(VALU_DEP_1)
	v_fma_f64 v[214:215], v[214:215], v[216:217], v[214:215]
	v_mul_f64 v[216:217], v[218:219], v[214:215]
	s_delay_alu instid0(VALU_DEP_1) | instskip(NEXT) | instid1(VALU_DEP_1)
	v_fma_f64 v[212:213], -v[212:213], v[216:217], v[218:219]
	v_div_fmas_f64 v[212:213], v[212:213], v[214:215], v[216:217]
	s_delay_alu instid0(VALU_DEP_1) | instskip(NEXT) | instid1(VALU_DEP_1)
	v_div_fixup_f64 v[212:213], v[212:213], v[228:229], v[230:231]
	v_fma_f64 v[214:215], v[230:231], v[212:213], v[228:229]
	s_delay_alu instid0(VALU_DEP_1) | instskip(NEXT) | instid1(VALU_DEP_1)
	v_div_scale_f64 v[216:217], null, v[214:215], v[214:215], 1.0
	v_rcp_f64_e32 v[218:219], v[216:217]
	s_waitcnt_depctr 0xfff
	v_fma_f64 v[220:221], -v[216:217], v[218:219], 1.0
	s_delay_alu instid0(VALU_DEP_1) | instskip(NEXT) | instid1(VALU_DEP_1)
	v_fma_f64 v[218:219], v[218:219], v[220:221], v[218:219]
	v_fma_f64 v[220:221], -v[216:217], v[218:219], 1.0
	s_delay_alu instid0(VALU_DEP_1) | instskip(SKIP_1) | instid1(VALU_DEP_1)
	v_fma_f64 v[218:219], v[218:219], v[220:221], v[218:219]
	v_div_scale_f64 v[220:221], vcc_lo, 1.0, v[214:215], 1.0
	v_mul_f64 v[222:223], v[220:221], v[218:219]
	s_delay_alu instid0(VALU_DEP_1) | instskip(NEXT) | instid1(VALU_DEP_1)
	v_fma_f64 v[216:217], -v[216:217], v[222:223], v[220:221]
	v_div_fmas_f64 v[216:217], v[216:217], v[218:219], v[222:223]
	s_delay_alu instid0(VALU_DEP_1) | instskip(NEXT) | instid1(VALU_DEP_1)
	v_div_fixup_f64 v[228:229], v[216:217], v[214:215], 1.0
	v_mul_f64 v[230:231], v[212:213], -v[228:229]
.LBB112_429:
	s_or_b32 exec_lo, exec_lo, s2
.LBB112_430:
	s_delay_alu instid0(SALU_CYCLE_1) | instskip(NEXT) | instid1(SALU_CYCLE_1)
	s_or_b32 exec_lo, exec_lo, s3
	s_mov_b32 s2, exec_lo
	v_cmpx_ne_u32_e64 v244, v236
	s_xor_b32 s2, exec_lo, s2
	s_cbranch_execz .LBB112_436
; %bb.431:
	s_mov_b32 s3, exec_lo
	v_cmpx_eq_u32_e32 20, v244
	s_cbranch_execz .LBB112_435
; %bb.432:
	v_cmp_ne_u32_e32 vcc_lo, 20, v236
	s_xor_b32 s4, s5, -1
	s_delay_alu instid0(SALU_CYCLE_1) | instskip(NEXT) | instid1(SALU_CYCLE_1)
	s_and_b32 s6, s4, vcc_lo
	s_and_saveexec_b32 s4, s6
	s_cbranch_execz .LBB112_434
; %bb.433:
	scratch_load_b64 v[10:11], off, off     ; 8-byte Folded Reload
	v_ashrrev_i32_e32 v237, 31, v236
	s_delay_alu instid0(VALU_DEP_1) | instskip(SKIP_1) | instid1(VALU_DEP_1)
	v_lshlrev_b64 v[212:213], 2, v[236:237]
	s_waitcnt vmcnt(0)
	v_add_co_u32 v212, vcc_lo, v10, v212
	s_delay_alu instid0(VALU_DEP_2)
	v_add_co_ci_u32_e32 v213, vcc_lo, v11, v213, vcc_lo
	s_clause 0x1
	flat_load_b32 v214, v[212:213]
	flat_load_b32 v215, v[10:11] offset:80
	s_waitcnt vmcnt(1) lgkmcnt(1)
	flat_store_b32 v[10:11], v214 offset:80
	s_waitcnt vmcnt(0) lgkmcnt(1)
	flat_store_b32 v[212:213], v215
.LBB112_434:
	s_or_b32 exec_lo, exec_lo, s4
	v_mov_b32_e32 v244, v236
	v_mov_b32_e32 v243, v236
.LBB112_435:
	s_or_b32 exec_lo, exec_lo, s3
.LBB112_436:
	s_and_not1_saveexec_b32 s2, s2
	s_cbranch_execz .LBB112_438
; %bb.437:
	v_mov_b32_e32 v244, 20
	ds_store_2addr_b64 v238, v[140:141], v[142:143] offset0:42 offset1:43
	ds_store_2addr_b64 v238, v[136:137], v[138:139] offset0:44 offset1:45
	ds_store_2addr_b64 v238, v[132:133], v[134:135] offset0:46 offset1:47
	ds_store_2addr_b64 v238, v[128:129], v[130:131] offset0:48 offset1:49
	ds_store_2addr_b64 v238, v[124:125], v[126:127] offset0:50 offset1:51
	ds_store_2addr_b64 v238, v[120:121], v[122:123] offset0:52 offset1:53
	ds_store_2addr_b64 v238, v[116:117], v[118:119] offset0:54 offset1:55
	ds_store_2addr_b64 v238, v[112:113], v[114:115] offset0:56 offset1:57
	ds_store_2addr_b64 v238, v[108:109], v[110:111] offset0:58 offset1:59
	ds_store_2addr_b64 v238, v[104:105], v[106:107] offset0:60 offset1:61
	ds_store_2addr_b64 v238, v[100:101], v[102:103] offset0:62 offset1:63
	ds_store_2addr_b64 v238, v[96:97], v[98:99] offset0:64 offset1:65
	ds_store_2addr_b64 v238, v[92:93], v[94:95] offset0:66 offset1:67
	ds_store_2addr_b64 v238, v[88:89], v[90:91] offset0:68 offset1:69
	ds_store_2addr_b64 v238, v[84:85], v[86:87] offset0:70 offset1:71
	ds_store_2addr_b64 v238, v[80:81], v[82:83] offset0:72 offset1:73
	ds_store_2addr_b64 v238, v[76:77], v[78:79] offset0:74 offset1:75
	ds_store_2addr_b64 v238, v[72:73], v[74:75] offset0:76 offset1:77
	ds_store_2addr_b64 v238, v[68:69], v[70:71] offset0:78 offset1:79
	ds_store_2addr_b64 v238, v[64:65], v[66:67] offset0:80 offset1:81
	ds_store_2addr_b64 v238, v[60:61], v[62:63] offset0:82 offset1:83
	ds_store_2addr_b64 v238, v[56:57], v[58:59] offset0:84 offset1:85
	ds_store_2addr_b64 v238, v[52:53], v[54:55] offset0:86 offset1:87
	ds_store_2addr_b64 v238, v[48:49], v[50:51] offset0:88 offset1:89
	ds_store_2addr_b64 v238, v[44:45], v[46:47] offset0:90 offset1:91
	ds_store_2addr_b64 v238, v[40:41], v[42:43] offset0:92 offset1:93
	ds_store_2addr_b64 v238, v[36:37], v[38:39] offset0:94 offset1:95
	ds_store_2addr_b64 v238, v[32:33], v[34:35] offset0:96 offset1:97
	ds_store_2addr_b64 v238, v[28:29], v[30:31] offset0:98 offset1:99
	ds_store_2addr_b64 v238, v[24:25], v[26:27] offset0:100 offset1:101
	ds_store_2addr_b64 v238, v[20:21], v[22:23] offset0:102 offset1:103
	ds_store_2addr_b64 v238, v[16:17], v[18:19] offset0:104 offset1:105
	ds_store_2addr_b64 v238, v[12:13], v[14:15] offset0:106 offset1:107
	ds_store_2addr_b64 v238, v[224:225], v[226:227] offset0:108 offset1:109
	ds_store_2addr_b64 v238, v[250:251], v[252:253] offset0:110 offset1:111
	ds_store_2addr_b64 v238, v[0:1], v[2:3] offset0:112 offset1:113
.LBB112_438:
	s_or_b32 exec_lo, exec_lo, s2
	s_delay_alu instid0(SALU_CYCLE_1)
	s_mov_b32 s2, exec_lo
	s_waitcnt lgkmcnt(0)
	s_waitcnt_vscnt null, 0x0
	s_barrier
	buffer_gl0_inv
	v_cmpx_lt_i32_e32 20, v244
	s_cbranch_execz .LBB112_440
; %bb.439:
	v_mul_f64 v[212:213], v[230:231], v[146:147]
	v_mul_f64 v[146:147], v[228:229], v[146:147]
	s_delay_alu instid0(VALU_DEP_2) | instskip(NEXT) | instid1(VALU_DEP_2)
	v_fma_f64 v[236:237], v[228:229], v[144:145], -v[212:213]
	v_fma_f64 v[146:147], v[230:231], v[144:145], v[146:147]
	ds_load_2addr_b64 v[228:231], v238 offset0:42 offset1:43
	s_waitcnt lgkmcnt(0)
	v_mul_f64 v[144:145], v[230:231], v[146:147]
	v_mul_f64 v[212:213], v[228:229], v[146:147]
	s_delay_alu instid0(VALU_DEP_2) | instskip(NEXT) | instid1(VALU_DEP_2)
	v_fma_f64 v[144:145], v[228:229], v[236:237], -v[144:145]
	v_fma_f64 v[212:213], v[230:231], v[236:237], v[212:213]
	ds_load_2addr_b64 v[228:231], v238 offset0:44 offset1:45
	v_add_f64 v[140:141], v[140:141], -v[144:145]
	v_add_f64 v[142:143], v[142:143], -v[212:213]
	s_waitcnt lgkmcnt(0)
	v_mul_f64 v[144:145], v[230:231], v[146:147]
	v_mul_f64 v[212:213], v[228:229], v[146:147]
	s_delay_alu instid0(VALU_DEP_2) | instskip(NEXT) | instid1(VALU_DEP_2)
	v_fma_f64 v[144:145], v[228:229], v[236:237], -v[144:145]
	v_fma_f64 v[212:213], v[230:231], v[236:237], v[212:213]
	ds_load_2addr_b64 v[228:231], v238 offset0:46 offset1:47
	v_add_f64 v[136:137], v[136:137], -v[144:145]
	v_add_f64 v[138:139], v[138:139], -v[212:213]
	;; [unrolled: 9-line block ×35, first 2 shown]
	s_waitcnt lgkmcnt(0)
	v_mul_f64 v[144:145], v[230:231], v[146:147]
	v_mul_f64 v[212:213], v[228:229], v[146:147]
	s_delay_alu instid0(VALU_DEP_2) | instskip(NEXT) | instid1(VALU_DEP_2)
	v_fma_f64 v[144:145], v[228:229], v[236:237], -v[144:145]
	v_fma_f64 v[212:213], v[230:231], v[236:237], v[212:213]
	s_delay_alu instid0(VALU_DEP_2) | instskip(NEXT) | instid1(VALU_DEP_2)
	v_add_f64 v[0:1], v[0:1], -v[144:145]
	v_add_f64 v[2:3], v[2:3], -v[212:213]
	v_dual_mov_b32 v144, v236 :: v_dual_mov_b32 v145, v237
.LBB112_440:
	s_or_b32 exec_lo, exec_lo, s2
	v_lshl_add_u32 v212, v244, 4, v238
	s_barrier
	buffer_gl0_inv
	v_mov_b32_e32 v236, 21
	ds_store_2addr_b64 v212, v[140:141], v[142:143] offset1:1
	s_waitcnt lgkmcnt(0)
	s_barrier
	buffer_gl0_inv
	ds_load_2addr_b64 v[228:231], v238 offset0:42 offset1:43
	s_cmp_lt_i32 s12, 23
	s_cbranch_scc1 .LBB112_443
; %bb.441:
	v_add3_u32 v237, v242, 0, 0x160
	v_mov_b32_e32 v236, 21
	s_mov_b32 s6, 22
	s_set_inst_prefetch_distance 0x1
	.p2align	6
.LBB112_442:                            ; =>This Inner Loop Header: Depth=1
	ds_load_2addr_b64 v[245:248], v237 offset1:1
	s_waitcnt lgkmcnt(1)
	v_cmp_gt_f64_e32 vcc_lo, 0, v[228:229]
	v_cmp_gt_f64_e64 s2, 0, v[230:231]
	v_xor_b32_e32 v213, 0x80000000, v229
	v_xor_b32_e32 v217, 0x80000000, v231
	v_add_nc_u32_e32 v237, 16, v237
	s_waitcnt lgkmcnt(0)
	v_cmp_gt_f64_e64 s3, 0, v[245:246]
	v_cmp_gt_f64_e64 s4, 0, v[247:248]
	v_xor_b32_e32 v219, 0x80000000, v246
	v_mov_b32_e32 v212, v245
	v_xor_b32_e32 v220, 0x80000000, v248
	v_mov_b32_e32 v214, v247
	v_dual_cndmask_b32 v216, v229, v213 :: v_dual_cndmask_b32 v215, v228, v228
	v_cndmask_b32_e64 v218, v231, v217, s2
	v_cndmask_b32_e64 v217, v230, v230, s2
	s_delay_alu instid0(VALU_DEP_1) | instskip(SKIP_2) | instid1(VALU_DEP_1)
	v_add_f64 v[216:217], v[215:216], v[217:218]
	v_cndmask_b32_e64 v213, v246, v219, s3
	v_cndmask_b32_e64 v215, v248, v220, s4
	v_add_f64 v[212:213], v[212:213], v[214:215]
	s_delay_alu instid0(VALU_DEP_1)
	v_cmp_lt_f64_e32 vcc_lo, v[216:217], v[212:213]
	v_cndmask_b32_e32 v231, v231, v248, vcc_lo
	v_dual_cndmask_b32 v229, v229, v246 :: v_dual_cndmask_b32 v228, v228, v245
	v_cndmask_b32_e32 v230, v230, v247, vcc_lo
	v_cndmask_b32_e64 v236, v236, s6, vcc_lo
	s_add_i32 s6, s6, 1
	s_delay_alu instid0(SALU_CYCLE_1)
	s_cmp_lg_u32 s12, s6
	s_cbranch_scc1 .LBB112_442
.LBB112_443:
	s_set_inst_prefetch_distance 0x2
	s_waitcnt lgkmcnt(0)
	v_cmp_eq_f64_e32 vcc_lo, 0, v[228:229]
	v_cmp_eq_f64_e64 s2, 0, v[230:231]
	s_delay_alu instid0(VALU_DEP_1) | instskip(NEXT) | instid1(SALU_CYCLE_1)
	s_and_b32 s2, vcc_lo, s2
	s_and_saveexec_b32 s3, s2
	s_delay_alu instid0(SALU_CYCLE_1)
	s_xor_b32 s2, exec_lo, s3
; %bb.444:
	v_cmp_ne_u32_e32 vcc_lo, 0, v241
	v_cndmask_b32_e32 v241, 22, v241, vcc_lo
; %bb.445:
	s_and_not1_saveexec_b32 s3, s2
	s_cbranch_execz .LBB112_451
; %bb.446:
	v_cmp_gt_f64_e32 vcc_lo, 0, v[228:229]
	v_cmp_gt_f64_e64 s2, 0, v[230:231]
	v_xor_b32_e32 v212, 0x80000000, v229
	v_xor_b32_e32 v214, 0x80000000, v231
	s_delay_alu instid0(VALU_DEP_2) | instskip(NEXT) | instid1(VALU_DEP_2)
	v_cndmask_b32_e32 v213, v229, v212, vcc_lo
	v_cndmask_b32_e64 v215, v231, v214, s2
	v_cndmask_b32_e32 v212, v228, v228, vcc_lo
	v_cndmask_b32_e64 v214, v230, v230, s2
	s_mov_b32 s2, exec_lo
	s_delay_alu instid0(VALU_DEP_1)
	v_cmpx_ngt_f64_e32 v[212:213], v[214:215]
	s_xor_b32 s2, exec_lo, s2
	s_cbranch_execz .LBB112_448
; %bb.447:
	v_div_scale_f64 v[212:213], null, v[230:231], v[230:231], v[228:229]
	v_div_scale_f64 v[218:219], vcc_lo, v[228:229], v[230:231], v[228:229]
	s_delay_alu instid0(VALU_DEP_2) | instskip(SKIP_2) | instid1(VALU_DEP_1)
	v_rcp_f64_e32 v[214:215], v[212:213]
	s_waitcnt_depctr 0xfff
	v_fma_f64 v[216:217], -v[212:213], v[214:215], 1.0
	v_fma_f64 v[214:215], v[214:215], v[216:217], v[214:215]
	s_delay_alu instid0(VALU_DEP_1) | instskip(NEXT) | instid1(VALU_DEP_1)
	v_fma_f64 v[216:217], -v[212:213], v[214:215], 1.0
	v_fma_f64 v[214:215], v[214:215], v[216:217], v[214:215]
	s_delay_alu instid0(VALU_DEP_1) | instskip(NEXT) | instid1(VALU_DEP_1)
	v_mul_f64 v[216:217], v[218:219], v[214:215]
	v_fma_f64 v[212:213], -v[212:213], v[216:217], v[218:219]
	s_delay_alu instid0(VALU_DEP_1) | instskip(NEXT) | instid1(VALU_DEP_1)
	v_div_fmas_f64 v[212:213], v[212:213], v[214:215], v[216:217]
	v_div_fixup_f64 v[212:213], v[212:213], v[230:231], v[228:229]
	s_delay_alu instid0(VALU_DEP_1) | instskip(NEXT) | instid1(VALU_DEP_1)
	v_fma_f64 v[214:215], v[228:229], v[212:213], v[230:231]
	v_div_scale_f64 v[216:217], null, v[214:215], v[214:215], 1.0
	s_delay_alu instid0(VALU_DEP_1) | instskip(SKIP_2) | instid1(VALU_DEP_1)
	v_rcp_f64_e32 v[218:219], v[216:217]
	s_waitcnt_depctr 0xfff
	v_fma_f64 v[220:221], -v[216:217], v[218:219], 1.0
	v_fma_f64 v[218:219], v[218:219], v[220:221], v[218:219]
	s_delay_alu instid0(VALU_DEP_1) | instskip(NEXT) | instid1(VALU_DEP_1)
	v_fma_f64 v[220:221], -v[216:217], v[218:219], 1.0
	v_fma_f64 v[218:219], v[218:219], v[220:221], v[218:219]
	v_div_scale_f64 v[220:221], vcc_lo, 1.0, v[214:215], 1.0
	s_delay_alu instid0(VALU_DEP_1) | instskip(NEXT) | instid1(VALU_DEP_1)
	v_mul_f64 v[222:223], v[220:221], v[218:219]
	v_fma_f64 v[216:217], -v[216:217], v[222:223], v[220:221]
	s_delay_alu instid0(VALU_DEP_1) | instskip(NEXT) | instid1(VALU_DEP_1)
	v_div_fmas_f64 v[216:217], v[216:217], v[218:219], v[222:223]
	v_div_fixup_f64 v[230:231], v[216:217], v[214:215], 1.0
	s_delay_alu instid0(VALU_DEP_1)
	v_mul_f64 v[228:229], v[212:213], v[230:231]
	v_xor_b32_e32 v231, 0x80000000, v231
.LBB112_448:
	s_and_not1_saveexec_b32 s2, s2
	s_cbranch_execz .LBB112_450
; %bb.449:
	s_delay_alu instid0(VALU_DEP_1) | instskip(SKIP_1) | instid1(VALU_DEP_2)
	v_div_scale_f64 v[212:213], null, v[228:229], v[228:229], v[230:231]
	v_div_scale_f64 v[218:219], vcc_lo, v[230:231], v[228:229], v[230:231]
	v_rcp_f64_e32 v[214:215], v[212:213]
	s_waitcnt_depctr 0xfff
	v_fma_f64 v[216:217], -v[212:213], v[214:215], 1.0
	s_delay_alu instid0(VALU_DEP_1) | instskip(NEXT) | instid1(VALU_DEP_1)
	v_fma_f64 v[214:215], v[214:215], v[216:217], v[214:215]
	v_fma_f64 v[216:217], -v[212:213], v[214:215], 1.0
	s_delay_alu instid0(VALU_DEP_1) | instskip(NEXT) | instid1(VALU_DEP_1)
	v_fma_f64 v[214:215], v[214:215], v[216:217], v[214:215]
	v_mul_f64 v[216:217], v[218:219], v[214:215]
	s_delay_alu instid0(VALU_DEP_1) | instskip(NEXT) | instid1(VALU_DEP_1)
	v_fma_f64 v[212:213], -v[212:213], v[216:217], v[218:219]
	v_div_fmas_f64 v[212:213], v[212:213], v[214:215], v[216:217]
	s_delay_alu instid0(VALU_DEP_1) | instskip(NEXT) | instid1(VALU_DEP_1)
	v_div_fixup_f64 v[212:213], v[212:213], v[228:229], v[230:231]
	v_fma_f64 v[214:215], v[230:231], v[212:213], v[228:229]
	s_delay_alu instid0(VALU_DEP_1) | instskip(NEXT) | instid1(VALU_DEP_1)
	v_div_scale_f64 v[216:217], null, v[214:215], v[214:215], 1.0
	v_rcp_f64_e32 v[218:219], v[216:217]
	s_waitcnt_depctr 0xfff
	v_fma_f64 v[220:221], -v[216:217], v[218:219], 1.0
	s_delay_alu instid0(VALU_DEP_1) | instskip(NEXT) | instid1(VALU_DEP_1)
	v_fma_f64 v[218:219], v[218:219], v[220:221], v[218:219]
	v_fma_f64 v[220:221], -v[216:217], v[218:219], 1.0
	s_delay_alu instid0(VALU_DEP_1) | instskip(SKIP_1) | instid1(VALU_DEP_1)
	v_fma_f64 v[218:219], v[218:219], v[220:221], v[218:219]
	v_div_scale_f64 v[220:221], vcc_lo, 1.0, v[214:215], 1.0
	v_mul_f64 v[222:223], v[220:221], v[218:219]
	s_delay_alu instid0(VALU_DEP_1) | instskip(NEXT) | instid1(VALU_DEP_1)
	v_fma_f64 v[216:217], -v[216:217], v[222:223], v[220:221]
	v_div_fmas_f64 v[216:217], v[216:217], v[218:219], v[222:223]
	s_delay_alu instid0(VALU_DEP_1) | instskip(NEXT) | instid1(VALU_DEP_1)
	v_div_fixup_f64 v[228:229], v[216:217], v[214:215], 1.0
	v_mul_f64 v[230:231], v[212:213], -v[228:229]
.LBB112_450:
	s_or_b32 exec_lo, exec_lo, s2
.LBB112_451:
	s_delay_alu instid0(SALU_CYCLE_1) | instskip(NEXT) | instid1(SALU_CYCLE_1)
	s_or_b32 exec_lo, exec_lo, s3
	s_mov_b32 s2, exec_lo
	v_cmpx_ne_u32_e64 v244, v236
	s_xor_b32 s2, exec_lo, s2
	s_cbranch_execz .LBB112_457
; %bb.452:
	s_mov_b32 s3, exec_lo
	v_cmpx_eq_u32_e32 21, v244
	s_cbranch_execz .LBB112_456
; %bb.453:
	v_cmp_ne_u32_e32 vcc_lo, 21, v236
	s_xor_b32 s4, s5, -1
	s_delay_alu instid0(SALU_CYCLE_1) | instskip(NEXT) | instid1(SALU_CYCLE_1)
	s_and_b32 s6, s4, vcc_lo
	s_and_saveexec_b32 s4, s6
	s_cbranch_execz .LBB112_455
; %bb.454:
	scratch_load_b64 v[10:11], off, off     ; 8-byte Folded Reload
	v_ashrrev_i32_e32 v237, 31, v236
	s_delay_alu instid0(VALU_DEP_1) | instskip(SKIP_1) | instid1(VALU_DEP_1)
	v_lshlrev_b64 v[212:213], 2, v[236:237]
	s_waitcnt vmcnt(0)
	v_add_co_u32 v212, vcc_lo, v10, v212
	s_delay_alu instid0(VALU_DEP_2)
	v_add_co_ci_u32_e32 v213, vcc_lo, v11, v213, vcc_lo
	s_clause 0x1
	flat_load_b32 v214, v[212:213]
	flat_load_b32 v215, v[10:11] offset:84
	s_waitcnt vmcnt(1) lgkmcnt(1)
	flat_store_b32 v[10:11], v214 offset:84
	s_waitcnt vmcnt(0) lgkmcnt(1)
	flat_store_b32 v[212:213], v215
.LBB112_455:
	s_or_b32 exec_lo, exec_lo, s4
	v_mov_b32_e32 v244, v236
	v_mov_b32_e32 v243, v236
.LBB112_456:
	s_or_b32 exec_lo, exec_lo, s3
.LBB112_457:
	s_and_not1_saveexec_b32 s2, s2
	s_cbranch_execz .LBB112_459
; %bb.458:
	v_mov_b32_e32 v244, 21
	ds_store_2addr_b64 v238, v[136:137], v[138:139] offset0:44 offset1:45
	ds_store_2addr_b64 v238, v[132:133], v[134:135] offset0:46 offset1:47
	;; [unrolled: 1-line block ×35, first 2 shown]
.LBB112_459:
	s_or_b32 exec_lo, exec_lo, s2
	s_delay_alu instid0(SALU_CYCLE_1)
	s_mov_b32 s2, exec_lo
	s_waitcnt lgkmcnt(0)
	s_waitcnt_vscnt null, 0x0
	s_barrier
	buffer_gl0_inv
	v_cmpx_lt_i32_e32 21, v244
	s_cbranch_execz .LBB112_461
; %bb.460:
	v_mul_f64 v[212:213], v[230:231], v[142:143]
	v_mul_f64 v[142:143], v[228:229], v[142:143]
	s_delay_alu instid0(VALU_DEP_2) | instskip(NEXT) | instid1(VALU_DEP_2)
	v_fma_f64 v[236:237], v[228:229], v[140:141], -v[212:213]
	v_fma_f64 v[142:143], v[230:231], v[140:141], v[142:143]
	ds_load_2addr_b64 v[228:231], v238 offset0:44 offset1:45
	s_waitcnt lgkmcnt(0)
	v_mul_f64 v[140:141], v[230:231], v[142:143]
	v_mul_f64 v[212:213], v[228:229], v[142:143]
	s_delay_alu instid0(VALU_DEP_2) | instskip(NEXT) | instid1(VALU_DEP_2)
	v_fma_f64 v[140:141], v[228:229], v[236:237], -v[140:141]
	v_fma_f64 v[212:213], v[230:231], v[236:237], v[212:213]
	ds_load_2addr_b64 v[228:231], v238 offset0:46 offset1:47
	v_add_f64 v[136:137], v[136:137], -v[140:141]
	v_add_f64 v[138:139], v[138:139], -v[212:213]
	s_waitcnt lgkmcnt(0)
	v_mul_f64 v[140:141], v[230:231], v[142:143]
	v_mul_f64 v[212:213], v[228:229], v[142:143]
	s_delay_alu instid0(VALU_DEP_2) | instskip(NEXT) | instid1(VALU_DEP_2)
	v_fma_f64 v[140:141], v[228:229], v[236:237], -v[140:141]
	v_fma_f64 v[212:213], v[230:231], v[236:237], v[212:213]
	ds_load_2addr_b64 v[228:231], v238 offset0:48 offset1:49
	v_add_f64 v[132:133], v[132:133], -v[140:141]
	v_add_f64 v[134:135], v[134:135], -v[212:213]
	;; [unrolled: 9-line block ×34, first 2 shown]
	s_waitcnt lgkmcnt(0)
	v_mul_f64 v[140:141], v[230:231], v[142:143]
	v_mul_f64 v[212:213], v[228:229], v[142:143]
	s_delay_alu instid0(VALU_DEP_2) | instskip(NEXT) | instid1(VALU_DEP_2)
	v_fma_f64 v[140:141], v[228:229], v[236:237], -v[140:141]
	v_fma_f64 v[212:213], v[230:231], v[236:237], v[212:213]
	s_delay_alu instid0(VALU_DEP_2) | instskip(NEXT) | instid1(VALU_DEP_2)
	v_add_f64 v[0:1], v[0:1], -v[140:141]
	v_add_f64 v[2:3], v[2:3], -v[212:213]
	v_dual_mov_b32 v140, v236 :: v_dual_mov_b32 v141, v237
.LBB112_461:
	s_or_b32 exec_lo, exec_lo, s2
	v_lshl_add_u32 v212, v244, 4, v238
	s_barrier
	buffer_gl0_inv
	v_mov_b32_e32 v236, 22
	ds_store_2addr_b64 v212, v[136:137], v[138:139] offset1:1
	s_waitcnt lgkmcnt(0)
	s_barrier
	buffer_gl0_inv
	ds_load_2addr_b64 v[228:231], v238 offset0:44 offset1:45
	s_cmp_lt_i32 s12, 24
	s_cbranch_scc1 .LBB112_464
; %bb.462:
	v_add3_u32 v237, v242, 0, 0x170
	v_mov_b32_e32 v236, 22
	s_mov_b32 s2, 23
	s_set_inst_prefetch_distance 0x1
	.p2align	6
.LBB112_463:                            ; =>This Inner Loop Header: Depth=1
	s_waitcnt lgkmcnt(0)
	v_cmp_gt_f64_e32 vcc_lo, 0, v[228:229]
	v_xor_b32_e32 v212, 0x80000000, v229
	v_xor_b32_e32 v214, 0x80000000, v231
	ds_load_2addr_b64 v[245:248], v237 offset1:1
	v_add_nc_u32_e32 v237, 16, v237
	s_waitcnt lgkmcnt(0)
	v_xor_b32_e32 v216, 0x80000000, v248
	v_cndmask_b32_e32 v213, v229, v212, vcc_lo
	v_cndmask_b32_e32 v212, v228, v228, vcc_lo
	v_cmp_gt_f64_e32 vcc_lo, 0, v[230:231]
	v_cndmask_b32_e32 v215, v231, v214, vcc_lo
	v_cndmask_b32_e32 v214, v230, v230, vcc_lo
	v_cmp_gt_f64_e32 vcc_lo, 0, v[245:246]
	s_delay_alu instid0(VALU_DEP_2) | instskip(SKIP_1) | instid1(VALU_DEP_1)
	v_add_f64 v[212:213], v[212:213], v[214:215]
	v_xor_b32_e32 v214, 0x80000000, v246
	v_dual_cndmask_b32 v215, v246, v214 :: v_dual_mov_b32 v214, v245
	v_cmp_gt_f64_e32 vcc_lo, 0, v[247:248]
	v_dual_cndmask_b32 v217, v248, v216 :: v_dual_mov_b32 v216, v247
	s_delay_alu instid0(VALU_DEP_1) | instskip(NEXT) | instid1(VALU_DEP_1)
	v_add_f64 v[214:215], v[214:215], v[216:217]
	v_cmp_lt_f64_e32 vcc_lo, v[212:213], v[214:215]
	v_dual_cndmask_b32 v229, v229, v246 :: v_dual_cndmask_b32 v228, v228, v245
	v_dual_cndmask_b32 v231, v231, v248 :: v_dual_cndmask_b32 v230, v230, v247
	v_cndmask_b32_e64 v236, v236, s2, vcc_lo
	s_add_i32 s2, s2, 1
	s_delay_alu instid0(SALU_CYCLE_1)
	s_cmp_lg_u32 s12, s2
	s_cbranch_scc1 .LBB112_463
.LBB112_464:
	s_set_inst_prefetch_distance 0x2
	s_waitcnt lgkmcnt(0)
	v_cmp_eq_f64_e32 vcc_lo, 0, v[228:229]
	v_cmp_eq_f64_e64 s2, 0, v[230:231]
	s_delay_alu instid0(VALU_DEP_1) | instskip(NEXT) | instid1(SALU_CYCLE_1)
	s_and_b32 s2, vcc_lo, s2
	s_and_saveexec_b32 s3, s2
	s_delay_alu instid0(SALU_CYCLE_1)
	s_xor_b32 s2, exec_lo, s3
; %bb.465:
	v_cmp_ne_u32_e32 vcc_lo, 0, v241
	v_cndmask_b32_e32 v241, 23, v241, vcc_lo
; %bb.466:
	s_and_not1_saveexec_b32 s3, s2
	s_cbranch_execz .LBB112_472
; %bb.467:
	v_cmp_gt_f64_e32 vcc_lo, 0, v[228:229]
	v_cmp_gt_f64_e64 s2, 0, v[230:231]
	v_xor_b32_e32 v212, 0x80000000, v229
	v_xor_b32_e32 v214, 0x80000000, v231
	s_delay_alu instid0(VALU_DEP_2) | instskip(NEXT) | instid1(VALU_DEP_2)
	v_cndmask_b32_e32 v213, v229, v212, vcc_lo
	v_cndmask_b32_e64 v215, v231, v214, s2
	v_cndmask_b32_e32 v212, v228, v228, vcc_lo
	v_cndmask_b32_e64 v214, v230, v230, s2
	s_mov_b32 s2, exec_lo
	s_delay_alu instid0(VALU_DEP_1)
	v_cmpx_ngt_f64_e32 v[212:213], v[214:215]
	s_xor_b32 s2, exec_lo, s2
	s_cbranch_execz .LBB112_469
; %bb.468:
	v_div_scale_f64 v[212:213], null, v[230:231], v[230:231], v[228:229]
	v_div_scale_f64 v[218:219], vcc_lo, v[228:229], v[230:231], v[228:229]
	s_delay_alu instid0(VALU_DEP_2) | instskip(SKIP_2) | instid1(VALU_DEP_1)
	v_rcp_f64_e32 v[214:215], v[212:213]
	s_waitcnt_depctr 0xfff
	v_fma_f64 v[216:217], -v[212:213], v[214:215], 1.0
	v_fma_f64 v[214:215], v[214:215], v[216:217], v[214:215]
	s_delay_alu instid0(VALU_DEP_1) | instskip(NEXT) | instid1(VALU_DEP_1)
	v_fma_f64 v[216:217], -v[212:213], v[214:215], 1.0
	v_fma_f64 v[214:215], v[214:215], v[216:217], v[214:215]
	s_delay_alu instid0(VALU_DEP_1) | instskip(NEXT) | instid1(VALU_DEP_1)
	v_mul_f64 v[216:217], v[218:219], v[214:215]
	v_fma_f64 v[212:213], -v[212:213], v[216:217], v[218:219]
	s_delay_alu instid0(VALU_DEP_1) | instskip(NEXT) | instid1(VALU_DEP_1)
	v_div_fmas_f64 v[212:213], v[212:213], v[214:215], v[216:217]
	v_div_fixup_f64 v[212:213], v[212:213], v[230:231], v[228:229]
	s_delay_alu instid0(VALU_DEP_1) | instskip(NEXT) | instid1(VALU_DEP_1)
	v_fma_f64 v[214:215], v[228:229], v[212:213], v[230:231]
	v_div_scale_f64 v[216:217], null, v[214:215], v[214:215], 1.0
	s_delay_alu instid0(VALU_DEP_1) | instskip(SKIP_2) | instid1(VALU_DEP_1)
	v_rcp_f64_e32 v[218:219], v[216:217]
	s_waitcnt_depctr 0xfff
	v_fma_f64 v[220:221], -v[216:217], v[218:219], 1.0
	v_fma_f64 v[218:219], v[218:219], v[220:221], v[218:219]
	s_delay_alu instid0(VALU_DEP_1) | instskip(NEXT) | instid1(VALU_DEP_1)
	v_fma_f64 v[220:221], -v[216:217], v[218:219], 1.0
	v_fma_f64 v[218:219], v[218:219], v[220:221], v[218:219]
	v_div_scale_f64 v[220:221], vcc_lo, 1.0, v[214:215], 1.0
	s_delay_alu instid0(VALU_DEP_1) | instskip(NEXT) | instid1(VALU_DEP_1)
	v_mul_f64 v[222:223], v[220:221], v[218:219]
	v_fma_f64 v[216:217], -v[216:217], v[222:223], v[220:221]
	s_delay_alu instid0(VALU_DEP_1) | instskip(NEXT) | instid1(VALU_DEP_1)
	v_div_fmas_f64 v[216:217], v[216:217], v[218:219], v[222:223]
	v_div_fixup_f64 v[230:231], v[216:217], v[214:215], 1.0
	s_delay_alu instid0(VALU_DEP_1)
	v_mul_f64 v[228:229], v[212:213], v[230:231]
	v_xor_b32_e32 v231, 0x80000000, v231
.LBB112_469:
	s_and_not1_saveexec_b32 s2, s2
	s_cbranch_execz .LBB112_471
; %bb.470:
	s_delay_alu instid0(VALU_DEP_1) | instskip(SKIP_1) | instid1(VALU_DEP_2)
	v_div_scale_f64 v[212:213], null, v[228:229], v[228:229], v[230:231]
	v_div_scale_f64 v[218:219], vcc_lo, v[230:231], v[228:229], v[230:231]
	v_rcp_f64_e32 v[214:215], v[212:213]
	s_waitcnt_depctr 0xfff
	v_fma_f64 v[216:217], -v[212:213], v[214:215], 1.0
	s_delay_alu instid0(VALU_DEP_1) | instskip(NEXT) | instid1(VALU_DEP_1)
	v_fma_f64 v[214:215], v[214:215], v[216:217], v[214:215]
	v_fma_f64 v[216:217], -v[212:213], v[214:215], 1.0
	s_delay_alu instid0(VALU_DEP_1) | instskip(NEXT) | instid1(VALU_DEP_1)
	v_fma_f64 v[214:215], v[214:215], v[216:217], v[214:215]
	v_mul_f64 v[216:217], v[218:219], v[214:215]
	s_delay_alu instid0(VALU_DEP_1) | instskip(NEXT) | instid1(VALU_DEP_1)
	v_fma_f64 v[212:213], -v[212:213], v[216:217], v[218:219]
	v_div_fmas_f64 v[212:213], v[212:213], v[214:215], v[216:217]
	s_delay_alu instid0(VALU_DEP_1) | instskip(NEXT) | instid1(VALU_DEP_1)
	v_div_fixup_f64 v[212:213], v[212:213], v[228:229], v[230:231]
	v_fma_f64 v[214:215], v[230:231], v[212:213], v[228:229]
	s_delay_alu instid0(VALU_DEP_1) | instskip(NEXT) | instid1(VALU_DEP_1)
	v_div_scale_f64 v[216:217], null, v[214:215], v[214:215], 1.0
	v_rcp_f64_e32 v[218:219], v[216:217]
	s_waitcnt_depctr 0xfff
	v_fma_f64 v[220:221], -v[216:217], v[218:219], 1.0
	s_delay_alu instid0(VALU_DEP_1) | instskip(NEXT) | instid1(VALU_DEP_1)
	v_fma_f64 v[218:219], v[218:219], v[220:221], v[218:219]
	v_fma_f64 v[220:221], -v[216:217], v[218:219], 1.0
	s_delay_alu instid0(VALU_DEP_1) | instskip(SKIP_1) | instid1(VALU_DEP_1)
	v_fma_f64 v[218:219], v[218:219], v[220:221], v[218:219]
	v_div_scale_f64 v[220:221], vcc_lo, 1.0, v[214:215], 1.0
	v_mul_f64 v[222:223], v[220:221], v[218:219]
	s_delay_alu instid0(VALU_DEP_1) | instskip(NEXT) | instid1(VALU_DEP_1)
	v_fma_f64 v[216:217], -v[216:217], v[222:223], v[220:221]
	v_div_fmas_f64 v[216:217], v[216:217], v[218:219], v[222:223]
	s_delay_alu instid0(VALU_DEP_1) | instskip(NEXT) | instid1(VALU_DEP_1)
	v_div_fixup_f64 v[228:229], v[216:217], v[214:215], 1.0
	v_mul_f64 v[230:231], v[212:213], -v[228:229]
.LBB112_471:
	s_or_b32 exec_lo, exec_lo, s2
.LBB112_472:
	s_delay_alu instid0(SALU_CYCLE_1) | instskip(NEXT) | instid1(SALU_CYCLE_1)
	s_or_b32 exec_lo, exec_lo, s3
	s_mov_b32 s2, exec_lo
	v_cmpx_ne_u32_e64 v244, v236
	s_xor_b32 s2, exec_lo, s2
	s_cbranch_execz .LBB112_478
; %bb.473:
	s_mov_b32 s3, exec_lo
	v_cmpx_eq_u32_e32 22, v244
	s_cbranch_execz .LBB112_477
; %bb.474:
	v_cmp_ne_u32_e32 vcc_lo, 22, v236
	s_xor_b32 s4, s5, -1
	s_delay_alu instid0(SALU_CYCLE_1) | instskip(NEXT) | instid1(SALU_CYCLE_1)
	s_and_b32 s6, s4, vcc_lo
	s_and_saveexec_b32 s4, s6
	s_cbranch_execz .LBB112_476
; %bb.475:
	scratch_load_b64 v[10:11], off, off     ; 8-byte Folded Reload
	v_ashrrev_i32_e32 v237, 31, v236
	s_delay_alu instid0(VALU_DEP_1) | instskip(SKIP_1) | instid1(VALU_DEP_1)
	v_lshlrev_b64 v[212:213], 2, v[236:237]
	s_waitcnt vmcnt(0)
	v_add_co_u32 v212, vcc_lo, v10, v212
	s_delay_alu instid0(VALU_DEP_2)
	v_add_co_ci_u32_e32 v213, vcc_lo, v11, v213, vcc_lo
	s_clause 0x1
	flat_load_b32 v214, v[212:213]
	flat_load_b32 v215, v[10:11] offset:88
	s_waitcnt vmcnt(1) lgkmcnt(1)
	flat_store_b32 v[10:11], v214 offset:88
	s_waitcnt vmcnt(0) lgkmcnt(1)
	flat_store_b32 v[212:213], v215
.LBB112_476:
	s_or_b32 exec_lo, exec_lo, s4
	v_mov_b32_e32 v244, v236
	v_mov_b32_e32 v243, v236
.LBB112_477:
	s_or_b32 exec_lo, exec_lo, s3
.LBB112_478:
	s_and_not1_saveexec_b32 s2, s2
	s_cbranch_execz .LBB112_480
; %bb.479:
	v_mov_b32_e32 v244, 22
	ds_store_2addr_b64 v238, v[132:133], v[134:135] offset0:46 offset1:47
	ds_store_2addr_b64 v238, v[128:129], v[130:131] offset0:48 offset1:49
	ds_store_2addr_b64 v238, v[124:125], v[126:127] offset0:50 offset1:51
	ds_store_2addr_b64 v238, v[120:121], v[122:123] offset0:52 offset1:53
	ds_store_2addr_b64 v238, v[116:117], v[118:119] offset0:54 offset1:55
	ds_store_2addr_b64 v238, v[112:113], v[114:115] offset0:56 offset1:57
	ds_store_2addr_b64 v238, v[108:109], v[110:111] offset0:58 offset1:59
	ds_store_2addr_b64 v238, v[104:105], v[106:107] offset0:60 offset1:61
	ds_store_2addr_b64 v238, v[100:101], v[102:103] offset0:62 offset1:63
	ds_store_2addr_b64 v238, v[96:97], v[98:99] offset0:64 offset1:65
	ds_store_2addr_b64 v238, v[92:93], v[94:95] offset0:66 offset1:67
	ds_store_2addr_b64 v238, v[88:89], v[90:91] offset0:68 offset1:69
	ds_store_2addr_b64 v238, v[84:85], v[86:87] offset0:70 offset1:71
	ds_store_2addr_b64 v238, v[80:81], v[82:83] offset0:72 offset1:73
	ds_store_2addr_b64 v238, v[76:77], v[78:79] offset0:74 offset1:75
	ds_store_2addr_b64 v238, v[72:73], v[74:75] offset0:76 offset1:77
	ds_store_2addr_b64 v238, v[68:69], v[70:71] offset0:78 offset1:79
	ds_store_2addr_b64 v238, v[64:65], v[66:67] offset0:80 offset1:81
	ds_store_2addr_b64 v238, v[60:61], v[62:63] offset0:82 offset1:83
	ds_store_2addr_b64 v238, v[56:57], v[58:59] offset0:84 offset1:85
	ds_store_2addr_b64 v238, v[52:53], v[54:55] offset0:86 offset1:87
	ds_store_2addr_b64 v238, v[48:49], v[50:51] offset0:88 offset1:89
	ds_store_2addr_b64 v238, v[44:45], v[46:47] offset0:90 offset1:91
	ds_store_2addr_b64 v238, v[40:41], v[42:43] offset0:92 offset1:93
	ds_store_2addr_b64 v238, v[36:37], v[38:39] offset0:94 offset1:95
	ds_store_2addr_b64 v238, v[32:33], v[34:35] offset0:96 offset1:97
	ds_store_2addr_b64 v238, v[28:29], v[30:31] offset0:98 offset1:99
	ds_store_2addr_b64 v238, v[24:25], v[26:27] offset0:100 offset1:101
	ds_store_2addr_b64 v238, v[20:21], v[22:23] offset0:102 offset1:103
	ds_store_2addr_b64 v238, v[16:17], v[18:19] offset0:104 offset1:105
	ds_store_2addr_b64 v238, v[12:13], v[14:15] offset0:106 offset1:107
	ds_store_2addr_b64 v238, v[224:225], v[226:227] offset0:108 offset1:109
	ds_store_2addr_b64 v238, v[250:251], v[252:253] offset0:110 offset1:111
	ds_store_2addr_b64 v238, v[0:1], v[2:3] offset0:112 offset1:113
.LBB112_480:
	s_or_b32 exec_lo, exec_lo, s2
	s_delay_alu instid0(SALU_CYCLE_1)
	s_mov_b32 s2, exec_lo
	s_waitcnt lgkmcnt(0)
	s_waitcnt_vscnt null, 0x0
	s_barrier
	buffer_gl0_inv
	v_cmpx_lt_i32_e32 22, v244
	s_cbranch_execz .LBB112_482
; %bb.481:
	v_mul_f64 v[212:213], v[230:231], v[138:139]
	v_mul_f64 v[138:139], v[228:229], v[138:139]
	s_delay_alu instid0(VALU_DEP_2) | instskip(NEXT) | instid1(VALU_DEP_2)
	v_fma_f64 v[236:237], v[228:229], v[136:137], -v[212:213]
	v_fma_f64 v[138:139], v[230:231], v[136:137], v[138:139]
	ds_load_2addr_b64 v[228:231], v238 offset0:46 offset1:47
	s_waitcnt lgkmcnt(0)
	v_mul_f64 v[136:137], v[230:231], v[138:139]
	v_mul_f64 v[212:213], v[228:229], v[138:139]
	s_delay_alu instid0(VALU_DEP_2) | instskip(NEXT) | instid1(VALU_DEP_2)
	v_fma_f64 v[136:137], v[228:229], v[236:237], -v[136:137]
	v_fma_f64 v[212:213], v[230:231], v[236:237], v[212:213]
	ds_load_2addr_b64 v[228:231], v238 offset0:48 offset1:49
	v_add_f64 v[132:133], v[132:133], -v[136:137]
	v_add_f64 v[134:135], v[134:135], -v[212:213]
	s_waitcnt lgkmcnt(0)
	v_mul_f64 v[136:137], v[230:231], v[138:139]
	v_mul_f64 v[212:213], v[228:229], v[138:139]
	s_delay_alu instid0(VALU_DEP_2) | instskip(NEXT) | instid1(VALU_DEP_2)
	v_fma_f64 v[136:137], v[228:229], v[236:237], -v[136:137]
	v_fma_f64 v[212:213], v[230:231], v[236:237], v[212:213]
	ds_load_2addr_b64 v[228:231], v238 offset0:50 offset1:51
	v_add_f64 v[128:129], v[128:129], -v[136:137]
	v_add_f64 v[130:131], v[130:131], -v[212:213]
	;; [unrolled: 9-line block ×33, first 2 shown]
	s_waitcnt lgkmcnt(0)
	v_mul_f64 v[136:137], v[230:231], v[138:139]
	v_mul_f64 v[212:213], v[228:229], v[138:139]
	s_delay_alu instid0(VALU_DEP_2) | instskip(NEXT) | instid1(VALU_DEP_2)
	v_fma_f64 v[136:137], v[228:229], v[236:237], -v[136:137]
	v_fma_f64 v[212:213], v[230:231], v[236:237], v[212:213]
	s_delay_alu instid0(VALU_DEP_2) | instskip(NEXT) | instid1(VALU_DEP_2)
	v_add_f64 v[0:1], v[0:1], -v[136:137]
	v_add_f64 v[2:3], v[2:3], -v[212:213]
	v_dual_mov_b32 v136, v236 :: v_dual_mov_b32 v137, v237
.LBB112_482:
	s_or_b32 exec_lo, exec_lo, s2
	v_lshl_add_u32 v212, v244, 4, v238
	s_barrier
	buffer_gl0_inv
	v_mov_b32_e32 v236, 23
	ds_store_2addr_b64 v212, v[132:133], v[134:135] offset1:1
	s_waitcnt lgkmcnt(0)
	s_barrier
	buffer_gl0_inv
	ds_load_2addr_b64 v[228:231], v238 offset0:46 offset1:47
	s_cmp_lt_i32 s12, 25
	s_cbranch_scc1 .LBB112_485
; %bb.483:
	v_add3_u32 v237, v242, 0, 0x180
	v_mov_b32_e32 v236, 23
	s_mov_b32 s2, 24
	s_set_inst_prefetch_distance 0x1
	.p2align	6
.LBB112_484:                            ; =>This Inner Loop Header: Depth=1
	s_waitcnt lgkmcnt(0)
	v_cmp_gt_f64_e32 vcc_lo, 0, v[228:229]
	v_xor_b32_e32 v212, 0x80000000, v229
	v_xor_b32_e32 v214, 0x80000000, v231
	ds_load_2addr_b64 v[245:248], v237 offset1:1
	v_add_nc_u32_e32 v237, 16, v237
	s_waitcnt lgkmcnt(0)
	v_xor_b32_e32 v216, 0x80000000, v248
	v_cndmask_b32_e32 v213, v229, v212, vcc_lo
	v_cndmask_b32_e32 v212, v228, v228, vcc_lo
	v_cmp_gt_f64_e32 vcc_lo, 0, v[230:231]
	v_cndmask_b32_e32 v215, v231, v214, vcc_lo
	v_cndmask_b32_e32 v214, v230, v230, vcc_lo
	v_cmp_gt_f64_e32 vcc_lo, 0, v[245:246]
	s_delay_alu instid0(VALU_DEP_2) | instskip(SKIP_1) | instid1(VALU_DEP_1)
	v_add_f64 v[212:213], v[212:213], v[214:215]
	v_xor_b32_e32 v214, 0x80000000, v246
	v_dual_cndmask_b32 v215, v246, v214 :: v_dual_mov_b32 v214, v245
	v_cmp_gt_f64_e32 vcc_lo, 0, v[247:248]
	v_dual_cndmask_b32 v217, v248, v216 :: v_dual_mov_b32 v216, v247
	s_delay_alu instid0(VALU_DEP_1) | instskip(NEXT) | instid1(VALU_DEP_1)
	v_add_f64 v[214:215], v[214:215], v[216:217]
	v_cmp_lt_f64_e32 vcc_lo, v[212:213], v[214:215]
	v_dual_cndmask_b32 v229, v229, v246 :: v_dual_cndmask_b32 v228, v228, v245
	v_dual_cndmask_b32 v231, v231, v248 :: v_dual_cndmask_b32 v230, v230, v247
	v_cndmask_b32_e64 v236, v236, s2, vcc_lo
	s_add_i32 s2, s2, 1
	s_delay_alu instid0(SALU_CYCLE_1)
	s_cmp_lg_u32 s12, s2
	s_cbranch_scc1 .LBB112_484
.LBB112_485:
	s_set_inst_prefetch_distance 0x2
	s_waitcnt lgkmcnt(0)
	v_cmp_eq_f64_e32 vcc_lo, 0, v[228:229]
	v_cmp_eq_f64_e64 s2, 0, v[230:231]
	s_delay_alu instid0(VALU_DEP_1) | instskip(NEXT) | instid1(SALU_CYCLE_1)
	s_and_b32 s2, vcc_lo, s2
	s_and_saveexec_b32 s3, s2
	s_delay_alu instid0(SALU_CYCLE_1)
	s_xor_b32 s2, exec_lo, s3
; %bb.486:
	v_cmp_ne_u32_e32 vcc_lo, 0, v241
	v_cndmask_b32_e32 v241, 24, v241, vcc_lo
; %bb.487:
	s_and_not1_saveexec_b32 s3, s2
	s_cbranch_execz .LBB112_493
; %bb.488:
	v_cmp_gt_f64_e32 vcc_lo, 0, v[228:229]
	v_cmp_gt_f64_e64 s2, 0, v[230:231]
	v_xor_b32_e32 v212, 0x80000000, v229
	v_xor_b32_e32 v214, 0x80000000, v231
	s_delay_alu instid0(VALU_DEP_2) | instskip(NEXT) | instid1(VALU_DEP_2)
	v_cndmask_b32_e32 v213, v229, v212, vcc_lo
	v_cndmask_b32_e64 v215, v231, v214, s2
	v_cndmask_b32_e32 v212, v228, v228, vcc_lo
	v_cndmask_b32_e64 v214, v230, v230, s2
	s_mov_b32 s2, exec_lo
	s_delay_alu instid0(VALU_DEP_1)
	v_cmpx_ngt_f64_e32 v[212:213], v[214:215]
	s_xor_b32 s2, exec_lo, s2
	s_cbranch_execz .LBB112_490
; %bb.489:
	v_div_scale_f64 v[212:213], null, v[230:231], v[230:231], v[228:229]
	v_div_scale_f64 v[218:219], vcc_lo, v[228:229], v[230:231], v[228:229]
	s_delay_alu instid0(VALU_DEP_2) | instskip(SKIP_2) | instid1(VALU_DEP_1)
	v_rcp_f64_e32 v[214:215], v[212:213]
	s_waitcnt_depctr 0xfff
	v_fma_f64 v[216:217], -v[212:213], v[214:215], 1.0
	v_fma_f64 v[214:215], v[214:215], v[216:217], v[214:215]
	s_delay_alu instid0(VALU_DEP_1) | instskip(NEXT) | instid1(VALU_DEP_1)
	v_fma_f64 v[216:217], -v[212:213], v[214:215], 1.0
	v_fma_f64 v[214:215], v[214:215], v[216:217], v[214:215]
	s_delay_alu instid0(VALU_DEP_1) | instskip(NEXT) | instid1(VALU_DEP_1)
	v_mul_f64 v[216:217], v[218:219], v[214:215]
	v_fma_f64 v[212:213], -v[212:213], v[216:217], v[218:219]
	s_delay_alu instid0(VALU_DEP_1) | instskip(NEXT) | instid1(VALU_DEP_1)
	v_div_fmas_f64 v[212:213], v[212:213], v[214:215], v[216:217]
	v_div_fixup_f64 v[212:213], v[212:213], v[230:231], v[228:229]
	s_delay_alu instid0(VALU_DEP_1) | instskip(NEXT) | instid1(VALU_DEP_1)
	v_fma_f64 v[214:215], v[228:229], v[212:213], v[230:231]
	v_div_scale_f64 v[216:217], null, v[214:215], v[214:215], 1.0
	s_delay_alu instid0(VALU_DEP_1) | instskip(SKIP_2) | instid1(VALU_DEP_1)
	v_rcp_f64_e32 v[218:219], v[216:217]
	s_waitcnt_depctr 0xfff
	v_fma_f64 v[220:221], -v[216:217], v[218:219], 1.0
	v_fma_f64 v[218:219], v[218:219], v[220:221], v[218:219]
	s_delay_alu instid0(VALU_DEP_1) | instskip(NEXT) | instid1(VALU_DEP_1)
	v_fma_f64 v[220:221], -v[216:217], v[218:219], 1.0
	v_fma_f64 v[218:219], v[218:219], v[220:221], v[218:219]
	v_div_scale_f64 v[220:221], vcc_lo, 1.0, v[214:215], 1.0
	s_delay_alu instid0(VALU_DEP_1) | instskip(NEXT) | instid1(VALU_DEP_1)
	v_mul_f64 v[222:223], v[220:221], v[218:219]
	v_fma_f64 v[216:217], -v[216:217], v[222:223], v[220:221]
	s_delay_alu instid0(VALU_DEP_1) | instskip(NEXT) | instid1(VALU_DEP_1)
	v_div_fmas_f64 v[216:217], v[216:217], v[218:219], v[222:223]
	v_div_fixup_f64 v[230:231], v[216:217], v[214:215], 1.0
	s_delay_alu instid0(VALU_DEP_1)
	v_mul_f64 v[228:229], v[212:213], v[230:231]
	v_xor_b32_e32 v231, 0x80000000, v231
.LBB112_490:
	s_and_not1_saveexec_b32 s2, s2
	s_cbranch_execz .LBB112_492
; %bb.491:
	s_delay_alu instid0(VALU_DEP_1) | instskip(SKIP_1) | instid1(VALU_DEP_2)
	v_div_scale_f64 v[212:213], null, v[228:229], v[228:229], v[230:231]
	v_div_scale_f64 v[218:219], vcc_lo, v[230:231], v[228:229], v[230:231]
	v_rcp_f64_e32 v[214:215], v[212:213]
	s_waitcnt_depctr 0xfff
	v_fma_f64 v[216:217], -v[212:213], v[214:215], 1.0
	s_delay_alu instid0(VALU_DEP_1) | instskip(NEXT) | instid1(VALU_DEP_1)
	v_fma_f64 v[214:215], v[214:215], v[216:217], v[214:215]
	v_fma_f64 v[216:217], -v[212:213], v[214:215], 1.0
	s_delay_alu instid0(VALU_DEP_1) | instskip(NEXT) | instid1(VALU_DEP_1)
	v_fma_f64 v[214:215], v[214:215], v[216:217], v[214:215]
	v_mul_f64 v[216:217], v[218:219], v[214:215]
	s_delay_alu instid0(VALU_DEP_1) | instskip(NEXT) | instid1(VALU_DEP_1)
	v_fma_f64 v[212:213], -v[212:213], v[216:217], v[218:219]
	v_div_fmas_f64 v[212:213], v[212:213], v[214:215], v[216:217]
	s_delay_alu instid0(VALU_DEP_1) | instskip(NEXT) | instid1(VALU_DEP_1)
	v_div_fixup_f64 v[212:213], v[212:213], v[228:229], v[230:231]
	v_fma_f64 v[214:215], v[230:231], v[212:213], v[228:229]
	s_delay_alu instid0(VALU_DEP_1) | instskip(NEXT) | instid1(VALU_DEP_1)
	v_div_scale_f64 v[216:217], null, v[214:215], v[214:215], 1.0
	v_rcp_f64_e32 v[218:219], v[216:217]
	s_waitcnt_depctr 0xfff
	v_fma_f64 v[220:221], -v[216:217], v[218:219], 1.0
	s_delay_alu instid0(VALU_DEP_1) | instskip(NEXT) | instid1(VALU_DEP_1)
	v_fma_f64 v[218:219], v[218:219], v[220:221], v[218:219]
	v_fma_f64 v[220:221], -v[216:217], v[218:219], 1.0
	s_delay_alu instid0(VALU_DEP_1) | instskip(SKIP_1) | instid1(VALU_DEP_1)
	v_fma_f64 v[218:219], v[218:219], v[220:221], v[218:219]
	v_div_scale_f64 v[220:221], vcc_lo, 1.0, v[214:215], 1.0
	v_mul_f64 v[222:223], v[220:221], v[218:219]
	s_delay_alu instid0(VALU_DEP_1) | instskip(NEXT) | instid1(VALU_DEP_1)
	v_fma_f64 v[216:217], -v[216:217], v[222:223], v[220:221]
	v_div_fmas_f64 v[216:217], v[216:217], v[218:219], v[222:223]
	s_delay_alu instid0(VALU_DEP_1) | instskip(NEXT) | instid1(VALU_DEP_1)
	v_div_fixup_f64 v[228:229], v[216:217], v[214:215], 1.0
	v_mul_f64 v[230:231], v[212:213], -v[228:229]
.LBB112_492:
	s_or_b32 exec_lo, exec_lo, s2
.LBB112_493:
	s_delay_alu instid0(SALU_CYCLE_1) | instskip(NEXT) | instid1(SALU_CYCLE_1)
	s_or_b32 exec_lo, exec_lo, s3
	s_mov_b32 s2, exec_lo
	v_cmpx_ne_u32_e64 v244, v236
	s_xor_b32 s2, exec_lo, s2
	s_cbranch_execz .LBB112_499
; %bb.494:
	s_mov_b32 s3, exec_lo
	v_cmpx_eq_u32_e32 23, v244
	s_cbranch_execz .LBB112_498
; %bb.495:
	v_cmp_ne_u32_e32 vcc_lo, 23, v236
	s_xor_b32 s4, s5, -1
	s_delay_alu instid0(SALU_CYCLE_1) | instskip(NEXT) | instid1(SALU_CYCLE_1)
	s_and_b32 s6, s4, vcc_lo
	s_and_saveexec_b32 s4, s6
	s_cbranch_execz .LBB112_497
; %bb.496:
	scratch_load_b64 v[10:11], off, off     ; 8-byte Folded Reload
	v_ashrrev_i32_e32 v237, 31, v236
	s_delay_alu instid0(VALU_DEP_1) | instskip(SKIP_1) | instid1(VALU_DEP_1)
	v_lshlrev_b64 v[212:213], 2, v[236:237]
	s_waitcnt vmcnt(0)
	v_add_co_u32 v212, vcc_lo, v10, v212
	s_delay_alu instid0(VALU_DEP_2)
	v_add_co_ci_u32_e32 v213, vcc_lo, v11, v213, vcc_lo
	s_clause 0x1
	flat_load_b32 v214, v[212:213]
	flat_load_b32 v215, v[10:11] offset:92
	s_waitcnt vmcnt(1) lgkmcnt(1)
	flat_store_b32 v[10:11], v214 offset:92
	s_waitcnt vmcnt(0) lgkmcnt(1)
	flat_store_b32 v[212:213], v215
.LBB112_497:
	s_or_b32 exec_lo, exec_lo, s4
	v_mov_b32_e32 v244, v236
	v_mov_b32_e32 v243, v236
.LBB112_498:
	s_or_b32 exec_lo, exec_lo, s3
.LBB112_499:
	s_and_not1_saveexec_b32 s2, s2
	s_cbranch_execz .LBB112_501
; %bb.500:
	v_mov_b32_e32 v244, 23
	ds_store_2addr_b64 v238, v[128:129], v[130:131] offset0:48 offset1:49
	ds_store_2addr_b64 v238, v[124:125], v[126:127] offset0:50 offset1:51
	;; [unrolled: 1-line block ×33, first 2 shown]
.LBB112_501:
	s_or_b32 exec_lo, exec_lo, s2
	s_delay_alu instid0(SALU_CYCLE_1)
	s_mov_b32 s2, exec_lo
	s_waitcnt lgkmcnt(0)
	s_waitcnt_vscnt null, 0x0
	s_barrier
	buffer_gl0_inv
	v_cmpx_lt_i32_e32 23, v244
	s_cbranch_execz .LBB112_503
; %bb.502:
	v_mul_f64 v[212:213], v[230:231], v[134:135]
	v_mul_f64 v[134:135], v[228:229], v[134:135]
	s_delay_alu instid0(VALU_DEP_2) | instskip(NEXT) | instid1(VALU_DEP_2)
	v_fma_f64 v[236:237], v[228:229], v[132:133], -v[212:213]
	v_fma_f64 v[134:135], v[230:231], v[132:133], v[134:135]
	ds_load_2addr_b64 v[228:231], v238 offset0:48 offset1:49
	s_waitcnt lgkmcnt(0)
	v_mul_f64 v[132:133], v[230:231], v[134:135]
	v_mul_f64 v[212:213], v[228:229], v[134:135]
	s_delay_alu instid0(VALU_DEP_2) | instskip(NEXT) | instid1(VALU_DEP_2)
	v_fma_f64 v[132:133], v[228:229], v[236:237], -v[132:133]
	v_fma_f64 v[212:213], v[230:231], v[236:237], v[212:213]
	ds_load_2addr_b64 v[228:231], v238 offset0:50 offset1:51
	v_add_f64 v[128:129], v[128:129], -v[132:133]
	v_add_f64 v[130:131], v[130:131], -v[212:213]
	s_waitcnt lgkmcnt(0)
	v_mul_f64 v[132:133], v[230:231], v[134:135]
	v_mul_f64 v[212:213], v[228:229], v[134:135]
	s_delay_alu instid0(VALU_DEP_2) | instskip(NEXT) | instid1(VALU_DEP_2)
	v_fma_f64 v[132:133], v[228:229], v[236:237], -v[132:133]
	v_fma_f64 v[212:213], v[230:231], v[236:237], v[212:213]
	ds_load_2addr_b64 v[228:231], v238 offset0:52 offset1:53
	v_add_f64 v[124:125], v[124:125], -v[132:133]
	v_add_f64 v[126:127], v[126:127], -v[212:213]
	;; [unrolled: 9-line block ×32, first 2 shown]
	s_waitcnt lgkmcnt(0)
	v_mul_f64 v[132:133], v[230:231], v[134:135]
	v_mul_f64 v[212:213], v[228:229], v[134:135]
	s_delay_alu instid0(VALU_DEP_2) | instskip(NEXT) | instid1(VALU_DEP_2)
	v_fma_f64 v[132:133], v[228:229], v[236:237], -v[132:133]
	v_fma_f64 v[212:213], v[230:231], v[236:237], v[212:213]
	s_delay_alu instid0(VALU_DEP_2) | instskip(NEXT) | instid1(VALU_DEP_2)
	v_add_f64 v[0:1], v[0:1], -v[132:133]
	v_add_f64 v[2:3], v[2:3], -v[212:213]
	v_dual_mov_b32 v132, v236 :: v_dual_mov_b32 v133, v237
.LBB112_503:
	s_or_b32 exec_lo, exec_lo, s2
	v_lshl_add_u32 v212, v244, 4, v238
	s_barrier
	buffer_gl0_inv
	v_mov_b32_e32 v236, 24
	ds_store_2addr_b64 v212, v[128:129], v[130:131] offset1:1
	s_waitcnt lgkmcnt(0)
	s_barrier
	buffer_gl0_inv
	ds_load_2addr_b64 v[228:231], v238 offset0:48 offset1:49
	s_cmp_lt_i32 s12, 26
	s_cbranch_scc1 .LBB112_506
; %bb.504:
	v_add3_u32 v237, v242, 0, 0x190
	v_mov_b32_e32 v236, 24
	s_mov_b32 s2, 25
	s_set_inst_prefetch_distance 0x1
	.p2align	6
.LBB112_505:                            ; =>This Inner Loop Header: Depth=1
	s_waitcnt lgkmcnt(0)
	v_cmp_gt_f64_e32 vcc_lo, 0, v[228:229]
	v_xor_b32_e32 v212, 0x80000000, v229
	v_xor_b32_e32 v214, 0x80000000, v231
	ds_load_2addr_b64 v[245:248], v237 offset1:1
	v_add_nc_u32_e32 v237, 16, v237
	s_waitcnt lgkmcnt(0)
	v_xor_b32_e32 v216, 0x80000000, v248
	v_cndmask_b32_e32 v213, v229, v212, vcc_lo
	v_cndmask_b32_e32 v212, v228, v228, vcc_lo
	v_cmp_gt_f64_e32 vcc_lo, 0, v[230:231]
	v_cndmask_b32_e32 v215, v231, v214, vcc_lo
	v_cndmask_b32_e32 v214, v230, v230, vcc_lo
	v_cmp_gt_f64_e32 vcc_lo, 0, v[245:246]
	s_delay_alu instid0(VALU_DEP_2) | instskip(SKIP_1) | instid1(VALU_DEP_1)
	v_add_f64 v[212:213], v[212:213], v[214:215]
	v_xor_b32_e32 v214, 0x80000000, v246
	v_dual_cndmask_b32 v215, v246, v214 :: v_dual_mov_b32 v214, v245
	v_cmp_gt_f64_e32 vcc_lo, 0, v[247:248]
	v_dual_cndmask_b32 v217, v248, v216 :: v_dual_mov_b32 v216, v247
	s_delay_alu instid0(VALU_DEP_1) | instskip(NEXT) | instid1(VALU_DEP_1)
	v_add_f64 v[214:215], v[214:215], v[216:217]
	v_cmp_lt_f64_e32 vcc_lo, v[212:213], v[214:215]
	v_dual_cndmask_b32 v229, v229, v246 :: v_dual_cndmask_b32 v228, v228, v245
	v_dual_cndmask_b32 v231, v231, v248 :: v_dual_cndmask_b32 v230, v230, v247
	v_cndmask_b32_e64 v236, v236, s2, vcc_lo
	s_add_i32 s2, s2, 1
	s_delay_alu instid0(SALU_CYCLE_1)
	s_cmp_lg_u32 s12, s2
	s_cbranch_scc1 .LBB112_505
.LBB112_506:
	s_set_inst_prefetch_distance 0x2
	s_waitcnt lgkmcnt(0)
	v_cmp_eq_f64_e32 vcc_lo, 0, v[228:229]
	v_cmp_eq_f64_e64 s2, 0, v[230:231]
	s_delay_alu instid0(VALU_DEP_1) | instskip(NEXT) | instid1(SALU_CYCLE_1)
	s_and_b32 s2, vcc_lo, s2
	s_and_saveexec_b32 s3, s2
	s_delay_alu instid0(SALU_CYCLE_1)
	s_xor_b32 s2, exec_lo, s3
; %bb.507:
	v_cmp_ne_u32_e32 vcc_lo, 0, v241
	v_cndmask_b32_e32 v241, 25, v241, vcc_lo
; %bb.508:
	s_and_not1_saveexec_b32 s3, s2
	s_cbranch_execz .LBB112_514
; %bb.509:
	v_cmp_gt_f64_e32 vcc_lo, 0, v[228:229]
	v_cmp_gt_f64_e64 s2, 0, v[230:231]
	v_xor_b32_e32 v212, 0x80000000, v229
	v_xor_b32_e32 v214, 0x80000000, v231
	s_delay_alu instid0(VALU_DEP_2) | instskip(NEXT) | instid1(VALU_DEP_2)
	v_cndmask_b32_e32 v213, v229, v212, vcc_lo
	v_cndmask_b32_e64 v215, v231, v214, s2
	v_cndmask_b32_e32 v212, v228, v228, vcc_lo
	v_cndmask_b32_e64 v214, v230, v230, s2
	s_mov_b32 s2, exec_lo
	s_delay_alu instid0(VALU_DEP_1)
	v_cmpx_ngt_f64_e32 v[212:213], v[214:215]
	s_xor_b32 s2, exec_lo, s2
	s_cbranch_execz .LBB112_511
; %bb.510:
	v_div_scale_f64 v[212:213], null, v[230:231], v[230:231], v[228:229]
	v_div_scale_f64 v[218:219], vcc_lo, v[228:229], v[230:231], v[228:229]
	s_delay_alu instid0(VALU_DEP_2) | instskip(SKIP_2) | instid1(VALU_DEP_1)
	v_rcp_f64_e32 v[214:215], v[212:213]
	s_waitcnt_depctr 0xfff
	v_fma_f64 v[216:217], -v[212:213], v[214:215], 1.0
	v_fma_f64 v[214:215], v[214:215], v[216:217], v[214:215]
	s_delay_alu instid0(VALU_DEP_1) | instskip(NEXT) | instid1(VALU_DEP_1)
	v_fma_f64 v[216:217], -v[212:213], v[214:215], 1.0
	v_fma_f64 v[214:215], v[214:215], v[216:217], v[214:215]
	s_delay_alu instid0(VALU_DEP_1) | instskip(NEXT) | instid1(VALU_DEP_1)
	v_mul_f64 v[216:217], v[218:219], v[214:215]
	v_fma_f64 v[212:213], -v[212:213], v[216:217], v[218:219]
	s_delay_alu instid0(VALU_DEP_1) | instskip(NEXT) | instid1(VALU_DEP_1)
	v_div_fmas_f64 v[212:213], v[212:213], v[214:215], v[216:217]
	v_div_fixup_f64 v[212:213], v[212:213], v[230:231], v[228:229]
	s_delay_alu instid0(VALU_DEP_1) | instskip(NEXT) | instid1(VALU_DEP_1)
	v_fma_f64 v[214:215], v[228:229], v[212:213], v[230:231]
	v_div_scale_f64 v[216:217], null, v[214:215], v[214:215], 1.0
	s_delay_alu instid0(VALU_DEP_1) | instskip(SKIP_2) | instid1(VALU_DEP_1)
	v_rcp_f64_e32 v[218:219], v[216:217]
	s_waitcnt_depctr 0xfff
	v_fma_f64 v[220:221], -v[216:217], v[218:219], 1.0
	v_fma_f64 v[218:219], v[218:219], v[220:221], v[218:219]
	s_delay_alu instid0(VALU_DEP_1) | instskip(NEXT) | instid1(VALU_DEP_1)
	v_fma_f64 v[220:221], -v[216:217], v[218:219], 1.0
	v_fma_f64 v[218:219], v[218:219], v[220:221], v[218:219]
	v_div_scale_f64 v[220:221], vcc_lo, 1.0, v[214:215], 1.0
	s_delay_alu instid0(VALU_DEP_1) | instskip(NEXT) | instid1(VALU_DEP_1)
	v_mul_f64 v[222:223], v[220:221], v[218:219]
	v_fma_f64 v[216:217], -v[216:217], v[222:223], v[220:221]
	s_delay_alu instid0(VALU_DEP_1) | instskip(NEXT) | instid1(VALU_DEP_1)
	v_div_fmas_f64 v[216:217], v[216:217], v[218:219], v[222:223]
	v_div_fixup_f64 v[230:231], v[216:217], v[214:215], 1.0
	s_delay_alu instid0(VALU_DEP_1)
	v_mul_f64 v[228:229], v[212:213], v[230:231]
	v_xor_b32_e32 v231, 0x80000000, v231
.LBB112_511:
	s_and_not1_saveexec_b32 s2, s2
	s_cbranch_execz .LBB112_513
; %bb.512:
	s_delay_alu instid0(VALU_DEP_1) | instskip(SKIP_1) | instid1(VALU_DEP_2)
	v_div_scale_f64 v[212:213], null, v[228:229], v[228:229], v[230:231]
	v_div_scale_f64 v[218:219], vcc_lo, v[230:231], v[228:229], v[230:231]
	v_rcp_f64_e32 v[214:215], v[212:213]
	s_waitcnt_depctr 0xfff
	v_fma_f64 v[216:217], -v[212:213], v[214:215], 1.0
	s_delay_alu instid0(VALU_DEP_1) | instskip(NEXT) | instid1(VALU_DEP_1)
	v_fma_f64 v[214:215], v[214:215], v[216:217], v[214:215]
	v_fma_f64 v[216:217], -v[212:213], v[214:215], 1.0
	s_delay_alu instid0(VALU_DEP_1) | instskip(NEXT) | instid1(VALU_DEP_1)
	v_fma_f64 v[214:215], v[214:215], v[216:217], v[214:215]
	v_mul_f64 v[216:217], v[218:219], v[214:215]
	s_delay_alu instid0(VALU_DEP_1) | instskip(NEXT) | instid1(VALU_DEP_1)
	v_fma_f64 v[212:213], -v[212:213], v[216:217], v[218:219]
	v_div_fmas_f64 v[212:213], v[212:213], v[214:215], v[216:217]
	s_delay_alu instid0(VALU_DEP_1) | instskip(NEXT) | instid1(VALU_DEP_1)
	v_div_fixup_f64 v[212:213], v[212:213], v[228:229], v[230:231]
	v_fma_f64 v[214:215], v[230:231], v[212:213], v[228:229]
	s_delay_alu instid0(VALU_DEP_1) | instskip(NEXT) | instid1(VALU_DEP_1)
	v_div_scale_f64 v[216:217], null, v[214:215], v[214:215], 1.0
	v_rcp_f64_e32 v[218:219], v[216:217]
	s_waitcnt_depctr 0xfff
	v_fma_f64 v[220:221], -v[216:217], v[218:219], 1.0
	s_delay_alu instid0(VALU_DEP_1) | instskip(NEXT) | instid1(VALU_DEP_1)
	v_fma_f64 v[218:219], v[218:219], v[220:221], v[218:219]
	v_fma_f64 v[220:221], -v[216:217], v[218:219], 1.0
	s_delay_alu instid0(VALU_DEP_1) | instskip(SKIP_1) | instid1(VALU_DEP_1)
	v_fma_f64 v[218:219], v[218:219], v[220:221], v[218:219]
	v_div_scale_f64 v[220:221], vcc_lo, 1.0, v[214:215], 1.0
	v_mul_f64 v[222:223], v[220:221], v[218:219]
	s_delay_alu instid0(VALU_DEP_1) | instskip(NEXT) | instid1(VALU_DEP_1)
	v_fma_f64 v[216:217], -v[216:217], v[222:223], v[220:221]
	v_div_fmas_f64 v[216:217], v[216:217], v[218:219], v[222:223]
	s_delay_alu instid0(VALU_DEP_1) | instskip(NEXT) | instid1(VALU_DEP_1)
	v_div_fixup_f64 v[228:229], v[216:217], v[214:215], 1.0
	v_mul_f64 v[230:231], v[212:213], -v[228:229]
.LBB112_513:
	s_or_b32 exec_lo, exec_lo, s2
.LBB112_514:
	s_delay_alu instid0(SALU_CYCLE_1) | instskip(NEXT) | instid1(SALU_CYCLE_1)
	s_or_b32 exec_lo, exec_lo, s3
	s_mov_b32 s2, exec_lo
	v_cmpx_ne_u32_e64 v244, v236
	s_xor_b32 s2, exec_lo, s2
	s_cbranch_execz .LBB112_520
; %bb.515:
	s_mov_b32 s3, exec_lo
	v_cmpx_eq_u32_e32 24, v244
	s_cbranch_execz .LBB112_519
; %bb.516:
	v_cmp_ne_u32_e32 vcc_lo, 24, v236
	s_xor_b32 s4, s5, -1
	s_delay_alu instid0(SALU_CYCLE_1) | instskip(NEXT) | instid1(SALU_CYCLE_1)
	s_and_b32 s6, s4, vcc_lo
	s_and_saveexec_b32 s4, s6
	s_cbranch_execz .LBB112_518
; %bb.517:
	scratch_load_b64 v[10:11], off, off     ; 8-byte Folded Reload
	v_ashrrev_i32_e32 v237, 31, v236
	s_delay_alu instid0(VALU_DEP_1) | instskip(SKIP_1) | instid1(VALU_DEP_1)
	v_lshlrev_b64 v[212:213], 2, v[236:237]
	s_waitcnt vmcnt(0)
	v_add_co_u32 v212, vcc_lo, v10, v212
	s_delay_alu instid0(VALU_DEP_2)
	v_add_co_ci_u32_e32 v213, vcc_lo, v11, v213, vcc_lo
	s_clause 0x1
	flat_load_b32 v214, v[212:213]
	flat_load_b32 v215, v[10:11] offset:96
	s_waitcnt vmcnt(1) lgkmcnt(1)
	flat_store_b32 v[10:11], v214 offset:96
	s_waitcnt vmcnt(0) lgkmcnt(1)
	flat_store_b32 v[212:213], v215
.LBB112_518:
	s_or_b32 exec_lo, exec_lo, s4
	v_mov_b32_e32 v244, v236
	v_mov_b32_e32 v243, v236
.LBB112_519:
	s_or_b32 exec_lo, exec_lo, s3
.LBB112_520:
	s_and_not1_saveexec_b32 s2, s2
	s_cbranch_execz .LBB112_522
; %bb.521:
	v_mov_b32_e32 v244, 24
	ds_store_2addr_b64 v238, v[124:125], v[126:127] offset0:50 offset1:51
	ds_store_2addr_b64 v238, v[120:121], v[122:123] offset0:52 offset1:53
	;; [unrolled: 1-line block ×32, first 2 shown]
.LBB112_522:
	s_or_b32 exec_lo, exec_lo, s2
	s_delay_alu instid0(SALU_CYCLE_1)
	s_mov_b32 s2, exec_lo
	s_waitcnt lgkmcnt(0)
	s_waitcnt_vscnt null, 0x0
	s_barrier
	buffer_gl0_inv
	v_cmpx_lt_i32_e32 24, v244
	s_cbranch_execz .LBB112_524
; %bb.523:
	v_mul_f64 v[212:213], v[230:231], v[130:131]
	v_mul_f64 v[130:131], v[228:229], v[130:131]
	s_delay_alu instid0(VALU_DEP_2) | instskip(NEXT) | instid1(VALU_DEP_2)
	v_fma_f64 v[236:237], v[228:229], v[128:129], -v[212:213]
	v_fma_f64 v[130:131], v[230:231], v[128:129], v[130:131]
	ds_load_2addr_b64 v[228:231], v238 offset0:50 offset1:51
	s_waitcnt lgkmcnt(0)
	v_mul_f64 v[128:129], v[230:231], v[130:131]
	v_mul_f64 v[212:213], v[228:229], v[130:131]
	s_delay_alu instid0(VALU_DEP_2) | instskip(NEXT) | instid1(VALU_DEP_2)
	v_fma_f64 v[128:129], v[228:229], v[236:237], -v[128:129]
	v_fma_f64 v[212:213], v[230:231], v[236:237], v[212:213]
	ds_load_2addr_b64 v[228:231], v238 offset0:52 offset1:53
	v_add_f64 v[124:125], v[124:125], -v[128:129]
	v_add_f64 v[126:127], v[126:127], -v[212:213]
	s_waitcnt lgkmcnt(0)
	v_mul_f64 v[128:129], v[230:231], v[130:131]
	v_mul_f64 v[212:213], v[228:229], v[130:131]
	s_delay_alu instid0(VALU_DEP_2) | instskip(NEXT) | instid1(VALU_DEP_2)
	v_fma_f64 v[128:129], v[228:229], v[236:237], -v[128:129]
	v_fma_f64 v[212:213], v[230:231], v[236:237], v[212:213]
	ds_load_2addr_b64 v[228:231], v238 offset0:54 offset1:55
	v_add_f64 v[120:121], v[120:121], -v[128:129]
	v_add_f64 v[122:123], v[122:123], -v[212:213]
	;; [unrolled: 9-line block ×31, first 2 shown]
	s_waitcnt lgkmcnt(0)
	v_mul_f64 v[128:129], v[230:231], v[130:131]
	v_mul_f64 v[212:213], v[228:229], v[130:131]
	s_delay_alu instid0(VALU_DEP_2) | instskip(NEXT) | instid1(VALU_DEP_2)
	v_fma_f64 v[128:129], v[228:229], v[236:237], -v[128:129]
	v_fma_f64 v[212:213], v[230:231], v[236:237], v[212:213]
	s_delay_alu instid0(VALU_DEP_2) | instskip(NEXT) | instid1(VALU_DEP_2)
	v_add_f64 v[0:1], v[0:1], -v[128:129]
	v_add_f64 v[2:3], v[2:3], -v[212:213]
	v_dual_mov_b32 v128, v236 :: v_dual_mov_b32 v129, v237
.LBB112_524:
	s_or_b32 exec_lo, exec_lo, s2
	v_lshl_add_u32 v212, v244, 4, v238
	s_barrier
	buffer_gl0_inv
	v_mov_b32_e32 v236, 25
	ds_store_2addr_b64 v212, v[124:125], v[126:127] offset1:1
	s_waitcnt lgkmcnt(0)
	s_barrier
	buffer_gl0_inv
	ds_load_2addr_b64 v[228:231], v238 offset0:50 offset1:51
	s_cmp_lt_i32 s12, 27
	s_cbranch_scc1 .LBB112_527
; %bb.525:
	v_add3_u32 v237, v242, 0, 0x1a0
	v_mov_b32_e32 v236, 25
	s_mov_b32 s2, 26
	s_set_inst_prefetch_distance 0x1
	.p2align	6
.LBB112_526:                            ; =>This Inner Loop Header: Depth=1
	s_waitcnt lgkmcnt(0)
	v_cmp_gt_f64_e32 vcc_lo, 0, v[228:229]
	v_xor_b32_e32 v212, 0x80000000, v229
	v_xor_b32_e32 v214, 0x80000000, v231
	ds_load_2addr_b64 v[245:248], v237 offset1:1
	v_add_nc_u32_e32 v237, 16, v237
	s_waitcnt lgkmcnt(0)
	v_xor_b32_e32 v216, 0x80000000, v248
	v_cndmask_b32_e32 v213, v229, v212, vcc_lo
	v_cndmask_b32_e32 v212, v228, v228, vcc_lo
	v_cmp_gt_f64_e32 vcc_lo, 0, v[230:231]
	v_cndmask_b32_e32 v215, v231, v214, vcc_lo
	v_cndmask_b32_e32 v214, v230, v230, vcc_lo
	v_cmp_gt_f64_e32 vcc_lo, 0, v[245:246]
	s_delay_alu instid0(VALU_DEP_2) | instskip(SKIP_1) | instid1(VALU_DEP_1)
	v_add_f64 v[212:213], v[212:213], v[214:215]
	v_xor_b32_e32 v214, 0x80000000, v246
	v_dual_cndmask_b32 v215, v246, v214 :: v_dual_mov_b32 v214, v245
	v_cmp_gt_f64_e32 vcc_lo, 0, v[247:248]
	v_dual_cndmask_b32 v217, v248, v216 :: v_dual_mov_b32 v216, v247
	s_delay_alu instid0(VALU_DEP_1) | instskip(NEXT) | instid1(VALU_DEP_1)
	v_add_f64 v[214:215], v[214:215], v[216:217]
	v_cmp_lt_f64_e32 vcc_lo, v[212:213], v[214:215]
	v_dual_cndmask_b32 v229, v229, v246 :: v_dual_cndmask_b32 v228, v228, v245
	v_dual_cndmask_b32 v231, v231, v248 :: v_dual_cndmask_b32 v230, v230, v247
	v_cndmask_b32_e64 v236, v236, s2, vcc_lo
	s_add_i32 s2, s2, 1
	s_delay_alu instid0(SALU_CYCLE_1)
	s_cmp_lg_u32 s12, s2
	s_cbranch_scc1 .LBB112_526
.LBB112_527:
	s_set_inst_prefetch_distance 0x2
	s_waitcnt lgkmcnt(0)
	v_cmp_eq_f64_e32 vcc_lo, 0, v[228:229]
	v_cmp_eq_f64_e64 s2, 0, v[230:231]
	s_delay_alu instid0(VALU_DEP_1) | instskip(NEXT) | instid1(SALU_CYCLE_1)
	s_and_b32 s2, vcc_lo, s2
	s_and_saveexec_b32 s3, s2
	s_delay_alu instid0(SALU_CYCLE_1)
	s_xor_b32 s2, exec_lo, s3
; %bb.528:
	v_cmp_ne_u32_e32 vcc_lo, 0, v241
	v_cndmask_b32_e32 v241, 26, v241, vcc_lo
; %bb.529:
	s_and_not1_saveexec_b32 s3, s2
	s_cbranch_execz .LBB112_535
; %bb.530:
	v_cmp_gt_f64_e32 vcc_lo, 0, v[228:229]
	v_cmp_gt_f64_e64 s2, 0, v[230:231]
	v_xor_b32_e32 v212, 0x80000000, v229
	v_xor_b32_e32 v214, 0x80000000, v231
	s_delay_alu instid0(VALU_DEP_2) | instskip(NEXT) | instid1(VALU_DEP_2)
	v_cndmask_b32_e32 v213, v229, v212, vcc_lo
	v_cndmask_b32_e64 v215, v231, v214, s2
	v_cndmask_b32_e32 v212, v228, v228, vcc_lo
	v_cndmask_b32_e64 v214, v230, v230, s2
	s_mov_b32 s2, exec_lo
	s_delay_alu instid0(VALU_DEP_1)
	v_cmpx_ngt_f64_e32 v[212:213], v[214:215]
	s_xor_b32 s2, exec_lo, s2
	s_cbranch_execz .LBB112_532
; %bb.531:
	v_div_scale_f64 v[212:213], null, v[230:231], v[230:231], v[228:229]
	v_div_scale_f64 v[218:219], vcc_lo, v[228:229], v[230:231], v[228:229]
	s_delay_alu instid0(VALU_DEP_2) | instskip(SKIP_2) | instid1(VALU_DEP_1)
	v_rcp_f64_e32 v[214:215], v[212:213]
	s_waitcnt_depctr 0xfff
	v_fma_f64 v[216:217], -v[212:213], v[214:215], 1.0
	v_fma_f64 v[214:215], v[214:215], v[216:217], v[214:215]
	s_delay_alu instid0(VALU_DEP_1) | instskip(NEXT) | instid1(VALU_DEP_1)
	v_fma_f64 v[216:217], -v[212:213], v[214:215], 1.0
	v_fma_f64 v[214:215], v[214:215], v[216:217], v[214:215]
	s_delay_alu instid0(VALU_DEP_1) | instskip(NEXT) | instid1(VALU_DEP_1)
	v_mul_f64 v[216:217], v[218:219], v[214:215]
	v_fma_f64 v[212:213], -v[212:213], v[216:217], v[218:219]
	s_delay_alu instid0(VALU_DEP_1) | instskip(NEXT) | instid1(VALU_DEP_1)
	v_div_fmas_f64 v[212:213], v[212:213], v[214:215], v[216:217]
	v_div_fixup_f64 v[212:213], v[212:213], v[230:231], v[228:229]
	s_delay_alu instid0(VALU_DEP_1) | instskip(NEXT) | instid1(VALU_DEP_1)
	v_fma_f64 v[214:215], v[228:229], v[212:213], v[230:231]
	v_div_scale_f64 v[216:217], null, v[214:215], v[214:215], 1.0
	s_delay_alu instid0(VALU_DEP_1) | instskip(SKIP_2) | instid1(VALU_DEP_1)
	v_rcp_f64_e32 v[218:219], v[216:217]
	s_waitcnt_depctr 0xfff
	v_fma_f64 v[220:221], -v[216:217], v[218:219], 1.0
	v_fma_f64 v[218:219], v[218:219], v[220:221], v[218:219]
	s_delay_alu instid0(VALU_DEP_1) | instskip(NEXT) | instid1(VALU_DEP_1)
	v_fma_f64 v[220:221], -v[216:217], v[218:219], 1.0
	v_fma_f64 v[218:219], v[218:219], v[220:221], v[218:219]
	v_div_scale_f64 v[220:221], vcc_lo, 1.0, v[214:215], 1.0
	s_delay_alu instid0(VALU_DEP_1) | instskip(NEXT) | instid1(VALU_DEP_1)
	v_mul_f64 v[222:223], v[220:221], v[218:219]
	v_fma_f64 v[216:217], -v[216:217], v[222:223], v[220:221]
	s_delay_alu instid0(VALU_DEP_1) | instskip(NEXT) | instid1(VALU_DEP_1)
	v_div_fmas_f64 v[216:217], v[216:217], v[218:219], v[222:223]
	v_div_fixup_f64 v[230:231], v[216:217], v[214:215], 1.0
	s_delay_alu instid0(VALU_DEP_1)
	v_mul_f64 v[228:229], v[212:213], v[230:231]
	v_xor_b32_e32 v231, 0x80000000, v231
.LBB112_532:
	s_and_not1_saveexec_b32 s2, s2
	s_cbranch_execz .LBB112_534
; %bb.533:
	s_delay_alu instid0(VALU_DEP_1) | instskip(SKIP_1) | instid1(VALU_DEP_2)
	v_div_scale_f64 v[212:213], null, v[228:229], v[228:229], v[230:231]
	v_div_scale_f64 v[218:219], vcc_lo, v[230:231], v[228:229], v[230:231]
	v_rcp_f64_e32 v[214:215], v[212:213]
	s_waitcnt_depctr 0xfff
	v_fma_f64 v[216:217], -v[212:213], v[214:215], 1.0
	s_delay_alu instid0(VALU_DEP_1) | instskip(NEXT) | instid1(VALU_DEP_1)
	v_fma_f64 v[214:215], v[214:215], v[216:217], v[214:215]
	v_fma_f64 v[216:217], -v[212:213], v[214:215], 1.0
	s_delay_alu instid0(VALU_DEP_1) | instskip(NEXT) | instid1(VALU_DEP_1)
	v_fma_f64 v[214:215], v[214:215], v[216:217], v[214:215]
	v_mul_f64 v[216:217], v[218:219], v[214:215]
	s_delay_alu instid0(VALU_DEP_1) | instskip(NEXT) | instid1(VALU_DEP_1)
	v_fma_f64 v[212:213], -v[212:213], v[216:217], v[218:219]
	v_div_fmas_f64 v[212:213], v[212:213], v[214:215], v[216:217]
	s_delay_alu instid0(VALU_DEP_1) | instskip(NEXT) | instid1(VALU_DEP_1)
	v_div_fixup_f64 v[212:213], v[212:213], v[228:229], v[230:231]
	v_fma_f64 v[214:215], v[230:231], v[212:213], v[228:229]
	s_delay_alu instid0(VALU_DEP_1) | instskip(NEXT) | instid1(VALU_DEP_1)
	v_div_scale_f64 v[216:217], null, v[214:215], v[214:215], 1.0
	v_rcp_f64_e32 v[218:219], v[216:217]
	s_waitcnt_depctr 0xfff
	v_fma_f64 v[220:221], -v[216:217], v[218:219], 1.0
	s_delay_alu instid0(VALU_DEP_1) | instskip(NEXT) | instid1(VALU_DEP_1)
	v_fma_f64 v[218:219], v[218:219], v[220:221], v[218:219]
	v_fma_f64 v[220:221], -v[216:217], v[218:219], 1.0
	s_delay_alu instid0(VALU_DEP_1) | instskip(SKIP_1) | instid1(VALU_DEP_1)
	v_fma_f64 v[218:219], v[218:219], v[220:221], v[218:219]
	v_div_scale_f64 v[220:221], vcc_lo, 1.0, v[214:215], 1.0
	v_mul_f64 v[222:223], v[220:221], v[218:219]
	s_delay_alu instid0(VALU_DEP_1) | instskip(NEXT) | instid1(VALU_DEP_1)
	v_fma_f64 v[216:217], -v[216:217], v[222:223], v[220:221]
	v_div_fmas_f64 v[216:217], v[216:217], v[218:219], v[222:223]
	s_delay_alu instid0(VALU_DEP_1) | instskip(NEXT) | instid1(VALU_DEP_1)
	v_div_fixup_f64 v[228:229], v[216:217], v[214:215], 1.0
	v_mul_f64 v[230:231], v[212:213], -v[228:229]
.LBB112_534:
	s_or_b32 exec_lo, exec_lo, s2
.LBB112_535:
	s_delay_alu instid0(SALU_CYCLE_1) | instskip(NEXT) | instid1(SALU_CYCLE_1)
	s_or_b32 exec_lo, exec_lo, s3
	s_mov_b32 s2, exec_lo
	v_cmpx_ne_u32_e64 v244, v236
	s_xor_b32 s2, exec_lo, s2
	s_cbranch_execz .LBB112_541
; %bb.536:
	s_mov_b32 s3, exec_lo
	v_cmpx_eq_u32_e32 25, v244
	s_cbranch_execz .LBB112_540
; %bb.537:
	v_cmp_ne_u32_e32 vcc_lo, 25, v236
	s_xor_b32 s4, s5, -1
	s_delay_alu instid0(SALU_CYCLE_1) | instskip(NEXT) | instid1(SALU_CYCLE_1)
	s_and_b32 s6, s4, vcc_lo
	s_and_saveexec_b32 s4, s6
	s_cbranch_execz .LBB112_539
; %bb.538:
	scratch_load_b64 v[10:11], off, off     ; 8-byte Folded Reload
	v_ashrrev_i32_e32 v237, 31, v236
	s_delay_alu instid0(VALU_DEP_1) | instskip(SKIP_1) | instid1(VALU_DEP_1)
	v_lshlrev_b64 v[212:213], 2, v[236:237]
	s_waitcnt vmcnt(0)
	v_add_co_u32 v212, vcc_lo, v10, v212
	s_delay_alu instid0(VALU_DEP_2)
	v_add_co_ci_u32_e32 v213, vcc_lo, v11, v213, vcc_lo
	s_clause 0x1
	flat_load_b32 v214, v[212:213]
	flat_load_b32 v215, v[10:11] offset:100
	s_waitcnt vmcnt(1) lgkmcnt(1)
	flat_store_b32 v[10:11], v214 offset:100
	s_waitcnt vmcnt(0) lgkmcnt(1)
	flat_store_b32 v[212:213], v215
.LBB112_539:
	s_or_b32 exec_lo, exec_lo, s4
	v_mov_b32_e32 v244, v236
	v_mov_b32_e32 v243, v236
.LBB112_540:
	s_or_b32 exec_lo, exec_lo, s3
.LBB112_541:
	s_and_not1_saveexec_b32 s2, s2
	s_cbranch_execz .LBB112_543
; %bb.542:
	v_mov_b32_e32 v244, 25
	ds_store_2addr_b64 v238, v[120:121], v[122:123] offset0:52 offset1:53
	ds_store_2addr_b64 v238, v[116:117], v[118:119] offset0:54 offset1:55
	;; [unrolled: 1-line block ×31, first 2 shown]
.LBB112_543:
	s_or_b32 exec_lo, exec_lo, s2
	s_delay_alu instid0(SALU_CYCLE_1)
	s_mov_b32 s2, exec_lo
	s_waitcnt lgkmcnt(0)
	s_waitcnt_vscnt null, 0x0
	s_barrier
	buffer_gl0_inv
	v_cmpx_lt_i32_e32 25, v244
	s_cbranch_execz .LBB112_545
; %bb.544:
	v_mul_f64 v[212:213], v[230:231], v[126:127]
	v_mul_f64 v[126:127], v[228:229], v[126:127]
	s_delay_alu instid0(VALU_DEP_2) | instskip(NEXT) | instid1(VALU_DEP_2)
	v_fma_f64 v[236:237], v[228:229], v[124:125], -v[212:213]
	v_fma_f64 v[126:127], v[230:231], v[124:125], v[126:127]
	ds_load_2addr_b64 v[228:231], v238 offset0:52 offset1:53
	s_waitcnt lgkmcnt(0)
	v_mul_f64 v[124:125], v[230:231], v[126:127]
	v_mul_f64 v[212:213], v[228:229], v[126:127]
	s_delay_alu instid0(VALU_DEP_2) | instskip(NEXT) | instid1(VALU_DEP_2)
	v_fma_f64 v[124:125], v[228:229], v[236:237], -v[124:125]
	v_fma_f64 v[212:213], v[230:231], v[236:237], v[212:213]
	ds_load_2addr_b64 v[228:231], v238 offset0:54 offset1:55
	v_add_f64 v[120:121], v[120:121], -v[124:125]
	v_add_f64 v[122:123], v[122:123], -v[212:213]
	s_waitcnt lgkmcnt(0)
	v_mul_f64 v[124:125], v[230:231], v[126:127]
	v_mul_f64 v[212:213], v[228:229], v[126:127]
	s_delay_alu instid0(VALU_DEP_2) | instskip(NEXT) | instid1(VALU_DEP_2)
	v_fma_f64 v[124:125], v[228:229], v[236:237], -v[124:125]
	v_fma_f64 v[212:213], v[230:231], v[236:237], v[212:213]
	ds_load_2addr_b64 v[228:231], v238 offset0:56 offset1:57
	v_add_f64 v[116:117], v[116:117], -v[124:125]
	v_add_f64 v[118:119], v[118:119], -v[212:213]
	;; [unrolled: 9-line block ×30, first 2 shown]
	s_waitcnt lgkmcnt(0)
	v_mul_f64 v[124:125], v[230:231], v[126:127]
	v_mul_f64 v[212:213], v[228:229], v[126:127]
	s_delay_alu instid0(VALU_DEP_2) | instskip(NEXT) | instid1(VALU_DEP_2)
	v_fma_f64 v[124:125], v[228:229], v[236:237], -v[124:125]
	v_fma_f64 v[212:213], v[230:231], v[236:237], v[212:213]
	s_delay_alu instid0(VALU_DEP_2) | instskip(NEXT) | instid1(VALU_DEP_2)
	v_add_f64 v[0:1], v[0:1], -v[124:125]
	v_add_f64 v[2:3], v[2:3], -v[212:213]
	v_dual_mov_b32 v124, v236 :: v_dual_mov_b32 v125, v237
.LBB112_545:
	s_or_b32 exec_lo, exec_lo, s2
	v_lshl_add_u32 v212, v244, 4, v238
	s_barrier
	buffer_gl0_inv
	v_mov_b32_e32 v236, 26
	ds_store_2addr_b64 v212, v[120:121], v[122:123] offset1:1
	s_waitcnt lgkmcnt(0)
	s_barrier
	buffer_gl0_inv
	ds_load_2addr_b64 v[228:231], v238 offset0:52 offset1:53
	s_cmp_lt_i32 s12, 28
	s_cbranch_scc1 .LBB112_548
; %bb.546:
	v_add3_u32 v237, v242, 0, 0x1b0
	v_mov_b32_e32 v236, 26
	s_mov_b32 s2, 27
	s_set_inst_prefetch_distance 0x1
	.p2align	6
.LBB112_547:                            ; =>This Inner Loop Header: Depth=1
	s_waitcnt lgkmcnt(0)
	v_cmp_gt_f64_e32 vcc_lo, 0, v[228:229]
	v_xor_b32_e32 v212, 0x80000000, v229
	v_xor_b32_e32 v214, 0x80000000, v231
	ds_load_2addr_b64 v[245:248], v237 offset1:1
	v_add_nc_u32_e32 v237, 16, v237
	s_waitcnt lgkmcnt(0)
	v_xor_b32_e32 v216, 0x80000000, v248
	v_cndmask_b32_e32 v213, v229, v212, vcc_lo
	v_cndmask_b32_e32 v212, v228, v228, vcc_lo
	v_cmp_gt_f64_e32 vcc_lo, 0, v[230:231]
	v_cndmask_b32_e32 v215, v231, v214, vcc_lo
	v_cndmask_b32_e32 v214, v230, v230, vcc_lo
	v_cmp_gt_f64_e32 vcc_lo, 0, v[245:246]
	s_delay_alu instid0(VALU_DEP_2) | instskip(SKIP_1) | instid1(VALU_DEP_1)
	v_add_f64 v[212:213], v[212:213], v[214:215]
	v_xor_b32_e32 v214, 0x80000000, v246
	v_dual_cndmask_b32 v215, v246, v214 :: v_dual_mov_b32 v214, v245
	v_cmp_gt_f64_e32 vcc_lo, 0, v[247:248]
	v_dual_cndmask_b32 v217, v248, v216 :: v_dual_mov_b32 v216, v247
	s_delay_alu instid0(VALU_DEP_1) | instskip(NEXT) | instid1(VALU_DEP_1)
	v_add_f64 v[214:215], v[214:215], v[216:217]
	v_cmp_lt_f64_e32 vcc_lo, v[212:213], v[214:215]
	v_dual_cndmask_b32 v229, v229, v246 :: v_dual_cndmask_b32 v228, v228, v245
	v_dual_cndmask_b32 v231, v231, v248 :: v_dual_cndmask_b32 v230, v230, v247
	v_cndmask_b32_e64 v236, v236, s2, vcc_lo
	s_add_i32 s2, s2, 1
	s_delay_alu instid0(SALU_CYCLE_1)
	s_cmp_lg_u32 s12, s2
	s_cbranch_scc1 .LBB112_547
.LBB112_548:
	s_set_inst_prefetch_distance 0x2
	s_waitcnt lgkmcnt(0)
	v_cmp_eq_f64_e32 vcc_lo, 0, v[228:229]
	v_cmp_eq_f64_e64 s2, 0, v[230:231]
	s_delay_alu instid0(VALU_DEP_1) | instskip(NEXT) | instid1(SALU_CYCLE_1)
	s_and_b32 s2, vcc_lo, s2
	s_and_saveexec_b32 s3, s2
	s_delay_alu instid0(SALU_CYCLE_1)
	s_xor_b32 s2, exec_lo, s3
; %bb.549:
	v_cmp_ne_u32_e32 vcc_lo, 0, v241
	v_cndmask_b32_e32 v241, 27, v241, vcc_lo
; %bb.550:
	s_and_not1_saveexec_b32 s3, s2
	s_cbranch_execz .LBB112_556
; %bb.551:
	v_cmp_gt_f64_e32 vcc_lo, 0, v[228:229]
	v_cmp_gt_f64_e64 s2, 0, v[230:231]
	v_xor_b32_e32 v212, 0x80000000, v229
	v_xor_b32_e32 v214, 0x80000000, v231
	s_delay_alu instid0(VALU_DEP_2) | instskip(NEXT) | instid1(VALU_DEP_2)
	v_cndmask_b32_e32 v213, v229, v212, vcc_lo
	v_cndmask_b32_e64 v215, v231, v214, s2
	v_cndmask_b32_e32 v212, v228, v228, vcc_lo
	v_cndmask_b32_e64 v214, v230, v230, s2
	s_mov_b32 s2, exec_lo
	s_delay_alu instid0(VALU_DEP_1)
	v_cmpx_ngt_f64_e32 v[212:213], v[214:215]
	s_xor_b32 s2, exec_lo, s2
	s_cbranch_execz .LBB112_553
; %bb.552:
	v_div_scale_f64 v[212:213], null, v[230:231], v[230:231], v[228:229]
	v_div_scale_f64 v[218:219], vcc_lo, v[228:229], v[230:231], v[228:229]
	s_delay_alu instid0(VALU_DEP_2) | instskip(SKIP_2) | instid1(VALU_DEP_1)
	v_rcp_f64_e32 v[214:215], v[212:213]
	s_waitcnt_depctr 0xfff
	v_fma_f64 v[216:217], -v[212:213], v[214:215], 1.0
	v_fma_f64 v[214:215], v[214:215], v[216:217], v[214:215]
	s_delay_alu instid0(VALU_DEP_1) | instskip(NEXT) | instid1(VALU_DEP_1)
	v_fma_f64 v[216:217], -v[212:213], v[214:215], 1.0
	v_fma_f64 v[214:215], v[214:215], v[216:217], v[214:215]
	s_delay_alu instid0(VALU_DEP_1) | instskip(NEXT) | instid1(VALU_DEP_1)
	v_mul_f64 v[216:217], v[218:219], v[214:215]
	v_fma_f64 v[212:213], -v[212:213], v[216:217], v[218:219]
	s_delay_alu instid0(VALU_DEP_1) | instskip(NEXT) | instid1(VALU_DEP_1)
	v_div_fmas_f64 v[212:213], v[212:213], v[214:215], v[216:217]
	v_div_fixup_f64 v[212:213], v[212:213], v[230:231], v[228:229]
	s_delay_alu instid0(VALU_DEP_1) | instskip(NEXT) | instid1(VALU_DEP_1)
	v_fma_f64 v[214:215], v[228:229], v[212:213], v[230:231]
	v_div_scale_f64 v[216:217], null, v[214:215], v[214:215], 1.0
	s_delay_alu instid0(VALU_DEP_1) | instskip(SKIP_2) | instid1(VALU_DEP_1)
	v_rcp_f64_e32 v[218:219], v[216:217]
	s_waitcnt_depctr 0xfff
	v_fma_f64 v[220:221], -v[216:217], v[218:219], 1.0
	v_fma_f64 v[218:219], v[218:219], v[220:221], v[218:219]
	s_delay_alu instid0(VALU_DEP_1) | instskip(NEXT) | instid1(VALU_DEP_1)
	v_fma_f64 v[220:221], -v[216:217], v[218:219], 1.0
	v_fma_f64 v[218:219], v[218:219], v[220:221], v[218:219]
	v_div_scale_f64 v[220:221], vcc_lo, 1.0, v[214:215], 1.0
	s_delay_alu instid0(VALU_DEP_1) | instskip(NEXT) | instid1(VALU_DEP_1)
	v_mul_f64 v[222:223], v[220:221], v[218:219]
	v_fma_f64 v[216:217], -v[216:217], v[222:223], v[220:221]
	s_delay_alu instid0(VALU_DEP_1) | instskip(NEXT) | instid1(VALU_DEP_1)
	v_div_fmas_f64 v[216:217], v[216:217], v[218:219], v[222:223]
	v_div_fixup_f64 v[230:231], v[216:217], v[214:215], 1.0
	s_delay_alu instid0(VALU_DEP_1)
	v_mul_f64 v[228:229], v[212:213], v[230:231]
	v_xor_b32_e32 v231, 0x80000000, v231
.LBB112_553:
	s_and_not1_saveexec_b32 s2, s2
	s_cbranch_execz .LBB112_555
; %bb.554:
	s_delay_alu instid0(VALU_DEP_1) | instskip(SKIP_1) | instid1(VALU_DEP_2)
	v_div_scale_f64 v[212:213], null, v[228:229], v[228:229], v[230:231]
	v_div_scale_f64 v[218:219], vcc_lo, v[230:231], v[228:229], v[230:231]
	v_rcp_f64_e32 v[214:215], v[212:213]
	s_waitcnt_depctr 0xfff
	v_fma_f64 v[216:217], -v[212:213], v[214:215], 1.0
	s_delay_alu instid0(VALU_DEP_1) | instskip(NEXT) | instid1(VALU_DEP_1)
	v_fma_f64 v[214:215], v[214:215], v[216:217], v[214:215]
	v_fma_f64 v[216:217], -v[212:213], v[214:215], 1.0
	s_delay_alu instid0(VALU_DEP_1) | instskip(NEXT) | instid1(VALU_DEP_1)
	v_fma_f64 v[214:215], v[214:215], v[216:217], v[214:215]
	v_mul_f64 v[216:217], v[218:219], v[214:215]
	s_delay_alu instid0(VALU_DEP_1) | instskip(NEXT) | instid1(VALU_DEP_1)
	v_fma_f64 v[212:213], -v[212:213], v[216:217], v[218:219]
	v_div_fmas_f64 v[212:213], v[212:213], v[214:215], v[216:217]
	s_delay_alu instid0(VALU_DEP_1) | instskip(NEXT) | instid1(VALU_DEP_1)
	v_div_fixup_f64 v[212:213], v[212:213], v[228:229], v[230:231]
	v_fma_f64 v[214:215], v[230:231], v[212:213], v[228:229]
	s_delay_alu instid0(VALU_DEP_1) | instskip(NEXT) | instid1(VALU_DEP_1)
	v_div_scale_f64 v[216:217], null, v[214:215], v[214:215], 1.0
	v_rcp_f64_e32 v[218:219], v[216:217]
	s_waitcnt_depctr 0xfff
	v_fma_f64 v[220:221], -v[216:217], v[218:219], 1.0
	s_delay_alu instid0(VALU_DEP_1) | instskip(NEXT) | instid1(VALU_DEP_1)
	v_fma_f64 v[218:219], v[218:219], v[220:221], v[218:219]
	v_fma_f64 v[220:221], -v[216:217], v[218:219], 1.0
	s_delay_alu instid0(VALU_DEP_1) | instskip(SKIP_1) | instid1(VALU_DEP_1)
	v_fma_f64 v[218:219], v[218:219], v[220:221], v[218:219]
	v_div_scale_f64 v[220:221], vcc_lo, 1.0, v[214:215], 1.0
	v_mul_f64 v[222:223], v[220:221], v[218:219]
	s_delay_alu instid0(VALU_DEP_1) | instskip(NEXT) | instid1(VALU_DEP_1)
	v_fma_f64 v[216:217], -v[216:217], v[222:223], v[220:221]
	v_div_fmas_f64 v[216:217], v[216:217], v[218:219], v[222:223]
	s_delay_alu instid0(VALU_DEP_1) | instskip(NEXT) | instid1(VALU_DEP_1)
	v_div_fixup_f64 v[228:229], v[216:217], v[214:215], 1.0
	v_mul_f64 v[230:231], v[212:213], -v[228:229]
.LBB112_555:
	s_or_b32 exec_lo, exec_lo, s2
.LBB112_556:
	s_delay_alu instid0(SALU_CYCLE_1) | instskip(NEXT) | instid1(SALU_CYCLE_1)
	s_or_b32 exec_lo, exec_lo, s3
	s_mov_b32 s2, exec_lo
	v_cmpx_ne_u32_e64 v244, v236
	s_xor_b32 s2, exec_lo, s2
	s_cbranch_execz .LBB112_562
; %bb.557:
	s_mov_b32 s3, exec_lo
	v_cmpx_eq_u32_e32 26, v244
	s_cbranch_execz .LBB112_561
; %bb.558:
	v_cmp_ne_u32_e32 vcc_lo, 26, v236
	s_xor_b32 s4, s5, -1
	s_delay_alu instid0(SALU_CYCLE_1) | instskip(NEXT) | instid1(SALU_CYCLE_1)
	s_and_b32 s6, s4, vcc_lo
	s_and_saveexec_b32 s4, s6
	s_cbranch_execz .LBB112_560
; %bb.559:
	scratch_load_b64 v[10:11], off, off     ; 8-byte Folded Reload
	v_ashrrev_i32_e32 v237, 31, v236
	s_delay_alu instid0(VALU_DEP_1) | instskip(SKIP_1) | instid1(VALU_DEP_1)
	v_lshlrev_b64 v[212:213], 2, v[236:237]
	s_waitcnt vmcnt(0)
	v_add_co_u32 v212, vcc_lo, v10, v212
	s_delay_alu instid0(VALU_DEP_2)
	v_add_co_ci_u32_e32 v213, vcc_lo, v11, v213, vcc_lo
	s_clause 0x1
	flat_load_b32 v214, v[212:213]
	flat_load_b32 v215, v[10:11] offset:104
	s_waitcnt vmcnt(1) lgkmcnt(1)
	flat_store_b32 v[10:11], v214 offset:104
	s_waitcnt vmcnt(0) lgkmcnt(1)
	flat_store_b32 v[212:213], v215
.LBB112_560:
	s_or_b32 exec_lo, exec_lo, s4
	v_mov_b32_e32 v244, v236
	v_mov_b32_e32 v243, v236
.LBB112_561:
	s_or_b32 exec_lo, exec_lo, s3
.LBB112_562:
	s_and_not1_saveexec_b32 s2, s2
	s_cbranch_execz .LBB112_564
; %bb.563:
	v_mov_b32_e32 v244, 26
	ds_store_2addr_b64 v238, v[116:117], v[118:119] offset0:54 offset1:55
	ds_store_2addr_b64 v238, v[112:113], v[114:115] offset0:56 offset1:57
	;; [unrolled: 1-line block ×30, first 2 shown]
.LBB112_564:
	s_or_b32 exec_lo, exec_lo, s2
	s_delay_alu instid0(SALU_CYCLE_1)
	s_mov_b32 s2, exec_lo
	s_waitcnt lgkmcnt(0)
	s_waitcnt_vscnt null, 0x0
	s_barrier
	buffer_gl0_inv
	v_cmpx_lt_i32_e32 26, v244
	s_cbranch_execz .LBB112_566
; %bb.565:
	v_mul_f64 v[212:213], v[230:231], v[122:123]
	v_mul_f64 v[122:123], v[228:229], v[122:123]
	s_delay_alu instid0(VALU_DEP_2) | instskip(NEXT) | instid1(VALU_DEP_2)
	v_fma_f64 v[236:237], v[228:229], v[120:121], -v[212:213]
	v_fma_f64 v[122:123], v[230:231], v[120:121], v[122:123]
	ds_load_2addr_b64 v[228:231], v238 offset0:54 offset1:55
	s_waitcnt lgkmcnt(0)
	v_mul_f64 v[120:121], v[230:231], v[122:123]
	v_mul_f64 v[212:213], v[228:229], v[122:123]
	s_delay_alu instid0(VALU_DEP_2) | instskip(NEXT) | instid1(VALU_DEP_2)
	v_fma_f64 v[120:121], v[228:229], v[236:237], -v[120:121]
	v_fma_f64 v[212:213], v[230:231], v[236:237], v[212:213]
	ds_load_2addr_b64 v[228:231], v238 offset0:56 offset1:57
	v_add_f64 v[116:117], v[116:117], -v[120:121]
	v_add_f64 v[118:119], v[118:119], -v[212:213]
	s_waitcnt lgkmcnt(0)
	v_mul_f64 v[120:121], v[230:231], v[122:123]
	v_mul_f64 v[212:213], v[228:229], v[122:123]
	s_delay_alu instid0(VALU_DEP_2) | instskip(NEXT) | instid1(VALU_DEP_2)
	v_fma_f64 v[120:121], v[228:229], v[236:237], -v[120:121]
	v_fma_f64 v[212:213], v[230:231], v[236:237], v[212:213]
	ds_load_2addr_b64 v[228:231], v238 offset0:58 offset1:59
	v_add_f64 v[112:113], v[112:113], -v[120:121]
	v_add_f64 v[114:115], v[114:115], -v[212:213]
	;; [unrolled: 9-line block ×29, first 2 shown]
	s_waitcnt lgkmcnt(0)
	v_mul_f64 v[120:121], v[230:231], v[122:123]
	v_mul_f64 v[212:213], v[228:229], v[122:123]
	s_delay_alu instid0(VALU_DEP_2) | instskip(NEXT) | instid1(VALU_DEP_2)
	v_fma_f64 v[120:121], v[228:229], v[236:237], -v[120:121]
	v_fma_f64 v[212:213], v[230:231], v[236:237], v[212:213]
	s_delay_alu instid0(VALU_DEP_2) | instskip(NEXT) | instid1(VALU_DEP_2)
	v_add_f64 v[0:1], v[0:1], -v[120:121]
	v_add_f64 v[2:3], v[2:3], -v[212:213]
	v_dual_mov_b32 v120, v236 :: v_dual_mov_b32 v121, v237
.LBB112_566:
	s_or_b32 exec_lo, exec_lo, s2
	v_lshl_add_u32 v212, v244, 4, v238
	s_barrier
	buffer_gl0_inv
	v_mov_b32_e32 v236, 27
	ds_store_2addr_b64 v212, v[116:117], v[118:119] offset1:1
	s_waitcnt lgkmcnt(0)
	s_barrier
	buffer_gl0_inv
	ds_load_2addr_b64 v[228:231], v238 offset0:54 offset1:55
	s_cmp_lt_i32 s12, 29
	s_cbranch_scc1 .LBB112_569
; %bb.567:
	v_add3_u32 v237, v242, 0, 0x1c0
	v_mov_b32_e32 v236, 27
	s_mov_b32 s2, 28
	s_set_inst_prefetch_distance 0x1
	.p2align	6
.LBB112_568:                            ; =>This Inner Loop Header: Depth=1
	s_waitcnt lgkmcnt(0)
	v_cmp_gt_f64_e32 vcc_lo, 0, v[228:229]
	v_xor_b32_e32 v212, 0x80000000, v229
	v_xor_b32_e32 v214, 0x80000000, v231
	ds_load_2addr_b64 v[245:248], v237 offset1:1
	v_add_nc_u32_e32 v237, 16, v237
	s_waitcnt lgkmcnt(0)
	v_xor_b32_e32 v216, 0x80000000, v248
	v_cndmask_b32_e32 v213, v229, v212, vcc_lo
	v_cndmask_b32_e32 v212, v228, v228, vcc_lo
	v_cmp_gt_f64_e32 vcc_lo, 0, v[230:231]
	v_cndmask_b32_e32 v215, v231, v214, vcc_lo
	v_cndmask_b32_e32 v214, v230, v230, vcc_lo
	v_cmp_gt_f64_e32 vcc_lo, 0, v[245:246]
	s_delay_alu instid0(VALU_DEP_2) | instskip(SKIP_1) | instid1(VALU_DEP_1)
	v_add_f64 v[212:213], v[212:213], v[214:215]
	v_xor_b32_e32 v214, 0x80000000, v246
	v_dual_cndmask_b32 v215, v246, v214 :: v_dual_mov_b32 v214, v245
	v_cmp_gt_f64_e32 vcc_lo, 0, v[247:248]
	v_dual_cndmask_b32 v217, v248, v216 :: v_dual_mov_b32 v216, v247
	s_delay_alu instid0(VALU_DEP_1) | instskip(NEXT) | instid1(VALU_DEP_1)
	v_add_f64 v[214:215], v[214:215], v[216:217]
	v_cmp_lt_f64_e32 vcc_lo, v[212:213], v[214:215]
	v_dual_cndmask_b32 v229, v229, v246 :: v_dual_cndmask_b32 v228, v228, v245
	v_dual_cndmask_b32 v231, v231, v248 :: v_dual_cndmask_b32 v230, v230, v247
	v_cndmask_b32_e64 v236, v236, s2, vcc_lo
	s_add_i32 s2, s2, 1
	s_delay_alu instid0(SALU_CYCLE_1)
	s_cmp_lg_u32 s12, s2
	s_cbranch_scc1 .LBB112_568
.LBB112_569:
	s_set_inst_prefetch_distance 0x2
	s_waitcnt lgkmcnt(0)
	v_cmp_eq_f64_e32 vcc_lo, 0, v[228:229]
	v_cmp_eq_f64_e64 s2, 0, v[230:231]
	s_delay_alu instid0(VALU_DEP_1) | instskip(NEXT) | instid1(SALU_CYCLE_1)
	s_and_b32 s2, vcc_lo, s2
	s_and_saveexec_b32 s3, s2
	s_delay_alu instid0(SALU_CYCLE_1)
	s_xor_b32 s2, exec_lo, s3
; %bb.570:
	v_cmp_ne_u32_e32 vcc_lo, 0, v241
	v_cndmask_b32_e32 v241, 28, v241, vcc_lo
; %bb.571:
	s_and_not1_saveexec_b32 s3, s2
	s_cbranch_execz .LBB112_577
; %bb.572:
	v_cmp_gt_f64_e32 vcc_lo, 0, v[228:229]
	v_cmp_gt_f64_e64 s2, 0, v[230:231]
	v_xor_b32_e32 v212, 0x80000000, v229
	v_xor_b32_e32 v214, 0x80000000, v231
	s_delay_alu instid0(VALU_DEP_2) | instskip(NEXT) | instid1(VALU_DEP_2)
	v_cndmask_b32_e32 v213, v229, v212, vcc_lo
	v_cndmask_b32_e64 v215, v231, v214, s2
	v_cndmask_b32_e32 v212, v228, v228, vcc_lo
	v_cndmask_b32_e64 v214, v230, v230, s2
	s_mov_b32 s2, exec_lo
	s_delay_alu instid0(VALU_DEP_1)
	v_cmpx_ngt_f64_e32 v[212:213], v[214:215]
	s_xor_b32 s2, exec_lo, s2
	s_cbranch_execz .LBB112_574
; %bb.573:
	v_div_scale_f64 v[212:213], null, v[230:231], v[230:231], v[228:229]
	v_div_scale_f64 v[218:219], vcc_lo, v[228:229], v[230:231], v[228:229]
	s_delay_alu instid0(VALU_DEP_2) | instskip(SKIP_2) | instid1(VALU_DEP_1)
	v_rcp_f64_e32 v[214:215], v[212:213]
	s_waitcnt_depctr 0xfff
	v_fma_f64 v[216:217], -v[212:213], v[214:215], 1.0
	v_fma_f64 v[214:215], v[214:215], v[216:217], v[214:215]
	s_delay_alu instid0(VALU_DEP_1) | instskip(NEXT) | instid1(VALU_DEP_1)
	v_fma_f64 v[216:217], -v[212:213], v[214:215], 1.0
	v_fma_f64 v[214:215], v[214:215], v[216:217], v[214:215]
	s_delay_alu instid0(VALU_DEP_1) | instskip(NEXT) | instid1(VALU_DEP_1)
	v_mul_f64 v[216:217], v[218:219], v[214:215]
	v_fma_f64 v[212:213], -v[212:213], v[216:217], v[218:219]
	s_delay_alu instid0(VALU_DEP_1) | instskip(NEXT) | instid1(VALU_DEP_1)
	v_div_fmas_f64 v[212:213], v[212:213], v[214:215], v[216:217]
	v_div_fixup_f64 v[212:213], v[212:213], v[230:231], v[228:229]
	s_delay_alu instid0(VALU_DEP_1) | instskip(NEXT) | instid1(VALU_DEP_1)
	v_fma_f64 v[214:215], v[228:229], v[212:213], v[230:231]
	v_div_scale_f64 v[216:217], null, v[214:215], v[214:215], 1.0
	s_delay_alu instid0(VALU_DEP_1) | instskip(SKIP_2) | instid1(VALU_DEP_1)
	v_rcp_f64_e32 v[218:219], v[216:217]
	s_waitcnt_depctr 0xfff
	v_fma_f64 v[220:221], -v[216:217], v[218:219], 1.0
	v_fma_f64 v[218:219], v[218:219], v[220:221], v[218:219]
	s_delay_alu instid0(VALU_DEP_1) | instskip(NEXT) | instid1(VALU_DEP_1)
	v_fma_f64 v[220:221], -v[216:217], v[218:219], 1.0
	v_fma_f64 v[218:219], v[218:219], v[220:221], v[218:219]
	v_div_scale_f64 v[220:221], vcc_lo, 1.0, v[214:215], 1.0
	s_delay_alu instid0(VALU_DEP_1) | instskip(NEXT) | instid1(VALU_DEP_1)
	v_mul_f64 v[222:223], v[220:221], v[218:219]
	v_fma_f64 v[216:217], -v[216:217], v[222:223], v[220:221]
	s_delay_alu instid0(VALU_DEP_1) | instskip(NEXT) | instid1(VALU_DEP_1)
	v_div_fmas_f64 v[216:217], v[216:217], v[218:219], v[222:223]
	v_div_fixup_f64 v[230:231], v[216:217], v[214:215], 1.0
	s_delay_alu instid0(VALU_DEP_1)
	v_mul_f64 v[228:229], v[212:213], v[230:231]
	v_xor_b32_e32 v231, 0x80000000, v231
.LBB112_574:
	s_and_not1_saveexec_b32 s2, s2
	s_cbranch_execz .LBB112_576
; %bb.575:
	s_delay_alu instid0(VALU_DEP_1) | instskip(SKIP_1) | instid1(VALU_DEP_2)
	v_div_scale_f64 v[212:213], null, v[228:229], v[228:229], v[230:231]
	v_div_scale_f64 v[218:219], vcc_lo, v[230:231], v[228:229], v[230:231]
	v_rcp_f64_e32 v[214:215], v[212:213]
	s_waitcnt_depctr 0xfff
	v_fma_f64 v[216:217], -v[212:213], v[214:215], 1.0
	s_delay_alu instid0(VALU_DEP_1) | instskip(NEXT) | instid1(VALU_DEP_1)
	v_fma_f64 v[214:215], v[214:215], v[216:217], v[214:215]
	v_fma_f64 v[216:217], -v[212:213], v[214:215], 1.0
	s_delay_alu instid0(VALU_DEP_1) | instskip(NEXT) | instid1(VALU_DEP_1)
	v_fma_f64 v[214:215], v[214:215], v[216:217], v[214:215]
	v_mul_f64 v[216:217], v[218:219], v[214:215]
	s_delay_alu instid0(VALU_DEP_1) | instskip(NEXT) | instid1(VALU_DEP_1)
	v_fma_f64 v[212:213], -v[212:213], v[216:217], v[218:219]
	v_div_fmas_f64 v[212:213], v[212:213], v[214:215], v[216:217]
	s_delay_alu instid0(VALU_DEP_1) | instskip(NEXT) | instid1(VALU_DEP_1)
	v_div_fixup_f64 v[212:213], v[212:213], v[228:229], v[230:231]
	v_fma_f64 v[214:215], v[230:231], v[212:213], v[228:229]
	s_delay_alu instid0(VALU_DEP_1) | instskip(NEXT) | instid1(VALU_DEP_1)
	v_div_scale_f64 v[216:217], null, v[214:215], v[214:215], 1.0
	v_rcp_f64_e32 v[218:219], v[216:217]
	s_waitcnt_depctr 0xfff
	v_fma_f64 v[220:221], -v[216:217], v[218:219], 1.0
	s_delay_alu instid0(VALU_DEP_1) | instskip(NEXT) | instid1(VALU_DEP_1)
	v_fma_f64 v[218:219], v[218:219], v[220:221], v[218:219]
	v_fma_f64 v[220:221], -v[216:217], v[218:219], 1.0
	s_delay_alu instid0(VALU_DEP_1) | instskip(SKIP_1) | instid1(VALU_DEP_1)
	v_fma_f64 v[218:219], v[218:219], v[220:221], v[218:219]
	v_div_scale_f64 v[220:221], vcc_lo, 1.0, v[214:215], 1.0
	v_mul_f64 v[222:223], v[220:221], v[218:219]
	s_delay_alu instid0(VALU_DEP_1) | instskip(NEXT) | instid1(VALU_DEP_1)
	v_fma_f64 v[216:217], -v[216:217], v[222:223], v[220:221]
	v_div_fmas_f64 v[216:217], v[216:217], v[218:219], v[222:223]
	s_delay_alu instid0(VALU_DEP_1) | instskip(NEXT) | instid1(VALU_DEP_1)
	v_div_fixup_f64 v[228:229], v[216:217], v[214:215], 1.0
	v_mul_f64 v[230:231], v[212:213], -v[228:229]
.LBB112_576:
	s_or_b32 exec_lo, exec_lo, s2
.LBB112_577:
	s_delay_alu instid0(SALU_CYCLE_1) | instskip(NEXT) | instid1(SALU_CYCLE_1)
	s_or_b32 exec_lo, exec_lo, s3
	s_mov_b32 s2, exec_lo
	v_cmpx_ne_u32_e64 v244, v236
	s_xor_b32 s2, exec_lo, s2
	s_cbranch_execz .LBB112_583
; %bb.578:
	s_mov_b32 s3, exec_lo
	v_cmpx_eq_u32_e32 27, v244
	s_cbranch_execz .LBB112_582
; %bb.579:
	v_cmp_ne_u32_e32 vcc_lo, 27, v236
	s_xor_b32 s4, s5, -1
	s_delay_alu instid0(SALU_CYCLE_1) | instskip(NEXT) | instid1(SALU_CYCLE_1)
	s_and_b32 s6, s4, vcc_lo
	s_and_saveexec_b32 s4, s6
	s_cbranch_execz .LBB112_581
; %bb.580:
	scratch_load_b64 v[10:11], off, off     ; 8-byte Folded Reload
	v_ashrrev_i32_e32 v237, 31, v236
	s_delay_alu instid0(VALU_DEP_1) | instskip(SKIP_1) | instid1(VALU_DEP_1)
	v_lshlrev_b64 v[212:213], 2, v[236:237]
	s_waitcnt vmcnt(0)
	v_add_co_u32 v212, vcc_lo, v10, v212
	s_delay_alu instid0(VALU_DEP_2)
	v_add_co_ci_u32_e32 v213, vcc_lo, v11, v213, vcc_lo
	s_clause 0x1
	flat_load_b32 v214, v[212:213]
	flat_load_b32 v215, v[10:11] offset:108
	s_waitcnt vmcnt(1) lgkmcnt(1)
	flat_store_b32 v[10:11], v214 offset:108
	s_waitcnt vmcnt(0) lgkmcnt(1)
	flat_store_b32 v[212:213], v215
.LBB112_581:
	s_or_b32 exec_lo, exec_lo, s4
	v_mov_b32_e32 v244, v236
	v_mov_b32_e32 v243, v236
.LBB112_582:
	s_or_b32 exec_lo, exec_lo, s3
.LBB112_583:
	s_and_not1_saveexec_b32 s2, s2
	s_cbranch_execz .LBB112_585
; %bb.584:
	v_mov_b32_e32 v244, 27
	ds_store_2addr_b64 v238, v[112:113], v[114:115] offset0:56 offset1:57
	ds_store_2addr_b64 v238, v[108:109], v[110:111] offset0:58 offset1:59
	;; [unrolled: 1-line block ×29, first 2 shown]
.LBB112_585:
	s_or_b32 exec_lo, exec_lo, s2
	s_delay_alu instid0(SALU_CYCLE_1)
	s_mov_b32 s2, exec_lo
	s_waitcnt lgkmcnt(0)
	s_waitcnt_vscnt null, 0x0
	s_barrier
	buffer_gl0_inv
	v_cmpx_lt_i32_e32 27, v244
	s_cbranch_execz .LBB112_587
; %bb.586:
	v_mul_f64 v[212:213], v[230:231], v[118:119]
	v_mul_f64 v[118:119], v[228:229], v[118:119]
	s_delay_alu instid0(VALU_DEP_2) | instskip(NEXT) | instid1(VALU_DEP_2)
	v_fma_f64 v[236:237], v[228:229], v[116:117], -v[212:213]
	v_fma_f64 v[118:119], v[230:231], v[116:117], v[118:119]
	ds_load_2addr_b64 v[228:231], v238 offset0:56 offset1:57
	s_waitcnt lgkmcnt(0)
	v_mul_f64 v[116:117], v[230:231], v[118:119]
	v_mul_f64 v[212:213], v[228:229], v[118:119]
	s_delay_alu instid0(VALU_DEP_2) | instskip(NEXT) | instid1(VALU_DEP_2)
	v_fma_f64 v[116:117], v[228:229], v[236:237], -v[116:117]
	v_fma_f64 v[212:213], v[230:231], v[236:237], v[212:213]
	ds_load_2addr_b64 v[228:231], v238 offset0:58 offset1:59
	v_add_f64 v[112:113], v[112:113], -v[116:117]
	v_add_f64 v[114:115], v[114:115], -v[212:213]
	s_waitcnt lgkmcnt(0)
	v_mul_f64 v[116:117], v[230:231], v[118:119]
	v_mul_f64 v[212:213], v[228:229], v[118:119]
	s_delay_alu instid0(VALU_DEP_2) | instskip(NEXT) | instid1(VALU_DEP_2)
	v_fma_f64 v[116:117], v[228:229], v[236:237], -v[116:117]
	v_fma_f64 v[212:213], v[230:231], v[236:237], v[212:213]
	ds_load_2addr_b64 v[228:231], v238 offset0:60 offset1:61
	v_add_f64 v[108:109], v[108:109], -v[116:117]
	v_add_f64 v[110:111], v[110:111], -v[212:213]
	;; [unrolled: 9-line block ×28, first 2 shown]
	s_waitcnt lgkmcnt(0)
	v_mul_f64 v[116:117], v[230:231], v[118:119]
	v_mul_f64 v[212:213], v[228:229], v[118:119]
	s_delay_alu instid0(VALU_DEP_2) | instskip(NEXT) | instid1(VALU_DEP_2)
	v_fma_f64 v[116:117], v[228:229], v[236:237], -v[116:117]
	v_fma_f64 v[212:213], v[230:231], v[236:237], v[212:213]
	s_delay_alu instid0(VALU_DEP_2) | instskip(NEXT) | instid1(VALU_DEP_2)
	v_add_f64 v[0:1], v[0:1], -v[116:117]
	v_add_f64 v[2:3], v[2:3], -v[212:213]
	v_dual_mov_b32 v116, v236 :: v_dual_mov_b32 v117, v237
.LBB112_587:
	s_or_b32 exec_lo, exec_lo, s2
	v_lshl_add_u32 v212, v244, 4, v238
	s_barrier
	buffer_gl0_inv
	v_mov_b32_e32 v236, 28
	ds_store_2addr_b64 v212, v[112:113], v[114:115] offset1:1
	s_waitcnt lgkmcnt(0)
	s_barrier
	buffer_gl0_inv
	ds_load_2addr_b64 v[228:231], v238 offset0:56 offset1:57
	s_cmp_lt_i32 s12, 30
	s_cbranch_scc1 .LBB112_590
; %bb.588:
	v_add3_u32 v237, v242, 0, 0x1d0
	v_mov_b32_e32 v236, 28
	s_mov_b32 s2, 29
	s_set_inst_prefetch_distance 0x1
	.p2align	6
.LBB112_589:                            ; =>This Inner Loop Header: Depth=1
	s_waitcnt lgkmcnt(0)
	v_cmp_gt_f64_e32 vcc_lo, 0, v[228:229]
	v_xor_b32_e32 v212, 0x80000000, v229
	v_xor_b32_e32 v214, 0x80000000, v231
	ds_load_2addr_b64 v[245:248], v237 offset1:1
	v_add_nc_u32_e32 v237, 16, v237
	s_waitcnt lgkmcnt(0)
	v_xor_b32_e32 v216, 0x80000000, v248
	v_cndmask_b32_e32 v213, v229, v212, vcc_lo
	v_cndmask_b32_e32 v212, v228, v228, vcc_lo
	v_cmp_gt_f64_e32 vcc_lo, 0, v[230:231]
	v_cndmask_b32_e32 v215, v231, v214, vcc_lo
	v_cndmask_b32_e32 v214, v230, v230, vcc_lo
	v_cmp_gt_f64_e32 vcc_lo, 0, v[245:246]
	s_delay_alu instid0(VALU_DEP_2) | instskip(SKIP_1) | instid1(VALU_DEP_1)
	v_add_f64 v[212:213], v[212:213], v[214:215]
	v_xor_b32_e32 v214, 0x80000000, v246
	v_dual_cndmask_b32 v215, v246, v214 :: v_dual_mov_b32 v214, v245
	v_cmp_gt_f64_e32 vcc_lo, 0, v[247:248]
	v_dual_cndmask_b32 v217, v248, v216 :: v_dual_mov_b32 v216, v247
	s_delay_alu instid0(VALU_DEP_1) | instskip(NEXT) | instid1(VALU_DEP_1)
	v_add_f64 v[214:215], v[214:215], v[216:217]
	v_cmp_lt_f64_e32 vcc_lo, v[212:213], v[214:215]
	v_dual_cndmask_b32 v229, v229, v246 :: v_dual_cndmask_b32 v228, v228, v245
	v_dual_cndmask_b32 v231, v231, v248 :: v_dual_cndmask_b32 v230, v230, v247
	v_cndmask_b32_e64 v236, v236, s2, vcc_lo
	s_add_i32 s2, s2, 1
	s_delay_alu instid0(SALU_CYCLE_1)
	s_cmp_lg_u32 s12, s2
	s_cbranch_scc1 .LBB112_589
.LBB112_590:
	s_set_inst_prefetch_distance 0x2
	s_waitcnt lgkmcnt(0)
	v_cmp_eq_f64_e32 vcc_lo, 0, v[228:229]
	v_cmp_eq_f64_e64 s2, 0, v[230:231]
	s_delay_alu instid0(VALU_DEP_1) | instskip(NEXT) | instid1(SALU_CYCLE_1)
	s_and_b32 s2, vcc_lo, s2
	s_and_saveexec_b32 s3, s2
	s_delay_alu instid0(SALU_CYCLE_1)
	s_xor_b32 s2, exec_lo, s3
; %bb.591:
	v_cmp_ne_u32_e32 vcc_lo, 0, v241
	v_cndmask_b32_e32 v241, 29, v241, vcc_lo
; %bb.592:
	s_and_not1_saveexec_b32 s3, s2
	s_cbranch_execz .LBB112_598
; %bb.593:
	v_cmp_gt_f64_e32 vcc_lo, 0, v[228:229]
	v_cmp_gt_f64_e64 s2, 0, v[230:231]
	v_xor_b32_e32 v212, 0x80000000, v229
	v_xor_b32_e32 v214, 0x80000000, v231
	s_delay_alu instid0(VALU_DEP_2) | instskip(NEXT) | instid1(VALU_DEP_2)
	v_cndmask_b32_e32 v213, v229, v212, vcc_lo
	v_cndmask_b32_e64 v215, v231, v214, s2
	v_cndmask_b32_e32 v212, v228, v228, vcc_lo
	v_cndmask_b32_e64 v214, v230, v230, s2
	s_mov_b32 s2, exec_lo
	s_delay_alu instid0(VALU_DEP_1)
	v_cmpx_ngt_f64_e32 v[212:213], v[214:215]
	s_xor_b32 s2, exec_lo, s2
	s_cbranch_execz .LBB112_595
; %bb.594:
	v_div_scale_f64 v[212:213], null, v[230:231], v[230:231], v[228:229]
	v_div_scale_f64 v[218:219], vcc_lo, v[228:229], v[230:231], v[228:229]
	s_delay_alu instid0(VALU_DEP_2) | instskip(SKIP_2) | instid1(VALU_DEP_1)
	v_rcp_f64_e32 v[214:215], v[212:213]
	s_waitcnt_depctr 0xfff
	v_fma_f64 v[216:217], -v[212:213], v[214:215], 1.0
	v_fma_f64 v[214:215], v[214:215], v[216:217], v[214:215]
	s_delay_alu instid0(VALU_DEP_1) | instskip(NEXT) | instid1(VALU_DEP_1)
	v_fma_f64 v[216:217], -v[212:213], v[214:215], 1.0
	v_fma_f64 v[214:215], v[214:215], v[216:217], v[214:215]
	s_delay_alu instid0(VALU_DEP_1) | instskip(NEXT) | instid1(VALU_DEP_1)
	v_mul_f64 v[216:217], v[218:219], v[214:215]
	v_fma_f64 v[212:213], -v[212:213], v[216:217], v[218:219]
	s_delay_alu instid0(VALU_DEP_1) | instskip(NEXT) | instid1(VALU_DEP_1)
	v_div_fmas_f64 v[212:213], v[212:213], v[214:215], v[216:217]
	v_div_fixup_f64 v[212:213], v[212:213], v[230:231], v[228:229]
	s_delay_alu instid0(VALU_DEP_1) | instskip(NEXT) | instid1(VALU_DEP_1)
	v_fma_f64 v[214:215], v[228:229], v[212:213], v[230:231]
	v_div_scale_f64 v[216:217], null, v[214:215], v[214:215], 1.0
	s_delay_alu instid0(VALU_DEP_1) | instskip(SKIP_2) | instid1(VALU_DEP_1)
	v_rcp_f64_e32 v[218:219], v[216:217]
	s_waitcnt_depctr 0xfff
	v_fma_f64 v[220:221], -v[216:217], v[218:219], 1.0
	v_fma_f64 v[218:219], v[218:219], v[220:221], v[218:219]
	s_delay_alu instid0(VALU_DEP_1) | instskip(NEXT) | instid1(VALU_DEP_1)
	v_fma_f64 v[220:221], -v[216:217], v[218:219], 1.0
	v_fma_f64 v[218:219], v[218:219], v[220:221], v[218:219]
	v_div_scale_f64 v[220:221], vcc_lo, 1.0, v[214:215], 1.0
	s_delay_alu instid0(VALU_DEP_1) | instskip(NEXT) | instid1(VALU_DEP_1)
	v_mul_f64 v[222:223], v[220:221], v[218:219]
	v_fma_f64 v[216:217], -v[216:217], v[222:223], v[220:221]
	s_delay_alu instid0(VALU_DEP_1) | instskip(NEXT) | instid1(VALU_DEP_1)
	v_div_fmas_f64 v[216:217], v[216:217], v[218:219], v[222:223]
	v_div_fixup_f64 v[230:231], v[216:217], v[214:215], 1.0
	s_delay_alu instid0(VALU_DEP_1)
	v_mul_f64 v[228:229], v[212:213], v[230:231]
	v_xor_b32_e32 v231, 0x80000000, v231
.LBB112_595:
	s_and_not1_saveexec_b32 s2, s2
	s_cbranch_execz .LBB112_597
; %bb.596:
	s_delay_alu instid0(VALU_DEP_1) | instskip(SKIP_1) | instid1(VALU_DEP_2)
	v_div_scale_f64 v[212:213], null, v[228:229], v[228:229], v[230:231]
	v_div_scale_f64 v[218:219], vcc_lo, v[230:231], v[228:229], v[230:231]
	v_rcp_f64_e32 v[214:215], v[212:213]
	s_waitcnt_depctr 0xfff
	v_fma_f64 v[216:217], -v[212:213], v[214:215], 1.0
	s_delay_alu instid0(VALU_DEP_1) | instskip(NEXT) | instid1(VALU_DEP_1)
	v_fma_f64 v[214:215], v[214:215], v[216:217], v[214:215]
	v_fma_f64 v[216:217], -v[212:213], v[214:215], 1.0
	s_delay_alu instid0(VALU_DEP_1) | instskip(NEXT) | instid1(VALU_DEP_1)
	v_fma_f64 v[214:215], v[214:215], v[216:217], v[214:215]
	v_mul_f64 v[216:217], v[218:219], v[214:215]
	s_delay_alu instid0(VALU_DEP_1) | instskip(NEXT) | instid1(VALU_DEP_1)
	v_fma_f64 v[212:213], -v[212:213], v[216:217], v[218:219]
	v_div_fmas_f64 v[212:213], v[212:213], v[214:215], v[216:217]
	s_delay_alu instid0(VALU_DEP_1) | instskip(NEXT) | instid1(VALU_DEP_1)
	v_div_fixup_f64 v[212:213], v[212:213], v[228:229], v[230:231]
	v_fma_f64 v[214:215], v[230:231], v[212:213], v[228:229]
	s_delay_alu instid0(VALU_DEP_1) | instskip(NEXT) | instid1(VALU_DEP_1)
	v_div_scale_f64 v[216:217], null, v[214:215], v[214:215], 1.0
	v_rcp_f64_e32 v[218:219], v[216:217]
	s_waitcnt_depctr 0xfff
	v_fma_f64 v[220:221], -v[216:217], v[218:219], 1.0
	s_delay_alu instid0(VALU_DEP_1) | instskip(NEXT) | instid1(VALU_DEP_1)
	v_fma_f64 v[218:219], v[218:219], v[220:221], v[218:219]
	v_fma_f64 v[220:221], -v[216:217], v[218:219], 1.0
	s_delay_alu instid0(VALU_DEP_1) | instskip(SKIP_1) | instid1(VALU_DEP_1)
	v_fma_f64 v[218:219], v[218:219], v[220:221], v[218:219]
	v_div_scale_f64 v[220:221], vcc_lo, 1.0, v[214:215], 1.0
	v_mul_f64 v[222:223], v[220:221], v[218:219]
	s_delay_alu instid0(VALU_DEP_1) | instskip(NEXT) | instid1(VALU_DEP_1)
	v_fma_f64 v[216:217], -v[216:217], v[222:223], v[220:221]
	v_div_fmas_f64 v[216:217], v[216:217], v[218:219], v[222:223]
	s_delay_alu instid0(VALU_DEP_1) | instskip(NEXT) | instid1(VALU_DEP_1)
	v_div_fixup_f64 v[228:229], v[216:217], v[214:215], 1.0
	v_mul_f64 v[230:231], v[212:213], -v[228:229]
.LBB112_597:
	s_or_b32 exec_lo, exec_lo, s2
.LBB112_598:
	s_delay_alu instid0(SALU_CYCLE_1) | instskip(NEXT) | instid1(SALU_CYCLE_1)
	s_or_b32 exec_lo, exec_lo, s3
	s_mov_b32 s2, exec_lo
	v_cmpx_ne_u32_e64 v244, v236
	s_xor_b32 s2, exec_lo, s2
	s_cbranch_execz .LBB112_604
; %bb.599:
	s_mov_b32 s3, exec_lo
	v_cmpx_eq_u32_e32 28, v244
	s_cbranch_execz .LBB112_603
; %bb.600:
	v_cmp_ne_u32_e32 vcc_lo, 28, v236
	s_xor_b32 s4, s5, -1
	s_delay_alu instid0(SALU_CYCLE_1) | instskip(NEXT) | instid1(SALU_CYCLE_1)
	s_and_b32 s6, s4, vcc_lo
	s_and_saveexec_b32 s4, s6
	s_cbranch_execz .LBB112_602
; %bb.601:
	scratch_load_b64 v[10:11], off, off     ; 8-byte Folded Reload
	v_ashrrev_i32_e32 v237, 31, v236
	s_delay_alu instid0(VALU_DEP_1) | instskip(SKIP_1) | instid1(VALU_DEP_1)
	v_lshlrev_b64 v[212:213], 2, v[236:237]
	s_waitcnt vmcnt(0)
	v_add_co_u32 v212, vcc_lo, v10, v212
	s_delay_alu instid0(VALU_DEP_2)
	v_add_co_ci_u32_e32 v213, vcc_lo, v11, v213, vcc_lo
	s_clause 0x1
	flat_load_b32 v214, v[212:213]
	flat_load_b32 v215, v[10:11] offset:112
	s_waitcnt vmcnt(1) lgkmcnt(1)
	flat_store_b32 v[10:11], v214 offset:112
	s_waitcnt vmcnt(0) lgkmcnt(1)
	flat_store_b32 v[212:213], v215
.LBB112_602:
	s_or_b32 exec_lo, exec_lo, s4
	v_mov_b32_e32 v244, v236
	v_mov_b32_e32 v243, v236
.LBB112_603:
	s_or_b32 exec_lo, exec_lo, s3
.LBB112_604:
	s_and_not1_saveexec_b32 s2, s2
	s_cbranch_execz .LBB112_606
; %bb.605:
	v_mov_b32_e32 v244, 28
	ds_store_2addr_b64 v238, v[108:109], v[110:111] offset0:58 offset1:59
	ds_store_2addr_b64 v238, v[104:105], v[106:107] offset0:60 offset1:61
	;; [unrolled: 1-line block ×28, first 2 shown]
.LBB112_606:
	s_or_b32 exec_lo, exec_lo, s2
	s_delay_alu instid0(SALU_CYCLE_1)
	s_mov_b32 s2, exec_lo
	s_waitcnt lgkmcnt(0)
	s_waitcnt_vscnt null, 0x0
	s_barrier
	buffer_gl0_inv
	v_cmpx_lt_i32_e32 28, v244
	s_cbranch_execz .LBB112_608
; %bb.607:
	v_mul_f64 v[212:213], v[230:231], v[114:115]
	v_mul_f64 v[114:115], v[228:229], v[114:115]
	s_delay_alu instid0(VALU_DEP_2) | instskip(NEXT) | instid1(VALU_DEP_2)
	v_fma_f64 v[236:237], v[228:229], v[112:113], -v[212:213]
	v_fma_f64 v[114:115], v[230:231], v[112:113], v[114:115]
	ds_load_2addr_b64 v[228:231], v238 offset0:58 offset1:59
	s_waitcnt lgkmcnt(0)
	v_mul_f64 v[112:113], v[230:231], v[114:115]
	v_mul_f64 v[212:213], v[228:229], v[114:115]
	s_delay_alu instid0(VALU_DEP_2) | instskip(NEXT) | instid1(VALU_DEP_2)
	v_fma_f64 v[112:113], v[228:229], v[236:237], -v[112:113]
	v_fma_f64 v[212:213], v[230:231], v[236:237], v[212:213]
	ds_load_2addr_b64 v[228:231], v238 offset0:60 offset1:61
	v_add_f64 v[108:109], v[108:109], -v[112:113]
	v_add_f64 v[110:111], v[110:111], -v[212:213]
	s_waitcnt lgkmcnt(0)
	v_mul_f64 v[112:113], v[230:231], v[114:115]
	v_mul_f64 v[212:213], v[228:229], v[114:115]
	s_delay_alu instid0(VALU_DEP_2) | instskip(NEXT) | instid1(VALU_DEP_2)
	v_fma_f64 v[112:113], v[228:229], v[236:237], -v[112:113]
	v_fma_f64 v[212:213], v[230:231], v[236:237], v[212:213]
	ds_load_2addr_b64 v[228:231], v238 offset0:62 offset1:63
	v_add_f64 v[104:105], v[104:105], -v[112:113]
	v_add_f64 v[106:107], v[106:107], -v[212:213]
	;; [unrolled: 9-line block ×27, first 2 shown]
	s_waitcnt lgkmcnt(0)
	v_mul_f64 v[112:113], v[230:231], v[114:115]
	v_mul_f64 v[212:213], v[228:229], v[114:115]
	s_delay_alu instid0(VALU_DEP_2) | instskip(NEXT) | instid1(VALU_DEP_2)
	v_fma_f64 v[112:113], v[228:229], v[236:237], -v[112:113]
	v_fma_f64 v[212:213], v[230:231], v[236:237], v[212:213]
	s_delay_alu instid0(VALU_DEP_2) | instskip(NEXT) | instid1(VALU_DEP_2)
	v_add_f64 v[0:1], v[0:1], -v[112:113]
	v_add_f64 v[2:3], v[2:3], -v[212:213]
	v_dual_mov_b32 v112, v236 :: v_dual_mov_b32 v113, v237
.LBB112_608:
	s_or_b32 exec_lo, exec_lo, s2
	v_lshl_add_u32 v212, v244, 4, v238
	s_barrier
	buffer_gl0_inv
	v_mov_b32_e32 v236, 29
	ds_store_2addr_b64 v212, v[108:109], v[110:111] offset1:1
	s_waitcnt lgkmcnt(0)
	s_barrier
	buffer_gl0_inv
	ds_load_2addr_b64 v[228:231], v238 offset0:58 offset1:59
	s_cmp_lt_i32 s12, 31
	s_cbranch_scc1 .LBB112_611
; %bb.609:
	v_add3_u32 v237, v242, 0, 0x1e0
	v_mov_b32_e32 v236, 29
	s_mov_b32 s2, 30
	s_set_inst_prefetch_distance 0x1
	.p2align	6
.LBB112_610:                            ; =>This Inner Loop Header: Depth=1
	s_waitcnt lgkmcnt(0)
	v_cmp_gt_f64_e32 vcc_lo, 0, v[228:229]
	v_xor_b32_e32 v212, 0x80000000, v229
	v_xor_b32_e32 v214, 0x80000000, v231
	ds_load_2addr_b64 v[245:248], v237 offset1:1
	v_add_nc_u32_e32 v237, 16, v237
	s_waitcnt lgkmcnt(0)
	v_xor_b32_e32 v216, 0x80000000, v248
	v_cndmask_b32_e32 v213, v229, v212, vcc_lo
	v_cndmask_b32_e32 v212, v228, v228, vcc_lo
	v_cmp_gt_f64_e32 vcc_lo, 0, v[230:231]
	v_cndmask_b32_e32 v215, v231, v214, vcc_lo
	v_cndmask_b32_e32 v214, v230, v230, vcc_lo
	v_cmp_gt_f64_e32 vcc_lo, 0, v[245:246]
	s_delay_alu instid0(VALU_DEP_2) | instskip(SKIP_1) | instid1(VALU_DEP_1)
	v_add_f64 v[212:213], v[212:213], v[214:215]
	v_xor_b32_e32 v214, 0x80000000, v246
	v_dual_cndmask_b32 v215, v246, v214 :: v_dual_mov_b32 v214, v245
	v_cmp_gt_f64_e32 vcc_lo, 0, v[247:248]
	v_dual_cndmask_b32 v217, v248, v216 :: v_dual_mov_b32 v216, v247
	s_delay_alu instid0(VALU_DEP_1) | instskip(NEXT) | instid1(VALU_DEP_1)
	v_add_f64 v[214:215], v[214:215], v[216:217]
	v_cmp_lt_f64_e32 vcc_lo, v[212:213], v[214:215]
	v_dual_cndmask_b32 v229, v229, v246 :: v_dual_cndmask_b32 v228, v228, v245
	v_dual_cndmask_b32 v231, v231, v248 :: v_dual_cndmask_b32 v230, v230, v247
	v_cndmask_b32_e64 v236, v236, s2, vcc_lo
	s_add_i32 s2, s2, 1
	s_delay_alu instid0(SALU_CYCLE_1)
	s_cmp_lg_u32 s12, s2
	s_cbranch_scc1 .LBB112_610
.LBB112_611:
	s_set_inst_prefetch_distance 0x2
	s_waitcnt lgkmcnt(0)
	v_cmp_eq_f64_e32 vcc_lo, 0, v[228:229]
	v_cmp_eq_f64_e64 s2, 0, v[230:231]
	s_delay_alu instid0(VALU_DEP_1) | instskip(NEXT) | instid1(SALU_CYCLE_1)
	s_and_b32 s2, vcc_lo, s2
	s_and_saveexec_b32 s3, s2
	s_delay_alu instid0(SALU_CYCLE_1)
	s_xor_b32 s2, exec_lo, s3
; %bb.612:
	v_cmp_ne_u32_e32 vcc_lo, 0, v241
	v_cndmask_b32_e32 v241, 30, v241, vcc_lo
; %bb.613:
	s_and_not1_saveexec_b32 s3, s2
	s_cbranch_execz .LBB112_619
; %bb.614:
	v_cmp_gt_f64_e32 vcc_lo, 0, v[228:229]
	v_cmp_gt_f64_e64 s2, 0, v[230:231]
	v_xor_b32_e32 v212, 0x80000000, v229
	v_xor_b32_e32 v214, 0x80000000, v231
	s_delay_alu instid0(VALU_DEP_2) | instskip(NEXT) | instid1(VALU_DEP_2)
	v_cndmask_b32_e32 v213, v229, v212, vcc_lo
	v_cndmask_b32_e64 v215, v231, v214, s2
	v_cndmask_b32_e32 v212, v228, v228, vcc_lo
	v_cndmask_b32_e64 v214, v230, v230, s2
	s_mov_b32 s2, exec_lo
	s_delay_alu instid0(VALU_DEP_1)
	v_cmpx_ngt_f64_e32 v[212:213], v[214:215]
	s_xor_b32 s2, exec_lo, s2
	s_cbranch_execz .LBB112_616
; %bb.615:
	v_div_scale_f64 v[212:213], null, v[230:231], v[230:231], v[228:229]
	v_div_scale_f64 v[218:219], vcc_lo, v[228:229], v[230:231], v[228:229]
	s_delay_alu instid0(VALU_DEP_2) | instskip(SKIP_2) | instid1(VALU_DEP_1)
	v_rcp_f64_e32 v[214:215], v[212:213]
	s_waitcnt_depctr 0xfff
	v_fma_f64 v[216:217], -v[212:213], v[214:215], 1.0
	v_fma_f64 v[214:215], v[214:215], v[216:217], v[214:215]
	s_delay_alu instid0(VALU_DEP_1) | instskip(NEXT) | instid1(VALU_DEP_1)
	v_fma_f64 v[216:217], -v[212:213], v[214:215], 1.0
	v_fma_f64 v[214:215], v[214:215], v[216:217], v[214:215]
	s_delay_alu instid0(VALU_DEP_1) | instskip(NEXT) | instid1(VALU_DEP_1)
	v_mul_f64 v[216:217], v[218:219], v[214:215]
	v_fma_f64 v[212:213], -v[212:213], v[216:217], v[218:219]
	s_delay_alu instid0(VALU_DEP_1) | instskip(NEXT) | instid1(VALU_DEP_1)
	v_div_fmas_f64 v[212:213], v[212:213], v[214:215], v[216:217]
	v_div_fixup_f64 v[212:213], v[212:213], v[230:231], v[228:229]
	s_delay_alu instid0(VALU_DEP_1) | instskip(NEXT) | instid1(VALU_DEP_1)
	v_fma_f64 v[214:215], v[228:229], v[212:213], v[230:231]
	v_div_scale_f64 v[216:217], null, v[214:215], v[214:215], 1.0
	s_delay_alu instid0(VALU_DEP_1) | instskip(SKIP_2) | instid1(VALU_DEP_1)
	v_rcp_f64_e32 v[218:219], v[216:217]
	s_waitcnt_depctr 0xfff
	v_fma_f64 v[220:221], -v[216:217], v[218:219], 1.0
	v_fma_f64 v[218:219], v[218:219], v[220:221], v[218:219]
	s_delay_alu instid0(VALU_DEP_1) | instskip(NEXT) | instid1(VALU_DEP_1)
	v_fma_f64 v[220:221], -v[216:217], v[218:219], 1.0
	v_fma_f64 v[218:219], v[218:219], v[220:221], v[218:219]
	v_div_scale_f64 v[220:221], vcc_lo, 1.0, v[214:215], 1.0
	s_delay_alu instid0(VALU_DEP_1) | instskip(NEXT) | instid1(VALU_DEP_1)
	v_mul_f64 v[222:223], v[220:221], v[218:219]
	v_fma_f64 v[216:217], -v[216:217], v[222:223], v[220:221]
	s_delay_alu instid0(VALU_DEP_1) | instskip(NEXT) | instid1(VALU_DEP_1)
	v_div_fmas_f64 v[216:217], v[216:217], v[218:219], v[222:223]
	v_div_fixup_f64 v[230:231], v[216:217], v[214:215], 1.0
	s_delay_alu instid0(VALU_DEP_1)
	v_mul_f64 v[228:229], v[212:213], v[230:231]
	v_xor_b32_e32 v231, 0x80000000, v231
.LBB112_616:
	s_and_not1_saveexec_b32 s2, s2
	s_cbranch_execz .LBB112_618
; %bb.617:
	s_delay_alu instid0(VALU_DEP_1) | instskip(SKIP_1) | instid1(VALU_DEP_2)
	v_div_scale_f64 v[212:213], null, v[228:229], v[228:229], v[230:231]
	v_div_scale_f64 v[218:219], vcc_lo, v[230:231], v[228:229], v[230:231]
	v_rcp_f64_e32 v[214:215], v[212:213]
	s_waitcnt_depctr 0xfff
	v_fma_f64 v[216:217], -v[212:213], v[214:215], 1.0
	s_delay_alu instid0(VALU_DEP_1) | instskip(NEXT) | instid1(VALU_DEP_1)
	v_fma_f64 v[214:215], v[214:215], v[216:217], v[214:215]
	v_fma_f64 v[216:217], -v[212:213], v[214:215], 1.0
	s_delay_alu instid0(VALU_DEP_1) | instskip(NEXT) | instid1(VALU_DEP_1)
	v_fma_f64 v[214:215], v[214:215], v[216:217], v[214:215]
	v_mul_f64 v[216:217], v[218:219], v[214:215]
	s_delay_alu instid0(VALU_DEP_1) | instskip(NEXT) | instid1(VALU_DEP_1)
	v_fma_f64 v[212:213], -v[212:213], v[216:217], v[218:219]
	v_div_fmas_f64 v[212:213], v[212:213], v[214:215], v[216:217]
	s_delay_alu instid0(VALU_DEP_1) | instskip(NEXT) | instid1(VALU_DEP_1)
	v_div_fixup_f64 v[212:213], v[212:213], v[228:229], v[230:231]
	v_fma_f64 v[214:215], v[230:231], v[212:213], v[228:229]
	s_delay_alu instid0(VALU_DEP_1) | instskip(NEXT) | instid1(VALU_DEP_1)
	v_div_scale_f64 v[216:217], null, v[214:215], v[214:215], 1.0
	v_rcp_f64_e32 v[218:219], v[216:217]
	s_waitcnt_depctr 0xfff
	v_fma_f64 v[220:221], -v[216:217], v[218:219], 1.0
	s_delay_alu instid0(VALU_DEP_1) | instskip(NEXT) | instid1(VALU_DEP_1)
	v_fma_f64 v[218:219], v[218:219], v[220:221], v[218:219]
	v_fma_f64 v[220:221], -v[216:217], v[218:219], 1.0
	s_delay_alu instid0(VALU_DEP_1) | instskip(SKIP_1) | instid1(VALU_DEP_1)
	v_fma_f64 v[218:219], v[218:219], v[220:221], v[218:219]
	v_div_scale_f64 v[220:221], vcc_lo, 1.0, v[214:215], 1.0
	v_mul_f64 v[222:223], v[220:221], v[218:219]
	s_delay_alu instid0(VALU_DEP_1) | instskip(NEXT) | instid1(VALU_DEP_1)
	v_fma_f64 v[216:217], -v[216:217], v[222:223], v[220:221]
	v_div_fmas_f64 v[216:217], v[216:217], v[218:219], v[222:223]
	s_delay_alu instid0(VALU_DEP_1) | instskip(NEXT) | instid1(VALU_DEP_1)
	v_div_fixup_f64 v[228:229], v[216:217], v[214:215], 1.0
	v_mul_f64 v[230:231], v[212:213], -v[228:229]
.LBB112_618:
	s_or_b32 exec_lo, exec_lo, s2
.LBB112_619:
	s_delay_alu instid0(SALU_CYCLE_1) | instskip(NEXT) | instid1(SALU_CYCLE_1)
	s_or_b32 exec_lo, exec_lo, s3
	s_mov_b32 s2, exec_lo
	v_cmpx_ne_u32_e64 v244, v236
	s_xor_b32 s2, exec_lo, s2
	s_cbranch_execz .LBB112_625
; %bb.620:
	s_mov_b32 s3, exec_lo
	v_cmpx_eq_u32_e32 29, v244
	s_cbranch_execz .LBB112_624
; %bb.621:
	v_cmp_ne_u32_e32 vcc_lo, 29, v236
	s_xor_b32 s4, s5, -1
	s_delay_alu instid0(SALU_CYCLE_1) | instskip(NEXT) | instid1(SALU_CYCLE_1)
	s_and_b32 s6, s4, vcc_lo
	s_and_saveexec_b32 s4, s6
	s_cbranch_execz .LBB112_623
; %bb.622:
	scratch_load_b64 v[10:11], off, off     ; 8-byte Folded Reload
	v_ashrrev_i32_e32 v237, 31, v236
	s_delay_alu instid0(VALU_DEP_1) | instskip(SKIP_1) | instid1(VALU_DEP_1)
	v_lshlrev_b64 v[212:213], 2, v[236:237]
	s_waitcnt vmcnt(0)
	v_add_co_u32 v212, vcc_lo, v10, v212
	s_delay_alu instid0(VALU_DEP_2)
	v_add_co_ci_u32_e32 v213, vcc_lo, v11, v213, vcc_lo
	s_clause 0x1
	flat_load_b32 v214, v[212:213]
	flat_load_b32 v215, v[10:11] offset:116
	s_waitcnt vmcnt(1) lgkmcnt(1)
	flat_store_b32 v[10:11], v214 offset:116
	s_waitcnt vmcnt(0) lgkmcnt(1)
	flat_store_b32 v[212:213], v215
.LBB112_623:
	s_or_b32 exec_lo, exec_lo, s4
	v_mov_b32_e32 v244, v236
	v_mov_b32_e32 v243, v236
.LBB112_624:
	s_or_b32 exec_lo, exec_lo, s3
.LBB112_625:
	s_and_not1_saveexec_b32 s2, s2
	s_cbranch_execz .LBB112_627
; %bb.626:
	v_mov_b32_e32 v244, 29
	ds_store_2addr_b64 v238, v[104:105], v[106:107] offset0:60 offset1:61
	ds_store_2addr_b64 v238, v[100:101], v[102:103] offset0:62 offset1:63
	;; [unrolled: 1-line block ×27, first 2 shown]
.LBB112_627:
	s_or_b32 exec_lo, exec_lo, s2
	s_delay_alu instid0(SALU_CYCLE_1)
	s_mov_b32 s2, exec_lo
	s_waitcnt lgkmcnt(0)
	s_waitcnt_vscnt null, 0x0
	s_barrier
	buffer_gl0_inv
	v_cmpx_lt_i32_e32 29, v244
	s_cbranch_execz .LBB112_629
; %bb.628:
	v_mul_f64 v[212:213], v[230:231], v[110:111]
	v_mul_f64 v[110:111], v[228:229], v[110:111]
	s_delay_alu instid0(VALU_DEP_2) | instskip(NEXT) | instid1(VALU_DEP_2)
	v_fma_f64 v[236:237], v[228:229], v[108:109], -v[212:213]
	v_fma_f64 v[110:111], v[230:231], v[108:109], v[110:111]
	ds_load_2addr_b64 v[228:231], v238 offset0:60 offset1:61
	s_waitcnt lgkmcnt(0)
	v_mul_f64 v[108:109], v[230:231], v[110:111]
	v_mul_f64 v[212:213], v[228:229], v[110:111]
	s_delay_alu instid0(VALU_DEP_2) | instskip(NEXT) | instid1(VALU_DEP_2)
	v_fma_f64 v[108:109], v[228:229], v[236:237], -v[108:109]
	v_fma_f64 v[212:213], v[230:231], v[236:237], v[212:213]
	ds_load_2addr_b64 v[228:231], v238 offset0:62 offset1:63
	v_add_f64 v[104:105], v[104:105], -v[108:109]
	v_add_f64 v[106:107], v[106:107], -v[212:213]
	s_waitcnt lgkmcnt(0)
	v_mul_f64 v[108:109], v[230:231], v[110:111]
	v_mul_f64 v[212:213], v[228:229], v[110:111]
	s_delay_alu instid0(VALU_DEP_2) | instskip(NEXT) | instid1(VALU_DEP_2)
	v_fma_f64 v[108:109], v[228:229], v[236:237], -v[108:109]
	v_fma_f64 v[212:213], v[230:231], v[236:237], v[212:213]
	ds_load_2addr_b64 v[228:231], v238 offset0:64 offset1:65
	v_add_f64 v[100:101], v[100:101], -v[108:109]
	v_add_f64 v[102:103], v[102:103], -v[212:213]
	;; [unrolled: 9-line block ×26, first 2 shown]
	s_waitcnt lgkmcnt(0)
	v_mul_f64 v[108:109], v[230:231], v[110:111]
	v_mul_f64 v[212:213], v[228:229], v[110:111]
	s_delay_alu instid0(VALU_DEP_2) | instskip(NEXT) | instid1(VALU_DEP_2)
	v_fma_f64 v[108:109], v[228:229], v[236:237], -v[108:109]
	v_fma_f64 v[212:213], v[230:231], v[236:237], v[212:213]
	s_delay_alu instid0(VALU_DEP_2) | instskip(NEXT) | instid1(VALU_DEP_2)
	v_add_f64 v[0:1], v[0:1], -v[108:109]
	v_add_f64 v[2:3], v[2:3], -v[212:213]
	v_dual_mov_b32 v108, v236 :: v_dual_mov_b32 v109, v237
.LBB112_629:
	s_or_b32 exec_lo, exec_lo, s2
	v_lshl_add_u32 v212, v244, 4, v238
	s_barrier
	buffer_gl0_inv
	v_mov_b32_e32 v236, 30
	ds_store_2addr_b64 v212, v[104:105], v[106:107] offset1:1
	s_waitcnt lgkmcnt(0)
	s_barrier
	buffer_gl0_inv
	ds_load_2addr_b64 v[228:231], v238 offset0:60 offset1:61
	s_cmp_lt_i32 s12, 32
	s_cbranch_scc1 .LBB112_632
; %bb.630:
	v_add3_u32 v237, v242, 0, 0x1f0
	v_mov_b32_e32 v236, 30
	s_mov_b32 s2, 31
	s_set_inst_prefetch_distance 0x1
	.p2align	6
.LBB112_631:                            ; =>This Inner Loop Header: Depth=1
	s_waitcnt lgkmcnt(0)
	v_cmp_gt_f64_e32 vcc_lo, 0, v[228:229]
	v_xor_b32_e32 v212, 0x80000000, v229
	v_xor_b32_e32 v214, 0x80000000, v231
	ds_load_2addr_b64 v[245:248], v237 offset1:1
	v_add_nc_u32_e32 v237, 16, v237
	s_waitcnt lgkmcnt(0)
	v_xor_b32_e32 v216, 0x80000000, v248
	v_cndmask_b32_e32 v213, v229, v212, vcc_lo
	v_cndmask_b32_e32 v212, v228, v228, vcc_lo
	v_cmp_gt_f64_e32 vcc_lo, 0, v[230:231]
	v_cndmask_b32_e32 v215, v231, v214, vcc_lo
	v_cndmask_b32_e32 v214, v230, v230, vcc_lo
	v_cmp_gt_f64_e32 vcc_lo, 0, v[245:246]
	s_delay_alu instid0(VALU_DEP_2) | instskip(SKIP_1) | instid1(VALU_DEP_1)
	v_add_f64 v[212:213], v[212:213], v[214:215]
	v_xor_b32_e32 v214, 0x80000000, v246
	v_dual_cndmask_b32 v215, v246, v214 :: v_dual_mov_b32 v214, v245
	v_cmp_gt_f64_e32 vcc_lo, 0, v[247:248]
	v_dual_cndmask_b32 v217, v248, v216 :: v_dual_mov_b32 v216, v247
	s_delay_alu instid0(VALU_DEP_1) | instskip(NEXT) | instid1(VALU_DEP_1)
	v_add_f64 v[214:215], v[214:215], v[216:217]
	v_cmp_lt_f64_e32 vcc_lo, v[212:213], v[214:215]
	v_dual_cndmask_b32 v229, v229, v246 :: v_dual_cndmask_b32 v228, v228, v245
	v_dual_cndmask_b32 v231, v231, v248 :: v_dual_cndmask_b32 v230, v230, v247
	v_cndmask_b32_e64 v236, v236, s2, vcc_lo
	s_add_i32 s2, s2, 1
	s_delay_alu instid0(SALU_CYCLE_1)
	s_cmp_lg_u32 s12, s2
	s_cbranch_scc1 .LBB112_631
.LBB112_632:
	s_set_inst_prefetch_distance 0x2
	s_waitcnt lgkmcnt(0)
	v_cmp_eq_f64_e32 vcc_lo, 0, v[228:229]
	v_cmp_eq_f64_e64 s2, 0, v[230:231]
	s_delay_alu instid0(VALU_DEP_1) | instskip(NEXT) | instid1(SALU_CYCLE_1)
	s_and_b32 s2, vcc_lo, s2
	s_and_saveexec_b32 s3, s2
	s_delay_alu instid0(SALU_CYCLE_1)
	s_xor_b32 s2, exec_lo, s3
; %bb.633:
	v_cmp_ne_u32_e32 vcc_lo, 0, v241
	v_cndmask_b32_e32 v241, 31, v241, vcc_lo
; %bb.634:
	s_and_not1_saveexec_b32 s3, s2
	s_cbranch_execz .LBB112_640
; %bb.635:
	v_cmp_gt_f64_e32 vcc_lo, 0, v[228:229]
	v_cmp_gt_f64_e64 s2, 0, v[230:231]
	v_xor_b32_e32 v212, 0x80000000, v229
	v_xor_b32_e32 v214, 0x80000000, v231
	s_delay_alu instid0(VALU_DEP_2) | instskip(NEXT) | instid1(VALU_DEP_2)
	v_cndmask_b32_e32 v213, v229, v212, vcc_lo
	v_cndmask_b32_e64 v215, v231, v214, s2
	v_cndmask_b32_e32 v212, v228, v228, vcc_lo
	v_cndmask_b32_e64 v214, v230, v230, s2
	s_mov_b32 s2, exec_lo
	s_delay_alu instid0(VALU_DEP_1)
	v_cmpx_ngt_f64_e32 v[212:213], v[214:215]
	s_xor_b32 s2, exec_lo, s2
	s_cbranch_execz .LBB112_637
; %bb.636:
	v_div_scale_f64 v[212:213], null, v[230:231], v[230:231], v[228:229]
	v_div_scale_f64 v[218:219], vcc_lo, v[228:229], v[230:231], v[228:229]
	s_delay_alu instid0(VALU_DEP_2) | instskip(SKIP_2) | instid1(VALU_DEP_1)
	v_rcp_f64_e32 v[214:215], v[212:213]
	s_waitcnt_depctr 0xfff
	v_fma_f64 v[216:217], -v[212:213], v[214:215], 1.0
	v_fma_f64 v[214:215], v[214:215], v[216:217], v[214:215]
	s_delay_alu instid0(VALU_DEP_1) | instskip(NEXT) | instid1(VALU_DEP_1)
	v_fma_f64 v[216:217], -v[212:213], v[214:215], 1.0
	v_fma_f64 v[214:215], v[214:215], v[216:217], v[214:215]
	s_delay_alu instid0(VALU_DEP_1) | instskip(NEXT) | instid1(VALU_DEP_1)
	v_mul_f64 v[216:217], v[218:219], v[214:215]
	v_fma_f64 v[212:213], -v[212:213], v[216:217], v[218:219]
	s_delay_alu instid0(VALU_DEP_1) | instskip(NEXT) | instid1(VALU_DEP_1)
	v_div_fmas_f64 v[212:213], v[212:213], v[214:215], v[216:217]
	v_div_fixup_f64 v[212:213], v[212:213], v[230:231], v[228:229]
	s_delay_alu instid0(VALU_DEP_1) | instskip(NEXT) | instid1(VALU_DEP_1)
	v_fma_f64 v[214:215], v[228:229], v[212:213], v[230:231]
	v_div_scale_f64 v[216:217], null, v[214:215], v[214:215], 1.0
	s_delay_alu instid0(VALU_DEP_1) | instskip(SKIP_2) | instid1(VALU_DEP_1)
	v_rcp_f64_e32 v[218:219], v[216:217]
	s_waitcnt_depctr 0xfff
	v_fma_f64 v[220:221], -v[216:217], v[218:219], 1.0
	v_fma_f64 v[218:219], v[218:219], v[220:221], v[218:219]
	s_delay_alu instid0(VALU_DEP_1) | instskip(NEXT) | instid1(VALU_DEP_1)
	v_fma_f64 v[220:221], -v[216:217], v[218:219], 1.0
	v_fma_f64 v[218:219], v[218:219], v[220:221], v[218:219]
	v_div_scale_f64 v[220:221], vcc_lo, 1.0, v[214:215], 1.0
	s_delay_alu instid0(VALU_DEP_1) | instskip(NEXT) | instid1(VALU_DEP_1)
	v_mul_f64 v[222:223], v[220:221], v[218:219]
	v_fma_f64 v[216:217], -v[216:217], v[222:223], v[220:221]
	s_delay_alu instid0(VALU_DEP_1) | instskip(NEXT) | instid1(VALU_DEP_1)
	v_div_fmas_f64 v[216:217], v[216:217], v[218:219], v[222:223]
	v_div_fixup_f64 v[230:231], v[216:217], v[214:215], 1.0
	s_delay_alu instid0(VALU_DEP_1)
	v_mul_f64 v[228:229], v[212:213], v[230:231]
	v_xor_b32_e32 v231, 0x80000000, v231
.LBB112_637:
	s_and_not1_saveexec_b32 s2, s2
	s_cbranch_execz .LBB112_639
; %bb.638:
	s_delay_alu instid0(VALU_DEP_1) | instskip(SKIP_1) | instid1(VALU_DEP_2)
	v_div_scale_f64 v[212:213], null, v[228:229], v[228:229], v[230:231]
	v_div_scale_f64 v[218:219], vcc_lo, v[230:231], v[228:229], v[230:231]
	v_rcp_f64_e32 v[214:215], v[212:213]
	s_waitcnt_depctr 0xfff
	v_fma_f64 v[216:217], -v[212:213], v[214:215], 1.0
	s_delay_alu instid0(VALU_DEP_1) | instskip(NEXT) | instid1(VALU_DEP_1)
	v_fma_f64 v[214:215], v[214:215], v[216:217], v[214:215]
	v_fma_f64 v[216:217], -v[212:213], v[214:215], 1.0
	s_delay_alu instid0(VALU_DEP_1) | instskip(NEXT) | instid1(VALU_DEP_1)
	v_fma_f64 v[214:215], v[214:215], v[216:217], v[214:215]
	v_mul_f64 v[216:217], v[218:219], v[214:215]
	s_delay_alu instid0(VALU_DEP_1) | instskip(NEXT) | instid1(VALU_DEP_1)
	v_fma_f64 v[212:213], -v[212:213], v[216:217], v[218:219]
	v_div_fmas_f64 v[212:213], v[212:213], v[214:215], v[216:217]
	s_delay_alu instid0(VALU_DEP_1) | instskip(NEXT) | instid1(VALU_DEP_1)
	v_div_fixup_f64 v[212:213], v[212:213], v[228:229], v[230:231]
	v_fma_f64 v[214:215], v[230:231], v[212:213], v[228:229]
	s_delay_alu instid0(VALU_DEP_1) | instskip(NEXT) | instid1(VALU_DEP_1)
	v_div_scale_f64 v[216:217], null, v[214:215], v[214:215], 1.0
	v_rcp_f64_e32 v[218:219], v[216:217]
	s_waitcnt_depctr 0xfff
	v_fma_f64 v[220:221], -v[216:217], v[218:219], 1.0
	s_delay_alu instid0(VALU_DEP_1) | instskip(NEXT) | instid1(VALU_DEP_1)
	v_fma_f64 v[218:219], v[218:219], v[220:221], v[218:219]
	v_fma_f64 v[220:221], -v[216:217], v[218:219], 1.0
	s_delay_alu instid0(VALU_DEP_1) | instskip(SKIP_1) | instid1(VALU_DEP_1)
	v_fma_f64 v[218:219], v[218:219], v[220:221], v[218:219]
	v_div_scale_f64 v[220:221], vcc_lo, 1.0, v[214:215], 1.0
	v_mul_f64 v[222:223], v[220:221], v[218:219]
	s_delay_alu instid0(VALU_DEP_1) | instskip(NEXT) | instid1(VALU_DEP_1)
	v_fma_f64 v[216:217], -v[216:217], v[222:223], v[220:221]
	v_div_fmas_f64 v[216:217], v[216:217], v[218:219], v[222:223]
	s_delay_alu instid0(VALU_DEP_1) | instskip(NEXT) | instid1(VALU_DEP_1)
	v_div_fixup_f64 v[228:229], v[216:217], v[214:215], 1.0
	v_mul_f64 v[230:231], v[212:213], -v[228:229]
.LBB112_639:
	s_or_b32 exec_lo, exec_lo, s2
.LBB112_640:
	s_delay_alu instid0(SALU_CYCLE_1) | instskip(NEXT) | instid1(SALU_CYCLE_1)
	s_or_b32 exec_lo, exec_lo, s3
	s_mov_b32 s2, exec_lo
	v_cmpx_ne_u32_e64 v244, v236
	s_xor_b32 s2, exec_lo, s2
	s_cbranch_execz .LBB112_646
; %bb.641:
	s_mov_b32 s3, exec_lo
	v_cmpx_eq_u32_e32 30, v244
	s_cbranch_execz .LBB112_645
; %bb.642:
	v_cmp_ne_u32_e32 vcc_lo, 30, v236
	s_xor_b32 s4, s5, -1
	s_delay_alu instid0(SALU_CYCLE_1) | instskip(NEXT) | instid1(SALU_CYCLE_1)
	s_and_b32 s6, s4, vcc_lo
	s_and_saveexec_b32 s4, s6
	s_cbranch_execz .LBB112_644
; %bb.643:
	scratch_load_b64 v[10:11], off, off     ; 8-byte Folded Reload
	v_ashrrev_i32_e32 v237, 31, v236
	s_delay_alu instid0(VALU_DEP_1) | instskip(SKIP_1) | instid1(VALU_DEP_1)
	v_lshlrev_b64 v[212:213], 2, v[236:237]
	s_waitcnt vmcnt(0)
	v_add_co_u32 v212, vcc_lo, v10, v212
	s_delay_alu instid0(VALU_DEP_2)
	v_add_co_ci_u32_e32 v213, vcc_lo, v11, v213, vcc_lo
	s_clause 0x1
	flat_load_b32 v214, v[212:213]
	flat_load_b32 v215, v[10:11] offset:120
	s_waitcnt vmcnt(1) lgkmcnt(1)
	flat_store_b32 v[10:11], v214 offset:120
	s_waitcnt vmcnt(0) lgkmcnt(1)
	flat_store_b32 v[212:213], v215
.LBB112_644:
	s_or_b32 exec_lo, exec_lo, s4
	v_mov_b32_e32 v244, v236
	v_mov_b32_e32 v243, v236
.LBB112_645:
	s_or_b32 exec_lo, exec_lo, s3
.LBB112_646:
	s_and_not1_saveexec_b32 s2, s2
	s_cbranch_execz .LBB112_648
; %bb.647:
	v_mov_b32_e32 v244, 30
	ds_store_2addr_b64 v238, v[100:101], v[102:103] offset0:62 offset1:63
	ds_store_2addr_b64 v238, v[96:97], v[98:99] offset0:64 offset1:65
	;; [unrolled: 1-line block ×26, first 2 shown]
.LBB112_648:
	s_or_b32 exec_lo, exec_lo, s2
	s_delay_alu instid0(SALU_CYCLE_1)
	s_mov_b32 s2, exec_lo
	s_waitcnt lgkmcnt(0)
	s_waitcnt_vscnt null, 0x0
	s_barrier
	buffer_gl0_inv
	v_cmpx_lt_i32_e32 30, v244
	s_cbranch_execz .LBB112_650
; %bb.649:
	v_mul_f64 v[212:213], v[230:231], v[106:107]
	v_mul_f64 v[106:107], v[228:229], v[106:107]
	s_delay_alu instid0(VALU_DEP_2) | instskip(NEXT) | instid1(VALU_DEP_2)
	v_fma_f64 v[236:237], v[228:229], v[104:105], -v[212:213]
	v_fma_f64 v[106:107], v[230:231], v[104:105], v[106:107]
	ds_load_2addr_b64 v[228:231], v238 offset0:62 offset1:63
	s_waitcnt lgkmcnt(0)
	v_mul_f64 v[104:105], v[230:231], v[106:107]
	v_mul_f64 v[212:213], v[228:229], v[106:107]
	s_delay_alu instid0(VALU_DEP_2) | instskip(NEXT) | instid1(VALU_DEP_2)
	v_fma_f64 v[104:105], v[228:229], v[236:237], -v[104:105]
	v_fma_f64 v[212:213], v[230:231], v[236:237], v[212:213]
	ds_load_2addr_b64 v[228:231], v238 offset0:64 offset1:65
	v_add_f64 v[100:101], v[100:101], -v[104:105]
	v_add_f64 v[102:103], v[102:103], -v[212:213]
	s_waitcnt lgkmcnt(0)
	v_mul_f64 v[104:105], v[230:231], v[106:107]
	v_mul_f64 v[212:213], v[228:229], v[106:107]
	s_delay_alu instid0(VALU_DEP_2) | instskip(NEXT) | instid1(VALU_DEP_2)
	v_fma_f64 v[104:105], v[228:229], v[236:237], -v[104:105]
	v_fma_f64 v[212:213], v[230:231], v[236:237], v[212:213]
	ds_load_2addr_b64 v[228:231], v238 offset0:66 offset1:67
	v_add_f64 v[96:97], v[96:97], -v[104:105]
	v_add_f64 v[98:99], v[98:99], -v[212:213]
	s_waitcnt lgkmcnt(0)
	v_mul_f64 v[104:105], v[230:231], v[106:107]
	v_mul_f64 v[212:213], v[228:229], v[106:107]
	s_delay_alu instid0(VALU_DEP_2) | instskip(NEXT) | instid1(VALU_DEP_2)
	v_fma_f64 v[104:105], v[228:229], v[236:237], -v[104:105]
	v_fma_f64 v[212:213], v[230:231], v[236:237], v[212:213]
	ds_load_2addr_b64 v[228:231], v238 offset0:68 offset1:69
	v_add_f64 v[92:93], v[92:93], -v[104:105]
	v_add_f64 v[94:95], v[94:95], -v[212:213]
	s_waitcnt lgkmcnt(0)
	v_mul_f64 v[104:105], v[230:231], v[106:107]
	v_mul_f64 v[212:213], v[228:229], v[106:107]
	s_delay_alu instid0(VALU_DEP_2) | instskip(NEXT) | instid1(VALU_DEP_2)
	v_fma_f64 v[104:105], v[228:229], v[236:237], -v[104:105]
	v_fma_f64 v[212:213], v[230:231], v[236:237], v[212:213]
	ds_load_2addr_b64 v[228:231], v238 offset0:70 offset1:71
	v_add_f64 v[88:89], v[88:89], -v[104:105]
	v_add_f64 v[90:91], v[90:91], -v[212:213]
	s_waitcnt lgkmcnt(0)
	v_mul_f64 v[104:105], v[230:231], v[106:107]
	v_mul_f64 v[212:213], v[228:229], v[106:107]
	s_delay_alu instid0(VALU_DEP_2) | instskip(NEXT) | instid1(VALU_DEP_2)
	v_fma_f64 v[104:105], v[228:229], v[236:237], -v[104:105]
	v_fma_f64 v[212:213], v[230:231], v[236:237], v[212:213]
	ds_load_2addr_b64 v[228:231], v238 offset0:72 offset1:73
	v_add_f64 v[84:85], v[84:85], -v[104:105]
	v_add_f64 v[86:87], v[86:87], -v[212:213]
	s_waitcnt lgkmcnt(0)
	v_mul_f64 v[104:105], v[230:231], v[106:107]
	v_mul_f64 v[212:213], v[228:229], v[106:107]
	s_delay_alu instid0(VALU_DEP_2) | instskip(NEXT) | instid1(VALU_DEP_2)
	v_fma_f64 v[104:105], v[228:229], v[236:237], -v[104:105]
	v_fma_f64 v[212:213], v[230:231], v[236:237], v[212:213]
	ds_load_2addr_b64 v[228:231], v238 offset0:74 offset1:75
	v_add_f64 v[80:81], v[80:81], -v[104:105]
	v_add_f64 v[82:83], v[82:83], -v[212:213]
	s_waitcnt lgkmcnt(0)
	v_mul_f64 v[104:105], v[230:231], v[106:107]
	v_mul_f64 v[212:213], v[228:229], v[106:107]
	s_delay_alu instid0(VALU_DEP_2) | instskip(NEXT) | instid1(VALU_DEP_2)
	v_fma_f64 v[104:105], v[228:229], v[236:237], -v[104:105]
	v_fma_f64 v[212:213], v[230:231], v[236:237], v[212:213]
	ds_load_2addr_b64 v[228:231], v238 offset0:76 offset1:77
	v_add_f64 v[76:77], v[76:77], -v[104:105]
	v_add_f64 v[78:79], v[78:79], -v[212:213]
	s_waitcnt lgkmcnt(0)
	v_mul_f64 v[104:105], v[230:231], v[106:107]
	v_mul_f64 v[212:213], v[228:229], v[106:107]
	s_delay_alu instid0(VALU_DEP_2) | instskip(NEXT) | instid1(VALU_DEP_2)
	v_fma_f64 v[104:105], v[228:229], v[236:237], -v[104:105]
	v_fma_f64 v[212:213], v[230:231], v[236:237], v[212:213]
	ds_load_2addr_b64 v[228:231], v238 offset0:78 offset1:79
	v_add_f64 v[72:73], v[72:73], -v[104:105]
	v_add_f64 v[74:75], v[74:75], -v[212:213]
	s_waitcnt lgkmcnt(0)
	v_mul_f64 v[104:105], v[230:231], v[106:107]
	v_mul_f64 v[212:213], v[228:229], v[106:107]
	s_delay_alu instid0(VALU_DEP_2) | instskip(NEXT) | instid1(VALU_DEP_2)
	v_fma_f64 v[104:105], v[228:229], v[236:237], -v[104:105]
	v_fma_f64 v[212:213], v[230:231], v[236:237], v[212:213]
	ds_load_2addr_b64 v[228:231], v238 offset0:80 offset1:81
	v_add_f64 v[68:69], v[68:69], -v[104:105]
	v_add_f64 v[70:71], v[70:71], -v[212:213]
	s_waitcnt lgkmcnt(0)
	v_mul_f64 v[104:105], v[230:231], v[106:107]
	v_mul_f64 v[212:213], v[228:229], v[106:107]
	s_delay_alu instid0(VALU_DEP_2) | instskip(NEXT) | instid1(VALU_DEP_2)
	v_fma_f64 v[104:105], v[228:229], v[236:237], -v[104:105]
	v_fma_f64 v[212:213], v[230:231], v[236:237], v[212:213]
	ds_load_2addr_b64 v[228:231], v238 offset0:82 offset1:83
	v_add_f64 v[64:65], v[64:65], -v[104:105]
	v_add_f64 v[66:67], v[66:67], -v[212:213]
	s_waitcnt lgkmcnt(0)
	v_mul_f64 v[104:105], v[230:231], v[106:107]
	v_mul_f64 v[212:213], v[228:229], v[106:107]
	s_delay_alu instid0(VALU_DEP_2) | instskip(NEXT) | instid1(VALU_DEP_2)
	v_fma_f64 v[104:105], v[228:229], v[236:237], -v[104:105]
	v_fma_f64 v[212:213], v[230:231], v[236:237], v[212:213]
	ds_load_2addr_b64 v[228:231], v238 offset0:84 offset1:85
	v_add_f64 v[60:61], v[60:61], -v[104:105]
	v_add_f64 v[62:63], v[62:63], -v[212:213]
	s_waitcnt lgkmcnt(0)
	v_mul_f64 v[104:105], v[230:231], v[106:107]
	v_mul_f64 v[212:213], v[228:229], v[106:107]
	s_delay_alu instid0(VALU_DEP_2) | instskip(NEXT) | instid1(VALU_DEP_2)
	v_fma_f64 v[104:105], v[228:229], v[236:237], -v[104:105]
	v_fma_f64 v[212:213], v[230:231], v[236:237], v[212:213]
	ds_load_2addr_b64 v[228:231], v238 offset0:86 offset1:87
	v_add_f64 v[56:57], v[56:57], -v[104:105]
	v_add_f64 v[58:59], v[58:59], -v[212:213]
	s_waitcnt lgkmcnt(0)
	v_mul_f64 v[104:105], v[230:231], v[106:107]
	v_mul_f64 v[212:213], v[228:229], v[106:107]
	s_delay_alu instid0(VALU_DEP_2) | instskip(NEXT) | instid1(VALU_DEP_2)
	v_fma_f64 v[104:105], v[228:229], v[236:237], -v[104:105]
	v_fma_f64 v[212:213], v[230:231], v[236:237], v[212:213]
	ds_load_2addr_b64 v[228:231], v238 offset0:88 offset1:89
	v_add_f64 v[52:53], v[52:53], -v[104:105]
	v_add_f64 v[54:55], v[54:55], -v[212:213]
	s_waitcnt lgkmcnt(0)
	v_mul_f64 v[104:105], v[230:231], v[106:107]
	v_mul_f64 v[212:213], v[228:229], v[106:107]
	s_delay_alu instid0(VALU_DEP_2) | instskip(NEXT) | instid1(VALU_DEP_2)
	v_fma_f64 v[104:105], v[228:229], v[236:237], -v[104:105]
	v_fma_f64 v[212:213], v[230:231], v[236:237], v[212:213]
	ds_load_2addr_b64 v[228:231], v238 offset0:90 offset1:91
	v_add_f64 v[48:49], v[48:49], -v[104:105]
	v_add_f64 v[50:51], v[50:51], -v[212:213]
	s_waitcnt lgkmcnt(0)
	v_mul_f64 v[104:105], v[230:231], v[106:107]
	v_mul_f64 v[212:213], v[228:229], v[106:107]
	s_delay_alu instid0(VALU_DEP_2) | instskip(NEXT) | instid1(VALU_DEP_2)
	v_fma_f64 v[104:105], v[228:229], v[236:237], -v[104:105]
	v_fma_f64 v[212:213], v[230:231], v[236:237], v[212:213]
	ds_load_2addr_b64 v[228:231], v238 offset0:92 offset1:93
	v_add_f64 v[44:45], v[44:45], -v[104:105]
	v_add_f64 v[46:47], v[46:47], -v[212:213]
	s_waitcnt lgkmcnt(0)
	v_mul_f64 v[104:105], v[230:231], v[106:107]
	v_mul_f64 v[212:213], v[228:229], v[106:107]
	s_delay_alu instid0(VALU_DEP_2) | instskip(NEXT) | instid1(VALU_DEP_2)
	v_fma_f64 v[104:105], v[228:229], v[236:237], -v[104:105]
	v_fma_f64 v[212:213], v[230:231], v[236:237], v[212:213]
	ds_load_2addr_b64 v[228:231], v238 offset0:94 offset1:95
	v_add_f64 v[40:41], v[40:41], -v[104:105]
	v_add_f64 v[42:43], v[42:43], -v[212:213]
	s_waitcnt lgkmcnt(0)
	v_mul_f64 v[104:105], v[230:231], v[106:107]
	v_mul_f64 v[212:213], v[228:229], v[106:107]
	s_delay_alu instid0(VALU_DEP_2) | instskip(NEXT) | instid1(VALU_DEP_2)
	v_fma_f64 v[104:105], v[228:229], v[236:237], -v[104:105]
	v_fma_f64 v[212:213], v[230:231], v[236:237], v[212:213]
	ds_load_2addr_b64 v[228:231], v238 offset0:96 offset1:97
	v_add_f64 v[36:37], v[36:37], -v[104:105]
	v_add_f64 v[38:39], v[38:39], -v[212:213]
	s_waitcnt lgkmcnt(0)
	v_mul_f64 v[104:105], v[230:231], v[106:107]
	v_mul_f64 v[212:213], v[228:229], v[106:107]
	s_delay_alu instid0(VALU_DEP_2) | instskip(NEXT) | instid1(VALU_DEP_2)
	v_fma_f64 v[104:105], v[228:229], v[236:237], -v[104:105]
	v_fma_f64 v[212:213], v[230:231], v[236:237], v[212:213]
	ds_load_2addr_b64 v[228:231], v238 offset0:98 offset1:99
	v_add_f64 v[32:33], v[32:33], -v[104:105]
	v_add_f64 v[34:35], v[34:35], -v[212:213]
	s_waitcnt lgkmcnt(0)
	v_mul_f64 v[104:105], v[230:231], v[106:107]
	v_mul_f64 v[212:213], v[228:229], v[106:107]
	s_delay_alu instid0(VALU_DEP_2) | instskip(NEXT) | instid1(VALU_DEP_2)
	v_fma_f64 v[104:105], v[228:229], v[236:237], -v[104:105]
	v_fma_f64 v[212:213], v[230:231], v[236:237], v[212:213]
	ds_load_2addr_b64 v[228:231], v238 offset0:100 offset1:101
	v_add_f64 v[28:29], v[28:29], -v[104:105]
	v_add_f64 v[30:31], v[30:31], -v[212:213]
	s_waitcnt lgkmcnt(0)
	v_mul_f64 v[104:105], v[230:231], v[106:107]
	v_mul_f64 v[212:213], v[228:229], v[106:107]
	s_delay_alu instid0(VALU_DEP_2) | instskip(NEXT) | instid1(VALU_DEP_2)
	v_fma_f64 v[104:105], v[228:229], v[236:237], -v[104:105]
	v_fma_f64 v[212:213], v[230:231], v[236:237], v[212:213]
	ds_load_2addr_b64 v[228:231], v238 offset0:102 offset1:103
	v_add_f64 v[24:25], v[24:25], -v[104:105]
	v_add_f64 v[26:27], v[26:27], -v[212:213]
	s_waitcnt lgkmcnt(0)
	v_mul_f64 v[104:105], v[230:231], v[106:107]
	v_mul_f64 v[212:213], v[228:229], v[106:107]
	s_delay_alu instid0(VALU_DEP_2) | instskip(NEXT) | instid1(VALU_DEP_2)
	v_fma_f64 v[104:105], v[228:229], v[236:237], -v[104:105]
	v_fma_f64 v[212:213], v[230:231], v[236:237], v[212:213]
	ds_load_2addr_b64 v[228:231], v238 offset0:104 offset1:105
	v_add_f64 v[20:21], v[20:21], -v[104:105]
	v_add_f64 v[22:23], v[22:23], -v[212:213]
	s_waitcnt lgkmcnt(0)
	v_mul_f64 v[104:105], v[230:231], v[106:107]
	v_mul_f64 v[212:213], v[228:229], v[106:107]
	s_delay_alu instid0(VALU_DEP_2) | instskip(NEXT) | instid1(VALU_DEP_2)
	v_fma_f64 v[104:105], v[228:229], v[236:237], -v[104:105]
	v_fma_f64 v[212:213], v[230:231], v[236:237], v[212:213]
	ds_load_2addr_b64 v[228:231], v238 offset0:106 offset1:107
	v_add_f64 v[16:17], v[16:17], -v[104:105]
	v_add_f64 v[18:19], v[18:19], -v[212:213]
	s_waitcnt lgkmcnt(0)
	v_mul_f64 v[104:105], v[230:231], v[106:107]
	v_mul_f64 v[212:213], v[228:229], v[106:107]
	s_delay_alu instid0(VALU_DEP_2) | instskip(NEXT) | instid1(VALU_DEP_2)
	v_fma_f64 v[104:105], v[228:229], v[236:237], -v[104:105]
	v_fma_f64 v[212:213], v[230:231], v[236:237], v[212:213]
	ds_load_2addr_b64 v[228:231], v238 offset0:108 offset1:109
	v_add_f64 v[12:13], v[12:13], -v[104:105]
	v_add_f64 v[14:15], v[14:15], -v[212:213]
	s_waitcnt lgkmcnt(0)
	v_mul_f64 v[104:105], v[230:231], v[106:107]
	v_mul_f64 v[212:213], v[228:229], v[106:107]
	s_delay_alu instid0(VALU_DEP_2) | instskip(NEXT) | instid1(VALU_DEP_2)
	v_fma_f64 v[104:105], v[228:229], v[236:237], -v[104:105]
	v_fma_f64 v[212:213], v[230:231], v[236:237], v[212:213]
	ds_load_2addr_b64 v[228:231], v238 offset0:110 offset1:111
	v_add_f64 v[224:225], v[224:225], -v[104:105]
	v_add_f64 v[226:227], v[226:227], -v[212:213]
	s_waitcnt lgkmcnt(0)
	v_mul_f64 v[104:105], v[230:231], v[106:107]
	v_mul_f64 v[212:213], v[228:229], v[106:107]
	s_delay_alu instid0(VALU_DEP_2) | instskip(NEXT) | instid1(VALU_DEP_2)
	v_fma_f64 v[104:105], v[228:229], v[236:237], -v[104:105]
	v_fma_f64 v[212:213], v[230:231], v[236:237], v[212:213]
	ds_load_2addr_b64 v[228:231], v238 offset0:112 offset1:113
	v_add_f64 v[250:251], v[250:251], -v[104:105]
	v_add_f64 v[252:253], v[252:253], -v[212:213]
	s_waitcnt lgkmcnt(0)
	v_mul_f64 v[104:105], v[230:231], v[106:107]
	v_mul_f64 v[212:213], v[228:229], v[106:107]
	s_delay_alu instid0(VALU_DEP_2) | instskip(NEXT) | instid1(VALU_DEP_2)
	v_fma_f64 v[104:105], v[228:229], v[236:237], -v[104:105]
	v_fma_f64 v[212:213], v[230:231], v[236:237], v[212:213]
	s_delay_alu instid0(VALU_DEP_2) | instskip(NEXT) | instid1(VALU_DEP_2)
	v_add_f64 v[0:1], v[0:1], -v[104:105]
	v_add_f64 v[2:3], v[2:3], -v[212:213]
	v_dual_mov_b32 v104, v236 :: v_dual_mov_b32 v105, v237
.LBB112_650:
	s_or_b32 exec_lo, exec_lo, s2
	v_lshl_add_u32 v212, v244, 4, v238
	s_barrier
	buffer_gl0_inv
	v_mov_b32_e32 v236, 31
	ds_store_2addr_b64 v212, v[100:101], v[102:103] offset1:1
	s_waitcnt lgkmcnt(0)
	s_barrier
	buffer_gl0_inv
	ds_load_2addr_b64 v[228:231], v238 offset0:62 offset1:63
	s_cmp_lt_i32 s12, 33
	s_cbranch_scc1 .LBB112_653
; %bb.651:
	v_add3_u32 v237, v242, 0, 0x200
	v_mov_b32_e32 v236, 31
	s_mov_b32 s2, 32
	s_set_inst_prefetch_distance 0x1
	.p2align	6
.LBB112_652:                            ; =>This Inner Loop Header: Depth=1
	s_waitcnt lgkmcnt(0)
	v_cmp_gt_f64_e32 vcc_lo, 0, v[228:229]
	v_xor_b32_e32 v212, 0x80000000, v229
	v_xor_b32_e32 v214, 0x80000000, v231
	ds_load_2addr_b64 v[245:248], v237 offset1:1
	v_add_nc_u32_e32 v237, 16, v237
	s_waitcnt lgkmcnt(0)
	v_xor_b32_e32 v216, 0x80000000, v248
	v_cndmask_b32_e32 v213, v229, v212, vcc_lo
	v_cndmask_b32_e32 v212, v228, v228, vcc_lo
	v_cmp_gt_f64_e32 vcc_lo, 0, v[230:231]
	v_cndmask_b32_e32 v215, v231, v214, vcc_lo
	v_cndmask_b32_e32 v214, v230, v230, vcc_lo
	v_cmp_gt_f64_e32 vcc_lo, 0, v[245:246]
	s_delay_alu instid0(VALU_DEP_2) | instskip(SKIP_1) | instid1(VALU_DEP_1)
	v_add_f64 v[212:213], v[212:213], v[214:215]
	v_xor_b32_e32 v214, 0x80000000, v246
	v_dual_cndmask_b32 v215, v246, v214 :: v_dual_mov_b32 v214, v245
	v_cmp_gt_f64_e32 vcc_lo, 0, v[247:248]
	v_dual_cndmask_b32 v217, v248, v216 :: v_dual_mov_b32 v216, v247
	s_delay_alu instid0(VALU_DEP_1) | instskip(NEXT) | instid1(VALU_DEP_1)
	v_add_f64 v[214:215], v[214:215], v[216:217]
	v_cmp_lt_f64_e32 vcc_lo, v[212:213], v[214:215]
	v_dual_cndmask_b32 v229, v229, v246 :: v_dual_cndmask_b32 v228, v228, v245
	v_dual_cndmask_b32 v231, v231, v248 :: v_dual_cndmask_b32 v230, v230, v247
	v_cndmask_b32_e64 v236, v236, s2, vcc_lo
	s_add_i32 s2, s2, 1
	s_delay_alu instid0(SALU_CYCLE_1)
	s_cmp_lg_u32 s12, s2
	s_cbranch_scc1 .LBB112_652
.LBB112_653:
	s_set_inst_prefetch_distance 0x2
	s_waitcnt lgkmcnt(0)
	v_cmp_eq_f64_e32 vcc_lo, 0, v[228:229]
	v_cmp_eq_f64_e64 s2, 0, v[230:231]
	s_delay_alu instid0(VALU_DEP_1) | instskip(NEXT) | instid1(SALU_CYCLE_1)
	s_and_b32 s2, vcc_lo, s2
	s_and_saveexec_b32 s3, s2
	s_delay_alu instid0(SALU_CYCLE_1)
	s_xor_b32 s2, exec_lo, s3
; %bb.654:
	v_cmp_ne_u32_e32 vcc_lo, 0, v241
	v_cndmask_b32_e32 v241, 32, v241, vcc_lo
; %bb.655:
	s_and_not1_saveexec_b32 s3, s2
	s_cbranch_execz .LBB112_661
; %bb.656:
	v_cmp_gt_f64_e32 vcc_lo, 0, v[228:229]
	v_cmp_gt_f64_e64 s2, 0, v[230:231]
	v_xor_b32_e32 v212, 0x80000000, v229
	v_xor_b32_e32 v214, 0x80000000, v231
	s_delay_alu instid0(VALU_DEP_2) | instskip(NEXT) | instid1(VALU_DEP_2)
	v_cndmask_b32_e32 v213, v229, v212, vcc_lo
	v_cndmask_b32_e64 v215, v231, v214, s2
	v_cndmask_b32_e32 v212, v228, v228, vcc_lo
	v_cndmask_b32_e64 v214, v230, v230, s2
	s_mov_b32 s2, exec_lo
	s_delay_alu instid0(VALU_DEP_1)
	v_cmpx_ngt_f64_e32 v[212:213], v[214:215]
	s_xor_b32 s2, exec_lo, s2
	s_cbranch_execz .LBB112_658
; %bb.657:
	v_div_scale_f64 v[212:213], null, v[230:231], v[230:231], v[228:229]
	v_div_scale_f64 v[218:219], vcc_lo, v[228:229], v[230:231], v[228:229]
	s_delay_alu instid0(VALU_DEP_2) | instskip(SKIP_2) | instid1(VALU_DEP_1)
	v_rcp_f64_e32 v[214:215], v[212:213]
	s_waitcnt_depctr 0xfff
	v_fma_f64 v[216:217], -v[212:213], v[214:215], 1.0
	v_fma_f64 v[214:215], v[214:215], v[216:217], v[214:215]
	s_delay_alu instid0(VALU_DEP_1) | instskip(NEXT) | instid1(VALU_DEP_1)
	v_fma_f64 v[216:217], -v[212:213], v[214:215], 1.0
	v_fma_f64 v[214:215], v[214:215], v[216:217], v[214:215]
	s_delay_alu instid0(VALU_DEP_1) | instskip(NEXT) | instid1(VALU_DEP_1)
	v_mul_f64 v[216:217], v[218:219], v[214:215]
	v_fma_f64 v[212:213], -v[212:213], v[216:217], v[218:219]
	s_delay_alu instid0(VALU_DEP_1) | instskip(NEXT) | instid1(VALU_DEP_1)
	v_div_fmas_f64 v[212:213], v[212:213], v[214:215], v[216:217]
	v_div_fixup_f64 v[212:213], v[212:213], v[230:231], v[228:229]
	s_delay_alu instid0(VALU_DEP_1) | instskip(NEXT) | instid1(VALU_DEP_1)
	v_fma_f64 v[214:215], v[228:229], v[212:213], v[230:231]
	v_div_scale_f64 v[216:217], null, v[214:215], v[214:215], 1.0
	s_delay_alu instid0(VALU_DEP_1) | instskip(SKIP_2) | instid1(VALU_DEP_1)
	v_rcp_f64_e32 v[218:219], v[216:217]
	s_waitcnt_depctr 0xfff
	v_fma_f64 v[220:221], -v[216:217], v[218:219], 1.0
	v_fma_f64 v[218:219], v[218:219], v[220:221], v[218:219]
	s_delay_alu instid0(VALU_DEP_1) | instskip(NEXT) | instid1(VALU_DEP_1)
	v_fma_f64 v[220:221], -v[216:217], v[218:219], 1.0
	v_fma_f64 v[218:219], v[218:219], v[220:221], v[218:219]
	v_div_scale_f64 v[220:221], vcc_lo, 1.0, v[214:215], 1.0
	s_delay_alu instid0(VALU_DEP_1) | instskip(NEXT) | instid1(VALU_DEP_1)
	v_mul_f64 v[222:223], v[220:221], v[218:219]
	v_fma_f64 v[216:217], -v[216:217], v[222:223], v[220:221]
	s_delay_alu instid0(VALU_DEP_1) | instskip(NEXT) | instid1(VALU_DEP_1)
	v_div_fmas_f64 v[216:217], v[216:217], v[218:219], v[222:223]
	v_div_fixup_f64 v[230:231], v[216:217], v[214:215], 1.0
	s_delay_alu instid0(VALU_DEP_1)
	v_mul_f64 v[228:229], v[212:213], v[230:231]
	v_xor_b32_e32 v231, 0x80000000, v231
.LBB112_658:
	s_and_not1_saveexec_b32 s2, s2
	s_cbranch_execz .LBB112_660
; %bb.659:
	s_delay_alu instid0(VALU_DEP_1) | instskip(SKIP_1) | instid1(VALU_DEP_2)
	v_div_scale_f64 v[212:213], null, v[228:229], v[228:229], v[230:231]
	v_div_scale_f64 v[218:219], vcc_lo, v[230:231], v[228:229], v[230:231]
	v_rcp_f64_e32 v[214:215], v[212:213]
	s_waitcnt_depctr 0xfff
	v_fma_f64 v[216:217], -v[212:213], v[214:215], 1.0
	s_delay_alu instid0(VALU_DEP_1) | instskip(NEXT) | instid1(VALU_DEP_1)
	v_fma_f64 v[214:215], v[214:215], v[216:217], v[214:215]
	v_fma_f64 v[216:217], -v[212:213], v[214:215], 1.0
	s_delay_alu instid0(VALU_DEP_1) | instskip(NEXT) | instid1(VALU_DEP_1)
	v_fma_f64 v[214:215], v[214:215], v[216:217], v[214:215]
	v_mul_f64 v[216:217], v[218:219], v[214:215]
	s_delay_alu instid0(VALU_DEP_1) | instskip(NEXT) | instid1(VALU_DEP_1)
	v_fma_f64 v[212:213], -v[212:213], v[216:217], v[218:219]
	v_div_fmas_f64 v[212:213], v[212:213], v[214:215], v[216:217]
	s_delay_alu instid0(VALU_DEP_1) | instskip(NEXT) | instid1(VALU_DEP_1)
	v_div_fixup_f64 v[212:213], v[212:213], v[228:229], v[230:231]
	v_fma_f64 v[214:215], v[230:231], v[212:213], v[228:229]
	s_delay_alu instid0(VALU_DEP_1) | instskip(NEXT) | instid1(VALU_DEP_1)
	v_div_scale_f64 v[216:217], null, v[214:215], v[214:215], 1.0
	v_rcp_f64_e32 v[218:219], v[216:217]
	s_waitcnt_depctr 0xfff
	v_fma_f64 v[220:221], -v[216:217], v[218:219], 1.0
	s_delay_alu instid0(VALU_DEP_1) | instskip(NEXT) | instid1(VALU_DEP_1)
	v_fma_f64 v[218:219], v[218:219], v[220:221], v[218:219]
	v_fma_f64 v[220:221], -v[216:217], v[218:219], 1.0
	s_delay_alu instid0(VALU_DEP_1) | instskip(SKIP_1) | instid1(VALU_DEP_1)
	v_fma_f64 v[218:219], v[218:219], v[220:221], v[218:219]
	v_div_scale_f64 v[220:221], vcc_lo, 1.0, v[214:215], 1.0
	v_mul_f64 v[222:223], v[220:221], v[218:219]
	s_delay_alu instid0(VALU_DEP_1) | instskip(NEXT) | instid1(VALU_DEP_1)
	v_fma_f64 v[216:217], -v[216:217], v[222:223], v[220:221]
	v_div_fmas_f64 v[216:217], v[216:217], v[218:219], v[222:223]
	s_delay_alu instid0(VALU_DEP_1) | instskip(NEXT) | instid1(VALU_DEP_1)
	v_div_fixup_f64 v[228:229], v[216:217], v[214:215], 1.0
	v_mul_f64 v[230:231], v[212:213], -v[228:229]
.LBB112_660:
	s_or_b32 exec_lo, exec_lo, s2
.LBB112_661:
	s_delay_alu instid0(SALU_CYCLE_1) | instskip(NEXT) | instid1(SALU_CYCLE_1)
	s_or_b32 exec_lo, exec_lo, s3
	s_mov_b32 s2, exec_lo
	v_cmpx_ne_u32_e64 v244, v236
	s_xor_b32 s2, exec_lo, s2
	s_cbranch_execz .LBB112_667
; %bb.662:
	s_mov_b32 s3, exec_lo
	v_cmpx_eq_u32_e32 31, v244
	s_cbranch_execz .LBB112_666
; %bb.663:
	v_cmp_ne_u32_e32 vcc_lo, 31, v236
	s_xor_b32 s4, s5, -1
	s_delay_alu instid0(SALU_CYCLE_1) | instskip(NEXT) | instid1(SALU_CYCLE_1)
	s_and_b32 s6, s4, vcc_lo
	s_and_saveexec_b32 s4, s6
	s_cbranch_execz .LBB112_665
; %bb.664:
	scratch_load_b64 v[10:11], off, off     ; 8-byte Folded Reload
	v_ashrrev_i32_e32 v237, 31, v236
	s_delay_alu instid0(VALU_DEP_1) | instskip(SKIP_1) | instid1(VALU_DEP_1)
	v_lshlrev_b64 v[212:213], 2, v[236:237]
	s_waitcnt vmcnt(0)
	v_add_co_u32 v212, vcc_lo, v10, v212
	s_delay_alu instid0(VALU_DEP_2)
	v_add_co_ci_u32_e32 v213, vcc_lo, v11, v213, vcc_lo
	s_clause 0x1
	flat_load_b32 v214, v[212:213]
	flat_load_b32 v215, v[10:11] offset:124
	s_waitcnt vmcnt(1) lgkmcnt(1)
	flat_store_b32 v[10:11], v214 offset:124
	s_waitcnt vmcnt(0) lgkmcnt(1)
	flat_store_b32 v[212:213], v215
.LBB112_665:
	s_or_b32 exec_lo, exec_lo, s4
	v_mov_b32_e32 v244, v236
	v_mov_b32_e32 v243, v236
.LBB112_666:
	s_or_b32 exec_lo, exec_lo, s3
.LBB112_667:
	s_and_not1_saveexec_b32 s2, s2
	s_cbranch_execz .LBB112_669
; %bb.668:
	v_mov_b32_e32 v244, 31
	ds_store_2addr_b64 v238, v[96:97], v[98:99] offset0:64 offset1:65
	ds_store_2addr_b64 v238, v[92:93], v[94:95] offset0:66 offset1:67
	;; [unrolled: 1-line block ×25, first 2 shown]
.LBB112_669:
	s_or_b32 exec_lo, exec_lo, s2
	s_delay_alu instid0(SALU_CYCLE_1)
	s_mov_b32 s2, exec_lo
	s_waitcnt lgkmcnt(0)
	s_waitcnt_vscnt null, 0x0
	s_barrier
	buffer_gl0_inv
	v_cmpx_lt_i32_e32 31, v244
	s_cbranch_execz .LBB112_671
; %bb.670:
	v_mul_f64 v[212:213], v[230:231], v[102:103]
	v_mul_f64 v[102:103], v[228:229], v[102:103]
	s_delay_alu instid0(VALU_DEP_2) | instskip(NEXT) | instid1(VALU_DEP_2)
	v_fma_f64 v[236:237], v[228:229], v[100:101], -v[212:213]
	v_fma_f64 v[102:103], v[230:231], v[100:101], v[102:103]
	ds_load_2addr_b64 v[228:231], v238 offset0:64 offset1:65
	s_waitcnt lgkmcnt(0)
	v_mul_f64 v[100:101], v[230:231], v[102:103]
	v_mul_f64 v[212:213], v[228:229], v[102:103]
	s_delay_alu instid0(VALU_DEP_2) | instskip(NEXT) | instid1(VALU_DEP_2)
	v_fma_f64 v[100:101], v[228:229], v[236:237], -v[100:101]
	v_fma_f64 v[212:213], v[230:231], v[236:237], v[212:213]
	ds_load_2addr_b64 v[228:231], v238 offset0:66 offset1:67
	v_add_f64 v[96:97], v[96:97], -v[100:101]
	v_add_f64 v[98:99], v[98:99], -v[212:213]
	s_waitcnt lgkmcnt(0)
	v_mul_f64 v[100:101], v[230:231], v[102:103]
	v_mul_f64 v[212:213], v[228:229], v[102:103]
	s_delay_alu instid0(VALU_DEP_2) | instskip(NEXT) | instid1(VALU_DEP_2)
	v_fma_f64 v[100:101], v[228:229], v[236:237], -v[100:101]
	v_fma_f64 v[212:213], v[230:231], v[236:237], v[212:213]
	ds_load_2addr_b64 v[228:231], v238 offset0:68 offset1:69
	v_add_f64 v[92:93], v[92:93], -v[100:101]
	v_add_f64 v[94:95], v[94:95], -v[212:213]
	;; [unrolled: 9-line block ×24, first 2 shown]
	s_waitcnt lgkmcnt(0)
	v_mul_f64 v[100:101], v[230:231], v[102:103]
	v_mul_f64 v[212:213], v[228:229], v[102:103]
	s_delay_alu instid0(VALU_DEP_2) | instskip(NEXT) | instid1(VALU_DEP_2)
	v_fma_f64 v[100:101], v[228:229], v[236:237], -v[100:101]
	v_fma_f64 v[212:213], v[230:231], v[236:237], v[212:213]
	s_delay_alu instid0(VALU_DEP_2) | instskip(NEXT) | instid1(VALU_DEP_2)
	v_add_f64 v[0:1], v[0:1], -v[100:101]
	v_add_f64 v[2:3], v[2:3], -v[212:213]
	v_dual_mov_b32 v100, v236 :: v_dual_mov_b32 v101, v237
.LBB112_671:
	s_or_b32 exec_lo, exec_lo, s2
	v_lshl_add_u32 v212, v244, 4, v238
	s_barrier
	buffer_gl0_inv
	v_mov_b32_e32 v236, 32
	ds_store_2addr_b64 v212, v[96:97], v[98:99] offset1:1
	s_waitcnt lgkmcnt(0)
	s_barrier
	buffer_gl0_inv
	ds_load_2addr_b64 v[228:231], v238 offset0:64 offset1:65
	s_cmp_lt_i32 s12, 34
	s_cbranch_scc1 .LBB112_674
; %bb.672:
	v_add3_u32 v237, v242, 0, 0x210
	v_mov_b32_e32 v236, 32
	s_mov_b32 s2, 33
	s_set_inst_prefetch_distance 0x1
	.p2align	6
.LBB112_673:                            ; =>This Inner Loop Header: Depth=1
	s_waitcnt lgkmcnt(0)
	v_cmp_gt_f64_e32 vcc_lo, 0, v[228:229]
	v_xor_b32_e32 v212, 0x80000000, v229
	v_xor_b32_e32 v214, 0x80000000, v231
	ds_load_2addr_b64 v[245:248], v237 offset1:1
	v_add_nc_u32_e32 v237, 16, v237
	s_waitcnt lgkmcnt(0)
	v_xor_b32_e32 v216, 0x80000000, v248
	v_cndmask_b32_e32 v213, v229, v212, vcc_lo
	v_cndmask_b32_e32 v212, v228, v228, vcc_lo
	v_cmp_gt_f64_e32 vcc_lo, 0, v[230:231]
	v_cndmask_b32_e32 v215, v231, v214, vcc_lo
	v_cndmask_b32_e32 v214, v230, v230, vcc_lo
	v_cmp_gt_f64_e32 vcc_lo, 0, v[245:246]
	s_delay_alu instid0(VALU_DEP_2) | instskip(SKIP_1) | instid1(VALU_DEP_1)
	v_add_f64 v[212:213], v[212:213], v[214:215]
	v_xor_b32_e32 v214, 0x80000000, v246
	v_dual_cndmask_b32 v215, v246, v214 :: v_dual_mov_b32 v214, v245
	v_cmp_gt_f64_e32 vcc_lo, 0, v[247:248]
	v_dual_cndmask_b32 v217, v248, v216 :: v_dual_mov_b32 v216, v247
	s_delay_alu instid0(VALU_DEP_1) | instskip(NEXT) | instid1(VALU_DEP_1)
	v_add_f64 v[214:215], v[214:215], v[216:217]
	v_cmp_lt_f64_e32 vcc_lo, v[212:213], v[214:215]
	v_dual_cndmask_b32 v229, v229, v246 :: v_dual_cndmask_b32 v228, v228, v245
	v_dual_cndmask_b32 v231, v231, v248 :: v_dual_cndmask_b32 v230, v230, v247
	v_cndmask_b32_e64 v236, v236, s2, vcc_lo
	s_add_i32 s2, s2, 1
	s_delay_alu instid0(SALU_CYCLE_1)
	s_cmp_lg_u32 s12, s2
	s_cbranch_scc1 .LBB112_673
.LBB112_674:
	s_set_inst_prefetch_distance 0x2
	s_waitcnt lgkmcnt(0)
	v_cmp_eq_f64_e32 vcc_lo, 0, v[228:229]
	v_cmp_eq_f64_e64 s2, 0, v[230:231]
	s_delay_alu instid0(VALU_DEP_1) | instskip(NEXT) | instid1(SALU_CYCLE_1)
	s_and_b32 s2, vcc_lo, s2
	s_and_saveexec_b32 s3, s2
	s_delay_alu instid0(SALU_CYCLE_1)
	s_xor_b32 s2, exec_lo, s3
; %bb.675:
	v_cmp_ne_u32_e32 vcc_lo, 0, v241
	v_cndmask_b32_e32 v241, 33, v241, vcc_lo
; %bb.676:
	s_and_not1_saveexec_b32 s3, s2
	s_cbranch_execz .LBB112_682
; %bb.677:
	v_cmp_gt_f64_e32 vcc_lo, 0, v[228:229]
	v_cmp_gt_f64_e64 s2, 0, v[230:231]
	v_xor_b32_e32 v212, 0x80000000, v229
	v_xor_b32_e32 v214, 0x80000000, v231
	s_delay_alu instid0(VALU_DEP_2) | instskip(NEXT) | instid1(VALU_DEP_2)
	v_cndmask_b32_e32 v213, v229, v212, vcc_lo
	v_cndmask_b32_e64 v215, v231, v214, s2
	v_cndmask_b32_e32 v212, v228, v228, vcc_lo
	v_cndmask_b32_e64 v214, v230, v230, s2
	s_mov_b32 s2, exec_lo
	s_delay_alu instid0(VALU_DEP_1)
	v_cmpx_ngt_f64_e32 v[212:213], v[214:215]
	s_xor_b32 s2, exec_lo, s2
	s_cbranch_execz .LBB112_679
; %bb.678:
	v_div_scale_f64 v[212:213], null, v[230:231], v[230:231], v[228:229]
	v_div_scale_f64 v[218:219], vcc_lo, v[228:229], v[230:231], v[228:229]
	s_delay_alu instid0(VALU_DEP_2) | instskip(SKIP_2) | instid1(VALU_DEP_1)
	v_rcp_f64_e32 v[214:215], v[212:213]
	s_waitcnt_depctr 0xfff
	v_fma_f64 v[216:217], -v[212:213], v[214:215], 1.0
	v_fma_f64 v[214:215], v[214:215], v[216:217], v[214:215]
	s_delay_alu instid0(VALU_DEP_1) | instskip(NEXT) | instid1(VALU_DEP_1)
	v_fma_f64 v[216:217], -v[212:213], v[214:215], 1.0
	v_fma_f64 v[214:215], v[214:215], v[216:217], v[214:215]
	s_delay_alu instid0(VALU_DEP_1) | instskip(NEXT) | instid1(VALU_DEP_1)
	v_mul_f64 v[216:217], v[218:219], v[214:215]
	v_fma_f64 v[212:213], -v[212:213], v[216:217], v[218:219]
	s_delay_alu instid0(VALU_DEP_1) | instskip(NEXT) | instid1(VALU_DEP_1)
	v_div_fmas_f64 v[212:213], v[212:213], v[214:215], v[216:217]
	v_div_fixup_f64 v[212:213], v[212:213], v[230:231], v[228:229]
	s_delay_alu instid0(VALU_DEP_1) | instskip(NEXT) | instid1(VALU_DEP_1)
	v_fma_f64 v[214:215], v[228:229], v[212:213], v[230:231]
	v_div_scale_f64 v[216:217], null, v[214:215], v[214:215], 1.0
	s_delay_alu instid0(VALU_DEP_1) | instskip(SKIP_2) | instid1(VALU_DEP_1)
	v_rcp_f64_e32 v[218:219], v[216:217]
	s_waitcnt_depctr 0xfff
	v_fma_f64 v[220:221], -v[216:217], v[218:219], 1.0
	v_fma_f64 v[218:219], v[218:219], v[220:221], v[218:219]
	s_delay_alu instid0(VALU_DEP_1) | instskip(NEXT) | instid1(VALU_DEP_1)
	v_fma_f64 v[220:221], -v[216:217], v[218:219], 1.0
	v_fma_f64 v[218:219], v[218:219], v[220:221], v[218:219]
	v_div_scale_f64 v[220:221], vcc_lo, 1.0, v[214:215], 1.0
	s_delay_alu instid0(VALU_DEP_1) | instskip(NEXT) | instid1(VALU_DEP_1)
	v_mul_f64 v[222:223], v[220:221], v[218:219]
	v_fma_f64 v[216:217], -v[216:217], v[222:223], v[220:221]
	s_delay_alu instid0(VALU_DEP_1) | instskip(NEXT) | instid1(VALU_DEP_1)
	v_div_fmas_f64 v[216:217], v[216:217], v[218:219], v[222:223]
	v_div_fixup_f64 v[230:231], v[216:217], v[214:215], 1.0
	s_delay_alu instid0(VALU_DEP_1)
	v_mul_f64 v[228:229], v[212:213], v[230:231]
	v_xor_b32_e32 v231, 0x80000000, v231
.LBB112_679:
	s_and_not1_saveexec_b32 s2, s2
	s_cbranch_execz .LBB112_681
; %bb.680:
	s_delay_alu instid0(VALU_DEP_1) | instskip(SKIP_1) | instid1(VALU_DEP_2)
	v_div_scale_f64 v[212:213], null, v[228:229], v[228:229], v[230:231]
	v_div_scale_f64 v[218:219], vcc_lo, v[230:231], v[228:229], v[230:231]
	v_rcp_f64_e32 v[214:215], v[212:213]
	s_waitcnt_depctr 0xfff
	v_fma_f64 v[216:217], -v[212:213], v[214:215], 1.0
	s_delay_alu instid0(VALU_DEP_1) | instskip(NEXT) | instid1(VALU_DEP_1)
	v_fma_f64 v[214:215], v[214:215], v[216:217], v[214:215]
	v_fma_f64 v[216:217], -v[212:213], v[214:215], 1.0
	s_delay_alu instid0(VALU_DEP_1) | instskip(NEXT) | instid1(VALU_DEP_1)
	v_fma_f64 v[214:215], v[214:215], v[216:217], v[214:215]
	v_mul_f64 v[216:217], v[218:219], v[214:215]
	s_delay_alu instid0(VALU_DEP_1) | instskip(NEXT) | instid1(VALU_DEP_1)
	v_fma_f64 v[212:213], -v[212:213], v[216:217], v[218:219]
	v_div_fmas_f64 v[212:213], v[212:213], v[214:215], v[216:217]
	s_delay_alu instid0(VALU_DEP_1) | instskip(NEXT) | instid1(VALU_DEP_1)
	v_div_fixup_f64 v[212:213], v[212:213], v[228:229], v[230:231]
	v_fma_f64 v[214:215], v[230:231], v[212:213], v[228:229]
	s_delay_alu instid0(VALU_DEP_1) | instskip(NEXT) | instid1(VALU_DEP_1)
	v_div_scale_f64 v[216:217], null, v[214:215], v[214:215], 1.0
	v_rcp_f64_e32 v[218:219], v[216:217]
	s_waitcnt_depctr 0xfff
	v_fma_f64 v[220:221], -v[216:217], v[218:219], 1.0
	s_delay_alu instid0(VALU_DEP_1) | instskip(NEXT) | instid1(VALU_DEP_1)
	v_fma_f64 v[218:219], v[218:219], v[220:221], v[218:219]
	v_fma_f64 v[220:221], -v[216:217], v[218:219], 1.0
	s_delay_alu instid0(VALU_DEP_1) | instskip(SKIP_1) | instid1(VALU_DEP_1)
	v_fma_f64 v[218:219], v[218:219], v[220:221], v[218:219]
	v_div_scale_f64 v[220:221], vcc_lo, 1.0, v[214:215], 1.0
	v_mul_f64 v[222:223], v[220:221], v[218:219]
	s_delay_alu instid0(VALU_DEP_1) | instskip(NEXT) | instid1(VALU_DEP_1)
	v_fma_f64 v[216:217], -v[216:217], v[222:223], v[220:221]
	v_div_fmas_f64 v[216:217], v[216:217], v[218:219], v[222:223]
	s_delay_alu instid0(VALU_DEP_1) | instskip(NEXT) | instid1(VALU_DEP_1)
	v_div_fixup_f64 v[228:229], v[216:217], v[214:215], 1.0
	v_mul_f64 v[230:231], v[212:213], -v[228:229]
.LBB112_681:
	s_or_b32 exec_lo, exec_lo, s2
.LBB112_682:
	s_delay_alu instid0(SALU_CYCLE_1) | instskip(NEXT) | instid1(SALU_CYCLE_1)
	s_or_b32 exec_lo, exec_lo, s3
	s_mov_b32 s2, exec_lo
	v_cmpx_ne_u32_e64 v244, v236
	s_xor_b32 s2, exec_lo, s2
	s_cbranch_execz .LBB112_688
; %bb.683:
	s_mov_b32 s3, exec_lo
	v_cmpx_eq_u32_e32 32, v244
	s_cbranch_execz .LBB112_687
; %bb.684:
	v_cmp_ne_u32_e32 vcc_lo, 32, v236
	s_xor_b32 s4, s5, -1
	s_delay_alu instid0(SALU_CYCLE_1) | instskip(NEXT) | instid1(SALU_CYCLE_1)
	s_and_b32 s6, s4, vcc_lo
	s_and_saveexec_b32 s4, s6
	s_cbranch_execz .LBB112_686
; %bb.685:
	scratch_load_b64 v[10:11], off, off     ; 8-byte Folded Reload
	v_ashrrev_i32_e32 v237, 31, v236
	s_delay_alu instid0(VALU_DEP_1) | instskip(SKIP_1) | instid1(VALU_DEP_1)
	v_lshlrev_b64 v[212:213], 2, v[236:237]
	s_waitcnt vmcnt(0)
	v_add_co_u32 v212, vcc_lo, v10, v212
	s_delay_alu instid0(VALU_DEP_2)
	v_add_co_ci_u32_e32 v213, vcc_lo, v11, v213, vcc_lo
	s_clause 0x1
	flat_load_b32 v214, v[212:213]
	flat_load_b32 v215, v[10:11] offset:128
	s_waitcnt vmcnt(1) lgkmcnt(1)
	flat_store_b32 v[10:11], v214 offset:128
	s_waitcnt vmcnt(0) lgkmcnt(1)
	flat_store_b32 v[212:213], v215
.LBB112_686:
	s_or_b32 exec_lo, exec_lo, s4
	v_mov_b32_e32 v244, v236
	v_mov_b32_e32 v243, v236
.LBB112_687:
	s_or_b32 exec_lo, exec_lo, s3
.LBB112_688:
	s_and_not1_saveexec_b32 s2, s2
	s_cbranch_execz .LBB112_690
; %bb.689:
	v_mov_b32_e32 v244, 32
	ds_store_2addr_b64 v238, v[92:93], v[94:95] offset0:66 offset1:67
	ds_store_2addr_b64 v238, v[88:89], v[90:91] offset0:68 offset1:69
	;; [unrolled: 1-line block ×24, first 2 shown]
.LBB112_690:
	s_or_b32 exec_lo, exec_lo, s2
	s_delay_alu instid0(SALU_CYCLE_1)
	s_mov_b32 s2, exec_lo
	s_waitcnt lgkmcnt(0)
	s_waitcnt_vscnt null, 0x0
	s_barrier
	buffer_gl0_inv
	v_cmpx_lt_i32_e32 32, v244
	s_cbranch_execz .LBB112_692
; %bb.691:
	v_mul_f64 v[212:213], v[230:231], v[98:99]
	v_mul_f64 v[98:99], v[228:229], v[98:99]
	s_delay_alu instid0(VALU_DEP_2) | instskip(NEXT) | instid1(VALU_DEP_2)
	v_fma_f64 v[236:237], v[228:229], v[96:97], -v[212:213]
	v_fma_f64 v[98:99], v[230:231], v[96:97], v[98:99]
	ds_load_2addr_b64 v[228:231], v238 offset0:66 offset1:67
	s_waitcnt lgkmcnt(0)
	v_mul_f64 v[96:97], v[230:231], v[98:99]
	v_mul_f64 v[212:213], v[228:229], v[98:99]
	s_delay_alu instid0(VALU_DEP_2) | instskip(NEXT) | instid1(VALU_DEP_2)
	v_fma_f64 v[96:97], v[228:229], v[236:237], -v[96:97]
	v_fma_f64 v[212:213], v[230:231], v[236:237], v[212:213]
	ds_load_2addr_b64 v[228:231], v238 offset0:68 offset1:69
	v_add_f64 v[92:93], v[92:93], -v[96:97]
	v_add_f64 v[94:95], v[94:95], -v[212:213]
	s_waitcnt lgkmcnt(0)
	v_mul_f64 v[96:97], v[230:231], v[98:99]
	v_mul_f64 v[212:213], v[228:229], v[98:99]
	s_delay_alu instid0(VALU_DEP_2) | instskip(NEXT) | instid1(VALU_DEP_2)
	v_fma_f64 v[96:97], v[228:229], v[236:237], -v[96:97]
	v_fma_f64 v[212:213], v[230:231], v[236:237], v[212:213]
	ds_load_2addr_b64 v[228:231], v238 offset0:70 offset1:71
	v_add_f64 v[88:89], v[88:89], -v[96:97]
	v_add_f64 v[90:91], v[90:91], -v[212:213]
	;; [unrolled: 9-line block ×23, first 2 shown]
	s_waitcnt lgkmcnt(0)
	v_mul_f64 v[96:97], v[230:231], v[98:99]
	v_mul_f64 v[212:213], v[228:229], v[98:99]
	s_delay_alu instid0(VALU_DEP_2) | instskip(NEXT) | instid1(VALU_DEP_2)
	v_fma_f64 v[96:97], v[228:229], v[236:237], -v[96:97]
	v_fma_f64 v[212:213], v[230:231], v[236:237], v[212:213]
	s_delay_alu instid0(VALU_DEP_2) | instskip(NEXT) | instid1(VALU_DEP_2)
	v_add_f64 v[0:1], v[0:1], -v[96:97]
	v_add_f64 v[2:3], v[2:3], -v[212:213]
	v_dual_mov_b32 v96, v236 :: v_dual_mov_b32 v97, v237
.LBB112_692:
	s_or_b32 exec_lo, exec_lo, s2
	v_lshl_add_u32 v212, v244, 4, v238
	s_barrier
	buffer_gl0_inv
	v_mov_b32_e32 v236, 33
	ds_store_2addr_b64 v212, v[92:93], v[94:95] offset1:1
	s_waitcnt lgkmcnt(0)
	s_barrier
	buffer_gl0_inv
	ds_load_2addr_b64 v[228:231], v238 offset0:66 offset1:67
	s_cmp_lt_i32 s12, 35
	s_cbranch_scc1 .LBB112_695
; %bb.693:
	v_add3_u32 v237, v242, 0, 0x220
	v_mov_b32_e32 v236, 33
	s_mov_b32 s2, 34
	s_set_inst_prefetch_distance 0x1
	.p2align	6
.LBB112_694:                            ; =>This Inner Loop Header: Depth=1
	s_waitcnt lgkmcnt(0)
	v_cmp_gt_f64_e32 vcc_lo, 0, v[228:229]
	v_xor_b32_e32 v212, 0x80000000, v229
	v_xor_b32_e32 v214, 0x80000000, v231
	ds_load_2addr_b64 v[245:248], v237 offset1:1
	v_add_nc_u32_e32 v237, 16, v237
	s_waitcnt lgkmcnt(0)
	v_xor_b32_e32 v216, 0x80000000, v248
	v_cndmask_b32_e32 v213, v229, v212, vcc_lo
	v_cndmask_b32_e32 v212, v228, v228, vcc_lo
	v_cmp_gt_f64_e32 vcc_lo, 0, v[230:231]
	v_cndmask_b32_e32 v215, v231, v214, vcc_lo
	v_cndmask_b32_e32 v214, v230, v230, vcc_lo
	v_cmp_gt_f64_e32 vcc_lo, 0, v[245:246]
	s_delay_alu instid0(VALU_DEP_2) | instskip(SKIP_1) | instid1(VALU_DEP_1)
	v_add_f64 v[212:213], v[212:213], v[214:215]
	v_xor_b32_e32 v214, 0x80000000, v246
	v_dual_cndmask_b32 v215, v246, v214 :: v_dual_mov_b32 v214, v245
	v_cmp_gt_f64_e32 vcc_lo, 0, v[247:248]
	v_dual_cndmask_b32 v217, v248, v216 :: v_dual_mov_b32 v216, v247
	s_delay_alu instid0(VALU_DEP_1) | instskip(NEXT) | instid1(VALU_DEP_1)
	v_add_f64 v[214:215], v[214:215], v[216:217]
	v_cmp_lt_f64_e32 vcc_lo, v[212:213], v[214:215]
	v_dual_cndmask_b32 v229, v229, v246 :: v_dual_cndmask_b32 v228, v228, v245
	v_dual_cndmask_b32 v231, v231, v248 :: v_dual_cndmask_b32 v230, v230, v247
	v_cndmask_b32_e64 v236, v236, s2, vcc_lo
	s_add_i32 s2, s2, 1
	s_delay_alu instid0(SALU_CYCLE_1)
	s_cmp_lg_u32 s12, s2
	s_cbranch_scc1 .LBB112_694
.LBB112_695:
	s_set_inst_prefetch_distance 0x2
	s_waitcnt lgkmcnt(0)
	v_cmp_eq_f64_e32 vcc_lo, 0, v[228:229]
	v_cmp_eq_f64_e64 s2, 0, v[230:231]
	s_delay_alu instid0(VALU_DEP_1) | instskip(NEXT) | instid1(SALU_CYCLE_1)
	s_and_b32 s2, vcc_lo, s2
	s_and_saveexec_b32 s3, s2
	s_delay_alu instid0(SALU_CYCLE_1)
	s_xor_b32 s2, exec_lo, s3
; %bb.696:
	v_cmp_ne_u32_e32 vcc_lo, 0, v241
	v_cndmask_b32_e32 v241, 34, v241, vcc_lo
; %bb.697:
	s_and_not1_saveexec_b32 s3, s2
	s_cbranch_execz .LBB112_703
; %bb.698:
	v_cmp_gt_f64_e32 vcc_lo, 0, v[228:229]
	v_cmp_gt_f64_e64 s2, 0, v[230:231]
	v_xor_b32_e32 v212, 0x80000000, v229
	v_xor_b32_e32 v214, 0x80000000, v231
	s_delay_alu instid0(VALU_DEP_2) | instskip(NEXT) | instid1(VALU_DEP_2)
	v_cndmask_b32_e32 v213, v229, v212, vcc_lo
	v_cndmask_b32_e64 v215, v231, v214, s2
	v_cndmask_b32_e32 v212, v228, v228, vcc_lo
	v_cndmask_b32_e64 v214, v230, v230, s2
	s_mov_b32 s2, exec_lo
	s_delay_alu instid0(VALU_DEP_1)
	v_cmpx_ngt_f64_e32 v[212:213], v[214:215]
	s_xor_b32 s2, exec_lo, s2
	s_cbranch_execz .LBB112_700
; %bb.699:
	v_div_scale_f64 v[212:213], null, v[230:231], v[230:231], v[228:229]
	v_div_scale_f64 v[218:219], vcc_lo, v[228:229], v[230:231], v[228:229]
	s_delay_alu instid0(VALU_DEP_2) | instskip(SKIP_2) | instid1(VALU_DEP_1)
	v_rcp_f64_e32 v[214:215], v[212:213]
	s_waitcnt_depctr 0xfff
	v_fma_f64 v[216:217], -v[212:213], v[214:215], 1.0
	v_fma_f64 v[214:215], v[214:215], v[216:217], v[214:215]
	s_delay_alu instid0(VALU_DEP_1) | instskip(NEXT) | instid1(VALU_DEP_1)
	v_fma_f64 v[216:217], -v[212:213], v[214:215], 1.0
	v_fma_f64 v[214:215], v[214:215], v[216:217], v[214:215]
	s_delay_alu instid0(VALU_DEP_1) | instskip(NEXT) | instid1(VALU_DEP_1)
	v_mul_f64 v[216:217], v[218:219], v[214:215]
	v_fma_f64 v[212:213], -v[212:213], v[216:217], v[218:219]
	s_delay_alu instid0(VALU_DEP_1) | instskip(NEXT) | instid1(VALU_DEP_1)
	v_div_fmas_f64 v[212:213], v[212:213], v[214:215], v[216:217]
	v_div_fixup_f64 v[212:213], v[212:213], v[230:231], v[228:229]
	s_delay_alu instid0(VALU_DEP_1) | instskip(NEXT) | instid1(VALU_DEP_1)
	v_fma_f64 v[214:215], v[228:229], v[212:213], v[230:231]
	v_div_scale_f64 v[216:217], null, v[214:215], v[214:215], 1.0
	s_delay_alu instid0(VALU_DEP_1) | instskip(SKIP_2) | instid1(VALU_DEP_1)
	v_rcp_f64_e32 v[218:219], v[216:217]
	s_waitcnt_depctr 0xfff
	v_fma_f64 v[220:221], -v[216:217], v[218:219], 1.0
	v_fma_f64 v[218:219], v[218:219], v[220:221], v[218:219]
	s_delay_alu instid0(VALU_DEP_1) | instskip(NEXT) | instid1(VALU_DEP_1)
	v_fma_f64 v[220:221], -v[216:217], v[218:219], 1.0
	v_fma_f64 v[218:219], v[218:219], v[220:221], v[218:219]
	v_div_scale_f64 v[220:221], vcc_lo, 1.0, v[214:215], 1.0
	s_delay_alu instid0(VALU_DEP_1) | instskip(NEXT) | instid1(VALU_DEP_1)
	v_mul_f64 v[222:223], v[220:221], v[218:219]
	v_fma_f64 v[216:217], -v[216:217], v[222:223], v[220:221]
	s_delay_alu instid0(VALU_DEP_1) | instskip(NEXT) | instid1(VALU_DEP_1)
	v_div_fmas_f64 v[216:217], v[216:217], v[218:219], v[222:223]
	v_div_fixup_f64 v[230:231], v[216:217], v[214:215], 1.0
	s_delay_alu instid0(VALU_DEP_1)
	v_mul_f64 v[228:229], v[212:213], v[230:231]
	v_xor_b32_e32 v231, 0x80000000, v231
.LBB112_700:
	s_and_not1_saveexec_b32 s2, s2
	s_cbranch_execz .LBB112_702
; %bb.701:
	s_delay_alu instid0(VALU_DEP_1) | instskip(SKIP_1) | instid1(VALU_DEP_2)
	v_div_scale_f64 v[212:213], null, v[228:229], v[228:229], v[230:231]
	v_div_scale_f64 v[218:219], vcc_lo, v[230:231], v[228:229], v[230:231]
	v_rcp_f64_e32 v[214:215], v[212:213]
	s_waitcnt_depctr 0xfff
	v_fma_f64 v[216:217], -v[212:213], v[214:215], 1.0
	s_delay_alu instid0(VALU_DEP_1) | instskip(NEXT) | instid1(VALU_DEP_1)
	v_fma_f64 v[214:215], v[214:215], v[216:217], v[214:215]
	v_fma_f64 v[216:217], -v[212:213], v[214:215], 1.0
	s_delay_alu instid0(VALU_DEP_1) | instskip(NEXT) | instid1(VALU_DEP_1)
	v_fma_f64 v[214:215], v[214:215], v[216:217], v[214:215]
	v_mul_f64 v[216:217], v[218:219], v[214:215]
	s_delay_alu instid0(VALU_DEP_1) | instskip(NEXT) | instid1(VALU_DEP_1)
	v_fma_f64 v[212:213], -v[212:213], v[216:217], v[218:219]
	v_div_fmas_f64 v[212:213], v[212:213], v[214:215], v[216:217]
	s_delay_alu instid0(VALU_DEP_1) | instskip(NEXT) | instid1(VALU_DEP_1)
	v_div_fixup_f64 v[212:213], v[212:213], v[228:229], v[230:231]
	v_fma_f64 v[214:215], v[230:231], v[212:213], v[228:229]
	s_delay_alu instid0(VALU_DEP_1) | instskip(NEXT) | instid1(VALU_DEP_1)
	v_div_scale_f64 v[216:217], null, v[214:215], v[214:215], 1.0
	v_rcp_f64_e32 v[218:219], v[216:217]
	s_waitcnt_depctr 0xfff
	v_fma_f64 v[220:221], -v[216:217], v[218:219], 1.0
	s_delay_alu instid0(VALU_DEP_1) | instskip(NEXT) | instid1(VALU_DEP_1)
	v_fma_f64 v[218:219], v[218:219], v[220:221], v[218:219]
	v_fma_f64 v[220:221], -v[216:217], v[218:219], 1.0
	s_delay_alu instid0(VALU_DEP_1) | instskip(SKIP_1) | instid1(VALU_DEP_1)
	v_fma_f64 v[218:219], v[218:219], v[220:221], v[218:219]
	v_div_scale_f64 v[220:221], vcc_lo, 1.0, v[214:215], 1.0
	v_mul_f64 v[222:223], v[220:221], v[218:219]
	s_delay_alu instid0(VALU_DEP_1) | instskip(NEXT) | instid1(VALU_DEP_1)
	v_fma_f64 v[216:217], -v[216:217], v[222:223], v[220:221]
	v_div_fmas_f64 v[216:217], v[216:217], v[218:219], v[222:223]
	s_delay_alu instid0(VALU_DEP_1) | instskip(NEXT) | instid1(VALU_DEP_1)
	v_div_fixup_f64 v[228:229], v[216:217], v[214:215], 1.0
	v_mul_f64 v[230:231], v[212:213], -v[228:229]
.LBB112_702:
	s_or_b32 exec_lo, exec_lo, s2
.LBB112_703:
	s_delay_alu instid0(SALU_CYCLE_1) | instskip(NEXT) | instid1(SALU_CYCLE_1)
	s_or_b32 exec_lo, exec_lo, s3
	s_mov_b32 s2, exec_lo
	v_cmpx_ne_u32_e64 v244, v236
	s_xor_b32 s2, exec_lo, s2
	s_cbranch_execz .LBB112_709
; %bb.704:
	s_mov_b32 s3, exec_lo
	v_cmpx_eq_u32_e32 33, v244
	s_cbranch_execz .LBB112_708
; %bb.705:
	v_cmp_ne_u32_e32 vcc_lo, 33, v236
	s_xor_b32 s4, s5, -1
	s_delay_alu instid0(SALU_CYCLE_1) | instskip(NEXT) | instid1(SALU_CYCLE_1)
	s_and_b32 s6, s4, vcc_lo
	s_and_saveexec_b32 s4, s6
	s_cbranch_execz .LBB112_707
; %bb.706:
	scratch_load_b64 v[10:11], off, off     ; 8-byte Folded Reload
	v_ashrrev_i32_e32 v237, 31, v236
	s_delay_alu instid0(VALU_DEP_1) | instskip(SKIP_1) | instid1(VALU_DEP_1)
	v_lshlrev_b64 v[212:213], 2, v[236:237]
	s_waitcnt vmcnt(0)
	v_add_co_u32 v212, vcc_lo, v10, v212
	s_delay_alu instid0(VALU_DEP_2)
	v_add_co_ci_u32_e32 v213, vcc_lo, v11, v213, vcc_lo
	s_clause 0x1
	flat_load_b32 v214, v[212:213]
	flat_load_b32 v215, v[10:11] offset:132
	s_waitcnt vmcnt(1) lgkmcnt(1)
	flat_store_b32 v[10:11], v214 offset:132
	s_waitcnt vmcnt(0) lgkmcnt(1)
	flat_store_b32 v[212:213], v215
.LBB112_707:
	s_or_b32 exec_lo, exec_lo, s4
	v_mov_b32_e32 v244, v236
	v_mov_b32_e32 v243, v236
.LBB112_708:
	s_or_b32 exec_lo, exec_lo, s3
.LBB112_709:
	s_and_not1_saveexec_b32 s2, s2
	s_cbranch_execz .LBB112_711
; %bb.710:
	v_mov_b32_e32 v244, 33
	ds_store_2addr_b64 v238, v[88:89], v[90:91] offset0:68 offset1:69
	ds_store_2addr_b64 v238, v[84:85], v[86:87] offset0:70 offset1:71
	;; [unrolled: 1-line block ×23, first 2 shown]
.LBB112_711:
	s_or_b32 exec_lo, exec_lo, s2
	s_delay_alu instid0(SALU_CYCLE_1)
	s_mov_b32 s2, exec_lo
	s_waitcnt lgkmcnt(0)
	s_waitcnt_vscnt null, 0x0
	s_barrier
	buffer_gl0_inv
	v_cmpx_lt_i32_e32 33, v244
	s_cbranch_execz .LBB112_713
; %bb.712:
	v_mul_f64 v[212:213], v[230:231], v[94:95]
	v_mul_f64 v[94:95], v[228:229], v[94:95]
	s_delay_alu instid0(VALU_DEP_2) | instskip(NEXT) | instid1(VALU_DEP_2)
	v_fma_f64 v[236:237], v[228:229], v[92:93], -v[212:213]
	v_fma_f64 v[94:95], v[230:231], v[92:93], v[94:95]
	ds_load_2addr_b64 v[228:231], v238 offset0:68 offset1:69
	s_waitcnt lgkmcnt(0)
	v_mul_f64 v[92:93], v[230:231], v[94:95]
	v_mul_f64 v[212:213], v[228:229], v[94:95]
	s_delay_alu instid0(VALU_DEP_2) | instskip(NEXT) | instid1(VALU_DEP_2)
	v_fma_f64 v[92:93], v[228:229], v[236:237], -v[92:93]
	v_fma_f64 v[212:213], v[230:231], v[236:237], v[212:213]
	ds_load_2addr_b64 v[228:231], v238 offset0:70 offset1:71
	v_add_f64 v[88:89], v[88:89], -v[92:93]
	v_add_f64 v[90:91], v[90:91], -v[212:213]
	s_waitcnt lgkmcnt(0)
	v_mul_f64 v[92:93], v[230:231], v[94:95]
	v_mul_f64 v[212:213], v[228:229], v[94:95]
	s_delay_alu instid0(VALU_DEP_2) | instskip(NEXT) | instid1(VALU_DEP_2)
	v_fma_f64 v[92:93], v[228:229], v[236:237], -v[92:93]
	v_fma_f64 v[212:213], v[230:231], v[236:237], v[212:213]
	ds_load_2addr_b64 v[228:231], v238 offset0:72 offset1:73
	v_add_f64 v[84:85], v[84:85], -v[92:93]
	v_add_f64 v[86:87], v[86:87], -v[212:213]
	;; [unrolled: 9-line block ×22, first 2 shown]
	s_waitcnt lgkmcnt(0)
	v_mul_f64 v[92:93], v[230:231], v[94:95]
	v_mul_f64 v[212:213], v[228:229], v[94:95]
	s_delay_alu instid0(VALU_DEP_2) | instskip(NEXT) | instid1(VALU_DEP_2)
	v_fma_f64 v[92:93], v[228:229], v[236:237], -v[92:93]
	v_fma_f64 v[212:213], v[230:231], v[236:237], v[212:213]
	s_delay_alu instid0(VALU_DEP_2) | instskip(NEXT) | instid1(VALU_DEP_2)
	v_add_f64 v[0:1], v[0:1], -v[92:93]
	v_add_f64 v[2:3], v[2:3], -v[212:213]
	v_dual_mov_b32 v92, v236 :: v_dual_mov_b32 v93, v237
.LBB112_713:
	s_or_b32 exec_lo, exec_lo, s2
	v_lshl_add_u32 v212, v244, 4, v238
	s_barrier
	buffer_gl0_inv
	v_mov_b32_e32 v236, 34
	ds_store_2addr_b64 v212, v[88:89], v[90:91] offset1:1
	s_waitcnt lgkmcnt(0)
	s_barrier
	buffer_gl0_inv
	ds_load_2addr_b64 v[228:231], v238 offset0:68 offset1:69
	s_cmp_lt_i32 s12, 36
	s_cbranch_scc1 .LBB112_716
; %bb.714:
	v_add3_u32 v237, v242, 0, 0x230
	v_mov_b32_e32 v236, 34
	s_mov_b32 s2, 35
	s_set_inst_prefetch_distance 0x1
	.p2align	6
.LBB112_715:                            ; =>This Inner Loop Header: Depth=1
	s_waitcnt lgkmcnt(0)
	v_cmp_gt_f64_e32 vcc_lo, 0, v[228:229]
	v_xor_b32_e32 v212, 0x80000000, v229
	v_xor_b32_e32 v214, 0x80000000, v231
	ds_load_2addr_b64 v[245:248], v237 offset1:1
	v_add_nc_u32_e32 v237, 16, v237
	s_waitcnt lgkmcnt(0)
	v_xor_b32_e32 v216, 0x80000000, v248
	v_cndmask_b32_e32 v213, v229, v212, vcc_lo
	v_cndmask_b32_e32 v212, v228, v228, vcc_lo
	v_cmp_gt_f64_e32 vcc_lo, 0, v[230:231]
	v_cndmask_b32_e32 v215, v231, v214, vcc_lo
	v_cndmask_b32_e32 v214, v230, v230, vcc_lo
	v_cmp_gt_f64_e32 vcc_lo, 0, v[245:246]
	s_delay_alu instid0(VALU_DEP_2) | instskip(SKIP_1) | instid1(VALU_DEP_1)
	v_add_f64 v[212:213], v[212:213], v[214:215]
	v_xor_b32_e32 v214, 0x80000000, v246
	v_dual_cndmask_b32 v215, v246, v214 :: v_dual_mov_b32 v214, v245
	v_cmp_gt_f64_e32 vcc_lo, 0, v[247:248]
	v_dual_cndmask_b32 v217, v248, v216 :: v_dual_mov_b32 v216, v247
	s_delay_alu instid0(VALU_DEP_1) | instskip(NEXT) | instid1(VALU_DEP_1)
	v_add_f64 v[214:215], v[214:215], v[216:217]
	v_cmp_lt_f64_e32 vcc_lo, v[212:213], v[214:215]
	v_dual_cndmask_b32 v229, v229, v246 :: v_dual_cndmask_b32 v228, v228, v245
	v_dual_cndmask_b32 v231, v231, v248 :: v_dual_cndmask_b32 v230, v230, v247
	v_cndmask_b32_e64 v236, v236, s2, vcc_lo
	s_add_i32 s2, s2, 1
	s_delay_alu instid0(SALU_CYCLE_1)
	s_cmp_lg_u32 s12, s2
	s_cbranch_scc1 .LBB112_715
.LBB112_716:
	s_set_inst_prefetch_distance 0x2
	s_waitcnt lgkmcnt(0)
	v_cmp_eq_f64_e32 vcc_lo, 0, v[228:229]
	v_cmp_eq_f64_e64 s2, 0, v[230:231]
	s_delay_alu instid0(VALU_DEP_1) | instskip(NEXT) | instid1(SALU_CYCLE_1)
	s_and_b32 s2, vcc_lo, s2
	s_and_saveexec_b32 s3, s2
	s_delay_alu instid0(SALU_CYCLE_1)
	s_xor_b32 s2, exec_lo, s3
; %bb.717:
	v_cmp_ne_u32_e32 vcc_lo, 0, v241
	v_cndmask_b32_e32 v241, 35, v241, vcc_lo
; %bb.718:
	s_and_not1_saveexec_b32 s3, s2
	s_cbranch_execz .LBB112_724
; %bb.719:
	v_cmp_gt_f64_e32 vcc_lo, 0, v[228:229]
	v_cmp_gt_f64_e64 s2, 0, v[230:231]
	v_xor_b32_e32 v212, 0x80000000, v229
	v_xor_b32_e32 v214, 0x80000000, v231
	s_delay_alu instid0(VALU_DEP_2) | instskip(NEXT) | instid1(VALU_DEP_2)
	v_cndmask_b32_e32 v213, v229, v212, vcc_lo
	v_cndmask_b32_e64 v215, v231, v214, s2
	v_cndmask_b32_e32 v212, v228, v228, vcc_lo
	v_cndmask_b32_e64 v214, v230, v230, s2
	s_mov_b32 s2, exec_lo
	s_delay_alu instid0(VALU_DEP_1)
	v_cmpx_ngt_f64_e32 v[212:213], v[214:215]
	s_xor_b32 s2, exec_lo, s2
	s_cbranch_execz .LBB112_721
; %bb.720:
	v_div_scale_f64 v[212:213], null, v[230:231], v[230:231], v[228:229]
	v_div_scale_f64 v[218:219], vcc_lo, v[228:229], v[230:231], v[228:229]
	s_delay_alu instid0(VALU_DEP_2) | instskip(SKIP_2) | instid1(VALU_DEP_1)
	v_rcp_f64_e32 v[214:215], v[212:213]
	s_waitcnt_depctr 0xfff
	v_fma_f64 v[216:217], -v[212:213], v[214:215], 1.0
	v_fma_f64 v[214:215], v[214:215], v[216:217], v[214:215]
	s_delay_alu instid0(VALU_DEP_1) | instskip(NEXT) | instid1(VALU_DEP_1)
	v_fma_f64 v[216:217], -v[212:213], v[214:215], 1.0
	v_fma_f64 v[214:215], v[214:215], v[216:217], v[214:215]
	s_delay_alu instid0(VALU_DEP_1) | instskip(NEXT) | instid1(VALU_DEP_1)
	v_mul_f64 v[216:217], v[218:219], v[214:215]
	v_fma_f64 v[212:213], -v[212:213], v[216:217], v[218:219]
	s_delay_alu instid0(VALU_DEP_1) | instskip(NEXT) | instid1(VALU_DEP_1)
	v_div_fmas_f64 v[212:213], v[212:213], v[214:215], v[216:217]
	v_div_fixup_f64 v[212:213], v[212:213], v[230:231], v[228:229]
	s_delay_alu instid0(VALU_DEP_1) | instskip(NEXT) | instid1(VALU_DEP_1)
	v_fma_f64 v[214:215], v[228:229], v[212:213], v[230:231]
	v_div_scale_f64 v[216:217], null, v[214:215], v[214:215], 1.0
	s_delay_alu instid0(VALU_DEP_1) | instskip(SKIP_2) | instid1(VALU_DEP_1)
	v_rcp_f64_e32 v[218:219], v[216:217]
	s_waitcnt_depctr 0xfff
	v_fma_f64 v[220:221], -v[216:217], v[218:219], 1.0
	v_fma_f64 v[218:219], v[218:219], v[220:221], v[218:219]
	s_delay_alu instid0(VALU_DEP_1) | instskip(NEXT) | instid1(VALU_DEP_1)
	v_fma_f64 v[220:221], -v[216:217], v[218:219], 1.0
	v_fma_f64 v[218:219], v[218:219], v[220:221], v[218:219]
	v_div_scale_f64 v[220:221], vcc_lo, 1.0, v[214:215], 1.0
	s_delay_alu instid0(VALU_DEP_1) | instskip(NEXT) | instid1(VALU_DEP_1)
	v_mul_f64 v[222:223], v[220:221], v[218:219]
	v_fma_f64 v[216:217], -v[216:217], v[222:223], v[220:221]
	s_delay_alu instid0(VALU_DEP_1) | instskip(NEXT) | instid1(VALU_DEP_1)
	v_div_fmas_f64 v[216:217], v[216:217], v[218:219], v[222:223]
	v_div_fixup_f64 v[230:231], v[216:217], v[214:215], 1.0
	s_delay_alu instid0(VALU_DEP_1)
	v_mul_f64 v[228:229], v[212:213], v[230:231]
	v_xor_b32_e32 v231, 0x80000000, v231
.LBB112_721:
	s_and_not1_saveexec_b32 s2, s2
	s_cbranch_execz .LBB112_723
; %bb.722:
	s_delay_alu instid0(VALU_DEP_1) | instskip(SKIP_1) | instid1(VALU_DEP_2)
	v_div_scale_f64 v[212:213], null, v[228:229], v[228:229], v[230:231]
	v_div_scale_f64 v[218:219], vcc_lo, v[230:231], v[228:229], v[230:231]
	v_rcp_f64_e32 v[214:215], v[212:213]
	s_waitcnt_depctr 0xfff
	v_fma_f64 v[216:217], -v[212:213], v[214:215], 1.0
	s_delay_alu instid0(VALU_DEP_1) | instskip(NEXT) | instid1(VALU_DEP_1)
	v_fma_f64 v[214:215], v[214:215], v[216:217], v[214:215]
	v_fma_f64 v[216:217], -v[212:213], v[214:215], 1.0
	s_delay_alu instid0(VALU_DEP_1) | instskip(NEXT) | instid1(VALU_DEP_1)
	v_fma_f64 v[214:215], v[214:215], v[216:217], v[214:215]
	v_mul_f64 v[216:217], v[218:219], v[214:215]
	s_delay_alu instid0(VALU_DEP_1) | instskip(NEXT) | instid1(VALU_DEP_1)
	v_fma_f64 v[212:213], -v[212:213], v[216:217], v[218:219]
	v_div_fmas_f64 v[212:213], v[212:213], v[214:215], v[216:217]
	s_delay_alu instid0(VALU_DEP_1) | instskip(NEXT) | instid1(VALU_DEP_1)
	v_div_fixup_f64 v[212:213], v[212:213], v[228:229], v[230:231]
	v_fma_f64 v[214:215], v[230:231], v[212:213], v[228:229]
	s_delay_alu instid0(VALU_DEP_1) | instskip(NEXT) | instid1(VALU_DEP_1)
	v_div_scale_f64 v[216:217], null, v[214:215], v[214:215], 1.0
	v_rcp_f64_e32 v[218:219], v[216:217]
	s_waitcnt_depctr 0xfff
	v_fma_f64 v[220:221], -v[216:217], v[218:219], 1.0
	s_delay_alu instid0(VALU_DEP_1) | instskip(NEXT) | instid1(VALU_DEP_1)
	v_fma_f64 v[218:219], v[218:219], v[220:221], v[218:219]
	v_fma_f64 v[220:221], -v[216:217], v[218:219], 1.0
	s_delay_alu instid0(VALU_DEP_1) | instskip(SKIP_1) | instid1(VALU_DEP_1)
	v_fma_f64 v[218:219], v[218:219], v[220:221], v[218:219]
	v_div_scale_f64 v[220:221], vcc_lo, 1.0, v[214:215], 1.0
	v_mul_f64 v[222:223], v[220:221], v[218:219]
	s_delay_alu instid0(VALU_DEP_1) | instskip(NEXT) | instid1(VALU_DEP_1)
	v_fma_f64 v[216:217], -v[216:217], v[222:223], v[220:221]
	v_div_fmas_f64 v[216:217], v[216:217], v[218:219], v[222:223]
	s_delay_alu instid0(VALU_DEP_1) | instskip(NEXT) | instid1(VALU_DEP_1)
	v_div_fixup_f64 v[228:229], v[216:217], v[214:215], 1.0
	v_mul_f64 v[230:231], v[212:213], -v[228:229]
.LBB112_723:
	s_or_b32 exec_lo, exec_lo, s2
.LBB112_724:
	s_delay_alu instid0(SALU_CYCLE_1) | instskip(NEXT) | instid1(SALU_CYCLE_1)
	s_or_b32 exec_lo, exec_lo, s3
	s_mov_b32 s2, exec_lo
	v_cmpx_ne_u32_e64 v244, v236
	s_xor_b32 s2, exec_lo, s2
	s_cbranch_execz .LBB112_730
; %bb.725:
	s_mov_b32 s3, exec_lo
	v_cmpx_eq_u32_e32 34, v244
	s_cbranch_execz .LBB112_729
; %bb.726:
	v_cmp_ne_u32_e32 vcc_lo, 34, v236
	s_xor_b32 s4, s5, -1
	s_delay_alu instid0(SALU_CYCLE_1) | instskip(NEXT) | instid1(SALU_CYCLE_1)
	s_and_b32 s6, s4, vcc_lo
	s_and_saveexec_b32 s4, s6
	s_cbranch_execz .LBB112_728
; %bb.727:
	scratch_load_b64 v[10:11], off, off     ; 8-byte Folded Reload
	v_ashrrev_i32_e32 v237, 31, v236
	s_delay_alu instid0(VALU_DEP_1) | instskip(SKIP_1) | instid1(VALU_DEP_1)
	v_lshlrev_b64 v[212:213], 2, v[236:237]
	s_waitcnt vmcnt(0)
	v_add_co_u32 v212, vcc_lo, v10, v212
	s_delay_alu instid0(VALU_DEP_2)
	v_add_co_ci_u32_e32 v213, vcc_lo, v11, v213, vcc_lo
	s_clause 0x1
	flat_load_b32 v214, v[212:213]
	flat_load_b32 v215, v[10:11] offset:136
	s_waitcnt vmcnt(1) lgkmcnt(1)
	flat_store_b32 v[10:11], v214 offset:136
	s_waitcnt vmcnt(0) lgkmcnt(1)
	flat_store_b32 v[212:213], v215
.LBB112_728:
	s_or_b32 exec_lo, exec_lo, s4
	v_mov_b32_e32 v244, v236
	v_mov_b32_e32 v243, v236
.LBB112_729:
	s_or_b32 exec_lo, exec_lo, s3
.LBB112_730:
	s_and_not1_saveexec_b32 s2, s2
	s_cbranch_execz .LBB112_732
; %bb.731:
	v_mov_b32_e32 v244, 34
	ds_store_2addr_b64 v238, v[84:85], v[86:87] offset0:70 offset1:71
	ds_store_2addr_b64 v238, v[80:81], v[82:83] offset0:72 offset1:73
	;; [unrolled: 1-line block ×22, first 2 shown]
.LBB112_732:
	s_or_b32 exec_lo, exec_lo, s2
	s_delay_alu instid0(SALU_CYCLE_1)
	s_mov_b32 s2, exec_lo
	s_waitcnt lgkmcnt(0)
	s_waitcnt_vscnt null, 0x0
	s_barrier
	buffer_gl0_inv
	v_cmpx_lt_i32_e32 34, v244
	s_cbranch_execz .LBB112_734
; %bb.733:
	v_mul_f64 v[212:213], v[230:231], v[90:91]
	v_mul_f64 v[90:91], v[228:229], v[90:91]
	s_delay_alu instid0(VALU_DEP_2) | instskip(NEXT) | instid1(VALU_DEP_2)
	v_fma_f64 v[236:237], v[228:229], v[88:89], -v[212:213]
	v_fma_f64 v[90:91], v[230:231], v[88:89], v[90:91]
	ds_load_2addr_b64 v[228:231], v238 offset0:70 offset1:71
	s_waitcnt lgkmcnt(0)
	v_mul_f64 v[88:89], v[230:231], v[90:91]
	v_mul_f64 v[212:213], v[228:229], v[90:91]
	s_delay_alu instid0(VALU_DEP_2) | instskip(NEXT) | instid1(VALU_DEP_2)
	v_fma_f64 v[88:89], v[228:229], v[236:237], -v[88:89]
	v_fma_f64 v[212:213], v[230:231], v[236:237], v[212:213]
	ds_load_2addr_b64 v[228:231], v238 offset0:72 offset1:73
	v_add_f64 v[84:85], v[84:85], -v[88:89]
	v_add_f64 v[86:87], v[86:87], -v[212:213]
	s_waitcnt lgkmcnt(0)
	v_mul_f64 v[88:89], v[230:231], v[90:91]
	v_mul_f64 v[212:213], v[228:229], v[90:91]
	s_delay_alu instid0(VALU_DEP_2) | instskip(NEXT) | instid1(VALU_DEP_2)
	v_fma_f64 v[88:89], v[228:229], v[236:237], -v[88:89]
	v_fma_f64 v[212:213], v[230:231], v[236:237], v[212:213]
	ds_load_2addr_b64 v[228:231], v238 offset0:74 offset1:75
	v_add_f64 v[80:81], v[80:81], -v[88:89]
	v_add_f64 v[82:83], v[82:83], -v[212:213]
	s_waitcnt lgkmcnt(0)
	v_mul_f64 v[88:89], v[230:231], v[90:91]
	v_mul_f64 v[212:213], v[228:229], v[90:91]
	s_delay_alu instid0(VALU_DEP_2) | instskip(NEXT) | instid1(VALU_DEP_2)
	v_fma_f64 v[88:89], v[228:229], v[236:237], -v[88:89]
	v_fma_f64 v[212:213], v[230:231], v[236:237], v[212:213]
	ds_load_2addr_b64 v[228:231], v238 offset0:76 offset1:77
	v_add_f64 v[76:77], v[76:77], -v[88:89]
	v_add_f64 v[78:79], v[78:79], -v[212:213]
	s_waitcnt lgkmcnt(0)
	v_mul_f64 v[88:89], v[230:231], v[90:91]
	v_mul_f64 v[212:213], v[228:229], v[90:91]
	s_delay_alu instid0(VALU_DEP_2) | instskip(NEXT) | instid1(VALU_DEP_2)
	v_fma_f64 v[88:89], v[228:229], v[236:237], -v[88:89]
	v_fma_f64 v[212:213], v[230:231], v[236:237], v[212:213]
	ds_load_2addr_b64 v[228:231], v238 offset0:78 offset1:79
	v_add_f64 v[72:73], v[72:73], -v[88:89]
	v_add_f64 v[74:75], v[74:75], -v[212:213]
	s_waitcnt lgkmcnt(0)
	v_mul_f64 v[88:89], v[230:231], v[90:91]
	v_mul_f64 v[212:213], v[228:229], v[90:91]
	s_delay_alu instid0(VALU_DEP_2) | instskip(NEXT) | instid1(VALU_DEP_2)
	v_fma_f64 v[88:89], v[228:229], v[236:237], -v[88:89]
	v_fma_f64 v[212:213], v[230:231], v[236:237], v[212:213]
	ds_load_2addr_b64 v[228:231], v238 offset0:80 offset1:81
	v_add_f64 v[68:69], v[68:69], -v[88:89]
	v_add_f64 v[70:71], v[70:71], -v[212:213]
	s_waitcnt lgkmcnt(0)
	v_mul_f64 v[88:89], v[230:231], v[90:91]
	v_mul_f64 v[212:213], v[228:229], v[90:91]
	s_delay_alu instid0(VALU_DEP_2) | instskip(NEXT) | instid1(VALU_DEP_2)
	v_fma_f64 v[88:89], v[228:229], v[236:237], -v[88:89]
	v_fma_f64 v[212:213], v[230:231], v[236:237], v[212:213]
	ds_load_2addr_b64 v[228:231], v238 offset0:82 offset1:83
	v_add_f64 v[64:65], v[64:65], -v[88:89]
	v_add_f64 v[66:67], v[66:67], -v[212:213]
	s_waitcnt lgkmcnt(0)
	v_mul_f64 v[88:89], v[230:231], v[90:91]
	v_mul_f64 v[212:213], v[228:229], v[90:91]
	s_delay_alu instid0(VALU_DEP_2) | instskip(NEXT) | instid1(VALU_DEP_2)
	v_fma_f64 v[88:89], v[228:229], v[236:237], -v[88:89]
	v_fma_f64 v[212:213], v[230:231], v[236:237], v[212:213]
	ds_load_2addr_b64 v[228:231], v238 offset0:84 offset1:85
	v_add_f64 v[60:61], v[60:61], -v[88:89]
	v_add_f64 v[62:63], v[62:63], -v[212:213]
	s_waitcnt lgkmcnt(0)
	v_mul_f64 v[88:89], v[230:231], v[90:91]
	v_mul_f64 v[212:213], v[228:229], v[90:91]
	s_delay_alu instid0(VALU_DEP_2) | instskip(NEXT) | instid1(VALU_DEP_2)
	v_fma_f64 v[88:89], v[228:229], v[236:237], -v[88:89]
	v_fma_f64 v[212:213], v[230:231], v[236:237], v[212:213]
	ds_load_2addr_b64 v[228:231], v238 offset0:86 offset1:87
	v_add_f64 v[56:57], v[56:57], -v[88:89]
	v_add_f64 v[58:59], v[58:59], -v[212:213]
	s_waitcnt lgkmcnt(0)
	v_mul_f64 v[88:89], v[230:231], v[90:91]
	v_mul_f64 v[212:213], v[228:229], v[90:91]
	s_delay_alu instid0(VALU_DEP_2) | instskip(NEXT) | instid1(VALU_DEP_2)
	v_fma_f64 v[88:89], v[228:229], v[236:237], -v[88:89]
	v_fma_f64 v[212:213], v[230:231], v[236:237], v[212:213]
	ds_load_2addr_b64 v[228:231], v238 offset0:88 offset1:89
	v_add_f64 v[52:53], v[52:53], -v[88:89]
	v_add_f64 v[54:55], v[54:55], -v[212:213]
	s_waitcnt lgkmcnt(0)
	v_mul_f64 v[88:89], v[230:231], v[90:91]
	v_mul_f64 v[212:213], v[228:229], v[90:91]
	s_delay_alu instid0(VALU_DEP_2) | instskip(NEXT) | instid1(VALU_DEP_2)
	v_fma_f64 v[88:89], v[228:229], v[236:237], -v[88:89]
	v_fma_f64 v[212:213], v[230:231], v[236:237], v[212:213]
	ds_load_2addr_b64 v[228:231], v238 offset0:90 offset1:91
	v_add_f64 v[48:49], v[48:49], -v[88:89]
	v_add_f64 v[50:51], v[50:51], -v[212:213]
	s_waitcnt lgkmcnt(0)
	v_mul_f64 v[88:89], v[230:231], v[90:91]
	v_mul_f64 v[212:213], v[228:229], v[90:91]
	s_delay_alu instid0(VALU_DEP_2) | instskip(NEXT) | instid1(VALU_DEP_2)
	v_fma_f64 v[88:89], v[228:229], v[236:237], -v[88:89]
	v_fma_f64 v[212:213], v[230:231], v[236:237], v[212:213]
	ds_load_2addr_b64 v[228:231], v238 offset0:92 offset1:93
	v_add_f64 v[44:45], v[44:45], -v[88:89]
	v_add_f64 v[46:47], v[46:47], -v[212:213]
	s_waitcnt lgkmcnt(0)
	v_mul_f64 v[88:89], v[230:231], v[90:91]
	v_mul_f64 v[212:213], v[228:229], v[90:91]
	s_delay_alu instid0(VALU_DEP_2) | instskip(NEXT) | instid1(VALU_DEP_2)
	v_fma_f64 v[88:89], v[228:229], v[236:237], -v[88:89]
	v_fma_f64 v[212:213], v[230:231], v[236:237], v[212:213]
	ds_load_2addr_b64 v[228:231], v238 offset0:94 offset1:95
	v_add_f64 v[40:41], v[40:41], -v[88:89]
	v_add_f64 v[42:43], v[42:43], -v[212:213]
	s_waitcnt lgkmcnt(0)
	v_mul_f64 v[88:89], v[230:231], v[90:91]
	v_mul_f64 v[212:213], v[228:229], v[90:91]
	s_delay_alu instid0(VALU_DEP_2) | instskip(NEXT) | instid1(VALU_DEP_2)
	v_fma_f64 v[88:89], v[228:229], v[236:237], -v[88:89]
	v_fma_f64 v[212:213], v[230:231], v[236:237], v[212:213]
	ds_load_2addr_b64 v[228:231], v238 offset0:96 offset1:97
	v_add_f64 v[36:37], v[36:37], -v[88:89]
	v_add_f64 v[38:39], v[38:39], -v[212:213]
	s_waitcnt lgkmcnt(0)
	v_mul_f64 v[88:89], v[230:231], v[90:91]
	v_mul_f64 v[212:213], v[228:229], v[90:91]
	s_delay_alu instid0(VALU_DEP_2) | instskip(NEXT) | instid1(VALU_DEP_2)
	v_fma_f64 v[88:89], v[228:229], v[236:237], -v[88:89]
	v_fma_f64 v[212:213], v[230:231], v[236:237], v[212:213]
	ds_load_2addr_b64 v[228:231], v238 offset0:98 offset1:99
	v_add_f64 v[32:33], v[32:33], -v[88:89]
	v_add_f64 v[34:35], v[34:35], -v[212:213]
	s_waitcnt lgkmcnt(0)
	v_mul_f64 v[88:89], v[230:231], v[90:91]
	v_mul_f64 v[212:213], v[228:229], v[90:91]
	s_delay_alu instid0(VALU_DEP_2) | instskip(NEXT) | instid1(VALU_DEP_2)
	v_fma_f64 v[88:89], v[228:229], v[236:237], -v[88:89]
	v_fma_f64 v[212:213], v[230:231], v[236:237], v[212:213]
	ds_load_2addr_b64 v[228:231], v238 offset0:100 offset1:101
	v_add_f64 v[28:29], v[28:29], -v[88:89]
	v_add_f64 v[30:31], v[30:31], -v[212:213]
	s_waitcnt lgkmcnt(0)
	v_mul_f64 v[88:89], v[230:231], v[90:91]
	v_mul_f64 v[212:213], v[228:229], v[90:91]
	s_delay_alu instid0(VALU_DEP_2) | instskip(NEXT) | instid1(VALU_DEP_2)
	v_fma_f64 v[88:89], v[228:229], v[236:237], -v[88:89]
	v_fma_f64 v[212:213], v[230:231], v[236:237], v[212:213]
	ds_load_2addr_b64 v[228:231], v238 offset0:102 offset1:103
	v_add_f64 v[24:25], v[24:25], -v[88:89]
	v_add_f64 v[26:27], v[26:27], -v[212:213]
	s_waitcnt lgkmcnt(0)
	v_mul_f64 v[88:89], v[230:231], v[90:91]
	v_mul_f64 v[212:213], v[228:229], v[90:91]
	s_delay_alu instid0(VALU_DEP_2) | instskip(NEXT) | instid1(VALU_DEP_2)
	v_fma_f64 v[88:89], v[228:229], v[236:237], -v[88:89]
	v_fma_f64 v[212:213], v[230:231], v[236:237], v[212:213]
	ds_load_2addr_b64 v[228:231], v238 offset0:104 offset1:105
	v_add_f64 v[20:21], v[20:21], -v[88:89]
	v_add_f64 v[22:23], v[22:23], -v[212:213]
	s_waitcnt lgkmcnt(0)
	v_mul_f64 v[88:89], v[230:231], v[90:91]
	v_mul_f64 v[212:213], v[228:229], v[90:91]
	s_delay_alu instid0(VALU_DEP_2) | instskip(NEXT) | instid1(VALU_DEP_2)
	v_fma_f64 v[88:89], v[228:229], v[236:237], -v[88:89]
	v_fma_f64 v[212:213], v[230:231], v[236:237], v[212:213]
	ds_load_2addr_b64 v[228:231], v238 offset0:106 offset1:107
	v_add_f64 v[16:17], v[16:17], -v[88:89]
	v_add_f64 v[18:19], v[18:19], -v[212:213]
	s_waitcnt lgkmcnt(0)
	v_mul_f64 v[88:89], v[230:231], v[90:91]
	v_mul_f64 v[212:213], v[228:229], v[90:91]
	s_delay_alu instid0(VALU_DEP_2) | instskip(NEXT) | instid1(VALU_DEP_2)
	v_fma_f64 v[88:89], v[228:229], v[236:237], -v[88:89]
	v_fma_f64 v[212:213], v[230:231], v[236:237], v[212:213]
	ds_load_2addr_b64 v[228:231], v238 offset0:108 offset1:109
	v_add_f64 v[12:13], v[12:13], -v[88:89]
	v_add_f64 v[14:15], v[14:15], -v[212:213]
	s_waitcnt lgkmcnt(0)
	v_mul_f64 v[88:89], v[230:231], v[90:91]
	v_mul_f64 v[212:213], v[228:229], v[90:91]
	s_delay_alu instid0(VALU_DEP_2) | instskip(NEXT) | instid1(VALU_DEP_2)
	v_fma_f64 v[88:89], v[228:229], v[236:237], -v[88:89]
	v_fma_f64 v[212:213], v[230:231], v[236:237], v[212:213]
	ds_load_2addr_b64 v[228:231], v238 offset0:110 offset1:111
	v_add_f64 v[224:225], v[224:225], -v[88:89]
	v_add_f64 v[226:227], v[226:227], -v[212:213]
	s_waitcnt lgkmcnt(0)
	v_mul_f64 v[88:89], v[230:231], v[90:91]
	v_mul_f64 v[212:213], v[228:229], v[90:91]
	s_delay_alu instid0(VALU_DEP_2) | instskip(NEXT) | instid1(VALU_DEP_2)
	v_fma_f64 v[88:89], v[228:229], v[236:237], -v[88:89]
	v_fma_f64 v[212:213], v[230:231], v[236:237], v[212:213]
	ds_load_2addr_b64 v[228:231], v238 offset0:112 offset1:113
	v_add_f64 v[250:251], v[250:251], -v[88:89]
	v_add_f64 v[252:253], v[252:253], -v[212:213]
	s_waitcnt lgkmcnt(0)
	v_mul_f64 v[88:89], v[230:231], v[90:91]
	v_mul_f64 v[212:213], v[228:229], v[90:91]
	s_delay_alu instid0(VALU_DEP_2) | instskip(NEXT) | instid1(VALU_DEP_2)
	v_fma_f64 v[88:89], v[228:229], v[236:237], -v[88:89]
	v_fma_f64 v[212:213], v[230:231], v[236:237], v[212:213]
	s_delay_alu instid0(VALU_DEP_2) | instskip(NEXT) | instid1(VALU_DEP_2)
	v_add_f64 v[0:1], v[0:1], -v[88:89]
	v_add_f64 v[2:3], v[2:3], -v[212:213]
	v_dual_mov_b32 v88, v236 :: v_dual_mov_b32 v89, v237
.LBB112_734:
	s_or_b32 exec_lo, exec_lo, s2
	v_lshl_add_u32 v212, v244, 4, v238
	s_barrier
	buffer_gl0_inv
	v_mov_b32_e32 v236, 35
	ds_store_2addr_b64 v212, v[84:85], v[86:87] offset1:1
	s_waitcnt lgkmcnt(0)
	s_barrier
	buffer_gl0_inv
	ds_load_2addr_b64 v[228:231], v238 offset0:70 offset1:71
	s_cmp_lt_i32 s12, 37
	s_cbranch_scc1 .LBB112_737
; %bb.735:
	v_add3_u32 v237, v242, 0, 0x240
	v_mov_b32_e32 v236, 35
	s_mov_b32 s2, 36
	s_set_inst_prefetch_distance 0x1
	.p2align	6
.LBB112_736:                            ; =>This Inner Loop Header: Depth=1
	s_waitcnt lgkmcnt(0)
	v_cmp_gt_f64_e32 vcc_lo, 0, v[228:229]
	v_xor_b32_e32 v212, 0x80000000, v229
	v_xor_b32_e32 v214, 0x80000000, v231
	ds_load_2addr_b64 v[245:248], v237 offset1:1
	v_add_nc_u32_e32 v237, 16, v237
	s_waitcnt lgkmcnt(0)
	v_xor_b32_e32 v216, 0x80000000, v248
	v_cndmask_b32_e32 v213, v229, v212, vcc_lo
	v_cndmask_b32_e32 v212, v228, v228, vcc_lo
	v_cmp_gt_f64_e32 vcc_lo, 0, v[230:231]
	v_cndmask_b32_e32 v215, v231, v214, vcc_lo
	v_cndmask_b32_e32 v214, v230, v230, vcc_lo
	v_cmp_gt_f64_e32 vcc_lo, 0, v[245:246]
	s_delay_alu instid0(VALU_DEP_2) | instskip(SKIP_1) | instid1(VALU_DEP_1)
	v_add_f64 v[212:213], v[212:213], v[214:215]
	v_xor_b32_e32 v214, 0x80000000, v246
	v_dual_cndmask_b32 v215, v246, v214 :: v_dual_mov_b32 v214, v245
	v_cmp_gt_f64_e32 vcc_lo, 0, v[247:248]
	v_dual_cndmask_b32 v217, v248, v216 :: v_dual_mov_b32 v216, v247
	s_delay_alu instid0(VALU_DEP_1) | instskip(NEXT) | instid1(VALU_DEP_1)
	v_add_f64 v[214:215], v[214:215], v[216:217]
	v_cmp_lt_f64_e32 vcc_lo, v[212:213], v[214:215]
	v_dual_cndmask_b32 v229, v229, v246 :: v_dual_cndmask_b32 v228, v228, v245
	v_dual_cndmask_b32 v231, v231, v248 :: v_dual_cndmask_b32 v230, v230, v247
	v_cndmask_b32_e64 v236, v236, s2, vcc_lo
	s_add_i32 s2, s2, 1
	s_delay_alu instid0(SALU_CYCLE_1)
	s_cmp_lg_u32 s12, s2
	s_cbranch_scc1 .LBB112_736
.LBB112_737:
	s_set_inst_prefetch_distance 0x2
	s_waitcnt lgkmcnt(0)
	v_cmp_eq_f64_e32 vcc_lo, 0, v[228:229]
	v_cmp_eq_f64_e64 s2, 0, v[230:231]
	s_delay_alu instid0(VALU_DEP_1) | instskip(NEXT) | instid1(SALU_CYCLE_1)
	s_and_b32 s2, vcc_lo, s2
	s_and_saveexec_b32 s3, s2
	s_delay_alu instid0(SALU_CYCLE_1)
	s_xor_b32 s2, exec_lo, s3
; %bb.738:
	v_cmp_ne_u32_e32 vcc_lo, 0, v241
	v_cndmask_b32_e32 v241, 36, v241, vcc_lo
; %bb.739:
	s_and_not1_saveexec_b32 s3, s2
	s_cbranch_execz .LBB112_745
; %bb.740:
	v_cmp_gt_f64_e32 vcc_lo, 0, v[228:229]
	v_cmp_gt_f64_e64 s2, 0, v[230:231]
	v_xor_b32_e32 v212, 0x80000000, v229
	v_xor_b32_e32 v214, 0x80000000, v231
	s_delay_alu instid0(VALU_DEP_2) | instskip(NEXT) | instid1(VALU_DEP_2)
	v_cndmask_b32_e32 v213, v229, v212, vcc_lo
	v_cndmask_b32_e64 v215, v231, v214, s2
	v_cndmask_b32_e32 v212, v228, v228, vcc_lo
	v_cndmask_b32_e64 v214, v230, v230, s2
	s_mov_b32 s2, exec_lo
	s_delay_alu instid0(VALU_DEP_1)
	v_cmpx_ngt_f64_e32 v[212:213], v[214:215]
	s_xor_b32 s2, exec_lo, s2
	s_cbranch_execz .LBB112_742
; %bb.741:
	v_div_scale_f64 v[212:213], null, v[230:231], v[230:231], v[228:229]
	v_div_scale_f64 v[218:219], vcc_lo, v[228:229], v[230:231], v[228:229]
	s_delay_alu instid0(VALU_DEP_2) | instskip(SKIP_2) | instid1(VALU_DEP_1)
	v_rcp_f64_e32 v[214:215], v[212:213]
	s_waitcnt_depctr 0xfff
	v_fma_f64 v[216:217], -v[212:213], v[214:215], 1.0
	v_fma_f64 v[214:215], v[214:215], v[216:217], v[214:215]
	s_delay_alu instid0(VALU_DEP_1) | instskip(NEXT) | instid1(VALU_DEP_1)
	v_fma_f64 v[216:217], -v[212:213], v[214:215], 1.0
	v_fma_f64 v[214:215], v[214:215], v[216:217], v[214:215]
	s_delay_alu instid0(VALU_DEP_1) | instskip(NEXT) | instid1(VALU_DEP_1)
	v_mul_f64 v[216:217], v[218:219], v[214:215]
	v_fma_f64 v[212:213], -v[212:213], v[216:217], v[218:219]
	s_delay_alu instid0(VALU_DEP_1) | instskip(NEXT) | instid1(VALU_DEP_1)
	v_div_fmas_f64 v[212:213], v[212:213], v[214:215], v[216:217]
	v_div_fixup_f64 v[212:213], v[212:213], v[230:231], v[228:229]
	s_delay_alu instid0(VALU_DEP_1) | instskip(NEXT) | instid1(VALU_DEP_1)
	v_fma_f64 v[214:215], v[228:229], v[212:213], v[230:231]
	v_div_scale_f64 v[216:217], null, v[214:215], v[214:215], 1.0
	s_delay_alu instid0(VALU_DEP_1) | instskip(SKIP_2) | instid1(VALU_DEP_1)
	v_rcp_f64_e32 v[218:219], v[216:217]
	s_waitcnt_depctr 0xfff
	v_fma_f64 v[220:221], -v[216:217], v[218:219], 1.0
	v_fma_f64 v[218:219], v[218:219], v[220:221], v[218:219]
	s_delay_alu instid0(VALU_DEP_1) | instskip(NEXT) | instid1(VALU_DEP_1)
	v_fma_f64 v[220:221], -v[216:217], v[218:219], 1.0
	v_fma_f64 v[218:219], v[218:219], v[220:221], v[218:219]
	v_div_scale_f64 v[220:221], vcc_lo, 1.0, v[214:215], 1.0
	s_delay_alu instid0(VALU_DEP_1) | instskip(NEXT) | instid1(VALU_DEP_1)
	v_mul_f64 v[222:223], v[220:221], v[218:219]
	v_fma_f64 v[216:217], -v[216:217], v[222:223], v[220:221]
	s_delay_alu instid0(VALU_DEP_1) | instskip(NEXT) | instid1(VALU_DEP_1)
	v_div_fmas_f64 v[216:217], v[216:217], v[218:219], v[222:223]
	v_div_fixup_f64 v[230:231], v[216:217], v[214:215], 1.0
	s_delay_alu instid0(VALU_DEP_1)
	v_mul_f64 v[228:229], v[212:213], v[230:231]
	v_xor_b32_e32 v231, 0x80000000, v231
.LBB112_742:
	s_and_not1_saveexec_b32 s2, s2
	s_cbranch_execz .LBB112_744
; %bb.743:
	s_delay_alu instid0(VALU_DEP_1) | instskip(SKIP_1) | instid1(VALU_DEP_2)
	v_div_scale_f64 v[212:213], null, v[228:229], v[228:229], v[230:231]
	v_div_scale_f64 v[218:219], vcc_lo, v[230:231], v[228:229], v[230:231]
	v_rcp_f64_e32 v[214:215], v[212:213]
	s_waitcnt_depctr 0xfff
	v_fma_f64 v[216:217], -v[212:213], v[214:215], 1.0
	s_delay_alu instid0(VALU_DEP_1) | instskip(NEXT) | instid1(VALU_DEP_1)
	v_fma_f64 v[214:215], v[214:215], v[216:217], v[214:215]
	v_fma_f64 v[216:217], -v[212:213], v[214:215], 1.0
	s_delay_alu instid0(VALU_DEP_1) | instskip(NEXT) | instid1(VALU_DEP_1)
	v_fma_f64 v[214:215], v[214:215], v[216:217], v[214:215]
	v_mul_f64 v[216:217], v[218:219], v[214:215]
	s_delay_alu instid0(VALU_DEP_1) | instskip(NEXT) | instid1(VALU_DEP_1)
	v_fma_f64 v[212:213], -v[212:213], v[216:217], v[218:219]
	v_div_fmas_f64 v[212:213], v[212:213], v[214:215], v[216:217]
	s_delay_alu instid0(VALU_DEP_1) | instskip(NEXT) | instid1(VALU_DEP_1)
	v_div_fixup_f64 v[212:213], v[212:213], v[228:229], v[230:231]
	v_fma_f64 v[214:215], v[230:231], v[212:213], v[228:229]
	s_delay_alu instid0(VALU_DEP_1) | instskip(NEXT) | instid1(VALU_DEP_1)
	v_div_scale_f64 v[216:217], null, v[214:215], v[214:215], 1.0
	v_rcp_f64_e32 v[218:219], v[216:217]
	s_waitcnt_depctr 0xfff
	v_fma_f64 v[220:221], -v[216:217], v[218:219], 1.0
	s_delay_alu instid0(VALU_DEP_1) | instskip(NEXT) | instid1(VALU_DEP_1)
	v_fma_f64 v[218:219], v[218:219], v[220:221], v[218:219]
	v_fma_f64 v[220:221], -v[216:217], v[218:219], 1.0
	s_delay_alu instid0(VALU_DEP_1) | instskip(SKIP_1) | instid1(VALU_DEP_1)
	v_fma_f64 v[218:219], v[218:219], v[220:221], v[218:219]
	v_div_scale_f64 v[220:221], vcc_lo, 1.0, v[214:215], 1.0
	v_mul_f64 v[222:223], v[220:221], v[218:219]
	s_delay_alu instid0(VALU_DEP_1) | instskip(NEXT) | instid1(VALU_DEP_1)
	v_fma_f64 v[216:217], -v[216:217], v[222:223], v[220:221]
	v_div_fmas_f64 v[216:217], v[216:217], v[218:219], v[222:223]
	s_delay_alu instid0(VALU_DEP_1) | instskip(NEXT) | instid1(VALU_DEP_1)
	v_div_fixup_f64 v[228:229], v[216:217], v[214:215], 1.0
	v_mul_f64 v[230:231], v[212:213], -v[228:229]
.LBB112_744:
	s_or_b32 exec_lo, exec_lo, s2
.LBB112_745:
	s_delay_alu instid0(SALU_CYCLE_1) | instskip(NEXT) | instid1(SALU_CYCLE_1)
	s_or_b32 exec_lo, exec_lo, s3
	s_mov_b32 s2, exec_lo
	v_cmpx_ne_u32_e64 v244, v236
	s_xor_b32 s2, exec_lo, s2
	s_cbranch_execz .LBB112_751
; %bb.746:
	s_mov_b32 s3, exec_lo
	v_cmpx_eq_u32_e32 35, v244
	s_cbranch_execz .LBB112_750
; %bb.747:
	v_cmp_ne_u32_e32 vcc_lo, 35, v236
	s_xor_b32 s4, s5, -1
	s_delay_alu instid0(SALU_CYCLE_1) | instskip(NEXT) | instid1(SALU_CYCLE_1)
	s_and_b32 s6, s4, vcc_lo
	s_and_saveexec_b32 s4, s6
	s_cbranch_execz .LBB112_749
; %bb.748:
	scratch_load_b64 v[10:11], off, off     ; 8-byte Folded Reload
	v_ashrrev_i32_e32 v237, 31, v236
	s_delay_alu instid0(VALU_DEP_1) | instskip(SKIP_1) | instid1(VALU_DEP_1)
	v_lshlrev_b64 v[212:213], 2, v[236:237]
	s_waitcnt vmcnt(0)
	v_add_co_u32 v212, vcc_lo, v10, v212
	s_delay_alu instid0(VALU_DEP_2)
	v_add_co_ci_u32_e32 v213, vcc_lo, v11, v213, vcc_lo
	s_clause 0x1
	flat_load_b32 v214, v[212:213]
	flat_load_b32 v215, v[10:11] offset:140
	s_waitcnt vmcnt(1) lgkmcnt(1)
	flat_store_b32 v[10:11], v214 offset:140
	s_waitcnt vmcnt(0) lgkmcnt(1)
	flat_store_b32 v[212:213], v215
.LBB112_749:
	s_or_b32 exec_lo, exec_lo, s4
	v_mov_b32_e32 v244, v236
	v_mov_b32_e32 v243, v236
.LBB112_750:
	s_or_b32 exec_lo, exec_lo, s3
.LBB112_751:
	s_and_not1_saveexec_b32 s2, s2
	s_cbranch_execz .LBB112_753
; %bb.752:
	v_mov_b32_e32 v244, 35
	ds_store_2addr_b64 v238, v[80:81], v[82:83] offset0:72 offset1:73
	ds_store_2addr_b64 v238, v[76:77], v[78:79] offset0:74 offset1:75
	;; [unrolled: 1-line block ×21, first 2 shown]
.LBB112_753:
	s_or_b32 exec_lo, exec_lo, s2
	s_delay_alu instid0(SALU_CYCLE_1)
	s_mov_b32 s2, exec_lo
	s_waitcnt lgkmcnt(0)
	s_waitcnt_vscnt null, 0x0
	s_barrier
	buffer_gl0_inv
	v_cmpx_lt_i32_e32 35, v244
	s_cbranch_execz .LBB112_755
; %bb.754:
	v_mul_f64 v[212:213], v[230:231], v[86:87]
	v_mul_f64 v[86:87], v[228:229], v[86:87]
	s_delay_alu instid0(VALU_DEP_2) | instskip(NEXT) | instid1(VALU_DEP_2)
	v_fma_f64 v[236:237], v[228:229], v[84:85], -v[212:213]
	v_fma_f64 v[86:87], v[230:231], v[84:85], v[86:87]
	ds_load_2addr_b64 v[228:231], v238 offset0:72 offset1:73
	s_waitcnt lgkmcnt(0)
	v_mul_f64 v[84:85], v[230:231], v[86:87]
	v_mul_f64 v[212:213], v[228:229], v[86:87]
	s_delay_alu instid0(VALU_DEP_2) | instskip(NEXT) | instid1(VALU_DEP_2)
	v_fma_f64 v[84:85], v[228:229], v[236:237], -v[84:85]
	v_fma_f64 v[212:213], v[230:231], v[236:237], v[212:213]
	ds_load_2addr_b64 v[228:231], v238 offset0:74 offset1:75
	v_add_f64 v[80:81], v[80:81], -v[84:85]
	v_add_f64 v[82:83], v[82:83], -v[212:213]
	s_waitcnt lgkmcnt(0)
	v_mul_f64 v[84:85], v[230:231], v[86:87]
	v_mul_f64 v[212:213], v[228:229], v[86:87]
	s_delay_alu instid0(VALU_DEP_2) | instskip(NEXT) | instid1(VALU_DEP_2)
	v_fma_f64 v[84:85], v[228:229], v[236:237], -v[84:85]
	v_fma_f64 v[212:213], v[230:231], v[236:237], v[212:213]
	ds_load_2addr_b64 v[228:231], v238 offset0:76 offset1:77
	v_add_f64 v[76:77], v[76:77], -v[84:85]
	v_add_f64 v[78:79], v[78:79], -v[212:213]
	;; [unrolled: 9-line block ×20, first 2 shown]
	s_waitcnt lgkmcnt(0)
	v_mul_f64 v[84:85], v[230:231], v[86:87]
	v_mul_f64 v[212:213], v[228:229], v[86:87]
	s_delay_alu instid0(VALU_DEP_2) | instskip(NEXT) | instid1(VALU_DEP_2)
	v_fma_f64 v[84:85], v[228:229], v[236:237], -v[84:85]
	v_fma_f64 v[212:213], v[230:231], v[236:237], v[212:213]
	s_delay_alu instid0(VALU_DEP_2) | instskip(NEXT) | instid1(VALU_DEP_2)
	v_add_f64 v[0:1], v[0:1], -v[84:85]
	v_add_f64 v[2:3], v[2:3], -v[212:213]
	v_dual_mov_b32 v84, v236 :: v_dual_mov_b32 v85, v237
.LBB112_755:
	s_or_b32 exec_lo, exec_lo, s2
	v_lshl_add_u32 v212, v244, 4, v238
	s_barrier
	buffer_gl0_inv
	v_mov_b32_e32 v236, 36
	ds_store_2addr_b64 v212, v[80:81], v[82:83] offset1:1
	s_waitcnt lgkmcnt(0)
	s_barrier
	buffer_gl0_inv
	ds_load_2addr_b64 v[228:231], v238 offset0:72 offset1:73
	s_cmp_lt_i32 s12, 38
	s_cbranch_scc1 .LBB112_758
; %bb.756:
	v_add3_u32 v237, v242, 0, 0x250
	v_mov_b32_e32 v236, 36
	s_mov_b32 s2, 37
	s_set_inst_prefetch_distance 0x1
	.p2align	6
.LBB112_757:                            ; =>This Inner Loop Header: Depth=1
	s_waitcnt lgkmcnt(0)
	v_cmp_gt_f64_e32 vcc_lo, 0, v[228:229]
	v_xor_b32_e32 v212, 0x80000000, v229
	v_xor_b32_e32 v214, 0x80000000, v231
	ds_load_2addr_b64 v[245:248], v237 offset1:1
	v_add_nc_u32_e32 v237, 16, v237
	s_waitcnt lgkmcnt(0)
	v_xor_b32_e32 v216, 0x80000000, v248
	v_cndmask_b32_e32 v213, v229, v212, vcc_lo
	v_cndmask_b32_e32 v212, v228, v228, vcc_lo
	v_cmp_gt_f64_e32 vcc_lo, 0, v[230:231]
	v_cndmask_b32_e32 v215, v231, v214, vcc_lo
	v_cndmask_b32_e32 v214, v230, v230, vcc_lo
	v_cmp_gt_f64_e32 vcc_lo, 0, v[245:246]
	s_delay_alu instid0(VALU_DEP_2) | instskip(SKIP_1) | instid1(VALU_DEP_1)
	v_add_f64 v[212:213], v[212:213], v[214:215]
	v_xor_b32_e32 v214, 0x80000000, v246
	v_dual_cndmask_b32 v215, v246, v214 :: v_dual_mov_b32 v214, v245
	v_cmp_gt_f64_e32 vcc_lo, 0, v[247:248]
	v_dual_cndmask_b32 v217, v248, v216 :: v_dual_mov_b32 v216, v247
	s_delay_alu instid0(VALU_DEP_1) | instskip(NEXT) | instid1(VALU_DEP_1)
	v_add_f64 v[214:215], v[214:215], v[216:217]
	v_cmp_lt_f64_e32 vcc_lo, v[212:213], v[214:215]
	v_dual_cndmask_b32 v229, v229, v246 :: v_dual_cndmask_b32 v228, v228, v245
	v_dual_cndmask_b32 v231, v231, v248 :: v_dual_cndmask_b32 v230, v230, v247
	v_cndmask_b32_e64 v236, v236, s2, vcc_lo
	s_add_i32 s2, s2, 1
	s_delay_alu instid0(SALU_CYCLE_1)
	s_cmp_lg_u32 s12, s2
	s_cbranch_scc1 .LBB112_757
.LBB112_758:
	s_set_inst_prefetch_distance 0x2
	s_waitcnt lgkmcnt(0)
	v_cmp_eq_f64_e32 vcc_lo, 0, v[228:229]
	v_cmp_eq_f64_e64 s2, 0, v[230:231]
	s_delay_alu instid0(VALU_DEP_1) | instskip(NEXT) | instid1(SALU_CYCLE_1)
	s_and_b32 s2, vcc_lo, s2
	s_and_saveexec_b32 s3, s2
	s_delay_alu instid0(SALU_CYCLE_1)
	s_xor_b32 s2, exec_lo, s3
; %bb.759:
	v_cmp_ne_u32_e32 vcc_lo, 0, v241
	v_cndmask_b32_e32 v241, 37, v241, vcc_lo
; %bb.760:
	s_and_not1_saveexec_b32 s3, s2
	s_cbranch_execz .LBB112_766
; %bb.761:
	v_cmp_gt_f64_e32 vcc_lo, 0, v[228:229]
	v_cmp_gt_f64_e64 s2, 0, v[230:231]
	v_xor_b32_e32 v212, 0x80000000, v229
	v_xor_b32_e32 v214, 0x80000000, v231
	s_delay_alu instid0(VALU_DEP_2) | instskip(NEXT) | instid1(VALU_DEP_2)
	v_cndmask_b32_e32 v213, v229, v212, vcc_lo
	v_cndmask_b32_e64 v215, v231, v214, s2
	v_cndmask_b32_e32 v212, v228, v228, vcc_lo
	v_cndmask_b32_e64 v214, v230, v230, s2
	s_mov_b32 s2, exec_lo
	s_delay_alu instid0(VALU_DEP_1)
	v_cmpx_ngt_f64_e32 v[212:213], v[214:215]
	s_xor_b32 s2, exec_lo, s2
	s_cbranch_execz .LBB112_763
; %bb.762:
	v_div_scale_f64 v[212:213], null, v[230:231], v[230:231], v[228:229]
	v_div_scale_f64 v[218:219], vcc_lo, v[228:229], v[230:231], v[228:229]
	s_delay_alu instid0(VALU_DEP_2) | instskip(SKIP_2) | instid1(VALU_DEP_1)
	v_rcp_f64_e32 v[214:215], v[212:213]
	s_waitcnt_depctr 0xfff
	v_fma_f64 v[216:217], -v[212:213], v[214:215], 1.0
	v_fma_f64 v[214:215], v[214:215], v[216:217], v[214:215]
	s_delay_alu instid0(VALU_DEP_1) | instskip(NEXT) | instid1(VALU_DEP_1)
	v_fma_f64 v[216:217], -v[212:213], v[214:215], 1.0
	v_fma_f64 v[214:215], v[214:215], v[216:217], v[214:215]
	s_delay_alu instid0(VALU_DEP_1) | instskip(NEXT) | instid1(VALU_DEP_1)
	v_mul_f64 v[216:217], v[218:219], v[214:215]
	v_fma_f64 v[212:213], -v[212:213], v[216:217], v[218:219]
	s_delay_alu instid0(VALU_DEP_1) | instskip(NEXT) | instid1(VALU_DEP_1)
	v_div_fmas_f64 v[212:213], v[212:213], v[214:215], v[216:217]
	v_div_fixup_f64 v[212:213], v[212:213], v[230:231], v[228:229]
	s_delay_alu instid0(VALU_DEP_1) | instskip(NEXT) | instid1(VALU_DEP_1)
	v_fma_f64 v[214:215], v[228:229], v[212:213], v[230:231]
	v_div_scale_f64 v[216:217], null, v[214:215], v[214:215], 1.0
	s_delay_alu instid0(VALU_DEP_1) | instskip(SKIP_2) | instid1(VALU_DEP_1)
	v_rcp_f64_e32 v[218:219], v[216:217]
	s_waitcnt_depctr 0xfff
	v_fma_f64 v[220:221], -v[216:217], v[218:219], 1.0
	v_fma_f64 v[218:219], v[218:219], v[220:221], v[218:219]
	s_delay_alu instid0(VALU_DEP_1) | instskip(NEXT) | instid1(VALU_DEP_1)
	v_fma_f64 v[220:221], -v[216:217], v[218:219], 1.0
	v_fma_f64 v[218:219], v[218:219], v[220:221], v[218:219]
	v_div_scale_f64 v[220:221], vcc_lo, 1.0, v[214:215], 1.0
	s_delay_alu instid0(VALU_DEP_1) | instskip(NEXT) | instid1(VALU_DEP_1)
	v_mul_f64 v[222:223], v[220:221], v[218:219]
	v_fma_f64 v[216:217], -v[216:217], v[222:223], v[220:221]
	s_delay_alu instid0(VALU_DEP_1) | instskip(NEXT) | instid1(VALU_DEP_1)
	v_div_fmas_f64 v[216:217], v[216:217], v[218:219], v[222:223]
	v_div_fixup_f64 v[230:231], v[216:217], v[214:215], 1.0
	s_delay_alu instid0(VALU_DEP_1)
	v_mul_f64 v[228:229], v[212:213], v[230:231]
	v_xor_b32_e32 v231, 0x80000000, v231
.LBB112_763:
	s_and_not1_saveexec_b32 s2, s2
	s_cbranch_execz .LBB112_765
; %bb.764:
	s_delay_alu instid0(VALU_DEP_1) | instskip(SKIP_1) | instid1(VALU_DEP_2)
	v_div_scale_f64 v[212:213], null, v[228:229], v[228:229], v[230:231]
	v_div_scale_f64 v[218:219], vcc_lo, v[230:231], v[228:229], v[230:231]
	v_rcp_f64_e32 v[214:215], v[212:213]
	s_waitcnt_depctr 0xfff
	v_fma_f64 v[216:217], -v[212:213], v[214:215], 1.0
	s_delay_alu instid0(VALU_DEP_1) | instskip(NEXT) | instid1(VALU_DEP_1)
	v_fma_f64 v[214:215], v[214:215], v[216:217], v[214:215]
	v_fma_f64 v[216:217], -v[212:213], v[214:215], 1.0
	s_delay_alu instid0(VALU_DEP_1) | instskip(NEXT) | instid1(VALU_DEP_1)
	v_fma_f64 v[214:215], v[214:215], v[216:217], v[214:215]
	v_mul_f64 v[216:217], v[218:219], v[214:215]
	s_delay_alu instid0(VALU_DEP_1) | instskip(NEXT) | instid1(VALU_DEP_1)
	v_fma_f64 v[212:213], -v[212:213], v[216:217], v[218:219]
	v_div_fmas_f64 v[212:213], v[212:213], v[214:215], v[216:217]
	s_delay_alu instid0(VALU_DEP_1) | instskip(NEXT) | instid1(VALU_DEP_1)
	v_div_fixup_f64 v[212:213], v[212:213], v[228:229], v[230:231]
	v_fma_f64 v[214:215], v[230:231], v[212:213], v[228:229]
	s_delay_alu instid0(VALU_DEP_1) | instskip(NEXT) | instid1(VALU_DEP_1)
	v_div_scale_f64 v[216:217], null, v[214:215], v[214:215], 1.0
	v_rcp_f64_e32 v[218:219], v[216:217]
	s_waitcnt_depctr 0xfff
	v_fma_f64 v[220:221], -v[216:217], v[218:219], 1.0
	s_delay_alu instid0(VALU_DEP_1) | instskip(NEXT) | instid1(VALU_DEP_1)
	v_fma_f64 v[218:219], v[218:219], v[220:221], v[218:219]
	v_fma_f64 v[220:221], -v[216:217], v[218:219], 1.0
	s_delay_alu instid0(VALU_DEP_1) | instskip(SKIP_1) | instid1(VALU_DEP_1)
	v_fma_f64 v[218:219], v[218:219], v[220:221], v[218:219]
	v_div_scale_f64 v[220:221], vcc_lo, 1.0, v[214:215], 1.0
	v_mul_f64 v[222:223], v[220:221], v[218:219]
	s_delay_alu instid0(VALU_DEP_1) | instskip(NEXT) | instid1(VALU_DEP_1)
	v_fma_f64 v[216:217], -v[216:217], v[222:223], v[220:221]
	v_div_fmas_f64 v[216:217], v[216:217], v[218:219], v[222:223]
	s_delay_alu instid0(VALU_DEP_1) | instskip(NEXT) | instid1(VALU_DEP_1)
	v_div_fixup_f64 v[228:229], v[216:217], v[214:215], 1.0
	v_mul_f64 v[230:231], v[212:213], -v[228:229]
.LBB112_765:
	s_or_b32 exec_lo, exec_lo, s2
.LBB112_766:
	s_delay_alu instid0(SALU_CYCLE_1) | instskip(NEXT) | instid1(SALU_CYCLE_1)
	s_or_b32 exec_lo, exec_lo, s3
	s_mov_b32 s2, exec_lo
	v_cmpx_ne_u32_e64 v244, v236
	s_xor_b32 s2, exec_lo, s2
	s_cbranch_execz .LBB112_772
; %bb.767:
	s_mov_b32 s3, exec_lo
	v_cmpx_eq_u32_e32 36, v244
	s_cbranch_execz .LBB112_771
; %bb.768:
	v_cmp_ne_u32_e32 vcc_lo, 36, v236
	s_xor_b32 s4, s5, -1
	s_delay_alu instid0(SALU_CYCLE_1) | instskip(NEXT) | instid1(SALU_CYCLE_1)
	s_and_b32 s6, s4, vcc_lo
	s_and_saveexec_b32 s4, s6
	s_cbranch_execz .LBB112_770
; %bb.769:
	scratch_load_b64 v[10:11], off, off     ; 8-byte Folded Reload
	v_ashrrev_i32_e32 v237, 31, v236
	s_delay_alu instid0(VALU_DEP_1) | instskip(SKIP_1) | instid1(VALU_DEP_1)
	v_lshlrev_b64 v[212:213], 2, v[236:237]
	s_waitcnt vmcnt(0)
	v_add_co_u32 v212, vcc_lo, v10, v212
	s_delay_alu instid0(VALU_DEP_2)
	v_add_co_ci_u32_e32 v213, vcc_lo, v11, v213, vcc_lo
	s_clause 0x1
	flat_load_b32 v214, v[212:213]
	flat_load_b32 v215, v[10:11] offset:144
	s_waitcnt vmcnt(1) lgkmcnt(1)
	flat_store_b32 v[10:11], v214 offset:144
	s_waitcnt vmcnt(0) lgkmcnt(1)
	flat_store_b32 v[212:213], v215
.LBB112_770:
	s_or_b32 exec_lo, exec_lo, s4
	v_mov_b32_e32 v244, v236
	v_mov_b32_e32 v243, v236
.LBB112_771:
	s_or_b32 exec_lo, exec_lo, s3
.LBB112_772:
	s_and_not1_saveexec_b32 s2, s2
	s_cbranch_execz .LBB112_774
; %bb.773:
	v_mov_b32_e32 v244, 36
	ds_store_2addr_b64 v238, v[76:77], v[78:79] offset0:74 offset1:75
	ds_store_2addr_b64 v238, v[72:73], v[74:75] offset0:76 offset1:77
	;; [unrolled: 1-line block ×20, first 2 shown]
.LBB112_774:
	s_or_b32 exec_lo, exec_lo, s2
	s_delay_alu instid0(SALU_CYCLE_1)
	s_mov_b32 s2, exec_lo
	s_waitcnt lgkmcnt(0)
	s_waitcnt_vscnt null, 0x0
	s_barrier
	buffer_gl0_inv
	v_cmpx_lt_i32_e32 36, v244
	s_cbranch_execz .LBB112_776
; %bb.775:
	v_mul_f64 v[212:213], v[230:231], v[82:83]
	v_mul_f64 v[82:83], v[228:229], v[82:83]
	s_delay_alu instid0(VALU_DEP_2) | instskip(NEXT) | instid1(VALU_DEP_2)
	v_fma_f64 v[236:237], v[228:229], v[80:81], -v[212:213]
	v_fma_f64 v[82:83], v[230:231], v[80:81], v[82:83]
	ds_load_2addr_b64 v[228:231], v238 offset0:74 offset1:75
	s_waitcnt lgkmcnt(0)
	v_mul_f64 v[80:81], v[230:231], v[82:83]
	v_mul_f64 v[212:213], v[228:229], v[82:83]
	s_delay_alu instid0(VALU_DEP_2) | instskip(NEXT) | instid1(VALU_DEP_2)
	v_fma_f64 v[80:81], v[228:229], v[236:237], -v[80:81]
	v_fma_f64 v[212:213], v[230:231], v[236:237], v[212:213]
	ds_load_2addr_b64 v[228:231], v238 offset0:76 offset1:77
	v_add_f64 v[76:77], v[76:77], -v[80:81]
	v_add_f64 v[78:79], v[78:79], -v[212:213]
	s_waitcnt lgkmcnt(0)
	v_mul_f64 v[80:81], v[230:231], v[82:83]
	v_mul_f64 v[212:213], v[228:229], v[82:83]
	s_delay_alu instid0(VALU_DEP_2) | instskip(NEXT) | instid1(VALU_DEP_2)
	v_fma_f64 v[80:81], v[228:229], v[236:237], -v[80:81]
	v_fma_f64 v[212:213], v[230:231], v[236:237], v[212:213]
	ds_load_2addr_b64 v[228:231], v238 offset0:78 offset1:79
	v_add_f64 v[72:73], v[72:73], -v[80:81]
	v_add_f64 v[74:75], v[74:75], -v[212:213]
	;; [unrolled: 9-line block ×19, first 2 shown]
	s_waitcnt lgkmcnt(0)
	v_mul_f64 v[80:81], v[230:231], v[82:83]
	v_mul_f64 v[212:213], v[228:229], v[82:83]
	s_delay_alu instid0(VALU_DEP_2) | instskip(NEXT) | instid1(VALU_DEP_2)
	v_fma_f64 v[80:81], v[228:229], v[236:237], -v[80:81]
	v_fma_f64 v[212:213], v[230:231], v[236:237], v[212:213]
	s_delay_alu instid0(VALU_DEP_2) | instskip(NEXT) | instid1(VALU_DEP_2)
	v_add_f64 v[0:1], v[0:1], -v[80:81]
	v_add_f64 v[2:3], v[2:3], -v[212:213]
	v_dual_mov_b32 v80, v236 :: v_dual_mov_b32 v81, v237
.LBB112_776:
	s_or_b32 exec_lo, exec_lo, s2
	v_lshl_add_u32 v212, v244, 4, v238
	s_barrier
	buffer_gl0_inv
	v_mov_b32_e32 v236, 37
	ds_store_2addr_b64 v212, v[76:77], v[78:79] offset1:1
	s_waitcnt lgkmcnt(0)
	s_barrier
	buffer_gl0_inv
	ds_load_2addr_b64 v[228:231], v238 offset0:74 offset1:75
	s_cmp_lt_i32 s12, 39
	s_cbranch_scc1 .LBB112_779
; %bb.777:
	v_add3_u32 v237, v242, 0, 0x260
	v_mov_b32_e32 v236, 37
	s_mov_b32 s2, 38
	s_set_inst_prefetch_distance 0x1
	.p2align	6
.LBB112_778:                            ; =>This Inner Loop Header: Depth=1
	s_waitcnt lgkmcnt(0)
	v_cmp_gt_f64_e32 vcc_lo, 0, v[228:229]
	v_xor_b32_e32 v212, 0x80000000, v229
	v_xor_b32_e32 v214, 0x80000000, v231
	ds_load_2addr_b64 v[245:248], v237 offset1:1
	v_add_nc_u32_e32 v237, 16, v237
	s_waitcnt lgkmcnt(0)
	v_xor_b32_e32 v216, 0x80000000, v248
	v_cndmask_b32_e32 v213, v229, v212, vcc_lo
	v_cndmask_b32_e32 v212, v228, v228, vcc_lo
	v_cmp_gt_f64_e32 vcc_lo, 0, v[230:231]
	v_cndmask_b32_e32 v215, v231, v214, vcc_lo
	v_cndmask_b32_e32 v214, v230, v230, vcc_lo
	v_cmp_gt_f64_e32 vcc_lo, 0, v[245:246]
	s_delay_alu instid0(VALU_DEP_2) | instskip(SKIP_1) | instid1(VALU_DEP_1)
	v_add_f64 v[212:213], v[212:213], v[214:215]
	v_xor_b32_e32 v214, 0x80000000, v246
	v_dual_cndmask_b32 v215, v246, v214 :: v_dual_mov_b32 v214, v245
	v_cmp_gt_f64_e32 vcc_lo, 0, v[247:248]
	v_dual_cndmask_b32 v217, v248, v216 :: v_dual_mov_b32 v216, v247
	s_delay_alu instid0(VALU_DEP_1) | instskip(NEXT) | instid1(VALU_DEP_1)
	v_add_f64 v[214:215], v[214:215], v[216:217]
	v_cmp_lt_f64_e32 vcc_lo, v[212:213], v[214:215]
	v_dual_cndmask_b32 v229, v229, v246 :: v_dual_cndmask_b32 v228, v228, v245
	v_dual_cndmask_b32 v231, v231, v248 :: v_dual_cndmask_b32 v230, v230, v247
	v_cndmask_b32_e64 v236, v236, s2, vcc_lo
	s_add_i32 s2, s2, 1
	s_delay_alu instid0(SALU_CYCLE_1)
	s_cmp_lg_u32 s12, s2
	s_cbranch_scc1 .LBB112_778
.LBB112_779:
	s_set_inst_prefetch_distance 0x2
	s_waitcnt lgkmcnt(0)
	v_cmp_eq_f64_e32 vcc_lo, 0, v[228:229]
	v_cmp_eq_f64_e64 s2, 0, v[230:231]
	s_delay_alu instid0(VALU_DEP_1) | instskip(NEXT) | instid1(SALU_CYCLE_1)
	s_and_b32 s2, vcc_lo, s2
	s_and_saveexec_b32 s3, s2
	s_delay_alu instid0(SALU_CYCLE_1)
	s_xor_b32 s2, exec_lo, s3
; %bb.780:
	v_cmp_ne_u32_e32 vcc_lo, 0, v241
	v_cndmask_b32_e32 v241, 38, v241, vcc_lo
; %bb.781:
	s_and_not1_saveexec_b32 s3, s2
	s_cbranch_execz .LBB112_787
; %bb.782:
	v_cmp_gt_f64_e32 vcc_lo, 0, v[228:229]
	v_cmp_gt_f64_e64 s2, 0, v[230:231]
	v_xor_b32_e32 v212, 0x80000000, v229
	v_xor_b32_e32 v214, 0x80000000, v231
	s_delay_alu instid0(VALU_DEP_2) | instskip(NEXT) | instid1(VALU_DEP_2)
	v_cndmask_b32_e32 v213, v229, v212, vcc_lo
	v_cndmask_b32_e64 v215, v231, v214, s2
	v_cndmask_b32_e32 v212, v228, v228, vcc_lo
	v_cndmask_b32_e64 v214, v230, v230, s2
	s_mov_b32 s2, exec_lo
	s_delay_alu instid0(VALU_DEP_1)
	v_cmpx_ngt_f64_e32 v[212:213], v[214:215]
	s_xor_b32 s2, exec_lo, s2
	s_cbranch_execz .LBB112_784
; %bb.783:
	v_div_scale_f64 v[212:213], null, v[230:231], v[230:231], v[228:229]
	v_div_scale_f64 v[218:219], vcc_lo, v[228:229], v[230:231], v[228:229]
	s_delay_alu instid0(VALU_DEP_2) | instskip(SKIP_2) | instid1(VALU_DEP_1)
	v_rcp_f64_e32 v[214:215], v[212:213]
	s_waitcnt_depctr 0xfff
	v_fma_f64 v[216:217], -v[212:213], v[214:215], 1.0
	v_fma_f64 v[214:215], v[214:215], v[216:217], v[214:215]
	s_delay_alu instid0(VALU_DEP_1) | instskip(NEXT) | instid1(VALU_DEP_1)
	v_fma_f64 v[216:217], -v[212:213], v[214:215], 1.0
	v_fma_f64 v[214:215], v[214:215], v[216:217], v[214:215]
	s_delay_alu instid0(VALU_DEP_1) | instskip(NEXT) | instid1(VALU_DEP_1)
	v_mul_f64 v[216:217], v[218:219], v[214:215]
	v_fma_f64 v[212:213], -v[212:213], v[216:217], v[218:219]
	s_delay_alu instid0(VALU_DEP_1) | instskip(NEXT) | instid1(VALU_DEP_1)
	v_div_fmas_f64 v[212:213], v[212:213], v[214:215], v[216:217]
	v_div_fixup_f64 v[212:213], v[212:213], v[230:231], v[228:229]
	s_delay_alu instid0(VALU_DEP_1) | instskip(NEXT) | instid1(VALU_DEP_1)
	v_fma_f64 v[214:215], v[228:229], v[212:213], v[230:231]
	v_div_scale_f64 v[216:217], null, v[214:215], v[214:215], 1.0
	s_delay_alu instid0(VALU_DEP_1) | instskip(SKIP_2) | instid1(VALU_DEP_1)
	v_rcp_f64_e32 v[218:219], v[216:217]
	s_waitcnt_depctr 0xfff
	v_fma_f64 v[220:221], -v[216:217], v[218:219], 1.0
	v_fma_f64 v[218:219], v[218:219], v[220:221], v[218:219]
	s_delay_alu instid0(VALU_DEP_1) | instskip(NEXT) | instid1(VALU_DEP_1)
	v_fma_f64 v[220:221], -v[216:217], v[218:219], 1.0
	v_fma_f64 v[218:219], v[218:219], v[220:221], v[218:219]
	v_div_scale_f64 v[220:221], vcc_lo, 1.0, v[214:215], 1.0
	s_delay_alu instid0(VALU_DEP_1) | instskip(NEXT) | instid1(VALU_DEP_1)
	v_mul_f64 v[222:223], v[220:221], v[218:219]
	v_fma_f64 v[216:217], -v[216:217], v[222:223], v[220:221]
	s_delay_alu instid0(VALU_DEP_1) | instskip(NEXT) | instid1(VALU_DEP_1)
	v_div_fmas_f64 v[216:217], v[216:217], v[218:219], v[222:223]
	v_div_fixup_f64 v[230:231], v[216:217], v[214:215], 1.0
	s_delay_alu instid0(VALU_DEP_1)
	v_mul_f64 v[228:229], v[212:213], v[230:231]
	v_xor_b32_e32 v231, 0x80000000, v231
.LBB112_784:
	s_and_not1_saveexec_b32 s2, s2
	s_cbranch_execz .LBB112_786
; %bb.785:
	s_delay_alu instid0(VALU_DEP_1) | instskip(SKIP_1) | instid1(VALU_DEP_2)
	v_div_scale_f64 v[212:213], null, v[228:229], v[228:229], v[230:231]
	v_div_scale_f64 v[218:219], vcc_lo, v[230:231], v[228:229], v[230:231]
	v_rcp_f64_e32 v[214:215], v[212:213]
	s_waitcnt_depctr 0xfff
	v_fma_f64 v[216:217], -v[212:213], v[214:215], 1.0
	s_delay_alu instid0(VALU_DEP_1) | instskip(NEXT) | instid1(VALU_DEP_1)
	v_fma_f64 v[214:215], v[214:215], v[216:217], v[214:215]
	v_fma_f64 v[216:217], -v[212:213], v[214:215], 1.0
	s_delay_alu instid0(VALU_DEP_1) | instskip(NEXT) | instid1(VALU_DEP_1)
	v_fma_f64 v[214:215], v[214:215], v[216:217], v[214:215]
	v_mul_f64 v[216:217], v[218:219], v[214:215]
	s_delay_alu instid0(VALU_DEP_1) | instskip(NEXT) | instid1(VALU_DEP_1)
	v_fma_f64 v[212:213], -v[212:213], v[216:217], v[218:219]
	v_div_fmas_f64 v[212:213], v[212:213], v[214:215], v[216:217]
	s_delay_alu instid0(VALU_DEP_1) | instskip(NEXT) | instid1(VALU_DEP_1)
	v_div_fixup_f64 v[212:213], v[212:213], v[228:229], v[230:231]
	v_fma_f64 v[214:215], v[230:231], v[212:213], v[228:229]
	s_delay_alu instid0(VALU_DEP_1) | instskip(NEXT) | instid1(VALU_DEP_1)
	v_div_scale_f64 v[216:217], null, v[214:215], v[214:215], 1.0
	v_rcp_f64_e32 v[218:219], v[216:217]
	s_waitcnt_depctr 0xfff
	v_fma_f64 v[220:221], -v[216:217], v[218:219], 1.0
	s_delay_alu instid0(VALU_DEP_1) | instskip(NEXT) | instid1(VALU_DEP_1)
	v_fma_f64 v[218:219], v[218:219], v[220:221], v[218:219]
	v_fma_f64 v[220:221], -v[216:217], v[218:219], 1.0
	s_delay_alu instid0(VALU_DEP_1) | instskip(SKIP_1) | instid1(VALU_DEP_1)
	v_fma_f64 v[218:219], v[218:219], v[220:221], v[218:219]
	v_div_scale_f64 v[220:221], vcc_lo, 1.0, v[214:215], 1.0
	v_mul_f64 v[222:223], v[220:221], v[218:219]
	s_delay_alu instid0(VALU_DEP_1) | instskip(NEXT) | instid1(VALU_DEP_1)
	v_fma_f64 v[216:217], -v[216:217], v[222:223], v[220:221]
	v_div_fmas_f64 v[216:217], v[216:217], v[218:219], v[222:223]
	s_delay_alu instid0(VALU_DEP_1) | instskip(NEXT) | instid1(VALU_DEP_1)
	v_div_fixup_f64 v[228:229], v[216:217], v[214:215], 1.0
	v_mul_f64 v[230:231], v[212:213], -v[228:229]
.LBB112_786:
	s_or_b32 exec_lo, exec_lo, s2
.LBB112_787:
	s_delay_alu instid0(SALU_CYCLE_1) | instskip(NEXT) | instid1(SALU_CYCLE_1)
	s_or_b32 exec_lo, exec_lo, s3
	s_mov_b32 s2, exec_lo
	v_cmpx_ne_u32_e64 v244, v236
	s_xor_b32 s2, exec_lo, s2
	s_cbranch_execz .LBB112_793
; %bb.788:
	s_mov_b32 s3, exec_lo
	v_cmpx_eq_u32_e32 37, v244
	s_cbranch_execz .LBB112_792
; %bb.789:
	v_cmp_ne_u32_e32 vcc_lo, 37, v236
	s_xor_b32 s4, s5, -1
	s_delay_alu instid0(SALU_CYCLE_1) | instskip(NEXT) | instid1(SALU_CYCLE_1)
	s_and_b32 s6, s4, vcc_lo
	s_and_saveexec_b32 s4, s6
	s_cbranch_execz .LBB112_791
; %bb.790:
	scratch_load_b64 v[10:11], off, off     ; 8-byte Folded Reload
	v_ashrrev_i32_e32 v237, 31, v236
	s_delay_alu instid0(VALU_DEP_1) | instskip(SKIP_1) | instid1(VALU_DEP_1)
	v_lshlrev_b64 v[212:213], 2, v[236:237]
	s_waitcnt vmcnt(0)
	v_add_co_u32 v212, vcc_lo, v10, v212
	s_delay_alu instid0(VALU_DEP_2)
	v_add_co_ci_u32_e32 v213, vcc_lo, v11, v213, vcc_lo
	s_clause 0x1
	flat_load_b32 v214, v[212:213]
	flat_load_b32 v215, v[10:11] offset:148
	s_waitcnt vmcnt(1) lgkmcnt(1)
	flat_store_b32 v[10:11], v214 offset:148
	s_waitcnt vmcnt(0) lgkmcnt(1)
	flat_store_b32 v[212:213], v215
.LBB112_791:
	s_or_b32 exec_lo, exec_lo, s4
	v_mov_b32_e32 v244, v236
	v_mov_b32_e32 v243, v236
.LBB112_792:
	s_or_b32 exec_lo, exec_lo, s3
.LBB112_793:
	s_and_not1_saveexec_b32 s2, s2
	s_cbranch_execz .LBB112_795
; %bb.794:
	v_mov_b32_e32 v244, 37
	ds_store_2addr_b64 v238, v[72:73], v[74:75] offset0:76 offset1:77
	ds_store_2addr_b64 v238, v[68:69], v[70:71] offset0:78 offset1:79
	;; [unrolled: 1-line block ×19, first 2 shown]
.LBB112_795:
	s_or_b32 exec_lo, exec_lo, s2
	s_delay_alu instid0(SALU_CYCLE_1)
	s_mov_b32 s2, exec_lo
	s_waitcnt lgkmcnt(0)
	s_waitcnt_vscnt null, 0x0
	s_barrier
	buffer_gl0_inv
	v_cmpx_lt_i32_e32 37, v244
	s_cbranch_execz .LBB112_797
; %bb.796:
	v_mul_f64 v[212:213], v[230:231], v[78:79]
	v_mul_f64 v[78:79], v[228:229], v[78:79]
	s_delay_alu instid0(VALU_DEP_2) | instskip(NEXT) | instid1(VALU_DEP_2)
	v_fma_f64 v[236:237], v[228:229], v[76:77], -v[212:213]
	v_fma_f64 v[78:79], v[230:231], v[76:77], v[78:79]
	ds_load_2addr_b64 v[228:231], v238 offset0:76 offset1:77
	s_waitcnt lgkmcnt(0)
	v_mul_f64 v[76:77], v[230:231], v[78:79]
	v_mul_f64 v[212:213], v[228:229], v[78:79]
	s_delay_alu instid0(VALU_DEP_2) | instskip(NEXT) | instid1(VALU_DEP_2)
	v_fma_f64 v[76:77], v[228:229], v[236:237], -v[76:77]
	v_fma_f64 v[212:213], v[230:231], v[236:237], v[212:213]
	ds_load_2addr_b64 v[228:231], v238 offset0:78 offset1:79
	v_add_f64 v[72:73], v[72:73], -v[76:77]
	v_add_f64 v[74:75], v[74:75], -v[212:213]
	s_waitcnt lgkmcnt(0)
	v_mul_f64 v[76:77], v[230:231], v[78:79]
	v_mul_f64 v[212:213], v[228:229], v[78:79]
	s_delay_alu instid0(VALU_DEP_2) | instskip(NEXT) | instid1(VALU_DEP_2)
	v_fma_f64 v[76:77], v[228:229], v[236:237], -v[76:77]
	v_fma_f64 v[212:213], v[230:231], v[236:237], v[212:213]
	ds_load_2addr_b64 v[228:231], v238 offset0:80 offset1:81
	v_add_f64 v[68:69], v[68:69], -v[76:77]
	v_add_f64 v[70:71], v[70:71], -v[212:213]
	;; [unrolled: 9-line block ×18, first 2 shown]
	s_waitcnt lgkmcnt(0)
	v_mul_f64 v[76:77], v[230:231], v[78:79]
	v_mul_f64 v[212:213], v[228:229], v[78:79]
	s_delay_alu instid0(VALU_DEP_2) | instskip(NEXT) | instid1(VALU_DEP_2)
	v_fma_f64 v[76:77], v[228:229], v[236:237], -v[76:77]
	v_fma_f64 v[212:213], v[230:231], v[236:237], v[212:213]
	s_delay_alu instid0(VALU_DEP_2) | instskip(NEXT) | instid1(VALU_DEP_2)
	v_add_f64 v[0:1], v[0:1], -v[76:77]
	v_add_f64 v[2:3], v[2:3], -v[212:213]
	v_dual_mov_b32 v76, v236 :: v_dual_mov_b32 v77, v237
.LBB112_797:
	s_or_b32 exec_lo, exec_lo, s2
	v_lshl_add_u32 v212, v244, 4, v238
	s_barrier
	buffer_gl0_inv
	v_mov_b32_e32 v236, 38
	ds_store_2addr_b64 v212, v[72:73], v[74:75] offset1:1
	s_waitcnt lgkmcnt(0)
	s_barrier
	buffer_gl0_inv
	ds_load_2addr_b64 v[228:231], v238 offset0:76 offset1:77
	s_cmp_lt_i32 s12, 40
	s_cbranch_scc1 .LBB112_800
; %bb.798:
	v_add3_u32 v237, v242, 0, 0x270
	v_mov_b32_e32 v236, 38
	s_mov_b32 s2, 39
	s_set_inst_prefetch_distance 0x1
	.p2align	6
.LBB112_799:                            ; =>This Inner Loop Header: Depth=1
	s_waitcnt lgkmcnt(0)
	v_cmp_gt_f64_e32 vcc_lo, 0, v[228:229]
	v_xor_b32_e32 v212, 0x80000000, v229
	v_xor_b32_e32 v214, 0x80000000, v231
	ds_load_2addr_b64 v[245:248], v237 offset1:1
	v_add_nc_u32_e32 v237, 16, v237
	s_waitcnt lgkmcnt(0)
	v_xor_b32_e32 v216, 0x80000000, v248
	v_cndmask_b32_e32 v213, v229, v212, vcc_lo
	v_cndmask_b32_e32 v212, v228, v228, vcc_lo
	v_cmp_gt_f64_e32 vcc_lo, 0, v[230:231]
	v_cndmask_b32_e32 v215, v231, v214, vcc_lo
	v_cndmask_b32_e32 v214, v230, v230, vcc_lo
	v_cmp_gt_f64_e32 vcc_lo, 0, v[245:246]
	s_delay_alu instid0(VALU_DEP_2) | instskip(SKIP_1) | instid1(VALU_DEP_1)
	v_add_f64 v[212:213], v[212:213], v[214:215]
	v_xor_b32_e32 v214, 0x80000000, v246
	v_dual_cndmask_b32 v215, v246, v214 :: v_dual_mov_b32 v214, v245
	v_cmp_gt_f64_e32 vcc_lo, 0, v[247:248]
	v_dual_cndmask_b32 v217, v248, v216 :: v_dual_mov_b32 v216, v247
	s_delay_alu instid0(VALU_DEP_1) | instskip(NEXT) | instid1(VALU_DEP_1)
	v_add_f64 v[214:215], v[214:215], v[216:217]
	v_cmp_lt_f64_e32 vcc_lo, v[212:213], v[214:215]
	v_dual_cndmask_b32 v229, v229, v246 :: v_dual_cndmask_b32 v228, v228, v245
	v_dual_cndmask_b32 v231, v231, v248 :: v_dual_cndmask_b32 v230, v230, v247
	v_cndmask_b32_e64 v236, v236, s2, vcc_lo
	s_add_i32 s2, s2, 1
	s_delay_alu instid0(SALU_CYCLE_1)
	s_cmp_lg_u32 s12, s2
	s_cbranch_scc1 .LBB112_799
.LBB112_800:
	s_set_inst_prefetch_distance 0x2
	s_waitcnt lgkmcnt(0)
	v_cmp_eq_f64_e32 vcc_lo, 0, v[228:229]
	v_cmp_eq_f64_e64 s2, 0, v[230:231]
	s_delay_alu instid0(VALU_DEP_1) | instskip(NEXT) | instid1(SALU_CYCLE_1)
	s_and_b32 s2, vcc_lo, s2
	s_and_saveexec_b32 s3, s2
	s_delay_alu instid0(SALU_CYCLE_1)
	s_xor_b32 s2, exec_lo, s3
; %bb.801:
	v_cmp_ne_u32_e32 vcc_lo, 0, v241
	v_cndmask_b32_e32 v241, 39, v241, vcc_lo
; %bb.802:
	s_and_not1_saveexec_b32 s3, s2
	s_cbranch_execz .LBB112_808
; %bb.803:
	v_cmp_gt_f64_e32 vcc_lo, 0, v[228:229]
	v_cmp_gt_f64_e64 s2, 0, v[230:231]
	v_xor_b32_e32 v212, 0x80000000, v229
	v_xor_b32_e32 v214, 0x80000000, v231
	s_delay_alu instid0(VALU_DEP_2) | instskip(NEXT) | instid1(VALU_DEP_2)
	v_cndmask_b32_e32 v213, v229, v212, vcc_lo
	v_cndmask_b32_e64 v215, v231, v214, s2
	v_cndmask_b32_e32 v212, v228, v228, vcc_lo
	v_cndmask_b32_e64 v214, v230, v230, s2
	s_mov_b32 s2, exec_lo
	s_delay_alu instid0(VALU_DEP_1)
	v_cmpx_ngt_f64_e32 v[212:213], v[214:215]
	s_xor_b32 s2, exec_lo, s2
	s_cbranch_execz .LBB112_805
; %bb.804:
	v_div_scale_f64 v[212:213], null, v[230:231], v[230:231], v[228:229]
	v_div_scale_f64 v[218:219], vcc_lo, v[228:229], v[230:231], v[228:229]
	s_delay_alu instid0(VALU_DEP_2) | instskip(SKIP_2) | instid1(VALU_DEP_1)
	v_rcp_f64_e32 v[214:215], v[212:213]
	s_waitcnt_depctr 0xfff
	v_fma_f64 v[216:217], -v[212:213], v[214:215], 1.0
	v_fma_f64 v[214:215], v[214:215], v[216:217], v[214:215]
	s_delay_alu instid0(VALU_DEP_1) | instskip(NEXT) | instid1(VALU_DEP_1)
	v_fma_f64 v[216:217], -v[212:213], v[214:215], 1.0
	v_fma_f64 v[214:215], v[214:215], v[216:217], v[214:215]
	s_delay_alu instid0(VALU_DEP_1) | instskip(NEXT) | instid1(VALU_DEP_1)
	v_mul_f64 v[216:217], v[218:219], v[214:215]
	v_fma_f64 v[212:213], -v[212:213], v[216:217], v[218:219]
	s_delay_alu instid0(VALU_DEP_1) | instskip(NEXT) | instid1(VALU_DEP_1)
	v_div_fmas_f64 v[212:213], v[212:213], v[214:215], v[216:217]
	v_div_fixup_f64 v[212:213], v[212:213], v[230:231], v[228:229]
	s_delay_alu instid0(VALU_DEP_1) | instskip(NEXT) | instid1(VALU_DEP_1)
	v_fma_f64 v[214:215], v[228:229], v[212:213], v[230:231]
	v_div_scale_f64 v[216:217], null, v[214:215], v[214:215], 1.0
	s_delay_alu instid0(VALU_DEP_1) | instskip(SKIP_2) | instid1(VALU_DEP_1)
	v_rcp_f64_e32 v[218:219], v[216:217]
	s_waitcnt_depctr 0xfff
	v_fma_f64 v[220:221], -v[216:217], v[218:219], 1.0
	v_fma_f64 v[218:219], v[218:219], v[220:221], v[218:219]
	s_delay_alu instid0(VALU_DEP_1) | instskip(NEXT) | instid1(VALU_DEP_1)
	v_fma_f64 v[220:221], -v[216:217], v[218:219], 1.0
	v_fma_f64 v[218:219], v[218:219], v[220:221], v[218:219]
	v_div_scale_f64 v[220:221], vcc_lo, 1.0, v[214:215], 1.0
	s_delay_alu instid0(VALU_DEP_1) | instskip(NEXT) | instid1(VALU_DEP_1)
	v_mul_f64 v[222:223], v[220:221], v[218:219]
	v_fma_f64 v[216:217], -v[216:217], v[222:223], v[220:221]
	s_delay_alu instid0(VALU_DEP_1) | instskip(NEXT) | instid1(VALU_DEP_1)
	v_div_fmas_f64 v[216:217], v[216:217], v[218:219], v[222:223]
	v_div_fixup_f64 v[230:231], v[216:217], v[214:215], 1.0
	s_delay_alu instid0(VALU_DEP_1)
	v_mul_f64 v[228:229], v[212:213], v[230:231]
	v_xor_b32_e32 v231, 0x80000000, v231
.LBB112_805:
	s_and_not1_saveexec_b32 s2, s2
	s_cbranch_execz .LBB112_807
; %bb.806:
	s_delay_alu instid0(VALU_DEP_1) | instskip(SKIP_1) | instid1(VALU_DEP_2)
	v_div_scale_f64 v[212:213], null, v[228:229], v[228:229], v[230:231]
	v_div_scale_f64 v[218:219], vcc_lo, v[230:231], v[228:229], v[230:231]
	v_rcp_f64_e32 v[214:215], v[212:213]
	s_waitcnt_depctr 0xfff
	v_fma_f64 v[216:217], -v[212:213], v[214:215], 1.0
	s_delay_alu instid0(VALU_DEP_1) | instskip(NEXT) | instid1(VALU_DEP_1)
	v_fma_f64 v[214:215], v[214:215], v[216:217], v[214:215]
	v_fma_f64 v[216:217], -v[212:213], v[214:215], 1.0
	s_delay_alu instid0(VALU_DEP_1) | instskip(NEXT) | instid1(VALU_DEP_1)
	v_fma_f64 v[214:215], v[214:215], v[216:217], v[214:215]
	v_mul_f64 v[216:217], v[218:219], v[214:215]
	s_delay_alu instid0(VALU_DEP_1) | instskip(NEXT) | instid1(VALU_DEP_1)
	v_fma_f64 v[212:213], -v[212:213], v[216:217], v[218:219]
	v_div_fmas_f64 v[212:213], v[212:213], v[214:215], v[216:217]
	s_delay_alu instid0(VALU_DEP_1) | instskip(NEXT) | instid1(VALU_DEP_1)
	v_div_fixup_f64 v[212:213], v[212:213], v[228:229], v[230:231]
	v_fma_f64 v[214:215], v[230:231], v[212:213], v[228:229]
	s_delay_alu instid0(VALU_DEP_1) | instskip(NEXT) | instid1(VALU_DEP_1)
	v_div_scale_f64 v[216:217], null, v[214:215], v[214:215], 1.0
	v_rcp_f64_e32 v[218:219], v[216:217]
	s_waitcnt_depctr 0xfff
	v_fma_f64 v[220:221], -v[216:217], v[218:219], 1.0
	s_delay_alu instid0(VALU_DEP_1) | instskip(NEXT) | instid1(VALU_DEP_1)
	v_fma_f64 v[218:219], v[218:219], v[220:221], v[218:219]
	v_fma_f64 v[220:221], -v[216:217], v[218:219], 1.0
	s_delay_alu instid0(VALU_DEP_1) | instskip(SKIP_1) | instid1(VALU_DEP_1)
	v_fma_f64 v[218:219], v[218:219], v[220:221], v[218:219]
	v_div_scale_f64 v[220:221], vcc_lo, 1.0, v[214:215], 1.0
	v_mul_f64 v[222:223], v[220:221], v[218:219]
	s_delay_alu instid0(VALU_DEP_1) | instskip(NEXT) | instid1(VALU_DEP_1)
	v_fma_f64 v[216:217], -v[216:217], v[222:223], v[220:221]
	v_div_fmas_f64 v[216:217], v[216:217], v[218:219], v[222:223]
	s_delay_alu instid0(VALU_DEP_1) | instskip(NEXT) | instid1(VALU_DEP_1)
	v_div_fixup_f64 v[228:229], v[216:217], v[214:215], 1.0
	v_mul_f64 v[230:231], v[212:213], -v[228:229]
.LBB112_807:
	s_or_b32 exec_lo, exec_lo, s2
.LBB112_808:
	s_delay_alu instid0(SALU_CYCLE_1) | instskip(NEXT) | instid1(SALU_CYCLE_1)
	s_or_b32 exec_lo, exec_lo, s3
	s_mov_b32 s2, exec_lo
	v_cmpx_ne_u32_e64 v244, v236
	s_xor_b32 s2, exec_lo, s2
	s_cbranch_execz .LBB112_814
; %bb.809:
	s_mov_b32 s3, exec_lo
	v_cmpx_eq_u32_e32 38, v244
	s_cbranch_execz .LBB112_813
; %bb.810:
	v_cmp_ne_u32_e32 vcc_lo, 38, v236
	s_xor_b32 s4, s5, -1
	s_delay_alu instid0(SALU_CYCLE_1) | instskip(NEXT) | instid1(SALU_CYCLE_1)
	s_and_b32 s6, s4, vcc_lo
	s_and_saveexec_b32 s4, s6
	s_cbranch_execz .LBB112_812
; %bb.811:
	scratch_load_b64 v[10:11], off, off     ; 8-byte Folded Reload
	v_ashrrev_i32_e32 v237, 31, v236
	s_delay_alu instid0(VALU_DEP_1) | instskip(SKIP_1) | instid1(VALU_DEP_1)
	v_lshlrev_b64 v[212:213], 2, v[236:237]
	s_waitcnt vmcnt(0)
	v_add_co_u32 v212, vcc_lo, v10, v212
	s_delay_alu instid0(VALU_DEP_2)
	v_add_co_ci_u32_e32 v213, vcc_lo, v11, v213, vcc_lo
	s_clause 0x1
	flat_load_b32 v214, v[212:213]
	flat_load_b32 v215, v[10:11] offset:152
	s_waitcnt vmcnt(1) lgkmcnt(1)
	flat_store_b32 v[10:11], v214 offset:152
	s_waitcnt vmcnt(0) lgkmcnt(1)
	flat_store_b32 v[212:213], v215
.LBB112_812:
	s_or_b32 exec_lo, exec_lo, s4
	v_mov_b32_e32 v244, v236
	v_mov_b32_e32 v243, v236
.LBB112_813:
	s_or_b32 exec_lo, exec_lo, s3
.LBB112_814:
	s_and_not1_saveexec_b32 s2, s2
	s_cbranch_execz .LBB112_816
; %bb.815:
	v_mov_b32_e32 v244, 38
	ds_store_2addr_b64 v238, v[68:69], v[70:71] offset0:78 offset1:79
	ds_store_2addr_b64 v238, v[64:65], v[66:67] offset0:80 offset1:81
	;; [unrolled: 1-line block ×18, first 2 shown]
.LBB112_816:
	s_or_b32 exec_lo, exec_lo, s2
	s_delay_alu instid0(SALU_CYCLE_1)
	s_mov_b32 s2, exec_lo
	s_waitcnt lgkmcnt(0)
	s_waitcnt_vscnt null, 0x0
	s_barrier
	buffer_gl0_inv
	v_cmpx_lt_i32_e32 38, v244
	s_cbranch_execz .LBB112_818
; %bb.817:
	v_mul_f64 v[212:213], v[230:231], v[74:75]
	v_mul_f64 v[74:75], v[228:229], v[74:75]
	s_delay_alu instid0(VALU_DEP_2) | instskip(NEXT) | instid1(VALU_DEP_2)
	v_fma_f64 v[236:237], v[228:229], v[72:73], -v[212:213]
	v_fma_f64 v[74:75], v[230:231], v[72:73], v[74:75]
	ds_load_2addr_b64 v[228:231], v238 offset0:78 offset1:79
	s_waitcnt lgkmcnt(0)
	v_mul_f64 v[72:73], v[230:231], v[74:75]
	v_mul_f64 v[212:213], v[228:229], v[74:75]
	s_delay_alu instid0(VALU_DEP_2) | instskip(NEXT) | instid1(VALU_DEP_2)
	v_fma_f64 v[72:73], v[228:229], v[236:237], -v[72:73]
	v_fma_f64 v[212:213], v[230:231], v[236:237], v[212:213]
	ds_load_2addr_b64 v[228:231], v238 offset0:80 offset1:81
	v_add_f64 v[68:69], v[68:69], -v[72:73]
	v_add_f64 v[70:71], v[70:71], -v[212:213]
	s_waitcnt lgkmcnt(0)
	v_mul_f64 v[72:73], v[230:231], v[74:75]
	v_mul_f64 v[212:213], v[228:229], v[74:75]
	s_delay_alu instid0(VALU_DEP_2) | instskip(NEXT) | instid1(VALU_DEP_2)
	v_fma_f64 v[72:73], v[228:229], v[236:237], -v[72:73]
	v_fma_f64 v[212:213], v[230:231], v[236:237], v[212:213]
	ds_load_2addr_b64 v[228:231], v238 offset0:82 offset1:83
	v_add_f64 v[64:65], v[64:65], -v[72:73]
	v_add_f64 v[66:67], v[66:67], -v[212:213]
	s_waitcnt lgkmcnt(0)
	v_mul_f64 v[72:73], v[230:231], v[74:75]
	v_mul_f64 v[212:213], v[228:229], v[74:75]
	s_delay_alu instid0(VALU_DEP_2) | instskip(NEXT) | instid1(VALU_DEP_2)
	v_fma_f64 v[72:73], v[228:229], v[236:237], -v[72:73]
	v_fma_f64 v[212:213], v[230:231], v[236:237], v[212:213]
	ds_load_2addr_b64 v[228:231], v238 offset0:84 offset1:85
	v_add_f64 v[60:61], v[60:61], -v[72:73]
	v_add_f64 v[62:63], v[62:63], -v[212:213]
	s_waitcnt lgkmcnt(0)
	v_mul_f64 v[72:73], v[230:231], v[74:75]
	v_mul_f64 v[212:213], v[228:229], v[74:75]
	s_delay_alu instid0(VALU_DEP_2) | instskip(NEXT) | instid1(VALU_DEP_2)
	v_fma_f64 v[72:73], v[228:229], v[236:237], -v[72:73]
	v_fma_f64 v[212:213], v[230:231], v[236:237], v[212:213]
	ds_load_2addr_b64 v[228:231], v238 offset0:86 offset1:87
	v_add_f64 v[56:57], v[56:57], -v[72:73]
	v_add_f64 v[58:59], v[58:59], -v[212:213]
	s_waitcnt lgkmcnt(0)
	v_mul_f64 v[72:73], v[230:231], v[74:75]
	v_mul_f64 v[212:213], v[228:229], v[74:75]
	s_delay_alu instid0(VALU_DEP_2) | instskip(NEXT) | instid1(VALU_DEP_2)
	v_fma_f64 v[72:73], v[228:229], v[236:237], -v[72:73]
	v_fma_f64 v[212:213], v[230:231], v[236:237], v[212:213]
	ds_load_2addr_b64 v[228:231], v238 offset0:88 offset1:89
	v_add_f64 v[52:53], v[52:53], -v[72:73]
	v_add_f64 v[54:55], v[54:55], -v[212:213]
	s_waitcnt lgkmcnt(0)
	v_mul_f64 v[72:73], v[230:231], v[74:75]
	v_mul_f64 v[212:213], v[228:229], v[74:75]
	s_delay_alu instid0(VALU_DEP_2) | instskip(NEXT) | instid1(VALU_DEP_2)
	v_fma_f64 v[72:73], v[228:229], v[236:237], -v[72:73]
	v_fma_f64 v[212:213], v[230:231], v[236:237], v[212:213]
	ds_load_2addr_b64 v[228:231], v238 offset0:90 offset1:91
	v_add_f64 v[48:49], v[48:49], -v[72:73]
	v_add_f64 v[50:51], v[50:51], -v[212:213]
	s_waitcnt lgkmcnt(0)
	v_mul_f64 v[72:73], v[230:231], v[74:75]
	v_mul_f64 v[212:213], v[228:229], v[74:75]
	s_delay_alu instid0(VALU_DEP_2) | instskip(NEXT) | instid1(VALU_DEP_2)
	v_fma_f64 v[72:73], v[228:229], v[236:237], -v[72:73]
	v_fma_f64 v[212:213], v[230:231], v[236:237], v[212:213]
	ds_load_2addr_b64 v[228:231], v238 offset0:92 offset1:93
	v_add_f64 v[44:45], v[44:45], -v[72:73]
	v_add_f64 v[46:47], v[46:47], -v[212:213]
	s_waitcnt lgkmcnt(0)
	v_mul_f64 v[72:73], v[230:231], v[74:75]
	v_mul_f64 v[212:213], v[228:229], v[74:75]
	s_delay_alu instid0(VALU_DEP_2) | instskip(NEXT) | instid1(VALU_DEP_2)
	v_fma_f64 v[72:73], v[228:229], v[236:237], -v[72:73]
	v_fma_f64 v[212:213], v[230:231], v[236:237], v[212:213]
	ds_load_2addr_b64 v[228:231], v238 offset0:94 offset1:95
	v_add_f64 v[40:41], v[40:41], -v[72:73]
	v_add_f64 v[42:43], v[42:43], -v[212:213]
	s_waitcnt lgkmcnt(0)
	v_mul_f64 v[72:73], v[230:231], v[74:75]
	v_mul_f64 v[212:213], v[228:229], v[74:75]
	s_delay_alu instid0(VALU_DEP_2) | instskip(NEXT) | instid1(VALU_DEP_2)
	v_fma_f64 v[72:73], v[228:229], v[236:237], -v[72:73]
	v_fma_f64 v[212:213], v[230:231], v[236:237], v[212:213]
	ds_load_2addr_b64 v[228:231], v238 offset0:96 offset1:97
	v_add_f64 v[36:37], v[36:37], -v[72:73]
	v_add_f64 v[38:39], v[38:39], -v[212:213]
	s_waitcnt lgkmcnt(0)
	v_mul_f64 v[72:73], v[230:231], v[74:75]
	v_mul_f64 v[212:213], v[228:229], v[74:75]
	s_delay_alu instid0(VALU_DEP_2) | instskip(NEXT) | instid1(VALU_DEP_2)
	v_fma_f64 v[72:73], v[228:229], v[236:237], -v[72:73]
	v_fma_f64 v[212:213], v[230:231], v[236:237], v[212:213]
	ds_load_2addr_b64 v[228:231], v238 offset0:98 offset1:99
	v_add_f64 v[32:33], v[32:33], -v[72:73]
	v_add_f64 v[34:35], v[34:35], -v[212:213]
	s_waitcnt lgkmcnt(0)
	v_mul_f64 v[72:73], v[230:231], v[74:75]
	v_mul_f64 v[212:213], v[228:229], v[74:75]
	s_delay_alu instid0(VALU_DEP_2) | instskip(NEXT) | instid1(VALU_DEP_2)
	v_fma_f64 v[72:73], v[228:229], v[236:237], -v[72:73]
	v_fma_f64 v[212:213], v[230:231], v[236:237], v[212:213]
	ds_load_2addr_b64 v[228:231], v238 offset0:100 offset1:101
	v_add_f64 v[28:29], v[28:29], -v[72:73]
	v_add_f64 v[30:31], v[30:31], -v[212:213]
	s_waitcnt lgkmcnt(0)
	v_mul_f64 v[72:73], v[230:231], v[74:75]
	v_mul_f64 v[212:213], v[228:229], v[74:75]
	s_delay_alu instid0(VALU_DEP_2) | instskip(NEXT) | instid1(VALU_DEP_2)
	v_fma_f64 v[72:73], v[228:229], v[236:237], -v[72:73]
	v_fma_f64 v[212:213], v[230:231], v[236:237], v[212:213]
	ds_load_2addr_b64 v[228:231], v238 offset0:102 offset1:103
	v_add_f64 v[24:25], v[24:25], -v[72:73]
	v_add_f64 v[26:27], v[26:27], -v[212:213]
	s_waitcnt lgkmcnt(0)
	v_mul_f64 v[72:73], v[230:231], v[74:75]
	v_mul_f64 v[212:213], v[228:229], v[74:75]
	s_delay_alu instid0(VALU_DEP_2) | instskip(NEXT) | instid1(VALU_DEP_2)
	v_fma_f64 v[72:73], v[228:229], v[236:237], -v[72:73]
	v_fma_f64 v[212:213], v[230:231], v[236:237], v[212:213]
	ds_load_2addr_b64 v[228:231], v238 offset0:104 offset1:105
	v_add_f64 v[20:21], v[20:21], -v[72:73]
	v_add_f64 v[22:23], v[22:23], -v[212:213]
	s_waitcnt lgkmcnt(0)
	v_mul_f64 v[72:73], v[230:231], v[74:75]
	v_mul_f64 v[212:213], v[228:229], v[74:75]
	s_delay_alu instid0(VALU_DEP_2) | instskip(NEXT) | instid1(VALU_DEP_2)
	v_fma_f64 v[72:73], v[228:229], v[236:237], -v[72:73]
	v_fma_f64 v[212:213], v[230:231], v[236:237], v[212:213]
	ds_load_2addr_b64 v[228:231], v238 offset0:106 offset1:107
	v_add_f64 v[16:17], v[16:17], -v[72:73]
	v_add_f64 v[18:19], v[18:19], -v[212:213]
	s_waitcnt lgkmcnt(0)
	v_mul_f64 v[72:73], v[230:231], v[74:75]
	v_mul_f64 v[212:213], v[228:229], v[74:75]
	s_delay_alu instid0(VALU_DEP_2) | instskip(NEXT) | instid1(VALU_DEP_2)
	v_fma_f64 v[72:73], v[228:229], v[236:237], -v[72:73]
	v_fma_f64 v[212:213], v[230:231], v[236:237], v[212:213]
	ds_load_2addr_b64 v[228:231], v238 offset0:108 offset1:109
	v_add_f64 v[12:13], v[12:13], -v[72:73]
	v_add_f64 v[14:15], v[14:15], -v[212:213]
	s_waitcnt lgkmcnt(0)
	v_mul_f64 v[72:73], v[230:231], v[74:75]
	v_mul_f64 v[212:213], v[228:229], v[74:75]
	s_delay_alu instid0(VALU_DEP_2) | instskip(NEXT) | instid1(VALU_DEP_2)
	v_fma_f64 v[72:73], v[228:229], v[236:237], -v[72:73]
	v_fma_f64 v[212:213], v[230:231], v[236:237], v[212:213]
	ds_load_2addr_b64 v[228:231], v238 offset0:110 offset1:111
	v_add_f64 v[224:225], v[224:225], -v[72:73]
	v_add_f64 v[226:227], v[226:227], -v[212:213]
	s_waitcnt lgkmcnt(0)
	v_mul_f64 v[72:73], v[230:231], v[74:75]
	v_mul_f64 v[212:213], v[228:229], v[74:75]
	s_delay_alu instid0(VALU_DEP_2) | instskip(NEXT) | instid1(VALU_DEP_2)
	v_fma_f64 v[72:73], v[228:229], v[236:237], -v[72:73]
	v_fma_f64 v[212:213], v[230:231], v[236:237], v[212:213]
	ds_load_2addr_b64 v[228:231], v238 offset0:112 offset1:113
	v_add_f64 v[250:251], v[250:251], -v[72:73]
	v_add_f64 v[252:253], v[252:253], -v[212:213]
	s_waitcnt lgkmcnt(0)
	v_mul_f64 v[72:73], v[230:231], v[74:75]
	v_mul_f64 v[212:213], v[228:229], v[74:75]
	s_delay_alu instid0(VALU_DEP_2) | instskip(NEXT) | instid1(VALU_DEP_2)
	v_fma_f64 v[72:73], v[228:229], v[236:237], -v[72:73]
	v_fma_f64 v[212:213], v[230:231], v[236:237], v[212:213]
	s_delay_alu instid0(VALU_DEP_2) | instskip(NEXT) | instid1(VALU_DEP_2)
	v_add_f64 v[0:1], v[0:1], -v[72:73]
	v_add_f64 v[2:3], v[2:3], -v[212:213]
	v_dual_mov_b32 v72, v236 :: v_dual_mov_b32 v73, v237
.LBB112_818:
	s_or_b32 exec_lo, exec_lo, s2
	v_lshl_add_u32 v212, v244, 4, v238
	s_barrier
	buffer_gl0_inv
	v_mov_b32_e32 v236, 39
	ds_store_2addr_b64 v212, v[68:69], v[70:71] offset1:1
	s_waitcnt lgkmcnt(0)
	s_barrier
	buffer_gl0_inv
	ds_load_2addr_b64 v[228:231], v238 offset0:78 offset1:79
	s_cmp_lt_i32 s12, 41
	s_cbranch_scc1 .LBB112_821
; %bb.819:
	v_add3_u32 v237, v242, 0, 0x280
	v_mov_b32_e32 v236, 39
	s_mov_b32 s2, 40
	s_set_inst_prefetch_distance 0x1
	.p2align	6
.LBB112_820:                            ; =>This Inner Loop Header: Depth=1
	s_waitcnt lgkmcnt(0)
	v_cmp_gt_f64_e32 vcc_lo, 0, v[228:229]
	v_xor_b32_e32 v212, 0x80000000, v229
	v_xor_b32_e32 v214, 0x80000000, v231
	ds_load_2addr_b64 v[245:248], v237 offset1:1
	v_add_nc_u32_e32 v237, 16, v237
	s_waitcnt lgkmcnt(0)
	v_xor_b32_e32 v216, 0x80000000, v248
	v_cndmask_b32_e32 v213, v229, v212, vcc_lo
	v_cndmask_b32_e32 v212, v228, v228, vcc_lo
	v_cmp_gt_f64_e32 vcc_lo, 0, v[230:231]
	v_cndmask_b32_e32 v215, v231, v214, vcc_lo
	v_cndmask_b32_e32 v214, v230, v230, vcc_lo
	v_cmp_gt_f64_e32 vcc_lo, 0, v[245:246]
	s_delay_alu instid0(VALU_DEP_2) | instskip(SKIP_1) | instid1(VALU_DEP_1)
	v_add_f64 v[212:213], v[212:213], v[214:215]
	v_xor_b32_e32 v214, 0x80000000, v246
	v_dual_cndmask_b32 v215, v246, v214 :: v_dual_mov_b32 v214, v245
	v_cmp_gt_f64_e32 vcc_lo, 0, v[247:248]
	v_dual_cndmask_b32 v217, v248, v216 :: v_dual_mov_b32 v216, v247
	s_delay_alu instid0(VALU_DEP_1) | instskip(NEXT) | instid1(VALU_DEP_1)
	v_add_f64 v[214:215], v[214:215], v[216:217]
	v_cmp_lt_f64_e32 vcc_lo, v[212:213], v[214:215]
	v_dual_cndmask_b32 v229, v229, v246 :: v_dual_cndmask_b32 v228, v228, v245
	v_dual_cndmask_b32 v231, v231, v248 :: v_dual_cndmask_b32 v230, v230, v247
	v_cndmask_b32_e64 v236, v236, s2, vcc_lo
	s_add_i32 s2, s2, 1
	s_delay_alu instid0(SALU_CYCLE_1)
	s_cmp_lg_u32 s12, s2
	s_cbranch_scc1 .LBB112_820
.LBB112_821:
	s_set_inst_prefetch_distance 0x2
	s_waitcnt lgkmcnt(0)
	v_cmp_eq_f64_e32 vcc_lo, 0, v[228:229]
	v_cmp_eq_f64_e64 s2, 0, v[230:231]
	s_delay_alu instid0(VALU_DEP_1) | instskip(NEXT) | instid1(SALU_CYCLE_1)
	s_and_b32 s2, vcc_lo, s2
	s_and_saveexec_b32 s3, s2
	s_delay_alu instid0(SALU_CYCLE_1)
	s_xor_b32 s2, exec_lo, s3
; %bb.822:
	v_cmp_ne_u32_e32 vcc_lo, 0, v241
	v_cndmask_b32_e32 v241, 40, v241, vcc_lo
; %bb.823:
	s_and_not1_saveexec_b32 s3, s2
	s_cbranch_execz .LBB112_829
; %bb.824:
	v_cmp_gt_f64_e32 vcc_lo, 0, v[228:229]
	v_cmp_gt_f64_e64 s2, 0, v[230:231]
	v_xor_b32_e32 v212, 0x80000000, v229
	v_xor_b32_e32 v214, 0x80000000, v231
	s_delay_alu instid0(VALU_DEP_2) | instskip(NEXT) | instid1(VALU_DEP_2)
	v_cndmask_b32_e32 v213, v229, v212, vcc_lo
	v_cndmask_b32_e64 v215, v231, v214, s2
	v_cndmask_b32_e32 v212, v228, v228, vcc_lo
	v_cndmask_b32_e64 v214, v230, v230, s2
	s_mov_b32 s2, exec_lo
	s_delay_alu instid0(VALU_DEP_1)
	v_cmpx_ngt_f64_e32 v[212:213], v[214:215]
	s_xor_b32 s2, exec_lo, s2
	s_cbranch_execz .LBB112_826
; %bb.825:
	v_div_scale_f64 v[212:213], null, v[230:231], v[230:231], v[228:229]
	v_div_scale_f64 v[218:219], vcc_lo, v[228:229], v[230:231], v[228:229]
	s_delay_alu instid0(VALU_DEP_2) | instskip(SKIP_2) | instid1(VALU_DEP_1)
	v_rcp_f64_e32 v[214:215], v[212:213]
	s_waitcnt_depctr 0xfff
	v_fma_f64 v[216:217], -v[212:213], v[214:215], 1.0
	v_fma_f64 v[214:215], v[214:215], v[216:217], v[214:215]
	s_delay_alu instid0(VALU_DEP_1) | instskip(NEXT) | instid1(VALU_DEP_1)
	v_fma_f64 v[216:217], -v[212:213], v[214:215], 1.0
	v_fma_f64 v[214:215], v[214:215], v[216:217], v[214:215]
	s_delay_alu instid0(VALU_DEP_1) | instskip(NEXT) | instid1(VALU_DEP_1)
	v_mul_f64 v[216:217], v[218:219], v[214:215]
	v_fma_f64 v[212:213], -v[212:213], v[216:217], v[218:219]
	s_delay_alu instid0(VALU_DEP_1) | instskip(NEXT) | instid1(VALU_DEP_1)
	v_div_fmas_f64 v[212:213], v[212:213], v[214:215], v[216:217]
	v_div_fixup_f64 v[212:213], v[212:213], v[230:231], v[228:229]
	s_delay_alu instid0(VALU_DEP_1) | instskip(NEXT) | instid1(VALU_DEP_1)
	v_fma_f64 v[214:215], v[228:229], v[212:213], v[230:231]
	v_div_scale_f64 v[216:217], null, v[214:215], v[214:215], 1.0
	s_delay_alu instid0(VALU_DEP_1) | instskip(SKIP_2) | instid1(VALU_DEP_1)
	v_rcp_f64_e32 v[218:219], v[216:217]
	s_waitcnt_depctr 0xfff
	v_fma_f64 v[220:221], -v[216:217], v[218:219], 1.0
	v_fma_f64 v[218:219], v[218:219], v[220:221], v[218:219]
	s_delay_alu instid0(VALU_DEP_1) | instskip(NEXT) | instid1(VALU_DEP_1)
	v_fma_f64 v[220:221], -v[216:217], v[218:219], 1.0
	v_fma_f64 v[218:219], v[218:219], v[220:221], v[218:219]
	v_div_scale_f64 v[220:221], vcc_lo, 1.0, v[214:215], 1.0
	s_delay_alu instid0(VALU_DEP_1) | instskip(NEXT) | instid1(VALU_DEP_1)
	v_mul_f64 v[222:223], v[220:221], v[218:219]
	v_fma_f64 v[216:217], -v[216:217], v[222:223], v[220:221]
	s_delay_alu instid0(VALU_DEP_1) | instskip(NEXT) | instid1(VALU_DEP_1)
	v_div_fmas_f64 v[216:217], v[216:217], v[218:219], v[222:223]
	v_div_fixup_f64 v[230:231], v[216:217], v[214:215], 1.0
	s_delay_alu instid0(VALU_DEP_1)
	v_mul_f64 v[228:229], v[212:213], v[230:231]
	v_xor_b32_e32 v231, 0x80000000, v231
.LBB112_826:
	s_and_not1_saveexec_b32 s2, s2
	s_cbranch_execz .LBB112_828
; %bb.827:
	s_delay_alu instid0(VALU_DEP_1) | instskip(SKIP_1) | instid1(VALU_DEP_2)
	v_div_scale_f64 v[212:213], null, v[228:229], v[228:229], v[230:231]
	v_div_scale_f64 v[218:219], vcc_lo, v[230:231], v[228:229], v[230:231]
	v_rcp_f64_e32 v[214:215], v[212:213]
	s_waitcnt_depctr 0xfff
	v_fma_f64 v[216:217], -v[212:213], v[214:215], 1.0
	s_delay_alu instid0(VALU_DEP_1) | instskip(NEXT) | instid1(VALU_DEP_1)
	v_fma_f64 v[214:215], v[214:215], v[216:217], v[214:215]
	v_fma_f64 v[216:217], -v[212:213], v[214:215], 1.0
	s_delay_alu instid0(VALU_DEP_1) | instskip(NEXT) | instid1(VALU_DEP_1)
	v_fma_f64 v[214:215], v[214:215], v[216:217], v[214:215]
	v_mul_f64 v[216:217], v[218:219], v[214:215]
	s_delay_alu instid0(VALU_DEP_1) | instskip(NEXT) | instid1(VALU_DEP_1)
	v_fma_f64 v[212:213], -v[212:213], v[216:217], v[218:219]
	v_div_fmas_f64 v[212:213], v[212:213], v[214:215], v[216:217]
	s_delay_alu instid0(VALU_DEP_1) | instskip(NEXT) | instid1(VALU_DEP_1)
	v_div_fixup_f64 v[212:213], v[212:213], v[228:229], v[230:231]
	v_fma_f64 v[214:215], v[230:231], v[212:213], v[228:229]
	s_delay_alu instid0(VALU_DEP_1) | instskip(NEXT) | instid1(VALU_DEP_1)
	v_div_scale_f64 v[216:217], null, v[214:215], v[214:215], 1.0
	v_rcp_f64_e32 v[218:219], v[216:217]
	s_waitcnt_depctr 0xfff
	v_fma_f64 v[220:221], -v[216:217], v[218:219], 1.0
	s_delay_alu instid0(VALU_DEP_1) | instskip(NEXT) | instid1(VALU_DEP_1)
	v_fma_f64 v[218:219], v[218:219], v[220:221], v[218:219]
	v_fma_f64 v[220:221], -v[216:217], v[218:219], 1.0
	s_delay_alu instid0(VALU_DEP_1) | instskip(SKIP_1) | instid1(VALU_DEP_1)
	v_fma_f64 v[218:219], v[218:219], v[220:221], v[218:219]
	v_div_scale_f64 v[220:221], vcc_lo, 1.0, v[214:215], 1.0
	v_mul_f64 v[222:223], v[220:221], v[218:219]
	s_delay_alu instid0(VALU_DEP_1) | instskip(NEXT) | instid1(VALU_DEP_1)
	v_fma_f64 v[216:217], -v[216:217], v[222:223], v[220:221]
	v_div_fmas_f64 v[216:217], v[216:217], v[218:219], v[222:223]
	s_delay_alu instid0(VALU_DEP_1) | instskip(NEXT) | instid1(VALU_DEP_1)
	v_div_fixup_f64 v[228:229], v[216:217], v[214:215], 1.0
	v_mul_f64 v[230:231], v[212:213], -v[228:229]
.LBB112_828:
	s_or_b32 exec_lo, exec_lo, s2
.LBB112_829:
	s_delay_alu instid0(SALU_CYCLE_1) | instskip(NEXT) | instid1(SALU_CYCLE_1)
	s_or_b32 exec_lo, exec_lo, s3
	s_mov_b32 s2, exec_lo
	v_cmpx_ne_u32_e64 v244, v236
	s_xor_b32 s2, exec_lo, s2
	s_cbranch_execz .LBB112_835
; %bb.830:
	s_mov_b32 s3, exec_lo
	v_cmpx_eq_u32_e32 39, v244
	s_cbranch_execz .LBB112_834
; %bb.831:
	v_cmp_ne_u32_e32 vcc_lo, 39, v236
	s_xor_b32 s4, s5, -1
	s_delay_alu instid0(SALU_CYCLE_1) | instskip(NEXT) | instid1(SALU_CYCLE_1)
	s_and_b32 s6, s4, vcc_lo
	s_and_saveexec_b32 s4, s6
	s_cbranch_execz .LBB112_833
; %bb.832:
	scratch_load_b64 v[10:11], off, off     ; 8-byte Folded Reload
	v_ashrrev_i32_e32 v237, 31, v236
	s_delay_alu instid0(VALU_DEP_1) | instskip(SKIP_1) | instid1(VALU_DEP_1)
	v_lshlrev_b64 v[212:213], 2, v[236:237]
	s_waitcnt vmcnt(0)
	v_add_co_u32 v212, vcc_lo, v10, v212
	s_delay_alu instid0(VALU_DEP_2)
	v_add_co_ci_u32_e32 v213, vcc_lo, v11, v213, vcc_lo
	s_clause 0x1
	flat_load_b32 v214, v[212:213]
	flat_load_b32 v215, v[10:11] offset:156
	s_waitcnt vmcnt(1) lgkmcnt(1)
	flat_store_b32 v[10:11], v214 offset:156
	s_waitcnt vmcnt(0) lgkmcnt(1)
	flat_store_b32 v[212:213], v215
.LBB112_833:
	s_or_b32 exec_lo, exec_lo, s4
	v_mov_b32_e32 v244, v236
	v_mov_b32_e32 v243, v236
.LBB112_834:
	s_or_b32 exec_lo, exec_lo, s3
.LBB112_835:
	s_and_not1_saveexec_b32 s2, s2
	s_cbranch_execz .LBB112_837
; %bb.836:
	v_mov_b32_e32 v244, 39
	ds_store_2addr_b64 v238, v[64:65], v[66:67] offset0:80 offset1:81
	ds_store_2addr_b64 v238, v[60:61], v[62:63] offset0:82 offset1:83
	;; [unrolled: 1-line block ×17, first 2 shown]
.LBB112_837:
	s_or_b32 exec_lo, exec_lo, s2
	s_delay_alu instid0(SALU_CYCLE_1)
	s_mov_b32 s2, exec_lo
	s_waitcnt lgkmcnt(0)
	s_waitcnt_vscnt null, 0x0
	s_barrier
	buffer_gl0_inv
	v_cmpx_lt_i32_e32 39, v244
	s_cbranch_execz .LBB112_839
; %bb.838:
	v_mul_f64 v[212:213], v[230:231], v[70:71]
	v_mul_f64 v[70:71], v[228:229], v[70:71]
	s_delay_alu instid0(VALU_DEP_2) | instskip(NEXT) | instid1(VALU_DEP_2)
	v_fma_f64 v[236:237], v[228:229], v[68:69], -v[212:213]
	v_fma_f64 v[70:71], v[230:231], v[68:69], v[70:71]
	ds_load_2addr_b64 v[228:231], v238 offset0:80 offset1:81
	s_waitcnt lgkmcnt(0)
	v_mul_f64 v[68:69], v[230:231], v[70:71]
	v_mul_f64 v[212:213], v[228:229], v[70:71]
	s_delay_alu instid0(VALU_DEP_2) | instskip(NEXT) | instid1(VALU_DEP_2)
	v_fma_f64 v[68:69], v[228:229], v[236:237], -v[68:69]
	v_fma_f64 v[212:213], v[230:231], v[236:237], v[212:213]
	ds_load_2addr_b64 v[228:231], v238 offset0:82 offset1:83
	v_add_f64 v[64:65], v[64:65], -v[68:69]
	v_add_f64 v[66:67], v[66:67], -v[212:213]
	s_waitcnt lgkmcnt(0)
	v_mul_f64 v[68:69], v[230:231], v[70:71]
	v_mul_f64 v[212:213], v[228:229], v[70:71]
	s_delay_alu instid0(VALU_DEP_2) | instskip(NEXT) | instid1(VALU_DEP_2)
	v_fma_f64 v[68:69], v[228:229], v[236:237], -v[68:69]
	v_fma_f64 v[212:213], v[230:231], v[236:237], v[212:213]
	ds_load_2addr_b64 v[228:231], v238 offset0:84 offset1:85
	v_add_f64 v[60:61], v[60:61], -v[68:69]
	v_add_f64 v[62:63], v[62:63], -v[212:213]
	;; [unrolled: 9-line block ×16, first 2 shown]
	s_waitcnt lgkmcnt(0)
	v_mul_f64 v[68:69], v[230:231], v[70:71]
	v_mul_f64 v[212:213], v[228:229], v[70:71]
	s_delay_alu instid0(VALU_DEP_2) | instskip(NEXT) | instid1(VALU_DEP_2)
	v_fma_f64 v[68:69], v[228:229], v[236:237], -v[68:69]
	v_fma_f64 v[212:213], v[230:231], v[236:237], v[212:213]
	s_delay_alu instid0(VALU_DEP_2) | instskip(NEXT) | instid1(VALU_DEP_2)
	v_add_f64 v[0:1], v[0:1], -v[68:69]
	v_add_f64 v[2:3], v[2:3], -v[212:213]
	v_dual_mov_b32 v68, v236 :: v_dual_mov_b32 v69, v237
.LBB112_839:
	s_or_b32 exec_lo, exec_lo, s2
	v_lshl_add_u32 v212, v244, 4, v238
	s_barrier
	buffer_gl0_inv
	v_mov_b32_e32 v236, 40
	ds_store_2addr_b64 v212, v[64:65], v[66:67] offset1:1
	s_waitcnt lgkmcnt(0)
	s_barrier
	buffer_gl0_inv
	ds_load_2addr_b64 v[228:231], v238 offset0:80 offset1:81
	s_cmp_lt_i32 s12, 42
	s_cbranch_scc1 .LBB112_842
; %bb.840:
	v_add3_u32 v237, v242, 0, 0x290
	v_mov_b32_e32 v236, 40
	s_mov_b32 s2, 41
	s_set_inst_prefetch_distance 0x1
	.p2align	6
.LBB112_841:                            ; =>This Inner Loop Header: Depth=1
	s_waitcnt lgkmcnt(0)
	v_cmp_gt_f64_e32 vcc_lo, 0, v[228:229]
	v_xor_b32_e32 v212, 0x80000000, v229
	v_xor_b32_e32 v214, 0x80000000, v231
	ds_load_2addr_b64 v[245:248], v237 offset1:1
	v_add_nc_u32_e32 v237, 16, v237
	s_waitcnt lgkmcnt(0)
	v_xor_b32_e32 v216, 0x80000000, v248
	v_cndmask_b32_e32 v213, v229, v212, vcc_lo
	v_cndmask_b32_e32 v212, v228, v228, vcc_lo
	v_cmp_gt_f64_e32 vcc_lo, 0, v[230:231]
	v_cndmask_b32_e32 v215, v231, v214, vcc_lo
	v_cndmask_b32_e32 v214, v230, v230, vcc_lo
	v_cmp_gt_f64_e32 vcc_lo, 0, v[245:246]
	s_delay_alu instid0(VALU_DEP_2) | instskip(SKIP_1) | instid1(VALU_DEP_1)
	v_add_f64 v[212:213], v[212:213], v[214:215]
	v_xor_b32_e32 v214, 0x80000000, v246
	v_dual_cndmask_b32 v215, v246, v214 :: v_dual_mov_b32 v214, v245
	v_cmp_gt_f64_e32 vcc_lo, 0, v[247:248]
	v_dual_cndmask_b32 v217, v248, v216 :: v_dual_mov_b32 v216, v247
	s_delay_alu instid0(VALU_DEP_1) | instskip(NEXT) | instid1(VALU_DEP_1)
	v_add_f64 v[214:215], v[214:215], v[216:217]
	v_cmp_lt_f64_e32 vcc_lo, v[212:213], v[214:215]
	v_dual_cndmask_b32 v229, v229, v246 :: v_dual_cndmask_b32 v228, v228, v245
	v_dual_cndmask_b32 v231, v231, v248 :: v_dual_cndmask_b32 v230, v230, v247
	v_cndmask_b32_e64 v236, v236, s2, vcc_lo
	s_add_i32 s2, s2, 1
	s_delay_alu instid0(SALU_CYCLE_1)
	s_cmp_lg_u32 s12, s2
	s_cbranch_scc1 .LBB112_841
.LBB112_842:
	s_set_inst_prefetch_distance 0x2
	s_waitcnt lgkmcnt(0)
	v_cmp_eq_f64_e32 vcc_lo, 0, v[228:229]
	v_cmp_eq_f64_e64 s2, 0, v[230:231]
	s_delay_alu instid0(VALU_DEP_1) | instskip(NEXT) | instid1(SALU_CYCLE_1)
	s_and_b32 s2, vcc_lo, s2
	s_and_saveexec_b32 s3, s2
	s_delay_alu instid0(SALU_CYCLE_1)
	s_xor_b32 s2, exec_lo, s3
; %bb.843:
	v_cmp_ne_u32_e32 vcc_lo, 0, v241
	v_cndmask_b32_e32 v241, 41, v241, vcc_lo
; %bb.844:
	s_and_not1_saveexec_b32 s3, s2
	s_cbranch_execz .LBB112_850
; %bb.845:
	v_cmp_gt_f64_e32 vcc_lo, 0, v[228:229]
	v_cmp_gt_f64_e64 s2, 0, v[230:231]
	v_xor_b32_e32 v212, 0x80000000, v229
	v_xor_b32_e32 v214, 0x80000000, v231
	s_delay_alu instid0(VALU_DEP_2) | instskip(NEXT) | instid1(VALU_DEP_2)
	v_cndmask_b32_e32 v213, v229, v212, vcc_lo
	v_cndmask_b32_e64 v215, v231, v214, s2
	v_cndmask_b32_e32 v212, v228, v228, vcc_lo
	v_cndmask_b32_e64 v214, v230, v230, s2
	s_mov_b32 s2, exec_lo
	s_delay_alu instid0(VALU_DEP_1)
	v_cmpx_ngt_f64_e32 v[212:213], v[214:215]
	s_xor_b32 s2, exec_lo, s2
	s_cbranch_execz .LBB112_847
; %bb.846:
	v_div_scale_f64 v[212:213], null, v[230:231], v[230:231], v[228:229]
	v_div_scale_f64 v[218:219], vcc_lo, v[228:229], v[230:231], v[228:229]
	s_delay_alu instid0(VALU_DEP_2) | instskip(SKIP_2) | instid1(VALU_DEP_1)
	v_rcp_f64_e32 v[214:215], v[212:213]
	s_waitcnt_depctr 0xfff
	v_fma_f64 v[216:217], -v[212:213], v[214:215], 1.0
	v_fma_f64 v[214:215], v[214:215], v[216:217], v[214:215]
	s_delay_alu instid0(VALU_DEP_1) | instskip(NEXT) | instid1(VALU_DEP_1)
	v_fma_f64 v[216:217], -v[212:213], v[214:215], 1.0
	v_fma_f64 v[214:215], v[214:215], v[216:217], v[214:215]
	s_delay_alu instid0(VALU_DEP_1) | instskip(NEXT) | instid1(VALU_DEP_1)
	v_mul_f64 v[216:217], v[218:219], v[214:215]
	v_fma_f64 v[212:213], -v[212:213], v[216:217], v[218:219]
	s_delay_alu instid0(VALU_DEP_1) | instskip(NEXT) | instid1(VALU_DEP_1)
	v_div_fmas_f64 v[212:213], v[212:213], v[214:215], v[216:217]
	v_div_fixup_f64 v[212:213], v[212:213], v[230:231], v[228:229]
	s_delay_alu instid0(VALU_DEP_1) | instskip(NEXT) | instid1(VALU_DEP_1)
	v_fma_f64 v[214:215], v[228:229], v[212:213], v[230:231]
	v_div_scale_f64 v[216:217], null, v[214:215], v[214:215], 1.0
	s_delay_alu instid0(VALU_DEP_1) | instskip(SKIP_2) | instid1(VALU_DEP_1)
	v_rcp_f64_e32 v[218:219], v[216:217]
	s_waitcnt_depctr 0xfff
	v_fma_f64 v[220:221], -v[216:217], v[218:219], 1.0
	v_fma_f64 v[218:219], v[218:219], v[220:221], v[218:219]
	s_delay_alu instid0(VALU_DEP_1) | instskip(NEXT) | instid1(VALU_DEP_1)
	v_fma_f64 v[220:221], -v[216:217], v[218:219], 1.0
	v_fma_f64 v[218:219], v[218:219], v[220:221], v[218:219]
	v_div_scale_f64 v[220:221], vcc_lo, 1.0, v[214:215], 1.0
	s_delay_alu instid0(VALU_DEP_1) | instskip(NEXT) | instid1(VALU_DEP_1)
	v_mul_f64 v[222:223], v[220:221], v[218:219]
	v_fma_f64 v[216:217], -v[216:217], v[222:223], v[220:221]
	s_delay_alu instid0(VALU_DEP_1) | instskip(NEXT) | instid1(VALU_DEP_1)
	v_div_fmas_f64 v[216:217], v[216:217], v[218:219], v[222:223]
	v_div_fixup_f64 v[230:231], v[216:217], v[214:215], 1.0
	s_delay_alu instid0(VALU_DEP_1)
	v_mul_f64 v[228:229], v[212:213], v[230:231]
	v_xor_b32_e32 v231, 0x80000000, v231
.LBB112_847:
	s_and_not1_saveexec_b32 s2, s2
	s_cbranch_execz .LBB112_849
; %bb.848:
	s_delay_alu instid0(VALU_DEP_1) | instskip(SKIP_1) | instid1(VALU_DEP_2)
	v_div_scale_f64 v[212:213], null, v[228:229], v[228:229], v[230:231]
	v_div_scale_f64 v[218:219], vcc_lo, v[230:231], v[228:229], v[230:231]
	v_rcp_f64_e32 v[214:215], v[212:213]
	s_waitcnt_depctr 0xfff
	v_fma_f64 v[216:217], -v[212:213], v[214:215], 1.0
	s_delay_alu instid0(VALU_DEP_1) | instskip(NEXT) | instid1(VALU_DEP_1)
	v_fma_f64 v[214:215], v[214:215], v[216:217], v[214:215]
	v_fma_f64 v[216:217], -v[212:213], v[214:215], 1.0
	s_delay_alu instid0(VALU_DEP_1) | instskip(NEXT) | instid1(VALU_DEP_1)
	v_fma_f64 v[214:215], v[214:215], v[216:217], v[214:215]
	v_mul_f64 v[216:217], v[218:219], v[214:215]
	s_delay_alu instid0(VALU_DEP_1) | instskip(NEXT) | instid1(VALU_DEP_1)
	v_fma_f64 v[212:213], -v[212:213], v[216:217], v[218:219]
	v_div_fmas_f64 v[212:213], v[212:213], v[214:215], v[216:217]
	s_delay_alu instid0(VALU_DEP_1) | instskip(NEXT) | instid1(VALU_DEP_1)
	v_div_fixup_f64 v[212:213], v[212:213], v[228:229], v[230:231]
	v_fma_f64 v[214:215], v[230:231], v[212:213], v[228:229]
	s_delay_alu instid0(VALU_DEP_1) | instskip(NEXT) | instid1(VALU_DEP_1)
	v_div_scale_f64 v[216:217], null, v[214:215], v[214:215], 1.0
	v_rcp_f64_e32 v[218:219], v[216:217]
	s_waitcnt_depctr 0xfff
	v_fma_f64 v[220:221], -v[216:217], v[218:219], 1.0
	s_delay_alu instid0(VALU_DEP_1) | instskip(NEXT) | instid1(VALU_DEP_1)
	v_fma_f64 v[218:219], v[218:219], v[220:221], v[218:219]
	v_fma_f64 v[220:221], -v[216:217], v[218:219], 1.0
	s_delay_alu instid0(VALU_DEP_1) | instskip(SKIP_1) | instid1(VALU_DEP_1)
	v_fma_f64 v[218:219], v[218:219], v[220:221], v[218:219]
	v_div_scale_f64 v[220:221], vcc_lo, 1.0, v[214:215], 1.0
	v_mul_f64 v[222:223], v[220:221], v[218:219]
	s_delay_alu instid0(VALU_DEP_1) | instskip(NEXT) | instid1(VALU_DEP_1)
	v_fma_f64 v[216:217], -v[216:217], v[222:223], v[220:221]
	v_div_fmas_f64 v[216:217], v[216:217], v[218:219], v[222:223]
	s_delay_alu instid0(VALU_DEP_1) | instskip(NEXT) | instid1(VALU_DEP_1)
	v_div_fixup_f64 v[228:229], v[216:217], v[214:215], 1.0
	v_mul_f64 v[230:231], v[212:213], -v[228:229]
.LBB112_849:
	s_or_b32 exec_lo, exec_lo, s2
.LBB112_850:
	s_delay_alu instid0(SALU_CYCLE_1) | instskip(NEXT) | instid1(SALU_CYCLE_1)
	s_or_b32 exec_lo, exec_lo, s3
	s_mov_b32 s2, exec_lo
	v_cmpx_ne_u32_e64 v244, v236
	s_xor_b32 s2, exec_lo, s2
	s_cbranch_execz .LBB112_856
; %bb.851:
	s_mov_b32 s3, exec_lo
	v_cmpx_eq_u32_e32 40, v244
	s_cbranch_execz .LBB112_855
; %bb.852:
	v_cmp_ne_u32_e32 vcc_lo, 40, v236
	s_xor_b32 s4, s5, -1
	s_delay_alu instid0(SALU_CYCLE_1) | instskip(NEXT) | instid1(SALU_CYCLE_1)
	s_and_b32 s6, s4, vcc_lo
	s_and_saveexec_b32 s4, s6
	s_cbranch_execz .LBB112_854
; %bb.853:
	scratch_load_b64 v[10:11], off, off     ; 8-byte Folded Reload
	v_ashrrev_i32_e32 v237, 31, v236
	s_delay_alu instid0(VALU_DEP_1) | instskip(SKIP_1) | instid1(VALU_DEP_1)
	v_lshlrev_b64 v[212:213], 2, v[236:237]
	s_waitcnt vmcnt(0)
	v_add_co_u32 v212, vcc_lo, v10, v212
	s_delay_alu instid0(VALU_DEP_2)
	v_add_co_ci_u32_e32 v213, vcc_lo, v11, v213, vcc_lo
	s_clause 0x1
	flat_load_b32 v214, v[212:213]
	flat_load_b32 v215, v[10:11] offset:160
	s_waitcnt vmcnt(1) lgkmcnt(1)
	flat_store_b32 v[10:11], v214 offset:160
	s_waitcnt vmcnt(0) lgkmcnt(1)
	flat_store_b32 v[212:213], v215
.LBB112_854:
	s_or_b32 exec_lo, exec_lo, s4
	v_mov_b32_e32 v244, v236
	v_mov_b32_e32 v243, v236
.LBB112_855:
	s_or_b32 exec_lo, exec_lo, s3
.LBB112_856:
	s_and_not1_saveexec_b32 s2, s2
	s_cbranch_execz .LBB112_858
; %bb.857:
	v_mov_b32_e32 v244, 40
	ds_store_2addr_b64 v238, v[60:61], v[62:63] offset0:82 offset1:83
	ds_store_2addr_b64 v238, v[56:57], v[58:59] offset0:84 offset1:85
	ds_store_2addr_b64 v238, v[52:53], v[54:55] offset0:86 offset1:87
	ds_store_2addr_b64 v238, v[48:49], v[50:51] offset0:88 offset1:89
	ds_store_2addr_b64 v238, v[44:45], v[46:47] offset0:90 offset1:91
	ds_store_2addr_b64 v238, v[40:41], v[42:43] offset0:92 offset1:93
	ds_store_2addr_b64 v238, v[36:37], v[38:39] offset0:94 offset1:95
	ds_store_2addr_b64 v238, v[32:33], v[34:35] offset0:96 offset1:97
	ds_store_2addr_b64 v238, v[28:29], v[30:31] offset0:98 offset1:99
	ds_store_2addr_b64 v238, v[24:25], v[26:27] offset0:100 offset1:101
	ds_store_2addr_b64 v238, v[20:21], v[22:23] offset0:102 offset1:103
	ds_store_2addr_b64 v238, v[16:17], v[18:19] offset0:104 offset1:105
	ds_store_2addr_b64 v238, v[12:13], v[14:15] offset0:106 offset1:107
	ds_store_2addr_b64 v238, v[224:225], v[226:227] offset0:108 offset1:109
	ds_store_2addr_b64 v238, v[250:251], v[252:253] offset0:110 offset1:111
	ds_store_2addr_b64 v238, v[0:1], v[2:3] offset0:112 offset1:113
.LBB112_858:
	s_or_b32 exec_lo, exec_lo, s2
	s_delay_alu instid0(SALU_CYCLE_1)
	s_mov_b32 s2, exec_lo
	s_waitcnt lgkmcnt(0)
	s_waitcnt_vscnt null, 0x0
	s_barrier
	buffer_gl0_inv
	v_cmpx_lt_i32_e32 40, v244
	s_cbranch_execz .LBB112_860
; %bb.859:
	v_mul_f64 v[212:213], v[228:229], v[66:67]
	v_mul_f64 v[66:67], v[230:231], v[66:67]
	s_delay_alu instid0(VALU_DEP_2) | instskip(NEXT) | instid1(VALU_DEP_2)
	v_fma_f64 v[236:237], v[230:231], v[64:65], v[212:213]
	v_fma_f64 v[64:65], v[228:229], v[64:65], -v[66:67]
	ds_load_2addr_b64 v[228:231], v238 offset0:82 offset1:83
	s_waitcnt lgkmcnt(0)
	v_mul_f64 v[66:67], v[230:231], v[236:237]
	v_mul_f64 v[212:213], v[228:229], v[236:237]
	s_delay_alu instid0(VALU_DEP_2) | instskip(NEXT) | instid1(VALU_DEP_2)
	v_fma_f64 v[66:67], v[228:229], v[64:65], -v[66:67]
	v_fma_f64 v[212:213], v[230:231], v[64:65], v[212:213]
	ds_load_2addr_b64 v[228:231], v238 offset0:84 offset1:85
	v_add_f64 v[60:61], v[60:61], -v[66:67]
	v_add_f64 v[62:63], v[62:63], -v[212:213]
	s_waitcnt lgkmcnt(0)
	v_mul_f64 v[66:67], v[230:231], v[236:237]
	v_mul_f64 v[212:213], v[228:229], v[236:237]
	s_delay_alu instid0(VALU_DEP_2) | instskip(NEXT) | instid1(VALU_DEP_2)
	v_fma_f64 v[66:67], v[228:229], v[64:65], -v[66:67]
	v_fma_f64 v[212:213], v[230:231], v[64:65], v[212:213]
	ds_load_2addr_b64 v[228:231], v238 offset0:86 offset1:87
	v_add_f64 v[56:57], v[56:57], -v[66:67]
	v_add_f64 v[58:59], v[58:59], -v[212:213]
	;; [unrolled: 9-line block ×15, first 2 shown]
	s_waitcnt lgkmcnt(0)
	v_mul_f64 v[66:67], v[230:231], v[236:237]
	v_mul_f64 v[212:213], v[228:229], v[236:237]
	s_delay_alu instid0(VALU_DEP_2) | instskip(NEXT) | instid1(VALU_DEP_2)
	v_fma_f64 v[66:67], v[228:229], v[64:65], -v[66:67]
	v_fma_f64 v[212:213], v[230:231], v[64:65], v[212:213]
	s_delay_alu instid0(VALU_DEP_2) | instskip(NEXT) | instid1(VALU_DEP_2)
	v_add_f64 v[0:1], v[0:1], -v[66:67]
	v_add_f64 v[2:3], v[2:3], -v[212:213]
	v_dual_mov_b32 v66, v236 :: v_dual_mov_b32 v67, v237
.LBB112_860:
	s_or_b32 exec_lo, exec_lo, s2
	v_lshl_add_u32 v212, v244, 4, v238
	s_barrier
	buffer_gl0_inv
	v_mov_b32_e32 v236, 41
	ds_store_2addr_b64 v212, v[60:61], v[62:63] offset1:1
	s_waitcnt lgkmcnt(0)
	s_barrier
	buffer_gl0_inv
	ds_load_2addr_b64 v[228:231], v238 offset0:82 offset1:83
	s_cmp_lt_i32 s12, 43
	s_cbranch_scc1 .LBB112_863
; %bb.861:
	v_add3_u32 v237, v242, 0, 0x2a0
	v_mov_b32_e32 v236, 41
	s_mov_b32 s2, 42
	s_set_inst_prefetch_distance 0x1
	.p2align	6
.LBB112_862:                            ; =>This Inner Loop Header: Depth=1
	s_waitcnt lgkmcnt(0)
	v_cmp_gt_f64_e32 vcc_lo, 0, v[228:229]
	v_xor_b32_e32 v212, 0x80000000, v229
	v_xor_b32_e32 v214, 0x80000000, v231
	ds_load_2addr_b64 v[245:248], v237 offset1:1
	v_add_nc_u32_e32 v237, 16, v237
	s_waitcnt lgkmcnt(0)
	v_xor_b32_e32 v216, 0x80000000, v248
	v_cndmask_b32_e32 v213, v229, v212, vcc_lo
	v_cndmask_b32_e32 v212, v228, v228, vcc_lo
	v_cmp_gt_f64_e32 vcc_lo, 0, v[230:231]
	v_cndmask_b32_e32 v215, v231, v214, vcc_lo
	v_cndmask_b32_e32 v214, v230, v230, vcc_lo
	v_cmp_gt_f64_e32 vcc_lo, 0, v[245:246]
	s_delay_alu instid0(VALU_DEP_2) | instskip(SKIP_1) | instid1(VALU_DEP_1)
	v_add_f64 v[212:213], v[212:213], v[214:215]
	v_xor_b32_e32 v214, 0x80000000, v246
	v_dual_cndmask_b32 v215, v246, v214 :: v_dual_mov_b32 v214, v245
	v_cmp_gt_f64_e32 vcc_lo, 0, v[247:248]
	v_dual_cndmask_b32 v217, v248, v216 :: v_dual_mov_b32 v216, v247
	s_delay_alu instid0(VALU_DEP_1) | instskip(NEXT) | instid1(VALU_DEP_1)
	v_add_f64 v[214:215], v[214:215], v[216:217]
	v_cmp_lt_f64_e32 vcc_lo, v[212:213], v[214:215]
	v_dual_cndmask_b32 v229, v229, v246 :: v_dual_cndmask_b32 v228, v228, v245
	v_dual_cndmask_b32 v231, v231, v248 :: v_dual_cndmask_b32 v230, v230, v247
	v_cndmask_b32_e64 v236, v236, s2, vcc_lo
	s_add_i32 s2, s2, 1
	s_delay_alu instid0(SALU_CYCLE_1)
	s_cmp_lg_u32 s12, s2
	s_cbranch_scc1 .LBB112_862
.LBB112_863:
	s_set_inst_prefetch_distance 0x2
	s_waitcnt lgkmcnt(0)
	v_cmp_eq_f64_e32 vcc_lo, 0, v[228:229]
	v_cmp_eq_f64_e64 s2, 0, v[230:231]
	s_delay_alu instid0(VALU_DEP_1) | instskip(NEXT) | instid1(SALU_CYCLE_1)
	s_and_b32 s2, vcc_lo, s2
	s_and_saveexec_b32 s3, s2
	s_delay_alu instid0(SALU_CYCLE_1)
	s_xor_b32 s2, exec_lo, s3
; %bb.864:
	v_cmp_ne_u32_e32 vcc_lo, 0, v241
	v_cndmask_b32_e32 v241, 42, v241, vcc_lo
; %bb.865:
	s_and_not1_saveexec_b32 s3, s2
	s_cbranch_execz .LBB112_871
; %bb.866:
	v_cmp_gt_f64_e32 vcc_lo, 0, v[228:229]
	v_cmp_gt_f64_e64 s2, 0, v[230:231]
	v_xor_b32_e32 v212, 0x80000000, v229
	v_xor_b32_e32 v214, 0x80000000, v231
	s_delay_alu instid0(VALU_DEP_2) | instskip(NEXT) | instid1(VALU_DEP_2)
	v_cndmask_b32_e32 v213, v229, v212, vcc_lo
	v_cndmask_b32_e64 v215, v231, v214, s2
	v_cndmask_b32_e32 v212, v228, v228, vcc_lo
	v_cndmask_b32_e64 v214, v230, v230, s2
	s_mov_b32 s2, exec_lo
	s_delay_alu instid0(VALU_DEP_1)
	v_cmpx_ngt_f64_e32 v[212:213], v[214:215]
	s_xor_b32 s2, exec_lo, s2
	s_cbranch_execz .LBB112_868
; %bb.867:
	v_div_scale_f64 v[212:213], null, v[230:231], v[230:231], v[228:229]
	v_div_scale_f64 v[218:219], vcc_lo, v[228:229], v[230:231], v[228:229]
	s_delay_alu instid0(VALU_DEP_2) | instskip(SKIP_2) | instid1(VALU_DEP_1)
	v_rcp_f64_e32 v[214:215], v[212:213]
	s_waitcnt_depctr 0xfff
	v_fma_f64 v[216:217], -v[212:213], v[214:215], 1.0
	v_fma_f64 v[214:215], v[214:215], v[216:217], v[214:215]
	s_delay_alu instid0(VALU_DEP_1) | instskip(NEXT) | instid1(VALU_DEP_1)
	v_fma_f64 v[216:217], -v[212:213], v[214:215], 1.0
	v_fma_f64 v[214:215], v[214:215], v[216:217], v[214:215]
	s_delay_alu instid0(VALU_DEP_1) | instskip(NEXT) | instid1(VALU_DEP_1)
	v_mul_f64 v[216:217], v[218:219], v[214:215]
	v_fma_f64 v[212:213], -v[212:213], v[216:217], v[218:219]
	s_delay_alu instid0(VALU_DEP_1) | instskip(NEXT) | instid1(VALU_DEP_1)
	v_div_fmas_f64 v[212:213], v[212:213], v[214:215], v[216:217]
	v_div_fixup_f64 v[212:213], v[212:213], v[230:231], v[228:229]
	s_delay_alu instid0(VALU_DEP_1) | instskip(NEXT) | instid1(VALU_DEP_1)
	v_fma_f64 v[214:215], v[228:229], v[212:213], v[230:231]
	v_div_scale_f64 v[216:217], null, v[214:215], v[214:215], 1.0
	s_delay_alu instid0(VALU_DEP_1) | instskip(SKIP_2) | instid1(VALU_DEP_1)
	v_rcp_f64_e32 v[218:219], v[216:217]
	s_waitcnt_depctr 0xfff
	v_fma_f64 v[220:221], -v[216:217], v[218:219], 1.0
	v_fma_f64 v[218:219], v[218:219], v[220:221], v[218:219]
	s_delay_alu instid0(VALU_DEP_1) | instskip(NEXT) | instid1(VALU_DEP_1)
	v_fma_f64 v[220:221], -v[216:217], v[218:219], 1.0
	v_fma_f64 v[218:219], v[218:219], v[220:221], v[218:219]
	v_div_scale_f64 v[220:221], vcc_lo, 1.0, v[214:215], 1.0
	s_delay_alu instid0(VALU_DEP_1) | instskip(NEXT) | instid1(VALU_DEP_1)
	v_mul_f64 v[222:223], v[220:221], v[218:219]
	v_fma_f64 v[216:217], -v[216:217], v[222:223], v[220:221]
	s_delay_alu instid0(VALU_DEP_1) | instskip(NEXT) | instid1(VALU_DEP_1)
	v_div_fmas_f64 v[216:217], v[216:217], v[218:219], v[222:223]
	v_div_fixup_f64 v[230:231], v[216:217], v[214:215], 1.0
	s_delay_alu instid0(VALU_DEP_1)
	v_mul_f64 v[228:229], v[212:213], v[230:231]
	v_xor_b32_e32 v231, 0x80000000, v231
.LBB112_868:
	s_and_not1_saveexec_b32 s2, s2
	s_cbranch_execz .LBB112_870
; %bb.869:
	s_delay_alu instid0(VALU_DEP_1) | instskip(SKIP_1) | instid1(VALU_DEP_2)
	v_div_scale_f64 v[212:213], null, v[228:229], v[228:229], v[230:231]
	v_div_scale_f64 v[218:219], vcc_lo, v[230:231], v[228:229], v[230:231]
	v_rcp_f64_e32 v[214:215], v[212:213]
	s_waitcnt_depctr 0xfff
	v_fma_f64 v[216:217], -v[212:213], v[214:215], 1.0
	s_delay_alu instid0(VALU_DEP_1) | instskip(NEXT) | instid1(VALU_DEP_1)
	v_fma_f64 v[214:215], v[214:215], v[216:217], v[214:215]
	v_fma_f64 v[216:217], -v[212:213], v[214:215], 1.0
	s_delay_alu instid0(VALU_DEP_1) | instskip(NEXT) | instid1(VALU_DEP_1)
	v_fma_f64 v[214:215], v[214:215], v[216:217], v[214:215]
	v_mul_f64 v[216:217], v[218:219], v[214:215]
	s_delay_alu instid0(VALU_DEP_1) | instskip(NEXT) | instid1(VALU_DEP_1)
	v_fma_f64 v[212:213], -v[212:213], v[216:217], v[218:219]
	v_div_fmas_f64 v[212:213], v[212:213], v[214:215], v[216:217]
	s_delay_alu instid0(VALU_DEP_1) | instskip(NEXT) | instid1(VALU_DEP_1)
	v_div_fixup_f64 v[212:213], v[212:213], v[228:229], v[230:231]
	v_fma_f64 v[214:215], v[230:231], v[212:213], v[228:229]
	s_delay_alu instid0(VALU_DEP_1) | instskip(NEXT) | instid1(VALU_DEP_1)
	v_div_scale_f64 v[216:217], null, v[214:215], v[214:215], 1.0
	v_rcp_f64_e32 v[218:219], v[216:217]
	s_waitcnt_depctr 0xfff
	v_fma_f64 v[220:221], -v[216:217], v[218:219], 1.0
	s_delay_alu instid0(VALU_DEP_1) | instskip(NEXT) | instid1(VALU_DEP_1)
	v_fma_f64 v[218:219], v[218:219], v[220:221], v[218:219]
	v_fma_f64 v[220:221], -v[216:217], v[218:219], 1.0
	s_delay_alu instid0(VALU_DEP_1) | instskip(SKIP_1) | instid1(VALU_DEP_1)
	v_fma_f64 v[218:219], v[218:219], v[220:221], v[218:219]
	v_div_scale_f64 v[220:221], vcc_lo, 1.0, v[214:215], 1.0
	v_mul_f64 v[222:223], v[220:221], v[218:219]
	s_delay_alu instid0(VALU_DEP_1) | instskip(NEXT) | instid1(VALU_DEP_1)
	v_fma_f64 v[216:217], -v[216:217], v[222:223], v[220:221]
	v_div_fmas_f64 v[216:217], v[216:217], v[218:219], v[222:223]
	s_delay_alu instid0(VALU_DEP_1) | instskip(NEXT) | instid1(VALU_DEP_1)
	v_div_fixup_f64 v[228:229], v[216:217], v[214:215], 1.0
	v_mul_f64 v[230:231], v[212:213], -v[228:229]
.LBB112_870:
	s_or_b32 exec_lo, exec_lo, s2
.LBB112_871:
	s_delay_alu instid0(SALU_CYCLE_1) | instskip(NEXT) | instid1(SALU_CYCLE_1)
	s_or_b32 exec_lo, exec_lo, s3
	s_mov_b32 s2, exec_lo
	v_cmpx_ne_u32_e64 v244, v236
	s_xor_b32 s2, exec_lo, s2
	s_cbranch_execz .LBB112_877
; %bb.872:
	s_mov_b32 s3, exec_lo
	v_cmpx_eq_u32_e32 41, v244
	s_cbranch_execz .LBB112_876
; %bb.873:
	v_cmp_ne_u32_e32 vcc_lo, 41, v236
	s_xor_b32 s4, s5, -1
	s_delay_alu instid0(SALU_CYCLE_1) | instskip(NEXT) | instid1(SALU_CYCLE_1)
	s_and_b32 s6, s4, vcc_lo
	s_and_saveexec_b32 s4, s6
	s_cbranch_execz .LBB112_875
; %bb.874:
	scratch_load_b64 v[10:11], off, off     ; 8-byte Folded Reload
	v_ashrrev_i32_e32 v237, 31, v236
	s_delay_alu instid0(VALU_DEP_1) | instskip(SKIP_1) | instid1(VALU_DEP_1)
	v_lshlrev_b64 v[212:213], 2, v[236:237]
	s_waitcnt vmcnt(0)
	v_add_co_u32 v212, vcc_lo, v10, v212
	s_delay_alu instid0(VALU_DEP_2)
	v_add_co_ci_u32_e32 v213, vcc_lo, v11, v213, vcc_lo
	s_clause 0x1
	flat_load_b32 v214, v[212:213]
	flat_load_b32 v215, v[10:11] offset:164
	s_waitcnt vmcnt(1) lgkmcnt(1)
	flat_store_b32 v[10:11], v214 offset:164
	s_waitcnt vmcnt(0) lgkmcnt(1)
	flat_store_b32 v[212:213], v215
.LBB112_875:
	s_or_b32 exec_lo, exec_lo, s4
	v_mov_b32_e32 v244, v236
	v_mov_b32_e32 v243, v236
.LBB112_876:
	s_or_b32 exec_lo, exec_lo, s3
.LBB112_877:
	s_and_not1_saveexec_b32 s2, s2
	s_cbranch_execz .LBB112_879
; %bb.878:
	v_mov_b32_e32 v244, 41
	ds_store_2addr_b64 v238, v[56:57], v[58:59] offset0:84 offset1:85
	ds_store_2addr_b64 v238, v[52:53], v[54:55] offset0:86 offset1:87
	ds_store_2addr_b64 v238, v[48:49], v[50:51] offset0:88 offset1:89
	ds_store_2addr_b64 v238, v[44:45], v[46:47] offset0:90 offset1:91
	ds_store_2addr_b64 v238, v[40:41], v[42:43] offset0:92 offset1:93
	ds_store_2addr_b64 v238, v[36:37], v[38:39] offset0:94 offset1:95
	ds_store_2addr_b64 v238, v[32:33], v[34:35] offset0:96 offset1:97
	ds_store_2addr_b64 v238, v[28:29], v[30:31] offset0:98 offset1:99
	ds_store_2addr_b64 v238, v[24:25], v[26:27] offset0:100 offset1:101
	ds_store_2addr_b64 v238, v[20:21], v[22:23] offset0:102 offset1:103
	ds_store_2addr_b64 v238, v[16:17], v[18:19] offset0:104 offset1:105
	ds_store_2addr_b64 v238, v[12:13], v[14:15] offset0:106 offset1:107
	ds_store_2addr_b64 v238, v[224:225], v[226:227] offset0:108 offset1:109
	ds_store_2addr_b64 v238, v[250:251], v[252:253] offset0:110 offset1:111
	ds_store_2addr_b64 v238, v[0:1], v[2:3] offset0:112 offset1:113
.LBB112_879:
	s_or_b32 exec_lo, exec_lo, s2
	s_delay_alu instid0(SALU_CYCLE_1)
	s_mov_b32 s2, exec_lo
	s_waitcnt lgkmcnt(0)
	s_waitcnt_vscnt null, 0x0
	s_barrier
	buffer_gl0_inv
	v_cmpx_lt_i32_e32 41, v244
	s_cbranch_execz .LBB112_881
; %bb.880:
	v_mul_f64 v[212:213], v[228:229], v[62:63]
	v_mul_f64 v[62:63], v[230:231], v[62:63]
	s_delay_alu instid0(VALU_DEP_2) | instskip(NEXT) | instid1(VALU_DEP_2)
	v_fma_f64 v[236:237], v[230:231], v[60:61], v[212:213]
	v_fma_f64 v[60:61], v[228:229], v[60:61], -v[62:63]
	ds_load_2addr_b64 v[228:231], v238 offset0:84 offset1:85
	s_waitcnt lgkmcnt(0)
	v_mul_f64 v[62:63], v[230:231], v[236:237]
	v_mul_f64 v[212:213], v[228:229], v[236:237]
	s_delay_alu instid0(VALU_DEP_2) | instskip(NEXT) | instid1(VALU_DEP_2)
	v_fma_f64 v[62:63], v[228:229], v[60:61], -v[62:63]
	v_fma_f64 v[212:213], v[230:231], v[60:61], v[212:213]
	ds_load_2addr_b64 v[228:231], v238 offset0:86 offset1:87
	v_add_f64 v[56:57], v[56:57], -v[62:63]
	v_add_f64 v[58:59], v[58:59], -v[212:213]
	s_waitcnt lgkmcnt(0)
	v_mul_f64 v[62:63], v[230:231], v[236:237]
	v_mul_f64 v[212:213], v[228:229], v[236:237]
	s_delay_alu instid0(VALU_DEP_2) | instskip(NEXT) | instid1(VALU_DEP_2)
	v_fma_f64 v[62:63], v[228:229], v[60:61], -v[62:63]
	v_fma_f64 v[212:213], v[230:231], v[60:61], v[212:213]
	ds_load_2addr_b64 v[228:231], v238 offset0:88 offset1:89
	v_add_f64 v[52:53], v[52:53], -v[62:63]
	v_add_f64 v[54:55], v[54:55], -v[212:213]
	;; [unrolled: 9-line block ×14, first 2 shown]
	s_waitcnt lgkmcnt(0)
	v_mul_f64 v[62:63], v[230:231], v[236:237]
	v_mul_f64 v[212:213], v[228:229], v[236:237]
	s_delay_alu instid0(VALU_DEP_2) | instskip(NEXT) | instid1(VALU_DEP_2)
	v_fma_f64 v[62:63], v[228:229], v[60:61], -v[62:63]
	v_fma_f64 v[212:213], v[230:231], v[60:61], v[212:213]
	s_delay_alu instid0(VALU_DEP_2) | instskip(NEXT) | instid1(VALU_DEP_2)
	v_add_f64 v[0:1], v[0:1], -v[62:63]
	v_add_f64 v[2:3], v[2:3], -v[212:213]
	v_dual_mov_b32 v62, v236 :: v_dual_mov_b32 v63, v237
.LBB112_881:
	s_or_b32 exec_lo, exec_lo, s2
	v_lshl_add_u32 v212, v244, 4, v238
	s_barrier
	buffer_gl0_inv
	v_mov_b32_e32 v236, 42
	ds_store_2addr_b64 v212, v[56:57], v[58:59] offset1:1
	s_waitcnt lgkmcnt(0)
	s_barrier
	buffer_gl0_inv
	ds_load_2addr_b64 v[228:231], v238 offset0:84 offset1:85
	s_cmp_lt_i32 s12, 44
	s_cbranch_scc1 .LBB112_884
; %bb.882:
	v_add3_u32 v237, v242, 0, 0x2b0
	v_mov_b32_e32 v236, 42
	s_mov_b32 s2, 43
	s_set_inst_prefetch_distance 0x1
	.p2align	6
.LBB112_883:                            ; =>This Inner Loop Header: Depth=1
	s_waitcnt lgkmcnt(0)
	v_cmp_gt_f64_e32 vcc_lo, 0, v[228:229]
	v_xor_b32_e32 v212, 0x80000000, v229
	v_xor_b32_e32 v214, 0x80000000, v231
	ds_load_2addr_b64 v[245:248], v237 offset1:1
	v_add_nc_u32_e32 v237, 16, v237
	s_waitcnt lgkmcnt(0)
	v_xor_b32_e32 v216, 0x80000000, v248
	v_cndmask_b32_e32 v213, v229, v212, vcc_lo
	v_cndmask_b32_e32 v212, v228, v228, vcc_lo
	v_cmp_gt_f64_e32 vcc_lo, 0, v[230:231]
	v_cndmask_b32_e32 v215, v231, v214, vcc_lo
	v_cndmask_b32_e32 v214, v230, v230, vcc_lo
	v_cmp_gt_f64_e32 vcc_lo, 0, v[245:246]
	s_delay_alu instid0(VALU_DEP_2) | instskip(SKIP_1) | instid1(VALU_DEP_1)
	v_add_f64 v[212:213], v[212:213], v[214:215]
	v_xor_b32_e32 v214, 0x80000000, v246
	v_dual_cndmask_b32 v215, v246, v214 :: v_dual_mov_b32 v214, v245
	v_cmp_gt_f64_e32 vcc_lo, 0, v[247:248]
	v_dual_cndmask_b32 v217, v248, v216 :: v_dual_mov_b32 v216, v247
	s_delay_alu instid0(VALU_DEP_1) | instskip(NEXT) | instid1(VALU_DEP_1)
	v_add_f64 v[214:215], v[214:215], v[216:217]
	v_cmp_lt_f64_e32 vcc_lo, v[212:213], v[214:215]
	v_dual_cndmask_b32 v229, v229, v246 :: v_dual_cndmask_b32 v228, v228, v245
	v_dual_cndmask_b32 v231, v231, v248 :: v_dual_cndmask_b32 v230, v230, v247
	v_cndmask_b32_e64 v236, v236, s2, vcc_lo
	s_add_i32 s2, s2, 1
	s_delay_alu instid0(SALU_CYCLE_1)
	s_cmp_lg_u32 s12, s2
	s_cbranch_scc1 .LBB112_883
.LBB112_884:
	s_set_inst_prefetch_distance 0x2
	s_waitcnt lgkmcnt(0)
	v_cmp_eq_f64_e32 vcc_lo, 0, v[228:229]
	v_cmp_eq_f64_e64 s2, 0, v[230:231]
	s_delay_alu instid0(VALU_DEP_1) | instskip(NEXT) | instid1(SALU_CYCLE_1)
	s_and_b32 s2, vcc_lo, s2
	s_and_saveexec_b32 s3, s2
	s_delay_alu instid0(SALU_CYCLE_1)
	s_xor_b32 s2, exec_lo, s3
; %bb.885:
	v_cmp_ne_u32_e32 vcc_lo, 0, v241
	v_cndmask_b32_e32 v241, 43, v241, vcc_lo
; %bb.886:
	s_and_not1_saveexec_b32 s3, s2
	s_cbranch_execz .LBB112_892
; %bb.887:
	v_cmp_gt_f64_e32 vcc_lo, 0, v[228:229]
	v_cmp_gt_f64_e64 s2, 0, v[230:231]
	v_xor_b32_e32 v212, 0x80000000, v229
	v_xor_b32_e32 v214, 0x80000000, v231
	s_delay_alu instid0(VALU_DEP_2) | instskip(NEXT) | instid1(VALU_DEP_2)
	v_cndmask_b32_e32 v213, v229, v212, vcc_lo
	v_cndmask_b32_e64 v215, v231, v214, s2
	v_cndmask_b32_e32 v212, v228, v228, vcc_lo
	v_cndmask_b32_e64 v214, v230, v230, s2
	s_mov_b32 s2, exec_lo
	s_delay_alu instid0(VALU_DEP_1)
	v_cmpx_ngt_f64_e32 v[212:213], v[214:215]
	s_xor_b32 s2, exec_lo, s2
	s_cbranch_execz .LBB112_889
; %bb.888:
	v_div_scale_f64 v[212:213], null, v[230:231], v[230:231], v[228:229]
	v_div_scale_f64 v[218:219], vcc_lo, v[228:229], v[230:231], v[228:229]
	s_delay_alu instid0(VALU_DEP_2) | instskip(SKIP_2) | instid1(VALU_DEP_1)
	v_rcp_f64_e32 v[214:215], v[212:213]
	s_waitcnt_depctr 0xfff
	v_fma_f64 v[216:217], -v[212:213], v[214:215], 1.0
	v_fma_f64 v[214:215], v[214:215], v[216:217], v[214:215]
	s_delay_alu instid0(VALU_DEP_1) | instskip(NEXT) | instid1(VALU_DEP_1)
	v_fma_f64 v[216:217], -v[212:213], v[214:215], 1.0
	v_fma_f64 v[214:215], v[214:215], v[216:217], v[214:215]
	s_delay_alu instid0(VALU_DEP_1) | instskip(NEXT) | instid1(VALU_DEP_1)
	v_mul_f64 v[216:217], v[218:219], v[214:215]
	v_fma_f64 v[212:213], -v[212:213], v[216:217], v[218:219]
	s_delay_alu instid0(VALU_DEP_1) | instskip(NEXT) | instid1(VALU_DEP_1)
	v_div_fmas_f64 v[212:213], v[212:213], v[214:215], v[216:217]
	v_div_fixup_f64 v[212:213], v[212:213], v[230:231], v[228:229]
	s_delay_alu instid0(VALU_DEP_1) | instskip(NEXT) | instid1(VALU_DEP_1)
	v_fma_f64 v[214:215], v[228:229], v[212:213], v[230:231]
	v_div_scale_f64 v[216:217], null, v[214:215], v[214:215], 1.0
	s_delay_alu instid0(VALU_DEP_1) | instskip(SKIP_2) | instid1(VALU_DEP_1)
	v_rcp_f64_e32 v[218:219], v[216:217]
	s_waitcnt_depctr 0xfff
	v_fma_f64 v[220:221], -v[216:217], v[218:219], 1.0
	v_fma_f64 v[218:219], v[218:219], v[220:221], v[218:219]
	s_delay_alu instid0(VALU_DEP_1) | instskip(NEXT) | instid1(VALU_DEP_1)
	v_fma_f64 v[220:221], -v[216:217], v[218:219], 1.0
	v_fma_f64 v[218:219], v[218:219], v[220:221], v[218:219]
	v_div_scale_f64 v[220:221], vcc_lo, 1.0, v[214:215], 1.0
	s_delay_alu instid0(VALU_DEP_1) | instskip(NEXT) | instid1(VALU_DEP_1)
	v_mul_f64 v[222:223], v[220:221], v[218:219]
	v_fma_f64 v[216:217], -v[216:217], v[222:223], v[220:221]
	s_delay_alu instid0(VALU_DEP_1) | instskip(NEXT) | instid1(VALU_DEP_1)
	v_div_fmas_f64 v[216:217], v[216:217], v[218:219], v[222:223]
	v_div_fixup_f64 v[230:231], v[216:217], v[214:215], 1.0
	s_delay_alu instid0(VALU_DEP_1)
	v_mul_f64 v[228:229], v[212:213], v[230:231]
	v_xor_b32_e32 v231, 0x80000000, v231
.LBB112_889:
	s_and_not1_saveexec_b32 s2, s2
	s_cbranch_execz .LBB112_891
; %bb.890:
	s_delay_alu instid0(VALU_DEP_1) | instskip(SKIP_1) | instid1(VALU_DEP_2)
	v_div_scale_f64 v[212:213], null, v[228:229], v[228:229], v[230:231]
	v_div_scale_f64 v[218:219], vcc_lo, v[230:231], v[228:229], v[230:231]
	v_rcp_f64_e32 v[214:215], v[212:213]
	s_waitcnt_depctr 0xfff
	v_fma_f64 v[216:217], -v[212:213], v[214:215], 1.0
	s_delay_alu instid0(VALU_DEP_1) | instskip(NEXT) | instid1(VALU_DEP_1)
	v_fma_f64 v[214:215], v[214:215], v[216:217], v[214:215]
	v_fma_f64 v[216:217], -v[212:213], v[214:215], 1.0
	s_delay_alu instid0(VALU_DEP_1) | instskip(NEXT) | instid1(VALU_DEP_1)
	v_fma_f64 v[214:215], v[214:215], v[216:217], v[214:215]
	v_mul_f64 v[216:217], v[218:219], v[214:215]
	s_delay_alu instid0(VALU_DEP_1) | instskip(NEXT) | instid1(VALU_DEP_1)
	v_fma_f64 v[212:213], -v[212:213], v[216:217], v[218:219]
	v_div_fmas_f64 v[212:213], v[212:213], v[214:215], v[216:217]
	s_delay_alu instid0(VALU_DEP_1) | instskip(NEXT) | instid1(VALU_DEP_1)
	v_div_fixup_f64 v[212:213], v[212:213], v[228:229], v[230:231]
	v_fma_f64 v[214:215], v[230:231], v[212:213], v[228:229]
	s_delay_alu instid0(VALU_DEP_1) | instskip(NEXT) | instid1(VALU_DEP_1)
	v_div_scale_f64 v[216:217], null, v[214:215], v[214:215], 1.0
	v_rcp_f64_e32 v[218:219], v[216:217]
	s_waitcnt_depctr 0xfff
	v_fma_f64 v[220:221], -v[216:217], v[218:219], 1.0
	s_delay_alu instid0(VALU_DEP_1) | instskip(NEXT) | instid1(VALU_DEP_1)
	v_fma_f64 v[218:219], v[218:219], v[220:221], v[218:219]
	v_fma_f64 v[220:221], -v[216:217], v[218:219], 1.0
	s_delay_alu instid0(VALU_DEP_1) | instskip(SKIP_1) | instid1(VALU_DEP_1)
	v_fma_f64 v[218:219], v[218:219], v[220:221], v[218:219]
	v_div_scale_f64 v[220:221], vcc_lo, 1.0, v[214:215], 1.0
	v_mul_f64 v[222:223], v[220:221], v[218:219]
	s_delay_alu instid0(VALU_DEP_1) | instskip(NEXT) | instid1(VALU_DEP_1)
	v_fma_f64 v[216:217], -v[216:217], v[222:223], v[220:221]
	v_div_fmas_f64 v[216:217], v[216:217], v[218:219], v[222:223]
	s_delay_alu instid0(VALU_DEP_1) | instskip(NEXT) | instid1(VALU_DEP_1)
	v_div_fixup_f64 v[228:229], v[216:217], v[214:215], 1.0
	v_mul_f64 v[230:231], v[212:213], -v[228:229]
.LBB112_891:
	s_or_b32 exec_lo, exec_lo, s2
.LBB112_892:
	s_delay_alu instid0(SALU_CYCLE_1) | instskip(NEXT) | instid1(SALU_CYCLE_1)
	s_or_b32 exec_lo, exec_lo, s3
	s_mov_b32 s2, exec_lo
	v_cmpx_ne_u32_e64 v244, v236
	s_xor_b32 s2, exec_lo, s2
	s_cbranch_execz .LBB112_898
; %bb.893:
	s_mov_b32 s3, exec_lo
	v_cmpx_eq_u32_e32 42, v244
	s_cbranch_execz .LBB112_897
; %bb.894:
	v_cmp_ne_u32_e32 vcc_lo, 42, v236
	s_xor_b32 s4, s5, -1
	s_delay_alu instid0(SALU_CYCLE_1) | instskip(NEXT) | instid1(SALU_CYCLE_1)
	s_and_b32 s6, s4, vcc_lo
	s_and_saveexec_b32 s4, s6
	s_cbranch_execz .LBB112_896
; %bb.895:
	scratch_load_b64 v[10:11], off, off     ; 8-byte Folded Reload
	v_ashrrev_i32_e32 v237, 31, v236
	s_delay_alu instid0(VALU_DEP_1) | instskip(SKIP_1) | instid1(VALU_DEP_1)
	v_lshlrev_b64 v[212:213], 2, v[236:237]
	s_waitcnt vmcnt(0)
	v_add_co_u32 v212, vcc_lo, v10, v212
	s_delay_alu instid0(VALU_DEP_2)
	v_add_co_ci_u32_e32 v213, vcc_lo, v11, v213, vcc_lo
	s_clause 0x1
	flat_load_b32 v214, v[212:213]
	flat_load_b32 v215, v[10:11] offset:168
	s_waitcnt vmcnt(1) lgkmcnt(1)
	flat_store_b32 v[10:11], v214 offset:168
	s_waitcnt vmcnt(0) lgkmcnt(1)
	flat_store_b32 v[212:213], v215
.LBB112_896:
	s_or_b32 exec_lo, exec_lo, s4
	v_mov_b32_e32 v244, v236
	v_mov_b32_e32 v243, v236
.LBB112_897:
	s_or_b32 exec_lo, exec_lo, s3
.LBB112_898:
	s_and_not1_saveexec_b32 s2, s2
	s_cbranch_execz .LBB112_900
; %bb.899:
	v_mov_b32_e32 v244, 42
	ds_store_2addr_b64 v238, v[52:53], v[54:55] offset0:86 offset1:87
	ds_store_2addr_b64 v238, v[48:49], v[50:51] offset0:88 offset1:89
	;; [unrolled: 1-line block ×14, first 2 shown]
.LBB112_900:
	s_or_b32 exec_lo, exec_lo, s2
	s_delay_alu instid0(SALU_CYCLE_1)
	s_mov_b32 s2, exec_lo
	s_waitcnt lgkmcnt(0)
	s_waitcnt_vscnt null, 0x0
	s_barrier
	buffer_gl0_inv
	v_cmpx_lt_i32_e32 42, v244
	s_cbranch_execz .LBB112_902
; %bb.901:
	v_mul_f64 v[212:213], v[228:229], v[58:59]
	v_mul_f64 v[58:59], v[230:231], v[58:59]
	s_delay_alu instid0(VALU_DEP_2) | instskip(NEXT) | instid1(VALU_DEP_2)
	v_fma_f64 v[236:237], v[230:231], v[56:57], v[212:213]
	v_fma_f64 v[56:57], v[228:229], v[56:57], -v[58:59]
	ds_load_2addr_b64 v[228:231], v238 offset0:86 offset1:87
	s_waitcnt lgkmcnt(0)
	v_mul_f64 v[58:59], v[230:231], v[236:237]
	v_mul_f64 v[212:213], v[228:229], v[236:237]
	s_delay_alu instid0(VALU_DEP_2) | instskip(NEXT) | instid1(VALU_DEP_2)
	v_fma_f64 v[58:59], v[228:229], v[56:57], -v[58:59]
	v_fma_f64 v[212:213], v[230:231], v[56:57], v[212:213]
	ds_load_2addr_b64 v[228:231], v238 offset0:88 offset1:89
	v_add_f64 v[52:53], v[52:53], -v[58:59]
	v_add_f64 v[54:55], v[54:55], -v[212:213]
	s_waitcnt lgkmcnt(0)
	v_mul_f64 v[58:59], v[230:231], v[236:237]
	v_mul_f64 v[212:213], v[228:229], v[236:237]
	s_delay_alu instid0(VALU_DEP_2) | instskip(NEXT) | instid1(VALU_DEP_2)
	v_fma_f64 v[58:59], v[228:229], v[56:57], -v[58:59]
	v_fma_f64 v[212:213], v[230:231], v[56:57], v[212:213]
	ds_load_2addr_b64 v[228:231], v238 offset0:90 offset1:91
	v_add_f64 v[48:49], v[48:49], -v[58:59]
	v_add_f64 v[50:51], v[50:51], -v[212:213]
	;; [unrolled: 9-line block ×13, first 2 shown]
	s_waitcnt lgkmcnt(0)
	v_mul_f64 v[58:59], v[230:231], v[236:237]
	v_mul_f64 v[212:213], v[228:229], v[236:237]
	s_delay_alu instid0(VALU_DEP_2) | instskip(NEXT) | instid1(VALU_DEP_2)
	v_fma_f64 v[58:59], v[228:229], v[56:57], -v[58:59]
	v_fma_f64 v[212:213], v[230:231], v[56:57], v[212:213]
	s_delay_alu instid0(VALU_DEP_2) | instskip(NEXT) | instid1(VALU_DEP_2)
	v_add_f64 v[0:1], v[0:1], -v[58:59]
	v_add_f64 v[2:3], v[2:3], -v[212:213]
	v_dual_mov_b32 v58, v236 :: v_dual_mov_b32 v59, v237
.LBB112_902:
	s_or_b32 exec_lo, exec_lo, s2
	v_lshl_add_u32 v212, v244, 4, v238
	s_barrier
	buffer_gl0_inv
	v_mov_b32_e32 v236, 43
	ds_store_2addr_b64 v212, v[52:53], v[54:55] offset1:1
	s_waitcnt lgkmcnt(0)
	s_barrier
	buffer_gl0_inv
	ds_load_2addr_b64 v[228:231], v238 offset0:86 offset1:87
	s_cmp_lt_i32 s12, 45
	s_cbranch_scc1 .LBB112_905
; %bb.903:
	v_add3_u32 v237, v242, 0, 0x2c0
	v_mov_b32_e32 v236, 43
	s_mov_b32 s2, 44
	s_set_inst_prefetch_distance 0x1
	.p2align	6
.LBB112_904:                            ; =>This Inner Loop Header: Depth=1
	s_waitcnt lgkmcnt(0)
	v_cmp_gt_f64_e32 vcc_lo, 0, v[228:229]
	v_xor_b32_e32 v212, 0x80000000, v229
	v_xor_b32_e32 v214, 0x80000000, v231
	ds_load_2addr_b64 v[245:248], v237 offset1:1
	v_add_nc_u32_e32 v237, 16, v237
	s_waitcnt lgkmcnt(0)
	v_xor_b32_e32 v216, 0x80000000, v248
	v_cndmask_b32_e32 v213, v229, v212, vcc_lo
	v_cndmask_b32_e32 v212, v228, v228, vcc_lo
	v_cmp_gt_f64_e32 vcc_lo, 0, v[230:231]
	v_cndmask_b32_e32 v215, v231, v214, vcc_lo
	v_cndmask_b32_e32 v214, v230, v230, vcc_lo
	v_cmp_gt_f64_e32 vcc_lo, 0, v[245:246]
	s_delay_alu instid0(VALU_DEP_2) | instskip(SKIP_1) | instid1(VALU_DEP_1)
	v_add_f64 v[212:213], v[212:213], v[214:215]
	v_xor_b32_e32 v214, 0x80000000, v246
	v_dual_cndmask_b32 v215, v246, v214 :: v_dual_mov_b32 v214, v245
	v_cmp_gt_f64_e32 vcc_lo, 0, v[247:248]
	v_dual_cndmask_b32 v217, v248, v216 :: v_dual_mov_b32 v216, v247
	s_delay_alu instid0(VALU_DEP_1) | instskip(NEXT) | instid1(VALU_DEP_1)
	v_add_f64 v[214:215], v[214:215], v[216:217]
	v_cmp_lt_f64_e32 vcc_lo, v[212:213], v[214:215]
	v_dual_cndmask_b32 v229, v229, v246 :: v_dual_cndmask_b32 v228, v228, v245
	v_dual_cndmask_b32 v231, v231, v248 :: v_dual_cndmask_b32 v230, v230, v247
	v_cndmask_b32_e64 v236, v236, s2, vcc_lo
	s_add_i32 s2, s2, 1
	s_delay_alu instid0(SALU_CYCLE_1)
	s_cmp_lg_u32 s12, s2
	s_cbranch_scc1 .LBB112_904
.LBB112_905:
	s_set_inst_prefetch_distance 0x2
	s_waitcnt lgkmcnt(0)
	v_cmp_eq_f64_e32 vcc_lo, 0, v[228:229]
	v_cmp_eq_f64_e64 s2, 0, v[230:231]
	s_delay_alu instid0(VALU_DEP_1) | instskip(NEXT) | instid1(SALU_CYCLE_1)
	s_and_b32 s2, vcc_lo, s2
	s_and_saveexec_b32 s3, s2
	s_delay_alu instid0(SALU_CYCLE_1)
	s_xor_b32 s2, exec_lo, s3
; %bb.906:
	v_cmp_ne_u32_e32 vcc_lo, 0, v241
	v_cndmask_b32_e32 v241, 44, v241, vcc_lo
; %bb.907:
	s_and_not1_saveexec_b32 s3, s2
	s_cbranch_execz .LBB112_913
; %bb.908:
	v_cmp_gt_f64_e32 vcc_lo, 0, v[228:229]
	v_cmp_gt_f64_e64 s2, 0, v[230:231]
	v_xor_b32_e32 v212, 0x80000000, v229
	v_xor_b32_e32 v214, 0x80000000, v231
	s_delay_alu instid0(VALU_DEP_2) | instskip(NEXT) | instid1(VALU_DEP_2)
	v_cndmask_b32_e32 v213, v229, v212, vcc_lo
	v_cndmask_b32_e64 v215, v231, v214, s2
	v_cndmask_b32_e32 v212, v228, v228, vcc_lo
	v_cndmask_b32_e64 v214, v230, v230, s2
	s_mov_b32 s2, exec_lo
	s_delay_alu instid0(VALU_DEP_1)
	v_cmpx_ngt_f64_e32 v[212:213], v[214:215]
	s_xor_b32 s2, exec_lo, s2
	s_cbranch_execz .LBB112_910
; %bb.909:
	v_div_scale_f64 v[212:213], null, v[230:231], v[230:231], v[228:229]
	v_div_scale_f64 v[218:219], vcc_lo, v[228:229], v[230:231], v[228:229]
	s_delay_alu instid0(VALU_DEP_2) | instskip(SKIP_2) | instid1(VALU_DEP_1)
	v_rcp_f64_e32 v[214:215], v[212:213]
	s_waitcnt_depctr 0xfff
	v_fma_f64 v[216:217], -v[212:213], v[214:215], 1.0
	v_fma_f64 v[214:215], v[214:215], v[216:217], v[214:215]
	s_delay_alu instid0(VALU_DEP_1) | instskip(NEXT) | instid1(VALU_DEP_1)
	v_fma_f64 v[216:217], -v[212:213], v[214:215], 1.0
	v_fma_f64 v[214:215], v[214:215], v[216:217], v[214:215]
	s_delay_alu instid0(VALU_DEP_1) | instskip(NEXT) | instid1(VALU_DEP_1)
	v_mul_f64 v[216:217], v[218:219], v[214:215]
	v_fma_f64 v[212:213], -v[212:213], v[216:217], v[218:219]
	s_delay_alu instid0(VALU_DEP_1) | instskip(NEXT) | instid1(VALU_DEP_1)
	v_div_fmas_f64 v[212:213], v[212:213], v[214:215], v[216:217]
	v_div_fixup_f64 v[212:213], v[212:213], v[230:231], v[228:229]
	s_delay_alu instid0(VALU_DEP_1) | instskip(NEXT) | instid1(VALU_DEP_1)
	v_fma_f64 v[214:215], v[228:229], v[212:213], v[230:231]
	v_div_scale_f64 v[216:217], null, v[214:215], v[214:215], 1.0
	s_delay_alu instid0(VALU_DEP_1) | instskip(SKIP_2) | instid1(VALU_DEP_1)
	v_rcp_f64_e32 v[218:219], v[216:217]
	s_waitcnt_depctr 0xfff
	v_fma_f64 v[220:221], -v[216:217], v[218:219], 1.0
	v_fma_f64 v[218:219], v[218:219], v[220:221], v[218:219]
	s_delay_alu instid0(VALU_DEP_1) | instskip(NEXT) | instid1(VALU_DEP_1)
	v_fma_f64 v[220:221], -v[216:217], v[218:219], 1.0
	v_fma_f64 v[218:219], v[218:219], v[220:221], v[218:219]
	v_div_scale_f64 v[220:221], vcc_lo, 1.0, v[214:215], 1.0
	s_delay_alu instid0(VALU_DEP_1) | instskip(NEXT) | instid1(VALU_DEP_1)
	v_mul_f64 v[222:223], v[220:221], v[218:219]
	v_fma_f64 v[216:217], -v[216:217], v[222:223], v[220:221]
	s_delay_alu instid0(VALU_DEP_1) | instskip(NEXT) | instid1(VALU_DEP_1)
	v_div_fmas_f64 v[216:217], v[216:217], v[218:219], v[222:223]
	v_div_fixup_f64 v[230:231], v[216:217], v[214:215], 1.0
	s_delay_alu instid0(VALU_DEP_1)
	v_mul_f64 v[228:229], v[212:213], v[230:231]
	v_xor_b32_e32 v231, 0x80000000, v231
.LBB112_910:
	s_and_not1_saveexec_b32 s2, s2
	s_cbranch_execz .LBB112_912
; %bb.911:
	s_delay_alu instid0(VALU_DEP_1) | instskip(SKIP_1) | instid1(VALU_DEP_2)
	v_div_scale_f64 v[212:213], null, v[228:229], v[228:229], v[230:231]
	v_div_scale_f64 v[218:219], vcc_lo, v[230:231], v[228:229], v[230:231]
	v_rcp_f64_e32 v[214:215], v[212:213]
	s_waitcnt_depctr 0xfff
	v_fma_f64 v[216:217], -v[212:213], v[214:215], 1.0
	s_delay_alu instid0(VALU_DEP_1) | instskip(NEXT) | instid1(VALU_DEP_1)
	v_fma_f64 v[214:215], v[214:215], v[216:217], v[214:215]
	v_fma_f64 v[216:217], -v[212:213], v[214:215], 1.0
	s_delay_alu instid0(VALU_DEP_1) | instskip(NEXT) | instid1(VALU_DEP_1)
	v_fma_f64 v[214:215], v[214:215], v[216:217], v[214:215]
	v_mul_f64 v[216:217], v[218:219], v[214:215]
	s_delay_alu instid0(VALU_DEP_1) | instskip(NEXT) | instid1(VALU_DEP_1)
	v_fma_f64 v[212:213], -v[212:213], v[216:217], v[218:219]
	v_div_fmas_f64 v[212:213], v[212:213], v[214:215], v[216:217]
	s_delay_alu instid0(VALU_DEP_1) | instskip(NEXT) | instid1(VALU_DEP_1)
	v_div_fixup_f64 v[212:213], v[212:213], v[228:229], v[230:231]
	v_fma_f64 v[214:215], v[230:231], v[212:213], v[228:229]
	s_delay_alu instid0(VALU_DEP_1) | instskip(NEXT) | instid1(VALU_DEP_1)
	v_div_scale_f64 v[216:217], null, v[214:215], v[214:215], 1.0
	v_rcp_f64_e32 v[218:219], v[216:217]
	s_waitcnt_depctr 0xfff
	v_fma_f64 v[220:221], -v[216:217], v[218:219], 1.0
	s_delay_alu instid0(VALU_DEP_1) | instskip(NEXT) | instid1(VALU_DEP_1)
	v_fma_f64 v[218:219], v[218:219], v[220:221], v[218:219]
	v_fma_f64 v[220:221], -v[216:217], v[218:219], 1.0
	s_delay_alu instid0(VALU_DEP_1) | instskip(SKIP_1) | instid1(VALU_DEP_1)
	v_fma_f64 v[218:219], v[218:219], v[220:221], v[218:219]
	v_div_scale_f64 v[220:221], vcc_lo, 1.0, v[214:215], 1.0
	v_mul_f64 v[222:223], v[220:221], v[218:219]
	s_delay_alu instid0(VALU_DEP_1) | instskip(NEXT) | instid1(VALU_DEP_1)
	v_fma_f64 v[216:217], -v[216:217], v[222:223], v[220:221]
	v_div_fmas_f64 v[216:217], v[216:217], v[218:219], v[222:223]
	s_delay_alu instid0(VALU_DEP_1) | instskip(NEXT) | instid1(VALU_DEP_1)
	v_div_fixup_f64 v[228:229], v[216:217], v[214:215], 1.0
	v_mul_f64 v[230:231], v[212:213], -v[228:229]
.LBB112_912:
	s_or_b32 exec_lo, exec_lo, s2
.LBB112_913:
	s_delay_alu instid0(SALU_CYCLE_1) | instskip(NEXT) | instid1(SALU_CYCLE_1)
	s_or_b32 exec_lo, exec_lo, s3
	s_mov_b32 s2, exec_lo
	v_cmpx_ne_u32_e64 v244, v236
	s_xor_b32 s2, exec_lo, s2
	s_cbranch_execz .LBB112_919
; %bb.914:
	s_mov_b32 s3, exec_lo
	v_cmpx_eq_u32_e32 43, v244
	s_cbranch_execz .LBB112_918
; %bb.915:
	v_cmp_ne_u32_e32 vcc_lo, 43, v236
	s_xor_b32 s4, s5, -1
	s_delay_alu instid0(SALU_CYCLE_1) | instskip(NEXT) | instid1(SALU_CYCLE_1)
	s_and_b32 s6, s4, vcc_lo
	s_and_saveexec_b32 s4, s6
	s_cbranch_execz .LBB112_917
; %bb.916:
	scratch_load_b64 v[10:11], off, off     ; 8-byte Folded Reload
	v_ashrrev_i32_e32 v237, 31, v236
	s_delay_alu instid0(VALU_DEP_1) | instskip(SKIP_1) | instid1(VALU_DEP_1)
	v_lshlrev_b64 v[212:213], 2, v[236:237]
	s_waitcnt vmcnt(0)
	v_add_co_u32 v212, vcc_lo, v10, v212
	s_delay_alu instid0(VALU_DEP_2)
	v_add_co_ci_u32_e32 v213, vcc_lo, v11, v213, vcc_lo
	s_clause 0x1
	flat_load_b32 v214, v[212:213]
	flat_load_b32 v215, v[10:11] offset:172
	s_waitcnt vmcnt(1) lgkmcnt(1)
	flat_store_b32 v[10:11], v214 offset:172
	s_waitcnt vmcnt(0) lgkmcnt(1)
	flat_store_b32 v[212:213], v215
.LBB112_917:
	s_or_b32 exec_lo, exec_lo, s4
	v_mov_b32_e32 v244, v236
	v_mov_b32_e32 v243, v236
.LBB112_918:
	s_or_b32 exec_lo, exec_lo, s3
.LBB112_919:
	s_and_not1_saveexec_b32 s2, s2
	s_cbranch_execz .LBB112_921
; %bb.920:
	v_mov_b32_e32 v244, 43
	ds_store_2addr_b64 v238, v[48:49], v[50:51] offset0:88 offset1:89
	ds_store_2addr_b64 v238, v[44:45], v[46:47] offset0:90 offset1:91
	;; [unrolled: 1-line block ×13, first 2 shown]
.LBB112_921:
	s_or_b32 exec_lo, exec_lo, s2
	s_delay_alu instid0(SALU_CYCLE_1)
	s_mov_b32 s2, exec_lo
	s_waitcnt lgkmcnt(0)
	s_waitcnt_vscnt null, 0x0
	s_barrier
	buffer_gl0_inv
	v_cmpx_lt_i32_e32 43, v244
	s_cbranch_execz .LBB112_923
; %bb.922:
	v_mul_f64 v[212:213], v[228:229], v[54:55]
	v_mul_f64 v[54:55], v[230:231], v[54:55]
	s_delay_alu instid0(VALU_DEP_2) | instskip(NEXT) | instid1(VALU_DEP_2)
	v_fma_f64 v[236:237], v[230:231], v[52:53], v[212:213]
	v_fma_f64 v[52:53], v[228:229], v[52:53], -v[54:55]
	ds_load_2addr_b64 v[228:231], v238 offset0:88 offset1:89
	s_waitcnt lgkmcnt(0)
	v_mul_f64 v[54:55], v[230:231], v[236:237]
	v_mul_f64 v[212:213], v[228:229], v[236:237]
	s_delay_alu instid0(VALU_DEP_2) | instskip(NEXT) | instid1(VALU_DEP_2)
	v_fma_f64 v[54:55], v[228:229], v[52:53], -v[54:55]
	v_fma_f64 v[212:213], v[230:231], v[52:53], v[212:213]
	ds_load_2addr_b64 v[228:231], v238 offset0:90 offset1:91
	v_add_f64 v[48:49], v[48:49], -v[54:55]
	v_add_f64 v[50:51], v[50:51], -v[212:213]
	s_waitcnt lgkmcnt(0)
	v_mul_f64 v[54:55], v[230:231], v[236:237]
	v_mul_f64 v[212:213], v[228:229], v[236:237]
	s_delay_alu instid0(VALU_DEP_2) | instskip(NEXT) | instid1(VALU_DEP_2)
	v_fma_f64 v[54:55], v[228:229], v[52:53], -v[54:55]
	v_fma_f64 v[212:213], v[230:231], v[52:53], v[212:213]
	ds_load_2addr_b64 v[228:231], v238 offset0:92 offset1:93
	v_add_f64 v[44:45], v[44:45], -v[54:55]
	v_add_f64 v[46:47], v[46:47], -v[212:213]
	;; [unrolled: 9-line block ×12, first 2 shown]
	s_waitcnt lgkmcnt(0)
	v_mul_f64 v[54:55], v[230:231], v[236:237]
	v_mul_f64 v[212:213], v[228:229], v[236:237]
	s_delay_alu instid0(VALU_DEP_2) | instskip(NEXT) | instid1(VALU_DEP_2)
	v_fma_f64 v[54:55], v[228:229], v[52:53], -v[54:55]
	v_fma_f64 v[212:213], v[230:231], v[52:53], v[212:213]
	s_delay_alu instid0(VALU_DEP_2) | instskip(NEXT) | instid1(VALU_DEP_2)
	v_add_f64 v[0:1], v[0:1], -v[54:55]
	v_add_f64 v[2:3], v[2:3], -v[212:213]
	v_dual_mov_b32 v54, v236 :: v_dual_mov_b32 v55, v237
.LBB112_923:
	s_or_b32 exec_lo, exec_lo, s2
	v_lshl_add_u32 v212, v244, 4, v238
	s_barrier
	buffer_gl0_inv
	v_mov_b32_e32 v236, 44
	ds_store_2addr_b64 v212, v[48:49], v[50:51] offset1:1
	s_waitcnt lgkmcnt(0)
	s_barrier
	buffer_gl0_inv
	ds_load_2addr_b64 v[228:231], v238 offset0:88 offset1:89
	s_cmp_lt_i32 s12, 46
	s_cbranch_scc1 .LBB112_926
; %bb.924:
	v_add3_u32 v237, v242, 0, 0x2d0
	v_mov_b32_e32 v236, 44
	s_mov_b32 s2, 45
	s_set_inst_prefetch_distance 0x1
	.p2align	6
.LBB112_925:                            ; =>This Inner Loop Header: Depth=1
	s_waitcnt lgkmcnt(0)
	v_cmp_gt_f64_e32 vcc_lo, 0, v[228:229]
	v_xor_b32_e32 v212, 0x80000000, v229
	v_xor_b32_e32 v214, 0x80000000, v231
	ds_load_2addr_b64 v[245:248], v237 offset1:1
	v_add_nc_u32_e32 v237, 16, v237
	s_waitcnt lgkmcnt(0)
	v_xor_b32_e32 v216, 0x80000000, v248
	v_cndmask_b32_e32 v213, v229, v212, vcc_lo
	v_cndmask_b32_e32 v212, v228, v228, vcc_lo
	v_cmp_gt_f64_e32 vcc_lo, 0, v[230:231]
	v_cndmask_b32_e32 v215, v231, v214, vcc_lo
	v_cndmask_b32_e32 v214, v230, v230, vcc_lo
	v_cmp_gt_f64_e32 vcc_lo, 0, v[245:246]
	s_delay_alu instid0(VALU_DEP_2) | instskip(SKIP_1) | instid1(VALU_DEP_1)
	v_add_f64 v[212:213], v[212:213], v[214:215]
	v_xor_b32_e32 v214, 0x80000000, v246
	v_dual_cndmask_b32 v215, v246, v214 :: v_dual_mov_b32 v214, v245
	v_cmp_gt_f64_e32 vcc_lo, 0, v[247:248]
	v_dual_cndmask_b32 v217, v248, v216 :: v_dual_mov_b32 v216, v247
	s_delay_alu instid0(VALU_DEP_1) | instskip(NEXT) | instid1(VALU_DEP_1)
	v_add_f64 v[214:215], v[214:215], v[216:217]
	v_cmp_lt_f64_e32 vcc_lo, v[212:213], v[214:215]
	v_dual_cndmask_b32 v229, v229, v246 :: v_dual_cndmask_b32 v228, v228, v245
	v_dual_cndmask_b32 v231, v231, v248 :: v_dual_cndmask_b32 v230, v230, v247
	v_cndmask_b32_e64 v236, v236, s2, vcc_lo
	s_add_i32 s2, s2, 1
	s_delay_alu instid0(SALU_CYCLE_1)
	s_cmp_lg_u32 s12, s2
	s_cbranch_scc1 .LBB112_925
.LBB112_926:
	s_set_inst_prefetch_distance 0x2
	s_waitcnt lgkmcnt(0)
	v_cmp_eq_f64_e32 vcc_lo, 0, v[228:229]
	v_cmp_eq_f64_e64 s2, 0, v[230:231]
	s_delay_alu instid0(VALU_DEP_1) | instskip(NEXT) | instid1(SALU_CYCLE_1)
	s_and_b32 s2, vcc_lo, s2
	s_and_saveexec_b32 s3, s2
	s_delay_alu instid0(SALU_CYCLE_1)
	s_xor_b32 s2, exec_lo, s3
; %bb.927:
	v_cmp_ne_u32_e32 vcc_lo, 0, v241
	v_cndmask_b32_e32 v241, 45, v241, vcc_lo
; %bb.928:
	s_and_not1_saveexec_b32 s3, s2
	s_cbranch_execz .LBB112_934
; %bb.929:
	v_cmp_gt_f64_e32 vcc_lo, 0, v[228:229]
	v_cmp_gt_f64_e64 s2, 0, v[230:231]
	v_xor_b32_e32 v212, 0x80000000, v229
	v_xor_b32_e32 v214, 0x80000000, v231
	s_delay_alu instid0(VALU_DEP_2) | instskip(NEXT) | instid1(VALU_DEP_2)
	v_cndmask_b32_e32 v213, v229, v212, vcc_lo
	v_cndmask_b32_e64 v215, v231, v214, s2
	v_cndmask_b32_e32 v212, v228, v228, vcc_lo
	v_cndmask_b32_e64 v214, v230, v230, s2
	s_mov_b32 s2, exec_lo
	s_delay_alu instid0(VALU_DEP_1)
	v_cmpx_ngt_f64_e32 v[212:213], v[214:215]
	s_xor_b32 s2, exec_lo, s2
	s_cbranch_execz .LBB112_931
; %bb.930:
	v_div_scale_f64 v[212:213], null, v[230:231], v[230:231], v[228:229]
	v_div_scale_f64 v[218:219], vcc_lo, v[228:229], v[230:231], v[228:229]
	s_delay_alu instid0(VALU_DEP_2) | instskip(SKIP_2) | instid1(VALU_DEP_1)
	v_rcp_f64_e32 v[214:215], v[212:213]
	s_waitcnt_depctr 0xfff
	v_fma_f64 v[216:217], -v[212:213], v[214:215], 1.0
	v_fma_f64 v[214:215], v[214:215], v[216:217], v[214:215]
	s_delay_alu instid0(VALU_DEP_1) | instskip(NEXT) | instid1(VALU_DEP_1)
	v_fma_f64 v[216:217], -v[212:213], v[214:215], 1.0
	v_fma_f64 v[214:215], v[214:215], v[216:217], v[214:215]
	s_delay_alu instid0(VALU_DEP_1) | instskip(NEXT) | instid1(VALU_DEP_1)
	v_mul_f64 v[216:217], v[218:219], v[214:215]
	v_fma_f64 v[212:213], -v[212:213], v[216:217], v[218:219]
	s_delay_alu instid0(VALU_DEP_1) | instskip(NEXT) | instid1(VALU_DEP_1)
	v_div_fmas_f64 v[212:213], v[212:213], v[214:215], v[216:217]
	v_div_fixup_f64 v[212:213], v[212:213], v[230:231], v[228:229]
	s_delay_alu instid0(VALU_DEP_1) | instskip(NEXT) | instid1(VALU_DEP_1)
	v_fma_f64 v[214:215], v[228:229], v[212:213], v[230:231]
	v_div_scale_f64 v[216:217], null, v[214:215], v[214:215], 1.0
	s_delay_alu instid0(VALU_DEP_1) | instskip(SKIP_2) | instid1(VALU_DEP_1)
	v_rcp_f64_e32 v[218:219], v[216:217]
	s_waitcnt_depctr 0xfff
	v_fma_f64 v[220:221], -v[216:217], v[218:219], 1.0
	v_fma_f64 v[218:219], v[218:219], v[220:221], v[218:219]
	s_delay_alu instid0(VALU_DEP_1) | instskip(NEXT) | instid1(VALU_DEP_1)
	v_fma_f64 v[220:221], -v[216:217], v[218:219], 1.0
	v_fma_f64 v[218:219], v[218:219], v[220:221], v[218:219]
	v_div_scale_f64 v[220:221], vcc_lo, 1.0, v[214:215], 1.0
	s_delay_alu instid0(VALU_DEP_1) | instskip(NEXT) | instid1(VALU_DEP_1)
	v_mul_f64 v[222:223], v[220:221], v[218:219]
	v_fma_f64 v[216:217], -v[216:217], v[222:223], v[220:221]
	s_delay_alu instid0(VALU_DEP_1) | instskip(NEXT) | instid1(VALU_DEP_1)
	v_div_fmas_f64 v[216:217], v[216:217], v[218:219], v[222:223]
	v_div_fixup_f64 v[230:231], v[216:217], v[214:215], 1.0
	s_delay_alu instid0(VALU_DEP_1)
	v_mul_f64 v[228:229], v[212:213], v[230:231]
	v_xor_b32_e32 v231, 0x80000000, v231
.LBB112_931:
	s_and_not1_saveexec_b32 s2, s2
	s_cbranch_execz .LBB112_933
; %bb.932:
	s_delay_alu instid0(VALU_DEP_1) | instskip(SKIP_1) | instid1(VALU_DEP_2)
	v_div_scale_f64 v[212:213], null, v[228:229], v[228:229], v[230:231]
	v_div_scale_f64 v[218:219], vcc_lo, v[230:231], v[228:229], v[230:231]
	v_rcp_f64_e32 v[214:215], v[212:213]
	s_waitcnt_depctr 0xfff
	v_fma_f64 v[216:217], -v[212:213], v[214:215], 1.0
	s_delay_alu instid0(VALU_DEP_1) | instskip(NEXT) | instid1(VALU_DEP_1)
	v_fma_f64 v[214:215], v[214:215], v[216:217], v[214:215]
	v_fma_f64 v[216:217], -v[212:213], v[214:215], 1.0
	s_delay_alu instid0(VALU_DEP_1) | instskip(NEXT) | instid1(VALU_DEP_1)
	v_fma_f64 v[214:215], v[214:215], v[216:217], v[214:215]
	v_mul_f64 v[216:217], v[218:219], v[214:215]
	s_delay_alu instid0(VALU_DEP_1) | instskip(NEXT) | instid1(VALU_DEP_1)
	v_fma_f64 v[212:213], -v[212:213], v[216:217], v[218:219]
	v_div_fmas_f64 v[212:213], v[212:213], v[214:215], v[216:217]
	s_delay_alu instid0(VALU_DEP_1) | instskip(NEXT) | instid1(VALU_DEP_1)
	v_div_fixup_f64 v[212:213], v[212:213], v[228:229], v[230:231]
	v_fma_f64 v[214:215], v[230:231], v[212:213], v[228:229]
	s_delay_alu instid0(VALU_DEP_1) | instskip(NEXT) | instid1(VALU_DEP_1)
	v_div_scale_f64 v[216:217], null, v[214:215], v[214:215], 1.0
	v_rcp_f64_e32 v[218:219], v[216:217]
	s_waitcnt_depctr 0xfff
	v_fma_f64 v[220:221], -v[216:217], v[218:219], 1.0
	s_delay_alu instid0(VALU_DEP_1) | instskip(NEXT) | instid1(VALU_DEP_1)
	v_fma_f64 v[218:219], v[218:219], v[220:221], v[218:219]
	v_fma_f64 v[220:221], -v[216:217], v[218:219], 1.0
	s_delay_alu instid0(VALU_DEP_1) | instskip(SKIP_1) | instid1(VALU_DEP_1)
	v_fma_f64 v[218:219], v[218:219], v[220:221], v[218:219]
	v_div_scale_f64 v[220:221], vcc_lo, 1.0, v[214:215], 1.0
	v_mul_f64 v[222:223], v[220:221], v[218:219]
	s_delay_alu instid0(VALU_DEP_1) | instskip(NEXT) | instid1(VALU_DEP_1)
	v_fma_f64 v[216:217], -v[216:217], v[222:223], v[220:221]
	v_div_fmas_f64 v[216:217], v[216:217], v[218:219], v[222:223]
	s_delay_alu instid0(VALU_DEP_1) | instskip(NEXT) | instid1(VALU_DEP_1)
	v_div_fixup_f64 v[228:229], v[216:217], v[214:215], 1.0
	v_mul_f64 v[230:231], v[212:213], -v[228:229]
.LBB112_933:
	s_or_b32 exec_lo, exec_lo, s2
.LBB112_934:
	s_delay_alu instid0(SALU_CYCLE_1) | instskip(NEXT) | instid1(SALU_CYCLE_1)
	s_or_b32 exec_lo, exec_lo, s3
	s_mov_b32 s2, exec_lo
	v_cmpx_ne_u32_e64 v244, v236
	s_xor_b32 s2, exec_lo, s2
	s_cbranch_execz .LBB112_940
; %bb.935:
	s_mov_b32 s3, exec_lo
	v_cmpx_eq_u32_e32 44, v244
	s_cbranch_execz .LBB112_939
; %bb.936:
	v_cmp_ne_u32_e32 vcc_lo, 44, v236
	s_xor_b32 s4, s5, -1
	s_delay_alu instid0(SALU_CYCLE_1) | instskip(NEXT) | instid1(SALU_CYCLE_1)
	s_and_b32 s6, s4, vcc_lo
	s_and_saveexec_b32 s4, s6
	s_cbranch_execz .LBB112_938
; %bb.937:
	scratch_load_b64 v[10:11], off, off     ; 8-byte Folded Reload
	v_ashrrev_i32_e32 v237, 31, v236
	s_delay_alu instid0(VALU_DEP_1) | instskip(SKIP_1) | instid1(VALU_DEP_1)
	v_lshlrev_b64 v[212:213], 2, v[236:237]
	s_waitcnt vmcnt(0)
	v_add_co_u32 v212, vcc_lo, v10, v212
	s_delay_alu instid0(VALU_DEP_2)
	v_add_co_ci_u32_e32 v213, vcc_lo, v11, v213, vcc_lo
	s_clause 0x1
	flat_load_b32 v214, v[212:213]
	flat_load_b32 v215, v[10:11] offset:176
	s_waitcnt vmcnt(1) lgkmcnt(1)
	flat_store_b32 v[10:11], v214 offset:176
	s_waitcnt vmcnt(0) lgkmcnt(1)
	flat_store_b32 v[212:213], v215
.LBB112_938:
	s_or_b32 exec_lo, exec_lo, s4
	v_mov_b32_e32 v244, v236
	v_mov_b32_e32 v243, v236
.LBB112_939:
	s_or_b32 exec_lo, exec_lo, s3
.LBB112_940:
	s_and_not1_saveexec_b32 s2, s2
	s_cbranch_execz .LBB112_942
; %bb.941:
	v_mov_b32_e32 v244, 44
	ds_store_2addr_b64 v238, v[44:45], v[46:47] offset0:90 offset1:91
	ds_store_2addr_b64 v238, v[40:41], v[42:43] offset0:92 offset1:93
	;; [unrolled: 1-line block ×12, first 2 shown]
.LBB112_942:
	s_or_b32 exec_lo, exec_lo, s2
	s_delay_alu instid0(SALU_CYCLE_1)
	s_mov_b32 s2, exec_lo
	s_waitcnt lgkmcnt(0)
	s_waitcnt_vscnt null, 0x0
	s_barrier
	buffer_gl0_inv
	v_cmpx_lt_i32_e32 44, v244
	s_cbranch_execz .LBB112_944
; %bb.943:
	v_mul_f64 v[212:213], v[228:229], v[50:51]
	v_mul_f64 v[50:51], v[230:231], v[50:51]
	s_delay_alu instid0(VALU_DEP_2) | instskip(NEXT) | instid1(VALU_DEP_2)
	v_fma_f64 v[212:213], v[230:231], v[48:49], v[212:213]
	v_fma_f64 v[48:49], v[228:229], v[48:49], -v[50:51]
	ds_load_2addr_b64 v[228:231], v238 offset0:90 offset1:91
	s_waitcnt lgkmcnt(0)
	v_mul_f64 v[50:51], v[230:231], v[212:213]
	v_mul_f64 v[214:215], v[228:229], v[212:213]
	s_delay_alu instid0(VALU_DEP_2) | instskip(NEXT) | instid1(VALU_DEP_2)
	v_fma_f64 v[50:51], v[228:229], v[48:49], -v[50:51]
	v_fma_f64 v[214:215], v[230:231], v[48:49], v[214:215]
	ds_load_2addr_b64 v[228:231], v238 offset0:92 offset1:93
	v_add_f64 v[44:45], v[44:45], -v[50:51]
	v_add_f64 v[46:47], v[46:47], -v[214:215]
	s_waitcnt lgkmcnt(0)
	v_mul_f64 v[50:51], v[230:231], v[212:213]
	v_mul_f64 v[214:215], v[228:229], v[212:213]
	s_delay_alu instid0(VALU_DEP_2) | instskip(NEXT) | instid1(VALU_DEP_2)
	v_fma_f64 v[50:51], v[228:229], v[48:49], -v[50:51]
	v_fma_f64 v[214:215], v[230:231], v[48:49], v[214:215]
	ds_load_2addr_b64 v[228:231], v238 offset0:94 offset1:95
	v_add_f64 v[40:41], v[40:41], -v[50:51]
	v_add_f64 v[42:43], v[42:43], -v[214:215]
	;; [unrolled: 9-line block ×11, first 2 shown]
	s_waitcnt lgkmcnt(0)
	v_mul_f64 v[50:51], v[230:231], v[212:213]
	v_mul_f64 v[214:215], v[228:229], v[212:213]
	s_delay_alu instid0(VALU_DEP_2) | instskip(NEXT) | instid1(VALU_DEP_2)
	v_fma_f64 v[50:51], v[228:229], v[48:49], -v[50:51]
	v_fma_f64 v[214:215], v[230:231], v[48:49], v[214:215]
	s_delay_alu instid0(VALU_DEP_2) | instskip(NEXT) | instid1(VALU_DEP_2)
	v_add_f64 v[0:1], v[0:1], -v[50:51]
	v_add_f64 v[2:3], v[2:3], -v[214:215]
	v_dual_mov_b32 v50, v212 :: v_dual_mov_b32 v51, v213
.LBB112_944:
	s_or_b32 exec_lo, exec_lo, s2
	v_lshl_add_u32 v212, v244, 4, v238
	s_barrier
	buffer_gl0_inv
	v_mov_b32_e32 v236, 45
	ds_store_2addr_b64 v212, v[44:45], v[46:47] offset1:1
	s_waitcnt lgkmcnt(0)
	s_barrier
	buffer_gl0_inv
	ds_load_2addr_b64 v[228:231], v238 offset0:90 offset1:91
	s_cmp_lt_i32 s12, 47
	s_cbranch_scc1 .LBB112_947
; %bb.945:
	v_add3_u32 v237, v242, 0, 0x2e0
	v_mov_b32_e32 v236, 45
	s_mov_b32 s2, 46
	s_set_inst_prefetch_distance 0x1
	.p2align	6
.LBB112_946:                            ; =>This Inner Loop Header: Depth=1
	s_waitcnt lgkmcnt(0)
	v_cmp_gt_f64_e32 vcc_lo, 0, v[228:229]
	v_xor_b32_e32 v212, 0x80000000, v229
	v_xor_b32_e32 v214, 0x80000000, v231
	ds_load_2addr_b64 v[245:248], v237 offset1:1
	v_add_nc_u32_e32 v237, 16, v237
	s_waitcnt lgkmcnt(0)
	v_xor_b32_e32 v216, 0x80000000, v248
	v_cndmask_b32_e32 v213, v229, v212, vcc_lo
	v_cndmask_b32_e32 v212, v228, v228, vcc_lo
	v_cmp_gt_f64_e32 vcc_lo, 0, v[230:231]
	v_cndmask_b32_e32 v215, v231, v214, vcc_lo
	v_cndmask_b32_e32 v214, v230, v230, vcc_lo
	v_cmp_gt_f64_e32 vcc_lo, 0, v[245:246]
	s_delay_alu instid0(VALU_DEP_2) | instskip(SKIP_1) | instid1(VALU_DEP_1)
	v_add_f64 v[212:213], v[212:213], v[214:215]
	v_xor_b32_e32 v214, 0x80000000, v246
	v_dual_cndmask_b32 v215, v246, v214 :: v_dual_mov_b32 v214, v245
	v_cmp_gt_f64_e32 vcc_lo, 0, v[247:248]
	v_dual_cndmask_b32 v217, v248, v216 :: v_dual_mov_b32 v216, v247
	s_delay_alu instid0(VALU_DEP_1) | instskip(NEXT) | instid1(VALU_DEP_1)
	v_add_f64 v[214:215], v[214:215], v[216:217]
	v_cmp_lt_f64_e32 vcc_lo, v[212:213], v[214:215]
	v_dual_cndmask_b32 v229, v229, v246 :: v_dual_cndmask_b32 v228, v228, v245
	v_dual_cndmask_b32 v231, v231, v248 :: v_dual_cndmask_b32 v230, v230, v247
	v_cndmask_b32_e64 v236, v236, s2, vcc_lo
	s_add_i32 s2, s2, 1
	s_delay_alu instid0(SALU_CYCLE_1)
	s_cmp_lg_u32 s12, s2
	s_cbranch_scc1 .LBB112_946
.LBB112_947:
	s_set_inst_prefetch_distance 0x2
	s_waitcnt lgkmcnt(0)
	v_cmp_eq_f64_e32 vcc_lo, 0, v[228:229]
	v_cmp_eq_f64_e64 s2, 0, v[230:231]
	s_delay_alu instid0(VALU_DEP_1) | instskip(NEXT) | instid1(SALU_CYCLE_1)
	s_and_b32 s2, vcc_lo, s2
	s_and_saveexec_b32 s3, s2
	s_delay_alu instid0(SALU_CYCLE_1)
	s_xor_b32 s2, exec_lo, s3
; %bb.948:
	v_cmp_ne_u32_e32 vcc_lo, 0, v241
	v_cndmask_b32_e32 v241, 46, v241, vcc_lo
; %bb.949:
	s_and_not1_saveexec_b32 s3, s2
	s_cbranch_execz .LBB112_955
; %bb.950:
	v_cmp_gt_f64_e32 vcc_lo, 0, v[228:229]
	v_cmp_gt_f64_e64 s2, 0, v[230:231]
	v_xor_b32_e32 v212, 0x80000000, v229
	v_xor_b32_e32 v214, 0x80000000, v231
	s_delay_alu instid0(VALU_DEP_2) | instskip(NEXT) | instid1(VALU_DEP_2)
	v_cndmask_b32_e32 v213, v229, v212, vcc_lo
	v_cndmask_b32_e64 v215, v231, v214, s2
	v_cndmask_b32_e32 v212, v228, v228, vcc_lo
	v_cndmask_b32_e64 v214, v230, v230, s2
	s_mov_b32 s2, exec_lo
	s_delay_alu instid0(VALU_DEP_1)
	v_cmpx_ngt_f64_e32 v[212:213], v[214:215]
	s_xor_b32 s2, exec_lo, s2
	s_cbranch_execz .LBB112_952
; %bb.951:
	v_div_scale_f64 v[212:213], null, v[230:231], v[230:231], v[228:229]
	v_div_scale_f64 v[218:219], vcc_lo, v[228:229], v[230:231], v[228:229]
	s_delay_alu instid0(VALU_DEP_2) | instskip(SKIP_2) | instid1(VALU_DEP_1)
	v_rcp_f64_e32 v[214:215], v[212:213]
	s_waitcnt_depctr 0xfff
	v_fma_f64 v[216:217], -v[212:213], v[214:215], 1.0
	v_fma_f64 v[214:215], v[214:215], v[216:217], v[214:215]
	s_delay_alu instid0(VALU_DEP_1) | instskip(NEXT) | instid1(VALU_DEP_1)
	v_fma_f64 v[216:217], -v[212:213], v[214:215], 1.0
	v_fma_f64 v[214:215], v[214:215], v[216:217], v[214:215]
	s_delay_alu instid0(VALU_DEP_1) | instskip(NEXT) | instid1(VALU_DEP_1)
	v_mul_f64 v[216:217], v[218:219], v[214:215]
	v_fma_f64 v[212:213], -v[212:213], v[216:217], v[218:219]
	s_delay_alu instid0(VALU_DEP_1) | instskip(NEXT) | instid1(VALU_DEP_1)
	v_div_fmas_f64 v[212:213], v[212:213], v[214:215], v[216:217]
	v_div_fixup_f64 v[212:213], v[212:213], v[230:231], v[228:229]
	s_delay_alu instid0(VALU_DEP_1) | instskip(NEXT) | instid1(VALU_DEP_1)
	v_fma_f64 v[214:215], v[228:229], v[212:213], v[230:231]
	v_div_scale_f64 v[216:217], null, v[214:215], v[214:215], 1.0
	s_delay_alu instid0(VALU_DEP_1) | instskip(SKIP_2) | instid1(VALU_DEP_1)
	v_rcp_f64_e32 v[218:219], v[216:217]
	s_waitcnt_depctr 0xfff
	v_fma_f64 v[220:221], -v[216:217], v[218:219], 1.0
	v_fma_f64 v[218:219], v[218:219], v[220:221], v[218:219]
	s_delay_alu instid0(VALU_DEP_1) | instskip(NEXT) | instid1(VALU_DEP_1)
	v_fma_f64 v[220:221], -v[216:217], v[218:219], 1.0
	v_fma_f64 v[218:219], v[218:219], v[220:221], v[218:219]
	v_div_scale_f64 v[220:221], vcc_lo, 1.0, v[214:215], 1.0
	s_delay_alu instid0(VALU_DEP_1) | instskip(NEXT) | instid1(VALU_DEP_1)
	v_mul_f64 v[222:223], v[220:221], v[218:219]
	v_fma_f64 v[216:217], -v[216:217], v[222:223], v[220:221]
	s_delay_alu instid0(VALU_DEP_1) | instskip(NEXT) | instid1(VALU_DEP_1)
	v_div_fmas_f64 v[216:217], v[216:217], v[218:219], v[222:223]
	v_div_fixup_f64 v[230:231], v[216:217], v[214:215], 1.0
	s_delay_alu instid0(VALU_DEP_1)
	v_mul_f64 v[228:229], v[212:213], v[230:231]
	v_xor_b32_e32 v231, 0x80000000, v231
.LBB112_952:
	s_and_not1_saveexec_b32 s2, s2
	s_cbranch_execz .LBB112_954
; %bb.953:
	s_delay_alu instid0(VALU_DEP_1) | instskip(SKIP_1) | instid1(VALU_DEP_2)
	v_div_scale_f64 v[212:213], null, v[228:229], v[228:229], v[230:231]
	v_div_scale_f64 v[218:219], vcc_lo, v[230:231], v[228:229], v[230:231]
	v_rcp_f64_e32 v[214:215], v[212:213]
	s_waitcnt_depctr 0xfff
	v_fma_f64 v[216:217], -v[212:213], v[214:215], 1.0
	s_delay_alu instid0(VALU_DEP_1) | instskip(NEXT) | instid1(VALU_DEP_1)
	v_fma_f64 v[214:215], v[214:215], v[216:217], v[214:215]
	v_fma_f64 v[216:217], -v[212:213], v[214:215], 1.0
	s_delay_alu instid0(VALU_DEP_1) | instskip(NEXT) | instid1(VALU_DEP_1)
	v_fma_f64 v[214:215], v[214:215], v[216:217], v[214:215]
	v_mul_f64 v[216:217], v[218:219], v[214:215]
	s_delay_alu instid0(VALU_DEP_1) | instskip(NEXT) | instid1(VALU_DEP_1)
	v_fma_f64 v[212:213], -v[212:213], v[216:217], v[218:219]
	v_div_fmas_f64 v[212:213], v[212:213], v[214:215], v[216:217]
	s_delay_alu instid0(VALU_DEP_1) | instskip(NEXT) | instid1(VALU_DEP_1)
	v_div_fixup_f64 v[212:213], v[212:213], v[228:229], v[230:231]
	v_fma_f64 v[214:215], v[230:231], v[212:213], v[228:229]
	s_delay_alu instid0(VALU_DEP_1) | instskip(NEXT) | instid1(VALU_DEP_1)
	v_div_scale_f64 v[216:217], null, v[214:215], v[214:215], 1.0
	v_rcp_f64_e32 v[218:219], v[216:217]
	s_waitcnt_depctr 0xfff
	v_fma_f64 v[220:221], -v[216:217], v[218:219], 1.0
	s_delay_alu instid0(VALU_DEP_1) | instskip(NEXT) | instid1(VALU_DEP_1)
	v_fma_f64 v[218:219], v[218:219], v[220:221], v[218:219]
	v_fma_f64 v[220:221], -v[216:217], v[218:219], 1.0
	s_delay_alu instid0(VALU_DEP_1) | instskip(SKIP_1) | instid1(VALU_DEP_1)
	v_fma_f64 v[218:219], v[218:219], v[220:221], v[218:219]
	v_div_scale_f64 v[220:221], vcc_lo, 1.0, v[214:215], 1.0
	v_mul_f64 v[222:223], v[220:221], v[218:219]
	s_delay_alu instid0(VALU_DEP_1) | instskip(NEXT) | instid1(VALU_DEP_1)
	v_fma_f64 v[216:217], -v[216:217], v[222:223], v[220:221]
	v_div_fmas_f64 v[216:217], v[216:217], v[218:219], v[222:223]
	s_delay_alu instid0(VALU_DEP_1) | instskip(NEXT) | instid1(VALU_DEP_1)
	v_div_fixup_f64 v[228:229], v[216:217], v[214:215], 1.0
	v_mul_f64 v[230:231], v[212:213], -v[228:229]
.LBB112_954:
	s_or_b32 exec_lo, exec_lo, s2
.LBB112_955:
	s_delay_alu instid0(SALU_CYCLE_1) | instskip(NEXT) | instid1(SALU_CYCLE_1)
	s_or_b32 exec_lo, exec_lo, s3
	s_mov_b32 s2, exec_lo
	v_cmpx_ne_u32_e64 v244, v236
	s_xor_b32 s2, exec_lo, s2
	s_cbranch_execz .LBB112_961
; %bb.956:
	s_mov_b32 s3, exec_lo
	v_cmpx_eq_u32_e32 45, v244
	s_cbranch_execz .LBB112_960
; %bb.957:
	v_cmp_ne_u32_e32 vcc_lo, 45, v236
	s_xor_b32 s4, s5, -1
	s_delay_alu instid0(SALU_CYCLE_1) | instskip(NEXT) | instid1(SALU_CYCLE_1)
	s_and_b32 s6, s4, vcc_lo
	s_and_saveexec_b32 s4, s6
	s_cbranch_execz .LBB112_959
; %bb.958:
	scratch_load_b64 v[10:11], off, off     ; 8-byte Folded Reload
	v_ashrrev_i32_e32 v237, 31, v236
	s_delay_alu instid0(VALU_DEP_1) | instskip(SKIP_1) | instid1(VALU_DEP_1)
	v_lshlrev_b64 v[212:213], 2, v[236:237]
	s_waitcnt vmcnt(0)
	v_add_co_u32 v212, vcc_lo, v10, v212
	s_delay_alu instid0(VALU_DEP_2)
	v_add_co_ci_u32_e32 v213, vcc_lo, v11, v213, vcc_lo
	s_clause 0x1
	flat_load_b32 v214, v[212:213]
	flat_load_b32 v215, v[10:11] offset:180
	s_waitcnt vmcnt(1) lgkmcnt(1)
	flat_store_b32 v[10:11], v214 offset:180
	s_waitcnt vmcnt(0) lgkmcnt(1)
	flat_store_b32 v[212:213], v215
.LBB112_959:
	s_or_b32 exec_lo, exec_lo, s4
	v_mov_b32_e32 v244, v236
	v_mov_b32_e32 v243, v236
.LBB112_960:
	s_or_b32 exec_lo, exec_lo, s3
.LBB112_961:
	s_and_not1_saveexec_b32 s2, s2
	s_cbranch_execz .LBB112_963
; %bb.962:
	v_mov_b32_e32 v244, 45
	ds_store_2addr_b64 v238, v[40:41], v[42:43] offset0:92 offset1:93
	ds_store_2addr_b64 v238, v[36:37], v[38:39] offset0:94 offset1:95
	;; [unrolled: 1-line block ×11, first 2 shown]
.LBB112_963:
	s_or_b32 exec_lo, exec_lo, s2
	s_delay_alu instid0(SALU_CYCLE_1)
	s_mov_b32 s2, exec_lo
	s_waitcnt lgkmcnt(0)
	s_waitcnt_vscnt null, 0x0
	s_barrier
	buffer_gl0_inv
	v_cmpx_lt_i32_e32 45, v244
	s_cbranch_execz .LBB112_965
; %bb.964:
	v_mul_f64 v[212:213], v[228:229], v[46:47]
	v_mul_f64 v[46:47], v[230:231], v[46:47]
	s_delay_alu instid0(VALU_DEP_2) | instskip(NEXT) | instid1(VALU_DEP_2)
	v_fma_f64 v[212:213], v[230:231], v[44:45], v[212:213]
	v_fma_f64 v[44:45], v[228:229], v[44:45], -v[46:47]
	ds_load_2addr_b64 v[228:231], v238 offset0:92 offset1:93
	s_waitcnt lgkmcnt(0)
	v_mul_f64 v[46:47], v[230:231], v[212:213]
	v_mul_f64 v[214:215], v[228:229], v[212:213]
	s_delay_alu instid0(VALU_DEP_2) | instskip(NEXT) | instid1(VALU_DEP_2)
	v_fma_f64 v[46:47], v[228:229], v[44:45], -v[46:47]
	v_fma_f64 v[214:215], v[230:231], v[44:45], v[214:215]
	ds_load_2addr_b64 v[228:231], v238 offset0:94 offset1:95
	v_add_f64 v[40:41], v[40:41], -v[46:47]
	v_add_f64 v[42:43], v[42:43], -v[214:215]
	s_waitcnt lgkmcnt(0)
	v_mul_f64 v[46:47], v[230:231], v[212:213]
	v_mul_f64 v[214:215], v[228:229], v[212:213]
	s_delay_alu instid0(VALU_DEP_2) | instskip(NEXT) | instid1(VALU_DEP_2)
	v_fma_f64 v[46:47], v[228:229], v[44:45], -v[46:47]
	v_fma_f64 v[214:215], v[230:231], v[44:45], v[214:215]
	ds_load_2addr_b64 v[228:231], v238 offset0:96 offset1:97
	v_add_f64 v[36:37], v[36:37], -v[46:47]
	v_add_f64 v[38:39], v[38:39], -v[214:215]
	;; [unrolled: 9-line block ×10, first 2 shown]
	s_waitcnt lgkmcnt(0)
	v_mul_f64 v[46:47], v[230:231], v[212:213]
	v_mul_f64 v[214:215], v[228:229], v[212:213]
	s_delay_alu instid0(VALU_DEP_2) | instskip(NEXT) | instid1(VALU_DEP_2)
	v_fma_f64 v[46:47], v[228:229], v[44:45], -v[46:47]
	v_fma_f64 v[214:215], v[230:231], v[44:45], v[214:215]
	s_delay_alu instid0(VALU_DEP_2) | instskip(NEXT) | instid1(VALU_DEP_2)
	v_add_f64 v[0:1], v[0:1], -v[46:47]
	v_add_f64 v[2:3], v[2:3], -v[214:215]
	v_dual_mov_b32 v46, v212 :: v_dual_mov_b32 v47, v213
.LBB112_965:
	s_or_b32 exec_lo, exec_lo, s2
	v_lshl_add_u32 v212, v244, 4, v238
	s_barrier
	buffer_gl0_inv
	v_mov_b32_e32 v236, 46
	ds_store_2addr_b64 v212, v[40:41], v[42:43] offset1:1
	s_waitcnt lgkmcnt(0)
	s_barrier
	buffer_gl0_inv
	ds_load_2addr_b64 v[228:231], v238 offset0:92 offset1:93
	s_cmp_lt_i32 s12, 48
	s_cbranch_scc1 .LBB112_968
; %bb.966:
	v_add3_u32 v237, v242, 0, 0x2f0
	v_mov_b32_e32 v236, 46
	s_mov_b32 s2, 47
	s_set_inst_prefetch_distance 0x1
	.p2align	6
.LBB112_967:                            ; =>This Inner Loop Header: Depth=1
	s_waitcnt lgkmcnt(0)
	v_cmp_gt_f64_e32 vcc_lo, 0, v[228:229]
	v_xor_b32_e32 v212, 0x80000000, v229
	v_xor_b32_e32 v214, 0x80000000, v231
	ds_load_2addr_b64 v[245:248], v237 offset1:1
	v_add_nc_u32_e32 v237, 16, v237
	s_waitcnt lgkmcnt(0)
	v_xor_b32_e32 v216, 0x80000000, v248
	v_cndmask_b32_e32 v213, v229, v212, vcc_lo
	v_cndmask_b32_e32 v212, v228, v228, vcc_lo
	v_cmp_gt_f64_e32 vcc_lo, 0, v[230:231]
	v_cndmask_b32_e32 v215, v231, v214, vcc_lo
	v_cndmask_b32_e32 v214, v230, v230, vcc_lo
	v_cmp_gt_f64_e32 vcc_lo, 0, v[245:246]
	s_delay_alu instid0(VALU_DEP_2) | instskip(SKIP_1) | instid1(VALU_DEP_1)
	v_add_f64 v[212:213], v[212:213], v[214:215]
	v_xor_b32_e32 v214, 0x80000000, v246
	v_dual_cndmask_b32 v215, v246, v214 :: v_dual_mov_b32 v214, v245
	v_cmp_gt_f64_e32 vcc_lo, 0, v[247:248]
	v_dual_cndmask_b32 v217, v248, v216 :: v_dual_mov_b32 v216, v247
	s_delay_alu instid0(VALU_DEP_1) | instskip(NEXT) | instid1(VALU_DEP_1)
	v_add_f64 v[214:215], v[214:215], v[216:217]
	v_cmp_lt_f64_e32 vcc_lo, v[212:213], v[214:215]
	v_dual_cndmask_b32 v229, v229, v246 :: v_dual_cndmask_b32 v228, v228, v245
	v_dual_cndmask_b32 v231, v231, v248 :: v_dual_cndmask_b32 v230, v230, v247
	v_cndmask_b32_e64 v236, v236, s2, vcc_lo
	s_add_i32 s2, s2, 1
	s_delay_alu instid0(SALU_CYCLE_1)
	s_cmp_lg_u32 s12, s2
	s_cbranch_scc1 .LBB112_967
.LBB112_968:
	s_set_inst_prefetch_distance 0x2
	s_waitcnt lgkmcnt(0)
	v_cmp_eq_f64_e32 vcc_lo, 0, v[228:229]
	v_cmp_eq_f64_e64 s2, 0, v[230:231]
	s_delay_alu instid0(VALU_DEP_1) | instskip(NEXT) | instid1(SALU_CYCLE_1)
	s_and_b32 s2, vcc_lo, s2
	s_and_saveexec_b32 s3, s2
	s_delay_alu instid0(SALU_CYCLE_1)
	s_xor_b32 s2, exec_lo, s3
; %bb.969:
	v_cmp_ne_u32_e32 vcc_lo, 0, v241
	v_cndmask_b32_e32 v241, 47, v241, vcc_lo
; %bb.970:
	s_and_not1_saveexec_b32 s3, s2
	s_cbranch_execz .LBB112_976
; %bb.971:
	v_cmp_gt_f64_e32 vcc_lo, 0, v[228:229]
	v_cmp_gt_f64_e64 s2, 0, v[230:231]
	v_xor_b32_e32 v212, 0x80000000, v229
	v_xor_b32_e32 v214, 0x80000000, v231
	s_delay_alu instid0(VALU_DEP_2) | instskip(NEXT) | instid1(VALU_DEP_2)
	v_cndmask_b32_e32 v213, v229, v212, vcc_lo
	v_cndmask_b32_e64 v215, v231, v214, s2
	v_cndmask_b32_e32 v212, v228, v228, vcc_lo
	v_cndmask_b32_e64 v214, v230, v230, s2
	s_mov_b32 s2, exec_lo
	s_delay_alu instid0(VALU_DEP_1)
	v_cmpx_ngt_f64_e32 v[212:213], v[214:215]
	s_xor_b32 s2, exec_lo, s2
	s_cbranch_execz .LBB112_973
; %bb.972:
	v_div_scale_f64 v[212:213], null, v[230:231], v[230:231], v[228:229]
	v_div_scale_f64 v[218:219], vcc_lo, v[228:229], v[230:231], v[228:229]
	s_delay_alu instid0(VALU_DEP_2) | instskip(SKIP_2) | instid1(VALU_DEP_1)
	v_rcp_f64_e32 v[214:215], v[212:213]
	s_waitcnt_depctr 0xfff
	v_fma_f64 v[216:217], -v[212:213], v[214:215], 1.0
	v_fma_f64 v[214:215], v[214:215], v[216:217], v[214:215]
	s_delay_alu instid0(VALU_DEP_1) | instskip(NEXT) | instid1(VALU_DEP_1)
	v_fma_f64 v[216:217], -v[212:213], v[214:215], 1.0
	v_fma_f64 v[214:215], v[214:215], v[216:217], v[214:215]
	s_delay_alu instid0(VALU_DEP_1) | instskip(NEXT) | instid1(VALU_DEP_1)
	v_mul_f64 v[216:217], v[218:219], v[214:215]
	v_fma_f64 v[212:213], -v[212:213], v[216:217], v[218:219]
	s_delay_alu instid0(VALU_DEP_1) | instskip(NEXT) | instid1(VALU_DEP_1)
	v_div_fmas_f64 v[212:213], v[212:213], v[214:215], v[216:217]
	v_div_fixup_f64 v[212:213], v[212:213], v[230:231], v[228:229]
	s_delay_alu instid0(VALU_DEP_1) | instskip(NEXT) | instid1(VALU_DEP_1)
	v_fma_f64 v[214:215], v[228:229], v[212:213], v[230:231]
	v_div_scale_f64 v[216:217], null, v[214:215], v[214:215], 1.0
	s_delay_alu instid0(VALU_DEP_1) | instskip(SKIP_2) | instid1(VALU_DEP_1)
	v_rcp_f64_e32 v[218:219], v[216:217]
	s_waitcnt_depctr 0xfff
	v_fma_f64 v[220:221], -v[216:217], v[218:219], 1.0
	v_fma_f64 v[218:219], v[218:219], v[220:221], v[218:219]
	s_delay_alu instid0(VALU_DEP_1) | instskip(NEXT) | instid1(VALU_DEP_1)
	v_fma_f64 v[220:221], -v[216:217], v[218:219], 1.0
	v_fma_f64 v[218:219], v[218:219], v[220:221], v[218:219]
	v_div_scale_f64 v[220:221], vcc_lo, 1.0, v[214:215], 1.0
	s_delay_alu instid0(VALU_DEP_1) | instskip(NEXT) | instid1(VALU_DEP_1)
	v_mul_f64 v[222:223], v[220:221], v[218:219]
	v_fma_f64 v[216:217], -v[216:217], v[222:223], v[220:221]
	s_delay_alu instid0(VALU_DEP_1) | instskip(NEXT) | instid1(VALU_DEP_1)
	v_div_fmas_f64 v[216:217], v[216:217], v[218:219], v[222:223]
	v_div_fixup_f64 v[230:231], v[216:217], v[214:215], 1.0
	s_delay_alu instid0(VALU_DEP_1)
	v_mul_f64 v[228:229], v[212:213], v[230:231]
	v_xor_b32_e32 v231, 0x80000000, v231
.LBB112_973:
	s_and_not1_saveexec_b32 s2, s2
	s_cbranch_execz .LBB112_975
; %bb.974:
	s_delay_alu instid0(VALU_DEP_1) | instskip(SKIP_1) | instid1(VALU_DEP_2)
	v_div_scale_f64 v[212:213], null, v[228:229], v[228:229], v[230:231]
	v_div_scale_f64 v[218:219], vcc_lo, v[230:231], v[228:229], v[230:231]
	v_rcp_f64_e32 v[214:215], v[212:213]
	s_waitcnt_depctr 0xfff
	v_fma_f64 v[216:217], -v[212:213], v[214:215], 1.0
	s_delay_alu instid0(VALU_DEP_1) | instskip(NEXT) | instid1(VALU_DEP_1)
	v_fma_f64 v[214:215], v[214:215], v[216:217], v[214:215]
	v_fma_f64 v[216:217], -v[212:213], v[214:215], 1.0
	s_delay_alu instid0(VALU_DEP_1) | instskip(NEXT) | instid1(VALU_DEP_1)
	v_fma_f64 v[214:215], v[214:215], v[216:217], v[214:215]
	v_mul_f64 v[216:217], v[218:219], v[214:215]
	s_delay_alu instid0(VALU_DEP_1) | instskip(NEXT) | instid1(VALU_DEP_1)
	v_fma_f64 v[212:213], -v[212:213], v[216:217], v[218:219]
	v_div_fmas_f64 v[212:213], v[212:213], v[214:215], v[216:217]
	s_delay_alu instid0(VALU_DEP_1) | instskip(NEXT) | instid1(VALU_DEP_1)
	v_div_fixup_f64 v[212:213], v[212:213], v[228:229], v[230:231]
	v_fma_f64 v[214:215], v[230:231], v[212:213], v[228:229]
	s_delay_alu instid0(VALU_DEP_1) | instskip(NEXT) | instid1(VALU_DEP_1)
	v_div_scale_f64 v[216:217], null, v[214:215], v[214:215], 1.0
	v_rcp_f64_e32 v[218:219], v[216:217]
	s_waitcnt_depctr 0xfff
	v_fma_f64 v[220:221], -v[216:217], v[218:219], 1.0
	s_delay_alu instid0(VALU_DEP_1) | instskip(NEXT) | instid1(VALU_DEP_1)
	v_fma_f64 v[218:219], v[218:219], v[220:221], v[218:219]
	v_fma_f64 v[220:221], -v[216:217], v[218:219], 1.0
	s_delay_alu instid0(VALU_DEP_1) | instskip(SKIP_1) | instid1(VALU_DEP_1)
	v_fma_f64 v[218:219], v[218:219], v[220:221], v[218:219]
	v_div_scale_f64 v[220:221], vcc_lo, 1.0, v[214:215], 1.0
	v_mul_f64 v[222:223], v[220:221], v[218:219]
	s_delay_alu instid0(VALU_DEP_1) | instskip(NEXT) | instid1(VALU_DEP_1)
	v_fma_f64 v[216:217], -v[216:217], v[222:223], v[220:221]
	v_div_fmas_f64 v[216:217], v[216:217], v[218:219], v[222:223]
	s_delay_alu instid0(VALU_DEP_1) | instskip(NEXT) | instid1(VALU_DEP_1)
	v_div_fixup_f64 v[228:229], v[216:217], v[214:215], 1.0
	v_mul_f64 v[230:231], v[212:213], -v[228:229]
.LBB112_975:
	s_or_b32 exec_lo, exec_lo, s2
.LBB112_976:
	s_delay_alu instid0(SALU_CYCLE_1) | instskip(NEXT) | instid1(SALU_CYCLE_1)
	s_or_b32 exec_lo, exec_lo, s3
	s_mov_b32 s2, exec_lo
	v_cmpx_ne_u32_e64 v244, v236
	s_xor_b32 s2, exec_lo, s2
	s_cbranch_execz .LBB112_982
; %bb.977:
	s_mov_b32 s3, exec_lo
	v_cmpx_eq_u32_e32 46, v244
	s_cbranch_execz .LBB112_981
; %bb.978:
	v_cmp_ne_u32_e32 vcc_lo, 46, v236
	s_xor_b32 s4, s5, -1
	s_delay_alu instid0(SALU_CYCLE_1) | instskip(NEXT) | instid1(SALU_CYCLE_1)
	s_and_b32 s6, s4, vcc_lo
	s_and_saveexec_b32 s4, s6
	s_cbranch_execz .LBB112_980
; %bb.979:
	scratch_load_b64 v[10:11], off, off     ; 8-byte Folded Reload
	v_ashrrev_i32_e32 v237, 31, v236
	s_delay_alu instid0(VALU_DEP_1) | instskip(SKIP_1) | instid1(VALU_DEP_1)
	v_lshlrev_b64 v[212:213], 2, v[236:237]
	s_waitcnt vmcnt(0)
	v_add_co_u32 v212, vcc_lo, v10, v212
	s_delay_alu instid0(VALU_DEP_2)
	v_add_co_ci_u32_e32 v213, vcc_lo, v11, v213, vcc_lo
	s_clause 0x1
	flat_load_b32 v214, v[212:213]
	flat_load_b32 v215, v[10:11] offset:184
	s_waitcnt vmcnt(1) lgkmcnt(1)
	flat_store_b32 v[10:11], v214 offset:184
	s_waitcnt vmcnt(0) lgkmcnt(1)
	flat_store_b32 v[212:213], v215
.LBB112_980:
	s_or_b32 exec_lo, exec_lo, s4
	v_mov_b32_e32 v244, v236
	v_mov_b32_e32 v243, v236
.LBB112_981:
	s_or_b32 exec_lo, exec_lo, s3
.LBB112_982:
	s_and_not1_saveexec_b32 s2, s2
	s_cbranch_execz .LBB112_984
; %bb.983:
	v_mov_b32_e32 v244, 46
	ds_store_2addr_b64 v238, v[36:37], v[38:39] offset0:94 offset1:95
	ds_store_2addr_b64 v238, v[32:33], v[34:35] offset0:96 offset1:97
	;; [unrolled: 1-line block ×10, first 2 shown]
.LBB112_984:
	s_or_b32 exec_lo, exec_lo, s2
	s_delay_alu instid0(SALU_CYCLE_1)
	s_mov_b32 s2, exec_lo
	s_waitcnt lgkmcnt(0)
	s_waitcnt_vscnt null, 0x0
	s_barrier
	buffer_gl0_inv
	v_cmpx_lt_i32_e32 46, v244
	s_cbranch_execz .LBB112_986
; %bb.985:
	v_mul_f64 v[212:213], v[228:229], v[42:43]
	v_mul_f64 v[42:43], v[230:231], v[42:43]
	s_delay_alu instid0(VALU_DEP_2) | instskip(NEXT) | instid1(VALU_DEP_2)
	v_fma_f64 v[212:213], v[230:231], v[40:41], v[212:213]
	v_fma_f64 v[40:41], v[228:229], v[40:41], -v[42:43]
	ds_load_2addr_b64 v[228:231], v238 offset0:94 offset1:95
	s_waitcnt lgkmcnt(0)
	v_mul_f64 v[42:43], v[230:231], v[212:213]
	v_mul_f64 v[214:215], v[228:229], v[212:213]
	s_delay_alu instid0(VALU_DEP_2) | instskip(NEXT) | instid1(VALU_DEP_2)
	v_fma_f64 v[42:43], v[228:229], v[40:41], -v[42:43]
	v_fma_f64 v[214:215], v[230:231], v[40:41], v[214:215]
	ds_load_2addr_b64 v[228:231], v238 offset0:96 offset1:97
	v_add_f64 v[36:37], v[36:37], -v[42:43]
	v_add_f64 v[38:39], v[38:39], -v[214:215]
	s_waitcnt lgkmcnt(0)
	v_mul_f64 v[42:43], v[230:231], v[212:213]
	v_mul_f64 v[214:215], v[228:229], v[212:213]
	s_delay_alu instid0(VALU_DEP_2) | instskip(NEXT) | instid1(VALU_DEP_2)
	v_fma_f64 v[42:43], v[228:229], v[40:41], -v[42:43]
	v_fma_f64 v[214:215], v[230:231], v[40:41], v[214:215]
	ds_load_2addr_b64 v[228:231], v238 offset0:98 offset1:99
	v_add_f64 v[32:33], v[32:33], -v[42:43]
	v_add_f64 v[34:35], v[34:35], -v[214:215]
	;; [unrolled: 9-line block ×9, first 2 shown]
	s_waitcnt lgkmcnt(0)
	v_mul_f64 v[42:43], v[230:231], v[212:213]
	v_mul_f64 v[214:215], v[228:229], v[212:213]
	s_delay_alu instid0(VALU_DEP_2) | instskip(NEXT) | instid1(VALU_DEP_2)
	v_fma_f64 v[42:43], v[228:229], v[40:41], -v[42:43]
	v_fma_f64 v[214:215], v[230:231], v[40:41], v[214:215]
	s_delay_alu instid0(VALU_DEP_2) | instskip(NEXT) | instid1(VALU_DEP_2)
	v_add_f64 v[0:1], v[0:1], -v[42:43]
	v_add_f64 v[2:3], v[2:3], -v[214:215]
	v_dual_mov_b32 v42, v212 :: v_dual_mov_b32 v43, v213
.LBB112_986:
	s_or_b32 exec_lo, exec_lo, s2
	v_lshl_add_u32 v212, v244, 4, v238
	s_barrier
	buffer_gl0_inv
	v_mov_b32_e32 v236, 47
	ds_store_2addr_b64 v212, v[36:37], v[38:39] offset1:1
	s_waitcnt lgkmcnt(0)
	s_barrier
	buffer_gl0_inv
	ds_load_2addr_b64 v[228:231], v238 offset0:94 offset1:95
	s_cmp_lt_i32 s12, 49
	s_cbranch_scc1 .LBB112_989
; %bb.987:
	v_add3_u32 v237, v242, 0, 0x300
	v_mov_b32_e32 v236, 47
	s_mov_b32 s2, 48
	s_set_inst_prefetch_distance 0x1
	.p2align	6
.LBB112_988:                            ; =>This Inner Loop Header: Depth=1
	s_waitcnt lgkmcnt(0)
	v_cmp_gt_f64_e32 vcc_lo, 0, v[228:229]
	v_xor_b32_e32 v212, 0x80000000, v229
	v_xor_b32_e32 v214, 0x80000000, v231
	ds_load_2addr_b64 v[245:248], v237 offset1:1
	v_add_nc_u32_e32 v237, 16, v237
	s_waitcnt lgkmcnt(0)
	v_xor_b32_e32 v216, 0x80000000, v248
	v_cndmask_b32_e32 v213, v229, v212, vcc_lo
	v_cndmask_b32_e32 v212, v228, v228, vcc_lo
	v_cmp_gt_f64_e32 vcc_lo, 0, v[230:231]
	v_cndmask_b32_e32 v215, v231, v214, vcc_lo
	v_cndmask_b32_e32 v214, v230, v230, vcc_lo
	v_cmp_gt_f64_e32 vcc_lo, 0, v[245:246]
	s_delay_alu instid0(VALU_DEP_2) | instskip(SKIP_1) | instid1(VALU_DEP_1)
	v_add_f64 v[212:213], v[212:213], v[214:215]
	v_xor_b32_e32 v214, 0x80000000, v246
	v_dual_cndmask_b32 v215, v246, v214 :: v_dual_mov_b32 v214, v245
	v_cmp_gt_f64_e32 vcc_lo, 0, v[247:248]
	v_dual_cndmask_b32 v217, v248, v216 :: v_dual_mov_b32 v216, v247
	s_delay_alu instid0(VALU_DEP_1) | instskip(NEXT) | instid1(VALU_DEP_1)
	v_add_f64 v[214:215], v[214:215], v[216:217]
	v_cmp_lt_f64_e32 vcc_lo, v[212:213], v[214:215]
	v_dual_cndmask_b32 v229, v229, v246 :: v_dual_cndmask_b32 v228, v228, v245
	v_dual_cndmask_b32 v231, v231, v248 :: v_dual_cndmask_b32 v230, v230, v247
	v_cndmask_b32_e64 v236, v236, s2, vcc_lo
	s_add_i32 s2, s2, 1
	s_delay_alu instid0(SALU_CYCLE_1)
	s_cmp_lg_u32 s12, s2
	s_cbranch_scc1 .LBB112_988
.LBB112_989:
	s_set_inst_prefetch_distance 0x2
	s_waitcnt lgkmcnt(0)
	v_cmp_eq_f64_e32 vcc_lo, 0, v[228:229]
	v_cmp_eq_f64_e64 s2, 0, v[230:231]
	s_delay_alu instid0(VALU_DEP_1) | instskip(NEXT) | instid1(SALU_CYCLE_1)
	s_and_b32 s2, vcc_lo, s2
	s_and_saveexec_b32 s3, s2
	s_delay_alu instid0(SALU_CYCLE_1)
	s_xor_b32 s2, exec_lo, s3
; %bb.990:
	v_cmp_ne_u32_e32 vcc_lo, 0, v241
	v_cndmask_b32_e32 v241, 48, v241, vcc_lo
; %bb.991:
	s_and_not1_saveexec_b32 s3, s2
	s_cbranch_execz .LBB112_997
; %bb.992:
	v_cmp_gt_f64_e32 vcc_lo, 0, v[228:229]
	v_cmp_gt_f64_e64 s2, 0, v[230:231]
	v_xor_b32_e32 v212, 0x80000000, v229
	v_xor_b32_e32 v214, 0x80000000, v231
	s_delay_alu instid0(VALU_DEP_2) | instskip(NEXT) | instid1(VALU_DEP_2)
	v_cndmask_b32_e32 v213, v229, v212, vcc_lo
	v_cndmask_b32_e64 v215, v231, v214, s2
	v_cndmask_b32_e32 v212, v228, v228, vcc_lo
	v_cndmask_b32_e64 v214, v230, v230, s2
	s_mov_b32 s2, exec_lo
	s_delay_alu instid0(VALU_DEP_1)
	v_cmpx_ngt_f64_e32 v[212:213], v[214:215]
	s_xor_b32 s2, exec_lo, s2
	s_cbranch_execz .LBB112_994
; %bb.993:
	v_div_scale_f64 v[212:213], null, v[230:231], v[230:231], v[228:229]
	v_div_scale_f64 v[218:219], vcc_lo, v[228:229], v[230:231], v[228:229]
	s_delay_alu instid0(VALU_DEP_2) | instskip(SKIP_2) | instid1(VALU_DEP_1)
	v_rcp_f64_e32 v[214:215], v[212:213]
	s_waitcnt_depctr 0xfff
	v_fma_f64 v[216:217], -v[212:213], v[214:215], 1.0
	v_fma_f64 v[214:215], v[214:215], v[216:217], v[214:215]
	s_delay_alu instid0(VALU_DEP_1) | instskip(NEXT) | instid1(VALU_DEP_1)
	v_fma_f64 v[216:217], -v[212:213], v[214:215], 1.0
	v_fma_f64 v[214:215], v[214:215], v[216:217], v[214:215]
	s_delay_alu instid0(VALU_DEP_1) | instskip(NEXT) | instid1(VALU_DEP_1)
	v_mul_f64 v[216:217], v[218:219], v[214:215]
	v_fma_f64 v[212:213], -v[212:213], v[216:217], v[218:219]
	s_delay_alu instid0(VALU_DEP_1) | instskip(NEXT) | instid1(VALU_DEP_1)
	v_div_fmas_f64 v[212:213], v[212:213], v[214:215], v[216:217]
	v_div_fixup_f64 v[212:213], v[212:213], v[230:231], v[228:229]
	s_delay_alu instid0(VALU_DEP_1) | instskip(NEXT) | instid1(VALU_DEP_1)
	v_fma_f64 v[214:215], v[228:229], v[212:213], v[230:231]
	v_div_scale_f64 v[216:217], null, v[214:215], v[214:215], 1.0
	s_delay_alu instid0(VALU_DEP_1) | instskip(SKIP_2) | instid1(VALU_DEP_1)
	v_rcp_f64_e32 v[218:219], v[216:217]
	s_waitcnt_depctr 0xfff
	v_fma_f64 v[220:221], -v[216:217], v[218:219], 1.0
	v_fma_f64 v[218:219], v[218:219], v[220:221], v[218:219]
	s_delay_alu instid0(VALU_DEP_1) | instskip(NEXT) | instid1(VALU_DEP_1)
	v_fma_f64 v[220:221], -v[216:217], v[218:219], 1.0
	v_fma_f64 v[218:219], v[218:219], v[220:221], v[218:219]
	v_div_scale_f64 v[220:221], vcc_lo, 1.0, v[214:215], 1.0
	s_delay_alu instid0(VALU_DEP_1) | instskip(NEXT) | instid1(VALU_DEP_1)
	v_mul_f64 v[222:223], v[220:221], v[218:219]
	v_fma_f64 v[216:217], -v[216:217], v[222:223], v[220:221]
	s_delay_alu instid0(VALU_DEP_1) | instskip(NEXT) | instid1(VALU_DEP_1)
	v_div_fmas_f64 v[216:217], v[216:217], v[218:219], v[222:223]
	v_div_fixup_f64 v[230:231], v[216:217], v[214:215], 1.0
	s_delay_alu instid0(VALU_DEP_1)
	v_mul_f64 v[228:229], v[212:213], v[230:231]
	v_xor_b32_e32 v231, 0x80000000, v231
.LBB112_994:
	s_and_not1_saveexec_b32 s2, s2
	s_cbranch_execz .LBB112_996
; %bb.995:
	s_delay_alu instid0(VALU_DEP_1) | instskip(SKIP_1) | instid1(VALU_DEP_2)
	v_div_scale_f64 v[212:213], null, v[228:229], v[228:229], v[230:231]
	v_div_scale_f64 v[218:219], vcc_lo, v[230:231], v[228:229], v[230:231]
	v_rcp_f64_e32 v[214:215], v[212:213]
	s_waitcnt_depctr 0xfff
	v_fma_f64 v[216:217], -v[212:213], v[214:215], 1.0
	s_delay_alu instid0(VALU_DEP_1) | instskip(NEXT) | instid1(VALU_DEP_1)
	v_fma_f64 v[214:215], v[214:215], v[216:217], v[214:215]
	v_fma_f64 v[216:217], -v[212:213], v[214:215], 1.0
	s_delay_alu instid0(VALU_DEP_1) | instskip(NEXT) | instid1(VALU_DEP_1)
	v_fma_f64 v[214:215], v[214:215], v[216:217], v[214:215]
	v_mul_f64 v[216:217], v[218:219], v[214:215]
	s_delay_alu instid0(VALU_DEP_1) | instskip(NEXT) | instid1(VALU_DEP_1)
	v_fma_f64 v[212:213], -v[212:213], v[216:217], v[218:219]
	v_div_fmas_f64 v[212:213], v[212:213], v[214:215], v[216:217]
	s_delay_alu instid0(VALU_DEP_1) | instskip(NEXT) | instid1(VALU_DEP_1)
	v_div_fixup_f64 v[212:213], v[212:213], v[228:229], v[230:231]
	v_fma_f64 v[214:215], v[230:231], v[212:213], v[228:229]
	s_delay_alu instid0(VALU_DEP_1) | instskip(NEXT) | instid1(VALU_DEP_1)
	v_div_scale_f64 v[216:217], null, v[214:215], v[214:215], 1.0
	v_rcp_f64_e32 v[218:219], v[216:217]
	s_waitcnt_depctr 0xfff
	v_fma_f64 v[220:221], -v[216:217], v[218:219], 1.0
	s_delay_alu instid0(VALU_DEP_1) | instskip(NEXT) | instid1(VALU_DEP_1)
	v_fma_f64 v[218:219], v[218:219], v[220:221], v[218:219]
	v_fma_f64 v[220:221], -v[216:217], v[218:219], 1.0
	s_delay_alu instid0(VALU_DEP_1) | instskip(SKIP_1) | instid1(VALU_DEP_1)
	v_fma_f64 v[218:219], v[218:219], v[220:221], v[218:219]
	v_div_scale_f64 v[220:221], vcc_lo, 1.0, v[214:215], 1.0
	v_mul_f64 v[222:223], v[220:221], v[218:219]
	s_delay_alu instid0(VALU_DEP_1) | instskip(NEXT) | instid1(VALU_DEP_1)
	v_fma_f64 v[216:217], -v[216:217], v[222:223], v[220:221]
	v_div_fmas_f64 v[216:217], v[216:217], v[218:219], v[222:223]
	s_delay_alu instid0(VALU_DEP_1) | instskip(NEXT) | instid1(VALU_DEP_1)
	v_div_fixup_f64 v[228:229], v[216:217], v[214:215], 1.0
	v_mul_f64 v[230:231], v[212:213], -v[228:229]
.LBB112_996:
	s_or_b32 exec_lo, exec_lo, s2
.LBB112_997:
	s_delay_alu instid0(SALU_CYCLE_1) | instskip(NEXT) | instid1(SALU_CYCLE_1)
	s_or_b32 exec_lo, exec_lo, s3
	s_mov_b32 s2, exec_lo
	v_cmpx_ne_u32_e64 v244, v236
	s_xor_b32 s2, exec_lo, s2
	s_cbranch_execz .LBB112_1003
; %bb.998:
	s_mov_b32 s3, exec_lo
	v_cmpx_eq_u32_e32 47, v244
	s_cbranch_execz .LBB112_1002
; %bb.999:
	v_cmp_ne_u32_e32 vcc_lo, 47, v236
	s_xor_b32 s4, s5, -1
	s_delay_alu instid0(SALU_CYCLE_1) | instskip(NEXT) | instid1(SALU_CYCLE_1)
	s_and_b32 s6, s4, vcc_lo
	s_and_saveexec_b32 s4, s6
	s_cbranch_execz .LBB112_1001
; %bb.1000:
	scratch_load_b64 v[10:11], off, off     ; 8-byte Folded Reload
	v_ashrrev_i32_e32 v237, 31, v236
	s_delay_alu instid0(VALU_DEP_1) | instskip(SKIP_1) | instid1(VALU_DEP_1)
	v_lshlrev_b64 v[212:213], 2, v[236:237]
	s_waitcnt vmcnt(0)
	v_add_co_u32 v212, vcc_lo, v10, v212
	s_delay_alu instid0(VALU_DEP_2)
	v_add_co_ci_u32_e32 v213, vcc_lo, v11, v213, vcc_lo
	s_clause 0x1
	flat_load_b32 v214, v[212:213]
	flat_load_b32 v215, v[10:11] offset:188
	s_waitcnt vmcnt(1) lgkmcnt(1)
	flat_store_b32 v[10:11], v214 offset:188
	s_waitcnt vmcnt(0) lgkmcnt(1)
	flat_store_b32 v[212:213], v215
.LBB112_1001:
	s_or_b32 exec_lo, exec_lo, s4
	v_mov_b32_e32 v244, v236
	v_mov_b32_e32 v243, v236
.LBB112_1002:
	s_or_b32 exec_lo, exec_lo, s3
.LBB112_1003:
	s_and_not1_saveexec_b32 s2, s2
	s_cbranch_execz .LBB112_1005
; %bb.1004:
	v_mov_b32_e32 v244, 47
	ds_store_2addr_b64 v238, v[32:33], v[34:35] offset0:96 offset1:97
	ds_store_2addr_b64 v238, v[28:29], v[30:31] offset0:98 offset1:99
	;; [unrolled: 1-line block ×9, first 2 shown]
.LBB112_1005:
	s_or_b32 exec_lo, exec_lo, s2
	s_delay_alu instid0(SALU_CYCLE_1)
	s_mov_b32 s2, exec_lo
	s_waitcnt lgkmcnt(0)
	s_waitcnt_vscnt null, 0x0
	s_barrier
	buffer_gl0_inv
	v_cmpx_lt_i32_e32 47, v244
	s_cbranch_execz .LBB112_1007
; %bb.1006:
	v_mul_f64 v[212:213], v[228:229], v[38:39]
	v_mul_f64 v[38:39], v[230:231], v[38:39]
	s_delay_alu instid0(VALU_DEP_2) | instskip(NEXT) | instid1(VALU_DEP_2)
	v_fma_f64 v[212:213], v[230:231], v[36:37], v[212:213]
	v_fma_f64 v[36:37], v[228:229], v[36:37], -v[38:39]
	ds_load_2addr_b64 v[228:231], v238 offset0:96 offset1:97
	s_waitcnt lgkmcnt(0)
	v_mul_f64 v[38:39], v[230:231], v[212:213]
	v_mul_f64 v[214:215], v[228:229], v[212:213]
	s_delay_alu instid0(VALU_DEP_2) | instskip(NEXT) | instid1(VALU_DEP_2)
	v_fma_f64 v[38:39], v[228:229], v[36:37], -v[38:39]
	v_fma_f64 v[214:215], v[230:231], v[36:37], v[214:215]
	ds_load_2addr_b64 v[228:231], v238 offset0:98 offset1:99
	v_add_f64 v[32:33], v[32:33], -v[38:39]
	v_add_f64 v[34:35], v[34:35], -v[214:215]
	s_waitcnt lgkmcnt(0)
	v_mul_f64 v[38:39], v[230:231], v[212:213]
	v_mul_f64 v[214:215], v[228:229], v[212:213]
	s_delay_alu instid0(VALU_DEP_2) | instskip(NEXT) | instid1(VALU_DEP_2)
	v_fma_f64 v[38:39], v[228:229], v[36:37], -v[38:39]
	v_fma_f64 v[214:215], v[230:231], v[36:37], v[214:215]
	ds_load_2addr_b64 v[228:231], v238 offset0:100 offset1:101
	v_add_f64 v[28:29], v[28:29], -v[38:39]
	v_add_f64 v[30:31], v[30:31], -v[214:215]
	;; [unrolled: 9-line block ×8, first 2 shown]
	s_waitcnt lgkmcnt(0)
	v_mul_f64 v[38:39], v[230:231], v[212:213]
	v_mul_f64 v[214:215], v[228:229], v[212:213]
	s_delay_alu instid0(VALU_DEP_2) | instskip(NEXT) | instid1(VALU_DEP_2)
	v_fma_f64 v[38:39], v[228:229], v[36:37], -v[38:39]
	v_fma_f64 v[214:215], v[230:231], v[36:37], v[214:215]
	s_delay_alu instid0(VALU_DEP_2) | instskip(NEXT) | instid1(VALU_DEP_2)
	v_add_f64 v[0:1], v[0:1], -v[38:39]
	v_add_f64 v[2:3], v[2:3], -v[214:215]
	v_dual_mov_b32 v38, v212 :: v_dual_mov_b32 v39, v213
.LBB112_1007:
	s_or_b32 exec_lo, exec_lo, s2
	v_lshl_add_u32 v212, v244, 4, v238
	s_barrier
	buffer_gl0_inv
	v_mov_b32_e32 v236, 48
	ds_store_2addr_b64 v212, v[32:33], v[34:35] offset1:1
	s_waitcnt lgkmcnt(0)
	s_barrier
	buffer_gl0_inv
	ds_load_2addr_b64 v[228:231], v238 offset0:96 offset1:97
	s_cmp_lt_i32 s12, 50
	s_cbranch_scc1 .LBB112_1010
; %bb.1008:
	v_add3_u32 v237, v242, 0, 0x310
	v_mov_b32_e32 v236, 48
	s_mov_b32 s2, 49
	s_set_inst_prefetch_distance 0x1
	.p2align	6
.LBB112_1009:                           ; =>This Inner Loop Header: Depth=1
	s_waitcnt lgkmcnt(0)
	v_cmp_gt_f64_e32 vcc_lo, 0, v[228:229]
	v_xor_b32_e32 v212, 0x80000000, v229
	v_xor_b32_e32 v214, 0x80000000, v231
	ds_load_2addr_b64 v[245:248], v237 offset1:1
	v_add_nc_u32_e32 v237, 16, v237
	s_waitcnt lgkmcnt(0)
	v_xor_b32_e32 v216, 0x80000000, v248
	v_cndmask_b32_e32 v213, v229, v212, vcc_lo
	v_cndmask_b32_e32 v212, v228, v228, vcc_lo
	v_cmp_gt_f64_e32 vcc_lo, 0, v[230:231]
	v_cndmask_b32_e32 v215, v231, v214, vcc_lo
	v_cndmask_b32_e32 v214, v230, v230, vcc_lo
	v_cmp_gt_f64_e32 vcc_lo, 0, v[245:246]
	s_delay_alu instid0(VALU_DEP_2) | instskip(SKIP_1) | instid1(VALU_DEP_1)
	v_add_f64 v[212:213], v[212:213], v[214:215]
	v_xor_b32_e32 v214, 0x80000000, v246
	v_dual_cndmask_b32 v215, v246, v214 :: v_dual_mov_b32 v214, v245
	v_cmp_gt_f64_e32 vcc_lo, 0, v[247:248]
	v_dual_cndmask_b32 v217, v248, v216 :: v_dual_mov_b32 v216, v247
	s_delay_alu instid0(VALU_DEP_1) | instskip(NEXT) | instid1(VALU_DEP_1)
	v_add_f64 v[214:215], v[214:215], v[216:217]
	v_cmp_lt_f64_e32 vcc_lo, v[212:213], v[214:215]
	v_dual_cndmask_b32 v229, v229, v246 :: v_dual_cndmask_b32 v228, v228, v245
	v_dual_cndmask_b32 v231, v231, v248 :: v_dual_cndmask_b32 v230, v230, v247
	v_cndmask_b32_e64 v236, v236, s2, vcc_lo
	s_add_i32 s2, s2, 1
	s_delay_alu instid0(SALU_CYCLE_1)
	s_cmp_lg_u32 s12, s2
	s_cbranch_scc1 .LBB112_1009
.LBB112_1010:
	s_set_inst_prefetch_distance 0x2
	s_waitcnt lgkmcnt(0)
	v_cmp_eq_f64_e32 vcc_lo, 0, v[228:229]
	v_cmp_eq_f64_e64 s2, 0, v[230:231]
	s_delay_alu instid0(VALU_DEP_1) | instskip(NEXT) | instid1(SALU_CYCLE_1)
	s_and_b32 s2, vcc_lo, s2
	s_and_saveexec_b32 s3, s2
	s_delay_alu instid0(SALU_CYCLE_1)
	s_xor_b32 s2, exec_lo, s3
; %bb.1011:
	v_cmp_ne_u32_e32 vcc_lo, 0, v241
	v_cndmask_b32_e32 v241, 49, v241, vcc_lo
; %bb.1012:
	s_and_not1_saveexec_b32 s3, s2
	s_cbranch_execz .LBB112_1018
; %bb.1013:
	v_cmp_gt_f64_e32 vcc_lo, 0, v[228:229]
	v_cmp_gt_f64_e64 s2, 0, v[230:231]
	v_xor_b32_e32 v212, 0x80000000, v229
	v_xor_b32_e32 v214, 0x80000000, v231
	s_delay_alu instid0(VALU_DEP_2) | instskip(NEXT) | instid1(VALU_DEP_2)
	v_cndmask_b32_e32 v213, v229, v212, vcc_lo
	v_cndmask_b32_e64 v215, v231, v214, s2
	v_cndmask_b32_e32 v212, v228, v228, vcc_lo
	v_cndmask_b32_e64 v214, v230, v230, s2
	s_mov_b32 s2, exec_lo
	s_delay_alu instid0(VALU_DEP_1)
	v_cmpx_ngt_f64_e32 v[212:213], v[214:215]
	s_xor_b32 s2, exec_lo, s2
	s_cbranch_execz .LBB112_1015
; %bb.1014:
	v_div_scale_f64 v[212:213], null, v[230:231], v[230:231], v[228:229]
	v_div_scale_f64 v[218:219], vcc_lo, v[228:229], v[230:231], v[228:229]
	s_delay_alu instid0(VALU_DEP_2) | instskip(SKIP_2) | instid1(VALU_DEP_1)
	v_rcp_f64_e32 v[214:215], v[212:213]
	s_waitcnt_depctr 0xfff
	v_fma_f64 v[216:217], -v[212:213], v[214:215], 1.0
	v_fma_f64 v[214:215], v[214:215], v[216:217], v[214:215]
	s_delay_alu instid0(VALU_DEP_1) | instskip(NEXT) | instid1(VALU_DEP_1)
	v_fma_f64 v[216:217], -v[212:213], v[214:215], 1.0
	v_fma_f64 v[214:215], v[214:215], v[216:217], v[214:215]
	s_delay_alu instid0(VALU_DEP_1) | instskip(NEXT) | instid1(VALU_DEP_1)
	v_mul_f64 v[216:217], v[218:219], v[214:215]
	v_fma_f64 v[212:213], -v[212:213], v[216:217], v[218:219]
	s_delay_alu instid0(VALU_DEP_1) | instskip(NEXT) | instid1(VALU_DEP_1)
	v_div_fmas_f64 v[212:213], v[212:213], v[214:215], v[216:217]
	v_div_fixup_f64 v[212:213], v[212:213], v[230:231], v[228:229]
	s_delay_alu instid0(VALU_DEP_1) | instskip(NEXT) | instid1(VALU_DEP_1)
	v_fma_f64 v[214:215], v[228:229], v[212:213], v[230:231]
	v_div_scale_f64 v[216:217], null, v[214:215], v[214:215], 1.0
	s_delay_alu instid0(VALU_DEP_1) | instskip(SKIP_2) | instid1(VALU_DEP_1)
	v_rcp_f64_e32 v[218:219], v[216:217]
	s_waitcnt_depctr 0xfff
	v_fma_f64 v[220:221], -v[216:217], v[218:219], 1.0
	v_fma_f64 v[218:219], v[218:219], v[220:221], v[218:219]
	s_delay_alu instid0(VALU_DEP_1) | instskip(NEXT) | instid1(VALU_DEP_1)
	v_fma_f64 v[220:221], -v[216:217], v[218:219], 1.0
	v_fma_f64 v[218:219], v[218:219], v[220:221], v[218:219]
	v_div_scale_f64 v[220:221], vcc_lo, 1.0, v[214:215], 1.0
	s_delay_alu instid0(VALU_DEP_1) | instskip(NEXT) | instid1(VALU_DEP_1)
	v_mul_f64 v[222:223], v[220:221], v[218:219]
	v_fma_f64 v[216:217], -v[216:217], v[222:223], v[220:221]
	s_delay_alu instid0(VALU_DEP_1) | instskip(NEXT) | instid1(VALU_DEP_1)
	v_div_fmas_f64 v[216:217], v[216:217], v[218:219], v[222:223]
	v_div_fixup_f64 v[230:231], v[216:217], v[214:215], 1.0
	s_delay_alu instid0(VALU_DEP_1)
	v_mul_f64 v[228:229], v[212:213], v[230:231]
	v_xor_b32_e32 v231, 0x80000000, v231
.LBB112_1015:
	s_and_not1_saveexec_b32 s2, s2
	s_cbranch_execz .LBB112_1017
; %bb.1016:
	s_delay_alu instid0(VALU_DEP_1) | instskip(SKIP_1) | instid1(VALU_DEP_2)
	v_div_scale_f64 v[212:213], null, v[228:229], v[228:229], v[230:231]
	v_div_scale_f64 v[218:219], vcc_lo, v[230:231], v[228:229], v[230:231]
	v_rcp_f64_e32 v[214:215], v[212:213]
	s_waitcnt_depctr 0xfff
	v_fma_f64 v[216:217], -v[212:213], v[214:215], 1.0
	s_delay_alu instid0(VALU_DEP_1) | instskip(NEXT) | instid1(VALU_DEP_1)
	v_fma_f64 v[214:215], v[214:215], v[216:217], v[214:215]
	v_fma_f64 v[216:217], -v[212:213], v[214:215], 1.0
	s_delay_alu instid0(VALU_DEP_1) | instskip(NEXT) | instid1(VALU_DEP_1)
	v_fma_f64 v[214:215], v[214:215], v[216:217], v[214:215]
	v_mul_f64 v[216:217], v[218:219], v[214:215]
	s_delay_alu instid0(VALU_DEP_1) | instskip(NEXT) | instid1(VALU_DEP_1)
	v_fma_f64 v[212:213], -v[212:213], v[216:217], v[218:219]
	v_div_fmas_f64 v[212:213], v[212:213], v[214:215], v[216:217]
	s_delay_alu instid0(VALU_DEP_1) | instskip(NEXT) | instid1(VALU_DEP_1)
	v_div_fixup_f64 v[212:213], v[212:213], v[228:229], v[230:231]
	v_fma_f64 v[214:215], v[230:231], v[212:213], v[228:229]
	s_delay_alu instid0(VALU_DEP_1) | instskip(NEXT) | instid1(VALU_DEP_1)
	v_div_scale_f64 v[216:217], null, v[214:215], v[214:215], 1.0
	v_rcp_f64_e32 v[218:219], v[216:217]
	s_waitcnt_depctr 0xfff
	v_fma_f64 v[220:221], -v[216:217], v[218:219], 1.0
	s_delay_alu instid0(VALU_DEP_1) | instskip(NEXT) | instid1(VALU_DEP_1)
	v_fma_f64 v[218:219], v[218:219], v[220:221], v[218:219]
	v_fma_f64 v[220:221], -v[216:217], v[218:219], 1.0
	s_delay_alu instid0(VALU_DEP_1) | instskip(SKIP_1) | instid1(VALU_DEP_1)
	v_fma_f64 v[218:219], v[218:219], v[220:221], v[218:219]
	v_div_scale_f64 v[220:221], vcc_lo, 1.0, v[214:215], 1.0
	v_mul_f64 v[222:223], v[220:221], v[218:219]
	s_delay_alu instid0(VALU_DEP_1) | instskip(NEXT) | instid1(VALU_DEP_1)
	v_fma_f64 v[216:217], -v[216:217], v[222:223], v[220:221]
	v_div_fmas_f64 v[216:217], v[216:217], v[218:219], v[222:223]
	s_delay_alu instid0(VALU_DEP_1) | instskip(NEXT) | instid1(VALU_DEP_1)
	v_div_fixup_f64 v[228:229], v[216:217], v[214:215], 1.0
	v_mul_f64 v[230:231], v[212:213], -v[228:229]
.LBB112_1017:
	s_or_b32 exec_lo, exec_lo, s2
.LBB112_1018:
	s_delay_alu instid0(SALU_CYCLE_1) | instskip(NEXT) | instid1(SALU_CYCLE_1)
	s_or_b32 exec_lo, exec_lo, s3
	s_mov_b32 s2, exec_lo
	v_cmpx_ne_u32_e64 v244, v236
	s_xor_b32 s2, exec_lo, s2
	s_cbranch_execz .LBB112_1024
; %bb.1019:
	s_mov_b32 s3, exec_lo
	v_cmpx_eq_u32_e32 48, v244
	s_cbranch_execz .LBB112_1023
; %bb.1020:
	v_cmp_ne_u32_e32 vcc_lo, 48, v236
	s_xor_b32 s4, s5, -1
	s_delay_alu instid0(SALU_CYCLE_1) | instskip(NEXT) | instid1(SALU_CYCLE_1)
	s_and_b32 s6, s4, vcc_lo
	s_and_saveexec_b32 s4, s6
	s_cbranch_execz .LBB112_1022
; %bb.1021:
	scratch_load_b64 v[10:11], off, off     ; 8-byte Folded Reload
	v_ashrrev_i32_e32 v237, 31, v236
	s_delay_alu instid0(VALU_DEP_1) | instskip(SKIP_1) | instid1(VALU_DEP_1)
	v_lshlrev_b64 v[212:213], 2, v[236:237]
	s_waitcnt vmcnt(0)
	v_add_co_u32 v212, vcc_lo, v10, v212
	s_delay_alu instid0(VALU_DEP_2)
	v_add_co_ci_u32_e32 v213, vcc_lo, v11, v213, vcc_lo
	s_clause 0x1
	flat_load_b32 v214, v[212:213]
	flat_load_b32 v215, v[10:11] offset:192
	s_waitcnt vmcnt(1) lgkmcnt(1)
	flat_store_b32 v[10:11], v214 offset:192
	s_waitcnt vmcnt(0) lgkmcnt(1)
	flat_store_b32 v[212:213], v215
.LBB112_1022:
	s_or_b32 exec_lo, exec_lo, s4
	v_mov_b32_e32 v244, v236
	v_mov_b32_e32 v243, v236
.LBB112_1023:
	s_or_b32 exec_lo, exec_lo, s3
.LBB112_1024:
	s_and_not1_saveexec_b32 s2, s2
	s_cbranch_execz .LBB112_1026
; %bb.1025:
	v_mov_b32_e32 v244, 48
	ds_store_2addr_b64 v238, v[28:29], v[30:31] offset0:98 offset1:99
	ds_store_2addr_b64 v238, v[24:25], v[26:27] offset0:100 offset1:101
	ds_store_2addr_b64 v238, v[20:21], v[22:23] offset0:102 offset1:103
	ds_store_2addr_b64 v238, v[16:17], v[18:19] offset0:104 offset1:105
	ds_store_2addr_b64 v238, v[12:13], v[14:15] offset0:106 offset1:107
	ds_store_2addr_b64 v238, v[224:225], v[226:227] offset0:108 offset1:109
	ds_store_2addr_b64 v238, v[250:251], v[252:253] offset0:110 offset1:111
	ds_store_2addr_b64 v238, v[0:1], v[2:3] offset0:112 offset1:113
.LBB112_1026:
	s_or_b32 exec_lo, exec_lo, s2
	s_delay_alu instid0(SALU_CYCLE_1)
	s_mov_b32 s2, exec_lo
	s_waitcnt lgkmcnt(0)
	s_waitcnt_vscnt null, 0x0
	s_barrier
	buffer_gl0_inv
	v_cmpx_lt_i32_e32 48, v244
	s_cbranch_execz .LBB112_1028
; %bb.1027:
	v_mul_f64 v[212:213], v[228:229], v[34:35]
	v_mul_f64 v[34:35], v[230:231], v[34:35]
	s_delay_alu instid0(VALU_DEP_2) | instskip(NEXT) | instid1(VALU_DEP_2)
	v_fma_f64 v[212:213], v[230:231], v[32:33], v[212:213]
	v_fma_f64 v[32:33], v[228:229], v[32:33], -v[34:35]
	ds_load_2addr_b64 v[228:231], v238 offset0:98 offset1:99
	s_waitcnt lgkmcnt(0)
	v_mul_f64 v[34:35], v[230:231], v[212:213]
	v_mul_f64 v[214:215], v[228:229], v[212:213]
	s_delay_alu instid0(VALU_DEP_2) | instskip(NEXT) | instid1(VALU_DEP_2)
	v_fma_f64 v[34:35], v[228:229], v[32:33], -v[34:35]
	v_fma_f64 v[214:215], v[230:231], v[32:33], v[214:215]
	ds_load_2addr_b64 v[228:231], v238 offset0:100 offset1:101
	v_add_f64 v[28:29], v[28:29], -v[34:35]
	v_add_f64 v[30:31], v[30:31], -v[214:215]
	s_waitcnt lgkmcnt(0)
	v_mul_f64 v[34:35], v[230:231], v[212:213]
	v_mul_f64 v[214:215], v[228:229], v[212:213]
	s_delay_alu instid0(VALU_DEP_2) | instskip(NEXT) | instid1(VALU_DEP_2)
	v_fma_f64 v[34:35], v[228:229], v[32:33], -v[34:35]
	v_fma_f64 v[214:215], v[230:231], v[32:33], v[214:215]
	ds_load_2addr_b64 v[228:231], v238 offset0:102 offset1:103
	v_add_f64 v[24:25], v[24:25], -v[34:35]
	v_add_f64 v[26:27], v[26:27], -v[214:215]
	;; [unrolled: 9-line block ×7, first 2 shown]
	s_waitcnt lgkmcnt(0)
	v_mul_f64 v[34:35], v[230:231], v[212:213]
	v_mul_f64 v[214:215], v[228:229], v[212:213]
	s_delay_alu instid0(VALU_DEP_2) | instskip(NEXT) | instid1(VALU_DEP_2)
	v_fma_f64 v[34:35], v[228:229], v[32:33], -v[34:35]
	v_fma_f64 v[214:215], v[230:231], v[32:33], v[214:215]
	s_delay_alu instid0(VALU_DEP_2) | instskip(NEXT) | instid1(VALU_DEP_2)
	v_add_f64 v[0:1], v[0:1], -v[34:35]
	v_add_f64 v[2:3], v[2:3], -v[214:215]
	v_dual_mov_b32 v34, v212 :: v_dual_mov_b32 v35, v213
.LBB112_1028:
	s_or_b32 exec_lo, exec_lo, s2
	v_lshl_add_u32 v212, v244, 4, v238
	s_barrier
	buffer_gl0_inv
	v_mov_b32_e32 v236, 49
	ds_store_2addr_b64 v212, v[28:29], v[30:31] offset1:1
	s_waitcnt lgkmcnt(0)
	s_barrier
	buffer_gl0_inv
	ds_load_2addr_b64 v[228:231], v238 offset0:98 offset1:99
	s_cmp_lt_i32 s12, 51
	s_cbranch_scc1 .LBB112_1031
; %bb.1029:
	v_add3_u32 v237, v242, 0, 0x320
	v_mov_b32_e32 v236, 49
	s_mov_b32 s2, 50
	s_set_inst_prefetch_distance 0x1
	.p2align	6
.LBB112_1030:                           ; =>This Inner Loop Header: Depth=1
	s_waitcnt lgkmcnt(0)
	v_cmp_gt_f64_e32 vcc_lo, 0, v[228:229]
	v_xor_b32_e32 v212, 0x80000000, v229
	v_xor_b32_e32 v214, 0x80000000, v231
	ds_load_2addr_b64 v[245:248], v237 offset1:1
	v_add_nc_u32_e32 v237, 16, v237
	s_waitcnt lgkmcnt(0)
	v_xor_b32_e32 v216, 0x80000000, v248
	v_cndmask_b32_e32 v213, v229, v212, vcc_lo
	v_cndmask_b32_e32 v212, v228, v228, vcc_lo
	v_cmp_gt_f64_e32 vcc_lo, 0, v[230:231]
	v_cndmask_b32_e32 v215, v231, v214, vcc_lo
	v_cndmask_b32_e32 v214, v230, v230, vcc_lo
	v_cmp_gt_f64_e32 vcc_lo, 0, v[245:246]
	s_delay_alu instid0(VALU_DEP_2) | instskip(SKIP_1) | instid1(VALU_DEP_1)
	v_add_f64 v[212:213], v[212:213], v[214:215]
	v_xor_b32_e32 v214, 0x80000000, v246
	v_dual_cndmask_b32 v215, v246, v214 :: v_dual_mov_b32 v214, v245
	v_cmp_gt_f64_e32 vcc_lo, 0, v[247:248]
	v_dual_cndmask_b32 v217, v248, v216 :: v_dual_mov_b32 v216, v247
	s_delay_alu instid0(VALU_DEP_1) | instskip(NEXT) | instid1(VALU_DEP_1)
	v_add_f64 v[214:215], v[214:215], v[216:217]
	v_cmp_lt_f64_e32 vcc_lo, v[212:213], v[214:215]
	v_dual_cndmask_b32 v229, v229, v246 :: v_dual_cndmask_b32 v228, v228, v245
	v_dual_cndmask_b32 v231, v231, v248 :: v_dual_cndmask_b32 v230, v230, v247
	v_cndmask_b32_e64 v236, v236, s2, vcc_lo
	s_add_i32 s2, s2, 1
	s_delay_alu instid0(SALU_CYCLE_1)
	s_cmp_lg_u32 s12, s2
	s_cbranch_scc1 .LBB112_1030
.LBB112_1031:
	s_set_inst_prefetch_distance 0x2
	s_waitcnt lgkmcnt(0)
	v_cmp_eq_f64_e32 vcc_lo, 0, v[228:229]
	v_cmp_eq_f64_e64 s2, 0, v[230:231]
	s_delay_alu instid0(VALU_DEP_1) | instskip(NEXT) | instid1(SALU_CYCLE_1)
	s_and_b32 s2, vcc_lo, s2
	s_and_saveexec_b32 s3, s2
	s_delay_alu instid0(SALU_CYCLE_1)
	s_xor_b32 s2, exec_lo, s3
; %bb.1032:
	v_cmp_ne_u32_e32 vcc_lo, 0, v241
	v_cndmask_b32_e32 v241, 50, v241, vcc_lo
; %bb.1033:
	s_and_not1_saveexec_b32 s3, s2
	s_cbranch_execz .LBB112_1039
; %bb.1034:
	v_cmp_gt_f64_e32 vcc_lo, 0, v[228:229]
	v_cmp_gt_f64_e64 s2, 0, v[230:231]
	v_xor_b32_e32 v212, 0x80000000, v229
	v_xor_b32_e32 v214, 0x80000000, v231
	s_delay_alu instid0(VALU_DEP_2) | instskip(NEXT) | instid1(VALU_DEP_2)
	v_cndmask_b32_e32 v213, v229, v212, vcc_lo
	v_cndmask_b32_e64 v215, v231, v214, s2
	v_cndmask_b32_e32 v212, v228, v228, vcc_lo
	v_cndmask_b32_e64 v214, v230, v230, s2
	s_mov_b32 s2, exec_lo
	s_delay_alu instid0(VALU_DEP_1)
	v_cmpx_ngt_f64_e32 v[212:213], v[214:215]
	s_xor_b32 s2, exec_lo, s2
	s_cbranch_execz .LBB112_1036
; %bb.1035:
	v_div_scale_f64 v[212:213], null, v[230:231], v[230:231], v[228:229]
	v_div_scale_f64 v[218:219], vcc_lo, v[228:229], v[230:231], v[228:229]
	s_delay_alu instid0(VALU_DEP_2) | instskip(SKIP_2) | instid1(VALU_DEP_1)
	v_rcp_f64_e32 v[214:215], v[212:213]
	s_waitcnt_depctr 0xfff
	v_fma_f64 v[216:217], -v[212:213], v[214:215], 1.0
	v_fma_f64 v[214:215], v[214:215], v[216:217], v[214:215]
	s_delay_alu instid0(VALU_DEP_1) | instskip(NEXT) | instid1(VALU_DEP_1)
	v_fma_f64 v[216:217], -v[212:213], v[214:215], 1.0
	v_fma_f64 v[214:215], v[214:215], v[216:217], v[214:215]
	s_delay_alu instid0(VALU_DEP_1) | instskip(NEXT) | instid1(VALU_DEP_1)
	v_mul_f64 v[216:217], v[218:219], v[214:215]
	v_fma_f64 v[212:213], -v[212:213], v[216:217], v[218:219]
	s_delay_alu instid0(VALU_DEP_1) | instskip(NEXT) | instid1(VALU_DEP_1)
	v_div_fmas_f64 v[212:213], v[212:213], v[214:215], v[216:217]
	v_div_fixup_f64 v[212:213], v[212:213], v[230:231], v[228:229]
	s_delay_alu instid0(VALU_DEP_1) | instskip(NEXT) | instid1(VALU_DEP_1)
	v_fma_f64 v[214:215], v[228:229], v[212:213], v[230:231]
	v_div_scale_f64 v[216:217], null, v[214:215], v[214:215], 1.0
	s_delay_alu instid0(VALU_DEP_1) | instskip(SKIP_2) | instid1(VALU_DEP_1)
	v_rcp_f64_e32 v[218:219], v[216:217]
	s_waitcnt_depctr 0xfff
	v_fma_f64 v[220:221], -v[216:217], v[218:219], 1.0
	v_fma_f64 v[218:219], v[218:219], v[220:221], v[218:219]
	s_delay_alu instid0(VALU_DEP_1) | instskip(NEXT) | instid1(VALU_DEP_1)
	v_fma_f64 v[220:221], -v[216:217], v[218:219], 1.0
	v_fma_f64 v[218:219], v[218:219], v[220:221], v[218:219]
	v_div_scale_f64 v[220:221], vcc_lo, 1.0, v[214:215], 1.0
	s_delay_alu instid0(VALU_DEP_1) | instskip(NEXT) | instid1(VALU_DEP_1)
	v_mul_f64 v[222:223], v[220:221], v[218:219]
	v_fma_f64 v[216:217], -v[216:217], v[222:223], v[220:221]
	s_delay_alu instid0(VALU_DEP_1) | instskip(NEXT) | instid1(VALU_DEP_1)
	v_div_fmas_f64 v[216:217], v[216:217], v[218:219], v[222:223]
	v_div_fixup_f64 v[230:231], v[216:217], v[214:215], 1.0
	s_delay_alu instid0(VALU_DEP_1)
	v_mul_f64 v[228:229], v[212:213], v[230:231]
	v_xor_b32_e32 v231, 0x80000000, v231
.LBB112_1036:
	s_and_not1_saveexec_b32 s2, s2
	s_cbranch_execz .LBB112_1038
; %bb.1037:
	s_delay_alu instid0(VALU_DEP_1) | instskip(SKIP_1) | instid1(VALU_DEP_2)
	v_div_scale_f64 v[212:213], null, v[228:229], v[228:229], v[230:231]
	v_div_scale_f64 v[218:219], vcc_lo, v[230:231], v[228:229], v[230:231]
	v_rcp_f64_e32 v[214:215], v[212:213]
	s_waitcnt_depctr 0xfff
	v_fma_f64 v[216:217], -v[212:213], v[214:215], 1.0
	s_delay_alu instid0(VALU_DEP_1) | instskip(NEXT) | instid1(VALU_DEP_1)
	v_fma_f64 v[214:215], v[214:215], v[216:217], v[214:215]
	v_fma_f64 v[216:217], -v[212:213], v[214:215], 1.0
	s_delay_alu instid0(VALU_DEP_1) | instskip(NEXT) | instid1(VALU_DEP_1)
	v_fma_f64 v[214:215], v[214:215], v[216:217], v[214:215]
	v_mul_f64 v[216:217], v[218:219], v[214:215]
	s_delay_alu instid0(VALU_DEP_1) | instskip(NEXT) | instid1(VALU_DEP_1)
	v_fma_f64 v[212:213], -v[212:213], v[216:217], v[218:219]
	v_div_fmas_f64 v[212:213], v[212:213], v[214:215], v[216:217]
	s_delay_alu instid0(VALU_DEP_1) | instskip(NEXT) | instid1(VALU_DEP_1)
	v_div_fixup_f64 v[212:213], v[212:213], v[228:229], v[230:231]
	v_fma_f64 v[214:215], v[230:231], v[212:213], v[228:229]
	s_delay_alu instid0(VALU_DEP_1) | instskip(NEXT) | instid1(VALU_DEP_1)
	v_div_scale_f64 v[216:217], null, v[214:215], v[214:215], 1.0
	v_rcp_f64_e32 v[218:219], v[216:217]
	s_waitcnt_depctr 0xfff
	v_fma_f64 v[220:221], -v[216:217], v[218:219], 1.0
	s_delay_alu instid0(VALU_DEP_1) | instskip(NEXT) | instid1(VALU_DEP_1)
	v_fma_f64 v[218:219], v[218:219], v[220:221], v[218:219]
	v_fma_f64 v[220:221], -v[216:217], v[218:219], 1.0
	s_delay_alu instid0(VALU_DEP_1) | instskip(SKIP_1) | instid1(VALU_DEP_1)
	v_fma_f64 v[218:219], v[218:219], v[220:221], v[218:219]
	v_div_scale_f64 v[220:221], vcc_lo, 1.0, v[214:215], 1.0
	v_mul_f64 v[222:223], v[220:221], v[218:219]
	s_delay_alu instid0(VALU_DEP_1) | instskip(NEXT) | instid1(VALU_DEP_1)
	v_fma_f64 v[216:217], -v[216:217], v[222:223], v[220:221]
	v_div_fmas_f64 v[216:217], v[216:217], v[218:219], v[222:223]
	s_delay_alu instid0(VALU_DEP_1) | instskip(NEXT) | instid1(VALU_DEP_1)
	v_div_fixup_f64 v[228:229], v[216:217], v[214:215], 1.0
	v_mul_f64 v[230:231], v[212:213], -v[228:229]
.LBB112_1038:
	s_or_b32 exec_lo, exec_lo, s2
.LBB112_1039:
	s_delay_alu instid0(SALU_CYCLE_1) | instskip(NEXT) | instid1(SALU_CYCLE_1)
	s_or_b32 exec_lo, exec_lo, s3
	s_mov_b32 s2, exec_lo
	v_cmpx_ne_u32_e64 v244, v236
	s_xor_b32 s2, exec_lo, s2
	s_cbranch_execz .LBB112_1045
; %bb.1040:
	s_mov_b32 s3, exec_lo
	v_cmpx_eq_u32_e32 49, v244
	s_cbranch_execz .LBB112_1044
; %bb.1041:
	v_cmp_ne_u32_e32 vcc_lo, 49, v236
	s_xor_b32 s4, s5, -1
	s_delay_alu instid0(SALU_CYCLE_1) | instskip(NEXT) | instid1(SALU_CYCLE_1)
	s_and_b32 s6, s4, vcc_lo
	s_and_saveexec_b32 s4, s6
	s_cbranch_execz .LBB112_1043
; %bb.1042:
	scratch_load_b64 v[10:11], off, off     ; 8-byte Folded Reload
	v_ashrrev_i32_e32 v237, 31, v236
	s_delay_alu instid0(VALU_DEP_1) | instskip(SKIP_1) | instid1(VALU_DEP_1)
	v_lshlrev_b64 v[212:213], 2, v[236:237]
	s_waitcnt vmcnt(0)
	v_add_co_u32 v212, vcc_lo, v10, v212
	s_delay_alu instid0(VALU_DEP_2)
	v_add_co_ci_u32_e32 v213, vcc_lo, v11, v213, vcc_lo
	s_clause 0x1
	flat_load_b32 v214, v[212:213]
	flat_load_b32 v215, v[10:11] offset:196
	s_waitcnt vmcnt(1) lgkmcnt(1)
	flat_store_b32 v[10:11], v214 offset:196
	s_waitcnt vmcnt(0) lgkmcnt(1)
	flat_store_b32 v[212:213], v215
.LBB112_1043:
	s_or_b32 exec_lo, exec_lo, s4
	v_mov_b32_e32 v244, v236
	v_mov_b32_e32 v243, v236
.LBB112_1044:
	s_or_b32 exec_lo, exec_lo, s3
.LBB112_1045:
	s_and_not1_saveexec_b32 s2, s2
	s_cbranch_execz .LBB112_1047
; %bb.1046:
	v_mov_b32_e32 v244, 49
	ds_store_2addr_b64 v238, v[24:25], v[26:27] offset0:100 offset1:101
	ds_store_2addr_b64 v238, v[20:21], v[22:23] offset0:102 offset1:103
	;; [unrolled: 1-line block ×7, first 2 shown]
.LBB112_1047:
	s_or_b32 exec_lo, exec_lo, s2
	s_delay_alu instid0(SALU_CYCLE_1)
	s_mov_b32 s2, exec_lo
	s_waitcnt lgkmcnt(0)
	s_waitcnt_vscnt null, 0x0
	s_barrier
	buffer_gl0_inv
	v_cmpx_lt_i32_e32 49, v244
	s_cbranch_execz .LBB112_1049
; %bb.1048:
	v_mul_f64 v[212:213], v[228:229], v[30:31]
	v_mul_f64 v[30:31], v[230:231], v[30:31]
	s_delay_alu instid0(VALU_DEP_2) | instskip(NEXT) | instid1(VALU_DEP_2)
	v_fma_f64 v[212:213], v[230:231], v[28:29], v[212:213]
	v_fma_f64 v[28:29], v[228:229], v[28:29], -v[30:31]
	ds_load_2addr_b64 v[228:231], v238 offset0:100 offset1:101
	s_waitcnt lgkmcnt(0)
	v_mul_f64 v[30:31], v[230:231], v[212:213]
	v_mul_f64 v[214:215], v[228:229], v[212:213]
	s_delay_alu instid0(VALU_DEP_2) | instskip(NEXT) | instid1(VALU_DEP_2)
	v_fma_f64 v[30:31], v[228:229], v[28:29], -v[30:31]
	v_fma_f64 v[214:215], v[230:231], v[28:29], v[214:215]
	ds_load_2addr_b64 v[228:231], v238 offset0:102 offset1:103
	v_add_f64 v[24:25], v[24:25], -v[30:31]
	v_add_f64 v[26:27], v[26:27], -v[214:215]
	s_waitcnt lgkmcnt(0)
	v_mul_f64 v[30:31], v[230:231], v[212:213]
	v_mul_f64 v[214:215], v[228:229], v[212:213]
	s_delay_alu instid0(VALU_DEP_2) | instskip(NEXT) | instid1(VALU_DEP_2)
	v_fma_f64 v[30:31], v[228:229], v[28:29], -v[30:31]
	v_fma_f64 v[214:215], v[230:231], v[28:29], v[214:215]
	ds_load_2addr_b64 v[228:231], v238 offset0:104 offset1:105
	v_add_f64 v[20:21], v[20:21], -v[30:31]
	v_add_f64 v[22:23], v[22:23], -v[214:215]
	;; [unrolled: 9-line block ×6, first 2 shown]
	s_waitcnt lgkmcnt(0)
	v_mul_f64 v[30:31], v[230:231], v[212:213]
	v_mul_f64 v[214:215], v[228:229], v[212:213]
	s_delay_alu instid0(VALU_DEP_2) | instskip(NEXT) | instid1(VALU_DEP_2)
	v_fma_f64 v[30:31], v[228:229], v[28:29], -v[30:31]
	v_fma_f64 v[214:215], v[230:231], v[28:29], v[214:215]
	s_delay_alu instid0(VALU_DEP_2) | instskip(NEXT) | instid1(VALU_DEP_2)
	v_add_f64 v[0:1], v[0:1], -v[30:31]
	v_add_f64 v[2:3], v[2:3], -v[214:215]
	v_dual_mov_b32 v30, v212 :: v_dual_mov_b32 v31, v213
.LBB112_1049:
	s_or_b32 exec_lo, exec_lo, s2
	v_lshl_add_u32 v212, v244, 4, v238
	s_barrier
	buffer_gl0_inv
	v_mov_b32_e32 v236, 50
	ds_store_2addr_b64 v212, v[24:25], v[26:27] offset1:1
	s_waitcnt lgkmcnt(0)
	s_barrier
	buffer_gl0_inv
	ds_load_2addr_b64 v[228:231], v238 offset0:100 offset1:101
	s_cmp_lt_i32 s12, 52
	s_cbranch_scc1 .LBB112_1052
; %bb.1050:
	v_add3_u32 v237, v242, 0, 0x330
	v_mov_b32_e32 v236, 50
	s_mov_b32 s2, 51
	s_set_inst_prefetch_distance 0x1
	.p2align	6
.LBB112_1051:                           ; =>This Inner Loop Header: Depth=1
	s_waitcnt lgkmcnt(0)
	v_cmp_gt_f64_e32 vcc_lo, 0, v[228:229]
	v_xor_b32_e32 v212, 0x80000000, v229
	v_xor_b32_e32 v214, 0x80000000, v231
	ds_load_2addr_b64 v[245:248], v237 offset1:1
	v_add_nc_u32_e32 v237, 16, v237
	s_waitcnt lgkmcnt(0)
	v_xor_b32_e32 v216, 0x80000000, v248
	v_cndmask_b32_e32 v213, v229, v212, vcc_lo
	v_cndmask_b32_e32 v212, v228, v228, vcc_lo
	v_cmp_gt_f64_e32 vcc_lo, 0, v[230:231]
	v_cndmask_b32_e32 v215, v231, v214, vcc_lo
	v_cndmask_b32_e32 v214, v230, v230, vcc_lo
	v_cmp_gt_f64_e32 vcc_lo, 0, v[245:246]
	s_delay_alu instid0(VALU_DEP_2) | instskip(SKIP_1) | instid1(VALU_DEP_1)
	v_add_f64 v[212:213], v[212:213], v[214:215]
	v_xor_b32_e32 v214, 0x80000000, v246
	v_dual_cndmask_b32 v215, v246, v214 :: v_dual_mov_b32 v214, v245
	v_cmp_gt_f64_e32 vcc_lo, 0, v[247:248]
	v_dual_cndmask_b32 v217, v248, v216 :: v_dual_mov_b32 v216, v247
	s_delay_alu instid0(VALU_DEP_1) | instskip(NEXT) | instid1(VALU_DEP_1)
	v_add_f64 v[214:215], v[214:215], v[216:217]
	v_cmp_lt_f64_e32 vcc_lo, v[212:213], v[214:215]
	v_dual_cndmask_b32 v229, v229, v246 :: v_dual_cndmask_b32 v228, v228, v245
	v_dual_cndmask_b32 v231, v231, v248 :: v_dual_cndmask_b32 v230, v230, v247
	v_cndmask_b32_e64 v236, v236, s2, vcc_lo
	s_add_i32 s2, s2, 1
	s_delay_alu instid0(SALU_CYCLE_1)
	s_cmp_lg_u32 s12, s2
	s_cbranch_scc1 .LBB112_1051
.LBB112_1052:
	s_set_inst_prefetch_distance 0x2
	s_waitcnt lgkmcnt(0)
	v_cmp_eq_f64_e32 vcc_lo, 0, v[228:229]
	v_cmp_eq_f64_e64 s2, 0, v[230:231]
	s_delay_alu instid0(VALU_DEP_1) | instskip(NEXT) | instid1(SALU_CYCLE_1)
	s_and_b32 s2, vcc_lo, s2
	s_and_saveexec_b32 s3, s2
	s_delay_alu instid0(SALU_CYCLE_1)
	s_xor_b32 s2, exec_lo, s3
; %bb.1053:
	v_cmp_ne_u32_e32 vcc_lo, 0, v241
	v_cndmask_b32_e32 v241, 51, v241, vcc_lo
; %bb.1054:
	s_and_not1_saveexec_b32 s3, s2
	s_cbranch_execz .LBB112_1060
; %bb.1055:
	v_cmp_gt_f64_e32 vcc_lo, 0, v[228:229]
	v_cmp_gt_f64_e64 s2, 0, v[230:231]
	v_xor_b32_e32 v212, 0x80000000, v229
	v_xor_b32_e32 v214, 0x80000000, v231
	s_delay_alu instid0(VALU_DEP_2) | instskip(NEXT) | instid1(VALU_DEP_2)
	v_cndmask_b32_e32 v213, v229, v212, vcc_lo
	v_cndmask_b32_e64 v215, v231, v214, s2
	v_cndmask_b32_e32 v212, v228, v228, vcc_lo
	v_cndmask_b32_e64 v214, v230, v230, s2
	s_mov_b32 s2, exec_lo
	s_delay_alu instid0(VALU_DEP_1)
	v_cmpx_ngt_f64_e32 v[212:213], v[214:215]
	s_xor_b32 s2, exec_lo, s2
	s_cbranch_execz .LBB112_1057
; %bb.1056:
	v_div_scale_f64 v[212:213], null, v[230:231], v[230:231], v[228:229]
	v_div_scale_f64 v[218:219], vcc_lo, v[228:229], v[230:231], v[228:229]
	s_delay_alu instid0(VALU_DEP_2) | instskip(SKIP_2) | instid1(VALU_DEP_1)
	v_rcp_f64_e32 v[214:215], v[212:213]
	s_waitcnt_depctr 0xfff
	v_fma_f64 v[216:217], -v[212:213], v[214:215], 1.0
	v_fma_f64 v[214:215], v[214:215], v[216:217], v[214:215]
	s_delay_alu instid0(VALU_DEP_1) | instskip(NEXT) | instid1(VALU_DEP_1)
	v_fma_f64 v[216:217], -v[212:213], v[214:215], 1.0
	v_fma_f64 v[214:215], v[214:215], v[216:217], v[214:215]
	s_delay_alu instid0(VALU_DEP_1) | instskip(NEXT) | instid1(VALU_DEP_1)
	v_mul_f64 v[216:217], v[218:219], v[214:215]
	v_fma_f64 v[212:213], -v[212:213], v[216:217], v[218:219]
	s_delay_alu instid0(VALU_DEP_1) | instskip(NEXT) | instid1(VALU_DEP_1)
	v_div_fmas_f64 v[212:213], v[212:213], v[214:215], v[216:217]
	v_div_fixup_f64 v[212:213], v[212:213], v[230:231], v[228:229]
	s_delay_alu instid0(VALU_DEP_1) | instskip(NEXT) | instid1(VALU_DEP_1)
	v_fma_f64 v[214:215], v[228:229], v[212:213], v[230:231]
	v_div_scale_f64 v[216:217], null, v[214:215], v[214:215], 1.0
	s_delay_alu instid0(VALU_DEP_1) | instskip(SKIP_2) | instid1(VALU_DEP_1)
	v_rcp_f64_e32 v[218:219], v[216:217]
	s_waitcnt_depctr 0xfff
	v_fma_f64 v[220:221], -v[216:217], v[218:219], 1.0
	v_fma_f64 v[218:219], v[218:219], v[220:221], v[218:219]
	s_delay_alu instid0(VALU_DEP_1) | instskip(NEXT) | instid1(VALU_DEP_1)
	v_fma_f64 v[220:221], -v[216:217], v[218:219], 1.0
	v_fma_f64 v[218:219], v[218:219], v[220:221], v[218:219]
	v_div_scale_f64 v[220:221], vcc_lo, 1.0, v[214:215], 1.0
	s_delay_alu instid0(VALU_DEP_1) | instskip(NEXT) | instid1(VALU_DEP_1)
	v_mul_f64 v[222:223], v[220:221], v[218:219]
	v_fma_f64 v[216:217], -v[216:217], v[222:223], v[220:221]
	s_delay_alu instid0(VALU_DEP_1) | instskip(NEXT) | instid1(VALU_DEP_1)
	v_div_fmas_f64 v[216:217], v[216:217], v[218:219], v[222:223]
	v_div_fixup_f64 v[230:231], v[216:217], v[214:215], 1.0
	s_delay_alu instid0(VALU_DEP_1)
	v_mul_f64 v[228:229], v[212:213], v[230:231]
	v_xor_b32_e32 v231, 0x80000000, v231
.LBB112_1057:
	s_and_not1_saveexec_b32 s2, s2
	s_cbranch_execz .LBB112_1059
; %bb.1058:
	s_delay_alu instid0(VALU_DEP_1) | instskip(SKIP_1) | instid1(VALU_DEP_2)
	v_div_scale_f64 v[212:213], null, v[228:229], v[228:229], v[230:231]
	v_div_scale_f64 v[218:219], vcc_lo, v[230:231], v[228:229], v[230:231]
	v_rcp_f64_e32 v[214:215], v[212:213]
	s_waitcnt_depctr 0xfff
	v_fma_f64 v[216:217], -v[212:213], v[214:215], 1.0
	s_delay_alu instid0(VALU_DEP_1) | instskip(NEXT) | instid1(VALU_DEP_1)
	v_fma_f64 v[214:215], v[214:215], v[216:217], v[214:215]
	v_fma_f64 v[216:217], -v[212:213], v[214:215], 1.0
	s_delay_alu instid0(VALU_DEP_1) | instskip(NEXT) | instid1(VALU_DEP_1)
	v_fma_f64 v[214:215], v[214:215], v[216:217], v[214:215]
	v_mul_f64 v[216:217], v[218:219], v[214:215]
	s_delay_alu instid0(VALU_DEP_1) | instskip(NEXT) | instid1(VALU_DEP_1)
	v_fma_f64 v[212:213], -v[212:213], v[216:217], v[218:219]
	v_div_fmas_f64 v[212:213], v[212:213], v[214:215], v[216:217]
	s_delay_alu instid0(VALU_DEP_1) | instskip(NEXT) | instid1(VALU_DEP_1)
	v_div_fixup_f64 v[212:213], v[212:213], v[228:229], v[230:231]
	v_fma_f64 v[214:215], v[230:231], v[212:213], v[228:229]
	s_delay_alu instid0(VALU_DEP_1) | instskip(NEXT) | instid1(VALU_DEP_1)
	v_div_scale_f64 v[216:217], null, v[214:215], v[214:215], 1.0
	v_rcp_f64_e32 v[218:219], v[216:217]
	s_waitcnt_depctr 0xfff
	v_fma_f64 v[220:221], -v[216:217], v[218:219], 1.0
	s_delay_alu instid0(VALU_DEP_1) | instskip(NEXT) | instid1(VALU_DEP_1)
	v_fma_f64 v[218:219], v[218:219], v[220:221], v[218:219]
	v_fma_f64 v[220:221], -v[216:217], v[218:219], 1.0
	s_delay_alu instid0(VALU_DEP_1) | instskip(SKIP_1) | instid1(VALU_DEP_1)
	v_fma_f64 v[218:219], v[218:219], v[220:221], v[218:219]
	v_div_scale_f64 v[220:221], vcc_lo, 1.0, v[214:215], 1.0
	v_mul_f64 v[222:223], v[220:221], v[218:219]
	s_delay_alu instid0(VALU_DEP_1) | instskip(NEXT) | instid1(VALU_DEP_1)
	v_fma_f64 v[216:217], -v[216:217], v[222:223], v[220:221]
	v_div_fmas_f64 v[216:217], v[216:217], v[218:219], v[222:223]
	s_delay_alu instid0(VALU_DEP_1) | instskip(NEXT) | instid1(VALU_DEP_1)
	v_div_fixup_f64 v[228:229], v[216:217], v[214:215], 1.0
	v_mul_f64 v[230:231], v[212:213], -v[228:229]
.LBB112_1059:
	s_or_b32 exec_lo, exec_lo, s2
.LBB112_1060:
	s_delay_alu instid0(SALU_CYCLE_1) | instskip(NEXT) | instid1(SALU_CYCLE_1)
	s_or_b32 exec_lo, exec_lo, s3
	s_mov_b32 s2, exec_lo
	v_cmpx_ne_u32_e64 v244, v236
	s_xor_b32 s2, exec_lo, s2
	s_cbranch_execz .LBB112_1066
; %bb.1061:
	s_mov_b32 s3, exec_lo
	v_cmpx_eq_u32_e32 50, v244
	s_cbranch_execz .LBB112_1065
; %bb.1062:
	v_cmp_ne_u32_e32 vcc_lo, 50, v236
	s_xor_b32 s4, s5, -1
	s_delay_alu instid0(SALU_CYCLE_1) | instskip(NEXT) | instid1(SALU_CYCLE_1)
	s_and_b32 s6, s4, vcc_lo
	s_and_saveexec_b32 s4, s6
	s_cbranch_execz .LBB112_1064
; %bb.1063:
	scratch_load_b64 v[10:11], off, off     ; 8-byte Folded Reload
	v_ashrrev_i32_e32 v237, 31, v236
	s_delay_alu instid0(VALU_DEP_1) | instskip(SKIP_1) | instid1(VALU_DEP_1)
	v_lshlrev_b64 v[212:213], 2, v[236:237]
	s_waitcnt vmcnt(0)
	v_add_co_u32 v212, vcc_lo, v10, v212
	s_delay_alu instid0(VALU_DEP_2)
	v_add_co_ci_u32_e32 v213, vcc_lo, v11, v213, vcc_lo
	s_clause 0x1
	flat_load_b32 v214, v[212:213]
	flat_load_b32 v215, v[10:11] offset:200
	s_waitcnt vmcnt(1) lgkmcnt(1)
	flat_store_b32 v[10:11], v214 offset:200
	s_waitcnt vmcnt(0) lgkmcnt(1)
	flat_store_b32 v[212:213], v215
.LBB112_1064:
	s_or_b32 exec_lo, exec_lo, s4
	v_mov_b32_e32 v244, v236
	v_mov_b32_e32 v243, v236
.LBB112_1065:
	s_or_b32 exec_lo, exec_lo, s3
.LBB112_1066:
	s_and_not1_saveexec_b32 s2, s2
	s_cbranch_execz .LBB112_1068
; %bb.1067:
	v_mov_b32_e32 v244, 50
	ds_store_2addr_b64 v238, v[20:21], v[22:23] offset0:102 offset1:103
	ds_store_2addr_b64 v238, v[16:17], v[18:19] offset0:104 offset1:105
	;; [unrolled: 1-line block ×6, first 2 shown]
.LBB112_1068:
	s_or_b32 exec_lo, exec_lo, s2
	s_delay_alu instid0(SALU_CYCLE_1)
	s_mov_b32 s2, exec_lo
	s_waitcnt lgkmcnt(0)
	s_waitcnt_vscnt null, 0x0
	s_barrier
	buffer_gl0_inv
	v_cmpx_lt_i32_e32 50, v244
	s_cbranch_execz .LBB112_1070
; %bb.1069:
	v_mul_f64 v[212:213], v[228:229], v[26:27]
	v_mul_f64 v[26:27], v[230:231], v[26:27]
	s_delay_alu instid0(VALU_DEP_2) | instskip(NEXT) | instid1(VALU_DEP_2)
	v_fma_f64 v[212:213], v[230:231], v[24:25], v[212:213]
	v_fma_f64 v[24:25], v[228:229], v[24:25], -v[26:27]
	ds_load_2addr_b64 v[228:231], v238 offset0:102 offset1:103
	s_waitcnt lgkmcnt(0)
	v_mul_f64 v[26:27], v[230:231], v[212:213]
	v_mul_f64 v[214:215], v[228:229], v[212:213]
	s_delay_alu instid0(VALU_DEP_2) | instskip(NEXT) | instid1(VALU_DEP_2)
	v_fma_f64 v[26:27], v[228:229], v[24:25], -v[26:27]
	v_fma_f64 v[214:215], v[230:231], v[24:25], v[214:215]
	ds_load_2addr_b64 v[228:231], v238 offset0:104 offset1:105
	v_add_f64 v[20:21], v[20:21], -v[26:27]
	v_add_f64 v[22:23], v[22:23], -v[214:215]
	s_waitcnt lgkmcnt(0)
	v_mul_f64 v[26:27], v[230:231], v[212:213]
	v_mul_f64 v[214:215], v[228:229], v[212:213]
	s_delay_alu instid0(VALU_DEP_2) | instskip(NEXT) | instid1(VALU_DEP_2)
	v_fma_f64 v[26:27], v[228:229], v[24:25], -v[26:27]
	v_fma_f64 v[214:215], v[230:231], v[24:25], v[214:215]
	ds_load_2addr_b64 v[228:231], v238 offset0:106 offset1:107
	v_add_f64 v[16:17], v[16:17], -v[26:27]
	v_add_f64 v[18:19], v[18:19], -v[214:215]
	;; [unrolled: 9-line block ×5, first 2 shown]
	s_waitcnt lgkmcnt(0)
	v_mul_f64 v[26:27], v[230:231], v[212:213]
	v_mul_f64 v[214:215], v[228:229], v[212:213]
	s_delay_alu instid0(VALU_DEP_2) | instskip(NEXT) | instid1(VALU_DEP_2)
	v_fma_f64 v[26:27], v[228:229], v[24:25], -v[26:27]
	v_fma_f64 v[214:215], v[230:231], v[24:25], v[214:215]
	s_delay_alu instid0(VALU_DEP_2) | instskip(NEXT) | instid1(VALU_DEP_2)
	v_add_f64 v[0:1], v[0:1], -v[26:27]
	v_add_f64 v[2:3], v[2:3], -v[214:215]
	v_dual_mov_b32 v26, v212 :: v_dual_mov_b32 v27, v213
.LBB112_1070:
	s_or_b32 exec_lo, exec_lo, s2
	v_lshl_add_u32 v212, v244, 4, v238
	s_barrier
	buffer_gl0_inv
	v_mov_b32_e32 v236, 51
	ds_store_2addr_b64 v212, v[20:21], v[22:23] offset1:1
	s_waitcnt lgkmcnt(0)
	s_barrier
	buffer_gl0_inv
	ds_load_2addr_b64 v[228:231], v238 offset0:102 offset1:103
	s_cmp_lt_i32 s12, 53
	s_cbranch_scc1 .LBB112_1073
; %bb.1071:
	v_add3_u32 v237, v242, 0, 0x340
	v_mov_b32_e32 v236, 51
	s_mov_b32 s2, 52
	s_set_inst_prefetch_distance 0x1
	.p2align	6
.LBB112_1072:                           ; =>This Inner Loop Header: Depth=1
	s_waitcnt lgkmcnt(0)
	v_cmp_gt_f64_e32 vcc_lo, 0, v[228:229]
	v_xor_b32_e32 v212, 0x80000000, v229
	v_xor_b32_e32 v214, 0x80000000, v231
	ds_load_2addr_b64 v[245:248], v237 offset1:1
	v_add_nc_u32_e32 v237, 16, v237
	s_waitcnt lgkmcnt(0)
	v_xor_b32_e32 v216, 0x80000000, v248
	v_cndmask_b32_e32 v213, v229, v212, vcc_lo
	v_cndmask_b32_e32 v212, v228, v228, vcc_lo
	v_cmp_gt_f64_e32 vcc_lo, 0, v[230:231]
	v_cndmask_b32_e32 v215, v231, v214, vcc_lo
	v_cndmask_b32_e32 v214, v230, v230, vcc_lo
	v_cmp_gt_f64_e32 vcc_lo, 0, v[245:246]
	s_delay_alu instid0(VALU_DEP_2) | instskip(SKIP_1) | instid1(VALU_DEP_1)
	v_add_f64 v[212:213], v[212:213], v[214:215]
	v_xor_b32_e32 v214, 0x80000000, v246
	v_dual_cndmask_b32 v215, v246, v214 :: v_dual_mov_b32 v214, v245
	v_cmp_gt_f64_e32 vcc_lo, 0, v[247:248]
	v_dual_cndmask_b32 v217, v248, v216 :: v_dual_mov_b32 v216, v247
	s_delay_alu instid0(VALU_DEP_1) | instskip(NEXT) | instid1(VALU_DEP_1)
	v_add_f64 v[214:215], v[214:215], v[216:217]
	v_cmp_lt_f64_e32 vcc_lo, v[212:213], v[214:215]
	v_dual_cndmask_b32 v229, v229, v246 :: v_dual_cndmask_b32 v228, v228, v245
	v_dual_cndmask_b32 v231, v231, v248 :: v_dual_cndmask_b32 v230, v230, v247
	v_cndmask_b32_e64 v236, v236, s2, vcc_lo
	s_add_i32 s2, s2, 1
	s_delay_alu instid0(SALU_CYCLE_1)
	s_cmp_lg_u32 s12, s2
	s_cbranch_scc1 .LBB112_1072
.LBB112_1073:
	s_set_inst_prefetch_distance 0x2
	s_waitcnt lgkmcnt(0)
	v_cmp_eq_f64_e32 vcc_lo, 0, v[228:229]
	v_cmp_eq_f64_e64 s2, 0, v[230:231]
	s_delay_alu instid0(VALU_DEP_1) | instskip(NEXT) | instid1(SALU_CYCLE_1)
	s_and_b32 s2, vcc_lo, s2
	s_and_saveexec_b32 s3, s2
	s_delay_alu instid0(SALU_CYCLE_1)
	s_xor_b32 s2, exec_lo, s3
; %bb.1074:
	v_cmp_ne_u32_e32 vcc_lo, 0, v241
	v_cndmask_b32_e32 v241, 52, v241, vcc_lo
; %bb.1075:
	s_and_not1_saveexec_b32 s3, s2
	s_cbranch_execz .LBB112_1081
; %bb.1076:
	v_cmp_gt_f64_e32 vcc_lo, 0, v[228:229]
	v_cmp_gt_f64_e64 s2, 0, v[230:231]
	v_xor_b32_e32 v212, 0x80000000, v229
	v_xor_b32_e32 v214, 0x80000000, v231
	s_delay_alu instid0(VALU_DEP_2) | instskip(NEXT) | instid1(VALU_DEP_2)
	v_cndmask_b32_e32 v213, v229, v212, vcc_lo
	v_cndmask_b32_e64 v215, v231, v214, s2
	v_cndmask_b32_e32 v212, v228, v228, vcc_lo
	v_cndmask_b32_e64 v214, v230, v230, s2
	s_mov_b32 s2, exec_lo
	s_delay_alu instid0(VALU_DEP_1)
	v_cmpx_ngt_f64_e32 v[212:213], v[214:215]
	s_xor_b32 s2, exec_lo, s2
	s_cbranch_execz .LBB112_1078
; %bb.1077:
	v_div_scale_f64 v[212:213], null, v[230:231], v[230:231], v[228:229]
	v_div_scale_f64 v[218:219], vcc_lo, v[228:229], v[230:231], v[228:229]
	s_delay_alu instid0(VALU_DEP_2) | instskip(SKIP_2) | instid1(VALU_DEP_1)
	v_rcp_f64_e32 v[214:215], v[212:213]
	s_waitcnt_depctr 0xfff
	v_fma_f64 v[216:217], -v[212:213], v[214:215], 1.0
	v_fma_f64 v[214:215], v[214:215], v[216:217], v[214:215]
	s_delay_alu instid0(VALU_DEP_1) | instskip(NEXT) | instid1(VALU_DEP_1)
	v_fma_f64 v[216:217], -v[212:213], v[214:215], 1.0
	v_fma_f64 v[214:215], v[214:215], v[216:217], v[214:215]
	s_delay_alu instid0(VALU_DEP_1) | instskip(NEXT) | instid1(VALU_DEP_1)
	v_mul_f64 v[216:217], v[218:219], v[214:215]
	v_fma_f64 v[212:213], -v[212:213], v[216:217], v[218:219]
	s_delay_alu instid0(VALU_DEP_1) | instskip(NEXT) | instid1(VALU_DEP_1)
	v_div_fmas_f64 v[212:213], v[212:213], v[214:215], v[216:217]
	v_div_fixup_f64 v[212:213], v[212:213], v[230:231], v[228:229]
	s_delay_alu instid0(VALU_DEP_1) | instskip(NEXT) | instid1(VALU_DEP_1)
	v_fma_f64 v[214:215], v[228:229], v[212:213], v[230:231]
	v_div_scale_f64 v[216:217], null, v[214:215], v[214:215], 1.0
	s_delay_alu instid0(VALU_DEP_1) | instskip(SKIP_2) | instid1(VALU_DEP_1)
	v_rcp_f64_e32 v[218:219], v[216:217]
	s_waitcnt_depctr 0xfff
	v_fma_f64 v[220:221], -v[216:217], v[218:219], 1.0
	v_fma_f64 v[218:219], v[218:219], v[220:221], v[218:219]
	s_delay_alu instid0(VALU_DEP_1) | instskip(NEXT) | instid1(VALU_DEP_1)
	v_fma_f64 v[220:221], -v[216:217], v[218:219], 1.0
	v_fma_f64 v[218:219], v[218:219], v[220:221], v[218:219]
	v_div_scale_f64 v[220:221], vcc_lo, 1.0, v[214:215], 1.0
	s_delay_alu instid0(VALU_DEP_1) | instskip(NEXT) | instid1(VALU_DEP_1)
	v_mul_f64 v[222:223], v[220:221], v[218:219]
	v_fma_f64 v[216:217], -v[216:217], v[222:223], v[220:221]
	s_delay_alu instid0(VALU_DEP_1) | instskip(NEXT) | instid1(VALU_DEP_1)
	v_div_fmas_f64 v[216:217], v[216:217], v[218:219], v[222:223]
	v_div_fixup_f64 v[230:231], v[216:217], v[214:215], 1.0
	s_delay_alu instid0(VALU_DEP_1)
	v_mul_f64 v[228:229], v[212:213], v[230:231]
	v_xor_b32_e32 v231, 0x80000000, v231
.LBB112_1078:
	s_and_not1_saveexec_b32 s2, s2
	s_cbranch_execz .LBB112_1080
; %bb.1079:
	s_delay_alu instid0(VALU_DEP_1) | instskip(SKIP_1) | instid1(VALU_DEP_2)
	v_div_scale_f64 v[212:213], null, v[228:229], v[228:229], v[230:231]
	v_div_scale_f64 v[218:219], vcc_lo, v[230:231], v[228:229], v[230:231]
	v_rcp_f64_e32 v[214:215], v[212:213]
	s_waitcnt_depctr 0xfff
	v_fma_f64 v[216:217], -v[212:213], v[214:215], 1.0
	s_delay_alu instid0(VALU_DEP_1) | instskip(NEXT) | instid1(VALU_DEP_1)
	v_fma_f64 v[214:215], v[214:215], v[216:217], v[214:215]
	v_fma_f64 v[216:217], -v[212:213], v[214:215], 1.0
	s_delay_alu instid0(VALU_DEP_1) | instskip(NEXT) | instid1(VALU_DEP_1)
	v_fma_f64 v[214:215], v[214:215], v[216:217], v[214:215]
	v_mul_f64 v[216:217], v[218:219], v[214:215]
	s_delay_alu instid0(VALU_DEP_1) | instskip(NEXT) | instid1(VALU_DEP_1)
	v_fma_f64 v[212:213], -v[212:213], v[216:217], v[218:219]
	v_div_fmas_f64 v[212:213], v[212:213], v[214:215], v[216:217]
	s_delay_alu instid0(VALU_DEP_1) | instskip(NEXT) | instid1(VALU_DEP_1)
	v_div_fixup_f64 v[212:213], v[212:213], v[228:229], v[230:231]
	v_fma_f64 v[214:215], v[230:231], v[212:213], v[228:229]
	s_delay_alu instid0(VALU_DEP_1) | instskip(NEXT) | instid1(VALU_DEP_1)
	v_div_scale_f64 v[216:217], null, v[214:215], v[214:215], 1.0
	v_rcp_f64_e32 v[218:219], v[216:217]
	s_waitcnt_depctr 0xfff
	v_fma_f64 v[220:221], -v[216:217], v[218:219], 1.0
	s_delay_alu instid0(VALU_DEP_1) | instskip(NEXT) | instid1(VALU_DEP_1)
	v_fma_f64 v[218:219], v[218:219], v[220:221], v[218:219]
	v_fma_f64 v[220:221], -v[216:217], v[218:219], 1.0
	s_delay_alu instid0(VALU_DEP_1) | instskip(SKIP_1) | instid1(VALU_DEP_1)
	v_fma_f64 v[218:219], v[218:219], v[220:221], v[218:219]
	v_div_scale_f64 v[220:221], vcc_lo, 1.0, v[214:215], 1.0
	v_mul_f64 v[222:223], v[220:221], v[218:219]
	s_delay_alu instid0(VALU_DEP_1) | instskip(NEXT) | instid1(VALU_DEP_1)
	v_fma_f64 v[216:217], -v[216:217], v[222:223], v[220:221]
	v_div_fmas_f64 v[216:217], v[216:217], v[218:219], v[222:223]
	s_delay_alu instid0(VALU_DEP_1) | instskip(NEXT) | instid1(VALU_DEP_1)
	v_div_fixup_f64 v[228:229], v[216:217], v[214:215], 1.0
	v_mul_f64 v[230:231], v[212:213], -v[228:229]
.LBB112_1080:
	s_or_b32 exec_lo, exec_lo, s2
.LBB112_1081:
	s_delay_alu instid0(SALU_CYCLE_1) | instskip(NEXT) | instid1(SALU_CYCLE_1)
	s_or_b32 exec_lo, exec_lo, s3
	s_mov_b32 s2, exec_lo
	v_cmpx_ne_u32_e64 v244, v236
	s_xor_b32 s2, exec_lo, s2
	s_cbranch_execz .LBB112_1087
; %bb.1082:
	s_mov_b32 s3, exec_lo
	v_cmpx_eq_u32_e32 51, v244
	s_cbranch_execz .LBB112_1086
; %bb.1083:
	v_cmp_ne_u32_e32 vcc_lo, 51, v236
	s_xor_b32 s4, s5, -1
	s_delay_alu instid0(SALU_CYCLE_1) | instskip(NEXT) | instid1(SALU_CYCLE_1)
	s_and_b32 s6, s4, vcc_lo
	s_and_saveexec_b32 s4, s6
	s_cbranch_execz .LBB112_1085
; %bb.1084:
	scratch_load_b64 v[10:11], off, off     ; 8-byte Folded Reload
	v_ashrrev_i32_e32 v237, 31, v236
	s_delay_alu instid0(VALU_DEP_1) | instskip(SKIP_1) | instid1(VALU_DEP_1)
	v_lshlrev_b64 v[212:213], 2, v[236:237]
	s_waitcnt vmcnt(0)
	v_add_co_u32 v212, vcc_lo, v10, v212
	s_delay_alu instid0(VALU_DEP_2)
	v_add_co_ci_u32_e32 v213, vcc_lo, v11, v213, vcc_lo
	s_clause 0x1
	flat_load_b32 v214, v[212:213]
	flat_load_b32 v215, v[10:11] offset:204
	s_waitcnt vmcnt(1) lgkmcnt(1)
	flat_store_b32 v[10:11], v214 offset:204
	s_waitcnt vmcnt(0) lgkmcnt(1)
	flat_store_b32 v[212:213], v215
.LBB112_1085:
	s_or_b32 exec_lo, exec_lo, s4
	v_mov_b32_e32 v244, v236
	v_mov_b32_e32 v243, v236
.LBB112_1086:
	s_or_b32 exec_lo, exec_lo, s3
.LBB112_1087:
	s_and_not1_saveexec_b32 s2, s2
	s_cbranch_execz .LBB112_1089
; %bb.1088:
	v_mov_b32_e32 v244, 51
	ds_store_2addr_b64 v238, v[16:17], v[18:19] offset0:104 offset1:105
	ds_store_2addr_b64 v238, v[12:13], v[14:15] offset0:106 offset1:107
	;; [unrolled: 1-line block ×5, first 2 shown]
.LBB112_1089:
	s_or_b32 exec_lo, exec_lo, s2
	s_delay_alu instid0(SALU_CYCLE_1)
	s_mov_b32 s2, exec_lo
	s_waitcnt lgkmcnt(0)
	s_waitcnt_vscnt null, 0x0
	s_barrier
	buffer_gl0_inv
	v_cmpx_lt_i32_e32 51, v244
	s_cbranch_execz .LBB112_1091
; %bb.1090:
	v_mul_f64 v[212:213], v[228:229], v[22:23]
	v_mul_f64 v[22:23], v[230:231], v[22:23]
	s_delay_alu instid0(VALU_DEP_2) | instskip(NEXT) | instid1(VALU_DEP_2)
	v_fma_f64 v[212:213], v[230:231], v[20:21], v[212:213]
	v_fma_f64 v[20:21], v[228:229], v[20:21], -v[22:23]
	ds_load_2addr_b64 v[228:231], v238 offset0:104 offset1:105
	s_waitcnt lgkmcnt(0)
	v_mul_f64 v[22:23], v[230:231], v[212:213]
	v_mul_f64 v[214:215], v[228:229], v[212:213]
	s_delay_alu instid0(VALU_DEP_2) | instskip(NEXT) | instid1(VALU_DEP_2)
	v_fma_f64 v[22:23], v[228:229], v[20:21], -v[22:23]
	v_fma_f64 v[214:215], v[230:231], v[20:21], v[214:215]
	ds_load_2addr_b64 v[228:231], v238 offset0:106 offset1:107
	v_add_f64 v[16:17], v[16:17], -v[22:23]
	v_add_f64 v[18:19], v[18:19], -v[214:215]
	s_waitcnt lgkmcnt(0)
	v_mul_f64 v[22:23], v[230:231], v[212:213]
	v_mul_f64 v[214:215], v[228:229], v[212:213]
	s_delay_alu instid0(VALU_DEP_2) | instskip(NEXT) | instid1(VALU_DEP_2)
	v_fma_f64 v[22:23], v[228:229], v[20:21], -v[22:23]
	v_fma_f64 v[214:215], v[230:231], v[20:21], v[214:215]
	ds_load_2addr_b64 v[228:231], v238 offset0:108 offset1:109
	v_add_f64 v[12:13], v[12:13], -v[22:23]
	v_add_f64 v[14:15], v[14:15], -v[214:215]
	;; [unrolled: 9-line block ×4, first 2 shown]
	s_waitcnt lgkmcnt(0)
	v_mul_f64 v[22:23], v[230:231], v[212:213]
	v_mul_f64 v[214:215], v[228:229], v[212:213]
	s_delay_alu instid0(VALU_DEP_2) | instskip(NEXT) | instid1(VALU_DEP_2)
	v_fma_f64 v[22:23], v[228:229], v[20:21], -v[22:23]
	v_fma_f64 v[214:215], v[230:231], v[20:21], v[214:215]
	s_delay_alu instid0(VALU_DEP_2) | instskip(NEXT) | instid1(VALU_DEP_2)
	v_add_f64 v[0:1], v[0:1], -v[22:23]
	v_add_f64 v[2:3], v[2:3], -v[214:215]
	v_dual_mov_b32 v22, v212 :: v_dual_mov_b32 v23, v213
.LBB112_1091:
	s_or_b32 exec_lo, exec_lo, s2
	v_lshl_add_u32 v212, v244, 4, v238
	s_barrier
	buffer_gl0_inv
	v_mov_b32_e32 v236, 52
	ds_store_2addr_b64 v212, v[16:17], v[18:19] offset1:1
	s_waitcnt lgkmcnt(0)
	s_barrier
	buffer_gl0_inv
	ds_load_2addr_b64 v[228:231], v238 offset0:104 offset1:105
	s_cmp_lt_i32 s12, 54
	s_cbranch_scc1 .LBB112_1094
; %bb.1092:
	v_add3_u32 v237, v242, 0, 0x350
	v_mov_b32_e32 v236, 52
	s_mov_b32 s2, 53
	s_set_inst_prefetch_distance 0x1
	.p2align	6
.LBB112_1093:                           ; =>This Inner Loop Header: Depth=1
	s_waitcnt lgkmcnt(0)
	v_cmp_gt_f64_e32 vcc_lo, 0, v[228:229]
	v_xor_b32_e32 v212, 0x80000000, v229
	v_xor_b32_e32 v214, 0x80000000, v231
	ds_load_2addr_b64 v[245:248], v237 offset1:1
	v_add_nc_u32_e32 v237, 16, v237
	s_waitcnt lgkmcnt(0)
	v_xor_b32_e32 v216, 0x80000000, v248
	v_cndmask_b32_e32 v213, v229, v212, vcc_lo
	v_cndmask_b32_e32 v212, v228, v228, vcc_lo
	v_cmp_gt_f64_e32 vcc_lo, 0, v[230:231]
	v_cndmask_b32_e32 v215, v231, v214, vcc_lo
	v_cndmask_b32_e32 v214, v230, v230, vcc_lo
	v_cmp_gt_f64_e32 vcc_lo, 0, v[245:246]
	s_delay_alu instid0(VALU_DEP_2) | instskip(SKIP_1) | instid1(VALU_DEP_1)
	v_add_f64 v[212:213], v[212:213], v[214:215]
	v_xor_b32_e32 v214, 0x80000000, v246
	v_dual_cndmask_b32 v215, v246, v214 :: v_dual_mov_b32 v214, v245
	v_cmp_gt_f64_e32 vcc_lo, 0, v[247:248]
	v_dual_cndmask_b32 v217, v248, v216 :: v_dual_mov_b32 v216, v247
	s_delay_alu instid0(VALU_DEP_1) | instskip(NEXT) | instid1(VALU_DEP_1)
	v_add_f64 v[214:215], v[214:215], v[216:217]
	v_cmp_lt_f64_e32 vcc_lo, v[212:213], v[214:215]
	v_dual_cndmask_b32 v229, v229, v246 :: v_dual_cndmask_b32 v228, v228, v245
	v_dual_cndmask_b32 v231, v231, v248 :: v_dual_cndmask_b32 v230, v230, v247
	v_cndmask_b32_e64 v236, v236, s2, vcc_lo
	s_add_i32 s2, s2, 1
	s_delay_alu instid0(SALU_CYCLE_1)
	s_cmp_lg_u32 s12, s2
	s_cbranch_scc1 .LBB112_1093
.LBB112_1094:
	s_set_inst_prefetch_distance 0x2
	s_waitcnt lgkmcnt(0)
	v_cmp_eq_f64_e32 vcc_lo, 0, v[228:229]
	v_cmp_eq_f64_e64 s2, 0, v[230:231]
	s_delay_alu instid0(VALU_DEP_1) | instskip(NEXT) | instid1(SALU_CYCLE_1)
	s_and_b32 s2, vcc_lo, s2
	s_and_saveexec_b32 s3, s2
	s_delay_alu instid0(SALU_CYCLE_1)
	s_xor_b32 s2, exec_lo, s3
; %bb.1095:
	v_cmp_ne_u32_e32 vcc_lo, 0, v241
	v_cndmask_b32_e32 v241, 53, v241, vcc_lo
; %bb.1096:
	s_and_not1_saveexec_b32 s3, s2
	s_cbranch_execz .LBB112_1102
; %bb.1097:
	v_cmp_gt_f64_e32 vcc_lo, 0, v[228:229]
	v_cmp_gt_f64_e64 s2, 0, v[230:231]
	v_xor_b32_e32 v212, 0x80000000, v229
	v_xor_b32_e32 v214, 0x80000000, v231
	s_delay_alu instid0(VALU_DEP_2) | instskip(NEXT) | instid1(VALU_DEP_2)
	v_cndmask_b32_e32 v213, v229, v212, vcc_lo
	v_cndmask_b32_e64 v215, v231, v214, s2
	v_cndmask_b32_e32 v212, v228, v228, vcc_lo
	v_cndmask_b32_e64 v214, v230, v230, s2
	s_mov_b32 s2, exec_lo
	s_delay_alu instid0(VALU_DEP_1)
	v_cmpx_ngt_f64_e32 v[212:213], v[214:215]
	s_xor_b32 s2, exec_lo, s2
	s_cbranch_execz .LBB112_1099
; %bb.1098:
	v_div_scale_f64 v[212:213], null, v[230:231], v[230:231], v[228:229]
	v_div_scale_f64 v[218:219], vcc_lo, v[228:229], v[230:231], v[228:229]
	s_delay_alu instid0(VALU_DEP_2) | instskip(SKIP_2) | instid1(VALU_DEP_1)
	v_rcp_f64_e32 v[214:215], v[212:213]
	s_waitcnt_depctr 0xfff
	v_fma_f64 v[216:217], -v[212:213], v[214:215], 1.0
	v_fma_f64 v[214:215], v[214:215], v[216:217], v[214:215]
	s_delay_alu instid0(VALU_DEP_1) | instskip(NEXT) | instid1(VALU_DEP_1)
	v_fma_f64 v[216:217], -v[212:213], v[214:215], 1.0
	v_fma_f64 v[214:215], v[214:215], v[216:217], v[214:215]
	s_delay_alu instid0(VALU_DEP_1) | instskip(NEXT) | instid1(VALU_DEP_1)
	v_mul_f64 v[216:217], v[218:219], v[214:215]
	v_fma_f64 v[212:213], -v[212:213], v[216:217], v[218:219]
	s_delay_alu instid0(VALU_DEP_1) | instskip(NEXT) | instid1(VALU_DEP_1)
	v_div_fmas_f64 v[212:213], v[212:213], v[214:215], v[216:217]
	v_div_fixup_f64 v[212:213], v[212:213], v[230:231], v[228:229]
	s_delay_alu instid0(VALU_DEP_1) | instskip(NEXT) | instid1(VALU_DEP_1)
	v_fma_f64 v[214:215], v[228:229], v[212:213], v[230:231]
	v_div_scale_f64 v[216:217], null, v[214:215], v[214:215], 1.0
	s_delay_alu instid0(VALU_DEP_1) | instskip(SKIP_2) | instid1(VALU_DEP_1)
	v_rcp_f64_e32 v[218:219], v[216:217]
	s_waitcnt_depctr 0xfff
	v_fma_f64 v[220:221], -v[216:217], v[218:219], 1.0
	v_fma_f64 v[218:219], v[218:219], v[220:221], v[218:219]
	s_delay_alu instid0(VALU_DEP_1) | instskip(NEXT) | instid1(VALU_DEP_1)
	v_fma_f64 v[220:221], -v[216:217], v[218:219], 1.0
	v_fma_f64 v[218:219], v[218:219], v[220:221], v[218:219]
	v_div_scale_f64 v[220:221], vcc_lo, 1.0, v[214:215], 1.0
	s_delay_alu instid0(VALU_DEP_1) | instskip(NEXT) | instid1(VALU_DEP_1)
	v_mul_f64 v[222:223], v[220:221], v[218:219]
	v_fma_f64 v[216:217], -v[216:217], v[222:223], v[220:221]
	s_delay_alu instid0(VALU_DEP_1) | instskip(NEXT) | instid1(VALU_DEP_1)
	v_div_fmas_f64 v[216:217], v[216:217], v[218:219], v[222:223]
	v_div_fixup_f64 v[230:231], v[216:217], v[214:215], 1.0
	s_delay_alu instid0(VALU_DEP_1)
	v_mul_f64 v[228:229], v[212:213], v[230:231]
	v_xor_b32_e32 v231, 0x80000000, v231
.LBB112_1099:
	s_and_not1_saveexec_b32 s2, s2
	s_cbranch_execz .LBB112_1101
; %bb.1100:
	s_delay_alu instid0(VALU_DEP_1) | instskip(SKIP_1) | instid1(VALU_DEP_2)
	v_div_scale_f64 v[212:213], null, v[228:229], v[228:229], v[230:231]
	v_div_scale_f64 v[218:219], vcc_lo, v[230:231], v[228:229], v[230:231]
	v_rcp_f64_e32 v[214:215], v[212:213]
	s_waitcnt_depctr 0xfff
	v_fma_f64 v[216:217], -v[212:213], v[214:215], 1.0
	s_delay_alu instid0(VALU_DEP_1) | instskip(NEXT) | instid1(VALU_DEP_1)
	v_fma_f64 v[214:215], v[214:215], v[216:217], v[214:215]
	v_fma_f64 v[216:217], -v[212:213], v[214:215], 1.0
	s_delay_alu instid0(VALU_DEP_1) | instskip(NEXT) | instid1(VALU_DEP_1)
	v_fma_f64 v[214:215], v[214:215], v[216:217], v[214:215]
	v_mul_f64 v[216:217], v[218:219], v[214:215]
	s_delay_alu instid0(VALU_DEP_1) | instskip(NEXT) | instid1(VALU_DEP_1)
	v_fma_f64 v[212:213], -v[212:213], v[216:217], v[218:219]
	v_div_fmas_f64 v[212:213], v[212:213], v[214:215], v[216:217]
	s_delay_alu instid0(VALU_DEP_1) | instskip(NEXT) | instid1(VALU_DEP_1)
	v_div_fixup_f64 v[212:213], v[212:213], v[228:229], v[230:231]
	v_fma_f64 v[214:215], v[230:231], v[212:213], v[228:229]
	s_delay_alu instid0(VALU_DEP_1) | instskip(NEXT) | instid1(VALU_DEP_1)
	v_div_scale_f64 v[216:217], null, v[214:215], v[214:215], 1.0
	v_rcp_f64_e32 v[218:219], v[216:217]
	s_waitcnt_depctr 0xfff
	v_fma_f64 v[220:221], -v[216:217], v[218:219], 1.0
	s_delay_alu instid0(VALU_DEP_1) | instskip(NEXT) | instid1(VALU_DEP_1)
	v_fma_f64 v[218:219], v[218:219], v[220:221], v[218:219]
	v_fma_f64 v[220:221], -v[216:217], v[218:219], 1.0
	s_delay_alu instid0(VALU_DEP_1) | instskip(SKIP_1) | instid1(VALU_DEP_1)
	v_fma_f64 v[218:219], v[218:219], v[220:221], v[218:219]
	v_div_scale_f64 v[220:221], vcc_lo, 1.0, v[214:215], 1.0
	v_mul_f64 v[222:223], v[220:221], v[218:219]
	s_delay_alu instid0(VALU_DEP_1) | instskip(NEXT) | instid1(VALU_DEP_1)
	v_fma_f64 v[216:217], -v[216:217], v[222:223], v[220:221]
	v_div_fmas_f64 v[216:217], v[216:217], v[218:219], v[222:223]
	s_delay_alu instid0(VALU_DEP_1) | instskip(NEXT) | instid1(VALU_DEP_1)
	v_div_fixup_f64 v[228:229], v[216:217], v[214:215], 1.0
	v_mul_f64 v[230:231], v[212:213], -v[228:229]
.LBB112_1101:
	s_or_b32 exec_lo, exec_lo, s2
.LBB112_1102:
	s_delay_alu instid0(SALU_CYCLE_1) | instskip(NEXT) | instid1(SALU_CYCLE_1)
	s_or_b32 exec_lo, exec_lo, s3
	s_mov_b32 s2, exec_lo
	v_cmpx_ne_u32_e64 v244, v236
	s_xor_b32 s2, exec_lo, s2
	s_cbranch_execz .LBB112_1108
; %bb.1103:
	s_mov_b32 s3, exec_lo
	v_cmpx_eq_u32_e32 52, v244
	s_cbranch_execz .LBB112_1107
; %bb.1104:
	v_cmp_ne_u32_e32 vcc_lo, 52, v236
	s_xor_b32 s4, s5, -1
	s_delay_alu instid0(SALU_CYCLE_1) | instskip(NEXT) | instid1(SALU_CYCLE_1)
	s_and_b32 s6, s4, vcc_lo
	s_and_saveexec_b32 s4, s6
	s_cbranch_execz .LBB112_1106
; %bb.1105:
	scratch_load_b64 v[10:11], off, off     ; 8-byte Folded Reload
	v_ashrrev_i32_e32 v237, 31, v236
	s_delay_alu instid0(VALU_DEP_1) | instskip(SKIP_1) | instid1(VALU_DEP_1)
	v_lshlrev_b64 v[212:213], 2, v[236:237]
	s_waitcnt vmcnt(0)
	v_add_co_u32 v212, vcc_lo, v10, v212
	s_delay_alu instid0(VALU_DEP_2)
	v_add_co_ci_u32_e32 v213, vcc_lo, v11, v213, vcc_lo
	s_clause 0x1
	flat_load_b32 v214, v[212:213]
	flat_load_b32 v215, v[10:11] offset:208
	s_waitcnt vmcnt(1) lgkmcnt(1)
	flat_store_b32 v[10:11], v214 offset:208
	s_waitcnt vmcnt(0) lgkmcnt(1)
	flat_store_b32 v[212:213], v215
.LBB112_1106:
	s_or_b32 exec_lo, exec_lo, s4
	v_mov_b32_e32 v244, v236
	v_mov_b32_e32 v243, v236
.LBB112_1107:
	s_or_b32 exec_lo, exec_lo, s3
.LBB112_1108:
	s_and_not1_saveexec_b32 s2, s2
	s_cbranch_execz .LBB112_1110
; %bb.1109:
	v_mov_b32_e32 v244, 52
	ds_store_2addr_b64 v238, v[12:13], v[14:15] offset0:106 offset1:107
	ds_store_2addr_b64 v238, v[224:225], v[226:227] offset0:108 offset1:109
	;; [unrolled: 1-line block ×4, first 2 shown]
.LBB112_1110:
	s_or_b32 exec_lo, exec_lo, s2
	s_delay_alu instid0(SALU_CYCLE_1)
	s_mov_b32 s2, exec_lo
	s_waitcnt lgkmcnt(0)
	s_waitcnt_vscnt null, 0x0
	s_barrier
	buffer_gl0_inv
	v_cmpx_lt_i32_e32 52, v244
	s_cbranch_execz .LBB112_1112
; %bb.1111:
	v_mul_f64 v[212:213], v[228:229], v[18:19]
	v_mul_f64 v[18:19], v[230:231], v[18:19]
	s_delay_alu instid0(VALU_DEP_2) | instskip(NEXT) | instid1(VALU_DEP_2)
	v_fma_f64 v[212:213], v[230:231], v[16:17], v[212:213]
	v_fma_f64 v[16:17], v[228:229], v[16:17], -v[18:19]
	ds_load_2addr_b64 v[228:231], v238 offset0:106 offset1:107
	s_waitcnt lgkmcnt(0)
	v_mul_f64 v[18:19], v[230:231], v[212:213]
	v_mul_f64 v[214:215], v[228:229], v[212:213]
	s_delay_alu instid0(VALU_DEP_2) | instskip(NEXT) | instid1(VALU_DEP_2)
	v_fma_f64 v[18:19], v[228:229], v[16:17], -v[18:19]
	v_fma_f64 v[214:215], v[230:231], v[16:17], v[214:215]
	ds_load_2addr_b64 v[228:231], v238 offset0:108 offset1:109
	v_add_f64 v[12:13], v[12:13], -v[18:19]
	v_add_f64 v[14:15], v[14:15], -v[214:215]
	s_waitcnt lgkmcnt(0)
	v_mul_f64 v[18:19], v[230:231], v[212:213]
	v_mul_f64 v[214:215], v[228:229], v[212:213]
	s_delay_alu instid0(VALU_DEP_2) | instskip(NEXT) | instid1(VALU_DEP_2)
	v_fma_f64 v[18:19], v[228:229], v[16:17], -v[18:19]
	v_fma_f64 v[214:215], v[230:231], v[16:17], v[214:215]
	ds_load_2addr_b64 v[228:231], v238 offset0:110 offset1:111
	v_add_f64 v[224:225], v[224:225], -v[18:19]
	v_add_f64 v[226:227], v[226:227], -v[214:215]
	;; [unrolled: 9-line block ×3, first 2 shown]
	s_waitcnt lgkmcnt(0)
	v_mul_f64 v[18:19], v[230:231], v[212:213]
	v_mul_f64 v[214:215], v[228:229], v[212:213]
	s_delay_alu instid0(VALU_DEP_2) | instskip(NEXT) | instid1(VALU_DEP_2)
	v_fma_f64 v[18:19], v[228:229], v[16:17], -v[18:19]
	v_fma_f64 v[214:215], v[230:231], v[16:17], v[214:215]
	s_delay_alu instid0(VALU_DEP_2) | instskip(NEXT) | instid1(VALU_DEP_2)
	v_add_f64 v[0:1], v[0:1], -v[18:19]
	v_add_f64 v[2:3], v[2:3], -v[214:215]
	v_dual_mov_b32 v18, v212 :: v_dual_mov_b32 v19, v213
.LBB112_1112:
	s_or_b32 exec_lo, exec_lo, s2
	v_lshl_add_u32 v212, v244, 4, v238
	s_barrier
	buffer_gl0_inv
	v_mov_b32_e32 v236, 53
	ds_store_2addr_b64 v212, v[12:13], v[14:15] offset1:1
	s_waitcnt lgkmcnt(0)
	s_barrier
	buffer_gl0_inv
	ds_load_2addr_b64 v[228:231], v238 offset0:106 offset1:107
	s_cmp_lt_i32 s12, 55
	s_cbranch_scc1 .LBB112_1115
; %bb.1113:
	v_add3_u32 v237, v242, 0, 0x360
	v_mov_b32_e32 v236, 53
	s_mov_b32 s2, 54
	s_set_inst_prefetch_distance 0x1
	.p2align	6
.LBB112_1114:                           ; =>This Inner Loop Header: Depth=1
	s_waitcnt lgkmcnt(0)
	v_cmp_gt_f64_e32 vcc_lo, 0, v[228:229]
	v_xor_b32_e32 v212, 0x80000000, v229
	v_xor_b32_e32 v214, 0x80000000, v231
	ds_load_2addr_b64 v[245:248], v237 offset1:1
	v_add_nc_u32_e32 v237, 16, v237
	s_waitcnt lgkmcnt(0)
	v_xor_b32_e32 v216, 0x80000000, v248
	v_cndmask_b32_e32 v213, v229, v212, vcc_lo
	v_cndmask_b32_e32 v212, v228, v228, vcc_lo
	v_cmp_gt_f64_e32 vcc_lo, 0, v[230:231]
	v_cndmask_b32_e32 v215, v231, v214, vcc_lo
	v_cndmask_b32_e32 v214, v230, v230, vcc_lo
	v_cmp_gt_f64_e32 vcc_lo, 0, v[245:246]
	s_delay_alu instid0(VALU_DEP_2) | instskip(SKIP_1) | instid1(VALU_DEP_1)
	v_add_f64 v[212:213], v[212:213], v[214:215]
	v_xor_b32_e32 v214, 0x80000000, v246
	v_dual_cndmask_b32 v215, v246, v214 :: v_dual_mov_b32 v214, v245
	v_cmp_gt_f64_e32 vcc_lo, 0, v[247:248]
	v_dual_cndmask_b32 v217, v248, v216 :: v_dual_mov_b32 v216, v247
	s_delay_alu instid0(VALU_DEP_1) | instskip(NEXT) | instid1(VALU_DEP_1)
	v_add_f64 v[214:215], v[214:215], v[216:217]
	v_cmp_lt_f64_e32 vcc_lo, v[212:213], v[214:215]
	v_dual_cndmask_b32 v229, v229, v246 :: v_dual_cndmask_b32 v228, v228, v245
	v_dual_cndmask_b32 v231, v231, v248 :: v_dual_cndmask_b32 v230, v230, v247
	v_cndmask_b32_e64 v236, v236, s2, vcc_lo
	s_add_i32 s2, s2, 1
	s_delay_alu instid0(SALU_CYCLE_1)
	s_cmp_lg_u32 s12, s2
	s_cbranch_scc1 .LBB112_1114
.LBB112_1115:
	s_set_inst_prefetch_distance 0x2
	s_waitcnt lgkmcnt(0)
	v_cmp_eq_f64_e32 vcc_lo, 0, v[228:229]
	v_cmp_eq_f64_e64 s2, 0, v[230:231]
	s_delay_alu instid0(VALU_DEP_1) | instskip(NEXT) | instid1(SALU_CYCLE_1)
	s_and_b32 s2, vcc_lo, s2
	s_and_saveexec_b32 s3, s2
	s_delay_alu instid0(SALU_CYCLE_1)
	s_xor_b32 s2, exec_lo, s3
; %bb.1116:
	v_cmp_ne_u32_e32 vcc_lo, 0, v241
	v_cndmask_b32_e32 v241, 54, v241, vcc_lo
; %bb.1117:
	s_and_not1_saveexec_b32 s3, s2
	s_cbranch_execz .LBB112_1123
; %bb.1118:
	v_cmp_gt_f64_e32 vcc_lo, 0, v[228:229]
	v_cmp_gt_f64_e64 s2, 0, v[230:231]
	v_xor_b32_e32 v212, 0x80000000, v229
	v_xor_b32_e32 v214, 0x80000000, v231
	s_delay_alu instid0(VALU_DEP_2) | instskip(NEXT) | instid1(VALU_DEP_2)
	v_cndmask_b32_e32 v213, v229, v212, vcc_lo
	v_cndmask_b32_e64 v215, v231, v214, s2
	v_cndmask_b32_e32 v212, v228, v228, vcc_lo
	v_cndmask_b32_e64 v214, v230, v230, s2
	s_mov_b32 s2, exec_lo
	s_delay_alu instid0(VALU_DEP_1)
	v_cmpx_ngt_f64_e32 v[212:213], v[214:215]
	s_xor_b32 s2, exec_lo, s2
	s_cbranch_execz .LBB112_1120
; %bb.1119:
	v_div_scale_f64 v[212:213], null, v[230:231], v[230:231], v[228:229]
	v_div_scale_f64 v[218:219], vcc_lo, v[228:229], v[230:231], v[228:229]
	s_delay_alu instid0(VALU_DEP_2) | instskip(SKIP_2) | instid1(VALU_DEP_1)
	v_rcp_f64_e32 v[214:215], v[212:213]
	s_waitcnt_depctr 0xfff
	v_fma_f64 v[216:217], -v[212:213], v[214:215], 1.0
	v_fma_f64 v[214:215], v[214:215], v[216:217], v[214:215]
	s_delay_alu instid0(VALU_DEP_1) | instskip(NEXT) | instid1(VALU_DEP_1)
	v_fma_f64 v[216:217], -v[212:213], v[214:215], 1.0
	v_fma_f64 v[214:215], v[214:215], v[216:217], v[214:215]
	s_delay_alu instid0(VALU_DEP_1) | instskip(NEXT) | instid1(VALU_DEP_1)
	v_mul_f64 v[216:217], v[218:219], v[214:215]
	v_fma_f64 v[212:213], -v[212:213], v[216:217], v[218:219]
	s_delay_alu instid0(VALU_DEP_1) | instskip(NEXT) | instid1(VALU_DEP_1)
	v_div_fmas_f64 v[212:213], v[212:213], v[214:215], v[216:217]
	v_div_fixup_f64 v[212:213], v[212:213], v[230:231], v[228:229]
	s_delay_alu instid0(VALU_DEP_1) | instskip(NEXT) | instid1(VALU_DEP_1)
	v_fma_f64 v[214:215], v[228:229], v[212:213], v[230:231]
	v_div_scale_f64 v[216:217], null, v[214:215], v[214:215], 1.0
	s_delay_alu instid0(VALU_DEP_1) | instskip(SKIP_2) | instid1(VALU_DEP_1)
	v_rcp_f64_e32 v[218:219], v[216:217]
	s_waitcnt_depctr 0xfff
	v_fma_f64 v[220:221], -v[216:217], v[218:219], 1.0
	v_fma_f64 v[218:219], v[218:219], v[220:221], v[218:219]
	s_delay_alu instid0(VALU_DEP_1) | instskip(NEXT) | instid1(VALU_DEP_1)
	v_fma_f64 v[220:221], -v[216:217], v[218:219], 1.0
	v_fma_f64 v[218:219], v[218:219], v[220:221], v[218:219]
	v_div_scale_f64 v[220:221], vcc_lo, 1.0, v[214:215], 1.0
	s_delay_alu instid0(VALU_DEP_1) | instskip(NEXT) | instid1(VALU_DEP_1)
	v_mul_f64 v[222:223], v[220:221], v[218:219]
	v_fma_f64 v[216:217], -v[216:217], v[222:223], v[220:221]
	s_delay_alu instid0(VALU_DEP_1) | instskip(NEXT) | instid1(VALU_DEP_1)
	v_div_fmas_f64 v[216:217], v[216:217], v[218:219], v[222:223]
	v_div_fixup_f64 v[230:231], v[216:217], v[214:215], 1.0
	s_delay_alu instid0(VALU_DEP_1)
	v_mul_f64 v[228:229], v[212:213], v[230:231]
	v_xor_b32_e32 v231, 0x80000000, v231
.LBB112_1120:
	s_and_not1_saveexec_b32 s2, s2
	s_cbranch_execz .LBB112_1122
; %bb.1121:
	s_delay_alu instid0(VALU_DEP_1) | instskip(SKIP_1) | instid1(VALU_DEP_2)
	v_div_scale_f64 v[212:213], null, v[228:229], v[228:229], v[230:231]
	v_div_scale_f64 v[218:219], vcc_lo, v[230:231], v[228:229], v[230:231]
	v_rcp_f64_e32 v[214:215], v[212:213]
	s_waitcnt_depctr 0xfff
	v_fma_f64 v[216:217], -v[212:213], v[214:215], 1.0
	s_delay_alu instid0(VALU_DEP_1) | instskip(NEXT) | instid1(VALU_DEP_1)
	v_fma_f64 v[214:215], v[214:215], v[216:217], v[214:215]
	v_fma_f64 v[216:217], -v[212:213], v[214:215], 1.0
	s_delay_alu instid0(VALU_DEP_1) | instskip(NEXT) | instid1(VALU_DEP_1)
	v_fma_f64 v[214:215], v[214:215], v[216:217], v[214:215]
	v_mul_f64 v[216:217], v[218:219], v[214:215]
	s_delay_alu instid0(VALU_DEP_1) | instskip(NEXT) | instid1(VALU_DEP_1)
	v_fma_f64 v[212:213], -v[212:213], v[216:217], v[218:219]
	v_div_fmas_f64 v[212:213], v[212:213], v[214:215], v[216:217]
	s_delay_alu instid0(VALU_DEP_1) | instskip(NEXT) | instid1(VALU_DEP_1)
	v_div_fixup_f64 v[212:213], v[212:213], v[228:229], v[230:231]
	v_fma_f64 v[214:215], v[230:231], v[212:213], v[228:229]
	s_delay_alu instid0(VALU_DEP_1) | instskip(NEXT) | instid1(VALU_DEP_1)
	v_div_scale_f64 v[216:217], null, v[214:215], v[214:215], 1.0
	v_rcp_f64_e32 v[218:219], v[216:217]
	s_waitcnt_depctr 0xfff
	v_fma_f64 v[220:221], -v[216:217], v[218:219], 1.0
	s_delay_alu instid0(VALU_DEP_1) | instskip(NEXT) | instid1(VALU_DEP_1)
	v_fma_f64 v[218:219], v[218:219], v[220:221], v[218:219]
	v_fma_f64 v[220:221], -v[216:217], v[218:219], 1.0
	s_delay_alu instid0(VALU_DEP_1) | instskip(SKIP_1) | instid1(VALU_DEP_1)
	v_fma_f64 v[218:219], v[218:219], v[220:221], v[218:219]
	v_div_scale_f64 v[220:221], vcc_lo, 1.0, v[214:215], 1.0
	v_mul_f64 v[222:223], v[220:221], v[218:219]
	s_delay_alu instid0(VALU_DEP_1) | instskip(NEXT) | instid1(VALU_DEP_1)
	v_fma_f64 v[216:217], -v[216:217], v[222:223], v[220:221]
	v_div_fmas_f64 v[216:217], v[216:217], v[218:219], v[222:223]
	s_delay_alu instid0(VALU_DEP_1) | instskip(NEXT) | instid1(VALU_DEP_1)
	v_div_fixup_f64 v[228:229], v[216:217], v[214:215], 1.0
	v_mul_f64 v[230:231], v[212:213], -v[228:229]
.LBB112_1122:
	s_or_b32 exec_lo, exec_lo, s2
.LBB112_1123:
	s_delay_alu instid0(SALU_CYCLE_1) | instskip(NEXT) | instid1(SALU_CYCLE_1)
	s_or_b32 exec_lo, exec_lo, s3
	s_mov_b32 s2, exec_lo
	v_cmpx_ne_u32_e64 v244, v236
	s_xor_b32 s2, exec_lo, s2
	s_cbranch_execz .LBB112_1129
; %bb.1124:
	s_mov_b32 s3, exec_lo
	v_cmpx_eq_u32_e32 53, v244
	s_cbranch_execz .LBB112_1128
; %bb.1125:
	v_cmp_ne_u32_e32 vcc_lo, 53, v236
	s_xor_b32 s4, s5, -1
	s_delay_alu instid0(SALU_CYCLE_1) | instskip(NEXT) | instid1(SALU_CYCLE_1)
	s_and_b32 s6, s4, vcc_lo
	s_and_saveexec_b32 s4, s6
	s_cbranch_execz .LBB112_1127
; %bb.1126:
	scratch_load_b64 v[10:11], off, off     ; 8-byte Folded Reload
	v_ashrrev_i32_e32 v237, 31, v236
	s_delay_alu instid0(VALU_DEP_1) | instskip(SKIP_1) | instid1(VALU_DEP_1)
	v_lshlrev_b64 v[212:213], 2, v[236:237]
	s_waitcnt vmcnt(0)
	v_add_co_u32 v212, vcc_lo, v10, v212
	s_delay_alu instid0(VALU_DEP_2)
	v_add_co_ci_u32_e32 v213, vcc_lo, v11, v213, vcc_lo
	s_clause 0x1
	flat_load_b32 v214, v[212:213]
	flat_load_b32 v215, v[10:11] offset:212
	s_waitcnt vmcnt(1) lgkmcnt(1)
	flat_store_b32 v[10:11], v214 offset:212
	s_waitcnt vmcnt(0) lgkmcnt(1)
	flat_store_b32 v[212:213], v215
.LBB112_1127:
	s_or_b32 exec_lo, exec_lo, s4
	v_mov_b32_e32 v244, v236
	v_mov_b32_e32 v243, v236
.LBB112_1128:
	s_or_b32 exec_lo, exec_lo, s3
.LBB112_1129:
	s_and_not1_saveexec_b32 s2, s2
	s_cbranch_execz .LBB112_1131
; %bb.1130:
	v_mov_b32_e32 v244, 53
	ds_store_2addr_b64 v238, v[224:225], v[226:227] offset0:108 offset1:109
	ds_store_2addr_b64 v238, v[250:251], v[252:253] offset0:110 offset1:111
	ds_store_2addr_b64 v238, v[0:1], v[2:3] offset0:112 offset1:113
.LBB112_1131:
	s_or_b32 exec_lo, exec_lo, s2
	s_delay_alu instid0(SALU_CYCLE_1)
	s_mov_b32 s2, exec_lo
	s_waitcnt lgkmcnt(0)
	s_waitcnt_vscnt null, 0x0
	s_barrier
	buffer_gl0_inv
	v_cmpx_lt_i32_e32 53, v244
	s_cbranch_execz .LBB112_1133
; %bb.1132:
	v_mul_f64 v[212:213], v[228:229], v[14:15]
	v_mul_f64 v[14:15], v[230:231], v[14:15]
	s_delay_alu instid0(VALU_DEP_2) | instskip(NEXT) | instid1(VALU_DEP_2)
	v_fma_f64 v[212:213], v[230:231], v[12:13], v[212:213]
	v_fma_f64 v[12:13], v[228:229], v[12:13], -v[14:15]
	ds_load_2addr_b64 v[228:231], v238 offset0:108 offset1:109
	s_waitcnt lgkmcnt(0)
	v_mul_f64 v[14:15], v[230:231], v[212:213]
	v_mul_f64 v[214:215], v[228:229], v[212:213]
	s_delay_alu instid0(VALU_DEP_2) | instskip(NEXT) | instid1(VALU_DEP_2)
	v_fma_f64 v[14:15], v[228:229], v[12:13], -v[14:15]
	v_fma_f64 v[214:215], v[230:231], v[12:13], v[214:215]
	ds_load_2addr_b64 v[228:231], v238 offset0:110 offset1:111
	v_add_f64 v[224:225], v[224:225], -v[14:15]
	v_add_f64 v[226:227], v[226:227], -v[214:215]
	s_waitcnt lgkmcnt(0)
	v_mul_f64 v[14:15], v[230:231], v[212:213]
	v_mul_f64 v[214:215], v[228:229], v[212:213]
	s_delay_alu instid0(VALU_DEP_2) | instskip(NEXT) | instid1(VALU_DEP_2)
	v_fma_f64 v[14:15], v[228:229], v[12:13], -v[14:15]
	v_fma_f64 v[214:215], v[230:231], v[12:13], v[214:215]
	ds_load_2addr_b64 v[228:231], v238 offset0:112 offset1:113
	v_add_f64 v[250:251], v[250:251], -v[14:15]
	v_add_f64 v[252:253], v[252:253], -v[214:215]
	s_waitcnt lgkmcnt(0)
	v_mul_f64 v[14:15], v[230:231], v[212:213]
	v_mul_f64 v[214:215], v[228:229], v[212:213]
	s_delay_alu instid0(VALU_DEP_2) | instskip(NEXT) | instid1(VALU_DEP_2)
	v_fma_f64 v[14:15], v[228:229], v[12:13], -v[14:15]
	v_fma_f64 v[214:215], v[230:231], v[12:13], v[214:215]
	s_delay_alu instid0(VALU_DEP_2) | instskip(NEXT) | instid1(VALU_DEP_2)
	v_add_f64 v[0:1], v[0:1], -v[14:15]
	v_add_f64 v[2:3], v[2:3], -v[214:215]
	v_dual_mov_b32 v14, v212 :: v_dual_mov_b32 v15, v213
.LBB112_1133:
	s_or_b32 exec_lo, exec_lo, s2
	v_lshl_add_u32 v212, v244, 4, v238
	s_barrier
	buffer_gl0_inv
	v_mov_b32_e32 v236, 54
	ds_store_2addr_b64 v212, v[224:225], v[226:227] offset1:1
	s_waitcnt lgkmcnt(0)
	s_barrier
	buffer_gl0_inv
	ds_load_2addr_b64 v[228:231], v238 offset0:108 offset1:109
	s_cmp_lt_i32 s12, 56
	s_cbranch_scc1 .LBB112_1136
; %bb.1134:
	v_add3_u32 v237, v242, 0, 0x370
	v_mov_b32_e32 v236, 54
	s_mov_b32 s2, 55
	s_set_inst_prefetch_distance 0x1
	.p2align	6
.LBB112_1135:                           ; =>This Inner Loop Header: Depth=1
	s_waitcnt lgkmcnt(0)
	v_cmp_gt_f64_e32 vcc_lo, 0, v[228:229]
	v_xor_b32_e32 v212, 0x80000000, v229
	v_xor_b32_e32 v214, 0x80000000, v231
	ds_load_2addr_b64 v[245:248], v237 offset1:1
	v_add_nc_u32_e32 v237, 16, v237
	s_waitcnt lgkmcnt(0)
	v_xor_b32_e32 v216, 0x80000000, v248
	v_cndmask_b32_e32 v213, v229, v212, vcc_lo
	v_cndmask_b32_e32 v212, v228, v228, vcc_lo
	v_cmp_gt_f64_e32 vcc_lo, 0, v[230:231]
	v_cndmask_b32_e32 v215, v231, v214, vcc_lo
	v_cndmask_b32_e32 v214, v230, v230, vcc_lo
	v_cmp_gt_f64_e32 vcc_lo, 0, v[245:246]
	s_delay_alu instid0(VALU_DEP_2) | instskip(SKIP_1) | instid1(VALU_DEP_1)
	v_add_f64 v[212:213], v[212:213], v[214:215]
	v_xor_b32_e32 v214, 0x80000000, v246
	v_dual_cndmask_b32 v215, v246, v214 :: v_dual_mov_b32 v214, v245
	v_cmp_gt_f64_e32 vcc_lo, 0, v[247:248]
	v_dual_cndmask_b32 v217, v248, v216 :: v_dual_mov_b32 v216, v247
	s_delay_alu instid0(VALU_DEP_1) | instskip(NEXT) | instid1(VALU_DEP_1)
	v_add_f64 v[214:215], v[214:215], v[216:217]
	v_cmp_lt_f64_e32 vcc_lo, v[212:213], v[214:215]
	v_dual_cndmask_b32 v229, v229, v246 :: v_dual_cndmask_b32 v228, v228, v245
	v_dual_cndmask_b32 v231, v231, v248 :: v_dual_cndmask_b32 v230, v230, v247
	v_cndmask_b32_e64 v236, v236, s2, vcc_lo
	s_add_i32 s2, s2, 1
	s_delay_alu instid0(SALU_CYCLE_1)
	s_cmp_lg_u32 s12, s2
	s_cbranch_scc1 .LBB112_1135
.LBB112_1136:
	s_set_inst_prefetch_distance 0x2
	s_waitcnt lgkmcnt(0)
	v_cmp_eq_f64_e32 vcc_lo, 0, v[228:229]
	v_cmp_eq_f64_e64 s2, 0, v[230:231]
	s_delay_alu instid0(VALU_DEP_1) | instskip(NEXT) | instid1(SALU_CYCLE_1)
	s_and_b32 s2, vcc_lo, s2
	s_and_saveexec_b32 s3, s2
	s_delay_alu instid0(SALU_CYCLE_1)
	s_xor_b32 s2, exec_lo, s3
; %bb.1137:
	v_cmp_ne_u32_e32 vcc_lo, 0, v241
	v_cndmask_b32_e32 v241, 55, v241, vcc_lo
; %bb.1138:
	s_and_not1_saveexec_b32 s3, s2
	s_cbranch_execz .LBB112_1144
; %bb.1139:
	v_cmp_gt_f64_e32 vcc_lo, 0, v[228:229]
	v_cmp_gt_f64_e64 s2, 0, v[230:231]
	v_xor_b32_e32 v212, 0x80000000, v229
	v_xor_b32_e32 v214, 0x80000000, v231
	s_delay_alu instid0(VALU_DEP_2) | instskip(NEXT) | instid1(VALU_DEP_2)
	v_cndmask_b32_e32 v213, v229, v212, vcc_lo
	v_cndmask_b32_e64 v215, v231, v214, s2
	v_cndmask_b32_e32 v212, v228, v228, vcc_lo
	v_cndmask_b32_e64 v214, v230, v230, s2
	s_mov_b32 s2, exec_lo
	s_delay_alu instid0(VALU_DEP_1)
	v_cmpx_ngt_f64_e32 v[212:213], v[214:215]
	s_xor_b32 s2, exec_lo, s2
	s_cbranch_execz .LBB112_1141
; %bb.1140:
	v_div_scale_f64 v[212:213], null, v[230:231], v[230:231], v[228:229]
	v_div_scale_f64 v[218:219], vcc_lo, v[228:229], v[230:231], v[228:229]
	s_delay_alu instid0(VALU_DEP_2) | instskip(SKIP_2) | instid1(VALU_DEP_1)
	v_rcp_f64_e32 v[214:215], v[212:213]
	s_waitcnt_depctr 0xfff
	v_fma_f64 v[216:217], -v[212:213], v[214:215], 1.0
	v_fma_f64 v[214:215], v[214:215], v[216:217], v[214:215]
	s_delay_alu instid0(VALU_DEP_1) | instskip(NEXT) | instid1(VALU_DEP_1)
	v_fma_f64 v[216:217], -v[212:213], v[214:215], 1.0
	v_fma_f64 v[214:215], v[214:215], v[216:217], v[214:215]
	s_delay_alu instid0(VALU_DEP_1) | instskip(NEXT) | instid1(VALU_DEP_1)
	v_mul_f64 v[216:217], v[218:219], v[214:215]
	v_fma_f64 v[212:213], -v[212:213], v[216:217], v[218:219]
	s_delay_alu instid0(VALU_DEP_1) | instskip(NEXT) | instid1(VALU_DEP_1)
	v_div_fmas_f64 v[212:213], v[212:213], v[214:215], v[216:217]
	v_div_fixup_f64 v[212:213], v[212:213], v[230:231], v[228:229]
	s_delay_alu instid0(VALU_DEP_1) | instskip(NEXT) | instid1(VALU_DEP_1)
	v_fma_f64 v[214:215], v[228:229], v[212:213], v[230:231]
	v_div_scale_f64 v[216:217], null, v[214:215], v[214:215], 1.0
	s_delay_alu instid0(VALU_DEP_1) | instskip(SKIP_2) | instid1(VALU_DEP_1)
	v_rcp_f64_e32 v[218:219], v[216:217]
	s_waitcnt_depctr 0xfff
	v_fma_f64 v[220:221], -v[216:217], v[218:219], 1.0
	v_fma_f64 v[218:219], v[218:219], v[220:221], v[218:219]
	s_delay_alu instid0(VALU_DEP_1) | instskip(NEXT) | instid1(VALU_DEP_1)
	v_fma_f64 v[220:221], -v[216:217], v[218:219], 1.0
	v_fma_f64 v[218:219], v[218:219], v[220:221], v[218:219]
	v_div_scale_f64 v[220:221], vcc_lo, 1.0, v[214:215], 1.0
	s_delay_alu instid0(VALU_DEP_1) | instskip(NEXT) | instid1(VALU_DEP_1)
	v_mul_f64 v[222:223], v[220:221], v[218:219]
	v_fma_f64 v[216:217], -v[216:217], v[222:223], v[220:221]
	s_delay_alu instid0(VALU_DEP_1) | instskip(NEXT) | instid1(VALU_DEP_1)
	v_div_fmas_f64 v[216:217], v[216:217], v[218:219], v[222:223]
	v_div_fixup_f64 v[230:231], v[216:217], v[214:215], 1.0
	s_delay_alu instid0(VALU_DEP_1)
	v_mul_f64 v[228:229], v[212:213], v[230:231]
	v_xor_b32_e32 v231, 0x80000000, v231
.LBB112_1141:
	s_and_not1_saveexec_b32 s2, s2
	s_cbranch_execz .LBB112_1143
; %bb.1142:
	s_delay_alu instid0(VALU_DEP_1) | instskip(SKIP_1) | instid1(VALU_DEP_2)
	v_div_scale_f64 v[212:213], null, v[228:229], v[228:229], v[230:231]
	v_div_scale_f64 v[218:219], vcc_lo, v[230:231], v[228:229], v[230:231]
	v_rcp_f64_e32 v[214:215], v[212:213]
	s_waitcnt_depctr 0xfff
	v_fma_f64 v[216:217], -v[212:213], v[214:215], 1.0
	s_delay_alu instid0(VALU_DEP_1) | instskip(NEXT) | instid1(VALU_DEP_1)
	v_fma_f64 v[214:215], v[214:215], v[216:217], v[214:215]
	v_fma_f64 v[216:217], -v[212:213], v[214:215], 1.0
	s_delay_alu instid0(VALU_DEP_1) | instskip(NEXT) | instid1(VALU_DEP_1)
	v_fma_f64 v[214:215], v[214:215], v[216:217], v[214:215]
	v_mul_f64 v[216:217], v[218:219], v[214:215]
	s_delay_alu instid0(VALU_DEP_1) | instskip(NEXT) | instid1(VALU_DEP_1)
	v_fma_f64 v[212:213], -v[212:213], v[216:217], v[218:219]
	v_div_fmas_f64 v[212:213], v[212:213], v[214:215], v[216:217]
	s_delay_alu instid0(VALU_DEP_1) | instskip(NEXT) | instid1(VALU_DEP_1)
	v_div_fixup_f64 v[212:213], v[212:213], v[228:229], v[230:231]
	v_fma_f64 v[214:215], v[230:231], v[212:213], v[228:229]
	s_delay_alu instid0(VALU_DEP_1) | instskip(NEXT) | instid1(VALU_DEP_1)
	v_div_scale_f64 v[216:217], null, v[214:215], v[214:215], 1.0
	v_rcp_f64_e32 v[218:219], v[216:217]
	s_waitcnt_depctr 0xfff
	v_fma_f64 v[220:221], -v[216:217], v[218:219], 1.0
	s_delay_alu instid0(VALU_DEP_1) | instskip(NEXT) | instid1(VALU_DEP_1)
	v_fma_f64 v[218:219], v[218:219], v[220:221], v[218:219]
	v_fma_f64 v[220:221], -v[216:217], v[218:219], 1.0
	s_delay_alu instid0(VALU_DEP_1) | instskip(SKIP_1) | instid1(VALU_DEP_1)
	v_fma_f64 v[218:219], v[218:219], v[220:221], v[218:219]
	v_div_scale_f64 v[220:221], vcc_lo, 1.0, v[214:215], 1.0
	v_mul_f64 v[222:223], v[220:221], v[218:219]
	s_delay_alu instid0(VALU_DEP_1) | instskip(NEXT) | instid1(VALU_DEP_1)
	v_fma_f64 v[216:217], -v[216:217], v[222:223], v[220:221]
	v_div_fmas_f64 v[216:217], v[216:217], v[218:219], v[222:223]
	s_delay_alu instid0(VALU_DEP_1) | instskip(NEXT) | instid1(VALU_DEP_1)
	v_div_fixup_f64 v[228:229], v[216:217], v[214:215], 1.0
	v_mul_f64 v[230:231], v[212:213], -v[228:229]
.LBB112_1143:
	s_or_b32 exec_lo, exec_lo, s2
.LBB112_1144:
	s_delay_alu instid0(SALU_CYCLE_1) | instskip(NEXT) | instid1(SALU_CYCLE_1)
	s_or_b32 exec_lo, exec_lo, s3
	s_mov_b32 s2, exec_lo
	v_cmpx_ne_u32_e64 v244, v236
	s_xor_b32 s2, exec_lo, s2
	s_cbranch_execz .LBB112_1150
; %bb.1145:
	s_mov_b32 s3, exec_lo
	v_cmpx_eq_u32_e32 54, v244
	s_cbranch_execz .LBB112_1149
; %bb.1146:
	v_cmp_ne_u32_e32 vcc_lo, 54, v236
	s_xor_b32 s4, s5, -1
	s_delay_alu instid0(SALU_CYCLE_1) | instskip(NEXT) | instid1(SALU_CYCLE_1)
	s_and_b32 s6, s4, vcc_lo
	s_and_saveexec_b32 s4, s6
	s_cbranch_execz .LBB112_1148
; %bb.1147:
	scratch_load_b64 v[10:11], off, off     ; 8-byte Folded Reload
	v_ashrrev_i32_e32 v237, 31, v236
	s_delay_alu instid0(VALU_DEP_1) | instskip(SKIP_1) | instid1(VALU_DEP_1)
	v_lshlrev_b64 v[212:213], 2, v[236:237]
	s_waitcnt vmcnt(0)
	v_add_co_u32 v212, vcc_lo, v10, v212
	s_delay_alu instid0(VALU_DEP_2)
	v_add_co_ci_u32_e32 v213, vcc_lo, v11, v213, vcc_lo
	s_clause 0x1
	flat_load_b32 v214, v[212:213]
	flat_load_b32 v215, v[10:11] offset:216
	s_waitcnt vmcnt(1) lgkmcnt(1)
	flat_store_b32 v[10:11], v214 offset:216
	s_waitcnt vmcnt(0) lgkmcnt(1)
	flat_store_b32 v[212:213], v215
.LBB112_1148:
	s_or_b32 exec_lo, exec_lo, s4
	v_mov_b32_e32 v244, v236
	v_mov_b32_e32 v243, v236
.LBB112_1149:
	s_or_b32 exec_lo, exec_lo, s3
.LBB112_1150:
	s_and_not1_saveexec_b32 s2, s2
	s_cbranch_execz .LBB112_1152
; %bb.1151:
	v_mov_b32_e32 v244, 54
	ds_store_2addr_b64 v238, v[250:251], v[252:253] offset0:110 offset1:111
	ds_store_2addr_b64 v238, v[0:1], v[2:3] offset0:112 offset1:113
.LBB112_1152:
	s_or_b32 exec_lo, exec_lo, s2
	s_delay_alu instid0(SALU_CYCLE_1)
	s_mov_b32 s2, exec_lo
	s_waitcnt lgkmcnt(0)
	s_waitcnt_vscnt null, 0x0
	s_barrier
	buffer_gl0_inv
	v_cmpx_lt_i32_e32 54, v244
	s_cbranch_execz .LBB112_1154
; %bb.1153:
	v_mul_f64 v[212:213], v[228:229], v[226:227]
	v_mul_f64 v[10:11], v[230:231], v[226:227]
	s_delay_alu instid0(VALU_DEP_2) | instskip(NEXT) | instid1(VALU_DEP_2)
	v_fma_f64 v[212:213], v[230:231], v[224:225], v[212:213]
	v_fma_f64 v[224:225], v[228:229], v[224:225], -v[10:11]
	ds_load_2addr_b64 v[228:231], v238 offset0:110 offset1:111
	s_waitcnt lgkmcnt(0)
	v_mul_f64 v[10:11], v[230:231], v[212:213]
	v_mul_f64 v[214:215], v[228:229], v[212:213]
	v_dual_mov_b32 v227, v213 :: v_dual_mov_b32 v226, v212
	s_delay_alu instid0(VALU_DEP_3) | instskip(NEXT) | instid1(VALU_DEP_3)
	v_fma_f64 v[10:11], v[228:229], v[224:225], -v[10:11]
	v_fma_f64 v[214:215], v[230:231], v[224:225], v[214:215]
	ds_load_2addr_b64 v[228:231], v238 offset0:112 offset1:113
	v_add_f64 v[250:251], v[250:251], -v[10:11]
	v_add_f64 v[252:253], v[252:253], -v[214:215]
	s_waitcnt lgkmcnt(0)
	v_mul_f64 v[10:11], v[230:231], v[212:213]
	v_mul_f64 v[214:215], v[228:229], v[212:213]
	s_delay_alu instid0(VALU_DEP_2) | instskip(NEXT) | instid1(VALU_DEP_2)
	v_fma_f64 v[10:11], v[228:229], v[224:225], -v[10:11]
	v_fma_f64 v[214:215], v[230:231], v[224:225], v[214:215]
	s_delay_alu instid0(VALU_DEP_2) | instskip(NEXT) | instid1(VALU_DEP_2)
	v_add_f64 v[0:1], v[0:1], -v[10:11]
	v_add_f64 v[2:3], v[2:3], -v[214:215]
.LBB112_1154:
	s_or_b32 exec_lo, exec_lo, s2
	v_lshl_add_u32 v212, v244, 4, v238
	s_barrier
	buffer_gl0_inv
	v_mov_b32_e32 v236, 55
	ds_store_2addr_b64 v212, v[250:251], v[252:253] offset1:1
	s_waitcnt lgkmcnt(0)
	s_barrier
	buffer_gl0_inv
	ds_load_2addr_b64 v[228:231], v238 offset0:110 offset1:111
	s_cmp_lt_i32 s12, 57
	s_cbranch_scc1 .LBB112_1157
; %bb.1155:
	v_add3_u32 v237, v242, 0, 0x380
	v_mov_b32_e32 v236, 55
	s_mov_b32 s2, 56
	s_set_inst_prefetch_distance 0x1
	.p2align	6
.LBB112_1156:                           ; =>This Inner Loop Header: Depth=1
	s_waitcnt lgkmcnt(0)
	v_cmp_gt_f64_e32 vcc_lo, 0, v[228:229]
	v_xor_b32_e32 v212, 0x80000000, v229
	v_xor_b32_e32 v214, 0x80000000, v231
	ds_load_2addr_b64 v[245:248], v237 offset1:1
	v_add_nc_u32_e32 v237, 16, v237
	s_waitcnt lgkmcnt(0)
	v_xor_b32_e32 v216, 0x80000000, v248
	v_cndmask_b32_e32 v213, v229, v212, vcc_lo
	v_cndmask_b32_e32 v212, v228, v228, vcc_lo
	v_cmp_gt_f64_e32 vcc_lo, 0, v[230:231]
	v_cndmask_b32_e32 v215, v231, v214, vcc_lo
	v_cndmask_b32_e32 v214, v230, v230, vcc_lo
	v_cmp_gt_f64_e32 vcc_lo, 0, v[245:246]
	s_delay_alu instid0(VALU_DEP_2) | instskip(SKIP_1) | instid1(VALU_DEP_1)
	v_add_f64 v[212:213], v[212:213], v[214:215]
	v_xor_b32_e32 v214, 0x80000000, v246
	v_dual_cndmask_b32 v215, v246, v214 :: v_dual_mov_b32 v214, v245
	v_cmp_gt_f64_e32 vcc_lo, 0, v[247:248]
	v_dual_cndmask_b32 v217, v248, v216 :: v_dual_mov_b32 v216, v247
	s_delay_alu instid0(VALU_DEP_1) | instskip(NEXT) | instid1(VALU_DEP_1)
	v_add_f64 v[214:215], v[214:215], v[216:217]
	v_cmp_lt_f64_e32 vcc_lo, v[212:213], v[214:215]
	v_dual_cndmask_b32 v229, v229, v246 :: v_dual_cndmask_b32 v228, v228, v245
	v_dual_cndmask_b32 v231, v231, v248 :: v_dual_cndmask_b32 v230, v230, v247
	v_cndmask_b32_e64 v236, v236, s2, vcc_lo
	s_add_i32 s2, s2, 1
	s_delay_alu instid0(SALU_CYCLE_1)
	s_cmp_lg_u32 s12, s2
	s_cbranch_scc1 .LBB112_1156
.LBB112_1157:
	s_set_inst_prefetch_distance 0x2
	s_waitcnt lgkmcnt(0)
	v_cmp_eq_f64_e32 vcc_lo, 0, v[228:229]
	v_cmp_eq_f64_e64 s2, 0, v[230:231]
	s_delay_alu instid0(VALU_DEP_1) | instskip(NEXT) | instid1(SALU_CYCLE_1)
	s_and_b32 s2, vcc_lo, s2
	s_and_saveexec_b32 s3, s2
	s_delay_alu instid0(SALU_CYCLE_1)
	s_xor_b32 s2, exec_lo, s3
; %bb.1158:
	v_cmp_ne_u32_e32 vcc_lo, 0, v241
	v_cndmask_b32_e32 v241, 56, v241, vcc_lo
; %bb.1159:
	s_and_not1_saveexec_b32 s3, s2
	s_cbranch_execz .LBB112_1165
; %bb.1160:
	v_cmp_gt_f64_e32 vcc_lo, 0, v[228:229]
	v_cmp_gt_f64_e64 s2, 0, v[230:231]
	v_xor_b32_e32 v212, 0x80000000, v229
	v_xor_b32_e32 v214, 0x80000000, v231
	s_delay_alu instid0(VALU_DEP_2) | instskip(NEXT) | instid1(VALU_DEP_2)
	v_cndmask_b32_e32 v213, v229, v212, vcc_lo
	v_cndmask_b32_e64 v215, v231, v214, s2
	v_cndmask_b32_e32 v212, v228, v228, vcc_lo
	v_cndmask_b32_e64 v214, v230, v230, s2
	s_mov_b32 s2, exec_lo
	s_delay_alu instid0(VALU_DEP_1)
	v_cmpx_ngt_f64_e32 v[212:213], v[214:215]
	s_xor_b32 s2, exec_lo, s2
	s_cbranch_execz .LBB112_1162
; %bb.1161:
	v_div_scale_f64 v[212:213], null, v[230:231], v[230:231], v[228:229]
	v_div_scale_f64 v[218:219], vcc_lo, v[228:229], v[230:231], v[228:229]
	s_delay_alu instid0(VALU_DEP_2) | instskip(SKIP_2) | instid1(VALU_DEP_1)
	v_rcp_f64_e32 v[214:215], v[212:213]
	s_waitcnt_depctr 0xfff
	v_fma_f64 v[216:217], -v[212:213], v[214:215], 1.0
	v_fma_f64 v[214:215], v[214:215], v[216:217], v[214:215]
	s_delay_alu instid0(VALU_DEP_1) | instskip(NEXT) | instid1(VALU_DEP_1)
	v_fma_f64 v[216:217], -v[212:213], v[214:215], 1.0
	v_fma_f64 v[214:215], v[214:215], v[216:217], v[214:215]
	s_delay_alu instid0(VALU_DEP_1) | instskip(NEXT) | instid1(VALU_DEP_1)
	v_mul_f64 v[216:217], v[218:219], v[214:215]
	v_fma_f64 v[212:213], -v[212:213], v[216:217], v[218:219]
	s_delay_alu instid0(VALU_DEP_1) | instskip(NEXT) | instid1(VALU_DEP_1)
	v_div_fmas_f64 v[212:213], v[212:213], v[214:215], v[216:217]
	v_div_fixup_f64 v[212:213], v[212:213], v[230:231], v[228:229]
	s_delay_alu instid0(VALU_DEP_1) | instskip(NEXT) | instid1(VALU_DEP_1)
	v_fma_f64 v[214:215], v[228:229], v[212:213], v[230:231]
	v_div_scale_f64 v[216:217], null, v[214:215], v[214:215], 1.0
	s_delay_alu instid0(VALU_DEP_1) | instskip(SKIP_2) | instid1(VALU_DEP_1)
	v_rcp_f64_e32 v[218:219], v[216:217]
	s_waitcnt_depctr 0xfff
	v_fma_f64 v[220:221], -v[216:217], v[218:219], 1.0
	v_fma_f64 v[218:219], v[218:219], v[220:221], v[218:219]
	s_delay_alu instid0(VALU_DEP_1) | instskip(NEXT) | instid1(VALU_DEP_1)
	v_fma_f64 v[220:221], -v[216:217], v[218:219], 1.0
	v_fma_f64 v[218:219], v[218:219], v[220:221], v[218:219]
	v_div_scale_f64 v[220:221], vcc_lo, 1.0, v[214:215], 1.0
	s_delay_alu instid0(VALU_DEP_1) | instskip(NEXT) | instid1(VALU_DEP_1)
	v_mul_f64 v[222:223], v[220:221], v[218:219]
	v_fma_f64 v[216:217], -v[216:217], v[222:223], v[220:221]
	s_delay_alu instid0(VALU_DEP_1) | instskip(NEXT) | instid1(VALU_DEP_1)
	v_div_fmas_f64 v[216:217], v[216:217], v[218:219], v[222:223]
	v_div_fixup_f64 v[230:231], v[216:217], v[214:215], 1.0
	s_delay_alu instid0(VALU_DEP_1)
	v_mul_f64 v[228:229], v[212:213], v[230:231]
	v_xor_b32_e32 v231, 0x80000000, v231
.LBB112_1162:
	s_and_not1_saveexec_b32 s2, s2
	s_cbranch_execz .LBB112_1164
; %bb.1163:
	s_delay_alu instid0(VALU_DEP_1) | instskip(SKIP_1) | instid1(VALU_DEP_2)
	v_div_scale_f64 v[212:213], null, v[228:229], v[228:229], v[230:231]
	v_div_scale_f64 v[218:219], vcc_lo, v[230:231], v[228:229], v[230:231]
	v_rcp_f64_e32 v[214:215], v[212:213]
	s_waitcnt_depctr 0xfff
	v_fma_f64 v[216:217], -v[212:213], v[214:215], 1.0
	s_delay_alu instid0(VALU_DEP_1) | instskip(NEXT) | instid1(VALU_DEP_1)
	v_fma_f64 v[214:215], v[214:215], v[216:217], v[214:215]
	v_fma_f64 v[216:217], -v[212:213], v[214:215], 1.0
	s_delay_alu instid0(VALU_DEP_1) | instskip(NEXT) | instid1(VALU_DEP_1)
	v_fma_f64 v[214:215], v[214:215], v[216:217], v[214:215]
	v_mul_f64 v[216:217], v[218:219], v[214:215]
	s_delay_alu instid0(VALU_DEP_1) | instskip(NEXT) | instid1(VALU_DEP_1)
	v_fma_f64 v[212:213], -v[212:213], v[216:217], v[218:219]
	v_div_fmas_f64 v[212:213], v[212:213], v[214:215], v[216:217]
	s_delay_alu instid0(VALU_DEP_1) | instskip(NEXT) | instid1(VALU_DEP_1)
	v_div_fixup_f64 v[212:213], v[212:213], v[228:229], v[230:231]
	v_fma_f64 v[214:215], v[230:231], v[212:213], v[228:229]
	s_delay_alu instid0(VALU_DEP_1) | instskip(NEXT) | instid1(VALU_DEP_1)
	v_div_scale_f64 v[216:217], null, v[214:215], v[214:215], 1.0
	v_rcp_f64_e32 v[218:219], v[216:217]
	s_waitcnt_depctr 0xfff
	v_fma_f64 v[220:221], -v[216:217], v[218:219], 1.0
	s_delay_alu instid0(VALU_DEP_1) | instskip(NEXT) | instid1(VALU_DEP_1)
	v_fma_f64 v[218:219], v[218:219], v[220:221], v[218:219]
	v_fma_f64 v[220:221], -v[216:217], v[218:219], 1.0
	s_delay_alu instid0(VALU_DEP_1) | instskip(SKIP_1) | instid1(VALU_DEP_1)
	v_fma_f64 v[218:219], v[218:219], v[220:221], v[218:219]
	v_div_scale_f64 v[220:221], vcc_lo, 1.0, v[214:215], 1.0
	v_mul_f64 v[222:223], v[220:221], v[218:219]
	s_delay_alu instid0(VALU_DEP_1) | instskip(NEXT) | instid1(VALU_DEP_1)
	v_fma_f64 v[216:217], -v[216:217], v[222:223], v[220:221]
	v_div_fmas_f64 v[216:217], v[216:217], v[218:219], v[222:223]
	s_delay_alu instid0(VALU_DEP_1) | instskip(NEXT) | instid1(VALU_DEP_1)
	v_div_fixup_f64 v[228:229], v[216:217], v[214:215], 1.0
	v_mul_f64 v[230:231], v[212:213], -v[228:229]
.LBB112_1164:
	s_or_b32 exec_lo, exec_lo, s2
.LBB112_1165:
	s_delay_alu instid0(SALU_CYCLE_1) | instskip(NEXT) | instid1(SALU_CYCLE_1)
	s_or_b32 exec_lo, exec_lo, s3
	s_mov_b32 s2, exec_lo
	v_cmpx_ne_u32_e64 v244, v236
	s_xor_b32 s2, exec_lo, s2
	s_cbranch_execz .LBB112_1171
; %bb.1166:
	s_mov_b32 s3, exec_lo
	v_cmpx_eq_u32_e32 55, v244
	s_cbranch_execz .LBB112_1170
; %bb.1167:
	v_cmp_ne_u32_e32 vcc_lo, 55, v236
	s_xor_b32 s4, s5, -1
	s_delay_alu instid0(SALU_CYCLE_1) | instskip(NEXT) | instid1(SALU_CYCLE_1)
	s_and_b32 s6, s4, vcc_lo
	s_and_saveexec_b32 s4, s6
	s_cbranch_execz .LBB112_1169
; %bb.1168:
	scratch_load_b64 v[10:11], off, off     ; 8-byte Folded Reload
	v_ashrrev_i32_e32 v237, 31, v236
	s_delay_alu instid0(VALU_DEP_1) | instskip(SKIP_1) | instid1(VALU_DEP_1)
	v_lshlrev_b64 v[212:213], 2, v[236:237]
	s_waitcnt vmcnt(0)
	v_add_co_u32 v212, vcc_lo, v10, v212
	s_delay_alu instid0(VALU_DEP_2)
	v_add_co_ci_u32_e32 v213, vcc_lo, v11, v213, vcc_lo
	s_clause 0x1
	flat_load_b32 v214, v[212:213]
	flat_load_b32 v215, v[10:11] offset:220
	s_waitcnt vmcnt(1) lgkmcnt(1)
	flat_store_b32 v[10:11], v214 offset:220
	s_waitcnt vmcnt(0) lgkmcnt(1)
	flat_store_b32 v[212:213], v215
.LBB112_1169:
	s_or_b32 exec_lo, exec_lo, s4
	v_mov_b32_e32 v244, v236
	v_mov_b32_e32 v243, v236
.LBB112_1170:
	s_or_b32 exec_lo, exec_lo, s3
.LBB112_1171:
	s_and_not1_saveexec_b32 s2, s2
	s_cbranch_execz .LBB112_1173
; %bb.1172:
	v_mov_b32_e32 v244, 55
	ds_store_2addr_b64 v238, v[0:1], v[2:3] offset0:112 offset1:113
.LBB112_1173:
	s_or_b32 exec_lo, exec_lo, s2
	s_delay_alu instid0(SALU_CYCLE_1)
	s_mov_b32 s2, exec_lo
	s_waitcnt lgkmcnt(0)
	s_waitcnt_vscnt null, 0x0
	s_barrier
	buffer_gl0_inv
	v_cmpx_lt_i32_e32 55, v244
	s_cbranch_execz .LBB112_1175
; %bb.1174:
	v_mul_f64 v[212:213], v[228:229], v[252:253]
	ds_load_2addr_b64 v[245:248], v238 offset0:112 offset1:113
	v_fma_f64 v[212:213], v[230:231], v[250:251], v[212:213]
	v_mov_b32_e32 v11, v9
	v_dual_mov_b32 v10, v8 :: v_dual_mov_b32 v9, v7
	v_mov_b32_e32 v8, v6
	v_mul_f64 v[6:7], v[230:231], v[252:253]
	v_mov_b32_e32 v253, v213
	s_waitcnt lgkmcnt(0)
	v_mul_f64 v[214:215], v[245:246], v[212:213]
	v_mov_b32_e32 v252, v212
	s_delay_alu instid0(VALU_DEP_4) | instskip(SKIP_1) | instid1(VALU_DEP_2)
	v_fma_f64 v[250:251], v[228:229], v[250:251], -v[6:7]
	v_mul_f64 v[6:7], v[247:248], v[212:213]
	v_fma_f64 v[214:215], v[247:248], v[250:251], v[214:215]
	s_delay_alu instid0(VALU_DEP_2) | instskip(NEXT) | instid1(VALU_DEP_2)
	v_fma_f64 v[6:7], v[245:246], v[250:251], -v[6:7]
	v_add_f64 v[2:3], v[2:3], -v[214:215]
	s_delay_alu instid0(VALU_DEP_2)
	v_add_f64 v[0:1], v[0:1], -v[6:7]
	v_mov_b32_e32 v6, v8
	v_dual_mov_b32 v7, v9 :: v_dual_mov_b32 v8, v10
	v_mov_b32_e32 v9, v11
.LBB112_1175:
	s_or_b32 exec_lo, exec_lo, s2
	v_lshl_add_u32 v212, v244, 4, v238
	s_barrier
	buffer_gl0_inv
	v_mov_b32_e32 v236, 56
	ds_store_2addr_b64 v212, v[0:1], v[2:3] offset1:1
	s_waitcnt lgkmcnt(0)
	s_barrier
	buffer_gl0_inv
	ds_load_2addr_b64 v[228:231], v238 offset0:112 offset1:113
	s_cmp_lt_i32 s12, 58
	s_cbranch_scc1 .LBB112_1178
; %bb.1176:
	v_add3_u32 v237, v242, 0, 0x390
	v_mov_b32_e32 v236, 56
	s_mov_b32 s2, 57
	s_set_inst_prefetch_distance 0x1
	.p2align	6
.LBB112_1177:                           ; =>This Inner Loop Header: Depth=1
	s_waitcnt lgkmcnt(0)
	v_cmp_gt_f64_e32 vcc_lo, 0, v[228:229]
	v_xor_b32_e32 v212, 0x80000000, v229
	v_xor_b32_e32 v214, 0x80000000, v231
	ds_load_2addr_b64 v[245:248], v237 offset1:1
	v_add_nc_u32_e32 v237, 16, v237
	s_waitcnt lgkmcnt(0)
	v_xor_b32_e32 v216, 0x80000000, v248
	v_cndmask_b32_e32 v213, v229, v212, vcc_lo
	v_cndmask_b32_e32 v212, v228, v228, vcc_lo
	v_cmp_gt_f64_e32 vcc_lo, 0, v[230:231]
	v_cndmask_b32_e32 v215, v231, v214, vcc_lo
	v_cndmask_b32_e32 v214, v230, v230, vcc_lo
	v_cmp_gt_f64_e32 vcc_lo, 0, v[245:246]
	s_delay_alu instid0(VALU_DEP_2) | instskip(SKIP_1) | instid1(VALU_DEP_1)
	v_add_f64 v[212:213], v[212:213], v[214:215]
	v_xor_b32_e32 v214, 0x80000000, v246
	v_dual_cndmask_b32 v215, v246, v214 :: v_dual_mov_b32 v214, v245
	v_cmp_gt_f64_e32 vcc_lo, 0, v[247:248]
	v_dual_cndmask_b32 v217, v248, v216 :: v_dual_mov_b32 v216, v247
	s_delay_alu instid0(VALU_DEP_1) | instskip(NEXT) | instid1(VALU_DEP_1)
	v_add_f64 v[214:215], v[214:215], v[216:217]
	v_cmp_lt_f64_e32 vcc_lo, v[212:213], v[214:215]
	v_dual_cndmask_b32 v229, v229, v246 :: v_dual_cndmask_b32 v228, v228, v245
	v_dual_cndmask_b32 v231, v231, v248 :: v_dual_cndmask_b32 v230, v230, v247
	v_cndmask_b32_e64 v236, v236, s2, vcc_lo
	s_add_i32 s2, s2, 1
	s_delay_alu instid0(SALU_CYCLE_1)
	s_cmp_lg_u32 s12, s2
	s_cbranch_scc1 .LBB112_1177
.LBB112_1178:
	s_set_inst_prefetch_distance 0x2
	s_waitcnt lgkmcnt(0)
	v_cmp_eq_f64_e32 vcc_lo, 0, v[228:229]
	v_cmp_eq_f64_e64 s2, 0, v[230:231]
	s_delay_alu instid0(VALU_DEP_1) | instskip(NEXT) | instid1(SALU_CYCLE_1)
	s_and_b32 s2, vcc_lo, s2
	s_and_saveexec_b32 s3, s2
	s_delay_alu instid0(SALU_CYCLE_1)
	s_xor_b32 s2, exec_lo, s3
; %bb.1179:
	v_cmp_ne_u32_e32 vcc_lo, 0, v241
	v_cndmask_b32_e32 v241, 57, v241, vcc_lo
; %bb.1180:
	s_and_not1_saveexec_b32 s3, s2
	s_cbranch_execz .LBB112_1186
; %bb.1181:
	v_cmp_gt_f64_e32 vcc_lo, 0, v[228:229]
	v_cmp_gt_f64_e64 s2, 0, v[230:231]
	v_xor_b32_e32 v212, 0x80000000, v229
	v_xor_b32_e32 v214, 0x80000000, v231
	s_delay_alu instid0(VALU_DEP_2) | instskip(NEXT) | instid1(VALU_DEP_2)
	v_cndmask_b32_e32 v213, v229, v212, vcc_lo
	v_cndmask_b32_e64 v215, v231, v214, s2
	v_cndmask_b32_e32 v212, v228, v228, vcc_lo
	v_cndmask_b32_e64 v214, v230, v230, s2
	s_mov_b32 s2, exec_lo
	s_delay_alu instid0(VALU_DEP_1)
	v_cmpx_ngt_f64_e32 v[212:213], v[214:215]
	s_xor_b32 s2, exec_lo, s2
	s_cbranch_execz .LBB112_1183
; %bb.1182:
	v_div_scale_f64 v[212:213], null, v[230:231], v[230:231], v[228:229]
	v_div_scale_f64 v[218:219], vcc_lo, v[228:229], v[230:231], v[228:229]
	s_delay_alu instid0(VALU_DEP_2) | instskip(SKIP_2) | instid1(VALU_DEP_1)
	v_rcp_f64_e32 v[214:215], v[212:213]
	s_waitcnt_depctr 0xfff
	v_fma_f64 v[216:217], -v[212:213], v[214:215], 1.0
	v_fma_f64 v[214:215], v[214:215], v[216:217], v[214:215]
	s_delay_alu instid0(VALU_DEP_1) | instskip(NEXT) | instid1(VALU_DEP_1)
	v_fma_f64 v[216:217], -v[212:213], v[214:215], 1.0
	v_fma_f64 v[214:215], v[214:215], v[216:217], v[214:215]
	s_delay_alu instid0(VALU_DEP_1) | instskip(NEXT) | instid1(VALU_DEP_1)
	v_mul_f64 v[216:217], v[218:219], v[214:215]
	v_fma_f64 v[212:213], -v[212:213], v[216:217], v[218:219]
	s_delay_alu instid0(VALU_DEP_1) | instskip(NEXT) | instid1(VALU_DEP_1)
	v_div_fmas_f64 v[212:213], v[212:213], v[214:215], v[216:217]
	v_div_fixup_f64 v[212:213], v[212:213], v[230:231], v[228:229]
	s_delay_alu instid0(VALU_DEP_1) | instskip(NEXT) | instid1(VALU_DEP_1)
	v_fma_f64 v[214:215], v[228:229], v[212:213], v[230:231]
	v_div_scale_f64 v[216:217], null, v[214:215], v[214:215], 1.0
	s_delay_alu instid0(VALU_DEP_1) | instskip(SKIP_2) | instid1(VALU_DEP_1)
	v_rcp_f64_e32 v[218:219], v[216:217]
	s_waitcnt_depctr 0xfff
	v_fma_f64 v[220:221], -v[216:217], v[218:219], 1.0
	v_fma_f64 v[218:219], v[218:219], v[220:221], v[218:219]
	s_delay_alu instid0(VALU_DEP_1) | instskip(NEXT) | instid1(VALU_DEP_1)
	v_fma_f64 v[220:221], -v[216:217], v[218:219], 1.0
	v_fma_f64 v[218:219], v[218:219], v[220:221], v[218:219]
	v_div_scale_f64 v[220:221], vcc_lo, 1.0, v[214:215], 1.0
	s_delay_alu instid0(VALU_DEP_1) | instskip(NEXT) | instid1(VALU_DEP_1)
	v_mul_f64 v[222:223], v[220:221], v[218:219]
	v_fma_f64 v[216:217], -v[216:217], v[222:223], v[220:221]
	s_delay_alu instid0(VALU_DEP_1) | instskip(NEXT) | instid1(VALU_DEP_1)
	v_div_fmas_f64 v[216:217], v[216:217], v[218:219], v[222:223]
	v_div_fixup_f64 v[230:231], v[216:217], v[214:215], 1.0
	s_delay_alu instid0(VALU_DEP_1)
	v_mul_f64 v[228:229], v[212:213], v[230:231]
	v_xor_b32_e32 v231, 0x80000000, v231
.LBB112_1183:
	s_and_not1_saveexec_b32 s2, s2
	s_cbranch_execz .LBB112_1185
; %bb.1184:
	s_delay_alu instid0(VALU_DEP_1) | instskip(SKIP_1) | instid1(VALU_DEP_2)
	v_div_scale_f64 v[212:213], null, v[228:229], v[228:229], v[230:231]
	v_div_scale_f64 v[218:219], vcc_lo, v[230:231], v[228:229], v[230:231]
	v_rcp_f64_e32 v[214:215], v[212:213]
	s_waitcnt_depctr 0xfff
	v_fma_f64 v[216:217], -v[212:213], v[214:215], 1.0
	s_delay_alu instid0(VALU_DEP_1) | instskip(NEXT) | instid1(VALU_DEP_1)
	v_fma_f64 v[214:215], v[214:215], v[216:217], v[214:215]
	v_fma_f64 v[216:217], -v[212:213], v[214:215], 1.0
	s_delay_alu instid0(VALU_DEP_1) | instskip(NEXT) | instid1(VALU_DEP_1)
	v_fma_f64 v[214:215], v[214:215], v[216:217], v[214:215]
	v_mul_f64 v[216:217], v[218:219], v[214:215]
	s_delay_alu instid0(VALU_DEP_1) | instskip(NEXT) | instid1(VALU_DEP_1)
	v_fma_f64 v[212:213], -v[212:213], v[216:217], v[218:219]
	v_div_fmas_f64 v[212:213], v[212:213], v[214:215], v[216:217]
	s_delay_alu instid0(VALU_DEP_1) | instskip(NEXT) | instid1(VALU_DEP_1)
	v_div_fixup_f64 v[212:213], v[212:213], v[228:229], v[230:231]
	v_fma_f64 v[214:215], v[230:231], v[212:213], v[228:229]
	s_delay_alu instid0(VALU_DEP_1) | instskip(NEXT) | instid1(VALU_DEP_1)
	v_div_scale_f64 v[216:217], null, v[214:215], v[214:215], 1.0
	v_rcp_f64_e32 v[218:219], v[216:217]
	s_waitcnt_depctr 0xfff
	v_fma_f64 v[220:221], -v[216:217], v[218:219], 1.0
	s_delay_alu instid0(VALU_DEP_1) | instskip(NEXT) | instid1(VALU_DEP_1)
	v_fma_f64 v[218:219], v[218:219], v[220:221], v[218:219]
	v_fma_f64 v[220:221], -v[216:217], v[218:219], 1.0
	s_delay_alu instid0(VALU_DEP_1) | instskip(SKIP_1) | instid1(VALU_DEP_1)
	v_fma_f64 v[218:219], v[218:219], v[220:221], v[218:219]
	v_div_scale_f64 v[220:221], vcc_lo, 1.0, v[214:215], 1.0
	v_mul_f64 v[222:223], v[220:221], v[218:219]
	s_delay_alu instid0(VALU_DEP_1) | instskip(NEXT) | instid1(VALU_DEP_1)
	v_fma_f64 v[216:217], -v[216:217], v[222:223], v[220:221]
	v_div_fmas_f64 v[216:217], v[216:217], v[218:219], v[222:223]
	s_delay_alu instid0(VALU_DEP_1) | instskip(NEXT) | instid1(VALU_DEP_1)
	v_div_fixup_f64 v[228:229], v[216:217], v[214:215], 1.0
	v_mul_f64 v[230:231], v[212:213], -v[228:229]
.LBB112_1185:
	s_or_b32 exec_lo, exec_lo, s2
.LBB112_1186:
	s_delay_alu instid0(SALU_CYCLE_1)
	s_or_b32 exec_lo, exec_lo, s3
	v_mov_b32_e32 v237, 56
	s_mov_b32 s2, exec_lo
	v_cmpx_ne_u32_e64 v244, v236
	s_cbranch_execz .LBB112_1192
; %bb.1187:
	s_mov_b32 s3, exec_lo
	v_cmpx_eq_u32_e32 56, v244
	s_cbranch_execz .LBB112_1191
; %bb.1188:
	v_cmp_ne_u32_e32 vcc_lo, 56, v236
	s_xor_b32 s4, s5, -1
	s_delay_alu instid0(SALU_CYCLE_1) | instskip(NEXT) | instid1(SALU_CYCLE_1)
	s_and_b32 s5, s4, vcc_lo
	s_and_saveexec_b32 s4, s5
	s_cbranch_execz .LBB112_1190
; %bb.1189:
	scratch_load_b64 v[10:11], off, off     ; 8-byte Folded Reload
	v_ashrrev_i32_e32 v237, 31, v236
	s_delay_alu instid0(VALU_DEP_1) | instskip(SKIP_1) | instid1(VALU_DEP_1)
	v_lshlrev_b64 v[212:213], 2, v[236:237]
	s_waitcnt vmcnt(0)
	v_add_co_u32 v212, vcc_lo, v10, v212
	s_delay_alu instid0(VALU_DEP_2)
	v_add_co_ci_u32_e32 v213, vcc_lo, v11, v213, vcc_lo
	s_clause 0x1
	flat_load_b32 v214, v[212:213]
	flat_load_b32 v215, v[10:11] offset:224
	s_waitcnt vmcnt(1) lgkmcnt(1)
	flat_store_b32 v[10:11], v214 offset:224
	s_waitcnt vmcnt(0) lgkmcnt(1)
	flat_store_b32 v[212:213], v215
.LBB112_1190:
	s_or_b32 exec_lo, exec_lo, s4
	v_mov_b32_e32 v244, v236
	v_mov_b32_e32 v243, v236
.LBB112_1191:
	s_or_b32 exec_lo, exec_lo, s3
	s_delay_alu instid0(VALU_DEP_2)
	v_mov_b32_e32 v237, v244
.LBB112_1192:
	s_or_b32 exec_lo, exec_lo, s2
	s_delay_alu instid0(SALU_CYCLE_1)
	s_mov_b32 s2, exec_lo
	s_waitcnt lgkmcnt(0)
	s_waitcnt_vscnt null, 0x0
	s_barrier
	buffer_gl0_inv
	v_cmpx_lt_i32_e32 56, v237
; %bb.1193:
	v_mul_f64 v[212:213], v[230:231], v[2:3]
	v_mul_f64 v[2:3], v[228:229], v[2:3]
	s_delay_alu instid0(VALU_DEP_2) | instskip(NEXT) | instid1(VALU_DEP_2)
	v_fma_f64 v[212:213], v[228:229], v[0:1], -v[212:213]
	v_fma_f64 v[2:3], v[230:231], v[0:1], v[2:3]
	s_delay_alu instid0(VALU_DEP_2)
	v_dual_mov_b32 v0, v212 :: v_dual_mov_b32 v1, v213
; %bb.1194:
	s_or_b32 exec_lo, exec_lo, s2
	s_load_b256 s[0:7], s[0:1], 0x28
	v_ashrrev_i32_e32 v238, 31, v237
	s_mov_b32 s9, exec_lo
	s_waitcnt lgkmcnt(0)
	s_barrier
	buffer_gl0_inv
	v_cmpx_gt_i32_e32 57, v237
	s_cbranch_execz .LBB112_1196
; %bb.1195:
	v_mul_lo_u32 v214, v5, s4
	v_mul_lo_u32 v215, v4, s5
	v_mad_u64_u32 v[212:213], null, v4, s4, 0
	s_lshl_b64 s[2:3], s[2:3], 2
	s_delay_alu instid0(SALU_CYCLE_1) | instskip(SKIP_1) | instid1(VALU_DEP_1)
	s_add_u32 s0, s2, s0
	s_addc_u32 s1, s3, s1
	v_add3_u32 v213, v213, v215, v214
	v_lshlrev_b64 v[214:215], 2, v[237:238]
	s_delay_alu instid0(VALU_DEP_2) | instskip(NEXT) | instid1(VALU_DEP_1)
	v_lshlrev_b64 v[212:213], 2, v[212:213]
	v_add_co_u32 v212, vcc_lo, s0, v212
	s_delay_alu instid0(VALU_DEP_2) | instskip(NEXT) | instid1(VALU_DEP_2)
	v_add_co_ci_u32_e32 v213, vcc_lo, s1, v213, vcc_lo
	v_add_co_u32 v212, vcc_lo, v212, v214
	s_delay_alu instid0(VALU_DEP_2)
	v_add_co_ci_u32_e32 v213, vcc_lo, v213, v215, vcc_lo
	v_add3_u32 v214, v243, s13, 1
	global_store_b32 v[212:213], v214, off
.LBB112_1196:
	s_or_b32 exec_lo, exec_lo, s9
	s_delay_alu instid0(SALU_CYCLE_1)
	s_mov_b32 s1, exec_lo
	v_cmpx_eq_u32_e32 0, v237
	s_cbranch_execz .LBB112_1199
; %bb.1197:
	v_lshlrev_b64 v[212:213], 2, v[4:5]
	v_cmp_lt_i32_e64 s0, 0, v241
	s_delay_alu instid0(VALU_DEP_2) | instskip(NEXT) | instid1(VALU_DEP_3)
	v_add_co_u32 v228, vcc_lo, s6, v212
	v_add_co_ci_u32_e32 v229, vcc_lo, s7, v213, vcc_lo
	global_load_b32 v212, v[228:229], off
	s_waitcnt vmcnt(0)
	v_cmp_eq_u32_e32 vcc_lo, 0, v212
	s_and_b32 s0, vcc_lo, s0
	s_delay_alu instid0(SALU_CYCLE_1)
	s_and_b32 exec_lo, exec_lo, s0
	s_cbranch_execz .LBB112_1199
; %bb.1198:
	v_add_nc_u32_e32 v212, s13, v241
	global_store_b32 v[228:229], v212, off
.LBB112_1199:
	s_or_b32 exec_lo, exec_lo, s1
	scratch_load_b128 v[228:231], off, off offset:24 ; 16-byte Folded Reload
	v_lshlrev_b64 v[214:215], 4, v[237:238]
	v_add3_u32 v212, s8, s8, v237
	s_delay_alu instid0(VALU_DEP_1) | instskip(NEXT) | instid1(VALU_DEP_3)
	v_add_nc_u32_e32 v216, s8, v212
	v_add_co_u32 v214, vcc_lo, v239, v214
	s_delay_alu instid0(VALU_DEP_4) | instskip(SKIP_1) | instid1(VALU_DEP_3)
	v_add_co_ci_u32_e32 v215, vcc_lo, v240, v215, vcc_lo
	v_ashrrev_i32_e32 v213, 31, v212
	v_add_co_u32 v218, vcc_lo, v214, s10
	v_add_nc_u32_e32 v220, s8, v216
	s_delay_alu instid0(VALU_DEP_4) | instskip(SKIP_2) | instid1(VALU_DEP_4)
	v_add_co_ci_u32_e32 v219, vcc_lo, s11, v215, vcc_lo
	v_ashrrev_i32_e32 v217, 31, v216
	v_lshlrev_b64 v[212:213], 4, v[212:213]
	v_ashrrev_i32_e32 v221, 31, v220
	s_delay_alu instid0(VALU_DEP_2) | instskip(NEXT) | instid1(VALU_DEP_3)
	v_add_co_u32 v212, vcc_lo, v239, v212
	v_add_co_ci_u32_e32 v213, vcc_lo, v240, v213, vcc_lo
	s_waitcnt vmcnt(0)
	global_store_b128 v[214:215], v[228:231], off
	scratch_load_b128 v[228:231], off, off offset:8 ; 16-byte Folded Reload
	v_lshlrev_b64 v[214:215], 4, v[216:217]
	v_lshlrev_b64 v[216:217], 4, v[220:221]
	s_delay_alu instid0(VALU_DEP_2) | instskip(NEXT) | instid1(VALU_DEP_3)
	v_add_co_u32 v214, vcc_lo, v239, v214
	v_add_co_ci_u32_e32 v215, vcc_lo, v240, v215, vcc_lo
	s_delay_alu instid0(VALU_DEP_3) | instskip(NEXT) | instid1(VALU_DEP_4)
	v_add_co_u32 v216, vcc_lo, v239, v216
	v_add_co_ci_u32_e32 v217, vcc_lo, v240, v217, vcc_lo
	s_waitcnt vmcnt(0)
	global_store_b128 v[218:219], v[228:231], off
	v_add_nc_u32_e32 v218, s8, v220
	s_clause 0x2
	global_store_b128 v[212:213], v[208:211], off
	global_store_b128 v[214:215], v[6:9], off
	;; [unrolled: 1-line block ×3, first 2 shown]
	v_add_nc_u32_e32 v220, s8, v218
	v_ashrrev_i32_e32 v219, 31, v218
	s_delay_alu instid0(VALU_DEP_2) | instskip(SKIP_1) | instid1(VALU_DEP_3)
	v_ashrrev_i32_e32 v221, 31, v220
	v_add_nc_u32_e32 v210, s8, v220
	v_lshlrev_b64 v[212:213], 4, v[218:219]
	s_delay_alu instid0(VALU_DEP_3) | instskip(NEXT) | instid1(VALU_DEP_3)
	v_lshlrev_b64 v[208:209], 4, v[220:221]
	v_add_nc_u32_e32 v214, s8, v210
	v_ashrrev_i32_e32 v211, 31, v210
	s_delay_alu instid0(VALU_DEP_4) | instskip(SKIP_1) | instid1(VALU_DEP_4)
	v_add_co_u32 v212, vcc_lo, v239, v212
	v_add_co_ci_u32_e32 v213, vcc_lo, v240, v213, vcc_lo
	v_add_nc_u32_e32 v216, s8, v214
	v_add_co_u32 v208, vcc_lo, v239, v208
	v_ashrrev_i32_e32 v215, 31, v214
	v_add_co_ci_u32_e32 v209, vcc_lo, v240, v209, vcc_lo
	v_lshlrev_b64 v[210:211], 4, v[210:211]
	v_ashrrev_i32_e32 v217, 31, v216
	s_clause 0x1
	global_store_b128 v[212:213], v[204:207], off
	global_store_b128 v[208:209], v[200:203], off
	v_lshlrev_b64 v[200:201], 4, v[214:215]
	v_add_nc_u32_e32 v206, s8, v216
	v_add_co_u32 v202, vcc_lo, v239, v210
	v_lshlrev_b64 v[204:205], 4, v[216:217]
	v_add_co_ci_u32_e32 v203, vcc_lo, v240, v211, vcc_lo
	v_add_co_u32 v200, vcc_lo, v239, v200
	v_add_co_ci_u32_e32 v201, vcc_lo, v240, v201, vcc_lo
	s_delay_alu instid0(VALU_DEP_4)
	v_add_co_u32 v204, vcc_lo, v239, v204
	v_add_nc_u32_e32 v208, s8, v206
	v_add_co_ci_u32_e32 v205, vcc_lo, v240, v205, vcc_lo
	v_ashrrev_i32_e32 v207, 31, v206
	global_store_b128 v[202:203], v[196:199], off
	v_ashrrev_i32_e32 v209, 31, v208
	s_clause 0x1
	global_store_b128 v[200:201], v[192:195], off
	global_store_b128 v[204:205], v[188:191], off
	v_add_nc_u32_e32 v190, s8, v208
	v_lshlrev_b64 v[196:197], 4, v[206:207]
	v_lshlrev_b64 v[188:189], 4, v[208:209]
	s_delay_alu instid0(VALU_DEP_3) | instskip(SKIP_1) | instid1(VALU_DEP_4)
	v_add_nc_u32_e32 v194, s8, v190
	v_ashrrev_i32_e32 v191, 31, v190
	v_add_co_u32 v192, vcc_lo, v239, v196
	v_add_co_ci_u32_e32 v193, vcc_lo, v240, v197, vcc_lo
	s_delay_alu instid0(VALU_DEP_4)
	v_add_nc_u32_e32 v196, s8, v194
	v_add_co_u32 v188, vcc_lo, v239, v188
	v_ashrrev_i32_e32 v195, 31, v194
	v_add_co_ci_u32_e32 v189, vcc_lo, v240, v189, vcc_lo
	v_lshlrev_b64 v[190:191], 4, v[190:191]
	v_ashrrev_i32_e32 v197, 31, v196
	s_clause 0x1
	global_store_b128 v[192:193], v[184:187], off
	global_store_b128 v[188:189], v[180:183], off
	v_lshlrev_b64 v[180:181], 4, v[194:195]
	v_add_nc_u32_e32 v186, s8, v196
	v_add_co_u32 v182, vcc_lo, v239, v190
	v_lshlrev_b64 v[184:185], 4, v[196:197]
	v_add_co_ci_u32_e32 v183, vcc_lo, v240, v191, vcc_lo
	v_add_co_u32 v180, vcc_lo, v239, v180
	v_add_co_ci_u32_e32 v181, vcc_lo, v240, v181, vcc_lo
	s_delay_alu instid0(VALU_DEP_4)
	v_add_co_u32 v184, vcc_lo, v239, v184
	v_add_nc_u32_e32 v188, s8, v186
	v_add_co_ci_u32_e32 v185, vcc_lo, v240, v185, vcc_lo
	v_ashrrev_i32_e32 v187, 31, v186
	global_store_b128 v[182:183], v[176:179], off
	v_ashrrev_i32_e32 v189, 31, v188
	s_clause 0x1
	global_store_b128 v[180:181], v[172:175], off
	global_store_b128 v[184:185], v[168:171], off
	v_add_nc_u32_e32 v170, s8, v188
	v_lshlrev_b64 v[176:177], 4, v[186:187]
	v_lshlrev_b64 v[168:169], 4, v[188:189]
	s_delay_alu instid0(VALU_DEP_3) | instskip(SKIP_1) | instid1(VALU_DEP_4)
	v_add_nc_u32_e32 v174, s8, v170
	v_ashrrev_i32_e32 v171, 31, v170
	v_add_co_u32 v172, vcc_lo, v239, v176
	v_add_co_ci_u32_e32 v173, vcc_lo, v240, v177, vcc_lo
	s_delay_alu instid0(VALU_DEP_4)
	;; [unrolled: 35-line block ×8, first 2 shown]
	v_add_nc_u32_e32 v56, s8, v54
	v_add_co_u32 v48, vcc_lo, v239, v48
	v_ashrrev_i32_e32 v55, 31, v54
	v_add_co_ci_u32_e32 v49, vcc_lo, v240, v49, vcc_lo
	v_lshlrev_b64 v[50:51], 4, v[50:51]
	v_ashrrev_i32_e32 v57, 31, v56
	s_clause 0x1
	global_store_b128 v[52:53], v[44:47], off
	global_store_b128 v[48:49], v[40:43], off
	v_lshlrev_b64 v[40:41], 4, v[54:55]
	v_add_nc_u32_e32 v46, s8, v56
	v_add_co_u32 v42, vcc_lo, v239, v50
	v_lshlrev_b64 v[44:45], 4, v[56:57]
	v_add_co_ci_u32_e32 v43, vcc_lo, v240, v51, vcc_lo
	v_add_co_u32 v40, vcc_lo, v239, v40
	v_add_nc_u32_e32 v48, s8, v46
	v_add_co_ci_u32_e32 v41, vcc_lo, v240, v41, vcc_lo
	v_ashrrev_i32_e32 v47, 31, v46
	v_add_co_u32 v44, vcc_lo, v239, v44
	v_add_co_ci_u32_e32 v45, vcc_lo, v240, v45, vcc_lo
	v_ashrrev_i32_e32 v49, 31, v48
	global_store_b128 v[42:43], v[36:39], off
	v_lshlrev_b64 v[36:37], 4, v[46:47]
	s_clause 0x1
	global_store_b128 v[40:41], v[32:35], off
	global_store_b128 v[44:45], v[28:31], off
	v_add_nc_u32_e32 v30, s8, v48
	v_lshlrev_b64 v[28:29], 4, v[48:49]
	v_add_co_u32 v32, vcc_lo, v239, v36
	s_delay_alu instid0(VALU_DEP_3) | instskip(SKIP_1) | instid1(VALU_DEP_4)
	v_add_nc_u32_e32 v34, s8, v30
	v_add_co_ci_u32_e32 v33, vcc_lo, v240, v37, vcc_lo
	v_add_co_u32 v28, vcc_lo, v239, v28
	v_add_co_ci_u32_e32 v29, vcc_lo, v240, v29, vcc_lo
	s_delay_alu instid0(VALU_DEP_4)
	v_add_nc_u32_e32 v36, s8, v34
	v_ashrrev_i32_e32 v31, 31, v30
	s_clause 0x1
	global_store_b128 v[32:33], v[24:27], off
	global_store_b128 v[28:29], v[20:23], off
	v_ashrrev_i32_e32 v35, 31, v34
	v_add_nc_u32_e32 v22, s8, v36
	v_lshlrev_b64 v[24:25], 4, v[30:31]
	v_ashrrev_i32_e32 v37, 31, v36
	s_delay_alu instid0(VALU_DEP_4) | instskip(NEXT) | instid1(VALU_DEP_4)
	v_lshlrev_b64 v[20:21], 4, v[34:35]
	v_add_nc_u32_e32 v28, s8, v22
	v_ashrrev_i32_e32 v23, 31, v22
	v_add_co_u32 v24, vcc_lo, v239, v24
	v_lshlrev_b64 v[26:27], 4, v[36:37]
	s_delay_alu instid0(VALU_DEP_4)
	v_ashrrev_i32_e32 v29, 31, v28
	v_add_co_ci_u32_e32 v25, vcc_lo, v240, v25, vcc_lo
	v_add_co_u32 v20, vcc_lo, v239, v20
	v_lshlrev_b64 v[22:23], 4, v[22:23]
	v_add_co_ci_u32_e32 v21, vcc_lo, v240, v21, vcc_lo
	v_add_co_u32 v26, vcc_lo, v239, v26
	v_lshlrev_b64 v[28:29], 4, v[28:29]
	v_add_co_ci_u32_e32 v27, vcc_lo, v240, v27, vcc_lo
	v_add_co_u32 v22, vcc_lo, v239, v22
	v_add_co_ci_u32_e32 v23, vcc_lo, v240, v23, vcc_lo
	s_delay_alu instid0(VALU_DEP_4)
	v_add_co_u32 v28, vcc_lo, v239, v28
	v_add_co_ci_u32_e32 v29, vcc_lo, v240, v29, vcc_lo
	s_clause 0x4
	global_store_b128 v[24:25], v[16:19], off
	global_store_b128 v[20:21], v[12:15], off
	;; [unrolled: 1-line block ×5, first 2 shown]
.LBB112_1200:
	s_nop 0
	s_sendmsg sendmsg(MSG_DEALLOC_VGPRS)
	s_endpgm
	.section	.rodata,"a",@progbits
	.p2align	6, 0x0
	.amdhsa_kernel _ZN9rocsolver6v33100L18getf2_small_kernelILi57E19rocblas_complex_numIdEiiPKPS3_EEvT1_T3_lS7_lPS7_llPT2_S7_S7_S9_l
		.amdhsa_group_segment_fixed_size 0
		.amdhsa_private_segment_fixed_size 84
		.amdhsa_kernarg_size 352
		.amdhsa_user_sgpr_count 14
		.amdhsa_user_sgpr_dispatch_ptr 0
		.amdhsa_user_sgpr_queue_ptr 0
		.amdhsa_user_sgpr_kernarg_segment_ptr 1
		.amdhsa_user_sgpr_dispatch_id 0
		.amdhsa_user_sgpr_private_segment_size 0
		.amdhsa_wavefront_size32 1
		.amdhsa_uses_dynamic_stack 0
		.amdhsa_enable_private_segment 1
		.amdhsa_system_sgpr_workgroup_id_x 1
		.amdhsa_system_sgpr_workgroup_id_y 1
		.amdhsa_system_sgpr_workgroup_id_z 0
		.amdhsa_system_sgpr_workgroup_info 0
		.amdhsa_system_vgpr_workitem_id 1
		.amdhsa_next_free_vgpr 256
		.amdhsa_next_free_sgpr 18
		.amdhsa_reserve_vcc 1
		.amdhsa_float_round_mode_32 0
		.amdhsa_float_round_mode_16_64 0
		.amdhsa_float_denorm_mode_32 3
		.amdhsa_float_denorm_mode_16_64 3
		.amdhsa_dx10_clamp 1
		.amdhsa_ieee_mode 1
		.amdhsa_fp16_overflow 0
		.amdhsa_workgroup_processor_mode 1
		.amdhsa_memory_ordered 1
		.amdhsa_forward_progress 0
		.amdhsa_shared_vgpr_count 0
		.amdhsa_exception_fp_ieee_invalid_op 0
		.amdhsa_exception_fp_denorm_src 0
		.amdhsa_exception_fp_ieee_div_zero 0
		.amdhsa_exception_fp_ieee_overflow 0
		.amdhsa_exception_fp_ieee_underflow 0
		.amdhsa_exception_fp_ieee_inexact 0
		.amdhsa_exception_int_div_zero 0
	.end_amdhsa_kernel
	.section	.text._ZN9rocsolver6v33100L18getf2_small_kernelILi57E19rocblas_complex_numIdEiiPKPS3_EEvT1_T3_lS7_lPS7_llPT2_S7_S7_S9_l,"axG",@progbits,_ZN9rocsolver6v33100L18getf2_small_kernelILi57E19rocblas_complex_numIdEiiPKPS3_EEvT1_T3_lS7_lPS7_llPT2_S7_S7_S9_l,comdat
.Lfunc_end112:
	.size	_ZN9rocsolver6v33100L18getf2_small_kernelILi57E19rocblas_complex_numIdEiiPKPS3_EEvT1_T3_lS7_lPS7_llPT2_S7_S7_S9_l, .Lfunc_end112-_ZN9rocsolver6v33100L18getf2_small_kernelILi57E19rocblas_complex_numIdEiiPKPS3_EEvT1_T3_lS7_lPS7_llPT2_S7_S7_S9_l
                                        ; -- End function
	.section	.AMDGPU.csdata,"",@progbits
; Kernel info:
; codeLenInByte = 186056
; NumSgprs: 20
; NumVgprs: 256
; ScratchSize: 84
; MemoryBound: 0
; FloatMode: 240
; IeeeMode: 1
; LDSByteSize: 0 bytes/workgroup (compile time only)
; SGPRBlocks: 2
; VGPRBlocks: 31
; NumSGPRsForWavesPerEU: 20
; NumVGPRsForWavesPerEU: 256
; Occupancy: 5
; WaveLimiterHint : 1
; COMPUTE_PGM_RSRC2:SCRATCH_EN: 1
; COMPUTE_PGM_RSRC2:USER_SGPR: 14
; COMPUTE_PGM_RSRC2:TRAP_HANDLER: 0
; COMPUTE_PGM_RSRC2:TGID_X_EN: 1
; COMPUTE_PGM_RSRC2:TGID_Y_EN: 1
; COMPUTE_PGM_RSRC2:TGID_Z_EN: 0
; COMPUTE_PGM_RSRC2:TIDIG_COMP_CNT: 1
	.section	.text._ZN9rocsolver6v33100L23getf2_npvt_small_kernelILi57E19rocblas_complex_numIdEiiPKPS3_EEvT1_T3_lS7_lPT2_S7_S7_,"axG",@progbits,_ZN9rocsolver6v33100L23getf2_npvt_small_kernelILi57E19rocblas_complex_numIdEiiPKPS3_EEvT1_T3_lS7_lPT2_S7_S7_,comdat
	.globl	_ZN9rocsolver6v33100L23getf2_npvt_small_kernelILi57E19rocblas_complex_numIdEiiPKPS3_EEvT1_T3_lS7_lPT2_S7_S7_ ; -- Begin function _ZN9rocsolver6v33100L23getf2_npvt_small_kernelILi57E19rocblas_complex_numIdEiiPKPS3_EEvT1_T3_lS7_lPT2_S7_S7_
	.p2align	8
	.type	_ZN9rocsolver6v33100L23getf2_npvt_small_kernelILi57E19rocblas_complex_numIdEiiPKPS3_EEvT1_T3_lS7_lPT2_S7_S7_,@function
_ZN9rocsolver6v33100L23getf2_npvt_small_kernelILi57E19rocblas_complex_numIdEiiPKPS3_EEvT1_T3_lS7_lPT2_S7_S7_: ; @_ZN9rocsolver6v33100L23getf2_npvt_small_kernelILi57E19rocblas_complex_numIdEiiPKPS3_EEvT1_T3_lS7_lPT2_S7_S7_
; %bb.0:
	s_clause 0x1
	s_load_b32 s2, s[0:1], 0x44
	s_load_b64 s[12:13], s[0:1], 0x30
	v_bfe_u32 v1, v0, 10, 10
	s_waitcnt lgkmcnt(0)
	s_lshr_b32 s8, s2, 16
	s_mov_b32 s2, exec_lo
	s_delay_alu instid0(VALU_DEP_1) | instskip(NEXT) | instid1(VALU_DEP_1)
	v_mad_u64_u32 v[2:3], null, s15, s8, v[1:2]
	v_cmpx_gt_i32_e64 s12, v2
	s_cbranch_execnz .LBB113_1
; %bb.519:
	s_getpc_b64 s[16:17]
.Lpost_getpc21:
	s_add_u32 s16, s16, (.LBB113_518-.Lpost_getpc21)&4294967295
	s_addc_u32 s17, s17, (.LBB113_518-.Lpost_getpc21)>>32
	s_setpc_b64 s[16:17]
.LBB113_1:
	s_clause 0x1
	s_load_b128 s[4:7], s[0:1], 0x8
	s_load_b32 s2, s[0:1], 0x18
	v_ashrrev_i32_e32 v3, 31, v2
	v_and_b32_e32 v248, 0x3ff, v0
	s_mulk_i32 s8, 0x390
	v_mad_u32_u24 v214, 0x390, v1, 0
	scratch_store_b64 off, v[2:3], off offset:1304 ; 8-byte Folded Spill
	v_lshlrev_b64 v[2:3], 3, v[2:3]
	s_waitcnt lgkmcnt(0)
	s_delay_alu instid0(VALU_DEP_1) | instskip(NEXT) | instid1(VALU_DEP_2)
	v_add_co_u32 v2, vcc_lo, s4, v2
	v_add_co_ci_u32_e32 v3, vcc_lo, s5, v3, vcc_lo
	v_add3_u32 v4, s2, s2, v248
	s_lshl_b64 s[4:5], s[6:7], 4
	s_ashr_i32 s3, s2, 31
	global_load_b64 v[2:3], v[2:3], off
	v_add_nc_u32_e32 v8, s2, v4
	v_ashrrev_i32_e32 v5, 31, v4
	s_delay_alu instid0(VALU_DEP_2) | instskip(SKIP_1) | instid1(VALU_DEP_3)
	v_add_nc_u32_e32 v13, s2, v8
	v_ashrrev_i32_e32 v9, 31, v8
	v_lshlrev_b64 v[6:7], 4, v[4:5]
	s_delay_alu instid0(VALU_DEP_3) | instskip(SKIP_1) | instid1(VALU_DEP_4)
	v_add_nc_u32_e32 v10, s2, v13
	v_ashrrev_i32_e32 v14, 31, v13
	v_lshlrev_b64 v[8:9], 4, v[8:9]
	s_delay_alu instid0(VALU_DEP_3) | instskip(SKIP_1) | instid1(VALU_DEP_4)
	v_add_nc_u32_e32 v12, s2, v10
	v_ashrrev_i32_e32 v11, 31, v10
	v_lshlrev_b64 v[4:5], 4, v[13:14]
	s_delay_alu instid0(VALU_DEP_3) | instskip(SKIP_1) | instid1(VALU_DEP_4)
	v_add_nc_u32_e32 v16, s2, v12
	v_ashrrev_i32_e32 v13, 31, v12
	v_lshlrev_b64 v[10:11], 4, v[10:11]
	s_delay_alu instid0(VALU_DEP_3) | instskip(SKIP_1) | instid1(VALU_DEP_4)
	v_add_nc_u32_e32 v21, s2, v16
	v_ashrrev_i32_e32 v17, 31, v16
	v_lshlrev_b64 v[14:15], 4, v[12:13]
	s_delay_alu instid0(VALU_DEP_3) | instskip(SKIP_1) | instid1(VALU_DEP_4)
	v_add_nc_u32_e32 v18, s2, v21
	v_ashrrev_i32_e32 v22, 31, v21
	v_lshlrev_b64 v[16:17], 4, v[16:17]
	s_delay_alu instid0(VALU_DEP_3) | instskip(SKIP_1) | instid1(VALU_DEP_4)
	v_add_nc_u32_e32 v20, s2, v18
	v_ashrrev_i32_e32 v19, 31, v18
	v_lshlrev_b64 v[12:13], 4, v[21:22]
	s_delay_alu instid0(VALU_DEP_3) | instskip(SKIP_1) | instid1(VALU_DEP_4)
	v_add_nc_u32_e32 v24, s2, v20
	v_ashrrev_i32_e32 v21, 31, v20
	v_lshlrev_b64 v[18:19], 4, v[18:19]
	s_delay_alu instid0(VALU_DEP_3) | instskip(SKIP_1) | instid1(VALU_DEP_4)
	v_add_nc_u32_e32 v29, s2, v24
	v_ashrrev_i32_e32 v25, 31, v24
	v_lshlrev_b64 v[22:23], 4, v[20:21]
	s_delay_alu instid0(VALU_DEP_3) | instskip(SKIP_1) | instid1(VALU_DEP_4)
	v_add_nc_u32_e32 v26, s2, v29
	v_ashrrev_i32_e32 v30, 31, v29
	v_lshlrev_b64 v[24:25], 4, v[24:25]
	s_delay_alu instid0(VALU_DEP_3) | instskip(SKIP_1) | instid1(VALU_DEP_4)
	v_add_nc_u32_e32 v28, s2, v26
	v_ashrrev_i32_e32 v27, 31, v26
	v_lshlrev_b64 v[20:21], 4, v[29:30]
	s_delay_alu instid0(VALU_DEP_3) | instskip(SKIP_1) | instid1(VALU_DEP_4)
	v_add_nc_u32_e32 v32, s2, v28
	v_ashrrev_i32_e32 v29, 31, v28
	v_lshlrev_b64 v[26:27], 4, v[26:27]
	s_delay_alu instid0(VALU_DEP_3) | instskip(NEXT) | instid1(VALU_DEP_3)
	v_add_nc_u32_e32 v39, s2, v32
	v_lshlrev_b64 v[30:31], 4, v[28:29]
	v_ashrrev_i32_e32 v33, 31, v32
	s_delay_alu instid0(VALU_DEP_3) | instskip(SKIP_1) | instid1(VALU_DEP_3)
	v_add_nc_u32_e32 v34, s2, v39
	v_ashrrev_i32_e32 v40, 31, v39
	v_lshlrev_b64 v[32:33], 4, v[32:33]
	s_delay_alu instid0(VALU_DEP_3) | instskip(NEXT) | instid1(VALU_DEP_3)
	v_add_nc_u32_e32 v38, s2, v34
	v_lshlrev_b64 v[28:29], 4, v[39:40]
	v_ashrrev_i32_e32 v35, 31, v34
	s_delay_alu instid0(VALU_DEP_3) | instskip(SKIP_1) | instid1(VALU_DEP_3)
	v_add_nc_u32_e32 v36, s2, v38
	v_ashrrev_i32_e32 v39, 31, v38
	v_lshlrev_b64 v[34:35], 4, v[34:35]
	s_delay_alu instid0(VALU_DEP_3) | instskip(SKIP_1) | instid1(VALU_DEP_4)
	v_add_nc_u32_e32 v47, s2, v36
	v_ashrrev_i32_e32 v37, 31, v36
	v_lshlrev_b64 v[38:39], 4, v[38:39]
	s_delay_alu instid0(VALU_DEP_3) | instskip(SKIP_1) | instid1(VALU_DEP_4)
	v_add_nc_u32_e32 v42, s2, v47
	v_ashrrev_i32_e32 v48, 31, v47
	v_lshlrev_b64 v[40:41], 4, v[36:37]
	s_delay_alu instid0(VALU_DEP_3) | instskip(NEXT) | instid1(VALU_DEP_3)
	v_add_nc_u32_e32 v46, s2, v42
	v_lshlrev_b64 v[36:37], 4, v[47:48]
	v_ashrrev_i32_e32 v43, 31, v42
	s_delay_alu instid0(VALU_DEP_3) | instskip(SKIP_1) | instid1(VALU_DEP_3)
	v_add_nc_u32_e32 v44, s2, v46
	v_ashrrev_i32_e32 v47, 31, v46
	v_lshlrev_b64 v[42:43], 4, v[42:43]
	s_delay_alu instid0(VALU_DEP_3) | instskip(SKIP_1) | instid1(VALU_DEP_4)
	v_add_nc_u32_e32 v50, s2, v44
	v_ashrrev_i32_e32 v45, 31, v44
	v_lshlrev_b64 v[46:47], 4, v[46:47]
	s_delay_alu instid0(VALU_DEP_3) | instskip(SKIP_1) | instid1(VALU_DEP_4)
	;; [unrolled: 4-line block ×3, first 2 shown]
	v_add_nc_u32_e32 v54, s2, v52
	v_ashrrev_i32_e32 v53, 31, v52
	v_lshlrev_b64 v[44:45], 4, v[50:51]
	s_delay_alu instid0(VALU_DEP_3) | instskip(NEXT) | instid1(VALU_DEP_3)
	v_add_nc_u32_e32 v56, s2, v54
	v_lshlrev_b64 v[50:51], 4, v[52:53]
	v_ashrrev_i32_e32 v55, 31, v54
	s_delay_alu instid0(VALU_DEP_3) | instskip(SKIP_1) | instid1(VALU_DEP_3)
	v_add_nc_u32_e32 v58, s2, v56
	v_ashrrev_i32_e32 v57, 31, v56
	v_lshlrev_b64 v[54:55], 4, v[54:55]
	s_delay_alu instid0(VALU_DEP_3) | instskip(SKIP_1) | instid1(VALU_DEP_4)
	v_add_nc_u32_e32 v60, s2, v58
	v_ashrrev_i32_e32 v59, 31, v58
	v_lshlrev_b64 v[56:57], 4, v[56:57]
	s_delay_alu instid0(VALU_DEP_3) | instskip(SKIP_1) | instid1(VALU_DEP_4)
	v_add_nc_u32_e32 v62, s2, v60
	v_ashrrev_i32_e32 v61, 31, v60
	v_lshlrev_b64 v[52:53], 4, v[58:59]
	s_delay_alu instid0(VALU_DEP_3) | instskip(NEXT) | instid1(VALU_DEP_3)
	v_add_nc_u32_e32 v64, s2, v62
	v_lshlrev_b64 v[58:59], 4, v[60:61]
	v_ashrrev_i32_e32 v63, 31, v62
	s_delay_alu instid0(VALU_DEP_3) | instskip(SKIP_1) | instid1(VALU_DEP_3)
	v_add_nc_u32_e32 v66, s2, v64
	v_ashrrev_i32_e32 v65, 31, v64
	v_lshlrev_b64 v[62:63], 4, v[62:63]
	s_delay_alu instid0(VALU_DEP_3) | instskip(SKIP_1) | instid1(VALU_DEP_4)
	v_add_nc_u32_e32 v68, s2, v66
	v_ashrrev_i32_e32 v67, 31, v66
	v_lshlrev_b64 v[64:65], 4, v[64:65]
	s_delay_alu instid0(VALU_DEP_3) | instskip(NEXT) | instid1(VALU_DEP_3)
	v_add_nc_u32_e32 v70, s2, v68
	v_lshlrev_b64 v[60:61], 4, v[66:67]
	v_ashrrev_i32_e32 v69, 31, v68
	s_delay_alu instid0(VALU_DEP_3) | instskip(SKIP_1) | instid1(VALU_DEP_3)
	v_add_nc_u32_e32 v72, s2, v70
	v_ashrrev_i32_e32 v71, 31, v70
	v_lshlrev_b64 v[68:69], 4, v[68:69]
	s_delay_alu instid0(VALU_DEP_3) | instskip(SKIP_1) | instid1(VALU_DEP_4)
	v_add_nc_u32_e32 v74, s2, v72
	v_ashrrev_i32_e32 v73, 31, v72
	v_lshlrev_b64 v[70:71], 4, v[70:71]
	s_delay_alu instid0(VALU_DEP_3) | instskip(SKIP_1) | instid1(VALU_DEP_4)
	;; [unrolled: 4-line block ×16, first 2 shown]
	v_ashrrev_i32_e32 v101, 31, v100
	v_add_nc_u32_e32 v102, s2, v100
	v_lshlrev_b64 v[98:99], 4, v[98:99]
	s_delay_alu instid0(VALU_DEP_2) | instskip(SKIP_4) | instid1(VALU_DEP_3)
	v_ashrrev_i32_e32 v103, 31, v102
	s_waitcnt vmcnt(0)
	v_add_co_u32 v0, vcc_lo, v2, s4
	v_add_co_ci_u32_e32 v104, vcc_lo, s5, v3, vcc_lo
	v_lshlrev_b64 v[2:3], 4, v[100:101]
	v_add_co_u32 v151, vcc_lo, v0, v6
	s_delay_alu instid0(VALU_DEP_3)
	v_add_co_ci_u32_e32 v152, vcc_lo, v104, v7, vcc_lo
	v_add_co_u32 v149, vcc_lo, v0, v8
	v_add_co_ci_u32_e32 v150, vcc_lo, v104, v9, vcc_lo
	v_add_co_u32 v147, vcc_lo, v0, v4
	;; [unrolled: 2-line block ×45, first 2 shown]
	v_add_co_ci_u32_e32 v13, vcc_lo, v104, v95, vcc_lo
	v_add_nc_u32_e32 v4, s2, v102
	v_add_co_u32 v10, vcc_lo, v0, v96
	v_add_co_ci_u32_e32 v11, vcc_lo, v104, v97, vcc_lo
	v_add_co_u32 v14, vcc_lo, v0, v98
	v_lshlrev_b64 v[6:7], 4, v[102:103]
	v_add_nc_u32_e32 v8, s2, v4
	v_add_co_ci_u32_e32 v15, vcc_lo, v104, v99, vcc_lo
	v_ashrrev_i32_e32 v5, 31, v4
	v_add_co_u32 v22, vcc_lo, v0, v2
	v_add_co_ci_u32_e32 v23, vcc_lo, v104, v3, vcc_lo
	v_add_co_u32 v20, vcc_lo, v0, v6
	v_add_nc_u32_e32 v6, s2, v8
	v_lshlrev_b64 v[2:3], 4, v[4:5]
	v_ashrrev_i32_e32 v9, 31, v8
	v_add_co_ci_u32_e32 v21, vcc_lo, v104, v7, vcc_lo
	s_delay_alu instid0(VALU_DEP_4) | instskip(NEXT) | instid1(VALU_DEP_3)
	v_ashrrev_i32_e32 v7, 31, v6
	v_lshlrev_b64 v[4:5], 4, v[8:9]
	v_add_co_u32 v210, vcc_lo, v0, v2
	v_add_co_ci_u32_e32 v211, vcc_lo, v104, v3, vcc_lo
	s_delay_alu instid0(VALU_DEP_4) | instskip(NEXT) | instid1(VALU_DEP_4)
	v_lshlrev_b64 v[2:3], 4, v[6:7]
	v_add_co_u32 v208, vcc_lo, v0, v4
	v_add_co_ci_u32_e32 v209, vcc_lo, v104, v5, vcc_lo
	s_delay_alu instid0(VALU_DEP_3) | instskip(SKIP_2) | instid1(VALU_DEP_2)
	v_add_co_u32 v7, vcc_lo, v0, v2
	v_add_nc_u32_e32 v2, s2, v6
	v_add_co_ci_u32_e32 v8, vcc_lo, v104, v3, vcc_lo
	v_ashrrev_i32_e32 v3, 31, v2
	s_delay_alu instid0(VALU_DEP_1) | instskip(SKIP_2) | instid1(VALU_DEP_2)
	v_lshlrev_b64 v[3:4], 4, v[2:3]
	v_add_nc_u32_e32 v2, s2, v2
	s_lshl_b64 s[2:3], s[2:3], 4
	v_add_co_u32 v5, vcc_lo, v0, v3
	s_delay_alu instid0(VALU_DEP_2) | instskip(NEXT) | instid1(VALU_DEP_4)
	v_ashrrev_i32_e32 v3, 31, v2
	v_add_co_ci_u32_e32 v6, vcc_lo, v104, v4, vcc_lo
	s_delay_alu instid0(VALU_DEP_2) | instskip(NEXT) | instid1(VALU_DEP_1)
	v_lshlrev_b64 v[2:3], 4, v[2:3]
	v_add_co_u32 v212, vcc_lo, v0, v2
	v_lshlrev_b32_e32 v2, 4, v248
	s_delay_alu instid0(VALU_DEP_3) | instskip(NEXT) | instid1(VALU_DEP_2)
	v_add_co_ci_u32_e32 v213, vcc_lo, v104, v3, vcc_lo
	v_add_co_u32 v2, vcc_lo, v0, v2
	v_add_co_ci_u32_e32 v3, vcc_lo, 0, v104, vcc_lo
	v_lshlrev_b32_e32 v0, 4, v1
	s_delay_alu instid0(VALU_DEP_3) | instskip(NEXT) | instid1(VALU_DEP_3)
	v_add_co_u32 v58, vcc_lo, v2, s2
	v_add_co_ci_u32_e32 v59, vcc_lo, s3, v3, vcc_lo
	s_delay_alu instid0(VALU_DEP_3)
	v_add3_u32 v251, 0, s8, v0
	scratch_store_b64 off, v[2:3], off offset:512 ; 8-byte Folded Spill
	global_load_b128 v[0:3], v[2:3], off
	v_cmp_ne_u32_e64 s3, 0, v248
	v_cmp_eq_u32_e64 s2, 0, v248
	s_waitcnt vmcnt(0)
	s_clause 0x1
	scratch_store_b128 off, v[0:3], off offset:64
	scratch_store_b64 off, v[58:59], off offset:520
	global_load_b128 v[0:3], v[58:59], off
	s_waitcnt vmcnt(0)
	s_clause 0x1
	scratch_store_b128 off, v[0:3], off offset:48
	scratch_store_b64 off, v[151:152], off offset:504
	global_load_b128 v[0:3], v[151:152], off
	;; [unrolled: 5-line block ×4, first 2 shown]
	s_waitcnt vmcnt(0)
	s_clause 0x1
	scratch_store_b128 off, v[0:3], off
	scratch_store_b64 off, v[145:146], off offset:480
	s_clause 0x1
	global_load_b128 v[204:207], v[145:146], off
	global_load_b128 v[0:3], v[212:213], off
	s_clause 0x1
	scratch_store_b64 off, v[143:144], off offset:472
	scratch_store_b64 off, v[60:61], off offset:1056
	s_clause 0x1
	global_load_b128 v[200:203], v[143:144], off
	global_load_b128 v[196:199], v[141:142], off
	s_clause 0x4
	scratch_store_b64 off, v[141:142], off offset:464
	scratch_store_b64 off, v[139:140], off offset:456
	;; [unrolled: 1-line block ×5, first 2 shown]
	s_clause 0x3
	global_load_b128 v[192:195], v[139:140], off
	global_load_b128 v[188:191], v[137:138], off
	global_load_b128 v[184:187], v[135:136], off
	global_load_b128 v[180:183], v[133:134], off
	s_clause 0x3
	scratch_store_b64 off, v[131:132], off offset:424
	scratch_store_b64 off, v[129:130], off offset:416
	scratch_store_b64 off, v[127:128], off offset:408
	scratch_store_b64 off, v[125:126], off offset:400
	s_clause 0x3
	global_load_b128 v[176:179], v[131:132], off
	global_load_b128 v[172:175], v[129:130], off
	global_load_b128 v[168:171], v[127:128], off
	global_load_b128 v[164:167], v[125:126], off
	s_clause 0x3
	scratch_store_b64 off, v[123:124], off offset:392
	scratch_store_b64 off, v[121:122], off offset:384
	scratch_store_b64 off, v[119:120], off offset:376
	scratch_store_b64 off, v[117:118], off offset:368
	;; [unrolled: 10-line block ×4, first 2 shown]
	s_clause 0x5
	global_load_b128 v[128:131], v[107:108], off
	global_load_b128 v[124:127], v[105:106], off
	;; [unrolled: 1-line block ×6, first 2 shown]
	s_clause 0x3
	scratch_store_b64 off, v[54:55], off offset:296
	scratch_store_b64 off, v[52:53], off offset:288
	scratch_store_b64 off, v[50:51], off offset:280
	scratch_store_b64 off, v[48:49], off offset:272
	s_clause 0x3
	global_load_b128 v[108:111], v[52:53], off
	global_load_b128 v[104:107], v[50:51], off
	global_load_b128 v[100:103], v[48:49], off
	global_load_b128 v[96:99], v[46:47], off
	s_clause 0x3
	scratch_store_b64 off, v[46:47], off offset:264
	scratch_store_b64 off, v[44:45], off offset:256
	scratch_store_b64 off, v[42:43], off offset:248
	scratch_store_b64 off, v[40:41], off offset:240
	s_clause 0x3
	global_load_b128 v[92:95], v[44:45], off
	global_load_b128 v[88:91], v[42:43], off
	global_load_b128 v[84:87], v[40:41], off
	global_load_b128 v[80:83], v[38:39], off
	;; [unrolled: 10-line block ×3, first 2 shown]
	s_clause 0x2
	scratch_store_b64 off, v[28:29], off offset:184
	scratch_store_b64 off, v[212:213], off offset:192
	;; [unrolled: 1-line block ×3, first 2 shown]
	s_clause 0x2
	global_load_b128 v[56:59], v[28:29], off
	global_load_b128 v[52:55], v[26:27], off
	;; [unrolled: 1-line block ×3, first 2 shown]
	s_clause 0x6
	scratch_store_b64 off, v[24:25], off offset:144
	scratch_store_b64 off, v[208:209], off offset:152
	;; [unrolled: 1-line block ×7, first 2 shown]
	s_clause 0x2
	global_load_b128 v[44:47], v[18:19], off
	global_load_b128 v[40:43], v[16:17], off
	;; [unrolled: 1-line block ×3, first 2 shown]
	s_clause 0x2
	scratch_store_b64 off, v[12:13], off offset:88
	scratch_store_b64 off, v[14:15], off offset:96
	;; [unrolled: 1-line block ×3, first 2 shown]
	global_load_b128 v[36:39], v[12:13], off
	s_clause 0x1
	scratch_store_b64 off, v[10:11], off offset:80
	scratch_store_b64 off, v[22:23], off offset:136
	s_clause 0x4
	global_load_b128 v[24:27], v[22:23], off
	global_load_b128 v[28:31], v[14:15], off
	;; [unrolled: 1-line block ×5, first 2 shown]
	scratch_store_b64 off, v[5:6], off offset:176 ; 8-byte Folded Spill
	s_clause 0x1
	global_load_b128 v[4:7], v[5:6], off
	global_load_b128 v[12:15], v[208:209], off
	s_and_saveexec_b32 s5, s2
	s_cbranch_execz .LBB113_8
; %bb.2:
	scratch_load_b128 v[208:211], off, off offset:64 ; 16-byte Folded Reload
	s_waitcnt vmcnt(0)
	ds_store_2addr_b64 v251, v[208:209], v[210:211] offset1:1
	scratch_load_b128 v[208:211], off, off offset:48 ; 16-byte Folded Reload
	s_waitcnt vmcnt(0)
	ds_store_2addr_b64 v214, v[208:209], v[210:211] offset0:2 offset1:3
	scratch_load_b128 v[208:211], off, off offset:32 ; 16-byte Folded Reload
	s_waitcnt vmcnt(0)
	ds_store_2addr_b64 v214, v[208:209], v[210:211] offset0:4 offset1:5
	;; [unrolled: 3-line block ×3, first 2 shown]
	scratch_load_b128 v[208:211], off, off  ; 16-byte Folded Reload
	s_waitcnt vmcnt(0)
	ds_store_2addr_b64 v214, v[208:209], v[210:211] offset0:8 offset1:9
	ds_store_2addr_b64 v214, v[204:205], v[206:207] offset0:10 offset1:11
	;; [unrolled: 1-line block ×53, first 2 shown]
	ds_load_2addr_b64 v[216:219], v251 offset1:1
	s_waitcnt lgkmcnt(0)
	v_cmp_neq_f64_e32 vcc_lo, 0, v[216:217]
	v_cmp_neq_f64_e64 s4, 0, v[218:219]
	s_delay_alu instid0(VALU_DEP_1) | instskip(NEXT) | instid1(SALU_CYCLE_1)
	s_or_b32 s4, vcc_lo, s4
	s_and_b32 exec_lo, exec_lo, s4
	s_cbranch_execz .LBB113_8
; %bb.3:
	v_cmp_gt_f64_e32 vcc_lo, 0, v[216:217]
	v_xor_b32_e32 v208, 0x80000000, v217
	s_delay_alu instid0(VALU_DEP_1) | instskip(SKIP_3) | instid1(VALU_DEP_1)
	v_cndmask_b32_e32 v213, v217, v208, vcc_lo
	v_cndmask_b32_e32 v212, v216, v216, vcc_lo
	v_cmp_gt_f64_e32 vcc_lo, 0, v[218:219]
	v_xor_b32_e32 v208, 0x80000000, v219
	v_dual_cndmask_b32 v220, v218, v218 :: v_dual_cndmask_b32 v221, v219, v208
	s_delay_alu instid0(VALU_DEP_1) | instskip(SKIP_1) | instid1(SALU_CYCLE_1)
	v_cmp_ngt_f64_e32 vcc_lo, v[212:213], v[220:221]
                                        ; implicit-def: $vgpr212_vgpr213
	s_and_saveexec_b32 s4, vcc_lo
	s_xor_b32 s4, exec_lo, s4
                                        ; implicit-def: $vgpr220_vgpr221_vgpr222_vgpr223
	s_cbranch_execz .LBB113_5
; %bb.4:
	v_div_scale_f64 v[212:213], null, v[218:219], v[218:219], v[216:217]
	v_div_scale_f64 v[224:225], vcc_lo, v[216:217], v[218:219], v[216:217]
	s_delay_alu instid0(VALU_DEP_2) | instskip(SKIP_2) | instid1(VALU_DEP_1)
	v_rcp_f64_e32 v[220:221], v[212:213]
	s_waitcnt_depctr 0xfff
	v_fma_f64 v[222:223], -v[212:213], v[220:221], 1.0
	v_fma_f64 v[220:221], v[220:221], v[222:223], v[220:221]
	s_delay_alu instid0(VALU_DEP_1) | instskip(NEXT) | instid1(VALU_DEP_1)
	v_fma_f64 v[222:223], -v[212:213], v[220:221], 1.0
	v_fma_f64 v[220:221], v[220:221], v[222:223], v[220:221]
	s_delay_alu instid0(VALU_DEP_1) | instskip(NEXT) | instid1(VALU_DEP_1)
	v_mul_f64 v[222:223], v[224:225], v[220:221]
	v_fma_f64 v[212:213], -v[212:213], v[222:223], v[224:225]
	s_delay_alu instid0(VALU_DEP_1) | instskip(NEXT) | instid1(VALU_DEP_1)
	v_div_fmas_f64 v[212:213], v[212:213], v[220:221], v[222:223]
	v_div_fixup_f64 v[212:213], v[212:213], v[218:219], v[216:217]
	s_delay_alu instid0(VALU_DEP_1) | instskip(NEXT) | instid1(VALU_DEP_1)
	v_fma_f64 v[216:217], v[216:217], v[212:213], v[218:219]
	v_div_scale_f64 v[218:219], null, v[216:217], v[216:217], 1.0
	s_delay_alu instid0(VALU_DEP_1) | instskip(SKIP_2) | instid1(VALU_DEP_1)
	v_rcp_f64_e32 v[220:221], v[218:219]
	s_waitcnt_depctr 0xfff
	v_fma_f64 v[222:223], -v[218:219], v[220:221], 1.0
	v_fma_f64 v[220:221], v[220:221], v[222:223], v[220:221]
	s_delay_alu instid0(VALU_DEP_1) | instskip(NEXT) | instid1(VALU_DEP_1)
	v_fma_f64 v[222:223], -v[218:219], v[220:221], 1.0
	v_fma_f64 v[220:221], v[220:221], v[222:223], v[220:221]
	v_div_scale_f64 v[222:223], vcc_lo, 1.0, v[216:217], 1.0
	s_delay_alu instid0(VALU_DEP_1) | instskip(NEXT) | instid1(VALU_DEP_1)
	v_mul_f64 v[224:225], v[222:223], v[220:221]
	v_fma_f64 v[218:219], -v[218:219], v[224:225], v[222:223]
	s_delay_alu instid0(VALU_DEP_1) | instskip(NEXT) | instid1(VALU_DEP_1)
	v_div_fmas_f64 v[218:219], v[218:219], v[220:221], v[224:225]
	v_div_fixup_f64 v[222:223], v[218:219], v[216:217], 1.0
                                        ; implicit-def: $vgpr216_vgpr217
	s_delay_alu instid0(VALU_DEP_1)
	v_mul_f64 v[212:213], v[212:213], v[222:223]
	v_xor_b32_e32 v223, 0x80000000, v223
.LBB113_5:
	s_and_not1_saveexec_b32 s4, s4
	s_cbranch_execz .LBB113_7
; %bb.6:
	v_div_scale_f64 v[212:213], null, v[216:217], v[216:217], v[218:219]
	v_div_scale_f64 v[224:225], vcc_lo, v[218:219], v[216:217], v[218:219]
	s_delay_alu instid0(VALU_DEP_2) | instskip(SKIP_2) | instid1(VALU_DEP_1)
	v_rcp_f64_e32 v[220:221], v[212:213]
	s_waitcnt_depctr 0xfff
	v_fma_f64 v[222:223], -v[212:213], v[220:221], 1.0
	v_fma_f64 v[220:221], v[220:221], v[222:223], v[220:221]
	s_delay_alu instid0(VALU_DEP_1) | instskip(NEXT) | instid1(VALU_DEP_1)
	v_fma_f64 v[222:223], -v[212:213], v[220:221], 1.0
	v_fma_f64 v[220:221], v[220:221], v[222:223], v[220:221]
	s_delay_alu instid0(VALU_DEP_1) | instskip(NEXT) | instid1(VALU_DEP_1)
	v_mul_f64 v[222:223], v[224:225], v[220:221]
	v_fma_f64 v[212:213], -v[212:213], v[222:223], v[224:225]
	s_delay_alu instid0(VALU_DEP_1) | instskip(NEXT) | instid1(VALU_DEP_1)
	v_div_fmas_f64 v[212:213], v[212:213], v[220:221], v[222:223]
	v_div_fixup_f64 v[220:221], v[212:213], v[216:217], v[218:219]
	s_delay_alu instid0(VALU_DEP_1) | instskip(NEXT) | instid1(VALU_DEP_1)
	v_fma_f64 v[212:213], v[218:219], v[220:221], v[216:217]
	v_div_scale_f64 v[216:217], null, v[212:213], v[212:213], 1.0
	s_delay_alu instid0(VALU_DEP_1) | instskip(SKIP_2) | instid1(VALU_DEP_1)
	v_rcp_f64_e32 v[218:219], v[216:217]
	s_waitcnt_depctr 0xfff
	v_fma_f64 v[222:223], -v[216:217], v[218:219], 1.0
	v_fma_f64 v[218:219], v[218:219], v[222:223], v[218:219]
	s_delay_alu instid0(VALU_DEP_1) | instskip(NEXT) | instid1(VALU_DEP_1)
	v_fma_f64 v[222:223], -v[216:217], v[218:219], 1.0
	v_fma_f64 v[218:219], v[218:219], v[222:223], v[218:219]
	v_div_scale_f64 v[222:223], vcc_lo, 1.0, v[212:213], 1.0
	s_delay_alu instid0(VALU_DEP_1) | instskip(NEXT) | instid1(VALU_DEP_1)
	v_mul_f64 v[224:225], v[222:223], v[218:219]
	v_fma_f64 v[216:217], -v[216:217], v[224:225], v[222:223]
	s_delay_alu instid0(VALU_DEP_1) | instskip(NEXT) | instid1(VALU_DEP_1)
	v_div_fmas_f64 v[216:217], v[216:217], v[218:219], v[224:225]
	v_div_fixup_f64 v[212:213], v[216:217], v[212:213], 1.0
	s_delay_alu instid0(VALU_DEP_1)
	v_mul_f64 v[222:223], v[220:221], -v[212:213]
.LBB113_7:
	s_or_b32 exec_lo, exec_lo, s4
	ds_store_2addr_b64 v251, v[212:213], v[222:223] offset1:1
.LBB113_8:
	s_or_b32 exec_lo, exec_lo, s5
	s_waitcnt vmcnt(0) lgkmcnt(0)
	s_waitcnt_vscnt null, 0x0
	s_barrier
	buffer_gl0_inv
	ds_load_2addr_b64 v[208:211], v251 offset1:1
	s_waitcnt lgkmcnt(0)
	scratch_store_b128 off, v[208:211], off offset:528 ; 16-byte Folded Spill
	s_and_saveexec_b32 s4, s3
	s_cbranch_execz .LBB113_10
; %bb.9:
	s_clause 0x1
	scratch_load_b128 v[220:223], off, off offset:64
	scratch_load_b128 v[208:211], off, off offset:528
	s_waitcnt vmcnt(0)
	v_mul_f64 v[212:213], v[210:211], v[222:223]
	s_delay_alu instid0(VALU_DEP_1) | instskip(SKIP_1) | instid1(VALU_DEP_1)
	v_fma_f64 v[216:217], v[208:209], v[220:221], -v[212:213]
	v_mul_f64 v[212:213], v[208:209], v[222:223]
	v_fma_f64 v[222:223], v[210:211], v[220:221], v[212:213]
	scratch_load_b128 v[208:211], off, off offset:48 ; 16-byte Folded Reload
	ds_load_2addr_b64 v[218:221], v214 offset0:2 offset1:3
	s_waitcnt lgkmcnt(0)
	v_mul_f64 v[212:213], v[220:221], v[222:223]
	s_delay_alu instid0(VALU_DEP_1) | instskip(SKIP_1) | instid1(VALU_DEP_1)
	v_fma_f64 v[212:213], v[218:219], v[216:217], -v[212:213]
	v_mul_f64 v[218:219], v[218:219], v[222:223]
	v_fma_f64 v[218:219], v[220:221], v[216:217], v[218:219]
	s_waitcnt vmcnt(0)
	s_delay_alu instid0(VALU_DEP_3) | instskip(NEXT) | instid1(VALU_DEP_2)
	v_add_f64 v[208:209], v[208:209], -v[212:213]
	v_add_f64 v[210:211], v[210:211], -v[218:219]
	ds_load_2addr_b64 v[218:221], v214 offset0:4 offset1:5
	s_waitcnt lgkmcnt(0)
	v_mul_f64 v[212:213], v[220:221], v[222:223]
	scratch_store_b128 off, v[208:211], off offset:48 ; 16-byte Folded Spill
	scratch_load_b128 v[208:211], off, off offset:32 ; 16-byte Folded Reload
	v_fma_f64 v[212:213], v[218:219], v[216:217], -v[212:213]
	v_mul_f64 v[218:219], v[218:219], v[222:223]
	s_delay_alu instid0(VALU_DEP_1) | instskip(SKIP_1) | instid1(VALU_DEP_3)
	v_fma_f64 v[218:219], v[220:221], v[216:217], v[218:219]
	s_waitcnt vmcnt(0)
	v_add_f64 v[208:209], v[208:209], -v[212:213]
	s_delay_alu instid0(VALU_DEP_2)
	v_add_f64 v[210:211], v[210:211], -v[218:219]
	ds_load_2addr_b64 v[218:221], v214 offset0:6 offset1:7
	s_waitcnt lgkmcnt(0)
	v_mul_f64 v[212:213], v[220:221], v[222:223]
	scratch_store_b128 off, v[208:211], off offset:32 ; 16-byte Folded Spill
	scratch_load_b128 v[208:211], off, off offset:16 ; 16-byte Folded Reload
	v_fma_f64 v[212:213], v[218:219], v[216:217], -v[212:213]
	v_mul_f64 v[218:219], v[218:219], v[222:223]
	s_delay_alu instid0(VALU_DEP_1) | instskip(SKIP_1) | instid1(VALU_DEP_3)
	v_fma_f64 v[218:219], v[220:221], v[216:217], v[218:219]
	s_waitcnt vmcnt(0)
	v_add_f64 v[208:209], v[208:209], -v[212:213]
	s_delay_alu instid0(VALU_DEP_2)
	v_add_f64 v[210:211], v[210:211], -v[218:219]
	ds_load_2addr_b64 v[218:221], v214 offset0:8 offset1:9
	s_waitcnt lgkmcnt(0)
	v_mul_f64 v[212:213], v[220:221], v[222:223]
	scratch_store_b128 off, v[208:211], off offset:16 ; 16-byte Folded Spill
	scratch_load_b128 v[208:211], off, off  ; 16-byte Folded Reload
	v_fma_f64 v[212:213], v[218:219], v[216:217], -v[212:213]
	v_mul_f64 v[218:219], v[218:219], v[222:223]
	s_delay_alu instid0(VALU_DEP_1) | instskip(SKIP_1) | instid1(VALU_DEP_1)
	v_fma_f64 v[218:219], v[220:221], v[216:217], v[218:219]
	s_waitcnt vmcnt(0)
	v_add_f64 v[210:211], v[210:211], -v[218:219]
	ds_load_2addr_b64 v[218:221], v214 offset0:10 offset1:11
	v_add_f64 v[208:209], v[208:209], -v[212:213]
	s_waitcnt lgkmcnt(0)
	v_mul_f64 v[212:213], v[220:221], v[222:223]
	s_delay_alu instid0(VALU_DEP_1) | instskip(SKIP_1) | instid1(VALU_DEP_2)
	v_fma_f64 v[212:213], v[218:219], v[216:217], -v[212:213]
	v_mul_f64 v[218:219], v[218:219], v[222:223]
	v_add_f64 v[204:205], v[204:205], -v[212:213]
	s_delay_alu instid0(VALU_DEP_2) | instskip(NEXT) | instid1(VALU_DEP_1)
	v_fma_f64 v[218:219], v[220:221], v[216:217], v[218:219]
	v_add_f64 v[206:207], v[206:207], -v[218:219]
	ds_load_2addr_b64 v[218:221], v214 offset0:12 offset1:13
	s_waitcnt lgkmcnt(0)
	v_mul_f64 v[212:213], v[220:221], v[222:223]
	s_delay_alu instid0(VALU_DEP_1) | instskip(SKIP_1) | instid1(VALU_DEP_2)
	v_fma_f64 v[212:213], v[218:219], v[216:217], -v[212:213]
	v_mul_f64 v[218:219], v[218:219], v[222:223]
	v_add_f64 v[200:201], v[200:201], -v[212:213]
	s_delay_alu instid0(VALU_DEP_2) | instskip(NEXT) | instid1(VALU_DEP_1)
	v_fma_f64 v[218:219], v[220:221], v[216:217], v[218:219]
	v_add_f64 v[202:203], v[202:203], -v[218:219]
	ds_load_2addr_b64 v[218:221], v214 offset0:14 offset1:15
	;; [unrolled: 10-line block ×51, first 2 shown]
	s_waitcnt lgkmcnt(0)
	v_mul_f64 v[212:213], v[220:221], v[222:223]
	s_delay_alu instid0(VALU_DEP_1) | instskip(SKIP_1) | instid1(VALU_DEP_2)
	v_fma_f64 v[212:213], v[218:219], v[216:217], -v[212:213]
	v_mul_f64 v[218:219], v[218:219], v[222:223]
	v_add_f64 v[0:1], v[0:1], -v[212:213]
	s_delay_alu instid0(VALU_DEP_2)
	v_fma_f64 v[218:219], v[220:221], v[216:217], v[218:219]
	v_dual_mov_b32 v221, v217 :: v_dual_mov_b32 v220, v216
	s_clause 0x1
	scratch_store_b128 off, v[208:211], off
	scratch_store_b128 off, v[220:223], off offset:64
	v_add_f64 v[2:3], v[2:3], -v[218:219]
.LBB113_10:
	s_or_b32 exec_lo, exec_lo, s4
	s_delay_alu instid0(SALU_CYCLE_1)
	s_mov_b32 s4, exec_lo
	s_waitcnt_vscnt null, 0x0
	s_barrier
	buffer_gl0_inv
	v_cmpx_eq_u32_e32 1, v248
	s_cbranch_execz .LBB113_17
; %bb.11:
	scratch_load_b128 v[208:211], off, off offset:48 ; 16-byte Folded Reload
	s_waitcnt vmcnt(0)
	ds_store_2addr_b64 v251, v[208:209], v[210:211] offset1:1
	scratch_load_b128 v[208:211], off, off offset:32 ; 16-byte Folded Reload
	s_waitcnt vmcnt(0)
	ds_store_2addr_b64 v214, v[208:209], v[210:211] offset0:4 offset1:5
	scratch_load_b128 v[208:211], off, off offset:16 ; 16-byte Folded Reload
	s_waitcnt vmcnt(0)
	ds_store_2addr_b64 v214, v[208:209], v[210:211] offset0:6 offset1:7
	scratch_load_b128 v[208:211], off, off  ; 16-byte Folded Reload
	s_waitcnt vmcnt(0)
	ds_store_2addr_b64 v214, v[208:209], v[210:211] offset0:8 offset1:9
	ds_store_2addr_b64 v214, v[204:205], v[206:207] offset0:10 offset1:11
	;; [unrolled: 1-line block ×53, first 2 shown]
	ds_load_2addr_b64 v[216:219], v251 offset1:1
	s_waitcnt lgkmcnt(0)
	v_cmp_neq_f64_e32 vcc_lo, 0, v[216:217]
	v_cmp_neq_f64_e64 s3, 0, v[218:219]
	s_delay_alu instid0(VALU_DEP_1) | instskip(NEXT) | instid1(SALU_CYCLE_1)
	s_or_b32 s3, vcc_lo, s3
	s_and_b32 exec_lo, exec_lo, s3
	s_cbranch_execz .LBB113_17
; %bb.12:
	v_cmp_gt_f64_e32 vcc_lo, 0, v[216:217]
	v_xor_b32_e32 v208, 0x80000000, v217
	s_delay_alu instid0(VALU_DEP_1) | instskip(SKIP_3) | instid1(VALU_DEP_1)
	v_cndmask_b32_e32 v213, v217, v208, vcc_lo
	v_cndmask_b32_e32 v212, v216, v216, vcc_lo
	v_cmp_gt_f64_e32 vcc_lo, 0, v[218:219]
	v_xor_b32_e32 v208, 0x80000000, v219
	v_dual_cndmask_b32 v220, v218, v218 :: v_dual_cndmask_b32 v221, v219, v208
	s_delay_alu instid0(VALU_DEP_1) | instskip(SKIP_1) | instid1(SALU_CYCLE_1)
	v_cmp_ngt_f64_e32 vcc_lo, v[212:213], v[220:221]
                                        ; implicit-def: $vgpr212_vgpr213
	s_and_saveexec_b32 s3, vcc_lo
	s_xor_b32 s3, exec_lo, s3
                                        ; implicit-def: $vgpr220_vgpr221_vgpr222_vgpr223
	s_cbranch_execz .LBB113_14
; %bb.13:
	v_div_scale_f64 v[212:213], null, v[218:219], v[218:219], v[216:217]
	v_div_scale_f64 v[224:225], vcc_lo, v[216:217], v[218:219], v[216:217]
	s_delay_alu instid0(VALU_DEP_2) | instskip(SKIP_2) | instid1(VALU_DEP_1)
	v_rcp_f64_e32 v[220:221], v[212:213]
	s_waitcnt_depctr 0xfff
	v_fma_f64 v[222:223], -v[212:213], v[220:221], 1.0
	v_fma_f64 v[220:221], v[220:221], v[222:223], v[220:221]
	s_delay_alu instid0(VALU_DEP_1) | instskip(NEXT) | instid1(VALU_DEP_1)
	v_fma_f64 v[222:223], -v[212:213], v[220:221], 1.0
	v_fma_f64 v[220:221], v[220:221], v[222:223], v[220:221]
	s_delay_alu instid0(VALU_DEP_1) | instskip(NEXT) | instid1(VALU_DEP_1)
	v_mul_f64 v[222:223], v[224:225], v[220:221]
	v_fma_f64 v[212:213], -v[212:213], v[222:223], v[224:225]
	s_delay_alu instid0(VALU_DEP_1) | instskip(NEXT) | instid1(VALU_DEP_1)
	v_div_fmas_f64 v[212:213], v[212:213], v[220:221], v[222:223]
	v_div_fixup_f64 v[212:213], v[212:213], v[218:219], v[216:217]
	s_delay_alu instid0(VALU_DEP_1) | instskip(NEXT) | instid1(VALU_DEP_1)
	v_fma_f64 v[216:217], v[216:217], v[212:213], v[218:219]
	v_div_scale_f64 v[218:219], null, v[216:217], v[216:217], 1.0
	s_delay_alu instid0(VALU_DEP_1) | instskip(SKIP_2) | instid1(VALU_DEP_1)
	v_rcp_f64_e32 v[220:221], v[218:219]
	s_waitcnt_depctr 0xfff
	v_fma_f64 v[222:223], -v[218:219], v[220:221], 1.0
	v_fma_f64 v[220:221], v[220:221], v[222:223], v[220:221]
	s_delay_alu instid0(VALU_DEP_1) | instskip(NEXT) | instid1(VALU_DEP_1)
	v_fma_f64 v[222:223], -v[218:219], v[220:221], 1.0
	v_fma_f64 v[220:221], v[220:221], v[222:223], v[220:221]
	v_div_scale_f64 v[222:223], vcc_lo, 1.0, v[216:217], 1.0
	s_delay_alu instid0(VALU_DEP_1) | instskip(NEXT) | instid1(VALU_DEP_1)
	v_mul_f64 v[224:225], v[222:223], v[220:221]
	v_fma_f64 v[218:219], -v[218:219], v[224:225], v[222:223]
	s_delay_alu instid0(VALU_DEP_1) | instskip(NEXT) | instid1(VALU_DEP_1)
	v_div_fmas_f64 v[218:219], v[218:219], v[220:221], v[224:225]
	v_div_fixup_f64 v[222:223], v[218:219], v[216:217], 1.0
                                        ; implicit-def: $vgpr216_vgpr217
	s_delay_alu instid0(VALU_DEP_1)
	v_mul_f64 v[212:213], v[212:213], v[222:223]
	v_xor_b32_e32 v223, 0x80000000, v223
.LBB113_14:
	s_and_not1_saveexec_b32 s3, s3
	s_cbranch_execz .LBB113_16
; %bb.15:
	v_div_scale_f64 v[212:213], null, v[216:217], v[216:217], v[218:219]
	v_div_scale_f64 v[224:225], vcc_lo, v[218:219], v[216:217], v[218:219]
	s_delay_alu instid0(VALU_DEP_2) | instskip(SKIP_2) | instid1(VALU_DEP_1)
	v_rcp_f64_e32 v[220:221], v[212:213]
	s_waitcnt_depctr 0xfff
	v_fma_f64 v[222:223], -v[212:213], v[220:221], 1.0
	v_fma_f64 v[220:221], v[220:221], v[222:223], v[220:221]
	s_delay_alu instid0(VALU_DEP_1) | instskip(NEXT) | instid1(VALU_DEP_1)
	v_fma_f64 v[222:223], -v[212:213], v[220:221], 1.0
	v_fma_f64 v[220:221], v[220:221], v[222:223], v[220:221]
	s_delay_alu instid0(VALU_DEP_1) | instskip(NEXT) | instid1(VALU_DEP_1)
	v_mul_f64 v[222:223], v[224:225], v[220:221]
	v_fma_f64 v[212:213], -v[212:213], v[222:223], v[224:225]
	s_delay_alu instid0(VALU_DEP_1) | instskip(NEXT) | instid1(VALU_DEP_1)
	v_div_fmas_f64 v[212:213], v[212:213], v[220:221], v[222:223]
	v_div_fixup_f64 v[220:221], v[212:213], v[216:217], v[218:219]
	s_delay_alu instid0(VALU_DEP_1) | instskip(NEXT) | instid1(VALU_DEP_1)
	v_fma_f64 v[212:213], v[218:219], v[220:221], v[216:217]
	v_div_scale_f64 v[216:217], null, v[212:213], v[212:213], 1.0
	s_delay_alu instid0(VALU_DEP_1) | instskip(SKIP_2) | instid1(VALU_DEP_1)
	v_rcp_f64_e32 v[218:219], v[216:217]
	s_waitcnt_depctr 0xfff
	v_fma_f64 v[222:223], -v[216:217], v[218:219], 1.0
	v_fma_f64 v[218:219], v[218:219], v[222:223], v[218:219]
	s_delay_alu instid0(VALU_DEP_1) | instskip(NEXT) | instid1(VALU_DEP_1)
	v_fma_f64 v[222:223], -v[216:217], v[218:219], 1.0
	v_fma_f64 v[218:219], v[218:219], v[222:223], v[218:219]
	v_div_scale_f64 v[222:223], vcc_lo, 1.0, v[212:213], 1.0
	s_delay_alu instid0(VALU_DEP_1) | instskip(NEXT) | instid1(VALU_DEP_1)
	v_mul_f64 v[224:225], v[222:223], v[218:219]
	v_fma_f64 v[216:217], -v[216:217], v[224:225], v[222:223]
	s_delay_alu instid0(VALU_DEP_1) | instskip(NEXT) | instid1(VALU_DEP_1)
	v_div_fmas_f64 v[216:217], v[216:217], v[218:219], v[224:225]
	v_div_fixup_f64 v[212:213], v[216:217], v[212:213], 1.0
	s_delay_alu instid0(VALU_DEP_1)
	v_mul_f64 v[222:223], v[220:221], -v[212:213]
.LBB113_16:
	s_or_b32 exec_lo, exec_lo, s3
	ds_store_2addr_b64 v251, v[212:213], v[222:223] offset1:1
.LBB113_17:
	s_or_b32 exec_lo, exec_lo, s4
	s_waitcnt lgkmcnt(0)
	s_barrier
	buffer_gl0_inv
	ds_load_2addr_b64 v[208:211], v251 offset1:1
	s_mov_b32 s3, exec_lo
	s_waitcnt lgkmcnt(0)
	scratch_store_b128 off, v[208:211], off offset:544 ; 16-byte Folded Spill
	v_cmpx_lt_u32_e32 1, v248
	s_cbranch_execz .LBB113_19
; %bb.18:
	s_clause 0x1
	scratch_load_b128 v[220:223], off, off offset:48
	scratch_load_b128 v[208:211], off, off offset:544
	s_waitcnt vmcnt(0)
	v_mul_f64 v[212:213], v[210:211], v[222:223]
	s_delay_alu instid0(VALU_DEP_1) | instskip(SKIP_1) | instid1(VALU_DEP_1)
	v_fma_f64 v[216:217], v[208:209], v[220:221], -v[212:213]
	v_mul_f64 v[212:213], v[208:209], v[222:223]
	v_fma_f64 v[222:223], v[210:211], v[220:221], v[212:213]
	scratch_load_b128 v[208:211], off, off offset:32 ; 16-byte Folded Reload
	ds_load_2addr_b64 v[218:221], v214 offset0:4 offset1:5
	s_waitcnt lgkmcnt(0)
	v_mul_f64 v[212:213], v[220:221], v[222:223]
	s_delay_alu instid0(VALU_DEP_1) | instskip(SKIP_1) | instid1(VALU_DEP_1)
	v_fma_f64 v[212:213], v[218:219], v[216:217], -v[212:213]
	v_mul_f64 v[218:219], v[218:219], v[222:223]
	v_fma_f64 v[218:219], v[220:221], v[216:217], v[218:219]
	s_waitcnt vmcnt(0)
	s_delay_alu instid0(VALU_DEP_3) | instskip(NEXT) | instid1(VALU_DEP_2)
	v_add_f64 v[208:209], v[208:209], -v[212:213]
	v_add_f64 v[210:211], v[210:211], -v[218:219]
	ds_load_2addr_b64 v[218:221], v214 offset0:6 offset1:7
	s_waitcnt lgkmcnt(0)
	v_mul_f64 v[212:213], v[220:221], v[222:223]
	scratch_store_b128 off, v[208:211], off offset:32 ; 16-byte Folded Spill
	scratch_load_b128 v[208:211], off, off offset:16 ; 16-byte Folded Reload
	v_fma_f64 v[212:213], v[218:219], v[216:217], -v[212:213]
	v_mul_f64 v[218:219], v[218:219], v[222:223]
	s_delay_alu instid0(VALU_DEP_1) | instskip(SKIP_1) | instid1(VALU_DEP_3)
	v_fma_f64 v[218:219], v[220:221], v[216:217], v[218:219]
	s_waitcnt vmcnt(0)
	v_add_f64 v[208:209], v[208:209], -v[212:213]
	s_delay_alu instid0(VALU_DEP_2)
	v_add_f64 v[210:211], v[210:211], -v[218:219]
	ds_load_2addr_b64 v[218:221], v214 offset0:8 offset1:9
	s_waitcnt lgkmcnt(0)
	v_mul_f64 v[212:213], v[220:221], v[222:223]
	scratch_store_b128 off, v[208:211], off offset:16 ; 16-byte Folded Spill
	scratch_load_b128 v[208:211], off, off  ; 16-byte Folded Reload
	v_fma_f64 v[212:213], v[218:219], v[216:217], -v[212:213]
	v_mul_f64 v[218:219], v[218:219], v[222:223]
	s_delay_alu instid0(VALU_DEP_1) | instskip(SKIP_1) | instid1(VALU_DEP_1)
	v_fma_f64 v[218:219], v[220:221], v[216:217], v[218:219]
	s_waitcnt vmcnt(0)
	v_add_f64 v[210:211], v[210:211], -v[218:219]
	ds_load_2addr_b64 v[218:221], v214 offset0:10 offset1:11
	v_add_f64 v[208:209], v[208:209], -v[212:213]
	s_waitcnt lgkmcnt(0)
	v_mul_f64 v[212:213], v[220:221], v[222:223]
	s_delay_alu instid0(VALU_DEP_1) | instskip(SKIP_1) | instid1(VALU_DEP_2)
	v_fma_f64 v[212:213], v[218:219], v[216:217], -v[212:213]
	v_mul_f64 v[218:219], v[218:219], v[222:223]
	v_add_f64 v[204:205], v[204:205], -v[212:213]
	s_delay_alu instid0(VALU_DEP_2) | instskip(NEXT) | instid1(VALU_DEP_1)
	v_fma_f64 v[218:219], v[220:221], v[216:217], v[218:219]
	v_add_f64 v[206:207], v[206:207], -v[218:219]
	ds_load_2addr_b64 v[218:221], v214 offset0:12 offset1:13
	s_waitcnt lgkmcnt(0)
	v_mul_f64 v[212:213], v[220:221], v[222:223]
	s_delay_alu instid0(VALU_DEP_1) | instskip(SKIP_1) | instid1(VALU_DEP_2)
	v_fma_f64 v[212:213], v[218:219], v[216:217], -v[212:213]
	v_mul_f64 v[218:219], v[218:219], v[222:223]
	v_add_f64 v[200:201], v[200:201], -v[212:213]
	s_delay_alu instid0(VALU_DEP_2) | instskip(NEXT) | instid1(VALU_DEP_1)
	v_fma_f64 v[218:219], v[220:221], v[216:217], v[218:219]
	v_add_f64 v[202:203], v[202:203], -v[218:219]
	ds_load_2addr_b64 v[218:221], v214 offset0:14 offset1:15
	s_waitcnt lgkmcnt(0)
	v_mul_f64 v[212:213], v[220:221], v[222:223]
	s_delay_alu instid0(VALU_DEP_1) | instskip(SKIP_1) | instid1(VALU_DEP_2)
	v_fma_f64 v[212:213], v[218:219], v[216:217], -v[212:213]
	v_mul_f64 v[218:219], v[218:219], v[222:223]
	v_add_f64 v[196:197], v[196:197], -v[212:213]
	s_delay_alu instid0(VALU_DEP_2) | instskip(NEXT) | instid1(VALU_DEP_1)
	v_fma_f64 v[218:219], v[220:221], v[216:217], v[218:219]
	v_add_f64 v[198:199], v[198:199], -v[218:219]
	ds_load_2addr_b64 v[218:221], v214 offset0:16 offset1:17
	s_waitcnt lgkmcnt(0)
	v_mul_f64 v[212:213], v[220:221], v[222:223]
	s_delay_alu instid0(VALU_DEP_1) | instskip(SKIP_1) | instid1(VALU_DEP_2)
	v_fma_f64 v[212:213], v[218:219], v[216:217], -v[212:213]
	v_mul_f64 v[218:219], v[218:219], v[222:223]
	v_add_f64 v[192:193], v[192:193], -v[212:213]
	s_delay_alu instid0(VALU_DEP_2) | instskip(NEXT) | instid1(VALU_DEP_1)
	v_fma_f64 v[218:219], v[220:221], v[216:217], v[218:219]
	v_add_f64 v[194:195], v[194:195], -v[218:219]
	ds_load_2addr_b64 v[218:221], v214 offset0:18 offset1:19
	s_waitcnt lgkmcnt(0)
	v_mul_f64 v[212:213], v[220:221], v[222:223]
	s_delay_alu instid0(VALU_DEP_1) | instskip(SKIP_1) | instid1(VALU_DEP_2)
	v_fma_f64 v[212:213], v[218:219], v[216:217], -v[212:213]
	v_mul_f64 v[218:219], v[218:219], v[222:223]
	v_add_f64 v[188:189], v[188:189], -v[212:213]
	s_delay_alu instid0(VALU_DEP_2) | instskip(NEXT) | instid1(VALU_DEP_1)
	v_fma_f64 v[218:219], v[220:221], v[216:217], v[218:219]
	v_add_f64 v[190:191], v[190:191], -v[218:219]
	ds_load_2addr_b64 v[218:221], v214 offset0:20 offset1:21
	s_waitcnt lgkmcnt(0)
	v_mul_f64 v[212:213], v[220:221], v[222:223]
	s_delay_alu instid0(VALU_DEP_1) | instskip(SKIP_1) | instid1(VALU_DEP_2)
	v_fma_f64 v[212:213], v[218:219], v[216:217], -v[212:213]
	v_mul_f64 v[218:219], v[218:219], v[222:223]
	v_add_f64 v[184:185], v[184:185], -v[212:213]
	s_delay_alu instid0(VALU_DEP_2) | instskip(NEXT) | instid1(VALU_DEP_1)
	v_fma_f64 v[218:219], v[220:221], v[216:217], v[218:219]
	v_add_f64 v[186:187], v[186:187], -v[218:219]
	ds_load_2addr_b64 v[218:221], v214 offset0:22 offset1:23
	s_waitcnt lgkmcnt(0)
	v_mul_f64 v[212:213], v[220:221], v[222:223]
	s_delay_alu instid0(VALU_DEP_1) | instskip(SKIP_1) | instid1(VALU_DEP_2)
	v_fma_f64 v[212:213], v[218:219], v[216:217], -v[212:213]
	v_mul_f64 v[218:219], v[218:219], v[222:223]
	v_add_f64 v[180:181], v[180:181], -v[212:213]
	s_delay_alu instid0(VALU_DEP_2) | instskip(NEXT) | instid1(VALU_DEP_1)
	v_fma_f64 v[218:219], v[220:221], v[216:217], v[218:219]
	v_add_f64 v[182:183], v[182:183], -v[218:219]
	ds_load_2addr_b64 v[218:221], v214 offset0:24 offset1:25
	s_waitcnt lgkmcnt(0)
	v_mul_f64 v[212:213], v[220:221], v[222:223]
	s_delay_alu instid0(VALU_DEP_1) | instskip(SKIP_1) | instid1(VALU_DEP_2)
	v_fma_f64 v[212:213], v[218:219], v[216:217], -v[212:213]
	v_mul_f64 v[218:219], v[218:219], v[222:223]
	v_add_f64 v[176:177], v[176:177], -v[212:213]
	s_delay_alu instid0(VALU_DEP_2) | instskip(NEXT) | instid1(VALU_DEP_1)
	v_fma_f64 v[218:219], v[220:221], v[216:217], v[218:219]
	v_add_f64 v[178:179], v[178:179], -v[218:219]
	ds_load_2addr_b64 v[218:221], v214 offset0:26 offset1:27
	s_waitcnt lgkmcnt(0)
	v_mul_f64 v[212:213], v[220:221], v[222:223]
	s_delay_alu instid0(VALU_DEP_1) | instskip(SKIP_1) | instid1(VALU_DEP_2)
	v_fma_f64 v[212:213], v[218:219], v[216:217], -v[212:213]
	v_mul_f64 v[218:219], v[218:219], v[222:223]
	v_add_f64 v[172:173], v[172:173], -v[212:213]
	s_delay_alu instid0(VALU_DEP_2) | instskip(NEXT) | instid1(VALU_DEP_1)
	v_fma_f64 v[218:219], v[220:221], v[216:217], v[218:219]
	v_add_f64 v[174:175], v[174:175], -v[218:219]
	ds_load_2addr_b64 v[218:221], v214 offset0:28 offset1:29
	s_waitcnt lgkmcnt(0)
	v_mul_f64 v[212:213], v[220:221], v[222:223]
	s_delay_alu instid0(VALU_DEP_1) | instskip(SKIP_1) | instid1(VALU_DEP_2)
	v_fma_f64 v[212:213], v[218:219], v[216:217], -v[212:213]
	v_mul_f64 v[218:219], v[218:219], v[222:223]
	v_add_f64 v[168:169], v[168:169], -v[212:213]
	s_delay_alu instid0(VALU_DEP_2) | instskip(NEXT) | instid1(VALU_DEP_1)
	v_fma_f64 v[218:219], v[220:221], v[216:217], v[218:219]
	v_add_f64 v[170:171], v[170:171], -v[218:219]
	ds_load_2addr_b64 v[218:221], v214 offset0:30 offset1:31
	s_waitcnt lgkmcnt(0)
	v_mul_f64 v[212:213], v[220:221], v[222:223]
	s_delay_alu instid0(VALU_DEP_1) | instskip(SKIP_1) | instid1(VALU_DEP_2)
	v_fma_f64 v[212:213], v[218:219], v[216:217], -v[212:213]
	v_mul_f64 v[218:219], v[218:219], v[222:223]
	v_add_f64 v[164:165], v[164:165], -v[212:213]
	s_delay_alu instid0(VALU_DEP_2) | instskip(NEXT) | instid1(VALU_DEP_1)
	v_fma_f64 v[218:219], v[220:221], v[216:217], v[218:219]
	v_add_f64 v[166:167], v[166:167], -v[218:219]
	ds_load_2addr_b64 v[218:221], v214 offset0:32 offset1:33
	s_waitcnt lgkmcnt(0)
	v_mul_f64 v[212:213], v[220:221], v[222:223]
	s_delay_alu instid0(VALU_DEP_1) | instskip(SKIP_1) | instid1(VALU_DEP_2)
	v_fma_f64 v[212:213], v[218:219], v[216:217], -v[212:213]
	v_mul_f64 v[218:219], v[218:219], v[222:223]
	v_add_f64 v[160:161], v[160:161], -v[212:213]
	s_delay_alu instid0(VALU_DEP_2) | instskip(NEXT) | instid1(VALU_DEP_1)
	v_fma_f64 v[218:219], v[220:221], v[216:217], v[218:219]
	v_add_f64 v[162:163], v[162:163], -v[218:219]
	ds_load_2addr_b64 v[218:221], v214 offset0:34 offset1:35
	s_waitcnt lgkmcnt(0)
	v_mul_f64 v[212:213], v[220:221], v[222:223]
	s_delay_alu instid0(VALU_DEP_1) | instskip(SKIP_1) | instid1(VALU_DEP_2)
	v_fma_f64 v[212:213], v[218:219], v[216:217], -v[212:213]
	v_mul_f64 v[218:219], v[218:219], v[222:223]
	v_add_f64 v[156:157], v[156:157], -v[212:213]
	s_delay_alu instid0(VALU_DEP_2) | instskip(NEXT) | instid1(VALU_DEP_1)
	v_fma_f64 v[218:219], v[220:221], v[216:217], v[218:219]
	v_add_f64 v[158:159], v[158:159], -v[218:219]
	ds_load_2addr_b64 v[218:221], v214 offset0:36 offset1:37
	s_waitcnt lgkmcnt(0)
	v_mul_f64 v[212:213], v[220:221], v[222:223]
	s_delay_alu instid0(VALU_DEP_1) | instskip(SKIP_1) | instid1(VALU_DEP_2)
	v_fma_f64 v[212:213], v[218:219], v[216:217], -v[212:213]
	v_mul_f64 v[218:219], v[218:219], v[222:223]
	v_add_f64 v[152:153], v[152:153], -v[212:213]
	s_delay_alu instid0(VALU_DEP_2) | instskip(NEXT) | instid1(VALU_DEP_1)
	v_fma_f64 v[218:219], v[220:221], v[216:217], v[218:219]
	v_add_f64 v[154:155], v[154:155], -v[218:219]
	ds_load_2addr_b64 v[218:221], v214 offset0:38 offset1:39
	s_waitcnt lgkmcnt(0)
	v_mul_f64 v[212:213], v[220:221], v[222:223]
	s_delay_alu instid0(VALU_DEP_1) | instskip(SKIP_1) | instid1(VALU_DEP_2)
	v_fma_f64 v[212:213], v[218:219], v[216:217], -v[212:213]
	v_mul_f64 v[218:219], v[218:219], v[222:223]
	v_add_f64 v[148:149], v[148:149], -v[212:213]
	s_delay_alu instid0(VALU_DEP_2) | instskip(NEXT) | instid1(VALU_DEP_1)
	v_fma_f64 v[218:219], v[220:221], v[216:217], v[218:219]
	v_add_f64 v[150:151], v[150:151], -v[218:219]
	ds_load_2addr_b64 v[218:221], v214 offset0:40 offset1:41
	s_waitcnt lgkmcnt(0)
	v_mul_f64 v[212:213], v[220:221], v[222:223]
	s_delay_alu instid0(VALU_DEP_1) | instskip(SKIP_1) | instid1(VALU_DEP_2)
	v_fma_f64 v[212:213], v[218:219], v[216:217], -v[212:213]
	v_mul_f64 v[218:219], v[218:219], v[222:223]
	v_add_f64 v[144:145], v[144:145], -v[212:213]
	s_delay_alu instid0(VALU_DEP_2) | instskip(NEXT) | instid1(VALU_DEP_1)
	v_fma_f64 v[218:219], v[220:221], v[216:217], v[218:219]
	v_add_f64 v[146:147], v[146:147], -v[218:219]
	ds_load_2addr_b64 v[218:221], v214 offset0:42 offset1:43
	s_waitcnt lgkmcnt(0)
	v_mul_f64 v[212:213], v[220:221], v[222:223]
	s_delay_alu instid0(VALU_DEP_1) | instskip(SKIP_1) | instid1(VALU_DEP_2)
	v_fma_f64 v[212:213], v[218:219], v[216:217], -v[212:213]
	v_mul_f64 v[218:219], v[218:219], v[222:223]
	v_add_f64 v[140:141], v[140:141], -v[212:213]
	s_delay_alu instid0(VALU_DEP_2) | instskip(NEXT) | instid1(VALU_DEP_1)
	v_fma_f64 v[218:219], v[220:221], v[216:217], v[218:219]
	v_add_f64 v[142:143], v[142:143], -v[218:219]
	ds_load_2addr_b64 v[218:221], v214 offset0:44 offset1:45
	s_waitcnt lgkmcnt(0)
	v_mul_f64 v[212:213], v[220:221], v[222:223]
	s_delay_alu instid0(VALU_DEP_1) | instskip(SKIP_1) | instid1(VALU_DEP_2)
	v_fma_f64 v[212:213], v[218:219], v[216:217], -v[212:213]
	v_mul_f64 v[218:219], v[218:219], v[222:223]
	v_add_f64 v[136:137], v[136:137], -v[212:213]
	s_delay_alu instid0(VALU_DEP_2) | instskip(NEXT) | instid1(VALU_DEP_1)
	v_fma_f64 v[218:219], v[220:221], v[216:217], v[218:219]
	v_add_f64 v[138:139], v[138:139], -v[218:219]
	ds_load_2addr_b64 v[218:221], v214 offset0:46 offset1:47
	s_waitcnt lgkmcnt(0)
	v_mul_f64 v[212:213], v[220:221], v[222:223]
	s_delay_alu instid0(VALU_DEP_1) | instskip(SKIP_1) | instid1(VALU_DEP_2)
	v_fma_f64 v[212:213], v[218:219], v[216:217], -v[212:213]
	v_mul_f64 v[218:219], v[218:219], v[222:223]
	v_add_f64 v[132:133], v[132:133], -v[212:213]
	s_delay_alu instid0(VALU_DEP_2) | instskip(NEXT) | instid1(VALU_DEP_1)
	v_fma_f64 v[218:219], v[220:221], v[216:217], v[218:219]
	v_add_f64 v[134:135], v[134:135], -v[218:219]
	ds_load_2addr_b64 v[218:221], v214 offset0:48 offset1:49
	s_waitcnt lgkmcnt(0)
	v_mul_f64 v[212:213], v[220:221], v[222:223]
	s_delay_alu instid0(VALU_DEP_1) | instskip(SKIP_1) | instid1(VALU_DEP_2)
	v_fma_f64 v[212:213], v[218:219], v[216:217], -v[212:213]
	v_mul_f64 v[218:219], v[218:219], v[222:223]
	v_add_f64 v[128:129], v[128:129], -v[212:213]
	s_delay_alu instid0(VALU_DEP_2) | instskip(NEXT) | instid1(VALU_DEP_1)
	v_fma_f64 v[218:219], v[220:221], v[216:217], v[218:219]
	v_add_f64 v[130:131], v[130:131], -v[218:219]
	ds_load_2addr_b64 v[218:221], v214 offset0:50 offset1:51
	s_waitcnt lgkmcnt(0)
	v_mul_f64 v[212:213], v[220:221], v[222:223]
	s_delay_alu instid0(VALU_DEP_1) | instskip(SKIP_1) | instid1(VALU_DEP_2)
	v_fma_f64 v[212:213], v[218:219], v[216:217], -v[212:213]
	v_mul_f64 v[218:219], v[218:219], v[222:223]
	v_add_f64 v[124:125], v[124:125], -v[212:213]
	s_delay_alu instid0(VALU_DEP_2) | instskip(NEXT) | instid1(VALU_DEP_1)
	v_fma_f64 v[218:219], v[220:221], v[216:217], v[218:219]
	v_add_f64 v[126:127], v[126:127], -v[218:219]
	ds_load_2addr_b64 v[218:221], v214 offset0:52 offset1:53
	s_waitcnt lgkmcnt(0)
	v_mul_f64 v[212:213], v[220:221], v[222:223]
	s_delay_alu instid0(VALU_DEP_1) | instskip(SKIP_1) | instid1(VALU_DEP_2)
	v_fma_f64 v[212:213], v[218:219], v[216:217], -v[212:213]
	v_mul_f64 v[218:219], v[218:219], v[222:223]
	v_add_f64 v[120:121], v[120:121], -v[212:213]
	s_delay_alu instid0(VALU_DEP_2) | instskip(NEXT) | instid1(VALU_DEP_1)
	v_fma_f64 v[218:219], v[220:221], v[216:217], v[218:219]
	v_add_f64 v[122:123], v[122:123], -v[218:219]
	ds_load_2addr_b64 v[218:221], v214 offset0:54 offset1:55
	s_waitcnt lgkmcnt(0)
	v_mul_f64 v[212:213], v[220:221], v[222:223]
	s_delay_alu instid0(VALU_DEP_1) | instskip(SKIP_1) | instid1(VALU_DEP_2)
	v_fma_f64 v[212:213], v[218:219], v[216:217], -v[212:213]
	v_mul_f64 v[218:219], v[218:219], v[222:223]
	v_add_f64 v[116:117], v[116:117], -v[212:213]
	s_delay_alu instid0(VALU_DEP_2) | instskip(NEXT) | instid1(VALU_DEP_1)
	v_fma_f64 v[218:219], v[220:221], v[216:217], v[218:219]
	v_add_f64 v[118:119], v[118:119], -v[218:219]
	ds_load_2addr_b64 v[218:221], v214 offset0:56 offset1:57
	s_waitcnt lgkmcnt(0)
	v_mul_f64 v[212:213], v[220:221], v[222:223]
	s_delay_alu instid0(VALU_DEP_1) | instskip(SKIP_1) | instid1(VALU_DEP_2)
	v_fma_f64 v[212:213], v[218:219], v[216:217], -v[212:213]
	v_mul_f64 v[218:219], v[218:219], v[222:223]
	v_add_f64 v[112:113], v[112:113], -v[212:213]
	s_delay_alu instid0(VALU_DEP_2) | instskip(NEXT) | instid1(VALU_DEP_1)
	v_fma_f64 v[218:219], v[220:221], v[216:217], v[218:219]
	v_add_f64 v[114:115], v[114:115], -v[218:219]
	ds_load_2addr_b64 v[218:221], v214 offset0:58 offset1:59
	s_waitcnt lgkmcnt(0)
	v_mul_f64 v[212:213], v[220:221], v[222:223]
	s_delay_alu instid0(VALU_DEP_1) | instskip(SKIP_1) | instid1(VALU_DEP_2)
	v_fma_f64 v[212:213], v[218:219], v[216:217], -v[212:213]
	v_mul_f64 v[218:219], v[218:219], v[222:223]
	v_add_f64 v[108:109], v[108:109], -v[212:213]
	s_delay_alu instid0(VALU_DEP_2) | instskip(NEXT) | instid1(VALU_DEP_1)
	v_fma_f64 v[218:219], v[220:221], v[216:217], v[218:219]
	v_add_f64 v[110:111], v[110:111], -v[218:219]
	ds_load_2addr_b64 v[218:221], v214 offset0:60 offset1:61
	s_waitcnt lgkmcnt(0)
	v_mul_f64 v[212:213], v[220:221], v[222:223]
	s_delay_alu instid0(VALU_DEP_1) | instskip(SKIP_1) | instid1(VALU_DEP_2)
	v_fma_f64 v[212:213], v[218:219], v[216:217], -v[212:213]
	v_mul_f64 v[218:219], v[218:219], v[222:223]
	v_add_f64 v[104:105], v[104:105], -v[212:213]
	s_delay_alu instid0(VALU_DEP_2) | instskip(NEXT) | instid1(VALU_DEP_1)
	v_fma_f64 v[218:219], v[220:221], v[216:217], v[218:219]
	v_add_f64 v[106:107], v[106:107], -v[218:219]
	ds_load_2addr_b64 v[218:221], v214 offset0:62 offset1:63
	s_waitcnt lgkmcnt(0)
	v_mul_f64 v[212:213], v[220:221], v[222:223]
	s_delay_alu instid0(VALU_DEP_1) | instskip(SKIP_1) | instid1(VALU_DEP_2)
	v_fma_f64 v[212:213], v[218:219], v[216:217], -v[212:213]
	v_mul_f64 v[218:219], v[218:219], v[222:223]
	v_add_f64 v[100:101], v[100:101], -v[212:213]
	s_delay_alu instid0(VALU_DEP_2) | instskip(NEXT) | instid1(VALU_DEP_1)
	v_fma_f64 v[218:219], v[220:221], v[216:217], v[218:219]
	v_add_f64 v[102:103], v[102:103], -v[218:219]
	ds_load_2addr_b64 v[218:221], v214 offset0:64 offset1:65
	s_waitcnt lgkmcnt(0)
	v_mul_f64 v[212:213], v[220:221], v[222:223]
	s_delay_alu instid0(VALU_DEP_1) | instskip(SKIP_1) | instid1(VALU_DEP_2)
	v_fma_f64 v[212:213], v[218:219], v[216:217], -v[212:213]
	v_mul_f64 v[218:219], v[218:219], v[222:223]
	v_add_f64 v[96:97], v[96:97], -v[212:213]
	s_delay_alu instid0(VALU_DEP_2) | instskip(NEXT) | instid1(VALU_DEP_1)
	v_fma_f64 v[218:219], v[220:221], v[216:217], v[218:219]
	v_add_f64 v[98:99], v[98:99], -v[218:219]
	ds_load_2addr_b64 v[218:221], v214 offset0:66 offset1:67
	s_waitcnt lgkmcnt(0)
	v_mul_f64 v[212:213], v[220:221], v[222:223]
	s_delay_alu instid0(VALU_DEP_1) | instskip(SKIP_1) | instid1(VALU_DEP_2)
	v_fma_f64 v[212:213], v[218:219], v[216:217], -v[212:213]
	v_mul_f64 v[218:219], v[218:219], v[222:223]
	v_add_f64 v[92:93], v[92:93], -v[212:213]
	s_delay_alu instid0(VALU_DEP_2) | instskip(NEXT) | instid1(VALU_DEP_1)
	v_fma_f64 v[218:219], v[220:221], v[216:217], v[218:219]
	v_add_f64 v[94:95], v[94:95], -v[218:219]
	ds_load_2addr_b64 v[218:221], v214 offset0:68 offset1:69
	s_waitcnt lgkmcnt(0)
	v_mul_f64 v[212:213], v[220:221], v[222:223]
	s_delay_alu instid0(VALU_DEP_1) | instskip(SKIP_1) | instid1(VALU_DEP_2)
	v_fma_f64 v[212:213], v[218:219], v[216:217], -v[212:213]
	v_mul_f64 v[218:219], v[218:219], v[222:223]
	v_add_f64 v[88:89], v[88:89], -v[212:213]
	s_delay_alu instid0(VALU_DEP_2) | instskip(NEXT) | instid1(VALU_DEP_1)
	v_fma_f64 v[218:219], v[220:221], v[216:217], v[218:219]
	v_add_f64 v[90:91], v[90:91], -v[218:219]
	ds_load_2addr_b64 v[218:221], v214 offset0:70 offset1:71
	s_waitcnt lgkmcnt(0)
	v_mul_f64 v[212:213], v[220:221], v[222:223]
	s_delay_alu instid0(VALU_DEP_1) | instskip(SKIP_1) | instid1(VALU_DEP_2)
	v_fma_f64 v[212:213], v[218:219], v[216:217], -v[212:213]
	v_mul_f64 v[218:219], v[218:219], v[222:223]
	v_add_f64 v[84:85], v[84:85], -v[212:213]
	s_delay_alu instid0(VALU_DEP_2) | instskip(NEXT) | instid1(VALU_DEP_1)
	v_fma_f64 v[218:219], v[220:221], v[216:217], v[218:219]
	v_add_f64 v[86:87], v[86:87], -v[218:219]
	ds_load_2addr_b64 v[218:221], v214 offset0:72 offset1:73
	s_waitcnt lgkmcnt(0)
	v_mul_f64 v[212:213], v[220:221], v[222:223]
	s_delay_alu instid0(VALU_DEP_1) | instskip(SKIP_1) | instid1(VALU_DEP_2)
	v_fma_f64 v[212:213], v[218:219], v[216:217], -v[212:213]
	v_mul_f64 v[218:219], v[218:219], v[222:223]
	v_add_f64 v[80:81], v[80:81], -v[212:213]
	s_delay_alu instid0(VALU_DEP_2) | instskip(NEXT) | instid1(VALU_DEP_1)
	v_fma_f64 v[218:219], v[220:221], v[216:217], v[218:219]
	v_add_f64 v[82:83], v[82:83], -v[218:219]
	ds_load_2addr_b64 v[218:221], v214 offset0:74 offset1:75
	s_waitcnt lgkmcnt(0)
	v_mul_f64 v[212:213], v[220:221], v[222:223]
	s_delay_alu instid0(VALU_DEP_1) | instskip(SKIP_1) | instid1(VALU_DEP_2)
	v_fma_f64 v[212:213], v[218:219], v[216:217], -v[212:213]
	v_mul_f64 v[218:219], v[218:219], v[222:223]
	v_add_f64 v[76:77], v[76:77], -v[212:213]
	s_delay_alu instid0(VALU_DEP_2) | instskip(NEXT) | instid1(VALU_DEP_1)
	v_fma_f64 v[218:219], v[220:221], v[216:217], v[218:219]
	v_add_f64 v[78:79], v[78:79], -v[218:219]
	ds_load_2addr_b64 v[218:221], v214 offset0:76 offset1:77
	s_waitcnt lgkmcnt(0)
	v_mul_f64 v[212:213], v[220:221], v[222:223]
	s_delay_alu instid0(VALU_DEP_1) | instskip(SKIP_1) | instid1(VALU_DEP_2)
	v_fma_f64 v[212:213], v[218:219], v[216:217], -v[212:213]
	v_mul_f64 v[218:219], v[218:219], v[222:223]
	v_add_f64 v[72:73], v[72:73], -v[212:213]
	s_delay_alu instid0(VALU_DEP_2) | instskip(NEXT) | instid1(VALU_DEP_1)
	v_fma_f64 v[218:219], v[220:221], v[216:217], v[218:219]
	v_add_f64 v[74:75], v[74:75], -v[218:219]
	ds_load_2addr_b64 v[218:221], v214 offset0:78 offset1:79
	s_waitcnt lgkmcnt(0)
	v_mul_f64 v[212:213], v[220:221], v[222:223]
	s_delay_alu instid0(VALU_DEP_1) | instskip(SKIP_1) | instid1(VALU_DEP_2)
	v_fma_f64 v[212:213], v[218:219], v[216:217], -v[212:213]
	v_mul_f64 v[218:219], v[218:219], v[222:223]
	v_add_f64 v[68:69], v[68:69], -v[212:213]
	s_delay_alu instid0(VALU_DEP_2) | instskip(NEXT) | instid1(VALU_DEP_1)
	v_fma_f64 v[218:219], v[220:221], v[216:217], v[218:219]
	v_add_f64 v[70:71], v[70:71], -v[218:219]
	ds_load_2addr_b64 v[218:221], v214 offset0:80 offset1:81
	s_waitcnt lgkmcnt(0)
	v_mul_f64 v[212:213], v[220:221], v[222:223]
	s_delay_alu instid0(VALU_DEP_1) | instskip(SKIP_1) | instid1(VALU_DEP_2)
	v_fma_f64 v[212:213], v[218:219], v[216:217], -v[212:213]
	v_mul_f64 v[218:219], v[218:219], v[222:223]
	v_add_f64 v[64:65], v[64:65], -v[212:213]
	s_delay_alu instid0(VALU_DEP_2) | instskip(NEXT) | instid1(VALU_DEP_1)
	v_fma_f64 v[218:219], v[220:221], v[216:217], v[218:219]
	v_add_f64 v[66:67], v[66:67], -v[218:219]
	ds_load_2addr_b64 v[218:221], v214 offset0:82 offset1:83
	s_waitcnt lgkmcnt(0)
	v_mul_f64 v[212:213], v[220:221], v[222:223]
	s_delay_alu instid0(VALU_DEP_1) | instskip(SKIP_1) | instid1(VALU_DEP_2)
	v_fma_f64 v[212:213], v[218:219], v[216:217], -v[212:213]
	v_mul_f64 v[218:219], v[218:219], v[222:223]
	v_add_f64 v[60:61], v[60:61], -v[212:213]
	s_delay_alu instid0(VALU_DEP_2) | instskip(NEXT) | instid1(VALU_DEP_1)
	v_fma_f64 v[218:219], v[220:221], v[216:217], v[218:219]
	v_add_f64 v[62:63], v[62:63], -v[218:219]
	ds_load_2addr_b64 v[218:221], v214 offset0:84 offset1:85
	s_waitcnt lgkmcnt(0)
	v_mul_f64 v[212:213], v[220:221], v[222:223]
	s_delay_alu instid0(VALU_DEP_1) | instskip(SKIP_1) | instid1(VALU_DEP_2)
	v_fma_f64 v[212:213], v[218:219], v[216:217], -v[212:213]
	v_mul_f64 v[218:219], v[218:219], v[222:223]
	v_add_f64 v[56:57], v[56:57], -v[212:213]
	s_delay_alu instid0(VALU_DEP_2) | instskip(NEXT) | instid1(VALU_DEP_1)
	v_fma_f64 v[218:219], v[220:221], v[216:217], v[218:219]
	v_add_f64 v[58:59], v[58:59], -v[218:219]
	ds_load_2addr_b64 v[218:221], v214 offset0:86 offset1:87
	s_waitcnt lgkmcnt(0)
	v_mul_f64 v[212:213], v[220:221], v[222:223]
	s_delay_alu instid0(VALU_DEP_1) | instskip(SKIP_1) | instid1(VALU_DEP_2)
	v_fma_f64 v[212:213], v[218:219], v[216:217], -v[212:213]
	v_mul_f64 v[218:219], v[218:219], v[222:223]
	v_add_f64 v[52:53], v[52:53], -v[212:213]
	s_delay_alu instid0(VALU_DEP_2) | instskip(NEXT) | instid1(VALU_DEP_1)
	v_fma_f64 v[218:219], v[220:221], v[216:217], v[218:219]
	v_add_f64 v[54:55], v[54:55], -v[218:219]
	ds_load_2addr_b64 v[218:221], v214 offset0:88 offset1:89
	s_waitcnt lgkmcnt(0)
	v_mul_f64 v[212:213], v[220:221], v[222:223]
	s_delay_alu instid0(VALU_DEP_1) | instskip(SKIP_1) | instid1(VALU_DEP_2)
	v_fma_f64 v[212:213], v[218:219], v[216:217], -v[212:213]
	v_mul_f64 v[218:219], v[218:219], v[222:223]
	v_add_f64 v[48:49], v[48:49], -v[212:213]
	s_delay_alu instid0(VALU_DEP_2) | instskip(NEXT) | instid1(VALU_DEP_1)
	v_fma_f64 v[218:219], v[220:221], v[216:217], v[218:219]
	v_add_f64 v[50:51], v[50:51], -v[218:219]
	ds_load_2addr_b64 v[218:221], v214 offset0:90 offset1:91
	s_waitcnt lgkmcnt(0)
	v_mul_f64 v[212:213], v[220:221], v[222:223]
	s_delay_alu instid0(VALU_DEP_1) | instskip(SKIP_1) | instid1(VALU_DEP_2)
	v_fma_f64 v[212:213], v[218:219], v[216:217], -v[212:213]
	v_mul_f64 v[218:219], v[218:219], v[222:223]
	v_add_f64 v[44:45], v[44:45], -v[212:213]
	s_delay_alu instid0(VALU_DEP_2) | instskip(NEXT) | instid1(VALU_DEP_1)
	v_fma_f64 v[218:219], v[220:221], v[216:217], v[218:219]
	v_add_f64 v[46:47], v[46:47], -v[218:219]
	ds_load_2addr_b64 v[218:221], v214 offset0:92 offset1:93
	s_waitcnt lgkmcnt(0)
	v_mul_f64 v[212:213], v[220:221], v[222:223]
	s_delay_alu instid0(VALU_DEP_1) | instskip(SKIP_1) | instid1(VALU_DEP_2)
	v_fma_f64 v[212:213], v[218:219], v[216:217], -v[212:213]
	v_mul_f64 v[218:219], v[218:219], v[222:223]
	v_add_f64 v[40:41], v[40:41], -v[212:213]
	s_delay_alu instid0(VALU_DEP_2) | instskip(NEXT) | instid1(VALU_DEP_1)
	v_fma_f64 v[218:219], v[220:221], v[216:217], v[218:219]
	v_add_f64 v[42:43], v[42:43], -v[218:219]
	ds_load_2addr_b64 v[218:221], v214 offset0:94 offset1:95
	s_waitcnt lgkmcnt(0)
	v_mul_f64 v[212:213], v[220:221], v[222:223]
	s_delay_alu instid0(VALU_DEP_1) | instskip(SKIP_1) | instid1(VALU_DEP_2)
	v_fma_f64 v[212:213], v[218:219], v[216:217], -v[212:213]
	v_mul_f64 v[218:219], v[218:219], v[222:223]
	v_add_f64 v[36:37], v[36:37], -v[212:213]
	s_delay_alu instid0(VALU_DEP_2) | instskip(NEXT) | instid1(VALU_DEP_1)
	v_fma_f64 v[218:219], v[220:221], v[216:217], v[218:219]
	v_add_f64 v[38:39], v[38:39], -v[218:219]
	ds_load_2addr_b64 v[218:221], v214 offset0:96 offset1:97
	s_waitcnt lgkmcnt(0)
	v_mul_f64 v[212:213], v[220:221], v[222:223]
	s_delay_alu instid0(VALU_DEP_1) | instskip(SKIP_1) | instid1(VALU_DEP_2)
	v_fma_f64 v[212:213], v[218:219], v[216:217], -v[212:213]
	v_mul_f64 v[218:219], v[218:219], v[222:223]
	v_add_f64 v[32:33], v[32:33], -v[212:213]
	s_delay_alu instid0(VALU_DEP_2) | instskip(NEXT) | instid1(VALU_DEP_1)
	v_fma_f64 v[218:219], v[220:221], v[216:217], v[218:219]
	v_add_f64 v[34:35], v[34:35], -v[218:219]
	ds_load_2addr_b64 v[218:221], v214 offset0:98 offset1:99
	s_waitcnt lgkmcnt(0)
	v_mul_f64 v[212:213], v[220:221], v[222:223]
	s_delay_alu instid0(VALU_DEP_1) | instskip(SKIP_1) | instid1(VALU_DEP_2)
	v_fma_f64 v[212:213], v[218:219], v[216:217], -v[212:213]
	v_mul_f64 v[218:219], v[218:219], v[222:223]
	v_add_f64 v[28:29], v[28:29], -v[212:213]
	s_delay_alu instid0(VALU_DEP_2) | instskip(NEXT) | instid1(VALU_DEP_1)
	v_fma_f64 v[218:219], v[220:221], v[216:217], v[218:219]
	v_add_f64 v[30:31], v[30:31], -v[218:219]
	ds_load_2addr_b64 v[218:221], v214 offset0:100 offset1:101
	s_waitcnt lgkmcnt(0)
	v_mul_f64 v[212:213], v[220:221], v[222:223]
	s_delay_alu instid0(VALU_DEP_1) | instskip(SKIP_1) | instid1(VALU_DEP_2)
	v_fma_f64 v[212:213], v[218:219], v[216:217], -v[212:213]
	v_mul_f64 v[218:219], v[218:219], v[222:223]
	v_add_f64 v[24:25], v[24:25], -v[212:213]
	s_delay_alu instid0(VALU_DEP_2) | instskip(NEXT) | instid1(VALU_DEP_1)
	v_fma_f64 v[218:219], v[220:221], v[216:217], v[218:219]
	v_add_f64 v[26:27], v[26:27], -v[218:219]
	ds_load_2addr_b64 v[218:221], v214 offset0:102 offset1:103
	s_waitcnt lgkmcnt(0)
	v_mul_f64 v[212:213], v[220:221], v[222:223]
	s_delay_alu instid0(VALU_DEP_1) | instskip(SKIP_1) | instid1(VALU_DEP_2)
	v_fma_f64 v[212:213], v[218:219], v[216:217], -v[212:213]
	v_mul_f64 v[218:219], v[218:219], v[222:223]
	v_add_f64 v[20:21], v[20:21], -v[212:213]
	s_delay_alu instid0(VALU_DEP_2) | instskip(NEXT) | instid1(VALU_DEP_1)
	v_fma_f64 v[218:219], v[220:221], v[216:217], v[218:219]
	v_add_f64 v[22:23], v[22:23], -v[218:219]
	ds_load_2addr_b64 v[218:221], v214 offset0:104 offset1:105
	s_waitcnt lgkmcnt(0)
	v_mul_f64 v[212:213], v[220:221], v[222:223]
	s_delay_alu instid0(VALU_DEP_1) | instskip(SKIP_1) | instid1(VALU_DEP_2)
	v_fma_f64 v[212:213], v[218:219], v[216:217], -v[212:213]
	v_mul_f64 v[218:219], v[218:219], v[222:223]
	v_add_f64 v[16:17], v[16:17], -v[212:213]
	s_delay_alu instid0(VALU_DEP_2) | instskip(NEXT) | instid1(VALU_DEP_1)
	v_fma_f64 v[218:219], v[220:221], v[216:217], v[218:219]
	v_add_f64 v[18:19], v[18:19], -v[218:219]
	ds_load_2addr_b64 v[218:221], v214 offset0:106 offset1:107
	s_waitcnt lgkmcnt(0)
	v_mul_f64 v[212:213], v[220:221], v[222:223]
	s_delay_alu instid0(VALU_DEP_1) | instskip(SKIP_1) | instid1(VALU_DEP_2)
	v_fma_f64 v[212:213], v[218:219], v[216:217], -v[212:213]
	v_mul_f64 v[218:219], v[218:219], v[222:223]
	v_add_f64 v[12:13], v[12:13], -v[212:213]
	s_delay_alu instid0(VALU_DEP_2) | instskip(NEXT) | instid1(VALU_DEP_1)
	v_fma_f64 v[218:219], v[220:221], v[216:217], v[218:219]
	v_add_f64 v[14:15], v[14:15], -v[218:219]
	ds_load_2addr_b64 v[218:221], v214 offset0:108 offset1:109
	s_waitcnt lgkmcnt(0)
	v_mul_f64 v[212:213], v[220:221], v[222:223]
	s_delay_alu instid0(VALU_DEP_1) | instskip(SKIP_1) | instid1(VALU_DEP_2)
	v_fma_f64 v[212:213], v[218:219], v[216:217], -v[212:213]
	v_mul_f64 v[218:219], v[218:219], v[222:223]
	v_add_f64 v[8:9], v[8:9], -v[212:213]
	s_delay_alu instid0(VALU_DEP_2) | instskip(NEXT) | instid1(VALU_DEP_1)
	v_fma_f64 v[218:219], v[220:221], v[216:217], v[218:219]
	v_add_f64 v[10:11], v[10:11], -v[218:219]
	ds_load_2addr_b64 v[218:221], v214 offset0:110 offset1:111
	s_waitcnt lgkmcnt(0)
	v_mul_f64 v[212:213], v[220:221], v[222:223]
	s_delay_alu instid0(VALU_DEP_1) | instskip(SKIP_1) | instid1(VALU_DEP_2)
	v_fma_f64 v[212:213], v[218:219], v[216:217], -v[212:213]
	v_mul_f64 v[218:219], v[218:219], v[222:223]
	v_add_f64 v[4:5], v[4:5], -v[212:213]
	s_delay_alu instid0(VALU_DEP_2) | instskip(NEXT) | instid1(VALU_DEP_1)
	v_fma_f64 v[218:219], v[220:221], v[216:217], v[218:219]
	v_add_f64 v[6:7], v[6:7], -v[218:219]
	ds_load_2addr_b64 v[218:221], v214 offset0:112 offset1:113
	s_waitcnt lgkmcnt(0)
	v_mul_f64 v[212:213], v[220:221], v[222:223]
	s_delay_alu instid0(VALU_DEP_1) | instskip(SKIP_1) | instid1(VALU_DEP_2)
	v_fma_f64 v[212:213], v[218:219], v[216:217], -v[212:213]
	v_mul_f64 v[218:219], v[218:219], v[222:223]
	v_add_f64 v[0:1], v[0:1], -v[212:213]
	s_delay_alu instid0(VALU_DEP_2)
	v_fma_f64 v[218:219], v[220:221], v[216:217], v[218:219]
	v_dual_mov_b32 v221, v217 :: v_dual_mov_b32 v220, v216
	s_clause 0x1
	scratch_store_b128 off, v[208:211], off
	scratch_store_b128 off, v[220:223], off offset:48
	v_add_f64 v[2:3], v[2:3], -v[218:219]
.LBB113_19:
	s_or_b32 exec_lo, exec_lo, s3
	s_delay_alu instid0(SALU_CYCLE_1)
	s_mov_b32 s4, exec_lo
	s_waitcnt_vscnt null, 0x0
	s_barrier
	buffer_gl0_inv
	v_cmpx_eq_u32_e32 2, v248
	s_cbranch_execz .LBB113_26
; %bb.20:
	scratch_load_b128 v[208:211], off, off offset:32 ; 16-byte Folded Reload
	s_waitcnt vmcnt(0)
	ds_store_2addr_b64 v251, v[208:209], v[210:211] offset1:1
	scratch_load_b128 v[208:211], off, off offset:16 ; 16-byte Folded Reload
	s_waitcnt vmcnt(0)
	ds_store_2addr_b64 v214, v[208:209], v[210:211] offset0:6 offset1:7
	scratch_load_b128 v[208:211], off, off  ; 16-byte Folded Reload
	s_waitcnt vmcnt(0)
	ds_store_2addr_b64 v214, v[208:209], v[210:211] offset0:8 offset1:9
	ds_store_2addr_b64 v214, v[204:205], v[206:207] offset0:10 offset1:11
	;; [unrolled: 1-line block ×53, first 2 shown]
	ds_load_2addr_b64 v[216:219], v251 offset1:1
	s_waitcnt lgkmcnt(0)
	v_cmp_neq_f64_e32 vcc_lo, 0, v[216:217]
	v_cmp_neq_f64_e64 s3, 0, v[218:219]
	s_delay_alu instid0(VALU_DEP_1) | instskip(NEXT) | instid1(SALU_CYCLE_1)
	s_or_b32 s3, vcc_lo, s3
	s_and_b32 exec_lo, exec_lo, s3
	s_cbranch_execz .LBB113_26
; %bb.21:
	v_cmp_gt_f64_e32 vcc_lo, 0, v[216:217]
	v_xor_b32_e32 v208, 0x80000000, v217
	s_delay_alu instid0(VALU_DEP_1) | instskip(SKIP_3) | instid1(VALU_DEP_1)
	v_cndmask_b32_e32 v213, v217, v208, vcc_lo
	v_cndmask_b32_e32 v212, v216, v216, vcc_lo
	v_cmp_gt_f64_e32 vcc_lo, 0, v[218:219]
	v_xor_b32_e32 v208, 0x80000000, v219
	v_dual_cndmask_b32 v220, v218, v218 :: v_dual_cndmask_b32 v221, v219, v208
	s_delay_alu instid0(VALU_DEP_1) | instskip(SKIP_1) | instid1(SALU_CYCLE_1)
	v_cmp_ngt_f64_e32 vcc_lo, v[212:213], v[220:221]
                                        ; implicit-def: $vgpr212_vgpr213
	s_and_saveexec_b32 s3, vcc_lo
	s_xor_b32 s3, exec_lo, s3
                                        ; implicit-def: $vgpr220_vgpr221_vgpr222_vgpr223
	s_cbranch_execz .LBB113_23
; %bb.22:
	v_div_scale_f64 v[212:213], null, v[218:219], v[218:219], v[216:217]
	v_div_scale_f64 v[224:225], vcc_lo, v[216:217], v[218:219], v[216:217]
	s_delay_alu instid0(VALU_DEP_2) | instskip(SKIP_2) | instid1(VALU_DEP_1)
	v_rcp_f64_e32 v[220:221], v[212:213]
	s_waitcnt_depctr 0xfff
	v_fma_f64 v[222:223], -v[212:213], v[220:221], 1.0
	v_fma_f64 v[220:221], v[220:221], v[222:223], v[220:221]
	s_delay_alu instid0(VALU_DEP_1) | instskip(NEXT) | instid1(VALU_DEP_1)
	v_fma_f64 v[222:223], -v[212:213], v[220:221], 1.0
	v_fma_f64 v[220:221], v[220:221], v[222:223], v[220:221]
	s_delay_alu instid0(VALU_DEP_1) | instskip(NEXT) | instid1(VALU_DEP_1)
	v_mul_f64 v[222:223], v[224:225], v[220:221]
	v_fma_f64 v[212:213], -v[212:213], v[222:223], v[224:225]
	s_delay_alu instid0(VALU_DEP_1) | instskip(NEXT) | instid1(VALU_DEP_1)
	v_div_fmas_f64 v[212:213], v[212:213], v[220:221], v[222:223]
	v_div_fixup_f64 v[212:213], v[212:213], v[218:219], v[216:217]
	s_delay_alu instid0(VALU_DEP_1) | instskip(NEXT) | instid1(VALU_DEP_1)
	v_fma_f64 v[216:217], v[216:217], v[212:213], v[218:219]
	v_div_scale_f64 v[218:219], null, v[216:217], v[216:217], 1.0
	s_delay_alu instid0(VALU_DEP_1) | instskip(SKIP_2) | instid1(VALU_DEP_1)
	v_rcp_f64_e32 v[220:221], v[218:219]
	s_waitcnt_depctr 0xfff
	v_fma_f64 v[222:223], -v[218:219], v[220:221], 1.0
	v_fma_f64 v[220:221], v[220:221], v[222:223], v[220:221]
	s_delay_alu instid0(VALU_DEP_1) | instskip(NEXT) | instid1(VALU_DEP_1)
	v_fma_f64 v[222:223], -v[218:219], v[220:221], 1.0
	v_fma_f64 v[220:221], v[220:221], v[222:223], v[220:221]
	v_div_scale_f64 v[222:223], vcc_lo, 1.0, v[216:217], 1.0
	s_delay_alu instid0(VALU_DEP_1) | instskip(NEXT) | instid1(VALU_DEP_1)
	v_mul_f64 v[224:225], v[222:223], v[220:221]
	v_fma_f64 v[218:219], -v[218:219], v[224:225], v[222:223]
	s_delay_alu instid0(VALU_DEP_1) | instskip(NEXT) | instid1(VALU_DEP_1)
	v_div_fmas_f64 v[218:219], v[218:219], v[220:221], v[224:225]
	v_div_fixup_f64 v[222:223], v[218:219], v[216:217], 1.0
                                        ; implicit-def: $vgpr216_vgpr217
	s_delay_alu instid0(VALU_DEP_1)
	v_mul_f64 v[212:213], v[212:213], v[222:223]
	v_xor_b32_e32 v223, 0x80000000, v223
.LBB113_23:
	s_and_not1_saveexec_b32 s3, s3
	s_cbranch_execz .LBB113_25
; %bb.24:
	v_div_scale_f64 v[212:213], null, v[216:217], v[216:217], v[218:219]
	v_div_scale_f64 v[224:225], vcc_lo, v[218:219], v[216:217], v[218:219]
	s_delay_alu instid0(VALU_DEP_2) | instskip(SKIP_2) | instid1(VALU_DEP_1)
	v_rcp_f64_e32 v[220:221], v[212:213]
	s_waitcnt_depctr 0xfff
	v_fma_f64 v[222:223], -v[212:213], v[220:221], 1.0
	v_fma_f64 v[220:221], v[220:221], v[222:223], v[220:221]
	s_delay_alu instid0(VALU_DEP_1) | instskip(NEXT) | instid1(VALU_DEP_1)
	v_fma_f64 v[222:223], -v[212:213], v[220:221], 1.0
	v_fma_f64 v[220:221], v[220:221], v[222:223], v[220:221]
	s_delay_alu instid0(VALU_DEP_1) | instskip(NEXT) | instid1(VALU_DEP_1)
	v_mul_f64 v[222:223], v[224:225], v[220:221]
	v_fma_f64 v[212:213], -v[212:213], v[222:223], v[224:225]
	s_delay_alu instid0(VALU_DEP_1) | instskip(NEXT) | instid1(VALU_DEP_1)
	v_div_fmas_f64 v[212:213], v[212:213], v[220:221], v[222:223]
	v_div_fixup_f64 v[220:221], v[212:213], v[216:217], v[218:219]
	s_delay_alu instid0(VALU_DEP_1) | instskip(NEXT) | instid1(VALU_DEP_1)
	v_fma_f64 v[212:213], v[218:219], v[220:221], v[216:217]
	v_div_scale_f64 v[216:217], null, v[212:213], v[212:213], 1.0
	s_delay_alu instid0(VALU_DEP_1) | instskip(SKIP_2) | instid1(VALU_DEP_1)
	v_rcp_f64_e32 v[218:219], v[216:217]
	s_waitcnt_depctr 0xfff
	v_fma_f64 v[222:223], -v[216:217], v[218:219], 1.0
	v_fma_f64 v[218:219], v[218:219], v[222:223], v[218:219]
	s_delay_alu instid0(VALU_DEP_1) | instskip(NEXT) | instid1(VALU_DEP_1)
	v_fma_f64 v[222:223], -v[216:217], v[218:219], 1.0
	v_fma_f64 v[218:219], v[218:219], v[222:223], v[218:219]
	v_div_scale_f64 v[222:223], vcc_lo, 1.0, v[212:213], 1.0
	s_delay_alu instid0(VALU_DEP_1) | instskip(NEXT) | instid1(VALU_DEP_1)
	v_mul_f64 v[224:225], v[222:223], v[218:219]
	v_fma_f64 v[216:217], -v[216:217], v[224:225], v[222:223]
	s_delay_alu instid0(VALU_DEP_1) | instskip(NEXT) | instid1(VALU_DEP_1)
	v_div_fmas_f64 v[216:217], v[216:217], v[218:219], v[224:225]
	v_div_fixup_f64 v[212:213], v[216:217], v[212:213], 1.0
	s_delay_alu instid0(VALU_DEP_1)
	v_mul_f64 v[222:223], v[220:221], -v[212:213]
.LBB113_25:
	s_or_b32 exec_lo, exec_lo, s3
	ds_store_2addr_b64 v251, v[212:213], v[222:223] offset1:1
.LBB113_26:
	s_or_b32 exec_lo, exec_lo, s4
	s_waitcnt lgkmcnt(0)
	s_barrier
	buffer_gl0_inv
	ds_load_2addr_b64 v[208:211], v251 offset1:1
	s_mov_b32 s3, exec_lo
	s_waitcnt lgkmcnt(0)
	scratch_store_b128 off, v[208:211], off offset:560 ; 16-byte Folded Spill
	v_cmpx_lt_u32_e32 2, v248
	s_cbranch_execz .LBB113_28
; %bb.27:
	s_clause 0x1
	scratch_load_b128 v[220:223], off, off offset:32
	scratch_load_b128 v[208:211], off, off offset:560
	s_waitcnt vmcnt(0)
	v_mul_f64 v[212:213], v[210:211], v[222:223]
	s_delay_alu instid0(VALU_DEP_1) | instskip(SKIP_1) | instid1(VALU_DEP_1)
	v_fma_f64 v[216:217], v[208:209], v[220:221], -v[212:213]
	v_mul_f64 v[212:213], v[208:209], v[222:223]
	v_fma_f64 v[222:223], v[210:211], v[220:221], v[212:213]
	scratch_load_b128 v[208:211], off, off offset:16 ; 16-byte Folded Reload
	ds_load_2addr_b64 v[218:221], v214 offset0:6 offset1:7
	s_waitcnt lgkmcnt(0)
	v_mul_f64 v[212:213], v[220:221], v[222:223]
	s_delay_alu instid0(VALU_DEP_1) | instskip(SKIP_1) | instid1(VALU_DEP_1)
	v_fma_f64 v[212:213], v[218:219], v[216:217], -v[212:213]
	v_mul_f64 v[218:219], v[218:219], v[222:223]
	v_fma_f64 v[218:219], v[220:221], v[216:217], v[218:219]
	s_waitcnt vmcnt(0)
	s_delay_alu instid0(VALU_DEP_3) | instskip(NEXT) | instid1(VALU_DEP_2)
	v_add_f64 v[208:209], v[208:209], -v[212:213]
	v_add_f64 v[210:211], v[210:211], -v[218:219]
	ds_load_2addr_b64 v[218:221], v214 offset0:8 offset1:9
	s_waitcnt lgkmcnt(0)
	v_mul_f64 v[212:213], v[220:221], v[222:223]
	scratch_store_b128 off, v[208:211], off offset:16 ; 16-byte Folded Spill
	scratch_load_b128 v[208:211], off, off  ; 16-byte Folded Reload
	v_fma_f64 v[212:213], v[218:219], v[216:217], -v[212:213]
	v_mul_f64 v[218:219], v[218:219], v[222:223]
	s_delay_alu instid0(VALU_DEP_1) | instskip(SKIP_1) | instid1(VALU_DEP_1)
	v_fma_f64 v[218:219], v[220:221], v[216:217], v[218:219]
	s_waitcnt vmcnt(0)
	v_add_f64 v[210:211], v[210:211], -v[218:219]
	ds_load_2addr_b64 v[218:221], v214 offset0:10 offset1:11
	v_add_f64 v[208:209], v[208:209], -v[212:213]
	s_waitcnt lgkmcnt(0)
	v_mul_f64 v[212:213], v[220:221], v[222:223]
	s_delay_alu instid0(VALU_DEP_1) | instskip(SKIP_1) | instid1(VALU_DEP_2)
	v_fma_f64 v[212:213], v[218:219], v[216:217], -v[212:213]
	v_mul_f64 v[218:219], v[218:219], v[222:223]
	v_add_f64 v[204:205], v[204:205], -v[212:213]
	s_delay_alu instid0(VALU_DEP_2) | instskip(NEXT) | instid1(VALU_DEP_1)
	v_fma_f64 v[218:219], v[220:221], v[216:217], v[218:219]
	v_add_f64 v[206:207], v[206:207], -v[218:219]
	ds_load_2addr_b64 v[218:221], v214 offset0:12 offset1:13
	s_waitcnt lgkmcnt(0)
	v_mul_f64 v[212:213], v[220:221], v[222:223]
	s_delay_alu instid0(VALU_DEP_1) | instskip(SKIP_1) | instid1(VALU_DEP_2)
	v_fma_f64 v[212:213], v[218:219], v[216:217], -v[212:213]
	v_mul_f64 v[218:219], v[218:219], v[222:223]
	v_add_f64 v[200:201], v[200:201], -v[212:213]
	s_delay_alu instid0(VALU_DEP_2) | instskip(NEXT) | instid1(VALU_DEP_1)
	v_fma_f64 v[218:219], v[220:221], v[216:217], v[218:219]
	v_add_f64 v[202:203], v[202:203], -v[218:219]
	ds_load_2addr_b64 v[218:221], v214 offset0:14 offset1:15
	;; [unrolled: 10-line block ×51, first 2 shown]
	s_waitcnt lgkmcnt(0)
	v_mul_f64 v[212:213], v[220:221], v[222:223]
	s_delay_alu instid0(VALU_DEP_1) | instskip(SKIP_1) | instid1(VALU_DEP_2)
	v_fma_f64 v[212:213], v[218:219], v[216:217], -v[212:213]
	v_mul_f64 v[218:219], v[218:219], v[222:223]
	v_add_f64 v[0:1], v[0:1], -v[212:213]
	s_delay_alu instid0(VALU_DEP_2)
	v_fma_f64 v[218:219], v[220:221], v[216:217], v[218:219]
	v_dual_mov_b32 v221, v217 :: v_dual_mov_b32 v220, v216
	s_clause 0x1
	scratch_store_b128 off, v[208:211], off
	scratch_store_b128 off, v[220:223], off offset:32
	v_add_f64 v[2:3], v[2:3], -v[218:219]
.LBB113_28:
	s_or_b32 exec_lo, exec_lo, s3
	s_delay_alu instid0(SALU_CYCLE_1)
	s_mov_b32 s4, exec_lo
	s_waitcnt_vscnt null, 0x0
	s_barrier
	buffer_gl0_inv
	v_cmpx_eq_u32_e32 3, v248
	s_cbranch_execz .LBB113_35
; %bb.29:
	scratch_load_b128 v[208:211], off, off offset:16 ; 16-byte Folded Reload
	s_waitcnt vmcnt(0)
	ds_store_2addr_b64 v251, v[208:209], v[210:211] offset1:1
	scratch_load_b128 v[208:211], off, off  ; 16-byte Folded Reload
	s_waitcnt vmcnt(0)
	ds_store_2addr_b64 v214, v[208:209], v[210:211] offset0:8 offset1:9
	ds_store_2addr_b64 v214, v[204:205], v[206:207] offset0:10 offset1:11
	;; [unrolled: 1-line block ×53, first 2 shown]
	ds_load_2addr_b64 v[216:219], v251 offset1:1
	s_waitcnt lgkmcnt(0)
	v_cmp_neq_f64_e32 vcc_lo, 0, v[216:217]
	v_cmp_neq_f64_e64 s3, 0, v[218:219]
	s_delay_alu instid0(VALU_DEP_1) | instskip(NEXT) | instid1(SALU_CYCLE_1)
	s_or_b32 s3, vcc_lo, s3
	s_and_b32 exec_lo, exec_lo, s3
	s_cbranch_execz .LBB113_35
; %bb.30:
	v_cmp_gt_f64_e32 vcc_lo, 0, v[216:217]
	v_xor_b32_e32 v208, 0x80000000, v217
	s_delay_alu instid0(VALU_DEP_1) | instskip(SKIP_3) | instid1(VALU_DEP_1)
	v_cndmask_b32_e32 v213, v217, v208, vcc_lo
	v_cndmask_b32_e32 v212, v216, v216, vcc_lo
	v_cmp_gt_f64_e32 vcc_lo, 0, v[218:219]
	v_xor_b32_e32 v208, 0x80000000, v219
	v_dual_cndmask_b32 v220, v218, v218 :: v_dual_cndmask_b32 v221, v219, v208
	s_delay_alu instid0(VALU_DEP_1) | instskip(SKIP_1) | instid1(SALU_CYCLE_1)
	v_cmp_ngt_f64_e32 vcc_lo, v[212:213], v[220:221]
                                        ; implicit-def: $vgpr212_vgpr213
	s_and_saveexec_b32 s3, vcc_lo
	s_xor_b32 s3, exec_lo, s3
                                        ; implicit-def: $vgpr220_vgpr221_vgpr222_vgpr223
	s_cbranch_execz .LBB113_32
; %bb.31:
	v_div_scale_f64 v[212:213], null, v[218:219], v[218:219], v[216:217]
	v_div_scale_f64 v[224:225], vcc_lo, v[216:217], v[218:219], v[216:217]
	s_delay_alu instid0(VALU_DEP_2) | instskip(SKIP_2) | instid1(VALU_DEP_1)
	v_rcp_f64_e32 v[220:221], v[212:213]
	s_waitcnt_depctr 0xfff
	v_fma_f64 v[222:223], -v[212:213], v[220:221], 1.0
	v_fma_f64 v[220:221], v[220:221], v[222:223], v[220:221]
	s_delay_alu instid0(VALU_DEP_1) | instskip(NEXT) | instid1(VALU_DEP_1)
	v_fma_f64 v[222:223], -v[212:213], v[220:221], 1.0
	v_fma_f64 v[220:221], v[220:221], v[222:223], v[220:221]
	s_delay_alu instid0(VALU_DEP_1) | instskip(NEXT) | instid1(VALU_DEP_1)
	v_mul_f64 v[222:223], v[224:225], v[220:221]
	v_fma_f64 v[212:213], -v[212:213], v[222:223], v[224:225]
	s_delay_alu instid0(VALU_DEP_1) | instskip(NEXT) | instid1(VALU_DEP_1)
	v_div_fmas_f64 v[212:213], v[212:213], v[220:221], v[222:223]
	v_div_fixup_f64 v[212:213], v[212:213], v[218:219], v[216:217]
	s_delay_alu instid0(VALU_DEP_1) | instskip(NEXT) | instid1(VALU_DEP_1)
	v_fma_f64 v[216:217], v[216:217], v[212:213], v[218:219]
	v_div_scale_f64 v[218:219], null, v[216:217], v[216:217], 1.0
	s_delay_alu instid0(VALU_DEP_1) | instskip(SKIP_2) | instid1(VALU_DEP_1)
	v_rcp_f64_e32 v[220:221], v[218:219]
	s_waitcnt_depctr 0xfff
	v_fma_f64 v[222:223], -v[218:219], v[220:221], 1.0
	v_fma_f64 v[220:221], v[220:221], v[222:223], v[220:221]
	s_delay_alu instid0(VALU_DEP_1) | instskip(NEXT) | instid1(VALU_DEP_1)
	v_fma_f64 v[222:223], -v[218:219], v[220:221], 1.0
	v_fma_f64 v[220:221], v[220:221], v[222:223], v[220:221]
	v_div_scale_f64 v[222:223], vcc_lo, 1.0, v[216:217], 1.0
	s_delay_alu instid0(VALU_DEP_1) | instskip(NEXT) | instid1(VALU_DEP_1)
	v_mul_f64 v[224:225], v[222:223], v[220:221]
	v_fma_f64 v[218:219], -v[218:219], v[224:225], v[222:223]
	s_delay_alu instid0(VALU_DEP_1) | instskip(NEXT) | instid1(VALU_DEP_1)
	v_div_fmas_f64 v[218:219], v[218:219], v[220:221], v[224:225]
	v_div_fixup_f64 v[222:223], v[218:219], v[216:217], 1.0
                                        ; implicit-def: $vgpr216_vgpr217
	s_delay_alu instid0(VALU_DEP_1)
	v_mul_f64 v[212:213], v[212:213], v[222:223]
	v_xor_b32_e32 v223, 0x80000000, v223
.LBB113_32:
	s_and_not1_saveexec_b32 s3, s3
	s_cbranch_execz .LBB113_34
; %bb.33:
	v_div_scale_f64 v[212:213], null, v[216:217], v[216:217], v[218:219]
	v_div_scale_f64 v[224:225], vcc_lo, v[218:219], v[216:217], v[218:219]
	s_delay_alu instid0(VALU_DEP_2) | instskip(SKIP_2) | instid1(VALU_DEP_1)
	v_rcp_f64_e32 v[220:221], v[212:213]
	s_waitcnt_depctr 0xfff
	v_fma_f64 v[222:223], -v[212:213], v[220:221], 1.0
	v_fma_f64 v[220:221], v[220:221], v[222:223], v[220:221]
	s_delay_alu instid0(VALU_DEP_1) | instskip(NEXT) | instid1(VALU_DEP_1)
	v_fma_f64 v[222:223], -v[212:213], v[220:221], 1.0
	v_fma_f64 v[220:221], v[220:221], v[222:223], v[220:221]
	s_delay_alu instid0(VALU_DEP_1) | instskip(NEXT) | instid1(VALU_DEP_1)
	v_mul_f64 v[222:223], v[224:225], v[220:221]
	v_fma_f64 v[212:213], -v[212:213], v[222:223], v[224:225]
	s_delay_alu instid0(VALU_DEP_1) | instskip(NEXT) | instid1(VALU_DEP_1)
	v_div_fmas_f64 v[212:213], v[212:213], v[220:221], v[222:223]
	v_div_fixup_f64 v[220:221], v[212:213], v[216:217], v[218:219]
	s_delay_alu instid0(VALU_DEP_1) | instskip(NEXT) | instid1(VALU_DEP_1)
	v_fma_f64 v[212:213], v[218:219], v[220:221], v[216:217]
	v_div_scale_f64 v[216:217], null, v[212:213], v[212:213], 1.0
	s_delay_alu instid0(VALU_DEP_1) | instskip(SKIP_2) | instid1(VALU_DEP_1)
	v_rcp_f64_e32 v[218:219], v[216:217]
	s_waitcnt_depctr 0xfff
	v_fma_f64 v[222:223], -v[216:217], v[218:219], 1.0
	v_fma_f64 v[218:219], v[218:219], v[222:223], v[218:219]
	s_delay_alu instid0(VALU_DEP_1) | instskip(NEXT) | instid1(VALU_DEP_1)
	v_fma_f64 v[222:223], -v[216:217], v[218:219], 1.0
	v_fma_f64 v[218:219], v[218:219], v[222:223], v[218:219]
	v_div_scale_f64 v[222:223], vcc_lo, 1.0, v[212:213], 1.0
	s_delay_alu instid0(VALU_DEP_1) | instskip(NEXT) | instid1(VALU_DEP_1)
	v_mul_f64 v[224:225], v[222:223], v[218:219]
	v_fma_f64 v[216:217], -v[216:217], v[224:225], v[222:223]
	s_delay_alu instid0(VALU_DEP_1) | instskip(NEXT) | instid1(VALU_DEP_1)
	v_div_fmas_f64 v[216:217], v[216:217], v[218:219], v[224:225]
	v_div_fixup_f64 v[212:213], v[216:217], v[212:213], 1.0
	s_delay_alu instid0(VALU_DEP_1)
	v_mul_f64 v[222:223], v[220:221], -v[212:213]
.LBB113_34:
	s_or_b32 exec_lo, exec_lo, s3
	ds_store_2addr_b64 v251, v[212:213], v[222:223] offset1:1
.LBB113_35:
	s_or_b32 exec_lo, exec_lo, s4
	s_waitcnt lgkmcnt(0)
	s_barrier
	buffer_gl0_inv
	ds_load_2addr_b64 v[208:211], v251 offset1:1
	s_mov_b32 s3, exec_lo
	s_waitcnt lgkmcnt(0)
	scratch_store_b128 off, v[208:211], off offset:576 ; 16-byte Folded Spill
	v_cmpx_lt_u32_e32 3, v248
	s_cbranch_execz .LBB113_37
; %bb.36:
	s_clause 0x1
	scratch_load_b128 v[220:223], off, off offset:16
	scratch_load_b128 v[208:211], off, off offset:576
	s_waitcnt vmcnt(0)
	v_mul_f64 v[212:213], v[210:211], v[222:223]
	s_delay_alu instid0(VALU_DEP_1) | instskip(SKIP_1) | instid1(VALU_DEP_1)
	v_fma_f64 v[216:217], v[208:209], v[220:221], -v[212:213]
	v_mul_f64 v[212:213], v[208:209], v[222:223]
	v_fma_f64 v[222:223], v[210:211], v[220:221], v[212:213]
	scratch_load_b128 v[208:211], off, off  ; 16-byte Folded Reload
	ds_load_2addr_b64 v[218:221], v214 offset0:8 offset1:9
	s_waitcnt lgkmcnt(0)
	v_mul_f64 v[212:213], v[220:221], v[222:223]
	s_delay_alu instid0(VALU_DEP_1) | instskip(SKIP_1) | instid1(VALU_DEP_1)
	v_fma_f64 v[212:213], v[218:219], v[216:217], -v[212:213]
	v_mul_f64 v[218:219], v[218:219], v[222:223]
	v_fma_f64 v[218:219], v[220:221], v[216:217], v[218:219]
	s_waitcnt vmcnt(0)
	s_delay_alu instid0(VALU_DEP_1) | instskip(SKIP_4) | instid1(VALU_DEP_1)
	v_add_f64 v[210:211], v[210:211], -v[218:219]
	ds_load_2addr_b64 v[218:221], v214 offset0:10 offset1:11
	v_add_f64 v[208:209], v[208:209], -v[212:213]
	s_waitcnt lgkmcnt(0)
	v_mul_f64 v[212:213], v[220:221], v[222:223]
	v_fma_f64 v[212:213], v[218:219], v[216:217], -v[212:213]
	v_mul_f64 v[218:219], v[218:219], v[222:223]
	s_delay_alu instid0(VALU_DEP_2) | instskip(NEXT) | instid1(VALU_DEP_2)
	v_add_f64 v[204:205], v[204:205], -v[212:213]
	v_fma_f64 v[218:219], v[220:221], v[216:217], v[218:219]
	s_delay_alu instid0(VALU_DEP_1) | instskip(SKIP_3) | instid1(VALU_DEP_1)
	v_add_f64 v[206:207], v[206:207], -v[218:219]
	ds_load_2addr_b64 v[218:221], v214 offset0:12 offset1:13
	s_waitcnt lgkmcnt(0)
	v_mul_f64 v[212:213], v[220:221], v[222:223]
	v_fma_f64 v[212:213], v[218:219], v[216:217], -v[212:213]
	v_mul_f64 v[218:219], v[218:219], v[222:223]
	s_delay_alu instid0(VALU_DEP_2) | instskip(NEXT) | instid1(VALU_DEP_2)
	v_add_f64 v[200:201], v[200:201], -v[212:213]
	v_fma_f64 v[218:219], v[220:221], v[216:217], v[218:219]
	s_delay_alu instid0(VALU_DEP_1) | instskip(SKIP_3) | instid1(VALU_DEP_1)
	v_add_f64 v[202:203], v[202:203], -v[218:219]
	ds_load_2addr_b64 v[218:221], v214 offset0:14 offset1:15
	;; [unrolled: 10-line block ×51, first 2 shown]
	s_waitcnt lgkmcnt(0)
	v_mul_f64 v[212:213], v[220:221], v[222:223]
	v_fma_f64 v[212:213], v[218:219], v[216:217], -v[212:213]
	v_mul_f64 v[218:219], v[218:219], v[222:223]
	s_delay_alu instid0(VALU_DEP_2) | instskip(NEXT) | instid1(VALU_DEP_2)
	v_add_f64 v[0:1], v[0:1], -v[212:213]
	v_fma_f64 v[218:219], v[220:221], v[216:217], v[218:219]
	v_dual_mov_b32 v221, v217 :: v_dual_mov_b32 v220, v216
	s_clause 0x1
	scratch_store_b128 off, v[208:211], off
	scratch_store_b128 off, v[220:223], off offset:16
	v_add_f64 v[2:3], v[2:3], -v[218:219]
.LBB113_37:
	s_or_b32 exec_lo, exec_lo, s3
	s_delay_alu instid0(SALU_CYCLE_1)
	s_mov_b32 s4, exec_lo
	s_waitcnt_vscnt null, 0x0
	s_barrier
	buffer_gl0_inv
	v_cmpx_eq_u32_e32 4, v248
	s_cbranch_execz .LBB113_44
; %bb.38:
	scratch_load_b128 v[208:211], off, off  ; 16-byte Folded Reload
	s_waitcnt vmcnt(0)
	ds_store_2addr_b64 v251, v[208:209], v[210:211] offset1:1
	ds_store_2addr_b64 v214, v[204:205], v[206:207] offset0:10 offset1:11
	ds_store_2addr_b64 v214, v[200:201], v[202:203] offset0:12 offset1:13
	ds_store_2addr_b64 v214, v[196:197], v[198:199] offset0:14 offset1:15
	ds_store_2addr_b64 v214, v[192:193], v[194:195] offset0:16 offset1:17
	ds_store_2addr_b64 v214, v[188:189], v[190:191] offset0:18 offset1:19
	ds_store_2addr_b64 v214, v[184:185], v[186:187] offset0:20 offset1:21
	ds_store_2addr_b64 v214, v[180:181], v[182:183] offset0:22 offset1:23
	ds_store_2addr_b64 v214, v[176:177], v[178:179] offset0:24 offset1:25
	ds_store_2addr_b64 v214, v[172:173], v[174:175] offset0:26 offset1:27
	ds_store_2addr_b64 v214, v[168:169], v[170:171] offset0:28 offset1:29
	ds_store_2addr_b64 v214, v[164:165], v[166:167] offset0:30 offset1:31
	ds_store_2addr_b64 v214, v[160:161], v[162:163] offset0:32 offset1:33
	ds_store_2addr_b64 v214, v[156:157], v[158:159] offset0:34 offset1:35
	ds_store_2addr_b64 v214, v[152:153], v[154:155] offset0:36 offset1:37
	ds_store_2addr_b64 v214, v[148:149], v[150:151] offset0:38 offset1:39
	ds_store_2addr_b64 v214, v[144:145], v[146:147] offset0:40 offset1:41
	ds_store_2addr_b64 v214, v[140:141], v[142:143] offset0:42 offset1:43
	ds_store_2addr_b64 v214, v[136:137], v[138:139] offset0:44 offset1:45
	ds_store_2addr_b64 v214, v[132:133], v[134:135] offset0:46 offset1:47
	ds_store_2addr_b64 v214, v[128:129], v[130:131] offset0:48 offset1:49
	ds_store_2addr_b64 v214, v[124:125], v[126:127] offset0:50 offset1:51
	ds_store_2addr_b64 v214, v[120:121], v[122:123] offset0:52 offset1:53
	ds_store_2addr_b64 v214, v[116:117], v[118:119] offset0:54 offset1:55
	ds_store_2addr_b64 v214, v[112:113], v[114:115] offset0:56 offset1:57
	ds_store_2addr_b64 v214, v[108:109], v[110:111] offset0:58 offset1:59
	ds_store_2addr_b64 v214, v[104:105], v[106:107] offset0:60 offset1:61
	ds_store_2addr_b64 v214, v[100:101], v[102:103] offset0:62 offset1:63
	ds_store_2addr_b64 v214, v[96:97], v[98:99] offset0:64 offset1:65
	ds_store_2addr_b64 v214, v[92:93], v[94:95] offset0:66 offset1:67
	ds_store_2addr_b64 v214, v[88:89], v[90:91] offset0:68 offset1:69
	ds_store_2addr_b64 v214, v[84:85], v[86:87] offset0:70 offset1:71
	ds_store_2addr_b64 v214, v[80:81], v[82:83] offset0:72 offset1:73
	ds_store_2addr_b64 v214, v[76:77], v[78:79] offset0:74 offset1:75
	ds_store_2addr_b64 v214, v[72:73], v[74:75] offset0:76 offset1:77
	ds_store_2addr_b64 v214, v[68:69], v[70:71] offset0:78 offset1:79
	ds_store_2addr_b64 v214, v[64:65], v[66:67] offset0:80 offset1:81
	ds_store_2addr_b64 v214, v[60:61], v[62:63] offset0:82 offset1:83
	ds_store_2addr_b64 v214, v[56:57], v[58:59] offset0:84 offset1:85
	ds_store_2addr_b64 v214, v[52:53], v[54:55] offset0:86 offset1:87
	ds_store_2addr_b64 v214, v[48:49], v[50:51] offset0:88 offset1:89
	ds_store_2addr_b64 v214, v[44:45], v[46:47] offset0:90 offset1:91
	ds_store_2addr_b64 v214, v[40:41], v[42:43] offset0:92 offset1:93
	ds_store_2addr_b64 v214, v[36:37], v[38:39] offset0:94 offset1:95
	ds_store_2addr_b64 v214, v[32:33], v[34:35] offset0:96 offset1:97
	ds_store_2addr_b64 v214, v[28:29], v[30:31] offset0:98 offset1:99
	ds_store_2addr_b64 v214, v[24:25], v[26:27] offset0:100 offset1:101
	ds_store_2addr_b64 v214, v[20:21], v[22:23] offset0:102 offset1:103
	ds_store_2addr_b64 v214, v[16:17], v[18:19] offset0:104 offset1:105
	ds_store_2addr_b64 v214, v[12:13], v[14:15] offset0:106 offset1:107
	ds_store_2addr_b64 v214, v[8:9], v[10:11] offset0:108 offset1:109
	ds_store_2addr_b64 v214, v[4:5], v[6:7] offset0:110 offset1:111
	ds_store_2addr_b64 v214, v[0:1], v[2:3] offset0:112 offset1:113
	ds_load_2addr_b64 v[216:219], v251 offset1:1
	s_waitcnt lgkmcnt(0)
	v_cmp_neq_f64_e32 vcc_lo, 0, v[216:217]
	v_cmp_neq_f64_e64 s3, 0, v[218:219]
	s_delay_alu instid0(VALU_DEP_1) | instskip(NEXT) | instid1(SALU_CYCLE_1)
	s_or_b32 s3, vcc_lo, s3
	s_and_b32 exec_lo, exec_lo, s3
	s_cbranch_execz .LBB113_44
; %bb.39:
	v_cmp_gt_f64_e32 vcc_lo, 0, v[216:217]
	v_xor_b32_e32 v208, 0x80000000, v217
	s_delay_alu instid0(VALU_DEP_1) | instskip(SKIP_3) | instid1(VALU_DEP_1)
	v_cndmask_b32_e32 v213, v217, v208, vcc_lo
	v_cndmask_b32_e32 v212, v216, v216, vcc_lo
	v_cmp_gt_f64_e32 vcc_lo, 0, v[218:219]
	v_xor_b32_e32 v208, 0x80000000, v219
	v_dual_cndmask_b32 v220, v218, v218 :: v_dual_cndmask_b32 v221, v219, v208
	s_delay_alu instid0(VALU_DEP_1) | instskip(SKIP_1) | instid1(SALU_CYCLE_1)
	v_cmp_ngt_f64_e32 vcc_lo, v[212:213], v[220:221]
                                        ; implicit-def: $vgpr212_vgpr213
	s_and_saveexec_b32 s3, vcc_lo
	s_xor_b32 s3, exec_lo, s3
                                        ; implicit-def: $vgpr220_vgpr221_vgpr222_vgpr223
	s_cbranch_execz .LBB113_41
; %bb.40:
	v_div_scale_f64 v[212:213], null, v[218:219], v[218:219], v[216:217]
	v_div_scale_f64 v[224:225], vcc_lo, v[216:217], v[218:219], v[216:217]
	s_delay_alu instid0(VALU_DEP_2) | instskip(SKIP_2) | instid1(VALU_DEP_1)
	v_rcp_f64_e32 v[220:221], v[212:213]
	s_waitcnt_depctr 0xfff
	v_fma_f64 v[222:223], -v[212:213], v[220:221], 1.0
	v_fma_f64 v[220:221], v[220:221], v[222:223], v[220:221]
	s_delay_alu instid0(VALU_DEP_1) | instskip(NEXT) | instid1(VALU_DEP_1)
	v_fma_f64 v[222:223], -v[212:213], v[220:221], 1.0
	v_fma_f64 v[220:221], v[220:221], v[222:223], v[220:221]
	s_delay_alu instid0(VALU_DEP_1) | instskip(NEXT) | instid1(VALU_DEP_1)
	v_mul_f64 v[222:223], v[224:225], v[220:221]
	v_fma_f64 v[212:213], -v[212:213], v[222:223], v[224:225]
	s_delay_alu instid0(VALU_DEP_1) | instskip(NEXT) | instid1(VALU_DEP_1)
	v_div_fmas_f64 v[212:213], v[212:213], v[220:221], v[222:223]
	v_div_fixup_f64 v[212:213], v[212:213], v[218:219], v[216:217]
	s_delay_alu instid0(VALU_DEP_1) | instskip(NEXT) | instid1(VALU_DEP_1)
	v_fma_f64 v[216:217], v[216:217], v[212:213], v[218:219]
	v_div_scale_f64 v[218:219], null, v[216:217], v[216:217], 1.0
	s_delay_alu instid0(VALU_DEP_1) | instskip(SKIP_2) | instid1(VALU_DEP_1)
	v_rcp_f64_e32 v[220:221], v[218:219]
	s_waitcnt_depctr 0xfff
	v_fma_f64 v[222:223], -v[218:219], v[220:221], 1.0
	v_fma_f64 v[220:221], v[220:221], v[222:223], v[220:221]
	s_delay_alu instid0(VALU_DEP_1) | instskip(NEXT) | instid1(VALU_DEP_1)
	v_fma_f64 v[222:223], -v[218:219], v[220:221], 1.0
	v_fma_f64 v[220:221], v[220:221], v[222:223], v[220:221]
	v_div_scale_f64 v[222:223], vcc_lo, 1.0, v[216:217], 1.0
	s_delay_alu instid0(VALU_DEP_1) | instskip(NEXT) | instid1(VALU_DEP_1)
	v_mul_f64 v[224:225], v[222:223], v[220:221]
	v_fma_f64 v[218:219], -v[218:219], v[224:225], v[222:223]
	s_delay_alu instid0(VALU_DEP_1) | instskip(NEXT) | instid1(VALU_DEP_1)
	v_div_fmas_f64 v[218:219], v[218:219], v[220:221], v[224:225]
	v_div_fixup_f64 v[222:223], v[218:219], v[216:217], 1.0
                                        ; implicit-def: $vgpr216_vgpr217
	s_delay_alu instid0(VALU_DEP_1)
	v_mul_f64 v[212:213], v[212:213], v[222:223]
	v_xor_b32_e32 v223, 0x80000000, v223
.LBB113_41:
	s_and_not1_saveexec_b32 s3, s3
	s_cbranch_execz .LBB113_43
; %bb.42:
	v_div_scale_f64 v[212:213], null, v[216:217], v[216:217], v[218:219]
	v_div_scale_f64 v[224:225], vcc_lo, v[218:219], v[216:217], v[218:219]
	s_delay_alu instid0(VALU_DEP_2) | instskip(SKIP_2) | instid1(VALU_DEP_1)
	v_rcp_f64_e32 v[220:221], v[212:213]
	s_waitcnt_depctr 0xfff
	v_fma_f64 v[222:223], -v[212:213], v[220:221], 1.0
	v_fma_f64 v[220:221], v[220:221], v[222:223], v[220:221]
	s_delay_alu instid0(VALU_DEP_1) | instskip(NEXT) | instid1(VALU_DEP_1)
	v_fma_f64 v[222:223], -v[212:213], v[220:221], 1.0
	v_fma_f64 v[220:221], v[220:221], v[222:223], v[220:221]
	s_delay_alu instid0(VALU_DEP_1) | instskip(NEXT) | instid1(VALU_DEP_1)
	v_mul_f64 v[222:223], v[224:225], v[220:221]
	v_fma_f64 v[212:213], -v[212:213], v[222:223], v[224:225]
	s_delay_alu instid0(VALU_DEP_1) | instskip(NEXT) | instid1(VALU_DEP_1)
	v_div_fmas_f64 v[212:213], v[212:213], v[220:221], v[222:223]
	v_div_fixup_f64 v[220:221], v[212:213], v[216:217], v[218:219]
	s_delay_alu instid0(VALU_DEP_1) | instskip(NEXT) | instid1(VALU_DEP_1)
	v_fma_f64 v[212:213], v[218:219], v[220:221], v[216:217]
	v_div_scale_f64 v[216:217], null, v[212:213], v[212:213], 1.0
	s_delay_alu instid0(VALU_DEP_1) | instskip(SKIP_2) | instid1(VALU_DEP_1)
	v_rcp_f64_e32 v[218:219], v[216:217]
	s_waitcnt_depctr 0xfff
	v_fma_f64 v[222:223], -v[216:217], v[218:219], 1.0
	v_fma_f64 v[218:219], v[218:219], v[222:223], v[218:219]
	s_delay_alu instid0(VALU_DEP_1) | instskip(NEXT) | instid1(VALU_DEP_1)
	v_fma_f64 v[222:223], -v[216:217], v[218:219], 1.0
	v_fma_f64 v[218:219], v[218:219], v[222:223], v[218:219]
	v_div_scale_f64 v[222:223], vcc_lo, 1.0, v[212:213], 1.0
	s_delay_alu instid0(VALU_DEP_1) | instskip(NEXT) | instid1(VALU_DEP_1)
	v_mul_f64 v[224:225], v[222:223], v[218:219]
	v_fma_f64 v[216:217], -v[216:217], v[224:225], v[222:223]
	s_delay_alu instid0(VALU_DEP_1) | instskip(NEXT) | instid1(VALU_DEP_1)
	v_div_fmas_f64 v[216:217], v[216:217], v[218:219], v[224:225]
	v_div_fixup_f64 v[212:213], v[216:217], v[212:213], 1.0
	s_delay_alu instid0(VALU_DEP_1)
	v_mul_f64 v[222:223], v[220:221], -v[212:213]
.LBB113_43:
	s_or_b32 exec_lo, exec_lo, s3
	ds_store_2addr_b64 v251, v[212:213], v[222:223] offset1:1
.LBB113_44:
	s_or_b32 exec_lo, exec_lo, s4
	s_waitcnt lgkmcnt(0)
	s_barrier
	buffer_gl0_inv
	ds_load_2addr_b64 v[208:211], v251 offset1:1
	s_mov_b32 s3, exec_lo
	s_waitcnt lgkmcnt(0)
	scratch_store_b128 off, v[208:211], off offset:592 ; 16-byte Folded Spill
	v_cmpx_lt_u32_e32 4, v248
	s_cbranch_execz .LBB113_46
; %bb.45:
	s_clause 0x1
	scratch_load_b128 v[208:211], off, off
	scratch_load_b128 v[218:221], off, off offset:592
	s_waitcnt vmcnt(0)
	v_mul_f64 v[212:213], v[220:221], v[210:211]
	v_mul_f64 v[210:211], v[218:219], v[210:211]
	s_delay_alu instid0(VALU_DEP_2) | instskip(NEXT) | instid1(VALU_DEP_2)
	v_fma_f64 v[216:217], v[218:219], v[208:209], -v[212:213]
	v_fma_f64 v[210:211], v[220:221], v[208:209], v[210:211]
	ds_load_2addr_b64 v[218:221], v214 offset0:10 offset1:11
	s_waitcnt lgkmcnt(0)
	v_mul_f64 v[208:209], v[220:221], v[210:211]
	v_mul_f64 v[212:213], v[218:219], v[210:211]
	s_delay_alu instid0(VALU_DEP_2) | instskip(NEXT) | instid1(VALU_DEP_2)
	v_fma_f64 v[208:209], v[218:219], v[216:217], -v[208:209]
	v_fma_f64 v[212:213], v[220:221], v[216:217], v[212:213]
	ds_load_2addr_b64 v[218:221], v214 offset0:12 offset1:13
	v_add_f64 v[204:205], v[204:205], -v[208:209]
	v_add_f64 v[206:207], v[206:207], -v[212:213]
	s_waitcnt lgkmcnt(0)
	v_mul_f64 v[208:209], v[220:221], v[210:211]
	v_mul_f64 v[212:213], v[218:219], v[210:211]
	s_delay_alu instid0(VALU_DEP_2) | instskip(NEXT) | instid1(VALU_DEP_2)
	v_fma_f64 v[208:209], v[218:219], v[216:217], -v[208:209]
	v_fma_f64 v[212:213], v[220:221], v[216:217], v[212:213]
	ds_load_2addr_b64 v[218:221], v214 offset0:14 offset1:15
	v_add_f64 v[200:201], v[200:201], -v[208:209]
	v_add_f64 v[202:203], v[202:203], -v[212:213]
	s_waitcnt lgkmcnt(0)
	v_mul_f64 v[208:209], v[220:221], v[210:211]
	v_mul_f64 v[212:213], v[218:219], v[210:211]
	s_delay_alu instid0(VALU_DEP_2) | instskip(NEXT) | instid1(VALU_DEP_2)
	v_fma_f64 v[208:209], v[218:219], v[216:217], -v[208:209]
	v_fma_f64 v[212:213], v[220:221], v[216:217], v[212:213]
	ds_load_2addr_b64 v[218:221], v214 offset0:16 offset1:17
	v_add_f64 v[196:197], v[196:197], -v[208:209]
	v_add_f64 v[198:199], v[198:199], -v[212:213]
	s_waitcnt lgkmcnt(0)
	v_mul_f64 v[208:209], v[220:221], v[210:211]
	v_mul_f64 v[212:213], v[218:219], v[210:211]
	s_delay_alu instid0(VALU_DEP_2) | instskip(NEXT) | instid1(VALU_DEP_2)
	v_fma_f64 v[208:209], v[218:219], v[216:217], -v[208:209]
	v_fma_f64 v[212:213], v[220:221], v[216:217], v[212:213]
	ds_load_2addr_b64 v[218:221], v214 offset0:18 offset1:19
	v_add_f64 v[192:193], v[192:193], -v[208:209]
	v_add_f64 v[194:195], v[194:195], -v[212:213]
	s_waitcnt lgkmcnt(0)
	v_mul_f64 v[208:209], v[220:221], v[210:211]
	v_mul_f64 v[212:213], v[218:219], v[210:211]
	s_delay_alu instid0(VALU_DEP_2) | instskip(NEXT) | instid1(VALU_DEP_2)
	v_fma_f64 v[208:209], v[218:219], v[216:217], -v[208:209]
	v_fma_f64 v[212:213], v[220:221], v[216:217], v[212:213]
	ds_load_2addr_b64 v[218:221], v214 offset0:20 offset1:21
	v_add_f64 v[188:189], v[188:189], -v[208:209]
	v_add_f64 v[190:191], v[190:191], -v[212:213]
	s_waitcnt lgkmcnt(0)
	v_mul_f64 v[208:209], v[220:221], v[210:211]
	v_mul_f64 v[212:213], v[218:219], v[210:211]
	s_delay_alu instid0(VALU_DEP_2) | instskip(NEXT) | instid1(VALU_DEP_2)
	v_fma_f64 v[208:209], v[218:219], v[216:217], -v[208:209]
	v_fma_f64 v[212:213], v[220:221], v[216:217], v[212:213]
	ds_load_2addr_b64 v[218:221], v214 offset0:22 offset1:23
	v_add_f64 v[184:185], v[184:185], -v[208:209]
	v_add_f64 v[186:187], v[186:187], -v[212:213]
	s_waitcnt lgkmcnt(0)
	v_mul_f64 v[208:209], v[220:221], v[210:211]
	v_mul_f64 v[212:213], v[218:219], v[210:211]
	s_delay_alu instid0(VALU_DEP_2) | instskip(NEXT) | instid1(VALU_DEP_2)
	v_fma_f64 v[208:209], v[218:219], v[216:217], -v[208:209]
	v_fma_f64 v[212:213], v[220:221], v[216:217], v[212:213]
	ds_load_2addr_b64 v[218:221], v214 offset0:24 offset1:25
	v_add_f64 v[180:181], v[180:181], -v[208:209]
	v_add_f64 v[182:183], v[182:183], -v[212:213]
	s_waitcnt lgkmcnt(0)
	v_mul_f64 v[208:209], v[220:221], v[210:211]
	v_mul_f64 v[212:213], v[218:219], v[210:211]
	s_delay_alu instid0(VALU_DEP_2) | instskip(NEXT) | instid1(VALU_DEP_2)
	v_fma_f64 v[208:209], v[218:219], v[216:217], -v[208:209]
	v_fma_f64 v[212:213], v[220:221], v[216:217], v[212:213]
	ds_load_2addr_b64 v[218:221], v214 offset0:26 offset1:27
	v_add_f64 v[176:177], v[176:177], -v[208:209]
	v_add_f64 v[178:179], v[178:179], -v[212:213]
	s_waitcnt lgkmcnt(0)
	v_mul_f64 v[208:209], v[220:221], v[210:211]
	v_mul_f64 v[212:213], v[218:219], v[210:211]
	s_delay_alu instid0(VALU_DEP_2) | instskip(NEXT) | instid1(VALU_DEP_2)
	v_fma_f64 v[208:209], v[218:219], v[216:217], -v[208:209]
	v_fma_f64 v[212:213], v[220:221], v[216:217], v[212:213]
	ds_load_2addr_b64 v[218:221], v214 offset0:28 offset1:29
	v_add_f64 v[172:173], v[172:173], -v[208:209]
	v_add_f64 v[174:175], v[174:175], -v[212:213]
	s_waitcnt lgkmcnt(0)
	v_mul_f64 v[208:209], v[220:221], v[210:211]
	v_mul_f64 v[212:213], v[218:219], v[210:211]
	s_delay_alu instid0(VALU_DEP_2) | instskip(NEXT) | instid1(VALU_DEP_2)
	v_fma_f64 v[208:209], v[218:219], v[216:217], -v[208:209]
	v_fma_f64 v[212:213], v[220:221], v[216:217], v[212:213]
	ds_load_2addr_b64 v[218:221], v214 offset0:30 offset1:31
	v_add_f64 v[168:169], v[168:169], -v[208:209]
	v_add_f64 v[170:171], v[170:171], -v[212:213]
	s_waitcnt lgkmcnt(0)
	v_mul_f64 v[208:209], v[220:221], v[210:211]
	v_mul_f64 v[212:213], v[218:219], v[210:211]
	s_delay_alu instid0(VALU_DEP_2) | instskip(NEXT) | instid1(VALU_DEP_2)
	v_fma_f64 v[208:209], v[218:219], v[216:217], -v[208:209]
	v_fma_f64 v[212:213], v[220:221], v[216:217], v[212:213]
	ds_load_2addr_b64 v[218:221], v214 offset0:32 offset1:33
	v_add_f64 v[164:165], v[164:165], -v[208:209]
	v_add_f64 v[166:167], v[166:167], -v[212:213]
	s_waitcnt lgkmcnt(0)
	v_mul_f64 v[208:209], v[220:221], v[210:211]
	v_mul_f64 v[212:213], v[218:219], v[210:211]
	s_delay_alu instid0(VALU_DEP_2) | instskip(NEXT) | instid1(VALU_DEP_2)
	v_fma_f64 v[208:209], v[218:219], v[216:217], -v[208:209]
	v_fma_f64 v[212:213], v[220:221], v[216:217], v[212:213]
	ds_load_2addr_b64 v[218:221], v214 offset0:34 offset1:35
	v_add_f64 v[160:161], v[160:161], -v[208:209]
	v_add_f64 v[162:163], v[162:163], -v[212:213]
	s_waitcnt lgkmcnt(0)
	v_mul_f64 v[208:209], v[220:221], v[210:211]
	v_mul_f64 v[212:213], v[218:219], v[210:211]
	s_delay_alu instid0(VALU_DEP_2) | instskip(NEXT) | instid1(VALU_DEP_2)
	v_fma_f64 v[208:209], v[218:219], v[216:217], -v[208:209]
	v_fma_f64 v[212:213], v[220:221], v[216:217], v[212:213]
	ds_load_2addr_b64 v[218:221], v214 offset0:36 offset1:37
	v_add_f64 v[156:157], v[156:157], -v[208:209]
	v_add_f64 v[158:159], v[158:159], -v[212:213]
	s_waitcnt lgkmcnt(0)
	v_mul_f64 v[208:209], v[220:221], v[210:211]
	v_mul_f64 v[212:213], v[218:219], v[210:211]
	s_delay_alu instid0(VALU_DEP_2) | instskip(NEXT) | instid1(VALU_DEP_2)
	v_fma_f64 v[208:209], v[218:219], v[216:217], -v[208:209]
	v_fma_f64 v[212:213], v[220:221], v[216:217], v[212:213]
	ds_load_2addr_b64 v[218:221], v214 offset0:38 offset1:39
	v_add_f64 v[152:153], v[152:153], -v[208:209]
	v_add_f64 v[154:155], v[154:155], -v[212:213]
	s_waitcnt lgkmcnt(0)
	v_mul_f64 v[208:209], v[220:221], v[210:211]
	v_mul_f64 v[212:213], v[218:219], v[210:211]
	s_delay_alu instid0(VALU_DEP_2) | instskip(NEXT) | instid1(VALU_DEP_2)
	v_fma_f64 v[208:209], v[218:219], v[216:217], -v[208:209]
	v_fma_f64 v[212:213], v[220:221], v[216:217], v[212:213]
	ds_load_2addr_b64 v[218:221], v214 offset0:40 offset1:41
	v_add_f64 v[148:149], v[148:149], -v[208:209]
	v_add_f64 v[150:151], v[150:151], -v[212:213]
	s_waitcnt lgkmcnt(0)
	v_mul_f64 v[208:209], v[220:221], v[210:211]
	v_mul_f64 v[212:213], v[218:219], v[210:211]
	s_delay_alu instid0(VALU_DEP_2) | instskip(NEXT) | instid1(VALU_DEP_2)
	v_fma_f64 v[208:209], v[218:219], v[216:217], -v[208:209]
	v_fma_f64 v[212:213], v[220:221], v[216:217], v[212:213]
	ds_load_2addr_b64 v[218:221], v214 offset0:42 offset1:43
	v_add_f64 v[144:145], v[144:145], -v[208:209]
	v_add_f64 v[146:147], v[146:147], -v[212:213]
	s_waitcnt lgkmcnt(0)
	v_mul_f64 v[208:209], v[220:221], v[210:211]
	v_mul_f64 v[212:213], v[218:219], v[210:211]
	s_delay_alu instid0(VALU_DEP_2) | instskip(NEXT) | instid1(VALU_DEP_2)
	v_fma_f64 v[208:209], v[218:219], v[216:217], -v[208:209]
	v_fma_f64 v[212:213], v[220:221], v[216:217], v[212:213]
	ds_load_2addr_b64 v[218:221], v214 offset0:44 offset1:45
	v_add_f64 v[140:141], v[140:141], -v[208:209]
	v_add_f64 v[142:143], v[142:143], -v[212:213]
	s_waitcnt lgkmcnt(0)
	v_mul_f64 v[208:209], v[220:221], v[210:211]
	v_mul_f64 v[212:213], v[218:219], v[210:211]
	s_delay_alu instid0(VALU_DEP_2) | instskip(NEXT) | instid1(VALU_DEP_2)
	v_fma_f64 v[208:209], v[218:219], v[216:217], -v[208:209]
	v_fma_f64 v[212:213], v[220:221], v[216:217], v[212:213]
	ds_load_2addr_b64 v[218:221], v214 offset0:46 offset1:47
	v_add_f64 v[136:137], v[136:137], -v[208:209]
	v_add_f64 v[138:139], v[138:139], -v[212:213]
	s_waitcnt lgkmcnt(0)
	v_mul_f64 v[208:209], v[220:221], v[210:211]
	v_mul_f64 v[212:213], v[218:219], v[210:211]
	s_delay_alu instid0(VALU_DEP_2) | instskip(NEXT) | instid1(VALU_DEP_2)
	v_fma_f64 v[208:209], v[218:219], v[216:217], -v[208:209]
	v_fma_f64 v[212:213], v[220:221], v[216:217], v[212:213]
	ds_load_2addr_b64 v[218:221], v214 offset0:48 offset1:49
	v_add_f64 v[132:133], v[132:133], -v[208:209]
	v_add_f64 v[134:135], v[134:135], -v[212:213]
	s_waitcnt lgkmcnt(0)
	v_mul_f64 v[208:209], v[220:221], v[210:211]
	v_mul_f64 v[212:213], v[218:219], v[210:211]
	s_delay_alu instid0(VALU_DEP_2) | instskip(NEXT) | instid1(VALU_DEP_2)
	v_fma_f64 v[208:209], v[218:219], v[216:217], -v[208:209]
	v_fma_f64 v[212:213], v[220:221], v[216:217], v[212:213]
	ds_load_2addr_b64 v[218:221], v214 offset0:50 offset1:51
	v_add_f64 v[128:129], v[128:129], -v[208:209]
	v_add_f64 v[130:131], v[130:131], -v[212:213]
	s_waitcnt lgkmcnt(0)
	v_mul_f64 v[208:209], v[220:221], v[210:211]
	v_mul_f64 v[212:213], v[218:219], v[210:211]
	s_delay_alu instid0(VALU_DEP_2) | instskip(NEXT) | instid1(VALU_DEP_2)
	v_fma_f64 v[208:209], v[218:219], v[216:217], -v[208:209]
	v_fma_f64 v[212:213], v[220:221], v[216:217], v[212:213]
	ds_load_2addr_b64 v[218:221], v214 offset0:52 offset1:53
	v_add_f64 v[124:125], v[124:125], -v[208:209]
	v_add_f64 v[126:127], v[126:127], -v[212:213]
	s_waitcnt lgkmcnt(0)
	v_mul_f64 v[208:209], v[220:221], v[210:211]
	v_mul_f64 v[212:213], v[218:219], v[210:211]
	s_delay_alu instid0(VALU_DEP_2) | instskip(NEXT) | instid1(VALU_DEP_2)
	v_fma_f64 v[208:209], v[218:219], v[216:217], -v[208:209]
	v_fma_f64 v[212:213], v[220:221], v[216:217], v[212:213]
	ds_load_2addr_b64 v[218:221], v214 offset0:54 offset1:55
	v_add_f64 v[120:121], v[120:121], -v[208:209]
	v_add_f64 v[122:123], v[122:123], -v[212:213]
	s_waitcnt lgkmcnt(0)
	v_mul_f64 v[208:209], v[220:221], v[210:211]
	v_mul_f64 v[212:213], v[218:219], v[210:211]
	s_delay_alu instid0(VALU_DEP_2) | instskip(NEXT) | instid1(VALU_DEP_2)
	v_fma_f64 v[208:209], v[218:219], v[216:217], -v[208:209]
	v_fma_f64 v[212:213], v[220:221], v[216:217], v[212:213]
	ds_load_2addr_b64 v[218:221], v214 offset0:56 offset1:57
	v_add_f64 v[116:117], v[116:117], -v[208:209]
	v_add_f64 v[118:119], v[118:119], -v[212:213]
	s_waitcnt lgkmcnt(0)
	v_mul_f64 v[208:209], v[220:221], v[210:211]
	v_mul_f64 v[212:213], v[218:219], v[210:211]
	s_delay_alu instid0(VALU_DEP_2) | instskip(NEXT) | instid1(VALU_DEP_2)
	v_fma_f64 v[208:209], v[218:219], v[216:217], -v[208:209]
	v_fma_f64 v[212:213], v[220:221], v[216:217], v[212:213]
	ds_load_2addr_b64 v[218:221], v214 offset0:58 offset1:59
	v_add_f64 v[112:113], v[112:113], -v[208:209]
	v_add_f64 v[114:115], v[114:115], -v[212:213]
	s_waitcnt lgkmcnt(0)
	v_mul_f64 v[208:209], v[220:221], v[210:211]
	v_mul_f64 v[212:213], v[218:219], v[210:211]
	s_delay_alu instid0(VALU_DEP_2) | instskip(NEXT) | instid1(VALU_DEP_2)
	v_fma_f64 v[208:209], v[218:219], v[216:217], -v[208:209]
	v_fma_f64 v[212:213], v[220:221], v[216:217], v[212:213]
	ds_load_2addr_b64 v[218:221], v214 offset0:60 offset1:61
	v_add_f64 v[108:109], v[108:109], -v[208:209]
	v_add_f64 v[110:111], v[110:111], -v[212:213]
	s_waitcnt lgkmcnt(0)
	v_mul_f64 v[208:209], v[220:221], v[210:211]
	v_mul_f64 v[212:213], v[218:219], v[210:211]
	s_delay_alu instid0(VALU_DEP_2) | instskip(NEXT) | instid1(VALU_DEP_2)
	v_fma_f64 v[208:209], v[218:219], v[216:217], -v[208:209]
	v_fma_f64 v[212:213], v[220:221], v[216:217], v[212:213]
	ds_load_2addr_b64 v[218:221], v214 offset0:62 offset1:63
	v_add_f64 v[104:105], v[104:105], -v[208:209]
	v_add_f64 v[106:107], v[106:107], -v[212:213]
	s_waitcnt lgkmcnt(0)
	v_mul_f64 v[208:209], v[220:221], v[210:211]
	v_mul_f64 v[212:213], v[218:219], v[210:211]
	s_delay_alu instid0(VALU_DEP_2) | instskip(NEXT) | instid1(VALU_DEP_2)
	v_fma_f64 v[208:209], v[218:219], v[216:217], -v[208:209]
	v_fma_f64 v[212:213], v[220:221], v[216:217], v[212:213]
	ds_load_2addr_b64 v[218:221], v214 offset0:64 offset1:65
	v_add_f64 v[100:101], v[100:101], -v[208:209]
	v_add_f64 v[102:103], v[102:103], -v[212:213]
	s_waitcnt lgkmcnt(0)
	v_mul_f64 v[208:209], v[220:221], v[210:211]
	v_mul_f64 v[212:213], v[218:219], v[210:211]
	s_delay_alu instid0(VALU_DEP_2) | instskip(NEXT) | instid1(VALU_DEP_2)
	v_fma_f64 v[208:209], v[218:219], v[216:217], -v[208:209]
	v_fma_f64 v[212:213], v[220:221], v[216:217], v[212:213]
	ds_load_2addr_b64 v[218:221], v214 offset0:66 offset1:67
	v_add_f64 v[96:97], v[96:97], -v[208:209]
	v_add_f64 v[98:99], v[98:99], -v[212:213]
	s_waitcnt lgkmcnt(0)
	v_mul_f64 v[208:209], v[220:221], v[210:211]
	v_mul_f64 v[212:213], v[218:219], v[210:211]
	s_delay_alu instid0(VALU_DEP_2) | instskip(NEXT) | instid1(VALU_DEP_2)
	v_fma_f64 v[208:209], v[218:219], v[216:217], -v[208:209]
	v_fma_f64 v[212:213], v[220:221], v[216:217], v[212:213]
	ds_load_2addr_b64 v[218:221], v214 offset0:68 offset1:69
	v_add_f64 v[92:93], v[92:93], -v[208:209]
	v_add_f64 v[94:95], v[94:95], -v[212:213]
	s_waitcnt lgkmcnt(0)
	v_mul_f64 v[208:209], v[220:221], v[210:211]
	v_mul_f64 v[212:213], v[218:219], v[210:211]
	s_delay_alu instid0(VALU_DEP_2) | instskip(NEXT) | instid1(VALU_DEP_2)
	v_fma_f64 v[208:209], v[218:219], v[216:217], -v[208:209]
	v_fma_f64 v[212:213], v[220:221], v[216:217], v[212:213]
	ds_load_2addr_b64 v[218:221], v214 offset0:70 offset1:71
	v_add_f64 v[88:89], v[88:89], -v[208:209]
	v_add_f64 v[90:91], v[90:91], -v[212:213]
	s_waitcnt lgkmcnt(0)
	v_mul_f64 v[208:209], v[220:221], v[210:211]
	v_mul_f64 v[212:213], v[218:219], v[210:211]
	s_delay_alu instid0(VALU_DEP_2) | instskip(NEXT) | instid1(VALU_DEP_2)
	v_fma_f64 v[208:209], v[218:219], v[216:217], -v[208:209]
	v_fma_f64 v[212:213], v[220:221], v[216:217], v[212:213]
	ds_load_2addr_b64 v[218:221], v214 offset0:72 offset1:73
	v_add_f64 v[84:85], v[84:85], -v[208:209]
	v_add_f64 v[86:87], v[86:87], -v[212:213]
	s_waitcnt lgkmcnt(0)
	v_mul_f64 v[208:209], v[220:221], v[210:211]
	v_mul_f64 v[212:213], v[218:219], v[210:211]
	s_delay_alu instid0(VALU_DEP_2) | instskip(NEXT) | instid1(VALU_DEP_2)
	v_fma_f64 v[208:209], v[218:219], v[216:217], -v[208:209]
	v_fma_f64 v[212:213], v[220:221], v[216:217], v[212:213]
	ds_load_2addr_b64 v[218:221], v214 offset0:74 offset1:75
	v_add_f64 v[80:81], v[80:81], -v[208:209]
	v_add_f64 v[82:83], v[82:83], -v[212:213]
	s_waitcnt lgkmcnt(0)
	v_mul_f64 v[208:209], v[220:221], v[210:211]
	v_mul_f64 v[212:213], v[218:219], v[210:211]
	s_delay_alu instid0(VALU_DEP_2) | instskip(NEXT) | instid1(VALU_DEP_2)
	v_fma_f64 v[208:209], v[218:219], v[216:217], -v[208:209]
	v_fma_f64 v[212:213], v[220:221], v[216:217], v[212:213]
	ds_load_2addr_b64 v[218:221], v214 offset0:76 offset1:77
	v_add_f64 v[76:77], v[76:77], -v[208:209]
	v_add_f64 v[78:79], v[78:79], -v[212:213]
	s_waitcnt lgkmcnt(0)
	v_mul_f64 v[208:209], v[220:221], v[210:211]
	v_mul_f64 v[212:213], v[218:219], v[210:211]
	s_delay_alu instid0(VALU_DEP_2) | instskip(NEXT) | instid1(VALU_DEP_2)
	v_fma_f64 v[208:209], v[218:219], v[216:217], -v[208:209]
	v_fma_f64 v[212:213], v[220:221], v[216:217], v[212:213]
	ds_load_2addr_b64 v[218:221], v214 offset0:78 offset1:79
	v_add_f64 v[72:73], v[72:73], -v[208:209]
	v_add_f64 v[74:75], v[74:75], -v[212:213]
	s_waitcnt lgkmcnt(0)
	v_mul_f64 v[208:209], v[220:221], v[210:211]
	v_mul_f64 v[212:213], v[218:219], v[210:211]
	s_delay_alu instid0(VALU_DEP_2) | instskip(NEXT) | instid1(VALU_DEP_2)
	v_fma_f64 v[208:209], v[218:219], v[216:217], -v[208:209]
	v_fma_f64 v[212:213], v[220:221], v[216:217], v[212:213]
	ds_load_2addr_b64 v[218:221], v214 offset0:80 offset1:81
	v_add_f64 v[68:69], v[68:69], -v[208:209]
	v_add_f64 v[70:71], v[70:71], -v[212:213]
	s_waitcnt lgkmcnt(0)
	v_mul_f64 v[208:209], v[220:221], v[210:211]
	v_mul_f64 v[212:213], v[218:219], v[210:211]
	s_delay_alu instid0(VALU_DEP_2) | instskip(NEXT) | instid1(VALU_DEP_2)
	v_fma_f64 v[208:209], v[218:219], v[216:217], -v[208:209]
	v_fma_f64 v[212:213], v[220:221], v[216:217], v[212:213]
	ds_load_2addr_b64 v[218:221], v214 offset0:82 offset1:83
	v_add_f64 v[64:65], v[64:65], -v[208:209]
	v_add_f64 v[66:67], v[66:67], -v[212:213]
	s_waitcnt lgkmcnt(0)
	v_mul_f64 v[208:209], v[220:221], v[210:211]
	v_mul_f64 v[212:213], v[218:219], v[210:211]
	s_delay_alu instid0(VALU_DEP_2) | instskip(NEXT) | instid1(VALU_DEP_2)
	v_fma_f64 v[208:209], v[218:219], v[216:217], -v[208:209]
	v_fma_f64 v[212:213], v[220:221], v[216:217], v[212:213]
	ds_load_2addr_b64 v[218:221], v214 offset0:84 offset1:85
	v_add_f64 v[60:61], v[60:61], -v[208:209]
	v_add_f64 v[62:63], v[62:63], -v[212:213]
	s_waitcnt lgkmcnt(0)
	v_mul_f64 v[208:209], v[220:221], v[210:211]
	v_mul_f64 v[212:213], v[218:219], v[210:211]
	s_delay_alu instid0(VALU_DEP_2) | instskip(NEXT) | instid1(VALU_DEP_2)
	v_fma_f64 v[208:209], v[218:219], v[216:217], -v[208:209]
	v_fma_f64 v[212:213], v[220:221], v[216:217], v[212:213]
	ds_load_2addr_b64 v[218:221], v214 offset0:86 offset1:87
	v_add_f64 v[56:57], v[56:57], -v[208:209]
	v_add_f64 v[58:59], v[58:59], -v[212:213]
	s_waitcnt lgkmcnt(0)
	v_mul_f64 v[208:209], v[220:221], v[210:211]
	v_mul_f64 v[212:213], v[218:219], v[210:211]
	s_delay_alu instid0(VALU_DEP_2) | instskip(NEXT) | instid1(VALU_DEP_2)
	v_fma_f64 v[208:209], v[218:219], v[216:217], -v[208:209]
	v_fma_f64 v[212:213], v[220:221], v[216:217], v[212:213]
	ds_load_2addr_b64 v[218:221], v214 offset0:88 offset1:89
	v_add_f64 v[52:53], v[52:53], -v[208:209]
	v_add_f64 v[54:55], v[54:55], -v[212:213]
	s_waitcnt lgkmcnt(0)
	v_mul_f64 v[208:209], v[220:221], v[210:211]
	v_mul_f64 v[212:213], v[218:219], v[210:211]
	s_delay_alu instid0(VALU_DEP_2) | instskip(NEXT) | instid1(VALU_DEP_2)
	v_fma_f64 v[208:209], v[218:219], v[216:217], -v[208:209]
	v_fma_f64 v[212:213], v[220:221], v[216:217], v[212:213]
	ds_load_2addr_b64 v[218:221], v214 offset0:90 offset1:91
	v_add_f64 v[48:49], v[48:49], -v[208:209]
	v_add_f64 v[50:51], v[50:51], -v[212:213]
	s_waitcnt lgkmcnt(0)
	v_mul_f64 v[208:209], v[220:221], v[210:211]
	v_mul_f64 v[212:213], v[218:219], v[210:211]
	s_delay_alu instid0(VALU_DEP_2) | instskip(NEXT) | instid1(VALU_DEP_2)
	v_fma_f64 v[208:209], v[218:219], v[216:217], -v[208:209]
	v_fma_f64 v[212:213], v[220:221], v[216:217], v[212:213]
	ds_load_2addr_b64 v[218:221], v214 offset0:92 offset1:93
	v_add_f64 v[44:45], v[44:45], -v[208:209]
	v_add_f64 v[46:47], v[46:47], -v[212:213]
	s_waitcnt lgkmcnt(0)
	v_mul_f64 v[208:209], v[220:221], v[210:211]
	v_mul_f64 v[212:213], v[218:219], v[210:211]
	s_delay_alu instid0(VALU_DEP_2) | instskip(NEXT) | instid1(VALU_DEP_2)
	v_fma_f64 v[208:209], v[218:219], v[216:217], -v[208:209]
	v_fma_f64 v[212:213], v[220:221], v[216:217], v[212:213]
	ds_load_2addr_b64 v[218:221], v214 offset0:94 offset1:95
	v_add_f64 v[40:41], v[40:41], -v[208:209]
	v_add_f64 v[42:43], v[42:43], -v[212:213]
	s_waitcnt lgkmcnt(0)
	v_mul_f64 v[208:209], v[220:221], v[210:211]
	v_mul_f64 v[212:213], v[218:219], v[210:211]
	s_delay_alu instid0(VALU_DEP_2) | instskip(NEXT) | instid1(VALU_DEP_2)
	v_fma_f64 v[208:209], v[218:219], v[216:217], -v[208:209]
	v_fma_f64 v[212:213], v[220:221], v[216:217], v[212:213]
	ds_load_2addr_b64 v[218:221], v214 offset0:96 offset1:97
	v_add_f64 v[36:37], v[36:37], -v[208:209]
	v_add_f64 v[38:39], v[38:39], -v[212:213]
	s_waitcnt lgkmcnt(0)
	v_mul_f64 v[208:209], v[220:221], v[210:211]
	v_mul_f64 v[212:213], v[218:219], v[210:211]
	s_delay_alu instid0(VALU_DEP_2) | instskip(NEXT) | instid1(VALU_DEP_2)
	v_fma_f64 v[208:209], v[218:219], v[216:217], -v[208:209]
	v_fma_f64 v[212:213], v[220:221], v[216:217], v[212:213]
	ds_load_2addr_b64 v[218:221], v214 offset0:98 offset1:99
	v_add_f64 v[32:33], v[32:33], -v[208:209]
	v_add_f64 v[34:35], v[34:35], -v[212:213]
	s_waitcnt lgkmcnt(0)
	v_mul_f64 v[208:209], v[220:221], v[210:211]
	v_mul_f64 v[212:213], v[218:219], v[210:211]
	s_delay_alu instid0(VALU_DEP_2) | instskip(NEXT) | instid1(VALU_DEP_2)
	v_fma_f64 v[208:209], v[218:219], v[216:217], -v[208:209]
	v_fma_f64 v[212:213], v[220:221], v[216:217], v[212:213]
	ds_load_2addr_b64 v[218:221], v214 offset0:100 offset1:101
	v_add_f64 v[28:29], v[28:29], -v[208:209]
	v_add_f64 v[30:31], v[30:31], -v[212:213]
	s_waitcnt lgkmcnt(0)
	v_mul_f64 v[208:209], v[220:221], v[210:211]
	v_mul_f64 v[212:213], v[218:219], v[210:211]
	s_delay_alu instid0(VALU_DEP_2) | instskip(NEXT) | instid1(VALU_DEP_2)
	v_fma_f64 v[208:209], v[218:219], v[216:217], -v[208:209]
	v_fma_f64 v[212:213], v[220:221], v[216:217], v[212:213]
	ds_load_2addr_b64 v[218:221], v214 offset0:102 offset1:103
	v_add_f64 v[24:25], v[24:25], -v[208:209]
	v_add_f64 v[26:27], v[26:27], -v[212:213]
	s_waitcnt lgkmcnt(0)
	v_mul_f64 v[208:209], v[220:221], v[210:211]
	v_mul_f64 v[212:213], v[218:219], v[210:211]
	s_delay_alu instid0(VALU_DEP_2) | instskip(NEXT) | instid1(VALU_DEP_2)
	v_fma_f64 v[208:209], v[218:219], v[216:217], -v[208:209]
	v_fma_f64 v[212:213], v[220:221], v[216:217], v[212:213]
	ds_load_2addr_b64 v[218:221], v214 offset0:104 offset1:105
	v_add_f64 v[20:21], v[20:21], -v[208:209]
	v_add_f64 v[22:23], v[22:23], -v[212:213]
	s_waitcnt lgkmcnt(0)
	v_mul_f64 v[208:209], v[220:221], v[210:211]
	v_mul_f64 v[212:213], v[218:219], v[210:211]
	s_delay_alu instid0(VALU_DEP_2) | instskip(NEXT) | instid1(VALU_DEP_2)
	v_fma_f64 v[208:209], v[218:219], v[216:217], -v[208:209]
	v_fma_f64 v[212:213], v[220:221], v[216:217], v[212:213]
	ds_load_2addr_b64 v[218:221], v214 offset0:106 offset1:107
	v_add_f64 v[16:17], v[16:17], -v[208:209]
	v_add_f64 v[18:19], v[18:19], -v[212:213]
	s_waitcnt lgkmcnt(0)
	v_mul_f64 v[208:209], v[220:221], v[210:211]
	v_mul_f64 v[212:213], v[218:219], v[210:211]
	s_delay_alu instid0(VALU_DEP_2) | instskip(NEXT) | instid1(VALU_DEP_2)
	v_fma_f64 v[208:209], v[218:219], v[216:217], -v[208:209]
	v_fma_f64 v[212:213], v[220:221], v[216:217], v[212:213]
	ds_load_2addr_b64 v[218:221], v214 offset0:108 offset1:109
	v_add_f64 v[12:13], v[12:13], -v[208:209]
	v_add_f64 v[14:15], v[14:15], -v[212:213]
	s_waitcnt lgkmcnt(0)
	v_mul_f64 v[208:209], v[220:221], v[210:211]
	v_mul_f64 v[212:213], v[218:219], v[210:211]
	s_delay_alu instid0(VALU_DEP_2) | instskip(NEXT) | instid1(VALU_DEP_2)
	v_fma_f64 v[208:209], v[218:219], v[216:217], -v[208:209]
	v_fma_f64 v[212:213], v[220:221], v[216:217], v[212:213]
	ds_load_2addr_b64 v[218:221], v214 offset0:110 offset1:111
	v_add_f64 v[8:9], v[8:9], -v[208:209]
	v_add_f64 v[10:11], v[10:11], -v[212:213]
	s_waitcnt lgkmcnt(0)
	v_mul_f64 v[208:209], v[220:221], v[210:211]
	v_mul_f64 v[212:213], v[218:219], v[210:211]
	s_delay_alu instid0(VALU_DEP_2) | instskip(NEXT) | instid1(VALU_DEP_2)
	v_fma_f64 v[208:209], v[218:219], v[216:217], -v[208:209]
	v_fma_f64 v[212:213], v[220:221], v[216:217], v[212:213]
	ds_load_2addr_b64 v[218:221], v214 offset0:112 offset1:113
	v_add_f64 v[4:5], v[4:5], -v[208:209]
	v_add_f64 v[6:7], v[6:7], -v[212:213]
	s_waitcnt lgkmcnt(0)
	v_mul_f64 v[208:209], v[220:221], v[210:211]
	v_mul_f64 v[212:213], v[218:219], v[210:211]
	s_delay_alu instid0(VALU_DEP_2) | instskip(NEXT) | instid1(VALU_DEP_2)
	v_fma_f64 v[208:209], v[218:219], v[216:217], -v[208:209]
	v_fma_f64 v[212:213], v[220:221], v[216:217], v[212:213]
	s_delay_alu instid0(VALU_DEP_2) | instskip(NEXT) | instid1(VALU_DEP_2)
	v_add_f64 v[0:1], v[0:1], -v[208:209]
	v_add_f64 v[2:3], v[2:3], -v[212:213]
	v_dual_mov_b32 v208, v216 :: v_dual_mov_b32 v209, v217
	scratch_store_b128 off, v[208:211], off ; 16-byte Folded Spill
.LBB113_46:
	s_or_b32 exec_lo, exec_lo, s3
	s_delay_alu instid0(SALU_CYCLE_1)
	s_mov_b32 s4, exec_lo
	s_waitcnt_vscnt null, 0x0
	s_barrier
	buffer_gl0_inv
	v_cmpx_eq_u32_e32 5, v248
	s_cbranch_execz .LBB113_53
; %bb.47:
	ds_store_2addr_b64 v251, v[204:205], v[206:207] offset1:1
	ds_store_2addr_b64 v214, v[200:201], v[202:203] offset0:12 offset1:13
	ds_store_2addr_b64 v214, v[196:197], v[198:199] offset0:14 offset1:15
	;; [unrolled: 1-line block ×51, first 2 shown]
	ds_load_2addr_b64 v[216:219], v251 offset1:1
	s_waitcnt lgkmcnt(0)
	v_cmp_neq_f64_e32 vcc_lo, 0, v[216:217]
	v_cmp_neq_f64_e64 s3, 0, v[218:219]
	s_delay_alu instid0(VALU_DEP_1) | instskip(NEXT) | instid1(SALU_CYCLE_1)
	s_or_b32 s3, vcc_lo, s3
	s_and_b32 exec_lo, exec_lo, s3
	s_cbranch_execz .LBB113_53
; %bb.48:
	v_cmp_gt_f64_e32 vcc_lo, 0, v[216:217]
	v_xor_b32_e32 v208, 0x80000000, v217
	s_delay_alu instid0(VALU_DEP_1) | instskip(SKIP_3) | instid1(VALU_DEP_1)
	v_cndmask_b32_e32 v213, v217, v208, vcc_lo
	v_cndmask_b32_e32 v212, v216, v216, vcc_lo
	v_cmp_gt_f64_e32 vcc_lo, 0, v[218:219]
	v_xor_b32_e32 v208, 0x80000000, v219
	v_dual_cndmask_b32 v220, v218, v218 :: v_dual_cndmask_b32 v221, v219, v208
	s_delay_alu instid0(VALU_DEP_1) | instskip(SKIP_1) | instid1(SALU_CYCLE_1)
	v_cmp_ngt_f64_e32 vcc_lo, v[212:213], v[220:221]
                                        ; implicit-def: $vgpr212_vgpr213
	s_and_saveexec_b32 s3, vcc_lo
	s_xor_b32 s3, exec_lo, s3
                                        ; implicit-def: $vgpr220_vgpr221_vgpr222_vgpr223
	s_cbranch_execz .LBB113_50
; %bb.49:
	v_div_scale_f64 v[212:213], null, v[218:219], v[218:219], v[216:217]
	v_div_scale_f64 v[224:225], vcc_lo, v[216:217], v[218:219], v[216:217]
	s_delay_alu instid0(VALU_DEP_2) | instskip(SKIP_2) | instid1(VALU_DEP_1)
	v_rcp_f64_e32 v[220:221], v[212:213]
	s_waitcnt_depctr 0xfff
	v_fma_f64 v[222:223], -v[212:213], v[220:221], 1.0
	v_fma_f64 v[220:221], v[220:221], v[222:223], v[220:221]
	s_delay_alu instid0(VALU_DEP_1) | instskip(NEXT) | instid1(VALU_DEP_1)
	v_fma_f64 v[222:223], -v[212:213], v[220:221], 1.0
	v_fma_f64 v[220:221], v[220:221], v[222:223], v[220:221]
	s_delay_alu instid0(VALU_DEP_1) | instskip(NEXT) | instid1(VALU_DEP_1)
	v_mul_f64 v[222:223], v[224:225], v[220:221]
	v_fma_f64 v[212:213], -v[212:213], v[222:223], v[224:225]
	s_delay_alu instid0(VALU_DEP_1) | instskip(NEXT) | instid1(VALU_DEP_1)
	v_div_fmas_f64 v[212:213], v[212:213], v[220:221], v[222:223]
	v_div_fixup_f64 v[212:213], v[212:213], v[218:219], v[216:217]
	s_delay_alu instid0(VALU_DEP_1) | instskip(NEXT) | instid1(VALU_DEP_1)
	v_fma_f64 v[216:217], v[216:217], v[212:213], v[218:219]
	v_div_scale_f64 v[218:219], null, v[216:217], v[216:217], 1.0
	s_delay_alu instid0(VALU_DEP_1) | instskip(SKIP_2) | instid1(VALU_DEP_1)
	v_rcp_f64_e32 v[220:221], v[218:219]
	s_waitcnt_depctr 0xfff
	v_fma_f64 v[222:223], -v[218:219], v[220:221], 1.0
	v_fma_f64 v[220:221], v[220:221], v[222:223], v[220:221]
	s_delay_alu instid0(VALU_DEP_1) | instskip(NEXT) | instid1(VALU_DEP_1)
	v_fma_f64 v[222:223], -v[218:219], v[220:221], 1.0
	v_fma_f64 v[220:221], v[220:221], v[222:223], v[220:221]
	v_div_scale_f64 v[222:223], vcc_lo, 1.0, v[216:217], 1.0
	s_delay_alu instid0(VALU_DEP_1) | instskip(NEXT) | instid1(VALU_DEP_1)
	v_mul_f64 v[224:225], v[222:223], v[220:221]
	v_fma_f64 v[218:219], -v[218:219], v[224:225], v[222:223]
	s_delay_alu instid0(VALU_DEP_1) | instskip(NEXT) | instid1(VALU_DEP_1)
	v_div_fmas_f64 v[218:219], v[218:219], v[220:221], v[224:225]
	v_div_fixup_f64 v[222:223], v[218:219], v[216:217], 1.0
                                        ; implicit-def: $vgpr216_vgpr217
	s_delay_alu instid0(VALU_DEP_1)
	v_mul_f64 v[212:213], v[212:213], v[222:223]
	v_xor_b32_e32 v223, 0x80000000, v223
.LBB113_50:
	s_and_not1_saveexec_b32 s3, s3
	s_cbranch_execz .LBB113_52
; %bb.51:
	v_div_scale_f64 v[212:213], null, v[216:217], v[216:217], v[218:219]
	v_div_scale_f64 v[224:225], vcc_lo, v[218:219], v[216:217], v[218:219]
	s_delay_alu instid0(VALU_DEP_2) | instskip(SKIP_2) | instid1(VALU_DEP_1)
	v_rcp_f64_e32 v[220:221], v[212:213]
	s_waitcnt_depctr 0xfff
	v_fma_f64 v[222:223], -v[212:213], v[220:221], 1.0
	v_fma_f64 v[220:221], v[220:221], v[222:223], v[220:221]
	s_delay_alu instid0(VALU_DEP_1) | instskip(NEXT) | instid1(VALU_DEP_1)
	v_fma_f64 v[222:223], -v[212:213], v[220:221], 1.0
	v_fma_f64 v[220:221], v[220:221], v[222:223], v[220:221]
	s_delay_alu instid0(VALU_DEP_1) | instskip(NEXT) | instid1(VALU_DEP_1)
	v_mul_f64 v[222:223], v[224:225], v[220:221]
	v_fma_f64 v[212:213], -v[212:213], v[222:223], v[224:225]
	s_delay_alu instid0(VALU_DEP_1) | instskip(NEXT) | instid1(VALU_DEP_1)
	v_div_fmas_f64 v[212:213], v[212:213], v[220:221], v[222:223]
	v_div_fixup_f64 v[220:221], v[212:213], v[216:217], v[218:219]
	s_delay_alu instid0(VALU_DEP_1) | instskip(NEXT) | instid1(VALU_DEP_1)
	v_fma_f64 v[212:213], v[218:219], v[220:221], v[216:217]
	v_div_scale_f64 v[216:217], null, v[212:213], v[212:213], 1.0
	s_delay_alu instid0(VALU_DEP_1) | instskip(SKIP_2) | instid1(VALU_DEP_1)
	v_rcp_f64_e32 v[218:219], v[216:217]
	s_waitcnt_depctr 0xfff
	v_fma_f64 v[222:223], -v[216:217], v[218:219], 1.0
	v_fma_f64 v[218:219], v[218:219], v[222:223], v[218:219]
	s_delay_alu instid0(VALU_DEP_1) | instskip(NEXT) | instid1(VALU_DEP_1)
	v_fma_f64 v[222:223], -v[216:217], v[218:219], 1.0
	v_fma_f64 v[218:219], v[218:219], v[222:223], v[218:219]
	v_div_scale_f64 v[222:223], vcc_lo, 1.0, v[212:213], 1.0
	s_delay_alu instid0(VALU_DEP_1) | instskip(NEXT) | instid1(VALU_DEP_1)
	v_mul_f64 v[224:225], v[222:223], v[218:219]
	v_fma_f64 v[216:217], -v[216:217], v[224:225], v[222:223]
	s_delay_alu instid0(VALU_DEP_1) | instskip(NEXT) | instid1(VALU_DEP_1)
	v_div_fmas_f64 v[216:217], v[216:217], v[218:219], v[224:225]
	v_div_fixup_f64 v[212:213], v[216:217], v[212:213], 1.0
	s_delay_alu instid0(VALU_DEP_1)
	v_mul_f64 v[222:223], v[220:221], -v[212:213]
.LBB113_52:
	s_or_b32 exec_lo, exec_lo, s3
	ds_store_2addr_b64 v251, v[212:213], v[222:223] offset1:1
.LBB113_53:
	s_or_b32 exec_lo, exec_lo, s4
	s_waitcnt lgkmcnt(0)
	s_barrier
	buffer_gl0_inv
	ds_load_2addr_b64 v[208:211], v251 offset1:1
	s_mov_b32 s3, exec_lo
	s_waitcnt lgkmcnt(0)
	scratch_store_b128 off, v[208:211], off offset:608 ; 16-byte Folded Spill
	v_cmpx_lt_u32_e32 5, v248
	s_cbranch_execz .LBB113_55
; %bb.54:
	scratch_load_b128 v[208:211], off, off offset:608 ; 16-byte Folded Reload
	ds_load_2addr_b64 v[218:221], v214 offset0:12 offset1:13
	s_waitcnt vmcnt(0)
	v_mul_f64 v[212:213], v[210:211], v[206:207]
	v_mul_f64 v[206:207], v[208:209], v[206:207]
	s_delay_alu instid0(VALU_DEP_2) | instskip(NEXT) | instid1(VALU_DEP_2)
	v_fma_f64 v[216:217], v[208:209], v[204:205], -v[212:213]
	v_fma_f64 v[206:207], v[210:211], v[204:205], v[206:207]
	s_waitcnt lgkmcnt(0)
	s_delay_alu instid0(VALU_DEP_1) | instskip(SKIP_1) | instid1(VALU_DEP_2)
	v_mul_f64 v[204:205], v[220:221], v[206:207]
	v_mul_f64 v[212:213], v[218:219], v[206:207]
	v_fma_f64 v[204:205], v[218:219], v[216:217], -v[204:205]
	s_delay_alu instid0(VALU_DEP_2)
	v_fma_f64 v[212:213], v[220:221], v[216:217], v[212:213]
	ds_load_2addr_b64 v[218:221], v214 offset0:14 offset1:15
	v_add_f64 v[200:201], v[200:201], -v[204:205]
	v_add_f64 v[202:203], v[202:203], -v[212:213]
	s_waitcnt lgkmcnt(0)
	v_mul_f64 v[204:205], v[220:221], v[206:207]
	v_mul_f64 v[212:213], v[218:219], v[206:207]
	s_delay_alu instid0(VALU_DEP_2) | instskip(NEXT) | instid1(VALU_DEP_2)
	v_fma_f64 v[204:205], v[218:219], v[216:217], -v[204:205]
	v_fma_f64 v[212:213], v[220:221], v[216:217], v[212:213]
	ds_load_2addr_b64 v[218:221], v214 offset0:16 offset1:17
	v_add_f64 v[196:197], v[196:197], -v[204:205]
	v_add_f64 v[198:199], v[198:199], -v[212:213]
	s_waitcnt lgkmcnt(0)
	v_mul_f64 v[204:205], v[220:221], v[206:207]
	v_mul_f64 v[212:213], v[218:219], v[206:207]
	s_delay_alu instid0(VALU_DEP_2) | instskip(NEXT) | instid1(VALU_DEP_2)
	v_fma_f64 v[204:205], v[218:219], v[216:217], -v[204:205]
	v_fma_f64 v[212:213], v[220:221], v[216:217], v[212:213]
	ds_load_2addr_b64 v[218:221], v214 offset0:18 offset1:19
	v_add_f64 v[192:193], v[192:193], -v[204:205]
	v_add_f64 v[194:195], v[194:195], -v[212:213]
	s_waitcnt lgkmcnt(0)
	v_mul_f64 v[204:205], v[220:221], v[206:207]
	v_mul_f64 v[212:213], v[218:219], v[206:207]
	s_delay_alu instid0(VALU_DEP_2) | instskip(NEXT) | instid1(VALU_DEP_2)
	v_fma_f64 v[204:205], v[218:219], v[216:217], -v[204:205]
	v_fma_f64 v[212:213], v[220:221], v[216:217], v[212:213]
	ds_load_2addr_b64 v[218:221], v214 offset0:20 offset1:21
	v_add_f64 v[188:189], v[188:189], -v[204:205]
	v_add_f64 v[190:191], v[190:191], -v[212:213]
	s_waitcnt lgkmcnt(0)
	v_mul_f64 v[204:205], v[220:221], v[206:207]
	v_mul_f64 v[212:213], v[218:219], v[206:207]
	s_delay_alu instid0(VALU_DEP_2) | instskip(NEXT) | instid1(VALU_DEP_2)
	v_fma_f64 v[204:205], v[218:219], v[216:217], -v[204:205]
	v_fma_f64 v[212:213], v[220:221], v[216:217], v[212:213]
	ds_load_2addr_b64 v[218:221], v214 offset0:22 offset1:23
	v_add_f64 v[184:185], v[184:185], -v[204:205]
	v_add_f64 v[186:187], v[186:187], -v[212:213]
	s_waitcnt lgkmcnt(0)
	v_mul_f64 v[204:205], v[220:221], v[206:207]
	v_mul_f64 v[212:213], v[218:219], v[206:207]
	s_delay_alu instid0(VALU_DEP_2) | instskip(NEXT) | instid1(VALU_DEP_2)
	v_fma_f64 v[204:205], v[218:219], v[216:217], -v[204:205]
	v_fma_f64 v[212:213], v[220:221], v[216:217], v[212:213]
	ds_load_2addr_b64 v[218:221], v214 offset0:24 offset1:25
	v_add_f64 v[180:181], v[180:181], -v[204:205]
	v_add_f64 v[182:183], v[182:183], -v[212:213]
	s_waitcnt lgkmcnt(0)
	v_mul_f64 v[204:205], v[220:221], v[206:207]
	v_mul_f64 v[212:213], v[218:219], v[206:207]
	s_delay_alu instid0(VALU_DEP_2) | instskip(NEXT) | instid1(VALU_DEP_2)
	v_fma_f64 v[204:205], v[218:219], v[216:217], -v[204:205]
	v_fma_f64 v[212:213], v[220:221], v[216:217], v[212:213]
	ds_load_2addr_b64 v[218:221], v214 offset0:26 offset1:27
	v_add_f64 v[176:177], v[176:177], -v[204:205]
	v_add_f64 v[178:179], v[178:179], -v[212:213]
	s_waitcnt lgkmcnt(0)
	v_mul_f64 v[204:205], v[220:221], v[206:207]
	v_mul_f64 v[212:213], v[218:219], v[206:207]
	s_delay_alu instid0(VALU_DEP_2) | instskip(NEXT) | instid1(VALU_DEP_2)
	v_fma_f64 v[204:205], v[218:219], v[216:217], -v[204:205]
	v_fma_f64 v[212:213], v[220:221], v[216:217], v[212:213]
	ds_load_2addr_b64 v[218:221], v214 offset0:28 offset1:29
	v_add_f64 v[172:173], v[172:173], -v[204:205]
	v_add_f64 v[174:175], v[174:175], -v[212:213]
	s_waitcnt lgkmcnt(0)
	v_mul_f64 v[204:205], v[220:221], v[206:207]
	v_mul_f64 v[212:213], v[218:219], v[206:207]
	s_delay_alu instid0(VALU_DEP_2) | instskip(NEXT) | instid1(VALU_DEP_2)
	v_fma_f64 v[204:205], v[218:219], v[216:217], -v[204:205]
	v_fma_f64 v[212:213], v[220:221], v[216:217], v[212:213]
	ds_load_2addr_b64 v[218:221], v214 offset0:30 offset1:31
	v_add_f64 v[168:169], v[168:169], -v[204:205]
	v_add_f64 v[170:171], v[170:171], -v[212:213]
	s_waitcnt lgkmcnt(0)
	v_mul_f64 v[204:205], v[220:221], v[206:207]
	v_mul_f64 v[212:213], v[218:219], v[206:207]
	s_delay_alu instid0(VALU_DEP_2) | instskip(NEXT) | instid1(VALU_DEP_2)
	v_fma_f64 v[204:205], v[218:219], v[216:217], -v[204:205]
	v_fma_f64 v[212:213], v[220:221], v[216:217], v[212:213]
	ds_load_2addr_b64 v[218:221], v214 offset0:32 offset1:33
	v_add_f64 v[164:165], v[164:165], -v[204:205]
	v_add_f64 v[166:167], v[166:167], -v[212:213]
	s_waitcnt lgkmcnt(0)
	v_mul_f64 v[204:205], v[220:221], v[206:207]
	v_mul_f64 v[212:213], v[218:219], v[206:207]
	s_delay_alu instid0(VALU_DEP_2) | instskip(NEXT) | instid1(VALU_DEP_2)
	v_fma_f64 v[204:205], v[218:219], v[216:217], -v[204:205]
	v_fma_f64 v[212:213], v[220:221], v[216:217], v[212:213]
	ds_load_2addr_b64 v[218:221], v214 offset0:34 offset1:35
	v_add_f64 v[160:161], v[160:161], -v[204:205]
	v_add_f64 v[162:163], v[162:163], -v[212:213]
	s_waitcnt lgkmcnt(0)
	v_mul_f64 v[204:205], v[220:221], v[206:207]
	v_mul_f64 v[212:213], v[218:219], v[206:207]
	s_delay_alu instid0(VALU_DEP_2) | instskip(NEXT) | instid1(VALU_DEP_2)
	v_fma_f64 v[204:205], v[218:219], v[216:217], -v[204:205]
	v_fma_f64 v[212:213], v[220:221], v[216:217], v[212:213]
	ds_load_2addr_b64 v[218:221], v214 offset0:36 offset1:37
	v_add_f64 v[156:157], v[156:157], -v[204:205]
	v_add_f64 v[158:159], v[158:159], -v[212:213]
	s_waitcnt lgkmcnt(0)
	v_mul_f64 v[204:205], v[220:221], v[206:207]
	v_mul_f64 v[212:213], v[218:219], v[206:207]
	s_delay_alu instid0(VALU_DEP_2) | instskip(NEXT) | instid1(VALU_DEP_2)
	v_fma_f64 v[204:205], v[218:219], v[216:217], -v[204:205]
	v_fma_f64 v[212:213], v[220:221], v[216:217], v[212:213]
	ds_load_2addr_b64 v[218:221], v214 offset0:38 offset1:39
	v_add_f64 v[152:153], v[152:153], -v[204:205]
	v_add_f64 v[154:155], v[154:155], -v[212:213]
	s_waitcnt lgkmcnt(0)
	v_mul_f64 v[204:205], v[220:221], v[206:207]
	v_mul_f64 v[212:213], v[218:219], v[206:207]
	s_delay_alu instid0(VALU_DEP_2) | instskip(NEXT) | instid1(VALU_DEP_2)
	v_fma_f64 v[204:205], v[218:219], v[216:217], -v[204:205]
	v_fma_f64 v[212:213], v[220:221], v[216:217], v[212:213]
	ds_load_2addr_b64 v[218:221], v214 offset0:40 offset1:41
	v_add_f64 v[148:149], v[148:149], -v[204:205]
	v_add_f64 v[150:151], v[150:151], -v[212:213]
	s_waitcnt lgkmcnt(0)
	v_mul_f64 v[204:205], v[220:221], v[206:207]
	v_mul_f64 v[212:213], v[218:219], v[206:207]
	s_delay_alu instid0(VALU_DEP_2) | instskip(NEXT) | instid1(VALU_DEP_2)
	v_fma_f64 v[204:205], v[218:219], v[216:217], -v[204:205]
	v_fma_f64 v[212:213], v[220:221], v[216:217], v[212:213]
	ds_load_2addr_b64 v[218:221], v214 offset0:42 offset1:43
	v_add_f64 v[144:145], v[144:145], -v[204:205]
	v_add_f64 v[146:147], v[146:147], -v[212:213]
	s_waitcnt lgkmcnt(0)
	v_mul_f64 v[204:205], v[220:221], v[206:207]
	v_mul_f64 v[212:213], v[218:219], v[206:207]
	s_delay_alu instid0(VALU_DEP_2) | instskip(NEXT) | instid1(VALU_DEP_2)
	v_fma_f64 v[204:205], v[218:219], v[216:217], -v[204:205]
	v_fma_f64 v[212:213], v[220:221], v[216:217], v[212:213]
	ds_load_2addr_b64 v[218:221], v214 offset0:44 offset1:45
	v_add_f64 v[140:141], v[140:141], -v[204:205]
	v_add_f64 v[142:143], v[142:143], -v[212:213]
	s_waitcnt lgkmcnt(0)
	v_mul_f64 v[204:205], v[220:221], v[206:207]
	v_mul_f64 v[212:213], v[218:219], v[206:207]
	s_delay_alu instid0(VALU_DEP_2) | instskip(NEXT) | instid1(VALU_DEP_2)
	v_fma_f64 v[204:205], v[218:219], v[216:217], -v[204:205]
	v_fma_f64 v[212:213], v[220:221], v[216:217], v[212:213]
	ds_load_2addr_b64 v[218:221], v214 offset0:46 offset1:47
	v_add_f64 v[136:137], v[136:137], -v[204:205]
	v_add_f64 v[138:139], v[138:139], -v[212:213]
	s_waitcnt lgkmcnt(0)
	v_mul_f64 v[204:205], v[220:221], v[206:207]
	v_mul_f64 v[212:213], v[218:219], v[206:207]
	s_delay_alu instid0(VALU_DEP_2) | instskip(NEXT) | instid1(VALU_DEP_2)
	v_fma_f64 v[204:205], v[218:219], v[216:217], -v[204:205]
	v_fma_f64 v[212:213], v[220:221], v[216:217], v[212:213]
	ds_load_2addr_b64 v[218:221], v214 offset0:48 offset1:49
	v_add_f64 v[132:133], v[132:133], -v[204:205]
	v_add_f64 v[134:135], v[134:135], -v[212:213]
	s_waitcnt lgkmcnt(0)
	v_mul_f64 v[204:205], v[220:221], v[206:207]
	v_mul_f64 v[212:213], v[218:219], v[206:207]
	s_delay_alu instid0(VALU_DEP_2) | instskip(NEXT) | instid1(VALU_DEP_2)
	v_fma_f64 v[204:205], v[218:219], v[216:217], -v[204:205]
	v_fma_f64 v[212:213], v[220:221], v[216:217], v[212:213]
	ds_load_2addr_b64 v[218:221], v214 offset0:50 offset1:51
	v_add_f64 v[128:129], v[128:129], -v[204:205]
	v_add_f64 v[130:131], v[130:131], -v[212:213]
	s_waitcnt lgkmcnt(0)
	v_mul_f64 v[204:205], v[220:221], v[206:207]
	v_mul_f64 v[212:213], v[218:219], v[206:207]
	s_delay_alu instid0(VALU_DEP_2) | instskip(NEXT) | instid1(VALU_DEP_2)
	v_fma_f64 v[204:205], v[218:219], v[216:217], -v[204:205]
	v_fma_f64 v[212:213], v[220:221], v[216:217], v[212:213]
	ds_load_2addr_b64 v[218:221], v214 offset0:52 offset1:53
	v_add_f64 v[124:125], v[124:125], -v[204:205]
	v_add_f64 v[126:127], v[126:127], -v[212:213]
	s_waitcnt lgkmcnt(0)
	v_mul_f64 v[204:205], v[220:221], v[206:207]
	v_mul_f64 v[212:213], v[218:219], v[206:207]
	s_delay_alu instid0(VALU_DEP_2) | instskip(NEXT) | instid1(VALU_DEP_2)
	v_fma_f64 v[204:205], v[218:219], v[216:217], -v[204:205]
	v_fma_f64 v[212:213], v[220:221], v[216:217], v[212:213]
	ds_load_2addr_b64 v[218:221], v214 offset0:54 offset1:55
	v_add_f64 v[120:121], v[120:121], -v[204:205]
	v_add_f64 v[122:123], v[122:123], -v[212:213]
	s_waitcnt lgkmcnt(0)
	v_mul_f64 v[204:205], v[220:221], v[206:207]
	v_mul_f64 v[212:213], v[218:219], v[206:207]
	s_delay_alu instid0(VALU_DEP_2) | instskip(NEXT) | instid1(VALU_DEP_2)
	v_fma_f64 v[204:205], v[218:219], v[216:217], -v[204:205]
	v_fma_f64 v[212:213], v[220:221], v[216:217], v[212:213]
	ds_load_2addr_b64 v[218:221], v214 offset0:56 offset1:57
	v_add_f64 v[116:117], v[116:117], -v[204:205]
	v_add_f64 v[118:119], v[118:119], -v[212:213]
	s_waitcnt lgkmcnt(0)
	v_mul_f64 v[204:205], v[220:221], v[206:207]
	v_mul_f64 v[212:213], v[218:219], v[206:207]
	s_delay_alu instid0(VALU_DEP_2) | instskip(NEXT) | instid1(VALU_DEP_2)
	v_fma_f64 v[204:205], v[218:219], v[216:217], -v[204:205]
	v_fma_f64 v[212:213], v[220:221], v[216:217], v[212:213]
	ds_load_2addr_b64 v[218:221], v214 offset0:58 offset1:59
	v_add_f64 v[112:113], v[112:113], -v[204:205]
	v_add_f64 v[114:115], v[114:115], -v[212:213]
	s_waitcnt lgkmcnt(0)
	v_mul_f64 v[204:205], v[220:221], v[206:207]
	v_mul_f64 v[212:213], v[218:219], v[206:207]
	s_delay_alu instid0(VALU_DEP_2) | instskip(NEXT) | instid1(VALU_DEP_2)
	v_fma_f64 v[204:205], v[218:219], v[216:217], -v[204:205]
	v_fma_f64 v[212:213], v[220:221], v[216:217], v[212:213]
	ds_load_2addr_b64 v[218:221], v214 offset0:60 offset1:61
	v_add_f64 v[108:109], v[108:109], -v[204:205]
	v_add_f64 v[110:111], v[110:111], -v[212:213]
	s_waitcnt lgkmcnt(0)
	v_mul_f64 v[204:205], v[220:221], v[206:207]
	v_mul_f64 v[212:213], v[218:219], v[206:207]
	s_delay_alu instid0(VALU_DEP_2) | instskip(NEXT) | instid1(VALU_DEP_2)
	v_fma_f64 v[204:205], v[218:219], v[216:217], -v[204:205]
	v_fma_f64 v[212:213], v[220:221], v[216:217], v[212:213]
	ds_load_2addr_b64 v[218:221], v214 offset0:62 offset1:63
	v_add_f64 v[104:105], v[104:105], -v[204:205]
	v_add_f64 v[106:107], v[106:107], -v[212:213]
	s_waitcnt lgkmcnt(0)
	v_mul_f64 v[204:205], v[220:221], v[206:207]
	v_mul_f64 v[212:213], v[218:219], v[206:207]
	s_delay_alu instid0(VALU_DEP_2) | instskip(NEXT) | instid1(VALU_DEP_2)
	v_fma_f64 v[204:205], v[218:219], v[216:217], -v[204:205]
	v_fma_f64 v[212:213], v[220:221], v[216:217], v[212:213]
	ds_load_2addr_b64 v[218:221], v214 offset0:64 offset1:65
	v_add_f64 v[100:101], v[100:101], -v[204:205]
	v_add_f64 v[102:103], v[102:103], -v[212:213]
	s_waitcnt lgkmcnt(0)
	v_mul_f64 v[204:205], v[220:221], v[206:207]
	v_mul_f64 v[212:213], v[218:219], v[206:207]
	s_delay_alu instid0(VALU_DEP_2) | instskip(NEXT) | instid1(VALU_DEP_2)
	v_fma_f64 v[204:205], v[218:219], v[216:217], -v[204:205]
	v_fma_f64 v[212:213], v[220:221], v[216:217], v[212:213]
	ds_load_2addr_b64 v[218:221], v214 offset0:66 offset1:67
	v_add_f64 v[96:97], v[96:97], -v[204:205]
	v_add_f64 v[98:99], v[98:99], -v[212:213]
	s_waitcnt lgkmcnt(0)
	v_mul_f64 v[204:205], v[220:221], v[206:207]
	v_mul_f64 v[212:213], v[218:219], v[206:207]
	s_delay_alu instid0(VALU_DEP_2) | instskip(NEXT) | instid1(VALU_DEP_2)
	v_fma_f64 v[204:205], v[218:219], v[216:217], -v[204:205]
	v_fma_f64 v[212:213], v[220:221], v[216:217], v[212:213]
	ds_load_2addr_b64 v[218:221], v214 offset0:68 offset1:69
	v_add_f64 v[92:93], v[92:93], -v[204:205]
	v_add_f64 v[94:95], v[94:95], -v[212:213]
	s_waitcnt lgkmcnt(0)
	v_mul_f64 v[204:205], v[220:221], v[206:207]
	v_mul_f64 v[212:213], v[218:219], v[206:207]
	s_delay_alu instid0(VALU_DEP_2) | instskip(NEXT) | instid1(VALU_DEP_2)
	v_fma_f64 v[204:205], v[218:219], v[216:217], -v[204:205]
	v_fma_f64 v[212:213], v[220:221], v[216:217], v[212:213]
	ds_load_2addr_b64 v[218:221], v214 offset0:70 offset1:71
	v_add_f64 v[88:89], v[88:89], -v[204:205]
	v_add_f64 v[90:91], v[90:91], -v[212:213]
	s_waitcnt lgkmcnt(0)
	v_mul_f64 v[204:205], v[220:221], v[206:207]
	v_mul_f64 v[212:213], v[218:219], v[206:207]
	s_delay_alu instid0(VALU_DEP_2) | instskip(NEXT) | instid1(VALU_DEP_2)
	v_fma_f64 v[204:205], v[218:219], v[216:217], -v[204:205]
	v_fma_f64 v[212:213], v[220:221], v[216:217], v[212:213]
	ds_load_2addr_b64 v[218:221], v214 offset0:72 offset1:73
	v_add_f64 v[84:85], v[84:85], -v[204:205]
	v_add_f64 v[86:87], v[86:87], -v[212:213]
	s_waitcnt lgkmcnt(0)
	v_mul_f64 v[204:205], v[220:221], v[206:207]
	v_mul_f64 v[212:213], v[218:219], v[206:207]
	s_delay_alu instid0(VALU_DEP_2) | instskip(NEXT) | instid1(VALU_DEP_2)
	v_fma_f64 v[204:205], v[218:219], v[216:217], -v[204:205]
	v_fma_f64 v[212:213], v[220:221], v[216:217], v[212:213]
	ds_load_2addr_b64 v[218:221], v214 offset0:74 offset1:75
	v_add_f64 v[80:81], v[80:81], -v[204:205]
	v_add_f64 v[82:83], v[82:83], -v[212:213]
	s_waitcnt lgkmcnt(0)
	v_mul_f64 v[204:205], v[220:221], v[206:207]
	v_mul_f64 v[212:213], v[218:219], v[206:207]
	s_delay_alu instid0(VALU_DEP_2) | instskip(NEXT) | instid1(VALU_DEP_2)
	v_fma_f64 v[204:205], v[218:219], v[216:217], -v[204:205]
	v_fma_f64 v[212:213], v[220:221], v[216:217], v[212:213]
	ds_load_2addr_b64 v[218:221], v214 offset0:76 offset1:77
	v_add_f64 v[76:77], v[76:77], -v[204:205]
	v_add_f64 v[78:79], v[78:79], -v[212:213]
	s_waitcnt lgkmcnt(0)
	v_mul_f64 v[204:205], v[220:221], v[206:207]
	v_mul_f64 v[212:213], v[218:219], v[206:207]
	s_delay_alu instid0(VALU_DEP_2) | instskip(NEXT) | instid1(VALU_DEP_2)
	v_fma_f64 v[204:205], v[218:219], v[216:217], -v[204:205]
	v_fma_f64 v[212:213], v[220:221], v[216:217], v[212:213]
	ds_load_2addr_b64 v[218:221], v214 offset0:78 offset1:79
	v_add_f64 v[72:73], v[72:73], -v[204:205]
	v_add_f64 v[74:75], v[74:75], -v[212:213]
	s_waitcnt lgkmcnt(0)
	v_mul_f64 v[204:205], v[220:221], v[206:207]
	v_mul_f64 v[212:213], v[218:219], v[206:207]
	s_delay_alu instid0(VALU_DEP_2) | instskip(NEXT) | instid1(VALU_DEP_2)
	v_fma_f64 v[204:205], v[218:219], v[216:217], -v[204:205]
	v_fma_f64 v[212:213], v[220:221], v[216:217], v[212:213]
	ds_load_2addr_b64 v[218:221], v214 offset0:80 offset1:81
	v_add_f64 v[68:69], v[68:69], -v[204:205]
	v_add_f64 v[70:71], v[70:71], -v[212:213]
	s_waitcnt lgkmcnt(0)
	v_mul_f64 v[204:205], v[220:221], v[206:207]
	v_mul_f64 v[212:213], v[218:219], v[206:207]
	s_delay_alu instid0(VALU_DEP_2) | instskip(NEXT) | instid1(VALU_DEP_2)
	v_fma_f64 v[204:205], v[218:219], v[216:217], -v[204:205]
	v_fma_f64 v[212:213], v[220:221], v[216:217], v[212:213]
	ds_load_2addr_b64 v[218:221], v214 offset0:82 offset1:83
	v_add_f64 v[64:65], v[64:65], -v[204:205]
	v_add_f64 v[66:67], v[66:67], -v[212:213]
	s_waitcnt lgkmcnt(0)
	v_mul_f64 v[204:205], v[220:221], v[206:207]
	v_mul_f64 v[212:213], v[218:219], v[206:207]
	s_delay_alu instid0(VALU_DEP_2) | instskip(NEXT) | instid1(VALU_DEP_2)
	v_fma_f64 v[204:205], v[218:219], v[216:217], -v[204:205]
	v_fma_f64 v[212:213], v[220:221], v[216:217], v[212:213]
	ds_load_2addr_b64 v[218:221], v214 offset0:84 offset1:85
	v_add_f64 v[60:61], v[60:61], -v[204:205]
	v_add_f64 v[62:63], v[62:63], -v[212:213]
	s_waitcnt lgkmcnt(0)
	v_mul_f64 v[204:205], v[220:221], v[206:207]
	v_mul_f64 v[212:213], v[218:219], v[206:207]
	s_delay_alu instid0(VALU_DEP_2) | instskip(NEXT) | instid1(VALU_DEP_2)
	v_fma_f64 v[204:205], v[218:219], v[216:217], -v[204:205]
	v_fma_f64 v[212:213], v[220:221], v[216:217], v[212:213]
	ds_load_2addr_b64 v[218:221], v214 offset0:86 offset1:87
	v_add_f64 v[56:57], v[56:57], -v[204:205]
	v_add_f64 v[58:59], v[58:59], -v[212:213]
	s_waitcnt lgkmcnt(0)
	v_mul_f64 v[204:205], v[220:221], v[206:207]
	v_mul_f64 v[212:213], v[218:219], v[206:207]
	s_delay_alu instid0(VALU_DEP_2) | instskip(NEXT) | instid1(VALU_DEP_2)
	v_fma_f64 v[204:205], v[218:219], v[216:217], -v[204:205]
	v_fma_f64 v[212:213], v[220:221], v[216:217], v[212:213]
	ds_load_2addr_b64 v[218:221], v214 offset0:88 offset1:89
	v_add_f64 v[52:53], v[52:53], -v[204:205]
	v_add_f64 v[54:55], v[54:55], -v[212:213]
	s_waitcnt lgkmcnt(0)
	v_mul_f64 v[204:205], v[220:221], v[206:207]
	v_mul_f64 v[212:213], v[218:219], v[206:207]
	s_delay_alu instid0(VALU_DEP_2) | instskip(NEXT) | instid1(VALU_DEP_2)
	v_fma_f64 v[204:205], v[218:219], v[216:217], -v[204:205]
	v_fma_f64 v[212:213], v[220:221], v[216:217], v[212:213]
	ds_load_2addr_b64 v[218:221], v214 offset0:90 offset1:91
	v_add_f64 v[48:49], v[48:49], -v[204:205]
	v_add_f64 v[50:51], v[50:51], -v[212:213]
	s_waitcnt lgkmcnt(0)
	v_mul_f64 v[204:205], v[220:221], v[206:207]
	v_mul_f64 v[212:213], v[218:219], v[206:207]
	s_delay_alu instid0(VALU_DEP_2) | instskip(NEXT) | instid1(VALU_DEP_2)
	v_fma_f64 v[204:205], v[218:219], v[216:217], -v[204:205]
	v_fma_f64 v[212:213], v[220:221], v[216:217], v[212:213]
	ds_load_2addr_b64 v[218:221], v214 offset0:92 offset1:93
	v_add_f64 v[44:45], v[44:45], -v[204:205]
	v_add_f64 v[46:47], v[46:47], -v[212:213]
	s_waitcnt lgkmcnt(0)
	v_mul_f64 v[204:205], v[220:221], v[206:207]
	v_mul_f64 v[212:213], v[218:219], v[206:207]
	s_delay_alu instid0(VALU_DEP_2) | instskip(NEXT) | instid1(VALU_DEP_2)
	v_fma_f64 v[204:205], v[218:219], v[216:217], -v[204:205]
	v_fma_f64 v[212:213], v[220:221], v[216:217], v[212:213]
	ds_load_2addr_b64 v[218:221], v214 offset0:94 offset1:95
	v_add_f64 v[40:41], v[40:41], -v[204:205]
	v_add_f64 v[42:43], v[42:43], -v[212:213]
	s_waitcnt lgkmcnt(0)
	v_mul_f64 v[204:205], v[220:221], v[206:207]
	v_mul_f64 v[212:213], v[218:219], v[206:207]
	s_delay_alu instid0(VALU_DEP_2) | instskip(NEXT) | instid1(VALU_DEP_2)
	v_fma_f64 v[204:205], v[218:219], v[216:217], -v[204:205]
	v_fma_f64 v[212:213], v[220:221], v[216:217], v[212:213]
	ds_load_2addr_b64 v[218:221], v214 offset0:96 offset1:97
	v_add_f64 v[36:37], v[36:37], -v[204:205]
	v_add_f64 v[38:39], v[38:39], -v[212:213]
	s_waitcnt lgkmcnt(0)
	v_mul_f64 v[204:205], v[220:221], v[206:207]
	v_mul_f64 v[212:213], v[218:219], v[206:207]
	s_delay_alu instid0(VALU_DEP_2) | instskip(NEXT) | instid1(VALU_DEP_2)
	v_fma_f64 v[204:205], v[218:219], v[216:217], -v[204:205]
	v_fma_f64 v[212:213], v[220:221], v[216:217], v[212:213]
	ds_load_2addr_b64 v[218:221], v214 offset0:98 offset1:99
	v_add_f64 v[32:33], v[32:33], -v[204:205]
	v_add_f64 v[34:35], v[34:35], -v[212:213]
	s_waitcnt lgkmcnt(0)
	v_mul_f64 v[204:205], v[220:221], v[206:207]
	v_mul_f64 v[212:213], v[218:219], v[206:207]
	s_delay_alu instid0(VALU_DEP_2) | instskip(NEXT) | instid1(VALU_DEP_2)
	v_fma_f64 v[204:205], v[218:219], v[216:217], -v[204:205]
	v_fma_f64 v[212:213], v[220:221], v[216:217], v[212:213]
	ds_load_2addr_b64 v[218:221], v214 offset0:100 offset1:101
	v_add_f64 v[28:29], v[28:29], -v[204:205]
	v_add_f64 v[30:31], v[30:31], -v[212:213]
	s_waitcnt lgkmcnt(0)
	v_mul_f64 v[204:205], v[220:221], v[206:207]
	v_mul_f64 v[212:213], v[218:219], v[206:207]
	s_delay_alu instid0(VALU_DEP_2) | instskip(NEXT) | instid1(VALU_DEP_2)
	v_fma_f64 v[204:205], v[218:219], v[216:217], -v[204:205]
	v_fma_f64 v[212:213], v[220:221], v[216:217], v[212:213]
	ds_load_2addr_b64 v[218:221], v214 offset0:102 offset1:103
	v_add_f64 v[24:25], v[24:25], -v[204:205]
	v_add_f64 v[26:27], v[26:27], -v[212:213]
	s_waitcnt lgkmcnt(0)
	v_mul_f64 v[204:205], v[220:221], v[206:207]
	v_mul_f64 v[212:213], v[218:219], v[206:207]
	s_delay_alu instid0(VALU_DEP_2) | instskip(NEXT) | instid1(VALU_DEP_2)
	v_fma_f64 v[204:205], v[218:219], v[216:217], -v[204:205]
	v_fma_f64 v[212:213], v[220:221], v[216:217], v[212:213]
	ds_load_2addr_b64 v[218:221], v214 offset0:104 offset1:105
	v_add_f64 v[20:21], v[20:21], -v[204:205]
	v_add_f64 v[22:23], v[22:23], -v[212:213]
	s_waitcnt lgkmcnt(0)
	v_mul_f64 v[204:205], v[220:221], v[206:207]
	v_mul_f64 v[212:213], v[218:219], v[206:207]
	s_delay_alu instid0(VALU_DEP_2) | instskip(NEXT) | instid1(VALU_DEP_2)
	v_fma_f64 v[204:205], v[218:219], v[216:217], -v[204:205]
	v_fma_f64 v[212:213], v[220:221], v[216:217], v[212:213]
	ds_load_2addr_b64 v[218:221], v214 offset0:106 offset1:107
	v_add_f64 v[16:17], v[16:17], -v[204:205]
	v_add_f64 v[18:19], v[18:19], -v[212:213]
	s_waitcnt lgkmcnt(0)
	v_mul_f64 v[204:205], v[220:221], v[206:207]
	v_mul_f64 v[212:213], v[218:219], v[206:207]
	s_delay_alu instid0(VALU_DEP_2) | instskip(NEXT) | instid1(VALU_DEP_2)
	v_fma_f64 v[204:205], v[218:219], v[216:217], -v[204:205]
	v_fma_f64 v[212:213], v[220:221], v[216:217], v[212:213]
	ds_load_2addr_b64 v[218:221], v214 offset0:108 offset1:109
	v_add_f64 v[12:13], v[12:13], -v[204:205]
	v_add_f64 v[14:15], v[14:15], -v[212:213]
	s_waitcnt lgkmcnt(0)
	v_mul_f64 v[204:205], v[220:221], v[206:207]
	v_mul_f64 v[212:213], v[218:219], v[206:207]
	s_delay_alu instid0(VALU_DEP_2) | instskip(NEXT) | instid1(VALU_DEP_2)
	v_fma_f64 v[204:205], v[218:219], v[216:217], -v[204:205]
	v_fma_f64 v[212:213], v[220:221], v[216:217], v[212:213]
	ds_load_2addr_b64 v[218:221], v214 offset0:110 offset1:111
	v_add_f64 v[8:9], v[8:9], -v[204:205]
	v_add_f64 v[10:11], v[10:11], -v[212:213]
	s_waitcnt lgkmcnt(0)
	v_mul_f64 v[204:205], v[220:221], v[206:207]
	v_mul_f64 v[212:213], v[218:219], v[206:207]
	s_delay_alu instid0(VALU_DEP_2) | instskip(NEXT) | instid1(VALU_DEP_2)
	v_fma_f64 v[204:205], v[218:219], v[216:217], -v[204:205]
	v_fma_f64 v[212:213], v[220:221], v[216:217], v[212:213]
	ds_load_2addr_b64 v[218:221], v214 offset0:112 offset1:113
	v_add_f64 v[4:5], v[4:5], -v[204:205]
	v_add_f64 v[6:7], v[6:7], -v[212:213]
	s_waitcnt lgkmcnt(0)
	v_mul_f64 v[204:205], v[220:221], v[206:207]
	v_mul_f64 v[212:213], v[218:219], v[206:207]
	s_delay_alu instid0(VALU_DEP_2) | instskip(NEXT) | instid1(VALU_DEP_2)
	v_fma_f64 v[204:205], v[218:219], v[216:217], -v[204:205]
	v_fma_f64 v[212:213], v[220:221], v[216:217], v[212:213]
	s_delay_alu instid0(VALU_DEP_2) | instskip(NEXT) | instid1(VALU_DEP_2)
	v_add_f64 v[0:1], v[0:1], -v[204:205]
	v_add_f64 v[2:3], v[2:3], -v[212:213]
	v_dual_mov_b32 v204, v216 :: v_dual_mov_b32 v205, v217
.LBB113_55:
	s_or_b32 exec_lo, exec_lo, s3
	s_delay_alu instid0(SALU_CYCLE_1)
	s_mov_b32 s4, exec_lo
	s_waitcnt_vscnt null, 0x0
	s_barrier
	buffer_gl0_inv
	v_cmpx_eq_u32_e32 6, v248
	s_cbranch_execz .LBB113_62
; %bb.56:
	ds_store_2addr_b64 v251, v[200:201], v[202:203] offset1:1
	ds_store_2addr_b64 v214, v[196:197], v[198:199] offset0:14 offset1:15
	ds_store_2addr_b64 v214, v[192:193], v[194:195] offset0:16 offset1:17
	;; [unrolled: 1-line block ×50, first 2 shown]
	ds_load_2addr_b64 v[216:219], v251 offset1:1
	s_waitcnt lgkmcnt(0)
	v_cmp_neq_f64_e32 vcc_lo, 0, v[216:217]
	v_cmp_neq_f64_e64 s3, 0, v[218:219]
	s_delay_alu instid0(VALU_DEP_1) | instskip(NEXT) | instid1(SALU_CYCLE_1)
	s_or_b32 s3, vcc_lo, s3
	s_and_b32 exec_lo, exec_lo, s3
	s_cbranch_execz .LBB113_62
; %bb.57:
	v_cmp_gt_f64_e32 vcc_lo, 0, v[216:217]
	v_xor_b32_e32 v208, 0x80000000, v217
	s_delay_alu instid0(VALU_DEP_1) | instskip(SKIP_3) | instid1(VALU_DEP_1)
	v_cndmask_b32_e32 v213, v217, v208, vcc_lo
	v_cndmask_b32_e32 v212, v216, v216, vcc_lo
	v_cmp_gt_f64_e32 vcc_lo, 0, v[218:219]
	v_xor_b32_e32 v208, 0x80000000, v219
	v_dual_cndmask_b32 v220, v218, v218 :: v_dual_cndmask_b32 v221, v219, v208
	s_delay_alu instid0(VALU_DEP_1) | instskip(SKIP_1) | instid1(SALU_CYCLE_1)
	v_cmp_ngt_f64_e32 vcc_lo, v[212:213], v[220:221]
                                        ; implicit-def: $vgpr212_vgpr213
	s_and_saveexec_b32 s3, vcc_lo
	s_xor_b32 s3, exec_lo, s3
                                        ; implicit-def: $vgpr220_vgpr221_vgpr222_vgpr223
	s_cbranch_execz .LBB113_59
; %bb.58:
	v_div_scale_f64 v[212:213], null, v[218:219], v[218:219], v[216:217]
	v_div_scale_f64 v[224:225], vcc_lo, v[216:217], v[218:219], v[216:217]
	s_delay_alu instid0(VALU_DEP_2) | instskip(SKIP_2) | instid1(VALU_DEP_1)
	v_rcp_f64_e32 v[220:221], v[212:213]
	s_waitcnt_depctr 0xfff
	v_fma_f64 v[222:223], -v[212:213], v[220:221], 1.0
	v_fma_f64 v[220:221], v[220:221], v[222:223], v[220:221]
	s_delay_alu instid0(VALU_DEP_1) | instskip(NEXT) | instid1(VALU_DEP_1)
	v_fma_f64 v[222:223], -v[212:213], v[220:221], 1.0
	v_fma_f64 v[220:221], v[220:221], v[222:223], v[220:221]
	s_delay_alu instid0(VALU_DEP_1) | instskip(NEXT) | instid1(VALU_DEP_1)
	v_mul_f64 v[222:223], v[224:225], v[220:221]
	v_fma_f64 v[212:213], -v[212:213], v[222:223], v[224:225]
	s_delay_alu instid0(VALU_DEP_1) | instskip(NEXT) | instid1(VALU_DEP_1)
	v_div_fmas_f64 v[212:213], v[212:213], v[220:221], v[222:223]
	v_div_fixup_f64 v[212:213], v[212:213], v[218:219], v[216:217]
	s_delay_alu instid0(VALU_DEP_1) | instskip(NEXT) | instid1(VALU_DEP_1)
	v_fma_f64 v[216:217], v[216:217], v[212:213], v[218:219]
	v_div_scale_f64 v[218:219], null, v[216:217], v[216:217], 1.0
	s_delay_alu instid0(VALU_DEP_1) | instskip(SKIP_2) | instid1(VALU_DEP_1)
	v_rcp_f64_e32 v[220:221], v[218:219]
	s_waitcnt_depctr 0xfff
	v_fma_f64 v[222:223], -v[218:219], v[220:221], 1.0
	v_fma_f64 v[220:221], v[220:221], v[222:223], v[220:221]
	s_delay_alu instid0(VALU_DEP_1) | instskip(NEXT) | instid1(VALU_DEP_1)
	v_fma_f64 v[222:223], -v[218:219], v[220:221], 1.0
	v_fma_f64 v[220:221], v[220:221], v[222:223], v[220:221]
	v_div_scale_f64 v[222:223], vcc_lo, 1.0, v[216:217], 1.0
	s_delay_alu instid0(VALU_DEP_1) | instskip(NEXT) | instid1(VALU_DEP_1)
	v_mul_f64 v[224:225], v[222:223], v[220:221]
	v_fma_f64 v[218:219], -v[218:219], v[224:225], v[222:223]
	s_delay_alu instid0(VALU_DEP_1) | instskip(NEXT) | instid1(VALU_DEP_1)
	v_div_fmas_f64 v[218:219], v[218:219], v[220:221], v[224:225]
	v_div_fixup_f64 v[222:223], v[218:219], v[216:217], 1.0
                                        ; implicit-def: $vgpr216_vgpr217
	s_delay_alu instid0(VALU_DEP_1)
	v_mul_f64 v[212:213], v[212:213], v[222:223]
	v_xor_b32_e32 v223, 0x80000000, v223
.LBB113_59:
	s_and_not1_saveexec_b32 s3, s3
	s_cbranch_execz .LBB113_61
; %bb.60:
	v_div_scale_f64 v[212:213], null, v[216:217], v[216:217], v[218:219]
	v_div_scale_f64 v[224:225], vcc_lo, v[218:219], v[216:217], v[218:219]
	s_delay_alu instid0(VALU_DEP_2) | instskip(SKIP_2) | instid1(VALU_DEP_1)
	v_rcp_f64_e32 v[220:221], v[212:213]
	s_waitcnt_depctr 0xfff
	v_fma_f64 v[222:223], -v[212:213], v[220:221], 1.0
	v_fma_f64 v[220:221], v[220:221], v[222:223], v[220:221]
	s_delay_alu instid0(VALU_DEP_1) | instskip(NEXT) | instid1(VALU_DEP_1)
	v_fma_f64 v[222:223], -v[212:213], v[220:221], 1.0
	v_fma_f64 v[220:221], v[220:221], v[222:223], v[220:221]
	s_delay_alu instid0(VALU_DEP_1) | instskip(NEXT) | instid1(VALU_DEP_1)
	v_mul_f64 v[222:223], v[224:225], v[220:221]
	v_fma_f64 v[212:213], -v[212:213], v[222:223], v[224:225]
	s_delay_alu instid0(VALU_DEP_1) | instskip(NEXT) | instid1(VALU_DEP_1)
	v_div_fmas_f64 v[212:213], v[212:213], v[220:221], v[222:223]
	v_div_fixup_f64 v[220:221], v[212:213], v[216:217], v[218:219]
	s_delay_alu instid0(VALU_DEP_1) | instskip(NEXT) | instid1(VALU_DEP_1)
	v_fma_f64 v[212:213], v[218:219], v[220:221], v[216:217]
	v_div_scale_f64 v[216:217], null, v[212:213], v[212:213], 1.0
	s_delay_alu instid0(VALU_DEP_1) | instskip(SKIP_2) | instid1(VALU_DEP_1)
	v_rcp_f64_e32 v[218:219], v[216:217]
	s_waitcnt_depctr 0xfff
	v_fma_f64 v[222:223], -v[216:217], v[218:219], 1.0
	v_fma_f64 v[218:219], v[218:219], v[222:223], v[218:219]
	s_delay_alu instid0(VALU_DEP_1) | instskip(NEXT) | instid1(VALU_DEP_1)
	v_fma_f64 v[222:223], -v[216:217], v[218:219], 1.0
	v_fma_f64 v[218:219], v[218:219], v[222:223], v[218:219]
	v_div_scale_f64 v[222:223], vcc_lo, 1.0, v[212:213], 1.0
	s_delay_alu instid0(VALU_DEP_1) | instskip(NEXT) | instid1(VALU_DEP_1)
	v_mul_f64 v[224:225], v[222:223], v[218:219]
	v_fma_f64 v[216:217], -v[216:217], v[224:225], v[222:223]
	s_delay_alu instid0(VALU_DEP_1) | instskip(NEXT) | instid1(VALU_DEP_1)
	v_div_fmas_f64 v[216:217], v[216:217], v[218:219], v[224:225]
	v_div_fixup_f64 v[212:213], v[216:217], v[212:213], 1.0
	s_delay_alu instid0(VALU_DEP_1)
	v_mul_f64 v[222:223], v[220:221], -v[212:213]
.LBB113_61:
	s_or_b32 exec_lo, exec_lo, s3
	ds_store_2addr_b64 v251, v[212:213], v[222:223] offset1:1
.LBB113_62:
	s_or_b32 exec_lo, exec_lo, s4
	s_waitcnt lgkmcnt(0)
	s_barrier
	buffer_gl0_inv
	ds_load_2addr_b64 v[208:211], v251 offset1:1
	s_mov_b32 s3, exec_lo
	s_waitcnt lgkmcnt(0)
	scratch_store_b128 off, v[208:211], off offset:624 ; 16-byte Folded Spill
	v_cmpx_lt_u32_e32 6, v248
	s_cbranch_execz .LBB113_64
; %bb.63:
	scratch_load_b128 v[208:211], off, off offset:624 ; 16-byte Folded Reload
	ds_load_2addr_b64 v[218:221], v214 offset0:14 offset1:15
	s_waitcnt vmcnt(0)
	v_mul_f64 v[212:213], v[210:211], v[202:203]
	v_mul_f64 v[202:203], v[208:209], v[202:203]
	s_delay_alu instid0(VALU_DEP_2) | instskip(NEXT) | instid1(VALU_DEP_2)
	v_fma_f64 v[216:217], v[208:209], v[200:201], -v[212:213]
	v_fma_f64 v[202:203], v[210:211], v[200:201], v[202:203]
	s_waitcnt lgkmcnt(0)
	s_delay_alu instid0(VALU_DEP_1) | instskip(SKIP_1) | instid1(VALU_DEP_2)
	v_mul_f64 v[200:201], v[220:221], v[202:203]
	v_mul_f64 v[212:213], v[218:219], v[202:203]
	v_fma_f64 v[200:201], v[218:219], v[216:217], -v[200:201]
	s_delay_alu instid0(VALU_DEP_2)
	v_fma_f64 v[212:213], v[220:221], v[216:217], v[212:213]
	ds_load_2addr_b64 v[218:221], v214 offset0:16 offset1:17
	v_add_f64 v[196:197], v[196:197], -v[200:201]
	v_add_f64 v[198:199], v[198:199], -v[212:213]
	s_waitcnt lgkmcnt(0)
	v_mul_f64 v[200:201], v[220:221], v[202:203]
	v_mul_f64 v[212:213], v[218:219], v[202:203]
	s_delay_alu instid0(VALU_DEP_2) | instskip(NEXT) | instid1(VALU_DEP_2)
	v_fma_f64 v[200:201], v[218:219], v[216:217], -v[200:201]
	v_fma_f64 v[212:213], v[220:221], v[216:217], v[212:213]
	ds_load_2addr_b64 v[218:221], v214 offset0:18 offset1:19
	v_add_f64 v[192:193], v[192:193], -v[200:201]
	v_add_f64 v[194:195], v[194:195], -v[212:213]
	s_waitcnt lgkmcnt(0)
	v_mul_f64 v[200:201], v[220:221], v[202:203]
	v_mul_f64 v[212:213], v[218:219], v[202:203]
	s_delay_alu instid0(VALU_DEP_2) | instskip(NEXT) | instid1(VALU_DEP_2)
	v_fma_f64 v[200:201], v[218:219], v[216:217], -v[200:201]
	;; [unrolled: 9-line block ×49, first 2 shown]
	v_fma_f64 v[212:213], v[220:221], v[216:217], v[212:213]
	s_delay_alu instid0(VALU_DEP_2) | instskip(NEXT) | instid1(VALU_DEP_2)
	v_add_f64 v[0:1], v[0:1], -v[200:201]
	v_add_f64 v[2:3], v[2:3], -v[212:213]
	v_dual_mov_b32 v200, v216 :: v_dual_mov_b32 v201, v217
.LBB113_64:
	s_or_b32 exec_lo, exec_lo, s3
	s_delay_alu instid0(SALU_CYCLE_1)
	s_mov_b32 s4, exec_lo
	s_waitcnt_vscnt null, 0x0
	s_barrier
	buffer_gl0_inv
	v_cmpx_eq_u32_e32 7, v248
	s_cbranch_execz .LBB113_71
; %bb.65:
	ds_store_2addr_b64 v251, v[196:197], v[198:199] offset1:1
	ds_store_2addr_b64 v214, v[192:193], v[194:195] offset0:16 offset1:17
	ds_store_2addr_b64 v214, v[188:189], v[190:191] offset0:18 offset1:19
	;; [unrolled: 1-line block ×49, first 2 shown]
	ds_load_2addr_b64 v[216:219], v251 offset1:1
	s_waitcnt lgkmcnt(0)
	v_cmp_neq_f64_e32 vcc_lo, 0, v[216:217]
	v_cmp_neq_f64_e64 s3, 0, v[218:219]
	s_delay_alu instid0(VALU_DEP_1) | instskip(NEXT) | instid1(SALU_CYCLE_1)
	s_or_b32 s3, vcc_lo, s3
	s_and_b32 exec_lo, exec_lo, s3
	s_cbranch_execz .LBB113_71
; %bb.66:
	v_cmp_gt_f64_e32 vcc_lo, 0, v[216:217]
	v_xor_b32_e32 v208, 0x80000000, v217
	s_delay_alu instid0(VALU_DEP_1) | instskip(SKIP_3) | instid1(VALU_DEP_1)
	v_cndmask_b32_e32 v213, v217, v208, vcc_lo
	v_cndmask_b32_e32 v212, v216, v216, vcc_lo
	v_cmp_gt_f64_e32 vcc_lo, 0, v[218:219]
	v_xor_b32_e32 v208, 0x80000000, v219
	v_dual_cndmask_b32 v220, v218, v218 :: v_dual_cndmask_b32 v221, v219, v208
	s_delay_alu instid0(VALU_DEP_1) | instskip(SKIP_1) | instid1(SALU_CYCLE_1)
	v_cmp_ngt_f64_e32 vcc_lo, v[212:213], v[220:221]
                                        ; implicit-def: $vgpr212_vgpr213
	s_and_saveexec_b32 s3, vcc_lo
	s_xor_b32 s3, exec_lo, s3
                                        ; implicit-def: $vgpr220_vgpr221_vgpr222_vgpr223
	s_cbranch_execz .LBB113_68
; %bb.67:
	v_div_scale_f64 v[212:213], null, v[218:219], v[218:219], v[216:217]
	v_div_scale_f64 v[224:225], vcc_lo, v[216:217], v[218:219], v[216:217]
	s_delay_alu instid0(VALU_DEP_2) | instskip(SKIP_2) | instid1(VALU_DEP_1)
	v_rcp_f64_e32 v[220:221], v[212:213]
	s_waitcnt_depctr 0xfff
	v_fma_f64 v[222:223], -v[212:213], v[220:221], 1.0
	v_fma_f64 v[220:221], v[220:221], v[222:223], v[220:221]
	s_delay_alu instid0(VALU_DEP_1) | instskip(NEXT) | instid1(VALU_DEP_1)
	v_fma_f64 v[222:223], -v[212:213], v[220:221], 1.0
	v_fma_f64 v[220:221], v[220:221], v[222:223], v[220:221]
	s_delay_alu instid0(VALU_DEP_1) | instskip(NEXT) | instid1(VALU_DEP_1)
	v_mul_f64 v[222:223], v[224:225], v[220:221]
	v_fma_f64 v[212:213], -v[212:213], v[222:223], v[224:225]
	s_delay_alu instid0(VALU_DEP_1) | instskip(NEXT) | instid1(VALU_DEP_1)
	v_div_fmas_f64 v[212:213], v[212:213], v[220:221], v[222:223]
	v_div_fixup_f64 v[212:213], v[212:213], v[218:219], v[216:217]
	s_delay_alu instid0(VALU_DEP_1) | instskip(NEXT) | instid1(VALU_DEP_1)
	v_fma_f64 v[216:217], v[216:217], v[212:213], v[218:219]
	v_div_scale_f64 v[218:219], null, v[216:217], v[216:217], 1.0
	s_delay_alu instid0(VALU_DEP_1) | instskip(SKIP_2) | instid1(VALU_DEP_1)
	v_rcp_f64_e32 v[220:221], v[218:219]
	s_waitcnt_depctr 0xfff
	v_fma_f64 v[222:223], -v[218:219], v[220:221], 1.0
	v_fma_f64 v[220:221], v[220:221], v[222:223], v[220:221]
	s_delay_alu instid0(VALU_DEP_1) | instskip(NEXT) | instid1(VALU_DEP_1)
	v_fma_f64 v[222:223], -v[218:219], v[220:221], 1.0
	v_fma_f64 v[220:221], v[220:221], v[222:223], v[220:221]
	v_div_scale_f64 v[222:223], vcc_lo, 1.0, v[216:217], 1.0
	s_delay_alu instid0(VALU_DEP_1) | instskip(NEXT) | instid1(VALU_DEP_1)
	v_mul_f64 v[224:225], v[222:223], v[220:221]
	v_fma_f64 v[218:219], -v[218:219], v[224:225], v[222:223]
	s_delay_alu instid0(VALU_DEP_1) | instskip(NEXT) | instid1(VALU_DEP_1)
	v_div_fmas_f64 v[218:219], v[218:219], v[220:221], v[224:225]
	v_div_fixup_f64 v[222:223], v[218:219], v[216:217], 1.0
                                        ; implicit-def: $vgpr216_vgpr217
	s_delay_alu instid0(VALU_DEP_1)
	v_mul_f64 v[212:213], v[212:213], v[222:223]
	v_xor_b32_e32 v223, 0x80000000, v223
.LBB113_68:
	s_and_not1_saveexec_b32 s3, s3
	s_cbranch_execz .LBB113_70
; %bb.69:
	v_div_scale_f64 v[212:213], null, v[216:217], v[216:217], v[218:219]
	v_div_scale_f64 v[224:225], vcc_lo, v[218:219], v[216:217], v[218:219]
	s_delay_alu instid0(VALU_DEP_2) | instskip(SKIP_2) | instid1(VALU_DEP_1)
	v_rcp_f64_e32 v[220:221], v[212:213]
	s_waitcnt_depctr 0xfff
	v_fma_f64 v[222:223], -v[212:213], v[220:221], 1.0
	v_fma_f64 v[220:221], v[220:221], v[222:223], v[220:221]
	s_delay_alu instid0(VALU_DEP_1) | instskip(NEXT) | instid1(VALU_DEP_1)
	v_fma_f64 v[222:223], -v[212:213], v[220:221], 1.0
	v_fma_f64 v[220:221], v[220:221], v[222:223], v[220:221]
	s_delay_alu instid0(VALU_DEP_1) | instskip(NEXT) | instid1(VALU_DEP_1)
	v_mul_f64 v[222:223], v[224:225], v[220:221]
	v_fma_f64 v[212:213], -v[212:213], v[222:223], v[224:225]
	s_delay_alu instid0(VALU_DEP_1) | instskip(NEXT) | instid1(VALU_DEP_1)
	v_div_fmas_f64 v[212:213], v[212:213], v[220:221], v[222:223]
	v_div_fixup_f64 v[220:221], v[212:213], v[216:217], v[218:219]
	s_delay_alu instid0(VALU_DEP_1) | instskip(NEXT) | instid1(VALU_DEP_1)
	v_fma_f64 v[212:213], v[218:219], v[220:221], v[216:217]
	v_div_scale_f64 v[216:217], null, v[212:213], v[212:213], 1.0
	s_delay_alu instid0(VALU_DEP_1) | instskip(SKIP_2) | instid1(VALU_DEP_1)
	v_rcp_f64_e32 v[218:219], v[216:217]
	s_waitcnt_depctr 0xfff
	v_fma_f64 v[222:223], -v[216:217], v[218:219], 1.0
	v_fma_f64 v[218:219], v[218:219], v[222:223], v[218:219]
	s_delay_alu instid0(VALU_DEP_1) | instskip(NEXT) | instid1(VALU_DEP_1)
	v_fma_f64 v[222:223], -v[216:217], v[218:219], 1.0
	v_fma_f64 v[218:219], v[218:219], v[222:223], v[218:219]
	v_div_scale_f64 v[222:223], vcc_lo, 1.0, v[212:213], 1.0
	s_delay_alu instid0(VALU_DEP_1) | instskip(NEXT) | instid1(VALU_DEP_1)
	v_mul_f64 v[224:225], v[222:223], v[218:219]
	v_fma_f64 v[216:217], -v[216:217], v[224:225], v[222:223]
	s_delay_alu instid0(VALU_DEP_1) | instskip(NEXT) | instid1(VALU_DEP_1)
	v_div_fmas_f64 v[216:217], v[216:217], v[218:219], v[224:225]
	v_div_fixup_f64 v[212:213], v[216:217], v[212:213], 1.0
	s_delay_alu instid0(VALU_DEP_1)
	v_mul_f64 v[222:223], v[220:221], -v[212:213]
.LBB113_70:
	s_or_b32 exec_lo, exec_lo, s3
	ds_store_2addr_b64 v251, v[212:213], v[222:223] offset1:1
.LBB113_71:
	s_or_b32 exec_lo, exec_lo, s4
	s_waitcnt lgkmcnt(0)
	s_barrier
	buffer_gl0_inv
	ds_load_2addr_b64 v[208:211], v251 offset1:1
	s_mov_b32 s3, exec_lo
	s_waitcnt lgkmcnt(0)
	scratch_store_b128 off, v[208:211], off offset:640 ; 16-byte Folded Spill
	v_cmpx_lt_u32_e32 7, v248
	s_cbranch_execz .LBB113_73
; %bb.72:
	scratch_load_b128 v[208:211], off, off offset:640 ; 16-byte Folded Reload
	ds_load_2addr_b64 v[218:221], v214 offset0:16 offset1:17
	s_waitcnt vmcnt(0)
	v_mul_f64 v[212:213], v[210:211], v[198:199]
	v_mul_f64 v[198:199], v[208:209], v[198:199]
	s_delay_alu instid0(VALU_DEP_2) | instskip(NEXT) | instid1(VALU_DEP_2)
	v_fma_f64 v[216:217], v[208:209], v[196:197], -v[212:213]
	v_fma_f64 v[198:199], v[210:211], v[196:197], v[198:199]
	s_waitcnt lgkmcnt(0)
	s_delay_alu instid0(VALU_DEP_1) | instskip(SKIP_1) | instid1(VALU_DEP_2)
	v_mul_f64 v[196:197], v[220:221], v[198:199]
	v_mul_f64 v[212:213], v[218:219], v[198:199]
	v_fma_f64 v[196:197], v[218:219], v[216:217], -v[196:197]
	s_delay_alu instid0(VALU_DEP_2)
	v_fma_f64 v[212:213], v[220:221], v[216:217], v[212:213]
	ds_load_2addr_b64 v[218:221], v214 offset0:18 offset1:19
	v_add_f64 v[192:193], v[192:193], -v[196:197]
	v_add_f64 v[194:195], v[194:195], -v[212:213]
	s_waitcnt lgkmcnt(0)
	v_mul_f64 v[196:197], v[220:221], v[198:199]
	v_mul_f64 v[212:213], v[218:219], v[198:199]
	s_delay_alu instid0(VALU_DEP_2) | instskip(NEXT) | instid1(VALU_DEP_2)
	v_fma_f64 v[196:197], v[218:219], v[216:217], -v[196:197]
	v_fma_f64 v[212:213], v[220:221], v[216:217], v[212:213]
	ds_load_2addr_b64 v[218:221], v214 offset0:20 offset1:21
	v_add_f64 v[188:189], v[188:189], -v[196:197]
	v_add_f64 v[190:191], v[190:191], -v[212:213]
	s_waitcnt lgkmcnt(0)
	v_mul_f64 v[196:197], v[220:221], v[198:199]
	v_mul_f64 v[212:213], v[218:219], v[198:199]
	s_delay_alu instid0(VALU_DEP_2) | instskip(NEXT) | instid1(VALU_DEP_2)
	v_fma_f64 v[196:197], v[218:219], v[216:217], -v[196:197]
	;; [unrolled: 9-line block ×48, first 2 shown]
	v_fma_f64 v[212:213], v[220:221], v[216:217], v[212:213]
	s_delay_alu instid0(VALU_DEP_2) | instskip(NEXT) | instid1(VALU_DEP_2)
	v_add_f64 v[0:1], v[0:1], -v[196:197]
	v_add_f64 v[2:3], v[2:3], -v[212:213]
	v_dual_mov_b32 v196, v216 :: v_dual_mov_b32 v197, v217
.LBB113_73:
	s_or_b32 exec_lo, exec_lo, s3
	s_delay_alu instid0(SALU_CYCLE_1)
	s_mov_b32 s4, exec_lo
	s_waitcnt_vscnt null, 0x0
	s_barrier
	buffer_gl0_inv
	v_cmpx_eq_u32_e32 8, v248
	s_cbranch_execz .LBB113_80
; %bb.74:
	ds_store_2addr_b64 v251, v[192:193], v[194:195] offset1:1
	ds_store_2addr_b64 v214, v[188:189], v[190:191] offset0:18 offset1:19
	ds_store_2addr_b64 v214, v[184:185], v[186:187] offset0:20 offset1:21
	;; [unrolled: 1-line block ×48, first 2 shown]
	ds_load_2addr_b64 v[216:219], v251 offset1:1
	s_waitcnt lgkmcnt(0)
	v_cmp_neq_f64_e32 vcc_lo, 0, v[216:217]
	v_cmp_neq_f64_e64 s3, 0, v[218:219]
	s_delay_alu instid0(VALU_DEP_1) | instskip(NEXT) | instid1(SALU_CYCLE_1)
	s_or_b32 s3, vcc_lo, s3
	s_and_b32 exec_lo, exec_lo, s3
	s_cbranch_execz .LBB113_80
; %bb.75:
	v_cmp_gt_f64_e32 vcc_lo, 0, v[216:217]
	v_xor_b32_e32 v208, 0x80000000, v217
	s_delay_alu instid0(VALU_DEP_1) | instskip(SKIP_3) | instid1(VALU_DEP_1)
	v_cndmask_b32_e32 v213, v217, v208, vcc_lo
	v_cndmask_b32_e32 v212, v216, v216, vcc_lo
	v_cmp_gt_f64_e32 vcc_lo, 0, v[218:219]
	v_xor_b32_e32 v208, 0x80000000, v219
	v_dual_cndmask_b32 v220, v218, v218 :: v_dual_cndmask_b32 v221, v219, v208
	s_delay_alu instid0(VALU_DEP_1) | instskip(SKIP_1) | instid1(SALU_CYCLE_1)
	v_cmp_ngt_f64_e32 vcc_lo, v[212:213], v[220:221]
                                        ; implicit-def: $vgpr212_vgpr213
	s_and_saveexec_b32 s3, vcc_lo
	s_xor_b32 s3, exec_lo, s3
                                        ; implicit-def: $vgpr220_vgpr221_vgpr222_vgpr223
	s_cbranch_execz .LBB113_77
; %bb.76:
	v_div_scale_f64 v[212:213], null, v[218:219], v[218:219], v[216:217]
	v_div_scale_f64 v[224:225], vcc_lo, v[216:217], v[218:219], v[216:217]
	s_delay_alu instid0(VALU_DEP_2) | instskip(SKIP_2) | instid1(VALU_DEP_1)
	v_rcp_f64_e32 v[220:221], v[212:213]
	s_waitcnt_depctr 0xfff
	v_fma_f64 v[222:223], -v[212:213], v[220:221], 1.0
	v_fma_f64 v[220:221], v[220:221], v[222:223], v[220:221]
	s_delay_alu instid0(VALU_DEP_1) | instskip(NEXT) | instid1(VALU_DEP_1)
	v_fma_f64 v[222:223], -v[212:213], v[220:221], 1.0
	v_fma_f64 v[220:221], v[220:221], v[222:223], v[220:221]
	s_delay_alu instid0(VALU_DEP_1) | instskip(NEXT) | instid1(VALU_DEP_1)
	v_mul_f64 v[222:223], v[224:225], v[220:221]
	v_fma_f64 v[212:213], -v[212:213], v[222:223], v[224:225]
	s_delay_alu instid0(VALU_DEP_1) | instskip(NEXT) | instid1(VALU_DEP_1)
	v_div_fmas_f64 v[212:213], v[212:213], v[220:221], v[222:223]
	v_div_fixup_f64 v[212:213], v[212:213], v[218:219], v[216:217]
	s_delay_alu instid0(VALU_DEP_1) | instskip(NEXT) | instid1(VALU_DEP_1)
	v_fma_f64 v[216:217], v[216:217], v[212:213], v[218:219]
	v_div_scale_f64 v[218:219], null, v[216:217], v[216:217], 1.0
	s_delay_alu instid0(VALU_DEP_1) | instskip(SKIP_2) | instid1(VALU_DEP_1)
	v_rcp_f64_e32 v[220:221], v[218:219]
	s_waitcnt_depctr 0xfff
	v_fma_f64 v[222:223], -v[218:219], v[220:221], 1.0
	v_fma_f64 v[220:221], v[220:221], v[222:223], v[220:221]
	s_delay_alu instid0(VALU_DEP_1) | instskip(NEXT) | instid1(VALU_DEP_1)
	v_fma_f64 v[222:223], -v[218:219], v[220:221], 1.0
	v_fma_f64 v[220:221], v[220:221], v[222:223], v[220:221]
	v_div_scale_f64 v[222:223], vcc_lo, 1.0, v[216:217], 1.0
	s_delay_alu instid0(VALU_DEP_1) | instskip(NEXT) | instid1(VALU_DEP_1)
	v_mul_f64 v[224:225], v[222:223], v[220:221]
	v_fma_f64 v[218:219], -v[218:219], v[224:225], v[222:223]
	s_delay_alu instid0(VALU_DEP_1) | instskip(NEXT) | instid1(VALU_DEP_1)
	v_div_fmas_f64 v[218:219], v[218:219], v[220:221], v[224:225]
	v_div_fixup_f64 v[222:223], v[218:219], v[216:217], 1.0
                                        ; implicit-def: $vgpr216_vgpr217
	s_delay_alu instid0(VALU_DEP_1)
	v_mul_f64 v[212:213], v[212:213], v[222:223]
	v_xor_b32_e32 v223, 0x80000000, v223
.LBB113_77:
	s_and_not1_saveexec_b32 s3, s3
	s_cbranch_execz .LBB113_79
; %bb.78:
	v_div_scale_f64 v[212:213], null, v[216:217], v[216:217], v[218:219]
	v_div_scale_f64 v[224:225], vcc_lo, v[218:219], v[216:217], v[218:219]
	s_delay_alu instid0(VALU_DEP_2) | instskip(SKIP_2) | instid1(VALU_DEP_1)
	v_rcp_f64_e32 v[220:221], v[212:213]
	s_waitcnt_depctr 0xfff
	v_fma_f64 v[222:223], -v[212:213], v[220:221], 1.0
	v_fma_f64 v[220:221], v[220:221], v[222:223], v[220:221]
	s_delay_alu instid0(VALU_DEP_1) | instskip(NEXT) | instid1(VALU_DEP_1)
	v_fma_f64 v[222:223], -v[212:213], v[220:221], 1.0
	v_fma_f64 v[220:221], v[220:221], v[222:223], v[220:221]
	s_delay_alu instid0(VALU_DEP_1) | instskip(NEXT) | instid1(VALU_DEP_1)
	v_mul_f64 v[222:223], v[224:225], v[220:221]
	v_fma_f64 v[212:213], -v[212:213], v[222:223], v[224:225]
	s_delay_alu instid0(VALU_DEP_1) | instskip(NEXT) | instid1(VALU_DEP_1)
	v_div_fmas_f64 v[212:213], v[212:213], v[220:221], v[222:223]
	v_div_fixup_f64 v[220:221], v[212:213], v[216:217], v[218:219]
	s_delay_alu instid0(VALU_DEP_1) | instskip(NEXT) | instid1(VALU_DEP_1)
	v_fma_f64 v[212:213], v[218:219], v[220:221], v[216:217]
	v_div_scale_f64 v[216:217], null, v[212:213], v[212:213], 1.0
	s_delay_alu instid0(VALU_DEP_1) | instskip(SKIP_2) | instid1(VALU_DEP_1)
	v_rcp_f64_e32 v[218:219], v[216:217]
	s_waitcnt_depctr 0xfff
	v_fma_f64 v[222:223], -v[216:217], v[218:219], 1.0
	v_fma_f64 v[218:219], v[218:219], v[222:223], v[218:219]
	s_delay_alu instid0(VALU_DEP_1) | instskip(NEXT) | instid1(VALU_DEP_1)
	v_fma_f64 v[222:223], -v[216:217], v[218:219], 1.0
	v_fma_f64 v[218:219], v[218:219], v[222:223], v[218:219]
	v_div_scale_f64 v[222:223], vcc_lo, 1.0, v[212:213], 1.0
	s_delay_alu instid0(VALU_DEP_1) | instskip(NEXT) | instid1(VALU_DEP_1)
	v_mul_f64 v[224:225], v[222:223], v[218:219]
	v_fma_f64 v[216:217], -v[216:217], v[224:225], v[222:223]
	s_delay_alu instid0(VALU_DEP_1) | instskip(NEXT) | instid1(VALU_DEP_1)
	v_div_fmas_f64 v[216:217], v[216:217], v[218:219], v[224:225]
	v_div_fixup_f64 v[212:213], v[216:217], v[212:213], 1.0
	s_delay_alu instid0(VALU_DEP_1)
	v_mul_f64 v[222:223], v[220:221], -v[212:213]
.LBB113_79:
	s_or_b32 exec_lo, exec_lo, s3
	ds_store_2addr_b64 v251, v[212:213], v[222:223] offset1:1
.LBB113_80:
	s_or_b32 exec_lo, exec_lo, s4
	s_waitcnt lgkmcnt(0)
	s_barrier
	buffer_gl0_inv
	ds_load_2addr_b64 v[208:211], v251 offset1:1
	s_mov_b32 s3, exec_lo
	s_waitcnt lgkmcnt(0)
	scratch_store_b128 off, v[208:211], off offset:656 ; 16-byte Folded Spill
	v_cmpx_lt_u32_e32 8, v248
	s_cbranch_execz .LBB113_82
; %bb.81:
	scratch_load_b128 v[208:211], off, off offset:656 ; 16-byte Folded Reload
	ds_load_2addr_b64 v[218:221], v214 offset0:18 offset1:19
	s_waitcnt vmcnt(0)
	v_mul_f64 v[212:213], v[210:211], v[194:195]
	v_mul_f64 v[194:195], v[208:209], v[194:195]
	s_delay_alu instid0(VALU_DEP_2) | instskip(NEXT) | instid1(VALU_DEP_2)
	v_fma_f64 v[216:217], v[208:209], v[192:193], -v[212:213]
	v_fma_f64 v[194:195], v[210:211], v[192:193], v[194:195]
	s_waitcnt lgkmcnt(0)
	s_delay_alu instid0(VALU_DEP_1) | instskip(SKIP_1) | instid1(VALU_DEP_2)
	v_mul_f64 v[192:193], v[220:221], v[194:195]
	v_mul_f64 v[212:213], v[218:219], v[194:195]
	v_fma_f64 v[192:193], v[218:219], v[216:217], -v[192:193]
	s_delay_alu instid0(VALU_DEP_2)
	v_fma_f64 v[212:213], v[220:221], v[216:217], v[212:213]
	ds_load_2addr_b64 v[218:221], v214 offset0:20 offset1:21
	v_add_f64 v[188:189], v[188:189], -v[192:193]
	v_add_f64 v[190:191], v[190:191], -v[212:213]
	s_waitcnt lgkmcnt(0)
	v_mul_f64 v[192:193], v[220:221], v[194:195]
	v_mul_f64 v[212:213], v[218:219], v[194:195]
	s_delay_alu instid0(VALU_DEP_2) | instskip(NEXT) | instid1(VALU_DEP_2)
	v_fma_f64 v[192:193], v[218:219], v[216:217], -v[192:193]
	v_fma_f64 v[212:213], v[220:221], v[216:217], v[212:213]
	ds_load_2addr_b64 v[218:221], v214 offset0:22 offset1:23
	v_add_f64 v[184:185], v[184:185], -v[192:193]
	v_add_f64 v[186:187], v[186:187], -v[212:213]
	s_waitcnt lgkmcnt(0)
	v_mul_f64 v[192:193], v[220:221], v[194:195]
	v_mul_f64 v[212:213], v[218:219], v[194:195]
	s_delay_alu instid0(VALU_DEP_2) | instskip(NEXT) | instid1(VALU_DEP_2)
	v_fma_f64 v[192:193], v[218:219], v[216:217], -v[192:193]
	;; [unrolled: 9-line block ×47, first 2 shown]
	v_fma_f64 v[212:213], v[220:221], v[216:217], v[212:213]
	s_delay_alu instid0(VALU_DEP_2) | instskip(NEXT) | instid1(VALU_DEP_2)
	v_add_f64 v[0:1], v[0:1], -v[192:193]
	v_add_f64 v[2:3], v[2:3], -v[212:213]
	v_dual_mov_b32 v192, v216 :: v_dual_mov_b32 v193, v217
.LBB113_82:
	s_or_b32 exec_lo, exec_lo, s3
	s_delay_alu instid0(SALU_CYCLE_1)
	s_mov_b32 s4, exec_lo
	s_waitcnt_vscnt null, 0x0
	s_barrier
	buffer_gl0_inv
	v_cmpx_eq_u32_e32 9, v248
	s_cbranch_execz .LBB113_89
; %bb.83:
	ds_store_2addr_b64 v251, v[188:189], v[190:191] offset1:1
	ds_store_2addr_b64 v214, v[184:185], v[186:187] offset0:20 offset1:21
	ds_store_2addr_b64 v214, v[180:181], v[182:183] offset0:22 offset1:23
	;; [unrolled: 1-line block ×47, first 2 shown]
	ds_load_2addr_b64 v[216:219], v251 offset1:1
	s_waitcnt lgkmcnt(0)
	v_cmp_neq_f64_e32 vcc_lo, 0, v[216:217]
	v_cmp_neq_f64_e64 s3, 0, v[218:219]
	s_delay_alu instid0(VALU_DEP_1) | instskip(NEXT) | instid1(SALU_CYCLE_1)
	s_or_b32 s3, vcc_lo, s3
	s_and_b32 exec_lo, exec_lo, s3
	s_cbranch_execz .LBB113_89
; %bb.84:
	v_cmp_gt_f64_e32 vcc_lo, 0, v[216:217]
	v_xor_b32_e32 v208, 0x80000000, v217
	s_delay_alu instid0(VALU_DEP_1) | instskip(SKIP_3) | instid1(VALU_DEP_1)
	v_cndmask_b32_e32 v213, v217, v208, vcc_lo
	v_cndmask_b32_e32 v212, v216, v216, vcc_lo
	v_cmp_gt_f64_e32 vcc_lo, 0, v[218:219]
	v_xor_b32_e32 v208, 0x80000000, v219
	v_dual_cndmask_b32 v220, v218, v218 :: v_dual_cndmask_b32 v221, v219, v208
	s_delay_alu instid0(VALU_DEP_1) | instskip(SKIP_1) | instid1(SALU_CYCLE_1)
	v_cmp_ngt_f64_e32 vcc_lo, v[212:213], v[220:221]
                                        ; implicit-def: $vgpr212_vgpr213
	s_and_saveexec_b32 s3, vcc_lo
	s_xor_b32 s3, exec_lo, s3
                                        ; implicit-def: $vgpr220_vgpr221_vgpr222_vgpr223
	s_cbranch_execz .LBB113_86
; %bb.85:
	v_div_scale_f64 v[212:213], null, v[218:219], v[218:219], v[216:217]
	v_div_scale_f64 v[224:225], vcc_lo, v[216:217], v[218:219], v[216:217]
	s_delay_alu instid0(VALU_DEP_2) | instskip(SKIP_2) | instid1(VALU_DEP_1)
	v_rcp_f64_e32 v[220:221], v[212:213]
	s_waitcnt_depctr 0xfff
	v_fma_f64 v[222:223], -v[212:213], v[220:221], 1.0
	v_fma_f64 v[220:221], v[220:221], v[222:223], v[220:221]
	s_delay_alu instid0(VALU_DEP_1) | instskip(NEXT) | instid1(VALU_DEP_1)
	v_fma_f64 v[222:223], -v[212:213], v[220:221], 1.0
	v_fma_f64 v[220:221], v[220:221], v[222:223], v[220:221]
	s_delay_alu instid0(VALU_DEP_1) | instskip(NEXT) | instid1(VALU_DEP_1)
	v_mul_f64 v[222:223], v[224:225], v[220:221]
	v_fma_f64 v[212:213], -v[212:213], v[222:223], v[224:225]
	s_delay_alu instid0(VALU_DEP_1) | instskip(NEXT) | instid1(VALU_DEP_1)
	v_div_fmas_f64 v[212:213], v[212:213], v[220:221], v[222:223]
	v_div_fixup_f64 v[212:213], v[212:213], v[218:219], v[216:217]
	s_delay_alu instid0(VALU_DEP_1) | instskip(NEXT) | instid1(VALU_DEP_1)
	v_fma_f64 v[216:217], v[216:217], v[212:213], v[218:219]
	v_div_scale_f64 v[218:219], null, v[216:217], v[216:217], 1.0
	s_delay_alu instid0(VALU_DEP_1) | instskip(SKIP_2) | instid1(VALU_DEP_1)
	v_rcp_f64_e32 v[220:221], v[218:219]
	s_waitcnt_depctr 0xfff
	v_fma_f64 v[222:223], -v[218:219], v[220:221], 1.0
	v_fma_f64 v[220:221], v[220:221], v[222:223], v[220:221]
	s_delay_alu instid0(VALU_DEP_1) | instskip(NEXT) | instid1(VALU_DEP_1)
	v_fma_f64 v[222:223], -v[218:219], v[220:221], 1.0
	v_fma_f64 v[220:221], v[220:221], v[222:223], v[220:221]
	v_div_scale_f64 v[222:223], vcc_lo, 1.0, v[216:217], 1.0
	s_delay_alu instid0(VALU_DEP_1) | instskip(NEXT) | instid1(VALU_DEP_1)
	v_mul_f64 v[224:225], v[222:223], v[220:221]
	v_fma_f64 v[218:219], -v[218:219], v[224:225], v[222:223]
	s_delay_alu instid0(VALU_DEP_1) | instskip(NEXT) | instid1(VALU_DEP_1)
	v_div_fmas_f64 v[218:219], v[218:219], v[220:221], v[224:225]
	v_div_fixup_f64 v[222:223], v[218:219], v[216:217], 1.0
                                        ; implicit-def: $vgpr216_vgpr217
	s_delay_alu instid0(VALU_DEP_1)
	v_mul_f64 v[212:213], v[212:213], v[222:223]
	v_xor_b32_e32 v223, 0x80000000, v223
.LBB113_86:
	s_and_not1_saveexec_b32 s3, s3
	s_cbranch_execz .LBB113_88
; %bb.87:
	v_div_scale_f64 v[212:213], null, v[216:217], v[216:217], v[218:219]
	v_div_scale_f64 v[224:225], vcc_lo, v[218:219], v[216:217], v[218:219]
	s_delay_alu instid0(VALU_DEP_2) | instskip(SKIP_2) | instid1(VALU_DEP_1)
	v_rcp_f64_e32 v[220:221], v[212:213]
	s_waitcnt_depctr 0xfff
	v_fma_f64 v[222:223], -v[212:213], v[220:221], 1.0
	v_fma_f64 v[220:221], v[220:221], v[222:223], v[220:221]
	s_delay_alu instid0(VALU_DEP_1) | instskip(NEXT) | instid1(VALU_DEP_1)
	v_fma_f64 v[222:223], -v[212:213], v[220:221], 1.0
	v_fma_f64 v[220:221], v[220:221], v[222:223], v[220:221]
	s_delay_alu instid0(VALU_DEP_1) | instskip(NEXT) | instid1(VALU_DEP_1)
	v_mul_f64 v[222:223], v[224:225], v[220:221]
	v_fma_f64 v[212:213], -v[212:213], v[222:223], v[224:225]
	s_delay_alu instid0(VALU_DEP_1) | instskip(NEXT) | instid1(VALU_DEP_1)
	v_div_fmas_f64 v[212:213], v[212:213], v[220:221], v[222:223]
	v_div_fixup_f64 v[220:221], v[212:213], v[216:217], v[218:219]
	s_delay_alu instid0(VALU_DEP_1) | instskip(NEXT) | instid1(VALU_DEP_1)
	v_fma_f64 v[212:213], v[218:219], v[220:221], v[216:217]
	v_div_scale_f64 v[216:217], null, v[212:213], v[212:213], 1.0
	s_delay_alu instid0(VALU_DEP_1) | instskip(SKIP_2) | instid1(VALU_DEP_1)
	v_rcp_f64_e32 v[218:219], v[216:217]
	s_waitcnt_depctr 0xfff
	v_fma_f64 v[222:223], -v[216:217], v[218:219], 1.0
	v_fma_f64 v[218:219], v[218:219], v[222:223], v[218:219]
	s_delay_alu instid0(VALU_DEP_1) | instskip(NEXT) | instid1(VALU_DEP_1)
	v_fma_f64 v[222:223], -v[216:217], v[218:219], 1.0
	v_fma_f64 v[218:219], v[218:219], v[222:223], v[218:219]
	v_div_scale_f64 v[222:223], vcc_lo, 1.0, v[212:213], 1.0
	s_delay_alu instid0(VALU_DEP_1) | instskip(NEXT) | instid1(VALU_DEP_1)
	v_mul_f64 v[224:225], v[222:223], v[218:219]
	v_fma_f64 v[216:217], -v[216:217], v[224:225], v[222:223]
	s_delay_alu instid0(VALU_DEP_1) | instskip(NEXT) | instid1(VALU_DEP_1)
	v_div_fmas_f64 v[216:217], v[216:217], v[218:219], v[224:225]
	v_div_fixup_f64 v[212:213], v[216:217], v[212:213], 1.0
	s_delay_alu instid0(VALU_DEP_1)
	v_mul_f64 v[222:223], v[220:221], -v[212:213]
.LBB113_88:
	s_or_b32 exec_lo, exec_lo, s3
	ds_store_2addr_b64 v251, v[212:213], v[222:223] offset1:1
.LBB113_89:
	s_or_b32 exec_lo, exec_lo, s4
	s_waitcnt lgkmcnt(0)
	s_barrier
	buffer_gl0_inv
	ds_load_2addr_b64 v[208:211], v251 offset1:1
	s_mov_b32 s3, exec_lo
	s_waitcnt lgkmcnt(0)
	scratch_store_b128 off, v[208:211], off offset:672 ; 16-byte Folded Spill
	v_cmpx_lt_u32_e32 9, v248
	s_cbranch_execz .LBB113_91
; %bb.90:
	scratch_load_b128 v[208:211], off, off offset:672 ; 16-byte Folded Reload
	ds_load_2addr_b64 v[218:221], v214 offset0:20 offset1:21
	s_waitcnt vmcnt(0)
	v_mul_f64 v[212:213], v[210:211], v[190:191]
	v_mul_f64 v[190:191], v[208:209], v[190:191]
	s_delay_alu instid0(VALU_DEP_2) | instskip(NEXT) | instid1(VALU_DEP_2)
	v_fma_f64 v[216:217], v[208:209], v[188:189], -v[212:213]
	v_fma_f64 v[190:191], v[210:211], v[188:189], v[190:191]
	s_waitcnt lgkmcnt(0)
	s_delay_alu instid0(VALU_DEP_1) | instskip(SKIP_1) | instid1(VALU_DEP_2)
	v_mul_f64 v[188:189], v[220:221], v[190:191]
	v_mul_f64 v[212:213], v[218:219], v[190:191]
	v_fma_f64 v[188:189], v[218:219], v[216:217], -v[188:189]
	s_delay_alu instid0(VALU_DEP_2)
	v_fma_f64 v[212:213], v[220:221], v[216:217], v[212:213]
	ds_load_2addr_b64 v[218:221], v214 offset0:22 offset1:23
	v_add_f64 v[184:185], v[184:185], -v[188:189]
	v_add_f64 v[186:187], v[186:187], -v[212:213]
	s_waitcnt lgkmcnt(0)
	v_mul_f64 v[188:189], v[220:221], v[190:191]
	v_mul_f64 v[212:213], v[218:219], v[190:191]
	s_delay_alu instid0(VALU_DEP_2) | instskip(NEXT) | instid1(VALU_DEP_2)
	v_fma_f64 v[188:189], v[218:219], v[216:217], -v[188:189]
	v_fma_f64 v[212:213], v[220:221], v[216:217], v[212:213]
	ds_load_2addr_b64 v[218:221], v214 offset0:24 offset1:25
	v_add_f64 v[180:181], v[180:181], -v[188:189]
	v_add_f64 v[182:183], v[182:183], -v[212:213]
	s_waitcnt lgkmcnt(0)
	v_mul_f64 v[188:189], v[220:221], v[190:191]
	v_mul_f64 v[212:213], v[218:219], v[190:191]
	s_delay_alu instid0(VALU_DEP_2) | instskip(NEXT) | instid1(VALU_DEP_2)
	v_fma_f64 v[188:189], v[218:219], v[216:217], -v[188:189]
	;; [unrolled: 9-line block ×46, first 2 shown]
	v_fma_f64 v[212:213], v[220:221], v[216:217], v[212:213]
	s_delay_alu instid0(VALU_DEP_2) | instskip(NEXT) | instid1(VALU_DEP_2)
	v_add_f64 v[0:1], v[0:1], -v[188:189]
	v_add_f64 v[2:3], v[2:3], -v[212:213]
	v_dual_mov_b32 v188, v216 :: v_dual_mov_b32 v189, v217
.LBB113_91:
	s_or_b32 exec_lo, exec_lo, s3
	s_delay_alu instid0(SALU_CYCLE_1)
	s_mov_b32 s4, exec_lo
	s_waitcnt_vscnt null, 0x0
	s_barrier
	buffer_gl0_inv
	v_cmpx_eq_u32_e32 10, v248
	s_cbranch_execz .LBB113_98
; %bb.92:
	ds_store_2addr_b64 v251, v[184:185], v[186:187] offset1:1
	ds_store_2addr_b64 v214, v[180:181], v[182:183] offset0:22 offset1:23
	ds_store_2addr_b64 v214, v[176:177], v[178:179] offset0:24 offset1:25
	;; [unrolled: 1-line block ×46, first 2 shown]
	ds_load_2addr_b64 v[216:219], v251 offset1:1
	s_waitcnt lgkmcnt(0)
	v_cmp_neq_f64_e32 vcc_lo, 0, v[216:217]
	v_cmp_neq_f64_e64 s3, 0, v[218:219]
	s_delay_alu instid0(VALU_DEP_1) | instskip(NEXT) | instid1(SALU_CYCLE_1)
	s_or_b32 s3, vcc_lo, s3
	s_and_b32 exec_lo, exec_lo, s3
	s_cbranch_execz .LBB113_98
; %bb.93:
	v_cmp_gt_f64_e32 vcc_lo, 0, v[216:217]
	v_xor_b32_e32 v208, 0x80000000, v217
	s_delay_alu instid0(VALU_DEP_1) | instskip(SKIP_3) | instid1(VALU_DEP_1)
	v_cndmask_b32_e32 v213, v217, v208, vcc_lo
	v_cndmask_b32_e32 v212, v216, v216, vcc_lo
	v_cmp_gt_f64_e32 vcc_lo, 0, v[218:219]
	v_xor_b32_e32 v208, 0x80000000, v219
	v_dual_cndmask_b32 v220, v218, v218 :: v_dual_cndmask_b32 v221, v219, v208
	s_delay_alu instid0(VALU_DEP_1) | instskip(SKIP_1) | instid1(SALU_CYCLE_1)
	v_cmp_ngt_f64_e32 vcc_lo, v[212:213], v[220:221]
                                        ; implicit-def: $vgpr212_vgpr213
	s_and_saveexec_b32 s3, vcc_lo
	s_xor_b32 s3, exec_lo, s3
                                        ; implicit-def: $vgpr220_vgpr221_vgpr222_vgpr223
	s_cbranch_execz .LBB113_95
; %bb.94:
	v_div_scale_f64 v[212:213], null, v[218:219], v[218:219], v[216:217]
	v_div_scale_f64 v[224:225], vcc_lo, v[216:217], v[218:219], v[216:217]
	s_delay_alu instid0(VALU_DEP_2) | instskip(SKIP_2) | instid1(VALU_DEP_1)
	v_rcp_f64_e32 v[220:221], v[212:213]
	s_waitcnt_depctr 0xfff
	v_fma_f64 v[222:223], -v[212:213], v[220:221], 1.0
	v_fma_f64 v[220:221], v[220:221], v[222:223], v[220:221]
	s_delay_alu instid0(VALU_DEP_1) | instskip(NEXT) | instid1(VALU_DEP_1)
	v_fma_f64 v[222:223], -v[212:213], v[220:221], 1.0
	v_fma_f64 v[220:221], v[220:221], v[222:223], v[220:221]
	s_delay_alu instid0(VALU_DEP_1) | instskip(NEXT) | instid1(VALU_DEP_1)
	v_mul_f64 v[222:223], v[224:225], v[220:221]
	v_fma_f64 v[212:213], -v[212:213], v[222:223], v[224:225]
	s_delay_alu instid0(VALU_DEP_1) | instskip(NEXT) | instid1(VALU_DEP_1)
	v_div_fmas_f64 v[212:213], v[212:213], v[220:221], v[222:223]
	v_div_fixup_f64 v[212:213], v[212:213], v[218:219], v[216:217]
	s_delay_alu instid0(VALU_DEP_1) | instskip(NEXT) | instid1(VALU_DEP_1)
	v_fma_f64 v[216:217], v[216:217], v[212:213], v[218:219]
	v_div_scale_f64 v[218:219], null, v[216:217], v[216:217], 1.0
	s_delay_alu instid0(VALU_DEP_1) | instskip(SKIP_2) | instid1(VALU_DEP_1)
	v_rcp_f64_e32 v[220:221], v[218:219]
	s_waitcnt_depctr 0xfff
	v_fma_f64 v[222:223], -v[218:219], v[220:221], 1.0
	v_fma_f64 v[220:221], v[220:221], v[222:223], v[220:221]
	s_delay_alu instid0(VALU_DEP_1) | instskip(NEXT) | instid1(VALU_DEP_1)
	v_fma_f64 v[222:223], -v[218:219], v[220:221], 1.0
	v_fma_f64 v[220:221], v[220:221], v[222:223], v[220:221]
	v_div_scale_f64 v[222:223], vcc_lo, 1.0, v[216:217], 1.0
	s_delay_alu instid0(VALU_DEP_1) | instskip(NEXT) | instid1(VALU_DEP_1)
	v_mul_f64 v[224:225], v[222:223], v[220:221]
	v_fma_f64 v[218:219], -v[218:219], v[224:225], v[222:223]
	s_delay_alu instid0(VALU_DEP_1) | instskip(NEXT) | instid1(VALU_DEP_1)
	v_div_fmas_f64 v[218:219], v[218:219], v[220:221], v[224:225]
	v_div_fixup_f64 v[222:223], v[218:219], v[216:217], 1.0
                                        ; implicit-def: $vgpr216_vgpr217
	s_delay_alu instid0(VALU_DEP_1)
	v_mul_f64 v[212:213], v[212:213], v[222:223]
	v_xor_b32_e32 v223, 0x80000000, v223
.LBB113_95:
	s_and_not1_saveexec_b32 s3, s3
	s_cbranch_execz .LBB113_97
; %bb.96:
	v_div_scale_f64 v[212:213], null, v[216:217], v[216:217], v[218:219]
	v_div_scale_f64 v[224:225], vcc_lo, v[218:219], v[216:217], v[218:219]
	s_delay_alu instid0(VALU_DEP_2) | instskip(SKIP_2) | instid1(VALU_DEP_1)
	v_rcp_f64_e32 v[220:221], v[212:213]
	s_waitcnt_depctr 0xfff
	v_fma_f64 v[222:223], -v[212:213], v[220:221], 1.0
	v_fma_f64 v[220:221], v[220:221], v[222:223], v[220:221]
	s_delay_alu instid0(VALU_DEP_1) | instskip(NEXT) | instid1(VALU_DEP_1)
	v_fma_f64 v[222:223], -v[212:213], v[220:221], 1.0
	v_fma_f64 v[220:221], v[220:221], v[222:223], v[220:221]
	s_delay_alu instid0(VALU_DEP_1) | instskip(NEXT) | instid1(VALU_DEP_1)
	v_mul_f64 v[222:223], v[224:225], v[220:221]
	v_fma_f64 v[212:213], -v[212:213], v[222:223], v[224:225]
	s_delay_alu instid0(VALU_DEP_1) | instskip(NEXT) | instid1(VALU_DEP_1)
	v_div_fmas_f64 v[212:213], v[212:213], v[220:221], v[222:223]
	v_div_fixup_f64 v[220:221], v[212:213], v[216:217], v[218:219]
	s_delay_alu instid0(VALU_DEP_1) | instskip(NEXT) | instid1(VALU_DEP_1)
	v_fma_f64 v[212:213], v[218:219], v[220:221], v[216:217]
	v_div_scale_f64 v[216:217], null, v[212:213], v[212:213], 1.0
	s_delay_alu instid0(VALU_DEP_1) | instskip(SKIP_2) | instid1(VALU_DEP_1)
	v_rcp_f64_e32 v[218:219], v[216:217]
	s_waitcnt_depctr 0xfff
	v_fma_f64 v[222:223], -v[216:217], v[218:219], 1.0
	v_fma_f64 v[218:219], v[218:219], v[222:223], v[218:219]
	s_delay_alu instid0(VALU_DEP_1) | instskip(NEXT) | instid1(VALU_DEP_1)
	v_fma_f64 v[222:223], -v[216:217], v[218:219], 1.0
	v_fma_f64 v[218:219], v[218:219], v[222:223], v[218:219]
	v_div_scale_f64 v[222:223], vcc_lo, 1.0, v[212:213], 1.0
	s_delay_alu instid0(VALU_DEP_1) | instskip(NEXT) | instid1(VALU_DEP_1)
	v_mul_f64 v[224:225], v[222:223], v[218:219]
	v_fma_f64 v[216:217], -v[216:217], v[224:225], v[222:223]
	s_delay_alu instid0(VALU_DEP_1) | instskip(NEXT) | instid1(VALU_DEP_1)
	v_div_fmas_f64 v[216:217], v[216:217], v[218:219], v[224:225]
	v_div_fixup_f64 v[212:213], v[216:217], v[212:213], 1.0
	s_delay_alu instid0(VALU_DEP_1)
	v_mul_f64 v[222:223], v[220:221], -v[212:213]
.LBB113_97:
	s_or_b32 exec_lo, exec_lo, s3
	ds_store_2addr_b64 v251, v[212:213], v[222:223] offset1:1
.LBB113_98:
	s_or_b32 exec_lo, exec_lo, s4
	s_waitcnt lgkmcnt(0)
	s_barrier
	buffer_gl0_inv
	ds_load_2addr_b64 v[208:211], v251 offset1:1
	s_mov_b32 s3, exec_lo
	s_waitcnt lgkmcnt(0)
	scratch_store_b128 off, v[208:211], off offset:688 ; 16-byte Folded Spill
	v_cmpx_lt_u32_e32 10, v248
	s_cbranch_execz .LBB113_100
; %bb.99:
	scratch_load_b128 v[208:211], off, off offset:688 ; 16-byte Folded Reload
	ds_load_2addr_b64 v[218:221], v214 offset0:22 offset1:23
	s_waitcnt vmcnt(0)
	v_mul_f64 v[212:213], v[210:211], v[186:187]
	v_mul_f64 v[186:187], v[208:209], v[186:187]
	s_delay_alu instid0(VALU_DEP_2) | instskip(NEXT) | instid1(VALU_DEP_2)
	v_fma_f64 v[216:217], v[208:209], v[184:185], -v[212:213]
	v_fma_f64 v[186:187], v[210:211], v[184:185], v[186:187]
	s_waitcnt lgkmcnt(0)
	s_delay_alu instid0(VALU_DEP_1) | instskip(SKIP_1) | instid1(VALU_DEP_2)
	v_mul_f64 v[184:185], v[220:221], v[186:187]
	v_mul_f64 v[212:213], v[218:219], v[186:187]
	v_fma_f64 v[184:185], v[218:219], v[216:217], -v[184:185]
	s_delay_alu instid0(VALU_DEP_2)
	v_fma_f64 v[212:213], v[220:221], v[216:217], v[212:213]
	ds_load_2addr_b64 v[218:221], v214 offset0:24 offset1:25
	v_add_f64 v[180:181], v[180:181], -v[184:185]
	v_add_f64 v[182:183], v[182:183], -v[212:213]
	s_waitcnt lgkmcnt(0)
	v_mul_f64 v[184:185], v[220:221], v[186:187]
	v_mul_f64 v[212:213], v[218:219], v[186:187]
	s_delay_alu instid0(VALU_DEP_2) | instskip(NEXT) | instid1(VALU_DEP_2)
	v_fma_f64 v[184:185], v[218:219], v[216:217], -v[184:185]
	v_fma_f64 v[212:213], v[220:221], v[216:217], v[212:213]
	ds_load_2addr_b64 v[218:221], v214 offset0:26 offset1:27
	v_add_f64 v[176:177], v[176:177], -v[184:185]
	v_add_f64 v[178:179], v[178:179], -v[212:213]
	s_waitcnt lgkmcnt(0)
	v_mul_f64 v[184:185], v[220:221], v[186:187]
	v_mul_f64 v[212:213], v[218:219], v[186:187]
	s_delay_alu instid0(VALU_DEP_2) | instskip(NEXT) | instid1(VALU_DEP_2)
	v_fma_f64 v[184:185], v[218:219], v[216:217], -v[184:185]
	;; [unrolled: 9-line block ×45, first 2 shown]
	v_fma_f64 v[212:213], v[220:221], v[216:217], v[212:213]
	s_delay_alu instid0(VALU_DEP_2) | instskip(NEXT) | instid1(VALU_DEP_2)
	v_add_f64 v[0:1], v[0:1], -v[184:185]
	v_add_f64 v[2:3], v[2:3], -v[212:213]
	v_dual_mov_b32 v184, v216 :: v_dual_mov_b32 v185, v217
.LBB113_100:
	s_or_b32 exec_lo, exec_lo, s3
	s_delay_alu instid0(SALU_CYCLE_1)
	s_mov_b32 s4, exec_lo
	s_waitcnt_vscnt null, 0x0
	s_barrier
	buffer_gl0_inv
	v_cmpx_eq_u32_e32 11, v248
	s_cbranch_execz .LBB113_107
; %bb.101:
	ds_store_2addr_b64 v251, v[180:181], v[182:183] offset1:1
	ds_store_2addr_b64 v214, v[176:177], v[178:179] offset0:24 offset1:25
	ds_store_2addr_b64 v214, v[172:173], v[174:175] offset0:26 offset1:27
	;; [unrolled: 1-line block ×45, first 2 shown]
	ds_load_2addr_b64 v[216:219], v251 offset1:1
	s_waitcnt lgkmcnt(0)
	v_cmp_neq_f64_e32 vcc_lo, 0, v[216:217]
	v_cmp_neq_f64_e64 s3, 0, v[218:219]
	s_delay_alu instid0(VALU_DEP_1) | instskip(NEXT) | instid1(SALU_CYCLE_1)
	s_or_b32 s3, vcc_lo, s3
	s_and_b32 exec_lo, exec_lo, s3
	s_cbranch_execz .LBB113_107
; %bb.102:
	v_cmp_gt_f64_e32 vcc_lo, 0, v[216:217]
	v_xor_b32_e32 v208, 0x80000000, v217
	s_delay_alu instid0(VALU_DEP_1) | instskip(SKIP_3) | instid1(VALU_DEP_1)
	v_cndmask_b32_e32 v213, v217, v208, vcc_lo
	v_cndmask_b32_e32 v212, v216, v216, vcc_lo
	v_cmp_gt_f64_e32 vcc_lo, 0, v[218:219]
	v_xor_b32_e32 v208, 0x80000000, v219
	v_dual_cndmask_b32 v220, v218, v218 :: v_dual_cndmask_b32 v221, v219, v208
	s_delay_alu instid0(VALU_DEP_1) | instskip(SKIP_1) | instid1(SALU_CYCLE_1)
	v_cmp_ngt_f64_e32 vcc_lo, v[212:213], v[220:221]
                                        ; implicit-def: $vgpr212_vgpr213
	s_and_saveexec_b32 s3, vcc_lo
	s_xor_b32 s3, exec_lo, s3
                                        ; implicit-def: $vgpr220_vgpr221_vgpr222_vgpr223
	s_cbranch_execz .LBB113_104
; %bb.103:
	v_div_scale_f64 v[212:213], null, v[218:219], v[218:219], v[216:217]
	v_div_scale_f64 v[224:225], vcc_lo, v[216:217], v[218:219], v[216:217]
	s_delay_alu instid0(VALU_DEP_2) | instskip(SKIP_2) | instid1(VALU_DEP_1)
	v_rcp_f64_e32 v[220:221], v[212:213]
	s_waitcnt_depctr 0xfff
	v_fma_f64 v[222:223], -v[212:213], v[220:221], 1.0
	v_fma_f64 v[220:221], v[220:221], v[222:223], v[220:221]
	s_delay_alu instid0(VALU_DEP_1) | instskip(NEXT) | instid1(VALU_DEP_1)
	v_fma_f64 v[222:223], -v[212:213], v[220:221], 1.0
	v_fma_f64 v[220:221], v[220:221], v[222:223], v[220:221]
	s_delay_alu instid0(VALU_DEP_1) | instskip(NEXT) | instid1(VALU_DEP_1)
	v_mul_f64 v[222:223], v[224:225], v[220:221]
	v_fma_f64 v[212:213], -v[212:213], v[222:223], v[224:225]
	s_delay_alu instid0(VALU_DEP_1) | instskip(NEXT) | instid1(VALU_DEP_1)
	v_div_fmas_f64 v[212:213], v[212:213], v[220:221], v[222:223]
	v_div_fixup_f64 v[212:213], v[212:213], v[218:219], v[216:217]
	s_delay_alu instid0(VALU_DEP_1) | instskip(NEXT) | instid1(VALU_DEP_1)
	v_fma_f64 v[216:217], v[216:217], v[212:213], v[218:219]
	v_div_scale_f64 v[218:219], null, v[216:217], v[216:217], 1.0
	s_delay_alu instid0(VALU_DEP_1) | instskip(SKIP_2) | instid1(VALU_DEP_1)
	v_rcp_f64_e32 v[220:221], v[218:219]
	s_waitcnt_depctr 0xfff
	v_fma_f64 v[222:223], -v[218:219], v[220:221], 1.0
	v_fma_f64 v[220:221], v[220:221], v[222:223], v[220:221]
	s_delay_alu instid0(VALU_DEP_1) | instskip(NEXT) | instid1(VALU_DEP_1)
	v_fma_f64 v[222:223], -v[218:219], v[220:221], 1.0
	v_fma_f64 v[220:221], v[220:221], v[222:223], v[220:221]
	v_div_scale_f64 v[222:223], vcc_lo, 1.0, v[216:217], 1.0
	s_delay_alu instid0(VALU_DEP_1) | instskip(NEXT) | instid1(VALU_DEP_1)
	v_mul_f64 v[224:225], v[222:223], v[220:221]
	v_fma_f64 v[218:219], -v[218:219], v[224:225], v[222:223]
	s_delay_alu instid0(VALU_DEP_1) | instskip(NEXT) | instid1(VALU_DEP_1)
	v_div_fmas_f64 v[218:219], v[218:219], v[220:221], v[224:225]
	v_div_fixup_f64 v[222:223], v[218:219], v[216:217], 1.0
                                        ; implicit-def: $vgpr216_vgpr217
	s_delay_alu instid0(VALU_DEP_1)
	v_mul_f64 v[212:213], v[212:213], v[222:223]
	v_xor_b32_e32 v223, 0x80000000, v223
.LBB113_104:
	s_and_not1_saveexec_b32 s3, s3
	s_cbranch_execz .LBB113_106
; %bb.105:
	v_div_scale_f64 v[212:213], null, v[216:217], v[216:217], v[218:219]
	v_div_scale_f64 v[224:225], vcc_lo, v[218:219], v[216:217], v[218:219]
	s_delay_alu instid0(VALU_DEP_2) | instskip(SKIP_2) | instid1(VALU_DEP_1)
	v_rcp_f64_e32 v[220:221], v[212:213]
	s_waitcnt_depctr 0xfff
	v_fma_f64 v[222:223], -v[212:213], v[220:221], 1.0
	v_fma_f64 v[220:221], v[220:221], v[222:223], v[220:221]
	s_delay_alu instid0(VALU_DEP_1) | instskip(NEXT) | instid1(VALU_DEP_1)
	v_fma_f64 v[222:223], -v[212:213], v[220:221], 1.0
	v_fma_f64 v[220:221], v[220:221], v[222:223], v[220:221]
	s_delay_alu instid0(VALU_DEP_1) | instskip(NEXT) | instid1(VALU_DEP_1)
	v_mul_f64 v[222:223], v[224:225], v[220:221]
	v_fma_f64 v[212:213], -v[212:213], v[222:223], v[224:225]
	s_delay_alu instid0(VALU_DEP_1) | instskip(NEXT) | instid1(VALU_DEP_1)
	v_div_fmas_f64 v[212:213], v[212:213], v[220:221], v[222:223]
	v_div_fixup_f64 v[220:221], v[212:213], v[216:217], v[218:219]
	s_delay_alu instid0(VALU_DEP_1) | instskip(NEXT) | instid1(VALU_DEP_1)
	v_fma_f64 v[212:213], v[218:219], v[220:221], v[216:217]
	v_div_scale_f64 v[216:217], null, v[212:213], v[212:213], 1.0
	s_delay_alu instid0(VALU_DEP_1) | instskip(SKIP_2) | instid1(VALU_DEP_1)
	v_rcp_f64_e32 v[218:219], v[216:217]
	s_waitcnt_depctr 0xfff
	v_fma_f64 v[222:223], -v[216:217], v[218:219], 1.0
	v_fma_f64 v[218:219], v[218:219], v[222:223], v[218:219]
	s_delay_alu instid0(VALU_DEP_1) | instskip(NEXT) | instid1(VALU_DEP_1)
	v_fma_f64 v[222:223], -v[216:217], v[218:219], 1.0
	v_fma_f64 v[218:219], v[218:219], v[222:223], v[218:219]
	v_div_scale_f64 v[222:223], vcc_lo, 1.0, v[212:213], 1.0
	s_delay_alu instid0(VALU_DEP_1) | instskip(NEXT) | instid1(VALU_DEP_1)
	v_mul_f64 v[224:225], v[222:223], v[218:219]
	v_fma_f64 v[216:217], -v[216:217], v[224:225], v[222:223]
	s_delay_alu instid0(VALU_DEP_1) | instskip(NEXT) | instid1(VALU_DEP_1)
	v_div_fmas_f64 v[216:217], v[216:217], v[218:219], v[224:225]
	v_div_fixup_f64 v[212:213], v[216:217], v[212:213], 1.0
	s_delay_alu instid0(VALU_DEP_1)
	v_mul_f64 v[222:223], v[220:221], -v[212:213]
.LBB113_106:
	s_or_b32 exec_lo, exec_lo, s3
	ds_store_2addr_b64 v251, v[212:213], v[222:223] offset1:1
.LBB113_107:
	s_or_b32 exec_lo, exec_lo, s4
	s_waitcnt lgkmcnt(0)
	s_barrier
	buffer_gl0_inv
	ds_load_2addr_b64 v[208:211], v251 offset1:1
	s_mov_b32 s3, exec_lo
	s_waitcnt lgkmcnt(0)
	scratch_store_b128 off, v[208:211], off offset:704 ; 16-byte Folded Spill
	v_cmpx_lt_u32_e32 11, v248
	s_cbranch_execz .LBB113_109
; %bb.108:
	scratch_load_b128 v[208:211], off, off offset:704 ; 16-byte Folded Reload
	ds_load_2addr_b64 v[218:221], v214 offset0:24 offset1:25
	s_waitcnt vmcnt(0)
	v_mul_f64 v[212:213], v[210:211], v[182:183]
	v_mul_f64 v[182:183], v[208:209], v[182:183]
	s_delay_alu instid0(VALU_DEP_2) | instskip(NEXT) | instid1(VALU_DEP_2)
	v_fma_f64 v[216:217], v[208:209], v[180:181], -v[212:213]
	v_fma_f64 v[182:183], v[210:211], v[180:181], v[182:183]
	s_waitcnt lgkmcnt(0)
	s_delay_alu instid0(VALU_DEP_1) | instskip(SKIP_1) | instid1(VALU_DEP_2)
	v_mul_f64 v[180:181], v[220:221], v[182:183]
	v_mul_f64 v[212:213], v[218:219], v[182:183]
	v_fma_f64 v[180:181], v[218:219], v[216:217], -v[180:181]
	s_delay_alu instid0(VALU_DEP_2)
	v_fma_f64 v[212:213], v[220:221], v[216:217], v[212:213]
	ds_load_2addr_b64 v[218:221], v214 offset0:26 offset1:27
	v_add_f64 v[176:177], v[176:177], -v[180:181]
	v_add_f64 v[178:179], v[178:179], -v[212:213]
	s_waitcnt lgkmcnt(0)
	v_mul_f64 v[180:181], v[220:221], v[182:183]
	v_mul_f64 v[212:213], v[218:219], v[182:183]
	s_delay_alu instid0(VALU_DEP_2) | instskip(NEXT) | instid1(VALU_DEP_2)
	v_fma_f64 v[180:181], v[218:219], v[216:217], -v[180:181]
	v_fma_f64 v[212:213], v[220:221], v[216:217], v[212:213]
	ds_load_2addr_b64 v[218:221], v214 offset0:28 offset1:29
	v_add_f64 v[172:173], v[172:173], -v[180:181]
	v_add_f64 v[174:175], v[174:175], -v[212:213]
	s_waitcnt lgkmcnt(0)
	v_mul_f64 v[180:181], v[220:221], v[182:183]
	v_mul_f64 v[212:213], v[218:219], v[182:183]
	s_delay_alu instid0(VALU_DEP_2) | instskip(NEXT) | instid1(VALU_DEP_2)
	v_fma_f64 v[180:181], v[218:219], v[216:217], -v[180:181]
	;; [unrolled: 9-line block ×44, first 2 shown]
	v_fma_f64 v[212:213], v[220:221], v[216:217], v[212:213]
	s_delay_alu instid0(VALU_DEP_2) | instskip(NEXT) | instid1(VALU_DEP_2)
	v_add_f64 v[0:1], v[0:1], -v[180:181]
	v_add_f64 v[2:3], v[2:3], -v[212:213]
	v_dual_mov_b32 v180, v216 :: v_dual_mov_b32 v181, v217
.LBB113_109:
	s_or_b32 exec_lo, exec_lo, s3
	s_delay_alu instid0(SALU_CYCLE_1)
	s_mov_b32 s4, exec_lo
	s_waitcnt_vscnt null, 0x0
	s_barrier
	buffer_gl0_inv
	v_cmpx_eq_u32_e32 12, v248
	s_cbranch_execz .LBB113_116
; %bb.110:
	ds_store_2addr_b64 v251, v[176:177], v[178:179] offset1:1
	ds_store_2addr_b64 v214, v[172:173], v[174:175] offset0:26 offset1:27
	ds_store_2addr_b64 v214, v[168:169], v[170:171] offset0:28 offset1:29
	;; [unrolled: 1-line block ×44, first 2 shown]
	ds_load_2addr_b64 v[216:219], v251 offset1:1
	s_waitcnt lgkmcnt(0)
	v_cmp_neq_f64_e32 vcc_lo, 0, v[216:217]
	v_cmp_neq_f64_e64 s3, 0, v[218:219]
	s_delay_alu instid0(VALU_DEP_1) | instskip(NEXT) | instid1(SALU_CYCLE_1)
	s_or_b32 s3, vcc_lo, s3
	s_and_b32 exec_lo, exec_lo, s3
	s_cbranch_execz .LBB113_116
; %bb.111:
	v_cmp_gt_f64_e32 vcc_lo, 0, v[216:217]
	v_xor_b32_e32 v208, 0x80000000, v217
	s_delay_alu instid0(VALU_DEP_1) | instskip(SKIP_3) | instid1(VALU_DEP_1)
	v_cndmask_b32_e32 v213, v217, v208, vcc_lo
	v_cndmask_b32_e32 v212, v216, v216, vcc_lo
	v_cmp_gt_f64_e32 vcc_lo, 0, v[218:219]
	v_xor_b32_e32 v208, 0x80000000, v219
	v_dual_cndmask_b32 v220, v218, v218 :: v_dual_cndmask_b32 v221, v219, v208
	s_delay_alu instid0(VALU_DEP_1) | instskip(SKIP_1) | instid1(SALU_CYCLE_1)
	v_cmp_ngt_f64_e32 vcc_lo, v[212:213], v[220:221]
                                        ; implicit-def: $vgpr212_vgpr213
	s_and_saveexec_b32 s3, vcc_lo
	s_xor_b32 s3, exec_lo, s3
                                        ; implicit-def: $vgpr220_vgpr221_vgpr222_vgpr223
	s_cbranch_execz .LBB113_113
; %bb.112:
	v_div_scale_f64 v[212:213], null, v[218:219], v[218:219], v[216:217]
	v_div_scale_f64 v[224:225], vcc_lo, v[216:217], v[218:219], v[216:217]
	s_delay_alu instid0(VALU_DEP_2) | instskip(SKIP_2) | instid1(VALU_DEP_1)
	v_rcp_f64_e32 v[220:221], v[212:213]
	s_waitcnt_depctr 0xfff
	v_fma_f64 v[222:223], -v[212:213], v[220:221], 1.0
	v_fma_f64 v[220:221], v[220:221], v[222:223], v[220:221]
	s_delay_alu instid0(VALU_DEP_1) | instskip(NEXT) | instid1(VALU_DEP_1)
	v_fma_f64 v[222:223], -v[212:213], v[220:221], 1.0
	v_fma_f64 v[220:221], v[220:221], v[222:223], v[220:221]
	s_delay_alu instid0(VALU_DEP_1) | instskip(NEXT) | instid1(VALU_DEP_1)
	v_mul_f64 v[222:223], v[224:225], v[220:221]
	v_fma_f64 v[212:213], -v[212:213], v[222:223], v[224:225]
	s_delay_alu instid0(VALU_DEP_1) | instskip(NEXT) | instid1(VALU_DEP_1)
	v_div_fmas_f64 v[212:213], v[212:213], v[220:221], v[222:223]
	v_div_fixup_f64 v[212:213], v[212:213], v[218:219], v[216:217]
	s_delay_alu instid0(VALU_DEP_1) | instskip(NEXT) | instid1(VALU_DEP_1)
	v_fma_f64 v[216:217], v[216:217], v[212:213], v[218:219]
	v_div_scale_f64 v[218:219], null, v[216:217], v[216:217], 1.0
	s_delay_alu instid0(VALU_DEP_1) | instskip(SKIP_2) | instid1(VALU_DEP_1)
	v_rcp_f64_e32 v[220:221], v[218:219]
	s_waitcnt_depctr 0xfff
	v_fma_f64 v[222:223], -v[218:219], v[220:221], 1.0
	v_fma_f64 v[220:221], v[220:221], v[222:223], v[220:221]
	s_delay_alu instid0(VALU_DEP_1) | instskip(NEXT) | instid1(VALU_DEP_1)
	v_fma_f64 v[222:223], -v[218:219], v[220:221], 1.0
	v_fma_f64 v[220:221], v[220:221], v[222:223], v[220:221]
	v_div_scale_f64 v[222:223], vcc_lo, 1.0, v[216:217], 1.0
	s_delay_alu instid0(VALU_DEP_1) | instskip(NEXT) | instid1(VALU_DEP_1)
	v_mul_f64 v[224:225], v[222:223], v[220:221]
	v_fma_f64 v[218:219], -v[218:219], v[224:225], v[222:223]
	s_delay_alu instid0(VALU_DEP_1) | instskip(NEXT) | instid1(VALU_DEP_1)
	v_div_fmas_f64 v[218:219], v[218:219], v[220:221], v[224:225]
	v_div_fixup_f64 v[222:223], v[218:219], v[216:217], 1.0
                                        ; implicit-def: $vgpr216_vgpr217
	s_delay_alu instid0(VALU_DEP_1)
	v_mul_f64 v[212:213], v[212:213], v[222:223]
	v_xor_b32_e32 v223, 0x80000000, v223
.LBB113_113:
	s_and_not1_saveexec_b32 s3, s3
	s_cbranch_execz .LBB113_115
; %bb.114:
	v_div_scale_f64 v[212:213], null, v[216:217], v[216:217], v[218:219]
	v_div_scale_f64 v[224:225], vcc_lo, v[218:219], v[216:217], v[218:219]
	s_delay_alu instid0(VALU_DEP_2) | instskip(SKIP_2) | instid1(VALU_DEP_1)
	v_rcp_f64_e32 v[220:221], v[212:213]
	s_waitcnt_depctr 0xfff
	v_fma_f64 v[222:223], -v[212:213], v[220:221], 1.0
	v_fma_f64 v[220:221], v[220:221], v[222:223], v[220:221]
	s_delay_alu instid0(VALU_DEP_1) | instskip(NEXT) | instid1(VALU_DEP_1)
	v_fma_f64 v[222:223], -v[212:213], v[220:221], 1.0
	v_fma_f64 v[220:221], v[220:221], v[222:223], v[220:221]
	s_delay_alu instid0(VALU_DEP_1) | instskip(NEXT) | instid1(VALU_DEP_1)
	v_mul_f64 v[222:223], v[224:225], v[220:221]
	v_fma_f64 v[212:213], -v[212:213], v[222:223], v[224:225]
	s_delay_alu instid0(VALU_DEP_1) | instskip(NEXT) | instid1(VALU_DEP_1)
	v_div_fmas_f64 v[212:213], v[212:213], v[220:221], v[222:223]
	v_div_fixup_f64 v[220:221], v[212:213], v[216:217], v[218:219]
	s_delay_alu instid0(VALU_DEP_1) | instskip(NEXT) | instid1(VALU_DEP_1)
	v_fma_f64 v[212:213], v[218:219], v[220:221], v[216:217]
	v_div_scale_f64 v[216:217], null, v[212:213], v[212:213], 1.0
	s_delay_alu instid0(VALU_DEP_1) | instskip(SKIP_2) | instid1(VALU_DEP_1)
	v_rcp_f64_e32 v[218:219], v[216:217]
	s_waitcnt_depctr 0xfff
	v_fma_f64 v[222:223], -v[216:217], v[218:219], 1.0
	v_fma_f64 v[218:219], v[218:219], v[222:223], v[218:219]
	s_delay_alu instid0(VALU_DEP_1) | instskip(NEXT) | instid1(VALU_DEP_1)
	v_fma_f64 v[222:223], -v[216:217], v[218:219], 1.0
	v_fma_f64 v[218:219], v[218:219], v[222:223], v[218:219]
	v_div_scale_f64 v[222:223], vcc_lo, 1.0, v[212:213], 1.0
	s_delay_alu instid0(VALU_DEP_1) | instskip(NEXT) | instid1(VALU_DEP_1)
	v_mul_f64 v[224:225], v[222:223], v[218:219]
	v_fma_f64 v[216:217], -v[216:217], v[224:225], v[222:223]
	s_delay_alu instid0(VALU_DEP_1) | instskip(NEXT) | instid1(VALU_DEP_1)
	v_div_fmas_f64 v[216:217], v[216:217], v[218:219], v[224:225]
	v_div_fixup_f64 v[212:213], v[216:217], v[212:213], 1.0
	s_delay_alu instid0(VALU_DEP_1)
	v_mul_f64 v[222:223], v[220:221], -v[212:213]
.LBB113_115:
	s_or_b32 exec_lo, exec_lo, s3
	ds_store_2addr_b64 v251, v[212:213], v[222:223] offset1:1
.LBB113_116:
	s_or_b32 exec_lo, exec_lo, s4
	s_waitcnt lgkmcnt(0)
	s_barrier
	buffer_gl0_inv
	ds_load_2addr_b64 v[208:211], v251 offset1:1
	s_mov_b32 s3, exec_lo
	s_waitcnt lgkmcnt(0)
	scratch_store_b128 off, v[208:211], off offset:720 ; 16-byte Folded Spill
	v_cmpx_lt_u32_e32 12, v248
	s_cbranch_execz .LBB113_118
; %bb.117:
	scratch_load_b128 v[208:211], off, off offset:720 ; 16-byte Folded Reload
	ds_load_2addr_b64 v[218:221], v214 offset0:26 offset1:27
	s_waitcnt vmcnt(0)
	v_mul_f64 v[212:213], v[210:211], v[178:179]
	v_mul_f64 v[178:179], v[208:209], v[178:179]
	s_delay_alu instid0(VALU_DEP_2) | instskip(NEXT) | instid1(VALU_DEP_2)
	v_fma_f64 v[216:217], v[208:209], v[176:177], -v[212:213]
	v_fma_f64 v[178:179], v[210:211], v[176:177], v[178:179]
	s_waitcnt lgkmcnt(0)
	s_delay_alu instid0(VALU_DEP_1) | instskip(SKIP_1) | instid1(VALU_DEP_2)
	v_mul_f64 v[176:177], v[220:221], v[178:179]
	v_mul_f64 v[212:213], v[218:219], v[178:179]
	v_fma_f64 v[176:177], v[218:219], v[216:217], -v[176:177]
	s_delay_alu instid0(VALU_DEP_2)
	v_fma_f64 v[212:213], v[220:221], v[216:217], v[212:213]
	ds_load_2addr_b64 v[218:221], v214 offset0:28 offset1:29
	v_add_f64 v[172:173], v[172:173], -v[176:177]
	v_add_f64 v[174:175], v[174:175], -v[212:213]
	s_waitcnt lgkmcnt(0)
	v_mul_f64 v[176:177], v[220:221], v[178:179]
	v_mul_f64 v[212:213], v[218:219], v[178:179]
	s_delay_alu instid0(VALU_DEP_2) | instskip(NEXT) | instid1(VALU_DEP_2)
	v_fma_f64 v[176:177], v[218:219], v[216:217], -v[176:177]
	v_fma_f64 v[212:213], v[220:221], v[216:217], v[212:213]
	ds_load_2addr_b64 v[218:221], v214 offset0:30 offset1:31
	v_add_f64 v[168:169], v[168:169], -v[176:177]
	v_add_f64 v[170:171], v[170:171], -v[212:213]
	s_waitcnt lgkmcnt(0)
	v_mul_f64 v[176:177], v[220:221], v[178:179]
	v_mul_f64 v[212:213], v[218:219], v[178:179]
	s_delay_alu instid0(VALU_DEP_2) | instskip(NEXT) | instid1(VALU_DEP_2)
	v_fma_f64 v[176:177], v[218:219], v[216:217], -v[176:177]
	;; [unrolled: 9-line block ×43, first 2 shown]
	v_fma_f64 v[212:213], v[220:221], v[216:217], v[212:213]
	s_delay_alu instid0(VALU_DEP_2) | instskip(NEXT) | instid1(VALU_DEP_2)
	v_add_f64 v[0:1], v[0:1], -v[176:177]
	v_add_f64 v[2:3], v[2:3], -v[212:213]
	v_dual_mov_b32 v176, v216 :: v_dual_mov_b32 v177, v217
.LBB113_118:
	s_or_b32 exec_lo, exec_lo, s3
	s_delay_alu instid0(SALU_CYCLE_1)
	s_mov_b32 s4, exec_lo
	s_waitcnt_vscnt null, 0x0
	s_barrier
	buffer_gl0_inv
	v_cmpx_eq_u32_e32 13, v248
	s_cbranch_execz .LBB113_125
; %bb.119:
	ds_store_2addr_b64 v251, v[172:173], v[174:175] offset1:1
	ds_store_2addr_b64 v214, v[168:169], v[170:171] offset0:28 offset1:29
	ds_store_2addr_b64 v214, v[164:165], v[166:167] offset0:30 offset1:31
	;; [unrolled: 1-line block ×43, first 2 shown]
	ds_load_2addr_b64 v[216:219], v251 offset1:1
	s_waitcnt lgkmcnt(0)
	v_cmp_neq_f64_e32 vcc_lo, 0, v[216:217]
	v_cmp_neq_f64_e64 s3, 0, v[218:219]
	s_delay_alu instid0(VALU_DEP_1) | instskip(NEXT) | instid1(SALU_CYCLE_1)
	s_or_b32 s3, vcc_lo, s3
	s_and_b32 exec_lo, exec_lo, s3
	s_cbranch_execz .LBB113_125
; %bb.120:
	v_cmp_gt_f64_e32 vcc_lo, 0, v[216:217]
	v_xor_b32_e32 v208, 0x80000000, v217
	s_delay_alu instid0(VALU_DEP_1) | instskip(SKIP_3) | instid1(VALU_DEP_1)
	v_cndmask_b32_e32 v213, v217, v208, vcc_lo
	v_cndmask_b32_e32 v212, v216, v216, vcc_lo
	v_cmp_gt_f64_e32 vcc_lo, 0, v[218:219]
	v_xor_b32_e32 v208, 0x80000000, v219
	v_dual_cndmask_b32 v220, v218, v218 :: v_dual_cndmask_b32 v221, v219, v208
	s_delay_alu instid0(VALU_DEP_1) | instskip(SKIP_1) | instid1(SALU_CYCLE_1)
	v_cmp_ngt_f64_e32 vcc_lo, v[212:213], v[220:221]
                                        ; implicit-def: $vgpr212_vgpr213
	s_and_saveexec_b32 s3, vcc_lo
	s_xor_b32 s3, exec_lo, s3
                                        ; implicit-def: $vgpr220_vgpr221_vgpr222_vgpr223
	s_cbranch_execz .LBB113_122
; %bb.121:
	v_div_scale_f64 v[212:213], null, v[218:219], v[218:219], v[216:217]
	v_div_scale_f64 v[224:225], vcc_lo, v[216:217], v[218:219], v[216:217]
	s_delay_alu instid0(VALU_DEP_2) | instskip(SKIP_2) | instid1(VALU_DEP_1)
	v_rcp_f64_e32 v[220:221], v[212:213]
	s_waitcnt_depctr 0xfff
	v_fma_f64 v[222:223], -v[212:213], v[220:221], 1.0
	v_fma_f64 v[220:221], v[220:221], v[222:223], v[220:221]
	s_delay_alu instid0(VALU_DEP_1) | instskip(NEXT) | instid1(VALU_DEP_1)
	v_fma_f64 v[222:223], -v[212:213], v[220:221], 1.0
	v_fma_f64 v[220:221], v[220:221], v[222:223], v[220:221]
	s_delay_alu instid0(VALU_DEP_1) | instskip(NEXT) | instid1(VALU_DEP_1)
	v_mul_f64 v[222:223], v[224:225], v[220:221]
	v_fma_f64 v[212:213], -v[212:213], v[222:223], v[224:225]
	s_delay_alu instid0(VALU_DEP_1) | instskip(NEXT) | instid1(VALU_DEP_1)
	v_div_fmas_f64 v[212:213], v[212:213], v[220:221], v[222:223]
	v_div_fixup_f64 v[212:213], v[212:213], v[218:219], v[216:217]
	s_delay_alu instid0(VALU_DEP_1) | instskip(NEXT) | instid1(VALU_DEP_1)
	v_fma_f64 v[216:217], v[216:217], v[212:213], v[218:219]
	v_div_scale_f64 v[218:219], null, v[216:217], v[216:217], 1.0
	s_delay_alu instid0(VALU_DEP_1) | instskip(SKIP_2) | instid1(VALU_DEP_1)
	v_rcp_f64_e32 v[220:221], v[218:219]
	s_waitcnt_depctr 0xfff
	v_fma_f64 v[222:223], -v[218:219], v[220:221], 1.0
	v_fma_f64 v[220:221], v[220:221], v[222:223], v[220:221]
	s_delay_alu instid0(VALU_DEP_1) | instskip(NEXT) | instid1(VALU_DEP_1)
	v_fma_f64 v[222:223], -v[218:219], v[220:221], 1.0
	v_fma_f64 v[220:221], v[220:221], v[222:223], v[220:221]
	v_div_scale_f64 v[222:223], vcc_lo, 1.0, v[216:217], 1.0
	s_delay_alu instid0(VALU_DEP_1) | instskip(NEXT) | instid1(VALU_DEP_1)
	v_mul_f64 v[224:225], v[222:223], v[220:221]
	v_fma_f64 v[218:219], -v[218:219], v[224:225], v[222:223]
	s_delay_alu instid0(VALU_DEP_1) | instskip(NEXT) | instid1(VALU_DEP_1)
	v_div_fmas_f64 v[218:219], v[218:219], v[220:221], v[224:225]
	v_div_fixup_f64 v[222:223], v[218:219], v[216:217], 1.0
                                        ; implicit-def: $vgpr216_vgpr217
	s_delay_alu instid0(VALU_DEP_1)
	v_mul_f64 v[212:213], v[212:213], v[222:223]
	v_xor_b32_e32 v223, 0x80000000, v223
.LBB113_122:
	s_and_not1_saveexec_b32 s3, s3
	s_cbranch_execz .LBB113_124
; %bb.123:
	v_div_scale_f64 v[212:213], null, v[216:217], v[216:217], v[218:219]
	v_div_scale_f64 v[224:225], vcc_lo, v[218:219], v[216:217], v[218:219]
	s_delay_alu instid0(VALU_DEP_2) | instskip(SKIP_2) | instid1(VALU_DEP_1)
	v_rcp_f64_e32 v[220:221], v[212:213]
	s_waitcnt_depctr 0xfff
	v_fma_f64 v[222:223], -v[212:213], v[220:221], 1.0
	v_fma_f64 v[220:221], v[220:221], v[222:223], v[220:221]
	s_delay_alu instid0(VALU_DEP_1) | instskip(NEXT) | instid1(VALU_DEP_1)
	v_fma_f64 v[222:223], -v[212:213], v[220:221], 1.0
	v_fma_f64 v[220:221], v[220:221], v[222:223], v[220:221]
	s_delay_alu instid0(VALU_DEP_1) | instskip(NEXT) | instid1(VALU_DEP_1)
	v_mul_f64 v[222:223], v[224:225], v[220:221]
	v_fma_f64 v[212:213], -v[212:213], v[222:223], v[224:225]
	s_delay_alu instid0(VALU_DEP_1) | instskip(NEXT) | instid1(VALU_DEP_1)
	v_div_fmas_f64 v[212:213], v[212:213], v[220:221], v[222:223]
	v_div_fixup_f64 v[220:221], v[212:213], v[216:217], v[218:219]
	s_delay_alu instid0(VALU_DEP_1) | instskip(NEXT) | instid1(VALU_DEP_1)
	v_fma_f64 v[212:213], v[218:219], v[220:221], v[216:217]
	v_div_scale_f64 v[216:217], null, v[212:213], v[212:213], 1.0
	s_delay_alu instid0(VALU_DEP_1) | instskip(SKIP_2) | instid1(VALU_DEP_1)
	v_rcp_f64_e32 v[218:219], v[216:217]
	s_waitcnt_depctr 0xfff
	v_fma_f64 v[222:223], -v[216:217], v[218:219], 1.0
	v_fma_f64 v[218:219], v[218:219], v[222:223], v[218:219]
	s_delay_alu instid0(VALU_DEP_1) | instskip(NEXT) | instid1(VALU_DEP_1)
	v_fma_f64 v[222:223], -v[216:217], v[218:219], 1.0
	v_fma_f64 v[218:219], v[218:219], v[222:223], v[218:219]
	v_div_scale_f64 v[222:223], vcc_lo, 1.0, v[212:213], 1.0
	s_delay_alu instid0(VALU_DEP_1) | instskip(NEXT) | instid1(VALU_DEP_1)
	v_mul_f64 v[224:225], v[222:223], v[218:219]
	v_fma_f64 v[216:217], -v[216:217], v[224:225], v[222:223]
	s_delay_alu instid0(VALU_DEP_1) | instskip(NEXT) | instid1(VALU_DEP_1)
	v_div_fmas_f64 v[216:217], v[216:217], v[218:219], v[224:225]
	v_div_fixup_f64 v[212:213], v[216:217], v[212:213], 1.0
	s_delay_alu instid0(VALU_DEP_1)
	v_mul_f64 v[222:223], v[220:221], -v[212:213]
.LBB113_124:
	s_or_b32 exec_lo, exec_lo, s3
	ds_store_2addr_b64 v251, v[212:213], v[222:223] offset1:1
.LBB113_125:
	s_or_b32 exec_lo, exec_lo, s4
	s_waitcnt lgkmcnt(0)
	s_barrier
	buffer_gl0_inv
	ds_load_2addr_b64 v[208:211], v251 offset1:1
	s_mov_b32 s3, exec_lo
	s_waitcnt lgkmcnt(0)
	scratch_store_b128 off, v[208:211], off offset:736 ; 16-byte Folded Spill
	v_cmpx_lt_u32_e32 13, v248
	s_cbranch_execz .LBB113_127
; %bb.126:
	scratch_load_b128 v[208:211], off, off offset:736 ; 16-byte Folded Reload
	ds_load_2addr_b64 v[218:221], v214 offset0:28 offset1:29
	s_waitcnt vmcnt(0)
	v_mul_f64 v[212:213], v[210:211], v[174:175]
	v_mul_f64 v[174:175], v[208:209], v[174:175]
	s_delay_alu instid0(VALU_DEP_2) | instskip(NEXT) | instid1(VALU_DEP_2)
	v_fma_f64 v[216:217], v[208:209], v[172:173], -v[212:213]
	v_fma_f64 v[174:175], v[210:211], v[172:173], v[174:175]
	s_waitcnt lgkmcnt(0)
	s_delay_alu instid0(VALU_DEP_1) | instskip(SKIP_1) | instid1(VALU_DEP_2)
	v_mul_f64 v[172:173], v[220:221], v[174:175]
	v_mul_f64 v[212:213], v[218:219], v[174:175]
	v_fma_f64 v[172:173], v[218:219], v[216:217], -v[172:173]
	s_delay_alu instid0(VALU_DEP_2)
	v_fma_f64 v[212:213], v[220:221], v[216:217], v[212:213]
	ds_load_2addr_b64 v[218:221], v214 offset0:30 offset1:31
	v_add_f64 v[168:169], v[168:169], -v[172:173]
	v_add_f64 v[170:171], v[170:171], -v[212:213]
	s_waitcnt lgkmcnt(0)
	v_mul_f64 v[172:173], v[220:221], v[174:175]
	v_mul_f64 v[212:213], v[218:219], v[174:175]
	s_delay_alu instid0(VALU_DEP_2) | instskip(NEXT) | instid1(VALU_DEP_2)
	v_fma_f64 v[172:173], v[218:219], v[216:217], -v[172:173]
	v_fma_f64 v[212:213], v[220:221], v[216:217], v[212:213]
	ds_load_2addr_b64 v[218:221], v214 offset0:32 offset1:33
	v_add_f64 v[164:165], v[164:165], -v[172:173]
	v_add_f64 v[166:167], v[166:167], -v[212:213]
	s_waitcnt lgkmcnt(0)
	v_mul_f64 v[172:173], v[220:221], v[174:175]
	v_mul_f64 v[212:213], v[218:219], v[174:175]
	s_delay_alu instid0(VALU_DEP_2) | instskip(NEXT) | instid1(VALU_DEP_2)
	v_fma_f64 v[172:173], v[218:219], v[216:217], -v[172:173]
	;; [unrolled: 9-line block ×42, first 2 shown]
	v_fma_f64 v[212:213], v[220:221], v[216:217], v[212:213]
	s_delay_alu instid0(VALU_DEP_2) | instskip(NEXT) | instid1(VALU_DEP_2)
	v_add_f64 v[0:1], v[0:1], -v[172:173]
	v_add_f64 v[2:3], v[2:3], -v[212:213]
	v_dual_mov_b32 v172, v216 :: v_dual_mov_b32 v173, v217
.LBB113_127:
	s_or_b32 exec_lo, exec_lo, s3
	s_delay_alu instid0(SALU_CYCLE_1)
	s_mov_b32 s4, exec_lo
	s_waitcnt_vscnt null, 0x0
	s_barrier
	buffer_gl0_inv
	v_cmpx_eq_u32_e32 14, v248
	s_cbranch_execz .LBB113_134
; %bb.128:
	ds_store_2addr_b64 v251, v[168:169], v[170:171] offset1:1
	ds_store_2addr_b64 v214, v[164:165], v[166:167] offset0:30 offset1:31
	ds_store_2addr_b64 v214, v[160:161], v[162:163] offset0:32 offset1:33
	;; [unrolled: 1-line block ×42, first 2 shown]
	ds_load_2addr_b64 v[216:219], v251 offset1:1
	s_waitcnt lgkmcnt(0)
	v_cmp_neq_f64_e32 vcc_lo, 0, v[216:217]
	v_cmp_neq_f64_e64 s3, 0, v[218:219]
	s_delay_alu instid0(VALU_DEP_1) | instskip(NEXT) | instid1(SALU_CYCLE_1)
	s_or_b32 s3, vcc_lo, s3
	s_and_b32 exec_lo, exec_lo, s3
	s_cbranch_execz .LBB113_134
; %bb.129:
	v_cmp_gt_f64_e32 vcc_lo, 0, v[216:217]
	v_xor_b32_e32 v208, 0x80000000, v217
	s_delay_alu instid0(VALU_DEP_1) | instskip(SKIP_3) | instid1(VALU_DEP_1)
	v_cndmask_b32_e32 v213, v217, v208, vcc_lo
	v_cndmask_b32_e32 v212, v216, v216, vcc_lo
	v_cmp_gt_f64_e32 vcc_lo, 0, v[218:219]
	v_xor_b32_e32 v208, 0x80000000, v219
	v_dual_cndmask_b32 v220, v218, v218 :: v_dual_cndmask_b32 v221, v219, v208
	s_delay_alu instid0(VALU_DEP_1) | instskip(SKIP_1) | instid1(SALU_CYCLE_1)
	v_cmp_ngt_f64_e32 vcc_lo, v[212:213], v[220:221]
                                        ; implicit-def: $vgpr212_vgpr213
	s_and_saveexec_b32 s3, vcc_lo
	s_xor_b32 s3, exec_lo, s3
                                        ; implicit-def: $vgpr220_vgpr221_vgpr222_vgpr223
	s_cbranch_execz .LBB113_131
; %bb.130:
	v_div_scale_f64 v[212:213], null, v[218:219], v[218:219], v[216:217]
	v_div_scale_f64 v[224:225], vcc_lo, v[216:217], v[218:219], v[216:217]
	s_delay_alu instid0(VALU_DEP_2) | instskip(SKIP_2) | instid1(VALU_DEP_1)
	v_rcp_f64_e32 v[220:221], v[212:213]
	s_waitcnt_depctr 0xfff
	v_fma_f64 v[222:223], -v[212:213], v[220:221], 1.0
	v_fma_f64 v[220:221], v[220:221], v[222:223], v[220:221]
	s_delay_alu instid0(VALU_DEP_1) | instskip(NEXT) | instid1(VALU_DEP_1)
	v_fma_f64 v[222:223], -v[212:213], v[220:221], 1.0
	v_fma_f64 v[220:221], v[220:221], v[222:223], v[220:221]
	s_delay_alu instid0(VALU_DEP_1) | instskip(NEXT) | instid1(VALU_DEP_1)
	v_mul_f64 v[222:223], v[224:225], v[220:221]
	v_fma_f64 v[212:213], -v[212:213], v[222:223], v[224:225]
	s_delay_alu instid0(VALU_DEP_1) | instskip(NEXT) | instid1(VALU_DEP_1)
	v_div_fmas_f64 v[212:213], v[212:213], v[220:221], v[222:223]
	v_div_fixup_f64 v[212:213], v[212:213], v[218:219], v[216:217]
	s_delay_alu instid0(VALU_DEP_1) | instskip(NEXT) | instid1(VALU_DEP_1)
	v_fma_f64 v[216:217], v[216:217], v[212:213], v[218:219]
	v_div_scale_f64 v[218:219], null, v[216:217], v[216:217], 1.0
	s_delay_alu instid0(VALU_DEP_1) | instskip(SKIP_2) | instid1(VALU_DEP_1)
	v_rcp_f64_e32 v[220:221], v[218:219]
	s_waitcnt_depctr 0xfff
	v_fma_f64 v[222:223], -v[218:219], v[220:221], 1.0
	v_fma_f64 v[220:221], v[220:221], v[222:223], v[220:221]
	s_delay_alu instid0(VALU_DEP_1) | instskip(NEXT) | instid1(VALU_DEP_1)
	v_fma_f64 v[222:223], -v[218:219], v[220:221], 1.0
	v_fma_f64 v[220:221], v[220:221], v[222:223], v[220:221]
	v_div_scale_f64 v[222:223], vcc_lo, 1.0, v[216:217], 1.0
	s_delay_alu instid0(VALU_DEP_1) | instskip(NEXT) | instid1(VALU_DEP_1)
	v_mul_f64 v[224:225], v[222:223], v[220:221]
	v_fma_f64 v[218:219], -v[218:219], v[224:225], v[222:223]
	s_delay_alu instid0(VALU_DEP_1) | instskip(NEXT) | instid1(VALU_DEP_1)
	v_div_fmas_f64 v[218:219], v[218:219], v[220:221], v[224:225]
	v_div_fixup_f64 v[222:223], v[218:219], v[216:217], 1.0
                                        ; implicit-def: $vgpr216_vgpr217
	s_delay_alu instid0(VALU_DEP_1)
	v_mul_f64 v[212:213], v[212:213], v[222:223]
	v_xor_b32_e32 v223, 0x80000000, v223
.LBB113_131:
	s_and_not1_saveexec_b32 s3, s3
	s_cbranch_execz .LBB113_133
; %bb.132:
	v_div_scale_f64 v[212:213], null, v[216:217], v[216:217], v[218:219]
	v_div_scale_f64 v[224:225], vcc_lo, v[218:219], v[216:217], v[218:219]
	s_delay_alu instid0(VALU_DEP_2) | instskip(SKIP_2) | instid1(VALU_DEP_1)
	v_rcp_f64_e32 v[220:221], v[212:213]
	s_waitcnt_depctr 0xfff
	v_fma_f64 v[222:223], -v[212:213], v[220:221], 1.0
	v_fma_f64 v[220:221], v[220:221], v[222:223], v[220:221]
	s_delay_alu instid0(VALU_DEP_1) | instskip(NEXT) | instid1(VALU_DEP_1)
	v_fma_f64 v[222:223], -v[212:213], v[220:221], 1.0
	v_fma_f64 v[220:221], v[220:221], v[222:223], v[220:221]
	s_delay_alu instid0(VALU_DEP_1) | instskip(NEXT) | instid1(VALU_DEP_1)
	v_mul_f64 v[222:223], v[224:225], v[220:221]
	v_fma_f64 v[212:213], -v[212:213], v[222:223], v[224:225]
	s_delay_alu instid0(VALU_DEP_1) | instskip(NEXT) | instid1(VALU_DEP_1)
	v_div_fmas_f64 v[212:213], v[212:213], v[220:221], v[222:223]
	v_div_fixup_f64 v[220:221], v[212:213], v[216:217], v[218:219]
	s_delay_alu instid0(VALU_DEP_1) | instskip(NEXT) | instid1(VALU_DEP_1)
	v_fma_f64 v[212:213], v[218:219], v[220:221], v[216:217]
	v_div_scale_f64 v[216:217], null, v[212:213], v[212:213], 1.0
	s_delay_alu instid0(VALU_DEP_1) | instskip(SKIP_2) | instid1(VALU_DEP_1)
	v_rcp_f64_e32 v[218:219], v[216:217]
	s_waitcnt_depctr 0xfff
	v_fma_f64 v[222:223], -v[216:217], v[218:219], 1.0
	v_fma_f64 v[218:219], v[218:219], v[222:223], v[218:219]
	s_delay_alu instid0(VALU_DEP_1) | instskip(NEXT) | instid1(VALU_DEP_1)
	v_fma_f64 v[222:223], -v[216:217], v[218:219], 1.0
	v_fma_f64 v[218:219], v[218:219], v[222:223], v[218:219]
	v_div_scale_f64 v[222:223], vcc_lo, 1.0, v[212:213], 1.0
	s_delay_alu instid0(VALU_DEP_1) | instskip(NEXT) | instid1(VALU_DEP_1)
	v_mul_f64 v[224:225], v[222:223], v[218:219]
	v_fma_f64 v[216:217], -v[216:217], v[224:225], v[222:223]
	s_delay_alu instid0(VALU_DEP_1) | instskip(NEXT) | instid1(VALU_DEP_1)
	v_div_fmas_f64 v[216:217], v[216:217], v[218:219], v[224:225]
	v_div_fixup_f64 v[212:213], v[216:217], v[212:213], 1.0
	s_delay_alu instid0(VALU_DEP_1)
	v_mul_f64 v[222:223], v[220:221], -v[212:213]
.LBB113_133:
	s_or_b32 exec_lo, exec_lo, s3
	ds_store_2addr_b64 v251, v[212:213], v[222:223] offset1:1
.LBB113_134:
	s_or_b32 exec_lo, exec_lo, s4
	s_waitcnt lgkmcnt(0)
	s_barrier
	buffer_gl0_inv
	ds_load_2addr_b64 v[208:211], v251 offset1:1
	s_mov_b32 s3, exec_lo
	s_waitcnt lgkmcnt(0)
	scratch_store_b128 off, v[208:211], off offset:752 ; 16-byte Folded Spill
	v_cmpx_lt_u32_e32 14, v248
	s_cbranch_execz .LBB113_136
; %bb.135:
	scratch_load_b128 v[208:211], off, off offset:752 ; 16-byte Folded Reload
	ds_load_2addr_b64 v[218:221], v214 offset0:30 offset1:31
	s_waitcnt vmcnt(0)
	v_mul_f64 v[212:213], v[210:211], v[170:171]
	v_mul_f64 v[170:171], v[208:209], v[170:171]
	s_delay_alu instid0(VALU_DEP_2) | instskip(NEXT) | instid1(VALU_DEP_2)
	v_fma_f64 v[216:217], v[208:209], v[168:169], -v[212:213]
	v_fma_f64 v[170:171], v[210:211], v[168:169], v[170:171]
	s_waitcnt lgkmcnt(0)
	s_delay_alu instid0(VALU_DEP_1) | instskip(SKIP_1) | instid1(VALU_DEP_2)
	v_mul_f64 v[168:169], v[220:221], v[170:171]
	v_mul_f64 v[212:213], v[218:219], v[170:171]
	v_fma_f64 v[168:169], v[218:219], v[216:217], -v[168:169]
	s_delay_alu instid0(VALU_DEP_2)
	v_fma_f64 v[212:213], v[220:221], v[216:217], v[212:213]
	ds_load_2addr_b64 v[218:221], v214 offset0:32 offset1:33
	v_add_f64 v[164:165], v[164:165], -v[168:169]
	v_add_f64 v[166:167], v[166:167], -v[212:213]
	s_waitcnt lgkmcnt(0)
	v_mul_f64 v[168:169], v[220:221], v[170:171]
	v_mul_f64 v[212:213], v[218:219], v[170:171]
	s_delay_alu instid0(VALU_DEP_2) | instskip(NEXT) | instid1(VALU_DEP_2)
	v_fma_f64 v[168:169], v[218:219], v[216:217], -v[168:169]
	v_fma_f64 v[212:213], v[220:221], v[216:217], v[212:213]
	ds_load_2addr_b64 v[218:221], v214 offset0:34 offset1:35
	v_add_f64 v[160:161], v[160:161], -v[168:169]
	v_add_f64 v[162:163], v[162:163], -v[212:213]
	s_waitcnt lgkmcnt(0)
	v_mul_f64 v[168:169], v[220:221], v[170:171]
	v_mul_f64 v[212:213], v[218:219], v[170:171]
	s_delay_alu instid0(VALU_DEP_2) | instskip(NEXT) | instid1(VALU_DEP_2)
	v_fma_f64 v[168:169], v[218:219], v[216:217], -v[168:169]
	;; [unrolled: 9-line block ×41, first 2 shown]
	v_fma_f64 v[212:213], v[220:221], v[216:217], v[212:213]
	s_delay_alu instid0(VALU_DEP_2) | instskip(NEXT) | instid1(VALU_DEP_2)
	v_add_f64 v[0:1], v[0:1], -v[168:169]
	v_add_f64 v[2:3], v[2:3], -v[212:213]
	v_dual_mov_b32 v168, v216 :: v_dual_mov_b32 v169, v217
.LBB113_136:
	s_or_b32 exec_lo, exec_lo, s3
	s_delay_alu instid0(SALU_CYCLE_1)
	s_mov_b32 s4, exec_lo
	s_waitcnt_vscnt null, 0x0
	s_barrier
	buffer_gl0_inv
	v_cmpx_eq_u32_e32 15, v248
	s_cbranch_execz .LBB113_143
; %bb.137:
	ds_store_2addr_b64 v251, v[164:165], v[166:167] offset1:1
	ds_store_2addr_b64 v214, v[160:161], v[162:163] offset0:32 offset1:33
	ds_store_2addr_b64 v214, v[156:157], v[158:159] offset0:34 offset1:35
	;; [unrolled: 1-line block ×41, first 2 shown]
	ds_load_2addr_b64 v[216:219], v251 offset1:1
	s_waitcnt lgkmcnt(0)
	v_cmp_neq_f64_e32 vcc_lo, 0, v[216:217]
	v_cmp_neq_f64_e64 s3, 0, v[218:219]
	s_delay_alu instid0(VALU_DEP_1) | instskip(NEXT) | instid1(SALU_CYCLE_1)
	s_or_b32 s3, vcc_lo, s3
	s_and_b32 exec_lo, exec_lo, s3
	s_cbranch_execz .LBB113_143
; %bb.138:
	v_cmp_gt_f64_e32 vcc_lo, 0, v[216:217]
	v_xor_b32_e32 v208, 0x80000000, v217
	s_delay_alu instid0(VALU_DEP_1) | instskip(SKIP_3) | instid1(VALU_DEP_1)
	v_cndmask_b32_e32 v213, v217, v208, vcc_lo
	v_cndmask_b32_e32 v212, v216, v216, vcc_lo
	v_cmp_gt_f64_e32 vcc_lo, 0, v[218:219]
	v_xor_b32_e32 v208, 0x80000000, v219
	v_dual_cndmask_b32 v220, v218, v218 :: v_dual_cndmask_b32 v221, v219, v208
	s_delay_alu instid0(VALU_DEP_1) | instskip(SKIP_1) | instid1(SALU_CYCLE_1)
	v_cmp_ngt_f64_e32 vcc_lo, v[212:213], v[220:221]
                                        ; implicit-def: $vgpr212_vgpr213
	s_and_saveexec_b32 s3, vcc_lo
	s_xor_b32 s3, exec_lo, s3
                                        ; implicit-def: $vgpr220_vgpr221_vgpr222_vgpr223
	s_cbranch_execz .LBB113_140
; %bb.139:
	v_div_scale_f64 v[212:213], null, v[218:219], v[218:219], v[216:217]
	v_div_scale_f64 v[224:225], vcc_lo, v[216:217], v[218:219], v[216:217]
	s_delay_alu instid0(VALU_DEP_2) | instskip(SKIP_2) | instid1(VALU_DEP_1)
	v_rcp_f64_e32 v[220:221], v[212:213]
	s_waitcnt_depctr 0xfff
	v_fma_f64 v[222:223], -v[212:213], v[220:221], 1.0
	v_fma_f64 v[220:221], v[220:221], v[222:223], v[220:221]
	s_delay_alu instid0(VALU_DEP_1) | instskip(NEXT) | instid1(VALU_DEP_1)
	v_fma_f64 v[222:223], -v[212:213], v[220:221], 1.0
	v_fma_f64 v[220:221], v[220:221], v[222:223], v[220:221]
	s_delay_alu instid0(VALU_DEP_1) | instskip(NEXT) | instid1(VALU_DEP_1)
	v_mul_f64 v[222:223], v[224:225], v[220:221]
	v_fma_f64 v[212:213], -v[212:213], v[222:223], v[224:225]
	s_delay_alu instid0(VALU_DEP_1) | instskip(NEXT) | instid1(VALU_DEP_1)
	v_div_fmas_f64 v[212:213], v[212:213], v[220:221], v[222:223]
	v_div_fixup_f64 v[212:213], v[212:213], v[218:219], v[216:217]
	s_delay_alu instid0(VALU_DEP_1) | instskip(NEXT) | instid1(VALU_DEP_1)
	v_fma_f64 v[216:217], v[216:217], v[212:213], v[218:219]
	v_div_scale_f64 v[218:219], null, v[216:217], v[216:217], 1.0
	s_delay_alu instid0(VALU_DEP_1) | instskip(SKIP_2) | instid1(VALU_DEP_1)
	v_rcp_f64_e32 v[220:221], v[218:219]
	s_waitcnt_depctr 0xfff
	v_fma_f64 v[222:223], -v[218:219], v[220:221], 1.0
	v_fma_f64 v[220:221], v[220:221], v[222:223], v[220:221]
	s_delay_alu instid0(VALU_DEP_1) | instskip(NEXT) | instid1(VALU_DEP_1)
	v_fma_f64 v[222:223], -v[218:219], v[220:221], 1.0
	v_fma_f64 v[220:221], v[220:221], v[222:223], v[220:221]
	v_div_scale_f64 v[222:223], vcc_lo, 1.0, v[216:217], 1.0
	s_delay_alu instid0(VALU_DEP_1) | instskip(NEXT) | instid1(VALU_DEP_1)
	v_mul_f64 v[224:225], v[222:223], v[220:221]
	v_fma_f64 v[218:219], -v[218:219], v[224:225], v[222:223]
	s_delay_alu instid0(VALU_DEP_1) | instskip(NEXT) | instid1(VALU_DEP_1)
	v_div_fmas_f64 v[218:219], v[218:219], v[220:221], v[224:225]
	v_div_fixup_f64 v[222:223], v[218:219], v[216:217], 1.0
                                        ; implicit-def: $vgpr216_vgpr217
	s_delay_alu instid0(VALU_DEP_1)
	v_mul_f64 v[212:213], v[212:213], v[222:223]
	v_xor_b32_e32 v223, 0x80000000, v223
.LBB113_140:
	s_and_not1_saveexec_b32 s3, s3
	s_cbranch_execz .LBB113_142
; %bb.141:
	v_div_scale_f64 v[212:213], null, v[216:217], v[216:217], v[218:219]
	v_div_scale_f64 v[224:225], vcc_lo, v[218:219], v[216:217], v[218:219]
	s_delay_alu instid0(VALU_DEP_2) | instskip(SKIP_2) | instid1(VALU_DEP_1)
	v_rcp_f64_e32 v[220:221], v[212:213]
	s_waitcnt_depctr 0xfff
	v_fma_f64 v[222:223], -v[212:213], v[220:221], 1.0
	v_fma_f64 v[220:221], v[220:221], v[222:223], v[220:221]
	s_delay_alu instid0(VALU_DEP_1) | instskip(NEXT) | instid1(VALU_DEP_1)
	v_fma_f64 v[222:223], -v[212:213], v[220:221], 1.0
	v_fma_f64 v[220:221], v[220:221], v[222:223], v[220:221]
	s_delay_alu instid0(VALU_DEP_1) | instskip(NEXT) | instid1(VALU_DEP_1)
	v_mul_f64 v[222:223], v[224:225], v[220:221]
	v_fma_f64 v[212:213], -v[212:213], v[222:223], v[224:225]
	s_delay_alu instid0(VALU_DEP_1) | instskip(NEXT) | instid1(VALU_DEP_1)
	v_div_fmas_f64 v[212:213], v[212:213], v[220:221], v[222:223]
	v_div_fixup_f64 v[220:221], v[212:213], v[216:217], v[218:219]
	s_delay_alu instid0(VALU_DEP_1) | instskip(NEXT) | instid1(VALU_DEP_1)
	v_fma_f64 v[212:213], v[218:219], v[220:221], v[216:217]
	v_div_scale_f64 v[216:217], null, v[212:213], v[212:213], 1.0
	s_delay_alu instid0(VALU_DEP_1) | instskip(SKIP_2) | instid1(VALU_DEP_1)
	v_rcp_f64_e32 v[218:219], v[216:217]
	s_waitcnt_depctr 0xfff
	v_fma_f64 v[222:223], -v[216:217], v[218:219], 1.0
	v_fma_f64 v[218:219], v[218:219], v[222:223], v[218:219]
	s_delay_alu instid0(VALU_DEP_1) | instskip(NEXT) | instid1(VALU_DEP_1)
	v_fma_f64 v[222:223], -v[216:217], v[218:219], 1.0
	v_fma_f64 v[218:219], v[218:219], v[222:223], v[218:219]
	v_div_scale_f64 v[222:223], vcc_lo, 1.0, v[212:213], 1.0
	s_delay_alu instid0(VALU_DEP_1) | instskip(NEXT) | instid1(VALU_DEP_1)
	v_mul_f64 v[224:225], v[222:223], v[218:219]
	v_fma_f64 v[216:217], -v[216:217], v[224:225], v[222:223]
	s_delay_alu instid0(VALU_DEP_1) | instskip(NEXT) | instid1(VALU_DEP_1)
	v_div_fmas_f64 v[216:217], v[216:217], v[218:219], v[224:225]
	v_div_fixup_f64 v[212:213], v[216:217], v[212:213], 1.0
	s_delay_alu instid0(VALU_DEP_1)
	v_mul_f64 v[222:223], v[220:221], -v[212:213]
.LBB113_142:
	s_or_b32 exec_lo, exec_lo, s3
	ds_store_2addr_b64 v251, v[212:213], v[222:223] offset1:1
.LBB113_143:
	s_or_b32 exec_lo, exec_lo, s4
	s_waitcnt lgkmcnt(0)
	s_barrier
	buffer_gl0_inv
	ds_load_2addr_b64 v[208:211], v251 offset1:1
	s_mov_b32 s3, exec_lo
	s_waitcnt lgkmcnt(0)
	scratch_store_b128 off, v[208:211], off offset:768 ; 16-byte Folded Spill
	v_cmpx_lt_u32_e32 15, v248
	s_cbranch_execz .LBB113_145
; %bb.144:
	scratch_load_b128 v[208:211], off, off offset:768 ; 16-byte Folded Reload
	ds_load_2addr_b64 v[218:221], v214 offset0:32 offset1:33
	s_waitcnt vmcnt(0)
	v_mul_f64 v[212:213], v[210:211], v[166:167]
	v_mul_f64 v[166:167], v[208:209], v[166:167]
	s_delay_alu instid0(VALU_DEP_2) | instskip(NEXT) | instid1(VALU_DEP_2)
	v_fma_f64 v[216:217], v[208:209], v[164:165], -v[212:213]
	v_fma_f64 v[166:167], v[210:211], v[164:165], v[166:167]
	s_waitcnt lgkmcnt(0)
	s_delay_alu instid0(VALU_DEP_1) | instskip(SKIP_1) | instid1(VALU_DEP_2)
	v_mul_f64 v[164:165], v[220:221], v[166:167]
	v_mul_f64 v[212:213], v[218:219], v[166:167]
	v_fma_f64 v[164:165], v[218:219], v[216:217], -v[164:165]
	s_delay_alu instid0(VALU_DEP_2)
	v_fma_f64 v[212:213], v[220:221], v[216:217], v[212:213]
	ds_load_2addr_b64 v[218:221], v214 offset0:34 offset1:35
	v_add_f64 v[160:161], v[160:161], -v[164:165]
	v_add_f64 v[162:163], v[162:163], -v[212:213]
	s_waitcnt lgkmcnt(0)
	v_mul_f64 v[164:165], v[220:221], v[166:167]
	v_mul_f64 v[212:213], v[218:219], v[166:167]
	s_delay_alu instid0(VALU_DEP_2) | instskip(NEXT) | instid1(VALU_DEP_2)
	v_fma_f64 v[164:165], v[218:219], v[216:217], -v[164:165]
	v_fma_f64 v[212:213], v[220:221], v[216:217], v[212:213]
	ds_load_2addr_b64 v[218:221], v214 offset0:36 offset1:37
	v_add_f64 v[156:157], v[156:157], -v[164:165]
	v_add_f64 v[158:159], v[158:159], -v[212:213]
	s_waitcnt lgkmcnt(0)
	v_mul_f64 v[164:165], v[220:221], v[166:167]
	v_mul_f64 v[212:213], v[218:219], v[166:167]
	s_delay_alu instid0(VALU_DEP_2) | instskip(NEXT) | instid1(VALU_DEP_2)
	v_fma_f64 v[164:165], v[218:219], v[216:217], -v[164:165]
	;; [unrolled: 9-line block ×40, first 2 shown]
	v_fma_f64 v[212:213], v[220:221], v[216:217], v[212:213]
	s_delay_alu instid0(VALU_DEP_2) | instskip(NEXT) | instid1(VALU_DEP_2)
	v_add_f64 v[0:1], v[0:1], -v[164:165]
	v_add_f64 v[2:3], v[2:3], -v[212:213]
	v_dual_mov_b32 v164, v216 :: v_dual_mov_b32 v165, v217
.LBB113_145:
	s_or_b32 exec_lo, exec_lo, s3
	s_delay_alu instid0(SALU_CYCLE_1)
	s_mov_b32 s4, exec_lo
	s_waitcnt_vscnt null, 0x0
	s_barrier
	buffer_gl0_inv
	v_cmpx_eq_u32_e32 16, v248
	s_cbranch_execz .LBB113_152
; %bb.146:
	ds_store_2addr_b64 v251, v[160:161], v[162:163] offset1:1
	ds_store_2addr_b64 v214, v[156:157], v[158:159] offset0:34 offset1:35
	ds_store_2addr_b64 v214, v[152:153], v[154:155] offset0:36 offset1:37
	;; [unrolled: 1-line block ×40, first 2 shown]
	ds_load_2addr_b64 v[216:219], v251 offset1:1
	s_waitcnt lgkmcnt(0)
	v_cmp_neq_f64_e32 vcc_lo, 0, v[216:217]
	v_cmp_neq_f64_e64 s3, 0, v[218:219]
	s_delay_alu instid0(VALU_DEP_1) | instskip(NEXT) | instid1(SALU_CYCLE_1)
	s_or_b32 s3, vcc_lo, s3
	s_and_b32 exec_lo, exec_lo, s3
	s_cbranch_execz .LBB113_152
; %bb.147:
	v_cmp_gt_f64_e32 vcc_lo, 0, v[216:217]
	v_xor_b32_e32 v208, 0x80000000, v217
	s_delay_alu instid0(VALU_DEP_1) | instskip(SKIP_3) | instid1(VALU_DEP_1)
	v_cndmask_b32_e32 v213, v217, v208, vcc_lo
	v_cndmask_b32_e32 v212, v216, v216, vcc_lo
	v_cmp_gt_f64_e32 vcc_lo, 0, v[218:219]
	v_xor_b32_e32 v208, 0x80000000, v219
	v_dual_cndmask_b32 v220, v218, v218 :: v_dual_cndmask_b32 v221, v219, v208
	s_delay_alu instid0(VALU_DEP_1) | instskip(SKIP_1) | instid1(SALU_CYCLE_1)
	v_cmp_ngt_f64_e32 vcc_lo, v[212:213], v[220:221]
                                        ; implicit-def: $vgpr212_vgpr213
	s_and_saveexec_b32 s3, vcc_lo
	s_xor_b32 s3, exec_lo, s3
                                        ; implicit-def: $vgpr220_vgpr221_vgpr222_vgpr223
	s_cbranch_execz .LBB113_149
; %bb.148:
	v_div_scale_f64 v[212:213], null, v[218:219], v[218:219], v[216:217]
	v_div_scale_f64 v[224:225], vcc_lo, v[216:217], v[218:219], v[216:217]
	s_delay_alu instid0(VALU_DEP_2) | instskip(SKIP_2) | instid1(VALU_DEP_1)
	v_rcp_f64_e32 v[220:221], v[212:213]
	s_waitcnt_depctr 0xfff
	v_fma_f64 v[222:223], -v[212:213], v[220:221], 1.0
	v_fma_f64 v[220:221], v[220:221], v[222:223], v[220:221]
	s_delay_alu instid0(VALU_DEP_1) | instskip(NEXT) | instid1(VALU_DEP_1)
	v_fma_f64 v[222:223], -v[212:213], v[220:221], 1.0
	v_fma_f64 v[220:221], v[220:221], v[222:223], v[220:221]
	s_delay_alu instid0(VALU_DEP_1) | instskip(NEXT) | instid1(VALU_DEP_1)
	v_mul_f64 v[222:223], v[224:225], v[220:221]
	v_fma_f64 v[212:213], -v[212:213], v[222:223], v[224:225]
	s_delay_alu instid0(VALU_DEP_1) | instskip(NEXT) | instid1(VALU_DEP_1)
	v_div_fmas_f64 v[212:213], v[212:213], v[220:221], v[222:223]
	v_div_fixup_f64 v[212:213], v[212:213], v[218:219], v[216:217]
	s_delay_alu instid0(VALU_DEP_1) | instskip(NEXT) | instid1(VALU_DEP_1)
	v_fma_f64 v[216:217], v[216:217], v[212:213], v[218:219]
	v_div_scale_f64 v[218:219], null, v[216:217], v[216:217], 1.0
	s_delay_alu instid0(VALU_DEP_1) | instskip(SKIP_2) | instid1(VALU_DEP_1)
	v_rcp_f64_e32 v[220:221], v[218:219]
	s_waitcnt_depctr 0xfff
	v_fma_f64 v[222:223], -v[218:219], v[220:221], 1.0
	v_fma_f64 v[220:221], v[220:221], v[222:223], v[220:221]
	s_delay_alu instid0(VALU_DEP_1) | instskip(NEXT) | instid1(VALU_DEP_1)
	v_fma_f64 v[222:223], -v[218:219], v[220:221], 1.0
	v_fma_f64 v[220:221], v[220:221], v[222:223], v[220:221]
	v_div_scale_f64 v[222:223], vcc_lo, 1.0, v[216:217], 1.0
	s_delay_alu instid0(VALU_DEP_1) | instskip(NEXT) | instid1(VALU_DEP_1)
	v_mul_f64 v[224:225], v[222:223], v[220:221]
	v_fma_f64 v[218:219], -v[218:219], v[224:225], v[222:223]
	s_delay_alu instid0(VALU_DEP_1) | instskip(NEXT) | instid1(VALU_DEP_1)
	v_div_fmas_f64 v[218:219], v[218:219], v[220:221], v[224:225]
	v_div_fixup_f64 v[222:223], v[218:219], v[216:217], 1.0
                                        ; implicit-def: $vgpr216_vgpr217
	s_delay_alu instid0(VALU_DEP_1)
	v_mul_f64 v[212:213], v[212:213], v[222:223]
	v_xor_b32_e32 v223, 0x80000000, v223
.LBB113_149:
	s_and_not1_saveexec_b32 s3, s3
	s_cbranch_execz .LBB113_151
; %bb.150:
	v_div_scale_f64 v[212:213], null, v[216:217], v[216:217], v[218:219]
	v_div_scale_f64 v[224:225], vcc_lo, v[218:219], v[216:217], v[218:219]
	s_delay_alu instid0(VALU_DEP_2) | instskip(SKIP_2) | instid1(VALU_DEP_1)
	v_rcp_f64_e32 v[220:221], v[212:213]
	s_waitcnt_depctr 0xfff
	v_fma_f64 v[222:223], -v[212:213], v[220:221], 1.0
	v_fma_f64 v[220:221], v[220:221], v[222:223], v[220:221]
	s_delay_alu instid0(VALU_DEP_1) | instskip(NEXT) | instid1(VALU_DEP_1)
	v_fma_f64 v[222:223], -v[212:213], v[220:221], 1.0
	v_fma_f64 v[220:221], v[220:221], v[222:223], v[220:221]
	s_delay_alu instid0(VALU_DEP_1) | instskip(NEXT) | instid1(VALU_DEP_1)
	v_mul_f64 v[222:223], v[224:225], v[220:221]
	v_fma_f64 v[212:213], -v[212:213], v[222:223], v[224:225]
	s_delay_alu instid0(VALU_DEP_1) | instskip(NEXT) | instid1(VALU_DEP_1)
	v_div_fmas_f64 v[212:213], v[212:213], v[220:221], v[222:223]
	v_div_fixup_f64 v[220:221], v[212:213], v[216:217], v[218:219]
	s_delay_alu instid0(VALU_DEP_1) | instskip(NEXT) | instid1(VALU_DEP_1)
	v_fma_f64 v[212:213], v[218:219], v[220:221], v[216:217]
	v_div_scale_f64 v[216:217], null, v[212:213], v[212:213], 1.0
	s_delay_alu instid0(VALU_DEP_1) | instskip(SKIP_2) | instid1(VALU_DEP_1)
	v_rcp_f64_e32 v[218:219], v[216:217]
	s_waitcnt_depctr 0xfff
	v_fma_f64 v[222:223], -v[216:217], v[218:219], 1.0
	v_fma_f64 v[218:219], v[218:219], v[222:223], v[218:219]
	s_delay_alu instid0(VALU_DEP_1) | instskip(NEXT) | instid1(VALU_DEP_1)
	v_fma_f64 v[222:223], -v[216:217], v[218:219], 1.0
	v_fma_f64 v[218:219], v[218:219], v[222:223], v[218:219]
	v_div_scale_f64 v[222:223], vcc_lo, 1.0, v[212:213], 1.0
	s_delay_alu instid0(VALU_DEP_1) | instskip(NEXT) | instid1(VALU_DEP_1)
	v_mul_f64 v[224:225], v[222:223], v[218:219]
	v_fma_f64 v[216:217], -v[216:217], v[224:225], v[222:223]
	s_delay_alu instid0(VALU_DEP_1) | instskip(NEXT) | instid1(VALU_DEP_1)
	v_div_fmas_f64 v[216:217], v[216:217], v[218:219], v[224:225]
	v_div_fixup_f64 v[212:213], v[216:217], v[212:213], 1.0
	s_delay_alu instid0(VALU_DEP_1)
	v_mul_f64 v[222:223], v[220:221], -v[212:213]
.LBB113_151:
	s_or_b32 exec_lo, exec_lo, s3
	ds_store_2addr_b64 v251, v[212:213], v[222:223] offset1:1
.LBB113_152:
	s_or_b32 exec_lo, exec_lo, s4
	s_waitcnt lgkmcnt(0)
	s_barrier
	buffer_gl0_inv
	ds_load_2addr_b64 v[208:211], v251 offset1:1
	s_mov_b32 s3, exec_lo
	s_waitcnt lgkmcnt(0)
	scratch_store_b128 off, v[208:211], off offset:784 ; 16-byte Folded Spill
	v_cmpx_lt_u32_e32 16, v248
	s_cbranch_execz .LBB113_154
; %bb.153:
	scratch_load_b128 v[208:211], off, off offset:784 ; 16-byte Folded Reload
	ds_load_2addr_b64 v[218:221], v214 offset0:34 offset1:35
	s_waitcnt vmcnt(0)
	v_mul_f64 v[212:213], v[210:211], v[162:163]
	v_mul_f64 v[162:163], v[208:209], v[162:163]
	s_delay_alu instid0(VALU_DEP_2) | instskip(NEXT) | instid1(VALU_DEP_2)
	v_fma_f64 v[216:217], v[208:209], v[160:161], -v[212:213]
	v_fma_f64 v[162:163], v[210:211], v[160:161], v[162:163]
	s_waitcnt lgkmcnt(0)
	s_delay_alu instid0(VALU_DEP_1) | instskip(SKIP_1) | instid1(VALU_DEP_2)
	v_mul_f64 v[160:161], v[220:221], v[162:163]
	v_mul_f64 v[212:213], v[218:219], v[162:163]
	v_fma_f64 v[160:161], v[218:219], v[216:217], -v[160:161]
	s_delay_alu instid0(VALU_DEP_2)
	v_fma_f64 v[212:213], v[220:221], v[216:217], v[212:213]
	ds_load_2addr_b64 v[218:221], v214 offset0:36 offset1:37
	v_add_f64 v[156:157], v[156:157], -v[160:161]
	v_add_f64 v[158:159], v[158:159], -v[212:213]
	s_waitcnt lgkmcnt(0)
	v_mul_f64 v[160:161], v[220:221], v[162:163]
	v_mul_f64 v[212:213], v[218:219], v[162:163]
	s_delay_alu instid0(VALU_DEP_2) | instskip(NEXT) | instid1(VALU_DEP_2)
	v_fma_f64 v[160:161], v[218:219], v[216:217], -v[160:161]
	v_fma_f64 v[212:213], v[220:221], v[216:217], v[212:213]
	ds_load_2addr_b64 v[218:221], v214 offset0:38 offset1:39
	v_add_f64 v[152:153], v[152:153], -v[160:161]
	v_add_f64 v[154:155], v[154:155], -v[212:213]
	s_waitcnt lgkmcnt(0)
	v_mul_f64 v[160:161], v[220:221], v[162:163]
	v_mul_f64 v[212:213], v[218:219], v[162:163]
	s_delay_alu instid0(VALU_DEP_2) | instskip(NEXT) | instid1(VALU_DEP_2)
	v_fma_f64 v[160:161], v[218:219], v[216:217], -v[160:161]
	;; [unrolled: 9-line block ×39, first 2 shown]
	v_fma_f64 v[212:213], v[220:221], v[216:217], v[212:213]
	s_delay_alu instid0(VALU_DEP_2) | instskip(NEXT) | instid1(VALU_DEP_2)
	v_add_f64 v[0:1], v[0:1], -v[160:161]
	v_add_f64 v[2:3], v[2:3], -v[212:213]
	v_dual_mov_b32 v160, v216 :: v_dual_mov_b32 v161, v217
.LBB113_154:
	s_or_b32 exec_lo, exec_lo, s3
	s_delay_alu instid0(SALU_CYCLE_1)
	s_mov_b32 s4, exec_lo
	s_waitcnt_vscnt null, 0x0
	s_barrier
	buffer_gl0_inv
	v_cmpx_eq_u32_e32 17, v248
	s_cbranch_execz .LBB113_161
; %bb.155:
	ds_store_2addr_b64 v251, v[156:157], v[158:159] offset1:1
	ds_store_2addr_b64 v214, v[152:153], v[154:155] offset0:36 offset1:37
	ds_store_2addr_b64 v214, v[148:149], v[150:151] offset0:38 offset1:39
	ds_store_2addr_b64 v214, v[144:145], v[146:147] offset0:40 offset1:41
	ds_store_2addr_b64 v214, v[140:141], v[142:143] offset0:42 offset1:43
	ds_store_2addr_b64 v214, v[136:137], v[138:139] offset0:44 offset1:45
	ds_store_2addr_b64 v214, v[132:133], v[134:135] offset0:46 offset1:47
	ds_store_2addr_b64 v214, v[128:129], v[130:131] offset0:48 offset1:49
	ds_store_2addr_b64 v214, v[124:125], v[126:127] offset0:50 offset1:51
	ds_store_2addr_b64 v214, v[120:121], v[122:123] offset0:52 offset1:53
	ds_store_2addr_b64 v214, v[116:117], v[118:119] offset0:54 offset1:55
	ds_store_2addr_b64 v214, v[112:113], v[114:115] offset0:56 offset1:57
	ds_store_2addr_b64 v214, v[108:109], v[110:111] offset0:58 offset1:59
	ds_store_2addr_b64 v214, v[104:105], v[106:107] offset0:60 offset1:61
	ds_store_2addr_b64 v214, v[100:101], v[102:103] offset0:62 offset1:63
	ds_store_2addr_b64 v214, v[96:97], v[98:99] offset0:64 offset1:65
	ds_store_2addr_b64 v214, v[92:93], v[94:95] offset0:66 offset1:67
	ds_store_2addr_b64 v214, v[88:89], v[90:91] offset0:68 offset1:69
	ds_store_2addr_b64 v214, v[84:85], v[86:87] offset0:70 offset1:71
	ds_store_2addr_b64 v214, v[80:81], v[82:83] offset0:72 offset1:73
	ds_store_2addr_b64 v214, v[76:77], v[78:79] offset0:74 offset1:75
	ds_store_2addr_b64 v214, v[72:73], v[74:75] offset0:76 offset1:77
	ds_store_2addr_b64 v214, v[68:69], v[70:71] offset0:78 offset1:79
	ds_store_2addr_b64 v214, v[64:65], v[66:67] offset0:80 offset1:81
	ds_store_2addr_b64 v214, v[60:61], v[62:63] offset0:82 offset1:83
	ds_store_2addr_b64 v214, v[56:57], v[58:59] offset0:84 offset1:85
	ds_store_2addr_b64 v214, v[52:53], v[54:55] offset0:86 offset1:87
	ds_store_2addr_b64 v214, v[48:49], v[50:51] offset0:88 offset1:89
	ds_store_2addr_b64 v214, v[44:45], v[46:47] offset0:90 offset1:91
	ds_store_2addr_b64 v214, v[40:41], v[42:43] offset0:92 offset1:93
	ds_store_2addr_b64 v214, v[36:37], v[38:39] offset0:94 offset1:95
	ds_store_2addr_b64 v214, v[32:33], v[34:35] offset0:96 offset1:97
	ds_store_2addr_b64 v214, v[28:29], v[30:31] offset0:98 offset1:99
	ds_store_2addr_b64 v214, v[24:25], v[26:27] offset0:100 offset1:101
	ds_store_2addr_b64 v214, v[20:21], v[22:23] offset0:102 offset1:103
	ds_store_2addr_b64 v214, v[16:17], v[18:19] offset0:104 offset1:105
	ds_store_2addr_b64 v214, v[12:13], v[14:15] offset0:106 offset1:107
	ds_store_2addr_b64 v214, v[8:9], v[10:11] offset0:108 offset1:109
	ds_store_2addr_b64 v214, v[4:5], v[6:7] offset0:110 offset1:111
	ds_store_2addr_b64 v214, v[0:1], v[2:3] offset0:112 offset1:113
	ds_load_2addr_b64 v[216:219], v251 offset1:1
	s_waitcnt lgkmcnt(0)
	v_cmp_neq_f64_e32 vcc_lo, 0, v[216:217]
	v_cmp_neq_f64_e64 s3, 0, v[218:219]
	s_delay_alu instid0(VALU_DEP_1) | instskip(NEXT) | instid1(SALU_CYCLE_1)
	s_or_b32 s3, vcc_lo, s3
	s_and_b32 exec_lo, exec_lo, s3
	s_cbranch_execz .LBB113_161
; %bb.156:
	v_cmp_gt_f64_e32 vcc_lo, 0, v[216:217]
	v_xor_b32_e32 v208, 0x80000000, v217
	s_delay_alu instid0(VALU_DEP_1) | instskip(SKIP_3) | instid1(VALU_DEP_1)
	v_cndmask_b32_e32 v213, v217, v208, vcc_lo
	v_cndmask_b32_e32 v212, v216, v216, vcc_lo
	v_cmp_gt_f64_e32 vcc_lo, 0, v[218:219]
	v_xor_b32_e32 v208, 0x80000000, v219
	v_dual_cndmask_b32 v220, v218, v218 :: v_dual_cndmask_b32 v221, v219, v208
	s_delay_alu instid0(VALU_DEP_1) | instskip(SKIP_1) | instid1(SALU_CYCLE_1)
	v_cmp_ngt_f64_e32 vcc_lo, v[212:213], v[220:221]
                                        ; implicit-def: $vgpr212_vgpr213
	s_and_saveexec_b32 s3, vcc_lo
	s_xor_b32 s3, exec_lo, s3
                                        ; implicit-def: $vgpr220_vgpr221_vgpr222_vgpr223
	s_cbranch_execz .LBB113_158
; %bb.157:
	v_div_scale_f64 v[212:213], null, v[218:219], v[218:219], v[216:217]
	v_div_scale_f64 v[224:225], vcc_lo, v[216:217], v[218:219], v[216:217]
	s_delay_alu instid0(VALU_DEP_2) | instskip(SKIP_2) | instid1(VALU_DEP_1)
	v_rcp_f64_e32 v[220:221], v[212:213]
	s_waitcnt_depctr 0xfff
	v_fma_f64 v[222:223], -v[212:213], v[220:221], 1.0
	v_fma_f64 v[220:221], v[220:221], v[222:223], v[220:221]
	s_delay_alu instid0(VALU_DEP_1) | instskip(NEXT) | instid1(VALU_DEP_1)
	v_fma_f64 v[222:223], -v[212:213], v[220:221], 1.0
	v_fma_f64 v[220:221], v[220:221], v[222:223], v[220:221]
	s_delay_alu instid0(VALU_DEP_1) | instskip(NEXT) | instid1(VALU_DEP_1)
	v_mul_f64 v[222:223], v[224:225], v[220:221]
	v_fma_f64 v[212:213], -v[212:213], v[222:223], v[224:225]
	s_delay_alu instid0(VALU_DEP_1) | instskip(NEXT) | instid1(VALU_DEP_1)
	v_div_fmas_f64 v[212:213], v[212:213], v[220:221], v[222:223]
	v_div_fixup_f64 v[212:213], v[212:213], v[218:219], v[216:217]
	s_delay_alu instid0(VALU_DEP_1) | instskip(NEXT) | instid1(VALU_DEP_1)
	v_fma_f64 v[216:217], v[216:217], v[212:213], v[218:219]
	v_div_scale_f64 v[218:219], null, v[216:217], v[216:217], 1.0
	s_delay_alu instid0(VALU_DEP_1) | instskip(SKIP_2) | instid1(VALU_DEP_1)
	v_rcp_f64_e32 v[220:221], v[218:219]
	s_waitcnt_depctr 0xfff
	v_fma_f64 v[222:223], -v[218:219], v[220:221], 1.0
	v_fma_f64 v[220:221], v[220:221], v[222:223], v[220:221]
	s_delay_alu instid0(VALU_DEP_1) | instskip(NEXT) | instid1(VALU_DEP_1)
	v_fma_f64 v[222:223], -v[218:219], v[220:221], 1.0
	v_fma_f64 v[220:221], v[220:221], v[222:223], v[220:221]
	v_div_scale_f64 v[222:223], vcc_lo, 1.0, v[216:217], 1.0
	s_delay_alu instid0(VALU_DEP_1) | instskip(NEXT) | instid1(VALU_DEP_1)
	v_mul_f64 v[224:225], v[222:223], v[220:221]
	v_fma_f64 v[218:219], -v[218:219], v[224:225], v[222:223]
	s_delay_alu instid0(VALU_DEP_1) | instskip(NEXT) | instid1(VALU_DEP_1)
	v_div_fmas_f64 v[218:219], v[218:219], v[220:221], v[224:225]
	v_div_fixup_f64 v[222:223], v[218:219], v[216:217], 1.0
                                        ; implicit-def: $vgpr216_vgpr217
	s_delay_alu instid0(VALU_DEP_1)
	v_mul_f64 v[212:213], v[212:213], v[222:223]
	v_xor_b32_e32 v223, 0x80000000, v223
.LBB113_158:
	s_and_not1_saveexec_b32 s3, s3
	s_cbranch_execz .LBB113_160
; %bb.159:
	v_div_scale_f64 v[212:213], null, v[216:217], v[216:217], v[218:219]
	v_div_scale_f64 v[224:225], vcc_lo, v[218:219], v[216:217], v[218:219]
	s_delay_alu instid0(VALU_DEP_2) | instskip(SKIP_2) | instid1(VALU_DEP_1)
	v_rcp_f64_e32 v[220:221], v[212:213]
	s_waitcnt_depctr 0xfff
	v_fma_f64 v[222:223], -v[212:213], v[220:221], 1.0
	v_fma_f64 v[220:221], v[220:221], v[222:223], v[220:221]
	s_delay_alu instid0(VALU_DEP_1) | instskip(NEXT) | instid1(VALU_DEP_1)
	v_fma_f64 v[222:223], -v[212:213], v[220:221], 1.0
	v_fma_f64 v[220:221], v[220:221], v[222:223], v[220:221]
	s_delay_alu instid0(VALU_DEP_1) | instskip(NEXT) | instid1(VALU_DEP_1)
	v_mul_f64 v[222:223], v[224:225], v[220:221]
	v_fma_f64 v[212:213], -v[212:213], v[222:223], v[224:225]
	s_delay_alu instid0(VALU_DEP_1) | instskip(NEXT) | instid1(VALU_DEP_1)
	v_div_fmas_f64 v[212:213], v[212:213], v[220:221], v[222:223]
	v_div_fixup_f64 v[220:221], v[212:213], v[216:217], v[218:219]
	s_delay_alu instid0(VALU_DEP_1) | instskip(NEXT) | instid1(VALU_DEP_1)
	v_fma_f64 v[212:213], v[218:219], v[220:221], v[216:217]
	v_div_scale_f64 v[216:217], null, v[212:213], v[212:213], 1.0
	s_delay_alu instid0(VALU_DEP_1) | instskip(SKIP_2) | instid1(VALU_DEP_1)
	v_rcp_f64_e32 v[218:219], v[216:217]
	s_waitcnt_depctr 0xfff
	v_fma_f64 v[222:223], -v[216:217], v[218:219], 1.0
	v_fma_f64 v[218:219], v[218:219], v[222:223], v[218:219]
	s_delay_alu instid0(VALU_DEP_1) | instskip(NEXT) | instid1(VALU_DEP_1)
	v_fma_f64 v[222:223], -v[216:217], v[218:219], 1.0
	v_fma_f64 v[218:219], v[218:219], v[222:223], v[218:219]
	v_div_scale_f64 v[222:223], vcc_lo, 1.0, v[212:213], 1.0
	s_delay_alu instid0(VALU_DEP_1) | instskip(NEXT) | instid1(VALU_DEP_1)
	v_mul_f64 v[224:225], v[222:223], v[218:219]
	v_fma_f64 v[216:217], -v[216:217], v[224:225], v[222:223]
	s_delay_alu instid0(VALU_DEP_1) | instskip(NEXT) | instid1(VALU_DEP_1)
	v_div_fmas_f64 v[216:217], v[216:217], v[218:219], v[224:225]
	v_div_fixup_f64 v[212:213], v[216:217], v[212:213], 1.0
	s_delay_alu instid0(VALU_DEP_1)
	v_mul_f64 v[222:223], v[220:221], -v[212:213]
.LBB113_160:
	s_or_b32 exec_lo, exec_lo, s3
	ds_store_2addr_b64 v251, v[212:213], v[222:223] offset1:1
.LBB113_161:
	s_or_b32 exec_lo, exec_lo, s4
	s_waitcnt lgkmcnt(0)
	s_barrier
	buffer_gl0_inv
	ds_load_2addr_b64 v[208:211], v251 offset1:1
	s_mov_b32 s3, exec_lo
	s_waitcnt lgkmcnt(0)
	scratch_store_b128 off, v[208:211], off offset:800 ; 16-byte Folded Spill
	v_cmpx_lt_u32_e32 17, v248
	s_cbranch_execz .LBB113_163
; %bb.162:
	scratch_load_b128 v[208:211], off, off offset:800 ; 16-byte Folded Reload
	ds_load_2addr_b64 v[218:221], v214 offset0:36 offset1:37
	s_waitcnt vmcnt(0)
	v_mul_f64 v[212:213], v[210:211], v[158:159]
	v_mul_f64 v[158:159], v[208:209], v[158:159]
	s_delay_alu instid0(VALU_DEP_2) | instskip(NEXT) | instid1(VALU_DEP_2)
	v_fma_f64 v[216:217], v[208:209], v[156:157], -v[212:213]
	v_fma_f64 v[158:159], v[210:211], v[156:157], v[158:159]
	s_waitcnt lgkmcnt(0)
	s_delay_alu instid0(VALU_DEP_1) | instskip(SKIP_1) | instid1(VALU_DEP_2)
	v_mul_f64 v[156:157], v[220:221], v[158:159]
	v_mul_f64 v[212:213], v[218:219], v[158:159]
	v_fma_f64 v[156:157], v[218:219], v[216:217], -v[156:157]
	s_delay_alu instid0(VALU_DEP_2)
	v_fma_f64 v[212:213], v[220:221], v[216:217], v[212:213]
	ds_load_2addr_b64 v[218:221], v214 offset0:38 offset1:39
	v_add_f64 v[152:153], v[152:153], -v[156:157]
	v_add_f64 v[154:155], v[154:155], -v[212:213]
	s_waitcnt lgkmcnt(0)
	v_mul_f64 v[156:157], v[220:221], v[158:159]
	v_mul_f64 v[212:213], v[218:219], v[158:159]
	s_delay_alu instid0(VALU_DEP_2) | instskip(NEXT) | instid1(VALU_DEP_2)
	v_fma_f64 v[156:157], v[218:219], v[216:217], -v[156:157]
	v_fma_f64 v[212:213], v[220:221], v[216:217], v[212:213]
	ds_load_2addr_b64 v[218:221], v214 offset0:40 offset1:41
	v_add_f64 v[148:149], v[148:149], -v[156:157]
	v_add_f64 v[150:151], v[150:151], -v[212:213]
	s_waitcnt lgkmcnt(0)
	v_mul_f64 v[156:157], v[220:221], v[158:159]
	v_mul_f64 v[212:213], v[218:219], v[158:159]
	s_delay_alu instid0(VALU_DEP_2) | instskip(NEXT) | instid1(VALU_DEP_2)
	v_fma_f64 v[156:157], v[218:219], v[216:217], -v[156:157]
	;; [unrolled: 9-line block ×38, first 2 shown]
	v_fma_f64 v[212:213], v[220:221], v[216:217], v[212:213]
	s_delay_alu instid0(VALU_DEP_2) | instskip(NEXT) | instid1(VALU_DEP_2)
	v_add_f64 v[0:1], v[0:1], -v[156:157]
	v_add_f64 v[2:3], v[2:3], -v[212:213]
	v_dual_mov_b32 v156, v216 :: v_dual_mov_b32 v157, v217
.LBB113_163:
	s_or_b32 exec_lo, exec_lo, s3
	s_delay_alu instid0(SALU_CYCLE_1)
	s_mov_b32 s4, exec_lo
	s_waitcnt_vscnt null, 0x0
	s_barrier
	buffer_gl0_inv
	v_cmpx_eq_u32_e32 18, v248
	s_cbranch_execz .LBB113_170
; %bb.164:
	ds_store_2addr_b64 v251, v[152:153], v[154:155] offset1:1
	ds_store_2addr_b64 v214, v[148:149], v[150:151] offset0:38 offset1:39
	ds_store_2addr_b64 v214, v[144:145], v[146:147] offset0:40 offset1:41
	;; [unrolled: 1-line block ×38, first 2 shown]
	ds_load_2addr_b64 v[216:219], v251 offset1:1
	s_waitcnt lgkmcnt(0)
	v_cmp_neq_f64_e32 vcc_lo, 0, v[216:217]
	v_cmp_neq_f64_e64 s3, 0, v[218:219]
	s_delay_alu instid0(VALU_DEP_1) | instskip(NEXT) | instid1(SALU_CYCLE_1)
	s_or_b32 s3, vcc_lo, s3
	s_and_b32 exec_lo, exec_lo, s3
	s_cbranch_execz .LBB113_170
; %bb.165:
	v_cmp_gt_f64_e32 vcc_lo, 0, v[216:217]
	v_xor_b32_e32 v208, 0x80000000, v217
	s_delay_alu instid0(VALU_DEP_1) | instskip(SKIP_3) | instid1(VALU_DEP_1)
	v_cndmask_b32_e32 v213, v217, v208, vcc_lo
	v_cndmask_b32_e32 v212, v216, v216, vcc_lo
	v_cmp_gt_f64_e32 vcc_lo, 0, v[218:219]
	v_xor_b32_e32 v208, 0x80000000, v219
	v_dual_cndmask_b32 v220, v218, v218 :: v_dual_cndmask_b32 v221, v219, v208
	s_delay_alu instid0(VALU_DEP_1) | instskip(SKIP_1) | instid1(SALU_CYCLE_1)
	v_cmp_ngt_f64_e32 vcc_lo, v[212:213], v[220:221]
                                        ; implicit-def: $vgpr212_vgpr213
	s_and_saveexec_b32 s3, vcc_lo
	s_xor_b32 s3, exec_lo, s3
                                        ; implicit-def: $vgpr220_vgpr221_vgpr222_vgpr223
	s_cbranch_execz .LBB113_167
; %bb.166:
	v_div_scale_f64 v[212:213], null, v[218:219], v[218:219], v[216:217]
	v_div_scale_f64 v[224:225], vcc_lo, v[216:217], v[218:219], v[216:217]
	s_delay_alu instid0(VALU_DEP_2) | instskip(SKIP_2) | instid1(VALU_DEP_1)
	v_rcp_f64_e32 v[220:221], v[212:213]
	s_waitcnt_depctr 0xfff
	v_fma_f64 v[222:223], -v[212:213], v[220:221], 1.0
	v_fma_f64 v[220:221], v[220:221], v[222:223], v[220:221]
	s_delay_alu instid0(VALU_DEP_1) | instskip(NEXT) | instid1(VALU_DEP_1)
	v_fma_f64 v[222:223], -v[212:213], v[220:221], 1.0
	v_fma_f64 v[220:221], v[220:221], v[222:223], v[220:221]
	s_delay_alu instid0(VALU_DEP_1) | instskip(NEXT) | instid1(VALU_DEP_1)
	v_mul_f64 v[222:223], v[224:225], v[220:221]
	v_fma_f64 v[212:213], -v[212:213], v[222:223], v[224:225]
	s_delay_alu instid0(VALU_DEP_1) | instskip(NEXT) | instid1(VALU_DEP_1)
	v_div_fmas_f64 v[212:213], v[212:213], v[220:221], v[222:223]
	v_div_fixup_f64 v[212:213], v[212:213], v[218:219], v[216:217]
	s_delay_alu instid0(VALU_DEP_1) | instskip(NEXT) | instid1(VALU_DEP_1)
	v_fma_f64 v[216:217], v[216:217], v[212:213], v[218:219]
	v_div_scale_f64 v[218:219], null, v[216:217], v[216:217], 1.0
	s_delay_alu instid0(VALU_DEP_1) | instskip(SKIP_2) | instid1(VALU_DEP_1)
	v_rcp_f64_e32 v[220:221], v[218:219]
	s_waitcnt_depctr 0xfff
	v_fma_f64 v[222:223], -v[218:219], v[220:221], 1.0
	v_fma_f64 v[220:221], v[220:221], v[222:223], v[220:221]
	s_delay_alu instid0(VALU_DEP_1) | instskip(NEXT) | instid1(VALU_DEP_1)
	v_fma_f64 v[222:223], -v[218:219], v[220:221], 1.0
	v_fma_f64 v[220:221], v[220:221], v[222:223], v[220:221]
	v_div_scale_f64 v[222:223], vcc_lo, 1.0, v[216:217], 1.0
	s_delay_alu instid0(VALU_DEP_1) | instskip(NEXT) | instid1(VALU_DEP_1)
	v_mul_f64 v[224:225], v[222:223], v[220:221]
	v_fma_f64 v[218:219], -v[218:219], v[224:225], v[222:223]
	s_delay_alu instid0(VALU_DEP_1) | instskip(NEXT) | instid1(VALU_DEP_1)
	v_div_fmas_f64 v[218:219], v[218:219], v[220:221], v[224:225]
	v_div_fixup_f64 v[222:223], v[218:219], v[216:217], 1.0
                                        ; implicit-def: $vgpr216_vgpr217
	s_delay_alu instid0(VALU_DEP_1)
	v_mul_f64 v[212:213], v[212:213], v[222:223]
	v_xor_b32_e32 v223, 0x80000000, v223
.LBB113_167:
	s_and_not1_saveexec_b32 s3, s3
	s_cbranch_execz .LBB113_169
; %bb.168:
	v_div_scale_f64 v[212:213], null, v[216:217], v[216:217], v[218:219]
	v_div_scale_f64 v[224:225], vcc_lo, v[218:219], v[216:217], v[218:219]
	s_delay_alu instid0(VALU_DEP_2) | instskip(SKIP_2) | instid1(VALU_DEP_1)
	v_rcp_f64_e32 v[220:221], v[212:213]
	s_waitcnt_depctr 0xfff
	v_fma_f64 v[222:223], -v[212:213], v[220:221], 1.0
	v_fma_f64 v[220:221], v[220:221], v[222:223], v[220:221]
	s_delay_alu instid0(VALU_DEP_1) | instskip(NEXT) | instid1(VALU_DEP_1)
	v_fma_f64 v[222:223], -v[212:213], v[220:221], 1.0
	v_fma_f64 v[220:221], v[220:221], v[222:223], v[220:221]
	s_delay_alu instid0(VALU_DEP_1) | instskip(NEXT) | instid1(VALU_DEP_1)
	v_mul_f64 v[222:223], v[224:225], v[220:221]
	v_fma_f64 v[212:213], -v[212:213], v[222:223], v[224:225]
	s_delay_alu instid0(VALU_DEP_1) | instskip(NEXT) | instid1(VALU_DEP_1)
	v_div_fmas_f64 v[212:213], v[212:213], v[220:221], v[222:223]
	v_div_fixup_f64 v[220:221], v[212:213], v[216:217], v[218:219]
	s_delay_alu instid0(VALU_DEP_1) | instskip(NEXT) | instid1(VALU_DEP_1)
	v_fma_f64 v[212:213], v[218:219], v[220:221], v[216:217]
	v_div_scale_f64 v[216:217], null, v[212:213], v[212:213], 1.0
	s_delay_alu instid0(VALU_DEP_1) | instskip(SKIP_2) | instid1(VALU_DEP_1)
	v_rcp_f64_e32 v[218:219], v[216:217]
	s_waitcnt_depctr 0xfff
	v_fma_f64 v[222:223], -v[216:217], v[218:219], 1.0
	v_fma_f64 v[218:219], v[218:219], v[222:223], v[218:219]
	s_delay_alu instid0(VALU_DEP_1) | instskip(NEXT) | instid1(VALU_DEP_1)
	v_fma_f64 v[222:223], -v[216:217], v[218:219], 1.0
	v_fma_f64 v[218:219], v[218:219], v[222:223], v[218:219]
	v_div_scale_f64 v[222:223], vcc_lo, 1.0, v[212:213], 1.0
	s_delay_alu instid0(VALU_DEP_1) | instskip(NEXT) | instid1(VALU_DEP_1)
	v_mul_f64 v[224:225], v[222:223], v[218:219]
	v_fma_f64 v[216:217], -v[216:217], v[224:225], v[222:223]
	s_delay_alu instid0(VALU_DEP_1) | instskip(NEXT) | instid1(VALU_DEP_1)
	v_div_fmas_f64 v[216:217], v[216:217], v[218:219], v[224:225]
	v_div_fixup_f64 v[212:213], v[216:217], v[212:213], 1.0
	s_delay_alu instid0(VALU_DEP_1)
	v_mul_f64 v[222:223], v[220:221], -v[212:213]
.LBB113_169:
	s_or_b32 exec_lo, exec_lo, s3
	ds_store_2addr_b64 v251, v[212:213], v[222:223] offset1:1
.LBB113_170:
	s_or_b32 exec_lo, exec_lo, s4
	s_waitcnt lgkmcnt(0)
	s_barrier
	buffer_gl0_inv
	ds_load_2addr_b64 v[208:211], v251 offset1:1
	s_mov_b32 s3, exec_lo
	s_waitcnt lgkmcnt(0)
	scratch_store_b128 off, v[208:211], off offset:816 ; 16-byte Folded Spill
	v_cmpx_lt_u32_e32 18, v248
	s_cbranch_execz .LBB113_172
; %bb.171:
	scratch_load_b128 v[208:211], off, off offset:816 ; 16-byte Folded Reload
	ds_load_2addr_b64 v[218:221], v214 offset0:38 offset1:39
	s_waitcnt vmcnt(0)
	v_mul_f64 v[212:213], v[210:211], v[154:155]
	v_mul_f64 v[154:155], v[208:209], v[154:155]
	s_delay_alu instid0(VALU_DEP_2) | instskip(NEXT) | instid1(VALU_DEP_2)
	v_fma_f64 v[216:217], v[208:209], v[152:153], -v[212:213]
	v_fma_f64 v[154:155], v[210:211], v[152:153], v[154:155]
	s_waitcnt lgkmcnt(0)
	s_delay_alu instid0(VALU_DEP_1) | instskip(SKIP_1) | instid1(VALU_DEP_2)
	v_mul_f64 v[152:153], v[220:221], v[154:155]
	v_mul_f64 v[212:213], v[218:219], v[154:155]
	v_fma_f64 v[152:153], v[218:219], v[216:217], -v[152:153]
	s_delay_alu instid0(VALU_DEP_2)
	v_fma_f64 v[212:213], v[220:221], v[216:217], v[212:213]
	ds_load_2addr_b64 v[218:221], v214 offset0:40 offset1:41
	v_add_f64 v[148:149], v[148:149], -v[152:153]
	v_add_f64 v[150:151], v[150:151], -v[212:213]
	s_waitcnt lgkmcnt(0)
	v_mul_f64 v[152:153], v[220:221], v[154:155]
	v_mul_f64 v[212:213], v[218:219], v[154:155]
	s_delay_alu instid0(VALU_DEP_2) | instskip(NEXT) | instid1(VALU_DEP_2)
	v_fma_f64 v[152:153], v[218:219], v[216:217], -v[152:153]
	v_fma_f64 v[212:213], v[220:221], v[216:217], v[212:213]
	ds_load_2addr_b64 v[218:221], v214 offset0:42 offset1:43
	v_add_f64 v[144:145], v[144:145], -v[152:153]
	v_add_f64 v[146:147], v[146:147], -v[212:213]
	s_waitcnt lgkmcnt(0)
	v_mul_f64 v[152:153], v[220:221], v[154:155]
	v_mul_f64 v[212:213], v[218:219], v[154:155]
	s_delay_alu instid0(VALU_DEP_2) | instskip(NEXT) | instid1(VALU_DEP_2)
	v_fma_f64 v[152:153], v[218:219], v[216:217], -v[152:153]
	;; [unrolled: 9-line block ×37, first 2 shown]
	v_fma_f64 v[212:213], v[220:221], v[216:217], v[212:213]
	s_delay_alu instid0(VALU_DEP_2) | instskip(NEXT) | instid1(VALU_DEP_2)
	v_add_f64 v[0:1], v[0:1], -v[152:153]
	v_add_f64 v[2:3], v[2:3], -v[212:213]
	v_dual_mov_b32 v152, v216 :: v_dual_mov_b32 v153, v217
.LBB113_172:
	s_or_b32 exec_lo, exec_lo, s3
	s_delay_alu instid0(SALU_CYCLE_1)
	s_mov_b32 s4, exec_lo
	s_waitcnt_vscnt null, 0x0
	s_barrier
	buffer_gl0_inv
	v_cmpx_eq_u32_e32 19, v248
	s_cbranch_execz .LBB113_179
; %bb.173:
	ds_store_2addr_b64 v251, v[148:149], v[150:151] offset1:1
	ds_store_2addr_b64 v214, v[144:145], v[146:147] offset0:40 offset1:41
	ds_store_2addr_b64 v214, v[140:141], v[142:143] offset0:42 offset1:43
	;; [unrolled: 1-line block ×37, first 2 shown]
	ds_load_2addr_b64 v[216:219], v251 offset1:1
	s_waitcnt lgkmcnt(0)
	v_cmp_neq_f64_e32 vcc_lo, 0, v[216:217]
	v_cmp_neq_f64_e64 s3, 0, v[218:219]
	s_delay_alu instid0(VALU_DEP_1) | instskip(NEXT) | instid1(SALU_CYCLE_1)
	s_or_b32 s3, vcc_lo, s3
	s_and_b32 exec_lo, exec_lo, s3
	s_cbranch_execz .LBB113_179
; %bb.174:
	v_cmp_gt_f64_e32 vcc_lo, 0, v[216:217]
	v_xor_b32_e32 v208, 0x80000000, v217
	s_delay_alu instid0(VALU_DEP_1) | instskip(SKIP_3) | instid1(VALU_DEP_1)
	v_cndmask_b32_e32 v213, v217, v208, vcc_lo
	v_cndmask_b32_e32 v212, v216, v216, vcc_lo
	v_cmp_gt_f64_e32 vcc_lo, 0, v[218:219]
	v_xor_b32_e32 v208, 0x80000000, v219
	v_dual_cndmask_b32 v220, v218, v218 :: v_dual_cndmask_b32 v221, v219, v208
	s_delay_alu instid0(VALU_DEP_1) | instskip(SKIP_1) | instid1(SALU_CYCLE_1)
	v_cmp_ngt_f64_e32 vcc_lo, v[212:213], v[220:221]
                                        ; implicit-def: $vgpr212_vgpr213
	s_and_saveexec_b32 s3, vcc_lo
	s_xor_b32 s3, exec_lo, s3
                                        ; implicit-def: $vgpr220_vgpr221_vgpr222_vgpr223
	s_cbranch_execz .LBB113_176
; %bb.175:
	v_div_scale_f64 v[212:213], null, v[218:219], v[218:219], v[216:217]
	v_div_scale_f64 v[224:225], vcc_lo, v[216:217], v[218:219], v[216:217]
	s_delay_alu instid0(VALU_DEP_2) | instskip(SKIP_2) | instid1(VALU_DEP_1)
	v_rcp_f64_e32 v[220:221], v[212:213]
	s_waitcnt_depctr 0xfff
	v_fma_f64 v[222:223], -v[212:213], v[220:221], 1.0
	v_fma_f64 v[220:221], v[220:221], v[222:223], v[220:221]
	s_delay_alu instid0(VALU_DEP_1) | instskip(NEXT) | instid1(VALU_DEP_1)
	v_fma_f64 v[222:223], -v[212:213], v[220:221], 1.0
	v_fma_f64 v[220:221], v[220:221], v[222:223], v[220:221]
	s_delay_alu instid0(VALU_DEP_1) | instskip(NEXT) | instid1(VALU_DEP_1)
	v_mul_f64 v[222:223], v[224:225], v[220:221]
	v_fma_f64 v[212:213], -v[212:213], v[222:223], v[224:225]
	s_delay_alu instid0(VALU_DEP_1) | instskip(NEXT) | instid1(VALU_DEP_1)
	v_div_fmas_f64 v[212:213], v[212:213], v[220:221], v[222:223]
	v_div_fixup_f64 v[212:213], v[212:213], v[218:219], v[216:217]
	s_delay_alu instid0(VALU_DEP_1) | instskip(NEXT) | instid1(VALU_DEP_1)
	v_fma_f64 v[216:217], v[216:217], v[212:213], v[218:219]
	v_div_scale_f64 v[218:219], null, v[216:217], v[216:217], 1.0
	s_delay_alu instid0(VALU_DEP_1) | instskip(SKIP_2) | instid1(VALU_DEP_1)
	v_rcp_f64_e32 v[220:221], v[218:219]
	s_waitcnt_depctr 0xfff
	v_fma_f64 v[222:223], -v[218:219], v[220:221], 1.0
	v_fma_f64 v[220:221], v[220:221], v[222:223], v[220:221]
	s_delay_alu instid0(VALU_DEP_1) | instskip(NEXT) | instid1(VALU_DEP_1)
	v_fma_f64 v[222:223], -v[218:219], v[220:221], 1.0
	v_fma_f64 v[220:221], v[220:221], v[222:223], v[220:221]
	v_div_scale_f64 v[222:223], vcc_lo, 1.0, v[216:217], 1.0
	s_delay_alu instid0(VALU_DEP_1) | instskip(NEXT) | instid1(VALU_DEP_1)
	v_mul_f64 v[224:225], v[222:223], v[220:221]
	v_fma_f64 v[218:219], -v[218:219], v[224:225], v[222:223]
	s_delay_alu instid0(VALU_DEP_1) | instskip(NEXT) | instid1(VALU_DEP_1)
	v_div_fmas_f64 v[218:219], v[218:219], v[220:221], v[224:225]
	v_div_fixup_f64 v[222:223], v[218:219], v[216:217], 1.0
                                        ; implicit-def: $vgpr216_vgpr217
	s_delay_alu instid0(VALU_DEP_1)
	v_mul_f64 v[212:213], v[212:213], v[222:223]
	v_xor_b32_e32 v223, 0x80000000, v223
.LBB113_176:
	s_and_not1_saveexec_b32 s3, s3
	s_cbranch_execz .LBB113_178
; %bb.177:
	v_div_scale_f64 v[212:213], null, v[216:217], v[216:217], v[218:219]
	v_div_scale_f64 v[224:225], vcc_lo, v[218:219], v[216:217], v[218:219]
	s_delay_alu instid0(VALU_DEP_2) | instskip(SKIP_2) | instid1(VALU_DEP_1)
	v_rcp_f64_e32 v[220:221], v[212:213]
	s_waitcnt_depctr 0xfff
	v_fma_f64 v[222:223], -v[212:213], v[220:221], 1.0
	v_fma_f64 v[220:221], v[220:221], v[222:223], v[220:221]
	s_delay_alu instid0(VALU_DEP_1) | instskip(NEXT) | instid1(VALU_DEP_1)
	v_fma_f64 v[222:223], -v[212:213], v[220:221], 1.0
	v_fma_f64 v[220:221], v[220:221], v[222:223], v[220:221]
	s_delay_alu instid0(VALU_DEP_1) | instskip(NEXT) | instid1(VALU_DEP_1)
	v_mul_f64 v[222:223], v[224:225], v[220:221]
	v_fma_f64 v[212:213], -v[212:213], v[222:223], v[224:225]
	s_delay_alu instid0(VALU_DEP_1) | instskip(NEXT) | instid1(VALU_DEP_1)
	v_div_fmas_f64 v[212:213], v[212:213], v[220:221], v[222:223]
	v_div_fixup_f64 v[220:221], v[212:213], v[216:217], v[218:219]
	s_delay_alu instid0(VALU_DEP_1) | instskip(NEXT) | instid1(VALU_DEP_1)
	v_fma_f64 v[212:213], v[218:219], v[220:221], v[216:217]
	v_div_scale_f64 v[216:217], null, v[212:213], v[212:213], 1.0
	s_delay_alu instid0(VALU_DEP_1) | instskip(SKIP_2) | instid1(VALU_DEP_1)
	v_rcp_f64_e32 v[218:219], v[216:217]
	s_waitcnt_depctr 0xfff
	v_fma_f64 v[222:223], -v[216:217], v[218:219], 1.0
	v_fma_f64 v[218:219], v[218:219], v[222:223], v[218:219]
	s_delay_alu instid0(VALU_DEP_1) | instskip(NEXT) | instid1(VALU_DEP_1)
	v_fma_f64 v[222:223], -v[216:217], v[218:219], 1.0
	v_fma_f64 v[218:219], v[218:219], v[222:223], v[218:219]
	v_div_scale_f64 v[222:223], vcc_lo, 1.0, v[212:213], 1.0
	s_delay_alu instid0(VALU_DEP_1) | instskip(NEXT) | instid1(VALU_DEP_1)
	v_mul_f64 v[224:225], v[222:223], v[218:219]
	v_fma_f64 v[216:217], -v[216:217], v[224:225], v[222:223]
	s_delay_alu instid0(VALU_DEP_1) | instskip(NEXT) | instid1(VALU_DEP_1)
	v_div_fmas_f64 v[216:217], v[216:217], v[218:219], v[224:225]
	v_div_fixup_f64 v[212:213], v[216:217], v[212:213], 1.0
	s_delay_alu instid0(VALU_DEP_1)
	v_mul_f64 v[222:223], v[220:221], -v[212:213]
.LBB113_178:
	s_or_b32 exec_lo, exec_lo, s3
	ds_store_2addr_b64 v251, v[212:213], v[222:223] offset1:1
.LBB113_179:
	s_or_b32 exec_lo, exec_lo, s4
	s_waitcnt lgkmcnt(0)
	s_barrier
	buffer_gl0_inv
	ds_load_2addr_b64 v[208:211], v251 offset1:1
	s_mov_b32 s3, exec_lo
	s_waitcnt lgkmcnt(0)
	scratch_store_b128 off, v[208:211], off offset:832 ; 16-byte Folded Spill
	v_cmpx_lt_u32_e32 19, v248
	s_cbranch_execz .LBB113_181
; %bb.180:
	scratch_load_b128 v[208:211], off, off offset:832 ; 16-byte Folded Reload
	ds_load_2addr_b64 v[218:221], v214 offset0:40 offset1:41
	s_waitcnt vmcnt(0)
	v_mul_f64 v[212:213], v[210:211], v[150:151]
	v_mul_f64 v[150:151], v[208:209], v[150:151]
	s_delay_alu instid0(VALU_DEP_2) | instskip(NEXT) | instid1(VALU_DEP_2)
	v_fma_f64 v[216:217], v[208:209], v[148:149], -v[212:213]
	v_fma_f64 v[150:151], v[210:211], v[148:149], v[150:151]
	s_waitcnt lgkmcnt(0)
	s_delay_alu instid0(VALU_DEP_1) | instskip(SKIP_1) | instid1(VALU_DEP_2)
	v_mul_f64 v[148:149], v[220:221], v[150:151]
	v_mul_f64 v[212:213], v[218:219], v[150:151]
	v_fma_f64 v[148:149], v[218:219], v[216:217], -v[148:149]
	s_delay_alu instid0(VALU_DEP_2)
	v_fma_f64 v[212:213], v[220:221], v[216:217], v[212:213]
	ds_load_2addr_b64 v[218:221], v214 offset0:42 offset1:43
	v_add_f64 v[144:145], v[144:145], -v[148:149]
	v_add_f64 v[146:147], v[146:147], -v[212:213]
	s_waitcnt lgkmcnt(0)
	v_mul_f64 v[148:149], v[220:221], v[150:151]
	v_mul_f64 v[212:213], v[218:219], v[150:151]
	s_delay_alu instid0(VALU_DEP_2) | instskip(NEXT) | instid1(VALU_DEP_2)
	v_fma_f64 v[148:149], v[218:219], v[216:217], -v[148:149]
	v_fma_f64 v[212:213], v[220:221], v[216:217], v[212:213]
	ds_load_2addr_b64 v[218:221], v214 offset0:44 offset1:45
	v_add_f64 v[140:141], v[140:141], -v[148:149]
	v_add_f64 v[142:143], v[142:143], -v[212:213]
	s_waitcnt lgkmcnt(0)
	v_mul_f64 v[148:149], v[220:221], v[150:151]
	v_mul_f64 v[212:213], v[218:219], v[150:151]
	s_delay_alu instid0(VALU_DEP_2) | instskip(NEXT) | instid1(VALU_DEP_2)
	v_fma_f64 v[148:149], v[218:219], v[216:217], -v[148:149]
	;; [unrolled: 9-line block ×36, first 2 shown]
	v_fma_f64 v[212:213], v[220:221], v[216:217], v[212:213]
	s_delay_alu instid0(VALU_DEP_2) | instskip(NEXT) | instid1(VALU_DEP_2)
	v_add_f64 v[0:1], v[0:1], -v[148:149]
	v_add_f64 v[2:3], v[2:3], -v[212:213]
	v_dual_mov_b32 v148, v216 :: v_dual_mov_b32 v149, v217
.LBB113_181:
	s_or_b32 exec_lo, exec_lo, s3
	s_delay_alu instid0(SALU_CYCLE_1)
	s_mov_b32 s4, exec_lo
	s_waitcnt_vscnt null, 0x0
	s_barrier
	buffer_gl0_inv
	v_cmpx_eq_u32_e32 20, v248
	s_cbranch_execz .LBB113_188
; %bb.182:
	ds_store_2addr_b64 v251, v[144:145], v[146:147] offset1:1
	ds_store_2addr_b64 v214, v[140:141], v[142:143] offset0:42 offset1:43
	ds_store_2addr_b64 v214, v[136:137], v[138:139] offset0:44 offset1:45
	;; [unrolled: 1-line block ×36, first 2 shown]
	ds_load_2addr_b64 v[216:219], v251 offset1:1
	s_waitcnt lgkmcnt(0)
	v_cmp_neq_f64_e32 vcc_lo, 0, v[216:217]
	v_cmp_neq_f64_e64 s3, 0, v[218:219]
	s_delay_alu instid0(VALU_DEP_1) | instskip(NEXT) | instid1(SALU_CYCLE_1)
	s_or_b32 s3, vcc_lo, s3
	s_and_b32 exec_lo, exec_lo, s3
	s_cbranch_execz .LBB113_188
; %bb.183:
	v_cmp_gt_f64_e32 vcc_lo, 0, v[216:217]
	v_xor_b32_e32 v208, 0x80000000, v217
	s_delay_alu instid0(VALU_DEP_1) | instskip(SKIP_3) | instid1(VALU_DEP_1)
	v_cndmask_b32_e32 v213, v217, v208, vcc_lo
	v_cndmask_b32_e32 v212, v216, v216, vcc_lo
	v_cmp_gt_f64_e32 vcc_lo, 0, v[218:219]
	v_xor_b32_e32 v208, 0x80000000, v219
	v_dual_cndmask_b32 v220, v218, v218 :: v_dual_cndmask_b32 v221, v219, v208
	s_delay_alu instid0(VALU_DEP_1) | instskip(SKIP_1) | instid1(SALU_CYCLE_1)
	v_cmp_ngt_f64_e32 vcc_lo, v[212:213], v[220:221]
                                        ; implicit-def: $vgpr212_vgpr213
	s_and_saveexec_b32 s3, vcc_lo
	s_xor_b32 s3, exec_lo, s3
                                        ; implicit-def: $vgpr220_vgpr221_vgpr222_vgpr223
	s_cbranch_execz .LBB113_185
; %bb.184:
	v_div_scale_f64 v[212:213], null, v[218:219], v[218:219], v[216:217]
	v_div_scale_f64 v[224:225], vcc_lo, v[216:217], v[218:219], v[216:217]
	s_delay_alu instid0(VALU_DEP_2) | instskip(SKIP_2) | instid1(VALU_DEP_1)
	v_rcp_f64_e32 v[220:221], v[212:213]
	s_waitcnt_depctr 0xfff
	v_fma_f64 v[222:223], -v[212:213], v[220:221], 1.0
	v_fma_f64 v[220:221], v[220:221], v[222:223], v[220:221]
	s_delay_alu instid0(VALU_DEP_1) | instskip(NEXT) | instid1(VALU_DEP_1)
	v_fma_f64 v[222:223], -v[212:213], v[220:221], 1.0
	v_fma_f64 v[220:221], v[220:221], v[222:223], v[220:221]
	s_delay_alu instid0(VALU_DEP_1) | instskip(NEXT) | instid1(VALU_DEP_1)
	v_mul_f64 v[222:223], v[224:225], v[220:221]
	v_fma_f64 v[212:213], -v[212:213], v[222:223], v[224:225]
	s_delay_alu instid0(VALU_DEP_1) | instskip(NEXT) | instid1(VALU_DEP_1)
	v_div_fmas_f64 v[212:213], v[212:213], v[220:221], v[222:223]
	v_div_fixup_f64 v[212:213], v[212:213], v[218:219], v[216:217]
	s_delay_alu instid0(VALU_DEP_1) | instskip(NEXT) | instid1(VALU_DEP_1)
	v_fma_f64 v[216:217], v[216:217], v[212:213], v[218:219]
	v_div_scale_f64 v[218:219], null, v[216:217], v[216:217], 1.0
	s_delay_alu instid0(VALU_DEP_1) | instskip(SKIP_2) | instid1(VALU_DEP_1)
	v_rcp_f64_e32 v[220:221], v[218:219]
	s_waitcnt_depctr 0xfff
	v_fma_f64 v[222:223], -v[218:219], v[220:221], 1.0
	v_fma_f64 v[220:221], v[220:221], v[222:223], v[220:221]
	s_delay_alu instid0(VALU_DEP_1) | instskip(NEXT) | instid1(VALU_DEP_1)
	v_fma_f64 v[222:223], -v[218:219], v[220:221], 1.0
	v_fma_f64 v[220:221], v[220:221], v[222:223], v[220:221]
	v_div_scale_f64 v[222:223], vcc_lo, 1.0, v[216:217], 1.0
	s_delay_alu instid0(VALU_DEP_1) | instskip(NEXT) | instid1(VALU_DEP_1)
	v_mul_f64 v[224:225], v[222:223], v[220:221]
	v_fma_f64 v[218:219], -v[218:219], v[224:225], v[222:223]
	s_delay_alu instid0(VALU_DEP_1) | instskip(NEXT) | instid1(VALU_DEP_1)
	v_div_fmas_f64 v[218:219], v[218:219], v[220:221], v[224:225]
	v_div_fixup_f64 v[222:223], v[218:219], v[216:217], 1.0
                                        ; implicit-def: $vgpr216_vgpr217
	s_delay_alu instid0(VALU_DEP_1)
	v_mul_f64 v[212:213], v[212:213], v[222:223]
	v_xor_b32_e32 v223, 0x80000000, v223
.LBB113_185:
	s_and_not1_saveexec_b32 s3, s3
	s_cbranch_execz .LBB113_187
; %bb.186:
	v_div_scale_f64 v[212:213], null, v[216:217], v[216:217], v[218:219]
	v_div_scale_f64 v[224:225], vcc_lo, v[218:219], v[216:217], v[218:219]
	s_delay_alu instid0(VALU_DEP_2) | instskip(SKIP_2) | instid1(VALU_DEP_1)
	v_rcp_f64_e32 v[220:221], v[212:213]
	s_waitcnt_depctr 0xfff
	v_fma_f64 v[222:223], -v[212:213], v[220:221], 1.0
	v_fma_f64 v[220:221], v[220:221], v[222:223], v[220:221]
	s_delay_alu instid0(VALU_DEP_1) | instskip(NEXT) | instid1(VALU_DEP_1)
	v_fma_f64 v[222:223], -v[212:213], v[220:221], 1.0
	v_fma_f64 v[220:221], v[220:221], v[222:223], v[220:221]
	s_delay_alu instid0(VALU_DEP_1) | instskip(NEXT) | instid1(VALU_DEP_1)
	v_mul_f64 v[222:223], v[224:225], v[220:221]
	v_fma_f64 v[212:213], -v[212:213], v[222:223], v[224:225]
	s_delay_alu instid0(VALU_DEP_1) | instskip(NEXT) | instid1(VALU_DEP_1)
	v_div_fmas_f64 v[212:213], v[212:213], v[220:221], v[222:223]
	v_div_fixup_f64 v[220:221], v[212:213], v[216:217], v[218:219]
	s_delay_alu instid0(VALU_DEP_1) | instskip(NEXT) | instid1(VALU_DEP_1)
	v_fma_f64 v[212:213], v[218:219], v[220:221], v[216:217]
	v_div_scale_f64 v[216:217], null, v[212:213], v[212:213], 1.0
	s_delay_alu instid0(VALU_DEP_1) | instskip(SKIP_2) | instid1(VALU_DEP_1)
	v_rcp_f64_e32 v[218:219], v[216:217]
	s_waitcnt_depctr 0xfff
	v_fma_f64 v[222:223], -v[216:217], v[218:219], 1.0
	v_fma_f64 v[218:219], v[218:219], v[222:223], v[218:219]
	s_delay_alu instid0(VALU_DEP_1) | instskip(NEXT) | instid1(VALU_DEP_1)
	v_fma_f64 v[222:223], -v[216:217], v[218:219], 1.0
	v_fma_f64 v[218:219], v[218:219], v[222:223], v[218:219]
	v_div_scale_f64 v[222:223], vcc_lo, 1.0, v[212:213], 1.0
	s_delay_alu instid0(VALU_DEP_1) | instskip(NEXT) | instid1(VALU_DEP_1)
	v_mul_f64 v[224:225], v[222:223], v[218:219]
	v_fma_f64 v[216:217], -v[216:217], v[224:225], v[222:223]
	s_delay_alu instid0(VALU_DEP_1) | instskip(NEXT) | instid1(VALU_DEP_1)
	v_div_fmas_f64 v[216:217], v[216:217], v[218:219], v[224:225]
	v_div_fixup_f64 v[212:213], v[216:217], v[212:213], 1.0
	s_delay_alu instid0(VALU_DEP_1)
	v_mul_f64 v[222:223], v[220:221], -v[212:213]
.LBB113_187:
	s_or_b32 exec_lo, exec_lo, s3
	ds_store_2addr_b64 v251, v[212:213], v[222:223] offset1:1
.LBB113_188:
	s_or_b32 exec_lo, exec_lo, s4
	s_waitcnt lgkmcnt(0)
	s_barrier
	buffer_gl0_inv
	ds_load_2addr_b64 v[208:211], v251 offset1:1
	s_mov_b32 s3, exec_lo
	s_waitcnt lgkmcnt(0)
	scratch_store_b128 off, v[208:211], off offset:848 ; 16-byte Folded Spill
	v_cmpx_lt_u32_e32 20, v248
	s_cbranch_execz .LBB113_190
; %bb.189:
	scratch_load_b128 v[208:211], off, off offset:848 ; 16-byte Folded Reload
	ds_load_2addr_b64 v[218:221], v214 offset0:42 offset1:43
	s_waitcnt vmcnt(0)
	v_mul_f64 v[212:213], v[210:211], v[146:147]
	v_mul_f64 v[146:147], v[208:209], v[146:147]
	s_delay_alu instid0(VALU_DEP_2) | instskip(NEXT) | instid1(VALU_DEP_2)
	v_fma_f64 v[216:217], v[208:209], v[144:145], -v[212:213]
	v_fma_f64 v[146:147], v[210:211], v[144:145], v[146:147]
	s_waitcnt lgkmcnt(0)
	s_delay_alu instid0(VALU_DEP_1) | instskip(SKIP_1) | instid1(VALU_DEP_2)
	v_mul_f64 v[144:145], v[220:221], v[146:147]
	v_mul_f64 v[212:213], v[218:219], v[146:147]
	v_fma_f64 v[144:145], v[218:219], v[216:217], -v[144:145]
	s_delay_alu instid0(VALU_DEP_2)
	v_fma_f64 v[212:213], v[220:221], v[216:217], v[212:213]
	ds_load_2addr_b64 v[218:221], v214 offset0:44 offset1:45
	v_add_f64 v[140:141], v[140:141], -v[144:145]
	v_add_f64 v[142:143], v[142:143], -v[212:213]
	s_waitcnt lgkmcnt(0)
	v_mul_f64 v[144:145], v[220:221], v[146:147]
	v_mul_f64 v[212:213], v[218:219], v[146:147]
	s_delay_alu instid0(VALU_DEP_2) | instskip(NEXT) | instid1(VALU_DEP_2)
	v_fma_f64 v[144:145], v[218:219], v[216:217], -v[144:145]
	v_fma_f64 v[212:213], v[220:221], v[216:217], v[212:213]
	ds_load_2addr_b64 v[218:221], v214 offset0:46 offset1:47
	v_add_f64 v[136:137], v[136:137], -v[144:145]
	v_add_f64 v[138:139], v[138:139], -v[212:213]
	s_waitcnt lgkmcnt(0)
	v_mul_f64 v[144:145], v[220:221], v[146:147]
	v_mul_f64 v[212:213], v[218:219], v[146:147]
	s_delay_alu instid0(VALU_DEP_2) | instskip(NEXT) | instid1(VALU_DEP_2)
	v_fma_f64 v[144:145], v[218:219], v[216:217], -v[144:145]
	;; [unrolled: 9-line block ×35, first 2 shown]
	v_fma_f64 v[212:213], v[220:221], v[216:217], v[212:213]
	s_delay_alu instid0(VALU_DEP_2) | instskip(NEXT) | instid1(VALU_DEP_2)
	v_add_f64 v[0:1], v[0:1], -v[144:145]
	v_add_f64 v[2:3], v[2:3], -v[212:213]
	v_dual_mov_b32 v144, v216 :: v_dual_mov_b32 v145, v217
.LBB113_190:
	s_or_b32 exec_lo, exec_lo, s3
	s_delay_alu instid0(SALU_CYCLE_1)
	s_mov_b32 s4, exec_lo
	s_waitcnt_vscnt null, 0x0
	s_barrier
	buffer_gl0_inv
	v_cmpx_eq_u32_e32 21, v248
	s_cbranch_execz .LBB113_197
; %bb.191:
	ds_store_2addr_b64 v251, v[140:141], v[142:143] offset1:1
	ds_store_2addr_b64 v214, v[136:137], v[138:139] offset0:44 offset1:45
	ds_store_2addr_b64 v214, v[132:133], v[134:135] offset0:46 offset1:47
	;; [unrolled: 1-line block ×35, first 2 shown]
	ds_load_2addr_b64 v[216:219], v251 offset1:1
	s_waitcnt lgkmcnt(0)
	v_cmp_neq_f64_e32 vcc_lo, 0, v[216:217]
	v_cmp_neq_f64_e64 s3, 0, v[218:219]
	s_delay_alu instid0(VALU_DEP_1) | instskip(NEXT) | instid1(SALU_CYCLE_1)
	s_or_b32 s3, vcc_lo, s3
	s_and_b32 exec_lo, exec_lo, s3
	s_cbranch_execz .LBB113_197
; %bb.192:
	v_cmp_gt_f64_e32 vcc_lo, 0, v[216:217]
	v_xor_b32_e32 v208, 0x80000000, v217
	s_delay_alu instid0(VALU_DEP_1) | instskip(SKIP_3) | instid1(VALU_DEP_1)
	v_cndmask_b32_e32 v213, v217, v208, vcc_lo
	v_cndmask_b32_e32 v212, v216, v216, vcc_lo
	v_cmp_gt_f64_e32 vcc_lo, 0, v[218:219]
	v_xor_b32_e32 v208, 0x80000000, v219
	v_dual_cndmask_b32 v220, v218, v218 :: v_dual_cndmask_b32 v221, v219, v208
	s_delay_alu instid0(VALU_DEP_1) | instskip(SKIP_1) | instid1(SALU_CYCLE_1)
	v_cmp_ngt_f64_e32 vcc_lo, v[212:213], v[220:221]
                                        ; implicit-def: $vgpr212_vgpr213
	s_and_saveexec_b32 s3, vcc_lo
	s_xor_b32 s3, exec_lo, s3
                                        ; implicit-def: $vgpr220_vgpr221_vgpr222_vgpr223
	s_cbranch_execz .LBB113_194
; %bb.193:
	v_div_scale_f64 v[212:213], null, v[218:219], v[218:219], v[216:217]
	v_div_scale_f64 v[224:225], vcc_lo, v[216:217], v[218:219], v[216:217]
	s_delay_alu instid0(VALU_DEP_2) | instskip(SKIP_2) | instid1(VALU_DEP_1)
	v_rcp_f64_e32 v[220:221], v[212:213]
	s_waitcnt_depctr 0xfff
	v_fma_f64 v[222:223], -v[212:213], v[220:221], 1.0
	v_fma_f64 v[220:221], v[220:221], v[222:223], v[220:221]
	s_delay_alu instid0(VALU_DEP_1) | instskip(NEXT) | instid1(VALU_DEP_1)
	v_fma_f64 v[222:223], -v[212:213], v[220:221], 1.0
	v_fma_f64 v[220:221], v[220:221], v[222:223], v[220:221]
	s_delay_alu instid0(VALU_DEP_1) | instskip(NEXT) | instid1(VALU_DEP_1)
	v_mul_f64 v[222:223], v[224:225], v[220:221]
	v_fma_f64 v[212:213], -v[212:213], v[222:223], v[224:225]
	s_delay_alu instid0(VALU_DEP_1) | instskip(NEXT) | instid1(VALU_DEP_1)
	v_div_fmas_f64 v[212:213], v[212:213], v[220:221], v[222:223]
	v_div_fixup_f64 v[212:213], v[212:213], v[218:219], v[216:217]
	s_delay_alu instid0(VALU_DEP_1) | instskip(NEXT) | instid1(VALU_DEP_1)
	v_fma_f64 v[216:217], v[216:217], v[212:213], v[218:219]
	v_div_scale_f64 v[218:219], null, v[216:217], v[216:217], 1.0
	s_delay_alu instid0(VALU_DEP_1) | instskip(SKIP_2) | instid1(VALU_DEP_1)
	v_rcp_f64_e32 v[220:221], v[218:219]
	s_waitcnt_depctr 0xfff
	v_fma_f64 v[222:223], -v[218:219], v[220:221], 1.0
	v_fma_f64 v[220:221], v[220:221], v[222:223], v[220:221]
	s_delay_alu instid0(VALU_DEP_1) | instskip(NEXT) | instid1(VALU_DEP_1)
	v_fma_f64 v[222:223], -v[218:219], v[220:221], 1.0
	v_fma_f64 v[220:221], v[220:221], v[222:223], v[220:221]
	v_div_scale_f64 v[222:223], vcc_lo, 1.0, v[216:217], 1.0
	s_delay_alu instid0(VALU_DEP_1) | instskip(NEXT) | instid1(VALU_DEP_1)
	v_mul_f64 v[224:225], v[222:223], v[220:221]
	v_fma_f64 v[218:219], -v[218:219], v[224:225], v[222:223]
	s_delay_alu instid0(VALU_DEP_1) | instskip(NEXT) | instid1(VALU_DEP_1)
	v_div_fmas_f64 v[218:219], v[218:219], v[220:221], v[224:225]
	v_div_fixup_f64 v[222:223], v[218:219], v[216:217], 1.0
                                        ; implicit-def: $vgpr216_vgpr217
	s_delay_alu instid0(VALU_DEP_1)
	v_mul_f64 v[212:213], v[212:213], v[222:223]
	v_xor_b32_e32 v223, 0x80000000, v223
.LBB113_194:
	s_and_not1_saveexec_b32 s3, s3
	s_cbranch_execz .LBB113_196
; %bb.195:
	v_div_scale_f64 v[212:213], null, v[216:217], v[216:217], v[218:219]
	v_div_scale_f64 v[224:225], vcc_lo, v[218:219], v[216:217], v[218:219]
	s_delay_alu instid0(VALU_DEP_2) | instskip(SKIP_2) | instid1(VALU_DEP_1)
	v_rcp_f64_e32 v[220:221], v[212:213]
	s_waitcnt_depctr 0xfff
	v_fma_f64 v[222:223], -v[212:213], v[220:221], 1.0
	v_fma_f64 v[220:221], v[220:221], v[222:223], v[220:221]
	s_delay_alu instid0(VALU_DEP_1) | instskip(NEXT) | instid1(VALU_DEP_1)
	v_fma_f64 v[222:223], -v[212:213], v[220:221], 1.0
	v_fma_f64 v[220:221], v[220:221], v[222:223], v[220:221]
	s_delay_alu instid0(VALU_DEP_1) | instskip(NEXT) | instid1(VALU_DEP_1)
	v_mul_f64 v[222:223], v[224:225], v[220:221]
	v_fma_f64 v[212:213], -v[212:213], v[222:223], v[224:225]
	s_delay_alu instid0(VALU_DEP_1) | instskip(NEXT) | instid1(VALU_DEP_1)
	v_div_fmas_f64 v[212:213], v[212:213], v[220:221], v[222:223]
	v_div_fixup_f64 v[220:221], v[212:213], v[216:217], v[218:219]
	s_delay_alu instid0(VALU_DEP_1) | instskip(NEXT) | instid1(VALU_DEP_1)
	v_fma_f64 v[212:213], v[218:219], v[220:221], v[216:217]
	v_div_scale_f64 v[216:217], null, v[212:213], v[212:213], 1.0
	s_delay_alu instid0(VALU_DEP_1) | instskip(SKIP_2) | instid1(VALU_DEP_1)
	v_rcp_f64_e32 v[218:219], v[216:217]
	s_waitcnt_depctr 0xfff
	v_fma_f64 v[222:223], -v[216:217], v[218:219], 1.0
	v_fma_f64 v[218:219], v[218:219], v[222:223], v[218:219]
	s_delay_alu instid0(VALU_DEP_1) | instskip(NEXT) | instid1(VALU_DEP_1)
	v_fma_f64 v[222:223], -v[216:217], v[218:219], 1.0
	v_fma_f64 v[218:219], v[218:219], v[222:223], v[218:219]
	v_div_scale_f64 v[222:223], vcc_lo, 1.0, v[212:213], 1.0
	s_delay_alu instid0(VALU_DEP_1) | instskip(NEXT) | instid1(VALU_DEP_1)
	v_mul_f64 v[224:225], v[222:223], v[218:219]
	v_fma_f64 v[216:217], -v[216:217], v[224:225], v[222:223]
	s_delay_alu instid0(VALU_DEP_1) | instskip(NEXT) | instid1(VALU_DEP_1)
	v_div_fmas_f64 v[216:217], v[216:217], v[218:219], v[224:225]
	v_div_fixup_f64 v[212:213], v[216:217], v[212:213], 1.0
	s_delay_alu instid0(VALU_DEP_1)
	v_mul_f64 v[222:223], v[220:221], -v[212:213]
.LBB113_196:
	s_or_b32 exec_lo, exec_lo, s3
	ds_store_2addr_b64 v251, v[212:213], v[222:223] offset1:1
.LBB113_197:
	s_or_b32 exec_lo, exec_lo, s4
	s_waitcnt lgkmcnt(0)
	s_barrier
	buffer_gl0_inv
	ds_load_2addr_b64 v[208:211], v251 offset1:1
	s_mov_b32 s3, exec_lo
	s_waitcnt lgkmcnt(0)
	scratch_store_b128 off, v[208:211], off offset:864 ; 16-byte Folded Spill
	v_cmpx_lt_u32_e32 21, v248
	s_cbranch_execz .LBB113_199
; %bb.198:
	scratch_load_b128 v[208:211], off, off offset:864 ; 16-byte Folded Reload
	ds_load_2addr_b64 v[218:221], v214 offset0:44 offset1:45
	s_waitcnt vmcnt(0)
	v_mul_f64 v[212:213], v[210:211], v[142:143]
	v_mul_f64 v[142:143], v[208:209], v[142:143]
	s_delay_alu instid0(VALU_DEP_2) | instskip(NEXT) | instid1(VALU_DEP_2)
	v_fma_f64 v[216:217], v[208:209], v[140:141], -v[212:213]
	v_fma_f64 v[142:143], v[210:211], v[140:141], v[142:143]
	s_waitcnt lgkmcnt(0)
	s_delay_alu instid0(VALU_DEP_1) | instskip(SKIP_1) | instid1(VALU_DEP_2)
	v_mul_f64 v[140:141], v[220:221], v[142:143]
	v_mul_f64 v[212:213], v[218:219], v[142:143]
	v_fma_f64 v[140:141], v[218:219], v[216:217], -v[140:141]
	s_delay_alu instid0(VALU_DEP_2)
	v_fma_f64 v[212:213], v[220:221], v[216:217], v[212:213]
	ds_load_2addr_b64 v[218:221], v214 offset0:46 offset1:47
	v_add_f64 v[136:137], v[136:137], -v[140:141]
	v_add_f64 v[138:139], v[138:139], -v[212:213]
	s_waitcnt lgkmcnt(0)
	v_mul_f64 v[140:141], v[220:221], v[142:143]
	v_mul_f64 v[212:213], v[218:219], v[142:143]
	s_delay_alu instid0(VALU_DEP_2) | instskip(NEXT) | instid1(VALU_DEP_2)
	v_fma_f64 v[140:141], v[218:219], v[216:217], -v[140:141]
	v_fma_f64 v[212:213], v[220:221], v[216:217], v[212:213]
	ds_load_2addr_b64 v[218:221], v214 offset0:48 offset1:49
	v_add_f64 v[132:133], v[132:133], -v[140:141]
	v_add_f64 v[134:135], v[134:135], -v[212:213]
	s_waitcnt lgkmcnt(0)
	v_mul_f64 v[140:141], v[220:221], v[142:143]
	v_mul_f64 v[212:213], v[218:219], v[142:143]
	s_delay_alu instid0(VALU_DEP_2) | instskip(NEXT) | instid1(VALU_DEP_2)
	v_fma_f64 v[140:141], v[218:219], v[216:217], -v[140:141]
	;; [unrolled: 9-line block ×34, first 2 shown]
	v_fma_f64 v[212:213], v[220:221], v[216:217], v[212:213]
	s_delay_alu instid0(VALU_DEP_2) | instskip(NEXT) | instid1(VALU_DEP_2)
	v_add_f64 v[0:1], v[0:1], -v[140:141]
	v_add_f64 v[2:3], v[2:3], -v[212:213]
	v_dual_mov_b32 v140, v216 :: v_dual_mov_b32 v141, v217
.LBB113_199:
	s_or_b32 exec_lo, exec_lo, s3
	s_delay_alu instid0(SALU_CYCLE_1)
	s_mov_b32 s4, exec_lo
	s_waitcnt_vscnt null, 0x0
	s_barrier
	buffer_gl0_inv
	v_cmpx_eq_u32_e32 22, v248
	s_cbranch_execz .LBB113_206
; %bb.200:
	ds_store_2addr_b64 v251, v[136:137], v[138:139] offset1:1
	ds_store_2addr_b64 v214, v[132:133], v[134:135] offset0:46 offset1:47
	ds_store_2addr_b64 v214, v[128:129], v[130:131] offset0:48 offset1:49
	;; [unrolled: 1-line block ×34, first 2 shown]
	ds_load_2addr_b64 v[216:219], v251 offset1:1
	s_waitcnt lgkmcnt(0)
	v_cmp_neq_f64_e32 vcc_lo, 0, v[216:217]
	v_cmp_neq_f64_e64 s3, 0, v[218:219]
	s_delay_alu instid0(VALU_DEP_1) | instskip(NEXT) | instid1(SALU_CYCLE_1)
	s_or_b32 s3, vcc_lo, s3
	s_and_b32 exec_lo, exec_lo, s3
	s_cbranch_execz .LBB113_206
; %bb.201:
	v_cmp_gt_f64_e32 vcc_lo, 0, v[216:217]
	v_xor_b32_e32 v208, 0x80000000, v217
	s_delay_alu instid0(VALU_DEP_1) | instskip(SKIP_3) | instid1(VALU_DEP_1)
	v_cndmask_b32_e32 v213, v217, v208, vcc_lo
	v_cndmask_b32_e32 v212, v216, v216, vcc_lo
	v_cmp_gt_f64_e32 vcc_lo, 0, v[218:219]
	v_xor_b32_e32 v208, 0x80000000, v219
	v_dual_cndmask_b32 v220, v218, v218 :: v_dual_cndmask_b32 v221, v219, v208
	s_delay_alu instid0(VALU_DEP_1) | instskip(SKIP_1) | instid1(SALU_CYCLE_1)
	v_cmp_ngt_f64_e32 vcc_lo, v[212:213], v[220:221]
                                        ; implicit-def: $vgpr212_vgpr213
	s_and_saveexec_b32 s3, vcc_lo
	s_xor_b32 s3, exec_lo, s3
                                        ; implicit-def: $vgpr220_vgpr221_vgpr222_vgpr223
	s_cbranch_execz .LBB113_203
; %bb.202:
	v_div_scale_f64 v[212:213], null, v[218:219], v[218:219], v[216:217]
	v_div_scale_f64 v[224:225], vcc_lo, v[216:217], v[218:219], v[216:217]
	s_delay_alu instid0(VALU_DEP_2) | instskip(SKIP_2) | instid1(VALU_DEP_1)
	v_rcp_f64_e32 v[220:221], v[212:213]
	s_waitcnt_depctr 0xfff
	v_fma_f64 v[222:223], -v[212:213], v[220:221], 1.0
	v_fma_f64 v[220:221], v[220:221], v[222:223], v[220:221]
	s_delay_alu instid0(VALU_DEP_1) | instskip(NEXT) | instid1(VALU_DEP_1)
	v_fma_f64 v[222:223], -v[212:213], v[220:221], 1.0
	v_fma_f64 v[220:221], v[220:221], v[222:223], v[220:221]
	s_delay_alu instid0(VALU_DEP_1) | instskip(NEXT) | instid1(VALU_DEP_1)
	v_mul_f64 v[222:223], v[224:225], v[220:221]
	v_fma_f64 v[212:213], -v[212:213], v[222:223], v[224:225]
	s_delay_alu instid0(VALU_DEP_1) | instskip(NEXT) | instid1(VALU_DEP_1)
	v_div_fmas_f64 v[212:213], v[212:213], v[220:221], v[222:223]
	v_div_fixup_f64 v[212:213], v[212:213], v[218:219], v[216:217]
	s_delay_alu instid0(VALU_DEP_1) | instskip(NEXT) | instid1(VALU_DEP_1)
	v_fma_f64 v[216:217], v[216:217], v[212:213], v[218:219]
	v_div_scale_f64 v[218:219], null, v[216:217], v[216:217], 1.0
	s_delay_alu instid0(VALU_DEP_1) | instskip(SKIP_2) | instid1(VALU_DEP_1)
	v_rcp_f64_e32 v[220:221], v[218:219]
	s_waitcnt_depctr 0xfff
	v_fma_f64 v[222:223], -v[218:219], v[220:221], 1.0
	v_fma_f64 v[220:221], v[220:221], v[222:223], v[220:221]
	s_delay_alu instid0(VALU_DEP_1) | instskip(NEXT) | instid1(VALU_DEP_1)
	v_fma_f64 v[222:223], -v[218:219], v[220:221], 1.0
	v_fma_f64 v[220:221], v[220:221], v[222:223], v[220:221]
	v_div_scale_f64 v[222:223], vcc_lo, 1.0, v[216:217], 1.0
	s_delay_alu instid0(VALU_DEP_1) | instskip(NEXT) | instid1(VALU_DEP_1)
	v_mul_f64 v[224:225], v[222:223], v[220:221]
	v_fma_f64 v[218:219], -v[218:219], v[224:225], v[222:223]
	s_delay_alu instid0(VALU_DEP_1) | instskip(NEXT) | instid1(VALU_DEP_1)
	v_div_fmas_f64 v[218:219], v[218:219], v[220:221], v[224:225]
	v_div_fixup_f64 v[222:223], v[218:219], v[216:217], 1.0
                                        ; implicit-def: $vgpr216_vgpr217
	s_delay_alu instid0(VALU_DEP_1)
	v_mul_f64 v[212:213], v[212:213], v[222:223]
	v_xor_b32_e32 v223, 0x80000000, v223
.LBB113_203:
	s_and_not1_saveexec_b32 s3, s3
	s_cbranch_execz .LBB113_205
; %bb.204:
	v_div_scale_f64 v[212:213], null, v[216:217], v[216:217], v[218:219]
	v_div_scale_f64 v[224:225], vcc_lo, v[218:219], v[216:217], v[218:219]
	s_delay_alu instid0(VALU_DEP_2) | instskip(SKIP_2) | instid1(VALU_DEP_1)
	v_rcp_f64_e32 v[220:221], v[212:213]
	s_waitcnt_depctr 0xfff
	v_fma_f64 v[222:223], -v[212:213], v[220:221], 1.0
	v_fma_f64 v[220:221], v[220:221], v[222:223], v[220:221]
	s_delay_alu instid0(VALU_DEP_1) | instskip(NEXT) | instid1(VALU_DEP_1)
	v_fma_f64 v[222:223], -v[212:213], v[220:221], 1.0
	v_fma_f64 v[220:221], v[220:221], v[222:223], v[220:221]
	s_delay_alu instid0(VALU_DEP_1) | instskip(NEXT) | instid1(VALU_DEP_1)
	v_mul_f64 v[222:223], v[224:225], v[220:221]
	v_fma_f64 v[212:213], -v[212:213], v[222:223], v[224:225]
	s_delay_alu instid0(VALU_DEP_1) | instskip(NEXT) | instid1(VALU_DEP_1)
	v_div_fmas_f64 v[212:213], v[212:213], v[220:221], v[222:223]
	v_div_fixup_f64 v[220:221], v[212:213], v[216:217], v[218:219]
	s_delay_alu instid0(VALU_DEP_1) | instskip(NEXT) | instid1(VALU_DEP_1)
	v_fma_f64 v[212:213], v[218:219], v[220:221], v[216:217]
	v_div_scale_f64 v[216:217], null, v[212:213], v[212:213], 1.0
	s_delay_alu instid0(VALU_DEP_1) | instskip(SKIP_2) | instid1(VALU_DEP_1)
	v_rcp_f64_e32 v[218:219], v[216:217]
	s_waitcnt_depctr 0xfff
	v_fma_f64 v[222:223], -v[216:217], v[218:219], 1.0
	v_fma_f64 v[218:219], v[218:219], v[222:223], v[218:219]
	s_delay_alu instid0(VALU_DEP_1) | instskip(NEXT) | instid1(VALU_DEP_1)
	v_fma_f64 v[222:223], -v[216:217], v[218:219], 1.0
	v_fma_f64 v[218:219], v[218:219], v[222:223], v[218:219]
	v_div_scale_f64 v[222:223], vcc_lo, 1.0, v[212:213], 1.0
	s_delay_alu instid0(VALU_DEP_1) | instskip(NEXT) | instid1(VALU_DEP_1)
	v_mul_f64 v[224:225], v[222:223], v[218:219]
	v_fma_f64 v[216:217], -v[216:217], v[224:225], v[222:223]
	s_delay_alu instid0(VALU_DEP_1) | instskip(NEXT) | instid1(VALU_DEP_1)
	v_div_fmas_f64 v[216:217], v[216:217], v[218:219], v[224:225]
	v_div_fixup_f64 v[212:213], v[216:217], v[212:213], 1.0
	s_delay_alu instid0(VALU_DEP_1)
	v_mul_f64 v[222:223], v[220:221], -v[212:213]
.LBB113_205:
	s_or_b32 exec_lo, exec_lo, s3
	ds_store_2addr_b64 v251, v[212:213], v[222:223] offset1:1
.LBB113_206:
	s_or_b32 exec_lo, exec_lo, s4
	s_waitcnt lgkmcnt(0)
	s_barrier
	buffer_gl0_inv
	ds_load_2addr_b64 v[208:211], v251 offset1:1
	s_mov_b32 s3, exec_lo
	s_waitcnt lgkmcnt(0)
	scratch_store_b128 off, v[208:211], off offset:880 ; 16-byte Folded Spill
	v_cmpx_lt_u32_e32 22, v248
	s_cbranch_execz .LBB113_208
; %bb.207:
	scratch_load_b128 v[208:211], off, off offset:880 ; 16-byte Folded Reload
	ds_load_2addr_b64 v[218:221], v214 offset0:46 offset1:47
	s_waitcnt vmcnt(0)
	v_mul_f64 v[212:213], v[210:211], v[138:139]
	v_mul_f64 v[138:139], v[208:209], v[138:139]
	s_delay_alu instid0(VALU_DEP_2) | instskip(NEXT) | instid1(VALU_DEP_2)
	v_fma_f64 v[216:217], v[208:209], v[136:137], -v[212:213]
	v_fma_f64 v[138:139], v[210:211], v[136:137], v[138:139]
	s_waitcnt lgkmcnt(0)
	s_delay_alu instid0(VALU_DEP_1) | instskip(SKIP_1) | instid1(VALU_DEP_2)
	v_mul_f64 v[136:137], v[220:221], v[138:139]
	v_mul_f64 v[212:213], v[218:219], v[138:139]
	v_fma_f64 v[136:137], v[218:219], v[216:217], -v[136:137]
	s_delay_alu instid0(VALU_DEP_2)
	v_fma_f64 v[212:213], v[220:221], v[216:217], v[212:213]
	ds_load_2addr_b64 v[218:221], v214 offset0:48 offset1:49
	v_add_f64 v[132:133], v[132:133], -v[136:137]
	v_add_f64 v[134:135], v[134:135], -v[212:213]
	s_waitcnt lgkmcnt(0)
	v_mul_f64 v[136:137], v[220:221], v[138:139]
	v_mul_f64 v[212:213], v[218:219], v[138:139]
	s_delay_alu instid0(VALU_DEP_2) | instskip(NEXT) | instid1(VALU_DEP_2)
	v_fma_f64 v[136:137], v[218:219], v[216:217], -v[136:137]
	v_fma_f64 v[212:213], v[220:221], v[216:217], v[212:213]
	ds_load_2addr_b64 v[218:221], v214 offset0:50 offset1:51
	v_add_f64 v[128:129], v[128:129], -v[136:137]
	v_add_f64 v[130:131], v[130:131], -v[212:213]
	s_waitcnt lgkmcnt(0)
	v_mul_f64 v[136:137], v[220:221], v[138:139]
	v_mul_f64 v[212:213], v[218:219], v[138:139]
	s_delay_alu instid0(VALU_DEP_2) | instskip(NEXT) | instid1(VALU_DEP_2)
	v_fma_f64 v[136:137], v[218:219], v[216:217], -v[136:137]
	;; [unrolled: 9-line block ×33, first 2 shown]
	v_fma_f64 v[212:213], v[220:221], v[216:217], v[212:213]
	s_delay_alu instid0(VALU_DEP_2) | instskip(NEXT) | instid1(VALU_DEP_2)
	v_add_f64 v[0:1], v[0:1], -v[136:137]
	v_add_f64 v[2:3], v[2:3], -v[212:213]
	v_dual_mov_b32 v136, v216 :: v_dual_mov_b32 v137, v217
.LBB113_208:
	s_or_b32 exec_lo, exec_lo, s3
	s_delay_alu instid0(SALU_CYCLE_1)
	s_mov_b32 s4, exec_lo
	s_waitcnt_vscnt null, 0x0
	s_barrier
	buffer_gl0_inv
	v_cmpx_eq_u32_e32 23, v248
	s_cbranch_execz .LBB113_215
; %bb.209:
	ds_store_2addr_b64 v251, v[132:133], v[134:135] offset1:1
	ds_store_2addr_b64 v214, v[128:129], v[130:131] offset0:48 offset1:49
	ds_store_2addr_b64 v214, v[124:125], v[126:127] offset0:50 offset1:51
	;; [unrolled: 1-line block ×33, first 2 shown]
	ds_load_2addr_b64 v[216:219], v251 offset1:1
	s_waitcnt lgkmcnt(0)
	v_cmp_neq_f64_e32 vcc_lo, 0, v[216:217]
	v_cmp_neq_f64_e64 s3, 0, v[218:219]
	s_delay_alu instid0(VALU_DEP_1) | instskip(NEXT) | instid1(SALU_CYCLE_1)
	s_or_b32 s3, vcc_lo, s3
	s_and_b32 exec_lo, exec_lo, s3
	s_cbranch_execz .LBB113_215
; %bb.210:
	v_cmp_gt_f64_e32 vcc_lo, 0, v[216:217]
	v_xor_b32_e32 v208, 0x80000000, v217
	s_delay_alu instid0(VALU_DEP_1) | instskip(SKIP_3) | instid1(VALU_DEP_1)
	v_cndmask_b32_e32 v213, v217, v208, vcc_lo
	v_cndmask_b32_e32 v212, v216, v216, vcc_lo
	v_cmp_gt_f64_e32 vcc_lo, 0, v[218:219]
	v_xor_b32_e32 v208, 0x80000000, v219
	v_dual_cndmask_b32 v220, v218, v218 :: v_dual_cndmask_b32 v221, v219, v208
	s_delay_alu instid0(VALU_DEP_1) | instskip(SKIP_1) | instid1(SALU_CYCLE_1)
	v_cmp_ngt_f64_e32 vcc_lo, v[212:213], v[220:221]
                                        ; implicit-def: $vgpr212_vgpr213
	s_and_saveexec_b32 s3, vcc_lo
	s_xor_b32 s3, exec_lo, s3
                                        ; implicit-def: $vgpr220_vgpr221_vgpr222_vgpr223
	s_cbranch_execz .LBB113_212
; %bb.211:
	v_div_scale_f64 v[212:213], null, v[218:219], v[218:219], v[216:217]
	v_div_scale_f64 v[224:225], vcc_lo, v[216:217], v[218:219], v[216:217]
	s_delay_alu instid0(VALU_DEP_2) | instskip(SKIP_2) | instid1(VALU_DEP_1)
	v_rcp_f64_e32 v[220:221], v[212:213]
	s_waitcnt_depctr 0xfff
	v_fma_f64 v[222:223], -v[212:213], v[220:221], 1.0
	v_fma_f64 v[220:221], v[220:221], v[222:223], v[220:221]
	s_delay_alu instid0(VALU_DEP_1) | instskip(NEXT) | instid1(VALU_DEP_1)
	v_fma_f64 v[222:223], -v[212:213], v[220:221], 1.0
	v_fma_f64 v[220:221], v[220:221], v[222:223], v[220:221]
	s_delay_alu instid0(VALU_DEP_1) | instskip(NEXT) | instid1(VALU_DEP_1)
	v_mul_f64 v[222:223], v[224:225], v[220:221]
	v_fma_f64 v[212:213], -v[212:213], v[222:223], v[224:225]
	s_delay_alu instid0(VALU_DEP_1) | instskip(NEXT) | instid1(VALU_DEP_1)
	v_div_fmas_f64 v[212:213], v[212:213], v[220:221], v[222:223]
	v_div_fixup_f64 v[212:213], v[212:213], v[218:219], v[216:217]
	s_delay_alu instid0(VALU_DEP_1) | instskip(NEXT) | instid1(VALU_DEP_1)
	v_fma_f64 v[216:217], v[216:217], v[212:213], v[218:219]
	v_div_scale_f64 v[218:219], null, v[216:217], v[216:217], 1.0
	s_delay_alu instid0(VALU_DEP_1) | instskip(SKIP_2) | instid1(VALU_DEP_1)
	v_rcp_f64_e32 v[220:221], v[218:219]
	s_waitcnt_depctr 0xfff
	v_fma_f64 v[222:223], -v[218:219], v[220:221], 1.0
	v_fma_f64 v[220:221], v[220:221], v[222:223], v[220:221]
	s_delay_alu instid0(VALU_DEP_1) | instskip(NEXT) | instid1(VALU_DEP_1)
	v_fma_f64 v[222:223], -v[218:219], v[220:221], 1.0
	v_fma_f64 v[220:221], v[220:221], v[222:223], v[220:221]
	v_div_scale_f64 v[222:223], vcc_lo, 1.0, v[216:217], 1.0
	s_delay_alu instid0(VALU_DEP_1) | instskip(NEXT) | instid1(VALU_DEP_1)
	v_mul_f64 v[224:225], v[222:223], v[220:221]
	v_fma_f64 v[218:219], -v[218:219], v[224:225], v[222:223]
	s_delay_alu instid0(VALU_DEP_1) | instskip(NEXT) | instid1(VALU_DEP_1)
	v_div_fmas_f64 v[218:219], v[218:219], v[220:221], v[224:225]
	v_div_fixup_f64 v[222:223], v[218:219], v[216:217], 1.0
                                        ; implicit-def: $vgpr216_vgpr217
	s_delay_alu instid0(VALU_DEP_1)
	v_mul_f64 v[212:213], v[212:213], v[222:223]
	v_xor_b32_e32 v223, 0x80000000, v223
.LBB113_212:
	s_and_not1_saveexec_b32 s3, s3
	s_cbranch_execz .LBB113_214
; %bb.213:
	v_div_scale_f64 v[212:213], null, v[216:217], v[216:217], v[218:219]
	v_div_scale_f64 v[224:225], vcc_lo, v[218:219], v[216:217], v[218:219]
	s_delay_alu instid0(VALU_DEP_2) | instskip(SKIP_2) | instid1(VALU_DEP_1)
	v_rcp_f64_e32 v[220:221], v[212:213]
	s_waitcnt_depctr 0xfff
	v_fma_f64 v[222:223], -v[212:213], v[220:221], 1.0
	v_fma_f64 v[220:221], v[220:221], v[222:223], v[220:221]
	s_delay_alu instid0(VALU_DEP_1) | instskip(NEXT) | instid1(VALU_DEP_1)
	v_fma_f64 v[222:223], -v[212:213], v[220:221], 1.0
	v_fma_f64 v[220:221], v[220:221], v[222:223], v[220:221]
	s_delay_alu instid0(VALU_DEP_1) | instskip(NEXT) | instid1(VALU_DEP_1)
	v_mul_f64 v[222:223], v[224:225], v[220:221]
	v_fma_f64 v[212:213], -v[212:213], v[222:223], v[224:225]
	s_delay_alu instid0(VALU_DEP_1) | instskip(NEXT) | instid1(VALU_DEP_1)
	v_div_fmas_f64 v[212:213], v[212:213], v[220:221], v[222:223]
	v_div_fixup_f64 v[220:221], v[212:213], v[216:217], v[218:219]
	s_delay_alu instid0(VALU_DEP_1) | instskip(NEXT) | instid1(VALU_DEP_1)
	v_fma_f64 v[212:213], v[218:219], v[220:221], v[216:217]
	v_div_scale_f64 v[216:217], null, v[212:213], v[212:213], 1.0
	s_delay_alu instid0(VALU_DEP_1) | instskip(SKIP_2) | instid1(VALU_DEP_1)
	v_rcp_f64_e32 v[218:219], v[216:217]
	s_waitcnt_depctr 0xfff
	v_fma_f64 v[222:223], -v[216:217], v[218:219], 1.0
	v_fma_f64 v[218:219], v[218:219], v[222:223], v[218:219]
	s_delay_alu instid0(VALU_DEP_1) | instskip(NEXT) | instid1(VALU_DEP_1)
	v_fma_f64 v[222:223], -v[216:217], v[218:219], 1.0
	v_fma_f64 v[218:219], v[218:219], v[222:223], v[218:219]
	v_div_scale_f64 v[222:223], vcc_lo, 1.0, v[212:213], 1.0
	s_delay_alu instid0(VALU_DEP_1) | instskip(NEXT) | instid1(VALU_DEP_1)
	v_mul_f64 v[224:225], v[222:223], v[218:219]
	v_fma_f64 v[216:217], -v[216:217], v[224:225], v[222:223]
	s_delay_alu instid0(VALU_DEP_1) | instskip(NEXT) | instid1(VALU_DEP_1)
	v_div_fmas_f64 v[216:217], v[216:217], v[218:219], v[224:225]
	v_div_fixup_f64 v[212:213], v[216:217], v[212:213], 1.0
	s_delay_alu instid0(VALU_DEP_1)
	v_mul_f64 v[222:223], v[220:221], -v[212:213]
.LBB113_214:
	s_or_b32 exec_lo, exec_lo, s3
	ds_store_2addr_b64 v251, v[212:213], v[222:223] offset1:1
.LBB113_215:
	s_or_b32 exec_lo, exec_lo, s4
	s_waitcnt lgkmcnt(0)
	s_barrier
	buffer_gl0_inv
	ds_load_2addr_b64 v[208:211], v251 offset1:1
	s_mov_b32 s3, exec_lo
	s_waitcnt lgkmcnt(0)
	scratch_store_b128 off, v[208:211], off offset:896 ; 16-byte Folded Spill
	v_cmpx_lt_u32_e32 23, v248
	s_cbranch_execz .LBB113_217
; %bb.216:
	scratch_load_b128 v[208:211], off, off offset:896 ; 16-byte Folded Reload
	ds_load_2addr_b64 v[218:221], v214 offset0:48 offset1:49
	s_waitcnt vmcnt(0)
	v_mul_f64 v[212:213], v[210:211], v[134:135]
	v_mul_f64 v[134:135], v[208:209], v[134:135]
	s_delay_alu instid0(VALU_DEP_2) | instskip(NEXT) | instid1(VALU_DEP_2)
	v_fma_f64 v[216:217], v[208:209], v[132:133], -v[212:213]
	v_fma_f64 v[134:135], v[210:211], v[132:133], v[134:135]
	s_waitcnt lgkmcnt(0)
	s_delay_alu instid0(VALU_DEP_1) | instskip(SKIP_1) | instid1(VALU_DEP_2)
	v_mul_f64 v[132:133], v[220:221], v[134:135]
	v_mul_f64 v[212:213], v[218:219], v[134:135]
	v_fma_f64 v[132:133], v[218:219], v[216:217], -v[132:133]
	s_delay_alu instid0(VALU_DEP_2)
	v_fma_f64 v[212:213], v[220:221], v[216:217], v[212:213]
	ds_load_2addr_b64 v[218:221], v214 offset0:50 offset1:51
	v_add_f64 v[128:129], v[128:129], -v[132:133]
	v_add_f64 v[130:131], v[130:131], -v[212:213]
	s_waitcnt lgkmcnt(0)
	v_mul_f64 v[132:133], v[220:221], v[134:135]
	v_mul_f64 v[212:213], v[218:219], v[134:135]
	s_delay_alu instid0(VALU_DEP_2) | instskip(NEXT) | instid1(VALU_DEP_2)
	v_fma_f64 v[132:133], v[218:219], v[216:217], -v[132:133]
	v_fma_f64 v[212:213], v[220:221], v[216:217], v[212:213]
	ds_load_2addr_b64 v[218:221], v214 offset0:52 offset1:53
	v_add_f64 v[124:125], v[124:125], -v[132:133]
	v_add_f64 v[126:127], v[126:127], -v[212:213]
	s_waitcnt lgkmcnt(0)
	v_mul_f64 v[132:133], v[220:221], v[134:135]
	v_mul_f64 v[212:213], v[218:219], v[134:135]
	s_delay_alu instid0(VALU_DEP_2) | instskip(NEXT) | instid1(VALU_DEP_2)
	v_fma_f64 v[132:133], v[218:219], v[216:217], -v[132:133]
	;; [unrolled: 9-line block ×32, first 2 shown]
	v_fma_f64 v[212:213], v[220:221], v[216:217], v[212:213]
	s_delay_alu instid0(VALU_DEP_2) | instskip(NEXT) | instid1(VALU_DEP_2)
	v_add_f64 v[0:1], v[0:1], -v[132:133]
	v_add_f64 v[2:3], v[2:3], -v[212:213]
	v_dual_mov_b32 v132, v216 :: v_dual_mov_b32 v133, v217
.LBB113_217:
	s_or_b32 exec_lo, exec_lo, s3
	s_delay_alu instid0(SALU_CYCLE_1)
	s_mov_b32 s4, exec_lo
	s_waitcnt_vscnt null, 0x0
	s_barrier
	buffer_gl0_inv
	v_cmpx_eq_u32_e32 24, v248
	s_cbranch_execz .LBB113_224
; %bb.218:
	ds_store_2addr_b64 v251, v[128:129], v[130:131] offset1:1
	ds_store_2addr_b64 v214, v[124:125], v[126:127] offset0:50 offset1:51
	ds_store_2addr_b64 v214, v[120:121], v[122:123] offset0:52 offset1:53
	;; [unrolled: 1-line block ×32, first 2 shown]
	ds_load_2addr_b64 v[216:219], v251 offset1:1
	s_waitcnt lgkmcnt(0)
	v_cmp_neq_f64_e32 vcc_lo, 0, v[216:217]
	v_cmp_neq_f64_e64 s3, 0, v[218:219]
	s_delay_alu instid0(VALU_DEP_1) | instskip(NEXT) | instid1(SALU_CYCLE_1)
	s_or_b32 s3, vcc_lo, s3
	s_and_b32 exec_lo, exec_lo, s3
	s_cbranch_execz .LBB113_224
; %bb.219:
	v_cmp_gt_f64_e32 vcc_lo, 0, v[216:217]
	v_xor_b32_e32 v208, 0x80000000, v217
	s_delay_alu instid0(VALU_DEP_1) | instskip(SKIP_3) | instid1(VALU_DEP_1)
	v_cndmask_b32_e32 v213, v217, v208, vcc_lo
	v_cndmask_b32_e32 v212, v216, v216, vcc_lo
	v_cmp_gt_f64_e32 vcc_lo, 0, v[218:219]
	v_xor_b32_e32 v208, 0x80000000, v219
	v_dual_cndmask_b32 v220, v218, v218 :: v_dual_cndmask_b32 v221, v219, v208
	s_delay_alu instid0(VALU_DEP_1) | instskip(SKIP_1) | instid1(SALU_CYCLE_1)
	v_cmp_ngt_f64_e32 vcc_lo, v[212:213], v[220:221]
                                        ; implicit-def: $vgpr212_vgpr213
	s_and_saveexec_b32 s3, vcc_lo
	s_xor_b32 s3, exec_lo, s3
                                        ; implicit-def: $vgpr220_vgpr221_vgpr222_vgpr223
	s_cbranch_execz .LBB113_221
; %bb.220:
	v_div_scale_f64 v[212:213], null, v[218:219], v[218:219], v[216:217]
	v_div_scale_f64 v[224:225], vcc_lo, v[216:217], v[218:219], v[216:217]
	s_delay_alu instid0(VALU_DEP_2) | instskip(SKIP_2) | instid1(VALU_DEP_1)
	v_rcp_f64_e32 v[220:221], v[212:213]
	s_waitcnt_depctr 0xfff
	v_fma_f64 v[222:223], -v[212:213], v[220:221], 1.0
	v_fma_f64 v[220:221], v[220:221], v[222:223], v[220:221]
	s_delay_alu instid0(VALU_DEP_1) | instskip(NEXT) | instid1(VALU_DEP_1)
	v_fma_f64 v[222:223], -v[212:213], v[220:221], 1.0
	v_fma_f64 v[220:221], v[220:221], v[222:223], v[220:221]
	s_delay_alu instid0(VALU_DEP_1) | instskip(NEXT) | instid1(VALU_DEP_1)
	v_mul_f64 v[222:223], v[224:225], v[220:221]
	v_fma_f64 v[212:213], -v[212:213], v[222:223], v[224:225]
	s_delay_alu instid0(VALU_DEP_1) | instskip(NEXT) | instid1(VALU_DEP_1)
	v_div_fmas_f64 v[212:213], v[212:213], v[220:221], v[222:223]
	v_div_fixup_f64 v[212:213], v[212:213], v[218:219], v[216:217]
	s_delay_alu instid0(VALU_DEP_1) | instskip(NEXT) | instid1(VALU_DEP_1)
	v_fma_f64 v[216:217], v[216:217], v[212:213], v[218:219]
	v_div_scale_f64 v[218:219], null, v[216:217], v[216:217], 1.0
	s_delay_alu instid0(VALU_DEP_1) | instskip(SKIP_2) | instid1(VALU_DEP_1)
	v_rcp_f64_e32 v[220:221], v[218:219]
	s_waitcnt_depctr 0xfff
	v_fma_f64 v[222:223], -v[218:219], v[220:221], 1.0
	v_fma_f64 v[220:221], v[220:221], v[222:223], v[220:221]
	s_delay_alu instid0(VALU_DEP_1) | instskip(NEXT) | instid1(VALU_DEP_1)
	v_fma_f64 v[222:223], -v[218:219], v[220:221], 1.0
	v_fma_f64 v[220:221], v[220:221], v[222:223], v[220:221]
	v_div_scale_f64 v[222:223], vcc_lo, 1.0, v[216:217], 1.0
	s_delay_alu instid0(VALU_DEP_1) | instskip(NEXT) | instid1(VALU_DEP_1)
	v_mul_f64 v[224:225], v[222:223], v[220:221]
	v_fma_f64 v[218:219], -v[218:219], v[224:225], v[222:223]
	s_delay_alu instid0(VALU_DEP_1) | instskip(NEXT) | instid1(VALU_DEP_1)
	v_div_fmas_f64 v[218:219], v[218:219], v[220:221], v[224:225]
	v_div_fixup_f64 v[222:223], v[218:219], v[216:217], 1.0
                                        ; implicit-def: $vgpr216_vgpr217
	s_delay_alu instid0(VALU_DEP_1)
	v_mul_f64 v[212:213], v[212:213], v[222:223]
	v_xor_b32_e32 v223, 0x80000000, v223
.LBB113_221:
	s_and_not1_saveexec_b32 s3, s3
	s_cbranch_execz .LBB113_223
; %bb.222:
	v_div_scale_f64 v[212:213], null, v[216:217], v[216:217], v[218:219]
	v_div_scale_f64 v[224:225], vcc_lo, v[218:219], v[216:217], v[218:219]
	s_delay_alu instid0(VALU_DEP_2) | instskip(SKIP_2) | instid1(VALU_DEP_1)
	v_rcp_f64_e32 v[220:221], v[212:213]
	s_waitcnt_depctr 0xfff
	v_fma_f64 v[222:223], -v[212:213], v[220:221], 1.0
	v_fma_f64 v[220:221], v[220:221], v[222:223], v[220:221]
	s_delay_alu instid0(VALU_DEP_1) | instskip(NEXT) | instid1(VALU_DEP_1)
	v_fma_f64 v[222:223], -v[212:213], v[220:221], 1.0
	v_fma_f64 v[220:221], v[220:221], v[222:223], v[220:221]
	s_delay_alu instid0(VALU_DEP_1) | instskip(NEXT) | instid1(VALU_DEP_1)
	v_mul_f64 v[222:223], v[224:225], v[220:221]
	v_fma_f64 v[212:213], -v[212:213], v[222:223], v[224:225]
	s_delay_alu instid0(VALU_DEP_1) | instskip(NEXT) | instid1(VALU_DEP_1)
	v_div_fmas_f64 v[212:213], v[212:213], v[220:221], v[222:223]
	v_div_fixup_f64 v[220:221], v[212:213], v[216:217], v[218:219]
	s_delay_alu instid0(VALU_DEP_1) | instskip(NEXT) | instid1(VALU_DEP_1)
	v_fma_f64 v[212:213], v[218:219], v[220:221], v[216:217]
	v_div_scale_f64 v[216:217], null, v[212:213], v[212:213], 1.0
	s_delay_alu instid0(VALU_DEP_1) | instskip(SKIP_2) | instid1(VALU_DEP_1)
	v_rcp_f64_e32 v[218:219], v[216:217]
	s_waitcnt_depctr 0xfff
	v_fma_f64 v[222:223], -v[216:217], v[218:219], 1.0
	v_fma_f64 v[218:219], v[218:219], v[222:223], v[218:219]
	s_delay_alu instid0(VALU_DEP_1) | instskip(NEXT) | instid1(VALU_DEP_1)
	v_fma_f64 v[222:223], -v[216:217], v[218:219], 1.0
	v_fma_f64 v[218:219], v[218:219], v[222:223], v[218:219]
	v_div_scale_f64 v[222:223], vcc_lo, 1.0, v[212:213], 1.0
	s_delay_alu instid0(VALU_DEP_1) | instskip(NEXT) | instid1(VALU_DEP_1)
	v_mul_f64 v[224:225], v[222:223], v[218:219]
	v_fma_f64 v[216:217], -v[216:217], v[224:225], v[222:223]
	s_delay_alu instid0(VALU_DEP_1) | instskip(NEXT) | instid1(VALU_DEP_1)
	v_div_fmas_f64 v[216:217], v[216:217], v[218:219], v[224:225]
	v_div_fixup_f64 v[212:213], v[216:217], v[212:213], 1.0
	s_delay_alu instid0(VALU_DEP_1)
	v_mul_f64 v[222:223], v[220:221], -v[212:213]
.LBB113_223:
	s_or_b32 exec_lo, exec_lo, s3
	ds_store_2addr_b64 v251, v[212:213], v[222:223] offset1:1
.LBB113_224:
	s_or_b32 exec_lo, exec_lo, s4
	s_waitcnt lgkmcnt(0)
	s_barrier
	buffer_gl0_inv
	ds_load_2addr_b64 v[208:211], v251 offset1:1
	s_mov_b32 s3, exec_lo
	s_waitcnt lgkmcnt(0)
	scratch_store_b128 off, v[208:211], off offset:912 ; 16-byte Folded Spill
	v_cmpx_lt_u32_e32 24, v248
	s_cbranch_execz .LBB113_226
; %bb.225:
	scratch_load_b128 v[208:211], off, off offset:912 ; 16-byte Folded Reload
	ds_load_2addr_b64 v[218:221], v214 offset0:50 offset1:51
	s_waitcnt vmcnt(0)
	v_mul_f64 v[212:213], v[210:211], v[130:131]
	v_mul_f64 v[130:131], v[208:209], v[130:131]
	s_delay_alu instid0(VALU_DEP_2) | instskip(NEXT) | instid1(VALU_DEP_2)
	v_fma_f64 v[216:217], v[208:209], v[128:129], -v[212:213]
	v_fma_f64 v[130:131], v[210:211], v[128:129], v[130:131]
	s_waitcnt lgkmcnt(0)
	s_delay_alu instid0(VALU_DEP_1) | instskip(SKIP_1) | instid1(VALU_DEP_2)
	v_mul_f64 v[128:129], v[220:221], v[130:131]
	v_mul_f64 v[212:213], v[218:219], v[130:131]
	v_fma_f64 v[128:129], v[218:219], v[216:217], -v[128:129]
	s_delay_alu instid0(VALU_DEP_2)
	v_fma_f64 v[212:213], v[220:221], v[216:217], v[212:213]
	ds_load_2addr_b64 v[218:221], v214 offset0:52 offset1:53
	v_add_f64 v[124:125], v[124:125], -v[128:129]
	v_add_f64 v[126:127], v[126:127], -v[212:213]
	s_waitcnt lgkmcnt(0)
	v_mul_f64 v[128:129], v[220:221], v[130:131]
	v_mul_f64 v[212:213], v[218:219], v[130:131]
	s_delay_alu instid0(VALU_DEP_2) | instskip(NEXT) | instid1(VALU_DEP_2)
	v_fma_f64 v[128:129], v[218:219], v[216:217], -v[128:129]
	v_fma_f64 v[212:213], v[220:221], v[216:217], v[212:213]
	ds_load_2addr_b64 v[218:221], v214 offset0:54 offset1:55
	v_add_f64 v[120:121], v[120:121], -v[128:129]
	v_add_f64 v[122:123], v[122:123], -v[212:213]
	s_waitcnt lgkmcnt(0)
	v_mul_f64 v[128:129], v[220:221], v[130:131]
	v_mul_f64 v[212:213], v[218:219], v[130:131]
	s_delay_alu instid0(VALU_DEP_2) | instskip(NEXT) | instid1(VALU_DEP_2)
	v_fma_f64 v[128:129], v[218:219], v[216:217], -v[128:129]
	v_fma_f64 v[212:213], v[220:221], v[216:217], v[212:213]
	ds_load_2addr_b64 v[218:221], v214 offset0:56 offset1:57
	v_add_f64 v[116:117], v[116:117], -v[128:129]
	v_add_f64 v[118:119], v[118:119], -v[212:213]
	s_waitcnt lgkmcnt(0)
	v_mul_f64 v[128:129], v[220:221], v[130:131]
	v_mul_f64 v[212:213], v[218:219], v[130:131]
	s_delay_alu instid0(VALU_DEP_2) | instskip(NEXT) | instid1(VALU_DEP_2)
	v_fma_f64 v[128:129], v[218:219], v[216:217], -v[128:129]
	v_fma_f64 v[212:213], v[220:221], v[216:217], v[212:213]
	ds_load_2addr_b64 v[218:221], v214 offset0:58 offset1:59
	v_add_f64 v[112:113], v[112:113], -v[128:129]
	v_add_f64 v[114:115], v[114:115], -v[212:213]
	s_waitcnt lgkmcnt(0)
	v_mul_f64 v[128:129], v[220:221], v[130:131]
	v_mul_f64 v[212:213], v[218:219], v[130:131]
	s_delay_alu instid0(VALU_DEP_2) | instskip(NEXT) | instid1(VALU_DEP_2)
	v_fma_f64 v[128:129], v[218:219], v[216:217], -v[128:129]
	v_fma_f64 v[212:213], v[220:221], v[216:217], v[212:213]
	ds_load_2addr_b64 v[218:221], v214 offset0:60 offset1:61
	v_add_f64 v[108:109], v[108:109], -v[128:129]
	v_add_f64 v[110:111], v[110:111], -v[212:213]
	s_waitcnt lgkmcnt(0)
	v_mul_f64 v[128:129], v[220:221], v[130:131]
	v_mul_f64 v[212:213], v[218:219], v[130:131]
	s_delay_alu instid0(VALU_DEP_2) | instskip(NEXT) | instid1(VALU_DEP_2)
	v_fma_f64 v[128:129], v[218:219], v[216:217], -v[128:129]
	v_fma_f64 v[212:213], v[220:221], v[216:217], v[212:213]
	ds_load_2addr_b64 v[218:221], v214 offset0:62 offset1:63
	v_add_f64 v[104:105], v[104:105], -v[128:129]
	v_add_f64 v[106:107], v[106:107], -v[212:213]
	s_waitcnt lgkmcnt(0)
	v_mul_f64 v[128:129], v[220:221], v[130:131]
	v_mul_f64 v[212:213], v[218:219], v[130:131]
	s_delay_alu instid0(VALU_DEP_2) | instskip(NEXT) | instid1(VALU_DEP_2)
	v_fma_f64 v[128:129], v[218:219], v[216:217], -v[128:129]
	v_fma_f64 v[212:213], v[220:221], v[216:217], v[212:213]
	ds_load_2addr_b64 v[218:221], v214 offset0:64 offset1:65
	v_add_f64 v[100:101], v[100:101], -v[128:129]
	v_add_f64 v[102:103], v[102:103], -v[212:213]
	s_waitcnt lgkmcnt(0)
	v_mul_f64 v[128:129], v[220:221], v[130:131]
	v_mul_f64 v[212:213], v[218:219], v[130:131]
	s_delay_alu instid0(VALU_DEP_2) | instskip(NEXT) | instid1(VALU_DEP_2)
	v_fma_f64 v[128:129], v[218:219], v[216:217], -v[128:129]
	v_fma_f64 v[212:213], v[220:221], v[216:217], v[212:213]
	ds_load_2addr_b64 v[218:221], v214 offset0:66 offset1:67
	v_add_f64 v[96:97], v[96:97], -v[128:129]
	v_add_f64 v[98:99], v[98:99], -v[212:213]
	s_waitcnt lgkmcnt(0)
	v_mul_f64 v[128:129], v[220:221], v[130:131]
	v_mul_f64 v[212:213], v[218:219], v[130:131]
	s_delay_alu instid0(VALU_DEP_2) | instskip(NEXT) | instid1(VALU_DEP_2)
	v_fma_f64 v[128:129], v[218:219], v[216:217], -v[128:129]
	v_fma_f64 v[212:213], v[220:221], v[216:217], v[212:213]
	ds_load_2addr_b64 v[218:221], v214 offset0:68 offset1:69
	v_add_f64 v[92:93], v[92:93], -v[128:129]
	v_add_f64 v[94:95], v[94:95], -v[212:213]
	s_waitcnt lgkmcnt(0)
	v_mul_f64 v[128:129], v[220:221], v[130:131]
	v_mul_f64 v[212:213], v[218:219], v[130:131]
	s_delay_alu instid0(VALU_DEP_2) | instskip(NEXT) | instid1(VALU_DEP_2)
	v_fma_f64 v[128:129], v[218:219], v[216:217], -v[128:129]
	v_fma_f64 v[212:213], v[220:221], v[216:217], v[212:213]
	ds_load_2addr_b64 v[218:221], v214 offset0:70 offset1:71
	v_add_f64 v[88:89], v[88:89], -v[128:129]
	v_add_f64 v[90:91], v[90:91], -v[212:213]
	s_waitcnt lgkmcnt(0)
	v_mul_f64 v[128:129], v[220:221], v[130:131]
	v_mul_f64 v[212:213], v[218:219], v[130:131]
	s_delay_alu instid0(VALU_DEP_2) | instskip(NEXT) | instid1(VALU_DEP_2)
	v_fma_f64 v[128:129], v[218:219], v[216:217], -v[128:129]
	v_fma_f64 v[212:213], v[220:221], v[216:217], v[212:213]
	ds_load_2addr_b64 v[218:221], v214 offset0:72 offset1:73
	v_add_f64 v[84:85], v[84:85], -v[128:129]
	v_add_f64 v[86:87], v[86:87], -v[212:213]
	s_waitcnt lgkmcnt(0)
	v_mul_f64 v[128:129], v[220:221], v[130:131]
	v_mul_f64 v[212:213], v[218:219], v[130:131]
	s_delay_alu instid0(VALU_DEP_2) | instskip(NEXT) | instid1(VALU_DEP_2)
	v_fma_f64 v[128:129], v[218:219], v[216:217], -v[128:129]
	v_fma_f64 v[212:213], v[220:221], v[216:217], v[212:213]
	ds_load_2addr_b64 v[218:221], v214 offset0:74 offset1:75
	v_add_f64 v[80:81], v[80:81], -v[128:129]
	v_add_f64 v[82:83], v[82:83], -v[212:213]
	s_waitcnt lgkmcnt(0)
	v_mul_f64 v[128:129], v[220:221], v[130:131]
	v_mul_f64 v[212:213], v[218:219], v[130:131]
	s_delay_alu instid0(VALU_DEP_2) | instskip(NEXT) | instid1(VALU_DEP_2)
	v_fma_f64 v[128:129], v[218:219], v[216:217], -v[128:129]
	v_fma_f64 v[212:213], v[220:221], v[216:217], v[212:213]
	ds_load_2addr_b64 v[218:221], v214 offset0:76 offset1:77
	v_add_f64 v[76:77], v[76:77], -v[128:129]
	v_add_f64 v[78:79], v[78:79], -v[212:213]
	s_waitcnt lgkmcnt(0)
	v_mul_f64 v[128:129], v[220:221], v[130:131]
	v_mul_f64 v[212:213], v[218:219], v[130:131]
	s_delay_alu instid0(VALU_DEP_2) | instskip(NEXT) | instid1(VALU_DEP_2)
	v_fma_f64 v[128:129], v[218:219], v[216:217], -v[128:129]
	v_fma_f64 v[212:213], v[220:221], v[216:217], v[212:213]
	ds_load_2addr_b64 v[218:221], v214 offset0:78 offset1:79
	v_add_f64 v[72:73], v[72:73], -v[128:129]
	v_add_f64 v[74:75], v[74:75], -v[212:213]
	s_waitcnt lgkmcnt(0)
	v_mul_f64 v[128:129], v[220:221], v[130:131]
	v_mul_f64 v[212:213], v[218:219], v[130:131]
	s_delay_alu instid0(VALU_DEP_2) | instskip(NEXT) | instid1(VALU_DEP_2)
	v_fma_f64 v[128:129], v[218:219], v[216:217], -v[128:129]
	v_fma_f64 v[212:213], v[220:221], v[216:217], v[212:213]
	ds_load_2addr_b64 v[218:221], v214 offset0:80 offset1:81
	v_add_f64 v[68:69], v[68:69], -v[128:129]
	v_add_f64 v[70:71], v[70:71], -v[212:213]
	s_waitcnt lgkmcnt(0)
	v_mul_f64 v[128:129], v[220:221], v[130:131]
	v_mul_f64 v[212:213], v[218:219], v[130:131]
	s_delay_alu instid0(VALU_DEP_2) | instskip(NEXT) | instid1(VALU_DEP_2)
	v_fma_f64 v[128:129], v[218:219], v[216:217], -v[128:129]
	v_fma_f64 v[212:213], v[220:221], v[216:217], v[212:213]
	ds_load_2addr_b64 v[218:221], v214 offset0:82 offset1:83
	v_add_f64 v[64:65], v[64:65], -v[128:129]
	v_add_f64 v[66:67], v[66:67], -v[212:213]
	s_waitcnt lgkmcnt(0)
	v_mul_f64 v[128:129], v[220:221], v[130:131]
	v_mul_f64 v[212:213], v[218:219], v[130:131]
	s_delay_alu instid0(VALU_DEP_2) | instskip(NEXT) | instid1(VALU_DEP_2)
	v_fma_f64 v[128:129], v[218:219], v[216:217], -v[128:129]
	v_fma_f64 v[212:213], v[220:221], v[216:217], v[212:213]
	ds_load_2addr_b64 v[218:221], v214 offset0:84 offset1:85
	v_add_f64 v[60:61], v[60:61], -v[128:129]
	v_add_f64 v[62:63], v[62:63], -v[212:213]
	s_waitcnt lgkmcnt(0)
	v_mul_f64 v[128:129], v[220:221], v[130:131]
	v_mul_f64 v[212:213], v[218:219], v[130:131]
	s_delay_alu instid0(VALU_DEP_2) | instskip(NEXT) | instid1(VALU_DEP_2)
	v_fma_f64 v[128:129], v[218:219], v[216:217], -v[128:129]
	v_fma_f64 v[212:213], v[220:221], v[216:217], v[212:213]
	ds_load_2addr_b64 v[218:221], v214 offset0:86 offset1:87
	v_add_f64 v[56:57], v[56:57], -v[128:129]
	v_add_f64 v[58:59], v[58:59], -v[212:213]
	s_waitcnt lgkmcnt(0)
	v_mul_f64 v[128:129], v[220:221], v[130:131]
	v_mul_f64 v[212:213], v[218:219], v[130:131]
	s_delay_alu instid0(VALU_DEP_2) | instskip(NEXT) | instid1(VALU_DEP_2)
	v_fma_f64 v[128:129], v[218:219], v[216:217], -v[128:129]
	v_fma_f64 v[212:213], v[220:221], v[216:217], v[212:213]
	ds_load_2addr_b64 v[218:221], v214 offset0:88 offset1:89
	v_add_f64 v[52:53], v[52:53], -v[128:129]
	v_add_f64 v[54:55], v[54:55], -v[212:213]
	s_waitcnt lgkmcnt(0)
	v_mul_f64 v[128:129], v[220:221], v[130:131]
	v_mul_f64 v[212:213], v[218:219], v[130:131]
	s_delay_alu instid0(VALU_DEP_2) | instskip(NEXT) | instid1(VALU_DEP_2)
	v_fma_f64 v[128:129], v[218:219], v[216:217], -v[128:129]
	v_fma_f64 v[212:213], v[220:221], v[216:217], v[212:213]
	ds_load_2addr_b64 v[218:221], v214 offset0:90 offset1:91
	v_add_f64 v[48:49], v[48:49], -v[128:129]
	v_add_f64 v[50:51], v[50:51], -v[212:213]
	s_waitcnt lgkmcnt(0)
	v_mul_f64 v[128:129], v[220:221], v[130:131]
	v_mul_f64 v[212:213], v[218:219], v[130:131]
	s_delay_alu instid0(VALU_DEP_2) | instskip(NEXT) | instid1(VALU_DEP_2)
	v_fma_f64 v[128:129], v[218:219], v[216:217], -v[128:129]
	v_fma_f64 v[212:213], v[220:221], v[216:217], v[212:213]
	ds_load_2addr_b64 v[218:221], v214 offset0:92 offset1:93
	v_add_f64 v[44:45], v[44:45], -v[128:129]
	v_add_f64 v[46:47], v[46:47], -v[212:213]
	s_waitcnt lgkmcnt(0)
	v_mul_f64 v[128:129], v[220:221], v[130:131]
	v_mul_f64 v[212:213], v[218:219], v[130:131]
	s_delay_alu instid0(VALU_DEP_2) | instskip(NEXT) | instid1(VALU_DEP_2)
	v_fma_f64 v[128:129], v[218:219], v[216:217], -v[128:129]
	v_fma_f64 v[212:213], v[220:221], v[216:217], v[212:213]
	ds_load_2addr_b64 v[218:221], v214 offset0:94 offset1:95
	v_add_f64 v[40:41], v[40:41], -v[128:129]
	v_add_f64 v[42:43], v[42:43], -v[212:213]
	s_waitcnt lgkmcnt(0)
	v_mul_f64 v[128:129], v[220:221], v[130:131]
	v_mul_f64 v[212:213], v[218:219], v[130:131]
	s_delay_alu instid0(VALU_DEP_2) | instskip(NEXT) | instid1(VALU_DEP_2)
	v_fma_f64 v[128:129], v[218:219], v[216:217], -v[128:129]
	v_fma_f64 v[212:213], v[220:221], v[216:217], v[212:213]
	ds_load_2addr_b64 v[218:221], v214 offset0:96 offset1:97
	v_add_f64 v[36:37], v[36:37], -v[128:129]
	v_add_f64 v[38:39], v[38:39], -v[212:213]
	s_waitcnt lgkmcnt(0)
	v_mul_f64 v[128:129], v[220:221], v[130:131]
	v_mul_f64 v[212:213], v[218:219], v[130:131]
	s_delay_alu instid0(VALU_DEP_2) | instskip(NEXT) | instid1(VALU_DEP_2)
	v_fma_f64 v[128:129], v[218:219], v[216:217], -v[128:129]
	v_fma_f64 v[212:213], v[220:221], v[216:217], v[212:213]
	ds_load_2addr_b64 v[218:221], v214 offset0:98 offset1:99
	v_add_f64 v[32:33], v[32:33], -v[128:129]
	v_add_f64 v[34:35], v[34:35], -v[212:213]
	s_waitcnt lgkmcnt(0)
	v_mul_f64 v[128:129], v[220:221], v[130:131]
	v_mul_f64 v[212:213], v[218:219], v[130:131]
	s_delay_alu instid0(VALU_DEP_2) | instskip(NEXT) | instid1(VALU_DEP_2)
	v_fma_f64 v[128:129], v[218:219], v[216:217], -v[128:129]
	v_fma_f64 v[212:213], v[220:221], v[216:217], v[212:213]
	ds_load_2addr_b64 v[218:221], v214 offset0:100 offset1:101
	v_add_f64 v[28:29], v[28:29], -v[128:129]
	v_add_f64 v[30:31], v[30:31], -v[212:213]
	s_waitcnt lgkmcnt(0)
	v_mul_f64 v[128:129], v[220:221], v[130:131]
	v_mul_f64 v[212:213], v[218:219], v[130:131]
	s_delay_alu instid0(VALU_DEP_2) | instskip(NEXT) | instid1(VALU_DEP_2)
	v_fma_f64 v[128:129], v[218:219], v[216:217], -v[128:129]
	v_fma_f64 v[212:213], v[220:221], v[216:217], v[212:213]
	ds_load_2addr_b64 v[218:221], v214 offset0:102 offset1:103
	v_add_f64 v[24:25], v[24:25], -v[128:129]
	v_add_f64 v[26:27], v[26:27], -v[212:213]
	s_waitcnt lgkmcnt(0)
	v_mul_f64 v[128:129], v[220:221], v[130:131]
	v_mul_f64 v[212:213], v[218:219], v[130:131]
	s_delay_alu instid0(VALU_DEP_2) | instskip(NEXT) | instid1(VALU_DEP_2)
	v_fma_f64 v[128:129], v[218:219], v[216:217], -v[128:129]
	v_fma_f64 v[212:213], v[220:221], v[216:217], v[212:213]
	ds_load_2addr_b64 v[218:221], v214 offset0:104 offset1:105
	v_add_f64 v[20:21], v[20:21], -v[128:129]
	v_add_f64 v[22:23], v[22:23], -v[212:213]
	s_waitcnt lgkmcnt(0)
	v_mul_f64 v[128:129], v[220:221], v[130:131]
	v_mul_f64 v[212:213], v[218:219], v[130:131]
	s_delay_alu instid0(VALU_DEP_2) | instskip(NEXT) | instid1(VALU_DEP_2)
	v_fma_f64 v[128:129], v[218:219], v[216:217], -v[128:129]
	v_fma_f64 v[212:213], v[220:221], v[216:217], v[212:213]
	ds_load_2addr_b64 v[218:221], v214 offset0:106 offset1:107
	v_add_f64 v[16:17], v[16:17], -v[128:129]
	v_add_f64 v[18:19], v[18:19], -v[212:213]
	s_waitcnt lgkmcnt(0)
	v_mul_f64 v[128:129], v[220:221], v[130:131]
	v_mul_f64 v[212:213], v[218:219], v[130:131]
	s_delay_alu instid0(VALU_DEP_2) | instskip(NEXT) | instid1(VALU_DEP_2)
	v_fma_f64 v[128:129], v[218:219], v[216:217], -v[128:129]
	v_fma_f64 v[212:213], v[220:221], v[216:217], v[212:213]
	ds_load_2addr_b64 v[218:221], v214 offset0:108 offset1:109
	v_add_f64 v[12:13], v[12:13], -v[128:129]
	v_add_f64 v[14:15], v[14:15], -v[212:213]
	s_waitcnt lgkmcnt(0)
	v_mul_f64 v[128:129], v[220:221], v[130:131]
	v_mul_f64 v[212:213], v[218:219], v[130:131]
	s_delay_alu instid0(VALU_DEP_2) | instskip(NEXT) | instid1(VALU_DEP_2)
	v_fma_f64 v[128:129], v[218:219], v[216:217], -v[128:129]
	v_fma_f64 v[212:213], v[220:221], v[216:217], v[212:213]
	ds_load_2addr_b64 v[218:221], v214 offset0:110 offset1:111
	v_add_f64 v[8:9], v[8:9], -v[128:129]
	v_add_f64 v[10:11], v[10:11], -v[212:213]
	s_waitcnt lgkmcnt(0)
	v_mul_f64 v[128:129], v[220:221], v[130:131]
	v_mul_f64 v[212:213], v[218:219], v[130:131]
	s_delay_alu instid0(VALU_DEP_2) | instskip(NEXT) | instid1(VALU_DEP_2)
	v_fma_f64 v[128:129], v[218:219], v[216:217], -v[128:129]
	v_fma_f64 v[212:213], v[220:221], v[216:217], v[212:213]
	ds_load_2addr_b64 v[218:221], v214 offset0:112 offset1:113
	v_add_f64 v[4:5], v[4:5], -v[128:129]
	v_add_f64 v[6:7], v[6:7], -v[212:213]
	s_waitcnt lgkmcnt(0)
	v_mul_f64 v[128:129], v[220:221], v[130:131]
	v_mul_f64 v[212:213], v[218:219], v[130:131]
	s_delay_alu instid0(VALU_DEP_2) | instskip(NEXT) | instid1(VALU_DEP_2)
	v_fma_f64 v[128:129], v[218:219], v[216:217], -v[128:129]
	v_fma_f64 v[212:213], v[220:221], v[216:217], v[212:213]
	s_delay_alu instid0(VALU_DEP_2) | instskip(NEXT) | instid1(VALU_DEP_2)
	v_add_f64 v[0:1], v[0:1], -v[128:129]
	v_add_f64 v[2:3], v[2:3], -v[212:213]
	v_dual_mov_b32 v128, v216 :: v_dual_mov_b32 v129, v217
.LBB113_226:
	s_or_b32 exec_lo, exec_lo, s3
	s_delay_alu instid0(SALU_CYCLE_1)
	s_mov_b32 s4, exec_lo
	s_waitcnt_vscnt null, 0x0
	s_barrier
	buffer_gl0_inv
	v_cmpx_eq_u32_e32 25, v248
	s_cbranch_execz .LBB113_233
; %bb.227:
	ds_store_2addr_b64 v251, v[124:125], v[126:127] offset1:1
	ds_store_2addr_b64 v214, v[120:121], v[122:123] offset0:52 offset1:53
	ds_store_2addr_b64 v214, v[116:117], v[118:119] offset0:54 offset1:55
	;; [unrolled: 1-line block ×31, first 2 shown]
	ds_load_2addr_b64 v[216:219], v251 offset1:1
	s_waitcnt lgkmcnt(0)
	v_cmp_neq_f64_e32 vcc_lo, 0, v[216:217]
	v_cmp_neq_f64_e64 s3, 0, v[218:219]
	s_delay_alu instid0(VALU_DEP_1) | instskip(NEXT) | instid1(SALU_CYCLE_1)
	s_or_b32 s3, vcc_lo, s3
	s_and_b32 exec_lo, exec_lo, s3
	s_cbranch_execz .LBB113_233
; %bb.228:
	v_cmp_gt_f64_e32 vcc_lo, 0, v[216:217]
	v_xor_b32_e32 v208, 0x80000000, v217
	s_delay_alu instid0(VALU_DEP_1) | instskip(SKIP_3) | instid1(VALU_DEP_1)
	v_cndmask_b32_e32 v213, v217, v208, vcc_lo
	v_cndmask_b32_e32 v212, v216, v216, vcc_lo
	v_cmp_gt_f64_e32 vcc_lo, 0, v[218:219]
	v_xor_b32_e32 v208, 0x80000000, v219
	v_dual_cndmask_b32 v220, v218, v218 :: v_dual_cndmask_b32 v221, v219, v208
	s_delay_alu instid0(VALU_DEP_1) | instskip(SKIP_1) | instid1(SALU_CYCLE_1)
	v_cmp_ngt_f64_e32 vcc_lo, v[212:213], v[220:221]
                                        ; implicit-def: $vgpr212_vgpr213
	s_and_saveexec_b32 s3, vcc_lo
	s_xor_b32 s3, exec_lo, s3
                                        ; implicit-def: $vgpr220_vgpr221_vgpr222_vgpr223
	s_cbranch_execz .LBB113_230
; %bb.229:
	v_div_scale_f64 v[212:213], null, v[218:219], v[218:219], v[216:217]
	v_div_scale_f64 v[224:225], vcc_lo, v[216:217], v[218:219], v[216:217]
	s_delay_alu instid0(VALU_DEP_2) | instskip(SKIP_2) | instid1(VALU_DEP_1)
	v_rcp_f64_e32 v[220:221], v[212:213]
	s_waitcnt_depctr 0xfff
	v_fma_f64 v[222:223], -v[212:213], v[220:221], 1.0
	v_fma_f64 v[220:221], v[220:221], v[222:223], v[220:221]
	s_delay_alu instid0(VALU_DEP_1) | instskip(NEXT) | instid1(VALU_DEP_1)
	v_fma_f64 v[222:223], -v[212:213], v[220:221], 1.0
	v_fma_f64 v[220:221], v[220:221], v[222:223], v[220:221]
	s_delay_alu instid0(VALU_DEP_1) | instskip(NEXT) | instid1(VALU_DEP_1)
	v_mul_f64 v[222:223], v[224:225], v[220:221]
	v_fma_f64 v[212:213], -v[212:213], v[222:223], v[224:225]
	s_delay_alu instid0(VALU_DEP_1) | instskip(NEXT) | instid1(VALU_DEP_1)
	v_div_fmas_f64 v[212:213], v[212:213], v[220:221], v[222:223]
	v_div_fixup_f64 v[212:213], v[212:213], v[218:219], v[216:217]
	s_delay_alu instid0(VALU_DEP_1) | instskip(NEXT) | instid1(VALU_DEP_1)
	v_fma_f64 v[216:217], v[216:217], v[212:213], v[218:219]
	v_div_scale_f64 v[218:219], null, v[216:217], v[216:217], 1.0
	s_delay_alu instid0(VALU_DEP_1) | instskip(SKIP_2) | instid1(VALU_DEP_1)
	v_rcp_f64_e32 v[220:221], v[218:219]
	s_waitcnt_depctr 0xfff
	v_fma_f64 v[222:223], -v[218:219], v[220:221], 1.0
	v_fma_f64 v[220:221], v[220:221], v[222:223], v[220:221]
	s_delay_alu instid0(VALU_DEP_1) | instskip(NEXT) | instid1(VALU_DEP_1)
	v_fma_f64 v[222:223], -v[218:219], v[220:221], 1.0
	v_fma_f64 v[220:221], v[220:221], v[222:223], v[220:221]
	v_div_scale_f64 v[222:223], vcc_lo, 1.0, v[216:217], 1.0
	s_delay_alu instid0(VALU_DEP_1) | instskip(NEXT) | instid1(VALU_DEP_1)
	v_mul_f64 v[224:225], v[222:223], v[220:221]
	v_fma_f64 v[218:219], -v[218:219], v[224:225], v[222:223]
	s_delay_alu instid0(VALU_DEP_1) | instskip(NEXT) | instid1(VALU_DEP_1)
	v_div_fmas_f64 v[218:219], v[218:219], v[220:221], v[224:225]
	v_div_fixup_f64 v[222:223], v[218:219], v[216:217], 1.0
                                        ; implicit-def: $vgpr216_vgpr217
	s_delay_alu instid0(VALU_DEP_1)
	v_mul_f64 v[212:213], v[212:213], v[222:223]
	v_xor_b32_e32 v223, 0x80000000, v223
.LBB113_230:
	s_and_not1_saveexec_b32 s3, s3
	s_cbranch_execz .LBB113_232
; %bb.231:
	v_div_scale_f64 v[212:213], null, v[216:217], v[216:217], v[218:219]
	v_div_scale_f64 v[224:225], vcc_lo, v[218:219], v[216:217], v[218:219]
	s_delay_alu instid0(VALU_DEP_2) | instskip(SKIP_2) | instid1(VALU_DEP_1)
	v_rcp_f64_e32 v[220:221], v[212:213]
	s_waitcnt_depctr 0xfff
	v_fma_f64 v[222:223], -v[212:213], v[220:221], 1.0
	v_fma_f64 v[220:221], v[220:221], v[222:223], v[220:221]
	s_delay_alu instid0(VALU_DEP_1) | instskip(NEXT) | instid1(VALU_DEP_1)
	v_fma_f64 v[222:223], -v[212:213], v[220:221], 1.0
	v_fma_f64 v[220:221], v[220:221], v[222:223], v[220:221]
	s_delay_alu instid0(VALU_DEP_1) | instskip(NEXT) | instid1(VALU_DEP_1)
	v_mul_f64 v[222:223], v[224:225], v[220:221]
	v_fma_f64 v[212:213], -v[212:213], v[222:223], v[224:225]
	s_delay_alu instid0(VALU_DEP_1) | instskip(NEXT) | instid1(VALU_DEP_1)
	v_div_fmas_f64 v[212:213], v[212:213], v[220:221], v[222:223]
	v_div_fixup_f64 v[220:221], v[212:213], v[216:217], v[218:219]
	s_delay_alu instid0(VALU_DEP_1) | instskip(NEXT) | instid1(VALU_DEP_1)
	v_fma_f64 v[212:213], v[218:219], v[220:221], v[216:217]
	v_div_scale_f64 v[216:217], null, v[212:213], v[212:213], 1.0
	s_delay_alu instid0(VALU_DEP_1) | instskip(SKIP_2) | instid1(VALU_DEP_1)
	v_rcp_f64_e32 v[218:219], v[216:217]
	s_waitcnt_depctr 0xfff
	v_fma_f64 v[222:223], -v[216:217], v[218:219], 1.0
	v_fma_f64 v[218:219], v[218:219], v[222:223], v[218:219]
	s_delay_alu instid0(VALU_DEP_1) | instskip(NEXT) | instid1(VALU_DEP_1)
	v_fma_f64 v[222:223], -v[216:217], v[218:219], 1.0
	v_fma_f64 v[218:219], v[218:219], v[222:223], v[218:219]
	v_div_scale_f64 v[222:223], vcc_lo, 1.0, v[212:213], 1.0
	s_delay_alu instid0(VALU_DEP_1) | instskip(NEXT) | instid1(VALU_DEP_1)
	v_mul_f64 v[224:225], v[222:223], v[218:219]
	v_fma_f64 v[216:217], -v[216:217], v[224:225], v[222:223]
	s_delay_alu instid0(VALU_DEP_1) | instskip(NEXT) | instid1(VALU_DEP_1)
	v_div_fmas_f64 v[216:217], v[216:217], v[218:219], v[224:225]
	v_div_fixup_f64 v[212:213], v[216:217], v[212:213], 1.0
	s_delay_alu instid0(VALU_DEP_1)
	v_mul_f64 v[222:223], v[220:221], -v[212:213]
.LBB113_232:
	s_or_b32 exec_lo, exec_lo, s3
	ds_store_2addr_b64 v251, v[212:213], v[222:223] offset1:1
.LBB113_233:
	s_or_b32 exec_lo, exec_lo, s4
	s_waitcnt lgkmcnt(0)
	s_barrier
	buffer_gl0_inv
	ds_load_2addr_b64 v[208:211], v251 offset1:1
	s_mov_b32 s3, exec_lo
	s_waitcnt lgkmcnt(0)
	scratch_store_b128 off, v[208:211], off offset:928 ; 16-byte Folded Spill
	v_cmpx_lt_u32_e32 25, v248
	s_cbranch_execz .LBB113_235
; %bb.234:
	scratch_load_b128 v[208:211], off, off offset:928 ; 16-byte Folded Reload
	ds_load_2addr_b64 v[218:221], v214 offset0:52 offset1:53
	s_waitcnt vmcnt(0)
	v_mul_f64 v[212:213], v[210:211], v[126:127]
	v_mul_f64 v[126:127], v[208:209], v[126:127]
	s_delay_alu instid0(VALU_DEP_2) | instskip(NEXT) | instid1(VALU_DEP_2)
	v_fma_f64 v[216:217], v[208:209], v[124:125], -v[212:213]
	v_fma_f64 v[126:127], v[210:211], v[124:125], v[126:127]
	s_waitcnt lgkmcnt(0)
	s_delay_alu instid0(VALU_DEP_1) | instskip(SKIP_1) | instid1(VALU_DEP_2)
	v_mul_f64 v[124:125], v[220:221], v[126:127]
	v_mul_f64 v[212:213], v[218:219], v[126:127]
	v_fma_f64 v[124:125], v[218:219], v[216:217], -v[124:125]
	s_delay_alu instid0(VALU_DEP_2)
	v_fma_f64 v[212:213], v[220:221], v[216:217], v[212:213]
	ds_load_2addr_b64 v[218:221], v214 offset0:54 offset1:55
	v_add_f64 v[120:121], v[120:121], -v[124:125]
	v_add_f64 v[122:123], v[122:123], -v[212:213]
	s_waitcnt lgkmcnt(0)
	v_mul_f64 v[124:125], v[220:221], v[126:127]
	v_mul_f64 v[212:213], v[218:219], v[126:127]
	s_delay_alu instid0(VALU_DEP_2) | instskip(NEXT) | instid1(VALU_DEP_2)
	v_fma_f64 v[124:125], v[218:219], v[216:217], -v[124:125]
	v_fma_f64 v[212:213], v[220:221], v[216:217], v[212:213]
	ds_load_2addr_b64 v[218:221], v214 offset0:56 offset1:57
	v_add_f64 v[116:117], v[116:117], -v[124:125]
	v_add_f64 v[118:119], v[118:119], -v[212:213]
	s_waitcnt lgkmcnt(0)
	v_mul_f64 v[124:125], v[220:221], v[126:127]
	v_mul_f64 v[212:213], v[218:219], v[126:127]
	s_delay_alu instid0(VALU_DEP_2) | instskip(NEXT) | instid1(VALU_DEP_2)
	v_fma_f64 v[124:125], v[218:219], v[216:217], -v[124:125]
	;; [unrolled: 9-line block ×30, first 2 shown]
	v_fma_f64 v[212:213], v[220:221], v[216:217], v[212:213]
	s_delay_alu instid0(VALU_DEP_2) | instskip(NEXT) | instid1(VALU_DEP_2)
	v_add_f64 v[0:1], v[0:1], -v[124:125]
	v_add_f64 v[2:3], v[2:3], -v[212:213]
	v_dual_mov_b32 v124, v216 :: v_dual_mov_b32 v125, v217
.LBB113_235:
	s_or_b32 exec_lo, exec_lo, s3
	s_delay_alu instid0(SALU_CYCLE_1)
	s_mov_b32 s4, exec_lo
	s_waitcnt_vscnt null, 0x0
	s_barrier
	buffer_gl0_inv
	v_cmpx_eq_u32_e32 26, v248
	s_cbranch_execz .LBB113_242
; %bb.236:
	ds_store_2addr_b64 v251, v[120:121], v[122:123] offset1:1
	ds_store_2addr_b64 v214, v[116:117], v[118:119] offset0:54 offset1:55
	ds_store_2addr_b64 v214, v[112:113], v[114:115] offset0:56 offset1:57
	;; [unrolled: 1-line block ×30, first 2 shown]
	ds_load_2addr_b64 v[216:219], v251 offset1:1
	s_waitcnt lgkmcnt(0)
	v_cmp_neq_f64_e32 vcc_lo, 0, v[216:217]
	v_cmp_neq_f64_e64 s3, 0, v[218:219]
	s_delay_alu instid0(VALU_DEP_1) | instskip(NEXT) | instid1(SALU_CYCLE_1)
	s_or_b32 s3, vcc_lo, s3
	s_and_b32 exec_lo, exec_lo, s3
	s_cbranch_execz .LBB113_242
; %bb.237:
	v_cmp_gt_f64_e32 vcc_lo, 0, v[216:217]
	v_xor_b32_e32 v208, 0x80000000, v217
	s_delay_alu instid0(VALU_DEP_1) | instskip(SKIP_3) | instid1(VALU_DEP_1)
	v_cndmask_b32_e32 v213, v217, v208, vcc_lo
	v_cndmask_b32_e32 v212, v216, v216, vcc_lo
	v_cmp_gt_f64_e32 vcc_lo, 0, v[218:219]
	v_xor_b32_e32 v208, 0x80000000, v219
	v_dual_cndmask_b32 v220, v218, v218 :: v_dual_cndmask_b32 v221, v219, v208
	s_delay_alu instid0(VALU_DEP_1) | instskip(SKIP_1) | instid1(SALU_CYCLE_1)
	v_cmp_ngt_f64_e32 vcc_lo, v[212:213], v[220:221]
                                        ; implicit-def: $vgpr212_vgpr213
	s_and_saveexec_b32 s3, vcc_lo
	s_xor_b32 s3, exec_lo, s3
                                        ; implicit-def: $vgpr220_vgpr221_vgpr222_vgpr223
	s_cbranch_execz .LBB113_239
; %bb.238:
	v_div_scale_f64 v[212:213], null, v[218:219], v[218:219], v[216:217]
	v_div_scale_f64 v[224:225], vcc_lo, v[216:217], v[218:219], v[216:217]
	s_delay_alu instid0(VALU_DEP_2) | instskip(SKIP_2) | instid1(VALU_DEP_1)
	v_rcp_f64_e32 v[220:221], v[212:213]
	s_waitcnt_depctr 0xfff
	v_fma_f64 v[222:223], -v[212:213], v[220:221], 1.0
	v_fma_f64 v[220:221], v[220:221], v[222:223], v[220:221]
	s_delay_alu instid0(VALU_DEP_1) | instskip(NEXT) | instid1(VALU_DEP_1)
	v_fma_f64 v[222:223], -v[212:213], v[220:221], 1.0
	v_fma_f64 v[220:221], v[220:221], v[222:223], v[220:221]
	s_delay_alu instid0(VALU_DEP_1) | instskip(NEXT) | instid1(VALU_DEP_1)
	v_mul_f64 v[222:223], v[224:225], v[220:221]
	v_fma_f64 v[212:213], -v[212:213], v[222:223], v[224:225]
	s_delay_alu instid0(VALU_DEP_1) | instskip(NEXT) | instid1(VALU_DEP_1)
	v_div_fmas_f64 v[212:213], v[212:213], v[220:221], v[222:223]
	v_div_fixup_f64 v[212:213], v[212:213], v[218:219], v[216:217]
	s_delay_alu instid0(VALU_DEP_1) | instskip(NEXT) | instid1(VALU_DEP_1)
	v_fma_f64 v[216:217], v[216:217], v[212:213], v[218:219]
	v_div_scale_f64 v[218:219], null, v[216:217], v[216:217], 1.0
	s_delay_alu instid0(VALU_DEP_1) | instskip(SKIP_2) | instid1(VALU_DEP_1)
	v_rcp_f64_e32 v[220:221], v[218:219]
	s_waitcnt_depctr 0xfff
	v_fma_f64 v[222:223], -v[218:219], v[220:221], 1.0
	v_fma_f64 v[220:221], v[220:221], v[222:223], v[220:221]
	s_delay_alu instid0(VALU_DEP_1) | instskip(NEXT) | instid1(VALU_DEP_1)
	v_fma_f64 v[222:223], -v[218:219], v[220:221], 1.0
	v_fma_f64 v[220:221], v[220:221], v[222:223], v[220:221]
	v_div_scale_f64 v[222:223], vcc_lo, 1.0, v[216:217], 1.0
	s_delay_alu instid0(VALU_DEP_1) | instskip(NEXT) | instid1(VALU_DEP_1)
	v_mul_f64 v[224:225], v[222:223], v[220:221]
	v_fma_f64 v[218:219], -v[218:219], v[224:225], v[222:223]
	s_delay_alu instid0(VALU_DEP_1) | instskip(NEXT) | instid1(VALU_DEP_1)
	v_div_fmas_f64 v[218:219], v[218:219], v[220:221], v[224:225]
	v_div_fixup_f64 v[222:223], v[218:219], v[216:217], 1.0
                                        ; implicit-def: $vgpr216_vgpr217
	s_delay_alu instid0(VALU_DEP_1)
	v_mul_f64 v[212:213], v[212:213], v[222:223]
	v_xor_b32_e32 v223, 0x80000000, v223
.LBB113_239:
	s_and_not1_saveexec_b32 s3, s3
	s_cbranch_execz .LBB113_241
; %bb.240:
	v_div_scale_f64 v[212:213], null, v[216:217], v[216:217], v[218:219]
	v_div_scale_f64 v[224:225], vcc_lo, v[218:219], v[216:217], v[218:219]
	s_delay_alu instid0(VALU_DEP_2) | instskip(SKIP_2) | instid1(VALU_DEP_1)
	v_rcp_f64_e32 v[220:221], v[212:213]
	s_waitcnt_depctr 0xfff
	v_fma_f64 v[222:223], -v[212:213], v[220:221], 1.0
	v_fma_f64 v[220:221], v[220:221], v[222:223], v[220:221]
	s_delay_alu instid0(VALU_DEP_1) | instskip(NEXT) | instid1(VALU_DEP_1)
	v_fma_f64 v[222:223], -v[212:213], v[220:221], 1.0
	v_fma_f64 v[220:221], v[220:221], v[222:223], v[220:221]
	s_delay_alu instid0(VALU_DEP_1) | instskip(NEXT) | instid1(VALU_DEP_1)
	v_mul_f64 v[222:223], v[224:225], v[220:221]
	v_fma_f64 v[212:213], -v[212:213], v[222:223], v[224:225]
	s_delay_alu instid0(VALU_DEP_1) | instskip(NEXT) | instid1(VALU_DEP_1)
	v_div_fmas_f64 v[212:213], v[212:213], v[220:221], v[222:223]
	v_div_fixup_f64 v[220:221], v[212:213], v[216:217], v[218:219]
	s_delay_alu instid0(VALU_DEP_1) | instskip(NEXT) | instid1(VALU_DEP_1)
	v_fma_f64 v[212:213], v[218:219], v[220:221], v[216:217]
	v_div_scale_f64 v[216:217], null, v[212:213], v[212:213], 1.0
	s_delay_alu instid0(VALU_DEP_1) | instskip(SKIP_2) | instid1(VALU_DEP_1)
	v_rcp_f64_e32 v[218:219], v[216:217]
	s_waitcnt_depctr 0xfff
	v_fma_f64 v[222:223], -v[216:217], v[218:219], 1.0
	v_fma_f64 v[218:219], v[218:219], v[222:223], v[218:219]
	s_delay_alu instid0(VALU_DEP_1) | instskip(NEXT) | instid1(VALU_DEP_1)
	v_fma_f64 v[222:223], -v[216:217], v[218:219], 1.0
	v_fma_f64 v[218:219], v[218:219], v[222:223], v[218:219]
	v_div_scale_f64 v[222:223], vcc_lo, 1.0, v[212:213], 1.0
	s_delay_alu instid0(VALU_DEP_1) | instskip(NEXT) | instid1(VALU_DEP_1)
	v_mul_f64 v[224:225], v[222:223], v[218:219]
	v_fma_f64 v[216:217], -v[216:217], v[224:225], v[222:223]
	s_delay_alu instid0(VALU_DEP_1) | instskip(NEXT) | instid1(VALU_DEP_1)
	v_div_fmas_f64 v[216:217], v[216:217], v[218:219], v[224:225]
	v_div_fixup_f64 v[212:213], v[216:217], v[212:213], 1.0
	s_delay_alu instid0(VALU_DEP_1)
	v_mul_f64 v[222:223], v[220:221], -v[212:213]
.LBB113_241:
	s_or_b32 exec_lo, exec_lo, s3
	ds_store_2addr_b64 v251, v[212:213], v[222:223] offset1:1
.LBB113_242:
	s_or_b32 exec_lo, exec_lo, s4
	s_waitcnt lgkmcnt(0)
	s_barrier
	buffer_gl0_inv
	ds_load_2addr_b64 v[208:211], v251 offset1:1
	s_mov_b32 s3, exec_lo
	s_waitcnt lgkmcnt(0)
	scratch_store_b128 off, v[208:211], off offset:944 ; 16-byte Folded Spill
	v_cmpx_lt_u32_e32 26, v248
	s_cbranch_execz .LBB113_244
; %bb.243:
	scratch_load_b128 v[208:211], off, off offset:944 ; 16-byte Folded Reload
	ds_load_2addr_b64 v[218:221], v214 offset0:54 offset1:55
	s_waitcnt vmcnt(0)
	v_mul_f64 v[212:213], v[210:211], v[122:123]
	v_mul_f64 v[122:123], v[208:209], v[122:123]
	s_delay_alu instid0(VALU_DEP_2) | instskip(NEXT) | instid1(VALU_DEP_2)
	v_fma_f64 v[216:217], v[208:209], v[120:121], -v[212:213]
	v_fma_f64 v[122:123], v[210:211], v[120:121], v[122:123]
	s_waitcnt lgkmcnt(0)
	s_delay_alu instid0(VALU_DEP_1) | instskip(SKIP_1) | instid1(VALU_DEP_2)
	v_mul_f64 v[120:121], v[220:221], v[122:123]
	v_mul_f64 v[212:213], v[218:219], v[122:123]
	v_fma_f64 v[120:121], v[218:219], v[216:217], -v[120:121]
	s_delay_alu instid0(VALU_DEP_2)
	v_fma_f64 v[212:213], v[220:221], v[216:217], v[212:213]
	ds_load_2addr_b64 v[218:221], v214 offset0:56 offset1:57
	v_add_f64 v[116:117], v[116:117], -v[120:121]
	v_add_f64 v[118:119], v[118:119], -v[212:213]
	s_waitcnt lgkmcnt(0)
	v_mul_f64 v[120:121], v[220:221], v[122:123]
	v_mul_f64 v[212:213], v[218:219], v[122:123]
	s_delay_alu instid0(VALU_DEP_2) | instskip(NEXT) | instid1(VALU_DEP_2)
	v_fma_f64 v[120:121], v[218:219], v[216:217], -v[120:121]
	v_fma_f64 v[212:213], v[220:221], v[216:217], v[212:213]
	ds_load_2addr_b64 v[218:221], v214 offset0:58 offset1:59
	v_add_f64 v[112:113], v[112:113], -v[120:121]
	v_add_f64 v[114:115], v[114:115], -v[212:213]
	s_waitcnt lgkmcnt(0)
	v_mul_f64 v[120:121], v[220:221], v[122:123]
	v_mul_f64 v[212:213], v[218:219], v[122:123]
	s_delay_alu instid0(VALU_DEP_2) | instskip(NEXT) | instid1(VALU_DEP_2)
	v_fma_f64 v[120:121], v[218:219], v[216:217], -v[120:121]
	;; [unrolled: 9-line block ×29, first 2 shown]
	v_fma_f64 v[212:213], v[220:221], v[216:217], v[212:213]
	s_delay_alu instid0(VALU_DEP_2) | instskip(NEXT) | instid1(VALU_DEP_2)
	v_add_f64 v[0:1], v[0:1], -v[120:121]
	v_add_f64 v[2:3], v[2:3], -v[212:213]
	v_dual_mov_b32 v120, v216 :: v_dual_mov_b32 v121, v217
.LBB113_244:
	s_or_b32 exec_lo, exec_lo, s3
	s_delay_alu instid0(SALU_CYCLE_1)
	s_mov_b32 s4, exec_lo
	s_waitcnt_vscnt null, 0x0
	s_barrier
	buffer_gl0_inv
	v_cmpx_eq_u32_e32 27, v248
	s_cbranch_execz .LBB113_251
; %bb.245:
	ds_store_2addr_b64 v251, v[116:117], v[118:119] offset1:1
	ds_store_2addr_b64 v214, v[112:113], v[114:115] offset0:56 offset1:57
	ds_store_2addr_b64 v214, v[108:109], v[110:111] offset0:58 offset1:59
	;; [unrolled: 1-line block ×29, first 2 shown]
	ds_load_2addr_b64 v[216:219], v251 offset1:1
	s_waitcnt lgkmcnt(0)
	v_cmp_neq_f64_e32 vcc_lo, 0, v[216:217]
	v_cmp_neq_f64_e64 s3, 0, v[218:219]
	s_delay_alu instid0(VALU_DEP_1) | instskip(NEXT) | instid1(SALU_CYCLE_1)
	s_or_b32 s3, vcc_lo, s3
	s_and_b32 exec_lo, exec_lo, s3
	s_cbranch_execz .LBB113_251
; %bb.246:
	v_cmp_gt_f64_e32 vcc_lo, 0, v[216:217]
	v_xor_b32_e32 v208, 0x80000000, v217
	s_delay_alu instid0(VALU_DEP_1) | instskip(SKIP_3) | instid1(VALU_DEP_1)
	v_cndmask_b32_e32 v213, v217, v208, vcc_lo
	v_cndmask_b32_e32 v212, v216, v216, vcc_lo
	v_cmp_gt_f64_e32 vcc_lo, 0, v[218:219]
	v_xor_b32_e32 v208, 0x80000000, v219
	v_dual_cndmask_b32 v220, v218, v218 :: v_dual_cndmask_b32 v221, v219, v208
	s_delay_alu instid0(VALU_DEP_1) | instskip(SKIP_1) | instid1(SALU_CYCLE_1)
	v_cmp_ngt_f64_e32 vcc_lo, v[212:213], v[220:221]
                                        ; implicit-def: $vgpr212_vgpr213
	s_and_saveexec_b32 s3, vcc_lo
	s_xor_b32 s3, exec_lo, s3
                                        ; implicit-def: $vgpr220_vgpr221_vgpr222_vgpr223
	s_cbranch_execz .LBB113_248
; %bb.247:
	v_div_scale_f64 v[212:213], null, v[218:219], v[218:219], v[216:217]
	v_div_scale_f64 v[224:225], vcc_lo, v[216:217], v[218:219], v[216:217]
	s_delay_alu instid0(VALU_DEP_2) | instskip(SKIP_2) | instid1(VALU_DEP_1)
	v_rcp_f64_e32 v[220:221], v[212:213]
	s_waitcnt_depctr 0xfff
	v_fma_f64 v[222:223], -v[212:213], v[220:221], 1.0
	v_fma_f64 v[220:221], v[220:221], v[222:223], v[220:221]
	s_delay_alu instid0(VALU_DEP_1) | instskip(NEXT) | instid1(VALU_DEP_1)
	v_fma_f64 v[222:223], -v[212:213], v[220:221], 1.0
	v_fma_f64 v[220:221], v[220:221], v[222:223], v[220:221]
	s_delay_alu instid0(VALU_DEP_1) | instskip(NEXT) | instid1(VALU_DEP_1)
	v_mul_f64 v[222:223], v[224:225], v[220:221]
	v_fma_f64 v[212:213], -v[212:213], v[222:223], v[224:225]
	s_delay_alu instid0(VALU_DEP_1) | instskip(NEXT) | instid1(VALU_DEP_1)
	v_div_fmas_f64 v[212:213], v[212:213], v[220:221], v[222:223]
	v_div_fixup_f64 v[212:213], v[212:213], v[218:219], v[216:217]
	s_delay_alu instid0(VALU_DEP_1) | instskip(NEXT) | instid1(VALU_DEP_1)
	v_fma_f64 v[216:217], v[216:217], v[212:213], v[218:219]
	v_div_scale_f64 v[218:219], null, v[216:217], v[216:217], 1.0
	s_delay_alu instid0(VALU_DEP_1) | instskip(SKIP_2) | instid1(VALU_DEP_1)
	v_rcp_f64_e32 v[220:221], v[218:219]
	s_waitcnt_depctr 0xfff
	v_fma_f64 v[222:223], -v[218:219], v[220:221], 1.0
	v_fma_f64 v[220:221], v[220:221], v[222:223], v[220:221]
	s_delay_alu instid0(VALU_DEP_1) | instskip(NEXT) | instid1(VALU_DEP_1)
	v_fma_f64 v[222:223], -v[218:219], v[220:221], 1.0
	v_fma_f64 v[220:221], v[220:221], v[222:223], v[220:221]
	v_div_scale_f64 v[222:223], vcc_lo, 1.0, v[216:217], 1.0
	s_delay_alu instid0(VALU_DEP_1) | instskip(NEXT) | instid1(VALU_DEP_1)
	v_mul_f64 v[224:225], v[222:223], v[220:221]
	v_fma_f64 v[218:219], -v[218:219], v[224:225], v[222:223]
	s_delay_alu instid0(VALU_DEP_1) | instskip(NEXT) | instid1(VALU_DEP_1)
	v_div_fmas_f64 v[218:219], v[218:219], v[220:221], v[224:225]
	v_div_fixup_f64 v[222:223], v[218:219], v[216:217], 1.0
                                        ; implicit-def: $vgpr216_vgpr217
	s_delay_alu instid0(VALU_DEP_1)
	v_mul_f64 v[212:213], v[212:213], v[222:223]
	v_xor_b32_e32 v223, 0x80000000, v223
.LBB113_248:
	s_and_not1_saveexec_b32 s3, s3
	s_cbranch_execz .LBB113_250
; %bb.249:
	v_div_scale_f64 v[212:213], null, v[216:217], v[216:217], v[218:219]
	v_div_scale_f64 v[224:225], vcc_lo, v[218:219], v[216:217], v[218:219]
	s_delay_alu instid0(VALU_DEP_2) | instskip(SKIP_2) | instid1(VALU_DEP_1)
	v_rcp_f64_e32 v[220:221], v[212:213]
	s_waitcnt_depctr 0xfff
	v_fma_f64 v[222:223], -v[212:213], v[220:221], 1.0
	v_fma_f64 v[220:221], v[220:221], v[222:223], v[220:221]
	s_delay_alu instid0(VALU_DEP_1) | instskip(NEXT) | instid1(VALU_DEP_1)
	v_fma_f64 v[222:223], -v[212:213], v[220:221], 1.0
	v_fma_f64 v[220:221], v[220:221], v[222:223], v[220:221]
	s_delay_alu instid0(VALU_DEP_1) | instskip(NEXT) | instid1(VALU_DEP_1)
	v_mul_f64 v[222:223], v[224:225], v[220:221]
	v_fma_f64 v[212:213], -v[212:213], v[222:223], v[224:225]
	s_delay_alu instid0(VALU_DEP_1) | instskip(NEXT) | instid1(VALU_DEP_1)
	v_div_fmas_f64 v[212:213], v[212:213], v[220:221], v[222:223]
	v_div_fixup_f64 v[220:221], v[212:213], v[216:217], v[218:219]
	s_delay_alu instid0(VALU_DEP_1) | instskip(NEXT) | instid1(VALU_DEP_1)
	v_fma_f64 v[212:213], v[218:219], v[220:221], v[216:217]
	v_div_scale_f64 v[216:217], null, v[212:213], v[212:213], 1.0
	s_delay_alu instid0(VALU_DEP_1) | instskip(SKIP_2) | instid1(VALU_DEP_1)
	v_rcp_f64_e32 v[218:219], v[216:217]
	s_waitcnt_depctr 0xfff
	v_fma_f64 v[222:223], -v[216:217], v[218:219], 1.0
	v_fma_f64 v[218:219], v[218:219], v[222:223], v[218:219]
	s_delay_alu instid0(VALU_DEP_1) | instskip(NEXT) | instid1(VALU_DEP_1)
	v_fma_f64 v[222:223], -v[216:217], v[218:219], 1.0
	v_fma_f64 v[218:219], v[218:219], v[222:223], v[218:219]
	v_div_scale_f64 v[222:223], vcc_lo, 1.0, v[212:213], 1.0
	s_delay_alu instid0(VALU_DEP_1) | instskip(NEXT) | instid1(VALU_DEP_1)
	v_mul_f64 v[224:225], v[222:223], v[218:219]
	v_fma_f64 v[216:217], -v[216:217], v[224:225], v[222:223]
	s_delay_alu instid0(VALU_DEP_1) | instskip(NEXT) | instid1(VALU_DEP_1)
	v_div_fmas_f64 v[216:217], v[216:217], v[218:219], v[224:225]
	v_div_fixup_f64 v[212:213], v[216:217], v[212:213], 1.0
	s_delay_alu instid0(VALU_DEP_1)
	v_mul_f64 v[222:223], v[220:221], -v[212:213]
.LBB113_250:
	s_or_b32 exec_lo, exec_lo, s3
	ds_store_2addr_b64 v251, v[212:213], v[222:223] offset1:1
.LBB113_251:
	s_or_b32 exec_lo, exec_lo, s4
	s_waitcnt lgkmcnt(0)
	s_barrier
	buffer_gl0_inv
	ds_load_2addr_b64 v[208:211], v251 offset1:1
	s_mov_b32 s3, exec_lo
	s_waitcnt lgkmcnt(0)
	scratch_store_b128 off, v[208:211], off offset:960 ; 16-byte Folded Spill
	v_cmpx_lt_u32_e32 27, v248
	s_cbranch_execz .LBB113_253
; %bb.252:
	scratch_load_b128 v[208:211], off, off offset:960 ; 16-byte Folded Reload
	ds_load_2addr_b64 v[218:221], v214 offset0:56 offset1:57
	s_waitcnt vmcnt(0)
	v_mul_f64 v[212:213], v[210:211], v[118:119]
	v_mul_f64 v[118:119], v[208:209], v[118:119]
	s_delay_alu instid0(VALU_DEP_2) | instskip(NEXT) | instid1(VALU_DEP_2)
	v_fma_f64 v[216:217], v[208:209], v[116:117], -v[212:213]
	v_fma_f64 v[118:119], v[210:211], v[116:117], v[118:119]
	s_waitcnt lgkmcnt(0)
	s_delay_alu instid0(VALU_DEP_1) | instskip(SKIP_1) | instid1(VALU_DEP_2)
	v_mul_f64 v[116:117], v[220:221], v[118:119]
	v_mul_f64 v[212:213], v[218:219], v[118:119]
	v_fma_f64 v[116:117], v[218:219], v[216:217], -v[116:117]
	s_delay_alu instid0(VALU_DEP_2)
	v_fma_f64 v[212:213], v[220:221], v[216:217], v[212:213]
	ds_load_2addr_b64 v[218:221], v214 offset0:58 offset1:59
	v_add_f64 v[112:113], v[112:113], -v[116:117]
	v_add_f64 v[114:115], v[114:115], -v[212:213]
	s_waitcnt lgkmcnt(0)
	v_mul_f64 v[116:117], v[220:221], v[118:119]
	v_mul_f64 v[212:213], v[218:219], v[118:119]
	s_delay_alu instid0(VALU_DEP_2) | instskip(NEXT) | instid1(VALU_DEP_2)
	v_fma_f64 v[116:117], v[218:219], v[216:217], -v[116:117]
	v_fma_f64 v[212:213], v[220:221], v[216:217], v[212:213]
	ds_load_2addr_b64 v[218:221], v214 offset0:60 offset1:61
	v_add_f64 v[108:109], v[108:109], -v[116:117]
	v_add_f64 v[110:111], v[110:111], -v[212:213]
	s_waitcnt lgkmcnt(0)
	v_mul_f64 v[116:117], v[220:221], v[118:119]
	v_mul_f64 v[212:213], v[218:219], v[118:119]
	s_delay_alu instid0(VALU_DEP_2) | instskip(NEXT) | instid1(VALU_DEP_2)
	v_fma_f64 v[116:117], v[218:219], v[216:217], -v[116:117]
	;; [unrolled: 9-line block ×28, first 2 shown]
	v_fma_f64 v[212:213], v[220:221], v[216:217], v[212:213]
	s_delay_alu instid0(VALU_DEP_2) | instskip(NEXT) | instid1(VALU_DEP_2)
	v_add_f64 v[0:1], v[0:1], -v[116:117]
	v_add_f64 v[2:3], v[2:3], -v[212:213]
	v_dual_mov_b32 v116, v216 :: v_dual_mov_b32 v117, v217
.LBB113_253:
	s_or_b32 exec_lo, exec_lo, s3
	s_delay_alu instid0(SALU_CYCLE_1)
	s_mov_b32 s4, exec_lo
	s_waitcnt_vscnt null, 0x0
	s_barrier
	buffer_gl0_inv
	v_cmpx_eq_u32_e32 28, v248
	s_cbranch_execz .LBB113_260
; %bb.254:
	ds_store_2addr_b64 v251, v[112:113], v[114:115] offset1:1
	ds_store_2addr_b64 v214, v[108:109], v[110:111] offset0:58 offset1:59
	ds_store_2addr_b64 v214, v[104:105], v[106:107] offset0:60 offset1:61
	;; [unrolled: 1-line block ×28, first 2 shown]
	ds_load_2addr_b64 v[216:219], v251 offset1:1
	s_waitcnt lgkmcnt(0)
	v_cmp_neq_f64_e32 vcc_lo, 0, v[216:217]
	v_cmp_neq_f64_e64 s3, 0, v[218:219]
	s_delay_alu instid0(VALU_DEP_1) | instskip(NEXT) | instid1(SALU_CYCLE_1)
	s_or_b32 s3, vcc_lo, s3
	s_and_b32 exec_lo, exec_lo, s3
	s_cbranch_execz .LBB113_260
; %bb.255:
	v_cmp_gt_f64_e32 vcc_lo, 0, v[216:217]
	v_xor_b32_e32 v208, 0x80000000, v217
	s_delay_alu instid0(VALU_DEP_1) | instskip(SKIP_3) | instid1(VALU_DEP_1)
	v_cndmask_b32_e32 v213, v217, v208, vcc_lo
	v_cndmask_b32_e32 v212, v216, v216, vcc_lo
	v_cmp_gt_f64_e32 vcc_lo, 0, v[218:219]
	v_xor_b32_e32 v208, 0x80000000, v219
	v_dual_cndmask_b32 v220, v218, v218 :: v_dual_cndmask_b32 v221, v219, v208
	s_delay_alu instid0(VALU_DEP_1) | instskip(SKIP_1) | instid1(SALU_CYCLE_1)
	v_cmp_ngt_f64_e32 vcc_lo, v[212:213], v[220:221]
                                        ; implicit-def: $vgpr212_vgpr213
	s_and_saveexec_b32 s3, vcc_lo
	s_xor_b32 s3, exec_lo, s3
                                        ; implicit-def: $vgpr220_vgpr221_vgpr222_vgpr223
	s_cbranch_execz .LBB113_257
; %bb.256:
	v_div_scale_f64 v[212:213], null, v[218:219], v[218:219], v[216:217]
	v_div_scale_f64 v[224:225], vcc_lo, v[216:217], v[218:219], v[216:217]
	s_delay_alu instid0(VALU_DEP_2) | instskip(SKIP_2) | instid1(VALU_DEP_1)
	v_rcp_f64_e32 v[220:221], v[212:213]
	s_waitcnt_depctr 0xfff
	v_fma_f64 v[222:223], -v[212:213], v[220:221], 1.0
	v_fma_f64 v[220:221], v[220:221], v[222:223], v[220:221]
	s_delay_alu instid0(VALU_DEP_1) | instskip(NEXT) | instid1(VALU_DEP_1)
	v_fma_f64 v[222:223], -v[212:213], v[220:221], 1.0
	v_fma_f64 v[220:221], v[220:221], v[222:223], v[220:221]
	s_delay_alu instid0(VALU_DEP_1) | instskip(NEXT) | instid1(VALU_DEP_1)
	v_mul_f64 v[222:223], v[224:225], v[220:221]
	v_fma_f64 v[212:213], -v[212:213], v[222:223], v[224:225]
	s_delay_alu instid0(VALU_DEP_1) | instskip(NEXT) | instid1(VALU_DEP_1)
	v_div_fmas_f64 v[212:213], v[212:213], v[220:221], v[222:223]
	v_div_fixup_f64 v[212:213], v[212:213], v[218:219], v[216:217]
	s_delay_alu instid0(VALU_DEP_1) | instskip(NEXT) | instid1(VALU_DEP_1)
	v_fma_f64 v[216:217], v[216:217], v[212:213], v[218:219]
	v_div_scale_f64 v[218:219], null, v[216:217], v[216:217], 1.0
	s_delay_alu instid0(VALU_DEP_1) | instskip(SKIP_2) | instid1(VALU_DEP_1)
	v_rcp_f64_e32 v[220:221], v[218:219]
	s_waitcnt_depctr 0xfff
	v_fma_f64 v[222:223], -v[218:219], v[220:221], 1.0
	v_fma_f64 v[220:221], v[220:221], v[222:223], v[220:221]
	s_delay_alu instid0(VALU_DEP_1) | instskip(NEXT) | instid1(VALU_DEP_1)
	v_fma_f64 v[222:223], -v[218:219], v[220:221], 1.0
	v_fma_f64 v[220:221], v[220:221], v[222:223], v[220:221]
	v_div_scale_f64 v[222:223], vcc_lo, 1.0, v[216:217], 1.0
	s_delay_alu instid0(VALU_DEP_1) | instskip(NEXT) | instid1(VALU_DEP_1)
	v_mul_f64 v[224:225], v[222:223], v[220:221]
	v_fma_f64 v[218:219], -v[218:219], v[224:225], v[222:223]
	s_delay_alu instid0(VALU_DEP_1) | instskip(NEXT) | instid1(VALU_DEP_1)
	v_div_fmas_f64 v[218:219], v[218:219], v[220:221], v[224:225]
	v_div_fixup_f64 v[222:223], v[218:219], v[216:217], 1.0
                                        ; implicit-def: $vgpr216_vgpr217
	s_delay_alu instid0(VALU_DEP_1)
	v_mul_f64 v[212:213], v[212:213], v[222:223]
	v_xor_b32_e32 v223, 0x80000000, v223
.LBB113_257:
	s_and_not1_saveexec_b32 s3, s3
	s_cbranch_execz .LBB113_259
; %bb.258:
	v_div_scale_f64 v[212:213], null, v[216:217], v[216:217], v[218:219]
	v_div_scale_f64 v[224:225], vcc_lo, v[218:219], v[216:217], v[218:219]
	s_delay_alu instid0(VALU_DEP_2) | instskip(SKIP_2) | instid1(VALU_DEP_1)
	v_rcp_f64_e32 v[220:221], v[212:213]
	s_waitcnt_depctr 0xfff
	v_fma_f64 v[222:223], -v[212:213], v[220:221], 1.0
	v_fma_f64 v[220:221], v[220:221], v[222:223], v[220:221]
	s_delay_alu instid0(VALU_DEP_1) | instskip(NEXT) | instid1(VALU_DEP_1)
	v_fma_f64 v[222:223], -v[212:213], v[220:221], 1.0
	v_fma_f64 v[220:221], v[220:221], v[222:223], v[220:221]
	s_delay_alu instid0(VALU_DEP_1) | instskip(NEXT) | instid1(VALU_DEP_1)
	v_mul_f64 v[222:223], v[224:225], v[220:221]
	v_fma_f64 v[212:213], -v[212:213], v[222:223], v[224:225]
	s_delay_alu instid0(VALU_DEP_1) | instskip(NEXT) | instid1(VALU_DEP_1)
	v_div_fmas_f64 v[212:213], v[212:213], v[220:221], v[222:223]
	v_div_fixup_f64 v[220:221], v[212:213], v[216:217], v[218:219]
	s_delay_alu instid0(VALU_DEP_1) | instskip(NEXT) | instid1(VALU_DEP_1)
	v_fma_f64 v[212:213], v[218:219], v[220:221], v[216:217]
	v_div_scale_f64 v[216:217], null, v[212:213], v[212:213], 1.0
	s_delay_alu instid0(VALU_DEP_1) | instskip(SKIP_2) | instid1(VALU_DEP_1)
	v_rcp_f64_e32 v[218:219], v[216:217]
	s_waitcnt_depctr 0xfff
	v_fma_f64 v[222:223], -v[216:217], v[218:219], 1.0
	v_fma_f64 v[218:219], v[218:219], v[222:223], v[218:219]
	s_delay_alu instid0(VALU_DEP_1) | instskip(NEXT) | instid1(VALU_DEP_1)
	v_fma_f64 v[222:223], -v[216:217], v[218:219], 1.0
	v_fma_f64 v[218:219], v[218:219], v[222:223], v[218:219]
	v_div_scale_f64 v[222:223], vcc_lo, 1.0, v[212:213], 1.0
	s_delay_alu instid0(VALU_DEP_1) | instskip(NEXT) | instid1(VALU_DEP_1)
	v_mul_f64 v[224:225], v[222:223], v[218:219]
	v_fma_f64 v[216:217], -v[216:217], v[224:225], v[222:223]
	s_delay_alu instid0(VALU_DEP_1) | instskip(NEXT) | instid1(VALU_DEP_1)
	v_div_fmas_f64 v[216:217], v[216:217], v[218:219], v[224:225]
	v_div_fixup_f64 v[212:213], v[216:217], v[212:213], 1.0
	s_delay_alu instid0(VALU_DEP_1)
	v_mul_f64 v[222:223], v[220:221], -v[212:213]
.LBB113_259:
	s_or_b32 exec_lo, exec_lo, s3
	ds_store_2addr_b64 v251, v[212:213], v[222:223] offset1:1
.LBB113_260:
	s_or_b32 exec_lo, exec_lo, s4
	s_waitcnt lgkmcnt(0)
	s_barrier
	buffer_gl0_inv
	ds_load_2addr_b64 v[208:211], v251 offset1:1
	s_mov_b32 s3, exec_lo
	s_waitcnt lgkmcnt(0)
	scratch_store_b128 off, v[208:211], off offset:976 ; 16-byte Folded Spill
	v_cmpx_lt_u32_e32 28, v248
	s_cbranch_execz .LBB113_262
; %bb.261:
	scratch_load_b128 v[208:211], off, off offset:976 ; 16-byte Folded Reload
	ds_load_2addr_b64 v[218:221], v214 offset0:58 offset1:59
	s_waitcnt vmcnt(0)
	v_mul_f64 v[212:213], v[210:211], v[114:115]
	v_mul_f64 v[114:115], v[208:209], v[114:115]
	s_delay_alu instid0(VALU_DEP_2) | instskip(NEXT) | instid1(VALU_DEP_2)
	v_fma_f64 v[216:217], v[208:209], v[112:113], -v[212:213]
	v_fma_f64 v[114:115], v[210:211], v[112:113], v[114:115]
	s_waitcnt lgkmcnt(0)
	s_delay_alu instid0(VALU_DEP_1) | instskip(SKIP_1) | instid1(VALU_DEP_2)
	v_mul_f64 v[112:113], v[220:221], v[114:115]
	v_mul_f64 v[212:213], v[218:219], v[114:115]
	v_fma_f64 v[112:113], v[218:219], v[216:217], -v[112:113]
	s_delay_alu instid0(VALU_DEP_2)
	v_fma_f64 v[212:213], v[220:221], v[216:217], v[212:213]
	ds_load_2addr_b64 v[218:221], v214 offset0:60 offset1:61
	v_add_f64 v[108:109], v[108:109], -v[112:113]
	v_add_f64 v[110:111], v[110:111], -v[212:213]
	s_waitcnt lgkmcnt(0)
	v_mul_f64 v[112:113], v[220:221], v[114:115]
	v_mul_f64 v[212:213], v[218:219], v[114:115]
	s_delay_alu instid0(VALU_DEP_2) | instskip(NEXT) | instid1(VALU_DEP_2)
	v_fma_f64 v[112:113], v[218:219], v[216:217], -v[112:113]
	v_fma_f64 v[212:213], v[220:221], v[216:217], v[212:213]
	ds_load_2addr_b64 v[218:221], v214 offset0:62 offset1:63
	v_add_f64 v[104:105], v[104:105], -v[112:113]
	v_add_f64 v[106:107], v[106:107], -v[212:213]
	s_waitcnt lgkmcnt(0)
	v_mul_f64 v[112:113], v[220:221], v[114:115]
	v_mul_f64 v[212:213], v[218:219], v[114:115]
	s_delay_alu instid0(VALU_DEP_2) | instskip(NEXT) | instid1(VALU_DEP_2)
	v_fma_f64 v[112:113], v[218:219], v[216:217], -v[112:113]
	;; [unrolled: 9-line block ×27, first 2 shown]
	v_fma_f64 v[212:213], v[220:221], v[216:217], v[212:213]
	s_delay_alu instid0(VALU_DEP_2) | instskip(NEXT) | instid1(VALU_DEP_2)
	v_add_f64 v[0:1], v[0:1], -v[112:113]
	v_add_f64 v[2:3], v[2:3], -v[212:213]
	v_dual_mov_b32 v112, v216 :: v_dual_mov_b32 v113, v217
.LBB113_262:
	s_or_b32 exec_lo, exec_lo, s3
	s_delay_alu instid0(SALU_CYCLE_1)
	s_mov_b32 s4, exec_lo
	s_waitcnt_vscnt null, 0x0
	s_barrier
	buffer_gl0_inv
	v_cmpx_eq_u32_e32 29, v248
	s_cbranch_execz .LBB113_269
; %bb.263:
	ds_store_2addr_b64 v251, v[108:109], v[110:111] offset1:1
	ds_store_2addr_b64 v214, v[104:105], v[106:107] offset0:60 offset1:61
	ds_store_2addr_b64 v214, v[100:101], v[102:103] offset0:62 offset1:63
	;; [unrolled: 1-line block ×27, first 2 shown]
	ds_load_2addr_b64 v[216:219], v251 offset1:1
	s_waitcnt lgkmcnt(0)
	v_cmp_neq_f64_e32 vcc_lo, 0, v[216:217]
	v_cmp_neq_f64_e64 s3, 0, v[218:219]
	s_delay_alu instid0(VALU_DEP_1) | instskip(NEXT) | instid1(SALU_CYCLE_1)
	s_or_b32 s3, vcc_lo, s3
	s_and_b32 exec_lo, exec_lo, s3
	s_cbranch_execz .LBB113_269
; %bb.264:
	v_cmp_gt_f64_e32 vcc_lo, 0, v[216:217]
	v_xor_b32_e32 v208, 0x80000000, v217
	s_delay_alu instid0(VALU_DEP_1) | instskip(SKIP_3) | instid1(VALU_DEP_1)
	v_cndmask_b32_e32 v213, v217, v208, vcc_lo
	v_cndmask_b32_e32 v212, v216, v216, vcc_lo
	v_cmp_gt_f64_e32 vcc_lo, 0, v[218:219]
	v_xor_b32_e32 v208, 0x80000000, v219
	v_dual_cndmask_b32 v220, v218, v218 :: v_dual_cndmask_b32 v221, v219, v208
	s_delay_alu instid0(VALU_DEP_1) | instskip(SKIP_1) | instid1(SALU_CYCLE_1)
	v_cmp_ngt_f64_e32 vcc_lo, v[212:213], v[220:221]
                                        ; implicit-def: $vgpr212_vgpr213
	s_and_saveexec_b32 s3, vcc_lo
	s_xor_b32 s3, exec_lo, s3
                                        ; implicit-def: $vgpr220_vgpr221_vgpr222_vgpr223
	s_cbranch_execz .LBB113_266
; %bb.265:
	v_div_scale_f64 v[212:213], null, v[218:219], v[218:219], v[216:217]
	v_div_scale_f64 v[224:225], vcc_lo, v[216:217], v[218:219], v[216:217]
	s_delay_alu instid0(VALU_DEP_2) | instskip(SKIP_2) | instid1(VALU_DEP_1)
	v_rcp_f64_e32 v[220:221], v[212:213]
	s_waitcnt_depctr 0xfff
	v_fma_f64 v[222:223], -v[212:213], v[220:221], 1.0
	v_fma_f64 v[220:221], v[220:221], v[222:223], v[220:221]
	s_delay_alu instid0(VALU_DEP_1) | instskip(NEXT) | instid1(VALU_DEP_1)
	v_fma_f64 v[222:223], -v[212:213], v[220:221], 1.0
	v_fma_f64 v[220:221], v[220:221], v[222:223], v[220:221]
	s_delay_alu instid0(VALU_DEP_1) | instskip(NEXT) | instid1(VALU_DEP_1)
	v_mul_f64 v[222:223], v[224:225], v[220:221]
	v_fma_f64 v[212:213], -v[212:213], v[222:223], v[224:225]
	s_delay_alu instid0(VALU_DEP_1) | instskip(NEXT) | instid1(VALU_DEP_1)
	v_div_fmas_f64 v[212:213], v[212:213], v[220:221], v[222:223]
	v_div_fixup_f64 v[212:213], v[212:213], v[218:219], v[216:217]
	s_delay_alu instid0(VALU_DEP_1) | instskip(NEXT) | instid1(VALU_DEP_1)
	v_fma_f64 v[216:217], v[216:217], v[212:213], v[218:219]
	v_div_scale_f64 v[218:219], null, v[216:217], v[216:217], 1.0
	s_delay_alu instid0(VALU_DEP_1) | instskip(SKIP_2) | instid1(VALU_DEP_1)
	v_rcp_f64_e32 v[220:221], v[218:219]
	s_waitcnt_depctr 0xfff
	v_fma_f64 v[222:223], -v[218:219], v[220:221], 1.0
	v_fma_f64 v[220:221], v[220:221], v[222:223], v[220:221]
	s_delay_alu instid0(VALU_DEP_1) | instskip(NEXT) | instid1(VALU_DEP_1)
	v_fma_f64 v[222:223], -v[218:219], v[220:221], 1.0
	v_fma_f64 v[220:221], v[220:221], v[222:223], v[220:221]
	v_div_scale_f64 v[222:223], vcc_lo, 1.0, v[216:217], 1.0
	s_delay_alu instid0(VALU_DEP_1) | instskip(NEXT) | instid1(VALU_DEP_1)
	v_mul_f64 v[224:225], v[222:223], v[220:221]
	v_fma_f64 v[218:219], -v[218:219], v[224:225], v[222:223]
	s_delay_alu instid0(VALU_DEP_1) | instskip(NEXT) | instid1(VALU_DEP_1)
	v_div_fmas_f64 v[218:219], v[218:219], v[220:221], v[224:225]
	v_div_fixup_f64 v[222:223], v[218:219], v[216:217], 1.0
                                        ; implicit-def: $vgpr216_vgpr217
	s_delay_alu instid0(VALU_DEP_1)
	v_mul_f64 v[212:213], v[212:213], v[222:223]
	v_xor_b32_e32 v223, 0x80000000, v223
.LBB113_266:
	s_and_not1_saveexec_b32 s3, s3
	s_cbranch_execz .LBB113_268
; %bb.267:
	v_div_scale_f64 v[212:213], null, v[216:217], v[216:217], v[218:219]
	v_div_scale_f64 v[224:225], vcc_lo, v[218:219], v[216:217], v[218:219]
	s_delay_alu instid0(VALU_DEP_2) | instskip(SKIP_2) | instid1(VALU_DEP_1)
	v_rcp_f64_e32 v[220:221], v[212:213]
	s_waitcnt_depctr 0xfff
	v_fma_f64 v[222:223], -v[212:213], v[220:221], 1.0
	v_fma_f64 v[220:221], v[220:221], v[222:223], v[220:221]
	s_delay_alu instid0(VALU_DEP_1) | instskip(NEXT) | instid1(VALU_DEP_1)
	v_fma_f64 v[222:223], -v[212:213], v[220:221], 1.0
	v_fma_f64 v[220:221], v[220:221], v[222:223], v[220:221]
	s_delay_alu instid0(VALU_DEP_1) | instskip(NEXT) | instid1(VALU_DEP_1)
	v_mul_f64 v[222:223], v[224:225], v[220:221]
	v_fma_f64 v[212:213], -v[212:213], v[222:223], v[224:225]
	s_delay_alu instid0(VALU_DEP_1) | instskip(NEXT) | instid1(VALU_DEP_1)
	v_div_fmas_f64 v[212:213], v[212:213], v[220:221], v[222:223]
	v_div_fixup_f64 v[220:221], v[212:213], v[216:217], v[218:219]
	s_delay_alu instid0(VALU_DEP_1) | instskip(NEXT) | instid1(VALU_DEP_1)
	v_fma_f64 v[212:213], v[218:219], v[220:221], v[216:217]
	v_div_scale_f64 v[216:217], null, v[212:213], v[212:213], 1.0
	s_delay_alu instid0(VALU_DEP_1) | instskip(SKIP_2) | instid1(VALU_DEP_1)
	v_rcp_f64_e32 v[218:219], v[216:217]
	s_waitcnt_depctr 0xfff
	v_fma_f64 v[222:223], -v[216:217], v[218:219], 1.0
	v_fma_f64 v[218:219], v[218:219], v[222:223], v[218:219]
	s_delay_alu instid0(VALU_DEP_1) | instskip(NEXT) | instid1(VALU_DEP_1)
	v_fma_f64 v[222:223], -v[216:217], v[218:219], 1.0
	v_fma_f64 v[218:219], v[218:219], v[222:223], v[218:219]
	v_div_scale_f64 v[222:223], vcc_lo, 1.0, v[212:213], 1.0
	s_delay_alu instid0(VALU_DEP_1) | instskip(NEXT) | instid1(VALU_DEP_1)
	v_mul_f64 v[224:225], v[222:223], v[218:219]
	v_fma_f64 v[216:217], -v[216:217], v[224:225], v[222:223]
	s_delay_alu instid0(VALU_DEP_1) | instskip(NEXT) | instid1(VALU_DEP_1)
	v_div_fmas_f64 v[216:217], v[216:217], v[218:219], v[224:225]
	v_div_fixup_f64 v[212:213], v[216:217], v[212:213], 1.0
	s_delay_alu instid0(VALU_DEP_1)
	v_mul_f64 v[222:223], v[220:221], -v[212:213]
.LBB113_268:
	s_or_b32 exec_lo, exec_lo, s3
	ds_store_2addr_b64 v251, v[212:213], v[222:223] offset1:1
.LBB113_269:
	s_or_b32 exec_lo, exec_lo, s4
	s_waitcnt lgkmcnt(0)
	s_barrier
	buffer_gl0_inv
	ds_load_2addr_b64 v[208:211], v251 offset1:1
	s_mov_b32 s3, exec_lo
	s_waitcnt lgkmcnt(0)
	scratch_store_b128 off, v[208:211], off offset:992 ; 16-byte Folded Spill
	v_cmpx_lt_u32_e32 29, v248
	s_cbranch_execz .LBB113_271
; %bb.270:
	scratch_load_b128 v[208:211], off, off offset:992 ; 16-byte Folded Reload
	ds_load_2addr_b64 v[218:221], v214 offset0:60 offset1:61
	s_waitcnt vmcnt(0)
	v_mul_f64 v[212:213], v[210:211], v[110:111]
	v_mul_f64 v[110:111], v[208:209], v[110:111]
	s_delay_alu instid0(VALU_DEP_2) | instskip(NEXT) | instid1(VALU_DEP_2)
	v_fma_f64 v[216:217], v[208:209], v[108:109], -v[212:213]
	v_fma_f64 v[110:111], v[210:211], v[108:109], v[110:111]
	s_waitcnt lgkmcnt(0)
	s_delay_alu instid0(VALU_DEP_1) | instskip(SKIP_1) | instid1(VALU_DEP_2)
	v_mul_f64 v[108:109], v[220:221], v[110:111]
	v_mul_f64 v[212:213], v[218:219], v[110:111]
	v_fma_f64 v[108:109], v[218:219], v[216:217], -v[108:109]
	s_delay_alu instid0(VALU_DEP_2)
	v_fma_f64 v[212:213], v[220:221], v[216:217], v[212:213]
	ds_load_2addr_b64 v[218:221], v214 offset0:62 offset1:63
	v_add_f64 v[104:105], v[104:105], -v[108:109]
	v_add_f64 v[106:107], v[106:107], -v[212:213]
	s_waitcnt lgkmcnt(0)
	v_mul_f64 v[108:109], v[220:221], v[110:111]
	v_mul_f64 v[212:213], v[218:219], v[110:111]
	s_delay_alu instid0(VALU_DEP_2) | instskip(NEXT) | instid1(VALU_DEP_2)
	v_fma_f64 v[108:109], v[218:219], v[216:217], -v[108:109]
	v_fma_f64 v[212:213], v[220:221], v[216:217], v[212:213]
	ds_load_2addr_b64 v[218:221], v214 offset0:64 offset1:65
	v_add_f64 v[100:101], v[100:101], -v[108:109]
	v_add_f64 v[102:103], v[102:103], -v[212:213]
	s_waitcnt lgkmcnt(0)
	v_mul_f64 v[108:109], v[220:221], v[110:111]
	v_mul_f64 v[212:213], v[218:219], v[110:111]
	s_delay_alu instid0(VALU_DEP_2) | instskip(NEXT) | instid1(VALU_DEP_2)
	v_fma_f64 v[108:109], v[218:219], v[216:217], -v[108:109]
	;; [unrolled: 9-line block ×26, first 2 shown]
	v_fma_f64 v[212:213], v[220:221], v[216:217], v[212:213]
	s_delay_alu instid0(VALU_DEP_2) | instskip(NEXT) | instid1(VALU_DEP_2)
	v_add_f64 v[0:1], v[0:1], -v[108:109]
	v_add_f64 v[2:3], v[2:3], -v[212:213]
	v_dual_mov_b32 v108, v216 :: v_dual_mov_b32 v109, v217
.LBB113_271:
	s_or_b32 exec_lo, exec_lo, s3
	s_delay_alu instid0(SALU_CYCLE_1)
	s_mov_b32 s4, exec_lo
	s_waitcnt_vscnt null, 0x0
	s_barrier
	buffer_gl0_inv
	v_cmpx_eq_u32_e32 30, v248
	s_cbranch_execz .LBB113_278
; %bb.272:
	ds_store_2addr_b64 v251, v[104:105], v[106:107] offset1:1
	ds_store_2addr_b64 v214, v[100:101], v[102:103] offset0:62 offset1:63
	ds_store_2addr_b64 v214, v[96:97], v[98:99] offset0:64 offset1:65
	;; [unrolled: 1-line block ×26, first 2 shown]
	ds_load_2addr_b64 v[216:219], v251 offset1:1
	s_waitcnt lgkmcnt(0)
	v_cmp_neq_f64_e32 vcc_lo, 0, v[216:217]
	v_cmp_neq_f64_e64 s3, 0, v[218:219]
	s_delay_alu instid0(VALU_DEP_1) | instskip(NEXT) | instid1(SALU_CYCLE_1)
	s_or_b32 s3, vcc_lo, s3
	s_and_b32 exec_lo, exec_lo, s3
	s_cbranch_execz .LBB113_278
; %bb.273:
	v_cmp_gt_f64_e32 vcc_lo, 0, v[216:217]
	v_xor_b32_e32 v208, 0x80000000, v217
	s_delay_alu instid0(VALU_DEP_1) | instskip(SKIP_3) | instid1(VALU_DEP_1)
	v_cndmask_b32_e32 v213, v217, v208, vcc_lo
	v_cndmask_b32_e32 v212, v216, v216, vcc_lo
	v_cmp_gt_f64_e32 vcc_lo, 0, v[218:219]
	v_xor_b32_e32 v208, 0x80000000, v219
	v_dual_cndmask_b32 v220, v218, v218 :: v_dual_cndmask_b32 v221, v219, v208
	s_delay_alu instid0(VALU_DEP_1) | instskip(SKIP_1) | instid1(SALU_CYCLE_1)
	v_cmp_ngt_f64_e32 vcc_lo, v[212:213], v[220:221]
                                        ; implicit-def: $vgpr212_vgpr213
	s_and_saveexec_b32 s3, vcc_lo
	s_xor_b32 s3, exec_lo, s3
                                        ; implicit-def: $vgpr220_vgpr221_vgpr222_vgpr223
	s_cbranch_execz .LBB113_275
; %bb.274:
	v_div_scale_f64 v[212:213], null, v[218:219], v[218:219], v[216:217]
	v_div_scale_f64 v[224:225], vcc_lo, v[216:217], v[218:219], v[216:217]
	s_delay_alu instid0(VALU_DEP_2) | instskip(SKIP_2) | instid1(VALU_DEP_1)
	v_rcp_f64_e32 v[220:221], v[212:213]
	s_waitcnt_depctr 0xfff
	v_fma_f64 v[222:223], -v[212:213], v[220:221], 1.0
	v_fma_f64 v[220:221], v[220:221], v[222:223], v[220:221]
	s_delay_alu instid0(VALU_DEP_1) | instskip(NEXT) | instid1(VALU_DEP_1)
	v_fma_f64 v[222:223], -v[212:213], v[220:221], 1.0
	v_fma_f64 v[220:221], v[220:221], v[222:223], v[220:221]
	s_delay_alu instid0(VALU_DEP_1) | instskip(NEXT) | instid1(VALU_DEP_1)
	v_mul_f64 v[222:223], v[224:225], v[220:221]
	v_fma_f64 v[212:213], -v[212:213], v[222:223], v[224:225]
	s_delay_alu instid0(VALU_DEP_1) | instskip(NEXT) | instid1(VALU_DEP_1)
	v_div_fmas_f64 v[212:213], v[212:213], v[220:221], v[222:223]
	v_div_fixup_f64 v[212:213], v[212:213], v[218:219], v[216:217]
	s_delay_alu instid0(VALU_DEP_1) | instskip(NEXT) | instid1(VALU_DEP_1)
	v_fma_f64 v[216:217], v[216:217], v[212:213], v[218:219]
	v_div_scale_f64 v[218:219], null, v[216:217], v[216:217], 1.0
	s_delay_alu instid0(VALU_DEP_1) | instskip(SKIP_2) | instid1(VALU_DEP_1)
	v_rcp_f64_e32 v[220:221], v[218:219]
	s_waitcnt_depctr 0xfff
	v_fma_f64 v[222:223], -v[218:219], v[220:221], 1.0
	v_fma_f64 v[220:221], v[220:221], v[222:223], v[220:221]
	s_delay_alu instid0(VALU_DEP_1) | instskip(NEXT) | instid1(VALU_DEP_1)
	v_fma_f64 v[222:223], -v[218:219], v[220:221], 1.0
	v_fma_f64 v[220:221], v[220:221], v[222:223], v[220:221]
	v_div_scale_f64 v[222:223], vcc_lo, 1.0, v[216:217], 1.0
	s_delay_alu instid0(VALU_DEP_1) | instskip(NEXT) | instid1(VALU_DEP_1)
	v_mul_f64 v[224:225], v[222:223], v[220:221]
	v_fma_f64 v[218:219], -v[218:219], v[224:225], v[222:223]
	s_delay_alu instid0(VALU_DEP_1) | instskip(NEXT) | instid1(VALU_DEP_1)
	v_div_fmas_f64 v[218:219], v[218:219], v[220:221], v[224:225]
	v_div_fixup_f64 v[222:223], v[218:219], v[216:217], 1.0
                                        ; implicit-def: $vgpr216_vgpr217
	s_delay_alu instid0(VALU_DEP_1)
	v_mul_f64 v[212:213], v[212:213], v[222:223]
	v_xor_b32_e32 v223, 0x80000000, v223
.LBB113_275:
	s_and_not1_saveexec_b32 s3, s3
	s_cbranch_execz .LBB113_277
; %bb.276:
	v_div_scale_f64 v[212:213], null, v[216:217], v[216:217], v[218:219]
	v_div_scale_f64 v[224:225], vcc_lo, v[218:219], v[216:217], v[218:219]
	s_delay_alu instid0(VALU_DEP_2) | instskip(SKIP_2) | instid1(VALU_DEP_1)
	v_rcp_f64_e32 v[220:221], v[212:213]
	s_waitcnt_depctr 0xfff
	v_fma_f64 v[222:223], -v[212:213], v[220:221], 1.0
	v_fma_f64 v[220:221], v[220:221], v[222:223], v[220:221]
	s_delay_alu instid0(VALU_DEP_1) | instskip(NEXT) | instid1(VALU_DEP_1)
	v_fma_f64 v[222:223], -v[212:213], v[220:221], 1.0
	v_fma_f64 v[220:221], v[220:221], v[222:223], v[220:221]
	s_delay_alu instid0(VALU_DEP_1) | instskip(NEXT) | instid1(VALU_DEP_1)
	v_mul_f64 v[222:223], v[224:225], v[220:221]
	v_fma_f64 v[212:213], -v[212:213], v[222:223], v[224:225]
	s_delay_alu instid0(VALU_DEP_1) | instskip(NEXT) | instid1(VALU_DEP_1)
	v_div_fmas_f64 v[212:213], v[212:213], v[220:221], v[222:223]
	v_div_fixup_f64 v[220:221], v[212:213], v[216:217], v[218:219]
	s_delay_alu instid0(VALU_DEP_1) | instskip(NEXT) | instid1(VALU_DEP_1)
	v_fma_f64 v[212:213], v[218:219], v[220:221], v[216:217]
	v_div_scale_f64 v[216:217], null, v[212:213], v[212:213], 1.0
	s_delay_alu instid0(VALU_DEP_1) | instskip(SKIP_2) | instid1(VALU_DEP_1)
	v_rcp_f64_e32 v[218:219], v[216:217]
	s_waitcnt_depctr 0xfff
	v_fma_f64 v[222:223], -v[216:217], v[218:219], 1.0
	v_fma_f64 v[218:219], v[218:219], v[222:223], v[218:219]
	s_delay_alu instid0(VALU_DEP_1) | instskip(NEXT) | instid1(VALU_DEP_1)
	v_fma_f64 v[222:223], -v[216:217], v[218:219], 1.0
	v_fma_f64 v[218:219], v[218:219], v[222:223], v[218:219]
	v_div_scale_f64 v[222:223], vcc_lo, 1.0, v[212:213], 1.0
	s_delay_alu instid0(VALU_DEP_1) | instskip(NEXT) | instid1(VALU_DEP_1)
	v_mul_f64 v[224:225], v[222:223], v[218:219]
	v_fma_f64 v[216:217], -v[216:217], v[224:225], v[222:223]
	s_delay_alu instid0(VALU_DEP_1) | instskip(NEXT) | instid1(VALU_DEP_1)
	v_div_fmas_f64 v[216:217], v[216:217], v[218:219], v[224:225]
	v_div_fixup_f64 v[212:213], v[216:217], v[212:213], 1.0
	s_delay_alu instid0(VALU_DEP_1)
	v_mul_f64 v[222:223], v[220:221], -v[212:213]
.LBB113_277:
	s_or_b32 exec_lo, exec_lo, s3
	ds_store_2addr_b64 v251, v[212:213], v[222:223] offset1:1
.LBB113_278:
	s_or_b32 exec_lo, exec_lo, s4
	s_waitcnt lgkmcnt(0)
	s_barrier
	buffer_gl0_inv
	ds_load_2addr_b64 v[208:211], v251 offset1:1
	s_mov_b32 s3, exec_lo
	s_waitcnt lgkmcnt(0)
	scratch_store_b128 off, v[208:211], off offset:1008 ; 16-byte Folded Spill
	v_cmpx_lt_u32_e32 30, v248
	s_cbranch_execz .LBB113_280
; %bb.279:
	scratch_load_b128 v[208:211], off, off offset:1008 ; 16-byte Folded Reload
	ds_load_2addr_b64 v[218:221], v214 offset0:62 offset1:63
	s_waitcnt vmcnt(0)
	v_mul_f64 v[212:213], v[210:211], v[106:107]
	v_mul_f64 v[106:107], v[208:209], v[106:107]
	s_delay_alu instid0(VALU_DEP_2) | instskip(NEXT) | instid1(VALU_DEP_2)
	v_fma_f64 v[216:217], v[208:209], v[104:105], -v[212:213]
	v_fma_f64 v[106:107], v[210:211], v[104:105], v[106:107]
	s_waitcnt lgkmcnt(0)
	s_delay_alu instid0(VALU_DEP_1) | instskip(SKIP_1) | instid1(VALU_DEP_2)
	v_mul_f64 v[104:105], v[220:221], v[106:107]
	v_mul_f64 v[212:213], v[218:219], v[106:107]
	v_fma_f64 v[104:105], v[218:219], v[216:217], -v[104:105]
	s_delay_alu instid0(VALU_DEP_2)
	v_fma_f64 v[212:213], v[220:221], v[216:217], v[212:213]
	ds_load_2addr_b64 v[218:221], v214 offset0:64 offset1:65
	v_add_f64 v[100:101], v[100:101], -v[104:105]
	v_add_f64 v[102:103], v[102:103], -v[212:213]
	s_waitcnt lgkmcnt(0)
	v_mul_f64 v[104:105], v[220:221], v[106:107]
	v_mul_f64 v[212:213], v[218:219], v[106:107]
	s_delay_alu instid0(VALU_DEP_2) | instskip(NEXT) | instid1(VALU_DEP_2)
	v_fma_f64 v[104:105], v[218:219], v[216:217], -v[104:105]
	v_fma_f64 v[212:213], v[220:221], v[216:217], v[212:213]
	ds_load_2addr_b64 v[218:221], v214 offset0:66 offset1:67
	v_add_f64 v[96:97], v[96:97], -v[104:105]
	v_add_f64 v[98:99], v[98:99], -v[212:213]
	s_waitcnt lgkmcnt(0)
	v_mul_f64 v[104:105], v[220:221], v[106:107]
	v_mul_f64 v[212:213], v[218:219], v[106:107]
	s_delay_alu instid0(VALU_DEP_2) | instskip(NEXT) | instid1(VALU_DEP_2)
	v_fma_f64 v[104:105], v[218:219], v[216:217], -v[104:105]
	v_fma_f64 v[212:213], v[220:221], v[216:217], v[212:213]
	ds_load_2addr_b64 v[218:221], v214 offset0:68 offset1:69
	v_add_f64 v[92:93], v[92:93], -v[104:105]
	v_add_f64 v[94:95], v[94:95], -v[212:213]
	s_waitcnt lgkmcnt(0)
	v_mul_f64 v[104:105], v[220:221], v[106:107]
	v_mul_f64 v[212:213], v[218:219], v[106:107]
	s_delay_alu instid0(VALU_DEP_2) | instskip(NEXT) | instid1(VALU_DEP_2)
	v_fma_f64 v[104:105], v[218:219], v[216:217], -v[104:105]
	v_fma_f64 v[212:213], v[220:221], v[216:217], v[212:213]
	ds_load_2addr_b64 v[218:221], v214 offset0:70 offset1:71
	v_add_f64 v[88:89], v[88:89], -v[104:105]
	v_add_f64 v[90:91], v[90:91], -v[212:213]
	s_waitcnt lgkmcnt(0)
	v_mul_f64 v[104:105], v[220:221], v[106:107]
	v_mul_f64 v[212:213], v[218:219], v[106:107]
	s_delay_alu instid0(VALU_DEP_2) | instskip(NEXT) | instid1(VALU_DEP_2)
	v_fma_f64 v[104:105], v[218:219], v[216:217], -v[104:105]
	v_fma_f64 v[212:213], v[220:221], v[216:217], v[212:213]
	ds_load_2addr_b64 v[218:221], v214 offset0:72 offset1:73
	v_add_f64 v[84:85], v[84:85], -v[104:105]
	v_add_f64 v[86:87], v[86:87], -v[212:213]
	s_waitcnt lgkmcnt(0)
	v_mul_f64 v[104:105], v[220:221], v[106:107]
	v_mul_f64 v[212:213], v[218:219], v[106:107]
	s_delay_alu instid0(VALU_DEP_2) | instskip(NEXT) | instid1(VALU_DEP_2)
	v_fma_f64 v[104:105], v[218:219], v[216:217], -v[104:105]
	v_fma_f64 v[212:213], v[220:221], v[216:217], v[212:213]
	ds_load_2addr_b64 v[218:221], v214 offset0:74 offset1:75
	v_add_f64 v[80:81], v[80:81], -v[104:105]
	v_add_f64 v[82:83], v[82:83], -v[212:213]
	s_waitcnt lgkmcnt(0)
	v_mul_f64 v[104:105], v[220:221], v[106:107]
	v_mul_f64 v[212:213], v[218:219], v[106:107]
	s_delay_alu instid0(VALU_DEP_2) | instskip(NEXT) | instid1(VALU_DEP_2)
	v_fma_f64 v[104:105], v[218:219], v[216:217], -v[104:105]
	v_fma_f64 v[212:213], v[220:221], v[216:217], v[212:213]
	ds_load_2addr_b64 v[218:221], v214 offset0:76 offset1:77
	v_add_f64 v[76:77], v[76:77], -v[104:105]
	v_add_f64 v[78:79], v[78:79], -v[212:213]
	s_waitcnt lgkmcnt(0)
	v_mul_f64 v[104:105], v[220:221], v[106:107]
	v_mul_f64 v[212:213], v[218:219], v[106:107]
	s_delay_alu instid0(VALU_DEP_2) | instskip(NEXT) | instid1(VALU_DEP_2)
	v_fma_f64 v[104:105], v[218:219], v[216:217], -v[104:105]
	v_fma_f64 v[212:213], v[220:221], v[216:217], v[212:213]
	ds_load_2addr_b64 v[218:221], v214 offset0:78 offset1:79
	v_add_f64 v[72:73], v[72:73], -v[104:105]
	v_add_f64 v[74:75], v[74:75], -v[212:213]
	s_waitcnt lgkmcnt(0)
	v_mul_f64 v[104:105], v[220:221], v[106:107]
	v_mul_f64 v[212:213], v[218:219], v[106:107]
	s_delay_alu instid0(VALU_DEP_2) | instskip(NEXT) | instid1(VALU_DEP_2)
	v_fma_f64 v[104:105], v[218:219], v[216:217], -v[104:105]
	v_fma_f64 v[212:213], v[220:221], v[216:217], v[212:213]
	ds_load_2addr_b64 v[218:221], v214 offset0:80 offset1:81
	v_add_f64 v[68:69], v[68:69], -v[104:105]
	v_add_f64 v[70:71], v[70:71], -v[212:213]
	s_waitcnt lgkmcnt(0)
	v_mul_f64 v[104:105], v[220:221], v[106:107]
	v_mul_f64 v[212:213], v[218:219], v[106:107]
	s_delay_alu instid0(VALU_DEP_2) | instskip(NEXT) | instid1(VALU_DEP_2)
	v_fma_f64 v[104:105], v[218:219], v[216:217], -v[104:105]
	v_fma_f64 v[212:213], v[220:221], v[216:217], v[212:213]
	ds_load_2addr_b64 v[218:221], v214 offset0:82 offset1:83
	v_add_f64 v[64:65], v[64:65], -v[104:105]
	v_add_f64 v[66:67], v[66:67], -v[212:213]
	s_waitcnt lgkmcnt(0)
	v_mul_f64 v[104:105], v[220:221], v[106:107]
	v_mul_f64 v[212:213], v[218:219], v[106:107]
	s_delay_alu instid0(VALU_DEP_2) | instskip(NEXT) | instid1(VALU_DEP_2)
	v_fma_f64 v[104:105], v[218:219], v[216:217], -v[104:105]
	v_fma_f64 v[212:213], v[220:221], v[216:217], v[212:213]
	ds_load_2addr_b64 v[218:221], v214 offset0:84 offset1:85
	v_add_f64 v[60:61], v[60:61], -v[104:105]
	v_add_f64 v[62:63], v[62:63], -v[212:213]
	s_waitcnt lgkmcnt(0)
	v_mul_f64 v[104:105], v[220:221], v[106:107]
	v_mul_f64 v[212:213], v[218:219], v[106:107]
	s_delay_alu instid0(VALU_DEP_2) | instskip(NEXT) | instid1(VALU_DEP_2)
	v_fma_f64 v[104:105], v[218:219], v[216:217], -v[104:105]
	v_fma_f64 v[212:213], v[220:221], v[216:217], v[212:213]
	ds_load_2addr_b64 v[218:221], v214 offset0:86 offset1:87
	v_add_f64 v[56:57], v[56:57], -v[104:105]
	v_add_f64 v[58:59], v[58:59], -v[212:213]
	s_waitcnt lgkmcnt(0)
	v_mul_f64 v[104:105], v[220:221], v[106:107]
	v_mul_f64 v[212:213], v[218:219], v[106:107]
	s_delay_alu instid0(VALU_DEP_2) | instskip(NEXT) | instid1(VALU_DEP_2)
	v_fma_f64 v[104:105], v[218:219], v[216:217], -v[104:105]
	v_fma_f64 v[212:213], v[220:221], v[216:217], v[212:213]
	ds_load_2addr_b64 v[218:221], v214 offset0:88 offset1:89
	v_add_f64 v[52:53], v[52:53], -v[104:105]
	v_add_f64 v[54:55], v[54:55], -v[212:213]
	s_waitcnt lgkmcnt(0)
	v_mul_f64 v[104:105], v[220:221], v[106:107]
	v_mul_f64 v[212:213], v[218:219], v[106:107]
	s_delay_alu instid0(VALU_DEP_2) | instskip(NEXT) | instid1(VALU_DEP_2)
	v_fma_f64 v[104:105], v[218:219], v[216:217], -v[104:105]
	v_fma_f64 v[212:213], v[220:221], v[216:217], v[212:213]
	ds_load_2addr_b64 v[218:221], v214 offset0:90 offset1:91
	v_add_f64 v[48:49], v[48:49], -v[104:105]
	v_add_f64 v[50:51], v[50:51], -v[212:213]
	s_waitcnt lgkmcnt(0)
	v_mul_f64 v[104:105], v[220:221], v[106:107]
	v_mul_f64 v[212:213], v[218:219], v[106:107]
	s_delay_alu instid0(VALU_DEP_2) | instskip(NEXT) | instid1(VALU_DEP_2)
	v_fma_f64 v[104:105], v[218:219], v[216:217], -v[104:105]
	v_fma_f64 v[212:213], v[220:221], v[216:217], v[212:213]
	ds_load_2addr_b64 v[218:221], v214 offset0:92 offset1:93
	v_add_f64 v[44:45], v[44:45], -v[104:105]
	v_add_f64 v[46:47], v[46:47], -v[212:213]
	s_waitcnt lgkmcnt(0)
	v_mul_f64 v[104:105], v[220:221], v[106:107]
	v_mul_f64 v[212:213], v[218:219], v[106:107]
	s_delay_alu instid0(VALU_DEP_2) | instskip(NEXT) | instid1(VALU_DEP_2)
	v_fma_f64 v[104:105], v[218:219], v[216:217], -v[104:105]
	v_fma_f64 v[212:213], v[220:221], v[216:217], v[212:213]
	ds_load_2addr_b64 v[218:221], v214 offset0:94 offset1:95
	v_add_f64 v[40:41], v[40:41], -v[104:105]
	v_add_f64 v[42:43], v[42:43], -v[212:213]
	s_waitcnt lgkmcnt(0)
	v_mul_f64 v[104:105], v[220:221], v[106:107]
	v_mul_f64 v[212:213], v[218:219], v[106:107]
	s_delay_alu instid0(VALU_DEP_2) | instskip(NEXT) | instid1(VALU_DEP_2)
	v_fma_f64 v[104:105], v[218:219], v[216:217], -v[104:105]
	v_fma_f64 v[212:213], v[220:221], v[216:217], v[212:213]
	ds_load_2addr_b64 v[218:221], v214 offset0:96 offset1:97
	v_add_f64 v[36:37], v[36:37], -v[104:105]
	v_add_f64 v[38:39], v[38:39], -v[212:213]
	s_waitcnt lgkmcnt(0)
	v_mul_f64 v[104:105], v[220:221], v[106:107]
	v_mul_f64 v[212:213], v[218:219], v[106:107]
	s_delay_alu instid0(VALU_DEP_2) | instskip(NEXT) | instid1(VALU_DEP_2)
	v_fma_f64 v[104:105], v[218:219], v[216:217], -v[104:105]
	v_fma_f64 v[212:213], v[220:221], v[216:217], v[212:213]
	ds_load_2addr_b64 v[218:221], v214 offset0:98 offset1:99
	v_add_f64 v[32:33], v[32:33], -v[104:105]
	v_add_f64 v[34:35], v[34:35], -v[212:213]
	s_waitcnt lgkmcnt(0)
	v_mul_f64 v[104:105], v[220:221], v[106:107]
	v_mul_f64 v[212:213], v[218:219], v[106:107]
	s_delay_alu instid0(VALU_DEP_2) | instskip(NEXT) | instid1(VALU_DEP_2)
	v_fma_f64 v[104:105], v[218:219], v[216:217], -v[104:105]
	v_fma_f64 v[212:213], v[220:221], v[216:217], v[212:213]
	ds_load_2addr_b64 v[218:221], v214 offset0:100 offset1:101
	v_add_f64 v[28:29], v[28:29], -v[104:105]
	v_add_f64 v[30:31], v[30:31], -v[212:213]
	s_waitcnt lgkmcnt(0)
	v_mul_f64 v[104:105], v[220:221], v[106:107]
	v_mul_f64 v[212:213], v[218:219], v[106:107]
	s_delay_alu instid0(VALU_DEP_2) | instskip(NEXT) | instid1(VALU_DEP_2)
	v_fma_f64 v[104:105], v[218:219], v[216:217], -v[104:105]
	v_fma_f64 v[212:213], v[220:221], v[216:217], v[212:213]
	ds_load_2addr_b64 v[218:221], v214 offset0:102 offset1:103
	v_add_f64 v[24:25], v[24:25], -v[104:105]
	v_add_f64 v[26:27], v[26:27], -v[212:213]
	s_waitcnt lgkmcnt(0)
	v_mul_f64 v[104:105], v[220:221], v[106:107]
	v_mul_f64 v[212:213], v[218:219], v[106:107]
	s_delay_alu instid0(VALU_DEP_2) | instskip(NEXT) | instid1(VALU_DEP_2)
	v_fma_f64 v[104:105], v[218:219], v[216:217], -v[104:105]
	v_fma_f64 v[212:213], v[220:221], v[216:217], v[212:213]
	ds_load_2addr_b64 v[218:221], v214 offset0:104 offset1:105
	v_add_f64 v[20:21], v[20:21], -v[104:105]
	v_add_f64 v[22:23], v[22:23], -v[212:213]
	s_waitcnt lgkmcnt(0)
	v_mul_f64 v[104:105], v[220:221], v[106:107]
	v_mul_f64 v[212:213], v[218:219], v[106:107]
	s_delay_alu instid0(VALU_DEP_2) | instskip(NEXT) | instid1(VALU_DEP_2)
	v_fma_f64 v[104:105], v[218:219], v[216:217], -v[104:105]
	v_fma_f64 v[212:213], v[220:221], v[216:217], v[212:213]
	ds_load_2addr_b64 v[218:221], v214 offset0:106 offset1:107
	v_add_f64 v[16:17], v[16:17], -v[104:105]
	v_add_f64 v[18:19], v[18:19], -v[212:213]
	s_waitcnt lgkmcnt(0)
	v_mul_f64 v[104:105], v[220:221], v[106:107]
	v_mul_f64 v[212:213], v[218:219], v[106:107]
	s_delay_alu instid0(VALU_DEP_2) | instskip(NEXT) | instid1(VALU_DEP_2)
	v_fma_f64 v[104:105], v[218:219], v[216:217], -v[104:105]
	v_fma_f64 v[212:213], v[220:221], v[216:217], v[212:213]
	ds_load_2addr_b64 v[218:221], v214 offset0:108 offset1:109
	v_add_f64 v[12:13], v[12:13], -v[104:105]
	v_add_f64 v[14:15], v[14:15], -v[212:213]
	s_waitcnt lgkmcnt(0)
	v_mul_f64 v[104:105], v[220:221], v[106:107]
	v_mul_f64 v[212:213], v[218:219], v[106:107]
	s_delay_alu instid0(VALU_DEP_2) | instskip(NEXT) | instid1(VALU_DEP_2)
	v_fma_f64 v[104:105], v[218:219], v[216:217], -v[104:105]
	v_fma_f64 v[212:213], v[220:221], v[216:217], v[212:213]
	ds_load_2addr_b64 v[218:221], v214 offset0:110 offset1:111
	v_add_f64 v[8:9], v[8:9], -v[104:105]
	v_add_f64 v[10:11], v[10:11], -v[212:213]
	s_waitcnt lgkmcnt(0)
	v_mul_f64 v[104:105], v[220:221], v[106:107]
	v_mul_f64 v[212:213], v[218:219], v[106:107]
	s_delay_alu instid0(VALU_DEP_2) | instskip(NEXT) | instid1(VALU_DEP_2)
	v_fma_f64 v[104:105], v[218:219], v[216:217], -v[104:105]
	v_fma_f64 v[212:213], v[220:221], v[216:217], v[212:213]
	ds_load_2addr_b64 v[218:221], v214 offset0:112 offset1:113
	v_add_f64 v[4:5], v[4:5], -v[104:105]
	v_add_f64 v[6:7], v[6:7], -v[212:213]
	s_waitcnt lgkmcnt(0)
	v_mul_f64 v[104:105], v[220:221], v[106:107]
	v_mul_f64 v[212:213], v[218:219], v[106:107]
	s_delay_alu instid0(VALU_DEP_2) | instskip(NEXT) | instid1(VALU_DEP_2)
	v_fma_f64 v[104:105], v[218:219], v[216:217], -v[104:105]
	v_fma_f64 v[212:213], v[220:221], v[216:217], v[212:213]
	s_delay_alu instid0(VALU_DEP_2) | instskip(NEXT) | instid1(VALU_DEP_2)
	v_add_f64 v[0:1], v[0:1], -v[104:105]
	v_add_f64 v[2:3], v[2:3], -v[212:213]
	v_dual_mov_b32 v104, v216 :: v_dual_mov_b32 v105, v217
.LBB113_280:
	s_or_b32 exec_lo, exec_lo, s3
	s_delay_alu instid0(SALU_CYCLE_1)
	s_mov_b32 s4, exec_lo
	s_waitcnt_vscnt null, 0x0
	s_barrier
	buffer_gl0_inv
	v_cmpx_eq_u32_e32 31, v248
	s_cbranch_execz .LBB113_287
; %bb.281:
	ds_store_2addr_b64 v251, v[100:101], v[102:103] offset1:1
	ds_store_2addr_b64 v214, v[96:97], v[98:99] offset0:64 offset1:65
	ds_store_2addr_b64 v214, v[92:93], v[94:95] offset0:66 offset1:67
	ds_store_2addr_b64 v214, v[88:89], v[90:91] offset0:68 offset1:69
	ds_store_2addr_b64 v214, v[84:85], v[86:87] offset0:70 offset1:71
	ds_store_2addr_b64 v214, v[80:81], v[82:83] offset0:72 offset1:73
	ds_store_2addr_b64 v214, v[76:77], v[78:79] offset0:74 offset1:75
	ds_store_2addr_b64 v214, v[72:73], v[74:75] offset0:76 offset1:77
	ds_store_2addr_b64 v214, v[68:69], v[70:71] offset0:78 offset1:79
	ds_store_2addr_b64 v214, v[64:65], v[66:67] offset0:80 offset1:81
	ds_store_2addr_b64 v214, v[60:61], v[62:63] offset0:82 offset1:83
	ds_store_2addr_b64 v214, v[56:57], v[58:59] offset0:84 offset1:85
	ds_store_2addr_b64 v214, v[52:53], v[54:55] offset0:86 offset1:87
	ds_store_2addr_b64 v214, v[48:49], v[50:51] offset0:88 offset1:89
	ds_store_2addr_b64 v214, v[44:45], v[46:47] offset0:90 offset1:91
	ds_store_2addr_b64 v214, v[40:41], v[42:43] offset0:92 offset1:93
	ds_store_2addr_b64 v214, v[36:37], v[38:39] offset0:94 offset1:95
	ds_store_2addr_b64 v214, v[32:33], v[34:35] offset0:96 offset1:97
	ds_store_2addr_b64 v214, v[28:29], v[30:31] offset0:98 offset1:99
	ds_store_2addr_b64 v214, v[24:25], v[26:27] offset0:100 offset1:101
	ds_store_2addr_b64 v214, v[20:21], v[22:23] offset0:102 offset1:103
	ds_store_2addr_b64 v214, v[16:17], v[18:19] offset0:104 offset1:105
	ds_store_2addr_b64 v214, v[12:13], v[14:15] offset0:106 offset1:107
	ds_store_2addr_b64 v214, v[8:9], v[10:11] offset0:108 offset1:109
	ds_store_2addr_b64 v214, v[4:5], v[6:7] offset0:110 offset1:111
	ds_store_2addr_b64 v214, v[0:1], v[2:3] offset0:112 offset1:113
	ds_load_2addr_b64 v[216:219], v251 offset1:1
	s_waitcnt lgkmcnt(0)
	v_cmp_neq_f64_e32 vcc_lo, 0, v[216:217]
	v_cmp_neq_f64_e64 s3, 0, v[218:219]
	s_delay_alu instid0(VALU_DEP_1) | instskip(NEXT) | instid1(SALU_CYCLE_1)
	s_or_b32 s3, vcc_lo, s3
	s_and_b32 exec_lo, exec_lo, s3
	s_cbranch_execz .LBB113_287
; %bb.282:
	v_cmp_gt_f64_e32 vcc_lo, 0, v[216:217]
	v_xor_b32_e32 v208, 0x80000000, v217
	s_delay_alu instid0(VALU_DEP_1) | instskip(SKIP_3) | instid1(VALU_DEP_1)
	v_cndmask_b32_e32 v213, v217, v208, vcc_lo
	v_cndmask_b32_e32 v212, v216, v216, vcc_lo
	v_cmp_gt_f64_e32 vcc_lo, 0, v[218:219]
	v_xor_b32_e32 v208, 0x80000000, v219
	v_dual_cndmask_b32 v220, v218, v218 :: v_dual_cndmask_b32 v221, v219, v208
	s_delay_alu instid0(VALU_DEP_1) | instskip(SKIP_1) | instid1(SALU_CYCLE_1)
	v_cmp_ngt_f64_e32 vcc_lo, v[212:213], v[220:221]
                                        ; implicit-def: $vgpr212_vgpr213
	s_and_saveexec_b32 s3, vcc_lo
	s_xor_b32 s3, exec_lo, s3
                                        ; implicit-def: $vgpr220_vgpr221_vgpr222_vgpr223
	s_cbranch_execz .LBB113_284
; %bb.283:
	v_div_scale_f64 v[212:213], null, v[218:219], v[218:219], v[216:217]
	v_div_scale_f64 v[224:225], vcc_lo, v[216:217], v[218:219], v[216:217]
	s_delay_alu instid0(VALU_DEP_2) | instskip(SKIP_2) | instid1(VALU_DEP_1)
	v_rcp_f64_e32 v[220:221], v[212:213]
	s_waitcnt_depctr 0xfff
	v_fma_f64 v[222:223], -v[212:213], v[220:221], 1.0
	v_fma_f64 v[220:221], v[220:221], v[222:223], v[220:221]
	s_delay_alu instid0(VALU_DEP_1) | instskip(NEXT) | instid1(VALU_DEP_1)
	v_fma_f64 v[222:223], -v[212:213], v[220:221], 1.0
	v_fma_f64 v[220:221], v[220:221], v[222:223], v[220:221]
	s_delay_alu instid0(VALU_DEP_1) | instskip(NEXT) | instid1(VALU_DEP_1)
	v_mul_f64 v[222:223], v[224:225], v[220:221]
	v_fma_f64 v[212:213], -v[212:213], v[222:223], v[224:225]
	s_delay_alu instid0(VALU_DEP_1) | instskip(NEXT) | instid1(VALU_DEP_1)
	v_div_fmas_f64 v[212:213], v[212:213], v[220:221], v[222:223]
	v_div_fixup_f64 v[212:213], v[212:213], v[218:219], v[216:217]
	s_delay_alu instid0(VALU_DEP_1) | instskip(NEXT) | instid1(VALU_DEP_1)
	v_fma_f64 v[216:217], v[216:217], v[212:213], v[218:219]
	v_div_scale_f64 v[218:219], null, v[216:217], v[216:217], 1.0
	s_delay_alu instid0(VALU_DEP_1) | instskip(SKIP_2) | instid1(VALU_DEP_1)
	v_rcp_f64_e32 v[220:221], v[218:219]
	s_waitcnt_depctr 0xfff
	v_fma_f64 v[222:223], -v[218:219], v[220:221], 1.0
	v_fma_f64 v[220:221], v[220:221], v[222:223], v[220:221]
	s_delay_alu instid0(VALU_DEP_1) | instskip(NEXT) | instid1(VALU_DEP_1)
	v_fma_f64 v[222:223], -v[218:219], v[220:221], 1.0
	v_fma_f64 v[220:221], v[220:221], v[222:223], v[220:221]
	v_div_scale_f64 v[222:223], vcc_lo, 1.0, v[216:217], 1.0
	s_delay_alu instid0(VALU_DEP_1) | instskip(NEXT) | instid1(VALU_DEP_1)
	v_mul_f64 v[224:225], v[222:223], v[220:221]
	v_fma_f64 v[218:219], -v[218:219], v[224:225], v[222:223]
	s_delay_alu instid0(VALU_DEP_1) | instskip(NEXT) | instid1(VALU_DEP_1)
	v_div_fmas_f64 v[218:219], v[218:219], v[220:221], v[224:225]
	v_div_fixup_f64 v[222:223], v[218:219], v[216:217], 1.0
                                        ; implicit-def: $vgpr216_vgpr217
	s_delay_alu instid0(VALU_DEP_1)
	v_mul_f64 v[212:213], v[212:213], v[222:223]
	v_xor_b32_e32 v223, 0x80000000, v223
.LBB113_284:
	s_and_not1_saveexec_b32 s3, s3
	s_cbranch_execz .LBB113_286
; %bb.285:
	v_div_scale_f64 v[212:213], null, v[216:217], v[216:217], v[218:219]
	v_div_scale_f64 v[224:225], vcc_lo, v[218:219], v[216:217], v[218:219]
	s_delay_alu instid0(VALU_DEP_2) | instskip(SKIP_2) | instid1(VALU_DEP_1)
	v_rcp_f64_e32 v[220:221], v[212:213]
	s_waitcnt_depctr 0xfff
	v_fma_f64 v[222:223], -v[212:213], v[220:221], 1.0
	v_fma_f64 v[220:221], v[220:221], v[222:223], v[220:221]
	s_delay_alu instid0(VALU_DEP_1) | instskip(NEXT) | instid1(VALU_DEP_1)
	v_fma_f64 v[222:223], -v[212:213], v[220:221], 1.0
	v_fma_f64 v[220:221], v[220:221], v[222:223], v[220:221]
	s_delay_alu instid0(VALU_DEP_1) | instskip(NEXT) | instid1(VALU_DEP_1)
	v_mul_f64 v[222:223], v[224:225], v[220:221]
	v_fma_f64 v[212:213], -v[212:213], v[222:223], v[224:225]
	s_delay_alu instid0(VALU_DEP_1) | instskip(NEXT) | instid1(VALU_DEP_1)
	v_div_fmas_f64 v[212:213], v[212:213], v[220:221], v[222:223]
	v_div_fixup_f64 v[220:221], v[212:213], v[216:217], v[218:219]
	s_delay_alu instid0(VALU_DEP_1) | instskip(NEXT) | instid1(VALU_DEP_1)
	v_fma_f64 v[212:213], v[218:219], v[220:221], v[216:217]
	v_div_scale_f64 v[216:217], null, v[212:213], v[212:213], 1.0
	s_delay_alu instid0(VALU_DEP_1) | instskip(SKIP_2) | instid1(VALU_DEP_1)
	v_rcp_f64_e32 v[218:219], v[216:217]
	s_waitcnt_depctr 0xfff
	v_fma_f64 v[222:223], -v[216:217], v[218:219], 1.0
	v_fma_f64 v[218:219], v[218:219], v[222:223], v[218:219]
	s_delay_alu instid0(VALU_DEP_1) | instskip(NEXT) | instid1(VALU_DEP_1)
	v_fma_f64 v[222:223], -v[216:217], v[218:219], 1.0
	v_fma_f64 v[218:219], v[218:219], v[222:223], v[218:219]
	v_div_scale_f64 v[222:223], vcc_lo, 1.0, v[212:213], 1.0
	s_delay_alu instid0(VALU_DEP_1) | instskip(NEXT) | instid1(VALU_DEP_1)
	v_mul_f64 v[224:225], v[222:223], v[218:219]
	v_fma_f64 v[216:217], -v[216:217], v[224:225], v[222:223]
	s_delay_alu instid0(VALU_DEP_1) | instskip(NEXT) | instid1(VALU_DEP_1)
	v_div_fmas_f64 v[216:217], v[216:217], v[218:219], v[224:225]
	v_div_fixup_f64 v[212:213], v[216:217], v[212:213], 1.0
	s_delay_alu instid0(VALU_DEP_1)
	v_mul_f64 v[222:223], v[220:221], -v[212:213]
.LBB113_286:
	s_or_b32 exec_lo, exec_lo, s3
	ds_store_2addr_b64 v251, v[212:213], v[222:223] offset1:1
.LBB113_287:
	s_or_b32 exec_lo, exec_lo, s4
	s_waitcnt lgkmcnt(0)
	s_barrier
	buffer_gl0_inv
	ds_load_2addr_b64 v[208:211], v251 offset1:1
	s_mov_b32 s3, exec_lo
	s_waitcnt lgkmcnt(0)
	scratch_store_b128 off, v[208:211], off offset:1024 ; 16-byte Folded Spill
	v_cmpx_lt_u32_e32 31, v248
	s_cbranch_execz .LBB113_289
; %bb.288:
	scratch_load_b128 v[208:211], off, off offset:1024 ; 16-byte Folded Reload
	ds_load_2addr_b64 v[218:221], v214 offset0:64 offset1:65
	s_waitcnt vmcnt(0)
	v_mul_f64 v[212:213], v[210:211], v[102:103]
	v_mul_f64 v[102:103], v[208:209], v[102:103]
	s_delay_alu instid0(VALU_DEP_2) | instskip(NEXT) | instid1(VALU_DEP_2)
	v_fma_f64 v[216:217], v[208:209], v[100:101], -v[212:213]
	v_fma_f64 v[102:103], v[210:211], v[100:101], v[102:103]
	s_waitcnt lgkmcnt(0)
	s_delay_alu instid0(VALU_DEP_1) | instskip(SKIP_1) | instid1(VALU_DEP_2)
	v_mul_f64 v[100:101], v[220:221], v[102:103]
	v_mul_f64 v[212:213], v[218:219], v[102:103]
	v_fma_f64 v[100:101], v[218:219], v[216:217], -v[100:101]
	s_delay_alu instid0(VALU_DEP_2)
	v_fma_f64 v[212:213], v[220:221], v[216:217], v[212:213]
	ds_load_2addr_b64 v[218:221], v214 offset0:66 offset1:67
	v_add_f64 v[96:97], v[96:97], -v[100:101]
	v_add_f64 v[98:99], v[98:99], -v[212:213]
	s_waitcnt lgkmcnt(0)
	v_mul_f64 v[100:101], v[220:221], v[102:103]
	v_mul_f64 v[212:213], v[218:219], v[102:103]
	s_delay_alu instid0(VALU_DEP_2) | instskip(NEXT) | instid1(VALU_DEP_2)
	v_fma_f64 v[100:101], v[218:219], v[216:217], -v[100:101]
	v_fma_f64 v[212:213], v[220:221], v[216:217], v[212:213]
	ds_load_2addr_b64 v[218:221], v214 offset0:68 offset1:69
	v_add_f64 v[92:93], v[92:93], -v[100:101]
	v_add_f64 v[94:95], v[94:95], -v[212:213]
	s_waitcnt lgkmcnt(0)
	v_mul_f64 v[100:101], v[220:221], v[102:103]
	v_mul_f64 v[212:213], v[218:219], v[102:103]
	s_delay_alu instid0(VALU_DEP_2) | instskip(NEXT) | instid1(VALU_DEP_2)
	v_fma_f64 v[100:101], v[218:219], v[216:217], -v[100:101]
	;; [unrolled: 9-line block ×24, first 2 shown]
	v_fma_f64 v[212:213], v[220:221], v[216:217], v[212:213]
	s_delay_alu instid0(VALU_DEP_2) | instskip(NEXT) | instid1(VALU_DEP_2)
	v_add_f64 v[0:1], v[0:1], -v[100:101]
	v_add_f64 v[2:3], v[2:3], -v[212:213]
	v_dual_mov_b32 v100, v216 :: v_dual_mov_b32 v101, v217
.LBB113_289:
	s_or_b32 exec_lo, exec_lo, s3
	s_delay_alu instid0(SALU_CYCLE_1)
	s_mov_b32 s4, exec_lo
	s_waitcnt_vscnt null, 0x0
	s_barrier
	buffer_gl0_inv
	v_cmpx_eq_u32_e32 32, v248
	s_cbranch_execz .LBB113_296
; %bb.290:
	ds_store_2addr_b64 v251, v[96:97], v[98:99] offset1:1
	ds_store_2addr_b64 v214, v[92:93], v[94:95] offset0:66 offset1:67
	ds_store_2addr_b64 v214, v[88:89], v[90:91] offset0:68 offset1:69
	;; [unrolled: 1-line block ×24, first 2 shown]
	ds_load_2addr_b64 v[216:219], v251 offset1:1
	s_waitcnt lgkmcnt(0)
	v_cmp_neq_f64_e32 vcc_lo, 0, v[216:217]
	v_cmp_neq_f64_e64 s3, 0, v[218:219]
	s_delay_alu instid0(VALU_DEP_1) | instskip(NEXT) | instid1(SALU_CYCLE_1)
	s_or_b32 s3, vcc_lo, s3
	s_and_b32 exec_lo, exec_lo, s3
	s_cbranch_execz .LBB113_296
; %bb.291:
	v_cmp_gt_f64_e32 vcc_lo, 0, v[216:217]
	v_xor_b32_e32 v208, 0x80000000, v217
	s_delay_alu instid0(VALU_DEP_1) | instskip(SKIP_3) | instid1(VALU_DEP_1)
	v_cndmask_b32_e32 v213, v217, v208, vcc_lo
	v_cndmask_b32_e32 v212, v216, v216, vcc_lo
	v_cmp_gt_f64_e32 vcc_lo, 0, v[218:219]
	v_xor_b32_e32 v208, 0x80000000, v219
	v_dual_cndmask_b32 v220, v218, v218 :: v_dual_cndmask_b32 v221, v219, v208
	s_delay_alu instid0(VALU_DEP_1) | instskip(SKIP_1) | instid1(SALU_CYCLE_1)
	v_cmp_ngt_f64_e32 vcc_lo, v[212:213], v[220:221]
                                        ; implicit-def: $vgpr212_vgpr213
	s_and_saveexec_b32 s3, vcc_lo
	s_xor_b32 s3, exec_lo, s3
                                        ; implicit-def: $vgpr220_vgpr221_vgpr222_vgpr223
	s_cbranch_execz .LBB113_293
; %bb.292:
	v_div_scale_f64 v[212:213], null, v[218:219], v[218:219], v[216:217]
	v_div_scale_f64 v[224:225], vcc_lo, v[216:217], v[218:219], v[216:217]
	s_delay_alu instid0(VALU_DEP_2) | instskip(SKIP_2) | instid1(VALU_DEP_1)
	v_rcp_f64_e32 v[220:221], v[212:213]
	s_waitcnt_depctr 0xfff
	v_fma_f64 v[222:223], -v[212:213], v[220:221], 1.0
	v_fma_f64 v[220:221], v[220:221], v[222:223], v[220:221]
	s_delay_alu instid0(VALU_DEP_1) | instskip(NEXT) | instid1(VALU_DEP_1)
	v_fma_f64 v[222:223], -v[212:213], v[220:221], 1.0
	v_fma_f64 v[220:221], v[220:221], v[222:223], v[220:221]
	s_delay_alu instid0(VALU_DEP_1) | instskip(NEXT) | instid1(VALU_DEP_1)
	v_mul_f64 v[222:223], v[224:225], v[220:221]
	v_fma_f64 v[212:213], -v[212:213], v[222:223], v[224:225]
	s_delay_alu instid0(VALU_DEP_1) | instskip(NEXT) | instid1(VALU_DEP_1)
	v_div_fmas_f64 v[212:213], v[212:213], v[220:221], v[222:223]
	v_div_fixup_f64 v[212:213], v[212:213], v[218:219], v[216:217]
	s_delay_alu instid0(VALU_DEP_1) | instskip(NEXT) | instid1(VALU_DEP_1)
	v_fma_f64 v[216:217], v[216:217], v[212:213], v[218:219]
	v_div_scale_f64 v[218:219], null, v[216:217], v[216:217], 1.0
	s_delay_alu instid0(VALU_DEP_1) | instskip(SKIP_2) | instid1(VALU_DEP_1)
	v_rcp_f64_e32 v[220:221], v[218:219]
	s_waitcnt_depctr 0xfff
	v_fma_f64 v[222:223], -v[218:219], v[220:221], 1.0
	v_fma_f64 v[220:221], v[220:221], v[222:223], v[220:221]
	s_delay_alu instid0(VALU_DEP_1) | instskip(NEXT) | instid1(VALU_DEP_1)
	v_fma_f64 v[222:223], -v[218:219], v[220:221], 1.0
	v_fma_f64 v[220:221], v[220:221], v[222:223], v[220:221]
	v_div_scale_f64 v[222:223], vcc_lo, 1.0, v[216:217], 1.0
	s_delay_alu instid0(VALU_DEP_1) | instskip(NEXT) | instid1(VALU_DEP_1)
	v_mul_f64 v[224:225], v[222:223], v[220:221]
	v_fma_f64 v[218:219], -v[218:219], v[224:225], v[222:223]
	s_delay_alu instid0(VALU_DEP_1) | instskip(NEXT) | instid1(VALU_DEP_1)
	v_div_fmas_f64 v[218:219], v[218:219], v[220:221], v[224:225]
	v_div_fixup_f64 v[222:223], v[218:219], v[216:217], 1.0
                                        ; implicit-def: $vgpr216_vgpr217
	s_delay_alu instid0(VALU_DEP_1)
	v_mul_f64 v[212:213], v[212:213], v[222:223]
	v_xor_b32_e32 v223, 0x80000000, v223
.LBB113_293:
	s_and_not1_saveexec_b32 s3, s3
	s_cbranch_execz .LBB113_295
; %bb.294:
	v_div_scale_f64 v[212:213], null, v[216:217], v[216:217], v[218:219]
	v_div_scale_f64 v[224:225], vcc_lo, v[218:219], v[216:217], v[218:219]
	s_delay_alu instid0(VALU_DEP_2) | instskip(SKIP_2) | instid1(VALU_DEP_1)
	v_rcp_f64_e32 v[220:221], v[212:213]
	s_waitcnt_depctr 0xfff
	v_fma_f64 v[222:223], -v[212:213], v[220:221], 1.0
	v_fma_f64 v[220:221], v[220:221], v[222:223], v[220:221]
	s_delay_alu instid0(VALU_DEP_1) | instskip(NEXT) | instid1(VALU_DEP_1)
	v_fma_f64 v[222:223], -v[212:213], v[220:221], 1.0
	v_fma_f64 v[220:221], v[220:221], v[222:223], v[220:221]
	s_delay_alu instid0(VALU_DEP_1) | instskip(NEXT) | instid1(VALU_DEP_1)
	v_mul_f64 v[222:223], v[224:225], v[220:221]
	v_fma_f64 v[212:213], -v[212:213], v[222:223], v[224:225]
	s_delay_alu instid0(VALU_DEP_1) | instskip(NEXT) | instid1(VALU_DEP_1)
	v_div_fmas_f64 v[212:213], v[212:213], v[220:221], v[222:223]
	v_div_fixup_f64 v[220:221], v[212:213], v[216:217], v[218:219]
	s_delay_alu instid0(VALU_DEP_1) | instskip(NEXT) | instid1(VALU_DEP_1)
	v_fma_f64 v[212:213], v[218:219], v[220:221], v[216:217]
	v_div_scale_f64 v[216:217], null, v[212:213], v[212:213], 1.0
	s_delay_alu instid0(VALU_DEP_1) | instskip(SKIP_2) | instid1(VALU_DEP_1)
	v_rcp_f64_e32 v[218:219], v[216:217]
	s_waitcnt_depctr 0xfff
	v_fma_f64 v[222:223], -v[216:217], v[218:219], 1.0
	v_fma_f64 v[218:219], v[218:219], v[222:223], v[218:219]
	s_delay_alu instid0(VALU_DEP_1) | instskip(NEXT) | instid1(VALU_DEP_1)
	v_fma_f64 v[222:223], -v[216:217], v[218:219], 1.0
	v_fma_f64 v[218:219], v[218:219], v[222:223], v[218:219]
	v_div_scale_f64 v[222:223], vcc_lo, 1.0, v[212:213], 1.0
	s_delay_alu instid0(VALU_DEP_1) | instskip(NEXT) | instid1(VALU_DEP_1)
	v_mul_f64 v[224:225], v[222:223], v[218:219]
	v_fma_f64 v[216:217], -v[216:217], v[224:225], v[222:223]
	s_delay_alu instid0(VALU_DEP_1) | instskip(NEXT) | instid1(VALU_DEP_1)
	v_div_fmas_f64 v[216:217], v[216:217], v[218:219], v[224:225]
	v_div_fixup_f64 v[212:213], v[216:217], v[212:213], 1.0
	s_delay_alu instid0(VALU_DEP_1)
	v_mul_f64 v[222:223], v[220:221], -v[212:213]
.LBB113_295:
	s_or_b32 exec_lo, exec_lo, s3
	ds_store_2addr_b64 v251, v[212:213], v[222:223] offset1:1
.LBB113_296:
	s_or_b32 exec_lo, exec_lo, s4
	s_waitcnt lgkmcnt(0)
	s_barrier
	buffer_gl0_inv
	ds_load_2addr_b64 v[208:211], v251 offset1:1
	s_mov_b32 s3, exec_lo
	s_waitcnt lgkmcnt(0)
	scratch_store_b128 off, v[208:211], off offset:1040 ; 16-byte Folded Spill
	v_cmpx_lt_u32_e32 32, v248
	s_cbranch_execz .LBB113_298
; %bb.297:
	scratch_load_b128 v[208:211], off, off offset:1040 ; 16-byte Folded Reload
	ds_load_2addr_b64 v[218:221], v214 offset0:66 offset1:67
	s_waitcnt vmcnt(0)
	v_mul_f64 v[212:213], v[210:211], v[98:99]
	v_mul_f64 v[98:99], v[208:209], v[98:99]
	s_delay_alu instid0(VALU_DEP_2) | instskip(NEXT) | instid1(VALU_DEP_2)
	v_fma_f64 v[216:217], v[208:209], v[96:97], -v[212:213]
	v_fma_f64 v[98:99], v[210:211], v[96:97], v[98:99]
	s_waitcnt lgkmcnt(0)
	s_delay_alu instid0(VALU_DEP_1) | instskip(SKIP_1) | instid1(VALU_DEP_2)
	v_mul_f64 v[96:97], v[220:221], v[98:99]
	v_mul_f64 v[212:213], v[218:219], v[98:99]
	v_fma_f64 v[96:97], v[218:219], v[216:217], -v[96:97]
	s_delay_alu instid0(VALU_DEP_2)
	v_fma_f64 v[212:213], v[220:221], v[216:217], v[212:213]
	ds_load_2addr_b64 v[218:221], v214 offset0:68 offset1:69
	v_add_f64 v[92:93], v[92:93], -v[96:97]
	v_add_f64 v[94:95], v[94:95], -v[212:213]
	s_waitcnt lgkmcnt(0)
	v_mul_f64 v[96:97], v[220:221], v[98:99]
	v_mul_f64 v[212:213], v[218:219], v[98:99]
	s_delay_alu instid0(VALU_DEP_2) | instskip(NEXT) | instid1(VALU_DEP_2)
	v_fma_f64 v[96:97], v[218:219], v[216:217], -v[96:97]
	v_fma_f64 v[212:213], v[220:221], v[216:217], v[212:213]
	ds_load_2addr_b64 v[218:221], v214 offset0:70 offset1:71
	v_add_f64 v[88:89], v[88:89], -v[96:97]
	v_add_f64 v[90:91], v[90:91], -v[212:213]
	s_waitcnt lgkmcnt(0)
	v_mul_f64 v[96:97], v[220:221], v[98:99]
	v_mul_f64 v[212:213], v[218:219], v[98:99]
	s_delay_alu instid0(VALU_DEP_2) | instskip(NEXT) | instid1(VALU_DEP_2)
	v_fma_f64 v[96:97], v[218:219], v[216:217], -v[96:97]
	;; [unrolled: 9-line block ×23, first 2 shown]
	v_fma_f64 v[212:213], v[220:221], v[216:217], v[212:213]
	s_delay_alu instid0(VALU_DEP_2) | instskip(NEXT) | instid1(VALU_DEP_2)
	v_add_f64 v[0:1], v[0:1], -v[96:97]
	v_add_f64 v[2:3], v[2:3], -v[212:213]
	v_dual_mov_b32 v96, v216 :: v_dual_mov_b32 v97, v217
.LBB113_298:
	s_or_b32 exec_lo, exec_lo, s3
	s_delay_alu instid0(SALU_CYCLE_1)
	s_mov_b32 s4, exec_lo
	s_waitcnt_vscnt null, 0x0
	s_barrier
	buffer_gl0_inv
	v_cmpx_eq_u32_e32 33, v248
	s_cbranch_execz .LBB113_305
; %bb.299:
	ds_store_2addr_b64 v251, v[92:93], v[94:95] offset1:1
	ds_store_2addr_b64 v214, v[88:89], v[90:91] offset0:68 offset1:69
	ds_store_2addr_b64 v214, v[84:85], v[86:87] offset0:70 offset1:71
	;; [unrolled: 1-line block ×23, first 2 shown]
	ds_load_2addr_b64 v[216:219], v251 offset1:1
	s_waitcnt lgkmcnt(0)
	v_cmp_neq_f64_e32 vcc_lo, 0, v[216:217]
	v_cmp_neq_f64_e64 s3, 0, v[218:219]
	s_delay_alu instid0(VALU_DEP_1) | instskip(NEXT) | instid1(SALU_CYCLE_1)
	s_or_b32 s3, vcc_lo, s3
	s_and_b32 exec_lo, exec_lo, s3
	s_cbranch_execz .LBB113_305
; %bb.300:
	v_cmp_gt_f64_e32 vcc_lo, 0, v[216:217]
	v_xor_b32_e32 v208, 0x80000000, v217
	s_delay_alu instid0(VALU_DEP_1) | instskip(SKIP_3) | instid1(VALU_DEP_1)
	v_cndmask_b32_e32 v213, v217, v208, vcc_lo
	v_cndmask_b32_e32 v212, v216, v216, vcc_lo
	v_cmp_gt_f64_e32 vcc_lo, 0, v[218:219]
	v_xor_b32_e32 v208, 0x80000000, v219
	v_dual_cndmask_b32 v220, v218, v218 :: v_dual_cndmask_b32 v221, v219, v208
	s_delay_alu instid0(VALU_DEP_1) | instskip(SKIP_1) | instid1(SALU_CYCLE_1)
	v_cmp_ngt_f64_e32 vcc_lo, v[212:213], v[220:221]
                                        ; implicit-def: $vgpr212_vgpr213
	s_and_saveexec_b32 s3, vcc_lo
	s_xor_b32 s3, exec_lo, s3
                                        ; implicit-def: $vgpr220_vgpr221_vgpr222_vgpr223
	s_cbranch_execz .LBB113_302
; %bb.301:
	v_div_scale_f64 v[212:213], null, v[218:219], v[218:219], v[216:217]
	v_div_scale_f64 v[224:225], vcc_lo, v[216:217], v[218:219], v[216:217]
	s_delay_alu instid0(VALU_DEP_2) | instskip(SKIP_2) | instid1(VALU_DEP_1)
	v_rcp_f64_e32 v[220:221], v[212:213]
	s_waitcnt_depctr 0xfff
	v_fma_f64 v[222:223], -v[212:213], v[220:221], 1.0
	v_fma_f64 v[220:221], v[220:221], v[222:223], v[220:221]
	s_delay_alu instid0(VALU_DEP_1) | instskip(NEXT) | instid1(VALU_DEP_1)
	v_fma_f64 v[222:223], -v[212:213], v[220:221], 1.0
	v_fma_f64 v[220:221], v[220:221], v[222:223], v[220:221]
	s_delay_alu instid0(VALU_DEP_1) | instskip(NEXT) | instid1(VALU_DEP_1)
	v_mul_f64 v[222:223], v[224:225], v[220:221]
	v_fma_f64 v[212:213], -v[212:213], v[222:223], v[224:225]
	s_delay_alu instid0(VALU_DEP_1) | instskip(NEXT) | instid1(VALU_DEP_1)
	v_div_fmas_f64 v[212:213], v[212:213], v[220:221], v[222:223]
	v_div_fixup_f64 v[212:213], v[212:213], v[218:219], v[216:217]
	s_delay_alu instid0(VALU_DEP_1) | instskip(NEXT) | instid1(VALU_DEP_1)
	v_fma_f64 v[216:217], v[216:217], v[212:213], v[218:219]
	v_div_scale_f64 v[218:219], null, v[216:217], v[216:217], 1.0
	s_delay_alu instid0(VALU_DEP_1) | instskip(SKIP_2) | instid1(VALU_DEP_1)
	v_rcp_f64_e32 v[220:221], v[218:219]
	s_waitcnt_depctr 0xfff
	v_fma_f64 v[222:223], -v[218:219], v[220:221], 1.0
	v_fma_f64 v[220:221], v[220:221], v[222:223], v[220:221]
	s_delay_alu instid0(VALU_DEP_1) | instskip(NEXT) | instid1(VALU_DEP_1)
	v_fma_f64 v[222:223], -v[218:219], v[220:221], 1.0
	v_fma_f64 v[220:221], v[220:221], v[222:223], v[220:221]
	v_div_scale_f64 v[222:223], vcc_lo, 1.0, v[216:217], 1.0
	s_delay_alu instid0(VALU_DEP_1) | instskip(NEXT) | instid1(VALU_DEP_1)
	v_mul_f64 v[224:225], v[222:223], v[220:221]
	v_fma_f64 v[218:219], -v[218:219], v[224:225], v[222:223]
	s_delay_alu instid0(VALU_DEP_1) | instskip(NEXT) | instid1(VALU_DEP_1)
	v_div_fmas_f64 v[218:219], v[218:219], v[220:221], v[224:225]
	v_div_fixup_f64 v[222:223], v[218:219], v[216:217], 1.0
                                        ; implicit-def: $vgpr216_vgpr217
	s_delay_alu instid0(VALU_DEP_1)
	v_mul_f64 v[212:213], v[212:213], v[222:223]
	v_xor_b32_e32 v223, 0x80000000, v223
.LBB113_302:
	s_and_not1_saveexec_b32 s3, s3
	s_cbranch_execz .LBB113_304
; %bb.303:
	v_div_scale_f64 v[212:213], null, v[216:217], v[216:217], v[218:219]
	v_div_scale_f64 v[224:225], vcc_lo, v[218:219], v[216:217], v[218:219]
	s_delay_alu instid0(VALU_DEP_2) | instskip(SKIP_2) | instid1(VALU_DEP_1)
	v_rcp_f64_e32 v[220:221], v[212:213]
	s_waitcnt_depctr 0xfff
	v_fma_f64 v[222:223], -v[212:213], v[220:221], 1.0
	v_fma_f64 v[220:221], v[220:221], v[222:223], v[220:221]
	s_delay_alu instid0(VALU_DEP_1) | instskip(NEXT) | instid1(VALU_DEP_1)
	v_fma_f64 v[222:223], -v[212:213], v[220:221], 1.0
	v_fma_f64 v[220:221], v[220:221], v[222:223], v[220:221]
	s_delay_alu instid0(VALU_DEP_1) | instskip(NEXT) | instid1(VALU_DEP_1)
	v_mul_f64 v[222:223], v[224:225], v[220:221]
	v_fma_f64 v[212:213], -v[212:213], v[222:223], v[224:225]
	s_delay_alu instid0(VALU_DEP_1) | instskip(NEXT) | instid1(VALU_DEP_1)
	v_div_fmas_f64 v[212:213], v[212:213], v[220:221], v[222:223]
	v_div_fixup_f64 v[220:221], v[212:213], v[216:217], v[218:219]
	s_delay_alu instid0(VALU_DEP_1) | instskip(NEXT) | instid1(VALU_DEP_1)
	v_fma_f64 v[212:213], v[218:219], v[220:221], v[216:217]
	v_div_scale_f64 v[216:217], null, v[212:213], v[212:213], 1.0
	s_delay_alu instid0(VALU_DEP_1) | instskip(SKIP_2) | instid1(VALU_DEP_1)
	v_rcp_f64_e32 v[218:219], v[216:217]
	s_waitcnt_depctr 0xfff
	v_fma_f64 v[222:223], -v[216:217], v[218:219], 1.0
	v_fma_f64 v[218:219], v[218:219], v[222:223], v[218:219]
	s_delay_alu instid0(VALU_DEP_1) | instskip(NEXT) | instid1(VALU_DEP_1)
	v_fma_f64 v[222:223], -v[216:217], v[218:219], 1.0
	v_fma_f64 v[218:219], v[218:219], v[222:223], v[218:219]
	v_div_scale_f64 v[222:223], vcc_lo, 1.0, v[212:213], 1.0
	s_delay_alu instid0(VALU_DEP_1) | instskip(NEXT) | instid1(VALU_DEP_1)
	v_mul_f64 v[224:225], v[222:223], v[218:219]
	v_fma_f64 v[216:217], -v[216:217], v[224:225], v[222:223]
	s_delay_alu instid0(VALU_DEP_1) | instskip(NEXT) | instid1(VALU_DEP_1)
	v_div_fmas_f64 v[216:217], v[216:217], v[218:219], v[224:225]
	v_div_fixup_f64 v[212:213], v[216:217], v[212:213], 1.0
	s_delay_alu instid0(VALU_DEP_1)
	v_mul_f64 v[222:223], v[220:221], -v[212:213]
.LBB113_304:
	s_or_b32 exec_lo, exec_lo, s3
	ds_store_2addr_b64 v251, v[212:213], v[222:223] offset1:1
.LBB113_305:
	s_or_b32 exec_lo, exec_lo, s4
	s_waitcnt lgkmcnt(0)
	s_barrier
	buffer_gl0_inv
	ds_load_2addr_b64 v[208:211], v251 offset1:1
	s_mov_b32 s3, exec_lo
	s_waitcnt lgkmcnt(0)
	scratch_store_b128 off, v[208:211], off offset:1064 ; 16-byte Folded Spill
	v_cmpx_lt_u32_e32 33, v248
	s_cbranch_execz .LBB113_307
; %bb.306:
	scratch_load_b128 v[208:211], off, off offset:1064 ; 16-byte Folded Reload
	ds_load_2addr_b64 v[218:221], v214 offset0:68 offset1:69
	s_waitcnt vmcnt(0)
	v_mul_f64 v[212:213], v[210:211], v[94:95]
	v_mul_f64 v[94:95], v[208:209], v[94:95]
	s_delay_alu instid0(VALU_DEP_2) | instskip(NEXT) | instid1(VALU_DEP_2)
	v_fma_f64 v[216:217], v[208:209], v[92:93], -v[212:213]
	v_fma_f64 v[94:95], v[210:211], v[92:93], v[94:95]
	s_waitcnt lgkmcnt(0)
	s_delay_alu instid0(VALU_DEP_1) | instskip(SKIP_1) | instid1(VALU_DEP_2)
	v_mul_f64 v[92:93], v[220:221], v[94:95]
	v_mul_f64 v[212:213], v[218:219], v[94:95]
	v_fma_f64 v[92:93], v[218:219], v[216:217], -v[92:93]
	s_delay_alu instid0(VALU_DEP_2)
	v_fma_f64 v[212:213], v[220:221], v[216:217], v[212:213]
	ds_load_2addr_b64 v[218:221], v214 offset0:70 offset1:71
	v_add_f64 v[88:89], v[88:89], -v[92:93]
	v_add_f64 v[90:91], v[90:91], -v[212:213]
	s_waitcnt lgkmcnt(0)
	v_mul_f64 v[92:93], v[220:221], v[94:95]
	v_mul_f64 v[212:213], v[218:219], v[94:95]
	s_delay_alu instid0(VALU_DEP_2) | instskip(NEXT) | instid1(VALU_DEP_2)
	v_fma_f64 v[92:93], v[218:219], v[216:217], -v[92:93]
	v_fma_f64 v[212:213], v[220:221], v[216:217], v[212:213]
	ds_load_2addr_b64 v[218:221], v214 offset0:72 offset1:73
	v_add_f64 v[84:85], v[84:85], -v[92:93]
	v_add_f64 v[86:87], v[86:87], -v[212:213]
	s_waitcnt lgkmcnt(0)
	v_mul_f64 v[92:93], v[220:221], v[94:95]
	v_mul_f64 v[212:213], v[218:219], v[94:95]
	s_delay_alu instid0(VALU_DEP_2) | instskip(NEXT) | instid1(VALU_DEP_2)
	v_fma_f64 v[92:93], v[218:219], v[216:217], -v[92:93]
	;; [unrolled: 9-line block ×22, first 2 shown]
	v_fma_f64 v[212:213], v[220:221], v[216:217], v[212:213]
	s_delay_alu instid0(VALU_DEP_2) | instskip(NEXT) | instid1(VALU_DEP_2)
	v_add_f64 v[0:1], v[0:1], -v[92:93]
	v_add_f64 v[2:3], v[2:3], -v[212:213]
	v_dual_mov_b32 v92, v216 :: v_dual_mov_b32 v93, v217
.LBB113_307:
	s_or_b32 exec_lo, exec_lo, s3
	s_delay_alu instid0(SALU_CYCLE_1)
	s_mov_b32 s4, exec_lo
	s_waitcnt_vscnt null, 0x0
	s_barrier
	buffer_gl0_inv
	v_cmpx_eq_u32_e32 34, v248
	s_cbranch_execz .LBB113_314
; %bb.308:
	ds_store_2addr_b64 v251, v[88:89], v[90:91] offset1:1
	ds_store_2addr_b64 v214, v[84:85], v[86:87] offset0:70 offset1:71
	ds_store_2addr_b64 v214, v[80:81], v[82:83] offset0:72 offset1:73
	;; [unrolled: 1-line block ×22, first 2 shown]
	ds_load_2addr_b64 v[216:219], v251 offset1:1
	s_waitcnt lgkmcnt(0)
	v_cmp_neq_f64_e32 vcc_lo, 0, v[216:217]
	v_cmp_neq_f64_e64 s3, 0, v[218:219]
	s_delay_alu instid0(VALU_DEP_1) | instskip(NEXT) | instid1(SALU_CYCLE_1)
	s_or_b32 s3, vcc_lo, s3
	s_and_b32 exec_lo, exec_lo, s3
	s_cbranch_execz .LBB113_314
; %bb.309:
	v_cmp_gt_f64_e32 vcc_lo, 0, v[216:217]
	v_xor_b32_e32 v208, 0x80000000, v217
	s_delay_alu instid0(VALU_DEP_1) | instskip(SKIP_3) | instid1(VALU_DEP_1)
	v_cndmask_b32_e32 v213, v217, v208, vcc_lo
	v_cndmask_b32_e32 v212, v216, v216, vcc_lo
	v_cmp_gt_f64_e32 vcc_lo, 0, v[218:219]
	v_xor_b32_e32 v208, 0x80000000, v219
	v_dual_cndmask_b32 v220, v218, v218 :: v_dual_cndmask_b32 v221, v219, v208
	s_delay_alu instid0(VALU_DEP_1) | instskip(SKIP_1) | instid1(SALU_CYCLE_1)
	v_cmp_ngt_f64_e32 vcc_lo, v[212:213], v[220:221]
                                        ; implicit-def: $vgpr212_vgpr213
	s_and_saveexec_b32 s3, vcc_lo
	s_xor_b32 s3, exec_lo, s3
                                        ; implicit-def: $vgpr220_vgpr221_vgpr222_vgpr223
	s_cbranch_execz .LBB113_311
; %bb.310:
	v_div_scale_f64 v[212:213], null, v[218:219], v[218:219], v[216:217]
	v_div_scale_f64 v[224:225], vcc_lo, v[216:217], v[218:219], v[216:217]
	s_delay_alu instid0(VALU_DEP_2) | instskip(SKIP_2) | instid1(VALU_DEP_1)
	v_rcp_f64_e32 v[220:221], v[212:213]
	s_waitcnt_depctr 0xfff
	v_fma_f64 v[222:223], -v[212:213], v[220:221], 1.0
	v_fma_f64 v[220:221], v[220:221], v[222:223], v[220:221]
	s_delay_alu instid0(VALU_DEP_1) | instskip(NEXT) | instid1(VALU_DEP_1)
	v_fma_f64 v[222:223], -v[212:213], v[220:221], 1.0
	v_fma_f64 v[220:221], v[220:221], v[222:223], v[220:221]
	s_delay_alu instid0(VALU_DEP_1) | instskip(NEXT) | instid1(VALU_DEP_1)
	v_mul_f64 v[222:223], v[224:225], v[220:221]
	v_fma_f64 v[212:213], -v[212:213], v[222:223], v[224:225]
	s_delay_alu instid0(VALU_DEP_1) | instskip(NEXT) | instid1(VALU_DEP_1)
	v_div_fmas_f64 v[212:213], v[212:213], v[220:221], v[222:223]
	v_div_fixup_f64 v[212:213], v[212:213], v[218:219], v[216:217]
	s_delay_alu instid0(VALU_DEP_1) | instskip(NEXT) | instid1(VALU_DEP_1)
	v_fma_f64 v[216:217], v[216:217], v[212:213], v[218:219]
	v_div_scale_f64 v[218:219], null, v[216:217], v[216:217], 1.0
	s_delay_alu instid0(VALU_DEP_1) | instskip(SKIP_2) | instid1(VALU_DEP_1)
	v_rcp_f64_e32 v[220:221], v[218:219]
	s_waitcnt_depctr 0xfff
	v_fma_f64 v[222:223], -v[218:219], v[220:221], 1.0
	v_fma_f64 v[220:221], v[220:221], v[222:223], v[220:221]
	s_delay_alu instid0(VALU_DEP_1) | instskip(NEXT) | instid1(VALU_DEP_1)
	v_fma_f64 v[222:223], -v[218:219], v[220:221], 1.0
	v_fma_f64 v[220:221], v[220:221], v[222:223], v[220:221]
	v_div_scale_f64 v[222:223], vcc_lo, 1.0, v[216:217], 1.0
	s_delay_alu instid0(VALU_DEP_1) | instskip(NEXT) | instid1(VALU_DEP_1)
	v_mul_f64 v[224:225], v[222:223], v[220:221]
	v_fma_f64 v[218:219], -v[218:219], v[224:225], v[222:223]
	s_delay_alu instid0(VALU_DEP_1) | instskip(NEXT) | instid1(VALU_DEP_1)
	v_div_fmas_f64 v[218:219], v[218:219], v[220:221], v[224:225]
	v_div_fixup_f64 v[222:223], v[218:219], v[216:217], 1.0
                                        ; implicit-def: $vgpr216_vgpr217
	s_delay_alu instid0(VALU_DEP_1)
	v_mul_f64 v[212:213], v[212:213], v[222:223]
	v_xor_b32_e32 v223, 0x80000000, v223
.LBB113_311:
	s_and_not1_saveexec_b32 s3, s3
	s_cbranch_execz .LBB113_313
; %bb.312:
	v_div_scale_f64 v[212:213], null, v[216:217], v[216:217], v[218:219]
	v_div_scale_f64 v[224:225], vcc_lo, v[218:219], v[216:217], v[218:219]
	s_delay_alu instid0(VALU_DEP_2) | instskip(SKIP_2) | instid1(VALU_DEP_1)
	v_rcp_f64_e32 v[220:221], v[212:213]
	s_waitcnt_depctr 0xfff
	v_fma_f64 v[222:223], -v[212:213], v[220:221], 1.0
	v_fma_f64 v[220:221], v[220:221], v[222:223], v[220:221]
	s_delay_alu instid0(VALU_DEP_1) | instskip(NEXT) | instid1(VALU_DEP_1)
	v_fma_f64 v[222:223], -v[212:213], v[220:221], 1.0
	v_fma_f64 v[220:221], v[220:221], v[222:223], v[220:221]
	s_delay_alu instid0(VALU_DEP_1) | instskip(NEXT) | instid1(VALU_DEP_1)
	v_mul_f64 v[222:223], v[224:225], v[220:221]
	v_fma_f64 v[212:213], -v[212:213], v[222:223], v[224:225]
	s_delay_alu instid0(VALU_DEP_1) | instskip(NEXT) | instid1(VALU_DEP_1)
	v_div_fmas_f64 v[212:213], v[212:213], v[220:221], v[222:223]
	v_div_fixup_f64 v[220:221], v[212:213], v[216:217], v[218:219]
	s_delay_alu instid0(VALU_DEP_1) | instskip(NEXT) | instid1(VALU_DEP_1)
	v_fma_f64 v[212:213], v[218:219], v[220:221], v[216:217]
	v_div_scale_f64 v[216:217], null, v[212:213], v[212:213], 1.0
	s_delay_alu instid0(VALU_DEP_1) | instskip(SKIP_2) | instid1(VALU_DEP_1)
	v_rcp_f64_e32 v[218:219], v[216:217]
	s_waitcnt_depctr 0xfff
	v_fma_f64 v[222:223], -v[216:217], v[218:219], 1.0
	v_fma_f64 v[218:219], v[218:219], v[222:223], v[218:219]
	s_delay_alu instid0(VALU_DEP_1) | instskip(NEXT) | instid1(VALU_DEP_1)
	v_fma_f64 v[222:223], -v[216:217], v[218:219], 1.0
	v_fma_f64 v[218:219], v[218:219], v[222:223], v[218:219]
	v_div_scale_f64 v[222:223], vcc_lo, 1.0, v[212:213], 1.0
	s_delay_alu instid0(VALU_DEP_1) | instskip(NEXT) | instid1(VALU_DEP_1)
	v_mul_f64 v[224:225], v[222:223], v[218:219]
	v_fma_f64 v[216:217], -v[216:217], v[224:225], v[222:223]
	s_delay_alu instid0(VALU_DEP_1) | instskip(NEXT) | instid1(VALU_DEP_1)
	v_div_fmas_f64 v[216:217], v[216:217], v[218:219], v[224:225]
	v_div_fixup_f64 v[212:213], v[216:217], v[212:213], 1.0
	s_delay_alu instid0(VALU_DEP_1)
	v_mul_f64 v[222:223], v[220:221], -v[212:213]
.LBB113_313:
	s_or_b32 exec_lo, exec_lo, s3
	ds_store_2addr_b64 v251, v[212:213], v[222:223] offset1:1
.LBB113_314:
	s_or_b32 exec_lo, exec_lo, s4
	s_waitcnt lgkmcnt(0)
	s_barrier
	buffer_gl0_inv
	ds_load_2addr_b64 v[208:211], v251 offset1:1
	s_mov_b32 s3, exec_lo
	s_waitcnt lgkmcnt(0)
	scratch_store_b128 off, v[208:211], off offset:1080 ; 16-byte Folded Spill
	v_cmpx_lt_u32_e32 34, v248
	s_cbranch_execz .LBB113_316
; %bb.315:
	scratch_load_b128 v[208:211], off, off offset:1080 ; 16-byte Folded Reload
	ds_load_2addr_b64 v[218:221], v214 offset0:70 offset1:71
	s_waitcnt vmcnt(0)
	v_mul_f64 v[212:213], v[210:211], v[90:91]
	v_mul_f64 v[90:91], v[208:209], v[90:91]
	s_delay_alu instid0(VALU_DEP_2) | instskip(NEXT) | instid1(VALU_DEP_2)
	v_fma_f64 v[216:217], v[208:209], v[88:89], -v[212:213]
	v_fma_f64 v[90:91], v[210:211], v[88:89], v[90:91]
	s_waitcnt lgkmcnt(0)
	s_delay_alu instid0(VALU_DEP_1) | instskip(SKIP_1) | instid1(VALU_DEP_2)
	v_mul_f64 v[88:89], v[220:221], v[90:91]
	v_mul_f64 v[212:213], v[218:219], v[90:91]
	v_fma_f64 v[88:89], v[218:219], v[216:217], -v[88:89]
	s_delay_alu instid0(VALU_DEP_2)
	v_fma_f64 v[212:213], v[220:221], v[216:217], v[212:213]
	ds_load_2addr_b64 v[218:221], v214 offset0:72 offset1:73
	v_add_f64 v[84:85], v[84:85], -v[88:89]
	v_add_f64 v[86:87], v[86:87], -v[212:213]
	s_waitcnt lgkmcnt(0)
	v_mul_f64 v[88:89], v[220:221], v[90:91]
	v_mul_f64 v[212:213], v[218:219], v[90:91]
	s_delay_alu instid0(VALU_DEP_2) | instskip(NEXT) | instid1(VALU_DEP_2)
	v_fma_f64 v[88:89], v[218:219], v[216:217], -v[88:89]
	v_fma_f64 v[212:213], v[220:221], v[216:217], v[212:213]
	ds_load_2addr_b64 v[218:221], v214 offset0:74 offset1:75
	v_add_f64 v[80:81], v[80:81], -v[88:89]
	v_add_f64 v[82:83], v[82:83], -v[212:213]
	s_waitcnt lgkmcnt(0)
	v_mul_f64 v[88:89], v[220:221], v[90:91]
	v_mul_f64 v[212:213], v[218:219], v[90:91]
	s_delay_alu instid0(VALU_DEP_2) | instskip(NEXT) | instid1(VALU_DEP_2)
	v_fma_f64 v[88:89], v[218:219], v[216:217], -v[88:89]
	;; [unrolled: 9-line block ×21, first 2 shown]
	v_fma_f64 v[212:213], v[220:221], v[216:217], v[212:213]
	s_delay_alu instid0(VALU_DEP_2) | instskip(NEXT) | instid1(VALU_DEP_2)
	v_add_f64 v[0:1], v[0:1], -v[88:89]
	v_add_f64 v[2:3], v[2:3], -v[212:213]
	v_dual_mov_b32 v88, v216 :: v_dual_mov_b32 v89, v217
.LBB113_316:
	s_or_b32 exec_lo, exec_lo, s3
	s_delay_alu instid0(SALU_CYCLE_1)
	s_mov_b32 s4, exec_lo
	s_waitcnt_vscnt null, 0x0
	s_barrier
	buffer_gl0_inv
	v_cmpx_eq_u32_e32 35, v248
	s_cbranch_execz .LBB113_323
; %bb.317:
	ds_store_2addr_b64 v251, v[84:85], v[86:87] offset1:1
	ds_store_2addr_b64 v214, v[80:81], v[82:83] offset0:72 offset1:73
	ds_store_2addr_b64 v214, v[76:77], v[78:79] offset0:74 offset1:75
	;; [unrolled: 1-line block ×21, first 2 shown]
	ds_load_2addr_b64 v[216:219], v251 offset1:1
	s_waitcnt lgkmcnt(0)
	v_cmp_neq_f64_e32 vcc_lo, 0, v[216:217]
	v_cmp_neq_f64_e64 s3, 0, v[218:219]
	s_delay_alu instid0(VALU_DEP_1) | instskip(NEXT) | instid1(SALU_CYCLE_1)
	s_or_b32 s3, vcc_lo, s3
	s_and_b32 exec_lo, exec_lo, s3
	s_cbranch_execz .LBB113_323
; %bb.318:
	v_cmp_gt_f64_e32 vcc_lo, 0, v[216:217]
	v_xor_b32_e32 v208, 0x80000000, v217
	s_delay_alu instid0(VALU_DEP_1) | instskip(SKIP_3) | instid1(VALU_DEP_1)
	v_cndmask_b32_e32 v213, v217, v208, vcc_lo
	v_cndmask_b32_e32 v212, v216, v216, vcc_lo
	v_cmp_gt_f64_e32 vcc_lo, 0, v[218:219]
	v_xor_b32_e32 v208, 0x80000000, v219
	v_dual_cndmask_b32 v220, v218, v218 :: v_dual_cndmask_b32 v221, v219, v208
	s_delay_alu instid0(VALU_DEP_1) | instskip(SKIP_1) | instid1(SALU_CYCLE_1)
	v_cmp_ngt_f64_e32 vcc_lo, v[212:213], v[220:221]
                                        ; implicit-def: $vgpr212_vgpr213
	s_and_saveexec_b32 s3, vcc_lo
	s_xor_b32 s3, exec_lo, s3
                                        ; implicit-def: $vgpr220_vgpr221_vgpr222_vgpr223
	s_cbranch_execz .LBB113_320
; %bb.319:
	v_div_scale_f64 v[212:213], null, v[218:219], v[218:219], v[216:217]
	v_div_scale_f64 v[224:225], vcc_lo, v[216:217], v[218:219], v[216:217]
	s_delay_alu instid0(VALU_DEP_2) | instskip(SKIP_2) | instid1(VALU_DEP_1)
	v_rcp_f64_e32 v[220:221], v[212:213]
	s_waitcnt_depctr 0xfff
	v_fma_f64 v[222:223], -v[212:213], v[220:221], 1.0
	v_fma_f64 v[220:221], v[220:221], v[222:223], v[220:221]
	s_delay_alu instid0(VALU_DEP_1) | instskip(NEXT) | instid1(VALU_DEP_1)
	v_fma_f64 v[222:223], -v[212:213], v[220:221], 1.0
	v_fma_f64 v[220:221], v[220:221], v[222:223], v[220:221]
	s_delay_alu instid0(VALU_DEP_1) | instskip(NEXT) | instid1(VALU_DEP_1)
	v_mul_f64 v[222:223], v[224:225], v[220:221]
	v_fma_f64 v[212:213], -v[212:213], v[222:223], v[224:225]
	s_delay_alu instid0(VALU_DEP_1) | instskip(NEXT) | instid1(VALU_DEP_1)
	v_div_fmas_f64 v[212:213], v[212:213], v[220:221], v[222:223]
	v_div_fixup_f64 v[212:213], v[212:213], v[218:219], v[216:217]
	s_delay_alu instid0(VALU_DEP_1) | instskip(NEXT) | instid1(VALU_DEP_1)
	v_fma_f64 v[216:217], v[216:217], v[212:213], v[218:219]
	v_div_scale_f64 v[218:219], null, v[216:217], v[216:217], 1.0
	s_delay_alu instid0(VALU_DEP_1) | instskip(SKIP_2) | instid1(VALU_DEP_1)
	v_rcp_f64_e32 v[220:221], v[218:219]
	s_waitcnt_depctr 0xfff
	v_fma_f64 v[222:223], -v[218:219], v[220:221], 1.0
	v_fma_f64 v[220:221], v[220:221], v[222:223], v[220:221]
	s_delay_alu instid0(VALU_DEP_1) | instskip(NEXT) | instid1(VALU_DEP_1)
	v_fma_f64 v[222:223], -v[218:219], v[220:221], 1.0
	v_fma_f64 v[220:221], v[220:221], v[222:223], v[220:221]
	v_div_scale_f64 v[222:223], vcc_lo, 1.0, v[216:217], 1.0
	s_delay_alu instid0(VALU_DEP_1) | instskip(NEXT) | instid1(VALU_DEP_1)
	v_mul_f64 v[224:225], v[222:223], v[220:221]
	v_fma_f64 v[218:219], -v[218:219], v[224:225], v[222:223]
	s_delay_alu instid0(VALU_DEP_1) | instskip(NEXT) | instid1(VALU_DEP_1)
	v_div_fmas_f64 v[218:219], v[218:219], v[220:221], v[224:225]
	v_div_fixup_f64 v[222:223], v[218:219], v[216:217], 1.0
                                        ; implicit-def: $vgpr216_vgpr217
	s_delay_alu instid0(VALU_DEP_1)
	v_mul_f64 v[212:213], v[212:213], v[222:223]
	v_xor_b32_e32 v223, 0x80000000, v223
.LBB113_320:
	s_and_not1_saveexec_b32 s3, s3
	s_cbranch_execz .LBB113_322
; %bb.321:
	v_div_scale_f64 v[212:213], null, v[216:217], v[216:217], v[218:219]
	v_div_scale_f64 v[224:225], vcc_lo, v[218:219], v[216:217], v[218:219]
	s_delay_alu instid0(VALU_DEP_2) | instskip(SKIP_2) | instid1(VALU_DEP_1)
	v_rcp_f64_e32 v[220:221], v[212:213]
	s_waitcnt_depctr 0xfff
	v_fma_f64 v[222:223], -v[212:213], v[220:221], 1.0
	v_fma_f64 v[220:221], v[220:221], v[222:223], v[220:221]
	s_delay_alu instid0(VALU_DEP_1) | instskip(NEXT) | instid1(VALU_DEP_1)
	v_fma_f64 v[222:223], -v[212:213], v[220:221], 1.0
	v_fma_f64 v[220:221], v[220:221], v[222:223], v[220:221]
	s_delay_alu instid0(VALU_DEP_1) | instskip(NEXT) | instid1(VALU_DEP_1)
	v_mul_f64 v[222:223], v[224:225], v[220:221]
	v_fma_f64 v[212:213], -v[212:213], v[222:223], v[224:225]
	s_delay_alu instid0(VALU_DEP_1) | instskip(NEXT) | instid1(VALU_DEP_1)
	v_div_fmas_f64 v[212:213], v[212:213], v[220:221], v[222:223]
	v_div_fixup_f64 v[220:221], v[212:213], v[216:217], v[218:219]
	s_delay_alu instid0(VALU_DEP_1) | instskip(NEXT) | instid1(VALU_DEP_1)
	v_fma_f64 v[212:213], v[218:219], v[220:221], v[216:217]
	v_div_scale_f64 v[216:217], null, v[212:213], v[212:213], 1.0
	s_delay_alu instid0(VALU_DEP_1) | instskip(SKIP_2) | instid1(VALU_DEP_1)
	v_rcp_f64_e32 v[218:219], v[216:217]
	s_waitcnt_depctr 0xfff
	v_fma_f64 v[222:223], -v[216:217], v[218:219], 1.0
	v_fma_f64 v[218:219], v[218:219], v[222:223], v[218:219]
	s_delay_alu instid0(VALU_DEP_1) | instskip(NEXT) | instid1(VALU_DEP_1)
	v_fma_f64 v[222:223], -v[216:217], v[218:219], 1.0
	v_fma_f64 v[218:219], v[218:219], v[222:223], v[218:219]
	v_div_scale_f64 v[222:223], vcc_lo, 1.0, v[212:213], 1.0
	s_delay_alu instid0(VALU_DEP_1) | instskip(NEXT) | instid1(VALU_DEP_1)
	v_mul_f64 v[224:225], v[222:223], v[218:219]
	v_fma_f64 v[216:217], -v[216:217], v[224:225], v[222:223]
	s_delay_alu instid0(VALU_DEP_1) | instskip(NEXT) | instid1(VALU_DEP_1)
	v_div_fmas_f64 v[216:217], v[216:217], v[218:219], v[224:225]
	v_div_fixup_f64 v[212:213], v[216:217], v[212:213], 1.0
	s_delay_alu instid0(VALU_DEP_1)
	v_mul_f64 v[222:223], v[220:221], -v[212:213]
.LBB113_322:
	s_or_b32 exec_lo, exec_lo, s3
	ds_store_2addr_b64 v251, v[212:213], v[222:223] offset1:1
.LBB113_323:
	s_or_b32 exec_lo, exec_lo, s4
	s_waitcnt lgkmcnt(0)
	s_barrier
	buffer_gl0_inv
	ds_load_2addr_b64 v[208:211], v251 offset1:1
	s_mov_b32 s3, exec_lo
	s_waitcnt lgkmcnt(0)
	scratch_store_b128 off, v[208:211], off offset:1096 ; 16-byte Folded Spill
	v_cmpx_lt_u32_e32 35, v248
	s_cbranch_execz .LBB113_325
; %bb.324:
	scratch_load_b128 v[208:211], off, off offset:1096 ; 16-byte Folded Reload
	ds_load_2addr_b64 v[218:221], v214 offset0:72 offset1:73
	s_waitcnt vmcnt(0)
	v_mul_f64 v[212:213], v[210:211], v[86:87]
	v_mul_f64 v[86:87], v[208:209], v[86:87]
	s_delay_alu instid0(VALU_DEP_2) | instskip(NEXT) | instid1(VALU_DEP_2)
	v_fma_f64 v[216:217], v[208:209], v[84:85], -v[212:213]
	v_fma_f64 v[86:87], v[210:211], v[84:85], v[86:87]
	s_waitcnt lgkmcnt(0)
	s_delay_alu instid0(VALU_DEP_1) | instskip(SKIP_1) | instid1(VALU_DEP_2)
	v_mul_f64 v[84:85], v[220:221], v[86:87]
	v_mul_f64 v[212:213], v[218:219], v[86:87]
	v_fma_f64 v[84:85], v[218:219], v[216:217], -v[84:85]
	s_delay_alu instid0(VALU_DEP_2)
	v_fma_f64 v[212:213], v[220:221], v[216:217], v[212:213]
	ds_load_2addr_b64 v[218:221], v214 offset0:74 offset1:75
	v_add_f64 v[80:81], v[80:81], -v[84:85]
	v_add_f64 v[82:83], v[82:83], -v[212:213]
	s_waitcnt lgkmcnt(0)
	v_mul_f64 v[84:85], v[220:221], v[86:87]
	v_mul_f64 v[212:213], v[218:219], v[86:87]
	s_delay_alu instid0(VALU_DEP_2) | instskip(NEXT) | instid1(VALU_DEP_2)
	v_fma_f64 v[84:85], v[218:219], v[216:217], -v[84:85]
	v_fma_f64 v[212:213], v[220:221], v[216:217], v[212:213]
	ds_load_2addr_b64 v[218:221], v214 offset0:76 offset1:77
	v_add_f64 v[76:77], v[76:77], -v[84:85]
	v_add_f64 v[78:79], v[78:79], -v[212:213]
	s_waitcnt lgkmcnt(0)
	v_mul_f64 v[84:85], v[220:221], v[86:87]
	v_mul_f64 v[212:213], v[218:219], v[86:87]
	s_delay_alu instid0(VALU_DEP_2) | instskip(NEXT) | instid1(VALU_DEP_2)
	v_fma_f64 v[84:85], v[218:219], v[216:217], -v[84:85]
	;; [unrolled: 9-line block ×20, first 2 shown]
	v_fma_f64 v[212:213], v[220:221], v[216:217], v[212:213]
	s_delay_alu instid0(VALU_DEP_2) | instskip(NEXT) | instid1(VALU_DEP_2)
	v_add_f64 v[0:1], v[0:1], -v[84:85]
	v_add_f64 v[2:3], v[2:3], -v[212:213]
	v_dual_mov_b32 v84, v216 :: v_dual_mov_b32 v85, v217
.LBB113_325:
	s_or_b32 exec_lo, exec_lo, s3
	s_delay_alu instid0(SALU_CYCLE_1)
	s_mov_b32 s4, exec_lo
	s_waitcnt_vscnt null, 0x0
	s_barrier
	buffer_gl0_inv
	v_cmpx_eq_u32_e32 36, v248
	s_cbranch_execz .LBB113_332
; %bb.326:
	ds_store_2addr_b64 v251, v[80:81], v[82:83] offset1:1
	ds_store_2addr_b64 v214, v[76:77], v[78:79] offset0:74 offset1:75
	ds_store_2addr_b64 v214, v[72:73], v[74:75] offset0:76 offset1:77
	;; [unrolled: 1-line block ×20, first 2 shown]
	ds_load_2addr_b64 v[216:219], v251 offset1:1
	s_waitcnt lgkmcnt(0)
	v_cmp_neq_f64_e32 vcc_lo, 0, v[216:217]
	v_cmp_neq_f64_e64 s3, 0, v[218:219]
	s_delay_alu instid0(VALU_DEP_1) | instskip(NEXT) | instid1(SALU_CYCLE_1)
	s_or_b32 s3, vcc_lo, s3
	s_and_b32 exec_lo, exec_lo, s3
	s_cbranch_execz .LBB113_332
; %bb.327:
	v_cmp_gt_f64_e32 vcc_lo, 0, v[216:217]
	v_xor_b32_e32 v208, 0x80000000, v217
	s_delay_alu instid0(VALU_DEP_1) | instskip(SKIP_3) | instid1(VALU_DEP_1)
	v_cndmask_b32_e32 v213, v217, v208, vcc_lo
	v_cndmask_b32_e32 v212, v216, v216, vcc_lo
	v_cmp_gt_f64_e32 vcc_lo, 0, v[218:219]
	v_xor_b32_e32 v208, 0x80000000, v219
	v_dual_cndmask_b32 v220, v218, v218 :: v_dual_cndmask_b32 v221, v219, v208
	s_delay_alu instid0(VALU_DEP_1) | instskip(SKIP_1) | instid1(SALU_CYCLE_1)
	v_cmp_ngt_f64_e32 vcc_lo, v[212:213], v[220:221]
                                        ; implicit-def: $vgpr212_vgpr213
	s_and_saveexec_b32 s3, vcc_lo
	s_xor_b32 s3, exec_lo, s3
                                        ; implicit-def: $vgpr220_vgpr221_vgpr222_vgpr223
	s_cbranch_execz .LBB113_329
; %bb.328:
	v_div_scale_f64 v[212:213], null, v[218:219], v[218:219], v[216:217]
	v_div_scale_f64 v[224:225], vcc_lo, v[216:217], v[218:219], v[216:217]
	s_delay_alu instid0(VALU_DEP_2) | instskip(SKIP_2) | instid1(VALU_DEP_1)
	v_rcp_f64_e32 v[220:221], v[212:213]
	s_waitcnt_depctr 0xfff
	v_fma_f64 v[222:223], -v[212:213], v[220:221], 1.0
	v_fma_f64 v[220:221], v[220:221], v[222:223], v[220:221]
	s_delay_alu instid0(VALU_DEP_1) | instskip(NEXT) | instid1(VALU_DEP_1)
	v_fma_f64 v[222:223], -v[212:213], v[220:221], 1.0
	v_fma_f64 v[220:221], v[220:221], v[222:223], v[220:221]
	s_delay_alu instid0(VALU_DEP_1) | instskip(NEXT) | instid1(VALU_DEP_1)
	v_mul_f64 v[222:223], v[224:225], v[220:221]
	v_fma_f64 v[212:213], -v[212:213], v[222:223], v[224:225]
	s_delay_alu instid0(VALU_DEP_1) | instskip(NEXT) | instid1(VALU_DEP_1)
	v_div_fmas_f64 v[212:213], v[212:213], v[220:221], v[222:223]
	v_div_fixup_f64 v[212:213], v[212:213], v[218:219], v[216:217]
	s_delay_alu instid0(VALU_DEP_1) | instskip(NEXT) | instid1(VALU_DEP_1)
	v_fma_f64 v[216:217], v[216:217], v[212:213], v[218:219]
	v_div_scale_f64 v[218:219], null, v[216:217], v[216:217], 1.0
	s_delay_alu instid0(VALU_DEP_1) | instskip(SKIP_2) | instid1(VALU_DEP_1)
	v_rcp_f64_e32 v[220:221], v[218:219]
	s_waitcnt_depctr 0xfff
	v_fma_f64 v[222:223], -v[218:219], v[220:221], 1.0
	v_fma_f64 v[220:221], v[220:221], v[222:223], v[220:221]
	s_delay_alu instid0(VALU_DEP_1) | instskip(NEXT) | instid1(VALU_DEP_1)
	v_fma_f64 v[222:223], -v[218:219], v[220:221], 1.0
	v_fma_f64 v[220:221], v[220:221], v[222:223], v[220:221]
	v_div_scale_f64 v[222:223], vcc_lo, 1.0, v[216:217], 1.0
	s_delay_alu instid0(VALU_DEP_1) | instskip(NEXT) | instid1(VALU_DEP_1)
	v_mul_f64 v[224:225], v[222:223], v[220:221]
	v_fma_f64 v[218:219], -v[218:219], v[224:225], v[222:223]
	s_delay_alu instid0(VALU_DEP_1) | instskip(NEXT) | instid1(VALU_DEP_1)
	v_div_fmas_f64 v[218:219], v[218:219], v[220:221], v[224:225]
	v_div_fixup_f64 v[222:223], v[218:219], v[216:217], 1.0
                                        ; implicit-def: $vgpr216_vgpr217
	s_delay_alu instid0(VALU_DEP_1)
	v_mul_f64 v[212:213], v[212:213], v[222:223]
	v_xor_b32_e32 v223, 0x80000000, v223
.LBB113_329:
	s_and_not1_saveexec_b32 s3, s3
	s_cbranch_execz .LBB113_331
; %bb.330:
	v_div_scale_f64 v[212:213], null, v[216:217], v[216:217], v[218:219]
	v_div_scale_f64 v[224:225], vcc_lo, v[218:219], v[216:217], v[218:219]
	s_delay_alu instid0(VALU_DEP_2) | instskip(SKIP_2) | instid1(VALU_DEP_1)
	v_rcp_f64_e32 v[220:221], v[212:213]
	s_waitcnt_depctr 0xfff
	v_fma_f64 v[222:223], -v[212:213], v[220:221], 1.0
	v_fma_f64 v[220:221], v[220:221], v[222:223], v[220:221]
	s_delay_alu instid0(VALU_DEP_1) | instskip(NEXT) | instid1(VALU_DEP_1)
	v_fma_f64 v[222:223], -v[212:213], v[220:221], 1.0
	v_fma_f64 v[220:221], v[220:221], v[222:223], v[220:221]
	s_delay_alu instid0(VALU_DEP_1) | instskip(NEXT) | instid1(VALU_DEP_1)
	v_mul_f64 v[222:223], v[224:225], v[220:221]
	v_fma_f64 v[212:213], -v[212:213], v[222:223], v[224:225]
	s_delay_alu instid0(VALU_DEP_1) | instskip(NEXT) | instid1(VALU_DEP_1)
	v_div_fmas_f64 v[212:213], v[212:213], v[220:221], v[222:223]
	v_div_fixup_f64 v[220:221], v[212:213], v[216:217], v[218:219]
	s_delay_alu instid0(VALU_DEP_1) | instskip(NEXT) | instid1(VALU_DEP_1)
	v_fma_f64 v[212:213], v[218:219], v[220:221], v[216:217]
	v_div_scale_f64 v[216:217], null, v[212:213], v[212:213], 1.0
	s_delay_alu instid0(VALU_DEP_1) | instskip(SKIP_2) | instid1(VALU_DEP_1)
	v_rcp_f64_e32 v[218:219], v[216:217]
	s_waitcnt_depctr 0xfff
	v_fma_f64 v[222:223], -v[216:217], v[218:219], 1.0
	v_fma_f64 v[218:219], v[218:219], v[222:223], v[218:219]
	s_delay_alu instid0(VALU_DEP_1) | instskip(NEXT) | instid1(VALU_DEP_1)
	v_fma_f64 v[222:223], -v[216:217], v[218:219], 1.0
	v_fma_f64 v[218:219], v[218:219], v[222:223], v[218:219]
	v_div_scale_f64 v[222:223], vcc_lo, 1.0, v[212:213], 1.0
	s_delay_alu instid0(VALU_DEP_1) | instskip(NEXT) | instid1(VALU_DEP_1)
	v_mul_f64 v[224:225], v[222:223], v[218:219]
	v_fma_f64 v[216:217], -v[216:217], v[224:225], v[222:223]
	s_delay_alu instid0(VALU_DEP_1) | instskip(NEXT) | instid1(VALU_DEP_1)
	v_div_fmas_f64 v[216:217], v[216:217], v[218:219], v[224:225]
	v_div_fixup_f64 v[212:213], v[216:217], v[212:213], 1.0
	s_delay_alu instid0(VALU_DEP_1)
	v_mul_f64 v[222:223], v[220:221], -v[212:213]
.LBB113_331:
	s_or_b32 exec_lo, exec_lo, s3
	ds_store_2addr_b64 v251, v[212:213], v[222:223] offset1:1
.LBB113_332:
	s_or_b32 exec_lo, exec_lo, s4
	s_waitcnt lgkmcnt(0)
	s_barrier
	buffer_gl0_inv
	ds_load_2addr_b64 v[208:211], v251 offset1:1
	s_mov_b32 s3, exec_lo
	s_waitcnt lgkmcnt(0)
	scratch_store_b128 off, v[208:211], off offset:1112 ; 16-byte Folded Spill
	v_cmpx_lt_u32_e32 36, v248
	s_cbranch_execz .LBB113_334
; %bb.333:
	scratch_load_b128 v[208:211], off, off offset:1112 ; 16-byte Folded Reload
	ds_load_2addr_b64 v[218:221], v214 offset0:74 offset1:75
	s_waitcnt vmcnt(0)
	v_mul_f64 v[212:213], v[210:211], v[82:83]
	v_mul_f64 v[82:83], v[208:209], v[82:83]
	s_delay_alu instid0(VALU_DEP_2) | instskip(NEXT) | instid1(VALU_DEP_2)
	v_fma_f64 v[216:217], v[208:209], v[80:81], -v[212:213]
	v_fma_f64 v[82:83], v[210:211], v[80:81], v[82:83]
	s_waitcnt lgkmcnt(0)
	s_delay_alu instid0(VALU_DEP_1) | instskip(SKIP_1) | instid1(VALU_DEP_2)
	v_mul_f64 v[80:81], v[220:221], v[82:83]
	v_mul_f64 v[212:213], v[218:219], v[82:83]
	v_fma_f64 v[80:81], v[218:219], v[216:217], -v[80:81]
	s_delay_alu instid0(VALU_DEP_2)
	v_fma_f64 v[212:213], v[220:221], v[216:217], v[212:213]
	ds_load_2addr_b64 v[218:221], v214 offset0:76 offset1:77
	v_add_f64 v[76:77], v[76:77], -v[80:81]
	v_add_f64 v[78:79], v[78:79], -v[212:213]
	s_waitcnt lgkmcnt(0)
	v_mul_f64 v[80:81], v[220:221], v[82:83]
	v_mul_f64 v[212:213], v[218:219], v[82:83]
	s_delay_alu instid0(VALU_DEP_2) | instskip(NEXT) | instid1(VALU_DEP_2)
	v_fma_f64 v[80:81], v[218:219], v[216:217], -v[80:81]
	v_fma_f64 v[212:213], v[220:221], v[216:217], v[212:213]
	ds_load_2addr_b64 v[218:221], v214 offset0:78 offset1:79
	v_add_f64 v[72:73], v[72:73], -v[80:81]
	v_add_f64 v[74:75], v[74:75], -v[212:213]
	s_waitcnt lgkmcnt(0)
	v_mul_f64 v[80:81], v[220:221], v[82:83]
	v_mul_f64 v[212:213], v[218:219], v[82:83]
	s_delay_alu instid0(VALU_DEP_2) | instskip(NEXT) | instid1(VALU_DEP_2)
	v_fma_f64 v[80:81], v[218:219], v[216:217], -v[80:81]
	;; [unrolled: 9-line block ×19, first 2 shown]
	v_fma_f64 v[212:213], v[220:221], v[216:217], v[212:213]
	s_delay_alu instid0(VALU_DEP_2) | instskip(NEXT) | instid1(VALU_DEP_2)
	v_add_f64 v[0:1], v[0:1], -v[80:81]
	v_add_f64 v[2:3], v[2:3], -v[212:213]
	v_dual_mov_b32 v80, v216 :: v_dual_mov_b32 v81, v217
.LBB113_334:
	s_or_b32 exec_lo, exec_lo, s3
	s_delay_alu instid0(SALU_CYCLE_1)
	s_mov_b32 s4, exec_lo
	s_waitcnt_vscnt null, 0x0
	s_barrier
	buffer_gl0_inv
	v_cmpx_eq_u32_e32 37, v248
	s_cbranch_execz .LBB113_341
; %bb.335:
	ds_store_2addr_b64 v251, v[76:77], v[78:79] offset1:1
	ds_store_2addr_b64 v214, v[72:73], v[74:75] offset0:76 offset1:77
	ds_store_2addr_b64 v214, v[68:69], v[70:71] offset0:78 offset1:79
	;; [unrolled: 1-line block ×19, first 2 shown]
	ds_load_2addr_b64 v[216:219], v251 offset1:1
	s_waitcnt lgkmcnt(0)
	v_cmp_neq_f64_e32 vcc_lo, 0, v[216:217]
	v_cmp_neq_f64_e64 s3, 0, v[218:219]
	s_delay_alu instid0(VALU_DEP_1) | instskip(NEXT) | instid1(SALU_CYCLE_1)
	s_or_b32 s3, vcc_lo, s3
	s_and_b32 exec_lo, exec_lo, s3
	s_cbranch_execz .LBB113_341
; %bb.336:
	v_cmp_gt_f64_e32 vcc_lo, 0, v[216:217]
	v_xor_b32_e32 v208, 0x80000000, v217
	s_delay_alu instid0(VALU_DEP_1) | instskip(SKIP_3) | instid1(VALU_DEP_1)
	v_cndmask_b32_e32 v213, v217, v208, vcc_lo
	v_cndmask_b32_e32 v212, v216, v216, vcc_lo
	v_cmp_gt_f64_e32 vcc_lo, 0, v[218:219]
	v_xor_b32_e32 v208, 0x80000000, v219
	v_dual_cndmask_b32 v220, v218, v218 :: v_dual_cndmask_b32 v221, v219, v208
	s_delay_alu instid0(VALU_DEP_1) | instskip(SKIP_1) | instid1(SALU_CYCLE_1)
	v_cmp_ngt_f64_e32 vcc_lo, v[212:213], v[220:221]
                                        ; implicit-def: $vgpr212_vgpr213
	s_and_saveexec_b32 s3, vcc_lo
	s_xor_b32 s3, exec_lo, s3
                                        ; implicit-def: $vgpr220_vgpr221_vgpr222_vgpr223
	s_cbranch_execz .LBB113_338
; %bb.337:
	v_div_scale_f64 v[212:213], null, v[218:219], v[218:219], v[216:217]
	v_div_scale_f64 v[224:225], vcc_lo, v[216:217], v[218:219], v[216:217]
	s_delay_alu instid0(VALU_DEP_2) | instskip(SKIP_2) | instid1(VALU_DEP_1)
	v_rcp_f64_e32 v[220:221], v[212:213]
	s_waitcnt_depctr 0xfff
	v_fma_f64 v[222:223], -v[212:213], v[220:221], 1.0
	v_fma_f64 v[220:221], v[220:221], v[222:223], v[220:221]
	s_delay_alu instid0(VALU_DEP_1) | instskip(NEXT) | instid1(VALU_DEP_1)
	v_fma_f64 v[222:223], -v[212:213], v[220:221], 1.0
	v_fma_f64 v[220:221], v[220:221], v[222:223], v[220:221]
	s_delay_alu instid0(VALU_DEP_1) | instskip(NEXT) | instid1(VALU_DEP_1)
	v_mul_f64 v[222:223], v[224:225], v[220:221]
	v_fma_f64 v[212:213], -v[212:213], v[222:223], v[224:225]
	s_delay_alu instid0(VALU_DEP_1) | instskip(NEXT) | instid1(VALU_DEP_1)
	v_div_fmas_f64 v[212:213], v[212:213], v[220:221], v[222:223]
	v_div_fixup_f64 v[212:213], v[212:213], v[218:219], v[216:217]
	s_delay_alu instid0(VALU_DEP_1) | instskip(NEXT) | instid1(VALU_DEP_1)
	v_fma_f64 v[216:217], v[216:217], v[212:213], v[218:219]
	v_div_scale_f64 v[218:219], null, v[216:217], v[216:217], 1.0
	s_delay_alu instid0(VALU_DEP_1) | instskip(SKIP_2) | instid1(VALU_DEP_1)
	v_rcp_f64_e32 v[220:221], v[218:219]
	s_waitcnt_depctr 0xfff
	v_fma_f64 v[222:223], -v[218:219], v[220:221], 1.0
	v_fma_f64 v[220:221], v[220:221], v[222:223], v[220:221]
	s_delay_alu instid0(VALU_DEP_1) | instskip(NEXT) | instid1(VALU_DEP_1)
	v_fma_f64 v[222:223], -v[218:219], v[220:221], 1.0
	v_fma_f64 v[220:221], v[220:221], v[222:223], v[220:221]
	v_div_scale_f64 v[222:223], vcc_lo, 1.0, v[216:217], 1.0
	s_delay_alu instid0(VALU_DEP_1) | instskip(NEXT) | instid1(VALU_DEP_1)
	v_mul_f64 v[224:225], v[222:223], v[220:221]
	v_fma_f64 v[218:219], -v[218:219], v[224:225], v[222:223]
	s_delay_alu instid0(VALU_DEP_1) | instskip(NEXT) | instid1(VALU_DEP_1)
	v_div_fmas_f64 v[218:219], v[218:219], v[220:221], v[224:225]
	v_div_fixup_f64 v[222:223], v[218:219], v[216:217], 1.0
                                        ; implicit-def: $vgpr216_vgpr217
	s_delay_alu instid0(VALU_DEP_1)
	v_mul_f64 v[212:213], v[212:213], v[222:223]
	v_xor_b32_e32 v223, 0x80000000, v223
.LBB113_338:
	s_and_not1_saveexec_b32 s3, s3
	s_cbranch_execz .LBB113_340
; %bb.339:
	v_div_scale_f64 v[212:213], null, v[216:217], v[216:217], v[218:219]
	v_div_scale_f64 v[224:225], vcc_lo, v[218:219], v[216:217], v[218:219]
	s_delay_alu instid0(VALU_DEP_2) | instskip(SKIP_2) | instid1(VALU_DEP_1)
	v_rcp_f64_e32 v[220:221], v[212:213]
	s_waitcnt_depctr 0xfff
	v_fma_f64 v[222:223], -v[212:213], v[220:221], 1.0
	v_fma_f64 v[220:221], v[220:221], v[222:223], v[220:221]
	s_delay_alu instid0(VALU_DEP_1) | instskip(NEXT) | instid1(VALU_DEP_1)
	v_fma_f64 v[222:223], -v[212:213], v[220:221], 1.0
	v_fma_f64 v[220:221], v[220:221], v[222:223], v[220:221]
	s_delay_alu instid0(VALU_DEP_1) | instskip(NEXT) | instid1(VALU_DEP_1)
	v_mul_f64 v[222:223], v[224:225], v[220:221]
	v_fma_f64 v[212:213], -v[212:213], v[222:223], v[224:225]
	s_delay_alu instid0(VALU_DEP_1) | instskip(NEXT) | instid1(VALU_DEP_1)
	v_div_fmas_f64 v[212:213], v[212:213], v[220:221], v[222:223]
	v_div_fixup_f64 v[220:221], v[212:213], v[216:217], v[218:219]
	s_delay_alu instid0(VALU_DEP_1) | instskip(NEXT) | instid1(VALU_DEP_1)
	v_fma_f64 v[212:213], v[218:219], v[220:221], v[216:217]
	v_div_scale_f64 v[216:217], null, v[212:213], v[212:213], 1.0
	s_delay_alu instid0(VALU_DEP_1) | instskip(SKIP_2) | instid1(VALU_DEP_1)
	v_rcp_f64_e32 v[218:219], v[216:217]
	s_waitcnt_depctr 0xfff
	v_fma_f64 v[222:223], -v[216:217], v[218:219], 1.0
	v_fma_f64 v[218:219], v[218:219], v[222:223], v[218:219]
	s_delay_alu instid0(VALU_DEP_1) | instskip(NEXT) | instid1(VALU_DEP_1)
	v_fma_f64 v[222:223], -v[216:217], v[218:219], 1.0
	v_fma_f64 v[218:219], v[218:219], v[222:223], v[218:219]
	v_div_scale_f64 v[222:223], vcc_lo, 1.0, v[212:213], 1.0
	s_delay_alu instid0(VALU_DEP_1) | instskip(NEXT) | instid1(VALU_DEP_1)
	v_mul_f64 v[224:225], v[222:223], v[218:219]
	v_fma_f64 v[216:217], -v[216:217], v[224:225], v[222:223]
	s_delay_alu instid0(VALU_DEP_1) | instskip(NEXT) | instid1(VALU_DEP_1)
	v_div_fmas_f64 v[216:217], v[216:217], v[218:219], v[224:225]
	v_div_fixup_f64 v[212:213], v[216:217], v[212:213], 1.0
	s_delay_alu instid0(VALU_DEP_1)
	v_mul_f64 v[222:223], v[220:221], -v[212:213]
.LBB113_340:
	s_or_b32 exec_lo, exec_lo, s3
	ds_store_2addr_b64 v251, v[212:213], v[222:223] offset1:1
.LBB113_341:
	s_or_b32 exec_lo, exec_lo, s4
	s_waitcnt lgkmcnt(0)
	s_barrier
	buffer_gl0_inv
	ds_load_2addr_b64 v[208:211], v251 offset1:1
	s_mov_b32 s3, exec_lo
	s_waitcnt lgkmcnt(0)
	scratch_store_b128 off, v[208:211], off offset:1128 ; 16-byte Folded Spill
	v_cmpx_lt_u32_e32 37, v248
	s_cbranch_execz .LBB113_343
; %bb.342:
	scratch_load_b128 v[208:211], off, off offset:1128 ; 16-byte Folded Reload
	ds_load_2addr_b64 v[218:221], v214 offset0:76 offset1:77
	s_waitcnt vmcnt(0)
	v_mul_f64 v[212:213], v[210:211], v[78:79]
	v_mul_f64 v[78:79], v[208:209], v[78:79]
	s_delay_alu instid0(VALU_DEP_2) | instskip(NEXT) | instid1(VALU_DEP_2)
	v_fma_f64 v[216:217], v[208:209], v[76:77], -v[212:213]
	v_fma_f64 v[78:79], v[210:211], v[76:77], v[78:79]
	s_waitcnt lgkmcnt(0)
	s_delay_alu instid0(VALU_DEP_1) | instskip(SKIP_1) | instid1(VALU_DEP_2)
	v_mul_f64 v[76:77], v[220:221], v[78:79]
	v_mul_f64 v[212:213], v[218:219], v[78:79]
	v_fma_f64 v[76:77], v[218:219], v[216:217], -v[76:77]
	s_delay_alu instid0(VALU_DEP_2)
	v_fma_f64 v[212:213], v[220:221], v[216:217], v[212:213]
	ds_load_2addr_b64 v[218:221], v214 offset0:78 offset1:79
	v_add_f64 v[72:73], v[72:73], -v[76:77]
	v_add_f64 v[74:75], v[74:75], -v[212:213]
	s_waitcnt lgkmcnt(0)
	v_mul_f64 v[76:77], v[220:221], v[78:79]
	v_mul_f64 v[212:213], v[218:219], v[78:79]
	s_delay_alu instid0(VALU_DEP_2) | instskip(NEXT) | instid1(VALU_DEP_2)
	v_fma_f64 v[76:77], v[218:219], v[216:217], -v[76:77]
	v_fma_f64 v[212:213], v[220:221], v[216:217], v[212:213]
	ds_load_2addr_b64 v[218:221], v214 offset0:80 offset1:81
	v_add_f64 v[68:69], v[68:69], -v[76:77]
	v_add_f64 v[70:71], v[70:71], -v[212:213]
	s_waitcnt lgkmcnt(0)
	v_mul_f64 v[76:77], v[220:221], v[78:79]
	v_mul_f64 v[212:213], v[218:219], v[78:79]
	s_delay_alu instid0(VALU_DEP_2) | instskip(NEXT) | instid1(VALU_DEP_2)
	v_fma_f64 v[76:77], v[218:219], v[216:217], -v[76:77]
	;; [unrolled: 9-line block ×18, first 2 shown]
	v_fma_f64 v[212:213], v[220:221], v[216:217], v[212:213]
	s_delay_alu instid0(VALU_DEP_2) | instskip(NEXT) | instid1(VALU_DEP_2)
	v_add_f64 v[0:1], v[0:1], -v[76:77]
	v_add_f64 v[2:3], v[2:3], -v[212:213]
	v_dual_mov_b32 v76, v216 :: v_dual_mov_b32 v77, v217
.LBB113_343:
	s_or_b32 exec_lo, exec_lo, s3
	s_delay_alu instid0(SALU_CYCLE_1)
	s_mov_b32 s4, exec_lo
	s_waitcnt_vscnt null, 0x0
	s_barrier
	buffer_gl0_inv
	v_cmpx_eq_u32_e32 38, v248
	s_cbranch_execz .LBB113_350
; %bb.344:
	ds_store_2addr_b64 v251, v[72:73], v[74:75] offset1:1
	ds_store_2addr_b64 v214, v[68:69], v[70:71] offset0:78 offset1:79
	ds_store_2addr_b64 v214, v[64:65], v[66:67] offset0:80 offset1:81
	;; [unrolled: 1-line block ×18, first 2 shown]
	ds_load_2addr_b64 v[216:219], v251 offset1:1
	s_waitcnt lgkmcnt(0)
	v_cmp_neq_f64_e32 vcc_lo, 0, v[216:217]
	v_cmp_neq_f64_e64 s3, 0, v[218:219]
	s_delay_alu instid0(VALU_DEP_1) | instskip(NEXT) | instid1(SALU_CYCLE_1)
	s_or_b32 s3, vcc_lo, s3
	s_and_b32 exec_lo, exec_lo, s3
	s_cbranch_execz .LBB113_350
; %bb.345:
	v_cmp_gt_f64_e32 vcc_lo, 0, v[216:217]
	v_xor_b32_e32 v208, 0x80000000, v217
	s_delay_alu instid0(VALU_DEP_1) | instskip(SKIP_3) | instid1(VALU_DEP_1)
	v_cndmask_b32_e32 v213, v217, v208, vcc_lo
	v_cndmask_b32_e32 v212, v216, v216, vcc_lo
	v_cmp_gt_f64_e32 vcc_lo, 0, v[218:219]
	v_xor_b32_e32 v208, 0x80000000, v219
	v_dual_cndmask_b32 v220, v218, v218 :: v_dual_cndmask_b32 v221, v219, v208
	s_delay_alu instid0(VALU_DEP_1) | instskip(SKIP_1) | instid1(SALU_CYCLE_1)
	v_cmp_ngt_f64_e32 vcc_lo, v[212:213], v[220:221]
                                        ; implicit-def: $vgpr212_vgpr213
	s_and_saveexec_b32 s3, vcc_lo
	s_xor_b32 s3, exec_lo, s3
                                        ; implicit-def: $vgpr220_vgpr221_vgpr222_vgpr223
	s_cbranch_execz .LBB113_347
; %bb.346:
	v_div_scale_f64 v[212:213], null, v[218:219], v[218:219], v[216:217]
	v_div_scale_f64 v[224:225], vcc_lo, v[216:217], v[218:219], v[216:217]
	s_delay_alu instid0(VALU_DEP_2) | instskip(SKIP_2) | instid1(VALU_DEP_1)
	v_rcp_f64_e32 v[220:221], v[212:213]
	s_waitcnt_depctr 0xfff
	v_fma_f64 v[222:223], -v[212:213], v[220:221], 1.0
	v_fma_f64 v[220:221], v[220:221], v[222:223], v[220:221]
	s_delay_alu instid0(VALU_DEP_1) | instskip(NEXT) | instid1(VALU_DEP_1)
	v_fma_f64 v[222:223], -v[212:213], v[220:221], 1.0
	v_fma_f64 v[220:221], v[220:221], v[222:223], v[220:221]
	s_delay_alu instid0(VALU_DEP_1) | instskip(NEXT) | instid1(VALU_DEP_1)
	v_mul_f64 v[222:223], v[224:225], v[220:221]
	v_fma_f64 v[212:213], -v[212:213], v[222:223], v[224:225]
	s_delay_alu instid0(VALU_DEP_1) | instskip(NEXT) | instid1(VALU_DEP_1)
	v_div_fmas_f64 v[212:213], v[212:213], v[220:221], v[222:223]
	v_div_fixup_f64 v[212:213], v[212:213], v[218:219], v[216:217]
	s_delay_alu instid0(VALU_DEP_1) | instskip(NEXT) | instid1(VALU_DEP_1)
	v_fma_f64 v[216:217], v[216:217], v[212:213], v[218:219]
	v_div_scale_f64 v[218:219], null, v[216:217], v[216:217], 1.0
	s_delay_alu instid0(VALU_DEP_1) | instskip(SKIP_2) | instid1(VALU_DEP_1)
	v_rcp_f64_e32 v[220:221], v[218:219]
	s_waitcnt_depctr 0xfff
	v_fma_f64 v[222:223], -v[218:219], v[220:221], 1.0
	v_fma_f64 v[220:221], v[220:221], v[222:223], v[220:221]
	s_delay_alu instid0(VALU_DEP_1) | instskip(NEXT) | instid1(VALU_DEP_1)
	v_fma_f64 v[222:223], -v[218:219], v[220:221], 1.0
	v_fma_f64 v[220:221], v[220:221], v[222:223], v[220:221]
	v_div_scale_f64 v[222:223], vcc_lo, 1.0, v[216:217], 1.0
	s_delay_alu instid0(VALU_DEP_1) | instskip(NEXT) | instid1(VALU_DEP_1)
	v_mul_f64 v[224:225], v[222:223], v[220:221]
	v_fma_f64 v[218:219], -v[218:219], v[224:225], v[222:223]
	s_delay_alu instid0(VALU_DEP_1) | instskip(NEXT) | instid1(VALU_DEP_1)
	v_div_fmas_f64 v[218:219], v[218:219], v[220:221], v[224:225]
	v_div_fixup_f64 v[222:223], v[218:219], v[216:217], 1.0
                                        ; implicit-def: $vgpr216_vgpr217
	s_delay_alu instid0(VALU_DEP_1)
	v_mul_f64 v[212:213], v[212:213], v[222:223]
	v_xor_b32_e32 v223, 0x80000000, v223
.LBB113_347:
	s_and_not1_saveexec_b32 s3, s3
	s_cbranch_execz .LBB113_349
; %bb.348:
	v_div_scale_f64 v[212:213], null, v[216:217], v[216:217], v[218:219]
	v_div_scale_f64 v[224:225], vcc_lo, v[218:219], v[216:217], v[218:219]
	s_delay_alu instid0(VALU_DEP_2) | instskip(SKIP_2) | instid1(VALU_DEP_1)
	v_rcp_f64_e32 v[220:221], v[212:213]
	s_waitcnt_depctr 0xfff
	v_fma_f64 v[222:223], -v[212:213], v[220:221], 1.0
	v_fma_f64 v[220:221], v[220:221], v[222:223], v[220:221]
	s_delay_alu instid0(VALU_DEP_1) | instskip(NEXT) | instid1(VALU_DEP_1)
	v_fma_f64 v[222:223], -v[212:213], v[220:221], 1.0
	v_fma_f64 v[220:221], v[220:221], v[222:223], v[220:221]
	s_delay_alu instid0(VALU_DEP_1) | instskip(NEXT) | instid1(VALU_DEP_1)
	v_mul_f64 v[222:223], v[224:225], v[220:221]
	v_fma_f64 v[212:213], -v[212:213], v[222:223], v[224:225]
	s_delay_alu instid0(VALU_DEP_1) | instskip(NEXT) | instid1(VALU_DEP_1)
	v_div_fmas_f64 v[212:213], v[212:213], v[220:221], v[222:223]
	v_div_fixup_f64 v[220:221], v[212:213], v[216:217], v[218:219]
	s_delay_alu instid0(VALU_DEP_1) | instskip(NEXT) | instid1(VALU_DEP_1)
	v_fma_f64 v[212:213], v[218:219], v[220:221], v[216:217]
	v_div_scale_f64 v[216:217], null, v[212:213], v[212:213], 1.0
	s_delay_alu instid0(VALU_DEP_1) | instskip(SKIP_2) | instid1(VALU_DEP_1)
	v_rcp_f64_e32 v[218:219], v[216:217]
	s_waitcnt_depctr 0xfff
	v_fma_f64 v[222:223], -v[216:217], v[218:219], 1.0
	v_fma_f64 v[218:219], v[218:219], v[222:223], v[218:219]
	s_delay_alu instid0(VALU_DEP_1) | instskip(NEXT) | instid1(VALU_DEP_1)
	v_fma_f64 v[222:223], -v[216:217], v[218:219], 1.0
	v_fma_f64 v[218:219], v[218:219], v[222:223], v[218:219]
	v_div_scale_f64 v[222:223], vcc_lo, 1.0, v[212:213], 1.0
	s_delay_alu instid0(VALU_DEP_1) | instskip(NEXT) | instid1(VALU_DEP_1)
	v_mul_f64 v[224:225], v[222:223], v[218:219]
	v_fma_f64 v[216:217], -v[216:217], v[224:225], v[222:223]
	s_delay_alu instid0(VALU_DEP_1) | instskip(NEXT) | instid1(VALU_DEP_1)
	v_div_fmas_f64 v[216:217], v[216:217], v[218:219], v[224:225]
	v_div_fixup_f64 v[212:213], v[216:217], v[212:213], 1.0
	s_delay_alu instid0(VALU_DEP_1)
	v_mul_f64 v[222:223], v[220:221], -v[212:213]
.LBB113_349:
	s_or_b32 exec_lo, exec_lo, s3
	ds_store_2addr_b64 v251, v[212:213], v[222:223] offset1:1
.LBB113_350:
	s_or_b32 exec_lo, exec_lo, s4
	s_waitcnt lgkmcnt(0)
	s_barrier
	buffer_gl0_inv
	ds_load_2addr_b64 v[208:211], v251 offset1:1
	s_mov_b32 s3, exec_lo
	s_waitcnt lgkmcnt(0)
	scratch_store_b128 off, v[208:211], off offset:1144 ; 16-byte Folded Spill
	v_cmpx_lt_u32_e32 38, v248
	s_cbranch_execz .LBB113_352
; %bb.351:
	scratch_load_b128 v[208:211], off, off offset:1144 ; 16-byte Folded Reload
	ds_load_2addr_b64 v[218:221], v214 offset0:78 offset1:79
	s_waitcnt vmcnt(0)
	v_mul_f64 v[212:213], v[210:211], v[74:75]
	v_mul_f64 v[74:75], v[208:209], v[74:75]
	s_delay_alu instid0(VALU_DEP_2) | instskip(NEXT) | instid1(VALU_DEP_2)
	v_fma_f64 v[216:217], v[208:209], v[72:73], -v[212:213]
	v_fma_f64 v[74:75], v[210:211], v[72:73], v[74:75]
	s_waitcnt lgkmcnt(0)
	s_delay_alu instid0(VALU_DEP_1) | instskip(SKIP_1) | instid1(VALU_DEP_2)
	v_mul_f64 v[72:73], v[220:221], v[74:75]
	v_mul_f64 v[212:213], v[218:219], v[74:75]
	v_fma_f64 v[72:73], v[218:219], v[216:217], -v[72:73]
	s_delay_alu instid0(VALU_DEP_2)
	v_fma_f64 v[212:213], v[220:221], v[216:217], v[212:213]
	ds_load_2addr_b64 v[218:221], v214 offset0:80 offset1:81
	v_add_f64 v[68:69], v[68:69], -v[72:73]
	v_add_f64 v[70:71], v[70:71], -v[212:213]
	s_waitcnt lgkmcnt(0)
	v_mul_f64 v[72:73], v[220:221], v[74:75]
	v_mul_f64 v[212:213], v[218:219], v[74:75]
	s_delay_alu instid0(VALU_DEP_2) | instskip(NEXT) | instid1(VALU_DEP_2)
	v_fma_f64 v[72:73], v[218:219], v[216:217], -v[72:73]
	v_fma_f64 v[212:213], v[220:221], v[216:217], v[212:213]
	ds_load_2addr_b64 v[218:221], v214 offset0:82 offset1:83
	v_add_f64 v[64:65], v[64:65], -v[72:73]
	v_add_f64 v[66:67], v[66:67], -v[212:213]
	s_waitcnt lgkmcnt(0)
	v_mul_f64 v[72:73], v[220:221], v[74:75]
	v_mul_f64 v[212:213], v[218:219], v[74:75]
	s_delay_alu instid0(VALU_DEP_2) | instskip(NEXT) | instid1(VALU_DEP_2)
	v_fma_f64 v[72:73], v[218:219], v[216:217], -v[72:73]
	;; [unrolled: 9-line block ×17, first 2 shown]
	v_fma_f64 v[212:213], v[220:221], v[216:217], v[212:213]
	s_delay_alu instid0(VALU_DEP_2) | instskip(NEXT) | instid1(VALU_DEP_2)
	v_add_f64 v[0:1], v[0:1], -v[72:73]
	v_add_f64 v[2:3], v[2:3], -v[212:213]
	v_dual_mov_b32 v72, v216 :: v_dual_mov_b32 v73, v217
.LBB113_352:
	s_or_b32 exec_lo, exec_lo, s3
	s_delay_alu instid0(SALU_CYCLE_1)
	s_mov_b32 s4, exec_lo
	s_waitcnt_vscnt null, 0x0
	s_barrier
	buffer_gl0_inv
	v_cmpx_eq_u32_e32 39, v248
	s_cbranch_execz .LBB113_359
; %bb.353:
	ds_store_2addr_b64 v251, v[68:69], v[70:71] offset1:1
	ds_store_2addr_b64 v214, v[64:65], v[66:67] offset0:80 offset1:81
	ds_store_2addr_b64 v214, v[60:61], v[62:63] offset0:82 offset1:83
	;; [unrolled: 1-line block ×17, first 2 shown]
	ds_load_2addr_b64 v[216:219], v251 offset1:1
	s_waitcnt lgkmcnt(0)
	v_cmp_neq_f64_e32 vcc_lo, 0, v[216:217]
	v_cmp_neq_f64_e64 s3, 0, v[218:219]
	s_delay_alu instid0(VALU_DEP_1) | instskip(NEXT) | instid1(SALU_CYCLE_1)
	s_or_b32 s3, vcc_lo, s3
	s_and_b32 exec_lo, exec_lo, s3
	s_cbranch_execz .LBB113_359
; %bb.354:
	v_cmp_gt_f64_e32 vcc_lo, 0, v[216:217]
	v_xor_b32_e32 v208, 0x80000000, v217
	s_delay_alu instid0(VALU_DEP_1) | instskip(SKIP_3) | instid1(VALU_DEP_1)
	v_cndmask_b32_e32 v213, v217, v208, vcc_lo
	v_cndmask_b32_e32 v212, v216, v216, vcc_lo
	v_cmp_gt_f64_e32 vcc_lo, 0, v[218:219]
	v_xor_b32_e32 v208, 0x80000000, v219
	v_dual_cndmask_b32 v220, v218, v218 :: v_dual_cndmask_b32 v221, v219, v208
	s_delay_alu instid0(VALU_DEP_1) | instskip(SKIP_1) | instid1(SALU_CYCLE_1)
	v_cmp_ngt_f64_e32 vcc_lo, v[212:213], v[220:221]
                                        ; implicit-def: $vgpr212_vgpr213
	s_and_saveexec_b32 s3, vcc_lo
	s_xor_b32 s3, exec_lo, s3
                                        ; implicit-def: $vgpr220_vgpr221_vgpr222_vgpr223
	s_cbranch_execz .LBB113_356
; %bb.355:
	v_div_scale_f64 v[212:213], null, v[218:219], v[218:219], v[216:217]
	v_div_scale_f64 v[224:225], vcc_lo, v[216:217], v[218:219], v[216:217]
	s_delay_alu instid0(VALU_DEP_2) | instskip(SKIP_2) | instid1(VALU_DEP_1)
	v_rcp_f64_e32 v[220:221], v[212:213]
	s_waitcnt_depctr 0xfff
	v_fma_f64 v[222:223], -v[212:213], v[220:221], 1.0
	v_fma_f64 v[220:221], v[220:221], v[222:223], v[220:221]
	s_delay_alu instid0(VALU_DEP_1) | instskip(NEXT) | instid1(VALU_DEP_1)
	v_fma_f64 v[222:223], -v[212:213], v[220:221], 1.0
	v_fma_f64 v[220:221], v[220:221], v[222:223], v[220:221]
	s_delay_alu instid0(VALU_DEP_1) | instskip(NEXT) | instid1(VALU_DEP_1)
	v_mul_f64 v[222:223], v[224:225], v[220:221]
	v_fma_f64 v[212:213], -v[212:213], v[222:223], v[224:225]
	s_delay_alu instid0(VALU_DEP_1) | instskip(NEXT) | instid1(VALU_DEP_1)
	v_div_fmas_f64 v[212:213], v[212:213], v[220:221], v[222:223]
	v_div_fixup_f64 v[212:213], v[212:213], v[218:219], v[216:217]
	s_delay_alu instid0(VALU_DEP_1) | instskip(NEXT) | instid1(VALU_DEP_1)
	v_fma_f64 v[216:217], v[216:217], v[212:213], v[218:219]
	v_div_scale_f64 v[218:219], null, v[216:217], v[216:217], 1.0
	s_delay_alu instid0(VALU_DEP_1) | instskip(SKIP_2) | instid1(VALU_DEP_1)
	v_rcp_f64_e32 v[220:221], v[218:219]
	s_waitcnt_depctr 0xfff
	v_fma_f64 v[222:223], -v[218:219], v[220:221], 1.0
	v_fma_f64 v[220:221], v[220:221], v[222:223], v[220:221]
	s_delay_alu instid0(VALU_DEP_1) | instskip(NEXT) | instid1(VALU_DEP_1)
	v_fma_f64 v[222:223], -v[218:219], v[220:221], 1.0
	v_fma_f64 v[220:221], v[220:221], v[222:223], v[220:221]
	v_div_scale_f64 v[222:223], vcc_lo, 1.0, v[216:217], 1.0
	s_delay_alu instid0(VALU_DEP_1) | instskip(NEXT) | instid1(VALU_DEP_1)
	v_mul_f64 v[224:225], v[222:223], v[220:221]
	v_fma_f64 v[218:219], -v[218:219], v[224:225], v[222:223]
	s_delay_alu instid0(VALU_DEP_1) | instskip(NEXT) | instid1(VALU_DEP_1)
	v_div_fmas_f64 v[218:219], v[218:219], v[220:221], v[224:225]
	v_div_fixup_f64 v[222:223], v[218:219], v[216:217], 1.0
                                        ; implicit-def: $vgpr216_vgpr217
	s_delay_alu instid0(VALU_DEP_1)
	v_mul_f64 v[212:213], v[212:213], v[222:223]
	v_xor_b32_e32 v223, 0x80000000, v223
.LBB113_356:
	s_and_not1_saveexec_b32 s3, s3
	s_cbranch_execz .LBB113_358
; %bb.357:
	v_div_scale_f64 v[212:213], null, v[216:217], v[216:217], v[218:219]
	v_div_scale_f64 v[224:225], vcc_lo, v[218:219], v[216:217], v[218:219]
	s_delay_alu instid0(VALU_DEP_2) | instskip(SKIP_2) | instid1(VALU_DEP_1)
	v_rcp_f64_e32 v[220:221], v[212:213]
	s_waitcnt_depctr 0xfff
	v_fma_f64 v[222:223], -v[212:213], v[220:221], 1.0
	v_fma_f64 v[220:221], v[220:221], v[222:223], v[220:221]
	s_delay_alu instid0(VALU_DEP_1) | instskip(NEXT) | instid1(VALU_DEP_1)
	v_fma_f64 v[222:223], -v[212:213], v[220:221], 1.0
	v_fma_f64 v[220:221], v[220:221], v[222:223], v[220:221]
	s_delay_alu instid0(VALU_DEP_1) | instskip(NEXT) | instid1(VALU_DEP_1)
	v_mul_f64 v[222:223], v[224:225], v[220:221]
	v_fma_f64 v[212:213], -v[212:213], v[222:223], v[224:225]
	s_delay_alu instid0(VALU_DEP_1) | instskip(NEXT) | instid1(VALU_DEP_1)
	v_div_fmas_f64 v[212:213], v[212:213], v[220:221], v[222:223]
	v_div_fixup_f64 v[220:221], v[212:213], v[216:217], v[218:219]
	s_delay_alu instid0(VALU_DEP_1) | instskip(NEXT) | instid1(VALU_DEP_1)
	v_fma_f64 v[212:213], v[218:219], v[220:221], v[216:217]
	v_div_scale_f64 v[216:217], null, v[212:213], v[212:213], 1.0
	s_delay_alu instid0(VALU_DEP_1) | instskip(SKIP_2) | instid1(VALU_DEP_1)
	v_rcp_f64_e32 v[218:219], v[216:217]
	s_waitcnt_depctr 0xfff
	v_fma_f64 v[222:223], -v[216:217], v[218:219], 1.0
	v_fma_f64 v[218:219], v[218:219], v[222:223], v[218:219]
	s_delay_alu instid0(VALU_DEP_1) | instskip(NEXT) | instid1(VALU_DEP_1)
	v_fma_f64 v[222:223], -v[216:217], v[218:219], 1.0
	v_fma_f64 v[218:219], v[218:219], v[222:223], v[218:219]
	v_div_scale_f64 v[222:223], vcc_lo, 1.0, v[212:213], 1.0
	s_delay_alu instid0(VALU_DEP_1) | instskip(NEXT) | instid1(VALU_DEP_1)
	v_mul_f64 v[224:225], v[222:223], v[218:219]
	v_fma_f64 v[216:217], -v[216:217], v[224:225], v[222:223]
	s_delay_alu instid0(VALU_DEP_1) | instskip(NEXT) | instid1(VALU_DEP_1)
	v_div_fmas_f64 v[216:217], v[216:217], v[218:219], v[224:225]
	v_div_fixup_f64 v[212:213], v[216:217], v[212:213], 1.0
	s_delay_alu instid0(VALU_DEP_1)
	v_mul_f64 v[222:223], v[220:221], -v[212:213]
.LBB113_358:
	s_or_b32 exec_lo, exec_lo, s3
	ds_store_2addr_b64 v251, v[212:213], v[222:223] offset1:1
.LBB113_359:
	s_or_b32 exec_lo, exec_lo, s4
	s_waitcnt lgkmcnt(0)
	s_barrier
	buffer_gl0_inv
	ds_load_2addr_b64 v[208:211], v251 offset1:1
	s_mov_b32 s3, exec_lo
	s_waitcnt lgkmcnt(0)
	scratch_store_b128 off, v[208:211], off offset:1160 ; 16-byte Folded Spill
	v_cmpx_lt_u32_e32 39, v248
	s_cbranch_execz .LBB113_361
; %bb.360:
	scratch_load_b128 v[208:211], off, off offset:1160 ; 16-byte Folded Reload
	ds_load_2addr_b64 v[218:221], v214 offset0:80 offset1:81
	s_waitcnt vmcnt(0)
	v_mul_f64 v[212:213], v[210:211], v[70:71]
	v_mul_f64 v[70:71], v[208:209], v[70:71]
	s_delay_alu instid0(VALU_DEP_2) | instskip(NEXT) | instid1(VALU_DEP_2)
	v_fma_f64 v[216:217], v[208:209], v[68:69], -v[212:213]
	v_fma_f64 v[70:71], v[210:211], v[68:69], v[70:71]
	s_waitcnt lgkmcnt(0)
	s_delay_alu instid0(VALU_DEP_1) | instskip(SKIP_1) | instid1(VALU_DEP_2)
	v_mul_f64 v[68:69], v[220:221], v[70:71]
	v_mul_f64 v[212:213], v[218:219], v[70:71]
	v_fma_f64 v[68:69], v[218:219], v[216:217], -v[68:69]
	s_delay_alu instid0(VALU_DEP_2)
	v_fma_f64 v[212:213], v[220:221], v[216:217], v[212:213]
	ds_load_2addr_b64 v[218:221], v214 offset0:82 offset1:83
	v_add_f64 v[64:65], v[64:65], -v[68:69]
	v_add_f64 v[66:67], v[66:67], -v[212:213]
	s_waitcnt lgkmcnt(0)
	v_mul_f64 v[68:69], v[220:221], v[70:71]
	v_mul_f64 v[212:213], v[218:219], v[70:71]
	s_delay_alu instid0(VALU_DEP_2) | instskip(NEXT) | instid1(VALU_DEP_2)
	v_fma_f64 v[68:69], v[218:219], v[216:217], -v[68:69]
	v_fma_f64 v[212:213], v[220:221], v[216:217], v[212:213]
	ds_load_2addr_b64 v[218:221], v214 offset0:84 offset1:85
	v_add_f64 v[60:61], v[60:61], -v[68:69]
	v_add_f64 v[62:63], v[62:63], -v[212:213]
	s_waitcnt lgkmcnt(0)
	v_mul_f64 v[68:69], v[220:221], v[70:71]
	v_mul_f64 v[212:213], v[218:219], v[70:71]
	s_delay_alu instid0(VALU_DEP_2) | instskip(NEXT) | instid1(VALU_DEP_2)
	v_fma_f64 v[68:69], v[218:219], v[216:217], -v[68:69]
	;; [unrolled: 9-line block ×16, first 2 shown]
	v_fma_f64 v[212:213], v[220:221], v[216:217], v[212:213]
	s_delay_alu instid0(VALU_DEP_2) | instskip(NEXT) | instid1(VALU_DEP_2)
	v_add_f64 v[0:1], v[0:1], -v[68:69]
	v_add_f64 v[2:3], v[2:3], -v[212:213]
	v_dual_mov_b32 v68, v216 :: v_dual_mov_b32 v69, v217
.LBB113_361:
	s_or_b32 exec_lo, exec_lo, s3
	s_delay_alu instid0(SALU_CYCLE_1)
	s_mov_b32 s4, exec_lo
	s_waitcnt_vscnt null, 0x0
	s_barrier
	buffer_gl0_inv
	v_cmpx_eq_u32_e32 40, v248
	s_cbranch_execz .LBB113_368
; %bb.362:
	ds_store_2addr_b64 v251, v[64:65], v[66:67] offset1:1
	ds_store_2addr_b64 v214, v[60:61], v[62:63] offset0:82 offset1:83
	ds_store_2addr_b64 v214, v[56:57], v[58:59] offset0:84 offset1:85
	;; [unrolled: 1-line block ×16, first 2 shown]
	ds_load_2addr_b64 v[216:219], v251 offset1:1
	s_waitcnt lgkmcnt(0)
	v_cmp_neq_f64_e32 vcc_lo, 0, v[216:217]
	v_cmp_neq_f64_e64 s3, 0, v[218:219]
	s_delay_alu instid0(VALU_DEP_1) | instskip(NEXT) | instid1(SALU_CYCLE_1)
	s_or_b32 s3, vcc_lo, s3
	s_and_b32 exec_lo, exec_lo, s3
	s_cbranch_execz .LBB113_368
; %bb.363:
	v_cmp_gt_f64_e32 vcc_lo, 0, v[216:217]
	v_xor_b32_e32 v208, 0x80000000, v217
	s_delay_alu instid0(VALU_DEP_1) | instskip(SKIP_3) | instid1(VALU_DEP_1)
	v_cndmask_b32_e32 v213, v217, v208, vcc_lo
	v_cndmask_b32_e32 v212, v216, v216, vcc_lo
	v_cmp_gt_f64_e32 vcc_lo, 0, v[218:219]
	v_xor_b32_e32 v208, 0x80000000, v219
	v_dual_cndmask_b32 v220, v218, v218 :: v_dual_cndmask_b32 v221, v219, v208
	s_delay_alu instid0(VALU_DEP_1) | instskip(SKIP_1) | instid1(SALU_CYCLE_1)
	v_cmp_ngt_f64_e32 vcc_lo, v[212:213], v[220:221]
                                        ; implicit-def: $vgpr212_vgpr213
	s_and_saveexec_b32 s3, vcc_lo
	s_xor_b32 s3, exec_lo, s3
                                        ; implicit-def: $vgpr220_vgpr221_vgpr222_vgpr223
	s_cbranch_execz .LBB113_365
; %bb.364:
	v_div_scale_f64 v[212:213], null, v[218:219], v[218:219], v[216:217]
	v_div_scale_f64 v[224:225], vcc_lo, v[216:217], v[218:219], v[216:217]
	s_delay_alu instid0(VALU_DEP_2) | instskip(SKIP_2) | instid1(VALU_DEP_1)
	v_rcp_f64_e32 v[220:221], v[212:213]
	s_waitcnt_depctr 0xfff
	v_fma_f64 v[222:223], -v[212:213], v[220:221], 1.0
	v_fma_f64 v[220:221], v[220:221], v[222:223], v[220:221]
	s_delay_alu instid0(VALU_DEP_1) | instskip(NEXT) | instid1(VALU_DEP_1)
	v_fma_f64 v[222:223], -v[212:213], v[220:221], 1.0
	v_fma_f64 v[220:221], v[220:221], v[222:223], v[220:221]
	s_delay_alu instid0(VALU_DEP_1) | instskip(NEXT) | instid1(VALU_DEP_1)
	v_mul_f64 v[222:223], v[224:225], v[220:221]
	v_fma_f64 v[212:213], -v[212:213], v[222:223], v[224:225]
	s_delay_alu instid0(VALU_DEP_1) | instskip(NEXT) | instid1(VALU_DEP_1)
	v_div_fmas_f64 v[212:213], v[212:213], v[220:221], v[222:223]
	v_div_fixup_f64 v[212:213], v[212:213], v[218:219], v[216:217]
	s_delay_alu instid0(VALU_DEP_1) | instskip(NEXT) | instid1(VALU_DEP_1)
	v_fma_f64 v[216:217], v[216:217], v[212:213], v[218:219]
	v_div_scale_f64 v[218:219], null, v[216:217], v[216:217], 1.0
	s_delay_alu instid0(VALU_DEP_1) | instskip(SKIP_2) | instid1(VALU_DEP_1)
	v_rcp_f64_e32 v[220:221], v[218:219]
	s_waitcnt_depctr 0xfff
	v_fma_f64 v[222:223], -v[218:219], v[220:221], 1.0
	v_fma_f64 v[220:221], v[220:221], v[222:223], v[220:221]
	s_delay_alu instid0(VALU_DEP_1) | instskip(NEXT) | instid1(VALU_DEP_1)
	v_fma_f64 v[222:223], -v[218:219], v[220:221], 1.0
	v_fma_f64 v[220:221], v[220:221], v[222:223], v[220:221]
	v_div_scale_f64 v[222:223], vcc_lo, 1.0, v[216:217], 1.0
	s_delay_alu instid0(VALU_DEP_1) | instskip(NEXT) | instid1(VALU_DEP_1)
	v_mul_f64 v[224:225], v[222:223], v[220:221]
	v_fma_f64 v[218:219], -v[218:219], v[224:225], v[222:223]
	s_delay_alu instid0(VALU_DEP_1) | instskip(NEXT) | instid1(VALU_DEP_1)
	v_div_fmas_f64 v[218:219], v[218:219], v[220:221], v[224:225]
	v_div_fixup_f64 v[222:223], v[218:219], v[216:217], 1.0
                                        ; implicit-def: $vgpr216_vgpr217
	s_delay_alu instid0(VALU_DEP_1)
	v_mul_f64 v[212:213], v[212:213], v[222:223]
	v_xor_b32_e32 v223, 0x80000000, v223
.LBB113_365:
	s_and_not1_saveexec_b32 s3, s3
	s_cbranch_execz .LBB113_367
; %bb.366:
	v_div_scale_f64 v[212:213], null, v[216:217], v[216:217], v[218:219]
	v_div_scale_f64 v[224:225], vcc_lo, v[218:219], v[216:217], v[218:219]
	s_delay_alu instid0(VALU_DEP_2) | instskip(SKIP_2) | instid1(VALU_DEP_1)
	v_rcp_f64_e32 v[220:221], v[212:213]
	s_waitcnt_depctr 0xfff
	v_fma_f64 v[222:223], -v[212:213], v[220:221], 1.0
	v_fma_f64 v[220:221], v[220:221], v[222:223], v[220:221]
	s_delay_alu instid0(VALU_DEP_1) | instskip(NEXT) | instid1(VALU_DEP_1)
	v_fma_f64 v[222:223], -v[212:213], v[220:221], 1.0
	v_fma_f64 v[220:221], v[220:221], v[222:223], v[220:221]
	s_delay_alu instid0(VALU_DEP_1) | instskip(NEXT) | instid1(VALU_DEP_1)
	v_mul_f64 v[222:223], v[224:225], v[220:221]
	v_fma_f64 v[212:213], -v[212:213], v[222:223], v[224:225]
	s_delay_alu instid0(VALU_DEP_1) | instskip(NEXT) | instid1(VALU_DEP_1)
	v_div_fmas_f64 v[212:213], v[212:213], v[220:221], v[222:223]
	v_div_fixup_f64 v[220:221], v[212:213], v[216:217], v[218:219]
	s_delay_alu instid0(VALU_DEP_1) | instskip(NEXT) | instid1(VALU_DEP_1)
	v_fma_f64 v[212:213], v[218:219], v[220:221], v[216:217]
	v_div_scale_f64 v[216:217], null, v[212:213], v[212:213], 1.0
	s_delay_alu instid0(VALU_DEP_1) | instskip(SKIP_2) | instid1(VALU_DEP_1)
	v_rcp_f64_e32 v[218:219], v[216:217]
	s_waitcnt_depctr 0xfff
	v_fma_f64 v[222:223], -v[216:217], v[218:219], 1.0
	v_fma_f64 v[218:219], v[218:219], v[222:223], v[218:219]
	s_delay_alu instid0(VALU_DEP_1) | instskip(NEXT) | instid1(VALU_DEP_1)
	v_fma_f64 v[222:223], -v[216:217], v[218:219], 1.0
	v_fma_f64 v[218:219], v[218:219], v[222:223], v[218:219]
	v_div_scale_f64 v[222:223], vcc_lo, 1.0, v[212:213], 1.0
	s_delay_alu instid0(VALU_DEP_1) | instskip(NEXT) | instid1(VALU_DEP_1)
	v_mul_f64 v[224:225], v[222:223], v[218:219]
	v_fma_f64 v[216:217], -v[216:217], v[224:225], v[222:223]
	s_delay_alu instid0(VALU_DEP_1) | instskip(NEXT) | instid1(VALU_DEP_1)
	v_div_fmas_f64 v[216:217], v[216:217], v[218:219], v[224:225]
	v_div_fixup_f64 v[212:213], v[216:217], v[212:213], 1.0
	s_delay_alu instid0(VALU_DEP_1)
	v_mul_f64 v[222:223], v[220:221], -v[212:213]
.LBB113_367:
	s_or_b32 exec_lo, exec_lo, s3
	ds_store_2addr_b64 v251, v[212:213], v[222:223] offset1:1
.LBB113_368:
	s_or_b32 exec_lo, exec_lo, s4
	s_waitcnt lgkmcnt(0)
	s_barrier
	buffer_gl0_inv
	ds_load_2addr_b64 v[208:211], v251 offset1:1
	s_mov_b32 s3, exec_lo
	s_waitcnt lgkmcnt(0)
	scratch_store_b128 off, v[208:211], off offset:1176 ; 16-byte Folded Spill
	v_cmpx_lt_u32_e32 40, v248
	s_cbranch_execz .LBB113_370
; %bb.369:
	scratch_load_b128 v[208:211], off, off offset:1176 ; 16-byte Folded Reload
	ds_load_2addr_b64 v[218:221], v214 offset0:82 offset1:83
	s_waitcnt vmcnt(0)
	v_mul_f64 v[212:213], v[208:209], v[66:67]
	v_mul_f64 v[66:67], v[210:211], v[66:67]
	s_delay_alu instid0(VALU_DEP_2) | instskip(NEXT) | instid1(VALU_DEP_2)
	v_fma_f64 v[216:217], v[210:211], v[64:65], v[212:213]
	v_fma_f64 v[64:65], v[208:209], v[64:65], -v[66:67]
	s_waitcnt lgkmcnt(0)
	s_delay_alu instid0(VALU_DEP_2) | instskip(SKIP_1) | instid1(VALU_DEP_2)
	v_mul_f64 v[66:67], v[220:221], v[216:217]
	v_mul_f64 v[212:213], v[218:219], v[216:217]
	v_fma_f64 v[66:67], v[218:219], v[64:65], -v[66:67]
	s_delay_alu instid0(VALU_DEP_2)
	v_fma_f64 v[212:213], v[220:221], v[64:65], v[212:213]
	ds_load_2addr_b64 v[218:221], v214 offset0:84 offset1:85
	v_add_f64 v[60:61], v[60:61], -v[66:67]
	v_add_f64 v[62:63], v[62:63], -v[212:213]
	s_waitcnt lgkmcnt(0)
	v_mul_f64 v[66:67], v[220:221], v[216:217]
	v_mul_f64 v[212:213], v[218:219], v[216:217]
	s_delay_alu instid0(VALU_DEP_2) | instskip(NEXT) | instid1(VALU_DEP_2)
	v_fma_f64 v[66:67], v[218:219], v[64:65], -v[66:67]
	v_fma_f64 v[212:213], v[220:221], v[64:65], v[212:213]
	ds_load_2addr_b64 v[218:221], v214 offset0:86 offset1:87
	v_add_f64 v[56:57], v[56:57], -v[66:67]
	v_add_f64 v[58:59], v[58:59], -v[212:213]
	s_waitcnt lgkmcnt(0)
	v_mul_f64 v[66:67], v[220:221], v[216:217]
	v_mul_f64 v[212:213], v[218:219], v[216:217]
	s_delay_alu instid0(VALU_DEP_2) | instskip(NEXT) | instid1(VALU_DEP_2)
	v_fma_f64 v[66:67], v[218:219], v[64:65], -v[66:67]
	;; [unrolled: 9-line block ×15, first 2 shown]
	v_fma_f64 v[212:213], v[220:221], v[64:65], v[212:213]
	s_delay_alu instid0(VALU_DEP_2) | instskip(NEXT) | instid1(VALU_DEP_2)
	v_add_f64 v[0:1], v[0:1], -v[66:67]
	v_add_f64 v[2:3], v[2:3], -v[212:213]
	v_dual_mov_b32 v66, v216 :: v_dual_mov_b32 v67, v217
.LBB113_370:
	s_or_b32 exec_lo, exec_lo, s3
	s_delay_alu instid0(SALU_CYCLE_1)
	s_mov_b32 s4, exec_lo
	s_waitcnt_vscnt null, 0x0
	s_barrier
	buffer_gl0_inv
	v_cmpx_eq_u32_e32 41, v248
	s_cbranch_execz .LBB113_377
; %bb.371:
	ds_store_2addr_b64 v251, v[60:61], v[62:63] offset1:1
	ds_store_2addr_b64 v214, v[56:57], v[58:59] offset0:84 offset1:85
	ds_store_2addr_b64 v214, v[52:53], v[54:55] offset0:86 offset1:87
	;; [unrolled: 1-line block ×15, first 2 shown]
	ds_load_2addr_b64 v[216:219], v251 offset1:1
	s_waitcnt lgkmcnt(0)
	v_cmp_neq_f64_e32 vcc_lo, 0, v[216:217]
	v_cmp_neq_f64_e64 s3, 0, v[218:219]
	s_delay_alu instid0(VALU_DEP_1) | instskip(NEXT) | instid1(SALU_CYCLE_1)
	s_or_b32 s3, vcc_lo, s3
	s_and_b32 exec_lo, exec_lo, s3
	s_cbranch_execz .LBB113_377
; %bb.372:
	v_cmp_gt_f64_e32 vcc_lo, 0, v[216:217]
	v_xor_b32_e32 v208, 0x80000000, v217
	s_delay_alu instid0(VALU_DEP_1) | instskip(SKIP_3) | instid1(VALU_DEP_1)
	v_cndmask_b32_e32 v213, v217, v208, vcc_lo
	v_cndmask_b32_e32 v212, v216, v216, vcc_lo
	v_cmp_gt_f64_e32 vcc_lo, 0, v[218:219]
	v_xor_b32_e32 v208, 0x80000000, v219
	v_dual_cndmask_b32 v220, v218, v218 :: v_dual_cndmask_b32 v221, v219, v208
	s_delay_alu instid0(VALU_DEP_1) | instskip(SKIP_1) | instid1(SALU_CYCLE_1)
	v_cmp_ngt_f64_e32 vcc_lo, v[212:213], v[220:221]
                                        ; implicit-def: $vgpr212_vgpr213
	s_and_saveexec_b32 s3, vcc_lo
	s_xor_b32 s3, exec_lo, s3
                                        ; implicit-def: $vgpr220_vgpr221_vgpr222_vgpr223
	s_cbranch_execz .LBB113_374
; %bb.373:
	v_div_scale_f64 v[212:213], null, v[218:219], v[218:219], v[216:217]
	v_div_scale_f64 v[224:225], vcc_lo, v[216:217], v[218:219], v[216:217]
	s_delay_alu instid0(VALU_DEP_2) | instskip(SKIP_2) | instid1(VALU_DEP_1)
	v_rcp_f64_e32 v[220:221], v[212:213]
	s_waitcnt_depctr 0xfff
	v_fma_f64 v[222:223], -v[212:213], v[220:221], 1.0
	v_fma_f64 v[220:221], v[220:221], v[222:223], v[220:221]
	s_delay_alu instid0(VALU_DEP_1) | instskip(NEXT) | instid1(VALU_DEP_1)
	v_fma_f64 v[222:223], -v[212:213], v[220:221], 1.0
	v_fma_f64 v[220:221], v[220:221], v[222:223], v[220:221]
	s_delay_alu instid0(VALU_DEP_1) | instskip(NEXT) | instid1(VALU_DEP_1)
	v_mul_f64 v[222:223], v[224:225], v[220:221]
	v_fma_f64 v[212:213], -v[212:213], v[222:223], v[224:225]
	s_delay_alu instid0(VALU_DEP_1) | instskip(NEXT) | instid1(VALU_DEP_1)
	v_div_fmas_f64 v[212:213], v[212:213], v[220:221], v[222:223]
	v_div_fixup_f64 v[212:213], v[212:213], v[218:219], v[216:217]
	s_delay_alu instid0(VALU_DEP_1) | instskip(NEXT) | instid1(VALU_DEP_1)
	v_fma_f64 v[216:217], v[216:217], v[212:213], v[218:219]
	v_div_scale_f64 v[218:219], null, v[216:217], v[216:217], 1.0
	s_delay_alu instid0(VALU_DEP_1) | instskip(SKIP_2) | instid1(VALU_DEP_1)
	v_rcp_f64_e32 v[220:221], v[218:219]
	s_waitcnt_depctr 0xfff
	v_fma_f64 v[222:223], -v[218:219], v[220:221], 1.0
	v_fma_f64 v[220:221], v[220:221], v[222:223], v[220:221]
	s_delay_alu instid0(VALU_DEP_1) | instskip(NEXT) | instid1(VALU_DEP_1)
	v_fma_f64 v[222:223], -v[218:219], v[220:221], 1.0
	v_fma_f64 v[220:221], v[220:221], v[222:223], v[220:221]
	v_div_scale_f64 v[222:223], vcc_lo, 1.0, v[216:217], 1.0
	s_delay_alu instid0(VALU_DEP_1) | instskip(NEXT) | instid1(VALU_DEP_1)
	v_mul_f64 v[224:225], v[222:223], v[220:221]
	v_fma_f64 v[218:219], -v[218:219], v[224:225], v[222:223]
	s_delay_alu instid0(VALU_DEP_1) | instskip(NEXT) | instid1(VALU_DEP_1)
	v_div_fmas_f64 v[218:219], v[218:219], v[220:221], v[224:225]
	v_div_fixup_f64 v[222:223], v[218:219], v[216:217], 1.0
                                        ; implicit-def: $vgpr216_vgpr217
	s_delay_alu instid0(VALU_DEP_1)
	v_mul_f64 v[212:213], v[212:213], v[222:223]
	v_xor_b32_e32 v223, 0x80000000, v223
.LBB113_374:
	s_and_not1_saveexec_b32 s3, s3
	s_cbranch_execz .LBB113_376
; %bb.375:
	v_div_scale_f64 v[212:213], null, v[216:217], v[216:217], v[218:219]
	v_div_scale_f64 v[224:225], vcc_lo, v[218:219], v[216:217], v[218:219]
	s_delay_alu instid0(VALU_DEP_2) | instskip(SKIP_2) | instid1(VALU_DEP_1)
	v_rcp_f64_e32 v[220:221], v[212:213]
	s_waitcnt_depctr 0xfff
	v_fma_f64 v[222:223], -v[212:213], v[220:221], 1.0
	v_fma_f64 v[220:221], v[220:221], v[222:223], v[220:221]
	s_delay_alu instid0(VALU_DEP_1) | instskip(NEXT) | instid1(VALU_DEP_1)
	v_fma_f64 v[222:223], -v[212:213], v[220:221], 1.0
	v_fma_f64 v[220:221], v[220:221], v[222:223], v[220:221]
	s_delay_alu instid0(VALU_DEP_1) | instskip(NEXT) | instid1(VALU_DEP_1)
	v_mul_f64 v[222:223], v[224:225], v[220:221]
	v_fma_f64 v[212:213], -v[212:213], v[222:223], v[224:225]
	s_delay_alu instid0(VALU_DEP_1) | instskip(NEXT) | instid1(VALU_DEP_1)
	v_div_fmas_f64 v[212:213], v[212:213], v[220:221], v[222:223]
	v_div_fixup_f64 v[220:221], v[212:213], v[216:217], v[218:219]
	s_delay_alu instid0(VALU_DEP_1) | instskip(NEXT) | instid1(VALU_DEP_1)
	v_fma_f64 v[212:213], v[218:219], v[220:221], v[216:217]
	v_div_scale_f64 v[216:217], null, v[212:213], v[212:213], 1.0
	s_delay_alu instid0(VALU_DEP_1) | instskip(SKIP_2) | instid1(VALU_DEP_1)
	v_rcp_f64_e32 v[218:219], v[216:217]
	s_waitcnt_depctr 0xfff
	v_fma_f64 v[222:223], -v[216:217], v[218:219], 1.0
	v_fma_f64 v[218:219], v[218:219], v[222:223], v[218:219]
	s_delay_alu instid0(VALU_DEP_1) | instskip(NEXT) | instid1(VALU_DEP_1)
	v_fma_f64 v[222:223], -v[216:217], v[218:219], 1.0
	v_fma_f64 v[218:219], v[218:219], v[222:223], v[218:219]
	v_div_scale_f64 v[222:223], vcc_lo, 1.0, v[212:213], 1.0
	s_delay_alu instid0(VALU_DEP_1) | instskip(NEXT) | instid1(VALU_DEP_1)
	v_mul_f64 v[224:225], v[222:223], v[218:219]
	v_fma_f64 v[216:217], -v[216:217], v[224:225], v[222:223]
	s_delay_alu instid0(VALU_DEP_1) | instskip(NEXT) | instid1(VALU_DEP_1)
	v_div_fmas_f64 v[216:217], v[216:217], v[218:219], v[224:225]
	v_div_fixup_f64 v[212:213], v[216:217], v[212:213], 1.0
	s_delay_alu instid0(VALU_DEP_1)
	v_mul_f64 v[222:223], v[220:221], -v[212:213]
.LBB113_376:
	s_or_b32 exec_lo, exec_lo, s3
	ds_store_2addr_b64 v251, v[212:213], v[222:223] offset1:1
.LBB113_377:
	s_or_b32 exec_lo, exec_lo, s4
	s_waitcnt lgkmcnt(0)
	s_barrier
	buffer_gl0_inv
	ds_load_2addr_b64 v[208:211], v251 offset1:1
	s_mov_b32 s3, exec_lo
	s_waitcnt lgkmcnt(0)
	scratch_store_b128 off, v[208:211], off offset:1192 ; 16-byte Folded Spill
	v_cmpx_lt_u32_e32 41, v248
	s_cbranch_execz .LBB113_379
; %bb.378:
	scratch_load_b128 v[208:211], off, off offset:1192 ; 16-byte Folded Reload
	ds_load_2addr_b64 v[218:221], v214 offset0:84 offset1:85
	s_waitcnt vmcnt(0)
	v_mul_f64 v[212:213], v[208:209], v[62:63]
	v_mul_f64 v[62:63], v[210:211], v[62:63]
	s_delay_alu instid0(VALU_DEP_2) | instskip(NEXT) | instid1(VALU_DEP_2)
	v_fma_f64 v[216:217], v[210:211], v[60:61], v[212:213]
	v_fma_f64 v[60:61], v[208:209], v[60:61], -v[62:63]
	s_waitcnt lgkmcnt(0)
	s_delay_alu instid0(VALU_DEP_2) | instskip(SKIP_1) | instid1(VALU_DEP_2)
	v_mul_f64 v[62:63], v[220:221], v[216:217]
	v_mul_f64 v[212:213], v[218:219], v[216:217]
	v_fma_f64 v[62:63], v[218:219], v[60:61], -v[62:63]
	s_delay_alu instid0(VALU_DEP_2)
	v_fma_f64 v[212:213], v[220:221], v[60:61], v[212:213]
	ds_load_2addr_b64 v[218:221], v214 offset0:86 offset1:87
	v_add_f64 v[56:57], v[56:57], -v[62:63]
	v_add_f64 v[58:59], v[58:59], -v[212:213]
	s_waitcnt lgkmcnt(0)
	v_mul_f64 v[62:63], v[220:221], v[216:217]
	v_mul_f64 v[212:213], v[218:219], v[216:217]
	s_delay_alu instid0(VALU_DEP_2) | instskip(NEXT) | instid1(VALU_DEP_2)
	v_fma_f64 v[62:63], v[218:219], v[60:61], -v[62:63]
	v_fma_f64 v[212:213], v[220:221], v[60:61], v[212:213]
	ds_load_2addr_b64 v[218:221], v214 offset0:88 offset1:89
	v_add_f64 v[52:53], v[52:53], -v[62:63]
	v_add_f64 v[54:55], v[54:55], -v[212:213]
	s_waitcnt lgkmcnt(0)
	v_mul_f64 v[62:63], v[220:221], v[216:217]
	v_mul_f64 v[212:213], v[218:219], v[216:217]
	s_delay_alu instid0(VALU_DEP_2) | instskip(NEXT) | instid1(VALU_DEP_2)
	v_fma_f64 v[62:63], v[218:219], v[60:61], -v[62:63]
	;; [unrolled: 9-line block ×14, first 2 shown]
	v_fma_f64 v[212:213], v[220:221], v[60:61], v[212:213]
	s_delay_alu instid0(VALU_DEP_2) | instskip(NEXT) | instid1(VALU_DEP_2)
	v_add_f64 v[0:1], v[0:1], -v[62:63]
	v_add_f64 v[2:3], v[2:3], -v[212:213]
	v_dual_mov_b32 v62, v216 :: v_dual_mov_b32 v63, v217
.LBB113_379:
	s_or_b32 exec_lo, exec_lo, s3
	s_delay_alu instid0(SALU_CYCLE_1)
	s_mov_b32 s4, exec_lo
	s_waitcnt_vscnt null, 0x0
	s_barrier
	buffer_gl0_inv
	v_cmpx_eq_u32_e32 42, v248
	s_cbranch_execz .LBB113_386
; %bb.380:
	ds_store_2addr_b64 v251, v[56:57], v[58:59] offset1:1
	ds_store_2addr_b64 v214, v[52:53], v[54:55] offset0:86 offset1:87
	ds_store_2addr_b64 v214, v[48:49], v[50:51] offset0:88 offset1:89
	;; [unrolled: 1-line block ×14, first 2 shown]
	ds_load_2addr_b64 v[216:219], v251 offset1:1
	s_waitcnt lgkmcnt(0)
	v_cmp_neq_f64_e32 vcc_lo, 0, v[216:217]
	v_cmp_neq_f64_e64 s3, 0, v[218:219]
	s_delay_alu instid0(VALU_DEP_1) | instskip(NEXT) | instid1(SALU_CYCLE_1)
	s_or_b32 s3, vcc_lo, s3
	s_and_b32 exec_lo, exec_lo, s3
	s_cbranch_execz .LBB113_386
; %bb.381:
	v_cmp_gt_f64_e32 vcc_lo, 0, v[216:217]
	v_xor_b32_e32 v208, 0x80000000, v217
	s_delay_alu instid0(VALU_DEP_1) | instskip(SKIP_3) | instid1(VALU_DEP_1)
	v_cndmask_b32_e32 v213, v217, v208, vcc_lo
	v_cndmask_b32_e32 v212, v216, v216, vcc_lo
	v_cmp_gt_f64_e32 vcc_lo, 0, v[218:219]
	v_xor_b32_e32 v208, 0x80000000, v219
	v_dual_cndmask_b32 v220, v218, v218 :: v_dual_cndmask_b32 v221, v219, v208
	s_delay_alu instid0(VALU_DEP_1) | instskip(SKIP_1) | instid1(SALU_CYCLE_1)
	v_cmp_ngt_f64_e32 vcc_lo, v[212:213], v[220:221]
                                        ; implicit-def: $vgpr212_vgpr213
	s_and_saveexec_b32 s3, vcc_lo
	s_xor_b32 s3, exec_lo, s3
                                        ; implicit-def: $vgpr220_vgpr221_vgpr222_vgpr223
	s_cbranch_execz .LBB113_383
; %bb.382:
	v_div_scale_f64 v[212:213], null, v[218:219], v[218:219], v[216:217]
	v_div_scale_f64 v[224:225], vcc_lo, v[216:217], v[218:219], v[216:217]
	s_delay_alu instid0(VALU_DEP_2) | instskip(SKIP_2) | instid1(VALU_DEP_1)
	v_rcp_f64_e32 v[220:221], v[212:213]
	s_waitcnt_depctr 0xfff
	v_fma_f64 v[222:223], -v[212:213], v[220:221], 1.0
	v_fma_f64 v[220:221], v[220:221], v[222:223], v[220:221]
	s_delay_alu instid0(VALU_DEP_1) | instskip(NEXT) | instid1(VALU_DEP_1)
	v_fma_f64 v[222:223], -v[212:213], v[220:221], 1.0
	v_fma_f64 v[220:221], v[220:221], v[222:223], v[220:221]
	s_delay_alu instid0(VALU_DEP_1) | instskip(NEXT) | instid1(VALU_DEP_1)
	v_mul_f64 v[222:223], v[224:225], v[220:221]
	v_fma_f64 v[212:213], -v[212:213], v[222:223], v[224:225]
	s_delay_alu instid0(VALU_DEP_1) | instskip(NEXT) | instid1(VALU_DEP_1)
	v_div_fmas_f64 v[212:213], v[212:213], v[220:221], v[222:223]
	v_div_fixup_f64 v[212:213], v[212:213], v[218:219], v[216:217]
	s_delay_alu instid0(VALU_DEP_1) | instskip(NEXT) | instid1(VALU_DEP_1)
	v_fma_f64 v[216:217], v[216:217], v[212:213], v[218:219]
	v_div_scale_f64 v[218:219], null, v[216:217], v[216:217], 1.0
	s_delay_alu instid0(VALU_DEP_1) | instskip(SKIP_2) | instid1(VALU_DEP_1)
	v_rcp_f64_e32 v[220:221], v[218:219]
	s_waitcnt_depctr 0xfff
	v_fma_f64 v[222:223], -v[218:219], v[220:221], 1.0
	v_fma_f64 v[220:221], v[220:221], v[222:223], v[220:221]
	s_delay_alu instid0(VALU_DEP_1) | instskip(NEXT) | instid1(VALU_DEP_1)
	v_fma_f64 v[222:223], -v[218:219], v[220:221], 1.0
	v_fma_f64 v[220:221], v[220:221], v[222:223], v[220:221]
	v_div_scale_f64 v[222:223], vcc_lo, 1.0, v[216:217], 1.0
	s_delay_alu instid0(VALU_DEP_1) | instskip(NEXT) | instid1(VALU_DEP_1)
	v_mul_f64 v[224:225], v[222:223], v[220:221]
	v_fma_f64 v[218:219], -v[218:219], v[224:225], v[222:223]
	s_delay_alu instid0(VALU_DEP_1) | instskip(NEXT) | instid1(VALU_DEP_1)
	v_div_fmas_f64 v[218:219], v[218:219], v[220:221], v[224:225]
	v_div_fixup_f64 v[222:223], v[218:219], v[216:217], 1.0
                                        ; implicit-def: $vgpr216_vgpr217
	s_delay_alu instid0(VALU_DEP_1)
	v_mul_f64 v[212:213], v[212:213], v[222:223]
	v_xor_b32_e32 v223, 0x80000000, v223
.LBB113_383:
	s_and_not1_saveexec_b32 s3, s3
	s_cbranch_execz .LBB113_385
; %bb.384:
	v_div_scale_f64 v[212:213], null, v[216:217], v[216:217], v[218:219]
	v_div_scale_f64 v[224:225], vcc_lo, v[218:219], v[216:217], v[218:219]
	s_delay_alu instid0(VALU_DEP_2) | instskip(SKIP_2) | instid1(VALU_DEP_1)
	v_rcp_f64_e32 v[220:221], v[212:213]
	s_waitcnt_depctr 0xfff
	v_fma_f64 v[222:223], -v[212:213], v[220:221], 1.0
	v_fma_f64 v[220:221], v[220:221], v[222:223], v[220:221]
	s_delay_alu instid0(VALU_DEP_1) | instskip(NEXT) | instid1(VALU_DEP_1)
	v_fma_f64 v[222:223], -v[212:213], v[220:221], 1.0
	v_fma_f64 v[220:221], v[220:221], v[222:223], v[220:221]
	s_delay_alu instid0(VALU_DEP_1) | instskip(NEXT) | instid1(VALU_DEP_1)
	v_mul_f64 v[222:223], v[224:225], v[220:221]
	v_fma_f64 v[212:213], -v[212:213], v[222:223], v[224:225]
	s_delay_alu instid0(VALU_DEP_1) | instskip(NEXT) | instid1(VALU_DEP_1)
	v_div_fmas_f64 v[212:213], v[212:213], v[220:221], v[222:223]
	v_div_fixup_f64 v[220:221], v[212:213], v[216:217], v[218:219]
	s_delay_alu instid0(VALU_DEP_1) | instskip(NEXT) | instid1(VALU_DEP_1)
	v_fma_f64 v[212:213], v[218:219], v[220:221], v[216:217]
	v_div_scale_f64 v[216:217], null, v[212:213], v[212:213], 1.0
	s_delay_alu instid0(VALU_DEP_1) | instskip(SKIP_2) | instid1(VALU_DEP_1)
	v_rcp_f64_e32 v[218:219], v[216:217]
	s_waitcnt_depctr 0xfff
	v_fma_f64 v[222:223], -v[216:217], v[218:219], 1.0
	v_fma_f64 v[218:219], v[218:219], v[222:223], v[218:219]
	s_delay_alu instid0(VALU_DEP_1) | instskip(NEXT) | instid1(VALU_DEP_1)
	v_fma_f64 v[222:223], -v[216:217], v[218:219], 1.0
	v_fma_f64 v[218:219], v[218:219], v[222:223], v[218:219]
	v_div_scale_f64 v[222:223], vcc_lo, 1.0, v[212:213], 1.0
	s_delay_alu instid0(VALU_DEP_1) | instskip(NEXT) | instid1(VALU_DEP_1)
	v_mul_f64 v[224:225], v[222:223], v[218:219]
	v_fma_f64 v[216:217], -v[216:217], v[224:225], v[222:223]
	s_delay_alu instid0(VALU_DEP_1) | instskip(NEXT) | instid1(VALU_DEP_1)
	v_div_fmas_f64 v[216:217], v[216:217], v[218:219], v[224:225]
	v_div_fixup_f64 v[212:213], v[216:217], v[212:213], 1.0
	s_delay_alu instid0(VALU_DEP_1)
	v_mul_f64 v[222:223], v[220:221], -v[212:213]
.LBB113_385:
	s_or_b32 exec_lo, exec_lo, s3
	ds_store_2addr_b64 v251, v[212:213], v[222:223] offset1:1
.LBB113_386:
	s_or_b32 exec_lo, exec_lo, s4
	s_waitcnt lgkmcnt(0)
	s_barrier
	buffer_gl0_inv
	ds_load_2addr_b64 v[208:211], v251 offset1:1
	s_mov_b32 s3, exec_lo
	s_waitcnt lgkmcnt(0)
	scratch_store_b128 off, v[208:211], off offset:1208 ; 16-byte Folded Spill
	v_cmpx_lt_u32_e32 42, v248
	s_cbranch_execz .LBB113_388
; %bb.387:
	scratch_load_b128 v[208:211], off, off offset:1208 ; 16-byte Folded Reload
	ds_load_2addr_b64 v[218:221], v214 offset0:86 offset1:87
	s_waitcnt vmcnt(0)
	v_mul_f64 v[212:213], v[208:209], v[58:59]
	v_mul_f64 v[58:59], v[210:211], v[58:59]
	s_delay_alu instid0(VALU_DEP_2) | instskip(NEXT) | instid1(VALU_DEP_2)
	v_fma_f64 v[216:217], v[210:211], v[56:57], v[212:213]
	v_fma_f64 v[56:57], v[208:209], v[56:57], -v[58:59]
	s_waitcnt lgkmcnt(0)
	s_delay_alu instid0(VALU_DEP_2) | instskip(SKIP_1) | instid1(VALU_DEP_2)
	v_mul_f64 v[58:59], v[220:221], v[216:217]
	v_mul_f64 v[212:213], v[218:219], v[216:217]
	v_fma_f64 v[58:59], v[218:219], v[56:57], -v[58:59]
	s_delay_alu instid0(VALU_DEP_2)
	v_fma_f64 v[212:213], v[220:221], v[56:57], v[212:213]
	ds_load_2addr_b64 v[218:221], v214 offset0:88 offset1:89
	v_add_f64 v[52:53], v[52:53], -v[58:59]
	v_add_f64 v[54:55], v[54:55], -v[212:213]
	s_waitcnt lgkmcnt(0)
	v_mul_f64 v[58:59], v[220:221], v[216:217]
	v_mul_f64 v[212:213], v[218:219], v[216:217]
	s_delay_alu instid0(VALU_DEP_2) | instskip(NEXT) | instid1(VALU_DEP_2)
	v_fma_f64 v[58:59], v[218:219], v[56:57], -v[58:59]
	v_fma_f64 v[212:213], v[220:221], v[56:57], v[212:213]
	ds_load_2addr_b64 v[218:221], v214 offset0:90 offset1:91
	v_add_f64 v[48:49], v[48:49], -v[58:59]
	v_add_f64 v[50:51], v[50:51], -v[212:213]
	s_waitcnt lgkmcnt(0)
	v_mul_f64 v[58:59], v[220:221], v[216:217]
	v_mul_f64 v[212:213], v[218:219], v[216:217]
	s_delay_alu instid0(VALU_DEP_2) | instskip(NEXT) | instid1(VALU_DEP_2)
	v_fma_f64 v[58:59], v[218:219], v[56:57], -v[58:59]
	v_fma_f64 v[212:213], v[220:221], v[56:57], v[212:213]
	ds_load_2addr_b64 v[218:221], v214 offset0:92 offset1:93
	v_add_f64 v[44:45], v[44:45], -v[58:59]
	v_add_f64 v[46:47], v[46:47], -v[212:213]
	s_waitcnt lgkmcnt(0)
	v_mul_f64 v[58:59], v[220:221], v[216:217]
	v_mul_f64 v[212:213], v[218:219], v[216:217]
	s_delay_alu instid0(VALU_DEP_2) | instskip(NEXT) | instid1(VALU_DEP_2)
	v_fma_f64 v[58:59], v[218:219], v[56:57], -v[58:59]
	v_fma_f64 v[212:213], v[220:221], v[56:57], v[212:213]
	ds_load_2addr_b64 v[218:221], v214 offset0:94 offset1:95
	v_add_f64 v[40:41], v[40:41], -v[58:59]
	v_add_f64 v[42:43], v[42:43], -v[212:213]
	s_waitcnt lgkmcnt(0)
	v_mul_f64 v[58:59], v[220:221], v[216:217]
	v_mul_f64 v[212:213], v[218:219], v[216:217]
	s_delay_alu instid0(VALU_DEP_2) | instskip(NEXT) | instid1(VALU_DEP_2)
	v_fma_f64 v[58:59], v[218:219], v[56:57], -v[58:59]
	v_fma_f64 v[212:213], v[220:221], v[56:57], v[212:213]
	ds_load_2addr_b64 v[218:221], v214 offset0:96 offset1:97
	v_add_f64 v[36:37], v[36:37], -v[58:59]
	v_add_f64 v[38:39], v[38:39], -v[212:213]
	s_waitcnt lgkmcnt(0)
	v_mul_f64 v[58:59], v[220:221], v[216:217]
	v_mul_f64 v[212:213], v[218:219], v[216:217]
	s_delay_alu instid0(VALU_DEP_2) | instskip(NEXT) | instid1(VALU_DEP_2)
	v_fma_f64 v[58:59], v[218:219], v[56:57], -v[58:59]
	v_fma_f64 v[212:213], v[220:221], v[56:57], v[212:213]
	ds_load_2addr_b64 v[218:221], v214 offset0:98 offset1:99
	v_add_f64 v[32:33], v[32:33], -v[58:59]
	v_add_f64 v[34:35], v[34:35], -v[212:213]
	s_waitcnt lgkmcnt(0)
	v_mul_f64 v[58:59], v[220:221], v[216:217]
	v_mul_f64 v[212:213], v[218:219], v[216:217]
	s_delay_alu instid0(VALU_DEP_2) | instskip(NEXT) | instid1(VALU_DEP_2)
	v_fma_f64 v[58:59], v[218:219], v[56:57], -v[58:59]
	v_fma_f64 v[212:213], v[220:221], v[56:57], v[212:213]
	ds_load_2addr_b64 v[218:221], v214 offset0:100 offset1:101
	v_add_f64 v[28:29], v[28:29], -v[58:59]
	v_add_f64 v[30:31], v[30:31], -v[212:213]
	s_waitcnt lgkmcnt(0)
	v_mul_f64 v[58:59], v[220:221], v[216:217]
	v_mul_f64 v[212:213], v[218:219], v[216:217]
	s_delay_alu instid0(VALU_DEP_2) | instskip(NEXT) | instid1(VALU_DEP_2)
	v_fma_f64 v[58:59], v[218:219], v[56:57], -v[58:59]
	v_fma_f64 v[212:213], v[220:221], v[56:57], v[212:213]
	ds_load_2addr_b64 v[218:221], v214 offset0:102 offset1:103
	v_add_f64 v[24:25], v[24:25], -v[58:59]
	v_add_f64 v[26:27], v[26:27], -v[212:213]
	s_waitcnt lgkmcnt(0)
	v_mul_f64 v[58:59], v[220:221], v[216:217]
	v_mul_f64 v[212:213], v[218:219], v[216:217]
	s_delay_alu instid0(VALU_DEP_2) | instskip(NEXT) | instid1(VALU_DEP_2)
	v_fma_f64 v[58:59], v[218:219], v[56:57], -v[58:59]
	v_fma_f64 v[212:213], v[220:221], v[56:57], v[212:213]
	ds_load_2addr_b64 v[218:221], v214 offset0:104 offset1:105
	v_add_f64 v[20:21], v[20:21], -v[58:59]
	v_add_f64 v[22:23], v[22:23], -v[212:213]
	s_waitcnt lgkmcnt(0)
	v_mul_f64 v[58:59], v[220:221], v[216:217]
	v_mul_f64 v[212:213], v[218:219], v[216:217]
	s_delay_alu instid0(VALU_DEP_2) | instskip(NEXT) | instid1(VALU_DEP_2)
	v_fma_f64 v[58:59], v[218:219], v[56:57], -v[58:59]
	v_fma_f64 v[212:213], v[220:221], v[56:57], v[212:213]
	ds_load_2addr_b64 v[218:221], v214 offset0:106 offset1:107
	v_add_f64 v[16:17], v[16:17], -v[58:59]
	v_add_f64 v[18:19], v[18:19], -v[212:213]
	s_waitcnt lgkmcnt(0)
	v_mul_f64 v[58:59], v[220:221], v[216:217]
	v_mul_f64 v[212:213], v[218:219], v[216:217]
	s_delay_alu instid0(VALU_DEP_2) | instskip(NEXT) | instid1(VALU_DEP_2)
	v_fma_f64 v[58:59], v[218:219], v[56:57], -v[58:59]
	v_fma_f64 v[212:213], v[220:221], v[56:57], v[212:213]
	ds_load_2addr_b64 v[218:221], v214 offset0:108 offset1:109
	v_add_f64 v[12:13], v[12:13], -v[58:59]
	v_add_f64 v[14:15], v[14:15], -v[212:213]
	s_waitcnt lgkmcnt(0)
	v_mul_f64 v[58:59], v[220:221], v[216:217]
	v_mul_f64 v[212:213], v[218:219], v[216:217]
	s_delay_alu instid0(VALU_DEP_2) | instskip(NEXT) | instid1(VALU_DEP_2)
	v_fma_f64 v[58:59], v[218:219], v[56:57], -v[58:59]
	v_fma_f64 v[212:213], v[220:221], v[56:57], v[212:213]
	ds_load_2addr_b64 v[218:221], v214 offset0:110 offset1:111
	v_add_f64 v[8:9], v[8:9], -v[58:59]
	v_add_f64 v[10:11], v[10:11], -v[212:213]
	s_waitcnt lgkmcnt(0)
	v_mul_f64 v[58:59], v[220:221], v[216:217]
	v_mul_f64 v[212:213], v[218:219], v[216:217]
	s_delay_alu instid0(VALU_DEP_2) | instskip(NEXT) | instid1(VALU_DEP_2)
	v_fma_f64 v[58:59], v[218:219], v[56:57], -v[58:59]
	v_fma_f64 v[212:213], v[220:221], v[56:57], v[212:213]
	ds_load_2addr_b64 v[218:221], v214 offset0:112 offset1:113
	v_add_f64 v[4:5], v[4:5], -v[58:59]
	v_add_f64 v[6:7], v[6:7], -v[212:213]
	s_waitcnt lgkmcnt(0)
	v_mul_f64 v[58:59], v[220:221], v[216:217]
	v_mul_f64 v[212:213], v[218:219], v[216:217]
	s_delay_alu instid0(VALU_DEP_2) | instskip(NEXT) | instid1(VALU_DEP_2)
	v_fma_f64 v[58:59], v[218:219], v[56:57], -v[58:59]
	v_fma_f64 v[212:213], v[220:221], v[56:57], v[212:213]
	s_delay_alu instid0(VALU_DEP_2) | instskip(NEXT) | instid1(VALU_DEP_2)
	v_add_f64 v[0:1], v[0:1], -v[58:59]
	v_add_f64 v[2:3], v[2:3], -v[212:213]
	v_dual_mov_b32 v58, v216 :: v_dual_mov_b32 v59, v217
.LBB113_388:
	s_or_b32 exec_lo, exec_lo, s3
	s_delay_alu instid0(SALU_CYCLE_1)
	s_mov_b32 s4, exec_lo
	s_waitcnt_vscnt null, 0x0
	s_barrier
	buffer_gl0_inv
	v_cmpx_eq_u32_e32 43, v248
	s_cbranch_execz .LBB113_395
; %bb.389:
	ds_store_2addr_b64 v251, v[52:53], v[54:55] offset1:1
	ds_store_2addr_b64 v214, v[48:49], v[50:51] offset0:88 offset1:89
	ds_store_2addr_b64 v214, v[44:45], v[46:47] offset0:90 offset1:91
	;; [unrolled: 1-line block ×13, first 2 shown]
	ds_load_2addr_b64 v[216:219], v251 offset1:1
	s_waitcnt lgkmcnt(0)
	v_cmp_neq_f64_e32 vcc_lo, 0, v[216:217]
	v_cmp_neq_f64_e64 s3, 0, v[218:219]
	s_delay_alu instid0(VALU_DEP_1) | instskip(NEXT) | instid1(SALU_CYCLE_1)
	s_or_b32 s3, vcc_lo, s3
	s_and_b32 exec_lo, exec_lo, s3
	s_cbranch_execz .LBB113_395
; %bb.390:
	v_cmp_gt_f64_e32 vcc_lo, 0, v[216:217]
	v_xor_b32_e32 v208, 0x80000000, v217
	s_delay_alu instid0(VALU_DEP_1) | instskip(SKIP_3) | instid1(VALU_DEP_1)
	v_cndmask_b32_e32 v213, v217, v208, vcc_lo
	v_cndmask_b32_e32 v212, v216, v216, vcc_lo
	v_cmp_gt_f64_e32 vcc_lo, 0, v[218:219]
	v_xor_b32_e32 v208, 0x80000000, v219
	v_dual_cndmask_b32 v220, v218, v218 :: v_dual_cndmask_b32 v221, v219, v208
	s_delay_alu instid0(VALU_DEP_1) | instskip(SKIP_1) | instid1(SALU_CYCLE_1)
	v_cmp_ngt_f64_e32 vcc_lo, v[212:213], v[220:221]
                                        ; implicit-def: $vgpr212_vgpr213
	s_and_saveexec_b32 s3, vcc_lo
	s_xor_b32 s3, exec_lo, s3
                                        ; implicit-def: $vgpr220_vgpr221_vgpr222_vgpr223
	s_cbranch_execz .LBB113_392
; %bb.391:
	v_div_scale_f64 v[212:213], null, v[218:219], v[218:219], v[216:217]
	v_div_scale_f64 v[224:225], vcc_lo, v[216:217], v[218:219], v[216:217]
	s_delay_alu instid0(VALU_DEP_2) | instskip(SKIP_2) | instid1(VALU_DEP_1)
	v_rcp_f64_e32 v[220:221], v[212:213]
	s_waitcnt_depctr 0xfff
	v_fma_f64 v[222:223], -v[212:213], v[220:221], 1.0
	v_fma_f64 v[220:221], v[220:221], v[222:223], v[220:221]
	s_delay_alu instid0(VALU_DEP_1) | instskip(NEXT) | instid1(VALU_DEP_1)
	v_fma_f64 v[222:223], -v[212:213], v[220:221], 1.0
	v_fma_f64 v[220:221], v[220:221], v[222:223], v[220:221]
	s_delay_alu instid0(VALU_DEP_1) | instskip(NEXT) | instid1(VALU_DEP_1)
	v_mul_f64 v[222:223], v[224:225], v[220:221]
	v_fma_f64 v[212:213], -v[212:213], v[222:223], v[224:225]
	s_delay_alu instid0(VALU_DEP_1) | instskip(NEXT) | instid1(VALU_DEP_1)
	v_div_fmas_f64 v[212:213], v[212:213], v[220:221], v[222:223]
	v_div_fixup_f64 v[212:213], v[212:213], v[218:219], v[216:217]
	s_delay_alu instid0(VALU_DEP_1) | instskip(NEXT) | instid1(VALU_DEP_1)
	v_fma_f64 v[216:217], v[216:217], v[212:213], v[218:219]
	v_div_scale_f64 v[218:219], null, v[216:217], v[216:217], 1.0
	s_delay_alu instid0(VALU_DEP_1) | instskip(SKIP_2) | instid1(VALU_DEP_1)
	v_rcp_f64_e32 v[220:221], v[218:219]
	s_waitcnt_depctr 0xfff
	v_fma_f64 v[222:223], -v[218:219], v[220:221], 1.0
	v_fma_f64 v[220:221], v[220:221], v[222:223], v[220:221]
	s_delay_alu instid0(VALU_DEP_1) | instskip(NEXT) | instid1(VALU_DEP_1)
	v_fma_f64 v[222:223], -v[218:219], v[220:221], 1.0
	v_fma_f64 v[220:221], v[220:221], v[222:223], v[220:221]
	v_div_scale_f64 v[222:223], vcc_lo, 1.0, v[216:217], 1.0
	s_delay_alu instid0(VALU_DEP_1) | instskip(NEXT) | instid1(VALU_DEP_1)
	v_mul_f64 v[224:225], v[222:223], v[220:221]
	v_fma_f64 v[218:219], -v[218:219], v[224:225], v[222:223]
	s_delay_alu instid0(VALU_DEP_1) | instskip(NEXT) | instid1(VALU_DEP_1)
	v_div_fmas_f64 v[218:219], v[218:219], v[220:221], v[224:225]
	v_div_fixup_f64 v[222:223], v[218:219], v[216:217], 1.0
                                        ; implicit-def: $vgpr216_vgpr217
	s_delay_alu instid0(VALU_DEP_1)
	v_mul_f64 v[212:213], v[212:213], v[222:223]
	v_xor_b32_e32 v223, 0x80000000, v223
.LBB113_392:
	s_and_not1_saveexec_b32 s3, s3
	s_cbranch_execz .LBB113_394
; %bb.393:
	v_div_scale_f64 v[212:213], null, v[216:217], v[216:217], v[218:219]
	v_div_scale_f64 v[224:225], vcc_lo, v[218:219], v[216:217], v[218:219]
	s_delay_alu instid0(VALU_DEP_2) | instskip(SKIP_2) | instid1(VALU_DEP_1)
	v_rcp_f64_e32 v[220:221], v[212:213]
	s_waitcnt_depctr 0xfff
	v_fma_f64 v[222:223], -v[212:213], v[220:221], 1.0
	v_fma_f64 v[220:221], v[220:221], v[222:223], v[220:221]
	s_delay_alu instid0(VALU_DEP_1) | instskip(NEXT) | instid1(VALU_DEP_1)
	v_fma_f64 v[222:223], -v[212:213], v[220:221], 1.0
	v_fma_f64 v[220:221], v[220:221], v[222:223], v[220:221]
	s_delay_alu instid0(VALU_DEP_1) | instskip(NEXT) | instid1(VALU_DEP_1)
	v_mul_f64 v[222:223], v[224:225], v[220:221]
	v_fma_f64 v[212:213], -v[212:213], v[222:223], v[224:225]
	s_delay_alu instid0(VALU_DEP_1) | instskip(NEXT) | instid1(VALU_DEP_1)
	v_div_fmas_f64 v[212:213], v[212:213], v[220:221], v[222:223]
	v_div_fixup_f64 v[220:221], v[212:213], v[216:217], v[218:219]
	s_delay_alu instid0(VALU_DEP_1) | instskip(NEXT) | instid1(VALU_DEP_1)
	v_fma_f64 v[212:213], v[218:219], v[220:221], v[216:217]
	v_div_scale_f64 v[216:217], null, v[212:213], v[212:213], 1.0
	s_delay_alu instid0(VALU_DEP_1) | instskip(SKIP_2) | instid1(VALU_DEP_1)
	v_rcp_f64_e32 v[218:219], v[216:217]
	s_waitcnt_depctr 0xfff
	v_fma_f64 v[222:223], -v[216:217], v[218:219], 1.0
	v_fma_f64 v[218:219], v[218:219], v[222:223], v[218:219]
	s_delay_alu instid0(VALU_DEP_1) | instskip(NEXT) | instid1(VALU_DEP_1)
	v_fma_f64 v[222:223], -v[216:217], v[218:219], 1.0
	v_fma_f64 v[218:219], v[218:219], v[222:223], v[218:219]
	v_div_scale_f64 v[222:223], vcc_lo, 1.0, v[212:213], 1.0
	s_delay_alu instid0(VALU_DEP_1) | instskip(NEXT) | instid1(VALU_DEP_1)
	v_mul_f64 v[224:225], v[222:223], v[218:219]
	v_fma_f64 v[216:217], -v[216:217], v[224:225], v[222:223]
	s_delay_alu instid0(VALU_DEP_1) | instskip(NEXT) | instid1(VALU_DEP_1)
	v_div_fmas_f64 v[216:217], v[216:217], v[218:219], v[224:225]
	v_div_fixup_f64 v[212:213], v[216:217], v[212:213], 1.0
	s_delay_alu instid0(VALU_DEP_1)
	v_mul_f64 v[222:223], v[220:221], -v[212:213]
.LBB113_394:
	s_or_b32 exec_lo, exec_lo, s3
	ds_store_2addr_b64 v251, v[212:213], v[222:223] offset1:1
.LBB113_395:
	s_or_b32 exec_lo, exec_lo, s4
	s_waitcnt lgkmcnt(0)
	s_barrier
	buffer_gl0_inv
	ds_load_2addr_b64 v[208:211], v251 offset1:1
	s_mov_b32 s3, exec_lo
	s_waitcnt lgkmcnt(0)
	scratch_store_b128 off, v[208:211], off offset:1224 ; 16-byte Folded Spill
	v_cmpx_lt_u32_e32 43, v248
	s_cbranch_execz .LBB113_397
; %bb.396:
	scratch_load_b128 v[208:211], off, off offset:1224 ; 16-byte Folded Reload
	ds_load_2addr_b64 v[218:221], v214 offset0:88 offset1:89
	s_waitcnt vmcnt(0)
	v_mul_f64 v[212:213], v[208:209], v[54:55]
	v_mul_f64 v[54:55], v[210:211], v[54:55]
	s_delay_alu instid0(VALU_DEP_2) | instskip(NEXT) | instid1(VALU_DEP_2)
	v_fma_f64 v[216:217], v[210:211], v[52:53], v[212:213]
	v_fma_f64 v[52:53], v[208:209], v[52:53], -v[54:55]
	s_waitcnt lgkmcnt(0)
	s_delay_alu instid0(VALU_DEP_2) | instskip(SKIP_1) | instid1(VALU_DEP_2)
	v_mul_f64 v[54:55], v[220:221], v[216:217]
	v_mul_f64 v[212:213], v[218:219], v[216:217]
	v_fma_f64 v[54:55], v[218:219], v[52:53], -v[54:55]
	s_delay_alu instid0(VALU_DEP_2)
	v_fma_f64 v[212:213], v[220:221], v[52:53], v[212:213]
	ds_load_2addr_b64 v[218:221], v214 offset0:90 offset1:91
	v_add_f64 v[48:49], v[48:49], -v[54:55]
	v_add_f64 v[50:51], v[50:51], -v[212:213]
	s_waitcnt lgkmcnt(0)
	v_mul_f64 v[54:55], v[220:221], v[216:217]
	v_mul_f64 v[212:213], v[218:219], v[216:217]
	s_delay_alu instid0(VALU_DEP_2) | instskip(NEXT) | instid1(VALU_DEP_2)
	v_fma_f64 v[54:55], v[218:219], v[52:53], -v[54:55]
	v_fma_f64 v[212:213], v[220:221], v[52:53], v[212:213]
	ds_load_2addr_b64 v[218:221], v214 offset0:92 offset1:93
	v_add_f64 v[44:45], v[44:45], -v[54:55]
	v_add_f64 v[46:47], v[46:47], -v[212:213]
	s_waitcnt lgkmcnt(0)
	v_mul_f64 v[54:55], v[220:221], v[216:217]
	v_mul_f64 v[212:213], v[218:219], v[216:217]
	s_delay_alu instid0(VALU_DEP_2) | instskip(NEXT) | instid1(VALU_DEP_2)
	v_fma_f64 v[54:55], v[218:219], v[52:53], -v[54:55]
	;; [unrolled: 9-line block ×12, first 2 shown]
	v_fma_f64 v[212:213], v[220:221], v[52:53], v[212:213]
	s_delay_alu instid0(VALU_DEP_2) | instskip(NEXT) | instid1(VALU_DEP_2)
	v_add_f64 v[0:1], v[0:1], -v[54:55]
	v_add_f64 v[2:3], v[2:3], -v[212:213]
	v_dual_mov_b32 v54, v216 :: v_dual_mov_b32 v55, v217
.LBB113_397:
	s_or_b32 exec_lo, exec_lo, s3
	s_delay_alu instid0(SALU_CYCLE_1)
	s_mov_b32 s4, exec_lo
	s_waitcnt_vscnt null, 0x0
	s_barrier
	buffer_gl0_inv
	v_cmpx_eq_u32_e32 44, v248
	s_cbranch_execz .LBB113_404
; %bb.398:
	ds_store_2addr_b64 v251, v[48:49], v[50:51] offset1:1
	ds_store_2addr_b64 v214, v[44:45], v[46:47] offset0:90 offset1:91
	ds_store_2addr_b64 v214, v[40:41], v[42:43] offset0:92 offset1:93
	;; [unrolled: 1-line block ×12, first 2 shown]
	ds_load_2addr_b64 v[216:219], v251 offset1:1
	s_waitcnt lgkmcnt(0)
	v_cmp_neq_f64_e32 vcc_lo, 0, v[216:217]
	v_cmp_neq_f64_e64 s3, 0, v[218:219]
	s_delay_alu instid0(VALU_DEP_1) | instskip(NEXT) | instid1(SALU_CYCLE_1)
	s_or_b32 s3, vcc_lo, s3
	s_and_b32 exec_lo, exec_lo, s3
	s_cbranch_execz .LBB113_404
; %bb.399:
	v_cmp_gt_f64_e32 vcc_lo, 0, v[216:217]
	v_xor_b32_e32 v208, 0x80000000, v217
	s_delay_alu instid0(VALU_DEP_1) | instskip(SKIP_3) | instid1(VALU_DEP_1)
	v_cndmask_b32_e32 v213, v217, v208, vcc_lo
	v_cndmask_b32_e32 v212, v216, v216, vcc_lo
	v_cmp_gt_f64_e32 vcc_lo, 0, v[218:219]
	v_xor_b32_e32 v208, 0x80000000, v219
	v_dual_cndmask_b32 v220, v218, v218 :: v_dual_cndmask_b32 v221, v219, v208
	s_delay_alu instid0(VALU_DEP_1) | instskip(SKIP_1) | instid1(SALU_CYCLE_1)
	v_cmp_ngt_f64_e32 vcc_lo, v[212:213], v[220:221]
                                        ; implicit-def: $vgpr212_vgpr213
	s_and_saveexec_b32 s3, vcc_lo
	s_xor_b32 s3, exec_lo, s3
                                        ; implicit-def: $vgpr220_vgpr221_vgpr222_vgpr223
	s_cbranch_execz .LBB113_401
; %bb.400:
	v_div_scale_f64 v[212:213], null, v[218:219], v[218:219], v[216:217]
	v_div_scale_f64 v[224:225], vcc_lo, v[216:217], v[218:219], v[216:217]
	s_delay_alu instid0(VALU_DEP_2) | instskip(SKIP_2) | instid1(VALU_DEP_1)
	v_rcp_f64_e32 v[220:221], v[212:213]
	s_waitcnt_depctr 0xfff
	v_fma_f64 v[222:223], -v[212:213], v[220:221], 1.0
	v_fma_f64 v[220:221], v[220:221], v[222:223], v[220:221]
	s_delay_alu instid0(VALU_DEP_1) | instskip(NEXT) | instid1(VALU_DEP_1)
	v_fma_f64 v[222:223], -v[212:213], v[220:221], 1.0
	v_fma_f64 v[220:221], v[220:221], v[222:223], v[220:221]
	s_delay_alu instid0(VALU_DEP_1) | instskip(NEXT) | instid1(VALU_DEP_1)
	v_mul_f64 v[222:223], v[224:225], v[220:221]
	v_fma_f64 v[212:213], -v[212:213], v[222:223], v[224:225]
	s_delay_alu instid0(VALU_DEP_1) | instskip(NEXT) | instid1(VALU_DEP_1)
	v_div_fmas_f64 v[212:213], v[212:213], v[220:221], v[222:223]
	v_div_fixup_f64 v[212:213], v[212:213], v[218:219], v[216:217]
	s_delay_alu instid0(VALU_DEP_1) | instskip(NEXT) | instid1(VALU_DEP_1)
	v_fma_f64 v[216:217], v[216:217], v[212:213], v[218:219]
	v_div_scale_f64 v[218:219], null, v[216:217], v[216:217], 1.0
	s_delay_alu instid0(VALU_DEP_1) | instskip(SKIP_2) | instid1(VALU_DEP_1)
	v_rcp_f64_e32 v[220:221], v[218:219]
	s_waitcnt_depctr 0xfff
	v_fma_f64 v[222:223], -v[218:219], v[220:221], 1.0
	v_fma_f64 v[220:221], v[220:221], v[222:223], v[220:221]
	s_delay_alu instid0(VALU_DEP_1) | instskip(NEXT) | instid1(VALU_DEP_1)
	v_fma_f64 v[222:223], -v[218:219], v[220:221], 1.0
	v_fma_f64 v[220:221], v[220:221], v[222:223], v[220:221]
	v_div_scale_f64 v[222:223], vcc_lo, 1.0, v[216:217], 1.0
	s_delay_alu instid0(VALU_DEP_1) | instskip(NEXT) | instid1(VALU_DEP_1)
	v_mul_f64 v[224:225], v[222:223], v[220:221]
	v_fma_f64 v[218:219], -v[218:219], v[224:225], v[222:223]
	s_delay_alu instid0(VALU_DEP_1) | instskip(NEXT) | instid1(VALU_DEP_1)
	v_div_fmas_f64 v[218:219], v[218:219], v[220:221], v[224:225]
	v_div_fixup_f64 v[222:223], v[218:219], v[216:217], 1.0
                                        ; implicit-def: $vgpr216_vgpr217
	s_delay_alu instid0(VALU_DEP_1)
	v_mul_f64 v[212:213], v[212:213], v[222:223]
	v_xor_b32_e32 v223, 0x80000000, v223
.LBB113_401:
	s_and_not1_saveexec_b32 s3, s3
	s_cbranch_execz .LBB113_403
; %bb.402:
	v_div_scale_f64 v[212:213], null, v[216:217], v[216:217], v[218:219]
	v_div_scale_f64 v[224:225], vcc_lo, v[218:219], v[216:217], v[218:219]
	s_delay_alu instid0(VALU_DEP_2) | instskip(SKIP_2) | instid1(VALU_DEP_1)
	v_rcp_f64_e32 v[220:221], v[212:213]
	s_waitcnt_depctr 0xfff
	v_fma_f64 v[222:223], -v[212:213], v[220:221], 1.0
	v_fma_f64 v[220:221], v[220:221], v[222:223], v[220:221]
	s_delay_alu instid0(VALU_DEP_1) | instskip(NEXT) | instid1(VALU_DEP_1)
	v_fma_f64 v[222:223], -v[212:213], v[220:221], 1.0
	v_fma_f64 v[220:221], v[220:221], v[222:223], v[220:221]
	s_delay_alu instid0(VALU_DEP_1) | instskip(NEXT) | instid1(VALU_DEP_1)
	v_mul_f64 v[222:223], v[224:225], v[220:221]
	v_fma_f64 v[212:213], -v[212:213], v[222:223], v[224:225]
	s_delay_alu instid0(VALU_DEP_1) | instskip(NEXT) | instid1(VALU_DEP_1)
	v_div_fmas_f64 v[212:213], v[212:213], v[220:221], v[222:223]
	v_div_fixup_f64 v[220:221], v[212:213], v[216:217], v[218:219]
	s_delay_alu instid0(VALU_DEP_1) | instskip(NEXT) | instid1(VALU_DEP_1)
	v_fma_f64 v[212:213], v[218:219], v[220:221], v[216:217]
	v_div_scale_f64 v[216:217], null, v[212:213], v[212:213], 1.0
	s_delay_alu instid0(VALU_DEP_1) | instskip(SKIP_2) | instid1(VALU_DEP_1)
	v_rcp_f64_e32 v[218:219], v[216:217]
	s_waitcnt_depctr 0xfff
	v_fma_f64 v[222:223], -v[216:217], v[218:219], 1.0
	v_fma_f64 v[218:219], v[218:219], v[222:223], v[218:219]
	s_delay_alu instid0(VALU_DEP_1) | instskip(NEXT) | instid1(VALU_DEP_1)
	v_fma_f64 v[222:223], -v[216:217], v[218:219], 1.0
	v_fma_f64 v[218:219], v[218:219], v[222:223], v[218:219]
	v_div_scale_f64 v[222:223], vcc_lo, 1.0, v[212:213], 1.0
	s_delay_alu instid0(VALU_DEP_1) | instskip(NEXT) | instid1(VALU_DEP_1)
	v_mul_f64 v[224:225], v[222:223], v[218:219]
	v_fma_f64 v[216:217], -v[216:217], v[224:225], v[222:223]
	s_delay_alu instid0(VALU_DEP_1) | instskip(NEXT) | instid1(VALU_DEP_1)
	v_div_fmas_f64 v[216:217], v[216:217], v[218:219], v[224:225]
	v_div_fixup_f64 v[212:213], v[216:217], v[212:213], 1.0
	s_delay_alu instid0(VALU_DEP_1)
	v_mul_f64 v[222:223], v[220:221], -v[212:213]
.LBB113_403:
	s_or_b32 exec_lo, exec_lo, s3
	ds_store_2addr_b64 v251, v[212:213], v[222:223] offset1:1
.LBB113_404:
	s_or_b32 exec_lo, exec_lo, s4
	s_waitcnt lgkmcnt(0)
	s_barrier
	buffer_gl0_inv
	ds_load_2addr_b64 v[208:211], v251 offset1:1
	s_mov_b32 s3, exec_lo
	s_waitcnt lgkmcnt(0)
	scratch_store_b128 off, v[208:211], off offset:1240 ; 16-byte Folded Spill
	v_cmpx_lt_u32_e32 44, v248
	s_cbranch_execz .LBB113_406
; %bb.405:
	scratch_load_b128 v[208:211], off, off offset:1240 ; 16-byte Folded Reload
	ds_load_2addr_b64 v[218:221], v214 offset0:90 offset1:91
	s_waitcnt vmcnt(0)
	v_mul_f64 v[212:213], v[208:209], v[50:51]
	v_mul_f64 v[50:51], v[210:211], v[50:51]
	s_delay_alu instid0(VALU_DEP_2) | instskip(NEXT) | instid1(VALU_DEP_2)
	v_fma_f64 v[216:217], v[210:211], v[48:49], v[212:213]
	v_fma_f64 v[48:49], v[208:209], v[48:49], -v[50:51]
	s_waitcnt lgkmcnt(0)
	s_delay_alu instid0(VALU_DEP_2) | instskip(SKIP_1) | instid1(VALU_DEP_2)
	v_mul_f64 v[50:51], v[220:221], v[216:217]
	v_mul_f64 v[212:213], v[218:219], v[216:217]
	v_fma_f64 v[50:51], v[218:219], v[48:49], -v[50:51]
	s_delay_alu instid0(VALU_DEP_2)
	v_fma_f64 v[212:213], v[220:221], v[48:49], v[212:213]
	ds_load_2addr_b64 v[218:221], v214 offset0:92 offset1:93
	v_add_f64 v[44:45], v[44:45], -v[50:51]
	v_add_f64 v[46:47], v[46:47], -v[212:213]
	s_waitcnt lgkmcnt(0)
	v_mul_f64 v[50:51], v[220:221], v[216:217]
	v_mul_f64 v[212:213], v[218:219], v[216:217]
	s_delay_alu instid0(VALU_DEP_2) | instskip(NEXT) | instid1(VALU_DEP_2)
	v_fma_f64 v[50:51], v[218:219], v[48:49], -v[50:51]
	v_fma_f64 v[212:213], v[220:221], v[48:49], v[212:213]
	ds_load_2addr_b64 v[218:221], v214 offset0:94 offset1:95
	v_add_f64 v[40:41], v[40:41], -v[50:51]
	v_add_f64 v[42:43], v[42:43], -v[212:213]
	s_waitcnt lgkmcnt(0)
	v_mul_f64 v[50:51], v[220:221], v[216:217]
	v_mul_f64 v[212:213], v[218:219], v[216:217]
	s_delay_alu instid0(VALU_DEP_2) | instskip(NEXT) | instid1(VALU_DEP_2)
	v_fma_f64 v[50:51], v[218:219], v[48:49], -v[50:51]
	;; [unrolled: 9-line block ×11, first 2 shown]
	v_fma_f64 v[212:213], v[220:221], v[48:49], v[212:213]
	s_delay_alu instid0(VALU_DEP_2) | instskip(NEXT) | instid1(VALU_DEP_2)
	v_add_f64 v[0:1], v[0:1], -v[50:51]
	v_add_f64 v[2:3], v[2:3], -v[212:213]
	v_dual_mov_b32 v50, v216 :: v_dual_mov_b32 v51, v217
.LBB113_406:
	s_or_b32 exec_lo, exec_lo, s3
	s_delay_alu instid0(SALU_CYCLE_1)
	s_mov_b32 s4, exec_lo
	s_waitcnt_vscnt null, 0x0
	s_barrier
	buffer_gl0_inv
	v_cmpx_eq_u32_e32 45, v248
	s_cbranch_execz .LBB113_413
; %bb.407:
	ds_store_2addr_b64 v251, v[44:45], v[46:47] offset1:1
	ds_store_2addr_b64 v214, v[40:41], v[42:43] offset0:92 offset1:93
	ds_store_2addr_b64 v214, v[36:37], v[38:39] offset0:94 offset1:95
	;; [unrolled: 1-line block ×11, first 2 shown]
	ds_load_2addr_b64 v[216:219], v251 offset1:1
	s_waitcnt lgkmcnt(0)
	v_cmp_neq_f64_e32 vcc_lo, 0, v[216:217]
	v_cmp_neq_f64_e64 s3, 0, v[218:219]
	s_delay_alu instid0(VALU_DEP_1) | instskip(NEXT) | instid1(SALU_CYCLE_1)
	s_or_b32 s3, vcc_lo, s3
	s_and_b32 exec_lo, exec_lo, s3
	s_cbranch_execz .LBB113_413
; %bb.408:
	v_cmp_gt_f64_e32 vcc_lo, 0, v[216:217]
	v_xor_b32_e32 v208, 0x80000000, v217
	s_delay_alu instid0(VALU_DEP_1) | instskip(SKIP_3) | instid1(VALU_DEP_1)
	v_cndmask_b32_e32 v213, v217, v208, vcc_lo
	v_cndmask_b32_e32 v212, v216, v216, vcc_lo
	v_cmp_gt_f64_e32 vcc_lo, 0, v[218:219]
	v_xor_b32_e32 v208, 0x80000000, v219
	v_dual_cndmask_b32 v220, v218, v218 :: v_dual_cndmask_b32 v221, v219, v208
	s_delay_alu instid0(VALU_DEP_1) | instskip(SKIP_1) | instid1(SALU_CYCLE_1)
	v_cmp_ngt_f64_e32 vcc_lo, v[212:213], v[220:221]
                                        ; implicit-def: $vgpr212_vgpr213
	s_and_saveexec_b32 s3, vcc_lo
	s_xor_b32 s3, exec_lo, s3
                                        ; implicit-def: $vgpr220_vgpr221_vgpr222_vgpr223
	s_cbranch_execz .LBB113_410
; %bb.409:
	v_div_scale_f64 v[212:213], null, v[218:219], v[218:219], v[216:217]
	v_div_scale_f64 v[224:225], vcc_lo, v[216:217], v[218:219], v[216:217]
	s_delay_alu instid0(VALU_DEP_2) | instskip(SKIP_2) | instid1(VALU_DEP_1)
	v_rcp_f64_e32 v[220:221], v[212:213]
	s_waitcnt_depctr 0xfff
	v_fma_f64 v[222:223], -v[212:213], v[220:221], 1.0
	v_fma_f64 v[220:221], v[220:221], v[222:223], v[220:221]
	s_delay_alu instid0(VALU_DEP_1) | instskip(NEXT) | instid1(VALU_DEP_1)
	v_fma_f64 v[222:223], -v[212:213], v[220:221], 1.0
	v_fma_f64 v[220:221], v[220:221], v[222:223], v[220:221]
	s_delay_alu instid0(VALU_DEP_1) | instskip(NEXT) | instid1(VALU_DEP_1)
	v_mul_f64 v[222:223], v[224:225], v[220:221]
	v_fma_f64 v[212:213], -v[212:213], v[222:223], v[224:225]
	s_delay_alu instid0(VALU_DEP_1) | instskip(NEXT) | instid1(VALU_DEP_1)
	v_div_fmas_f64 v[212:213], v[212:213], v[220:221], v[222:223]
	v_div_fixup_f64 v[212:213], v[212:213], v[218:219], v[216:217]
	s_delay_alu instid0(VALU_DEP_1) | instskip(NEXT) | instid1(VALU_DEP_1)
	v_fma_f64 v[216:217], v[216:217], v[212:213], v[218:219]
	v_div_scale_f64 v[218:219], null, v[216:217], v[216:217], 1.0
	s_delay_alu instid0(VALU_DEP_1) | instskip(SKIP_2) | instid1(VALU_DEP_1)
	v_rcp_f64_e32 v[220:221], v[218:219]
	s_waitcnt_depctr 0xfff
	v_fma_f64 v[222:223], -v[218:219], v[220:221], 1.0
	v_fma_f64 v[220:221], v[220:221], v[222:223], v[220:221]
	s_delay_alu instid0(VALU_DEP_1) | instskip(NEXT) | instid1(VALU_DEP_1)
	v_fma_f64 v[222:223], -v[218:219], v[220:221], 1.0
	v_fma_f64 v[220:221], v[220:221], v[222:223], v[220:221]
	v_div_scale_f64 v[222:223], vcc_lo, 1.0, v[216:217], 1.0
	s_delay_alu instid0(VALU_DEP_1) | instskip(NEXT) | instid1(VALU_DEP_1)
	v_mul_f64 v[224:225], v[222:223], v[220:221]
	v_fma_f64 v[218:219], -v[218:219], v[224:225], v[222:223]
	s_delay_alu instid0(VALU_DEP_1) | instskip(NEXT) | instid1(VALU_DEP_1)
	v_div_fmas_f64 v[218:219], v[218:219], v[220:221], v[224:225]
	v_div_fixup_f64 v[222:223], v[218:219], v[216:217], 1.0
                                        ; implicit-def: $vgpr216_vgpr217
	s_delay_alu instid0(VALU_DEP_1)
	v_mul_f64 v[212:213], v[212:213], v[222:223]
	v_xor_b32_e32 v223, 0x80000000, v223
.LBB113_410:
	s_and_not1_saveexec_b32 s3, s3
	s_cbranch_execz .LBB113_412
; %bb.411:
	v_div_scale_f64 v[212:213], null, v[216:217], v[216:217], v[218:219]
	v_div_scale_f64 v[224:225], vcc_lo, v[218:219], v[216:217], v[218:219]
	s_delay_alu instid0(VALU_DEP_2) | instskip(SKIP_2) | instid1(VALU_DEP_1)
	v_rcp_f64_e32 v[220:221], v[212:213]
	s_waitcnt_depctr 0xfff
	v_fma_f64 v[222:223], -v[212:213], v[220:221], 1.0
	v_fma_f64 v[220:221], v[220:221], v[222:223], v[220:221]
	s_delay_alu instid0(VALU_DEP_1) | instskip(NEXT) | instid1(VALU_DEP_1)
	v_fma_f64 v[222:223], -v[212:213], v[220:221], 1.0
	v_fma_f64 v[220:221], v[220:221], v[222:223], v[220:221]
	s_delay_alu instid0(VALU_DEP_1) | instskip(NEXT) | instid1(VALU_DEP_1)
	v_mul_f64 v[222:223], v[224:225], v[220:221]
	v_fma_f64 v[212:213], -v[212:213], v[222:223], v[224:225]
	s_delay_alu instid0(VALU_DEP_1) | instskip(NEXT) | instid1(VALU_DEP_1)
	v_div_fmas_f64 v[212:213], v[212:213], v[220:221], v[222:223]
	v_div_fixup_f64 v[220:221], v[212:213], v[216:217], v[218:219]
	s_delay_alu instid0(VALU_DEP_1) | instskip(NEXT) | instid1(VALU_DEP_1)
	v_fma_f64 v[212:213], v[218:219], v[220:221], v[216:217]
	v_div_scale_f64 v[216:217], null, v[212:213], v[212:213], 1.0
	s_delay_alu instid0(VALU_DEP_1) | instskip(SKIP_2) | instid1(VALU_DEP_1)
	v_rcp_f64_e32 v[218:219], v[216:217]
	s_waitcnt_depctr 0xfff
	v_fma_f64 v[222:223], -v[216:217], v[218:219], 1.0
	v_fma_f64 v[218:219], v[218:219], v[222:223], v[218:219]
	s_delay_alu instid0(VALU_DEP_1) | instskip(NEXT) | instid1(VALU_DEP_1)
	v_fma_f64 v[222:223], -v[216:217], v[218:219], 1.0
	v_fma_f64 v[218:219], v[218:219], v[222:223], v[218:219]
	v_div_scale_f64 v[222:223], vcc_lo, 1.0, v[212:213], 1.0
	s_delay_alu instid0(VALU_DEP_1) | instskip(NEXT) | instid1(VALU_DEP_1)
	v_mul_f64 v[224:225], v[222:223], v[218:219]
	v_fma_f64 v[216:217], -v[216:217], v[224:225], v[222:223]
	s_delay_alu instid0(VALU_DEP_1) | instskip(NEXT) | instid1(VALU_DEP_1)
	v_div_fmas_f64 v[216:217], v[216:217], v[218:219], v[224:225]
	v_div_fixup_f64 v[212:213], v[216:217], v[212:213], 1.0
	s_delay_alu instid0(VALU_DEP_1)
	v_mul_f64 v[222:223], v[220:221], -v[212:213]
.LBB113_412:
	s_or_b32 exec_lo, exec_lo, s3
	ds_store_2addr_b64 v251, v[212:213], v[222:223] offset1:1
.LBB113_413:
	s_or_b32 exec_lo, exec_lo, s4
	s_waitcnt lgkmcnt(0)
	s_barrier
	buffer_gl0_inv
	ds_load_2addr_b64 v[208:211], v251 offset1:1
	s_mov_b32 s3, exec_lo
	s_waitcnt lgkmcnt(0)
	scratch_store_b128 off, v[208:211], off offset:1256 ; 16-byte Folded Spill
	v_cmpx_lt_u32_e32 45, v248
	s_cbranch_execz .LBB113_415
; %bb.414:
	scratch_load_b128 v[208:211], off, off offset:1256 ; 16-byte Folded Reload
	ds_load_2addr_b64 v[218:221], v214 offset0:92 offset1:93
	s_waitcnt vmcnt(0)
	v_mul_f64 v[212:213], v[208:209], v[46:47]
	v_mul_f64 v[46:47], v[210:211], v[46:47]
	s_delay_alu instid0(VALU_DEP_2) | instskip(NEXT) | instid1(VALU_DEP_2)
	v_fma_f64 v[216:217], v[210:211], v[44:45], v[212:213]
	v_fma_f64 v[44:45], v[208:209], v[44:45], -v[46:47]
	s_waitcnt lgkmcnt(0)
	s_delay_alu instid0(VALU_DEP_2) | instskip(SKIP_1) | instid1(VALU_DEP_2)
	v_mul_f64 v[46:47], v[220:221], v[216:217]
	v_mul_f64 v[212:213], v[218:219], v[216:217]
	v_fma_f64 v[46:47], v[218:219], v[44:45], -v[46:47]
	s_delay_alu instid0(VALU_DEP_2)
	v_fma_f64 v[212:213], v[220:221], v[44:45], v[212:213]
	ds_load_2addr_b64 v[218:221], v214 offset0:94 offset1:95
	v_add_f64 v[40:41], v[40:41], -v[46:47]
	v_add_f64 v[42:43], v[42:43], -v[212:213]
	s_waitcnt lgkmcnt(0)
	v_mul_f64 v[46:47], v[220:221], v[216:217]
	v_mul_f64 v[212:213], v[218:219], v[216:217]
	s_delay_alu instid0(VALU_DEP_2) | instskip(NEXT) | instid1(VALU_DEP_2)
	v_fma_f64 v[46:47], v[218:219], v[44:45], -v[46:47]
	v_fma_f64 v[212:213], v[220:221], v[44:45], v[212:213]
	ds_load_2addr_b64 v[218:221], v214 offset0:96 offset1:97
	v_add_f64 v[36:37], v[36:37], -v[46:47]
	v_add_f64 v[38:39], v[38:39], -v[212:213]
	s_waitcnt lgkmcnt(0)
	v_mul_f64 v[46:47], v[220:221], v[216:217]
	v_mul_f64 v[212:213], v[218:219], v[216:217]
	s_delay_alu instid0(VALU_DEP_2) | instskip(NEXT) | instid1(VALU_DEP_2)
	v_fma_f64 v[46:47], v[218:219], v[44:45], -v[46:47]
	;; [unrolled: 9-line block ×10, first 2 shown]
	v_fma_f64 v[212:213], v[220:221], v[44:45], v[212:213]
	s_delay_alu instid0(VALU_DEP_2) | instskip(NEXT) | instid1(VALU_DEP_2)
	v_add_f64 v[0:1], v[0:1], -v[46:47]
	v_add_f64 v[2:3], v[2:3], -v[212:213]
	v_dual_mov_b32 v46, v216 :: v_dual_mov_b32 v47, v217
.LBB113_415:
	s_or_b32 exec_lo, exec_lo, s3
	s_delay_alu instid0(SALU_CYCLE_1)
	s_mov_b32 s4, exec_lo
	s_waitcnt_vscnt null, 0x0
	s_barrier
	buffer_gl0_inv
	v_cmpx_eq_u32_e32 46, v248
	s_cbranch_execz .LBB113_422
; %bb.416:
	ds_store_2addr_b64 v251, v[40:41], v[42:43] offset1:1
	ds_store_2addr_b64 v214, v[36:37], v[38:39] offset0:94 offset1:95
	ds_store_2addr_b64 v214, v[32:33], v[34:35] offset0:96 offset1:97
	;; [unrolled: 1-line block ×10, first 2 shown]
	ds_load_2addr_b64 v[216:219], v251 offset1:1
	s_waitcnt lgkmcnt(0)
	v_cmp_neq_f64_e32 vcc_lo, 0, v[216:217]
	v_cmp_neq_f64_e64 s3, 0, v[218:219]
	s_delay_alu instid0(VALU_DEP_1) | instskip(NEXT) | instid1(SALU_CYCLE_1)
	s_or_b32 s3, vcc_lo, s3
	s_and_b32 exec_lo, exec_lo, s3
	s_cbranch_execz .LBB113_422
; %bb.417:
	v_cmp_gt_f64_e32 vcc_lo, 0, v[216:217]
	v_xor_b32_e32 v208, 0x80000000, v217
	s_delay_alu instid0(VALU_DEP_1) | instskip(SKIP_3) | instid1(VALU_DEP_1)
	v_cndmask_b32_e32 v213, v217, v208, vcc_lo
	v_cndmask_b32_e32 v212, v216, v216, vcc_lo
	v_cmp_gt_f64_e32 vcc_lo, 0, v[218:219]
	v_xor_b32_e32 v208, 0x80000000, v219
	v_dual_cndmask_b32 v220, v218, v218 :: v_dual_cndmask_b32 v221, v219, v208
	s_delay_alu instid0(VALU_DEP_1) | instskip(SKIP_1) | instid1(SALU_CYCLE_1)
	v_cmp_ngt_f64_e32 vcc_lo, v[212:213], v[220:221]
                                        ; implicit-def: $vgpr212_vgpr213
	s_and_saveexec_b32 s3, vcc_lo
	s_xor_b32 s3, exec_lo, s3
                                        ; implicit-def: $vgpr220_vgpr221_vgpr222_vgpr223
	s_cbranch_execz .LBB113_419
; %bb.418:
	v_div_scale_f64 v[212:213], null, v[218:219], v[218:219], v[216:217]
	v_div_scale_f64 v[224:225], vcc_lo, v[216:217], v[218:219], v[216:217]
	s_delay_alu instid0(VALU_DEP_2) | instskip(SKIP_2) | instid1(VALU_DEP_1)
	v_rcp_f64_e32 v[220:221], v[212:213]
	s_waitcnt_depctr 0xfff
	v_fma_f64 v[222:223], -v[212:213], v[220:221], 1.0
	v_fma_f64 v[220:221], v[220:221], v[222:223], v[220:221]
	s_delay_alu instid0(VALU_DEP_1) | instskip(NEXT) | instid1(VALU_DEP_1)
	v_fma_f64 v[222:223], -v[212:213], v[220:221], 1.0
	v_fma_f64 v[220:221], v[220:221], v[222:223], v[220:221]
	s_delay_alu instid0(VALU_DEP_1) | instskip(NEXT) | instid1(VALU_DEP_1)
	v_mul_f64 v[222:223], v[224:225], v[220:221]
	v_fma_f64 v[212:213], -v[212:213], v[222:223], v[224:225]
	s_delay_alu instid0(VALU_DEP_1) | instskip(NEXT) | instid1(VALU_DEP_1)
	v_div_fmas_f64 v[212:213], v[212:213], v[220:221], v[222:223]
	v_div_fixup_f64 v[212:213], v[212:213], v[218:219], v[216:217]
	s_delay_alu instid0(VALU_DEP_1) | instskip(NEXT) | instid1(VALU_DEP_1)
	v_fma_f64 v[216:217], v[216:217], v[212:213], v[218:219]
	v_div_scale_f64 v[218:219], null, v[216:217], v[216:217], 1.0
	s_delay_alu instid0(VALU_DEP_1) | instskip(SKIP_2) | instid1(VALU_DEP_1)
	v_rcp_f64_e32 v[220:221], v[218:219]
	s_waitcnt_depctr 0xfff
	v_fma_f64 v[222:223], -v[218:219], v[220:221], 1.0
	v_fma_f64 v[220:221], v[220:221], v[222:223], v[220:221]
	s_delay_alu instid0(VALU_DEP_1) | instskip(NEXT) | instid1(VALU_DEP_1)
	v_fma_f64 v[222:223], -v[218:219], v[220:221], 1.0
	v_fma_f64 v[220:221], v[220:221], v[222:223], v[220:221]
	v_div_scale_f64 v[222:223], vcc_lo, 1.0, v[216:217], 1.0
	s_delay_alu instid0(VALU_DEP_1) | instskip(NEXT) | instid1(VALU_DEP_1)
	v_mul_f64 v[224:225], v[222:223], v[220:221]
	v_fma_f64 v[218:219], -v[218:219], v[224:225], v[222:223]
	s_delay_alu instid0(VALU_DEP_1) | instskip(NEXT) | instid1(VALU_DEP_1)
	v_div_fmas_f64 v[218:219], v[218:219], v[220:221], v[224:225]
	v_div_fixup_f64 v[222:223], v[218:219], v[216:217], 1.0
                                        ; implicit-def: $vgpr216_vgpr217
	s_delay_alu instid0(VALU_DEP_1)
	v_mul_f64 v[212:213], v[212:213], v[222:223]
	v_xor_b32_e32 v223, 0x80000000, v223
.LBB113_419:
	s_and_not1_saveexec_b32 s3, s3
	s_cbranch_execz .LBB113_421
; %bb.420:
	v_div_scale_f64 v[212:213], null, v[216:217], v[216:217], v[218:219]
	v_div_scale_f64 v[224:225], vcc_lo, v[218:219], v[216:217], v[218:219]
	s_delay_alu instid0(VALU_DEP_2) | instskip(SKIP_2) | instid1(VALU_DEP_1)
	v_rcp_f64_e32 v[220:221], v[212:213]
	s_waitcnt_depctr 0xfff
	v_fma_f64 v[222:223], -v[212:213], v[220:221], 1.0
	v_fma_f64 v[220:221], v[220:221], v[222:223], v[220:221]
	s_delay_alu instid0(VALU_DEP_1) | instskip(NEXT) | instid1(VALU_DEP_1)
	v_fma_f64 v[222:223], -v[212:213], v[220:221], 1.0
	v_fma_f64 v[220:221], v[220:221], v[222:223], v[220:221]
	s_delay_alu instid0(VALU_DEP_1) | instskip(NEXT) | instid1(VALU_DEP_1)
	v_mul_f64 v[222:223], v[224:225], v[220:221]
	v_fma_f64 v[212:213], -v[212:213], v[222:223], v[224:225]
	s_delay_alu instid0(VALU_DEP_1) | instskip(NEXT) | instid1(VALU_DEP_1)
	v_div_fmas_f64 v[212:213], v[212:213], v[220:221], v[222:223]
	v_div_fixup_f64 v[220:221], v[212:213], v[216:217], v[218:219]
	s_delay_alu instid0(VALU_DEP_1) | instskip(NEXT) | instid1(VALU_DEP_1)
	v_fma_f64 v[212:213], v[218:219], v[220:221], v[216:217]
	v_div_scale_f64 v[216:217], null, v[212:213], v[212:213], 1.0
	s_delay_alu instid0(VALU_DEP_1) | instskip(SKIP_2) | instid1(VALU_DEP_1)
	v_rcp_f64_e32 v[218:219], v[216:217]
	s_waitcnt_depctr 0xfff
	v_fma_f64 v[222:223], -v[216:217], v[218:219], 1.0
	v_fma_f64 v[218:219], v[218:219], v[222:223], v[218:219]
	s_delay_alu instid0(VALU_DEP_1) | instskip(NEXT) | instid1(VALU_DEP_1)
	v_fma_f64 v[222:223], -v[216:217], v[218:219], 1.0
	v_fma_f64 v[218:219], v[218:219], v[222:223], v[218:219]
	v_div_scale_f64 v[222:223], vcc_lo, 1.0, v[212:213], 1.0
	s_delay_alu instid0(VALU_DEP_1) | instskip(NEXT) | instid1(VALU_DEP_1)
	v_mul_f64 v[224:225], v[222:223], v[218:219]
	v_fma_f64 v[216:217], -v[216:217], v[224:225], v[222:223]
	s_delay_alu instid0(VALU_DEP_1) | instskip(NEXT) | instid1(VALU_DEP_1)
	v_div_fmas_f64 v[216:217], v[216:217], v[218:219], v[224:225]
	v_div_fixup_f64 v[212:213], v[216:217], v[212:213], 1.0
	s_delay_alu instid0(VALU_DEP_1)
	v_mul_f64 v[222:223], v[220:221], -v[212:213]
.LBB113_421:
	s_or_b32 exec_lo, exec_lo, s3
	ds_store_2addr_b64 v251, v[212:213], v[222:223] offset1:1
.LBB113_422:
	s_or_b32 exec_lo, exec_lo, s4
	s_waitcnt lgkmcnt(0)
	s_barrier
	buffer_gl0_inv
	ds_load_2addr_b64 v[208:211], v251 offset1:1
	s_mov_b32 s3, exec_lo
	s_waitcnt lgkmcnt(0)
	scratch_store_b128 off, v[208:211], off offset:1272 ; 16-byte Folded Spill
	v_cmpx_lt_u32_e32 46, v248
	s_cbranch_execz .LBB113_424
; %bb.423:
	scratch_load_b128 v[208:211], off, off offset:1272 ; 16-byte Folded Reload
	ds_load_2addr_b64 v[216:219], v214 offset0:94 offset1:95
	s_waitcnt vmcnt(0)
	v_mul_f64 v[212:213], v[208:209], v[42:43]
	v_mul_f64 v[42:43], v[210:211], v[42:43]
	s_delay_alu instid0(VALU_DEP_2) | instskip(NEXT) | instid1(VALU_DEP_2)
	v_fma_f64 v[212:213], v[210:211], v[40:41], v[212:213]
	v_fma_f64 v[40:41], v[208:209], v[40:41], -v[42:43]
	s_waitcnt lgkmcnt(0)
	s_delay_alu instid0(VALU_DEP_2) | instskip(NEXT) | instid1(VALU_DEP_1)
	v_mul_f64 v[42:43], v[218:219], v[212:213]
	v_fma_f64 v[42:43], v[216:217], v[40:41], -v[42:43]
	v_mul_f64 v[216:217], v[216:217], v[212:213]
	s_delay_alu instid0(VALU_DEP_2) | instskip(NEXT) | instid1(VALU_DEP_2)
	v_add_f64 v[36:37], v[36:37], -v[42:43]
	v_fma_f64 v[216:217], v[218:219], v[40:41], v[216:217]
	s_delay_alu instid0(VALU_DEP_1) | instskip(SKIP_3) | instid1(VALU_DEP_1)
	v_add_f64 v[38:39], v[38:39], -v[216:217]
	ds_load_2addr_b64 v[216:219], v214 offset0:96 offset1:97
	s_waitcnt lgkmcnt(0)
	v_mul_f64 v[42:43], v[218:219], v[212:213]
	v_fma_f64 v[42:43], v[216:217], v[40:41], -v[42:43]
	v_mul_f64 v[216:217], v[216:217], v[212:213]
	s_delay_alu instid0(VALU_DEP_2) | instskip(NEXT) | instid1(VALU_DEP_2)
	v_add_f64 v[32:33], v[32:33], -v[42:43]
	v_fma_f64 v[216:217], v[218:219], v[40:41], v[216:217]
	s_delay_alu instid0(VALU_DEP_1) | instskip(SKIP_3) | instid1(VALU_DEP_1)
	v_add_f64 v[34:35], v[34:35], -v[216:217]
	ds_load_2addr_b64 v[216:219], v214 offset0:98 offset1:99
	s_waitcnt lgkmcnt(0)
	;; [unrolled: 10-line block ×9, first 2 shown]
	v_mul_f64 v[42:43], v[218:219], v[212:213]
	v_fma_f64 v[42:43], v[216:217], v[40:41], -v[42:43]
	v_mul_f64 v[216:217], v[216:217], v[212:213]
	s_delay_alu instid0(VALU_DEP_2) | instskip(NEXT) | instid1(VALU_DEP_2)
	v_add_f64 v[0:1], v[0:1], -v[42:43]
	v_fma_f64 v[216:217], v[218:219], v[40:41], v[216:217]
	v_dual_mov_b32 v42, v212 :: v_dual_mov_b32 v43, v213
	s_delay_alu instid0(VALU_DEP_2)
	v_add_f64 v[2:3], v[2:3], -v[216:217]
.LBB113_424:
	s_or_b32 exec_lo, exec_lo, s3
	s_delay_alu instid0(SALU_CYCLE_1)
	s_mov_b32 s4, exec_lo
	s_waitcnt_vscnt null, 0x0
	s_barrier
	buffer_gl0_inv
	v_cmpx_eq_u32_e32 47, v248
	s_cbranch_execz .LBB113_431
; %bb.425:
	ds_store_2addr_b64 v251, v[36:37], v[38:39] offset1:1
	ds_store_2addr_b64 v214, v[32:33], v[34:35] offset0:96 offset1:97
	ds_store_2addr_b64 v214, v[28:29], v[30:31] offset0:98 offset1:99
	;; [unrolled: 1-line block ×9, first 2 shown]
	ds_load_2addr_b64 v[216:219], v251 offset1:1
	s_waitcnt lgkmcnt(0)
	v_cmp_neq_f64_e32 vcc_lo, 0, v[216:217]
	v_cmp_neq_f64_e64 s3, 0, v[218:219]
	s_delay_alu instid0(VALU_DEP_1) | instskip(NEXT) | instid1(SALU_CYCLE_1)
	s_or_b32 s3, vcc_lo, s3
	s_and_b32 exec_lo, exec_lo, s3
	s_cbranch_execz .LBB113_431
; %bb.426:
	v_cmp_gt_f64_e32 vcc_lo, 0, v[216:217]
	v_xor_b32_e32 v208, 0x80000000, v217
	s_delay_alu instid0(VALU_DEP_1) | instskip(SKIP_3) | instid1(VALU_DEP_1)
	v_cndmask_b32_e32 v213, v217, v208, vcc_lo
	v_cndmask_b32_e32 v212, v216, v216, vcc_lo
	v_cmp_gt_f64_e32 vcc_lo, 0, v[218:219]
	v_xor_b32_e32 v208, 0x80000000, v219
	v_dual_cndmask_b32 v220, v218, v218 :: v_dual_cndmask_b32 v221, v219, v208
	s_delay_alu instid0(VALU_DEP_1) | instskip(SKIP_1) | instid1(SALU_CYCLE_1)
	v_cmp_ngt_f64_e32 vcc_lo, v[212:213], v[220:221]
                                        ; implicit-def: $vgpr212_vgpr213
	s_and_saveexec_b32 s3, vcc_lo
	s_xor_b32 s3, exec_lo, s3
                                        ; implicit-def: $vgpr220_vgpr221_vgpr222_vgpr223
	s_cbranch_execz .LBB113_428
; %bb.427:
	v_div_scale_f64 v[212:213], null, v[218:219], v[218:219], v[216:217]
	v_div_scale_f64 v[224:225], vcc_lo, v[216:217], v[218:219], v[216:217]
	s_delay_alu instid0(VALU_DEP_2) | instskip(SKIP_2) | instid1(VALU_DEP_1)
	v_rcp_f64_e32 v[220:221], v[212:213]
	s_waitcnt_depctr 0xfff
	v_fma_f64 v[222:223], -v[212:213], v[220:221], 1.0
	v_fma_f64 v[220:221], v[220:221], v[222:223], v[220:221]
	s_delay_alu instid0(VALU_DEP_1) | instskip(NEXT) | instid1(VALU_DEP_1)
	v_fma_f64 v[222:223], -v[212:213], v[220:221], 1.0
	v_fma_f64 v[220:221], v[220:221], v[222:223], v[220:221]
	s_delay_alu instid0(VALU_DEP_1) | instskip(NEXT) | instid1(VALU_DEP_1)
	v_mul_f64 v[222:223], v[224:225], v[220:221]
	v_fma_f64 v[212:213], -v[212:213], v[222:223], v[224:225]
	s_delay_alu instid0(VALU_DEP_1) | instskip(NEXT) | instid1(VALU_DEP_1)
	v_div_fmas_f64 v[212:213], v[212:213], v[220:221], v[222:223]
	v_div_fixup_f64 v[212:213], v[212:213], v[218:219], v[216:217]
	s_delay_alu instid0(VALU_DEP_1) | instskip(NEXT) | instid1(VALU_DEP_1)
	v_fma_f64 v[216:217], v[216:217], v[212:213], v[218:219]
	v_div_scale_f64 v[218:219], null, v[216:217], v[216:217], 1.0
	s_delay_alu instid0(VALU_DEP_1) | instskip(SKIP_2) | instid1(VALU_DEP_1)
	v_rcp_f64_e32 v[220:221], v[218:219]
	s_waitcnt_depctr 0xfff
	v_fma_f64 v[222:223], -v[218:219], v[220:221], 1.0
	v_fma_f64 v[220:221], v[220:221], v[222:223], v[220:221]
	s_delay_alu instid0(VALU_DEP_1) | instskip(NEXT) | instid1(VALU_DEP_1)
	v_fma_f64 v[222:223], -v[218:219], v[220:221], 1.0
	v_fma_f64 v[220:221], v[220:221], v[222:223], v[220:221]
	v_div_scale_f64 v[222:223], vcc_lo, 1.0, v[216:217], 1.0
	s_delay_alu instid0(VALU_DEP_1) | instskip(NEXT) | instid1(VALU_DEP_1)
	v_mul_f64 v[224:225], v[222:223], v[220:221]
	v_fma_f64 v[218:219], -v[218:219], v[224:225], v[222:223]
	s_delay_alu instid0(VALU_DEP_1) | instskip(NEXT) | instid1(VALU_DEP_1)
	v_div_fmas_f64 v[218:219], v[218:219], v[220:221], v[224:225]
	v_div_fixup_f64 v[222:223], v[218:219], v[216:217], 1.0
                                        ; implicit-def: $vgpr216_vgpr217
	s_delay_alu instid0(VALU_DEP_1)
	v_mul_f64 v[212:213], v[212:213], v[222:223]
	v_xor_b32_e32 v223, 0x80000000, v223
.LBB113_428:
	s_and_not1_saveexec_b32 s3, s3
	s_cbranch_execz .LBB113_430
; %bb.429:
	v_div_scale_f64 v[212:213], null, v[216:217], v[216:217], v[218:219]
	v_div_scale_f64 v[224:225], vcc_lo, v[218:219], v[216:217], v[218:219]
	s_delay_alu instid0(VALU_DEP_2) | instskip(SKIP_2) | instid1(VALU_DEP_1)
	v_rcp_f64_e32 v[220:221], v[212:213]
	s_waitcnt_depctr 0xfff
	v_fma_f64 v[222:223], -v[212:213], v[220:221], 1.0
	v_fma_f64 v[220:221], v[220:221], v[222:223], v[220:221]
	s_delay_alu instid0(VALU_DEP_1) | instskip(NEXT) | instid1(VALU_DEP_1)
	v_fma_f64 v[222:223], -v[212:213], v[220:221], 1.0
	v_fma_f64 v[220:221], v[220:221], v[222:223], v[220:221]
	s_delay_alu instid0(VALU_DEP_1) | instskip(NEXT) | instid1(VALU_DEP_1)
	v_mul_f64 v[222:223], v[224:225], v[220:221]
	v_fma_f64 v[212:213], -v[212:213], v[222:223], v[224:225]
	s_delay_alu instid0(VALU_DEP_1) | instskip(NEXT) | instid1(VALU_DEP_1)
	v_div_fmas_f64 v[212:213], v[212:213], v[220:221], v[222:223]
	v_div_fixup_f64 v[220:221], v[212:213], v[216:217], v[218:219]
	s_delay_alu instid0(VALU_DEP_1) | instskip(NEXT) | instid1(VALU_DEP_1)
	v_fma_f64 v[212:213], v[218:219], v[220:221], v[216:217]
	v_div_scale_f64 v[216:217], null, v[212:213], v[212:213], 1.0
	s_delay_alu instid0(VALU_DEP_1) | instskip(SKIP_2) | instid1(VALU_DEP_1)
	v_rcp_f64_e32 v[218:219], v[216:217]
	s_waitcnt_depctr 0xfff
	v_fma_f64 v[222:223], -v[216:217], v[218:219], 1.0
	v_fma_f64 v[218:219], v[218:219], v[222:223], v[218:219]
	s_delay_alu instid0(VALU_DEP_1) | instskip(NEXT) | instid1(VALU_DEP_1)
	v_fma_f64 v[222:223], -v[216:217], v[218:219], 1.0
	v_fma_f64 v[218:219], v[218:219], v[222:223], v[218:219]
	v_div_scale_f64 v[222:223], vcc_lo, 1.0, v[212:213], 1.0
	s_delay_alu instid0(VALU_DEP_1) | instskip(NEXT) | instid1(VALU_DEP_1)
	v_mul_f64 v[224:225], v[222:223], v[218:219]
	v_fma_f64 v[216:217], -v[216:217], v[224:225], v[222:223]
	s_delay_alu instid0(VALU_DEP_1) | instskip(NEXT) | instid1(VALU_DEP_1)
	v_div_fmas_f64 v[216:217], v[216:217], v[218:219], v[224:225]
	v_div_fixup_f64 v[212:213], v[216:217], v[212:213], 1.0
	s_delay_alu instid0(VALU_DEP_1)
	v_mul_f64 v[222:223], v[220:221], -v[212:213]
.LBB113_430:
	s_or_b32 exec_lo, exec_lo, s3
	ds_store_2addr_b64 v251, v[212:213], v[222:223] offset1:1
.LBB113_431:
	s_or_b32 exec_lo, exec_lo, s4
	s_waitcnt lgkmcnt(0)
	s_barrier
	buffer_gl0_inv
	ds_load_2addr_b64 v[208:211], v251 offset1:1
	s_mov_b32 s3, exec_lo
	s_waitcnt lgkmcnt(0)
	scratch_store_b128 off, v[208:211], off offset:1288 ; 16-byte Folded Spill
	v_cmpx_lt_u32_e32 47, v248
	s_cbranch_execz .LBB113_433
; %bb.432:
	scratch_load_b128 v[208:211], off, off offset:1288 ; 16-byte Folded Reload
	ds_load_2addr_b64 v[216:219], v214 offset0:96 offset1:97
	s_waitcnt vmcnt(0)
	v_mul_f64 v[212:213], v[208:209], v[38:39]
	v_mul_f64 v[38:39], v[210:211], v[38:39]
	s_delay_alu instid0(VALU_DEP_2) | instskip(NEXT) | instid1(VALU_DEP_2)
	v_fma_f64 v[212:213], v[210:211], v[36:37], v[212:213]
	v_fma_f64 v[36:37], v[208:209], v[36:37], -v[38:39]
	s_waitcnt lgkmcnt(0)
	s_delay_alu instid0(VALU_DEP_2) | instskip(NEXT) | instid1(VALU_DEP_1)
	v_mul_f64 v[38:39], v[218:219], v[212:213]
	v_fma_f64 v[38:39], v[216:217], v[36:37], -v[38:39]
	v_mul_f64 v[216:217], v[216:217], v[212:213]
	s_delay_alu instid0(VALU_DEP_2) | instskip(NEXT) | instid1(VALU_DEP_2)
	v_add_f64 v[32:33], v[32:33], -v[38:39]
	v_fma_f64 v[216:217], v[218:219], v[36:37], v[216:217]
	s_delay_alu instid0(VALU_DEP_1) | instskip(SKIP_3) | instid1(VALU_DEP_1)
	v_add_f64 v[34:35], v[34:35], -v[216:217]
	ds_load_2addr_b64 v[216:219], v214 offset0:98 offset1:99
	s_waitcnt lgkmcnt(0)
	v_mul_f64 v[38:39], v[218:219], v[212:213]
	v_fma_f64 v[38:39], v[216:217], v[36:37], -v[38:39]
	v_mul_f64 v[216:217], v[216:217], v[212:213]
	s_delay_alu instid0(VALU_DEP_2) | instskip(NEXT) | instid1(VALU_DEP_2)
	v_add_f64 v[28:29], v[28:29], -v[38:39]
	v_fma_f64 v[216:217], v[218:219], v[36:37], v[216:217]
	s_delay_alu instid0(VALU_DEP_1) | instskip(SKIP_3) | instid1(VALU_DEP_1)
	v_add_f64 v[30:31], v[30:31], -v[216:217]
	ds_load_2addr_b64 v[216:219], v214 offset0:100 offset1:101
	s_waitcnt lgkmcnt(0)
	;; [unrolled: 10-line block ×8, first 2 shown]
	v_mul_f64 v[38:39], v[218:219], v[212:213]
	v_fma_f64 v[38:39], v[216:217], v[36:37], -v[38:39]
	v_mul_f64 v[216:217], v[216:217], v[212:213]
	s_delay_alu instid0(VALU_DEP_2) | instskip(NEXT) | instid1(VALU_DEP_2)
	v_add_f64 v[0:1], v[0:1], -v[38:39]
	v_fma_f64 v[216:217], v[218:219], v[36:37], v[216:217]
	v_dual_mov_b32 v38, v212 :: v_dual_mov_b32 v39, v213
	s_delay_alu instid0(VALU_DEP_2)
	v_add_f64 v[2:3], v[2:3], -v[216:217]
.LBB113_433:
	s_or_b32 exec_lo, exec_lo, s3
	s_delay_alu instid0(SALU_CYCLE_1)
	s_mov_b32 s4, exec_lo
	s_waitcnt_vscnt null, 0x0
	s_barrier
	buffer_gl0_inv
	v_cmpx_eq_u32_e32 48, v248
	s_cbranch_execz .LBB113_440
; %bb.434:
	ds_store_2addr_b64 v251, v[32:33], v[34:35] offset1:1
	ds_store_2addr_b64 v214, v[28:29], v[30:31] offset0:98 offset1:99
	ds_store_2addr_b64 v214, v[24:25], v[26:27] offset0:100 offset1:101
	;; [unrolled: 1-line block ×8, first 2 shown]
	ds_load_2addr_b64 v[216:219], v251 offset1:1
	s_waitcnt lgkmcnt(0)
	v_cmp_neq_f64_e32 vcc_lo, 0, v[216:217]
	v_cmp_neq_f64_e64 s3, 0, v[218:219]
	s_delay_alu instid0(VALU_DEP_1) | instskip(NEXT) | instid1(SALU_CYCLE_1)
	s_or_b32 s3, vcc_lo, s3
	s_and_b32 exec_lo, exec_lo, s3
	s_cbranch_execz .LBB113_440
; %bb.435:
	v_cmp_gt_f64_e32 vcc_lo, 0, v[216:217]
	v_xor_b32_e32 v208, 0x80000000, v217
	s_delay_alu instid0(VALU_DEP_1) | instskip(SKIP_3) | instid1(VALU_DEP_1)
	v_cndmask_b32_e32 v213, v217, v208, vcc_lo
	v_cndmask_b32_e32 v212, v216, v216, vcc_lo
	v_cmp_gt_f64_e32 vcc_lo, 0, v[218:219]
	v_xor_b32_e32 v208, 0x80000000, v219
	v_dual_cndmask_b32 v220, v218, v218 :: v_dual_cndmask_b32 v221, v219, v208
	s_delay_alu instid0(VALU_DEP_1) | instskip(SKIP_1) | instid1(SALU_CYCLE_1)
	v_cmp_ngt_f64_e32 vcc_lo, v[212:213], v[220:221]
                                        ; implicit-def: $vgpr212_vgpr213
	s_and_saveexec_b32 s3, vcc_lo
	s_xor_b32 s3, exec_lo, s3
                                        ; implicit-def: $vgpr220_vgpr221_vgpr222_vgpr223
	s_cbranch_execz .LBB113_437
; %bb.436:
	v_div_scale_f64 v[212:213], null, v[218:219], v[218:219], v[216:217]
	v_div_scale_f64 v[224:225], vcc_lo, v[216:217], v[218:219], v[216:217]
	s_delay_alu instid0(VALU_DEP_2) | instskip(SKIP_2) | instid1(VALU_DEP_1)
	v_rcp_f64_e32 v[220:221], v[212:213]
	s_waitcnt_depctr 0xfff
	v_fma_f64 v[222:223], -v[212:213], v[220:221], 1.0
	v_fma_f64 v[220:221], v[220:221], v[222:223], v[220:221]
	s_delay_alu instid0(VALU_DEP_1) | instskip(NEXT) | instid1(VALU_DEP_1)
	v_fma_f64 v[222:223], -v[212:213], v[220:221], 1.0
	v_fma_f64 v[220:221], v[220:221], v[222:223], v[220:221]
	s_delay_alu instid0(VALU_DEP_1) | instskip(NEXT) | instid1(VALU_DEP_1)
	v_mul_f64 v[222:223], v[224:225], v[220:221]
	v_fma_f64 v[212:213], -v[212:213], v[222:223], v[224:225]
	s_delay_alu instid0(VALU_DEP_1) | instskip(NEXT) | instid1(VALU_DEP_1)
	v_div_fmas_f64 v[212:213], v[212:213], v[220:221], v[222:223]
	v_div_fixup_f64 v[212:213], v[212:213], v[218:219], v[216:217]
	s_delay_alu instid0(VALU_DEP_1) | instskip(NEXT) | instid1(VALU_DEP_1)
	v_fma_f64 v[216:217], v[216:217], v[212:213], v[218:219]
	v_div_scale_f64 v[218:219], null, v[216:217], v[216:217], 1.0
	s_delay_alu instid0(VALU_DEP_1) | instskip(SKIP_2) | instid1(VALU_DEP_1)
	v_rcp_f64_e32 v[220:221], v[218:219]
	s_waitcnt_depctr 0xfff
	v_fma_f64 v[222:223], -v[218:219], v[220:221], 1.0
	v_fma_f64 v[220:221], v[220:221], v[222:223], v[220:221]
	s_delay_alu instid0(VALU_DEP_1) | instskip(NEXT) | instid1(VALU_DEP_1)
	v_fma_f64 v[222:223], -v[218:219], v[220:221], 1.0
	v_fma_f64 v[220:221], v[220:221], v[222:223], v[220:221]
	v_div_scale_f64 v[222:223], vcc_lo, 1.0, v[216:217], 1.0
	s_delay_alu instid0(VALU_DEP_1) | instskip(NEXT) | instid1(VALU_DEP_1)
	v_mul_f64 v[224:225], v[222:223], v[220:221]
	v_fma_f64 v[218:219], -v[218:219], v[224:225], v[222:223]
	s_delay_alu instid0(VALU_DEP_1) | instskip(NEXT) | instid1(VALU_DEP_1)
	v_div_fmas_f64 v[218:219], v[218:219], v[220:221], v[224:225]
	v_div_fixup_f64 v[222:223], v[218:219], v[216:217], 1.0
                                        ; implicit-def: $vgpr216_vgpr217
	s_delay_alu instid0(VALU_DEP_1)
	v_mul_f64 v[212:213], v[212:213], v[222:223]
	v_xor_b32_e32 v223, 0x80000000, v223
.LBB113_437:
	s_and_not1_saveexec_b32 s3, s3
	s_cbranch_execz .LBB113_439
; %bb.438:
	v_div_scale_f64 v[212:213], null, v[216:217], v[216:217], v[218:219]
	v_div_scale_f64 v[224:225], vcc_lo, v[218:219], v[216:217], v[218:219]
	s_delay_alu instid0(VALU_DEP_2) | instskip(SKIP_2) | instid1(VALU_DEP_1)
	v_rcp_f64_e32 v[220:221], v[212:213]
	s_waitcnt_depctr 0xfff
	v_fma_f64 v[222:223], -v[212:213], v[220:221], 1.0
	v_fma_f64 v[220:221], v[220:221], v[222:223], v[220:221]
	s_delay_alu instid0(VALU_DEP_1) | instskip(NEXT) | instid1(VALU_DEP_1)
	v_fma_f64 v[222:223], -v[212:213], v[220:221], 1.0
	v_fma_f64 v[220:221], v[220:221], v[222:223], v[220:221]
	s_delay_alu instid0(VALU_DEP_1) | instskip(NEXT) | instid1(VALU_DEP_1)
	v_mul_f64 v[222:223], v[224:225], v[220:221]
	v_fma_f64 v[212:213], -v[212:213], v[222:223], v[224:225]
	s_delay_alu instid0(VALU_DEP_1) | instskip(NEXT) | instid1(VALU_DEP_1)
	v_div_fmas_f64 v[212:213], v[212:213], v[220:221], v[222:223]
	v_div_fixup_f64 v[220:221], v[212:213], v[216:217], v[218:219]
	s_delay_alu instid0(VALU_DEP_1) | instskip(NEXT) | instid1(VALU_DEP_1)
	v_fma_f64 v[212:213], v[218:219], v[220:221], v[216:217]
	v_div_scale_f64 v[216:217], null, v[212:213], v[212:213], 1.0
	s_delay_alu instid0(VALU_DEP_1) | instskip(SKIP_2) | instid1(VALU_DEP_1)
	v_rcp_f64_e32 v[218:219], v[216:217]
	s_waitcnt_depctr 0xfff
	v_fma_f64 v[222:223], -v[216:217], v[218:219], 1.0
	v_fma_f64 v[218:219], v[218:219], v[222:223], v[218:219]
	s_delay_alu instid0(VALU_DEP_1) | instskip(NEXT) | instid1(VALU_DEP_1)
	v_fma_f64 v[222:223], -v[216:217], v[218:219], 1.0
	v_fma_f64 v[218:219], v[218:219], v[222:223], v[218:219]
	v_div_scale_f64 v[222:223], vcc_lo, 1.0, v[212:213], 1.0
	s_delay_alu instid0(VALU_DEP_1) | instskip(NEXT) | instid1(VALU_DEP_1)
	v_mul_f64 v[224:225], v[222:223], v[218:219]
	v_fma_f64 v[216:217], -v[216:217], v[224:225], v[222:223]
	s_delay_alu instid0(VALU_DEP_1) | instskip(NEXT) | instid1(VALU_DEP_1)
	v_div_fmas_f64 v[216:217], v[216:217], v[218:219], v[224:225]
	v_div_fixup_f64 v[212:213], v[216:217], v[212:213], 1.0
	s_delay_alu instid0(VALU_DEP_1)
	v_mul_f64 v[222:223], v[220:221], -v[212:213]
.LBB113_439:
	s_or_b32 exec_lo, exec_lo, s3
	ds_store_2addr_b64 v251, v[212:213], v[222:223] offset1:1
.LBB113_440:
	s_or_b32 exec_lo, exec_lo, s4
	s_waitcnt lgkmcnt(0)
	s_barrier
	buffer_gl0_inv
	ds_load_2addr_b64 v[252:255], v251 offset1:1
	s_mov_b32 s3, exec_lo
	v_cmpx_lt_u32_e32 48, v248
	s_cbranch_execz .LBB113_442
; %bb.441:
	s_waitcnt lgkmcnt(0)
	v_mul_f64 v[212:213], v[252:253], v[34:35]
	v_mul_f64 v[34:35], v[254:255], v[34:35]
	ds_load_2addr_b64 v[216:219], v214 offset0:98 offset1:99
	v_fma_f64 v[212:213], v[254:255], v[32:33], v[212:213]
	v_fma_f64 v[32:33], v[252:253], v[32:33], -v[34:35]
	s_waitcnt lgkmcnt(0)
	s_delay_alu instid0(VALU_DEP_2) | instskip(NEXT) | instid1(VALU_DEP_1)
	v_mul_f64 v[34:35], v[218:219], v[212:213]
	v_fma_f64 v[34:35], v[216:217], v[32:33], -v[34:35]
	v_mul_f64 v[216:217], v[216:217], v[212:213]
	s_delay_alu instid0(VALU_DEP_2) | instskip(NEXT) | instid1(VALU_DEP_2)
	v_add_f64 v[28:29], v[28:29], -v[34:35]
	v_fma_f64 v[216:217], v[218:219], v[32:33], v[216:217]
	s_delay_alu instid0(VALU_DEP_1) | instskip(SKIP_3) | instid1(VALU_DEP_1)
	v_add_f64 v[30:31], v[30:31], -v[216:217]
	ds_load_2addr_b64 v[216:219], v214 offset0:100 offset1:101
	s_waitcnt lgkmcnt(0)
	v_mul_f64 v[34:35], v[218:219], v[212:213]
	v_fma_f64 v[34:35], v[216:217], v[32:33], -v[34:35]
	v_mul_f64 v[216:217], v[216:217], v[212:213]
	s_delay_alu instid0(VALU_DEP_2) | instskip(NEXT) | instid1(VALU_DEP_2)
	v_add_f64 v[24:25], v[24:25], -v[34:35]
	v_fma_f64 v[216:217], v[218:219], v[32:33], v[216:217]
	s_delay_alu instid0(VALU_DEP_1) | instskip(SKIP_3) | instid1(VALU_DEP_1)
	v_add_f64 v[26:27], v[26:27], -v[216:217]
	ds_load_2addr_b64 v[216:219], v214 offset0:102 offset1:103
	s_waitcnt lgkmcnt(0)
	v_mul_f64 v[34:35], v[218:219], v[212:213]
	v_fma_f64 v[34:35], v[216:217], v[32:33], -v[34:35]
	v_mul_f64 v[216:217], v[216:217], v[212:213]
	s_delay_alu instid0(VALU_DEP_2) | instskip(NEXT) | instid1(VALU_DEP_2)
	v_add_f64 v[20:21], v[20:21], -v[34:35]
	v_fma_f64 v[216:217], v[218:219], v[32:33], v[216:217]
	s_delay_alu instid0(VALU_DEP_1) | instskip(SKIP_3) | instid1(VALU_DEP_1)
	v_add_f64 v[22:23], v[22:23], -v[216:217]
	ds_load_2addr_b64 v[216:219], v214 offset0:104 offset1:105
	s_waitcnt lgkmcnt(0)
	v_mul_f64 v[34:35], v[218:219], v[212:213]
	v_fma_f64 v[34:35], v[216:217], v[32:33], -v[34:35]
	v_mul_f64 v[216:217], v[216:217], v[212:213]
	s_delay_alu instid0(VALU_DEP_2) | instskip(NEXT) | instid1(VALU_DEP_2)
	v_add_f64 v[16:17], v[16:17], -v[34:35]
	v_fma_f64 v[216:217], v[218:219], v[32:33], v[216:217]
	s_delay_alu instid0(VALU_DEP_1) | instskip(SKIP_3) | instid1(VALU_DEP_1)
	v_add_f64 v[18:19], v[18:19], -v[216:217]
	ds_load_2addr_b64 v[216:219], v214 offset0:106 offset1:107
	s_waitcnt lgkmcnt(0)
	v_mul_f64 v[34:35], v[218:219], v[212:213]
	v_fma_f64 v[34:35], v[216:217], v[32:33], -v[34:35]
	v_mul_f64 v[216:217], v[216:217], v[212:213]
	s_delay_alu instid0(VALU_DEP_2) | instskip(NEXT) | instid1(VALU_DEP_2)
	v_add_f64 v[12:13], v[12:13], -v[34:35]
	v_fma_f64 v[216:217], v[218:219], v[32:33], v[216:217]
	s_delay_alu instid0(VALU_DEP_1) | instskip(SKIP_3) | instid1(VALU_DEP_1)
	v_add_f64 v[14:15], v[14:15], -v[216:217]
	ds_load_2addr_b64 v[216:219], v214 offset0:108 offset1:109
	s_waitcnt lgkmcnt(0)
	v_mul_f64 v[34:35], v[218:219], v[212:213]
	v_fma_f64 v[34:35], v[216:217], v[32:33], -v[34:35]
	v_mul_f64 v[216:217], v[216:217], v[212:213]
	s_delay_alu instid0(VALU_DEP_2) | instskip(NEXT) | instid1(VALU_DEP_2)
	v_add_f64 v[8:9], v[8:9], -v[34:35]
	v_fma_f64 v[216:217], v[218:219], v[32:33], v[216:217]
	s_delay_alu instid0(VALU_DEP_1) | instskip(SKIP_3) | instid1(VALU_DEP_1)
	v_add_f64 v[10:11], v[10:11], -v[216:217]
	ds_load_2addr_b64 v[216:219], v214 offset0:110 offset1:111
	s_waitcnt lgkmcnt(0)
	v_mul_f64 v[34:35], v[218:219], v[212:213]
	v_fma_f64 v[34:35], v[216:217], v[32:33], -v[34:35]
	v_mul_f64 v[216:217], v[216:217], v[212:213]
	s_delay_alu instid0(VALU_DEP_2) | instskip(NEXT) | instid1(VALU_DEP_2)
	v_add_f64 v[4:5], v[4:5], -v[34:35]
	v_fma_f64 v[216:217], v[218:219], v[32:33], v[216:217]
	s_delay_alu instid0(VALU_DEP_1) | instskip(SKIP_3) | instid1(VALU_DEP_1)
	v_add_f64 v[6:7], v[6:7], -v[216:217]
	ds_load_2addr_b64 v[216:219], v214 offset0:112 offset1:113
	s_waitcnt lgkmcnt(0)
	v_mul_f64 v[34:35], v[218:219], v[212:213]
	v_fma_f64 v[34:35], v[216:217], v[32:33], -v[34:35]
	v_mul_f64 v[216:217], v[216:217], v[212:213]
	s_delay_alu instid0(VALU_DEP_2) | instskip(NEXT) | instid1(VALU_DEP_2)
	v_add_f64 v[0:1], v[0:1], -v[34:35]
	v_fma_f64 v[216:217], v[218:219], v[32:33], v[216:217]
	v_dual_mov_b32 v34, v212 :: v_dual_mov_b32 v35, v213
	s_delay_alu instid0(VALU_DEP_2)
	v_add_f64 v[2:3], v[2:3], -v[216:217]
.LBB113_442:
	s_or_b32 exec_lo, exec_lo, s3
	s_delay_alu instid0(SALU_CYCLE_1)
	s_mov_b32 s4, exec_lo
	s_waitcnt lgkmcnt(0)
	s_barrier
	buffer_gl0_inv
	v_cmpx_eq_u32_e32 49, v248
	s_cbranch_execz .LBB113_449
; %bb.443:
	ds_store_2addr_b64 v251, v[28:29], v[30:31] offset1:1
	ds_store_2addr_b64 v214, v[24:25], v[26:27] offset0:100 offset1:101
	ds_store_2addr_b64 v214, v[20:21], v[22:23] offset0:102 offset1:103
	;; [unrolled: 1-line block ×7, first 2 shown]
	ds_load_2addr_b64 v[216:219], v251 offset1:1
	s_waitcnt lgkmcnt(0)
	v_cmp_neq_f64_e32 vcc_lo, 0, v[216:217]
	v_cmp_neq_f64_e64 s3, 0, v[218:219]
	s_delay_alu instid0(VALU_DEP_1) | instskip(NEXT) | instid1(SALU_CYCLE_1)
	s_or_b32 s3, vcc_lo, s3
	s_and_b32 exec_lo, exec_lo, s3
	s_cbranch_execz .LBB113_449
; %bb.444:
	v_cmp_gt_f64_e32 vcc_lo, 0, v[216:217]
	v_xor_b32_e32 v208, 0x80000000, v217
	s_delay_alu instid0(VALU_DEP_1) | instskip(SKIP_3) | instid1(VALU_DEP_1)
	v_cndmask_b32_e32 v213, v217, v208, vcc_lo
	v_cndmask_b32_e32 v212, v216, v216, vcc_lo
	v_cmp_gt_f64_e32 vcc_lo, 0, v[218:219]
	v_xor_b32_e32 v208, 0x80000000, v219
	v_dual_cndmask_b32 v220, v218, v218 :: v_dual_cndmask_b32 v221, v219, v208
	s_delay_alu instid0(VALU_DEP_1) | instskip(SKIP_1) | instid1(SALU_CYCLE_1)
	v_cmp_ngt_f64_e32 vcc_lo, v[212:213], v[220:221]
                                        ; implicit-def: $vgpr212_vgpr213
	s_and_saveexec_b32 s3, vcc_lo
	s_xor_b32 s3, exec_lo, s3
                                        ; implicit-def: $vgpr220_vgpr221_vgpr222_vgpr223
	s_cbranch_execz .LBB113_446
; %bb.445:
	v_div_scale_f64 v[212:213], null, v[218:219], v[218:219], v[216:217]
	v_div_scale_f64 v[224:225], vcc_lo, v[216:217], v[218:219], v[216:217]
	s_delay_alu instid0(VALU_DEP_2) | instskip(SKIP_2) | instid1(VALU_DEP_1)
	v_rcp_f64_e32 v[220:221], v[212:213]
	s_waitcnt_depctr 0xfff
	v_fma_f64 v[222:223], -v[212:213], v[220:221], 1.0
	v_fma_f64 v[220:221], v[220:221], v[222:223], v[220:221]
	s_delay_alu instid0(VALU_DEP_1) | instskip(NEXT) | instid1(VALU_DEP_1)
	v_fma_f64 v[222:223], -v[212:213], v[220:221], 1.0
	v_fma_f64 v[220:221], v[220:221], v[222:223], v[220:221]
	s_delay_alu instid0(VALU_DEP_1) | instskip(NEXT) | instid1(VALU_DEP_1)
	v_mul_f64 v[222:223], v[224:225], v[220:221]
	v_fma_f64 v[212:213], -v[212:213], v[222:223], v[224:225]
	s_delay_alu instid0(VALU_DEP_1) | instskip(NEXT) | instid1(VALU_DEP_1)
	v_div_fmas_f64 v[212:213], v[212:213], v[220:221], v[222:223]
	v_div_fixup_f64 v[212:213], v[212:213], v[218:219], v[216:217]
	s_delay_alu instid0(VALU_DEP_1) | instskip(NEXT) | instid1(VALU_DEP_1)
	v_fma_f64 v[216:217], v[216:217], v[212:213], v[218:219]
	v_div_scale_f64 v[218:219], null, v[216:217], v[216:217], 1.0
	s_delay_alu instid0(VALU_DEP_1) | instskip(SKIP_2) | instid1(VALU_DEP_1)
	v_rcp_f64_e32 v[220:221], v[218:219]
	s_waitcnt_depctr 0xfff
	v_fma_f64 v[222:223], -v[218:219], v[220:221], 1.0
	v_fma_f64 v[220:221], v[220:221], v[222:223], v[220:221]
	s_delay_alu instid0(VALU_DEP_1) | instskip(NEXT) | instid1(VALU_DEP_1)
	v_fma_f64 v[222:223], -v[218:219], v[220:221], 1.0
	v_fma_f64 v[220:221], v[220:221], v[222:223], v[220:221]
	v_div_scale_f64 v[222:223], vcc_lo, 1.0, v[216:217], 1.0
	s_delay_alu instid0(VALU_DEP_1) | instskip(NEXT) | instid1(VALU_DEP_1)
	v_mul_f64 v[224:225], v[222:223], v[220:221]
	v_fma_f64 v[218:219], -v[218:219], v[224:225], v[222:223]
	s_delay_alu instid0(VALU_DEP_1) | instskip(NEXT) | instid1(VALU_DEP_1)
	v_div_fmas_f64 v[218:219], v[218:219], v[220:221], v[224:225]
	v_div_fixup_f64 v[222:223], v[218:219], v[216:217], 1.0
                                        ; implicit-def: $vgpr216_vgpr217
	s_delay_alu instid0(VALU_DEP_1)
	v_mul_f64 v[212:213], v[212:213], v[222:223]
	v_xor_b32_e32 v223, 0x80000000, v223
.LBB113_446:
	s_and_not1_saveexec_b32 s3, s3
	s_cbranch_execz .LBB113_448
; %bb.447:
	v_div_scale_f64 v[212:213], null, v[216:217], v[216:217], v[218:219]
	v_div_scale_f64 v[224:225], vcc_lo, v[218:219], v[216:217], v[218:219]
	s_delay_alu instid0(VALU_DEP_2) | instskip(SKIP_2) | instid1(VALU_DEP_1)
	v_rcp_f64_e32 v[220:221], v[212:213]
	s_waitcnt_depctr 0xfff
	v_fma_f64 v[222:223], -v[212:213], v[220:221], 1.0
	v_fma_f64 v[220:221], v[220:221], v[222:223], v[220:221]
	s_delay_alu instid0(VALU_DEP_1) | instskip(NEXT) | instid1(VALU_DEP_1)
	v_fma_f64 v[222:223], -v[212:213], v[220:221], 1.0
	v_fma_f64 v[220:221], v[220:221], v[222:223], v[220:221]
	s_delay_alu instid0(VALU_DEP_1) | instskip(NEXT) | instid1(VALU_DEP_1)
	v_mul_f64 v[222:223], v[224:225], v[220:221]
	v_fma_f64 v[212:213], -v[212:213], v[222:223], v[224:225]
	s_delay_alu instid0(VALU_DEP_1) | instskip(NEXT) | instid1(VALU_DEP_1)
	v_div_fmas_f64 v[212:213], v[212:213], v[220:221], v[222:223]
	v_div_fixup_f64 v[220:221], v[212:213], v[216:217], v[218:219]
	s_delay_alu instid0(VALU_DEP_1) | instskip(NEXT) | instid1(VALU_DEP_1)
	v_fma_f64 v[212:213], v[218:219], v[220:221], v[216:217]
	v_div_scale_f64 v[216:217], null, v[212:213], v[212:213], 1.0
	s_delay_alu instid0(VALU_DEP_1) | instskip(SKIP_2) | instid1(VALU_DEP_1)
	v_rcp_f64_e32 v[218:219], v[216:217]
	s_waitcnt_depctr 0xfff
	v_fma_f64 v[222:223], -v[216:217], v[218:219], 1.0
	v_fma_f64 v[218:219], v[218:219], v[222:223], v[218:219]
	s_delay_alu instid0(VALU_DEP_1) | instskip(NEXT) | instid1(VALU_DEP_1)
	v_fma_f64 v[222:223], -v[216:217], v[218:219], 1.0
	v_fma_f64 v[218:219], v[218:219], v[222:223], v[218:219]
	v_div_scale_f64 v[222:223], vcc_lo, 1.0, v[212:213], 1.0
	s_delay_alu instid0(VALU_DEP_1) | instskip(NEXT) | instid1(VALU_DEP_1)
	v_mul_f64 v[224:225], v[222:223], v[218:219]
	v_fma_f64 v[216:217], -v[216:217], v[224:225], v[222:223]
	s_delay_alu instid0(VALU_DEP_1) | instskip(NEXT) | instid1(VALU_DEP_1)
	v_div_fmas_f64 v[216:217], v[216:217], v[218:219], v[224:225]
	v_div_fixup_f64 v[212:213], v[216:217], v[212:213], 1.0
	s_delay_alu instid0(VALU_DEP_1)
	v_mul_f64 v[222:223], v[220:221], -v[212:213]
.LBB113_448:
	s_or_b32 exec_lo, exec_lo, s3
	ds_store_2addr_b64 v251, v[212:213], v[222:223] offset1:1
.LBB113_449:
	s_or_b32 exec_lo, exec_lo, s4
	s_waitcnt lgkmcnt(0)
	s_barrier
	buffer_gl0_inv
	ds_load_2addr_b64 v[228:231], v251 offset1:1
	s_mov_b32 s3, exec_lo
	v_cmpx_lt_u32_e32 49, v248
	s_cbranch_execz .LBB113_451
; %bb.450:
	s_waitcnt lgkmcnt(0)
	v_mul_f64 v[212:213], v[228:229], v[30:31]
	v_mul_f64 v[30:31], v[230:231], v[30:31]
	ds_load_2addr_b64 v[216:219], v214 offset0:100 offset1:101
	v_fma_f64 v[212:213], v[230:231], v[28:29], v[212:213]
	v_fma_f64 v[28:29], v[228:229], v[28:29], -v[30:31]
	s_waitcnt lgkmcnt(0)
	s_delay_alu instid0(VALU_DEP_2) | instskip(NEXT) | instid1(VALU_DEP_1)
	v_mul_f64 v[30:31], v[218:219], v[212:213]
	v_fma_f64 v[30:31], v[216:217], v[28:29], -v[30:31]
	v_mul_f64 v[216:217], v[216:217], v[212:213]
	s_delay_alu instid0(VALU_DEP_2) | instskip(NEXT) | instid1(VALU_DEP_2)
	v_add_f64 v[24:25], v[24:25], -v[30:31]
	v_fma_f64 v[216:217], v[218:219], v[28:29], v[216:217]
	s_delay_alu instid0(VALU_DEP_1) | instskip(SKIP_3) | instid1(VALU_DEP_1)
	v_add_f64 v[26:27], v[26:27], -v[216:217]
	ds_load_2addr_b64 v[216:219], v214 offset0:102 offset1:103
	s_waitcnt lgkmcnt(0)
	v_mul_f64 v[30:31], v[218:219], v[212:213]
	v_fma_f64 v[30:31], v[216:217], v[28:29], -v[30:31]
	v_mul_f64 v[216:217], v[216:217], v[212:213]
	s_delay_alu instid0(VALU_DEP_2) | instskip(NEXT) | instid1(VALU_DEP_2)
	v_add_f64 v[20:21], v[20:21], -v[30:31]
	v_fma_f64 v[216:217], v[218:219], v[28:29], v[216:217]
	s_delay_alu instid0(VALU_DEP_1) | instskip(SKIP_3) | instid1(VALU_DEP_1)
	v_add_f64 v[22:23], v[22:23], -v[216:217]
	ds_load_2addr_b64 v[216:219], v214 offset0:104 offset1:105
	s_waitcnt lgkmcnt(0)
	;; [unrolled: 10-line block ×6, first 2 shown]
	v_mul_f64 v[30:31], v[218:219], v[212:213]
	v_fma_f64 v[30:31], v[216:217], v[28:29], -v[30:31]
	v_mul_f64 v[216:217], v[216:217], v[212:213]
	s_delay_alu instid0(VALU_DEP_2) | instskip(NEXT) | instid1(VALU_DEP_2)
	v_add_f64 v[0:1], v[0:1], -v[30:31]
	v_fma_f64 v[216:217], v[218:219], v[28:29], v[216:217]
	v_dual_mov_b32 v30, v212 :: v_dual_mov_b32 v31, v213
	s_delay_alu instid0(VALU_DEP_2)
	v_add_f64 v[2:3], v[2:3], -v[216:217]
.LBB113_451:
	s_or_b32 exec_lo, exec_lo, s3
	s_delay_alu instid0(SALU_CYCLE_1)
	s_mov_b32 s4, exec_lo
	s_waitcnt lgkmcnt(0)
	s_barrier
	buffer_gl0_inv
	v_cmpx_eq_u32_e32 50, v248
	s_cbranch_execz .LBB113_458
; %bb.452:
	ds_store_2addr_b64 v251, v[24:25], v[26:27] offset1:1
	ds_store_2addr_b64 v214, v[20:21], v[22:23] offset0:102 offset1:103
	ds_store_2addr_b64 v214, v[16:17], v[18:19] offset0:104 offset1:105
	;; [unrolled: 1-line block ×6, first 2 shown]
	ds_load_2addr_b64 v[216:219], v251 offset1:1
	s_waitcnt lgkmcnt(0)
	v_cmp_neq_f64_e32 vcc_lo, 0, v[216:217]
	v_cmp_neq_f64_e64 s3, 0, v[218:219]
	s_delay_alu instid0(VALU_DEP_1) | instskip(NEXT) | instid1(SALU_CYCLE_1)
	s_or_b32 s3, vcc_lo, s3
	s_and_b32 exec_lo, exec_lo, s3
	s_cbranch_execz .LBB113_458
; %bb.453:
	v_cmp_gt_f64_e32 vcc_lo, 0, v[216:217]
	v_xor_b32_e32 v208, 0x80000000, v217
	s_delay_alu instid0(VALU_DEP_1) | instskip(SKIP_3) | instid1(VALU_DEP_1)
	v_cndmask_b32_e32 v213, v217, v208, vcc_lo
	v_cndmask_b32_e32 v212, v216, v216, vcc_lo
	v_cmp_gt_f64_e32 vcc_lo, 0, v[218:219]
	v_xor_b32_e32 v208, 0x80000000, v219
	v_dual_cndmask_b32 v220, v218, v218 :: v_dual_cndmask_b32 v221, v219, v208
	s_delay_alu instid0(VALU_DEP_1) | instskip(SKIP_1) | instid1(SALU_CYCLE_1)
	v_cmp_ngt_f64_e32 vcc_lo, v[212:213], v[220:221]
                                        ; implicit-def: $vgpr212_vgpr213
	s_and_saveexec_b32 s3, vcc_lo
	s_xor_b32 s3, exec_lo, s3
                                        ; implicit-def: $vgpr220_vgpr221_vgpr222_vgpr223
	s_cbranch_execz .LBB113_455
; %bb.454:
	v_div_scale_f64 v[212:213], null, v[218:219], v[218:219], v[216:217]
	v_div_scale_f64 v[224:225], vcc_lo, v[216:217], v[218:219], v[216:217]
	s_delay_alu instid0(VALU_DEP_2) | instskip(SKIP_2) | instid1(VALU_DEP_1)
	v_rcp_f64_e32 v[220:221], v[212:213]
	s_waitcnt_depctr 0xfff
	v_fma_f64 v[222:223], -v[212:213], v[220:221], 1.0
	v_fma_f64 v[220:221], v[220:221], v[222:223], v[220:221]
	s_delay_alu instid0(VALU_DEP_1) | instskip(NEXT) | instid1(VALU_DEP_1)
	v_fma_f64 v[222:223], -v[212:213], v[220:221], 1.0
	v_fma_f64 v[220:221], v[220:221], v[222:223], v[220:221]
	s_delay_alu instid0(VALU_DEP_1) | instskip(NEXT) | instid1(VALU_DEP_1)
	v_mul_f64 v[222:223], v[224:225], v[220:221]
	v_fma_f64 v[212:213], -v[212:213], v[222:223], v[224:225]
	s_delay_alu instid0(VALU_DEP_1) | instskip(NEXT) | instid1(VALU_DEP_1)
	v_div_fmas_f64 v[212:213], v[212:213], v[220:221], v[222:223]
	v_div_fixup_f64 v[212:213], v[212:213], v[218:219], v[216:217]
	s_delay_alu instid0(VALU_DEP_1) | instskip(NEXT) | instid1(VALU_DEP_1)
	v_fma_f64 v[216:217], v[216:217], v[212:213], v[218:219]
	v_div_scale_f64 v[218:219], null, v[216:217], v[216:217], 1.0
	s_delay_alu instid0(VALU_DEP_1) | instskip(SKIP_2) | instid1(VALU_DEP_1)
	v_rcp_f64_e32 v[220:221], v[218:219]
	s_waitcnt_depctr 0xfff
	v_fma_f64 v[222:223], -v[218:219], v[220:221], 1.0
	v_fma_f64 v[220:221], v[220:221], v[222:223], v[220:221]
	s_delay_alu instid0(VALU_DEP_1) | instskip(NEXT) | instid1(VALU_DEP_1)
	v_fma_f64 v[222:223], -v[218:219], v[220:221], 1.0
	v_fma_f64 v[220:221], v[220:221], v[222:223], v[220:221]
	v_div_scale_f64 v[222:223], vcc_lo, 1.0, v[216:217], 1.0
	s_delay_alu instid0(VALU_DEP_1) | instskip(NEXT) | instid1(VALU_DEP_1)
	v_mul_f64 v[224:225], v[222:223], v[220:221]
	v_fma_f64 v[218:219], -v[218:219], v[224:225], v[222:223]
	s_delay_alu instid0(VALU_DEP_1) | instskip(NEXT) | instid1(VALU_DEP_1)
	v_div_fmas_f64 v[218:219], v[218:219], v[220:221], v[224:225]
	v_div_fixup_f64 v[222:223], v[218:219], v[216:217], 1.0
                                        ; implicit-def: $vgpr216_vgpr217
	s_delay_alu instid0(VALU_DEP_1)
	v_mul_f64 v[212:213], v[212:213], v[222:223]
	v_xor_b32_e32 v223, 0x80000000, v223
.LBB113_455:
	s_and_not1_saveexec_b32 s3, s3
	s_cbranch_execz .LBB113_457
; %bb.456:
	v_div_scale_f64 v[212:213], null, v[216:217], v[216:217], v[218:219]
	v_div_scale_f64 v[224:225], vcc_lo, v[218:219], v[216:217], v[218:219]
	s_delay_alu instid0(VALU_DEP_2) | instskip(SKIP_2) | instid1(VALU_DEP_1)
	v_rcp_f64_e32 v[220:221], v[212:213]
	s_waitcnt_depctr 0xfff
	v_fma_f64 v[222:223], -v[212:213], v[220:221], 1.0
	v_fma_f64 v[220:221], v[220:221], v[222:223], v[220:221]
	s_delay_alu instid0(VALU_DEP_1) | instskip(NEXT) | instid1(VALU_DEP_1)
	v_fma_f64 v[222:223], -v[212:213], v[220:221], 1.0
	v_fma_f64 v[220:221], v[220:221], v[222:223], v[220:221]
	s_delay_alu instid0(VALU_DEP_1) | instskip(NEXT) | instid1(VALU_DEP_1)
	v_mul_f64 v[222:223], v[224:225], v[220:221]
	v_fma_f64 v[212:213], -v[212:213], v[222:223], v[224:225]
	s_delay_alu instid0(VALU_DEP_1) | instskip(NEXT) | instid1(VALU_DEP_1)
	v_div_fmas_f64 v[212:213], v[212:213], v[220:221], v[222:223]
	v_div_fixup_f64 v[220:221], v[212:213], v[216:217], v[218:219]
	s_delay_alu instid0(VALU_DEP_1) | instskip(NEXT) | instid1(VALU_DEP_1)
	v_fma_f64 v[212:213], v[218:219], v[220:221], v[216:217]
	v_div_scale_f64 v[216:217], null, v[212:213], v[212:213], 1.0
	s_delay_alu instid0(VALU_DEP_1) | instskip(SKIP_2) | instid1(VALU_DEP_1)
	v_rcp_f64_e32 v[218:219], v[216:217]
	s_waitcnt_depctr 0xfff
	v_fma_f64 v[222:223], -v[216:217], v[218:219], 1.0
	v_fma_f64 v[218:219], v[218:219], v[222:223], v[218:219]
	s_delay_alu instid0(VALU_DEP_1) | instskip(NEXT) | instid1(VALU_DEP_1)
	v_fma_f64 v[222:223], -v[216:217], v[218:219], 1.0
	v_fma_f64 v[218:219], v[218:219], v[222:223], v[218:219]
	v_div_scale_f64 v[222:223], vcc_lo, 1.0, v[212:213], 1.0
	s_delay_alu instid0(VALU_DEP_1) | instskip(NEXT) | instid1(VALU_DEP_1)
	v_mul_f64 v[224:225], v[222:223], v[218:219]
	v_fma_f64 v[216:217], -v[216:217], v[224:225], v[222:223]
	s_delay_alu instid0(VALU_DEP_1) | instskip(NEXT) | instid1(VALU_DEP_1)
	v_div_fmas_f64 v[216:217], v[216:217], v[218:219], v[224:225]
	v_div_fixup_f64 v[212:213], v[216:217], v[212:213], 1.0
	s_delay_alu instid0(VALU_DEP_1)
	v_mul_f64 v[222:223], v[220:221], -v[212:213]
.LBB113_457:
	s_or_b32 exec_lo, exec_lo, s3
	ds_store_2addr_b64 v251, v[212:213], v[222:223] offset1:1
.LBB113_458:
	s_or_b32 exec_lo, exec_lo, s4
	s_waitcnt lgkmcnt(0)
	s_barrier
	buffer_gl0_inv
	ds_load_2addr_b64 v[232:235], v251 offset1:1
	s_mov_b32 s3, exec_lo
	v_cmpx_lt_u32_e32 50, v248
	s_cbranch_execz .LBB113_460
; %bb.459:
	s_waitcnt lgkmcnt(0)
	v_mul_f64 v[212:213], v[232:233], v[26:27]
	v_mul_f64 v[26:27], v[234:235], v[26:27]
	ds_load_2addr_b64 v[216:219], v214 offset0:102 offset1:103
	v_fma_f64 v[212:213], v[234:235], v[24:25], v[212:213]
	v_fma_f64 v[24:25], v[232:233], v[24:25], -v[26:27]
	s_waitcnt lgkmcnt(0)
	s_delay_alu instid0(VALU_DEP_2) | instskip(NEXT) | instid1(VALU_DEP_1)
	v_mul_f64 v[26:27], v[218:219], v[212:213]
	v_fma_f64 v[26:27], v[216:217], v[24:25], -v[26:27]
	v_mul_f64 v[216:217], v[216:217], v[212:213]
	s_delay_alu instid0(VALU_DEP_2) | instskip(NEXT) | instid1(VALU_DEP_2)
	v_add_f64 v[20:21], v[20:21], -v[26:27]
	v_fma_f64 v[216:217], v[218:219], v[24:25], v[216:217]
	s_delay_alu instid0(VALU_DEP_1) | instskip(SKIP_3) | instid1(VALU_DEP_1)
	v_add_f64 v[22:23], v[22:23], -v[216:217]
	ds_load_2addr_b64 v[216:219], v214 offset0:104 offset1:105
	s_waitcnt lgkmcnt(0)
	v_mul_f64 v[26:27], v[218:219], v[212:213]
	v_fma_f64 v[26:27], v[216:217], v[24:25], -v[26:27]
	v_mul_f64 v[216:217], v[216:217], v[212:213]
	s_delay_alu instid0(VALU_DEP_2) | instskip(NEXT) | instid1(VALU_DEP_2)
	v_add_f64 v[16:17], v[16:17], -v[26:27]
	v_fma_f64 v[216:217], v[218:219], v[24:25], v[216:217]
	s_delay_alu instid0(VALU_DEP_1) | instskip(SKIP_3) | instid1(VALU_DEP_1)
	v_add_f64 v[18:19], v[18:19], -v[216:217]
	ds_load_2addr_b64 v[216:219], v214 offset0:106 offset1:107
	s_waitcnt lgkmcnt(0)
	v_mul_f64 v[26:27], v[218:219], v[212:213]
	v_fma_f64 v[26:27], v[216:217], v[24:25], -v[26:27]
	v_mul_f64 v[216:217], v[216:217], v[212:213]
	s_delay_alu instid0(VALU_DEP_2) | instskip(NEXT) | instid1(VALU_DEP_2)
	v_add_f64 v[12:13], v[12:13], -v[26:27]
	v_fma_f64 v[216:217], v[218:219], v[24:25], v[216:217]
	s_delay_alu instid0(VALU_DEP_1) | instskip(SKIP_3) | instid1(VALU_DEP_1)
	v_add_f64 v[14:15], v[14:15], -v[216:217]
	ds_load_2addr_b64 v[216:219], v214 offset0:108 offset1:109
	s_waitcnt lgkmcnt(0)
	v_mul_f64 v[26:27], v[218:219], v[212:213]
	v_fma_f64 v[26:27], v[216:217], v[24:25], -v[26:27]
	v_mul_f64 v[216:217], v[216:217], v[212:213]
	s_delay_alu instid0(VALU_DEP_2) | instskip(NEXT) | instid1(VALU_DEP_2)
	v_add_f64 v[8:9], v[8:9], -v[26:27]
	v_fma_f64 v[216:217], v[218:219], v[24:25], v[216:217]
	s_delay_alu instid0(VALU_DEP_1) | instskip(SKIP_3) | instid1(VALU_DEP_1)
	v_add_f64 v[10:11], v[10:11], -v[216:217]
	ds_load_2addr_b64 v[216:219], v214 offset0:110 offset1:111
	s_waitcnt lgkmcnt(0)
	v_mul_f64 v[26:27], v[218:219], v[212:213]
	v_fma_f64 v[26:27], v[216:217], v[24:25], -v[26:27]
	v_mul_f64 v[216:217], v[216:217], v[212:213]
	s_delay_alu instid0(VALU_DEP_2) | instskip(NEXT) | instid1(VALU_DEP_2)
	v_add_f64 v[4:5], v[4:5], -v[26:27]
	v_fma_f64 v[216:217], v[218:219], v[24:25], v[216:217]
	s_delay_alu instid0(VALU_DEP_1) | instskip(SKIP_3) | instid1(VALU_DEP_1)
	v_add_f64 v[6:7], v[6:7], -v[216:217]
	ds_load_2addr_b64 v[216:219], v214 offset0:112 offset1:113
	s_waitcnt lgkmcnt(0)
	v_mul_f64 v[26:27], v[218:219], v[212:213]
	v_fma_f64 v[26:27], v[216:217], v[24:25], -v[26:27]
	v_mul_f64 v[216:217], v[216:217], v[212:213]
	s_delay_alu instid0(VALU_DEP_2) | instskip(NEXT) | instid1(VALU_DEP_2)
	v_add_f64 v[0:1], v[0:1], -v[26:27]
	v_fma_f64 v[216:217], v[218:219], v[24:25], v[216:217]
	v_dual_mov_b32 v26, v212 :: v_dual_mov_b32 v27, v213
	s_delay_alu instid0(VALU_DEP_2)
	v_add_f64 v[2:3], v[2:3], -v[216:217]
.LBB113_460:
	s_or_b32 exec_lo, exec_lo, s3
	s_delay_alu instid0(SALU_CYCLE_1)
	s_mov_b32 s4, exec_lo
	s_waitcnt lgkmcnt(0)
	s_barrier
	buffer_gl0_inv
	v_cmpx_eq_u32_e32 51, v248
	s_cbranch_execz .LBB113_467
; %bb.461:
	ds_store_2addr_b64 v251, v[20:21], v[22:23] offset1:1
	ds_store_2addr_b64 v214, v[16:17], v[18:19] offset0:104 offset1:105
	ds_store_2addr_b64 v214, v[12:13], v[14:15] offset0:106 offset1:107
	;; [unrolled: 1-line block ×5, first 2 shown]
	ds_load_2addr_b64 v[216:219], v251 offset1:1
	s_waitcnt lgkmcnt(0)
	v_cmp_neq_f64_e32 vcc_lo, 0, v[216:217]
	v_cmp_neq_f64_e64 s3, 0, v[218:219]
	s_delay_alu instid0(VALU_DEP_1) | instskip(NEXT) | instid1(SALU_CYCLE_1)
	s_or_b32 s3, vcc_lo, s3
	s_and_b32 exec_lo, exec_lo, s3
	s_cbranch_execz .LBB113_467
; %bb.462:
	v_cmp_gt_f64_e32 vcc_lo, 0, v[216:217]
	v_xor_b32_e32 v208, 0x80000000, v217
	s_delay_alu instid0(VALU_DEP_1) | instskip(SKIP_3) | instid1(VALU_DEP_1)
	v_cndmask_b32_e32 v213, v217, v208, vcc_lo
	v_cndmask_b32_e32 v212, v216, v216, vcc_lo
	v_cmp_gt_f64_e32 vcc_lo, 0, v[218:219]
	v_xor_b32_e32 v208, 0x80000000, v219
	v_dual_cndmask_b32 v220, v218, v218 :: v_dual_cndmask_b32 v221, v219, v208
	s_delay_alu instid0(VALU_DEP_1) | instskip(SKIP_1) | instid1(SALU_CYCLE_1)
	v_cmp_ngt_f64_e32 vcc_lo, v[212:213], v[220:221]
                                        ; implicit-def: $vgpr212_vgpr213
	s_and_saveexec_b32 s3, vcc_lo
	s_xor_b32 s3, exec_lo, s3
                                        ; implicit-def: $vgpr220_vgpr221_vgpr222_vgpr223
	s_cbranch_execz .LBB113_464
; %bb.463:
	v_div_scale_f64 v[212:213], null, v[218:219], v[218:219], v[216:217]
	v_div_scale_f64 v[224:225], vcc_lo, v[216:217], v[218:219], v[216:217]
	s_delay_alu instid0(VALU_DEP_2) | instskip(SKIP_2) | instid1(VALU_DEP_1)
	v_rcp_f64_e32 v[220:221], v[212:213]
	s_waitcnt_depctr 0xfff
	v_fma_f64 v[222:223], -v[212:213], v[220:221], 1.0
	v_fma_f64 v[220:221], v[220:221], v[222:223], v[220:221]
	s_delay_alu instid0(VALU_DEP_1) | instskip(NEXT) | instid1(VALU_DEP_1)
	v_fma_f64 v[222:223], -v[212:213], v[220:221], 1.0
	v_fma_f64 v[220:221], v[220:221], v[222:223], v[220:221]
	s_delay_alu instid0(VALU_DEP_1) | instskip(NEXT) | instid1(VALU_DEP_1)
	v_mul_f64 v[222:223], v[224:225], v[220:221]
	v_fma_f64 v[212:213], -v[212:213], v[222:223], v[224:225]
	s_delay_alu instid0(VALU_DEP_1) | instskip(NEXT) | instid1(VALU_DEP_1)
	v_div_fmas_f64 v[212:213], v[212:213], v[220:221], v[222:223]
	v_div_fixup_f64 v[212:213], v[212:213], v[218:219], v[216:217]
	s_delay_alu instid0(VALU_DEP_1) | instskip(NEXT) | instid1(VALU_DEP_1)
	v_fma_f64 v[216:217], v[216:217], v[212:213], v[218:219]
	v_div_scale_f64 v[218:219], null, v[216:217], v[216:217], 1.0
	s_delay_alu instid0(VALU_DEP_1) | instskip(SKIP_2) | instid1(VALU_DEP_1)
	v_rcp_f64_e32 v[220:221], v[218:219]
	s_waitcnt_depctr 0xfff
	v_fma_f64 v[222:223], -v[218:219], v[220:221], 1.0
	v_fma_f64 v[220:221], v[220:221], v[222:223], v[220:221]
	s_delay_alu instid0(VALU_DEP_1) | instskip(NEXT) | instid1(VALU_DEP_1)
	v_fma_f64 v[222:223], -v[218:219], v[220:221], 1.0
	v_fma_f64 v[220:221], v[220:221], v[222:223], v[220:221]
	v_div_scale_f64 v[222:223], vcc_lo, 1.0, v[216:217], 1.0
	s_delay_alu instid0(VALU_DEP_1) | instskip(NEXT) | instid1(VALU_DEP_1)
	v_mul_f64 v[224:225], v[222:223], v[220:221]
	v_fma_f64 v[218:219], -v[218:219], v[224:225], v[222:223]
	s_delay_alu instid0(VALU_DEP_1) | instskip(NEXT) | instid1(VALU_DEP_1)
	v_div_fmas_f64 v[218:219], v[218:219], v[220:221], v[224:225]
	v_div_fixup_f64 v[222:223], v[218:219], v[216:217], 1.0
                                        ; implicit-def: $vgpr216_vgpr217
	s_delay_alu instid0(VALU_DEP_1)
	v_mul_f64 v[212:213], v[212:213], v[222:223]
	v_xor_b32_e32 v223, 0x80000000, v223
.LBB113_464:
	s_and_not1_saveexec_b32 s3, s3
	s_cbranch_execz .LBB113_466
; %bb.465:
	v_div_scale_f64 v[212:213], null, v[216:217], v[216:217], v[218:219]
	v_div_scale_f64 v[224:225], vcc_lo, v[218:219], v[216:217], v[218:219]
	s_delay_alu instid0(VALU_DEP_2) | instskip(SKIP_2) | instid1(VALU_DEP_1)
	v_rcp_f64_e32 v[220:221], v[212:213]
	s_waitcnt_depctr 0xfff
	v_fma_f64 v[222:223], -v[212:213], v[220:221], 1.0
	v_fma_f64 v[220:221], v[220:221], v[222:223], v[220:221]
	s_delay_alu instid0(VALU_DEP_1) | instskip(NEXT) | instid1(VALU_DEP_1)
	v_fma_f64 v[222:223], -v[212:213], v[220:221], 1.0
	v_fma_f64 v[220:221], v[220:221], v[222:223], v[220:221]
	s_delay_alu instid0(VALU_DEP_1) | instskip(NEXT) | instid1(VALU_DEP_1)
	v_mul_f64 v[222:223], v[224:225], v[220:221]
	v_fma_f64 v[212:213], -v[212:213], v[222:223], v[224:225]
	s_delay_alu instid0(VALU_DEP_1) | instskip(NEXT) | instid1(VALU_DEP_1)
	v_div_fmas_f64 v[212:213], v[212:213], v[220:221], v[222:223]
	v_div_fixup_f64 v[220:221], v[212:213], v[216:217], v[218:219]
	s_delay_alu instid0(VALU_DEP_1) | instskip(NEXT) | instid1(VALU_DEP_1)
	v_fma_f64 v[212:213], v[218:219], v[220:221], v[216:217]
	v_div_scale_f64 v[216:217], null, v[212:213], v[212:213], 1.0
	s_delay_alu instid0(VALU_DEP_1) | instskip(SKIP_2) | instid1(VALU_DEP_1)
	v_rcp_f64_e32 v[218:219], v[216:217]
	s_waitcnt_depctr 0xfff
	v_fma_f64 v[222:223], -v[216:217], v[218:219], 1.0
	v_fma_f64 v[218:219], v[218:219], v[222:223], v[218:219]
	s_delay_alu instid0(VALU_DEP_1) | instskip(NEXT) | instid1(VALU_DEP_1)
	v_fma_f64 v[222:223], -v[216:217], v[218:219], 1.0
	v_fma_f64 v[218:219], v[218:219], v[222:223], v[218:219]
	v_div_scale_f64 v[222:223], vcc_lo, 1.0, v[212:213], 1.0
	s_delay_alu instid0(VALU_DEP_1) | instskip(NEXT) | instid1(VALU_DEP_1)
	v_mul_f64 v[224:225], v[222:223], v[218:219]
	v_fma_f64 v[216:217], -v[216:217], v[224:225], v[222:223]
	s_delay_alu instid0(VALU_DEP_1) | instskip(NEXT) | instid1(VALU_DEP_1)
	v_div_fmas_f64 v[216:217], v[216:217], v[218:219], v[224:225]
	v_div_fixup_f64 v[212:213], v[216:217], v[212:213], 1.0
	s_delay_alu instid0(VALU_DEP_1)
	v_mul_f64 v[222:223], v[220:221], -v[212:213]
.LBB113_466:
	s_or_b32 exec_lo, exec_lo, s3
	ds_store_2addr_b64 v251, v[212:213], v[222:223] offset1:1
.LBB113_467:
	s_or_b32 exec_lo, exec_lo, s4
	s_waitcnt lgkmcnt(0)
	s_barrier
	buffer_gl0_inv
	ds_load_2addr_b64 v[236:239], v251 offset1:1
	s_mov_b32 s3, exec_lo
	v_cmpx_lt_u32_e32 51, v248
	s_cbranch_execz .LBB113_469
; %bb.468:
	s_waitcnt lgkmcnt(0)
	v_mul_f64 v[212:213], v[236:237], v[22:23]
	v_mul_f64 v[22:23], v[238:239], v[22:23]
	ds_load_2addr_b64 v[216:219], v214 offset0:104 offset1:105
	v_fma_f64 v[212:213], v[238:239], v[20:21], v[212:213]
	v_fma_f64 v[20:21], v[236:237], v[20:21], -v[22:23]
	s_waitcnt lgkmcnt(0)
	s_delay_alu instid0(VALU_DEP_2) | instskip(NEXT) | instid1(VALU_DEP_1)
	v_mul_f64 v[22:23], v[218:219], v[212:213]
	v_fma_f64 v[22:23], v[216:217], v[20:21], -v[22:23]
	v_mul_f64 v[216:217], v[216:217], v[212:213]
	s_delay_alu instid0(VALU_DEP_2) | instskip(NEXT) | instid1(VALU_DEP_2)
	v_add_f64 v[16:17], v[16:17], -v[22:23]
	v_fma_f64 v[216:217], v[218:219], v[20:21], v[216:217]
	s_delay_alu instid0(VALU_DEP_1) | instskip(SKIP_3) | instid1(VALU_DEP_1)
	v_add_f64 v[18:19], v[18:19], -v[216:217]
	ds_load_2addr_b64 v[216:219], v214 offset0:106 offset1:107
	s_waitcnt lgkmcnt(0)
	v_mul_f64 v[22:23], v[218:219], v[212:213]
	v_fma_f64 v[22:23], v[216:217], v[20:21], -v[22:23]
	v_mul_f64 v[216:217], v[216:217], v[212:213]
	s_delay_alu instid0(VALU_DEP_2) | instskip(NEXT) | instid1(VALU_DEP_2)
	v_add_f64 v[12:13], v[12:13], -v[22:23]
	v_fma_f64 v[216:217], v[218:219], v[20:21], v[216:217]
	s_delay_alu instid0(VALU_DEP_1) | instskip(SKIP_3) | instid1(VALU_DEP_1)
	v_add_f64 v[14:15], v[14:15], -v[216:217]
	ds_load_2addr_b64 v[216:219], v214 offset0:108 offset1:109
	s_waitcnt lgkmcnt(0)
	;; [unrolled: 10-line block ×4, first 2 shown]
	v_mul_f64 v[22:23], v[218:219], v[212:213]
	v_fma_f64 v[22:23], v[216:217], v[20:21], -v[22:23]
	v_mul_f64 v[216:217], v[216:217], v[212:213]
	s_delay_alu instid0(VALU_DEP_2) | instskip(NEXT) | instid1(VALU_DEP_2)
	v_add_f64 v[0:1], v[0:1], -v[22:23]
	v_fma_f64 v[216:217], v[218:219], v[20:21], v[216:217]
	v_dual_mov_b32 v22, v212 :: v_dual_mov_b32 v23, v213
	s_delay_alu instid0(VALU_DEP_2)
	v_add_f64 v[2:3], v[2:3], -v[216:217]
.LBB113_469:
	s_or_b32 exec_lo, exec_lo, s3
	s_delay_alu instid0(SALU_CYCLE_1)
	s_mov_b32 s4, exec_lo
	s_waitcnt lgkmcnt(0)
	s_barrier
	buffer_gl0_inv
	v_cmpx_eq_u32_e32 52, v248
	s_cbranch_execz .LBB113_476
; %bb.470:
	ds_store_2addr_b64 v251, v[16:17], v[18:19] offset1:1
	ds_store_2addr_b64 v214, v[12:13], v[14:15] offset0:106 offset1:107
	ds_store_2addr_b64 v214, v[8:9], v[10:11] offset0:108 offset1:109
	;; [unrolled: 1-line block ×4, first 2 shown]
	ds_load_2addr_b64 v[216:219], v251 offset1:1
	s_waitcnt lgkmcnt(0)
	v_cmp_neq_f64_e32 vcc_lo, 0, v[216:217]
	v_cmp_neq_f64_e64 s3, 0, v[218:219]
	s_delay_alu instid0(VALU_DEP_1) | instskip(NEXT) | instid1(SALU_CYCLE_1)
	s_or_b32 s3, vcc_lo, s3
	s_and_b32 exec_lo, exec_lo, s3
	s_cbranch_execz .LBB113_476
; %bb.471:
	v_cmp_gt_f64_e32 vcc_lo, 0, v[216:217]
	v_xor_b32_e32 v208, 0x80000000, v217
	s_delay_alu instid0(VALU_DEP_1) | instskip(SKIP_3) | instid1(VALU_DEP_1)
	v_cndmask_b32_e32 v213, v217, v208, vcc_lo
	v_cndmask_b32_e32 v212, v216, v216, vcc_lo
	v_cmp_gt_f64_e32 vcc_lo, 0, v[218:219]
	v_xor_b32_e32 v208, 0x80000000, v219
	v_dual_cndmask_b32 v220, v218, v218 :: v_dual_cndmask_b32 v221, v219, v208
	s_delay_alu instid0(VALU_DEP_1) | instskip(SKIP_1) | instid1(SALU_CYCLE_1)
	v_cmp_ngt_f64_e32 vcc_lo, v[212:213], v[220:221]
                                        ; implicit-def: $vgpr212_vgpr213
	s_and_saveexec_b32 s3, vcc_lo
	s_xor_b32 s3, exec_lo, s3
                                        ; implicit-def: $vgpr220_vgpr221_vgpr222_vgpr223
	s_cbranch_execz .LBB113_473
; %bb.472:
	v_div_scale_f64 v[212:213], null, v[218:219], v[218:219], v[216:217]
	v_div_scale_f64 v[224:225], vcc_lo, v[216:217], v[218:219], v[216:217]
	s_delay_alu instid0(VALU_DEP_2) | instskip(SKIP_2) | instid1(VALU_DEP_1)
	v_rcp_f64_e32 v[220:221], v[212:213]
	s_waitcnt_depctr 0xfff
	v_fma_f64 v[222:223], -v[212:213], v[220:221], 1.0
	v_fma_f64 v[220:221], v[220:221], v[222:223], v[220:221]
	s_delay_alu instid0(VALU_DEP_1) | instskip(NEXT) | instid1(VALU_DEP_1)
	v_fma_f64 v[222:223], -v[212:213], v[220:221], 1.0
	v_fma_f64 v[220:221], v[220:221], v[222:223], v[220:221]
	s_delay_alu instid0(VALU_DEP_1) | instskip(NEXT) | instid1(VALU_DEP_1)
	v_mul_f64 v[222:223], v[224:225], v[220:221]
	v_fma_f64 v[212:213], -v[212:213], v[222:223], v[224:225]
	s_delay_alu instid0(VALU_DEP_1) | instskip(NEXT) | instid1(VALU_DEP_1)
	v_div_fmas_f64 v[212:213], v[212:213], v[220:221], v[222:223]
	v_div_fixup_f64 v[212:213], v[212:213], v[218:219], v[216:217]
	s_delay_alu instid0(VALU_DEP_1) | instskip(NEXT) | instid1(VALU_DEP_1)
	v_fma_f64 v[216:217], v[216:217], v[212:213], v[218:219]
	v_div_scale_f64 v[218:219], null, v[216:217], v[216:217], 1.0
	s_delay_alu instid0(VALU_DEP_1) | instskip(SKIP_2) | instid1(VALU_DEP_1)
	v_rcp_f64_e32 v[220:221], v[218:219]
	s_waitcnt_depctr 0xfff
	v_fma_f64 v[222:223], -v[218:219], v[220:221], 1.0
	v_fma_f64 v[220:221], v[220:221], v[222:223], v[220:221]
	s_delay_alu instid0(VALU_DEP_1) | instskip(NEXT) | instid1(VALU_DEP_1)
	v_fma_f64 v[222:223], -v[218:219], v[220:221], 1.0
	v_fma_f64 v[220:221], v[220:221], v[222:223], v[220:221]
	v_div_scale_f64 v[222:223], vcc_lo, 1.0, v[216:217], 1.0
	s_delay_alu instid0(VALU_DEP_1) | instskip(NEXT) | instid1(VALU_DEP_1)
	v_mul_f64 v[224:225], v[222:223], v[220:221]
	v_fma_f64 v[218:219], -v[218:219], v[224:225], v[222:223]
	s_delay_alu instid0(VALU_DEP_1) | instskip(NEXT) | instid1(VALU_DEP_1)
	v_div_fmas_f64 v[218:219], v[218:219], v[220:221], v[224:225]
	v_div_fixup_f64 v[222:223], v[218:219], v[216:217], 1.0
                                        ; implicit-def: $vgpr216_vgpr217
	s_delay_alu instid0(VALU_DEP_1)
	v_mul_f64 v[212:213], v[212:213], v[222:223]
	v_xor_b32_e32 v223, 0x80000000, v223
.LBB113_473:
	s_and_not1_saveexec_b32 s3, s3
	s_cbranch_execz .LBB113_475
; %bb.474:
	v_div_scale_f64 v[212:213], null, v[216:217], v[216:217], v[218:219]
	v_div_scale_f64 v[224:225], vcc_lo, v[218:219], v[216:217], v[218:219]
	s_delay_alu instid0(VALU_DEP_2) | instskip(SKIP_2) | instid1(VALU_DEP_1)
	v_rcp_f64_e32 v[220:221], v[212:213]
	s_waitcnt_depctr 0xfff
	v_fma_f64 v[222:223], -v[212:213], v[220:221], 1.0
	v_fma_f64 v[220:221], v[220:221], v[222:223], v[220:221]
	s_delay_alu instid0(VALU_DEP_1) | instskip(NEXT) | instid1(VALU_DEP_1)
	v_fma_f64 v[222:223], -v[212:213], v[220:221], 1.0
	v_fma_f64 v[220:221], v[220:221], v[222:223], v[220:221]
	s_delay_alu instid0(VALU_DEP_1) | instskip(NEXT) | instid1(VALU_DEP_1)
	v_mul_f64 v[222:223], v[224:225], v[220:221]
	v_fma_f64 v[212:213], -v[212:213], v[222:223], v[224:225]
	s_delay_alu instid0(VALU_DEP_1) | instskip(NEXT) | instid1(VALU_DEP_1)
	v_div_fmas_f64 v[212:213], v[212:213], v[220:221], v[222:223]
	v_div_fixup_f64 v[220:221], v[212:213], v[216:217], v[218:219]
	s_delay_alu instid0(VALU_DEP_1) | instskip(NEXT) | instid1(VALU_DEP_1)
	v_fma_f64 v[212:213], v[218:219], v[220:221], v[216:217]
	v_div_scale_f64 v[216:217], null, v[212:213], v[212:213], 1.0
	s_delay_alu instid0(VALU_DEP_1) | instskip(SKIP_2) | instid1(VALU_DEP_1)
	v_rcp_f64_e32 v[218:219], v[216:217]
	s_waitcnt_depctr 0xfff
	v_fma_f64 v[222:223], -v[216:217], v[218:219], 1.0
	v_fma_f64 v[218:219], v[218:219], v[222:223], v[218:219]
	s_delay_alu instid0(VALU_DEP_1) | instskip(NEXT) | instid1(VALU_DEP_1)
	v_fma_f64 v[222:223], -v[216:217], v[218:219], 1.0
	v_fma_f64 v[218:219], v[218:219], v[222:223], v[218:219]
	v_div_scale_f64 v[222:223], vcc_lo, 1.0, v[212:213], 1.0
	s_delay_alu instid0(VALU_DEP_1) | instskip(NEXT) | instid1(VALU_DEP_1)
	v_mul_f64 v[224:225], v[222:223], v[218:219]
	v_fma_f64 v[216:217], -v[216:217], v[224:225], v[222:223]
	s_delay_alu instid0(VALU_DEP_1) | instskip(NEXT) | instid1(VALU_DEP_1)
	v_div_fmas_f64 v[216:217], v[216:217], v[218:219], v[224:225]
	v_div_fixup_f64 v[212:213], v[216:217], v[212:213], 1.0
	s_delay_alu instid0(VALU_DEP_1)
	v_mul_f64 v[222:223], v[220:221], -v[212:213]
.LBB113_475:
	s_or_b32 exec_lo, exec_lo, s3
	ds_store_2addr_b64 v251, v[212:213], v[222:223] offset1:1
.LBB113_476:
	s_or_b32 exec_lo, exec_lo, s4
	s_waitcnt lgkmcnt(0)
	s_barrier
	buffer_gl0_inv
	ds_load_2addr_b64 v[240:243], v251 offset1:1
	s_mov_b32 s3, exec_lo
	v_cmpx_lt_u32_e32 52, v248
	s_cbranch_execz .LBB113_478
; %bb.477:
	s_waitcnt lgkmcnt(0)
	v_mul_f64 v[212:213], v[240:241], v[18:19]
	v_mul_f64 v[18:19], v[242:243], v[18:19]
	ds_load_2addr_b64 v[216:219], v214 offset0:106 offset1:107
	v_fma_f64 v[212:213], v[242:243], v[16:17], v[212:213]
	v_fma_f64 v[16:17], v[240:241], v[16:17], -v[18:19]
	s_waitcnt lgkmcnt(0)
	s_delay_alu instid0(VALU_DEP_2) | instskip(NEXT) | instid1(VALU_DEP_1)
	v_mul_f64 v[18:19], v[218:219], v[212:213]
	v_fma_f64 v[18:19], v[216:217], v[16:17], -v[18:19]
	v_mul_f64 v[216:217], v[216:217], v[212:213]
	s_delay_alu instid0(VALU_DEP_2) | instskip(NEXT) | instid1(VALU_DEP_2)
	v_add_f64 v[12:13], v[12:13], -v[18:19]
	v_fma_f64 v[216:217], v[218:219], v[16:17], v[216:217]
	s_delay_alu instid0(VALU_DEP_1) | instskip(SKIP_3) | instid1(VALU_DEP_1)
	v_add_f64 v[14:15], v[14:15], -v[216:217]
	ds_load_2addr_b64 v[216:219], v214 offset0:108 offset1:109
	s_waitcnt lgkmcnt(0)
	v_mul_f64 v[18:19], v[218:219], v[212:213]
	v_fma_f64 v[18:19], v[216:217], v[16:17], -v[18:19]
	v_mul_f64 v[216:217], v[216:217], v[212:213]
	s_delay_alu instid0(VALU_DEP_2) | instskip(NEXT) | instid1(VALU_DEP_2)
	v_add_f64 v[8:9], v[8:9], -v[18:19]
	v_fma_f64 v[216:217], v[218:219], v[16:17], v[216:217]
	s_delay_alu instid0(VALU_DEP_1) | instskip(SKIP_3) | instid1(VALU_DEP_1)
	v_add_f64 v[10:11], v[10:11], -v[216:217]
	ds_load_2addr_b64 v[216:219], v214 offset0:110 offset1:111
	s_waitcnt lgkmcnt(0)
	;; [unrolled: 10-line block ×3, first 2 shown]
	v_mul_f64 v[18:19], v[218:219], v[212:213]
	v_fma_f64 v[18:19], v[216:217], v[16:17], -v[18:19]
	v_mul_f64 v[216:217], v[216:217], v[212:213]
	s_delay_alu instid0(VALU_DEP_2) | instskip(NEXT) | instid1(VALU_DEP_2)
	v_add_f64 v[0:1], v[0:1], -v[18:19]
	v_fma_f64 v[216:217], v[218:219], v[16:17], v[216:217]
	v_dual_mov_b32 v18, v212 :: v_dual_mov_b32 v19, v213
	s_delay_alu instid0(VALU_DEP_2)
	v_add_f64 v[2:3], v[2:3], -v[216:217]
.LBB113_478:
	s_or_b32 exec_lo, exec_lo, s3
	s_delay_alu instid0(SALU_CYCLE_1)
	s_mov_b32 s4, exec_lo
	s_waitcnt lgkmcnt(0)
	s_barrier
	buffer_gl0_inv
	v_cmpx_eq_u32_e32 53, v248
	s_cbranch_execz .LBB113_485
; %bb.479:
	ds_store_2addr_b64 v251, v[12:13], v[14:15] offset1:1
	ds_store_2addr_b64 v214, v[8:9], v[10:11] offset0:108 offset1:109
	ds_store_2addr_b64 v214, v[4:5], v[6:7] offset0:110 offset1:111
	;; [unrolled: 1-line block ×3, first 2 shown]
	ds_load_2addr_b64 v[216:219], v251 offset1:1
	s_waitcnt lgkmcnt(0)
	v_cmp_neq_f64_e32 vcc_lo, 0, v[216:217]
	v_cmp_neq_f64_e64 s3, 0, v[218:219]
	s_delay_alu instid0(VALU_DEP_1) | instskip(NEXT) | instid1(SALU_CYCLE_1)
	s_or_b32 s3, vcc_lo, s3
	s_and_b32 exec_lo, exec_lo, s3
	s_cbranch_execz .LBB113_485
; %bb.480:
	v_cmp_gt_f64_e32 vcc_lo, 0, v[216:217]
	v_xor_b32_e32 v208, 0x80000000, v217
	s_delay_alu instid0(VALU_DEP_1) | instskip(SKIP_3) | instid1(VALU_DEP_1)
	v_cndmask_b32_e32 v213, v217, v208, vcc_lo
	v_cndmask_b32_e32 v212, v216, v216, vcc_lo
	v_cmp_gt_f64_e32 vcc_lo, 0, v[218:219]
	v_xor_b32_e32 v208, 0x80000000, v219
	v_dual_cndmask_b32 v220, v218, v218 :: v_dual_cndmask_b32 v221, v219, v208
	s_delay_alu instid0(VALU_DEP_1) | instskip(SKIP_1) | instid1(SALU_CYCLE_1)
	v_cmp_ngt_f64_e32 vcc_lo, v[212:213], v[220:221]
                                        ; implicit-def: $vgpr212_vgpr213
	s_and_saveexec_b32 s3, vcc_lo
	s_xor_b32 s3, exec_lo, s3
                                        ; implicit-def: $vgpr220_vgpr221_vgpr222_vgpr223
	s_cbranch_execz .LBB113_482
; %bb.481:
	v_div_scale_f64 v[212:213], null, v[218:219], v[218:219], v[216:217]
	v_div_scale_f64 v[224:225], vcc_lo, v[216:217], v[218:219], v[216:217]
	s_delay_alu instid0(VALU_DEP_2) | instskip(SKIP_2) | instid1(VALU_DEP_1)
	v_rcp_f64_e32 v[220:221], v[212:213]
	s_waitcnt_depctr 0xfff
	v_fma_f64 v[222:223], -v[212:213], v[220:221], 1.0
	v_fma_f64 v[220:221], v[220:221], v[222:223], v[220:221]
	s_delay_alu instid0(VALU_DEP_1) | instskip(NEXT) | instid1(VALU_DEP_1)
	v_fma_f64 v[222:223], -v[212:213], v[220:221], 1.0
	v_fma_f64 v[220:221], v[220:221], v[222:223], v[220:221]
	s_delay_alu instid0(VALU_DEP_1) | instskip(NEXT) | instid1(VALU_DEP_1)
	v_mul_f64 v[222:223], v[224:225], v[220:221]
	v_fma_f64 v[212:213], -v[212:213], v[222:223], v[224:225]
	s_delay_alu instid0(VALU_DEP_1) | instskip(NEXT) | instid1(VALU_DEP_1)
	v_div_fmas_f64 v[212:213], v[212:213], v[220:221], v[222:223]
	v_div_fixup_f64 v[212:213], v[212:213], v[218:219], v[216:217]
	s_delay_alu instid0(VALU_DEP_1) | instskip(NEXT) | instid1(VALU_DEP_1)
	v_fma_f64 v[216:217], v[216:217], v[212:213], v[218:219]
	v_div_scale_f64 v[218:219], null, v[216:217], v[216:217], 1.0
	s_delay_alu instid0(VALU_DEP_1) | instskip(SKIP_2) | instid1(VALU_DEP_1)
	v_rcp_f64_e32 v[220:221], v[218:219]
	s_waitcnt_depctr 0xfff
	v_fma_f64 v[222:223], -v[218:219], v[220:221], 1.0
	v_fma_f64 v[220:221], v[220:221], v[222:223], v[220:221]
	s_delay_alu instid0(VALU_DEP_1) | instskip(NEXT) | instid1(VALU_DEP_1)
	v_fma_f64 v[222:223], -v[218:219], v[220:221], 1.0
	v_fma_f64 v[220:221], v[220:221], v[222:223], v[220:221]
	v_div_scale_f64 v[222:223], vcc_lo, 1.0, v[216:217], 1.0
	s_delay_alu instid0(VALU_DEP_1) | instskip(NEXT) | instid1(VALU_DEP_1)
	v_mul_f64 v[224:225], v[222:223], v[220:221]
	v_fma_f64 v[218:219], -v[218:219], v[224:225], v[222:223]
	s_delay_alu instid0(VALU_DEP_1) | instskip(NEXT) | instid1(VALU_DEP_1)
	v_div_fmas_f64 v[218:219], v[218:219], v[220:221], v[224:225]
	v_div_fixup_f64 v[222:223], v[218:219], v[216:217], 1.0
                                        ; implicit-def: $vgpr216_vgpr217
	s_delay_alu instid0(VALU_DEP_1)
	v_mul_f64 v[212:213], v[212:213], v[222:223]
	v_xor_b32_e32 v223, 0x80000000, v223
.LBB113_482:
	s_and_not1_saveexec_b32 s3, s3
	s_cbranch_execz .LBB113_484
; %bb.483:
	v_div_scale_f64 v[212:213], null, v[216:217], v[216:217], v[218:219]
	v_div_scale_f64 v[224:225], vcc_lo, v[218:219], v[216:217], v[218:219]
	s_delay_alu instid0(VALU_DEP_2) | instskip(SKIP_2) | instid1(VALU_DEP_1)
	v_rcp_f64_e32 v[220:221], v[212:213]
	s_waitcnt_depctr 0xfff
	v_fma_f64 v[222:223], -v[212:213], v[220:221], 1.0
	v_fma_f64 v[220:221], v[220:221], v[222:223], v[220:221]
	s_delay_alu instid0(VALU_DEP_1) | instskip(NEXT) | instid1(VALU_DEP_1)
	v_fma_f64 v[222:223], -v[212:213], v[220:221], 1.0
	v_fma_f64 v[220:221], v[220:221], v[222:223], v[220:221]
	s_delay_alu instid0(VALU_DEP_1) | instskip(NEXT) | instid1(VALU_DEP_1)
	v_mul_f64 v[222:223], v[224:225], v[220:221]
	v_fma_f64 v[212:213], -v[212:213], v[222:223], v[224:225]
	s_delay_alu instid0(VALU_DEP_1) | instskip(NEXT) | instid1(VALU_DEP_1)
	v_div_fmas_f64 v[212:213], v[212:213], v[220:221], v[222:223]
	v_div_fixup_f64 v[220:221], v[212:213], v[216:217], v[218:219]
	s_delay_alu instid0(VALU_DEP_1) | instskip(NEXT) | instid1(VALU_DEP_1)
	v_fma_f64 v[212:213], v[218:219], v[220:221], v[216:217]
	v_div_scale_f64 v[216:217], null, v[212:213], v[212:213], 1.0
	s_delay_alu instid0(VALU_DEP_1) | instskip(SKIP_2) | instid1(VALU_DEP_1)
	v_rcp_f64_e32 v[218:219], v[216:217]
	s_waitcnt_depctr 0xfff
	v_fma_f64 v[222:223], -v[216:217], v[218:219], 1.0
	v_fma_f64 v[218:219], v[218:219], v[222:223], v[218:219]
	s_delay_alu instid0(VALU_DEP_1) | instskip(NEXT) | instid1(VALU_DEP_1)
	v_fma_f64 v[222:223], -v[216:217], v[218:219], 1.0
	v_fma_f64 v[218:219], v[218:219], v[222:223], v[218:219]
	v_div_scale_f64 v[222:223], vcc_lo, 1.0, v[212:213], 1.0
	s_delay_alu instid0(VALU_DEP_1) | instskip(NEXT) | instid1(VALU_DEP_1)
	v_mul_f64 v[224:225], v[222:223], v[218:219]
	v_fma_f64 v[216:217], -v[216:217], v[224:225], v[222:223]
	s_delay_alu instid0(VALU_DEP_1) | instskip(NEXT) | instid1(VALU_DEP_1)
	v_div_fmas_f64 v[216:217], v[216:217], v[218:219], v[224:225]
	v_div_fixup_f64 v[212:213], v[216:217], v[212:213], 1.0
	s_delay_alu instid0(VALU_DEP_1)
	v_mul_f64 v[222:223], v[220:221], -v[212:213]
.LBB113_484:
	s_or_b32 exec_lo, exec_lo, s3
	ds_store_2addr_b64 v251, v[212:213], v[222:223] offset1:1
.LBB113_485:
	s_or_b32 exec_lo, exec_lo, s4
	s_waitcnt lgkmcnt(0)
	s_barrier
	buffer_gl0_inv
	ds_load_2addr_b64 v[244:247], v251 offset1:1
	s_mov_b32 s3, exec_lo
	v_cmpx_lt_u32_e32 53, v248
	s_cbranch_execz .LBB113_487
; %bb.486:
	s_waitcnt lgkmcnt(0)
	v_mul_f64 v[212:213], v[244:245], v[14:15]
	v_mul_f64 v[14:15], v[246:247], v[14:15]
	ds_load_2addr_b64 v[216:219], v214 offset0:108 offset1:109
	v_fma_f64 v[212:213], v[246:247], v[12:13], v[212:213]
	v_fma_f64 v[12:13], v[244:245], v[12:13], -v[14:15]
	s_waitcnt lgkmcnt(0)
	s_delay_alu instid0(VALU_DEP_2) | instskip(NEXT) | instid1(VALU_DEP_1)
	v_mul_f64 v[14:15], v[218:219], v[212:213]
	v_fma_f64 v[14:15], v[216:217], v[12:13], -v[14:15]
	v_mul_f64 v[216:217], v[216:217], v[212:213]
	s_delay_alu instid0(VALU_DEP_2) | instskip(NEXT) | instid1(VALU_DEP_2)
	v_add_f64 v[8:9], v[8:9], -v[14:15]
	v_fma_f64 v[216:217], v[218:219], v[12:13], v[216:217]
	s_delay_alu instid0(VALU_DEP_1) | instskip(SKIP_3) | instid1(VALU_DEP_1)
	v_add_f64 v[10:11], v[10:11], -v[216:217]
	ds_load_2addr_b64 v[216:219], v214 offset0:110 offset1:111
	s_waitcnt lgkmcnt(0)
	v_mul_f64 v[14:15], v[218:219], v[212:213]
	v_fma_f64 v[14:15], v[216:217], v[12:13], -v[14:15]
	v_mul_f64 v[216:217], v[216:217], v[212:213]
	s_delay_alu instid0(VALU_DEP_2) | instskip(NEXT) | instid1(VALU_DEP_2)
	v_add_f64 v[4:5], v[4:5], -v[14:15]
	v_fma_f64 v[216:217], v[218:219], v[12:13], v[216:217]
	s_delay_alu instid0(VALU_DEP_1) | instskip(SKIP_3) | instid1(VALU_DEP_1)
	v_add_f64 v[6:7], v[6:7], -v[216:217]
	ds_load_2addr_b64 v[216:219], v214 offset0:112 offset1:113
	s_waitcnt lgkmcnt(0)
	v_mul_f64 v[14:15], v[218:219], v[212:213]
	v_fma_f64 v[14:15], v[216:217], v[12:13], -v[14:15]
	v_mul_f64 v[216:217], v[216:217], v[212:213]
	s_delay_alu instid0(VALU_DEP_2) | instskip(NEXT) | instid1(VALU_DEP_2)
	v_add_f64 v[0:1], v[0:1], -v[14:15]
	v_fma_f64 v[216:217], v[218:219], v[12:13], v[216:217]
	v_dual_mov_b32 v14, v212 :: v_dual_mov_b32 v15, v213
	s_delay_alu instid0(VALU_DEP_2)
	v_add_f64 v[2:3], v[2:3], -v[216:217]
.LBB113_487:
	s_or_b32 exec_lo, exec_lo, s3
	s_delay_alu instid0(SALU_CYCLE_1)
	s_mov_b32 s4, exec_lo
	s_waitcnt lgkmcnt(0)
	s_barrier
	buffer_gl0_inv
	v_cmpx_eq_u32_e32 54, v248
	s_cbranch_execz .LBB113_494
; %bb.488:
	ds_store_2addr_b64 v251, v[8:9], v[10:11] offset1:1
	ds_store_2addr_b64 v214, v[4:5], v[6:7] offset0:110 offset1:111
	ds_store_2addr_b64 v214, v[0:1], v[2:3] offset0:112 offset1:113
	ds_load_2addr_b64 v[216:219], v251 offset1:1
	s_waitcnt lgkmcnt(0)
	v_cmp_neq_f64_e32 vcc_lo, 0, v[216:217]
	v_cmp_neq_f64_e64 s3, 0, v[218:219]
	s_delay_alu instid0(VALU_DEP_1) | instskip(NEXT) | instid1(SALU_CYCLE_1)
	s_or_b32 s3, vcc_lo, s3
	s_and_b32 exec_lo, exec_lo, s3
	s_cbranch_execz .LBB113_494
; %bb.489:
	v_cmp_gt_f64_e32 vcc_lo, 0, v[216:217]
	v_xor_b32_e32 v208, 0x80000000, v217
	s_delay_alu instid0(VALU_DEP_1) | instskip(SKIP_3) | instid1(VALU_DEP_1)
	v_cndmask_b32_e32 v213, v217, v208, vcc_lo
	v_cndmask_b32_e32 v212, v216, v216, vcc_lo
	v_cmp_gt_f64_e32 vcc_lo, 0, v[218:219]
	v_xor_b32_e32 v208, 0x80000000, v219
	v_dual_cndmask_b32 v220, v218, v218 :: v_dual_cndmask_b32 v221, v219, v208
	s_delay_alu instid0(VALU_DEP_1) | instskip(SKIP_1) | instid1(SALU_CYCLE_1)
	v_cmp_ngt_f64_e32 vcc_lo, v[212:213], v[220:221]
                                        ; implicit-def: $vgpr212_vgpr213
	s_and_saveexec_b32 s3, vcc_lo
	s_xor_b32 s3, exec_lo, s3
                                        ; implicit-def: $vgpr220_vgpr221_vgpr222_vgpr223
	s_cbranch_execz .LBB113_491
; %bb.490:
	v_div_scale_f64 v[212:213], null, v[218:219], v[218:219], v[216:217]
	v_div_scale_f64 v[224:225], vcc_lo, v[216:217], v[218:219], v[216:217]
	s_delay_alu instid0(VALU_DEP_2) | instskip(SKIP_2) | instid1(VALU_DEP_1)
	v_rcp_f64_e32 v[220:221], v[212:213]
	s_waitcnt_depctr 0xfff
	v_fma_f64 v[222:223], -v[212:213], v[220:221], 1.0
	v_fma_f64 v[220:221], v[220:221], v[222:223], v[220:221]
	s_delay_alu instid0(VALU_DEP_1) | instskip(NEXT) | instid1(VALU_DEP_1)
	v_fma_f64 v[222:223], -v[212:213], v[220:221], 1.0
	v_fma_f64 v[220:221], v[220:221], v[222:223], v[220:221]
	s_delay_alu instid0(VALU_DEP_1) | instskip(NEXT) | instid1(VALU_DEP_1)
	v_mul_f64 v[222:223], v[224:225], v[220:221]
	v_fma_f64 v[212:213], -v[212:213], v[222:223], v[224:225]
	s_delay_alu instid0(VALU_DEP_1) | instskip(NEXT) | instid1(VALU_DEP_1)
	v_div_fmas_f64 v[212:213], v[212:213], v[220:221], v[222:223]
	v_div_fixup_f64 v[212:213], v[212:213], v[218:219], v[216:217]
	s_delay_alu instid0(VALU_DEP_1) | instskip(NEXT) | instid1(VALU_DEP_1)
	v_fma_f64 v[216:217], v[216:217], v[212:213], v[218:219]
	v_div_scale_f64 v[218:219], null, v[216:217], v[216:217], 1.0
	s_delay_alu instid0(VALU_DEP_1) | instskip(SKIP_2) | instid1(VALU_DEP_1)
	v_rcp_f64_e32 v[220:221], v[218:219]
	s_waitcnt_depctr 0xfff
	v_fma_f64 v[222:223], -v[218:219], v[220:221], 1.0
	v_fma_f64 v[220:221], v[220:221], v[222:223], v[220:221]
	s_delay_alu instid0(VALU_DEP_1) | instskip(NEXT) | instid1(VALU_DEP_1)
	v_fma_f64 v[222:223], -v[218:219], v[220:221], 1.0
	v_fma_f64 v[220:221], v[220:221], v[222:223], v[220:221]
	v_div_scale_f64 v[222:223], vcc_lo, 1.0, v[216:217], 1.0
	s_delay_alu instid0(VALU_DEP_1) | instskip(NEXT) | instid1(VALU_DEP_1)
	v_mul_f64 v[224:225], v[222:223], v[220:221]
	v_fma_f64 v[218:219], -v[218:219], v[224:225], v[222:223]
	s_delay_alu instid0(VALU_DEP_1) | instskip(NEXT) | instid1(VALU_DEP_1)
	v_div_fmas_f64 v[218:219], v[218:219], v[220:221], v[224:225]
	v_div_fixup_f64 v[222:223], v[218:219], v[216:217], 1.0
                                        ; implicit-def: $vgpr216_vgpr217
	s_delay_alu instid0(VALU_DEP_1)
	v_mul_f64 v[212:213], v[212:213], v[222:223]
	v_xor_b32_e32 v223, 0x80000000, v223
.LBB113_491:
	s_and_not1_saveexec_b32 s3, s3
	s_cbranch_execz .LBB113_493
; %bb.492:
	v_div_scale_f64 v[212:213], null, v[216:217], v[216:217], v[218:219]
	v_div_scale_f64 v[224:225], vcc_lo, v[218:219], v[216:217], v[218:219]
	s_delay_alu instid0(VALU_DEP_2) | instskip(SKIP_2) | instid1(VALU_DEP_1)
	v_rcp_f64_e32 v[220:221], v[212:213]
	s_waitcnt_depctr 0xfff
	v_fma_f64 v[222:223], -v[212:213], v[220:221], 1.0
	v_fma_f64 v[220:221], v[220:221], v[222:223], v[220:221]
	s_delay_alu instid0(VALU_DEP_1) | instskip(NEXT) | instid1(VALU_DEP_1)
	v_fma_f64 v[222:223], -v[212:213], v[220:221], 1.0
	v_fma_f64 v[220:221], v[220:221], v[222:223], v[220:221]
	s_delay_alu instid0(VALU_DEP_1) | instskip(NEXT) | instid1(VALU_DEP_1)
	v_mul_f64 v[222:223], v[224:225], v[220:221]
	v_fma_f64 v[212:213], -v[212:213], v[222:223], v[224:225]
	s_delay_alu instid0(VALU_DEP_1) | instskip(NEXT) | instid1(VALU_DEP_1)
	v_div_fmas_f64 v[212:213], v[212:213], v[220:221], v[222:223]
	v_div_fixup_f64 v[220:221], v[212:213], v[216:217], v[218:219]
	s_delay_alu instid0(VALU_DEP_1) | instskip(NEXT) | instid1(VALU_DEP_1)
	v_fma_f64 v[212:213], v[218:219], v[220:221], v[216:217]
	v_div_scale_f64 v[216:217], null, v[212:213], v[212:213], 1.0
	s_delay_alu instid0(VALU_DEP_1) | instskip(SKIP_2) | instid1(VALU_DEP_1)
	v_rcp_f64_e32 v[218:219], v[216:217]
	s_waitcnt_depctr 0xfff
	v_fma_f64 v[222:223], -v[216:217], v[218:219], 1.0
	v_fma_f64 v[218:219], v[218:219], v[222:223], v[218:219]
	s_delay_alu instid0(VALU_DEP_1) | instskip(NEXT) | instid1(VALU_DEP_1)
	v_fma_f64 v[222:223], -v[216:217], v[218:219], 1.0
	v_fma_f64 v[218:219], v[218:219], v[222:223], v[218:219]
	v_div_scale_f64 v[222:223], vcc_lo, 1.0, v[212:213], 1.0
	s_delay_alu instid0(VALU_DEP_1) | instskip(NEXT) | instid1(VALU_DEP_1)
	v_mul_f64 v[224:225], v[222:223], v[218:219]
	v_fma_f64 v[216:217], -v[216:217], v[224:225], v[222:223]
	s_delay_alu instid0(VALU_DEP_1) | instskip(NEXT) | instid1(VALU_DEP_1)
	v_div_fmas_f64 v[216:217], v[216:217], v[218:219], v[224:225]
	v_div_fixup_f64 v[212:213], v[216:217], v[212:213], 1.0
	s_delay_alu instid0(VALU_DEP_1)
	v_mul_f64 v[222:223], v[220:221], -v[212:213]
.LBB113_493:
	s_or_b32 exec_lo, exec_lo, s3
	ds_store_2addr_b64 v251, v[212:213], v[222:223] offset1:1
.LBB113_494:
	s_or_b32 exec_lo, exec_lo, s4
	s_waitcnt lgkmcnt(0)
	s_barrier
	buffer_gl0_inv
	ds_load_2addr_b64 v[224:227], v251 offset1:1
	s_mov_b32 s3, exec_lo
	v_cmpx_lt_u32_e32 54, v248
	s_cbranch_execz .LBB113_496
; %bb.495:
	s_waitcnt lgkmcnt(0)
	v_mul_f64 v[212:213], v[224:225], v[10:11]
	v_mul_f64 v[10:11], v[226:227], v[10:11]
	ds_load_2addr_b64 v[216:219], v214 offset0:110 offset1:111
	v_fma_f64 v[212:213], v[226:227], v[8:9], v[212:213]
	v_fma_f64 v[8:9], v[224:225], v[8:9], -v[10:11]
	s_waitcnt lgkmcnt(0)
	s_delay_alu instid0(VALU_DEP_2) | instskip(NEXT) | instid1(VALU_DEP_1)
	v_mul_f64 v[10:11], v[218:219], v[212:213]
	v_fma_f64 v[10:11], v[216:217], v[8:9], -v[10:11]
	v_mul_f64 v[216:217], v[216:217], v[212:213]
	s_delay_alu instid0(VALU_DEP_2) | instskip(NEXT) | instid1(VALU_DEP_2)
	v_add_f64 v[4:5], v[4:5], -v[10:11]
	v_fma_f64 v[216:217], v[218:219], v[8:9], v[216:217]
	s_delay_alu instid0(VALU_DEP_1) | instskip(SKIP_3) | instid1(VALU_DEP_1)
	v_add_f64 v[6:7], v[6:7], -v[216:217]
	ds_load_2addr_b64 v[216:219], v214 offset0:112 offset1:113
	s_waitcnt lgkmcnt(0)
	v_mul_f64 v[10:11], v[218:219], v[212:213]
	v_fma_f64 v[10:11], v[216:217], v[8:9], -v[10:11]
	v_mul_f64 v[216:217], v[216:217], v[212:213]
	s_delay_alu instid0(VALU_DEP_2) | instskip(NEXT) | instid1(VALU_DEP_2)
	v_add_f64 v[0:1], v[0:1], -v[10:11]
	v_fma_f64 v[216:217], v[218:219], v[8:9], v[216:217]
	v_dual_mov_b32 v10, v212 :: v_dual_mov_b32 v11, v213
	s_delay_alu instid0(VALU_DEP_2)
	v_add_f64 v[2:3], v[2:3], -v[216:217]
.LBB113_496:
	s_or_b32 exec_lo, exec_lo, s3
	s_delay_alu instid0(SALU_CYCLE_1)
	s_mov_b32 s4, exec_lo
	s_waitcnt lgkmcnt(0)
	s_barrier
	buffer_gl0_inv
	v_cmpx_eq_u32_e32 55, v248
	s_cbranch_execz .LBB113_503
; %bb.497:
	ds_store_2addr_b64 v251, v[4:5], v[6:7] offset1:1
	ds_store_2addr_b64 v214, v[0:1], v[2:3] offset0:112 offset1:113
	ds_load_2addr_b64 v[216:219], v251 offset1:1
	s_waitcnt lgkmcnt(0)
	v_cmp_neq_f64_e32 vcc_lo, 0, v[216:217]
	v_cmp_neq_f64_e64 s3, 0, v[218:219]
	s_delay_alu instid0(VALU_DEP_1) | instskip(NEXT) | instid1(SALU_CYCLE_1)
	s_or_b32 s3, vcc_lo, s3
	s_and_b32 exec_lo, exec_lo, s3
	s_cbranch_execz .LBB113_503
; %bb.498:
	v_cmp_gt_f64_e32 vcc_lo, 0, v[216:217]
	v_xor_b32_e32 v208, 0x80000000, v217
	s_delay_alu instid0(VALU_DEP_1) | instskip(SKIP_3) | instid1(VALU_DEP_1)
	v_cndmask_b32_e32 v213, v217, v208, vcc_lo
	v_cndmask_b32_e32 v212, v216, v216, vcc_lo
	v_cmp_gt_f64_e32 vcc_lo, 0, v[218:219]
	v_xor_b32_e32 v208, 0x80000000, v219
	v_dual_cndmask_b32 v220, v218, v218 :: v_dual_cndmask_b32 v221, v219, v208
	s_delay_alu instid0(VALU_DEP_1) | instskip(SKIP_1) | instid1(SALU_CYCLE_1)
	v_cmp_ngt_f64_e32 vcc_lo, v[212:213], v[220:221]
                                        ; implicit-def: $vgpr212_vgpr213
	s_and_saveexec_b32 s3, vcc_lo
	s_xor_b32 s3, exec_lo, s3
                                        ; implicit-def: $vgpr220_vgpr221_vgpr222_vgpr223
	s_cbranch_execz .LBB113_500
; %bb.499:
	v_div_scale_f64 v[212:213], null, v[218:219], v[218:219], v[216:217]
	v_div_scale_f64 v[208:209], vcc_lo, v[216:217], v[218:219], v[216:217]
	s_delay_alu instid0(VALU_DEP_2) | instskip(SKIP_2) | instid1(VALU_DEP_1)
	v_rcp_f64_e32 v[220:221], v[212:213]
	s_waitcnt_depctr 0xfff
	v_fma_f64 v[222:223], -v[212:213], v[220:221], 1.0
	v_fma_f64 v[220:221], v[220:221], v[222:223], v[220:221]
	s_delay_alu instid0(VALU_DEP_1) | instskip(NEXT) | instid1(VALU_DEP_1)
	v_fma_f64 v[222:223], -v[212:213], v[220:221], 1.0
	v_fma_f64 v[210:211], v[220:221], v[222:223], v[220:221]
	s_delay_alu instid0(VALU_DEP_1) | instskip(NEXT) | instid1(VALU_DEP_1)
	v_mul_f64 v[220:221], v[208:209], v[210:211]
	v_fma_f64 v[208:209], -v[212:213], v[220:221], v[208:209]
	s_delay_alu instid0(VALU_DEP_1) | instskip(NEXT) | instid1(VALU_DEP_1)
	v_div_fmas_f64 v[208:209], v[208:209], v[210:211], v[220:221]
	v_div_fixup_f64 v[208:209], v[208:209], v[218:219], v[216:217]
	s_delay_alu instid0(VALU_DEP_1) | instskip(NEXT) | instid1(VALU_DEP_1)
	v_fma_f64 v[210:211], v[216:217], v[208:209], v[218:219]
	v_div_scale_f64 v[212:213], null, v[210:211], v[210:211], 1.0
	s_delay_alu instid0(VALU_DEP_1) | instskip(SKIP_2) | instid1(VALU_DEP_1)
	v_rcp_f64_e32 v[216:217], v[212:213]
	s_waitcnt_depctr 0xfff
	v_fma_f64 v[218:219], -v[212:213], v[216:217], 1.0
	v_fma_f64 v[216:217], v[216:217], v[218:219], v[216:217]
	s_delay_alu instid0(VALU_DEP_1) | instskip(NEXT) | instid1(VALU_DEP_1)
	v_fma_f64 v[218:219], -v[212:213], v[216:217], 1.0
	v_fma_f64 v[216:217], v[216:217], v[218:219], v[216:217]
	v_div_scale_f64 v[218:219], vcc_lo, 1.0, v[210:211], 1.0
	s_delay_alu instid0(VALU_DEP_1) | instskip(NEXT) | instid1(VALU_DEP_1)
	v_mul_f64 v[220:221], v[218:219], v[216:217]
	v_fma_f64 v[212:213], -v[212:213], v[220:221], v[218:219]
	s_delay_alu instid0(VALU_DEP_1) | instskip(NEXT) | instid1(VALU_DEP_1)
	v_div_fmas_f64 v[212:213], v[212:213], v[216:217], v[220:221]
                                        ; implicit-def: $vgpr216_vgpr217
	v_div_fixup_f64 v[222:223], v[212:213], v[210:211], 1.0
	s_delay_alu instid0(VALU_DEP_1)
	v_mul_f64 v[212:213], v[208:209], v[222:223]
	v_xor_b32_e32 v223, 0x80000000, v223
.LBB113_500:
	s_and_not1_saveexec_b32 s3, s3
	s_cbranch_execz .LBB113_502
; %bb.501:
	v_div_scale_f64 v[208:209], null, v[216:217], v[216:217], v[218:219]
	v_div_scale_f64 v[220:221], vcc_lo, v[218:219], v[216:217], v[218:219]
	s_delay_alu instid0(VALU_DEP_2) | instskip(SKIP_2) | instid1(VALU_DEP_1)
	v_rcp_f64_e32 v[210:211], v[208:209]
	s_waitcnt_depctr 0xfff
	v_fma_f64 v[212:213], -v[208:209], v[210:211], 1.0
	v_fma_f64 v[210:211], v[210:211], v[212:213], v[210:211]
	s_delay_alu instid0(VALU_DEP_1) | instskip(NEXT) | instid1(VALU_DEP_1)
	v_fma_f64 v[212:213], -v[208:209], v[210:211], 1.0
	v_fma_f64 v[210:211], v[210:211], v[212:213], v[210:211]
	s_delay_alu instid0(VALU_DEP_1) | instskip(NEXT) | instid1(VALU_DEP_1)
	v_mul_f64 v[212:213], v[220:221], v[210:211]
	v_fma_f64 v[208:209], -v[208:209], v[212:213], v[220:221]
	s_delay_alu instid0(VALU_DEP_1) | instskip(NEXT) | instid1(VALU_DEP_1)
	v_div_fmas_f64 v[208:209], v[208:209], v[210:211], v[212:213]
	v_div_fixup_f64 v[208:209], v[208:209], v[216:217], v[218:219]
	s_delay_alu instid0(VALU_DEP_1) | instskip(NEXT) | instid1(VALU_DEP_1)
	v_fma_f64 v[210:211], v[218:219], v[208:209], v[216:217]
	v_div_scale_f64 v[212:213], null, v[210:211], v[210:211], 1.0
	s_delay_alu instid0(VALU_DEP_1) | instskip(SKIP_2) | instid1(VALU_DEP_1)
	v_rcp_f64_e32 v[216:217], v[212:213]
	s_waitcnt_depctr 0xfff
	v_fma_f64 v[218:219], -v[212:213], v[216:217], 1.0
	v_fma_f64 v[216:217], v[216:217], v[218:219], v[216:217]
	s_delay_alu instid0(VALU_DEP_1) | instskip(NEXT) | instid1(VALU_DEP_1)
	v_fma_f64 v[218:219], -v[212:213], v[216:217], 1.0
	v_fma_f64 v[216:217], v[216:217], v[218:219], v[216:217]
	v_div_scale_f64 v[218:219], vcc_lo, 1.0, v[210:211], 1.0
	s_delay_alu instid0(VALU_DEP_1) | instskip(NEXT) | instid1(VALU_DEP_1)
	v_mul_f64 v[220:221], v[218:219], v[216:217]
	v_fma_f64 v[212:213], -v[212:213], v[220:221], v[218:219]
	s_delay_alu instid0(VALU_DEP_1) | instskip(NEXT) | instid1(VALU_DEP_1)
	v_div_fmas_f64 v[212:213], v[212:213], v[216:217], v[220:221]
	v_div_fixup_f64 v[212:213], v[212:213], v[210:211], 1.0
	s_delay_alu instid0(VALU_DEP_1)
	v_mul_f64 v[222:223], v[208:209], -v[212:213]
.LBB113_502:
	s_or_b32 exec_lo, exec_lo, s3
	ds_store_2addr_b64 v251, v[212:213], v[222:223] offset1:1
.LBB113_503:
	s_or_b32 exec_lo, exec_lo, s4
	s_waitcnt lgkmcnt(0)
	s_barrier
	buffer_gl0_inv
	ds_load_2addr_b64 v[220:223], v251 offset1:1
	s_mov_b32 s3, exec_lo
	v_cmpx_lt_u32_e32 55, v248
	s_cbranch_execz .LBB113_505
; %bb.504:
	s_waitcnt lgkmcnt(0)
	v_mul_f64 v[208:209], v[220:221], v[6:7]
	v_mul_f64 v[6:7], v[222:223], v[6:7]
	ds_load_2addr_b64 v[216:219], v214 offset0:112 offset1:113
	v_fma_f64 v[208:209], v[222:223], v[4:5], v[208:209]
	v_fma_f64 v[4:5], v[220:221], v[4:5], -v[6:7]
	s_waitcnt lgkmcnt(0)
	s_delay_alu instid0(VALU_DEP_2) | instskip(SKIP_1) | instid1(VALU_DEP_2)
	v_mul_f64 v[6:7], v[218:219], v[208:209]
	v_mul_f64 v[210:211], v[216:217], v[208:209]
	v_fma_f64 v[6:7], v[216:217], v[4:5], -v[6:7]
	s_delay_alu instid0(VALU_DEP_2) | instskip(NEXT) | instid1(VALU_DEP_2)
	v_fma_f64 v[210:211], v[218:219], v[4:5], v[210:211]
	v_add_f64 v[0:1], v[0:1], -v[6:7]
	s_delay_alu instid0(VALU_DEP_2)
	v_add_f64 v[2:3], v[2:3], -v[210:211]
	v_dual_mov_b32 v6, v208 :: v_dual_mov_b32 v7, v209
.LBB113_505:
	s_or_b32 exec_lo, exec_lo, s3
	s_delay_alu instid0(SALU_CYCLE_1)
	s_mov_b32 s4, exec_lo
	s_waitcnt lgkmcnt(0)
	s_barrier
	buffer_gl0_inv
	v_cmpx_eq_u32_e32 56, v248
	s_cbranch_execz .LBB113_512
; %bb.506:
	v_cmp_neq_f64_e32 vcc_lo, 0, v[0:1]
	v_cmp_neq_f64_e64 s3, 0, v[2:3]
	ds_store_2addr_b64 v251, v[0:1], v[2:3] offset1:1
	s_or_b32 s3, vcc_lo, s3
	s_delay_alu instid0(SALU_CYCLE_1)
	s_and_b32 exec_lo, exec_lo, s3
	s_cbranch_execz .LBB113_512
; %bb.507:
	v_cmp_gt_f64_e32 vcc_lo, 0, v[0:1]
	v_xor_b32_e32 v208, 0x80000000, v1
	v_xor_b32_e32 v210, 0x80000000, v3
	s_mov_b32 s3, exec_lo
                                        ; implicit-def: $vgpr212_vgpr213
	s_delay_alu instid0(VALU_DEP_2) | instskip(SKIP_4) | instid1(VALU_DEP_1)
	v_cndmask_b32_e32 v209, v1, v208, vcc_lo
	v_cndmask_b32_e32 v208, v0, v0, vcc_lo
	v_cmp_gt_f64_e32 vcc_lo, 0, v[2:3]
	v_cndmask_b32_e32 v211, v3, v210, vcc_lo
	v_cndmask_b32_e32 v210, v2, v2, vcc_lo
	v_cmpx_ngt_f64_e32 v[208:209], v[210:211]
	s_xor_b32 s3, exec_lo, s3
                                        ; implicit-def: $vgpr216_vgpr217_vgpr218_vgpr219
	s_cbranch_execz .LBB113_509
; %bb.508:
	v_div_scale_f64 v[208:209], null, v[2:3], v[2:3], v[0:1]
	v_div_scale_f64 v[216:217], vcc_lo, v[0:1], v[2:3], v[0:1]
	s_delay_alu instid0(VALU_DEP_2) | instskip(SKIP_2) | instid1(VALU_DEP_1)
	v_rcp_f64_e32 v[210:211], v[208:209]
	s_waitcnt_depctr 0xfff
	v_fma_f64 v[212:213], -v[208:209], v[210:211], 1.0
	v_fma_f64 v[210:211], v[210:211], v[212:213], v[210:211]
	s_delay_alu instid0(VALU_DEP_1) | instskip(NEXT) | instid1(VALU_DEP_1)
	v_fma_f64 v[212:213], -v[208:209], v[210:211], 1.0
	v_fma_f64 v[210:211], v[210:211], v[212:213], v[210:211]
	s_delay_alu instid0(VALU_DEP_1) | instskip(NEXT) | instid1(VALU_DEP_1)
	v_mul_f64 v[212:213], v[216:217], v[210:211]
	v_fma_f64 v[208:209], -v[208:209], v[212:213], v[216:217]
	s_delay_alu instid0(VALU_DEP_1) | instskip(NEXT) | instid1(VALU_DEP_1)
	v_div_fmas_f64 v[208:209], v[208:209], v[210:211], v[212:213]
	v_div_fixup_f64 v[208:209], v[208:209], v[2:3], v[0:1]
	s_delay_alu instid0(VALU_DEP_1) | instskip(NEXT) | instid1(VALU_DEP_1)
	v_fma_f64 v[210:211], v[0:1], v[208:209], v[2:3]
	v_div_scale_f64 v[212:213], null, v[210:211], v[210:211], 1.0
	s_delay_alu instid0(VALU_DEP_1) | instskip(SKIP_2) | instid1(VALU_DEP_1)
	v_rcp_f64_e32 v[216:217], v[212:213]
	s_waitcnt_depctr 0xfff
	v_fma_f64 v[218:219], -v[212:213], v[216:217], 1.0
	v_fma_f64 v[216:217], v[216:217], v[218:219], v[216:217]
	s_delay_alu instid0(VALU_DEP_1) | instskip(NEXT) | instid1(VALU_DEP_1)
	v_fma_f64 v[218:219], -v[212:213], v[216:217], 1.0
	v_fma_f64 v[216:217], v[216:217], v[218:219], v[216:217]
	v_div_scale_f64 v[218:219], vcc_lo, 1.0, v[210:211], 1.0
	s_delay_alu instid0(VALU_DEP_1) | instskip(NEXT) | instid1(VALU_DEP_1)
	v_mul_f64 v[214:215], v[218:219], v[216:217]
	v_fma_f64 v[212:213], -v[212:213], v[214:215], v[218:219]
	s_delay_alu instid0(VALU_DEP_1) | instskip(NEXT) | instid1(VALU_DEP_1)
	v_div_fmas_f64 v[212:213], v[212:213], v[216:217], v[214:215]
	v_div_fixup_f64 v[218:219], v[212:213], v[210:211], 1.0
	s_delay_alu instid0(VALU_DEP_1)
	v_mul_f64 v[212:213], v[208:209], v[218:219]
	v_xor_b32_e32 v219, 0x80000000, v219
.LBB113_509:
	s_and_not1_saveexec_b32 s3, s3
	s_cbranch_execz .LBB113_511
; %bb.510:
	v_div_scale_f64 v[208:209], null, v[0:1], v[0:1], v[2:3]
	v_div_scale_f64 v[214:215], vcc_lo, v[2:3], v[0:1], v[2:3]
	s_delay_alu instid0(VALU_DEP_2) | instskip(SKIP_2) | instid1(VALU_DEP_1)
	v_rcp_f64_e32 v[210:211], v[208:209]
	s_waitcnt_depctr 0xfff
	v_fma_f64 v[212:213], -v[208:209], v[210:211], 1.0
	v_fma_f64 v[210:211], v[210:211], v[212:213], v[210:211]
	s_delay_alu instid0(VALU_DEP_1) | instskip(NEXT) | instid1(VALU_DEP_1)
	v_fma_f64 v[212:213], -v[208:209], v[210:211], 1.0
	v_fma_f64 v[210:211], v[210:211], v[212:213], v[210:211]
	s_delay_alu instid0(VALU_DEP_1) | instskip(NEXT) | instid1(VALU_DEP_1)
	v_mul_f64 v[212:213], v[214:215], v[210:211]
	v_fma_f64 v[208:209], -v[208:209], v[212:213], v[214:215]
	s_delay_alu instid0(VALU_DEP_1) | instskip(NEXT) | instid1(VALU_DEP_1)
	v_div_fmas_f64 v[208:209], v[208:209], v[210:211], v[212:213]
	v_div_fixup_f64 v[208:209], v[208:209], v[0:1], v[2:3]
	s_delay_alu instid0(VALU_DEP_1) | instskip(NEXT) | instid1(VALU_DEP_1)
	v_fma_f64 v[210:211], v[2:3], v[208:209], v[0:1]
	v_div_scale_f64 v[212:213], null, v[210:211], v[210:211], 1.0
	s_delay_alu instid0(VALU_DEP_1) | instskip(SKIP_2) | instid1(VALU_DEP_1)
	v_rcp_f64_e32 v[214:215], v[212:213]
	s_waitcnt_depctr 0xfff
	v_fma_f64 v[216:217], -v[212:213], v[214:215], 1.0
	v_fma_f64 v[214:215], v[214:215], v[216:217], v[214:215]
	s_delay_alu instid0(VALU_DEP_1) | instskip(NEXT) | instid1(VALU_DEP_1)
	v_fma_f64 v[216:217], -v[212:213], v[214:215], 1.0
	v_fma_f64 v[214:215], v[214:215], v[216:217], v[214:215]
	v_div_scale_f64 v[216:217], vcc_lo, 1.0, v[210:211], 1.0
	s_delay_alu instid0(VALU_DEP_1) | instskip(NEXT) | instid1(VALU_DEP_1)
	v_mul_f64 v[218:219], v[216:217], v[214:215]
	v_fma_f64 v[212:213], -v[212:213], v[218:219], v[216:217]
	s_delay_alu instid0(VALU_DEP_1) | instskip(NEXT) | instid1(VALU_DEP_1)
	v_div_fmas_f64 v[212:213], v[212:213], v[214:215], v[218:219]
	v_div_fixup_f64 v[212:213], v[212:213], v[210:211], 1.0
	s_delay_alu instid0(VALU_DEP_1)
	v_mul_f64 v[218:219], v[208:209], -v[212:213]
.LBB113_511:
	s_or_b32 exec_lo, exec_lo, s3
	ds_store_2addr_b64 v251, v[212:213], v[218:219] offset1:1
.LBB113_512:
	s_or_b32 exec_lo, exec_lo, s4
	s_waitcnt lgkmcnt(0)
	s_barrier
	buffer_gl0_inv
	ds_load_2addr_b64 v[216:219], v251 offset1:1
	s_mov_b32 s3, exec_lo
	v_cmpx_lt_u32_e32 56, v248
	s_cbranch_execz .LBB113_514
; %bb.513:
	s_waitcnt lgkmcnt(0)
	v_mul_f64 v[208:209], v[218:219], v[2:3]
	v_mul_f64 v[2:3], v[216:217], v[2:3]
	s_delay_alu instid0(VALU_DEP_2) | instskip(NEXT) | instid1(VALU_DEP_2)
	v_fma_f64 v[208:209], v[216:217], v[0:1], -v[208:209]
	v_fma_f64 v[2:3], v[218:219], v[0:1], v[2:3]
	s_delay_alu instid0(VALU_DEP_2)
	v_dual_mov_b32 v0, v208 :: v_dual_mov_b32 v1, v209
.LBB113_514:
	s_or_b32 exec_lo, exec_lo, s3
	s_waitcnt lgkmcnt(0)
	s_barrier
	buffer_gl0_inv
	s_and_saveexec_b32 s12, s2
	s_cbranch_execz .LBB113_517
; %bb.515:
	s_clause 0x1
	scratch_load_b128 v[208:211], off, off offset:528
	scratch_load_b128 v[248:251], off, off offset:1024
	s_waitcnt vmcnt(1)
	v_cmp_eq_f64_e32 vcc_lo, 0, v[208:209]
	v_cmp_eq_f64_e64 s2, 0, v[210:211]
	scratch_load_b128 v[208:211], off, off offset:544 ; 16-byte Folded Reload
	s_and_b32 s2, vcc_lo, s2
	s_waitcnt vmcnt(0)
	v_cmp_neq_f64_e64 s3, 0, v[208:209]
	v_cmp_neq_f64_e64 s4, 0, v[210:211]
	scratch_load_b128 v[208:211], off, off offset:560 ; 16-byte Folded Reload
	s_or_b32 s3, s3, s4
	s_delay_alu instid0(SALU_CYCLE_1)
	s_or_b32 vcc_lo, s3, s2
	s_waitcnt vmcnt(0)
	v_cmp_eq_f64_e64 s5, 0, v[208:209]
	v_cmp_eq_f64_e64 s6, 0, v[210:211]
	scratch_load_b128 v[208:211], off, off offset:576 ; 16-byte Folded Reload
	s_and_b32 s4, s5, s6
	s_waitcnt vmcnt(0)
	v_cmp_eq_f64_e64 s7, 0, v[208:209]
	v_cmp_eq_f64_e64 s8, 0, v[210:211]
	scratch_load_b128 v[208:211], off, off offset:592 ; 16-byte Folded Reload
	s_and_b32 s6, s7, s8
	s_waitcnt vmcnt(0)
	v_cmp_eq_f64_e64 s9, 0, v[208:209]
	v_cmp_eq_f64_e64 s10, 0, v[210:211]
	scratch_load_b128 v[209:212], off, off offset:608 ; 16-byte Folded Reload
	v_cndmask_b32_e64 v208, 0, 1, s2
	s_delay_alu instid0(VALU_DEP_1) | instskip(NEXT) | instid1(VALU_DEP_1)
	v_cndmask_b32_e32 v208, 2, v208, vcc_lo
	v_cmp_eq_u32_e64 s3, 0, v208
	s_delay_alu instid0(VALU_DEP_1) | instskip(NEXT) | instid1(SALU_CYCLE_1)
	s_and_b32 s3, s4, s3
	v_cndmask_b32_e64 v208, v208, 3, s3
	s_delay_alu instid0(VALU_DEP_1) | instskip(NEXT) | instid1(VALU_DEP_1)
	v_cmp_eq_u32_e64 s5, 0, v208
	s_and_b32 s5, s6, s5
	s_delay_alu instid0(SALU_CYCLE_1) | instskip(NEXT) | instid1(VALU_DEP_1)
	v_cndmask_b32_e64 v208, v208, 4, s5
	v_cmp_eq_u32_e64 s7, 0, v208
	s_and_b32 s8, s9, s10
	s_delay_alu instid0(VALU_DEP_1) | instid1(SALU_CYCLE_1)
	s_and_b32 s7, s8, s7
	s_delay_alu instid0(SALU_CYCLE_1) | instskip(NEXT) | instid1(VALU_DEP_1)
	v_cndmask_b32_e64 v208, v208, 5, s7
	v_cmp_eq_u32_e64 s9, 0, v208
	s_waitcnt vmcnt(0)
	v_cmp_eq_f64_e32 vcc_lo, 0, v[209:210]
	v_cmp_eq_f64_e64 s2, 0, v[211:212]
	scratch_load_b128 v[209:212], off, off offset:624 ; 16-byte Folded Reload
	s_and_b32 s2, vcc_lo, s2
	s_delay_alu instid0(SALU_CYCLE_1) | instskip(NEXT) | instid1(SALU_CYCLE_1)
	s_and_b32 s2, s2, s9
	v_cndmask_b32_e64 v208, v208, 6, s2
	s_delay_alu instid0(VALU_DEP_1)
	v_cmp_eq_u32_e64 s9, 0, v208
	s_waitcnt vmcnt(0)
	v_cmp_eq_f64_e64 s3, 0, v[209:210]
	v_cmp_eq_f64_e64 s4, 0, v[211:212]
	scratch_load_b128 v[209:212], off, off offset:640 ; 16-byte Folded Reload
	s_and_b32 s3, s3, s4
	s_delay_alu instid0(SALU_CYCLE_1) | instskip(NEXT) | instid1(SALU_CYCLE_1)
	s_and_b32 s3, s3, s9
	v_cndmask_b32_e64 v208, v208, 7, s3
	s_delay_alu instid0(VALU_DEP_1)
	v_cmp_eq_u32_e64 s9, 0, v208
	s_waitcnt vmcnt(0)
	v_cmp_eq_f64_e64 s5, 0, v[209:210]
	v_cmp_eq_f64_e64 s6, 0, v[211:212]
	scratch_load_b128 v[209:212], off, off offset:656 ; 16-byte Folded Reload
	s_and_b32 s5, s5, s6
	s_delay_alu instid0(SALU_CYCLE_1) | instskip(NEXT) | instid1(SALU_CYCLE_1)
	s_and_b32 s5, s5, s9
	v_cndmask_b32_e64 v208, v208, 8, s5
	s_delay_alu instid0(VALU_DEP_1)
	v_cmp_eq_u32_e64 s9, 0, v208
	s_waitcnt vmcnt(0)
	v_cmp_eq_f64_e64 s7, 0, v[209:210]
	v_cmp_eq_f64_e64 s8, 0, v[211:212]
	scratch_load_b128 v[209:212], off, off offset:672 ; 16-byte Folded Reload
	s_and_b32 s7, s7, s8
	s_delay_alu instid0(SALU_CYCLE_1) | instskip(NEXT) | instid1(SALU_CYCLE_1)
	s_and_b32 s7, s7, s9
	v_cndmask_b32_e64 v208, v208, 9, s7
	s_delay_alu instid0(VALU_DEP_1)
	v_cmp_eq_u32_e64 s9, 0, v208
	s_waitcnt vmcnt(0)
	v_cmp_eq_f64_e32 vcc_lo, 0, v[209:210]
	v_cmp_eq_f64_e64 s2, 0, v[211:212]
	scratch_load_b128 v[209:212], off, off offset:688 ; 16-byte Folded Reload
	s_and_b32 s2, vcc_lo, s2
	s_delay_alu instid0(SALU_CYCLE_1) | instskip(NEXT) | instid1(SALU_CYCLE_1)
	s_and_b32 s2, s2, s9
	v_cndmask_b32_e64 v208, v208, 10, s2
	s_delay_alu instid0(VALU_DEP_1)
	v_cmp_eq_u32_e64 s9, 0, v208
	s_waitcnt vmcnt(0)
	v_cmp_eq_f64_e64 s3, 0, v[209:210]
	v_cmp_eq_f64_e64 s4, 0, v[211:212]
	scratch_load_b128 v[209:212], off, off offset:704 ; 16-byte Folded Reload
	s_and_b32 s3, s3, s4
	s_delay_alu instid0(SALU_CYCLE_1) | instskip(NEXT) | instid1(SALU_CYCLE_1)
	s_and_b32 s3, s3, s9
	v_cndmask_b32_e64 v208, v208, 11, s3
	s_delay_alu instid0(VALU_DEP_1)
	v_cmp_eq_u32_e64 s9, 0, v208
	s_waitcnt vmcnt(0)
	v_cmp_eq_f64_e64 s5, 0, v[209:210]
	v_cmp_eq_f64_e64 s6, 0, v[211:212]
	scratch_load_b128 v[209:212], off, off offset:720 ; 16-byte Folded Reload
	s_and_b32 s5, s5, s6
	s_delay_alu instid0(SALU_CYCLE_1) | instskip(NEXT) | instid1(SALU_CYCLE_1)
	s_and_b32 s5, s5, s9
	v_cndmask_b32_e64 v208, v208, 12, s5
	s_delay_alu instid0(VALU_DEP_1)
	v_cmp_eq_u32_e64 s9, 0, v208
	s_waitcnt vmcnt(0)
	v_cmp_eq_f64_e64 s7, 0, v[209:210]
	v_cmp_eq_f64_e64 s8, 0, v[211:212]
	scratch_load_b128 v[209:212], off, off offset:736 ; 16-byte Folded Reload
	s_and_b32 s7, s7, s8
	s_delay_alu instid0(SALU_CYCLE_1) | instskip(NEXT) | instid1(SALU_CYCLE_1)
	s_and_b32 s7, s7, s9
	v_cndmask_b32_e64 v208, v208, 13, s7
	s_delay_alu instid0(VALU_DEP_1)
	;; [unrolled: 40-line block ×4, first 2 shown]
	v_cmp_eq_u32_e64 s9, 0, v208
	s_waitcnt vmcnt(0)
	v_cmp_eq_f64_e32 vcc_lo, 0, v[209:210]
	v_cmp_eq_f64_e64 s2, 0, v[211:212]
	scratch_load_b128 v[209:212], off, off offset:880 ; 16-byte Folded Reload
	s_and_b32 s2, vcc_lo, s2
	s_delay_alu instid0(SALU_CYCLE_1) | instskip(NEXT) | instid1(SALU_CYCLE_1)
	s_and_b32 s2, s2, s9
	v_cndmask_b32_e64 v208, v208, 22, s2
	s_delay_alu instid0(VALU_DEP_1)
	v_cmp_eq_u32_e32 vcc_lo, 0, v208
	s_waitcnt vmcnt(0)
	v_cmp_eq_f64_e64 s3, 0, v[209:210]
	v_cmp_eq_f64_e64 s4, 0, v[211:212]
	scratch_load_b128 v[209:212], off, off offset:896 ; 16-byte Folded Reload
	s_and_b32 s2, s3, s4
	s_delay_alu instid0(SALU_CYCLE_1) | instskip(NEXT) | instid1(SALU_CYCLE_1)
	s_and_b32 s2, s2, vcc_lo
	v_cndmask_b32_e64 v208, v208, 23, s2
	s_delay_alu instid0(VALU_DEP_1)
	v_cmp_eq_u32_e32 vcc_lo, 0, v208
	s_waitcnt vmcnt(0)
	v_cmp_eq_f64_e64 s5, 0, v[209:210]
	v_cmp_eq_f64_e64 s6, 0, v[211:212]
	scratch_load_b128 v[209:212], off, off offset:912 ; 16-byte Folded Reload
	s_and_b32 s2, s5, s6
	s_delay_alu instid0(SALU_CYCLE_1) | instskip(NEXT) | instid1(SALU_CYCLE_1)
	s_and_b32 s2, s2, vcc_lo
	;; [unrolled: 10-line block ×3, first 2 shown]
	v_cndmask_b32_e64 v208, v208, 25, s2
	s_delay_alu instid0(VALU_DEP_1)
	v_cmp_eq_u32_e64 s6, 0, v208
	s_waitcnt vmcnt(0)
	v_cmp_eq_f64_e64 s9, 0, v[209:210]
	v_cmp_eq_f64_e64 s10, 0, v[211:212]
	scratch_load_b128 v[209:212], off, off offset:944 ; 16-byte Folded Reload
	s_and_b32 s7, s9, s10
	s_load_b64 s[8:9], s[0:1], 0x28
	s_and_b32 s0, s7, s6
	s_delay_alu instid0(SALU_CYCLE_1) | instskip(NEXT) | instid1(VALU_DEP_1)
	v_cndmask_b32_e64 v208, v208, 26, s0
	v_cmp_eq_u32_e64 s6, 0, v208
	s_waitcnt vmcnt(0)
	v_cmp_eq_f64_e64 s3, 0, v[209:210]
	v_cmp_eq_f64_e64 s4, 0, v[211:212]
	scratch_load_b128 v[209:212], off, off offset:960 ; 16-byte Folded Reload
	s_and_b32 s3, s3, s4
	s_delay_alu instid0(SALU_CYCLE_1)
	s_and_b32 s3, s3, s6
	s_waitcnt vmcnt(0)
	v_cmp_eq_f64_e64 s11, 0, v[209:210]
	v_cmp_eq_f64_e64 s5, 0, v[211:212]
	scratch_load_b128 v[209:212], off, off offset:976 ; 16-byte Folded Reload
	s_and_b32 s7, s11, s5
	s_waitcnt vmcnt(0)
	v_cmp_eq_f64_e32 vcc_lo, 0, v[209:210]
	v_cmp_eq_f64_e64 s2, 0, v[211:212]
	scratch_load_b128 v[209:212], off, off offset:992 ; 16-byte Folded Reload
	s_and_b32 s2, vcc_lo, s2
	s_waitcnt vmcnt(0)
	v_cmp_eq_f64_e64 s0, 0, v[209:210]
	v_cndmask_b32_e64 v210, v208, 27, s3
	scratch_load_b64 v[208:209], off, off offset:1304 ; 8-byte Folded Reload
	v_cmp_eq_f64_e64 s1, 0, v[211:212]
	scratch_load_b128 v[211:214], off, off offset:1008 ; 16-byte Folded Reload
	v_cmp_eq_u32_e64 s5, 0, v210
	s_delay_alu instid0(VALU_DEP_1)
	s_and_b32 s5, s7, s5
	s_and_b32 s0, s0, s1
	s_waitcnt vmcnt(1)
	v_lshlrev_b64 v[208:209], 2, v[208:209]
	s_waitcnt vmcnt(0)
	v_cmp_eq_f64_e64 s3, 0, v[211:212]
	v_cmp_eq_f64_e64 s4, 0, v[213:214]
	s_waitcnt lgkmcnt(0)
	s_delay_alu instid0(VALU_DEP_3) | instskip(NEXT) | instid1(VALU_DEP_1)
	v_add_co_u32 v212, s6, s8, v208
	v_add_co_ci_u32_e64 v213, s6, s9, v209, s6
	v_cndmask_b32_e64 v208, v210, 28, s5
	v_cmp_eq_f64_e64 s5, 0, v[248:249]
	v_cmp_eq_f64_e64 s6, 0, v[250:251]
	scratch_load_b128 v[248:251], off, off offset:1040 ; 16-byte Folded Reload
	global_load_b32 v209, v[212:213], off
	v_cmp_eq_u32_e64 s7, 0, v208
	s_delay_alu instid0(VALU_DEP_1) | instskip(NEXT) | instid1(SALU_CYCLE_1)
	s_and_b32 s2, s2, s7
	v_cndmask_b32_e64 v208, v208, 29, s2
	s_delay_alu instid0(VALU_DEP_1) | instskip(NEXT) | instid1(VALU_DEP_1)
	v_cmp_eq_u32_e64 s7, 0, v208
	s_and_b32 s0, s0, s7
	s_delay_alu instid0(SALU_CYCLE_1) | instskip(NEXT) | instid1(VALU_DEP_1)
	v_cndmask_b32_e64 v208, v208, 30, s0
	v_cmp_eq_u32_e64 s7, 0, v208
	s_and_b32 s3, s3, s4
	s_delay_alu instid0(VALU_DEP_1) | instid1(SALU_CYCLE_1)
	s_and_b32 s3, s3, s7
	s_delay_alu instid0(SALU_CYCLE_1) | instskip(SKIP_1) | instid1(VALU_DEP_1)
	v_cndmask_b32_e64 v208, v208, 31, s3
	s_and_b32 s5, s5, s6
	v_cmp_eq_u32_e64 s7, 0, v208
	s_delay_alu instid0(VALU_DEP_1) | instskip(NEXT) | instid1(SALU_CYCLE_1)
	s_and_b32 s5, s5, s7
	v_cndmask_b32_e64 v208, v208, 32, s5
	s_delay_alu instid0(VALU_DEP_1)
	v_cmp_eq_u32_e64 s7, 0, v208
	s_waitcnt vmcnt(1)
	v_cmp_eq_f64_e32 vcc_lo, 0, v[248:249]
	v_cmp_eq_f64_e64 s2, 0, v[250:251]
	scratch_load_b128 v[248:251], off, off offset:1064 ; 16-byte Folded Reload
	s_and_b32 s2, vcc_lo, s2
	s_delay_alu instid0(SALU_CYCLE_1) | instskip(NEXT) | instid1(SALU_CYCLE_1)
	s_and_b32 s2, s2, s7
	v_cndmask_b32_e64 v208, v208, 33, s2
	s_delay_alu instid0(VALU_DEP_1)
	v_cmp_eq_u32_e64 s7, 0, v208
	s_waitcnt vmcnt(0)
	v_cmp_eq_f64_e64 s0, 0, v[248:249]
	v_cmp_eq_f64_e64 s1, 0, v[250:251]
	scratch_load_b128 v[248:251], off, off offset:1080 ; 16-byte Folded Reload
	s_and_b32 s0, s0, s1
	s_delay_alu instid0(SALU_CYCLE_1) | instskip(NEXT) | instid1(SALU_CYCLE_1)
	s_and_b32 s0, s0, s7
	v_cndmask_b32_e64 v208, v208, 34, s0
	s_delay_alu instid0(VALU_DEP_1)
	v_cmp_eq_u32_e64 s7, 0, v208
	s_waitcnt vmcnt(0)
	v_cmp_eq_f64_e64 s3, 0, v[248:249]
	v_cmp_eq_f64_e64 s4, 0, v[250:251]
	scratch_load_b128 v[248:251], off, off offset:1096 ; 16-byte Folded Reload
	s_and_b32 s3, s3, s4
	s_delay_alu instid0(SALU_CYCLE_1) | instskip(NEXT) | instid1(SALU_CYCLE_1)
	s_and_b32 s3, s3, s7
	v_cndmask_b32_e64 v208, v208, 35, s3
	s_delay_alu instid0(VALU_DEP_1)
	v_cmp_eq_u32_e64 s7, 0, v208
	s_waitcnt vmcnt(0)
	v_cmp_eq_f64_e64 s5, 0, v[248:249]
	v_cmp_eq_f64_e64 s6, 0, v[250:251]
	scratch_load_b128 v[248:251], off, off offset:1112 ; 16-byte Folded Reload
	s_and_b32 s5, s5, s6
	s_delay_alu instid0(SALU_CYCLE_1) | instskip(NEXT) | instid1(SALU_CYCLE_1)
	s_and_b32 s5, s5, s7
	v_cndmask_b32_e64 v208, v208, 36, s5
	s_delay_alu instid0(VALU_DEP_1)
	v_cmp_eq_u32_e64 s7, 0, v208
	s_waitcnt vmcnt(0)
	v_cmp_eq_f64_e32 vcc_lo, 0, v[248:249]
	v_cmp_eq_f64_e64 s2, 0, v[250:251]
	scratch_load_b128 v[248:251], off, off offset:1128 ; 16-byte Folded Reload
	s_and_b32 s2, vcc_lo, s2
	s_delay_alu instid0(SALU_CYCLE_1) | instskip(NEXT) | instid1(SALU_CYCLE_1)
	s_and_b32 s2, s2, s7
	v_cndmask_b32_e64 v208, v208, 37, s2
	s_delay_alu instid0(VALU_DEP_1)
	v_cmp_eq_u32_e64 s7, 0, v208
	s_waitcnt vmcnt(0)
	v_cmp_eq_f64_e64 s0, 0, v[248:249]
	v_cmp_eq_f64_e64 s1, 0, v[250:251]
	scratch_load_b128 v[248:251], off, off offset:1144 ; 16-byte Folded Reload
	s_and_b32 s0, s0, s1
	s_delay_alu instid0(SALU_CYCLE_1) | instskip(NEXT) | instid1(SALU_CYCLE_1)
	s_and_b32 s0, s0, s7
	v_cndmask_b32_e64 v208, v208, 38, s0
	s_delay_alu instid0(VALU_DEP_1)
	v_cmp_eq_u32_e64 s7, 0, v208
	s_waitcnt vmcnt(0)
	v_cmp_eq_f64_e64 s3, 0, v[248:249]
	v_cmp_eq_f64_e64 s4, 0, v[250:251]
	scratch_load_b128 v[248:251], off, off offset:1160 ; 16-byte Folded Reload
	s_and_b32 s3, s3, s4
	s_delay_alu instid0(SALU_CYCLE_1) | instskip(NEXT) | instid1(SALU_CYCLE_1)
	s_and_b32 s3, s3, s7
	v_cndmask_b32_e64 v208, v208, 39, s3
	s_delay_alu instid0(VALU_DEP_1)
	v_cmp_eq_u32_e64 s7, 0, v208
	s_waitcnt vmcnt(0)
	v_cmp_eq_f64_e64 s5, 0, v[248:249]
	v_cmp_eq_f64_e64 s6, 0, v[250:251]
	scratch_load_b128 v[248:251], off, off offset:1176 ; 16-byte Folded Reload
	s_and_b32 s5, s5, s6
	s_delay_alu instid0(SALU_CYCLE_1) | instskip(NEXT) | instid1(SALU_CYCLE_1)
	;; [unrolled: 40-line block ×3, first 2 shown]
	s_and_b32 s5, s5, s7
	v_cndmask_b32_e64 v208, v208, 44, s5
	s_delay_alu instid0(VALU_DEP_1)
	v_cmp_eq_u32_e64 s7, 0, v208
	s_waitcnt vmcnt(0)
	v_cmp_eq_f64_e32 vcc_lo, 0, v[248:249]
	v_cmp_eq_f64_e64 s2, 0, v[250:251]
	scratch_load_b128 v[248:251], off, off offset:1256 ; 16-byte Folded Reload
	s_and_b32 s2, vcc_lo, s2
	v_cmp_eq_f64_e32 vcc_lo, 0, v[252:253]
	s_and_b32 s2, s2, s7
	s_delay_alu instid0(SALU_CYCLE_1) | instskip(SKIP_1) | instid1(VALU_DEP_2)
	v_cndmask_b32_e64 v208, v208, 45, s2
	v_cmp_eq_f64_e64 s2, 0, v[254:255]
	v_cmp_eq_u32_e64 s7, 0, v208
	s_delay_alu instid0(VALU_DEP_2)
	s_and_b32 s2, vcc_lo, s2
	v_cmp_eq_f64_e32 vcc_lo, 0, v[240:241]
	s_waitcnt vmcnt(0)
	v_cmp_eq_f64_e64 s0, 0, v[248:249]
	v_cmp_eq_f64_e64 s1, 0, v[250:251]
	scratch_load_b128 v[248:251], off, off offset:1272 ; 16-byte Folded Reload
	s_and_b32 s0, s0, s1
	v_cmp_eq_f64_e64 s1, 0, v[230:231]
	s_and_b32 s0, s0, s7
	s_delay_alu instid0(SALU_CYCLE_1) | instskip(SKIP_1) | instid1(VALU_DEP_2)
	v_cndmask_b32_e64 v208, v208, 46, s0
	v_cmp_eq_f64_e64 s0, 0, v[228:229]
	v_cmp_eq_u32_e64 s7, 0, v208
	s_delay_alu instid0(VALU_DEP_2)
	s_and_b32 s0, s0, s1
	v_cmp_eq_f64_e64 s1, 0, v[246:247]
	s_waitcnt vmcnt(0)
	v_cmp_eq_f64_e64 s3, 0, v[248:249]
	v_cmp_eq_f64_e64 s4, 0, v[250:251]
	scratch_load_b128 v[248:251], off, off offset:1288 ; 16-byte Folded Reload
	s_and_b32 s3, s3, s4
	v_cmp_eq_f64_e64 s4, 0, v[234:235]
	s_and_b32 s3, s3, s7
	s_delay_alu instid0(SALU_CYCLE_1) | instskip(SKIP_1) | instid1(VALU_DEP_2)
	v_cndmask_b32_e64 v208, v208, 47, s3
	v_cmp_eq_f64_e64 s3, 0, v[232:233]
	v_cmp_eq_u32_e64 s7, 0, v208
	s_delay_alu instid0(VALU_DEP_2) | instskip(SKIP_4) | instid1(VALU_DEP_1)
	s_and_b32 s3, s3, s4
	v_cmp_eq_f64_e64 s4, 0, v[226:227]
	s_waitcnt vmcnt(0)
	v_cmp_eq_f64_e64 s5, 0, v[248:249]
	v_cmp_eq_f64_e64 s6, 0, v[250:251]
	s_and_b32 s5, s5, s6
	v_cmp_eq_f64_e64 s6, 0, v[238:239]
	s_and_b32 s5, s5, s7
	s_delay_alu instid0(SALU_CYCLE_1) | instskip(SKIP_1) | instid1(VALU_DEP_2)
	v_cndmask_b32_e64 v208, v208, 48, s5
	v_cmp_eq_f64_e64 s5, 0, v[236:237]
	v_cmp_eq_u32_e64 s7, 0, v208
	s_delay_alu instid0(VALU_DEP_1) | instskip(NEXT) | instid1(SALU_CYCLE_1)
	s_and_b32 s2, s2, s7
	v_cndmask_b32_e64 v208, v208, 49, s2
	v_cmp_eq_f64_e64 s2, 0, v[242:243]
	s_delay_alu instid0(VALU_DEP_2) | instskip(NEXT) | instid1(VALU_DEP_1)
	v_cmp_eq_u32_e64 s7, 0, v208
	s_and_b32 s0, s0, s7
	s_delay_alu instid0(SALU_CYCLE_1) | instskip(SKIP_1) | instid1(VALU_DEP_2)
	v_cndmask_b32_e64 v208, v208, 50, s0
	v_cmp_eq_f64_e64 s0, 0, v[244:245]
	v_cmp_eq_u32_e64 s7, 0, v208
	s_delay_alu instid0(VALU_DEP_1) | instskip(NEXT) | instid1(SALU_CYCLE_1)
	s_and_b32 s3, s3, s7
	v_cndmask_b32_e64 v208, v208, 51, s3
	v_cmp_eq_f64_e64 s3, 0, v[224:225]
	s_and_b32 s5, s5, s6
	v_cmp_eq_f64_e64 s6, 0, v[222:223]
	s_delay_alu instid0(VALU_DEP_3) | instskip(NEXT) | instid1(VALU_DEP_1)
	v_cmp_eq_u32_e64 s7, 0, v208
	s_and_b32 s5, s5, s7
	s_delay_alu instid0(SALU_CYCLE_1) | instskip(SKIP_3) | instid1(VALU_DEP_3)
	v_cndmask_b32_e64 v208, v208, 52, s5
	v_cmp_eq_f64_e64 s5, 0, v[220:221]
	s_and_b32 s2, vcc_lo, s2
	v_cmp_eq_f64_e32 vcc_lo, 0, v[216:217]
	v_cmp_eq_u32_e64 s7, 0, v208
	s_delay_alu instid0(VALU_DEP_1) | instskip(NEXT) | instid1(SALU_CYCLE_1)
	s_and_b32 s2, s2, s7
	v_cndmask_b32_e64 v208, v208, 53, s2
	v_cmp_eq_f64_e64 s2, 0, v[218:219]
	s_and_b32 s0, s0, s1
	s_delay_alu instid0(VALU_DEP_2) | instskip(NEXT) | instid1(VALU_DEP_1)
	v_cmp_eq_u32_e64 s7, 0, v208
	s_and_b32 s0, s0, s7
	s_delay_alu instid0(SALU_CYCLE_1) | instskip(SKIP_1) | instid1(VALU_DEP_1)
	v_cndmask_b32_e64 v208, v208, 54, s0
	s_and_b32 s1, s3, s4
	v_cmp_eq_u32_e64 s0, 0, v208
	s_delay_alu instid0(VALU_DEP_1) | instskip(NEXT) | instid1(SALU_CYCLE_1)
	s_and_b32 s0, s1, s0
	v_cndmask_b32_e64 v208, v208, 55, s0
	s_and_b32 s1, s5, s6
	s_delay_alu instid0(VALU_DEP_1) | instskip(NEXT) | instid1(VALU_DEP_1)
	v_cmp_eq_u32_e64 s0, 0, v208
	s_and_b32 s0, s1, s0
	s_delay_alu instid0(SALU_CYCLE_1) | instskip(SKIP_2) | instid1(VALU_DEP_2)
	v_cndmask_b32_e64 v208, v208, 56, s0
	s_and_b32 s1, vcc_lo, s2
	v_cmp_eq_u32_e32 vcc_lo, 0, v209
	v_cmp_eq_u32_e64 s0, 0, v208
	s_delay_alu instid0(VALU_DEP_1) | instskip(NEXT) | instid1(SALU_CYCLE_1)
	s_and_b32 s0, s1, s0
	v_cndmask_b32_e64 v214, v208, 57, s0
	s_delay_alu instid0(VALU_DEP_1) | instskip(NEXT) | instid1(VALU_DEP_1)
	v_cmp_ne_u32_e64 s0, 0, v214
	s_and_b32 s0, vcc_lo, s0
	s_delay_alu instid0(SALU_CYCLE_1)
	s_and_b32 exec_lo, exec_lo, s0
	s_cbranch_execz .LBB113_517
; %bb.516:
	v_add_nc_u32_e32 v208, s13, v214
	global_store_b32 v[212:213], v208, off
.LBB113_517:
	s_or_b32 exec_lo, exec_lo, s12
	s_clause 0x1
	scratch_load_b64 v[208:209], off, off offset:512
	scratch_load_b128 v[210:213], off, off offset:64
	s_waitcnt vmcnt(0)
	global_store_b128 v[208:209], v[210:213], off
	s_clause 0x1
	scratch_load_b64 v[208:209], off, off offset:520
	scratch_load_b128 v[210:213], off, off offset:48
	s_waitcnt vmcnt(0)
	global_store_b128 v[208:209], v[210:213], off
	;; [unrolled: 5-line block ×4, first 2 shown]
	s_clause 0x1
	scratch_load_b64 v[208:209], off, off offset:488
	scratch_load_b128 v[210:213], off, off
	s_waitcnt vmcnt(0)
	global_store_b128 v[208:209], v[210:213], off
	scratch_load_b64 v[208:209], off, off offset:480 ; 8-byte Folded Reload
	s_waitcnt vmcnt(0)
	global_store_b128 v[208:209], v[204:207], off
	scratch_load_b64 v[204:205], off, off offset:472 ; 8-byte Folded Reload
	;; [unrolled: 3-line block ×52, first 2 shown]
	s_waitcnt vmcnt(0)
	global_store_b128 v[4:5], v[0:3], off
.LBB113_518:
	s_nop 0
	s_sendmsg sendmsg(MSG_DEALLOC_VGPRS)
	s_endpgm
	.section	.rodata,"a",@progbits
	.p2align	6, 0x0
	.amdhsa_kernel _ZN9rocsolver6v33100L23getf2_npvt_small_kernelILi57E19rocblas_complex_numIdEiiPKPS3_EEvT1_T3_lS7_lPT2_S7_S7_
		.amdhsa_group_segment_fixed_size 0
		.amdhsa_private_segment_fixed_size 1316
		.amdhsa_kernarg_size 312
		.amdhsa_user_sgpr_count 14
		.amdhsa_user_sgpr_dispatch_ptr 0
		.amdhsa_user_sgpr_queue_ptr 0
		.amdhsa_user_sgpr_kernarg_segment_ptr 1
		.amdhsa_user_sgpr_dispatch_id 0
		.amdhsa_user_sgpr_private_segment_size 0
		.amdhsa_wavefront_size32 1
		.amdhsa_uses_dynamic_stack 0
		.amdhsa_enable_private_segment 1
		.amdhsa_system_sgpr_workgroup_id_x 1
		.amdhsa_system_sgpr_workgroup_id_y 1
		.amdhsa_system_sgpr_workgroup_id_z 0
		.amdhsa_system_sgpr_workgroup_info 0
		.amdhsa_system_vgpr_workitem_id 1
		.amdhsa_next_free_vgpr 256
		.amdhsa_next_free_sgpr 18
		.amdhsa_reserve_vcc 1
		.amdhsa_float_round_mode_32 0
		.amdhsa_float_round_mode_16_64 0
		.amdhsa_float_denorm_mode_32 3
		.amdhsa_float_denorm_mode_16_64 3
		.amdhsa_dx10_clamp 1
		.amdhsa_ieee_mode 1
		.amdhsa_fp16_overflow 0
		.amdhsa_workgroup_processor_mode 1
		.amdhsa_memory_ordered 1
		.amdhsa_forward_progress 0
		.amdhsa_shared_vgpr_count 0
		.amdhsa_exception_fp_ieee_invalid_op 0
		.amdhsa_exception_fp_denorm_src 0
		.amdhsa_exception_fp_ieee_div_zero 0
		.amdhsa_exception_fp_ieee_overflow 0
		.amdhsa_exception_fp_ieee_underflow 0
		.amdhsa_exception_fp_ieee_inexact 0
		.amdhsa_exception_int_div_zero 0
	.end_amdhsa_kernel
	.section	.text._ZN9rocsolver6v33100L23getf2_npvt_small_kernelILi57E19rocblas_complex_numIdEiiPKPS3_EEvT1_T3_lS7_lPT2_S7_S7_,"axG",@progbits,_ZN9rocsolver6v33100L23getf2_npvt_small_kernelILi57E19rocblas_complex_numIdEiiPKPS3_EEvT1_T3_lS7_lPT2_S7_S7_,comdat
.Lfunc_end113:
	.size	_ZN9rocsolver6v33100L23getf2_npvt_small_kernelILi57E19rocblas_complex_numIdEiiPKPS3_EEvT1_T3_lS7_lPT2_S7_S7_, .Lfunc_end113-_ZN9rocsolver6v33100L23getf2_npvt_small_kernelILi57E19rocblas_complex_numIdEiiPKPS3_EEvT1_T3_lS7_lPT2_S7_S7_
                                        ; -- End function
	.section	.AMDGPU.csdata,"",@progbits
; Kernel info:
; codeLenInByte = 166900
; NumSgprs: 20
; NumVgprs: 256
; ScratchSize: 1316
; MemoryBound: 1
; FloatMode: 240
; IeeeMode: 1
; LDSByteSize: 0 bytes/workgroup (compile time only)
; SGPRBlocks: 2
; VGPRBlocks: 31
; NumSGPRsForWavesPerEU: 20
; NumVGPRsForWavesPerEU: 256
; Occupancy: 5
; WaveLimiterHint : 1
; COMPUTE_PGM_RSRC2:SCRATCH_EN: 1
; COMPUTE_PGM_RSRC2:USER_SGPR: 14
; COMPUTE_PGM_RSRC2:TRAP_HANDLER: 0
; COMPUTE_PGM_RSRC2:TGID_X_EN: 1
; COMPUTE_PGM_RSRC2:TGID_Y_EN: 1
; COMPUTE_PGM_RSRC2:TGID_Z_EN: 0
; COMPUTE_PGM_RSRC2:TIDIG_COMP_CNT: 1
	.section	.text._ZN9rocsolver6v33100L18getf2_small_kernelILi58E19rocblas_complex_numIdEiiPKPS3_EEvT1_T3_lS7_lPS7_llPT2_S7_S7_S9_l,"axG",@progbits,_ZN9rocsolver6v33100L18getf2_small_kernelILi58E19rocblas_complex_numIdEiiPKPS3_EEvT1_T3_lS7_lPS7_llPT2_S7_S7_S9_l,comdat
	.globl	_ZN9rocsolver6v33100L18getf2_small_kernelILi58E19rocblas_complex_numIdEiiPKPS3_EEvT1_T3_lS7_lPS7_llPT2_S7_S7_S9_l ; -- Begin function _ZN9rocsolver6v33100L18getf2_small_kernelILi58E19rocblas_complex_numIdEiiPKPS3_EEvT1_T3_lS7_lPS7_llPT2_S7_S7_S9_l
	.p2align	8
	.type	_ZN9rocsolver6v33100L18getf2_small_kernelILi58E19rocblas_complex_numIdEiiPKPS3_EEvT1_T3_lS7_lPS7_llPT2_S7_S7_S9_l,@function
_ZN9rocsolver6v33100L18getf2_small_kernelILi58E19rocblas_complex_numIdEiiPKPS3_EEvT1_T3_lS7_lPS7_llPT2_S7_S7_S9_l: ; @_ZN9rocsolver6v33100L18getf2_small_kernelILi58E19rocblas_complex_numIdEiiPKPS3_EEvT1_T3_lS7_lPS7_llPT2_S7_S7_S9_l
; %bb.0:
	s_clause 0x1
	s_load_b32 s2, s[0:1], 0x6c
	s_load_b64 s[12:13], s[0:1], 0x48
	v_bfe_u32 v232, v0, 10, 10
	s_waitcnt lgkmcnt(0)
	s_lshr_b32 s2, s2, 16
	s_delay_alu instid0(VALU_DEP_1) | instid1(SALU_CYCLE_1)
	v_mad_u64_u32 v[208:209], null, s15, s2, v[232:233]
	s_mov_b32 s2, exec_lo
	s_delay_alu instid0(VALU_DEP_1)
	v_cmpx_gt_i32_e64 s12, v208
	s_cbranch_execnz .LBB114_1
; %bb.1222:
	s_getpc_b64 s[16:17]
.Lpost_getpc22:
	s_add_u32 s16, s16, (.LBB114_1221-.Lpost_getpc22)&4294967295
	s_addc_u32 s17, s17, (.LBB114_1221-.Lpost_getpc22)>>32
	s_setpc_b64 s[16:17]
.LBB114_1:
	s_clause 0x1
	s_load_b128 s[4:7], s[0:1], 0x8
	s_load_b128 s[8:11], s[0:1], 0x50
	v_ashrrev_i32_e32 v209, 31, v208
	v_mov_b32_e32 v3, 0
	v_mov_b32_e32 v4, 0
	s_delay_alu instid0(VALU_DEP_3)
	v_lshlrev_b64 v[1:2], 3, v[208:209]
	scratch_store_b64 off, v[3:4], off      ; 8-byte Folded Spill
	s_waitcnt lgkmcnt(0)
	v_add_co_u32 v1, vcc_lo, s4, v1
	v_add_co_ci_u32_e32 v2, vcc_lo, s5, v2, vcc_lo
	s_cmp_eq_u64 s[8:9], 0
	s_cselect_b32 s5, -1, 0
	global_load_b64 v[1:2], v[1:2], off
	s_and_b32 vcc_lo, exec_lo, s5
	s_cbranch_vccnz .LBB114_3
; %bb.2:
	v_mul_lo_u32 v5, v209, s10
	v_mul_lo_u32 v6, v208, s11
	v_mad_u64_u32 v[3:4], null, v208, s10, 0
	s_delay_alu instid0(VALU_DEP_1) | instskip(NEXT) | instid1(VALU_DEP_1)
	v_add3_u32 v4, v4, v6, v5
	v_lshlrev_b64 v[3:4], 2, v[3:4]
	s_delay_alu instid0(VALU_DEP_1) | instskip(NEXT) | instid1(VALU_DEP_2)
	v_add_co_u32 v3, vcc_lo, s8, v3
	v_add_co_ci_u32_e32 v4, vcc_lo, s9, v4, vcc_lo
	scratch_store_b64 off, v[3:4], off      ; 8-byte Folded Spill
.LBB114_3:
	s_clause 0x1
	s_load_b32 s8, s[0:1], 0x18
	s_load_b32 s12, s[0:1], 0x0
	v_and_b32_e32 v83, 0x3ff, v0
	s_lshl_b64 s[2:3], s[6:7], 4
	scratch_store_b64 off, v[208:209], off offset:72 ; 8-byte Folded Spill
	s_waitcnt vmcnt(0)
	v_add_co_u32 v247, vcc_lo, v1, s2
	v_add_co_ci_u32_e32 v244, vcc_lo, s3, v2, vcc_lo
	v_dual_mov_b32 v211, v83 :: v_dual_lshlrev_b32 v210, 4, v83
	s_waitcnt lgkmcnt(0)
	v_add3_u32 v3, s8, s8, v83
	s_ashr_i32 s9, s8, 31
	s_max_i32 s2, s12, 58
	s_lshl_b64 s[10:11], s[8:9], 4
	s_cmp_lt_i32 s12, 2
	v_add_nc_u32_e32 v5, s8, v3
	v_ashrrev_i32_e32 v4, 31, v3
	s_delay_alu instid0(VALU_DEP_2) | instskip(NEXT) | instid1(VALU_DEP_2)
	v_add_nc_u32_e32 v0, s8, v5
	v_lshlrev_b64 v[3:4], 4, v[3:4]
	v_ashrrev_i32_e32 v6, 31, v5
	s_delay_alu instid0(VALU_DEP_3) | instskip(SKIP_1) | instid1(VALU_DEP_4)
	v_add_nc_u32_e32 v2, s8, v0
	v_ashrrev_i32_e32 v1, 31, v0
	v_add_co_u32 v7, vcc_lo, v247, v3
	v_add_co_ci_u32_e32 v8, vcc_lo, v244, v4, vcc_lo
	s_delay_alu instid0(VALU_DEP_4) | instskip(SKIP_3) | instid1(VALU_DEP_4)
	v_add_nc_u32_e32 v4, s8, v2
	v_lshlrev_b64 v[5:6], 4, v[5:6]
	v_ashrrev_i32_e32 v3, 31, v2
	v_lshlrev_b64 v[0:1], 4, v[0:1]
	v_add_nc_u32_e32 v11, s8, v4
	s_delay_alu instid0(VALU_DEP_4) | instskip(SKIP_1) | instid1(VALU_DEP_3)
	v_add_co_u32 v9, vcc_lo, v247, v5
	v_ashrrev_i32_e32 v5, 31, v4
	v_add_nc_u32_e32 v13, s8, v11
	v_lshlrev_b64 v[2:3], 4, v[2:3]
	v_ashrrev_i32_e32 v12, 31, v11
	v_add_co_ci_u32_e32 v10, vcc_lo, v244, v6, vcc_lo
	s_delay_alu instid0(VALU_DEP_4) | instskip(SKIP_3) | instid1(VALU_DEP_4)
	v_add_nc_u32_e32 v15, s8, v13
	v_add_co_u32 v0, vcc_lo, v247, v0
	v_lshlrev_b64 v[4:5], 4, v[4:5]
	v_ashrrev_i32_e32 v14, 31, v13
	v_add_nc_u32_e32 v17, s8, v15
	v_add_co_ci_u32_e32 v1, vcc_lo, v244, v1, vcc_lo
	v_add_co_u32 v2, vcc_lo, v247, v2
	s_delay_alu instid0(VALU_DEP_3) | instskip(SKIP_3) | instid1(VALU_DEP_4)
	v_add_nc_u32_e32 v19, s8, v17
	v_lshlrev_b64 v[11:12], 4, v[11:12]
	v_ashrrev_i32_e32 v16, 31, v15
	v_add_co_ci_u32_e32 v3, vcc_lo, v244, v3, vcc_lo
	v_add_nc_u32_e32 v21, s8, v19
	v_add_co_u32 v4, vcc_lo, v247, v4
	v_lshlrev_b64 v[13:14], 4, v[13:14]
	v_ashrrev_i32_e32 v18, 31, v17
	s_delay_alu instid0(VALU_DEP_4) | instskip(SKIP_2) | instid1(VALU_DEP_3)
	v_add_nc_u32_e32 v23, s8, v21
	v_add_co_ci_u32_e32 v5, vcc_lo, v244, v5, vcc_lo
	v_add_co_u32 v11, vcc_lo, v247, v11
	v_add_nc_u32_e32 v25, s8, v23
	v_lshlrev_b64 v[15:16], 4, v[15:16]
	v_ashrrev_i32_e32 v20, 31, v19
	v_add_co_ci_u32_e32 v12, vcc_lo, v244, v12, vcc_lo
	s_delay_alu instid0(VALU_DEP_4) | instskip(SKIP_3) | instid1(VALU_DEP_4)
	v_add_nc_u32_e32 v27, s8, v25
	v_add_co_u32 v13, vcc_lo, v247, v13
	v_lshlrev_b64 v[17:18], 4, v[17:18]
	v_ashrrev_i32_e32 v22, 31, v21
	v_add_nc_u32_e32 v29, s8, v27
	v_add_co_ci_u32_e32 v14, vcc_lo, v244, v14, vcc_lo
	v_add_co_u32 v15, vcc_lo, v247, v15
	s_delay_alu instid0(VALU_DEP_3) | instskip(SKIP_3) | instid1(VALU_DEP_4)
	v_add_nc_u32_e32 v31, s8, v29
	v_lshlrev_b64 v[19:20], 4, v[19:20]
	v_ashrrev_i32_e32 v24, 31, v23
	v_add_co_ci_u32_e32 v16, vcc_lo, v244, v16, vcc_lo
	v_add_nc_u32_e32 v33, s8, v31
	v_add_co_u32 v17, vcc_lo, v247, v17
	v_lshlrev_b64 v[21:22], 4, v[21:22]
	v_ashrrev_i32_e32 v26, 31, v25
	s_delay_alu instid0(VALU_DEP_4) | instskip(SKIP_2) | instid1(VALU_DEP_3)
	v_add_nc_u32_e32 v35, s8, v33
	v_add_co_ci_u32_e32 v18, vcc_lo, v244, v18, vcc_lo
	v_add_co_u32 v19, vcc_lo, v247, v19
	;; [unrolled: 25-line block ×3, first 2 shown]
	v_add_nc_u32_e32 v49, s8, v47
	v_lshlrev_b64 v[31:32], 4, v[31:32]
	v_ashrrev_i32_e32 v36, 31, v35
	v_add_co_ci_u32_e32 v28, vcc_lo, v244, v28, vcc_lo
	s_delay_alu instid0(VALU_DEP_4) | instskip(SKIP_3) | instid1(VALU_DEP_4)
	v_add_nc_u32_e32 v51, s8, v49
	v_add_co_u32 v29, vcc_lo, v247, v29
	v_lshlrev_b64 v[33:34], 4, v[33:34]
	v_ashrrev_i32_e32 v38, 31, v37
	v_add_nc_u32_e32 v53, s8, v51
	v_add_co_ci_u32_e32 v30, vcc_lo, v244, v30, vcc_lo
	v_add_co_u32 v31, vcc_lo, v247, v31
	s_delay_alu instid0(VALU_DEP_3)
	v_add_nc_u32_e32 v55, s8, v53
	v_lshlrev_b64 v[35:36], 4, v[35:36]
	v_ashrrev_i32_e32 v40, 31, v39
	v_add_co_ci_u32_e32 v32, vcc_lo, v244, v32, vcc_lo
	v_add_co_u32 v33, vcc_lo, v247, v33
	v_lshlrev_b64 v[37:38], 4, v[37:38]
	v_add_nc_u32_e32 v57, s8, v55
	v_ashrrev_i32_e32 v42, 31, v41
	v_add_co_ci_u32_e32 v34, vcc_lo, v244, v34, vcc_lo
	v_add_co_u32 v35, vcc_lo, v247, v35
	v_lshlrev_b64 v[39:40], 4, v[39:40]
	v_ashrrev_i32_e32 v44, 31, v43
	v_add_co_ci_u32_e32 v36, vcc_lo, v244, v36, vcc_lo
	v_add_nc_u32_e32 v59, s8, v57
	v_add_co_u32 v37, vcc_lo, v247, v37
	v_lshlrev_b64 v[41:42], 4, v[41:42]
	v_ashrrev_i32_e32 v46, 31, v45
	v_add_co_ci_u32_e32 v38, vcc_lo, v244, v38, vcc_lo
	v_add_co_u32 v39, vcc_lo, v247, v39
	v_lshlrev_b64 v[43:44], 4, v[43:44]
	v_ashrrev_i32_e32 v48, 31, v47
	v_add_nc_u32_e32 v61, s8, v59
	v_add_co_ci_u32_e32 v40, vcc_lo, v244, v40, vcc_lo
	v_add_co_u32 v41, vcc_lo, v247, v41
	v_lshlrev_b64 v[45:46], 4, v[45:46]
	v_ashrrev_i32_e32 v50, 31, v49
	v_add_co_ci_u32_e32 v42, vcc_lo, v244, v42, vcc_lo
	v_add_co_u32 v43, vcc_lo, v247, v43
	v_lshlrev_b64 v[47:48], 4, v[47:48]
	v_add_nc_u32_e32 v63, s8, v61
	v_ashrrev_i32_e32 v52, 31, v51
	v_add_co_ci_u32_e32 v44, vcc_lo, v244, v44, vcc_lo
	v_add_co_u32 v45, vcc_lo, v247, v45
	v_lshlrev_b64 v[49:50], 4, v[49:50]
	v_ashrrev_i32_e32 v54, 31, v53
	v_add_co_ci_u32_e32 v46, vcc_lo, v244, v46, vcc_lo
	v_add_nc_u32_e32 v65, s8, v63
	v_add_co_u32 v47, vcc_lo, v247, v47
	v_lshlrev_b64 v[51:52], 4, v[51:52]
	v_ashrrev_i32_e32 v56, 31, v55
	v_add_co_ci_u32_e32 v48, vcc_lo, v244, v48, vcc_lo
	v_add_co_u32 v49, vcc_lo, v247, v49
	v_lshlrev_b64 v[53:54], 4, v[53:54]
	v_ashrrev_i32_e32 v58, 31, v57
	v_add_nc_u32_e32 v67, s8, v65
	v_add_co_ci_u32_e32 v50, vcc_lo, v244, v50, vcc_lo
	v_add_co_u32 v51, vcc_lo, v247, v51
	;; [unrolled: 23-line block ×3, first 2 shown]
	v_lshlrev_b64 v[65:66], 4, v[65:66]
	v_ashrrev_i32_e32 v70, 31, v69
	v_add_co_ci_u32_e32 v62, vcc_lo, v244, v62, vcc_lo
	v_add_co_u32 v63, vcc_lo, v247, v63
	v_lshlrev_b64 v[67:68], 4, v[67:68]
	v_add_nc_u32_e32 v75, s8, v73
	v_ashrrev_i32_e32 v72, 31, v71
	v_add_co_ci_u32_e32 v64, vcc_lo, v244, v64, vcc_lo
	v_add_co_u32 v65, vcc_lo, v247, v65
	v_lshlrev_b64 v[69:70], 4, v[69:70]
	v_ashrrev_i32_e32 v74, 31, v73
	v_add_co_ci_u32_e32 v66, vcc_lo, v244, v66, vcc_lo
	v_add_nc_u32_e32 v77, s8, v75
	v_add_co_u32 v67, vcc_lo, v247, v67
	v_lshlrev_b64 v[71:72], 4, v[71:72]
	v_ashrrev_i32_e32 v76, 31, v75
	v_add_co_ci_u32_e32 v68, vcc_lo, v244, v68, vcc_lo
	v_add_co_u32 v69, vcc_lo, v247, v69
	v_lshlrev_b64 v[73:74], 4, v[73:74]
	v_add_nc_u32_e32 v79, s8, v77
	v_add_co_ci_u32_e32 v70, vcc_lo, v244, v70, vcc_lo
	v_add_co_u32 v71, vcc_lo, v247, v71
	v_lshlrev_b64 v[75:76], 4, v[75:76]
	v_ashrrev_i32_e32 v78, 31, v77
	v_add_co_ci_u32_e32 v72, vcc_lo, v244, v72, vcc_lo
	v_add_co_u32 v73, vcc_lo, v247, v73
	v_ashrrev_i32_e32 v80, 31, v79
	v_add_nc_u32_e32 v81, s8, v79
	v_add_co_ci_u32_e32 v74, vcc_lo, v244, v74, vcc_lo
	v_lshlrev_b64 v[77:78], 4, v[77:78]
	v_add_co_u32 v233, vcc_lo, v247, v75
	v_add_co_ci_u32_e32 v234, vcc_lo, v244, v76, vcc_lo
	v_lshlrev_b64 v[75:76], 4, v[79:80]
	v_ashrrev_i32_e32 v82, 31, v81
	v_add_nc_u32_e32 v79, s8, v81
	v_add_co_u32 v240, vcc_lo, v247, v77
	v_add_co_ci_u32_e32 v241, vcc_lo, v244, v78, vcc_lo
	s_delay_alu instid0(VALU_DEP_4) | instskip(NEXT) | instid1(VALU_DEP_4)
	v_lshlrev_b64 v[77:78], 4, v[81:82]
	v_ashrrev_i32_e32 v80, 31, v79
	v_add_nc_u32_e32 v81, s8, v79
	v_add_co_u32 v245, vcc_lo, v247, v75
	v_add_co_ci_u32_e32 v246, vcc_lo, v244, v76, vcc_lo
	s_delay_alu instid0(VALU_DEP_4) | instskip(NEXT) | instid1(VALU_DEP_4)
	;; [unrolled: 6-line block ×13, first 2 shown]
	v_lshlrev_b64 v[77:78], 4, v[81:82]
	v_add_nc_u32_e32 v81, s8, v79
	v_ashrrev_i32_e32 v80, 31, v79
	v_add_co_u32 v226, vcc_lo, v247, v75
	v_add_co_ci_u32_e32 v227, vcc_lo, v244, v76, vcc_lo
	s_delay_alu instid0(VALU_DEP_4) | instskip(NEXT) | instid1(VALU_DEP_4)
	v_ashrrev_i32_e32 v82, 31, v81
	v_lshlrev_b64 v[75:76], 4, v[79:80]
	v_add_co_u32 v216, vcc_lo, v247, v77
	v_add_co_ci_u32_e32 v217, vcc_lo, v244, v78, vcc_lo
	s_delay_alu instid0(VALU_DEP_4) | instskip(SKIP_3) | instid1(VALU_DEP_4)
	v_lshlrev_b64 v[77:78], 4, v[81:82]
	v_add_nc_u32_e32 v79, s8, v81
	v_add_co_u32 v218, vcc_lo, v247, v75
	v_add_co_ci_u32_e32 v219, vcc_lo, v244, v76, vcc_lo
	v_add_co_u32 v212, vcc_lo, v247, v77
	s_delay_alu instid0(VALU_DEP_4) | instskip(SKIP_3) | instid1(VALU_DEP_4)
	v_ashrrev_i32_e32 v80, 31, v79
	v_add_co_ci_u32_e32 v213, vcc_lo, v244, v78, vcc_lo
	v_add_co_u32 v77, vcc_lo, v247, v210
	v_add_co_ci_u32_e32 v78, vcc_lo, 0, v244, vcc_lo
	v_lshlrev_b64 v[75:76], 4, v[79:80]
	s_delay_alu instid0(VALU_DEP_3) | instskip(NEXT) | instid1(VALU_DEP_3)
	v_add_co_u32 v79, vcc_lo, v77, s10
	v_add_co_ci_u32_e32 v80, vcc_lo, s11, v78, vcc_lo
	s_delay_alu instid0(VALU_DEP_3) | instskip(NEXT) | instid1(VALU_DEP_4)
	v_add_co_u32 v214, vcc_lo, v247, v75
	v_add_co_ci_u32_e32 v215, vcc_lo, v244, v76, vcc_lo
	s_clause 0x1
	global_load_b128 v[236:239], v[77:78], off
	global_load_b128 v[75:78], v[79:80], off
	s_waitcnt vmcnt(0)
	scratch_store_b128 off, v[75:78], off offset:40 ; 16-byte Folded Spill
	s_clause 0x1
	global_load_b128 v[75:78], v[7:8], off
	global_load_b128 v[6:9], v[9:10], off
	s_waitcnt vmcnt(1)
	scratch_store_b128 off, v[75:78], off offset:24 ; 16-byte Folded Spill
	s_waitcnt vmcnt(0)
	scratch_store_b128 off, v[6:9], off offset:8 ; 16-byte Folded Spill
	global_load_b128 v[6:9], v[0:1], off
	s_waitcnt vmcnt(0)
	scratch_store_b128 off, v[6:9], off offset:80 ; 16-byte Folded Spill
	s_clause 0x1f
	global_load_b128 v[204:207], v[2:3], off
	global_load_b128 v[4:7], v[4:5], off
	;; [unrolled: 1-line block ×32, first 2 shown]
	s_clause 0x14
	global_load_b128 v[80:83], v[71:72], off
	global_load_b128 v[76:79], v[73:74], off
	;; [unrolled: 1-line block ×21, first 2 shown]
	v_mul_lo_u32 v212, s2, v232
	scratch_store_b128 off, v[236:239], off offset:56 ; 16-byte Folded Spill
	v_mov_b32_e32 v240, 0
	v_lshl_add_u32 v242, v212, 4, 0
	v_lshlrev_b32_e32 v246, 4, v212
	s_delay_alu instid0(VALU_DEP_2)
	v_add_nc_u32_e32 v213, v242, v210
	ds_store_2addr_b64 v213, v[236:237], v[238:239] offset1:1
	s_waitcnt vmcnt(0) lgkmcnt(0)
	s_waitcnt_vscnt null, 0x0
	s_barrier
	buffer_gl0_inv
	ds_load_2addr_b64 v[232:235], v242 offset1:1
	s_cbranch_scc1 .LBB114_6
; %bb.4:
	v_add3_u32 v241, v246, 0, 16
	v_mov_b32_e32 v240, 0
	s_mov_b32 s6, 1
	s_set_inst_prefetch_distance 0x1
	.p2align	6
.LBB114_5:                              ; =>This Inner Loop Header: Depth=1
	ds_load_2addr_b64 v[248:251], v241 offset1:1
	s_waitcnt lgkmcnt(1)
	v_cmp_gt_f64_e32 vcc_lo, 0, v[232:233]
	v_cmp_gt_f64_e64 s2, 0, v[234:235]
	v_xor_b32_e32 v213, 0x80000000, v233
	v_xor_b32_e32 v215, 0x80000000, v235
	v_add_nc_u32_e32 v241, 16, v241
	s_waitcnt lgkmcnt(0)
	v_cmp_gt_f64_e64 s3, 0, v[248:249]
	v_cmp_gt_f64_e64 s4, 0, v[250:251]
	v_xor_b32_e32 v219, 0x80000000, v249
	v_xor_b32_e32 v220, 0x80000000, v251
	v_mov_b32_e32 v214, v250
	v_mov_b32_e32 v212, v248
	v_cndmask_b32_e32 v216, v233, v213, vcc_lo
	v_cndmask_b32_e64 v218, v235, v215, s2
	v_cndmask_b32_e32 v215, v232, v232, vcc_lo
	v_cndmask_b32_e64 v217, v234, v234, s2
	s_delay_alu instid0(VALU_DEP_1) | instskip(SKIP_2) | instid1(VALU_DEP_1)
	v_add_f64 v[216:217], v[215:216], v[217:218]
	v_cndmask_b32_e64 v213, v249, v219, s3
	v_cndmask_b32_e64 v215, v251, v220, s4
	v_add_f64 v[212:213], v[212:213], v[214:215]
	s_delay_alu instid0(VALU_DEP_1)
	v_cmp_lt_f64_e32 vcc_lo, v[216:217], v[212:213]
	v_cndmask_b32_e32 v235, v235, v251, vcc_lo
	v_dual_cndmask_b32 v233, v233, v249 :: v_dual_cndmask_b32 v232, v232, v248
	v_cndmask_b32_e32 v234, v234, v250, vcc_lo
	v_cndmask_b32_e64 v240, v240, s6, vcc_lo
	s_add_i32 s6, s6, 1
	s_delay_alu instid0(SALU_CYCLE_1)
	s_cmp_eq_u32 s12, s6
	s_cbranch_scc0 .LBB114_5
.LBB114_6:
	s_set_inst_prefetch_distance 0x2
	v_dual_mov_b32 v231, v207 :: v_dual_mov_b32 v230, v206
	v_dual_mov_b32 v229, v205 :: v_dual_mov_b32 v228, v204
	;; [unrolled: 1-line block ×3, first 2 shown]
	scratch_load_b64 v[254:255], off, off offset:72 ; 8-byte Folded Reload
	v_dual_mov_b32 v205, v5 :: v_dual_mov_b32 v204, v4
	scratch_load_b128 v[4:7], off, off offset:80 ; 16-byte Folded Reload
	s_waitcnt lgkmcnt(0)
	v_cmp_neq_f64_e32 vcc_lo, 0, v[232:233]
	v_cmp_neq_f64_e64 s2, 0, v[234:235]
	v_dual_mov_b32 v236, v211 :: v_dual_mov_b32 v245, 1
	v_mov_b32_e32 v249, 1
	s_delay_alu instid0(VALU_DEP_3) | instskip(NEXT) | instid1(SALU_CYCLE_1)
	s_or_b32 s2, vcc_lo, s2
	s_and_saveexec_b32 s3, s2
	s_cbranch_execz .LBB114_12
; %bb.7:
	v_cmp_gt_f64_e32 vcc_lo, 0, v[232:233]
	v_cmp_gt_f64_e64 s2, 0, v[234:235]
	v_xor_b32_e32 v212, 0x80000000, v233
	v_xor_b32_e32 v214, 0x80000000, v235
                                        ; implicit-def: $sgpr4
                                        ; implicit-def: $sgpr6
	s_delay_alu instid0(VALU_DEP_2) | instskip(NEXT) | instid1(VALU_DEP_2)
	v_cndmask_b32_e32 v213, v233, v212, vcc_lo
	v_cndmask_b32_e64 v215, v235, v214, s2
	v_cndmask_b32_e32 v212, v232, v232, vcc_lo
	v_cndmask_b32_e64 v214, v234, v234, s2
	s_mov_b32 s2, exec_lo
	s_delay_alu instid0(VALU_DEP_1)
	v_cmpx_ngt_f64_e32 v[212:213], v[214:215]
	s_xor_b32 s2, exec_lo, s2
	s_cbranch_execz .LBB114_9
; %bb.8:
	v_div_scale_f64 v[212:213], null, v[234:235], v[234:235], v[232:233]
	v_div_scale_f64 v[218:219], vcc_lo, v[232:233], v[234:235], v[232:233]
	s_mov_b32 s6, 2
	s_mov_b32 s4, 0
	s_delay_alu instid0(VALU_DEP_2) | instskip(SKIP_2) | instid1(VALU_DEP_1)
	v_rcp_f64_e32 v[214:215], v[212:213]
	s_waitcnt_depctr 0xfff
	v_fma_f64 v[216:217], -v[212:213], v[214:215], 1.0
	v_fma_f64 v[214:215], v[214:215], v[216:217], v[214:215]
	s_delay_alu instid0(VALU_DEP_1) | instskip(NEXT) | instid1(VALU_DEP_1)
	v_fma_f64 v[216:217], -v[212:213], v[214:215], 1.0
	v_fma_f64 v[214:215], v[214:215], v[216:217], v[214:215]
	s_delay_alu instid0(VALU_DEP_1) | instskip(NEXT) | instid1(VALU_DEP_1)
	v_mul_f64 v[216:217], v[218:219], v[214:215]
	v_fma_f64 v[212:213], -v[212:213], v[216:217], v[218:219]
	s_delay_alu instid0(VALU_DEP_1) | instskip(NEXT) | instid1(VALU_DEP_1)
	v_div_fmas_f64 v[212:213], v[212:213], v[214:215], v[216:217]
	v_div_fixup_f64 v[212:213], v[212:213], v[234:235], v[232:233]
	s_delay_alu instid0(VALU_DEP_1) | instskip(NEXT) | instid1(VALU_DEP_1)
	v_fma_f64 v[214:215], v[232:233], v[212:213], v[234:235]
	v_div_scale_f64 v[216:217], null, v[214:215], v[214:215], 1.0
	s_delay_alu instid0(VALU_DEP_1) | instskip(SKIP_2) | instid1(VALU_DEP_1)
	v_rcp_f64_e32 v[218:219], v[216:217]
	s_waitcnt_depctr 0xfff
	v_fma_f64 v[220:221], -v[216:217], v[218:219], 1.0
	v_fma_f64 v[218:219], v[218:219], v[220:221], v[218:219]
	s_delay_alu instid0(VALU_DEP_1) | instskip(NEXT) | instid1(VALU_DEP_1)
	v_fma_f64 v[220:221], -v[216:217], v[218:219], 1.0
	v_fma_f64 v[218:219], v[218:219], v[220:221], v[218:219]
	v_div_scale_f64 v[220:221], vcc_lo, 1.0, v[214:215], 1.0
	s_delay_alu instid0(VALU_DEP_1) | instskip(NEXT) | instid1(VALU_DEP_1)
	v_mul_f64 v[222:223], v[220:221], v[218:219]
	v_fma_f64 v[216:217], -v[216:217], v[222:223], v[220:221]
	s_delay_alu instid0(VALU_DEP_1) | instskip(NEXT) | instid1(VALU_DEP_1)
	v_div_fmas_f64 v[216:217], v[216:217], v[218:219], v[222:223]
	v_div_fixup_f64 v[234:235], v[216:217], v[214:215], 1.0
	s_delay_alu instid0(VALU_DEP_1)
	v_mul_f64 v[232:233], v[212:213], v[234:235]
	v_xor_b32_e32 v235, 0x80000000, v235
.LBB114_9:
	s_or_saveexec_b32 s2, s2
	v_mov_b32_e32 v249, s4
	v_mov_b32_e32 v245, s6
	s_xor_b32 exec_lo, exec_lo, s2
	s_cbranch_execz .LBB114_11
; %bb.10:
	s_delay_alu instid0(VALU_DEP_4) | instskip(SKIP_3) | instid1(VALU_DEP_4)
	v_div_scale_f64 v[212:213], null, v[232:233], v[232:233], v[234:235]
	v_div_scale_f64 v[218:219], vcc_lo, v[234:235], v[232:233], v[234:235]
	v_mov_b32_e32 v249, 0
	v_mov_b32_e32 v245, 2
	v_rcp_f64_e32 v[214:215], v[212:213]
	s_waitcnt_depctr 0xfff
	v_fma_f64 v[216:217], -v[212:213], v[214:215], 1.0
	s_delay_alu instid0(VALU_DEP_1) | instskip(NEXT) | instid1(VALU_DEP_1)
	v_fma_f64 v[214:215], v[214:215], v[216:217], v[214:215]
	v_fma_f64 v[216:217], -v[212:213], v[214:215], 1.0
	s_delay_alu instid0(VALU_DEP_1) | instskip(NEXT) | instid1(VALU_DEP_1)
	v_fma_f64 v[214:215], v[214:215], v[216:217], v[214:215]
	v_mul_f64 v[216:217], v[218:219], v[214:215]
	s_delay_alu instid0(VALU_DEP_1) | instskip(NEXT) | instid1(VALU_DEP_1)
	v_fma_f64 v[212:213], -v[212:213], v[216:217], v[218:219]
	v_div_fmas_f64 v[212:213], v[212:213], v[214:215], v[216:217]
	s_delay_alu instid0(VALU_DEP_1) | instskip(NEXT) | instid1(VALU_DEP_1)
	v_div_fixup_f64 v[212:213], v[212:213], v[232:233], v[234:235]
	v_fma_f64 v[214:215], v[234:235], v[212:213], v[232:233]
	s_delay_alu instid0(VALU_DEP_1) | instskip(NEXT) | instid1(VALU_DEP_1)
	v_div_scale_f64 v[216:217], null, v[214:215], v[214:215], 1.0
	v_rcp_f64_e32 v[218:219], v[216:217]
	s_waitcnt_depctr 0xfff
	v_fma_f64 v[220:221], -v[216:217], v[218:219], 1.0
	s_delay_alu instid0(VALU_DEP_1) | instskip(NEXT) | instid1(VALU_DEP_1)
	v_fma_f64 v[218:219], v[218:219], v[220:221], v[218:219]
	v_fma_f64 v[220:221], -v[216:217], v[218:219], 1.0
	s_delay_alu instid0(VALU_DEP_1) | instskip(SKIP_1) | instid1(VALU_DEP_1)
	v_fma_f64 v[218:219], v[218:219], v[220:221], v[218:219]
	v_div_scale_f64 v[220:221], vcc_lo, 1.0, v[214:215], 1.0
	v_mul_f64 v[222:223], v[220:221], v[218:219]
	s_delay_alu instid0(VALU_DEP_1) | instskip(NEXT) | instid1(VALU_DEP_1)
	v_fma_f64 v[216:217], -v[216:217], v[222:223], v[220:221]
	v_div_fmas_f64 v[216:217], v[216:217], v[218:219], v[222:223]
	s_delay_alu instid0(VALU_DEP_1) | instskip(NEXT) | instid1(VALU_DEP_1)
	v_div_fixup_f64 v[232:233], v[216:217], v[214:215], 1.0
	v_mul_f64 v[234:235], v[212:213], -v[232:233]
.LBB114_11:
	s_or_b32 exec_lo, exec_lo, s2
.LBB114_12:
	s_delay_alu instid0(SALU_CYCLE_1) | instskip(NEXT) | instid1(SALU_CYCLE_1)
	s_or_b32 exec_lo, exec_lo, s3
	s_mov_b32 s2, exec_lo
	v_cmpx_ne_u32_e64 v236, v240
	s_xor_b32 s2, exec_lo, s2
	s_cbranch_execz .LBB114_18
; %bb.13:
	s_mov_b32 s3, exec_lo
	v_cmpx_eq_u32_e32 0, v236
	s_cbranch_execz .LBB114_17
; %bb.14:
	v_cmp_ne_u32_e32 vcc_lo, 0, v240
	s_xor_b32 s4, s5, -1
	s_delay_alu instid0(SALU_CYCLE_1) | instskip(NEXT) | instid1(SALU_CYCLE_1)
	s_and_b32 s6, s4, vcc_lo
	s_and_saveexec_b32 s4, s6
	s_cbranch_execz .LBB114_16
; %bb.15:
	scratch_load_b64 v[208:209], off, off   ; 8-byte Folded Reload
	v_ashrrev_i32_e32 v241, 31, v240
	s_delay_alu instid0(VALU_DEP_1) | instskip(SKIP_1) | instid1(VALU_DEP_1)
	v_lshlrev_b64 v[212:213], 2, v[240:241]
	s_waitcnt vmcnt(0)
	v_add_co_u32 v212, vcc_lo, v208, v212
	s_delay_alu instid0(VALU_DEP_2)
	v_add_co_ci_u32_e32 v213, vcc_lo, v209, v213, vcc_lo
	s_clause 0x1
	flat_load_b32 v214, v[212:213]
	flat_load_b32 v215, v[208:209]
	s_waitcnt vmcnt(1) lgkmcnt(1)
	flat_store_b32 v[208:209], v214
	s_waitcnt vmcnt(0) lgkmcnt(1)
	flat_store_b32 v[212:213], v215
.LBB114_16:
	s_or_b32 exec_lo, exec_lo, s4
	v_mov_b32_e32 v236, v240
.LBB114_17:
	s_or_b32 exec_lo, exec_lo, s3
.LBB114_18:
	s_or_saveexec_b32 s2, s2
	s_delay_alu instid0(VALU_DEP_1)
	v_mov_b32_e32 v248, v236
	s_xor_b32 exec_lo, exec_lo, s2
	s_cbranch_execz .LBB114_20
; %bb.19:
	scratch_load_b128 v[208:211], off, off offset:40 ; 16-byte Folded Reload
	v_mov_b32_e32 v248, 0
	s_waitcnt vmcnt(0)
	ds_store_2addr_b64 v242, v[208:209], v[210:211] offset0:2 offset1:3
	scratch_load_b128 v[208:211], off, off offset:24 ; 16-byte Folded Reload
	s_waitcnt vmcnt(0)
	ds_store_2addr_b64 v242, v[208:209], v[210:211] offset0:4 offset1:5
	scratch_load_b128 v[208:211], off, off offset:8 ; 16-byte Folded Reload
	s_waitcnt vmcnt(0)
	ds_store_2addr_b64 v242, v[208:209], v[210:211] offset0:6 offset1:7
	ds_store_2addr_b64 v242, v[4:5], v[6:7] offset0:8 offset1:9
	ds_store_2addr_b64 v242, v[228:229], v[230:231] offset0:10 offset1:11
	ds_store_2addr_b64 v242, v[204:205], v[206:207] offset0:12 offset1:13
	ds_store_2addr_b64 v242, v[200:201], v[202:203] offset0:14 offset1:15
	ds_store_2addr_b64 v242, v[196:197], v[198:199] offset0:16 offset1:17
	ds_store_2addr_b64 v242, v[192:193], v[194:195] offset0:18 offset1:19
	ds_store_2addr_b64 v242, v[188:189], v[190:191] offset0:20 offset1:21
	ds_store_2addr_b64 v242, v[184:185], v[186:187] offset0:22 offset1:23
	ds_store_2addr_b64 v242, v[180:181], v[182:183] offset0:24 offset1:25
	ds_store_2addr_b64 v242, v[176:177], v[178:179] offset0:26 offset1:27
	ds_store_2addr_b64 v242, v[172:173], v[174:175] offset0:28 offset1:29
	ds_store_2addr_b64 v242, v[168:169], v[170:171] offset0:30 offset1:31
	ds_store_2addr_b64 v242, v[164:165], v[166:167] offset0:32 offset1:33
	ds_store_2addr_b64 v242, v[160:161], v[162:163] offset0:34 offset1:35
	ds_store_2addr_b64 v242, v[156:157], v[158:159] offset0:36 offset1:37
	ds_store_2addr_b64 v242, v[152:153], v[154:155] offset0:38 offset1:39
	ds_store_2addr_b64 v242, v[148:149], v[150:151] offset0:40 offset1:41
	ds_store_2addr_b64 v242, v[144:145], v[146:147] offset0:42 offset1:43
	ds_store_2addr_b64 v242, v[140:141], v[142:143] offset0:44 offset1:45
	ds_store_2addr_b64 v242, v[136:137], v[138:139] offset0:46 offset1:47
	ds_store_2addr_b64 v242, v[132:133], v[134:135] offset0:48 offset1:49
	ds_store_2addr_b64 v242, v[128:129], v[130:131] offset0:50 offset1:51
	ds_store_2addr_b64 v242, v[124:125], v[126:127] offset0:52 offset1:53
	ds_store_2addr_b64 v242, v[120:121], v[122:123] offset0:54 offset1:55
	ds_store_2addr_b64 v242, v[116:117], v[118:119] offset0:56 offset1:57
	ds_store_2addr_b64 v242, v[112:113], v[114:115] offset0:58 offset1:59
	ds_store_2addr_b64 v242, v[108:109], v[110:111] offset0:60 offset1:61
	ds_store_2addr_b64 v242, v[104:105], v[106:107] offset0:62 offset1:63
	ds_store_2addr_b64 v242, v[100:101], v[102:103] offset0:64 offset1:65
	ds_store_2addr_b64 v242, v[96:97], v[98:99] offset0:66 offset1:67
	ds_store_2addr_b64 v242, v[92:93], v[94:95] offset0:68 offset1:69
	ds_store_2addr_b64 v242, v[88:89], v[90:91] offset0:70 offset1:71
	ds_store_2addr_b64 v242, v[84:85], v[86:87] offset0:72 offset1:73
	ds_store_2addr_b64 v242, v[80:81], v[82:83] offset0:74 offset1:75
	ds_store_2addr_b64 v242, v[76:77], v[78:79] offset0:76 offset1:77
	ds_store_2addr_b64 v242, v[72:73], v[74:75] offset0:78 offset1:79
	ds_store_2addr_b64 v242, v[68:69], v[70:71] offset0:80 offset1:81
	ds_store_2addr_b64 v242, v[64:65], v[66:67] offset0:82 offset1:83
	ds_store_2addr_b64 v242, v[60:61], v[62:63] offset0:84 offset1:85
	ds_store_2addr_b64 v242, v[56:57], v[58:59] offset0:86 offset1:87
	ds_store_2addr_b64 v242, v[52:53], v[54:55] offset0:88 offset1:89
	ds_store_2addr_b64 v242, v[48:49], v[50:51] offset0:90 offset1:91
	ds_store_2addr_b64 v242, v[44:45], v[46:47] offset0:92 offset1:93
	ds_store_2addr_b64 v242, v[40:41], v[42:43] offset0:94 offset1:95
	ds_store_2addr_b64 v242, v[36:37], v[38:39] offset0:96 offset1:97
	ds_store_2addr_b64 v242, v[32:33], v[34:35] offset0:98 offset1:99
	ds_store_2addr_b64 v242, v[28:29], v[30:31] offset0:100 offset1:101
	ds_store_2addr_b64 v242, v[24:25], v[26:27] offset0:102 offset1:103
	ds_store_2addr_b64 v242, v[20:21], v[22:23] offset0:104 offset1:105
	ds_store_2addr_b64 v242, v[16:17], v[18:19] offset0:106 offset1:107
	ds_store_2addr_b64 v242, v[12:13], v[14:15] offset0:108 offset1:109
	ds_store_2addr_b64 v242, v[8:9], v[10:11] offset0:110 offset1:111
	ds_store_2addr_b64 v242, v[224:225], v[226:227] offset0:112 offset1:113
	ds_store_2addr_b64 v242, v[0:1], v[2:3] offset0:114 offset1:115
.LBB114_20:
	s_or_b32 exec_lo, exec_lo, s2
	s_delay_alu instid0(SALU_CYCLE_1)
	s_mov_b32 s2, exec_lo
	s_waitcnt vmcnt(0) lgkmcnt(0)
	s_waitcnt_vscnt null, 0x0
	s_barrier
	buffer_gl0_inv
	v_cmpx_lt_i32_e32 0, v248
	s_cbranch_execz .LBB114_22
; %bb.21:
	s_clause 0x1
	scratch_load_b128 v[214:217], off, off offset:56
	scratch_load_b128 v[208:211], off, off offset:40
	s_waitcnt vmcnt(1)
	v_mul_f64 v[212:213], v[234:235], v[216:217]
	s_delay_alu instid0(VALU_DEP_1) | instskip(SKIP_1) | instid1(VALU_DEP_1)
	v_fma_f64 v[240:241], v[232:233], v[214:215], -v[212:213]
	v_mul_f64 v[212:213], v[232:233], v[216:217]
	v_fma_f64 v[216:217], v[234:235], v[214:215], v[212:213]
	ds_load_2addr_b64 v[232:235], v242 offset0:2 offset1:3
	s_waitcnt lgkmcnt(0)
	v_mul_f64 v[212:213], v[234:235], v[216:217]
	v_mul_f64 v[214:215], v[232:233], v[216:217]
	s_delay_alu instid0(VALU_DEP_2) | instskip(NEXT) | instid1(VALU_DEP_2)
	v_fma_f64 v[212:213], v[232:233], v[240:241], -v[212:213]
	v_fma_f64 v[214:215], v[234:235], v[240:241], v[214:215]
	ds_load_2addr_b64 v[232:235], v242 offset0:4 offset1:5
	s_waitcnt vmcnt(0)
	v_add_f64 v[208:209], v[208:209], -v[212:213]
	v_add_f64 v[210:211], v[210:211], -v[214:215]
	s_waitcnt lgkmcnt(0)
	v_mul_f64 v[212:213], v[234:235], v[216:217]
	v_mul_f64 v[214:215], v[232:233], v[216:217]
	scratch_store_b128 off, v[208:211], off offset:40 ; 16-byte Folded Spill
	scratch_load_b128 v[208:211], off, off offset:24 ; 16-byte Folded Reload
	v_fma_f64 v[212:213], v[232:233], v[240:241], -v[212:213]
	v_fma_f64 v[214:215], v[234:235], v[240:241], v[214:215]
	ds_load_2addr_b64 v[232:235], v242 offset0:6 offset1:7
	s_waitcnt vmcnt(0)
	v_add_f64 v[208:209], v[208:209], -v[212:213]
	v_add_f64 v[210:211], v[210:211], -v[214:215]
	s_waitcnt lgkmcnt(0)
	v_mul_f64 v[212:213], v[234:235], v[216:217]
	v_mul_f64 v[214:215], v[232:233], v[216:217]
	scratch_store_b128 off, v[208:211], off offset:24 ; 16-byte Folded Spill
	scratch_load_b128 v[208:211], off, off offset:8 ; 16-byte Folded Reload
	v_fma_f64 v[212:213], v[232:233], v[240:241], -v[212:213]
	v_fma_f64 v[214:215], v[234:235], v[240:241], v[214:215]
	ds_load_2addr_b64 v[232:235], v242 offset0:8 offset1:9
	s_waitcnt vmcnt(0)
	v_add_f64 v[208:209], v[208:209], -v[212:213]
	v_add_f64 v[210:211], v[210:211], -v[214:215]
	s_waitcnt lgkmcnt(0)
	v_mul_f64 v[212:213], v[234:235], v[216:217]
	v_mul_f64 v[214:215], v[232:233], v[216:217]
	s_delay_alu instid0(VALU_DEP_2) | instskip(NEXT) | instid1(VALU_DEP_2)
	v_fma_f64 v[212:213], v[232:233], v[240:241], -v[212:213]
	v_fma_f64 v[214:215], v[234:235], v[240:241], v[214:215]
	ds_load_2addr_b64 v[232:235], v242 offset0:10 offset1:11
	v_add_f64 v[4:5], v[4:5], -v[212:213]
	v_add_f64 v[6:7], v[6:7], -v[214:215]
	s_waitcnt lgkmcnt(0)
	v_mul_f64 v[212:213], v[234:235], v[216:217]
	v_mul_f64 v[214:215], v[232:233], v[216:217]
	s_delay_alu instid0(VALU_DEP_2) | instskip(NEXT) | instid1(VALU_DEP_2)
	v_fma_f64 v[212:213], v[232:233], v[240:241], -v[212:213]
	v_fma_f64 v[214:215], v[234:235], v[240:241], v[214:215]
	ds_load_2addr_b64 v[232:235], v242 offset0:12 offset1:13
	;; [unrolled: 9-line block ×53, first 2 shown]
	v_add_f64 v[224:225], v[224:225], -v[212:213]
	v_add_f64 v[226:227], v[226:227], -v[214:215]
	s_waitcnt lgkmcnt(0)
	v_mul_f64 v[212:213], v[234:235], v[216:217]
	v_mul_f64 v[214:215], v[232:233], v[216:217]
	s_delay_alu instid0(VALU_DEP_2) | instskip(NEXT) | instid1(VALU_DEP_2)
	v_fma_f64 v[212:213], v[232:233], v[240:241], -v[212:213]
	v_fma_f64 v[214:215], v[234:235], v[240:241], v[214:215]
	s_delay_alu instid0(VALU_DEP_2) | instskip(NEXT) | instid1(VALU_DEP_2)
	v_add_f64 v[0:1], v[0:1], -v[212:213]
	v_add_f64 v[2:3], v[2:3], -v[214:215]
	v_dual_mov_b32 v214, v240 :: v_dual_mov_b32 v215, v241
	s_clause 0x1
	scratch_store_b128 off, v[208:211], off offset:8
	scratch_store_b128 off, v[214:217], off offset:56
.LBB114_22:
	s_or_b32 exec_lo, exec_lo, s2
	s_waitcnt_vscnt null, 0x0
	s_barrier
	buffer_gl0_inv
	scratch_load_b128 v[208:211], off, off offset:40 ; 16-byte Folded Reload
	v_lshl_add_u32 v212, v248, 4, v242
	v_mov_b32_e32 v240, 1
	s_cmp_lt_i32 s12, 3
	s_waitcnt vmcnt(0)
	ds_store_2addr_b64 v212, v[208:209], v[210:211] offset1:1
	s_waitcnt lgkmcnt(0)
	s_barrier
	buffer_gl0_inv
	ds_load_2addr_b64 v[232:235], v242 offset0:2 offset1:3
	s_cbranch_scc1 .LBB114_25
; %bb.23:
	v_add3_u32 v241, v246, 0, 32
	v_mov_b32_e32 v240, 1
	s_mov_b32 s6, 2
	s_set_inst_prefetch_distance 0x1
	.p2align	6
.LBB114_24:                             ; =>This Inner Loop Header: Depth=1
	ds_load_2addr_b64 v[250:253], v241 offset1:1
	s_waitcnt lgkmcnt(1)
	v_cmp_gt_f64_e32 vcc_lo, 0, v[232:233]
	v_cmp_gt_f64_e64 s2, 0, v[234:235]
	v_xor_b32_e32 v213, 0x80000000, v233
	v_xor_b32_e32 v215, 0x80000000, v235
	v_add_nc_u32_e32 v241, 16, v241
	s_waitcnt lgkmcnt(0)
	v_cmp_gt_f64_e64 s3, 0, v[250:251]
	v_cmp_gt_f64_e64 s4, 0, v[252:253]
	v_xor_b32_e32 v219, 0x80000000, v251
	v_mov_b32_e32 v212, v250
	v_xor_b32_e32 v220, 0x80000000, v253
	v_mov_b32_e32 v214, v252
	v_cndmask_b32_e32 v216, v233, v213, vcc_lo
	v_cndmask_b32_e64 v218, v235, v215, s2
	v_cndmask_b32_e32 v215, v232, v232, vcc_lo
	v_cndmask_b32_e64 v217, v234, v234, s2
	s_delay_alu instid0(VALU_DEP_1) | instskip(SKIP_2) | instid1(VALU_DEP_1)
	v_add_f64 v[216:217], v[215:216], v[217:218]
	v_cndmask_b32_e64 v213, v251, v219, s3
	v_cndmask_b32_e64 v215, v253, v220, s4
	v_add_f64 v[212:213], v[212:213], v[214:215]
	s_delay_alu instid0(VALU_DEP_1) | instskip(SKIP_4) | instid1(SALU_CYCLE_1)
	v_cmp_lt_f64_e32 vcc_lo, v[216:217], v[212:213]
	v_dual_cndmask_b32 v233, v233, v251 :: v_dual_cndmask_b32 v232, v232, v250
	v_dual_cndmask_b32 v235, v235, v253 :: v_dual_cndmask_b32 v234, v234, v252
	v_cndmask_b32_e64 v240, v240, s6, vcc_lo
	s_add_i32 s6, s6, 1
	s_cmp_lg_u32 s12, s6
	s_cbranch_scc1 .LBB114_24
.LBB114_25:
	s_set_inst_prefetch_distance 0x2
	s_waitcnt lgkmcnt(0)
	v_cmp_neq_f64_e32 vcc_lo, 0, v[232:233]
	v_cmp_neq_f64_e64 s2, 0, v[234:235]
	s_delay_alu instid0(VALU_DEP_1) | instskip(NEXT) | instid1(SALU_CYCLE_1)
	s_or_b32 s2, vcc_lo, s2
	s_and_saveexec_b32 s3, s2
	s_cbranch_execz .LBB114_31
; %bb.26:
	v_cmp_gt_f64_e32 vcc_lo, 0, v[232:233]
	v_cmp_gt_f64_e64 s2, 0, v[234:235]
	v_xor_b32_e32 v212, 0x80000000, v233
	v_xor_b32_e32 v214, 0x80000000, v235
	s_delay_alu instid0(VALU_DEP_2) | instskip(NEXT) | instid1(VALU_DEP_2)
	v_cndmask_b32_e32 v213, v233, v212, vcc_lo
	v_cndmask_b32_e64 v215, v235, v214, s2
	v_cndmask_b32_e32 v212, v232, v232, vcc_lo
	v_cndmask_b32_e64 v214, v234, v234, s2
	s_mov_b32 s2, exec_lo
	s_delay_alu instid0(VALU_DEP_1)
	v_cmpx_ngt_f64_e32 v[212:213], v[214:215]
	s_xor_b32 s2, exec_lo, s2
	s_cbranch_execz .LBB114_28
; %bb.27:
	v_div_scale_f64 v[212:213], null, v[234:235], v[234:235], v[232:233]
	v_div_scale_f64 v[218:219], vcc_lo, v[232:233], v[234:235], v[232:233]
	s_delay_alu instid0(VALU_DEP_2) | instskip(SKIP_2) | instid1(VALU_DEP_1)
	v_rcp_f64_e32 v[214:215], v[212:213]
	s_waitcnt_depctr 0xfff
	v_fma_f64 v[216:217], -v[212:213], v[214:215], 1.0
	v_fma_f64 v[214:215], v[214:215], v[216:217], v[214:215]
	s_delay_alu instid0(VALU_DEP_1) | instskip(NEXT) | instid1(VALU_DEP_1)
	v_fma_f64 v[216:217], -v[212:213], v[214:215], 1.0
	v_fma_f64 v[214:215], v[214:215], v[216:217], v[214:215]
	s_delay_alu instid0(VALU_DEP_1) | instskip(NEXT) | instid1(VALU_DEP_1)
	v_mul_f64 v[216:217], v[218:219], v[214:215]
	v_fma_f64 v[212:213], -v[212:213], v[216:217], v[218:219]
	s_delay_alu instid0(VALU_DEP_1) | instskip(NEXT) | instid1(VALU_DEP_1)
	v_div_fmas_f64 v[212:213], v[212:213], v[214:215], v[216:217]
	v_div_fixup_f64 v[212:213], v[212:213], v[234:235], v[232:233]
	s_delay_alu instid0(VALU_DEP_1) | instskip(NEXT) | instid1(VALU_DEP_1)
	v_fma_f64 v[214:215], v[232:233], v[212:213], v[234:235]
	v_div_scale_f64 v[216:217], null, v[214:215], v[214:215], 1.0
	s_delay_alu instid0(VALU_DEP_1) | instskip(SKIP_2) | instid1(VALU_DEP_1)
	v_rcp_f64_e32 v[218:219], v[216:217]
	s_waitcnt_depctr 0xfff
	v_fma_f64 v[220:221], -v[216:217], v[218:219], 1.0
	v_fma_f64 v[218:219], v[218:219], v[220:221], v[218:219]
	s_delay_alu instid0(VALU_DEP_1) | instskip(NEXT) | instid1(VALU_DEP_1)
	v_fma_f64 v[220:221], -v[216:217], v[218:219], 1.0
	v_fma_f64 v[218:219], v[218:219], v[220:221], v[218:219]
	v_div_scale_f64 v[220:221], vcc_lo, 1.0, v[214:215], 1.0
	s_delay_alu instid0(VALU_DEP_1) | instskip(NEXT) | instid1(VALU_DEP_1)
	v_mul_f64 v[222:223], v[220:221], v[218:219]
	v_fma_f64 v[216:217], -v[216:217], v[222:223], v[220:221]
	s_delay_alu instid0(VALU_DEP_1) | instskip(NEXT) | instid1(VALU_DEP_1)
	v_div_fmas_f64 v[216:217], v[216:217], v[218:219], v[222:223]
	v_div_fixup_f64 v[234:235], v[216:217], v[214:215], 1.0
	s_delay_alu instid0(VALU_DEP_1)
	v_mul_f64 v[232:233], v[212:213], v[234:235]
	v_xor_b32_e32 v235, 0x80000000, v235
.LBB114_28:
	s_and_not1_saveexec_b32 s2, s2
	s_cbranch_execz .LBB114_30
; %bb.29:
	s_delay_alu instid0(VALU_DEP_1) | instskip(SKIP_1) | instid1(VALU_DEP_2)
	v_div_scale_f64 v[212:213], null, v[232:233], v[232:233], v[234:235]
	v_div_scale_f64 v[218:219], vcc_lo, v[234:235], v[232:233], v[234:235]
	v_rcp_f64_e32 v[214:215], v[212:213]
	s_waitcnt_depctr 0xfff
	v_fma_f64 v[216:217], -v[212:213], v[214:215], 1.0
	s_delay_alu instid0(VALU_DEP_1) | instskip(NEXT) | instid1(VALU_DEP_1)
	v_fma_f64 v[214:215], v[214:215], v[216:217], v[214:215]
	v_fma_f64 v[216:217], -v[212:213], v[214:215], 1.0
	s_delay_alu instid0(VALU_DEP_1) | instskip(NEXT) | instid1(VALU_DEP_1)
	v_fma_f64 v[214:215], v[214:215], v[216:217], v[214:215]
	v_mul_f64 v[216:217], v[218:219], v[214:215]
	s_delay_alu instid0(VALU_DEP_1) | instskip(NEXT) | instid1(VALU_DEP_1)
	v_fma_f64 v[212:213], -v[212:213], v[216:217], v[218:219]
	v_div_fmas_f64 v[212:213], v[212:213], v[214:215], v[216:217]
	s_delay_alu instid0(VALU_DEP_1) | instskip(NEXT) | instid1(VALU_DEP_1)
	v_div_fixup_f64 v[212:213], v[212:213], v[232:233], v[234:235]
	v_fma_f64 v[214:215], v[234:235], v[212:213], v[232:233]
	s_delay_alu instid0(VALU_DEP_1) | instskip(NEXT) | instid1(VALU_DEP_1)
	v_div_scale_f64 v[216:217], null, v[214:215], v[214:215], 1.0
	v_rcp_f64_e32 v[218:219], v[216:217]
	s_waitcnt_depctr 0xfff
	v_fma_f64 v[220:221], -v[216:217], v[218:219], 1.0
	s_delay_alu instid0(VALU_DEP_1) | instskip(NEXT) | instid1(VALU_DEP_1)
	v_fma_f64 v[218:219], v[218:219], v[220:221], v[218:219]
	v_fma_f64 v[220:221], -v[216:217], v[218:219], 1.0
	s_delay_alu instid0(VALU_DEP_1) | instskip(SKIP_1) | instid1(VALU_DEP_1)
	v_fma_f64 v[218:219], v[218:219], v[220:221], v[218:219]
	v_div_scale_f64 v[220:221], vcc_lo, 1.0, v[214:215], 1.0
	v_mul_f64 v[222:223], v[220:221], v[218:219]
	s_delay_alu instid0(VALU_DEP_1) | instskip(NEXT) | instid1(VALU_DEP_1)
	v_fma_f64 v[216:217], -v[216:217], v[222:223], v[220:221]
	v_div_fmas_f64 v[216:217], v[216:217], v[218:219], v[222:223]
	s_delay_alu instid0(VALU_DEP_1) | instskip(NEXT) | instid1(VALU_DEP_1)
	v_div_fixup_f64 v[232:233], v[216:217], v[214:215], 1.0
	v_mul_f64 v[234:235], v[212:213], -v[232:233]
.LBB114_30:
	s_or_b32 exec_lo, exec_lo, s2
	v_mov_b32_e32 v245, v249
.LBB114_31:
	s_or_b32 exec_lo, exec_lo, s3
	s_delay_alu instid0(SALU_CYCLE_1)
	s_mov_b32 s2, exec_lo
	v_cmpx_ne_u32_e64 v248, v240
	s_xor_b32 s2, exec_lo, s2
	s_cbranch_execz .LBB114_37
; %bb.32:
	s_mov_b32 s3, exec_lo
	v_cmpx_eq_u32_e32 1, v248
	s_cbranch_execz .LBB114_36
; %bb.33:
	v_cmp_ne_u32_e32 vcc_lo, 1, v240
	s_xor_b32 s4, s5, -1
	s_delay_alu instid0(SALU_CYCLE_1) | instskip(NEXT) | instid1(SALU_CYCLE_1)
	s_and_b32 s6, s4, vcc_lo
	s_and_saveexec_b32 s4, s6
	s_cbranch_execz .LBB114_35
; %bb.34:
	scratch_load_b64 v[208:209], off, off   ; 8-byte Folded Reload
	v_ashrrev_i32_e32 v241, 31, v240
	s_delay_alu instid0(VALU_DEP_1) | instskip(SKIP_1) | instid1(VALU_DEP_1)
	v_lshlrev_b64 v[212:213], 2, v[240:241]
	s_waitcnt vmcnt(0)
	v_add_co_u32 v212, vcc_lo, v208, v212
	s_delay_alu instid0(VALU_DEP_2)
	v_add_co_ci_u32_e32 v213, vcc_lo, v209, v213, vcc_lo
	s_clause 0x1
	flat_load_b32 v214, v[212:213]
	flat_load_b32 v215, v[208:209] offset:4
	s_waitcnt vmcnt(1) lgkmcnt(1)
	flat_store_b32 v[208:209], v214 offset:4
	s_waitcnt vmcnt(0) lgkmcnt(1)
	flat_store_b32 v[212:213], v215
.LBB114_35:
	s_or_b32 exec_lo, exec_lo, s4
	v_mov_b32_e32 v248, v240
	v_mov_b32_e32 v236, v240
.LBB114_36:
	s_or_b32 exec_lo, exec_lo, s3
.LBB114_37:
	s_and_not1_saveexec_b32 s2, s2
	s_cbranch_execz .LBB114_39
; %bb.38:
	scratch_load_b128 v[208:211], off, off offset:24 ; 16-byte Folded Reload
	v_mov_b32_e32 v248, 1
	s_waitcnt vmcnt(0)
	ds_store_2addr_b64 v242, v[208:209], v[210:211] offset0:4 offset1:5
	scratch_load_b128 v[208:211], off, off offset:8 ; 16-byte Folded Reload
	s_waitcnt vmcnt(0)
	ds_store_2addr_b64 v242, v[208:209], v[210:211] offset0:6 offset1:7
	ds_store_2addr_b64 v242, v[4:5], v[6:7] offset0:8 offset1:9
	;; [unrolled: 1-line block ×55, first 2 shown]
.LBB114_39:
	s_or_b32 exec_lo, exec_lo, s2
	s_delay_alu instid0(SALU_CYCLE_1)
	s_mov_b32 s2, exec_lo
	s_waitcnt lgkmcnt(0)
	s_waitcnt_vscnt null, 0x0
	s_barrier
	buffer_gl0_inv
	v_cmpx_lt_i32_e32 1, v248
	s_cbranch_execz .LBB114_41
; %bb.40:
	s_clause 0x1
	scratch_load_b128 v[214:217], off, off offset:40
	scratch_load_b128 v[208:211], off, off offset:24
	s_waitcnt vmcnt(1)
	v_mul_f64 v[212:213], v[234:235], v[216:217]
	s_delay_alu instid0(VALU_DEP_1) | instskip(SKIP_1) | instid1(VALU_DEP_1)
	v_fma_f64 v[240:241], v[232:233], v[214:215], -v[212:213]
	v_mul_f64 v[212:213], v[232:233], v[216:217]
	v_fma_f64 v[216:217], v[234:235], v[214:215], v[212:213]
	ds_load_2addr_b64 v[232:235], v242 offset0:4 offset1:5
	s_waitcnt lgkmcnt(0)
	v_mul_f64 v[212:213], v[234:235], v[216:217]
	v_mul_f64 v[214:215], v[232:233], v[216:217]
	s_delay_alu instid0(VALU_DEP_2) | instskip(NEXT) | instid1(VALU_DEP_2)
	v_fma_f64 v[212:213], v[232:233], v[240:241], -v[212:213]
	v_fma_f64 v[214:215], v[234:235], v[240:241], v[214:215]
	ds_load_2addr_b64 v[232:235], v242 offset0:6 offset1:7
	s_waitcnt vmcnt(0)
	v_add_f64 v[208:209], v[208:209], -v[212:213]
	v_add_f64 v[210:211], v[210:211], -v[214:215]
	s_waitcnt lgkmcnt(0)
	v_mul_f64 v[212:213], v[234:235], v[216:217]
	v_mul_f64 v[214:215], v[232:233], v[216:217]
	scratch_store_b128 off, v[208:211], off offset:24 ; 16-byte Folded Spill
	scratch_load_b128 v[208:211], off, off offset:8 ; 16-byte Folded Reload
	v_fma_f64 v[212:213], v[232:233], v[240:241], -v[212:213]
	v_fma_f64 v[214:215], v[234:235], v[240:241], v[214:215]
	ds_load_2addr_b64 v[232:235], v242 offset0:8 offset1:9
	s_waitcnt vmcnt(0)
	v_add_f64 v[208:209], v[208:209], -v[212:213]
	v_add_f64 v[210:211], v[210:211], -v[214:215]
	s_waitcnt lgkmcnt(0)
	v_mul_f64 v[212:213], v[234:235], v[216:217]
	v_mul_f64 v[214:215], v[232:233], v[216:217]
	s_delay_alu instid0(VALU_DEP_2) | instskip(NEXT) | instid1(VALU_DEP_2)
	v_fma_f64 v[212:213], v[232:233], v[240:241], -v[212:213]
	v_fma_f64 v[214:215], v[234:235], v[240:241], v[214:215]
	ds_load_2addr_b64 v[232:235], v242 offset0:10 offset1:11
	v_add_f64 v[4:5], v[4:5], -v[212:213]
	v_add_f64 v[6:7], v[6:7], -v[214:215]
	s_waitcnt lgkmcnt(0)
	v_mul_f64 v[212:213], v[234:235], v[216:217]
	v_mul_f64 v[214:215], v[232:233], v[216:217]
	s_delay_alu instid0(VALU_DEP_2) | instskip(NEXT) | instid1(VALU_DEP_2)
	v_fma_f64 v[212:213], v[232:233], v[240:241], -v[212:213]
	v_fma_f64 v[214:215], v[234:235], v[240:241], v[214:215]
	ds_load_2addr_b64 v[232:235], v242 offset0:12 offset1:13
	;; [unrolled: 9-line block ×53, first 2 shown]
	v_add_f64 v[224:225], v[224:225], -v[212:213]
	v_add_f64 v[226:227], v[226:227], -v[214:215]
	s_waitcnt lgkmcnt(0)
	v_mul_f64 v[212:213], v[234:235], v[216:217]
	v_mul_f64 v[214:215], v[232:233], v[216:217]
	s_delay_alu instid0(VALU_DEP_2) | instskip(NEXT) | instid1(VALU_DEP_2)
	v_fma_f64 v[212:213], v[232:233], v[240:241], -v[212:213]
	v_fma_f64 v[214:215], v[234:235], v[240:241], v[214:215]
	s_delay_alu instid0(VALU_DEP_2) | instskip(NEXT) | instid1(VALU_DEP_2)
	v_add_f64 v[0:1], v[0:1], -v[212:213]
	v_add_f64 v[2:3], v[2:3], -v[214:215]
	v_dual_mov_b32 v214, v240 :: v_dual_mov_b32 v215, v241
	s_clause 0x1
	scratch_store_b128 off, v[208:211], off offset:8
	scratch_store_b128 off, v[214:217], off offset:40
.LBB114_41:
	s_or_b32 exec_lo, exec_lo, s2
	s_waitcnt_vscnt null, 0x0
	s_barrier
	buffer_gl0_inv
	scratch_load_b128 v[208:211], off, off offset:24 ; 16-byte Folded Reload
	v_lshl_add_u32 v212, v248, 4, v242
	v_mov_b32_e32 v240, 2
	s_cmp_lt_i32 s12, 4
	s_waitcnt vmcnt(0)
	ds_store_2addr_b64 v212, v[208:209], v[210:211] offset1:1
	s_waitcnt lgkmcnt(0)
	s_barrier
	buffer_gl0_inv
	ds_load_2addr_b64 v[232:235], v242 offset0:4 offset1:5
	s_cbranch_scc1 .LBB114_44
; %bb.42:
	v_add3_u32 v241, v246, 0, 48
	v_mov_b32_e32 v240, 2
	s_mov_b32 s6, 3
	s_set_inst_prefetch_distance 0x1
	.p2align	6
.LBB114_43:                             ; =>This Inner Loop Header: Depth=1
	ds_load_2addr_b64 v[249:252], v241 offset1:1
	s_waitcnt lgkmcnt(1)
	v_cmp_gt_f64_e32 vcc_lo, 0, v[232:233]
	v_cmp_gt_f64_e64 s2, 0, v[234:235]
	v_xor_b32_e32 v213, 0x80000000, v233
	v_xor_b32_e32 v215, 0x80000000, v235
	v_add_nc_u32_e32 v241, 16, v241
	s_waitcnt lgkmcnt(0)
	v_cmp_gt_f64_e64 s3, 0, v[249:250]
	v_cmp_gt_f64_e64 s4, 0, v[251:252]
	v_xor_b32_e32 v219, 0x80000000, v250
	v_mov_b32_e32 v212, v249
	v_xor_b32_e32 v220, 0x80000000, v252
	v_mov_b32_e32 v214, v251
	v_cndmask_b32_e32 v216, v233, v213, vcc_lo
	v_cndmask_b32_e64 v218, v235, v215, s2
	v_cndmask_b32_e32 v215, v232, v232, vcc_lo
	v_cndmask_b32_e64 v217, v234, v234, s2
	s_delay_alu instid0(VALU_DEP_1) | instskip(SKIP_2) | instid1(VALU_DEP_1)
	v_add_f64 v[216:217], v[215:216], v[217:218]
	v_cndmask_b32_e64 v213, v250, v219, s3
	v_cndmask_b32_e64 v215, v252, v220, s4
	v_add_f64 v[212:213], v[212:213], v[214:215]
	s_delay_alu instid0(VALU_DEP_1)
	v_cmp_lt_f64_e32 vcc_lo, v[216:217], v[212:213]
	v_cndmask_b32_e32 v235, v235, v252, vcc_lo
	v_dual_cndmask_b32 v233, v233, v250 :: v_dual_cndmask_b32 v232, v232, v249
	v_cndmask_b32_e32 v234, v234, v251, vcc_lo
	v_cndmask_b32_e64 v240, v240, s6, vcc_lo
	s_add_i32 s6, s6, 1
	s_delay_alu instid0(SALU_CYCLE_1)
	s_cmp_lg_u32 s12, s6
	s_cbranch_scc1 .LBB114_43
.LBB114_44:
	s_set_inst_prefetch_distance 0x2
	s_waitcnt lgkmcnt(0)
	v_cmp_eq_f64_e32 vcc_lo, 0, v[232:233]
	v_cmp_eq_f64_e64 s2, 0, v[234:235]
	s_delay_alu instid0(VALU_DEP_1) | instskip(NEXT) | instid1(SALU_CYCLE_1)
	s_and_b32 s2, vcc_lo, s2
	s_and_saveexec_b32 s3, s2
	s_delay_alu instid0(SALU_CYCLE_1)
	s_xor_b32 s2, exec_lo, s3
; %bb.45:
	v_cmp_ne_u32_e32 vcc_lo, 0, v245
	v_cndmask_b32_e32 v245, 3, v245, vcc_lo
; %bb.46:
	s_and_not1_saveexec_b32 s3, s2
	s_cbranch_execz .LBB114_52
; %bb.47:
	v_cmp_gt_f64_e32 vcc_lo, 0, v[232:233]
	v_cmp_gt_f64_e64 s2, 0, v[234:235]
	v_xor_b32_e32 v212, 0x80000000, v233
	v_xor_b32_e32 v214, 0x80000000, v235
	s_delay_alu instid0(VALU_DEP_2) | instskip(NEXT) | instid1(VALU_DEP_2)
	v_cndmask_b32_e32 v213, v233, v212, vcc_lo
	v_cndmask_b32_e64 v215, v235, v214, s2
	v_cndmask_b32_e32 v212, v232, v232, vcc_lo
	v_cndmask_b32_e64 v214, v234, v234, s2
	s_mov_b32 s2, exec_lo
	s_delay_alu instid0(VALU_DEP_1)
	v_cmpx_ngt_f64_e32 v[212:213], v[214:215]
	s_xor_b32 s2, exec_lo, s2
	s_cbranch_execz .LBB114_49
; %bb.48:
	v_div_scale_f64 v[212:213], null, v[234:235], v[234:235], v[232:233]
	v_div_scale_f64 v[218:219], vcc_lo, v[232:233], v[234:235], v[232:233]
	s_delay_alu instid0(VALU_DEP_2) | instskip(SKIP_2) | instid1(VALU_DEP_1)
	v_rcp_f64_e32 v[214:215], v[212:213]
	s_waitcnt_depctr 0xfff
	v_fma_f64 v[216:217], -v[212:213], v[214:215], 1.0
	v_fma_f64 v[214:215], v[214:215], v[216:217], v[214:215]
	s_delay_alu instid0(VALU_DEP_1) | instskip(NEXT) | instid1(VALU_DEP_1)
	v_fma_f64 v[216:217], -v[212:213], v[214:215], 1.0
	v_fma_f64 v[214:215], v[214:215], v[216:217], v[214:215]
	s_delay_alu instid0(VALU_DEP_1) | instskip(NEXT) | instid1(VALU_DEP_1)
	v_mul_f64 v[216:217], v[218:219], v[214:215]
	v_fma_f64 v[212:213], -v[212:213], v[216:217], v[218:219]
	s_delay_alu instid0(VALU_DEP_1) | instskip(NEXT) | instid1(VALU_DEP_1)
	v_div_fmas_f64 v[212:213], v[212:213], v[214:215], v[216:217]
	v_div_fixup_f64 v[212:213], v[212:213], v[234:235], v[232:233]
	s_delay_alu instid0(VALU_DEP_1) | instskip(NEXT) | instid1(VALU_DEP_1)
	v_fma_f64 v[214:215], v[232:233], v[212:213], v[234:235]
	v_div_scale_f64 v[216:217], null, v[214:215], v[214:215], 1.0
	s_delay_alu instid0(VALU_DEP_1) | instskip(SKIP_2) | instid1(VALU_DEP_1)
	v_rcp_f64_e32 v[218:219], v[216:217]
	s_waitcnt_depctr 0xfff
	v_fma_f64 v[220:221], -v[216:217], v[218:219], 1.0
	v_fma_f64 v[218:219], v[218:219], v[220:221], v[218:219]
	s_delay_alu instid0(VALU_DEP_1) | instskip(NEXT) | instid1(VALU_DEP_1)
	v_fma_f64 v[220:221], -v[216:217], v[218:219], 1.0
	v_fma_f64 v[218:219], v[218:219], v[220:221], v[218:219]
	v_div_scale_f64 v[220:221], vcc_lo, 1.0, v[214:215], 1.0
	s_delay_alu instid0(VALU_DEP_1) | instskip(NEXT) | instid1(VALU_DEP_1)
	v_mul_f64 v[222:223], v[220:221], v[218:219]
	v_fma_f64 v[216:217], -v[216:217], v[222:223], v[220:221]
	s_delay_alu instid0(VALU_DEP_1) | instskip(NEXT) | instid1(VALU_DEP_1)
	v_div_fmas_f64 v[216:217], v[216:217], v[218:219], v[222:223]
	v_div_fixup_f64 v[234:235], v[216:217], v[214:215], 1.0
	s_delay_alu instid0(VALU_DEP_1)
	v_mul_f64 v[232:233], v[212:213], v[234:235]
	v_xor_b32_e32 v235, 0x80000000, v235
.LBB114_49:
	s_and_not1_saveexec_b32 s2, s2
	s_cbranch_execz .LBB114_51
; %bb.50:
	s_delay_alu instid0(VALU_DEP_1) | instskip(SKIP_1) | instid1(VALU_DEP_2)
	v_div_scale_f64 v[212:213], null, v[232:233], v[232:233], v[234:235]
	v_div_scale_f64 v[218:219], vcc_lo, v[234:235], v[232:233], v[234:235]
	v_rcp_f64_e32 v[214:215], v[212:213]
	s_waitcnt_depctr 0xfff
	v_fma_f64 v[216:217], -v[212:213], v[214:215], 1.0
	s_delay_alu instid0(VALU_DEP_1) | instskip(NEXT) | instid1(VALU_DEP_1)
	v_fma_f64 v[214:215], v[214:215], v[216:217], v[214:215]
	v_fma_f64 v[216:217], -v[212:213], v[214:215], 1.0
	s_delay_alu instid0(VALU_DEP_1) | instskip(NEXT) | instid1(VALU_DEP_1)
	v_fma_f64 v[214:215], v[214:215], v[216:217], v[214:215]
	v_mul_f64 v[216:217], v[218:219], v[214:215]
	s_delay_alu instid0(VALU_DEP_1) | instskip(NEXT) | instid1(VALU_DEP_1)
	v_fma_f64 v[212:213], -v[212:213], v[216:217], v[218:219]
	v_div_fmas_f64 v[212:213], v[212:213], v[214:215], v[216:217]
	s_delay_alu instid0(VALU_DEP_1) | instskip(NEXT) | instid1(VALU_DEP_1)
	v_div_fixup_f64 v[212:213], v[212:213], v[232:233], v[234:235]
	v_fma_f64 v[214:215], v[234:235], v[212:213], v[232:233]
	s_delay_alu instid0(VALU_DEP_1) | instskip(NEXT) | instid1(VALU_DEP_1)
	v_div_scale_f64 v[216:217], null, v[214:215], v[214:215], 1.0
	v_rcp_f64_e32 v[218:219], v[216:217]
	s_waitcnt_depctr 0xfff
	v_fma_f64 v[220:221], -v[216:217], v[218:219], 1.0
	s_delay_alu instid0(VALU_DEP_1) | instskip(NEXT) | instid1(VALU_DEP_1)
	v_fma_f64 v[218:219], v[218:219], v[220:221], v[218:219]
	v_fma_f64 v[220:221], -v[216:217], v[218:219], 1.0
	s_delay_alu instid0(VALU_DEP_1) | instskip(SKIP_1) | instid1(VALU_DEP_1)
	v_fma_f64 v[218:219], v[218:219], v[220:221], v[218:219]
	v_div_scale_f64 v[220:221], vcc_lo, 1.0, v[214:215], 1.0
	v_mul_f64 v[222:223], v[220:221], v[218:219]
	s_delay_alu instid0(VALU_DEP_1) | instskip(NEXT) | instid1(VALU_DEP_1)
	v_fma_f64 v[216:217], -v[216:217], v[222:223], v[220:221]
	v_div_fmas_f64 v[216:217], v[216:217], v[218:219], v[222:223]
	s_delay_alu instid0(VALU_DEP_1) | instskip(NEXT) | instid1(VALU_DEP_1)
	v_div_fixup_f64 v[232:233], v[216:217], v[214:215], 1.0
	v_mul_f64 v[234:235], v[212:213], -v[232:233]
.LBB114_51:
	s_or_b32 exec_lo, exec_lo, s2
.LBB114_52:
	s_delay_alu instid0(SALU_CYCLE_1) | instskip(NEXT) | instid1(SALU_CYCLE_1)
	s_or_b32 exec_lo, exec_lo, s3
	s_mov_b32 s2, exec_lo
	v_cmpx_ne_u32_e64 v248, v240
	s_xor_b32 s2, exec_lo, s2
	s_cbranch_execz .LBB114_58
; %bb.53:
	s_mov_b32 s3, exec_lo
	v_cmpx_eq_u32_e32 2, v248
	s_cbranch_execz .LBB114_57
; %bb.54:
	v_cmp_ne_u32_e32 vcc_lo, 2, v240
	s_xor_b32 s4, s5, -1
	s_delay_alu instid0(SALU_CYCLE_1) | instskip(NEXT) | instid1(SALU_CYCLE_1)
	s_and_b32 s6, s4, vcc_lo
	s_and_saveexec_b32 s4, s6
	s_cbranch_execz .LBB114_56
; %bb.55:
	scratch_load_b64 v[208:209], off, off   ; 8-byte Folded Reload
	v_ashrrev_i32_e32 v241, 31, v240
	s_delay_alu instid0(VALU_DEP_1) | instskip(SKIP_1) | instid1(VALU_DEP_1)
	v_lshlrev_b64 v[212:213], 2, v[240:241]
	s_waitcnt vmcnt(0)
	v_add_co_u32 v212, vcc_lo, v208, v212
	s_delay_alu instid0(VALU_DEP_2)
	v_add_co_ci_u32_e32 v213, vcc_lo, v209, v213, vcc_lo
	s_clause 0x1
	flat_load_b32 v214, v[212:213]
	flat_load_b32 v215, v[208:209] offset:8
	s_waitcnt vmcnt(1) lgkmcnt(1)
	flat_store_b32 v[208:209], v214 offset:8
	s_waitcnt vmcnt(0) lgkmcnt(1)
	flat_store_b32 v[212:213], v215
.LBB114_56:
	s_or_b32 exec_lo, exec_lo, s4
	v_mov_b32_e32 v248, v240
	v_mov_b32_e32 v236, v240
.LBB114_57:
	s_or_b32 exec_lo, exec_lo, s3
.LBB114_58:
	s_and_not1_saveexec_b32 s2, s2
	s_cbranch_execz .LBB114_60
; %bb.59:
	scratch_load_b128 v[208:211], off, off offset:8 ; 16-byte Folded Reload
	v_mov_b32_e32 v248, 2
	s_waitcnt vmcnt(0)
	ds_store_2addr_b64 v242, v[208:209], v[210:211] offset0:6 offset1:7
	ds_store_2addr_b64 v242, v[4:5], v[6:7] offset0:8 offset1:9
	;; [unrolled: 1-line block ×55, first 2 shown]
.LBB114_60:
	s_or_b32 exec_lo, exec_lo, s2
	s_delay_alu instid0(SALU_CYCLE_1)
	s_mov_b32 s2, exec_lo
	s_waitcnt lgkmcnt(0)
	s_waitcnt_vscnt null, 0x0
	s_barrier
	buffer_gl0_inv
	v_cmpx_lt_i32_e32 2, v248
	s_cbranch_execz .LBB114_62
; %bb.61:
	s_clause 0x1
	scratch_load_b128 v[214:217], off, off offset:24
	scratch_load_b128 v[208:211], off, off offset:8
	s_waitcnt vmcnt(1)
	v_mul_f64 v[212:213], v[234:235], v[216:217]
	s_delay_alu instid0(VALU_DEP_1) | instskip(SKIP_1) | instid1(VALU_DEP_1)
	v_fma_f64 v[240:241], v[232:233], v[214:215], -v[212:213]
	v_mul_f64 v[212:213], v[232:233], v[216:217]
	v_fma_f64 v[216:217], v[234:235], v[214:215], v[212:213]
	ds_load_2addr_b64 v[232:235], v242 offset0:6 offset1:7
	s_waitcnt lgkmcnt(0)
	v_mul_f64 v[212:213], v[234:235], v[216:217]
	v_mul_f64 v[214:215], v[232:233], v[216:217]
	s_delay_alu instid0(VALU_DEP_2) | instskip(NEXT) | instid1(VALU_DEP_2)
	v_fma_f64 v[212:213], v[232:233], v[240:241], -v[212:213]
	v_fma_f64 v[214:215], v[234:235], v[240:241], v[214:215]
	ds_load_2addr_b64 v[232:235], v242 offset0:8 offset1:9
	s_waitcnt vmcnt(0)
	v_add_f64 v[208:209], v[208:209], -v[212:213]
	v_add_f64 v[210:211], v[210:211], -v[214:215]
	s_waitcnt lgkmcnt(0)
	v_mul_f64 v[212:213], v[234:235], v[216:217]
	v_mul_f64 v[214:215], v[232:233], v[216:217]
	s_delay_alu instid0(VALU_DEP_2) | instskip(NEXT) | instid1(VALU_DEP_2)
	v_fma_f64 v[212:213], v[232:233], v[240:241], -v[212:213]
	v_fma_f64 v[214:215], v[234:235], v[240:241], v[214:215]
	ds_load_2addr_b64 v[232:235], v242 offset0:10 offset1:11
	v_add_f64 v[4:5], v[4:5], -v[212:213]
	v_add_f64 v[6:7], v[6:7], -v[214:215]
	s_waitcnt lgkmcnt(0)
	v_mul_f64 v[212:213], v[234:235], v[216:217]
	v_mul_f64 v[214:215], v[232:233], v[216:217]
	s_delay_alu instid0(VALU_DEP_2) | instskip(NEXT) | instid1(VALU_DEP_2)
	v_fma_f64 v[212:213], v[232:233], v[240:241], -v[212:213]
	v_fma_f64 v[214:215], v[234:235], v[240:241], v[214:215]
	ds_load_2addr_b64 v[232:235], v242 offset0:12 offset1:13
	;; [unrolled: 9-line block ×53, first 2 shown]
	v_add_f64 v[224:225], v[224:225], -v[212:213]
	v_add_f64 v[226:227], v[226:227], -v[214:215]
	s_waitcnt lgkmcnt(0)
	v_mul_f64 v[212:213], v[234:235], v[216:217]
	v_mul_f64 v[214:215], v[232:233], v[216:217]
	s_delay_alu instid0(VALU_DEP_2) | instskip(NEXT) | instid1(VALU_DEP_2)
	v_fma_f64 v[212:213], v[232:233], v[240:241], -v[212:213]
	v_fma_f64 v[214:215], v[234:235], v[240:241], v[214:215]
	s_delay_alu instid0(VALU_DEP_2) | instskip(NEXT) | instid1(VALU_DEP_2)
	v_add_f64 v[0:1], v[0:1], -v[212:213]
	v_add_f64 v[2:3], v[2:3], -v[214:215]
	v_dual_mov_b32 v214, v240 :: v_dual_mov_b32 v215, v241
	s_clause 0x1
	scratch_store_b128 off, v[208:211], off offset:8
	scratch_store_b128 off, v[214:217], off offset:24
.LBB114_62:
	s_or_b32 exec_lo, exec_lo, s2
	s_waitcnt_vscnt null, 0x0
	s_barrier
	buffer_gl0_inv
	scratch_load_b128 v[208:211], off, off offset:8 ; 16-byte Folded Reload
	v_lshl_add_u32 v212, v248, 4, v242
	v_mov_b32_e32 v240, 3
	s_cmp_lt_i32 s12, 5
	s_mov_b32 s6, 4
	s_waitcnt vmcnt(0)
	ds_store_2addr_b64 v212, v[208:209], v[210:211] offset1:1
	s_waitcnt lgkmcnt(0)
	s_barrier
	buffer_gl0_inv
	ds_load_2addr_b64 v[232:235], v242 offset0:6 offset1:7
	s_cbranch_scc1 .LBB114_65
; %bb.63:
	v_add3_u32 v241, v246, 0, 64
	v_mov_b32_e32 v240, 3
	s_set_inst_prefetch_distance 0x1
	.p2align	6
.LBB114_64:                             ; =>This Inner Loop Header: Depth=1
	ds_load_2addr_b64 v[249:252], v241 offset1:1
	s_waitcnt lgkmcnt(1)
	v_cmp_gt_f64_e32 vcc_lo, 0, v[232:233]
	v_cmp_gt_f64_e64 s2, 0, v[234:235]
	v_xor_b32_e32 v213, 0x80000000, v233
	v_xor_b32_e32 v215, 0x80000000, v235
	v_add_nc_u32_e32 v241, 16, v241
	s_waitcnt lgkmcnt(0)
	v_cmp_gt_f64_e64 s3, 0, v[249:250]
	v_cmp_gt_f64_e64 s4, 0, v[251:252]
	v_xor_b32_e32 v219, 0x80000000, v250
	v_mov_b32_e32 v212, v249
	v_xor_b32_e32 v220, 0x80000000, v252
	v_mov_b32_e32 v214, v251
	v_cndmask_b32_e32 v216, v233, v213, vcc_lo
	v_cndmask_b32_e64 v218, v235, v215, s2
	v_cndmask_b32_e32 v215, v232, v232, vcc_lo
	v_cndmask_b32_e64 v217, v234, v234, s2
	s_delay_alu instid0(VALU_DEP_1) | instskip(SKIP_2) | instid1(VALU_DEP_1)
	v_add_f64 v[216:217], v[215:216], v[217:218]
	v_cndmask_b32_e64 v213, v250, v219, s3
	v_cndmask_b32_e64 v215, v252, v220, s4
	v_add_f64 v[212:213], v[212:213], v[214:215]
	s_delay_alu instid0(VALU_DEP_1)
	v_cmp_lt_f64_e32 vcc_lo, v[216:217], v[212:213]
	v_cndmask_b32_e32 v235, v235, v252, vcc_lo
	v_dual_cndmask_b32 v233, v233, v250 :: v_dual_cndmask_b32 v232, v232, v249
	v_cndmask_b32_e32 v234, v234, v251, vcc_lo
	v_cndmask_b32_e64 v240, v240, s6, vcc_lo
	s_add_i32 s6, s6, 1
	s_delay_alu instid0(SALU_CYCLE_1)
	s_cmp_lg_u32 s12, s6
	s_cbranch_scc1 .LBB114_64
.LBB114_65:
	s_set_inst_prefetch_distance 0x2
	s_waitcnt lgkmcnt(0)
	v_cmp_eq_f64_e32 vcc_lo, 0, v[232:233]
	v_cmp_eq_f64_e64 s2, 0, v[234:235]
	s_delay_alu instid0(VALU_DEP_1) | instskip(NEXT) | instid1(SALU_CYCLE_1)
	s_and_b32 s2, vcc_lo, s2
	s_and_saveexec_b32 s3, s2
	s_delay_alu instid0(SALU_CYCLE_1)
	s_xor_b32 s2, exec_lo, s3
; %bb.66:
	v_cmp_ne_u32_e32 vcc_lo, 0, v245
	v_cndmask_b32_e32 v245, 4, v245, vcc_lo
; %bb.67:
	s_and_not1_saveexec_b32 s3, s2
	s_cbranch_execz .LBB114_73
; %bb.68:
	v_cmp_gt_f64_e32 vcc_lo, 0, v[232:233]
	v_cmp_gt_f64_e64 s2, 0, v[234:235]
	v_xor_b32_e32 v212, 0x80000000, v233
	v_xor_b32_e32 v214, 0x80000000, v235
	s_delay_alu instid0(VALU_DEP_2) | instskip(NEXT) | instid1(VALU_DEP_2)
	v_cndmask_b32_e32 v213, v233, v212, vcc_lo
	v_cndmask_b32_e64 v215, v235, v214, s2
	v_cndmask_b32_e32 v212, v232, v232, vcc_lo
	v_cndmask_b32_e64 v214, v234, v234, s2
	s_mov_b32 s2, exec_lo
	s_delay_alu instid0(VALU_DEP_1)
	v_cmpx_ngt_f64_e32 v[212:213], v[214:215]
	s_xor_b32 s2, exec_lo, s2
	s_cbranch_execz .LBB114_70
; %bb.69:
	v_div_scale_f64 v[212:213], null, v[234:235], v[234:235], v[232:233]
	v_div_scale_f64 v[218:219], vcc_lo, v[232:233], v[234:235], v[232:233]
	s_delay_alu instid0(VALU_DEP_2) | instskip(SKIP_2) | instid1(VALU_DEP_1)
	v_rcp_f64_e32 v[214:215], v[212:213]
	s_waitcnt_depctr 0xfff
	v_fma_f64 v[216:217], -v[212:213], v[214:215], 1.0
	v_fma_f64 v[214:215], v[214:215], v[216:217], v[214:215]
	s_delay_alu instid0(VALU_DEP_1) | instskip(NEXT) | instid1(VALU_DEP_1)
	v_fma_f64 v[216:217], -v[212:213], v[214:215], 1.0
	v_fma_f64 v[214:215], v[214:215], v[216:217], v[214:215]
	s_delay_alu instid0(VALU_DEP_1) | instskip(NEXT) | instid1(VALU_DEP_1)
	v_mul_f64 v[216:217], v[218:219], v[214:215]
	v_fma_f64 v[212:213], -v[212:213], v[216:217], v[218:219]
	s_delay_alu instid0(VALU_DEP_1) | instskip(NEXT) | instid1(VALU_DEP_1)
	v_div_fmas_f64 v[212:213], v[212:213], v[214:215], v[216:217]
	v_div_fixup_f64 v[212:213], v[212:213], v[234:235], v[232:233]
	s_delay_alu instid0(VALU_DEP_1) | instskip(NEXT) | instid1(VALU_DEP_1)
	v_fma_f64 v[214:215], v[232:233], v[212:213], v[234:235]
	v_div_scale_f64 v[216:217], null, v[214:215], v[214:215], 1.0
	s_delay_alu instid0(VALU_DEP_1) | instskip(SKIP_2) | instid1(VALU_DEP_1)
	v_rcp_f64_e32 v[218:219], v[216:217]
	s_waitcnt_depctr 0xfff
	v_fma_f64 v[220:221], -v[216:217], v[218:219], 1.0
	v_fma_f64 v[218:219], v[218:219], v[220:221], v[218:219]
	s_delay_alu instid0(VALU_DEP_1) | instskip(NEXT) | instid1(VALU_DEP_1)
	v_fma_f64 v[220:221], -v[216:217], v[218:219], 1.0
	v_fma_f64 v[218:219], v[218:219], v[220:221], v[218:219]
	v_div_scale_f64 v[220:221], vcc_lo, 1.0, v[214:215], 1.0
	s_delay_alu instid0(VALU_DEP_1) | instskip(NEXT) | instid1(VALU_DEP_1)
	v_mul_f64 v[222:223], v[220:221], v[218:219]
	v_fma_f64 v[216:217], -v[216:217], v[222:223], v[220:221]
	s_delay_alu instid0(VALU_DEP_1) | instskip(NEXT) | instid1(VALU_DEP_1)
	v_div_fmas_f64 v[216:217], v[216:217], v[218:219], v[222:223]
	v_div_fixup_f64 v[234:235], v[216:217], v[214:215], 1.0
	s_delay_alu instid0(VALU_DEP_1)
	v_mul_f64 v[232:233], v[212:213], v[234:235]
	v_xor_b32_e32 v235, 0x80000000, v235
.LBB114_70:
	s_and_not1_saveexec_b32 s2, s2
	s_cbranch_execz .LBB114_72
; %bb.71:
	s_delay_alu instid0(VALU_DEP_1) | instskip(SKIP_1) | instid1(VALU_DEP_2)
	v_div_scale_f64 v[212:213], null, v[232:233], v[232:233], v[234:235]
	v_div_scale_f64 v[218:219], vcc_lo, v[234:235], v[232:233], v[234:235]
	v_rcp_f64_e32 v[214:215], v[212:213]
	s_waitcnt_depctr 0xfff
	v_fma_f64 v[216:217], -v[212:213], v[214:215], 1.0
	s_delay_alu instid0(VALU_DEP_1) | instskip(NEXT) | instid1(VALU_DEP_1)
	v_fma_f64 v[214:215], v[214:215], v[216:217], v[214:215]
	v_fma_f64 v[216:217], -v[212:213], v[214:215], 1.0
	s_delay_alu instid0(VALU_DEP_1) | instskip(NEXT) | instid1(VALU_DEP_1)
	v_fma_f64 v[214:215], v[214:215], v[216:217], v[214:215]
	v_mul_f64 v[216:217], v[218:219], v[214:215]
	s_delay_alu instid0(VALU_DEP_1) | instskip(NEXT) | instid1(VALU_DEP_1)
	v_fma_f64 v[212:213], -v[212:213], v[216:217], v[218:219]
	v_div_fmas_f64 v[212:213], v[212:213], v[214:215], v[216:217]
	s_delay_alu instid0(VALU_DEP_1) | instskip(NEXT) | instid1(VALU_DEP_1)
	v_div_fixup_f64 v[212:213], v[212:213], v[232:233], v[234:235]
	v_fma_f64 v[214:215], v[234:235], v[212:213], v[232:233]
	s_delay_alu instid0(VALU_DEP_1) | instskip(NEXT) | instid1(VALU_DEP_1)
	v_div_scale_f64 v[216:217], null, v[214:215], v[214:215], 1.0
	v_rcp_f64_e32 v[218:219], v[216:217]
	s_waitcnt_depctr 0xfff
	v_fma_f64 v[220:221], -v[216:217], v[218:219], 1.0
	s_delay_alu instid0(VALU_DEP_1) | instskip(NEXT) | instid1(VALU_DEP_1)
	v_fma_f64 v[218:219], v[218:219], v[220:221], v[218:219]
	v_fma_f64 v[220:221], -v[216:217], v[218:219], 1.0
	s_delay_alu instid0(VALU_DEP_1) | instskip(SKIP_1) | instid1(VALU_DEP_1)
	v_fma_f64 v[218:219], v[218:219], v[220:221], v[218:219]
	v_div_scale_f64 v[220:221], vcc_lo, 1.0, v[214:215], 1.0
	v_mul_f64 v[222:223], v[220:221], v[218:219]
	s_delay_alu instid0(VALU_DEP_1) | instskip(NEXT) | instid1(VALU_DEP_1)
	v_fma_f64 v[216:217], -v[216:217], v[222:223], v[220:221]
	v_div_fmas_f64 v[216:217], v[216:217], v[218:219], v[222:223]
	s_delay_alu instid0(VALU_DEP_1) | instskip(NEXT) | instid1(VALU_DEP_1)
	v_div_fixup_f64 v[232:233], v[216:217], v[214:215], 1.0
	v_mul_f64 v[234:235], v[212:213], -v[232:233]
.LBB114_72:
	s_or_b32 exec_lo, exec_lo, s2
.LBB114_73:
	s_delay_alu instid0(SALU_CYCLE_1) | instskip(NEXT) | instid1(SALU_CYCLE_1)
	s_or_b32 exec_lo, exec_lo, s3
	s_mov_b32 s2, exec_lo
	v_cmpx_ne_u32_e64 v248, v240
	s_xor_b32 s2, exec_lo, s2
	s_cbranch_execz .LBB114_79
; %bb.74:
	s_mov_b32 s3, exec_lo
	v_cmpx_eq_u32_e32 3, v248
	s_cbranch_execz .LBB114_78
; %bb.75:
	v_cmp_ne_u32_e32 vcc_lo, 3, v240
	s_xor_b32 s4, s5, -1
	s_delay_alu instid0(SALU_CYCLE_1) | instskip(NEXT) | instid1(SALU_CYCLE_1)
	s_and_b32 s6, s4, vcc_lo
	s_and_saveexec_b32 s4, s6
	s_cbranch_execz .LBB114_77
; %bb.76:
	scratch_load_b64 v[208:209], off, off   ; 8-byte Folded Reload
	v_ashrrev_i32_e32 v241, 31, v240
	s_delay_alu instid0(VALU_DEP_1) | instskip(SKIP_1) | instid1(VALU_DEP_1)
	v_lshlrev_b64 v[212:213], 2, v[240:241]
	s_waitcnt vmcnt(0)
	v_add_co_u32 v212, vcc_lo, v208, v212
	s_delay_alu instid0(VALU_DEP_2)
	v_add_co_ci_u32_e32 v213, vcc_lo, v209, v213, vcc_lo
	s_clause 0x1
	flat_load_b32 v214, v[212:213]
	flat_load_b32 v215, v[208:209] offset:12
	s_waitcnt vmcnt(1) lgkmcnt(1)
	flat_store_b32 v[208:209], v214 offset:12
	s_waitcnt vmcnt(0) lgkmcnt(1)
	flat_store_b32 v[212:213], v215
.LBB114_77:
	s_or_b32 exec_lo, exec_lo, s4
	v_mov_b32_e32 v248, v240
	v_mov_b32_e32 v236, v240
.LBB114_78:
	s_or_b32 exec_lo, exec_lo, s3
.LBB114_79:
	s_and_not1_saveexec_b32 s2, s2
	s_cbranch_execz .LBB114_81
; %bb.80:
	v_mov_b32_e32 v248, 3
	ds_store_2addr_b64 v242, v[4:5], v[6:7] offset0:8 offset1:9
	ds_store_2addr_b64 v242, v[228:229], v[230:231] offset0:10 offset1:11
	;; [unrolled: 1-line block ×54, first 2 shown]
.LBB114_81:
	s_or_b32 exec_lo, exec_lo, s2
	s_delay_alu instid0(SALU_CYCLE_1)
	s_mov_b32 s2, exec_lo
	s_waitcnt lgkmcnt(0)
	s_waitcnt_vscnt null, 0x0
	s_barrier
	buffer_gl0_inv
	v_cmpx_lt_i32_e32 3, v248
	s_cbranch_execz .LBB114_83
; %bb.82:
	scratch_load_b128 v[208:211], off, off offset:8 ; 16-byte Folded Reload
	s_waitcnt vmcnt(0)
	v_mul_f64 v[212:213], v[234:235], v[210:211]
	s_delay_alu instid0(VALU_DEP_1) | instskip(SKIP_1) | instid1(VALU_DEP_1)
	v_fma_f64 v[240:241], v[232:233], v[208:209], -v[212:213]
	v_mul_f64 v[212:213], v[232:233], v[210:211]
	v_fma_f64 v[210:211], v[234:235], v[208:209], v[212:213]
	ds_load_2addr_b64 v[232:235], v242 offset0:8 offset1:9
	v_dual_mov_b32 v208, v240 :: v_dual_mov_b32 v209, v241
	s_waitcnt lgkmcnt(0)
	v_mul_f64 v[212:213], v[234:235], v[210:211]
	v_mul_f64 v[214:215], v[232:233], v[210:211]
	scratch_store_b128 off, v[208:211], off offset:8 ; 16-byte Folded Spill
	v_fma_f64 v[212:213], v[232:233], v[240:241], -v[212:213]
	v_fma_f64 v[214:215], v[234:235], v[240:241], v[214:215]
	ds_load_2addr_b64 v[232:235], v242 offset0:10 offset1:11
	v_add_f64 v[4:5], v[4:5], -v[212:213]
	v_add_f64 v[6:7], v[6:7], -v[214:215]
	s_waitcnt lgkmcnt(0)
	v_mul_f64 v[212:213], v[234:235], v[210:211]
	v_mul_f64 v[214:215], v[232:233], v[210:211]
	s_delay_alu instid0(VALU_DEP_2) | instskip(NEXT) | instid1(VALU_DEP_2)
	v_fma_f64 v[212:213], v[232:233], v[240:241], -v[212:213]
	v_fma_f64 v[214:215], v[234:235], v[240:241], v[214:215]
	ds_load_2addr_b64 v[232:235], v242 offset0:12 offset1:13
	v_add_f64 v[228:229], v[228:229], -v[212:213]
	v_add_f64 v[230:231], v[230:231], -v[214:215]
	s_waitcnt lgkmcnt(0)
	v_mul_f64 v[212:213], v[234:235], v[210:211]
	v_mul_f64 v[214:215], v[232:233], v[210:211]
	s_delay_alu instid0(VALU_DEP_2) | instskip(NEXT) | instid1(VALU_DEP_2)
	;; [unrolled: 9-line block ×53, first 2 shown]
	v_fma_f64 v[212:213], v[232:233], v[240:241], -v[212:213]
	v_fma_f64 v[214:215], v[234:235], v[240:241], v[214:215]
	s_delay_alu instid0(VALU_DEP_2) | instskip(NEXT) | instid1(VALU_DEP_2)
	v_add_f64 v[0:1], v[0:1], -v[212:213]
	v_add_f64 v[2:3], v[2:3], -v[214:215]
.LBB114_83:
	s_or_b32 exec_lo, exec_lo, s2
	v_lshl_add_u32 v212, v248, 4, v242
	s_waitcnt_vscnt null, 0x0
	s_barrier
	buffer_gl0_inv
	v_mov_b32_e32 v240, 4
	ds_store_2addr_b64 v212, v[4:5], v[6:7] offset1:1
	s_waitcnt lgkmcnt(0)
	s_barrier
	buffer_gl0_inv
	ds_load_2addr_b64 v[232:235], v242 offset0:8 offset1:9
	s_cmp_lt_i32 s12, 6
	s_cbranch_scc1 .LBB114_86
; %bb.84:
	v_add3_u32 v241, v246, 0, 0x50
	v_mov_b32_e32 v240, 4
	s_mov_b32 s6, 5
	s_set_inst_prefetch_distance 0x1
	.p2align	6
.LBB114_85:                             ; =>This Inner Loop Header: Depth=1
	ds_load_2addr_b64 v[249:252], v241 offset1:1
	s_waitcnt lgkmcnt(1)
	v_cmp_gt_f64_e32 vcc_lo, 0, v[232:233]
	v_cmp_gt_f64_e64 s2, 0, v[234:235]
	v_xor_b32_e32 v213, 0x80000000, v233
	v_xor_b32_e32 v215, 0x80000000, v235
	v_add_nc_u32_e32 v241, 16, v241
	s_waitcnt lgkmcnt(0)
	v_cmp_gt_f64_e64 s3, 0, v[249:250]
	v_cmp_gt_f64_e64 s4, 0, v[251:252]
	v_xor_b32_e32 v219, 0x80000000, v250
	v_mov_b32_e32 v212, v249
	v_xor_b32_e32 v220, 0x80000000, v252
	v_mov_b32_e32 v214, v251
	v_cndmask_b32_e32 v216, v233, v213, vcc_lo
	v_cndmask_b32_e64 v218, v235, v215, s2
	v_cndmask_b32_e32 v215, v232, v232, vcc_lo
	v_cndmask_b32_e64 v217, v234, v234, s2
	s_delay_alu instid0(VALU_DEP_1) | instskip(SKIP_2) | instid1(VALU_DEP_1)
	v_add_f64 v[216:217], v[215:216], v[217:218]
	v_cndmask_b32_e64 v213, v250, v219, s3
	v_cndmask_b32_e64 v215, v252, v220, s4
	v_add_f64 v[212:213], v[212:213], v[214:215]
	s_delay_alu instid0(VALU_DEP_1)
	v_cmp_lt_f64_e32 vcc_lo, v[216:217], v[212:213]
	v_cndmask_b32_e32 v235, v235, v252, vcc_lo
	v_dual_cndmask_b32 v233, v233, v250 :: v_dual_cndmask_b32 v232, v232, v249
	v_cndmask_b32_e32 v234, v234, v251, vcc_lo
	v_cndmask_b32_e64 v240, v240, s6, vcc_lo
	s_add_i32 s6, s6, 1
	s_delay_alu instid0(SALU_CYCLE_1)
	s_cmp_lg_u32 s12, s6
	s_cbranch_scc1 .LBB114_85
.LBB114_86:
	s_set_inst_prefetch_distance 0x2
	s_waitcnt lgkmcnt(0)
	v_cmp_eq_f64_e32 vcc_lo, 0, v[232:233]
	v_cmp_eq_f64_e64 s2, 0, v[234:235]
	s_delay_alu instid0(VALU_DEP_1) | instskip(NEXT) | instid1(SALU_CYCLE_1)
	s_and_b32 s2, vcc_lo, s2
	s_and_saveexec_b32 s3, s2
	s_delay_alu instid0(SALU_CYCLE_1)
	s_xor_b32 s2, exec_lo, s3
; %bb.87:
	v_cmp_ne_u32_e32 vcc_lo, 0, v245
	v_cndmask_b32_e32 v245, 5, v245, vcc_lo
; %bb.88:
	s_and_not1_saveexec_b32 s3, s2
	s_cbranch_execz .LBB114_94
; %bb.89:
	v_cmp_gt_f64_e32 vcc_lo, 0, v[232:233]
	v_cmp_gt_f64_e64 s2, 0, v[234:235]
	v_xor_b32_e32 v212, 0x80000000, v233
	v_xor_b32_e32 v214, 0x80000000, v235
	s_delay_alu instid0(VALU_DEP_2) | instskip(NEXT) | instid1(VALU_DEP_2)
	v_cndmask_b32_e32 v213, v233, v212, vcc_lo
	v_cndmask_b32_e64 v215, v235, v214, s2
	v_cndmask_b32_e32 v212, v232, v232, vcc_lo
	v_cndmask_b32_e64 v214, v234, v234, s2
	s_mov_b32 s2, exec_lo
	s_delay_alu instid0(VALU_DEP_1)
	v_cmpx_ngt_f64_e32 v[212:213], v[214:215]
	s_xor_b32 s2, exec_lo, s2
	s_cbranch_execz .LBB114_91
; %bb.90:
	v_div_scale_f64 v[212:213], null, v[234:235], v[234:235], v[232:233]
	v_div_scale_f64 v[218:219], vcc_lo, v[232:233], v[234:235], v[232:233]
	s_delay_alu instid0(VALU_DEP_2) | instskip(SKIP_2) | instid1(VALU_DEP_1)
	v_rcp_f64_e32 v[214:215], v[212:213]
	s_waitcnt_depctr 0xfff
	v_fma_f64 v[216:217], -v[212:213], v[214:215], 1.0
	v_fma_f64 v[214:215], v[214:215], v[216:217], v[214:215]
	s_delay_alu instid0(VALU_DEP_1) | instskip(NEXT) | instid1(VALU_DEP_1)
	v_fma_f64 v[216:217], -v[212:213], v[214:215], 1.0
	v_fma_f64 v[214:215], v[214:215], v[216:217], v[214:215]
	s_delay_alu instid0(VALU_DEP_1) | instskip(NEXT) | instid1(VALU_DEP_1)
	v_mul_f64 v[216:217], v[218:219], v[214:215]
	v_fma_f64 v[212:213], -v[212:213], v[216:217], v[218:219]
	s_delay_alu instid0(VALU_DEP_1) | instskip(NEXT) | instid1(VALU_DEP_1)
	v_div_fmas_f64 v[212:213], v[212:213], v[214:215], v[216:217]
	v_div_fixup_f64 v[212:213], v[212:213], v[234:235], v[232:233]
	s_delay_alu instid0(VALU_DEP_1) | instskip(NEXT) | instid1(VALU_DEP_1)
	v_fma_f64 v[214:215], v[232:233], v[212:213], v[234:235]
	v_div_scale_f64 v[216:217], null, v[214:215], v[214:215], 1.0
	s_delay_alu instid0(VALU_DEP_1) | instskip(SKIP_2) | instid1(VALU_DEP_1)
	v_rcp_f64_e32 v[218:219], v[216:217]
	s_waitcnt_depctr 0xfff
	v_fma_f64 v[220:221], -v[216:217], v[218:219], 1.0
	v_fma_f64 v[218:219], v[218:219], v[220:221], v[218:219]
	s_delay_alu instid0(VALU_DEP_1) | instskip(NEXT) | instid1(VALU_DEP_1)
	v_fma_f64 v[220:221], -v[216:217], v[218:219], 1.0
	v_fma_f64 v[218:219], v[218:219], v[220:221], v[218:219]
	v_div_scale_f64 v[220:221], vcc_lo, 1.0, v[214:215], 1.0
	s_delay_alu instid0(VALU_DEP_1) | instskip(NEXT) | instid1(VALU_DEP_1)
	v_mul_f64 v[222:223], v[220:221], v[218:219]
	v_fma_f64 v[216:217], -v[216:217], v[222:223], v[220:221]
	s_delay_alu instid0(VALU_DEP_1) | instskip(NEXT) | instid1(VALU_DEP_1)
	v_div_fmas_f64 v[216:217], v[216:217], v[218:219], v[222:223]
	v_div_fixup_f64 v[234:235], v[216:217], v[214:215], 1.0
	s_delay_alu instid0(VALU_DEP_1)
	v_mul_f64 v[232:233], v[212:213], v[234:235]
	v_xor_b32_e32 v235, 0x80000000, v235
.LBB114_91:
	s_and_not1_saveexec_b32 s2, s2
	s_cbranch_execz .LBB114_93
; %bb.92:
	s_delay_alu instid0(VALU_DEP_1) | instskip(SKIP_1) | instid1(VALU_DEP_2)
	v_div_scale_f64 v[212:213], null, v[232:233], v[232:233], v[234:235]
	v_div_scale_f64 v[218:219], vcc_lo, v[234:235], v[232:233], v[234:235]
	v_rcp_f64_e32 v[214:215], v[212:213]
	s_waitcnt_depctr 0xfff
	v_fma_f64 v[216:217], -v[212:213], v[214:215], 1.0
	s_delay_alu instid0(VALU_DEP_1) | instskip(NEXT) | instid1(VALU_DEP_1)
	v_fma_f64 v[214:215], v[214:215], v[216:217], v[214:215]
	v_fma_f64 v[216:217], -v[212:213], v[214:215], 1.0
	s_delay_alu instid0(VALU_DEP_1) | instskip(NEXT) | instid1(VALU_DEP_1)
	v_fma_f64 v[214:215], v[214:215], v[216:217], v[214:215]
	v_mul_f64 v[216:217], v[218:219], v[214:215]
	s_delay_alu instid0(VALU_DEP_1) | instskip(NEXT) | instid1(VALU_DEP_1)
	v_fma_f64 v[212:213], -v[212:213], v[216:217], v[218:219]
	v_div_fmas_f64 v[212:213], v[212:213], v[214:215], v[216:217]
	s_delay_alu instid0(VALU_DEP_1) | instskip(NEXT) | instid1(VALU_DEP_1)
	v_div_fixup_f64 v[212:213], v[212:213], v[232:233], v[234:235]
	v_fma_f64 v[214:215], v[234:235], v[212:213], v[232:233]
	s_delay_alu instid0(VALU_DEP_1) | instskip(NEXT) | instid1(VALU_DEP_1)
	v_div_scale_f64 v[216:217], null, v[214:215], v[214:215], 1.0
	v_rcp_f64_e32 v[218:219], v[216:217]
	s_waitcnt_depctr 0xfff
	v_fma_f64 v[220:221], -v[216:217], v[218:219], 1.0
	s_delay_alu instid0(VALU_DEP_1) | instskip(NEXT) | instid1(VALU_DEP_1)
	v_fma_f64 v[218:219], v[218:219], v[220:221], v[218:219]
	v_fma_f64 v[220:221], -v[216:217], v[218:219], 1.0
	s_delay_alu instid0(VALU_DEP_1) | instskip(SKIP_1) | instid1(VALU_DEP_1)
	v_fma_f64 v[218:219], v[218:219], v[220:221], v[218:219]
	v_div_scale_f64 v[220:221], vcc_lo, 1.0, v[214:215], 1.0
	v_mul_f64 v[222:223], v[220:221], v[218:219]
	s_delay_alu instid0(VALU_DEP_1) | instskip(NEXT) | instid1(VALU_DEP_1)
	v_fma_f64 v[216:217], -v[216:217], v[222:223], v[220:221]
	v_div_fmas_f64 v[216:217], v[216:217], v[218:219], v[222:223]
	s_delay_alu instid0(VALU_DEP_1) | instskip(NEXT) | instid1(VALU_DEP_1)
	v_div_fixup_f64 v[232:233], v[216:217], v[214:215], 1.0
	v_mul_f64 v[234:235], v[212:213], -v[232:233]
.LBB114_93:
	s_or_b32 exec_lo, exec_lo, s2
.LBB114_94:
	s_delay_alu instid0(SALU_CYCLE_1) | instskip(NEXT) | instid1(SALU_CYCLE_1)
	s_or_b32 exec_lo, exec_lo, s3
	s_mov_b32 s2, exec_lo
	v_cmpx_ne_u32_e64 v248, v240
	s_xor_b32 s2, exec_lo, s2
	s_cbranch_execz .LBB114_100
; %bb.95:
	s_mov_b32 s3, exec_lo
	v_cmpx_eq_u32_e32 4, v248
	s_cbranch_execz .LBB114_99
; %bb.96:
	v_cmp_ne_u32_e32 vcc_lo, 4, v240
	s_xor_b32 s4, s5, -1
	s_delay_alu instid0(SALU_CYCLE_1) | instskip(NEXT) | instid1(SALU_CYCLE_1)
	s_and_b32 s6, s4, vcc_lo
	s_and_saveexec_b32 s4, s6
	s_cbranch_execz .LBB114_98
; %bb.97:
	scratch_load_b64 v[208:209], off, off   ; 8-byte Folded Reload
	v_ashrrev_i32_e32 v241, 31, v240
	s_delay_alu instid0(VALU_DEP_1) | instskip(SKIP_1) | instid1(VALU_DEP_1)
	v_lshlrev_b64 v[212:213], 2, v[240:241]
	s_waitcnt vmcnt(0)
	v_add_co_u32 v212, vcc_lo, v208, v212
	s_delay_alu instid0(VALU_DEP_2)
	v_add_co_ci_u32_e32 v213, vcc_lo, v209, v213, vcc_lo
	s_clause 0x1
	flat_load_b32 v214, v[212:213]
	flat_load_b32 v215, v[208:209] offset:16
	s_waitcnt vmcnt(1) lgkmcnt(1)
	flat_store_b32 v[208:209], v214 offset:16
	s_waitcnt vmcnt(0) lgkmcnt(1)
	flat_store_b32 v[212:213], v215
.LBB114_98:
	s_or_b32 exec_lo, exec_lo, s4
	v_mov_b32_e32 v248, v240
	v_mov_b32_e32 v236, v240
.LBB114_99:
	s_or_b32 exec_lo, exec_lo, s3
.LBB114_100:
	s_and_not1_saveexec_b32 s2, s2
	s_cbranch_execz .LBB114_102
; %bb.101:
	v_mov_b32_e32 v248, 4
	ds_store_2addr_b64 v242, v[228:229], v[230:231] offset0:10 offset1:11
	ds_store_2addr_b64 v242, v[204:205], v[206:207] offset0:12 offset1:13
	;; [unrolled: 1-line block ×53, first 2 shown]
.LBB114_102:
	s_or_b32 exec_lo, exec_lo, s2
	s_delay_alu instid0(SALU_CYCLE_1)
	s_mov_b32 s2, exec_lo
	s_waitcnt lgkmcnt(0)
	s_waitcnt_vscnt null, 0x0
	s_barrier
	buffer_gl0_inv
	v_cmpx_lt_i32_e32 4, v248
	s_cbranch_execz .LBB114_104
; %bb.103:
	v_mul_f64 v[212:213], v[234:235], v[6:7]
	s_delay_alu instid0(VALU_DEP_1) | instskip(SKIP_1) | instid1(VALU_DEP_1)
	v_fma_f64 v[240:241], v[232:233], v[4:5], -v[212:213]
	v_mul_f64 v[212:213], v[232:233], v[6:7]
	v_fma_f64 v[6:7], v[234:235], v[4:5], v[212:213]
	ds_load_2addr_b64 v[232:235], v242 offset0:10 offset1:11
	v_dual_mov_b32 v4, v240 :: v_dual_mov_b32 v5, v241
	s_waitcnt lgkmcnt(0)
	v_mul_f64 v[212:213], v[234:235], v[6:7]
	v_mul_f64 v[214:215], v[232:233], v[6:7]
	s_delay_alu instid0(VALU_DEP_2) | instskip(NEXT) | instid1(VALU_DEP_2)
	v_fma_f64 v[212:213], v[232:233], v[240:241], -v[212:213]
	v_fma_f64 v[214:215], v[234:235], v[240:241], v[214:215]
	ds_load_2addr_b64 v[232:235], v242 offset0:12 offset1:13
	v_add_f64 v[228:229], v[228:229], -v[212:213]
	v_add_f64 v[230:231], v[230:231], -v[214:215]
	s_waitcnt lgkmcnt(0)
	v_mul_f64 v[212:213], v[234:235], v[6:7]
	v_mul_f64 v[214:215], v[232:233], v[6:7]
	s_delay_alu instid0(VALU_DEP_2) | instskip(NEXT) | instid1(VALU_DEP_2)
	v_fma_f64 v[212:213], v[232:233], v[240:241], -v[212:213]
	v_fma_f64 v[214:215], v[234:235], v[240:241], v[214:215]
	ds_load_2addr_b64 v[232:235], v242 offset0:14 offset1:15
	v_add_f64 v[204:205], v[204:205], -v[212:213]
	v_add_f64 v[206:207], v[206:207], -v[214:215]
	;; [unrolled: 9-line block ×52, first 2 shown]
	s_waitcnt lgkmcnt(0)
	v_mul_f64 v[212:213], v[234:235], v[6:7]
	v_mul_f64 v[214:215], v[232:233], v[6:7]
	s_delay_alu instid0(VALU_DEP_2) | instskip(NEXT) | instid1(VALU_DEP_2)
	v_fma_f64 v[212:213], v[232:233], v[240:241], -v[212:213]
	v_fma_f64 v[214:215], v[234:235], v[240:241], v[214:215]
	s_delay_alu instid0(VALU_DEP_2) | instskip(NEXT) | instid1(VALU_DEP_2)
	v_add_f64 v[0:1], v[0:1], -v[212:213]
	v_add_f64 v[2:3], v[2:3], -v[214:215]
.LBB114_104:
	s_or_b32 exec_lo, exec_lo, s2
	v_lshl_add_u32 v212, v248, 4, v242
	s_barrier
	buffer_gl0_inv
	v_mov_b32_e32 v240, 5
	ds_store_2addr_b64 v212, v[228:229], v[230:231] offset1:1
	s_waitcnt lgkmcnt(0)
	s_barrier
	buffer_gl0_inv
	ds_load_2addr_b64 v[232:235], v242 offset0:10 offset1:11
	s_cmp_lt_i32 s12, 7
	s_cbranch_scc1 .LBB114_107
; %bb.105:
	v_add3_u32 v241, v246, 0, 0x60
	v_mov_b32_e32 v240, 5
	s_mov_b32 s6, 6
	s_set_inst_prefetch_distance 0x1
	.p2align	6
.LBB114_106:                            ; =>This Inner Loop Header: Depth=1
	ds_load_2addr_b64 v[249:252], v241 offset1:1
	s_waitcnt lgkmcnt(1)
	v_cmp_gt_f64_e32 vcc_lo, 0, v[232:233]
	v_cmp_gt_f64_e64 s2, 0, v[234:235]
	v_xor_b32_e32 v213, 0x80000000, v233
	v_xor_b32_e32 v215, 0x80000000, v235
	v_add_nc_u32_e32 v241, 16, v241
	s_waitcnt lgkmcnt(0)
	v_cmp_gt_f64_e64 s3, 0, v[249:250]
	v_cmp_gt_f64_e64 s4, 0, v[251:252]
	v_xor_b32_e32 v219, 0x80000000, v250
	v_mov_b32_e32 v212, v249
	v_xor_b32_e32 v220, 0x80000000, v252
	v_mov_b32_e32 v214, v251
	v_cndmask_b32_e32 v216, v233, v213, vcc_lo
	v_cndmask_b32_e64 v218, v235, v215, s2
	v_cndmask_b32_e32 v215, v232, v232, vcc_lo
	v_cndmask_b32_e64 v217, v234, v234, s2
	s_delay_alu instid0(VALU_DEP_1) | instskip(SKIP_2) | instid1(VALU_DEP_1)
	v_add_f64 v[216:217], v[215:216], v[217:218]
	v_cndmask_b32_e64 v213, v250, v219, s3
	v_cndmask_b32_e64 v215, v252, v220, s4
	v_add_f64 v[212:213], v[212:213], v[214:215]
	s_delay_alu instid0(VALU_DEP_1)
	v_cmp_lt_f64_e32 vcc_lo, v[216:217], v[212:213]
	v_cndmask_b32_e32 v235, v235, v252, vcc_lo
	v_dual_cndmask_b32 v233, v233, v250 :: v_dual_cndmask_b32 v232, v232, v249
	v_cndmask_b32_e32 v234, v234, v251, vcc_lo
	v_cndmask_b32_e64 v240, v240, s6, vcc_lo
	s_add_i32 s6, s6, 1
	s_delay_alu instid0(SALU_CYCLE_1)
	s_cmp_lg_u32 s12, s6
	s_cbranch_scc1 .LBB114_106
.LBB114_107:
	s_set_inst_prefetch_distance 0x2
	s_waitcnt lgkmcnt(0)
	v_cmp_eq_f64_e32 vcc_lo, 0, v[232:233]
	v_cmp_eq_f64_e64 s2, 0, v[234:235]
	s_delay_alu instid0(VALU_DEP_1) | instskip(NEXT) | instid1(SALU_CYCLE_1)
	s_and_b32 s2, vcc_lo, s2
	s_and_saveexec_b32 s3, s2
	s_delay_alu instid0(SALU_CYCLE_1)
	s_xor_b32 s2, exec_lo, s3
; %bb.108:
	v_cmp_ne_u32_e32 vcc_lo, 0, v245
	v_cndmask_b32_e32 v245, 6, v245, vcc_lo
; %bb.109:
	s_and_not1_saveexec_b32 s3, s2
	s_cbranch_execz .LBB114_115
; %bb.110:
	v_cmp_gt_f64_e32 vcc_lo, 0, v[232:233]
	v_cmp_gt_f64_e64 s2, 0, v[234:235]
	v_xor_b32_e32 v212, 0x80000000, v233
	v_xor_b32_e32 v214, 0x80000000, v235
	s_delay_alu instid0(VALU_DEP_2) | instskip(NEXT) | instid1(VALU_DEP_2)
	v_cndmask_b32_e32 v213, v233, v212, vcc_lo
	v_cndmask_b32_e64 v215, v235, v214, s2
	v_cndmask_b32_e32 v212, v232, v232, vcc_lo
	v_cndmask_b32_e64 v214, v234, v234, s2
	s_mov_b32 s2, exec_lo
	s_delay_alu instid0(VALU_DEP_1)
	v_cmpx_ngt_f64_e32 v[212:213], v[214:215]
	s_xor_b32 s2, exec_lo, s2
	s_cbranch_execz .LBB114_112
; %bb.111:
	v_div_scale_f64 v[212:213], null, v[234:235], v[234:235], v[232:233]
	v_div_scale_f64 v[218:219], vcc_lo, v[232:233], v[234:235], v[232:233]
	s_delay_alu instid0(VALU_DEP_2) | instskip(SKIP_2) | instid1(VALU_DEP_1)
	v_rcp_f64_e32 v[214:215], v[212:213]
	s_waitcnt_depctr 0xfff
	v_fma_f64 v[216:217], -v[212:213], v[214:215], 1.0
	v_fma_f64 v[214:215], v[214:215], v[216:217], v[214:215]
	s_delay_alu instid0(VALU_DEP_1) | instskip(NEXT) | instid1(VALU_DEP_1)
	v_fma_f64 v[216:217], -v[212:213], v[214:215], 1.0
	v_fma_f64 v[214:215], v[214:215], v[216:217], v[214:215]
	s_delay_alu instid0(VALU_DEP_1) | instskip(NEXT) | instid1(VALU_DEP_1)
	v_mul_f64 v[216:217], v[218:219], v[214:215]
	v_fma_f64 v[212:213], -v[212:213], v[216:217], v[218:219]
	s_delay_alu instid0(VALU_DEP_1) | instskip(NEXT) | instid1(VALU_DEP_1)
	v_div_fmas_f64 v[212:213], v[212:213], v[214:215], v[216:217]
	v_div_fixup_f64 v[212:213], v[212:213], v[234:235], v[232:233]
	s_delay_alu instid0(VALU_DEP_1) | instskip(NEXT) | instid1(VALU_DEP_1)
	v_fma_f64 v[214:215], v[232:233], v[212:213], v[234:235]
	v_div_scale_f64 v[216:217], null, v[214:215], v[214:215], 1.0
	s_delay_alu instid0(VALU_DEP_1) | instskip(SKIP_2) | instid1(VALU_DEP_1)
	v_rcp_f64_e32 v[218:219], v[216:217]
	s_waitcnt_depctr 0xfff
	v_fma_f64 v[220:221], -v[216:217], v[218:219], 1.0
	v_fma_f64 v[218:219], v[218:219], v[220:221], v[218:219]
	s_delay_alu instid0(VALU_DEP_1) | instskip(NEXT) | instid1(VALU_DEP_1)
	v_fma_f64 v[220:221], -v[216:217], v[218:219], 1.0
	v_fma_f64 v[218:219], v[218:219], v[220:221], v[218:219]
	v_div_scale_f64 v[220:221], vcc_lo, 1.0, v[214:215], 1.0
	s_delay_alu instid0(VALU_DEP_1) | instskip(NEXT) | instid1(VALU_DEP_1)
	v_mul_f64 v[222:223], v[220:221], v[218:219]
	v_fma_f64 v[216:217], -v[216:217], v[222:223], v[220:221]
	s_delay_alu instid0(VALU_DEP_1) | instskip(NEXT) | instid1(VALU_DEP_1)
	v_div_fmas_f64 v[216:217], v[216:217], v[218:219], v[222:223]
	v_div_fixup_f64 v[234:235], v[216:217], v[214:215], 1.0
	s_delay_alu instid0(VALU_DEP_1)
	v_mul_f64 v[232:233], v[212:213], v[234:235]
	v_xor_b32_e32 v235, 0x80000000, v235
.LBB114_112:
	s_and_not1_saveexec_b32 s2, s2
	s_cbranch_execz .LBB114_114
; %bb.113:
	s_delay_alu instid0(VALU_DEP_1) | instskip(SKIP_1) | instid1(VALU_DEP_2)
	v_div_scale_f64 v[212:213], null, v[232:233], v[232:233], v[234:235]
	v_div_scale_f64 v[218:219], vcc_lo, v[234:235], v[232:233], v[234:235]
	v_rcp_f64_e32 v[214:215], v[212:213]
	s_waitcnt_depctr 0xfff
	v_fma_f64 v[216:217], -v[212:213], v[214:215], 1.0
	s_delay_alu instid0(VALU_DEP_1) | instskip(NEXT) | instid1(VALU_DEP_1)
	v_fma_f64 v[214:215], v[214:215], v[216:217], v[214:215]
	v_fma_f64 v[216:217], -v[212:213], v[214:215], 1.0
	s_delay_alu instid0(VALU_DEP_1) | instskip(NEXT) | instid1(VALU_DEP_1)
	v_fma_f64 v[214:215], v[214:215], v[216:217], v[214:215]
	v_mul_f64 v[216:217], v[218:219], v[214:215]
	s_delay_alu instid0(VALU_DEP_1) | instskip(NEXT) | instid1(VALU_DEP_1)
	v_fma_f64 v[212:213], -v[212:213], v[216:217], v[218:219]
	v_div_fmas_f64 v[212:213], v[212:213], v[214:215], v[216:217]
	s_delay_alu instid0(VALU_DEP_1) | instskip(NEXT) | instid1(VALU_DEP_1)
	v_div_fixup_f64 v[212:213], v[212:213], v[232:233], v[234:235]
	v_fma_f64 v[214:215], v[234:235], v[212:213], v[232:233]
	s_delay_alu instid0(VALU_DEP_1) | instskip(NEXT) | instid1(VALU_DEP_1)
	v_div_scale_f64 v[216:217], null, v[214:215], v[214:215], 1.0
	v_rcp_f64_e32 v[218:219], v[216:217]
	s_waitcnt_depctr 0xfff
	v_fma_f64 v[220:221], -v[216:217], v[218:219], 1.0
	s_delay_alu instid0(VALU_DEP_1) | instskip(NEXT) | instid1(VALU_DEP_1)
	v_fma_f64 v[218:219], v[218:219], v[220:221], v[218:219]
	v_fma_f64 v[220:221], -v[216:217], v[218:219], 1.0
	s_delay_alu instid0(VALU_DEP_1) | instskip(SKIP_1) | instid1(VALU_DEP_1)
	v_fma_f64 v[218:219], v[218:219], v[220:221], v[218:219]
	v_div_scale_f64 v[220:221], vcc_lo, 1.0, v[214:215], 1.0
	v_mul_f64 v[222:223], v[220:221], v[218:219]
	s_delay_alu instid0(VALU_DEP_1) | instskip(NEXT) | instid1(VALU_DEP_1)
	v_fma_f64 v[216:217], -v[216:217], v[222:223], v[220:221]
	v_div_fmas_f64 v[216:217], v[216:217], v[218:219], v[222:223]
	s_delay_alu instid0(VALU_DEP_1) | instskip(NEXT) | instid1(VALU_DEP_1)
	v_div_fixup_f64 v[232:233], v[216:217], v[214:215], 1.0
	v_mul_f64 v[234:235], v[212:213], -v[232:233]
.LBB114_114:
	s_or_b32 exec_lo, exec_lo, s2
.LBB114_115:
	s_delay_alu instid0(SALU_CYCLE_1) | instskip(NEXT) | instid1(SALU_CYCLE_1)
	s_or_b32 exec_lo, exec_lo, s3
	s_mov_b32 s2, exec_lo
	v_cmpx_ne_u32_e64 v248, v240
	s_xor_b32 s2, exec_lo, s2
	s_cbranch_execz .LBB114_121
; %bb.116:
	s_mov_b32 s3, exec_lo
	v_cmpx_eq_u32_e32 5, v248
	s_cbranch_execz .LBB114_120
; %bb.117:
	v_cmp_ne_u32_e32 vcc_lo, 5, v240
	s_xor_b32 s4, s5, -1
	s_delay_alu instid0(SALU_CYCLE_1) | instskip(NEXT) | instid1(SALU_CYCLE_1)
	s_and_b32 s6, s4, vcc_lo
	s_and_saveexec_b32 s4, s6
	s_cbranch_execz .LBB114_119
; %bb.118:
	scratch_load_b64 v[208:209], off, off   ; 8-byte Folded Reload
	v_ashrrev_i32_e32 v241, 31, v240
	s_delay_alu instid0(VALU_DEP_1) | instskip(SKIP_1) | instid1(VALU_DEP_1)
	v_lshlrev_b64 v[212:213], 2, v[240:241]
	s_waitcnt vmcnt(0)
	v_add_co_u32 v212, vcc_lo, v208, v212
	s_delay_alu instid0(VALU_DEP_2)
	v_add_co_ci_u32_e32 v213, vcc_lo, v209, v213, vcc_lo
	s_clause 0x1
	flat_load_b32 v214, v[212:213]
	flat_load_b32 v215, v[208:209] offset:20
	s_waitcnt vmcnt(1) lgkmcnt(1)
	flat_store_b32 v[208:209], v214 offset:20
	s_waitcnt vmcnt(0) lgkmcnt(1)
	flat_store_b32 v[212:213], v215
.LBB114_119:
	s_or_b32 exec_lo, exec_lo, s4
	v_mov_b32_e32 v248, v240
	v_mov_b32_e32 v236, v240
.LBB114_120:
	s_or_b32 exec_lo, exec_lo, s3
.LBB114_121:
	s_and_not1_saveexec_b32 s2, s2
	s_cbranch_execz .LBB114_123
; %bb.122:
	v_mov_b32_e32 v248, 5
	ds_store_2addr_b64 v242, v[204:205], v[206:207] offset0:12 offset1:13
	ds_store_2addr_b64 v242, v[200:201], v[202:203] offset0:14 offset1:15
	;; [unrolled: 1-line block ×52, first 2 shown]
.LBB114_123:
	s_or_b32 exec_lo, exec_lo, s2
	s_delay_alu instid0(SALU_CYCLE_1)
	s_mov_b32 s2, exec_lo
	s_waitcnt lgkmcnt(0)
	s_waitcnt_vscnt null, 0x0
	s_barrier
	buffer_gl0_inv
	v_cmpx_lt_i32_e32 5, v248
	s_cbranch_execz .LBB114_125
; %bb.124:
	v_mul_f64 v[210:211], v[232:233], v[230:231]
	v_mul_f64 v[212:213], v[234:235], v[230:231]
	s_delay_alu instid0(VALU_DEP_2) | instskip(NEXT) | instid1(VALU_DEP_2)
	v_fma_f64 v[230:231], v[234:235], v[228:229], v[210:211]
	v_fma_f64 v[240:241], v[232:233], v[228:229], -v[212:213]
	ds_load_2addr_b64 v[232:235], v242 offset0:12 offset1:13
	s_waitcnt lgkmcnt(0)
	v_mul_f64 v[208:209], v[234:235], v[230:231]
	v_mul_f64 v[212:213], v[232:233], v[230:231]
	v_dual_mov_b32 v228, v240 :: v_dual_mov_b32 v229, v241
	s_delay_alu instid0(VALU_DEP_3) | instskip(NEXT) | instid1(VALU_DEP_3)
	v_fma_f64 v[208:209], v[232:233], v[240:241], -v[208:209]
	v_fma_f64 v[212:213], v[234:235], v[240:241], v[212:213]
	ds_load_2addr_b64 v[232:235], v242 offset0:14 offset1:15
	v_add_f64 v[204:205], v[204:205], -v[208:209]
	v_add_f64 v[206:207], v[206:207], -v[212:213]
	s_waitcnt lgkmcnt(0)
	v_mul_f64 v[208:209], v[234:235], v[230:231]
	v_mul_f64 v[212:213], v[232:233], v[230:231]
	s_delay_alu instid0(VALU_DEP_2) | instskip(NEXT) | instid1(VALU_DEP_2)
	v_fma_f64 v[208:209], v[232:233], v[240:241], -v[208:209]
	v_fma_f64 v[212:213], v[234:235], v[240:241], v[212:213]
	ds_load_2addr_b64 v[232:235], v242 offset0:16 offset1:17
	v_add_f64 v[200:201], v[200:201], -v[208:209]
	v_add_f64 v[202:203], v[202:203], -v[212:213]
	s_waitcnt lgkmcnt(0)
	v_mul_f64 v[208:209], v[234:235], v[230:231]
	v_mul_f64 v[212:213], v[232:233], v[230:231]
	s_delay_alu instid0(VALU_DEP_2) | instskip(NEXT) | instid1(VALU_DEP_2)
	v_fma_f64 v[208:209], v[232:233], v[240:241], -v[208:209]
	v_fma_f64 v[212:213], v[234:235], v[240:241], v[212:213]
	ds_load_2addr_b64 v[232:235], v242 offset0:18 offset1:19
	v_add_f64 v[196:197], v[196:197], -v[208:209]
	v_add_f64 v[198:199], v[198:199], -v[212:213]
	s_waitcnt lgkmcnt(0)
	v_mul_f64 v[208:209], v[234:235], v[230:231]
	v_mul_f64 v[212:213], v[232:233], v[230:231]
	s_delay_alu instid0(VALU_DEP_2) | instskip(NEXT) | instid1(VALU_DEP_2)
	v_fma_f64 v[208:209], v[232:233], v[240:241], -v[208:209]
	v_fma_f64 v[212:213], v[234:235], v[240:241], v[212:213]
	ds_load_2addr_b64 v[232:235], v242 offset0:20 offset1:21
	v_add_f64 v[192:193], v[192:193], -v[208:209]
	v_add_f64 v[194:195], v[194:195], -v[212:213]
	s_waitcnt lgkmcnt(0)
	v_mul_f64 v[208:209], v[234:235], v[230:231]
	v_mul_f64 v[212:213], v[232:233], v[230:231]
	s_delay_alu instid0(VALU_DEP_2) | instskip(NEXT) | instid1(VALU_DEP_2)
	v_fma_f64 v[208:209], v[232:233], v[240:241], -v[208:209]
	v_fma_f64 v[212:213], v[234:235], v[240:241], v[212:213]
	ds_load_2addr_b64 v[232:235], v242 offset0:22 offset1:23
	v_add_f64 v[188:189], v[188:189], -v[208:209]
	v_add_f64 v[190:191], v[190:191], -v[212:213]
	s_waitcnt lgkmcnt(0)
	v_mul_f64 v[208:209], v[234:235], v[230:231]
	v_mul_f64 v[212:213], v[232:233], v[230:231]
	s_delay_alu instid0(VALU_DEP_2) | instskip(NEXT) | instid1(VALU_DEP_2)
	v_fma_f64 v[208:209], v[232:233], v[240:241], -v[208:209]
	v_fma_f64 v[212:213], v[234:235], v[240:241], v[212:213]
	ds_load_2addr_b64 v[232:235], v242 offset0:24 offset1:25
	v_add_f64 v[184:185], v[184:185], -v[208:209]
	v_add_f64 v[186:187], v[186:187], -v[212:213]
	s_waitcnt lgkmcnt(0)
	v_mul_f64 v[208:209], v[234:235], v[230:231]
	v_mul_f64 v[212:213], v[232:233], v[230:231]
	s_delay_alu instid0(VALU_DEP_2) | instskip(NEXT) | instid1(VALU_DEP_2)
	v_fma_f64 v[208:209], v[232:233], v[240:241], -v[208:209]
	v_fma_f64 v[212:213], v[234:235], v[240:241], v[212:213]
	ds_load_2addr_b64 v[232:235], v242 offset0:26 offset1:27
	v_add_f64 v[180:181], v[180:181], -v[208:209]
	v_add_f64 v[182:183], v[182:183], -v[212:213]
	s_waitcnt lgkmcnt(0)
	v_mul_f64 v[208:209], v[234:235], v[230:231]
	v_mul_f64 v[212:213], v[232:233], v[230:231]
	s_delay_alu instid0(VALU_DEP_2) | instskip(NEXT) | instid1(VALU_DEP_2)
	v_fma_f64 v[208:209], v[232:233], v[240:241], -v[208:209]
	v_fma_f64 v[212:213], v[234:235], v[240:241], v[212:213]
	ds_load_2addr_b64 v[232:235], v242 offset0:28 offset1:29
	v_add_f64 v[176:177], v[176:177], -v[208:209]
	v_add_f64 v[178:179], v[178:179], -v[212:213]
	s_waitcnt lgkmcnt(0)
	v_mul_f64 v[208:209], v[234:235], v[230:231]
	v_mul_f64 v[212:213], v[232:233], v[230:231]
	s_delay_alu instid0(VALU_DEP_2) | instskip(NEXT) | instid1(VALU_DEP_2)
	v_fma_f64 v[208:209], v[232:233], v[240:241], -v[208:209]
	v_fma_f64 v[212:213], v[234:235], v[240:241], v[212:213]
	ds_load_2addr_b64 v[232:235], v242 offset0:30 offset1:31
	v_add_f64 v[172:173], v[172:173], -v[208:209]
	v_add_f64 v[174:175], v[174:175], -v[212:213]
	s_waitcnt lgkmcnt(0)
	v_mul_f64 v[208:209], v[234:235], v[230:231]
	v_mul_f64 v[212:213], v[232:233], v[230:231]
	s_delay_alu instid0(VALU_DEP_2) | instskip(NEXT) | instid1(VALU_DEP_2)
	v_fma_f64 v[208:209], v[232:233], v[240:241], -v[208:209]
	v_fma_f64 v[212:213], v[234:235], v[240:241], v[212:213]
	ds_load_2addr_b64 v[232:235], v242 offset0:32 offset1:33
	v_add_f64 v[168:169], v[168:169], -v[208:209]
	v_add_f64 v[170:171], v[170:171], -v[212:213]
	s_waitcnt lgkmcnt(0)
	v_mul_f64 v[208:209], v[234:235], v[230:231]
	v_mul_f64 v[212:213], v[232:233], v[230:231]
	s_delay_alu instid0(VALU_DEP_2) | instskip(NEXT) | instid1(VALU_DEP_2)
	v_fma_f64 v[208:209], v[232:233], v[240:241], -v[208:209]
	v_fma_f64 v[212:213], v[234:235], v[240:241], v[212:213]
	ds_load_2addr_b64 v[232:235], v242 offset0:34 offset1:35
	v_add_f64 v[164:165], v[164:165], -v[208:209]
	v_add_f64 v[166:167], v[166:167], -v[212:213]
	s_waitcnt lgkmcnt(0)
	v_mul_f64 v[208:209], v[234:235], v[230:231]
	v_mul_f64 v[212:213], v[232:233], v[230:231]
	s_delay_alu instid0(VALU_DEP_2) | instskip(NEXT) | instid1(VALU_DEP_2)
	v_fma_f64 v[208:209], v[232:233], v[240:241], -v[208:209]
	v_fma_f64 v[212:213], v[234:235], v[240:241], v[212:213]
	ds_load_2addr_b64 v[232:235], v242 offset0:36 offset1:37
	v_add_f64 v[160:161], v[160:161], -v[208:209]
	v_add_f64 v[162:163], v[162:163], -v[212:213]
	s_waitcnt lgkmcnt(0)
	v_mul_f64 v[208:209], v[234:235], v[230:231]
	v_mul_f64 v[212:213], v[232:233], v[230:231]
	s_delay_alu instid0(VALU_DEP_2) | instskip(NEXT) | instid1(VALU_DEP_2)
	v_fma_f64 v[208:209], v[232:233], v[240:241], -v[208:209]
	v_fma_f64 v[212:213], v[234:235], v[240:241], v[212:213]
	ds_load_2addr_b64 v[232:235], v242 offset0:38 offset1:39
	v_add_f64 v[156:157], v[156:157], -v[208:209]
	v_add_f64 v[158:159], v[158:159], -v[212:213]
	s_waitcnt lgkmcnt(0)
	v_mul_f64 v[208:209], v[234:235], v[230:231]
	v_mul_f64 v[212:213], v[232:233], v[230:231]
	s_delay_alu instid0(VALU_DEP_2) | instskip(NEXT) | instid1(VALU_DEP_2)
	v_fma_f64 v[208:209], v[232:233], v[240:241], -v[208:209]
	v_fma_f64 v[212:213], v[234:235], v[240:241], v[212:213]
	ds_load_2addr_b64 v[232:235], v242 offset0:40 offset1:41
	v_add_f64 v[152:153], v[152:153], -v[208:209]
	v_add_f64 v[154:155], v[154:155], -v[212:213]
	s_waitcnt lgkmcnt(0)
	v_mul_f64 v[208:209], v[234:235], v[230:231]
	v_mul_f64 v[212:213], v[232:233], v[230:231]
	s_delay_alu instid0(VALU_DEP_2) | instskip(NEXT) | instid1(VALU_DEP_2)
	v_fma_f64 v[208:209], v[232:233], v[240:241], -v[208:209]
	v_fma_f64 v[212:213], v[234:235], v[240:241], v[212:213]
	ds_load_2addr_b64 v[232:235], v242 offset0:42 offset1:43
	v_add_f64 v[148:149], v[148:149], -v[208:209]
	v_add_f64 v[150:151], v[150:151], -v[212:213]
	s_waitcnt lgkmcnt(0)
	v_mul_f64 v[208:209], v[234:235], v[230:231]
	v_mul_f64 v[212:213], v[232:233], v[230:231]
	s_delay_alu instid0(VALU_DEP_2) | instskip(NEXT) | instid1(VALU_DEP_2)
	v_fma_f64 v[208:209], v[232:233], v[240:241], -v[208:209]
	v_fma_f64 v[212:213], v[234:235], v[240:241], v[212:213]
	ds_load_2addr_b64 v[232:235], v242 offset0:44 offset1:45
	v_add_f64 v[144:145], v[144:145], -v[208:209]
	v_add_f64 v[146:147], v[146:147], -v[212:213]
	s_waitcnt lgkmcnt(0)
	v_mul_f64 v[208:209], v[234:235], v[230:231]
	v_mul_f64 v[212:213], v[232:233], v[230:231]
	s_delay_alu instid0(VALU_DEP_2) | instskip(NEXT) | instid1(VALU_DEP_2)
	v_fma_f64 v[208:209], v[232:233], v[240:241], -v[208:209]
	v_fma_f64 v[212:213], v[234:235], v[240:241], v[212:213]
	ds_load_2addr_b64 v[232:235], v242 offset0:46 offset1:47
	v_add_f64 v[140:141], v[140:141], -v[208:209]
	v_add_f64 v[142:143], v[142:143], -v[212:213]
	s_waitcnt lgkmcnt(0)
	v_mul_f64 v[208:209], v[234:235], v[230:231]
	v_mul_f64 v[212:213], v[232:233], v[230:231]
	s_delay_alu instid0(VALU_DEP_2) | instskip(NEXT) | instid1(VALU_DEP_2)
	v_fma_f64 v[208:209], v[232:233], v[240:241], -v[208:209]
	v_fma_f64 v[212:213], v[234:235], v[240:241], v[212:213]
	ds_load_2addr_b64 v[232:235], v242 offset0:48 offset1:49
	v_add_f64 v[136:137], v[136:137], -v[208:209]
	v_add_f64 v[138:139], v[138:139], -v[212:213]
	s_waitcnt lgkmcnt(0)
	v_mul_f64 v[208:209], v[234:235], v[230:231]
	v_mul_f64 v[212:213], v[232:233], v[230:231]
	s_delay_alu instid0(VALU_DEP_2) | instskip(NEXT) | instid1(VALU_DEP_2)
	v_fma_f64 v[208:209], v[232:233], v[240:241], -v[208:209]
	v_fma_f64 v[212:213], v[234:235], v[240:241], v[212:213]
	ds_load_2addr_b64 v[232:235], v242 offset0:50 offset1:51
	v_add_f64 v[132:133], v[132:133], -v[208:209]
	v_add_f64 v[134:135], v[134:135], -v[212:213]
	s_waitcnt lgkmcnt(0)
	v_mul_f64 v[208:209], v[234:235], v[230:231]
	v_mul_f64 v[212:213], v[232:233], v[230:231]
	s_delay_alu instid0(VALU_DEP_2) | instskip(NEXT) | instid1(VALU_DEP_2)
	v_fma_f64 v[208:209], v[232:233], v[240:241], -v[208:209]
	v_fma_f64 v[212:213], v[234:235], v[240:241], v[212:213]
	ds_load_2addr_b64 v[232:235], v242 offset0:52 offset1:53
	v_add_f64 v[128:129], v[128:129], -v[208:209]
	v_add_f64 v[130:131], v[130:131], -v[212:213]
	s_waitcnt lgkmcnt(0)
	v_mul_f64 v[208:209], v[234:235], v[230:231]
	v_mul_f64 v[212:213], v[232:233], v[230:231]
	s_delay_alu instid0(VALU_DEP_2) | instskip(NEXT) | instid1(VALU_DEP_2)
	v_fma_f64 v[208:209], v[232:233], v[240:241], -v[208:209]
	v_fma_f64 v[212:213], v[234:235], v[240:241], v[212:213]
	ds_load_2addr_b64 v[232:235], v242 offset0:54 offset1:55
	v_add_f64 v[124:125], v[124:125], -v[208:209]
	v_add_f64 v[126:127], v[126:127], -v[212:213]
	s_waitcnt lgkmcnt(0)
	v_mul_f64 v[208:209], v[234:235], v[230:231]
	v_mul_f64 v[212:213], v[232:233], v[230:231]
	s_delay_alu instid0(VALU_DEP_2) | instskip(NEXT) | instid1(VALU_DEP_2)
	v_fma_f64 v[208:209], v[232:233], v[240:241], -v[208:209]
	v_fma_f64 v[212:213], v[234:235], v[240:241], v[212:213]
	ds_load_2addr_b64 v[232:235], v242 offset0:56 offset1:57
	v_add_f64 v[120:121], v[120:121], -v[208:209]
	v_add_f64 v[122:123], v[122:123], -v[212:213]
	s_waitcnt lgkmcnt(0)
	v_mul_f64 v[208:209], v[234:235], v[230:231]
	v_mul_f64 v[212:213], v[232:233], v[230:231]
	s_delay_alu instid0(VALU_DEP_2) | instskip(NEXT) | instid1(VALU_DEP_2)
	v_fma_f64 v[208:209], v[232:233], v[240:241], -v[208:209]
	v_fma_f64 v[212:213], v[234:235], v[240:241], v[212:213]
	ds_load_2addr_b64 v[232:235], v242 offset0:58 offset1:59
	v_add_f64 v[116:117], v[116:117], -v[208:209]
	v_add_f64 v[118:119], v[118:119], -v[212:213]
	s_waitcnt lgkmcnt(0)
	v_mul_f64 v[208:209], v[234:235], v[230:231]
	v_mul_f64 v[212:213], v[232:233], v[230:231]
	s_delay_alu instid0(VALU_DEP_2) | instskip(NEXT) | instid1(VALU_DEP_2)
	v_fma_f64 v[208:209], v[232:233], v[240:241], -v[208:209]
	v_fma_f64 v[212:213], v[234:235], v[240:241], v[212:213]
	ds_load_2addr_b64 v[232:235], v242 offset0:60 offset1:61
	v_add_f64 v[112:113], v[112:113], -v[208:209]
	v_add_f64 v[114:115], v[114:115], -v[212:213]
	s_waitcnt lgkmcnt(0)
	v_mul_f64 v[208:209], v[234:235], v[230:231]
	v_mul_f64 v[212:213], v[232:233], v[230:231]
	s_delay_alu instid0(VALU_DEP_2) | instskip(NEXT) | instid1(VALU_DEP_2)
	v_fma_f64 v[208:209], v[232:233], v[240:241], -v[208:209]
	v_fma_f64 v[212:213], v[234:235], v[240:241], v[212:213]
	ds_load_2addr_b64 v[232:235], v242 offset0:62 offset1:63
	v_add_f64 v[108:109], v[108:109], -v[208:209]
	v_add_f64 v[110:111], v[110:111], -v[212:213]
	s_waitcnt lgkmcnt(0)
	v_mul_f64 v[208:209], v[234:235], v[230:231]
	v_mul_f64 v[212:213], v[232:233], v[230:231]
	s_delay_alu instid0(VALU_DEP_2) | instskip(NEXT) | instid1(VALU_DEP_2)
	v_fma_f64 v[208:209], v[232:233], v[240:241], -v[208:209]
	v_fma_f64 v[212:213], v[234:235], v[240:241], v[212:213]
	ds_load_2addr_b64 v[232:235], v242 offset0:64 offset1:65
	v_add_f64 v[104:105], v[104:105], -v[208:209]
	v_add_f64 v[106:107], v[106:107], -v[212:213]
	s_waitcnt lgkmcnt(0)
	v_mul_f64 v[208:209], v[234:235], v[230:231]
	v_mul_f64 v[212:213], v[232:233], v[230:231]
	s_delay_alu instid0(VALU_DEP_2) | instskip(NEXT) | instid1(VALU_DEP_2)
	v_fma_f64 v[208:209], v[232:233], v[240:241], -v[208:209]
	v_fma_f64 v[212:213], v[234:235], v[240:241], v[212:213]
	ds_load_2addr_b64 v[232:235], v242 offset0:66 offset1:67
	v_add_f64 v[100:101], v[100:101], -v[208:209]
	v_add_f64 v[102:103], v[102:103], -v[212:213]
	s_waitcnt lgkmcnt(0)
	v_mul_f64 v[208:209], v[234:235], v[230:231]
	v_mul_f64 v[212:213], v[232:233], v[230:231]
	s_delay_alu instid0(VALU_DEP_2) | instskip(NEXT) | instid1(VALU_DEP_2)
	v_fma_f64 v[208:209], v[232:233], v[240:241], -v[208:209]
	v_fma_f64 v[212:213], v[234:235], v[240:241], v[212:213]
	ds_load_2addr_b64 v[232:235], v242 offset0:68 offset1:69
	v_add_f64 v[96:97], v[96:97], -v[208:209]
	v_add_f64 v[98:99], v[98:99], -v[212:213]
	s_waitcnt lgkmcnt(0)
	v_mul_f64 v[208:209], v[234:235], v[230:231]
	v_mul_f64 v[212:213], v[232:233], v[230:231]
	s_delay_alu instid0(VALU_DEP_2) | instskip(NEXT) | instid1(VALU_DEP_2)
	v_fma_f64 v[208:209], v[232:233], v[240:241], -v[208:209]
	v_fma_f64 v[212:213], v[234:235], v[240:241], v[212:213]
	ds_load_2addr_b64 v[232:235], v242 offset0:70 offset1:71
	v_add_f64 v[92:93], v[92:93], -v[208:209]
	v_add_f64 v[94:95], v[94:95], -v[212:213]
	s_waitcnt lgkmcnt(0)
	v_mul_f64 v[208:209], v[234:235], v[230:231]
	v_mul_f64 v[212:213], v[232:233], v[230:231]
	s_delay_alu instid0(VALU_DEP_2) | instskip(NEXT) | instid1(VALU_DEP_2)
	v_fma_f64 v[208:209], v[232:233], v[240:241], -v[208:209]
	v_fma_f64 v[212:213], v[234:235], v[240:241], v[212:213]
	ds_load_2addr_b64 v[232:235], v242 offset0:72 offset1:73
	v_add_f64 v[88:89], v[88:89], -v[208:209]
	v_add_f64 v[90:91], v[90:91], -v[212:213]
	s_waitcnt lgkmcnt(0)
	v_mul_f64 v[208:209], v[234:235], v[230:231]
	v_mul_f64 v[212:213], v[232:233], v[230:231]
	s_delay_alu instid0(VALU_DEP_2) | instskip(NEXT) | instid1(VALU_DEP_2)
	v_fma_f64 v[208:209], v[232:233], v[240:241], -v[208:209]
	v_fma_f64 v[212:213], v[234:235], v[240:241], v[212:213]
	ds_load_2addr_b64 v[232:235], v242 offset0:74 offset1:75
	v_add_f64 v[84:85], v[84:85], -v[208:209]
	v_add_f64 v[86:87], v[86:87], -v[212:213]
	s_waitcnt lgkmcnt(0)
	v_mul_f64 v[208:209], v[234:235], v[230:231]
	v_mul_f64 v[212:213], v[232:233], v[230:231]
	s_delay_alu instid0(VALU_DEP_2) | instskip(NEXT) | instid1(VALU_DEP_2)
	v_fma_f64 v[208:209], v[232:233], v[240:241], -v[208:209]
	v_fma_f64 v[212:213], v[234:235], v[240:241], v[212:213]
	ds_load_2addr_b64 v[232:235], v242 offset0:76 offset1:77
	v_add_f64 v[80:81], v[80:81], -v[208:209]
	v_add_f64 v[82:83], v[82:83], -v[212:213]
	s_waitcnt lgkmcnt(0)
	v_mul_f64 v[208:209], v[234:235], v[230:231]
	v_mul_f64 v[212:213], v[232:233], v[230:231]
	s_delay_alu instid0(VALU_DEP_2) | instskip(NEXT) | instid1(VALU_DEP_2)
	v_fma_f64 v[208:209], v[232:233], v[240:241], -v[208:209]
	v_fma_f64 v[212:213], v[234:235], v[240:241], v[212:213]
	ds_load_2addr_b64 v[232:235], v242 offset0:78 offset1:79
	v_add_f64 v[76:77], v[76:77], -v[208:209]
	v_add_f64 v[78:79], v[78:79], -v[212:213]
	s_waitcnt lgkmcnt(0)
	v_mul_f64 v[208:209], v[234:235], v[230:231]
	v_mul_f64 v[212:213], v[232:233], v[230:231]
	s_delay_alu instid0(VALU_DEP_2) | instskip(NEXT) | instid1(VALU_DEP_2)
	v_fma_f64 v[208:209], v[232:233], v[240:241], -v[208:209]
	v_fma_f64 v[212:213], v[234:235], v[240:241], v[212:213]
	ds_load_2addr_b64 v[232:235], v242 offset0:80 offset1:81
	v_add_f64 v[72:73], v[72:73], -v[208:209]
	v_add_f64 v[74:75], v[74:75], -v[212:213]
	s_waitcnt lgkmcnt(0)
	v_mul_f64 v[208:209], v[234:235], v[230:231]
	v_mul_f64 v[212:213], v[232:233], v[230:231]
	s_delay_alu instid0(VALU_DEP_2) | instskip(NEXT) | instid1(VALU_DEP_2)
	v_fma_f64 v[208:209], v[232:233], v[240:241], -v[208:209]
	v_fma_f64 v[212:213], v[234:235], v[240:241], v[212:213]
	ds_load_2addr_b64 v[232:235], v242 offset0:82 offset1:83
	v_add_f64 v[68:69], v[68:69], -v[208:209]
	v_add_f64 v[70:71], v[70:71], -v[212:213]
	s_waitcnt lgkmcnt(0)
	v_mul_f64 v[208:209], v[234:235], v[230:231]
	v_mul_f64 v[212:213], v[232:233], v[230:231]
	s_delay_alu instid0(VALU_DEP_2) | instskip(NEXT) | instid1(VALU_DEP_2)
	v_fma_f64 v[208:209], v[232:233], v[240:241], -v[208:209]
	v_fma_f64 v[212:213], v[234:235], v[240:241], v[212:213]
	ds_load_2addr_b64 v[232:235], v242 offset0:84 offset1:85
	v_add_f64 v[64:65], v[64:65], -v[208:209]
	v_add_f64 v[66:67], v[66:67], -v[212:213]
	s_waitcnt lgkmcnt(0)
	v_mul_f64 v[208:209], v[234:235], v[230:231]
	v_mul_f64 v[212:213], v[232:233], v[230:231]
	s_delay_alu instid0(VALU_DEP_2) | instskip(NEXT) | instid1(VALU_DEP_2)
	v_fma_f64 v[208:209], v[232:233], v[240:241], -v[208:209]
	v_fma_f64 v[212:213], v[234:235], v[240:241], v[212:213]
	ds_load_2addr_b64 v[232:235], v242 offset0:86 offset1:87
	v_add_f64 v[60:61], v[60:61], -v[208:209]
	v_add_f64 v[62:63], v[62:63], -v[212:213]
	s_waitcnt lgkmcnt(0)
	v_mul_f64 v[208:209], v[234:235], v[230:231]
	v_mul_f64 v[212:213], v[232:233], v[230:231]
	s_delay_alu instid0(VALU_DEP_2) | instskip(NEXT) | instid1(VALU_DEP_2)
	v_fma_f64 v[208:209], v[232:233], v[240:241], -v[208:209]
	v_fma_f64 v[212:213], v[234:235], v[240:241], v[212:213]
	ds_load_2addr_b64 v[232:235], v242 offset0:88 offset1:89
	v_add_f64 v[56:57], v[56:57], -v[208:209]
	v_add_f64 v[58:59], v[58:59], -v[212:213]
	s_waitcnt lgkmcnt(0)
	v_mul_f64 v[208:209], v[234:235], v[230:231]
	v_mul_f64 v[212:213], v[232:233], v[230:231]
	s_delay_alu instid0(VALU_DEP_2) | instskip(NEXT) | instid1(VALU_DEP_2)
	v_fma_f64 v[208:209], v[232:233], v[240:241], -v[208:209]
	v_fma_f64 v[212:213], v[234:235], v[240:241], v[212:213]
	ds_load_2addr_b64 v[232:235], v242 offset0:90 offset1:91
	v_add_f64 v[52:53], v[52:53], -v[208:209]
	v_add_f64 v[54:55], v[54:55], -v[212:213]
	s_waitcnt lgkmcnt(0)
	v_mul_f64 v[208:209], v[234:235], v[230:231]
	v_mul_f64 v[212:213], v[232:233], v[230:231]
	s_delay_alu instid0(VALU_DEP_2) | instskip(NEXT) | instid1(VALU_DEP_2)
	v_fma_f64 v[208:209], v[232:233], v[240:241], -v[208:209]
	v_fma_f64 v[212:213], v[234:235], v[240:241], v[212:213]
	ds_load_2addr_b64 v[232:235], v242 offset0:92 offset1:93
	v_add_f64 v[48:49], v[48:49], -v[208:209]
	v_add_f64 v[50:51], v[50:51], -v[212:213]
	s_waitcnt lgkmcnt(0)
	v_mul_f64 v[208:209], v[234:235], v[230:231]
	v_mul_f64 v[212:213], v[232:233], v[230:231]
	s_delay_alu instid0(VALU_DEP_2) | instskip(NEXT) | instid1(VALU_DEP_2)
	v_fma_f64 v[208:209], v[232:233], v[240:241], -v[208:209]
	v_fma_f64 v[212:213], v[234:235], v[240:241], v[212:213]
	ds_load_2addr_b64 v[232:235], v242 offset0:94 offset1:95
	v_add_f64 v[44:45], v[44:45], -v[208:209]
	v_add_f64 v[46:47], v[46:47], -v[212:213]
	s_waitcnt lgkmcnt(0)
	v_mul_f64 v[208:209], v[234:235], v[230:231]
	v_mul_f64 v[212:213], v[232:233], v[230:231]
	s_delay_alu instid0(VALU_DEP_2) | instskip(NEXT) | instid1(VALU_DEP_2)
	v_fma_f64 v[208:209], v[232:233], v[240:241], -v[208:209]
	v_fma_f64 v[212:213], v[234:235], v[240:241], v[212:213]
	ds_load_2addr_b64 v[232:235], v242 offset0:96 offset1:97
	v_add_f64 v[40:41], v[40:41], -v[208:209]
	v_add_f64 v[42:43], v[42:43], -v[212:213]
	s_waitcnt lgkmcnt(0)
	v_mul_f64 v[208:209], v[234:235], v[230:231]
	v_mul_f64 v[212:213], v[232:233], v[230:231]
	s_delay_alu instid0(VALU_DEP_2) | instskip(NEXT) | instid1(VALU_DEP_2)
	v_fma_f64 v[208:209], v[232:233], v[240:241], -v[208:209]
	v_fma_f64 v[212:213], v[234:235], v[240:241], v[212:213]
	ds_load_2addr_b64 v[232:235], v242 offset0:98 offset1:99
	v_add_f64 v[36:37], v[36:37], -v[208:209]
	v_add_f64 v[38:39], v[38:39], -v[212:213]
	s_waitcnt lgkmcnt(0)
	v_mul_f64 v[208:209], v[234:235], v[230:231]
	v_mul_f64 v[212:213], v[232:233], v[230:231]
	s_delay_alu instid0(VALU_DEP_2) | instskip(NEXT) | instid1(VALU_DEP_2)
	v_fma_f64 v[208:209], v[232:233], v[240:241], -v[208:209]
	v_fma_f64 v[212:213], v[234:235], v[240:241], v[212:213]
	ds_load_2addr_b64 v[232:235], v242 offset0:100 offset1:101
	v_add_f64 v[32:33], v[32:33], -v[208:209]
	v_add_f64 v[34:35], v[34:35], -v[212:213]
	s_waitcnt lgkmcnt(0)
	v_mul_f64 v[208:209], v[234:235], v[230:231]
	v_mul_f64 v[212:213], v[232:233], v[230:231]
	s_delay_alu instid0(VALU_DEP_2) | instskip(NEXT) | instid1(VALU_DEP_2)
	v_fma_f64 v[208:209], v[232:233], v[240:241], -v[208:209]
	v_fma_f64 v[212:213], v[234:235], v[240:241], v[212:213]
	ds_load_2addr_b64 v[232:235], v242 offset0:102 offset1:103
	v_add_f64 v[28:29], v[28:29], -v[208:209]
	v_add_f64 v[30:31], v[30:31], -v[212:213]
	s_waitcnt lgkmcnt(0)
	v_mul_f64 v[208:209], v[234:235], v[230:231]
	v_mul_f64 v[212:213], v[232:233], v[230:231]
	s_delay_alu instid0(VALU_DEP_2) | instskip(NEXT) | instid1(VALU_DEP_2)
	v_fma_f64 v[208:209], v[232:233], v[240:241], -v[208:209]
	v_fma_f64 v[212:213], v[234:235], v[240:241], v[212:213]
	ds_load_2addr_b64 v[232:235], v242 offset0:104 offset1:105
	v_add_f64 v[24:25], v[24:25], -v[208:209]
	v_add_f64 v[26:27], v[26:27], -v[212:213]
	s_waitcnt lgkmcnt(0)
	v_mul_f64 v[208:209], v[234:235], v[230:231]
	v_mul_f64 v[212:213], v[232:233], v[230:231]
	s_delay_alu instid0(VALU_DEP_2) | instskip(NEXT) | instid1(VALU_DEP_2)
	v_fma_f64 v[208:209], v[232:233], v[240:241], -v[208:209]
	v_fma_f64 v[212:213], v[234:235], v[240:241], v[212:213]
	ds_load_2addr_b64 v[232:235], v242 offset0:106 offset1:107
	v_add_f64 v[20:21], v[20:21], -v[208:209]
	v_add_f64 v[22:23], v[22:23], -v[212:213]
	s_waitcnt lgkmcnt(0)
	v_mul_f64 v[208:209], v[234:235], v[230:231]
	v_mul_f64 v[212:213], v[232:233], v[230:231]
	s_delay_alu instid0(VALU_DEP_2) | instskip(NEXT) | instid1(VALU_DEP_2)
	v_fma_f64 v[208:209], v[232:233], v[240:241], -v[208:209]
	v_fma_f64 v[212:213], v[234:235], v[240:241], v[212:213]
	ds_load_2addr_b64 v[232:235], v242 offset0:108 offset1:109
	v_add_f64 v[16:17], v[16:17], -v[208:209]
	v_add_f64 v[18:19], v[18:19], -v[212:213]
	s_waitcnt lgkmcnt(0)
	v_mul_f64 v[208:209], v[234:235], v[230:231]
	v_mul_f64 v[212:213], v[232:233], v[230:231]
	s_delay_alu instid0(VALU_DEP_2) | instskip(NEXT) | instid1(VALU_DEP_2)
	v_fma_f64 v[208:209], v[232:233], v[240:241], -v[208:209]
	v_fma_f64 v[212:213], v[234:235], v[240:241], v[212:213]
	ds_load_2addr_b64 v[232:235], v242 offset0:110 offset1:111
	v_add_f64 v[12:13], v[12:13], -v[208:209]
	v_add_f64 v[14:15], v[14:15], -v[212:213]
	s_waitcnt lgkmcnt(0)
	v_mul_f64 v[208:209], v[234:235], v[230:231]
	v_mul_f64 v[212:213], v[232:233], v[230:231]
	s_delay_alu instid0(VALU_DEP_2) | instskip(NEXT) | instid1(VALU_DEP_2)
	v_fma_f64 v[208:209], v[232:233], v[240:241], -v[208:209]
	v_fma_f64 v[212:213], v[234:235], v[240:241], v[212:213]
	ds_load_2addr_b64 v[232:235], v242 offset0:112 offset1:113
	v_add_f64 v[8:9], v[8:9], -v[208:209]
	v_add_f64 v[10:11], v[10:11], -v[212:213]
	s_waitcnt lgkmcnt(0)
	v_mul_f64 v[208:209], v[234:235], v[230:231]
	v_mul_f64 v[212:213], v[232:233], v[230:231]
	s_delay_alu instid0(VALU_DEP_2) | instskip(NEXT) | instid1(VALU_DEP_2)
	v_fma_f64 v[208:209], v[232:233], v[240:241], -v[208:209]
	v_fma_f64 v[212:213], v[234:235], v[240:241], v[212:213]
	ds_load_2addr_b64 v[232:235], v242 offset0:114 offset1:115
	v_add_f64 v[224:225], v[224:225], -v[208:209]
	v_add_f64 v[226:227], v[226:227], -v[212:213]
	s_waitcnt lgkmcnt(0)
	v_mul_f64 v[208:209], v[234:235], v[230:231]
	v_mul_f64 v[212:213], v[232:233], v[230:231]
	s_delay_alu instid0(VALU_DEP_2) | instskip(NEXT) | instid1(VALU_DEP_2)
	v_fma_f64 v[208:209], v[232:233], v[240:241], -v[208:209]
	v_fma_f64 v[212:213], v[234:235], v[240:241], v[212:213]
	s_delay_alu instid0(VALU_DEP_2) | instskip(NEXT) | instid1(VALU_DEP_2)
	v_add_f64 v[0:1], v[0:1], -v[208:209]
	v_add_f64 v[2:3], v[2:3], -v[212:213]
.LBB114_125:
	s_or_b32 exec_lo, exec_lo, s2
	v_lshl_add_u32 v212, v248, 4, v242
	s_barrier
	buffer_gl0_inv
	v_mov_b32_e32 v240, 6
	ds_store_2addr_b64 v212, v[204:205], v[206:207] offset1:1
	s_waitcnt lgkmcnt(0)
	s_barrier
	buffer_gl0_inv
	ds_load_2addr_b64 v[232:235], v242 offset0:12 offset1:13
	s_cmp_lt_i32 s12, 8
	s_cbranch_scc1 .LBB114_128
; %bb.126:
	v_add3_u32 v241, v246, 0, 0x70
	v_mov_b32_e32 v240, 6
	s_mov_b32 s6, 7
	s_set_inst_prefetch_distance 0x1
	.p2align	6
.LBB114_127:                            ; =>This Inner Loop Header: Depth=1
	ds_load_2addr_b64 v[249:252], v241 offset1:1
	s_waitcnt lgkmcnt(1)
	v_cmp_gt_f64_e32 vcc_lo, 0, v[232:233]
	v_cmp_gt_f64_e64 s2, 0, v[234:235]
	v_xor_b32_e32 v213, 0x80000000, v233
	v_xor_b32_e32 v215, 0x80000000, v235
	v_add_nc_u32_e32 v241, 16, v241
	s_waitcnt lgkmcnt(0)
	v_cmp_gt_f64_e64 s3, 0, v[249:250]
	v_cmp_gt_f64_e64 s4, 0, v[251:252]
	v_xor_b32_e32 v219, 0x80000000, v250
	v_mov_b32_e32 v212, v249
	v_xor_b32_e32 v220, 0x80000000, v252
	v_mov_b32_e32 v214, v251
	v_cndmask_b32_e32 v216, v233, v213, vcc_lo
	v_cndmask_b32_e64 v218, v235, v215, s2
	v_cndmask_b32_e32 v215, v232, v232, vcc_lo
	v_cndmask_b32_e64 v217, v234, v234, s2
	s_delay_alu instid0(VALU_DEP_1) | instskip(SKIP_2) | instid1(VALU_DEP_1)
	v_add_f64 v[216:217], v[215:216], v[217:218]
	v_cndmask_b32_e64 v213, v250, v219, s3
	v_cndmask_b32_e64 v215, v252, v220, s4
	v_add_f64 v[212:213], v[212:213], v[214:215]
	s_delay_alu instid0(VALU_DEP_1)
	v_cmp_lt_f64_e32 vcc_lo, v[216:217], v[212:213]
	v_cndmask_b32_e32 v235, v235, v252, vcc_lo
	v_dual_cndmask_b32 v233, v233, v250 :: v_dual_cndmask_b32 v232, v232, v249
	v_cndmask_b32_e32 v234, v234, v251, vcc_lo
	v_cndmask_b32_e64 v240, v240, s6, vcc_lo
	s_add_i32 s6, s6, 1
	s_delay_alu instid0(SALU_CYCLE_1)
	s_cmp_lg_u32 s12, s6
	s_cbranch_scc1 .LBB114_127
.LBB114_128:
	s_set_inst_prefetch_distance 0x2
	s_waitcnt lgkmcnt(0)
	v_cmp_eq_f64_e32 vcc_lo, 0, v[232:233]
	v_cmp_eq_f64_e64 s2, 0, v[234:235]
	s_delay_alu instid0(VALU_DEP_1) | instskip(NEXT) | instid1(SALU_CYCLE_1)
	s_and_b32 s2, vcc_lo, s2
	s_and_saveexec_b32 s3, s2
	s_delay_alu instid0(SALU_CYCLE_1)
	s_xor_b32 s2, exec_lo, s3
; %bb.129:
	v_cmp_ne_u32_e32 vcc_lo, 0, v245
	v_cndmask_b32_e32 v245, 7, v245, vcc_lo
; %bb.130:
	s_and_not1_saveexec_b32 s3, s2
	s_cbranch_execz .LBB114_136
; %bb.131:
	v_cmp_gt_f64_e32 vcc_lo, 0, v[232:233]
	v_cmp_gt_f64_e64 s2, 0, v[234:235]
	v_xor_b32_e32 v212, 0x80000000, v233
	v_xor_b32_e32 v214, 0x80000000, v235
	s_delay_alu instid0(VALU_DEP_2) | instskip(NEXT) | instid1(VALU_DEP_2)
	v_cndmask_b32_e32 v213, v233, v212, vcc_lo
	v_cndmask_b32_e64 v215, v235, v214, s2
	v_cndmask_b32_e32 v212, v232, v232, vcc_lo
	v_cndmask_b32_e64 v214, v234, v234, s2
	s_mov_b32 s2, exec_lo
	s_delay_alu instid0(VALU_DEP_1)
	v_cmpx_ngt_f64_e32 v[212:213], v[214:215]
	s_xor_b32 s2, exec_lo, s2
	s_cbranch_execz .LBB114_133
; %bb.132:
	v_div_scale_f64 v[212:213], null, v[234:235], v[234:235], v[232:233]
	v_div_scale_f64 v[218:219], vcc_lo, v[232:233], v[234:235], v[232:233]
	s_delay_alu instid0(VALU_DEP_2) | instskip(SKIP_2) | instid1(VALU_DEP_1)
	v_rcp_f64_e32 v[214:215], v[212:213]
	s_waitcnt_depctr 0xfff
	v_fma_f64 v[216:217], -v[212:213], v[214:215], 1.0
	v_fma_f64 v[214:215], v[214:215], v[216:217], v[214:215]
	s_delay_alu instid0(VALU_DEP_1) | instskip(NEXT) | instid1(VALU_DEP_1)
	v_fma_f64 v[216:217], -v[212:213], v[214:215], 1.0
	v_fma_f64 v[214:215], v[214:215], v[216:217], v[214:215]
	s_delay_alu instid0(VALU_DEP_1) | instskip(NEXT) | instid1(VALU_DEP_1)
	v_mul_f64 v[216:217], v[218:219], v[214:215]
	v_fma_f64 v[212:213], -v[212:213], v[216:217], v[218:219]
	s_delay_alu instid0(VALU_DEP_1) | instskip(NEXT) | instid1(VALU_DEP_1)
	v_div_fmas_f64 v[212:213], v[212:213], v[214:215], v[216:217]
	v_div_fixup_f64 v[212:213], v[212:213], v[234:235], v[232:233]
	s_delay_alu instid0(VALU_DEP_1) | instskip(NEXT) | instid1(VALU_DEP_1)
	v_fma_f64 v[214:215], v[232:233], v[212:213], v[234:235]
	v_div_scale_f64 v[216:217], null, v[214:215], v[214:215], 1.0
	s_delay_alu instid0(VALU_DEP_1) | instskip(SKIP_2) | instid1(VALU_DEP_1)
	v_rcp_f64_e32 v[218:219], v[216:217]
	s_waitcnt_depctr 0xfff
	v_fma_f64 v[220:221], -v[216:217], v[218:219], 1.0
	v_fma_f64 v[218:219], v[218:219], v[220:221], v[218:219]
	s_delay_alu instid0(VALU_DEP_1) | instskip(NEXT) | instid1(VALU_DEP_1)
	v_fma_f64 v[220:221], -v[216:217], v[218:219], 1.0
	v_fma_f64 v[218:219], v[218:219], v[220:221], v[218:219]
	v_div_scale_f64 v[220:221], vcc_lo, 1.0, v[214:215], 1.0
	s_delay_alu instid0(VALU_DEP_1) | instskip(NEXT) | instid1(VALU_DEP_1)
	v_mul_f64 v[222:223], v[220:221], v[218:219]
	v_fma_f64 v[216:217], -v[216:217], v[222:223], v[220:221]
	s_delay_alu instid0(VALU_DEP_1) | instskip(NEXT) | instid1(VALU_DEP_1)
	v_div_fmas_f64 v[216:217], v[216:217], v[218:219], v[222:223]
	v_div_fixup_f64 v[234:235], v[216:217], v[214:215], 1.0
	s_delay_alu instid0(VALU_DEP_1)
	v_mul_f64 v[232:233], v[212:213], v[234:235]
	v_xor_b32_e32 v235, 0x80000000, v235
.LBB114_133:
	s_and_not1_saveexec_b32 s2, s2
	s_cbranch_execz .LBB114_135
; %bb.134:
	s_delay_alu instid0(VALU_DEP_1) | instskip(SKIP_1) | instid1(VALU_DEP_2)
	v_div_scale_f64 v[212:213], null, v[232:233], v[232:233], v[234:235]
	v_div_scale_f64 v[218:219], vcc_lo, v[234:235], v[232:233], v[234:235]
	v_rcp_f64_e32 v[214:215], v[212:213]
	s_waitcnt_depctr 0xfff
	v_fma_f64 v[216:217], -v[212:213], v[214:215], 1.0
	s_delay_alu instid0(VALU_DEP_1) | instskip(NEXT) | instid1(VALU_DEP_1)
	v_fma_f64 v[214:215], v[214:215], v[216:217], v[214:215]
	v_fma_f64 v[216:217], -v[212:213], v[214:215], 1.0
	s_delay_alu instid0(VALU_DEP_1) | instskip(NEXT) | instid1(VALU_DEP_1)
	v_fma_f64 v[214:215], v[214:215], v[216:217], v[214:215]
	v_mul_f64 v[216:217], v[218:219], v[214:215]
	s_delay_alu instid0(VALU_DEP_1) | instskip(NEXT) | instid1(VALU_DEP_1)
	v_fma_f64 v[212:213], -v[212:213], v[216:217], v[218:219]
	v_div_fmas_f64 v[212:213], v[212:213], v[214:215], v[216:217]
	s_delay_alu instid0(VALU_DEP_1) | instskip(NEXT) | instid1(VALU_DEP_1)
	v_div_fixup_f64 v[212:213], v[212:213], v[232:233], v[234:235]
	v_fma_f64 v[214:215], v[234:235], v[212:213], v[232:233]
	s_delay_alu instid0(VALU_DEP_1) | instskip(NEXT) | instid1(VALU_DEP_1)
	v_div_scale_f64 v[216:217], null, v[214:215], v[214:215], 1.0
	v_rcp_f64_e32 v[218:219], v[216:217]
	s_waitcnt_depctr 0xfff
	v_fma_f64 v[220:221], -v[216:217], v[218:219], 1.0
	s_delay_alu instid0(VALU_DEP_1) | instskip(NEXT) | instid1(VALU_DEP_1)
	v_fma_f64 v[218:219], v[218:219], v[220:221], v[218:219]
	v_fma_f64 v[220:221], -v[216:217], v[218:219], 1.0
	s_delay_alu instid0(VALU_DEP_1) | instskip(SKIP_1) | instid1(VALU_DEP_1)
	v_fma_f64 v[218:219], v[218:219], v[220:221], v[218:219]
	v_div_scale_f64 v[220:221], vcc_lo, 1.0, v[214:215], 1.0
	v_mul_f64 v[222:223], v[220:221], v[218:219]
	s_delay_alu instid0(VALU_DEP_1) | instskip(NEXT) | instid1(VALU_DEP_1)
	v_fma_f64 v[216:217], -v[216:217], v[222:223], v[220:221]
	v_div_fmas_f64 v[216:217], v[216:217], v[218:219], v[222:223]
	s_delay_alu instid0(VALU_DEP_1) | instskip(NEXT) | instid1(VALU_DEP_1)
	v_div_fixup_f64 v[232:233], v[216:217], v[214:215], 1.0
	v_mul_f64 v[234:235], v[212:213], -v[232:233]
.LBB114_135:
	s_or_b32 exec_lo, exec_lo, s2
.LBB114_136:
	s_delay_alu instid0(SALU_CYCLE_1) | instskip(NEXT) | instid1(SALU_CYCLE_1)
	s_or_b32 exec_lo, exec_lo, s3
	s_mov_b32 s2, exec_lo
	v_cmpx_ne_u32_e64 v248, v240
	s_xor_b32 s2, exec_lo, s2
	s_cbranch_execz .LBB114_142
; %bb.137:
	s_mov_b32 s3, exec_lo
	v_cmpx_eq_u32_e32 6, v248
	s_cbranch_execz .LBB114_141
; %bb.138:
	v_cmp_ne_u32_e32 vcc_lo, 6, v240
	s_xor_b32 s4, s5, -1
	s_delay_alu instid0(SALU_CYCLE_1) | instskip(NEXT) | instid1(SALU_CYCLE_1)
	s_and_b32 s6, s4, vcc_lo
	s_and_saveexec_b32 s4, s6
	s_cbranch_execz .LBB114_140
; %bb.139:
	scratch_load_b64 v[208:209], off, off   ; 8-byte Folded Reload
	v_ashrrev_i32_e32 v241, 31, v240
	s_delay_alu instid0(VALU_DEP_1) | instskip(SKIP_1) | instid1(VALU_DEP_1)
	v_lshlrev_b64 v[212:213], 2, v[240:241]
	s_waitcnt vmcnt(0)
	v_add_co_u32 v212, vcc_lo, v208, v212
	s_delay_alu instid0(VALU_DEP_2)
	v_add_co_ci_u32_e32 v213, vcc_lo, v209, v213, vcc_lo
	s_clause 0x1
	flat_load_b32 v214, v[212:213]
	flat_load_b32 v215, v[208:209] offset:24
	s_waitcnt vmcnt(1) lgkmcnt(1)
	flat_store_b32 v[208:209], v214 offset:24
	s_waitcnt vmcnt(0) lgkmcnt(1)
	flat_store_b32 v[212:213], v215
.LBB114_140:
	s_or_b32 exec_lo, exec_lo, s4
	v_mov_b32_e32 v248, v240
	v_mov_b32_e32 v236, v240
.LBB114_141:
	s_or_b32 exec_lo, exec_lo, s3
.LBB114_142:
	s_and_not1_saveexec_b32 s2, s2
	s_cbranch_execz .LBB114_144
; %bb.143:
	v_mov_b32_e32 v248, 6
	ds_store_2addr_b64 v242, v[200:201], v[202:203] offset0:14 offset1:15
	ds_store_2addr_b64 v242, v[196:197], v[198:199] offset0:16 offset1:17
	;; [unrolled: 1-line block ×51, first 2 shown]
.LBB114_144:
	s_or_b32 exec_lo, exec_lo, s2
	s_delay_alu instid0(SALU_CYCLE_1)
	s_mov_b32 s2, exec_lo
	s_waitcnt lgkmcnt(0)
	s_waitcnt_vscnt null, 0x0
	s_barrier
	buffer_gl0_inv
	v_cmpx_lt_i32_e32 6, v248
	s_cbranch_execz .LBB114_146
; %bb.145:
	v_mul_f64 v[212:213], v[234:235], v[206:207]
	v_mul_f64 v[206:207], v[232:233], v[206:207]
	s_delay_alu instid0(VALU_DEP_2) | instskip(NEXT) | instid1(VALU_DEP_2)
	v_fma_f64 v[240:241], v[232:233], v[204:205], -v[212:213]
	v_fma_f64 v[206:207], v[234:235], v[204:205], v[206:207]
	ds_load_2addr_b64 v[232:235], v242 offset0:14 offset1:15
	s_waitcnt lgkmcnt(0)
	v_mul_f64 v[204:205], v[234:235], v[206:207]
	v_mul_f64 v[212:213], v[232:233], v[206:207]
	s_delay_alu instid0(VALU_DEP_2) | instskip(NEXT) | instid1(VALU_DEP_2)
	v_fma_f64 v[204:205], v[232:233], v[240:241], -v[204:205]
	v_fma_f64 v[212:213], v[234:235], v[240:241], v[212:213]
	ds_load_2addr_b64 v[232:235], v242 offset0:16 offset1:17
	v_add_f64 v[200:201], v[200:201], -v[204:205]
	v_add_f64 v[202:203], v[202:203], -v[212:213]
	s_waitcnt lgkmcnt(0)
	v_mul_f64 v[204:205], v[234:235], v[206:207]
	v_mul_f64 v[212:213], v[232:233], v[206:207]
	s_delay_alu instid0(VALU_DEP_2) | instskip(NEXT) | instid1(VALU_DEP_2)
	v_fma_f64 v[204:205], v[232:233], v[240:241], -v[204:205]
	v_fma_f64 v[212:213], v[234:235], v[240:241], v[212:213]
	ds_load_2addr_b64 v[232:235], v242 offset0:18 offset1:19
	v_add_f64 v[196:197], v[196:197], -v[204:205]
	v_add_f64 v[198:199], v[198:199], -v[212:213]
	;; [unrolled: 9-line block ×50, first 2 shown]
	s_waitcnt lgkmcnt(0)
	v_mul_f64 v[204:205], v[234:235], v[206:207]
	v_mul_f64 v[212:213], v[232:233], v[206:207]
	s_delay_alu instid0(VALU_DEP_2) | instskip(NEXT) | instid1(VALU_DEP_2)
	v_fma_f64 v[204:205], v[232:233], v[240:241], -v[204:205]
	v_fma_f64 v[212:213], v[234:235], v[240:241], v[212:213]
	s_delay_alu instid0(VALU_DEP_2) | instskip(NEXT) | instid1(VALU_DEP_2)
	v_add_f64 v[0:1], v[0:1], -v[204:205]
	v_add_f64 v[2:3], v[2:3], -v[212:213]
	v_dual_mov_b32 v204, v240 :: v_dual_mov_b32 v205, v241
.LBB114_146:
	s_or_b32 exec_lo, exec_lo, s2
	v_lshl_add_u32 v212, v248, 4, v242
	s_barrier
	buffer_gl0_inv
	v_mov_b32_e32 v240, 7
	ds_store_2addr_b64 v212, v[200:201], v[202:203] offset1:1
	s_waitcnt lgkmcnt(0)
	s_barrier
	buffer_gl0_inv
	ds_load_2addr_b64 v[232:235], v242 offset0:14 offset1:15
	s_cmp_lt_i32 s12, 9
	s_cbranch_scc1 .LBB114_149
; %bb.147:
	v_add3_u32 v241, v246, 0, 0x80
	v_mov_b32_e32 v240, 7
	s_mov_b32 s6, 8
	s_set_inst_prefetch_distance 0x1
	.p2align	6
.LBB114_148:                            ; =>This Inner Loop Header: Depth=1
	ds_load_2addr_b64 v[249:252], v241 offset1:1
	s_waitcnt lgkmcnt(1)
	v_cmp_gt_f64_e32 vcc_lo, 0, v[232:233]
	v_cmp_gt_f64_e64 s2, 0, v[234:235]
	v_xor_b32_e32 v213, 0x80000000, v233
	v_xor_b32_e32 v215, 0x80000000, v235
	v_add_nc_u32_e32 v241, 16, v241
	s_waitcnt lgkmcnt(0)
	v_cmp_gt_f64_e64 s3, 0, v[249:250]
	v_cmp_gt_f64_e64 s4, 0, v[251:252]
	v_xor_b32_e32 v219, 0x80000000, v250
	v_mov_b32_e32 v212, v249
	v_xor_b32_e32 v220, 0x80000000, v252
	v_mov_b32_e32 v214, v251
	v_cndmask_b32_e32 v216, v233, v213, vcc_lo
	v_cndmask_b32_e64 v218, v235, v215, s2
	v_cndmask_b32_e32 v215, v232, v232, vcc_lo
	v_cndmask_b32_e64 v217, v234, v234, s2
	s_delay_alu instid0(VALU_DEP_1) | instskip(SKIP_2) | instid1(VALU_DEP_1)
	v_add_f64 v[216:217], v[215:216], v[217:218]
	v_cndmask_b32_e64 v213, v250, v219, s3
	v_cndmask_b32_e64 v215, v252, v220, s4
	v_add_f64 v[212:213], v[212:213], v[214:215]
	s_delay_alu instid0(VALU_DEP_1)
	v_cmp_lt_f64_e32 vcc_lo, v[216:217], v[212:213]
	v_cndmask_b32_e32 v235, v235, v252, vcc_lo
	v_dual_cndmask_b32 v233, v233, v250 :: v_dual_cndmask_b32 v232, v232, v249
	v_cndmask_b32_e32 v234, v234, v251, vcc_lo
	v_cndmask_b32_e64 v240, v240, s6, vcc_lo
	s_add_i32 s6, s6, 1
	s_delay_alu instid0(SALU_CYCLE_1)
	s_cmp_lg_u32 s12, s6
	s_cbranch_scc1 .LBB114_148
.LBB114_149:
	s_set_inst_prefetch_distance 0x2
	s_waitcnt lgkmcnt(0)
	v_cmp_eq_f64_e32 vcc_lo, 0, v[232:233]
	v_cmp_eq_f64_e64 s2, 0, v[234:235]
	s_delay_alu instid0(VALU_DEP_1) | instskip(NEXT) | instid1(SALU_CYCLE_1)
	s_and_b32 s2, vcc_lo, s2
	s_and_saveexec_b32 s3, s2
	s_delay_alu instid0(SALU_CYCLE_1)
	s_xor_b32 s2, exec_lo, s3
; %bb.150:
	v_cmp_ne_u32_e32 vcc_lo, 0, v245
	v_cndmask_b32_e32 v245, 8, v245, vcc_lo
; %bb.151:
	s_and_not1_saveexec_b32 s3, s2
	s_cbranch_execz .LBB114_157
; %bb.152:
	v_cmp_gt_f64_e32 vcc_lo, 0, v[232:233]
	v_cmp_gt_f64_e64 s2, 0, v[234:235]
	v_xor_b32_e32 v212, 0x80000000, v233
	v_xor_b32_e32 v214, 0x80000000, v235
	s_delay_alu instid0(VALU_DEP_2) | instskip(NEXT) | instid1(VALU_DEP_2)
	v_cndmask_b32_e32 v213, v233, v212, vcc_lo
	v_cndmask_b32_e64 v215, v235, v214, s2
	v_cndmask_b32_e32 v212, v232, v232, vcc_lo
	v_cndmask_b32_e64 v214, v234, v234, s2
	s_mov_b32 s2, exec_lo
	s_delay_alu instid0(VALU_DEP_1)
	v_cmpx_ngt_f64_e32 v[212:213], v[214:215]
	s_xor_b32 s2, exec_lo, s2
	s_cbranch_execz .LBB114_154
; %bb.153:
	v_div_scale_f64 v[212:213], null, v[234:235], v[234:235], v[232:233]
	v_div_scale_f64 v[218:219], vcc_lo, v[232:233], v[234:235], v[232:233]
	s_delay_alu instid0(VALU_DEP_2) | instskip(SKIP_2) | instid1(VALU_DEP_1)
	v_rcp_f64_e32 v[214:215], v[212:213]
	s_waitcnt_depctr 0xfff
	v_fma_f64 v[216:217], -v[212:213], v[214:215], 1.0
	v_fma_f64 v[214:215], v[214:215], v[216:217], v[214:215]
	s_delay_alu instid0(VALU_DEP_1) | instskip(NEXT) | instid1(VALU_DEP_1)
	v_fma_f64 v[216:217], -v[212:213], v[214:215], 1.0
	v_fma_f64 v[214:215], v[214:215], v[216:217], v[214:215]
	s_delay_alu instid0(VALU_DEP_1) | instskip(NEXT) | instid1(VALU_DEP_1)
	v_mul_f64 v[216:217], v[218:219], v[214:215]
	v_fma_f64 v[212:213], -v[212:213], v[216:217], v[218:219]
	s_delay_alu instid0(VALU_DEP_1) | instskip(NEXT) | instid1(VALU_DEP_1)
	v_div_fmas_f64 v[212:213], v[212:213], v[214:215], v[216:217]
	v_div_fixup_f64 v[212:213], v[212:213], v[234:235], v[232:233]
	s_delay_alu instid0(VALU_DEP_1) | instskip(NEXT) | instid1(VALU_DEP_1)
	v_fma_f64 v[214:215], v[232:233], v[212:213], v[234:235]
	v_div_scale_f64 v[216:217], null, v[214:215], v[214:215], 1.0
	s_delay_alu instid0(VALU_DEP_1) | instskip(SKIP_2) | instid1(VALU_DEP_1)
	v_rcp_f64_e32 v[218:219], v[216:217]
	s_waitcnt_depctr 0xfff
	v_fma_f64 v[220:221], -v[216:217], v[218:219], 1.0
	v_fma_f64 v[218:219], v[218:219], v[220:221], v[218:219]
	s_delay_alu instid0(VALU_DEP_1) | instskip(NEXT) | instid1(VALU_DEP_1)
	v_fma_f64 v[220:221], -v[216:217], v[218:219], 1.0
	v_fma_f64 v[218:219], v[218:219], v[220:221], v[218:219]
	v_div_scale_f64 v[220:221], vcc_lo, 1.0, v[214:215], 1.0
	s_delay_alu instid0(VALU_DEP_1) | instskip(NEXT) | instid1(VALU_DEP_1)
	v_mul_f64 v[222:223], v[220:221], v[218:219]
	v_fma_f64 v[216:217], -v[216:217], v[222:223], v[220:221]
	s_delay_alu instid0(VALU_DEP_1) | instskip(NEXT) | instid1(VALU_DEP_1)
	v_div_fmas_f64 v[216:217], v[216:217], v[218:219], v[222:223]
	v_div_fixup_f64 v[234:235], v[216:217], v[214:215], 1.0
	s_delay_alu instid0(VALU_DEP_1)
	v_mul_f64 v[232:233], v[212:213], v[234:235]
	v_xor_b32_e32 v235, 0x80000000, v235
.LBB114_154:
	s_and_not1_saveexec_b32 s2, s2
	s_cbranch_execz .LBB114_156
; %bb.155:
	s_delay_alu instid0(VALU_DEP_1) | instskip(SKIP_1) | instid1(VALU_DEP_2)
	v_div_scale_f64 v[212:213], null, v[232:233], v[232:233], v[234:235]
	v_div_scale_f64 v[218:219], vcc_lo, v[234:235], v[232:233], v[234:235]
	v_rcp_f64_e32 v[214:215], v[212:213]
	s_waitcnt_depctr 0xfff
	v_fma_f64 v[216:217], -v[212:213], v[214:215], 1.0
	s_delay_alu instid0(VALU_DEP_1) | instskip(NEXT) | instid1(VALU_DEP_1)
	v_fma_f64 v[214:215], v[214:215], v[216:217], v[214:215]
	v_fma_f64 v[216:217], -v[212:213], v[214:215], 1.0
	s_delay_alu instid0(VALU_DEP_1) | instskip(NEXT) | instid1(VALU_DEP_1)
	v_fma_f64 v[214:215], v[214:215], v[216:217], v[214:215]
	v_mul_f64 v[216:217], v[218:219], v[214:215]
	s_delay_alu instid0(VALU_DEP_1) | instskip(NEXT) | instid1(VALU_DEP_1)
	v_fma_f64 v[212:213], -v[212:213], v[216:217], v[218:219]
	v_div_fmas_f64 v[212:213], v[212:213], v[214:215], v[216:217]
	s_delay_alu instid0(VALU_DEP_1) | instskip(NEXT) | instid1(VALU_DEP_1)
	v_div_fixup_f64 v[212:213], v[212:213], v[232:233], v[234:235]
	v_fma_f64 v[214:215], v[234:235], v[212:213], v[232:233]
	s_delay_alu instid0(VALU_DEP_1) | instskip(NEXT) | instid1(VALU_DEP_1)
	v_div_scale_f64 v[216:217], null, v[214:215], v[214:215], 1.0
	v_rcp_f64_e32 v[218:219], v[216:217]
	s_waitcnt_depctr 0xfff
	v_fma_f64 v[220:221], -v[216:217], v[218:219], 1.0
	s_delay_alu instid0(VALU_DEP_1) | instskip(NEXT) | instid1(VALU_DEP_1)
	v_fma_f64 v[218:219], v[218:219], v[220:221], v[218:219]
	v_fma_f64 v[220:221], -v[216:217], v[218:219], 1.0
	s_delay_alu instid0(VALU_DEP_1) | instskip(SKIP_1) | instid1(VALU_DEP_1)
	v_fma_f64 v[218:219], v[218:219], v[220:221], v[218:219]
	v_div_scale_f64 v[220:221], vcc_lo, 1.0, v[214:215], 1.0
	v_mul_f64 v[222:223], v[220:221], v[218:219]
	s_delay_alu instid0(VALU_DEP_1) | instskip(NEXT) | instid1(VALU_DEP_1)
	v_fma_f64 v[216:217], -v[216:217], v[222:223], v[220:221]
	v_div_fmas_f64 v[216:217], v[216:217], v[218:219], v[222:223]
	s_delay_alu instid0(VALU_DEP_1) | instskip(NEXT) | instid1(VALU_DEP_1)
	v_div_fixup_f64 v[232:233], v[216:217], v[214:215], 1.0
	v_mul_f64 v[234:235], v[212:213], -v[232:233]
.LBB114_156:
	s_or_b32 exec_lo, exec_lo, s2
.LBB114_157:
	s_delay_alu instid0(SALU_CYCLE_1) | instskip(NEXT) | instid1(SALU_CYCLE_1)
	s_or_b32 exec_lo, exec_lo, s3
	s_mov_b32 s2, exec_lo
	v_cmpx_ne_u32_e64 v248, v240
	s_xor_b32 s2, exec_lo, s2
	s_cbranch_execz .LBB114_163
; %bb.158:
	s_mov_b32 s3, exec_lo
	v_cmpx_eq_u32_e32 7, v248
	s_cbranch_execz .LBB114_162
; %bb.159:
	v_cmp_ne_u32_e32 vcc_lo, 7, v240
	s_xor_b32 s4, s5, -1
	s_delay_alu instid0(SALU_CYCLE_1) | instskip(NEXT) | instid1(SALU_CYCLE_1)
	s_and_b32 s6, s4, vcc_lo
	s_and_saveexec_b32 s4, s6
	s_cbranch_execz .LBB114_161
; %bb.160:
	scratch_load_b64 v[208:209], off, off   ; 8-byte Folded Reload
	v_ashrrev_i32_e32 v241, 31, v240
	s_delay_alu instid0(VALU_DEP_1) | instskip(SKIP_1) | instid1(VALU_DEP_1)
	v_lshlrev_b64 v[212:213], 2, v[240:241]
	s_waitcnt vmcnt(0)
	v_add_co_u32 v212, vcc_lo, v208, v212
	s_delay_alu instid0(VALU_DEP_2)
	v_add_co_ci_u32_e32 v213, vcc_lo, v209, v213, vcc_lo
	s_clause 0x1
	flat_load_b32 v214, v[212:213]
	flat_load_b32 v215, v[208:209] offset:28
	s_waitcnt vmcnt(1) lgkmcnt(1)
	flat_store_b32 v[208:209], v214 offset:28
	s_waitcnt vmcnt(0) lgkmcnt(1)
	flat_store_b32 v[212:213], v215
.LBB114_161:
	s_or_b32 exec_lo, exec_lo, s4
	v_mov_b32_e32 v248, v240
	v_mov_b32_e32 v236, v240
.LBB114_162:
	s_or_b32 exec_lo, exec_lo, s3
.LBB114_163:
	s_and_not1_saveexec_b32 s2, s2
	s_cbranch_execz .LBB114_165
; %bb.164:
	v_mov_b32_e32 v248, 7
	ds_store_2addr_b64 v242, v[196:197], v[198:199] offset0:16 offset1:17
	ds_store_2addr_b64 v242, v[192:193], v[194:195] offset0:18 offset1:19
	ds_store_2addr_b64 v242, v[188:189], v[190:191] offset0:20 offset1:21
	ds_store_2addr_b64 v242, v[184:185], v[186:187] offset0:22 offset1:23
	ds_store_2addr_b64 v242, v[180:181], v[182:183] offset0:24 offset1:25
	ds_store_2addr_b64 v242, v[176:177], v[178:179] offset0:26 offset1:27
	ds_store_2addr_b64 v242, v[172:173], v[174:175] offset0:28 offset1:29
	ds_store_2addr_b64 v242, v[168:169], v[170:171] offset0:30 offset1:31
	ds_store_2addr_b64 v242, v[164:165], v[166:167] offset0:32 offset1:33
	ds_store_2addr_b64 v242, v[160:161], v[162:163] offset0:34 offset1:35
	ds_store_2addr_b64 v242, v[156:157], v[158:159] offset0:36 offset1:37
	ds_store_2addr_b64 v242, v[152:153], v[154:155] offset0:38 offset1:39
	ds_store_2addr_b64 v242, v[148:149], v[150:151] offset0:40 offset1:41
	ds_store_2addr_b64 v242, v[144:145], v[146:147] offset0:42 offset1:43
	ds_store_2addr_b64 v242, v[140:141], v[142:143] offset0:44 offset1:45
	ds_store_2addr_b64 v242, v[136:137], v[138:139] offset0:46 offset1:47
	ds_store_2addr_b64 v242, v[132:133], v[134:135] offset0:48 offset1:49
	ds_store_2addr_b64 v242, v[128:129], v[130:131] offset0:50 offset1:51
	ds_store_2addr_b64 v242, v[124:125], v[126:127] offset0:52 offset1:53
	ds_store_2addr_b64 v242, v[120:121], v[122:123] offset0:54 offset1:55
	ds_store_2addr_b64 v242, v[116:117], v[118:119] offset0:56 offset1:57
	ds_store_2addr_b64 v242, v[112:113], v[114:115] offset0:58 offset1:59
	ds_store_2addr_b64 v242, v[108:109], v[110:111] offset0:60 offset1:61
	ds_store_2addr_b64 v242, v[104:105], v[106:107] offset0:62 offset1:63
	ds_store_2addr_b64 v242, v[100:101], v[102:103] offset0:64 offset1:65
	ds_store_2addr_b64 v242, v[96:97], v[98:99] offset0:66 offset1:67
	ds_store_2addr_b64 v242, v[92:93], v[94:95] offset0:68 offset1:69
	ds_store_2addr_b64 v242, v[88:89], v[90:91] offset0:70 offset1:71
	ds_store_2addr_b64 v242, v[84:85], v[86:87] offset0:72 offset1:73
	ds_store_2addr_b64 v242, v[80:81], v[82:83] offset0:74 offset1:75
	ds_store_2addr_b64 v242, v[76:77], v[78:79] offset0:76 offset1:77
	ds_store_2addr_b64 v242, v[72:73], v[74:75] offset0:78 offset1:79
	ds_store_2addr_b64 v242, v[68:69], v[70:71] offset0:80 offset1:81
	ds_store_2addr_b64 v242, v[64:65], v[66:67] offset0:82 offset1:83
	ds_store_2addr_b64 v242, v[60:61], v[62:63] offset0:84 offset1:85
	ds_store_2addr_b64 v242, v[56:57], v[58:59] offset0:86 offset1:87
	ds_store_2addr_b64 v242, v[52:53], v[54:55] offset0:88 offset1:89
	ds_store_2addr_b64 v242, v[48:49], v[50:51] offset0:90 offset1:91
	ds_store_2addr_b64 v242, v[44:45], v[46:47] offset0:92 offset1:93
	ds_store_2addr_b64 v242, v[40:41], v[42:43] offset0:94 offset1:95
	ds_store_2addr_b64 v242, v[36:37], v[38:39] offset0:96 offset1:97
	ds_store_2addr_b64 v242, v[32:33], v[34:35] offset0:98 offset1:99
	ds_store_2addr_b64 v242, v[28:29], v[30:31] offset0:100 offset1:101
	ds_store_2addr_b64 v242, v[24:25], v[26:27] offset0:102 offset1:103
	ds_store_2addr_b64 v242, v[20:21], v[22:23] offset0:104 offset1:105
	ds_store_2addr_b64 v242, v[16:17], v[18:19] offset0:106 offset1:107
	ds_store_2addr_b64 v242, v[12:13], v[14:15] offset0:108 offset1:109
	ds_store_2addr_b64 v242, v[8:9], v[10:11] offset0:110 offset1:111
	ds_store_2addr_b64 v242, v[224:225], v[226:227] offset0:112 offset1:113
	ds_store_2addr_b64 v242, v[0:1], v[2:3] offset0:114 offset1:115
.LBB114_165:
	s_or_b32 exec_lo, exec_lo, s2
	s_delay_alu instid0(SALU_CYCLE_1)
	s_mov_b32 s2, exec_lo
	s_waitcnt lgkmcnt(0)
	s_waitcnt_vscnt null, 0x0
	s_barrier
	buffer_gl0_inv
	v_cmpx_lt_i32_e32 7, v248
	s_cbranch_execz .LBB114_167
; %bb.166:
	v_mul_f64 v[212:213], v[234:235], v[202:203]
	v_mul_f64 v[202:203], v[232:233], v[202:203]
	s_delay_alu instid0(VALU_DEP_2) | instskip(NEXT) | instid1(VALU_DEP_2)
	v_fma_f64 v[240:241], v[232:233], v[200:201], -v[212:213]
	v_fma_f64 v[202:203], v[234:235], v[200:201], v[202:203]
	ds_load_2addr_b64 v[232:235], v242 offset0:16 offset1:17
	s_waitcnt lgkmcnt(0)
	v_mul_f64 v[200:201], v[234:235], v[202:203]
	v_mul_f64 v[212:213], v[232:233], v[202:203]
	s_delay_alu instid0(VALU_DEP_2) | instskip(NEXT) | instid1(VALU_DEP_2)
	v_fma_f64 v[200:201], v[232:233], v[240:241], -v[200:201]
	v_fma_f64 v[212:213], v[234:235], v[240:241], v[212:213]
	ds_load_2addr_b64 v[232:235], v242 offset0:18 offset1:19
	v_add_f64 v[196:197], v[196:197], -v[200:201]
	v_add_f64 v[198:199], v[198:199], -v[212:213]
	s_waitcnt lgkmcnt(0)
	v_mul_f64 v[200:201], v[234:235], v[202:203]
	v_mul_f64 v[212:213], v[232:233], v[202:203]
	s_delay_alu instid0(VALU_DEP_2) | instskip(NEXT) | instid1(VALU_DEP_2)
	v_fma_f64 v[200:201], v[232:233], v[240:241], -v[200:201]
	v_fma_f64 v[212:213], v[234:235], v[240:241], v[212:213]
	ds_load_2addr_b64 v[232:235], v242 offset0:20 offset1:21
	v_add_f64 v[192:193], v[192:193], -v[200:201]
	v_add_f64 v[194:195], v[194:195], -v[212:213]
	;; [unrolled: 9-line block ×49, first 2 shown]
	s_waitcnt lgkmcnt(0)
	v_mul_f64 v[200:201], v[234:235], v[202:203]
	v_mul_f64 v[212:213], v[232:233], v[202:203]
	s_delay_alu instid0(VALU_DEP_2) | instskip(NEXT) | instid1(VALU_DEP_2)
	v_fma_f64 v[200:201], v[232:233], v[240:241], -v[200:201]
	v_fma_f64 v[212:213], v[234:235], v[240:241], v[212:213]
	s_delay_alu instid0(VALU_DEP_2) | instskip(NEXT) | instid1(VALU_DEP_2)
	v_add_f64 v[0:1], v[0:1], -v[200:201]
	v_add_f64 v[2:3], v[2:3], -v[212:213]
	v_dual_mov_b32 v200, v240 :: v_dual_mov_b32 v201, v241
.LBB114_167:
	s_or_b32 exec_lo, exec_lo, s2
	v_lshl_add_u32 v212, v248, 4, v242
	s_barrier
	buffer_gl0_inv
	v_mov_b32_e32 v240, 8
	ds_store_2addr_b64 v212, v[196:197], v[198:199] offset1:1
	s_waitcnt lgkmcnt(0)
	s_barrier
	buffer_gl0_inv
	ds_load_2addr_b64 v[232:235], v242 offset0:16 offset1:17
	s_cmp_lt_i32 s12, 10
	s_cbranch_scc1 .LBB114_170
; %bb.168:
	v_add3_u32 v241, v246, 0, 0x90
	v_mov_b32_e32 v240, 8
	s_mov_b32 s6, 9
	s_set_inst_prefetch_distance 0x1
	.p2align	6
.LBB114_169:                            ; =>This Inner Loop Header: Depth=1
	ds_load_2addr_b64 v[249:252], v241 offset1:1
	s_waitcnt lgkmcnt(1)
	v_cmp_gt_f64_e32 vcc_lo, 0, v[232:233]
	v_cmp_gt_f64_e64 s2, 0, v[234:235]
	v_xor_b32_e32 v213, 0x80000000, v233
	v_xor_b32_e32 v215, 0x80000000, v235
	v_add_nc_u32_e32 v241, 16, v241
	s_waitcnt lgkmcnt(0)
	v_cmp_gt_f64_e64 s3, 0, v[249:250]
	v_cmp_gt_f64_e64 s4, 0, v[251:252]
	v_xor_b32_e32 v219, 0x80000000, v250
	v_mov_b32_e32 v212, v249
	v_xor_b32_e32 v220, 0x80000000, v252
	v_mov_b32_e32 v214, v251
	v_cndmask_b32_e32 v216, v233, v213, vcc_lo
	v_cndmask_b32_e64 v218, v235, v215, s2
	v_cndmask_b32_e32 v215, v232, v232, vcc_lo
	v_cndmask_b32_e64 v217, v234, v234, s2
	s_delay_alu instid0(VALU_DEP_1) | instskip(SKIP_2) | instid1(VALU_DEP_1)
	v_add_f64 v[216:217], v[215:216], v[217:218]
	v_cndmask_b32_e64 v213, v250, v219, s3
	v_cndmask_b32_e64 v215, v252, v220, s4
	v_add_f64 v[212:213], v[212:213], v[214:215]
	s_delay_alu instid0(VALU_DEP_1)
	v_cmp_lt_f64_e32 vcc_lo, v[216:217], v[212:213]
	v_cndmask_b32_e32 v235, v235, v252, vcc_lo
	v_dual_cndmask_b32 v233, v233, v250 :: v_dual_cndmask_b32 v232, v232, v249
	v_cndmask_b32_e32 v234, v234, v251, vcc_lo
	v_cndmask_b32_e64 v240, v240, s6, vcc_lo
	s_add_i32 s6, s6, 1
	s_delay_alu instid0(SALU_CYCLE_1)
	s_cmp_lg_u32 s12, s6
	s_cbranch_scc1 .LBB114_169
.LBB114_170:
	s_set_inst_prefetch_distance 0x2
	s_waitcnt lgkmcnt(0)
	v_cmp_eq_f64_e32 vcc_lo, 0, v[232:233]
	v_cmp_eq_f64_e64 s2, 0, v[234:235]
	s_delay_alu instid0(VALU_DEP_1) | instskip(NEXT) | instid1(SALU_CYCLE_1)
	s_and_b32 s2, vcc_lo, s2
	s_and_saveexec_b32 s3, s2
	s_delay_alu instid0(SALU_CYCLE_1)
	s_xor_b32 s2, exec_lo, s3
; %bb.171:
	v_cmp_ne_u32_e32 vcc_lo, 0, v245
	v_cndmask_b32_e32 v245, 9, v245, vcc_lo
; %bb.172:
	s_and_not1_saveexec_b32 s3, s2
	s_cbranch_execz .LBB114_178
; %bb.173:
	v_cmp_gt_f64_e32 vcc_lo, 0, v[232:233]
	v_cmp_gt_f64_e64 s2, 0, v[234:235]
	v_xor_b32_e32 v212, 0x80000000, v233
	v_xor_b32_e32 v214, 0x80000000, v235
	s_delay_alu instid0(VALU_DEP_2) | instskip(NEXT) | instid1(VALU_DEP_2)
	v_cndmask_b32_e32 v213, v233, v212, vcc_lo
	v_cndmask_b32_e64 v215, v235, v214, s2
	v_cndmask_b32_e32 v212, v232, v232, vcc_lo
	v_cndmask_b32_e64 v214, v234, v234, s2
	s_mov_b32 s2, exec_lo
	s_delay_alu instid0(VALU_DEP_1)
	v_cmpx_ngt_f64_e32 v[212:213], v[214:215]
	s_xor_b32 s2, exec_lo, s2
	s_cbranch_execz .LBB114_175
; %bb.174:
	v_div_scale_f64 v[212:213], null, v[234:235], v[234:235], v[232:233]
	v_div_scale_f64 v[218:219], vcc_lo, v[232:233], v[234:235], v[232:233]
	s_delay_alu instid0(VALU_DEP_2) | instskip(SKIP_2) | instid1(VALU_DEP_1)
	v_rcp_f64_e32 v[214:215], v[212:213]
	s_waitcnt_depctr 0xfff
	v_fma_f64 v[216:217], -v[212:213], v[214:215], 1.0
	v_fma_f64 v[214:215], v[214:215], v[216:217], v[214:215]
	s_delay_alu instid0(VALU_DEP_1) | instskip(NEXT) | instid1(VALU_DEP_1)
	v_fma_f64 v[216:217], -v[212:213], v[214:215], 1.0
	v_fma_f64 v[214:215], v[214:215], v[216:217], v[214:215]
	s_delay_alu instid0(VALU_DEP_1) | instskip(NEXT) | instid1(VALU_DEP_1)
	v_mul_f64 v[216:217], v[218:219], v[214:215]
	v_fma_f64 v[212:213], -v[212:213], v[216:217], v[218:219]
	s_delay_alu instid0(VALU_DEP_1) | instskip(NEXT) | instid1(VALU_DEP_1)
	v_div_fmas_f64 v[212:213], v[212:213], v[214:215], v[216:217]
	v_div_fixup_f64 v[212:213], v[212:213], v[234:235], v[232:233]
	s_delay_alu instid0(VALU_DEP_1) | instskip(NEXT) | instid1(VALU_DEP_1)
	v_fma_f64 v[214:215], v[232:233], v[212:213], v[234:235]
	v_div_scale_f64 v[216:217], null, v[214:215], v[214:215], 1.0
	s_delay_alu instid0(VALU_DEP_1) | instskip(SKIP_2) | instid1(VALU_DEP_1)
	v_rcp_f64_e32 v[218:219], v[216:217]
	s_waitcnt_depctr 0xfff
	v_fma_f64 v[220:221], -v[216:217], v[218:219], 1.0
	v_fma_f64 v[218:219], v[218:219], v[220:221], v[218:219]
	s_delay_alu instid0(VALU_DEP_1) | instskip(NEXT) | instid1(VALU_DEP_1)
	v_fma_f64 v[220:221], -v[216:217], v[218:219], 1.0
	v_fma_f64 v[218:219], v[218:219], v[220:221], v[218:219]
	v_div_scale_f64 v[220:221], vcc_lo, 1.0, v[214:215], 1.0
	s_delay_alu instid0(VALU_DEP_1) | instskip(NEXT) | instid1(VALU_DEP_1)
	v_mul_f64 v[222:223], v[220:221], v[218:219]
	v_fma_f64 v[216:217], -v[216:217], v[222:223], v[220:221]
	s_delay_alu instid0(VALU_DEP_1) | instskip(NEXT) | instid1(VALU_DEP_1)
	v_div_fmas_f64 v[216:217], v[216:217], v[218:219], v[222:223]
	v_div_fixup_f64 v[234:235], v[216:217], v[214:215], 1.0
	s_delay_alu instid0(VALU_DEP_1)
	v_mul_f64 v[232:233], v[212:213], v[234:235]
	v_xor_b32_e32 v235, 0x80000000, v235
.LBB114_175:
	s_and_not1_saveexec_b32 s2, s2
	s_cbranch_execz .LBB114_177
; %bb.176:
	s_delay_alu instid0(VALU_DEP_1) | instskip(SKIP_1) | instid1(VALU_DEP_2)
	v_div_scale_f64 v[212:213], null, v[232:233], v[232:233], v[234:235]
	v_div_scale_f64 v[218:219], vcc_lo, v[234:235], v[232:233], v[234:235]
	v_rcp_f64_e32 v[214:215], v[212:213]
	s_waitcnt_depctr 0xfff
	v_fma_f64 v[216:217], -v[212:213], v[214:215], 1.0
	s_delay_alu instid0(VALU_DEP_1) | instskip(NEXT) | instid1(VALU_DEP_1)
	v_fma_f64 v[214:215], v[214:215], v[216:217], v[214:215]
	v_fma_f64 v[216:217], -v[212:213], v[214:215], 1.0
	s_delay_alu instid0(VALU_DEP_1) | instskip(NEXT) | instid1(VALU_DEP_1)
	v_fma_f64 v[214:215], v[214:215], v[216:217], v[214:215]
	v_mul_f64 v[216:217], v[218:219], v[214:215]
	s_delay_alu instid0(VALU_DEP_1) | instskip(NEXT) | instid1(VALU_DEP_1)
	v_fma_f64 v[212:213], -v[212:213], v[216:217], v[218:219]
	v_div_fmas_f64 v[212:213], v[212:213], v[214:215], v[216:217]
	s_delay_alu instid0(VALU_DEP_1) | instskip(NEXT) | instid1(VALU_DEP_1)
	v_div_fixup_f64 v[212:213], v[212:213], v[232:233], v[234:235]
	v_fma_f64 v[214:215], v[234:235], v[212:213], v[232:233]
	s_delay_alu instid0(VALU_DEP_1) | instskip(NEXT) | instid1(VALU_DEP_1)
	v_div_scale_f64 v[216:217], null, v[214:215], v[214:215], 1.0
	v_rcp_f64_e32 v[218:219], v[216:217]
	s_waitcnt_depctr 0xfff
	v_fma_f64 v[220:221], -v[216:217], v[218:219], 1.0
	s_delay_alu instid0(VALU_DEP_1) | instskip(NEXT) | instid1(VALU_DEP_1)
	v_fma_f64 v[218:219], v[218:219], v[220:221], v[218:219]
	v_fma_f64 v[220:221], -v[216:217], v[218:219], 1.0
	s_delay_alu instid0(VALU_DEP_1) | instskip(SKIP_1) | instid1(VALU_DEP_1)
	v_fma_f64 v[218:219], v[218:219], v[220:221], v[218:219]
	v_div_scale_f64 v[220:221], vcc_lo, 1.0, v[214:215], 1.0
	v_mul_f64 v[222:223], v[220:221], v[218:219]
	s_delay_alu instid0(VALU_DEP_1) | instskip(NEXT) | instid1(VALU_DEP_1)
	v_fma_f64 v[216:217], -v[216:217], v[222:223], v[220:221]
	v_div_fmas_f64 v[216:217], v[216:217], v[218:219], v[222:223]
	s_delay_alu instid0(VALU_DEP_1) | instskip(NEXT) | instid1(VALU_DEP_1)
	v_div_fixup_f64 v[232:233], v[216:217], v[214:215], 1.0
	v_mul_f64 v[234:235], v[212:213], -v[232:233]
.LBB114_177:
	s_or_b32 exec_lo, exec_lo, s2
.LBB114_178:
	s_delay_alu instid0(SALU_CYCLE_1) | instskip(NEXT) | instid1(SALU_CYCLE_1)
	s_or_b32 exec_lo, exec_lo, s3
	s_mov_b32 s2, exec_lo
	v_cmpx_ne_u32_e64 v248, v240
	s_xor_b32 s2, exec_lo, s2
	s_cbranch_execz .LBB114_184
; %bb.179:
	s_mov_b32 s3, exec_lo
	v_cmpx_eq_u32_e32 8, v248
	s_cbranch_execz .LBB114_183
; %bb.180:
	v_cmp_ne_u32_e32 vcc_lo, 8, v240
	s_xor_b32 s4, s5, -1
	s_delay_alu instid0(SALU_CYCLE_1) | instskip(NEXT) | instid1(SALU_CYCLE_1)
	s_and_b32 s6, s4, vcc_lo
	s_and_saveexec_b32 s4, s6
	s_cbranch_execz .LBB114_182
; %bb.181:
	scratch_load_b64 v[208:209], off, off   ; 8-byte Folded Reload
	v_ashrrev_i32_e32 v241, 31, v240
	s_delay_alu instid0(VALU_DEP_1) | instskip(SKIP_1) | instid1(VALU_DEP_1)
	v_lshlrev_b64 v[212:213], 2, v[240:241]
	s_waitcnt vmcnt(0)
	v_add_co_u32 v212, vcc_lo, v208, v212
	s_delay_alu instid0(VALU_DEP_2)
	v_add_co_ci_u32_e32 v213, vcc_lo, v209, v213, vcc_lo
	s_clause 0x1
	flat_load_b32 v214, v[212:213]
	flat_load_b32 v215, v[208:209] offset:32
	s_waitcnt vmcnt(1) lgkmcnt(1)
	flat_store_b32 v[208:209], v214 offset:32
	s_waitcnt vmcnt(0) lgkmcnt(1)
	flat_store_b32 v[212:213], v215
.LBB114_182:
	s_or_b32 exec_lo, exec_lo, s4
	v_mov_b32_e32 v248, v240
	v_mov_b32_e32 v236, v240
.LBB114_183:
	s_or_b32 exec_lo, exec_lo, s3
.LBB114_184:
	s_and_not1_saveexec_b32 s2, s2
	s_cbranch_execz .LBB114_186
; %bb.185:
	v_mov_b32_e32 v248, 8
	ds_store_2addr_b64 v242, v[192:193], v[194:195] offset0:18 offset1:19
	ds_store_2addr_b64 v242, v[188:189], v[190:191] offset0:20 offset1:21
	;; [unrolled: 1-line block ×49, first 2 shown]
.LBB114_186:
	s_or_b32 exec_lo, exec_lo, s2
	s_delay_alu instid0(SALU_CYCLE_1)
	s_mov_b32 s2, exec_lo
	s_waitcnt lgkmcnt(0)
	s_waitcnt_vscnt null, 0x0
	s_barrier
	buffer_gl0_inv
	v_cmpx_lt_i32_e32 8, v248
	s_cbranch_execz .LBB114_188
; %bb.187:
	v_mul_f64 v[212:213], v[234:235], v[198:199]
	v_mul_f64 v[198:199], v[232:233], v[198:199]
	s_delay_alu instid0(VALU_DEP_2) | instskip(NEXT) | instid1(VALU_DEP_2)
	v_fma_f64 v[240:241], v[232:233], v[196:197], -v[212:213]
	v_fma_f64 v[198:199], v[234:235], v[196:197], v[198:199]
	ds_load_2addr_b64 v[232:235], v242 offset0:18 offset1:19
	s_waitcnt lgkmcnt(0)
	v_mul_f64 v[196:197], v[234:235], v[198:199]
	v_mul_f64 v[212:213], v[232:233], v[198:199]
	s_delay_alu instid0(VALU_DEP_2) | instskip(NEXT) | instid1(VALU_DEP_2)
	v_fma_f64 v[196:197], v[232:233], v[240:241], -v[196:197]
	v_fma_f64 v[212:213], v[234:235], v[240:241], v[212:213]
	ds_load_2addr_b64 v[232:235], v242 offset0:20 offset1:21
	v_add_f64 v[192:193], v[192:193], -v[196:197]
	v_add_f64 v[194:195], v[194:195], -v[212:213]
	s_waitcnt lgkmcnt(0)
	v_mul_f64 v[196:197], v[234:235], v[198:199]
	v_mul_f64 v[212:213], v[232:233], v[198:199]
	s_delay_alu instid0(VALU_DEP_2) | instskip(NEXT) | instid1(VALU_DEP_2)
	v_fma_f64 v[196:197], v[232:233], v[240:241], -v[196:197]
	v_fma_f64 v[212:213], v[234:235], v[240:241], v[212:213]
	ds_load_2addr_b64 v[232:235], v242 offset0:22 offset1:23
	v_add_f64 v[188:189], v[188:189], -v[196:197]
	v_add_f64 v[190:191], v[190:191], -v[212:213]
	;; [unrolled: 9-line block ×48, first 2 shown]
	s_waitcnt lgkmcnt(0)
	v_mul_f64 v[196:197], v[234:235], v[198:199]
	v_mul_f64 v[212:213], v[232:233], v[198:199]
	s_delay_alu instid0(VALU_DEP_2) | instskip(NEXT) | instid1(VALU_DEP_2)
	v_fma_f64 v[196:197], v[232:233], v[240:241], -v[196:197]
	v_fma_f64 v[212:213], v[234:235], v[240:241], v[212:213]
	s_delay_alu instid0(VALU_DEP_2) | instskip(NEXT) | instid1(VALU_DEP_2)
	v_add_f64 v[0:1], v[0:1], -v[196:197]
	v_add_f64 v[2:3], v[2:3], -v[212:213]
	v_dual_mov_b32 v196, v240 :: v_dual_mov_b32 v197, v241
.LBB114_188:
	s_or_b32 exec_lo, exec_lo, s2
	v_lshl_add_u32 v212, v248, 4, v242
	s_barrier
	buffer_gl0_inv
	v_mov_b32_e32 v240, 9
	ds_store_2addr_b64 v212, v[192:193], v[194:195] offset1:1
	s_waitcnt lgkmcnt(0)
	s_barrier
	buffer_gl0_inv
	ds_load_2addr_b64 v[232:235], v242 offset0:18 offset1:19
	s_cmp_lt_i32 s12, 11
	s_cbranch_scc1 .LBB114_191
; %bb.189:
	v_add3_u32 v241, v246, 0, 0xa0
	v_mov_b32_e32 v240, 9
	s_mov_b32 s6, 10
	s_set_inst_prefetch_distance 0x1
	.p2align	6
.LBB114_190:                            ; =>This Inner Loop Header: Depth=1
	ds_load_2addr_b64 v[249:252], v241 offset1:1
	s_waitcnt lgkmcnt(1)
	v_cmp_gt_f64_e32 vcc_lo, 0, v[232:233]
	v_cmp_gt_f64_e64 s2, 0, v[234:235]
	v_xor_b32_e32 v213, 0x80000000, v233
	v_xor_b32_e32 v215, 0x80000000, v235
	v_add_nc_u32_e32 v241, 16, v241
	s_waitcnt lgkmcnt(0)
	v_cmp_gt_f64_e64 s3, 0, v[249:250]
	v_cmp_gt_f64_e64 s4, 0, v[251:252]
	v_xor_b32_e32 v219, 0x80000000, v250
	v_mov_b32_e32 v212, v249
	v_xor_b32_e32 v220, 0x80000000, v252
	v_mov_b32_e32 v214, v251
	v_cndmask_b32_e32 v216, v233, v213, vcc_lo
	v_cndmask_b32_e64 v218, v235, v215, s2
	v_cndmask_b32_e32 v215, v232, v232, vcc_lo
	v_cndmask_b32_e64 v217, v234, v234, s2
	s_delay_alu instid0(VALU_DEP_1) | instskip(SKIP_2) | instid1(VALU_DEP_1)
	v_add_f64 v[216:217], v[215:216], v[217:218]
	v_cndmask_b32_e64 v213, v250, v219, s3
	v_cndmask_b32_e64 v215, v252, v220, s4
	v_add_f64 v[212:213], v[212:213], v[214:215]
	s_delay_alu instid0(VALU_DEP_1)
	v_cmp_lt_f64_e32 vcc_lo, v[216:217], v[212:213]
	v_cndmask_b32_e32 v235, v235, v252, vcc_lo
	v_dual_cndmask_b32 v233, v233, v250 :: v_dual_cndmask_b32 v232, v232, v249
	v_cndmask_b32_e32 v234, v234, v251, vcc_lo
	v_cndmask_b32_e64 v240, v240, s6, vcc_lo
	s_add_i32 s6, s6, 1
	s_delay_alu instid0(SALU_CYCLE_1)
	s_cmp_lg_u32 s12, s6
	s_cbranch_scc1 .LBB114_190
.LBB114_191:
	s_set_inst_prefetch_distance 0x2
	s_waitcnt lgkmcnt(0)
	v_cmp_eq_f64_e32 vcc_lo, 0, v[232:233]
	v_cmp_eq_f64_e64 s2, 0, v[234:235]
	s_delay_alu instid0(VALU_DEP_1) | instskip(NEXT) | instid1(SALU_CYCLE_1)
	s_and_b32 s2, vcc_lo, s2
	s_and_saveexec_b32 s3, s2
	s_delay_alu instid0(SALU_CYCLE_1)
	s_xor_b32 s2, exec_lo, s3
; %bb.192:
	v_cmp_ne_u32_e32 vcc_lo, 0, v245
	v_cndmask_b32_e32 v245, 10, v245, vcc_lo
; %bb.193:
	s_and_not1_saveexec_b32 s3, s2
	s_cbranch_execz .LBB114_199
; %bb.194:
	v_cmp_gt_f64_e32 vcc_lo, 0, v[232:233]
	v_cmp_gt_f64_e64 s2, 0, v[234:235]
	v_xor_b32_e32 v212, 0x80000000, v233
	v_xor_b32_e32 v214, 0x80000000, v235
	s_delay_alu instid0(VALU_DEP_2) | instskip(NEXT) | instid1(VALU_DEP_2)
	v_cndmask_b32_e32 v213, v233, v212, vcc_lo
	v_cndmask_b32_e64 v215, v235, v214, s2
	v_cndmask_b32_e32 v212, v232, v232, vcc_lo
	v_cndmask_b32_e64 v214, v234, v234, s2
	s_mov_b32 s2, exec_lo
	s_delay_alu instid0(VALU_DEP_1)
	v_cmpx_ngt_f64_e32 v[212:213], v[214:215]
	s_xor_b32 s2, exec_lo, s2
	s_cbranch_execz .LBB114_196
; %bb.195:
	v_div_scale_f64 v[212:213], null, v[234:235], v[234:235], v[232:233]
	v_div_scale_f64 v[218:219], vcc_lo, v[232:233], v[234:235], v[232:233]
	s_delay_alu instid0(VALU_DEP_2) | instskip(SKIP_2) | instid1(VALU_DEP_1)
	v_rcp_f64_e32 v[214:215], v[212:213]
	s_waitcnt_depctr 0xfff
	v_fma_f64 v[216:217], -v[212:213], v[214:215], 1.0
	v_fma_f64 v[214:215], v[214:215], v[216:217], v[214:215]
	s_delay_alu instid0(VALU_DEP_1) | instskip(NEXT) | instid1(VALU_DEP_1)
	v_fma_f64 v[216:217], -v[212:213], v[214:215], 1.0
	v_fma_f64 v[214:215], v[214:215], v[216:217], v[214:215]
	s_delay_alu instid0(VALU_DEP_1) | instskip(NEXT) | instid1(VALU_DEP_1)
	v_mul_f64 v[216:217], v[218:219], v[214:215]
	v_fma_f64 v[212:213], -v[212:213], v[216:217], v[218:219]
	s_delay_alu instid0(VALU_DEP_1) | instskip(NEXT) | instid1(VALU_DEP_1)
	v_div_fmas_f64 v[212:213], v[212:213], v[214:215], v[216:217]
	v_div_fixup_f64 v[212:213], v[212:213], v[234:235], v[232:233]
	s_delay_alu instid0(VALU_DEP_1) | instskip(NEXT) | instid1(VALU_DEP_1)
	v_fma_f64 v[214:215], v[232:233], v[212:213], v[234:235]
	v_div_scale_f64 v[216:217], null, v[214:215], v[214:215], 1.0
	s_delay_alu instid0(VALU_DEP_1) | instskip(SKIP_2) | instid1(VALU_DEP_1)
	v_rcp_f64_e32 v[218:219], v[216:217]
	s_waitcnt_depctr 0xfff
	v_fma_f64 v[220:221], -v[216:217], v[218:219], 1.0
	v_fma_f64 v[218:219], v[218:219], v[220:221], v[218:219]
	s_delay_alu instid0(VALU_DEP_1) | instskip(NEXT) | instid1(VALU_DEP_1)
	v_fma_f64 v[220:221], -v[216:217], v[218:219], 1.0
	v_fma_f64 v[218:219], v[218:219], v[220:221], v[218:219]
	v_div_scale_f64 v[220:221], vcc_lo, 1.0, v[214:215], 1.0
	s_delay_alu instid0(VALU_DEP_1) | instskip(NEXT) | instid1(VALU_DEP_1)
	v_mul_f64 v[222:223], v[220:221], v[218:219]
	v_fma_f64 v[216:217], -v[216:217], v[222:223], v[220:221]
	s_delay_alu instid0(VALU_DEP_1) | instskip(NEXT) | instid1(VALU_DEP_1)
	v_div_fmas_f64 v[216:217], v[216:217], v[218:219], v[222:223]
	v_div_fixup_f64 v[234:235], v[216:217], v[214:215], 1.0
	s_delay_alu instid0(VALU_DEP_1)
	v_mul_f64 v[232:233], v[212:213], v[234:235]
	v_xor_b32_e32 v235, 0x80000000, v235
.LBB114_196:
	s_and_not1_saveexec_b32 s2, s2
	s_cbranch_execz .LBB114_198
; %bb.197:
	s_delay_alu instid0(VALU_DEP_1) | instskip(SKIP_1) | instid1(VALU_DEP_2)
	v_div_scale_f64 v[212:213], null, v[232:233], v[232:233], v[234:235]
	v_div_scale_f64 v[218:219], vcc_lo, v[234:235], v[232:233], v[234:235]
	v_rcp_f64_e32 v[214:215], v[212:213]
	s_waitcnt_depctr 0xfff
	v_fma_f64 v[216:217], -v[212:213], v[214:215], 1.0
	s_delay_alu instid0(VALU_DEP_1) | instskip(NEXT) | instid1(VALU_DEP_1)
	v_fma_f64 v[214:215], v[214:215], v[216:217], v[214:215]
	v_fma_f64 v[216:217], -v[212:213], v[214:215], 1.0
	s_delay_alu instid0(VALU_DEP_1) | instskip(NEXT) | instid1(VALU_DEP_1)
	v_fma_f64 v[214:215], v[214:215], v[216:217], v[214:215]
	v_mul_f64 v[216:217], v[218:219], v[214:215]
	s_delay_alu instid0(VALU_DEP_1) | instskip(NEXT) | instid1(VALU_DEP_1)
	v_fma_f64 v[212:213], -v[212:213], v[216:217], v[218:219]
	v_div_fmas_f64 v[212:213], v[212:213], v[214:215], v[216:217]
	s_delay_alu instid0(VALU_DEP_1) | instskip(NEXT) | instid1(VALU_DEP_1)
	v_div_fixup_f64 v[212:213], v[212:213], v[232:233], v[234:235]
	v_fma_f64 v[214:215], v[234:235], v[212:213], v[232:233]
	s_delay_alu instid0(VALU_DEP_1) | instskip(NEXT) | instid1(VALU_DEP_1)
	v_div_scale_f64 v[216:217], null, v[214:215], v[214:215], 1.0
	v_rcp_f64_e32 v[218:219], v[216:217]
	s_waitcnt_depctr 0xfff
	v_fma_f64 v[220:221], -v[216:217], v[218:219], 1.0
	s_delay_alu instid0(VALU_DEP_1) | instskip(NEXT) | instid1(VALU_DEP_1)
	v_fma_f64 v[218:219], v[218:219], v[220:221], v[218:219]
	v_fma_f64 v[220:221], -v[216:217], v[218:219], 1.0
	s_delay_alu instid0(VALU_DEP_1) | instskip(SKIP_1) | instid1(VALU_DEP_1)
	v_fma_f64 v[218:219], v[218:219], v[220:221], v[218:219]
	v_div_scale_f64 v[220:221], vcc_lo, 1.0, v[214:215], 1.0
	v_mul_f64 v[222:223], v[220:221], v[218:219]
	s_delay_alu instid0(VALU_DEP_1) | instskip(NEXT) | instid1(VALU_DEP_1)
	v_fma_f64 v[216:217], -v[216:217], v[222:223], v[220:221]
	v_div_fmas_f64 v[216:217], v[216:217], v[218:219], v[222:223]
	s_delay_alu instid0(VALU_DEP_1) | instskip(NEXT) | instid1(VALU_DEP_1)
	v_div_fixup_f64 v[232:233], v[216:217], v[214:215], 1.0
	v_mul_f64 v[234:235], v[212:213], -v[232:233]
.LBB114_198:
	s_or_b32 exec_lo, exec_lo, s2
.LBB114_199:
	s_delay_alu instid0(SALU_CYCLE_1) | instskip(NEXT) | instid1(SALU_CYCLE_1)
	s_or_b32 exec_lo, exec_lo, s3
	s_mov_b32 s2, exec_lo
	v_cmpx_ne_u32_e64 v248, v240
	s_xor_b32 s2, exec_lo, s2
	s_cbranch_execz .LBB114_205
; %bb.200:
	s_mov_b32 s3, exec_lo
	v_cmpx_eq_u32_e32 9, v248
	s_cbranch_execz .LBB114_204
; %bb.201:
	v_cmp_ne_u32_e32 vcc_lo, 9, v240
	s_xor_b32 s4, s5, -1
	s_delay_alu instid0(SALU_CYCLE_1) | instskip(NEXT) | instid1(SALU_CYCLE_1)
	s_and_b32 s6, s4, vcc_lo
	s_and_saveexec_b32 s4, s6
	s_cbranch_execz .LBB114_203
; %bb.202:
	scratch_load_b64 v[208:209], off, off   ; 8-byte Folded Reload
	v_ashrrev_i32_e32 v241, 31, v240
	s_delay_alu instid0(VALU_DEP_1) | instskip(SKIP_1) | instid1(VALU_DEP_1)
	v_lshlrev_b64 v[212:213], 2, v[240:241]
	s_waitcnt vmcnt(0)
	v_add_co_u32 v212, vcc_lo, v208, v212
	s_delay_alu instid0(VALU_DEP_2)
	v_add_co_ci_u32_e32 v213, vcc_lo, v209, v213, vcc_lo
	s_clause 0x1
	flat_load_b32 v214, v[212:213]
	flat_load_b32 v215, v[208:209] offset:36
	s_waitcnt vmcnt(1) lgkmcnt(1)
	flat_store_b32 v[208:209], v214 offset:36
	s_waitcnt vmcnt(0) lgkmcnt(1)
	flat_store_b32 v[212:213], v215
.LBB114_203:
	s_or_b32 exec_lo, exec_lo, s4
	v_mov_b32_e32 v248, v240
	v_mov_b32_e32 v236, v240
.LBB114_204:
	s_or_b32 exec_lo, exec_lo, s3
.LBB114_205:
	s_and_not1_saveexec_b32 s2, s2
	s_cbranch_execz .LBB114_207
; %bb.206:
	v_mov_b32_e32 v248, 9
	ds_store_2addr_b64 v242, v[188:189], v[190:191] offset0:20 offset1:21
	ds_store_2addr_b64 v242, v[184:185], v[186:187] offset0:22 offset1:23
	ds_store_2addr_b64 v242, v[180:181], v[182:183] offset0:24 offset1:25
	ds_store_2addr_b64 v242, v[176:177], v[178:179] offset0:26 offset1:27
	ds_store_2addr_b64 v242, v[172:173], v[174:175] offset0:28 offset1:29
	ds_store_2addr_b64 v242, v[168:169], v[170:171] offset0:30 offset1:31
	ds_store_2addr_b64 v242, v[164:165], v[166:167] offset0:32 offset1:33
	ds_store_2addr_b64 v242, v[160:161], v[162:163] offset0:34 offset1:35
	ds_store_2addr_b64 v242, v[156:157], v[158:159] offset0:36 offset1:37
	ds_store_2addr_b64 v242, v[152:153], v[154:155] offset0:38 offset1:39
	ds_store_2addr_b64 v242, v[148:149], v[150:151] offset0:40 offset1:41
	ds_store_2addr_b64 v242, v[144:145], v[146:147] offset0:42 offset1:43
	ds_store_2addr_b64 v242, v[140:141], v[142:143] offset0:44 offset1:45
	ds_store_2addr_b64 v242, v[136:137], v[138:139] offset0:46 offset1:47
	ds_store_2addr_b64 v242, v[132:133], v[134:135] offset0:48 offset1:49
	ds_store_2addr_b64 v242, v[128:129], v[130:131] offset0:50 offset1:51
	ds_store_2addr_b64 v242, v[124:125], v[126:127] offset0:52 offset1:53
	ds_store_2addr_b64 v242, v[120:121], v[122:123] offset0:54 offset1:55
	ds_store_2addr_b64 v242, v[116:117], v[118:119] offset0:56 offset1:57
	ds_store_2addr_b64 v242, v[112:113], v[114:115] offset0:58 offset1:59
	ds_store_2addr_b64 v242, v[108:109], v[110:111] offset0:60 offset1:61
	ds_store_2addr_b64 v242, v[104:105], v[106:107] offset0:62 offset1:63
	ds_store_2addr_b64 v242, v[100:101], v[102:103] offset0:64 offset1:65
	ds_store_2addr_b64 v242, v[96:97], v[98:99] offset0:66 offset1:67
	ds_store_2addr_b64 v242, v[92:93], v[94:95] offset0:68 offset1:69
	ds_store_2addr_b64 v242, v[88:89], v[90:91] offset0:70 offset1:71
	ds_store_2addr_b64 v242, v[84:85], v[86:87] offset0:72 offset1:73
	ds_store_2addr_b64 v242, v[80:81], v[82:83] offset0:74 offset1:75
	ds_store_2addr_b64 v242, v[76:77], v[78:79] offset0:76 offset1:77
	ds_store_2addr_b64 v242, v[72:73], v[74:75] offset0:78 offset1:79
	ds_store_2addr_b64 v242, v[68:69], v[70:71] offset0:80 offset1:81
	ds_store_2addr_b64 v242, v[64:65], v[66:67] offset0:82 offset1:83
	ds_store_2addr_b64 v242, v[60:61], v[62:63] offset0:84 offset1:85
	ds_store_2addr_b64 v242, v[56:57], v[58:59] offset0:86 offset1:87
	ds_store_2addr_b64 v242, v[52:53], v[54:55] offset0:88 offset1:89
	ds_store_2addr_b64 v242, v[48:49], v[50:51] offset0:90 offset1:91
	ds_store_2addr_b64 v242, v[44:45], v[46:47] offset0:92 offset1:93
	ds_store_2addr_b64 v242, v[40:41], v[42:43] offset0:94 offset1:95
	ds_store_2addr_b64 v242, v[36:37], v[38:39] offset0:96 offset1:97
	ds_store_2addr_b64 v242, v[32:33], v[34:35] offset0:98 offset1:99
	ds_store_2addr_b64 v242, v[28:29], v[30:31] offset0:100 offset1:101
	ds_store_2addr_b64 v242, v[24:25], v[26:27] offset0:102 offset1:103
	ds_store_2addr_b64 v242, v[20:21], v[22:23] offset0:104 offset1:105
	ds_store_2addr_b64 v242, v[16:17], v[18:19] offset0:106 offset1:107
	ds_store_2addr_b64 v242, v[12:13], v[14:15] offset0:108 offset1:109
	ds_store_2addr_b64 v242, v[8:9], v[10:11] offset0:110 offset1:111
	ds_store_2addr_b64 v242, v[224:225], v[226:227] offset0:112 offset1:113
	ds_store_2addr_b64 v242, v[0:1], v[2:3] offset0:114 offset1:115
.LBB114_207:
	s_or_b32 exec_lo, exec_lo, s2
	s_delay_alu instid0(SALU_CYCLE_1)
	s_mov_b32 s2, exec_lo
	s_waitcnt lgkmcnt(0)
	s_waitcnt_vscnt null, 0x0
	s_barrier
	buffer_gl0_inv
	v_cmpx_lt_i32_e32 9, v248
	s_cbranch_execz .LBB114_209
; %bb.208:
	v_mul_f64 v[212:213], v[234:235], v[194:195]
	v_mul_f64 v[194:195], v[232:233], v[194:195]
	s_delay_alu instid0(VALU_DEP_2) | instskip(NEXT) | instid1(VALU_DEP_2)
	v_fma_f64 v[240:241], v[232:233], v[192:193], -v[212:213]
	v_fma_f64 v[194:195], v[234:235], v[192:193], v[194:195]
	ds_load_2addr_b64 v[232:235], v242 offset0:20 offset1:21
	s_waitcnt lgkmcnt(0)
	v_mul_f64 v[192:193], v[234:235], v[194:195]
	v_mul_f64 v[212:213], v[232:233], v[194:195]
	s_delay_alu instid0(VALU_DEP_2) | instskip(NEXT) | instid1(VALU_DEP_2)
	v_fma_f64 v[192:193], v[232:233], v[240:241], -v[192:193]
	v_fma_f64 v[212:213], v[234:235], v[240:241], v[212:213]
	ds_load_2addr_b64 v[232:235], v242 offset0:22 offset1:23
	v_add_f64 v[188:189], v[188:189], -v[192:193]
	v_add_f64 v[190:191], v[190:191], -v[212:213]
	s_waitcnt lgkmcnt(0)
	v_mul_f64 v[192:193], v[234:235], v[194:195]
	v_mul_f64 v[212:213], v[232:233], v[194:195]
	s_delay_alu instid0(VALU_DEP_2) | instskip(NEXT) | instid1(VALU_DEP_2)
	v_fma_f64 v[192:193], v[232:233], v[240:241], -v[192:193]
	v_fma_f64 v[212:213], v[234:235], v[240:241], v[212:213]
	ds_load_2addr_b64 v[232:235], v242 offset0:24 offset1:25
	v_add_f64 v[184:185], v[184:185], -v[192:193]
	v_add_f64 v[186:187], v[186:187], -v[212:213]
	;; [unrolled: 9-line block ×47, first 2 shown]
	s_waitcnt lgkmcnt(0)
	v_mul_f64 v[192:193], v[234:235], v[194:195]
	v_mul_f64 v[212:213], v[232:233], v[194:195]
	s_delay_alu instid0(VALU_DEP_2) | instskip(NEXT) | instid1(VALU_DEP_2)
	v_fma_f64 v[192:193], v[232:233], v[240:241], -v[192:193]
	v_fma_f64 v[212:213], v[234:235], v[240:241], v[212:213]
	s_delay_alu instid0(VALU_DEP_2) | instskip(NEXT) | instid1(VALU_DEP_2)
	v_add_f64 v[0:1], v[0:1], -v[192:193]
	v_add_f64 v[2:3], v[2:3], -v[212:213]
	v_dual_mov_b32 v192, v240 :: v_dual_mov_b32 v193, v241
.LBB114_209:
	s_or_b32 exec_lo, exec_lo, s2
	v_lshl_add_u32 v212, v248, 4, v242
	s_barrier
	buffer_gl0_inv
	v_mov_b32_e32 v240, 10
	ds_store_2addr_b64 v212, v[188:189], v[190:191] offset1:1
	s_waitcnt lgkmcnt(0)
	s_barrier
	buffer_gl0_inv
	ds_load_2addr_b64 v[232:235], v242 offset0:20 offset1:21
	s_cmp_lt_i32 s12, 12
	s_cbranch_scc1 .LBB114_212
; %bb.210:
	v_add3_u32 v241, v246, 0, 0xb0
	v_mov_b32_e32 v240, 10
	s_mov_b32 s6, 11
	s_set_inst_prefetch_distance 0x1
	.p2align	6
.LBB114_211:                            ; =>This Inner Loop Header: Depth=1
	ds_load_2addr_b64 v[249:252], v241 offset1:1
	s_waitcnt lgkmcnt(1)
	v_cmp_gt_f64_e32 vcc_lo, 0, v[232:233]
	v_cmp_gt_f64_e64 s2, 0, v[234:235]
	v_xor_b32_e32 v213, 0x80000000, v233
	v_xor_b32_e32 v215, 0x80000000, v235
	v_add_nc_u32_e32 v241, 16, v241
	s_waitcnt lgkmcnt(0)
	v_cmp_gt_f64_e64 s3, 0, v[249:250]
	v_cmp_gt_f64_e64 s4, 0, v[251:252]
	v_xor_b32_e32 v219, 0x80000000, v250
	v_mov_b32_e32 v212, v249
	v_xor_b32_e32 v220, 0x80000000, v252
	v_mov_b32_e32 v214, v251
	v_cndmask_b32_e32 v216, v233, v213, vcc_lo
	v_cndmask_b32_e64 v218, v235, v215, s2
	v_cndmask_b32_e32 v215, v232, v232, vcc_lo
	v_cndmask_b32_e64 v217, v234, v234, s2
	s_delay_alu instid0(VALU_DEP_1) | instskip(SKIP_2) | instid1(VALU_DEP_1)
	v_add_f64 v[216:217], v[215:216], v[217:218]
	v_cndmask_b32_e64 v213, v250, v219, s3
	v_cndmask_b32_e64 v215, v252, v220, s4
	v_add_f64 v[212:213], v[212:213], v[214:215]
	s_delay_alu instid0(VALU_DEP_1)
	v_cmp_lt_f64_e32 vcc_lo, v[216:217], v[212:213]
	v_cndmask_b32_e32 v235, v235, v252, vcc_lo
	v_dual_cndmask_b32 v233, v233, v250 :: v_dual_cndmask_b32 v232, v232, v249
	v_cndmask_b32_e32 v234, v234, v251, vcc_lo
	v_cndmask_b32_e64 v240, v240, s6, vcc_lo
	s_add_i32 s6, s6, 1
	s_delay_alu instid0(SALU_CYCLE_1)
	s_cmp_lg_u32 s12, s6
	s_cbranch_scc1 .LBB114_211
.LBB114_212:
	s_set_inst_prefetch_distance 0x2
	s_waitcnt lgkmcnt(0)
	v_cmp_eq_f64_e32 vcc_lo, 0, v[232:233]
	v_cmp_eq_f64_e64 s2, 0, v[234:235]
	s_delay_alu instid0(VALU_DEP_1) | instskip(NEXT) | instid1(SALU_CYCLE_1)
	s_and_b32 s2, vcc_lo, s2
	s_and_saveexec_b32 s3, s2
	s_delay_alu instid0(SALU_CYCLE_1)
	s_xor_b32 s2, exec_lo, s3
; %bb.213:
	v_cmp_ne_u32_e32 vcc_lo, 0, v245
	v_cndmask_b32_e32 v245, 11, v245, vcc_lo
; %bb.214:
	s_and_not1_saveexec_b32 s3, s2
	s_cbranch_execz .LBB114_220
; %bb.215:
	v_cmp_gt_f64_e32 vcc_lo, 0, v[232:233]
	v_cmp_gt_f64_e64 s2, 0, v[234:235]
	v_xor_b32_e32 v212, 0x80000000, v233
	v_xor_b32_e32 v214, 0x80000000, v235
	s_delay_alu instid0(VALU_DEP_2) | instskip(NEXT) | instid1(VALU_DEP_2)
	v_cndmask_b32_e32 v213, v233, v212, vcc_lo
	v_cndmask_b32_e64 v215, v235, v214, s2
	v_cndmask_b32_e32 v212, v232, v232, vcc_lo
	v_cndmask_b32_e64 v214, v234, v234, s2
	s_mov_b32 s2, exec_lo
	s_delay_alu instid0(VALU_DEP_1)
	v_cmpx_ngt_f64_e32 v[212:213], v[214:215]
	s_xor_b32 s2, exec_lo, s2
	s_cbranch_execz .LBB114_217
; %bb.216:
	v_div_scale_f64 v[212:213], null, v[234:235], v[234:235], v[232:233]
	v_div_scale_f64 v[218:219], vcc_lo, v[232:233], v[234:235], v[232:233]
	s_delay_alu instid0(VALU_DEP_2) | instskip(SKIP_2) | instid1(VALU_DEP_1)
	v_rcp_f64_e32 v[214:215], v[212:213]
	s_waitcnt_depctr 0xfff
	v_fma_f64 v[216:217], -v[212:213], v[214:215], 1.0
	v_fma_f64 v[214:215], v[214:215], v[216:217], v[214:215]
	s_delay_alu instid0(VALU_DEP_1) | instskip(NEXT) | instid1(VALU_DEP_1)
	v_fma_f64 v[216:217], -v[212:213], v[214:215], 1.0
	v_fma_f64 v[214:215], v[214:215], v[216:217], v[214:215]
	s_delay_alu instid0(VALU_DEP_1) | instskip(NEXT) | instid1(VALU_DEP_1)
	v_mul_f64 v[216:217], v[218:219], v[214:215]
	v_fma_f64 v[212:213], -v[212:213], v[216:217], v[218:219]
	s_delay_alu instid0(VALU_DEP_1) | instskip(NEXT) | instid1(VALU_DEP_1)
	v_div_fmas_f64 v[212:213], v[212:213], v[214:215], v[216:217]
	v_div_fixup_f64 v[212:213], v[212:213], v[234:235], v[232:233]
	s_delay_alu instid0(VALU_DEP_1) | instskip(NEXT) | instid1(VALU_DEP_1)
	v_fma_f64 v[214:215], v[232:233], v[212:213], v[234:235]
	v_div_scale_f64 v[216:217], null, v[214:215], v[214:215], 1.0
	s_delay_alu instid0(VALU_DEP_1) | instskip(SKIP_2) | instid1(VALU_DEP_1)
	v_rcp_f64_e32 v[218:219], v[216:217]
	s_waitcnt_depctr 0xfff
	v_fma_f64 v[220:221], -v[216:217], v[218:219], 1.0
	v_fma_f64 v[218:219], v[218:219], v[220:221], v[218:219]
	s_delay_alu instid0(VALU_DEP_1) | instskip(NEXT) | instid1(VALU_DEP_1)
	v_fma_f64 v[220:221], -v[216:217], v[218:219], 1.0
	v_fma_f64 v[218:219], v[218:219], v[220:221], v[218:219]
	v_div_scale_f64 v[220:221], vcc_lo, 1.0, v[214:215], 1.0
	s_delay_alu instid0(VALU_DEP_1) | instskip(NEXT) | instid1(VALU_DEP_1)
	v_mul_f64 v[222:223], v[220:221], v[218:219]
	v_fma_f64 v[216:217], -v[216:217], v[222:223], v[220:221]
	s_delay_alu instid0(VALU_DEP_1) | instskip(NEXT) | instid1(VALU_DEP_1)
	v_div_fmas_f64 v[216:217], v[216:217], v[218:219], v[222:223]
	v_div_fixup_f64 v[234:235], v[216:217], v[214:215], 1.0
	s_delay_alu instid0(VALU_DEP_1)
	v_mul_f64 v[232:233], v[212:213], v[234:235]
	v_xor_b32_e32 v235, 0x80000000, v235
.LBB114_217:
	s_and_not1_saveexec_b32 s2, s2
	s_cbranch_execz .LBB114_219
; %bb.218:
	s_delay_alu instid0(VALU_DEP_1) | instskip(SKIP_1) | instid1(VALU_DEP_2)
	v_div_scale_f64 v[212:213], null, v[232:233], v[232:233], v[234:235]
	v_div_scale_f64 v[218:219], vcc_lo, v[234:235], v[232:233], v[234:235]
	v_rcp_f64_e32 v[214:215], v[212:213]
	s_waitcnt_depctr 0xfff
	v_fma_f64 v[216:217], -v[212:213], v[214:215], 1.0
	s_delay_alu instid0(VALU_DEP_1) | instskip(NEXT) | instid1(VALU_DEP_1)
	v_fma_f64 v[214:215], v[214:215], v[216:217], v[214:215]
	v_fma_f64 v[216:217], -v[212:213], v[214:215], 1.0
	s_delay_alu instid0(VALU_DEP_1) | instskip(NEXT) | instid1(VALU_DEP_1)
	v_fma_f64 v[214:215], v[214:215], v[216:217], v[214:215]
	v_mul_f64 v[216:217], v[218:219], v[214:215]
	s_delay_alu instid0(VALU_DEP_1) | instskip(NEXT) | instid1(VALU_DEP_1)
	v_fma_f64 v[212:213], -v[212:213], v[216:217], v[218:219]
	v_div_fmas_f64 v[212:213], v[212:213], v[214:215], v[216:217]
	s_delay_alu instid0(VALU_DEP_1) | instskip(NEXT) | instid1(VALU_DEP_1)
	v_div_fixup_f64 v[212:213], v[212:213], v[232:233], v[234:235]
	v_fma_f64 v[214:215], v[234:235], v[212:213], v[232:233]
	s_delay_alu instid0(VALU_DEP_1) | instskip(NEXT) | instid1(VALU_DEP_1)
	v_div_scale_f64 v[216:217], null, v[214:215], v[214:215], 1.0
	v_rcp_f64_e32 v[218:219], v[216:217]
	s_waitcnt_depctr 0xfff
	v_fma_f64 v[220:221], -v[216:217], v[218:219], 1.0
	s_delay_alu instid0(VALU_DEP_1) | instskip(NEXT) | instid1(VALU_DEP_1)
	v_fma_f64 v[218:219], v[218:219], v[220:221], v[218:219]
	v_fma_f64 v[220:221], -v[216:217], v[218:219], 1.0
	s_delay_alu instid0(VALU_DEP_1) | instskip(SKIP_1) | instid1(VALU_DEP_1)
	v_fma_f64 v[218:219], v[218:219], v[220:221], v[218:219]
	v_div_scale_f64 v[220:221], vcc_lo, 1.0, v[214:215], 1.0
	v_mul_f64 v[222:223], v[220:221], v[218:219]
	s_delay_alu instid0(VALU_DEP_1) | instskip(NEXT) | instid1(VALU_DEP_1)
	v_fma_f64 v[216:217], -v[216:217], v[222:223], v[220:221]
	v_div_fmas_f64 v[216:217], v[216:217], v[218:219], v[222:223]
	s_delay_alu instid0(VALU_DEP_1) | instskip(NEXT) | instid1(VALU_DEP_1)
	v_div_fixup_f64 v[232:233], v[216:217], v[214:215], 1.0
	v_mul_f64 v[234:235], v[212:213], -v[232:233]
.LBB114_219:
	s_or_b32 exec_lo, exec_lo, s2
.LBB114_220:
	s_delay_alu instid0(SALU_CYCLE_1) | instskip(NEXT) | instid1(SALU_CYCLE_1)
	s_or_b32 exec_lo, exec_lo, s3
	s_mov_b32 s2, exec_lo
	v_cmpx_ne_u32_e64 v248, v240
	s_xor_b32 s2, exec_lo, s2
	s_cbranch_execz .LBB114_226
; %bb.221:
	s_mov_b32 s3, exec_lo
	v_cmpx_eq_u32_e32 10, v248
	s_cbranch_execz .LBB114_225
; %bb.222:
	v_cmp_ne_u32_e32 vcc_lo, 10, v240
	s_xor_b32 s4, s5, -1
	s_delay_alu instid0(SALU_CYCLE_1) | instskip(NEXT) | instid1(SALU_CYCLE_1)
	s_and_b32 s6, s4, vcc_lo
	s_and_saveexec_b32 s4, s6
	s_cbranch_execz .LBB114_224
; %bb.223:
	scratch_load_b64 v[208:209], off, off   ; 8-byte Folded Reload
	v_ashrrev_i32_e32 v241, 31, v240
	s_delay_alu instid0(VALU_DEP_1) | instskip(SKIP_1) | instid1(VALU_DEP_1)
	v_lshlrev_b64 v[212:213], 2, v[240:241]
	s_waitcnt vmcnt(0)
	v_add_co_u32 v212, vcc_lo, v208, v212
	s_delay_alu instid0(VALU_DEP_2)
	v_add_co_ci_u32_e32 v213, vcc_lo, v209, v213, vcc_lo
	s_clause 0x1
	flat_load_b32 v214, v[212:213]
	flat_load_b32 v215, v[208:209] offset:40
	s_waitcnt vmcnt(1) lgkmcnt(1)
	flat_store_b32 v[208:209], v214 offset:40
	s_waitcnt vmcnt(0) lgkmcnt(1)
	flat_store_b32 v[212:213], v215
.LBB114_224:
	s_or_b32 exec_lo, exec_lo, s4
	v_mov_b32_e32 v248, v240
	v_mov_b32_e32 v236, v240
.LBB114_225:
	s_or_b32 exec_lo, exec_lo, s3
.LBB114_226:
	s_and_not1_saveexec_b32 s2, s2
	s_cbranch_execz .LBB114_228
; %bb.227:
	v_mov_b32_e32 v248, 10
	ds_store_2addr_b64 v242, v[184:185], v[186:187] offset0:22 offset1:23
	ds_store_2addr_b64 v242, v[180:181], v[182:183] offset0:24 offset1:25
	;; [unrolled: 1-line block ×47, first 2 shown]
.LBB114_228:
	s_or_b32 exec_lo, exec_lo, s2
	s_delay_alu instid0(SALU_CYCLE_1)
	s_mov_b32 s2, exec_lo
	s_waitcnt lgkmcnt(0)
	s_waitcnt_vscnt null, 0x0
	s_barrier
	buffer_gl0_inv
	v_cmpx_lt_i32_e32 10, v248
	s_cbranch_execz .LBB114_230
; %bb.229:
	v_mul_f64 v[212:213], v[234:235], v[190:191]
	v_mul_f64 v[190:191], v[232:233], v[190:191]
	s_delay_alu instid0(VALU_DEP_2) | instskip(NEXT) | instid1(VALU_DEP_2)
	v_fma_f64 v[240:241], v[232:233], v[188:189], -v[212:213]
	v_fma_f64 v[190:191], v[234:235], v[188:189], v[190:191]
	ds_load_2addr_b64 v[232:235], v242 offset0:22 offset1:23
	s_waitcnt lgkmcnt(0)
	v_mul_f64 v[188:189], v[234:235], v[190:191]
	v_mul_f64 v[212:213], v[232:233], v[190:191]
	s_delay_alu instid0(VALU_DEP_2) | instskip(NEXT) | instid1(VALU_DEP_2)
	v_fma_f64 v[188:189], v[232:233], v[240:241], -v[188:189]
	v_fma_f64 v[212:213], v[234:235], v[240:241], v[212:213]
	ds_load_2addr_b64 v[232:235], v242 offset0:24 offset1:25
	v_add_f64 v[184:185], v[184:185], -v[188:189]
	v_add_f64 v[186:187], v[186:187], -v[212:213]
	s_waitcnt lgkmcnt(0)
	v_mul_f64 v[188:189], v[234:235], v[190:191]
	v_mul_f64 v[212:213], v[232:233], v[190:191]
	s_delay_alu instid0(VALU_DEP_2) | instskip(NEXT) | instid1(VALU_DEP_2)
	v_fma_f64 v[188:189], v[232:233], v[240:241], -v[188:189]
	v_fma_f64 v[212:213], v[234:235], v[240:241], v[212:213]
	ds_load_2addr_b64 v[232:235], v242 offset0:26 offset1:27
	v_add_f64 v[180:181], v[180:181], -v[188:189]
	v_add_f64 v[182:183], v[182:183], -v[212:213]
	;; [unrolled: 9-line block ×46, first 2 shown]
	s_waitcnt lgkmcnt(0)
	v_mul_f64 v[188:189], v[234:235], v[190:191]
	v_mul_f64 v[212:213], v[232:233], v[190:191]
	s_delay_alu instid0(VALU_DEP_2) | instskip(NEXT) | instid1(VALU_DEP_2)
	v_fma_f64 v[188:189], v[232:233], v[240:241], -v[188:189]
	v_fma_f64 v[212:213], v[234:235], v[240:241], v[212:213]
	s_delay_alu instid0(VALU_DEP_2) | instskip(NEXT) | instid1(VALU_DEP_2)
	v_add_f64 v[0:1], v[0:1], -v[188:189]
	v_add_f64 v[2:3], v[2:3], -v[212:213]
	v_dual_mov_b32 v188, v240 :: v_dual_mov_b32 v189, v241
.LBB114_230:
	s_or_b32 exec_lo, exec_lo, s2
	v_lshl_add_u32 v212, v248, 4, v242
	s_barrier
	buffer_gl0_inv
	v_mov_b32_e32 v240, 11
	ds_store_2addr_b64 v212, v[184:185], v[186:187] offset1:1
	s_waitcnt lgkmcnt(0)
	s_barrier
	buffer_gl0_inv
	ds_load_2addr_b64 v[232:235], v242 offset0:22 offset1:23
	s_cmp_lt_i32 s12, 13
	s_cbranch_scc1 .LBB114_233
; %bb.231:
	v_add3_u32 v241, v246, 0, 0xc0
	v_mov_b32_e32 v240, 11
	s_mov_b32 s6, 12
	s_set_inst_prefetch_distance 0x1
	.p2align	6
.LBB114_232:                            ; =>This Inner Loop Header: Depth=1
	ds_load_2addr_b64 v[249:252], v241 offset1:1
	s_waitcnt lgkmcnt(1)
	v_cmp_gt_f64_e32 vcc_lo, 0, v[232:233]
	v_cmp_gt_f64_e64 s2, 0, v[234:235]
	v_xor_b32_e32 v213, 0x80000000, v233
	v_xor_b32_e32 v215, 0x80000000, v235
	v_add_nc_u32_e32 v241, 16, v241
	s_waitcnt lgkmcnt(0)
	v_cmp_gt_f64_e64 s3, 0, v[249:250]
	v_cmp_gt_f64_e64 s4, 0, v[251:252]
	v_xor_b32_e32 v219, 0x80000000, v250
	v_mov_b32_e32 v212, v249
	v_xor_b32_e32 v220, 0x80000000, v252
	v_mov_b32_e32 v214, v251
	v_cndmask_b32_e32 v216, v233, v213, vcc_lo
	v_cndmask_b32_e64 v218, v235, v215, s2
	v_cndmask_b32_e32 v215, v232, v232, vcc_lo
	v_cndmask_b32_e64 v217, v234, v234, s2
	s_delay_alu instid0(VALU_DEP_1) | instskip(SKIP_2) | instid1(VALU_DEP_1)
	v_add_f64 v[216:217], v[215:216], v[217:218]
	v_cndmask_b32_e64 v213, v250, v219, s3
	v_cndmask_b32_e64 v215, v252, v220, s4
	v_add_f64 v[212:213], v[212:213], v[214:215]
	s_delay_alu instid0(VALU_DEP_1)
	v_cmp_lt_f64_e32 vcc_lo, v[216:217], v[212:213]
	v_cndmask_b32_e32 v235, v235, v252, vcc_lo
	v_dual_cndmask_b32 v233, v233, v250 :: v_dual_cndmask_b32 v232, v232, v249
	v_cndmask_b32_e32 v234, v234, v251, vcc_lo
	v_cndmask_b32_e64 v240, v240, s6, vcc_lo
	s_add_i32 s6, s6, 1
	s_delay_alu instid0(SALU_CYCLE_1)
	s_cmp_lg_u32 s12, s6
	s_cbranch_scc1 .LBB114_232
.LBB114_233:
	s_set_inst_prefetch_distance 0x2
	s_waitcnt lgkmcnt(0)
	v_cmp_eq_f64_e32 vcc_lo, 0, v[232:233]
	v_cmp_eq_f64_e64 s2, 0, v[234:235]
	s_delay_alu instid0(VALU_DEP_1) | instskip(NEXT) | instid1(SALU_CYCLE_1)
	s_and_b32 s2, vcc_lo, s2
	s_and_saveexec_b32 s3, s2
	s_delay_alu instid0(SALU_CYCLE_1)
	s_xor_b32 s2, exec_lo, s3
; %bb.234:
	v_cmp_ne_u32_e32 vcc_lo, 0, v245
	v_cndmask_b32_e32 v245, 12, v245, vcc_lo
; %bb.235:
	s_and_not1_saveexec_b32 s3, s2
	s_cbranch_execz .LBB114_241
; %bb.236:
	v_cmp_gt_f64_e32 vcc_lo, 0, v[232:233]
	v_cmp_gt_f64_e64 s2, 0, v[234:235]
	v_xor_b32_e32 v212, 0x80000000, v233
	v_xor_b32_e32 v214, 0x80000000, v235
	s_delay_alu instid0(VALU_DEP_2) | instskip(NEXT) | instid1(VALU_DEP_2)
	v_cndmask_b32_e32 v213, v233, v212, vcc_lo
	v_cndmask_b32_e64 v215, v235, v214, s2
	v_cndmask_b32_e32 v212, v232, v232, vcc_lo
	v_cndmask_b32_e64 v214, v234, v234, s2
	s_mov_b32 s2, exec_lo
	s_delay_alu instid0(VALU_DEP_1)
	v_cmpx_ngt_f64_e32 v[212:213], v[214:215]
	s_xor_b32 s2, exec_lo, s2
	s_cbranch_execz .LBB114_238
; %bb.237:
	v_div_scale_f64 v[212:213], null, v[234:235], v[234:235], v[232:233]
	v_div_scale_f64 v[218:219], vcc_lo, v[232:233], v[234:235], v[232:233]
	s_delay_alu instid0(VALU_DEP_2) | instskip(SKIP_2) | instid1(VALU_DEP_1)
	v_rcp_f64_e32 v[214:215], v[212:213]
	s_waitcnt_depctr 0xfff
	v_fma_f64 v[216:217], -v[212:213], v[214:215], 1.0
	v_fma_f64 v[214:215], v[214:215], v[216:217], v[214:215]
	s_delay_alu instid0(VALU_DEP_1) | instskip(NEXT) | instid1(VALU_DEP_1)
	v_fma_f64 v[216:217], -v[212:213], v[214:215], 1.0
	v_fma_f64 v[214:215], v[214:215], v[216:217], v[214:215]
	s_delay_alu instid0(VALU_DEP_1) | instskip(NEXT) | instid1(VALU_DEP_1)
	v_mul_f64 v[216:217], v[218:219], v[214:215]
	v_fma_f64 v[212:213], -v[212:213], v[216:217], v[218:219]
	s_delay_alu instid0(VALU_DEP_1) | instskip(NEXT) | instid1(VALU_DEP_1)
	v_div_fmas_f64 v[212:213], v[212:213], v[214:215], v[216:217]
	v_div_fixup_f64 v[212:213], v[212:213], v[234:235], v[232:233]
	s_delay_alu instid0(VALU_DEP_1) | instskip(NEXT) | instid1(VALU_DEP_1)
	v_fma_f64 v[214:215], v[232:233], v[212:213], v[234:235]
	v_div_scale_f64 v[216:217], null, v[214:215], v[214:215], 1.0
	s_delay_alu instid0(VALU_DEP_1) | instskip(SKIP_2) | instid1(VALU_DEP_1)
	v_rcp_f64_e32 v[218:219], v[216:217]
	s_waitcnt_depctr 0xfff
	v_fma_f64 v[220:221], -v[216:217], v[218:219], 1.0
	v_fma_f64 v[218:219], v[218:219], v[220:221], v[218:219]
	s_delay_alu instid0(VALU_DEP_1) | instskip(NEXT) | instid1(VALU_DEP_1)
	v_fma_f64 v[220:221], -v[216:217], v[218:219], 1.0
	v_fma_f64 v[218:219], v[218:219], v[220:221], v[218:219]
	v_div_scale_f64 v[220:221], vcc_lo, 1.0, v[214:215], 1.0
	s_delay_alu instid0(VALU_DEP_1) | instskip(NEXT) | instid1(VALU_DEP_1)
	v_mul_f64 v[222:223], v[220:221], v[218:219]
	v_fma_f64 v[216:217], -v[216:217], v[222:223], v[220:221]
	s_delay_alu instid0(VALU_DEP_1) | instskip(NEXT) | instid1(VALU_DEP_1)
	v_div_fmas_f64 v[216:217], v[216:217], v[218:219], v[222:223]
	v_div_fixup_f64 v[234:235], v[216:217], v[214:215], 1.0
	s_delay_alu instid0(VALU_DEP_1)
	v_mul_f64 v[232:233], v[212:213], v[234:235]
	v_xor_b32_e32 v235, 0x80000000, v235
.LBB114_238:
	s_and_not1_saveexec_b32 s2, s2
	s_cbranch_execz .LBB114_240
; %bb.239:
	s_delay_alu instid0(VALU_DEP_1) | instskip(SKIP_1) | instid1(VALU_DEP_2)
	v_div_scale_f64 v[212:213], null, v[232:233], v[232:233], v[234:235]
	v_div_scale_f64 v[218:219], vcc_lo, v[234:235], v[232:233], v[234:235]
	v_rcp_f64_e32 v[214:215], v[212:213]
	s_waitcnt_depctr 0xfff
	v_fma_f64 v[216:217], -v[212:213], v[214:215], 1.0
	s_delay_alu instid0(VALU_DEP_1) | instskip(NEXT) | instid1(VALU_DEP_1)
	v_fma_f64 v[214:215], v[214:215], v[216:217], v[214:215]
	v_fma_f64 v[216:217], -v[212:213], v[214:215], 1.0
	s_delay_alu instid0(VALU_DEP_1) | instskip(NEXT) | instid1(VALU_DEP_1)
	v_fma_f64 v[214:215], v[214:215], v[216:217], v[214:215]
	v_mul_f64 v[216:217], v[218:219], v[214:215]
	s_delay_alu instid0(VALU_DEP_1) | instskip(NEXT) | instid1(VALU_DEP_1)
	v_fma_f64 v[212:213], -v[212:213], v[216:217], v[218:219]
	v_div_fmas_f64 v[212:213], v[212:213], v[214:215], v[216:217]
	s_delay_alu instid0(VALU_DEP_1) | instskip(NEXT) | instid1(VALU_DEP_1)
	v_div_fixup_f64 v[212:213], v[212:213], v[232:233], v[234:235]
	v_fma_f64 v[214:215], v[234:235], v[212:213], v[232:233]
	s_delay_alu instid0(VALU_DEP_1) | instskip(NEXT) | instid1(VALU_DEP_1)
	v_div_scale_f64 v[216:217], null, v[214:215], v[214:215], 1.0
	v_rcp_f64_e32 v[218:219], v[216:217]
	s_waitcnt_depctr 0xfff
	v_fma_f64 v[220:221], -v[216:217], v[218:219], 1.0
	s_delay_alu instid0(VALU_DEP_1) | instskip(NEXT) | instid1(VALU_DEP_1)
	v_fma_f64 v[218:219], v[218:219], v[220:221], v[218:219]
	v_fma_f64 v[220:221], -v[216:217], v[218:219], 1.0
	s_delay_alu instid0(VALU_DEP_1) | instskip(SKIP_1) | instid1(VALU_DEP_1)
	v_fma_f64 v[218:219], v[218:219], v[220:221], v[218:219]
	v_div_scale_f64 v[220:221], vcc_lo, 1.0, v[214:215], 1.0
	v_mul_f64 v[222:223], v[220:221], v[218:219]
	s_delay_alu instid0(VALU_DEP_1) | instskip(NEXT) | instid1(VALU_DEP_1)
	v_fma_f64 v[216:217], -v[216:217], v[222:223], v[220:221]
	v_div_fmas_f64 v[216:217], v[216:217], v[218:219], v[222:223]
	s_delay_alu instid0(VALU_DEP_1) | instskip(NEXT) | instid1(VALU_DEP_1)
	v_div_fixup_f64 v[232:233], v[216:217], v[214:215], 1.0
	v_mul_f64 v[234:235], v[212:213], -v[232:233]
.LBB114_240:
	s_or_b32 exec_lo, exec_lo, s2
.LBB114_241:
	s_delay_alu instid0(SALU_CYCLE_1) | instskip(NEXT) | instid1(SALU_CYCLE_1)
	s_or_b32 exec_lo, exec_lo, s3
	s_mov_b32 s2, exec_lo
	v_cmpx_ne_u32_e64 v248, v240
	s_xor_b32 s2, exec_lo, s2
	s_cbranch_execz .LBB114_247
; %bb.242:
	s_mov_b32 s3, exec_lo
	v_cmpx_eq_u32_e32 11, v248
	s_cbranch_execz .LBB114_246
; %bb.243:
	v_cmp_ne_u32_e32 vcc_lo, 11, v240
	s_xor_b32 s4, s5, -1
	s_delay_alu instid0(SALU_CYCLE_1) | instskip(NEXT) | instid1(SALU_CYCLE_1)
	s_and_b32 s6, s4, vcc_lo
	s_and_saveexec_b32 s4, s6
	s_cbranch_execz .LBB114_245
; %bb.244:
	scratch_load_b64 v[208:209], off, off   ; 8-byte Folded Reload
	v_ashrrev_i32_e32 v241, 31, v240
	s_delay_alu instid0(VALU_DEP_1) | instskip(SKIP_1) | instid1(VALU_DEP_1)
	v_lshlrev_b64 v[212:213], 2, v[240:241]
	s_waitcnt vmcnt(0)
	v_add_co_u32 v212, vcc_lo, v208, v212
	s_delay_alu instid0(VALU_DEP_2)
	v_add_co_ci_u32_e32 v213, vcc_lo, v209, v213, vcc_lo
	s_clause 0x1
	flat_load_b32 v214, v[212:213]
	flat_load_b32 v215, v[208:209] offset:44
	s_waitcnt vmcnt(1) lgkmcnt(1)
	flat_store_b32 v[208:209], v214 offset:44
	s_waitcnt vmcnt(0) lgkmcnt(1)
	flat_store_b32 v[212:213], v215
.LBB114_245:
	s_or_b32 exec_lo, exec_lo, s4
	v_mov_b32_e32 v248, v240
	v_mov_b32_e32 v236, v240
.LBB114_246:
	s_or_b32 exec_lo, exec_lo, s3
.LBB114_247:
	s_and_not1_saveexec_b32 s2, s2
	s_cbranch_execz .LBB114_249
; %bb.248:
	v_mov_b32_e32 v248, 11
	ds_store_2addr_b64 v242, v[180:181], v[182:183] offset0:24 offset1:25
	ds_store_2addr_b64 v242, v[176:177], v[178:179] offset0:26 offset1:27
	;; [unrolled: 1-line block ×46, first 2 shown]
.LBB114_249:
	s_or_b32 exec_lo, exec_lo, s2
	s_delay_alu instid0(SALU_CYCLE_1)
	s_mov_b32 s2, exec_lo
	s_waitcnt lgkmcnt(0)
	s_waitcnt_vscnt null, 0x0
	s_barrier
	buffer_gl0_inv
	v_cmpx_lt_i32_e32 11, v248
	s_cbranch_execz .LBB114_251
; %bb.250:
	v_mul_f64 v[212:213], v[234:235], v[186:187]
	v_mul_f64 v[186:187], v[232:233], v[186:187]
	s_delay_alu instid0(VALU_DEP_2) | instskip(NEXT) | instid1(VALU_DEP_2)
	v_fma_f64 v[240:241], v[232:233], v[184:185], -v[212:213]
	v_fma_f64 v[186:187], v[234:235], v[184:185], v[186:187]
	ds_load_2addr_b64 v[232:235], v242 offset0:24 offset1:25
	s_waitcnt lgkmcnt(0)
	v_mul_f64 v[184:185], v[234:235], v[186:187]
	v_mul_f64 v[212:213], v[232:233], v[186:187]
	s_delay_alu instid0(VALU_DEP_2) | instskip(NEXT) | instid1(VALU_DEP_2)
	v_fma_f64 v[184:185], v[232:233], v[240:241], -v[184:185]
	v_fma_f64 v[212:213], v[234:235], v[240:241], v[212:213]
	ds_load_2addr_b64 v[232:235], v242 offset0:26 offset1:27
	v_add_f64 v[180:181], v[180:181], -v[184:185]
	v_add_f64 v[182:183], v[182:183], -v[212:213]
	s_waitcnt lgkmcnt(0)
	v_mul_f64 v[184:185], v[234:235], v[186:187]
	v_mul_f64 v[212:213], v[232:233], v[186:187]
	s_delay_alu instid0(VALU_DEP_2) | instskip(NEXT) | instid1(VALU_DEP_2)
	v_fma_f64 v[184:185], v[232:233], v[240:241], -v[184:185]
	v_fma_f64 v[212:213], v[234:235], v[240:241], v[212:213]
	ds_load_2addr_b64 v[232:235], v242 offset0:28 offset1:29
	v_add_f64 v[176:177], v[176:177], -v[184:185]
	v_add_f64 v[178:179], v[178:179], -v[212:213]
	s_waitcnt lgkmcnt(0)
	v_mul_f64 v[184:185], v[234:235], v[186:187]
	v_mul_f64 v[212:213], v[232:233], v[186:187]
	s_delay_alu instid0(VALU_DEP_2) | instskip(NEXT) | instid1(VALU_DEP_2)
	v_fma_f64 v[184:185], v[232:233], v[240:241], -v[184:185]
	v_fma_f64 v[212:213], v[234:235], v[240:241], v[212:213]
	ds_load_2addr_b64 v[232:235], v242 offset0:30 offset1:31
	v_add_f64 v[172:173], v[172:173], -v[184:185]
	v_add_f64 v[174:175], v[174:175], -v[212:213]
	s_waitcnt lgkmcnt(0)
	v_mul_f64 v[184:185], v[234:235], v[186:187]
	v_mul_f64 v[212:213], v[232:233], v[186:187]
	s_delay_alu instid0(VALU_DEP_2) | instskip(NEXT) | instid1(VALU_DEP_2)
	v_fma_f64 v[184:185], v[232:233], v[240:241], -v[184:185]
	v_fma_f64 v[212:213], v[234:235], v[240:241], v[212:213]
	ds_load_2addr_b64 v[232:235], v242 offset0:32 offset1:33
	v_add_f64 v[168:169], v[168:169], -v[184:185]
	v_add_f64 v[170:171], v[170:171], -v[212:213]
	s_waitcnt lgkmcnt(0)
	v_mul_f64 v[184:185], v[234:235], v[186:187]
	v_mul_f64 v[212:213], v[232:233], v[186:187]
	s_delay_alu instid0(VALU_DEP_2) | instskip(NEXT) | instid1(VALU_DEP_2)
	v_fma_f64 v[184:185], v[232:233], v[240:241], -v[184:185]
	v_fma_f64 v[212:213], v[234:235], v[240:241], v[212:213]
	ds_load_2addr_b64 v[232:235], v242 offset0:34 offset1:35
	v_add_f64 v[164:165], v[164:165], -v[184:185]
	v_add_f64 v[166:167], v[166:167], -v[212:213]
	s_waitcnt lgkmcnt(0)
	v_mul_f64 v[184:185], v[234:235], v[186:187]
	v_mul_f64 v[212:213], v[232:233], v[186:187]
	s_delay_alu instid0(VALU_DEP_2) | instskip(NEXT) | instid1(VALU_DEP_2)
	v_fma_f64 v[184:185], v[232:233], v[240:241], -v[184:185]
	v_fma_f64 v[212:213], v[234:235], v[240:241], v[212:213]
	ds_load_2addr_b64 v[232:235], v242 offset0:36 offset1:37
	v_add_f64 v[160:161], v[160:161], -v[184:185]
	v_add_f64 v[162:163], v[162:163], -v[212:213]
	s_waitcnt lgkmcnt(0)
	v_mul_f64 v[184:185], v[234:235], v[186:187]
	v_mul_f64 v[212:213], v[232:233], v[186:187]
	s_delay_alu instid0(VALU_DEP_2) | instskip(NEXT) | instid1(VALU_DEP_2)
	v_fma_f64 v[184:185], v[232:233], v[240:241], -v[184:185]
	v_fma_f64 v[212:213], v[234:235], v[240:241], v[212:213]
	ds_load_2addr_b64 v[232:235], v242 offset0:38 offset1:39
	v_add_f64 v[156:157], v[156:157], -v[184:185]
	v_add_f64 v[158:159], v[158:159], -v[212:213]
	s_waitcnt lgkmcnt(0)
	v_mul_f64 v[184:185], v[234:235], v[186:187]
	v_mul_f64 v[212:213], v[232:233], v[186:187]
	s_delay_alu instid0(VALU_DEP_2) | instskip(NEXT) | instid1(VALU_DEP_2)
	v_fma_f64 v[184:185], v[232:233], v[240:241], -v[184:185]
	v_fma_f64 v[212:213], v[234:235], v[240:241], v[212:213]
	ds_load_2addr_b64 v[232:235], v242 offset0:40 offset1:41
	v_add_f64 v[152:153], v[152:153], -v[184:185]
	v_add_f64 v[154:155], v[154:155], -v[212:213]
	s_waitcnt lgkmcnt(0)
	v_mul_f64 v[184:185], v[234:235], v[186:187]
	v_mul_f64 v[212:213], v[232:233], v[186:187]
	s_delay_alu instid0(VALU_DEP_2) | instskip(NEXT) | instid1(VALU_DEP_2)
	v_fma_f64 v[184:185], v[232:233], v[240:241], -v[184:185]
	v_fma_f64 v[212:213], v[234:235], v[240:241], v[212:213]
	ds_load_2addr_b64 v[232:235], v242 offset0:42 offset1:43
	v_add_f64 v[148:149], v[148:149], -v[184:185]
	v_add_f64 v[150:151], v[150:151], -v[212:213]
	s_waitcnt lgkmcnt(0)
	v_mul_f64 v[184:185], v[234:235], v[186:187]
	v_mul_f64 v[212:213], v[232:233], v[186:187]
	s_delay_alu instid0(VALU_DEP_2) | instskip(NEXT) | instid1(VALU_DEP_2)
	v_fma_f64 v[184:185], v[232:233], v[240:241], -v[184:185]
	v_fma_f64 v[212:213], v[234:235], v[240:241], v[212:213]
	ds_load_2addr_b64 v[232:235], v242 offset0:44 offset1:45
	v_add_f64 v[144:145], v[144:145], -v[184:185]
	v_add_f64 v[146:147], v[146:147], -v[212:213]
	s_waitcnt lgkmcnt(0)
	v_mul_f64 v[184:185], v[234:235], v[186:187]
	v_mul_f64 v[212:213], v[232:233], v[186:187]
	s_delay_alu instid0(VALU_DEP_2) | instskip(NEXT) | instid1(VALU_DEP_2)
	v_fma_f64 v[184:185], v[232:233], v[240:241], -v[184:185]
	v_fma_f64 v[212:213], v[234:235], v[240:241], v[212:213]
	ds_load_2addr_b64 v[232:235], v242 offset0:46 offset1:47
	v_add_f64 v[140:141], v[140:141], -v[184:185]
	v_add_f64 v[142:143], v[142:143], -v[212:213]
	s_waitcnt lgkmcnt(0)
	v_mul_f64 v[184:185], v[234:235], v[186:187]
	v_mul_f64 v[212:213], v[232:233], v[186:187]
	s_delay_alu instid0(VALU_DEP_2) | instskip(NEXT) | instid1(VALU_DEP_2)
	v_fma_f64 v[184:185], v[232:233], v[240:241], -v[184:185]
	v_fma_f64 v[212:213], v[234:235], v[240:241], v[212:213]
	ds_load_2addr_b64 v[232:235], v242 offset0:48 offset1:49
	v_add_f64 v[136:137], v[136:137], -v[184:185]
	v_add_f64 v[138:139], v[138:139], -v[212:213]
	s_waitcnt lgkmcnt(0)
	v_mul_f64 v[184:185], v[234:235], v[186:187]
	v_mul_f64 v[212:213], v[232:233], v[186:187]
	s_delay_alu instid0(VALU_DEP_2) | instskip(NEXT) | instid1(VALU_DEP_2)
	v_fma_f64 v[184:185], v[232:233], v[240:241], -v[184:185]
	v_fma_f64 v[212:213], v[234:235], v[240:241], v[212:213]
	ds_load_2addr_b64 v[232:235], v242 offset0:50 offset1:51
	v_add_f64 v[132:133], v[132:133], -v[184:185]
	v_add_f64 v[134:135], v[134:135], -v[212:213]
	s_waitcnt lgkmcnt(0)
	v_mul_f64 v[184:185], v[234:235], v[186:187]
	v_mul_f64 v[212:213], v[232:233], v[186:187]
	s_delay_alu instid0(VALU_DEP_2) | instskip(NEXT) | instid1(VALU_DEP_2)
	v_fma_f64 v[184:185], v[232:233], v[240:241], -v[184:185]
	v_fma_f64 v[212:213], v[234:235], v[240:241], v[212:213]
	ds_load_2addr_b64 v[232:235], v242 offset0:52 offset1:53
	v_add_f64 v[128:129], v[128:129], -v[184:185]
	v_add_f64 v[130:131], v[130:131], -v[212:213]
	s_waitcnt lgkmcnt(0)
	v_mul_f64 v[184:185], v[234:235], v[186:187]
	v_mul_f64 v[212:213], v[232:233], v[186:187]
	s_delay_alu instid0(VALU_DEP_2) | instskip(NEXT) | instid1(VALU_DEP_2)
	v_fma_f64 v[184:185], v[232:233], v[240:241], -v[184:185]
	v_fma_f64 v[212:213], v[234:235], v[240:241], v[212:213]
	ds_load_2addr_b64 v[232:235], v242 offset0:54 offset1:55
	v_add_f64 v[124:125], v[124:125], -v[184:185]
	v_add_f64 v[126:127], v[126:127], -v[212:213]
	s_waitcnt lgkmcnt(0)
	v_mul_f64 v[184:185], v[234:235], v[186:187]
	v_mul_f64 v[212:213], v[232:233], v[186:187]
	s_delay_alu instid0(VALU_DEP_2) | instskip(NEXT) | instid1(VALU_DEP_2)
	v_fma_f64 v[184:185], v[232:233], v[240:241], -v[184:185]
	v_fma_f64 v[212:213], v[234:235], v[240:241], v[212:213]
	ds_load_2addr_b64 v[232:235], v242 offset0:56 offset1:57
	v_add_f64 v[120:121], v[120:121], -v[184:185]
	v_add_f64 v[122:123], v[122:123], -v[212:213]
	s_waitcnt lgkmcnt(0)
	v_mul_f64 v[184:185], v[234:235], v[186:187]
	v_mul_f64 v[212:213], v[232:233], v[186:187]
	s_delay_alu instid0(VALU_DEP_2) | instskip(NEXT) | instid1(VALU_DEP_2)
	v_fma_f64 v[184:185], v[232:233], v[240:241], -v[184:185]
	v_fma_f64 v[212:213], v[234:235], v[240:241], v[212:213]
	ds_load_2addr_b64 v[232:235], v242 offset0:58 offset1:59
	v_add_f64 v[116:117], v[116:117], -v[184:185]
	v_add_f64 v[118:119], v[118:119], -v[212:213]
	s_waitcnt lgkmcnt(0)
	v_mul_f64 v[184:185], v[234:235], v[186:187]
	v_mul_f64 v[212:213], v[232:233], v[186:187]
	s_delay_alu instid0(VALU_DEP_2) | instskip(NEXT) | instid1(VALU_DEP_2)
	v_fma_f64 v[184:185], v[232:233], v[240:241], -v[184:185]
	v_fma_f64 v[212:213], v[234:235], v[240:241], v[212:213]
	ds_load_2addr_b64 v[232:235], v242 offset0:60 offset1:61
	v_add_f64 v[112:113], v[112:113], -v[184:185]
	v_add_f64 v[114:115], v[114:115], -v[212:213]
	s_waitcnt lgkmcnt(0)
	v_mul_f64 v[184:185], v[234:235], v[186:187]
	v_mul_f64 v[212:213], v[232:233], v[186:187]
	s_delay_alu instid0(VALU_DEP_2) | instskip(NEXT) | instid1(VALU_DEP_2)
	v_fma_f64 v[184:185], v[232:233], v[240:241], -v[184:185]
	v_fma_f64 v[212:213], v[234:235], v[240:241], v[212:213]
	ds_load_2addr_b64 v[232:235], v242 offset0:62 offset1:63
	v_add_f64 v[108:109], v[108:109], -v[184:185]
	v_add_f64 v[110:111], v[110:111], -v[212:213]
	s_waitcnt lgkmcnt(0)
	v_mul_f64 v[184:185], v[234:235], v[186:187]
	v_mul_f64 v[212:213], v[232:233], v[186:187]
	s_delay_alu instid0(VALU_DEP_2) | instskip(NEXT) | instid1(VALU_DEP_2)
	v_fma_f64 v[184:185], v[232:233], v[240:241], -v[184:185]
	v_fma_f64 v[212:213], v[234:235], v[240:241], v[212:213]
	ds_load_2addr_b64 v[232:235], v242 offset0:64 offset1:65
	v_add_f64 v[104:105], v[104:105], -v[184:185]
	v_add_f64 v[106:107], v[106:107], -v[212:213]
	s_waitcnt lgkmcnt(0)
	v_mul_f64 v[184:185], v[234:235], v[186:187]
	v_mul_f64 v[212:213], v[232:233], v[186:187]
	s_delay_alu instid0(VALU_DEP_2) | instskip(NEXT) | instid1(VALU_DEP_2)
	v_fma_f64 v[184:185], v[232:233], v[240:241], -v[184:185]
	v_fma_f64 v[212:213], v[234:235], v[240:241], v[212:213]
	ds_load_2addr_b64 v[232:235], v242 offset0:66 offset1:67
	v_add_f64 v[100:101], v[100:101], -v[184:185]
	v_add_f64 v[102:103], v[102:103], -v[212:213]
	s_waitcnt lgkmcnt(0)
	v_mul_f64 v[184:185], v[234:235], v[186:187]
	v_mul_f64 v[212:213], v[232:233], v[186:187]
	s_delay_alu instid0(VALU_DEP_2) | instskip(NEXT) | instid1(VALU_DEP_2)
	v_fma_f64 v[184:185], v[232:233], v[240:241], -v[184:185]
	v_fma_f64 v[212:213], v[234:235], v[240:241], v[212:213]
	ds_load_2addr_b64 v[232:235], v242 offset0:68 offset1:69
	v_add_f64 v[96:97], v[96:97], -v[184:185]
	v_add_f64 v[98:99], v[98:99], -v[212:213]
	s_waitcnt lgkmcnt(0)
	v_mul_f64 v[184:185], v[234:235], v[186:187]
	v_mul_f64 v[212:213], v[232:233], v[186:187]
	s_delay_alu instid0(VALU_DEP_2) | instskip(NEXT) | instid1(VALU_DEP_2)
	v_fma_f64 v[184:185], v[232:233], v[240:241], -v[184:185]
	v_fma_f64 v[212:213], v[234:235], v[240:241], v[212:213]
	ds_load_2addr_b64 v[232:235], v242 offset0:70 offset1:71
	v_add_f64 v[92:93], v[92:93], -v[184:185]
	v_add_f64 v[94:95], v[94:95], -v[212:213]
	s_waitcnt lgkmcnt(0)
	v_mul_f64 v[184:185], v[234:235], v[186:187]
	v_mul_f64 v[212:213], v[232:233], v[186:187]
	s_delay_alu instid0(VALU_DEP_2) | instskip(NEXT) | instid1(VALU_DEP_2)
	v_fma_f64 v[184:185], v[232:233], v[240:241], -v[184:185]
	v_fma_f64 v[212:213], v[234:235], v[240:241], v[212:213]
	ds_load_2addr_b64 v[232:235], v242 offset0:72 offset1:73
	v_add_f64 v[88:89], v[88:89], -v[184:185]
	v_add_f64 v[90:91], v[90:91], -v[212:213]
	s_waitcnt lgkmcnt(0)
	v_mul_f64 v[184:185], v[234:235], v[186:187]
	v_mul_f64 v[212:213], v[232:233], v[186:187]
	s_delay_alu instid0(VALU_DEP_2) | instskip(NEXT) | instid1(VALU_DEP_2)
	v_fma_f64 v[184:185], v[232:233], v[240:241], -v[184:185]
	v_fma_f64 v[212:213], v[234:235], v[240:241], v[212:213]
	ds_load_2addr_b64 v[232:235], v242 offset0:74 offset1:75
	v_add_f64 v[84:85], v[84:85], -v[184:185]
	v_add_f64 v[86:87], v[86:87], -v[212:213]
	s_waitcnt lgkmcnt(0)
	v_mul_f64 v[184:185], v[234:235], v[186:187]
	v_mul_f64 v[212:213], v[232:233], v[186:187]
	s_delay_alu instid0(VALU_DEP_2) | instskip(NEXT) | instid1(VALU_DEP_2)
	v_fma_f64 v[184:185], v[232:233], v[240:241], -v[184:185]
	v_fma_f64 v[212:213], v[234:235], v[240:241], v[212:213]
	ds_load_2addr_b64 v[232:235], v242 offset0:76 offset1:77
	v_add_f64 v[80:81], v[80:81], -v[184:185]
	v_add_f64 v[82:83], v[82:83], -v[212:213]
	s_waitcnt lgkmcnt(0)
	v_mul_f64 v[184:185], v[234:235], v[186:187]
	v_mul_f64 v[212:213], v[232:233], v[186:187]
	s_delay_alu instid0(VALU_DEP_2) | instskip(NEXT) | instid1(VALU_DEP_2)
	v_fma_f64 v[184:185], v[232:233], v[240:241], -v[184:185]
	v_fma_f64 v[212:213], v[234:235], v[240:241], v[212:213]
	ds_load_2addr_b64 v[232:235], v242 offset0:78 offset1:79
	v_add_f64 v[76:77], v[76:77], -v[184:185]
	v_add_f64 v[78:79], v[78:79], -v[212:213]
	s_waitcnt lgkmcnt(0)
	v_mul_f64 v[184:185], v[234:235], v[186:187]
	v_mul_f64 v[212:213], v[232:233], v[186:187]
	s_delay_alu instid0(VALU_DEP_2) | instskip(NEXT) | instid1(VALU_DEP_2)
	v_fma_f64 v[184:185], v[232:233], v[240:241], -v[184:185]
	v_fma_f64 v[212:213], v[234:235], v[240:241], v[212:213]
	ds_load_2addr_b64 v[232:235], v242 offset0:80 offset1:81
	v_add_f64 v[72:73], v[72:73], -v[184:185]
	v_add_f64 v[74:75], v[74:75], -v[212:213]
	s_waitcnt lgkmcnt(0)
	v_mul_f64 v[184:185], v[234:235], v[186:187]
	v_mul_f64 v[212:213], v[232:233], v[186:187]
	s_delay_alu instid0(VALU_DEP_2) | instskip(NEXT) | instid1(VALU_DEP_2)
	v_fma_f64 v[184:185], v[232:233], v[240:241], -v[184:185]
	v_fma_f64 v[212:213], v[234:235], v[240:241], v[212:213]
	ds_load_2addr_b64 v[232:235], v242 offset0:82 offset1:83
	v_add_f64 v[68:69], v[68:69], -v[184:185]
	v_add_f64 v[70:71], v[70:71], -v[212:213]
	s_waitcnt lgkmcnt(0)
	v_mul_f64 v[184:185], v[234:235], v[186:187]
	v_mul_f64 v[212:213], v[232:233], v[186:187]
	s_delay_alu instid0(VALU_DEP_2) | instskip(NEXT) | instid1(VALU_DEP_2)
	v_fma_f64 v[184:185], v[232:233], v[240:241], -v[184:185]
	v_fma_f64 v[212:213], v[234:235], v[240:241], v[212:213]
	ds_load_2addr_b64 v[232:235], v242 offset0:84 offset1:85
	v_add_f64 v[64:65], v[64:65], -v[184:185]
	v_add_f64 v[66:67], v[66:67], -v[212:213]
	s_waitcnt lgkmcnt(0)
	v_mul_f64 v[184:185], v[234:235], v[186:187]
	v_mul_f64 v[212:213], v[232:233], v[186:187]
	s_delay_alu instid0(VALU_DEP_2) | instskip(NEXT) | instid1(VALU_DEP_2)
	v_fma_f64 v[184:185], v[232:233], v[240:241], -v[184:185]
	v_fma_f64 v[212:213], v[234:235], v[240:241], v[212:213]
	ds_load_2addr_b64 v[232:235], v242 offset0:86 offset1:87
	v_add_f64 v[60:61], v[60:61], -v[184:185]
	v_add_f64 v[62:63], v[62:63], -v[212:213]
	s_waitcnt lgkmcnt(0)
	v_mul_f64 v[184:185], v[234:235], v[186:187]
	v_mul_f64 v[212:213], v[232:233], v[186:187]
	s_delay_alu instid0(VALU_DEP_2) | instskip(NEXT) | instid1(VALU_DEP_2)
	v_fma_f64 v[184:185], v[232:233], v[240:241], -v[184:185]
	v_fma_f64 v[212:213], v[234:235], v[240:241], v[212:213]
	ds_load_2addr_b64 v[232:235], v242 offset0:88 offset1:89
	v_add_f64 v[56:57], v[56:57], -v[184:185]
	v_add_f64 v[58:59], v[58:59], -v[212:213]
	s_waitcnt lgkmcnt(0)
	v_mul_f64 v[184:185], v[234:235], v[186:187]
	v_mul_f64 v[212:213], v[232:233], v[186:187]
	s_delay_alu instid0(VALU_DEP_2) | instskip(NEXT) | instid1(VALU_DEP_2)
	v_fma_f64 v[184:185], v[232:233], v[240:241], -v[184:185]
	v_fma_f64 v[212:213], v[234:235], v[240:241], v[212:213]
	ds_load_2addr_b64 v[232:235], v242 offset0:90 offset1:91
	v_add_f64 v[52:53], v[52:53], -v[184:185]
	v_add_f64 v[54:55], v[54:55], -v[212:213]
	s_waitcnt lgkmcnt(0)
	v_mul_f64 v[184:185], v[234:235], v[186:187]
	v_mul_f64 v[212:213], v[232:233], v[186:187]
	s_delay_alu instid0(VALU_DEP_2) | instskip(NEXT) | instid1(VALU_DEP_2)
	v_fma_f64 v[184:185], v[232:233], v[240:241], -v[184:185]
	v_fma_f64 v[212:213], v[234:235], v[240:241], v[212:213]
	ds_load_2addr_b64 v[232:235], v242 offset0:92 offset1:93
	v_add_f64 v[48:49], v[48:49], -v[184:185]
	v_add_f64 v[50:51], v[50:51], -v[212:213]
	s_waitcnt lgkmcnt(0)
	v_mul_f64 v[184:185], v[234:235], v[186:187]
	v_mul_f64 v[212:213], v[232:233], v[186:187]
	s_delay_alu instid0(VALU_DEP_2) | instskip(NEXT) | instid1(VALU_DEP_2)
	v_fma_f64 v[184:185], v[232:233], v[240:241], -v[184:185]
	v_fma_f64 v[212:213], v[234:235], v[240:241], v[212:213]
	ds_load_2addr_b64 v[232:235], v242 offset0:94 offset1:95
	v_add_f64 v[44:45], v[44:45], -v[184:185]
	v_add_f64 v[46:47], v[46:47], -v[212:213]
	s_waitcnt lgkmcnt(0)
	v_mul_f64 v[184:185], v[234:235], v[186:187]
	v_mul_f64 v[212:213], v[232:233], v[186:187]
	s_delay_alu instid0(VALU_DEP_2) | instskip(NEXT) | instid1(VALU_DEP_2)
	v_fma_f64 v[184:185], v[232:233], v[240:241], -v[184:185]
	v_fma_f64 v[212:213], v[234:235], v[240:241], v[212:213]
	ds_load_2addr_b64 v[232:235], v242 offset0:96 offset1:97
	v_add_f64 v[40:41], v[40:41], -v[184:185]
	v_add_f64 v[42:43], v[42:43], -v[212:213]
	s_waitcnt lgkmcnt(0)
	v_mul_f64 v[184:185], v[234:235], v[186:187]
	v_mul_f64 v[212:213], v[232:233], v[186:187]
	s_delay_alu instid0(VALU_DEP_2) | instskip(NEXT) | instid1(VALU_DEP_2)
	v_fma_f64 v[184:185], v[232:233], v[240:241], -v[184:185]
	v_fma_f64 v[212:213], v[234:235], v[240:241], v[212:213]
	ds_load_2addr_b64 v[232:235], v242 offset0:98 offset1:99
	v_add_f64 v[36:37], v[36:37], -v[184:185]
	v_add_f64 v[38:39], v[38:39], -v[212:213]
	s_waitcnt lgkmcnt(0)
	v_mul_f64 v[184:185], v[234:235], v[186:187]
	v_mul_f64 v[212:213], v[232:233], v[186:187]
	s_delay_alu instid0(VALU_DEP_2) | instskip(NEXT) | instid1(VALU_DEP_2)
	v_fma_f64 v[184:185], v[232:233], v[240:241], -v[184:185]
	v_fma_f64 v[212:213], v[234:235], v[240:241], v[212:213]
	ds_load_2addr_b64 v[232:235], v242 offset0:100 offset1:101
	v_add_f64 v[32:33], v[32:33], -v[184:185]
	v_add_f64 v[34:35], v[34:35], -v[212:213]
	s_waitcnt lgkmcnt(0)
	v_mul_f64 v[184:185], v[234:235], v[186:187]
	v_mul_f64 v[212:213], v[232:233], v[186:187]
	s_delay_alu instid0(VALU_DEP_2) | instskip(NEXT) | instid1(VALU_DEP_2)
	v_fma_f64 v[184:185], v[232:233], v[240:241], -v[184:185]
	v_fma_f64 v[212:213], v[234:235], v[240:241], v[212:213]
	ds_load_2addr_b64 v[232:235], v242 offset0:102 offset1:103
	v_add_f64 v[28:29], v[28:29], -v[184:185]
	v_add_f64 v[30:31], v[30:31], -v[212:213]
	s_waitcnt lgkmcnt(0)
	v_mul_f64 v[184:185], v[234:235], v[186:187]
	v_mul_f64 v[212:213], v[232:233], v[186:187]
	s_delay_alu instid0(VALU_DEP_2) | instskip(NEXT) | instid1(VALU_DEP_2)
	v_fma_f64 v[184:185], v[232:233], v[240:241], -v[184:185]
	v_fma_f64 v[212:213], v[234:235], v[240:241], v[212:213]
	ds_load_2addr_b64 v[232:235], v242 offset0:104 offset1:105
	v_add_f64 v[24:25], v[24:25], -v[184:185]
	v_add_f64 v[26:27], v[26:27], -v[212:213]
	s_waitcnt lgkmcnt(0)
	v_mul_f64 v[184:185], v[234:235], v[186:187]
	v_mul_f64 v[212:213], v[232:233], v[186:187]
	s_delay_alu instid0(VALU_DEP_2) | instskip(NEXT) | instid1(VALU_DEP_2)
	v_fma_f64 v[184:185], v[232:233], v[240:241], -v[184:185]
	v_fma_f64 v[212:213], v[234:235], v[240:241], v[212:213]
	ds_load_2addr_b64 v[232:235], v242 offset0:106 offset1:107
	v_add_f64 v[20:21], v[20:21], -v[184:185]
	v_add_f64 v[22:23], v[22:23], -v[212:213]
	s_waitcnt lgkmcnt(0)
	v_mul_f64 v[184:185], v[234:235], v[186:187]
	v_mul_f64 v[212:213], v[232:233], v[186:187]
	s_delay_alu instid0(VALU_DEP_2) | instskip(NEXT) | instid1(VALU_DEP_2)
	v_fma_f64 v[184:185], v[232:233], v[240:241], -v[184:185]
	v_fma_f64 v[212:213], v[234:235], v[240:241], v[212:213]
	ds_load_2addr_b64 v[232:235], v242 offset0:108 offset1:109
	v_add_f64 v[16:17], v[16:17], -v[184:185]
	v_add_f64 v[18:19], v[18:19], -v[212:213]
	s_waitcnt lgkmcnt(0)
	v_mul_f64 v[184:185], v[234:235], v[186:187]
	v_mul_f64 v[212:213], v[232:233], v[186:187]
	s_delay_alu instid0(VALU_DEP_2) | instskip(NEXT) | instid1(VALU_DEP_2)
	v_fma_f64 v[184:185], v[232:233], v[240:241], -v[184:185]
	v_fma_f64 v[212:213], v[234:235], v[240:241], v[212:213]
	ds_load_2addr_b64 v[232:235], v242 offset0:110 offset1:111
	v_add_f64 v[12:13], v[12:13], -v[184:185]
	v_add_f64 v[14:15], v[14:15], -v[212:213]
	s_waitcnt lgkmcnt(0)
	v_mul_f64 v[184:185], v[234:235], v[186:187]
	v_mul_f64 v[212:213], v[232:233], v[186:187]
	s_delay_alu instid0(VALU_DEP_2) | instskip(NEXT) | instid1(VALU_DEP_2)
	v_fma_f64 v[184:185], v[232:233], v[240:241], -v[184:185]
	v_fma_f64 v[212:213], v[234:235], v[240:241], v[212:213]
	ds_load_2addr_b64 v[232:235], v242 offset0:112 offset1:113
	v_add_f64 v[8:9], v[8:9], -v[184:185]
	v_add_f64 v[10:11], v[10:11], -v[212:213]
	s_waitcnt lgkmcnt(0)
	v_mul_f64 v[184:185], v[234:235], v[186:187]
	v_mul_f64 v[212:213], v[232:233], v[186:187]
	s_delay_alu instid0(VALU_DEP_2) | instskip(NEXT) | instid1(VALU_DEP_2)
	v_fma_f64 v[184:185], v[232:233], v[240:241], -v[184:185]
	v_fma_f64 v[212:213], v[234:235], v[240:241], v[212:213]
	ds_load_2addr_b64 v[232:235], v242 offset0:114 offset1:115
	v_add_f64 v[224:225], v[224:225], -v[184:185]
	v_add_f64 v[226:227], v[226:227], -v[212:213]
	s_waitcnt lgkmcnt(0)
	v_mul_f64 v[184:185], v[234:235], v[186:187]
	v_mul_f64 v[212:213], v[232:233], v[186:187]
	s_delay_alu instid0(VALU_DEP_2) | instskip(NEXT) | instid1(VALU_DEP_2)
	v_fma_f64 v[184:185], v[232:233], v[240:241], -v[184:185]
	v_fma_f64 v[212:213], v[234:235], v[240:241], v[212:213]
	s_delay_alu instid0(VALU_DEP_2) | instskip(NEXT) | instid1(VALU_DEP_2)
	v_add_f64 v[0:1], v[0:1], -v[184:185]
	v_add_f64 v[2:3], v[2:3], -v[212:213]
	v_dual_mov_b32 v184, v240 :: v_dual_mov_b32 v185, v241
.LBB114_251:
	s_or_b32 exec_lo, exec_lo, s2
	v_lshl_add_u32 v212, v248, 4, v242
	s_barrier
	buffer_gl0_inv
	v_mov_b32_e32 v240, 12
	ds_store_2addr_b64 v212, v[180:181], v[182:183] offset1:1
	s_waitcnt lgkmcnt(0)
	s_barrier
	buffer_gl0_inv
	ds_load_2addr_b64 v[232:235], v242 offset0:24 offset1:25
	s_cmp_lt_i32 s12, 14
	s_cbranch_scc1 .LBB114_254
; %bb.252:
	v_add3_u32 v241, v246, 0, 0xd0
	v_mov_b32_e32 v240, 12
	s_mov_b32 s6, 13
	s_set_inst_prefetch_distance 0x1
	.p2align	6
.LBB114_253:                            ; =>This Inner Loop Header: Depth=1
	ds_load_2addr_b64 v[249:252], v241 offset1:1
	s_waitcnt lgkmcnt(1)
	v_cmp_gt_f64_e32 vcc_lo, 0, v[232:233]
	v_cmp_gt_f64_e64 s2, 0, v[234:235]
	v_xor_b32_e32 v213, 0x80000000, v233
	v_xor_b32_e32 v215, 0x80000000, v235
	v_add_nc_u32_e32 v241, 16, v241
	s_waitcnt lgkmcnt(0)
	v_cmp_gt_f64_e64 s3, 0, v[249:250]
	v_cmp_gt_f64_e64 s4, 0, v[251:252]
	v_xor_b32_e32 v219, 0x80000000, v250
	v_mov_b32_e32 v212, v249
	v_xor_b32_e32 v220, 0x80000000, v252
	v_mov_b32_e32 v214, v251
	v_cndmask_b32_e32 v216, v233, v213, vcc_lo
	v_cndmask_b32_e64 v218, v235, v215, s2
	v_cndmask_b32_e32 v215, v232, v232, vcc_lo
	v_cndmask_b32_e64 v217, v234, v234, s2
	s_delay_alu instid0(VALU_DEP_1) | instskip(SKIP_2) | instid1(VALU_DEP_1)
	v_add_f64 v[216:217], v[215:216], v[217:218]
	v_cndmask_b32_e64 v213, v250, v219, s3
	v_cndmask_b32_e64 v215, v252, v220, s4
	v_add_f64 v[212:213], v[212:213], v[214:215]
	s_delay_alu instid0(VALU_DEP_1)
	v_cmp_lt_f64_e32 vcc_lo, v[216:217], v[212:213]
	v_cndmask_b32_e32 v235, v235, v252, vcc_lo
	v_dual_cndmask_b32 v233, v233, v250 :: v_dual_cndmask_b32 v232, v232, v249
	v_cndmask_b32_e32 v234, v234, v251, vcc_lo
	v_cndmask_b32_e64 v240, v240, s6, vcc_lo
	s_add_i32 s6, s6, 1
	s_delay_alu instid0(SALU_CYCLE_1)
	s_cmp_lg_u32 s12, s6
	s_cbranch_scc1 .LBB114_253
.LBB114_254:
	s_set_inst_prefetch_distance 0x2
	s_waitcnt lgkmcnt(0)
	v_cmp_eq_f64_e32 vcc_lo, 0, v[232:233]
	v_cmp_eq_f64_e64 s2, 0, v[234:235]
	s_delay_alu instid0(VALU_DEP_1) | instskip(NEXT) | instid1(SALU_CYCLE_1)
	s_and_b32 s2, vcc_lo, s2
	s_and_saveexec_b32 s3, s2
	s_delay_alu instid0(SALU_CYCLE_1)
	s_xor_b32 s2, exec_lo, s3
; %bb.255:
	v_cmp_ne_u32_e32 vcc_lo, 0, v245
	v_cndmask_b32_e32 v245, 13, v245, vcc_lo
; %bb.256:
	s_and_not1_saveexec_b32 s3, s2
	s_cbranch_execz .LBB114_262
; %bb.257:
	v_cmp_gt_f64_e32 vcc_lo, 0, v[232:233]
	v_cmp_gt_f64_e64 s2, 0, v[234:235]
	v_xor_b32_e32 v212, 0x80000000, v233
	v_xor_b32_e32 v214, 0x80000000, v235
	s_delay_alu instid0(VALU_DEP_2) | instskip(NEXT) | instid1(VALU_DEP_2)
	v_cndmask_b32_e32 v213, v233, v212, vcc_lo
	v_cndmask_b32_e64 v215, v235, v214, s2
	v_cndmask_b32_e32 v212, v232, v232, vcc_lo
	v_cndmask_b32_e64 v214, v234, v234, s2
	s_mov_b32 s2, exec_lo
	s_delay_alu instid0(VALU_DEP_1)
	v_cmpx_ngt_f64_e32 v[212:213], v[214:215]
	s_xor_b32 s2, exec_lo, s2
	s_cbranch_execz .LBB114_259
; %bb.258:
	v_div_scale_f64 v[212:213], null, v[234:235], v[234:235], v[232:233]
	v_div_scale_f64 v[218:219], vcc_lo, v[232:233], v[234:235], v[232:233]
	s_delay_alu instid0(VALU_DEP_2) | instskip(SKIP_2) | instid1(VALU_DEP_1)
	v_rcp_f64_e32 v[214:215], v[212:213]
	s_waitcnt_depctr 0xfff
	v_fma_f64 v[216:217], -v[212:213], v[214:215], 1.0
	v_fma_f64 v[214:215], v[214:215], v[216:217], v[214:215]
	s_delay_alu instid0(VALU_DEP_1) | instskip(NEXT) | instid1(VALU_DEP_1)
	v_fma_f64 v[216:217], -v[212:213], v[214:215], 1.0
	v_fma_f64 v[214:215], v[214:215], v[216:217], v[214:215]
	s_delay_alu instid0(VALU_DEP_1) | instskip(NEXT) | instid1(VALU_DEP_1)
	v_mul_f64 v[216:217], v[218:219], v[214:215]
	v_fma_f64 v[212:213], -v[212:213], v[216:217], v[218:219]
	s_delay_alu instid0(VALU_DEP_1) | instskip(NEXT) | instid1(VALU_DEP_1)
	v_div_fmas_f64 v[212:213], v[212:213], v[214:215], v[216:217]
	v_div_fixup_f64 v[212:213], v[212:213], v[234:235], v[232:233]
	s_delay_alu instid0(VALU_DEP_1) | instskip(NEXT) | instid1(VALU_DEP_1)
	v_fma_f64 v[214:215], v[232:233], v[212:213], v[234:235]
	v_div_scale_f64 v[216:217], null, v[214:215], v[214:215], 1.0
	s_delay_alu instid0(VALU_DEP_1) | instskip(SKIP_2) | instid1(VALU_DEP_1)
	v_rcp_f64_e32 v[218:219], v[216:217]
	s_waitcnt_depctr 0xfff
	v_fma_f64 v[220:221], -v[216:217], v[218:219], 1.0
	v_fma_f64 v[218:219], v[218:219], v[220:221], v[218:219]
	s_delay_alu instid0(VALU_DEP_1) | instskip(NEXT) | instid1(VALU_DEP_1)
	v_fma_f64 v[220:221], -v[216:217], v[218:219], 1.0
	v_fma_f64 v[218:219], v[218:219], v[220:221], v[218:219]
	v_div_scale_f64 v[220:221], vcc_lo, 1.0, v[214:215], 1.0
	s_delay_alu instid0(VALU_DEP_1) | instskip(NEXT) | instid1(VALU_DEP_1)
	v_mul_f64 v[222:223], v[220:221], v[218:219]
	v_fma_f64 v[216:217], -v[216:217], v[222:223], v[220:221]
	s_delay_alu instid0(VALU_DEP_1) | instskip(NEXT) | instid1(VALU_DEP_1)
	v_div_fmas_f64 v[216:217], v[216:217], v[218:219], v[222:223]
	v_div_fixup_f64 v[234:235], v[216:217], v[214:215], 1.0
	s_delay_alu instid0(VALU_DEP_1)
	v_mul_f64 v[232:233], v[212:213], v[234:235]
	v_xor_b32_e32 v235, 0x80000000, v235
.LBB114_259:
	s_and_not1_saveexec_b32 s2, s2
	s_cbranch_execz .LBB114_261
; %bb.260:
	s_delay_alu instid0(VALU_DEP_1) | instskip(SKIP_1) | instid1(VALU_DEP_2)
	v_div_scale_f64 v[212:213], null, v[232:233], v[232:233], v[234:235]
	v_div_scale_f64 v[218:219], vcc_lo, v[234:235], v[232:233], v[234:235]
	v_rcp_f64_e32 v[214:215], v[212:213]
	s_waitcnt_depctr 0xfff
	v_fma_f64 v[216:217], -v[212:213], v[214:215], 1.0
	s_delay_alu instid0(VALU_DEP_1) | instskip(NEXT) | instid1(VALU_DEP_1)
	v_fma_f64 v[214:215], v[214:215], v[216:217], v[214:215]
	v_fma_f64 v[216:217], -v[212:213], v[214:215], 1.0
	s_delay_alu instid0(VALU_DEP_1) | instskip(NEXT) | instid1(VALU_DEP_1)
	v_fma_f64 v[214:215], v[214:215], v[216:217], v[214:215]
	v_mul_f64 v[216:217], v[218:219], v[214:215]
	s_delay_alu instid0(VALU_DEP_1) | instskip(NEXT) | instid1(VALU_DEP_1)
	v_fma_f64 v[212:213], -v[212:213], v[216:217], v[218:219]
	v_div_fmas_f64 v[212:213], v[212:213], v[214:215], v[216:217]
	s_delay_alu instid0(VALU_DEP_1) | instskip(NEXT) | instid1(VALU_DEP_1)
	v_div_fixup_f64 v[212:213], v[212:213], v[232:233], v[234:235]
	v_fma_f64 v[214:215], v[234:235], v[212:213], v[232:233]
	s_delay_alu instid0(VALU_DEP_1) | instskip(NEXT) | instid1(VALU_DEP_1)
	v_div_scale_f64 v[216:217], null, v[214:215], v[214:215], 1.0
	v_rcp_f64_e32 v[218:219], v[216:217]
	s_waitcnt_depctr 0xfff
	v_fma_f64 v[220:221], -v[216:217], v[218:219], 1.0
	s_delay_alu instid0(VALU_DEP_1) | instskip(NEXT) | instid1(VALU_DEP_1)
	v_fma_f64 v[218:219], v[218:219], v[220:221], v[218:219]
	v_fma_f64 v[220:221], -v[216:217], v[218:219], 1.0
	s_delay_alu instid0(VALU_DEP_1) | instskip(SKIP_1) | instid1(VALU_DEP_1)
	v_fma_f64 v[218:219], v[218:219], v[220:221], v[218:219]
	v_div_scale_f64 v[220:221], vcc_lo, 1.0, v[214:215], 1.0
	v_mul_f64 v[222:223], v[220:221], v[218:219]
	s_delay_alu instid0(VALU_DEP_1) | instskip(NEXT) | instid1(VALU_DEP_1)
	v_fma_f64 v[216:217], -v[216:217], v[222:223], v[220:221]
	v_div_fmas_f64 v[216:217], v[216:217], v[218:219], v[222:223]
	s_delay_alu instid0(VALU_DEP_1) | instskip(NEXT) | instid1(VALU_DEP_1)
	v_div_fixup_f64 v[232:233], v[216:217], v[214:215], 1.0
	v_mul_f64 v[234:235], v[212:213], -v[232:233]
.LBB114_261:
	s_or_b32 exec_lo, exec_lo, s2
.LBB114_262:
	s_delay_alu instid0(SALU_CYCLE_1) | instskip(NEXT) | instid1(SALU_CYCLE_1)
	s_or_b32 exec_lo, exec_lo, s3
	s_mov_b32 s2, exec_lo
	v_cmpx_ne_u32_e64 v248, v240
	s_xor_b32 s2, exec_lo, s2
	s_cbranch_execz .LBB114_268
; %bb.263:
	s_mov_b32 s3, exec_lo
	v_cmpx_eq_u32_e32 12, v248
	s_cbranch_execz .LBB114_267
; %bb.264:
	v_cmp_ne_u32_e32 vcc_lo, 12, v240
	s_xor_b32 s4, s5, -1
	s_delay_alu instid0(SALU_CYCLE_1) | instskip(NEXT) | instid1(SALU_CYCLE_1)
	s_and_b32 s6, s4, vcc_lo
	s_and_saveexec_b32 s4, s6
	s_cbranch_execz .LBB114_266
; %bb.265:
	scratch_load_b64 v[208:209], off, off   ; 8-byte Folded Reload
	v_ashrrev_i32_e32 v241, 31, v240
	s_delay_alu instid0(VALU_DEP_1) | instskip(SKIP_1) | instid1(VALU_DEP_1)
	v_lshlrev_b64 v[212:213], 2, v[240:241]
	s_waitcnt vmcnt(0)
	v_add_co_u32 v212, vcc_lo, v208, v212
	s_delay_alu instid0(VALU_DEP_2)
	v_add_co_ci_u32_e32 v213, vcc_lo, v209, v213, vcc_lo
	s_clause 0x1
	flat_load_b32 v214, v[212:213]
	flat_load_b32 v215, v[208:209] offset:48
	s_waitcnt vmcnt(1) lgkmcnt(1)
	flat_store_b32 v[208:209], v214 offset:48
	s_waitcnt vmcnt(0) lgkmcnt(1)
	flat_store_b32 v[212:213], v215
.LBB114_266:
	s_or_b32 exec_lo, exec_lo, s4
	v_mov_b32_e32 v248, v240
	v_mov_b32_e32 v236, v240
.LBB114_267:
	s_or_b32 exec_lo, exec_lo, s3
.LBB114_268:
	s_and_not1_saveexec_b32 s2, s2
	s_cbranch_execz .LBB114_270
; %bb.269:
	v_mov_b32_e32 v248, 12
	ds_store_2addr_b64 v242, v[176:177], v[178:179] offset0:26 offset1:27
	ds_store_2addr_b64 v242, v[172:173], v[174:175] offset0:28 offset1:29
	;; [unrolled: 1-line block ×45, first 2 shown]
.LBB114_270:
	s_or_b32 exec_lo, exec_lo, s2
	s_delay_alu instid0(SALU_CYCLE_1)
	s_mov_b32 s2, exec_lo
	s_waitcnt lgkmcnt(0)
	s_waitcnt_vscnt null, 0x0
	s_barrier
	buffer_gl0_inv
	v_cmpx_lt_i32_e32 12, v248
	s_cbranch_execz .LBB114_272
; %bb.271:
	v_mul_f64 v[212:213], v[234:235], v[182:183]
	v_mul_f64 v[182:183], v[232:233], v[182:183]
	s_delay_alu instid0(VALU_DEP_2) | instskip(NEXT) | instid1(VALU_DEP_2)
	v_fma_f64 v[240:241], v[232:233], v[180:181], -v[212:213]
	v_fma_f64 v[182:183], v[234:235], v[180:181], v[182:183]
	ds_load_2addr_b64 v[232:235], v242 offset0:26 offset1:27
	s_waitcnt lgkmcnt(0)
	v_mul_f64 v[180:181], v[234:235], v[182:183]
	v_mul_f64 v[212:213], v[232:233], v[182:183]
	s_delay_alu instid0(VALU_DEP_2) | instskip(NEXT) | instid1(VALU_DEP_2)
	v_fma_f64 v[180:181], v[232:233], v[240:241], -v[180:181]
	v_fma_f64 v[212:213], v[234:235], v[240:241], v[212:213]
	ds_load_2addr_b64 v[232:235], v242 offset0:28 offset1:29
	v_add_f64 v[176:177], v[176:177], -v[180:181]
	v_add_f64 v[178:179], v[178:179], -v[212:213]
	s_waitcnt lgkmcnt(0)
	v_mul_f64 v[180:181], v[234:235], v[182:183]
	v_mul_f64 v[212:213], v[232:233], v[182:183]
	s_delay_alu instid0(VALU_DEP_2) | instskip(NEXT) | instid1(VALU_DEP_2)
	v_fma_f64 v[180:181], v[232:233], v[240:241], -v[180:181]
	v_fma_f64 v[212:213], v[234:235], v[240:241], v[212:213]
	ds_load_2addr_b64 v[232:235], v242 offset0:30 offset1:31
	v_add_f64 v[172:173], v[172:173], -v[180:181]
	v_add_f64 v[174:175], v[174:175], -v[212:213]
	;; [unrolled: 9-line block ×44, first 2 shown]
	s_waitcnt lgkmcnt(0)
	v_mul_f64 v[180:181], v[234:235], v[182:183]
	v_mul_f64 v[212:213], v[232:233], v[182:183]
	s_delay_alu instid0(VALU_DEP_2) | instskip(NEXT) | instid1(VALU_DEP_2)
	v_fma_f64 v[180:181], v[232:233], v[240:241], -v[180:181]
	v_fma_f64 v[212:213], v[234:235], v[240:241], v[212:213]
	s_delay_alu instid0(VALU_DEP_2) | instskip(NEXT) | instid1(VALU_DEP_2)
	v_add_f64 v[0:1], v[0:1], -v[180:181]
	v_add_f64 v[2:3], v[2:3], -v[212:213]
	v_dual_mov_b32 v180, v240 :: v_dual_mov_b32 v181, v241
.LBB114_272:
	s_or_b32 exec_lo, exec_lo, s2
	v_lshl_add_u32 v212, v248, 4, v242
	s_barrier
	buffer_gl0_inv
	v_mov_b32_e32 v240, 13
	ds_store_2addr_b64 v212, v[176:177], v[178:179] offset1:1
	s_waitcnt lgkmcnt(0)
	s_barrier
	buffer_gl0_inv
	ds_load_2addr_b64 v[232:235], v242 offset0:26 offset1:27
	s_cmp_lt_i32 s12, 15
	s_cbranch_scc1 .LBB114_275
; %bb.273:
	v_add3_u32 v241, v246, 0, 0xe0
	v_mov_b32_e32 v240, 13
	s_mov_b32 s6, 14
	s_set_inst_prefetch_distance 0x1
	.p2align	6
.LBB114_274:                            ; =>This Inner Loop Header: Depth=1
	ds_load_2addr_b64 v[249:252], v241 offset1:1
	s_waitcnt lgkmcnt(1)
	v_cmp_gt_f64_e32 vcc_lo, 0, v[232:233]
	v_cmp_gt_f64_e64 s2, 0, v[234:235]
	v_xor_b32_e32 v213, 0x80000000, v233
	v_xor_b32_e32 v215, 0x80000000, v235
	v_add_nc_u32_e32 v241, 16, v241
	s_waitcnt lgkmcnt(0)
	v_cmp_gt_f64_e64 s3, 0, v[249:250]
	v_cmp_gt_f64_e64 s4, 0, v[251:252]
	v_xor_b32_e32 v219, 0x80000000, v250
	v_mov_b32_e32 v212, v249
	v_xor_b32_e32 v220, 0x80000000, v252
	v_mov_b32_e32 v214, v251
	v_cndmask_b32_e32 v216, v233, v213, vcc_lo
	v_cndmask_b32_e64 v218, v235, v215, s2
	v_cndmask_b32_e32 v215, v232, v232, vcc_lo
	v_cndmask_b32_e64 v217, v234, v234, s2
	s_delay_alu instid0(VALU_DEP_1) | instskip(SKIP_2) | instid1(VALU_DEP_1)
	v_add_f64 v[216:217], v[215:216], v[217:218]
	v_cndmask_b32_e64 v213, v250, v219, s3
	v_cndmask_b32_e64 v215, v252, v220, s4
	v_add_f64 v[212:213], v[212:213], v[214:215]
	s_delay_alu instid0(VALU_DEP_1)
	v_cmp_lt_f64_e32 vcc_lo, v[216:217], v[212:213]
	v_cndmask_b32_e32 v235, v235, v252, vcc_lo
	v_dual_cndmask_b32 v233, v233, v250 :: v_dual_cndmask_b32 v232, v232, v249
	v_cndmask_b32_e32 v234, v234, v251, vcc_lo
	v_cndmask_b32_e64 v240, v240, s6, vcc_lo
	s_add_i32 s6, s6, 1
	s_delay_alu instid0(SALU_CYCLE_1)
	s_cmp_lg_u32 s12, s6
	s_cbranch_scc1 .LBB114_274
.LBB114_275:
	s_set_inst_prefetch_distance 0x2
	s_waitcnt lgkmcnt(0)
	v_cmp_eq_f64_e32 vcc_lo, 0, v[232:233]
	v_cmp_eq_f64_e64 s2, 0, v[234:235]
	s_delay_alu instid0(VALU_DEP_1) | instskip(NEXT) | instid1(SALU_CYCLE_1)
	s_and_b32 s2, vcc_lo, s2
	s_and_saveexec_b32 s3, s2
	s_delay_alu instid0(SALU_CYCLE_1)
	s_xor_b32 s2, exec_lo, s3
; %bb.276:
	v_cmp_ne_u32_e32 vcc_lo, 0, v245
	v_cndmask_b32_e32 v245, 14, v245, vcc_lo
; %bb.277:
	s_and_not1_saveexec_b32 s3, s2
	s_cbranch_execz .LBB114_283
; %bb.278:
	v_cmp_gt_f64_e32 vcc_lo, 0, v[232:233]
	v_cmp_gt_f64_e64 s2, 0, v[234:235]
	v_xor_b32_e32 v212, 0x80000000, v233
	v_xor_b32_e32 v214, 0x80000000, v235
	s_delay_alu instid0(VALU_DEP_2) | instskip(NEXT) | instid1(VALU_DEP_2)
	v_cndmask_b32_e32 v213, v233, v212, vcc_lo
	v_cndmask_b32_e64 v215, v235, v214, s2
	v_cndmask_b32_e32 v212, v232, v232, vcc_lo
	v_cndmask_b32_e64 v214, v234, v234, s2
	s_mov_b32 s2, exec_lo
	s_delay_alu instid0(VALU_DEP_1)
	v_cmpx_ngt_f64_e32 v[212:213], v[214:215]
	s_xor_b32 s2, exec_lo, s2
	s_cbranch_execz .LBB114_280
; %bb.279:
	v_div_scale_f64 v[212:213], null, v[234:235], v[234:235], v[232:233]
	v_div_scale_f64 v[218:219], vcc_lo, v[232:233], v[234:235], v[232:233]
	s_delay_alu instid0(VALU_DEP_2) | instskip(SKIP_2) | instid1(VALU_DEP_1)
	v_rcp_f64_e32 v[214:215], v[212:213]
	s_waitcnt_depctr 0xfff
	v_fma_f64 v[216:217], -v[212:213], v[214:215], 1.0
	v_fma_f64 v[214:215], v[214:215], v[216:217], v[214:215]
	s_delay_alu instid0(VALU_DEP_1) | instskip(NEXT) | instid1(VALU_DEP_1)
	v_fma_f64 v[216:217], -v[212:213], v[214:215], 1.0
	v_fma_f64 v[214:215], v[214:215], v[216:217], v[214:215]
	s_delay_alu instid0(VALU_DEP_1) | instskip(NEXT) | instid1(VALU_DEP_1)
	v_mul_f64 v[216:217], v[218:219], v[214:215]
	v_fma_f64 v[212:213], -v[212:213], v[216:217], v[218:219]
	s_delay_alu instid0(VALU_DEP_1) | instskip(NEXT) | instid1(VALU_DEP_1)
	v_div_fmas_f64 v[212:213], v[212:213], v[214:215], v[216:217]
	v_div_fixup_f64 v[212:213], v[212:213], v[234:235], v[232:233]
	s_delay_alu instid0(VALU_DEP_1) | instskip(NEXT) | instid1(VALU_DEP_1)
	v_fma_f64 v[214:215], v[232:233], v[212:213], v[234:235]
	v_div_scale_f64 v[216:217], null, v[214:215], v[214:215], 1.0
	s_delay_alu instid0(VALU_DEP_1) | instskip(SKIP_2) | instid1(VALU_DEP_1)
	v_rcp_f64_e32 v[218:219], v[216:217]
	s_waitcnt_depctr 0xfff
	v_fma_f64 v[220:221], -v[216:217], v[218:219], 1.0
	v_fma_f64 v[218:219], v[218:219], v[220:221], v[218:219]
	s_delay_alu instid0(VALU_DEP_1) | instskip(NEXT) | instid1(VALU_DEP_1)
	v_fma_f64 v[220:221], -v[216:217], v[218:219], 1.0
	v_fma_f64 v[218:219], v[218:219], v[220:221], v[218:219]
	v_div_scale_f64 v[220:221], vcc_lo, 1.0, v[214:215], 1.0
	s_delay_alu instid0(VALU_DEP_1) | instskip(NEXT) | instid1(VALU_DEP_1)
	v_mul_f64 v[222:223], v[220:221], v[218:219]
	v_fma_f64 v[216:217], -v[216:217], v[222:223], v[220:221]
	s_delay_alu instid0(VALU_DEP_1) | instskip(NEXT) | instid1(VALU_DEP_1)
	v_div_fmas_f64 v[216:217], v[216:217], v[218:219], v[222:223]
	v_div_fixup_f64 v[234:235], v[216:217], v[214:215], 1.0
	s_delay_alu instid0(VALU_DEP_1)
	v_mul_f64 v[232:233], v[212:213], v[234:235]
	v_xor_b32_e32 v235, 0x80000000, v235
.LBB114_280:
	s_and_not1_saveexec_b32 s2, s2
	s_cbranch_execz .LBB114_282
; %bb.281:
	s_delay_alu instid0(VALU_DEP_1) | instskip(SKIP_1) | instid1(VALU_DEP_2)
	v_div_scale_f64 v[212:213], null, v[232:233], v[232:233], v[234:235]
	v_div_scale_f64 v[218:219], vcc_lo, v[234:235], v[232:233], v[234:235]
	v_rcp_f64_e32 v[214:215], v[212:213]
	s_waitcnt_depctr 0xfff
	v_fma_f64 v[216:217], -v[212:213], v[214:215], 1.0
	s_delay_alu instid0(VALU_DEP_1) | instskip(NEXT) | instid1(VALU_DEP_1)
	v_fma_f64 v[214:215], v[214:215], v[216:217], v[214:215]
	v_fma_f64 v[216:217], -v[212:213], v[214:215], 1.0
	s_delay_alu instid0(VALU_DEP_1) | instskip(NEXT) | instid1(VALU_DEP_1)
	v_fma_f64 v[214:215], v[214:215], v[216:217], v[214:215]
	v_mul_f64 v[216:217], v[218:219], v[214:215]
	s_delay_alu instid0(VALU_DEP_1) | instskip(NEXT) | instid1(VALU_DEP_1)
	v_fma_f64 v[212:213], -v[212:213], v[216:217], v[218:219]
	v_div_fmas_f64 v[212:213], v[212:213], v[214:215], v[216:217]
	s_delay_alu instid0(VALU_DEP_1) | instskip(NEXT) | instid1(VALU_DEP_1)
	v_div_fixup_f64 v[212:213], v[212:213], v[232:233], v[234:235]
	v_fma_f64 v[214:215], v[234:235], v[212:213], v[232:233]
	s_delay_alu instid0(VALU_DEP_1) | instskip(NEXT) | instid1(VALU_DEP_1)
	v_div_scale_f64 v[216:217], null, v[214:215], v[214:215], 1.0
	v_rcp_f64_e32 v[218:219], v[216:217]
	s_waitcnt_depctr 0xfff
	v_fma_f64 v[220:221], -v[216:217], v[218:219], 1.0
	s_delay_alu instid0(VALU_DEP_1) | instskip(NEXT) | instid1(VALU_DEP_1)
	v_fma_f64 v[218:219], v[218:219], v[220:221], v[218:219]
	v_fma_f64 v[220:221], -v[216:217], v[218:219], 1.0
	s_delay_alu instid0(VALU_DEP_1) | instskip(SKIP_1) | instid1(VALU_DEP_1)
	v_fma_f64 v[218:219], v[218:219], v[220:221], v[218:219]
	v_div_scale_f64 v[220:221], vcc_lo, 1.0, v[214:215], 1.0
	v_mul_f64 v[222:223], v[220:221], v[218:219]
	s_delay_alu instid0(VALU_DEP_1) | instskip(NEXT) | instid1(VALU_DEP_1)
	v_fma_f64 v[216:217], -v[216:217], v[222:223], v[220:221]
	v_div_fmas_f64 v[216:217], v[216:217], v[218:219], v[222:223]
	s_delay_alu instid0(VALU_DEP_1) | instskip(NEXT) | instid1(VALU_DEP_1)
	v_div_fixup_f64 v[232:233], v[216:217], v[214:215], 1.0
	v_mul_f64 v[234:235], v[212:213], -v[232:233]
.LBB114_282:
	s_or_b32 exec_lo, exec_lo, s2
.LBB114_283:
	s_delay_alu instid0(SALU_CYCLE_1) | instskip(NEXT) | instid1(SALU_CYCLE_1)
	s_or_b32 exec_lo, exec_lo, s3
	s_mov_b32 s2, exec_lo
	v_cmpx_ne_u32_e64 v248, v240
	s_xor_b32 s2, exec_lo, s2
	s_cbranch_execz .LBB114_289
; %bb.284:
	s_mov_b32 s3, exec_lo
	v_cmpx_eq_u32_e32 13, v248
	s_cbranch_execz .LBB114_288
; %bb.285:
	v_cmp_ne_u32_e32 vcc_lo, 13, v240
	s_xor_b32 s4, s5, -1
	s_delay_alu instid0(SALU_CYCLE_1) | instskip(NEXT) | instid1(SALU_CYCLE_1)
	s_and_b32 s6, s4, vcc_lo
	s_and_saveexec_b32 s4, s6
	s_cbranch_execz .LBB114_287
; %bb.286:
	scratch_load_b64 v[208:209], off, off   ; 8-byte Folded Reload
	v_ashrrev_i32_e32 v241, 31, v240
	s_delay_alu instid0(VALU_DEP_1) | instskip(SKIP_1) | instid1(VALU_DEP_1)
	v_lshlrev_b64 v[212:213], 2, v[240:241]
	s_waitcnt vmcnt(0)
	v_add_co_u32 v212, vcc_lo, v208, v212
	s_delay_alu instid0(VALU_DEP_2)
	v_add_co_ci_u32_e32 v213, vcc_lo, v209, v213, vcc_lo
	s_clause 0x1
	flat_load_b32 v214, v[212:213]
	flat_load_b32 v215, v[208:209] offset:52
	s_waitcnt vmcnt(1) lgkmcnt(1)
	flat_store_b32 v[208:209], v214 offset:52
	s_waitcnt vmcnt(0) lgkmcnt(1)
	flat_store_b32 v[212:213], v215
.LBB114_287:
	s_or_b32 exec_lo, exec_lo, s4
	v_mov_b32_e32 v248, v240
	v_mov_b32_e32 v236, v240
.LBB114_288:
	s_or_b32 exec_lo, exec_lo, s3
.LBB114_289:
	s_and_not1_saveexec_b32 s2, s2
	s_cbranch_execz .LBB114_291
; %bb.290:
	v_mov_b32_e32 v248, 13
	ds_store_2addr_b64 v242, v[172:173], v[174:175] offset0:28 offset1:29
	ds_store_2addr_b64 v242, v[168:169], v[170:171] offset0:30 offset1:31
	;; [unrolled: 1-line block ×44, first 2 shown]
.LBB114_291:
	s_or_b32 exec_lo, exec_lo, s2
	s_delay_alu instid0(SALU_CYCLE_1)
	s_mov_b32 s2, exec_lo
	s_waitcnt lgkmcnt(0)
	s_waitcnt_vscnt null, 0x0
	s_barrier
	buffer_gl0_inv
	v_cmpx_lt_i32_e32 13, v248
	s_cbranch_execz .LBB114_293
; %bb.292:
	v_mul_f64 v[212:213], v[234:235], v[178:179]
	v_mul_f64 v[178:179], v[232:233], v[178:179]
	s_delay_alu instid0(VALU_DEP_2) | instskip(NEXT) | instid1(VALU_DEP_2)
	v_fma_f64 v[240:241], v[232:233], v[176:177], -v[212:213]
	v_fma_f64 v[178:179], v[234:235], v[176:177], v[178:179]
	ds_load_2addr_b64 v[232:235], v242 offset0:28 offset1:29
	s_waitcnt lgkmcnt(0)
	v_mul_f64 v[176:177], v[234:235], v[178:179]
	v_mul_f64 v[212:213], v[232:233], v[178:179]
	s_delay_alu instid0(VALU_DEP_2) | instskip(NEXT) | instid1(VALU_DEP_2)
	v_fma_f64 v[176:177], v[232:233], v[240:241], -v[176:177]
	v_fma_f64 v[212:213], v[234:235], v[240:241], v[212:213]
	ds_load_2addr_b64 v[232:235], v242 offset0:30 offset1:31
	v_add_f64 v[172:173], v[172:173], -v[176:177]
	v_add_f64 v[174:175], v[174:175], -v[212:213]
	s_waitcnt lgkmcnt(0)
	v_mul_f64 v[176:177], v[234:235], v[178:179]
	v_mul_f64 v[212:213], v[232:233], v[178:179]
	s_delay_alu instid0(VALU_DEP_2) | instskip(NEXT) | instid1(VALU_DEP_2)
	v_fma_f64 v[176:177], v[232:233], v[240:241], -v[176:177]
	v_fma_f64 v[212:213], v[234:235], v[240:241], v[212:213]
	ds_load_2addr_b64 v[232:235], v242 offset0:32 offset1:33
	v_add_f64 v[168:169], v[168:169], -v[176:177]
	v_add_f64 v[170:171], v[170:171], -v[212:213]
	;; [unrolled: 9-line block ×43, first 2 shown]
	s_waitcnt lgkmcnt(0)
	v_mul_f64 v[176:177], v[234:235], v[178:179]
	v_mul_f64 v[212:213], v[232:233], v[178:179]
	s_delay_alu instid0(VALU_DEP_2) | instskip(NEXT) | instid1(VALU_DEP_2)
	v_fma_f64 v[176:177], v[232:233], v[240:241], -v[176:177]
	v_fma_f64 v[212:213], v[234:235], v[240:241], v[212:213]
	s_delay_alu instid0(VALU_DEP_2) | instskip(NEXT) | instid1(VALU_DEP_2)
	v_add_f64 v[0:1], v[0:1], -v[176:177]
	v_add_f64 v[2:3], v[2:3], -v[212:213]
	v_dual_mov_b32 v176, v240 :: v_dual_mov_b32 v177, v241
.LBB114_293:
	s_or_b32 exec_lo, exec_lo, s2
	v_lshl_add_u32 v212, v248, 4, v242
	s_barrier
	buffer_gl0_inv
	v_mov_b32_e32 v240, 14
	ds_store_2addr_b64 v212, v[172:173], v[174:175] offset1:1
	s_waitcnt lgkmcnt(0)
	s_barrier
	buffer_gl0_inv
	ds_load_2addr_b64 v[232:235], v242 offset0:28 offset1:29
	s_cmp_lt_i32 s12, 16
	s_cbranch_scc1 .LBB114_296
; %bb.294:
	v_add3_u32 v241, v246, 0, 0xf0
	v_mov_b32_e32 v240, 14
	s_mov_b32 s6, 15
	s_set_inst_prefetch_distance 0x1
	.p2align	6
.LBB114_295:                            ; =>This Inner Loop Header: Depth=1
	ds_load_2addr_b64 v[249:252], v241 offset1:1
	s_waitcnt lgkmcnt(1)
	v_cmp_gt_f64_e32 vcc_lo, 0, v[232:233]
	v_cmp_gt_f64_e64 s2, 0, v[234:235]
	v_xor_b32_e32 v213, 0x80000000, v233
	v_xor_b32_e32 v215, 0x80000000, v235
	v_add_nc_u32_e32 v241, 16, v241
	s_waitcnt lgkmcnt(0)
	v_cmp_gt_f64_e64 s3, 0, v[249:250]
	v_cmp_gt_f64_e64 s4, 0, v[251:252]
	v_xor_b32_e32 v219, 0x80000000, v250
	v_mov_b32_e32 v212, v249
	v_xor_b32_e32 v220, 0x80000000, v252
	v_mov_b32_e32 v214, v251
	v_cndmask_b32_e32 v216, v233, v213, vcc_lo
	v_cndmask_b32_e64 v218, v235, v215, s2
	v_cndmask_b32_e32 v215, v232, v232, vcc_lo
	v_cndmask_b32_e64 v217, v234, v234, s2
	s_delay_alu instid0(VALU_DEP_1) | instskip(SKIP_2) | instid1(VALU_DEP_1)
	v_add_f64 v[216:217], v[215:216], v[217:218]
	v_cndmask_b32_e64 v213, v250, v219, s3
	v_cndmask_b32_e64 v215, v252, v220, s4
	v_add_f64 v[212:213], v[212:213], v[214:215]
	s_delay_alu instid0(VALU_DEP_1)
	v_cmp_lt_f64_e32 vcc_lo, v[216:217], v[212:213]
	v_cndmask_b32_e32 v235, v235, v252, vcc_lo
	v_dual_cndmask_b32 v233, v233, v250 :: v_dual_cndmask_b32 v232, v232, v249
	v_cndmask_b32_e32 v234, v234, v251, vcc_lo
	v_cndmask_b32_e64 v240, v240, s6, vcc_lo
	s_add_i32 s6, s6, 1
	s_delay_alu instid0(SALU_CYCLE_1)
	s_cmp_lg_u32 s12, s6
	s_cbranch_scc1 .LBB114_295
.LBB114_296:
	s_set_inst_prefetch_distance 0x2
	s_waitcnt lgkmcnt(0)
	v_cmp_eq_f64_e32 vcc_lo, 0, v[232:233]
	v_cmp_eq_f64_e64 s2, 0, v[234:235]
	s_delay_alu instid0(VALU_DEP_1) | instskip(NEXT) | instid1(SALU_CYCLE_1)
	s_and_b32 s2, vcc_lo, s2
	s_and_saveexec_b32 s3, s2
	s_delay_alu instid0(SALU_CYCLE_1)
	s_xor_b32 s2, exec_lo, s3
; %bb.297:
	v_cmp_ne_u32_e32 vcc_lo, 0, v245
	v_cndmask_b32_e32 v245, 15, v245, vcc_lo
; %bb.298:
	s_and_not1_saveexec_b32 s3, s2
	s_cbranch_execz .LBB114_304
; %bb.299:
	v_cmp_gt_f64_e32 vcc_lo, 0, v[232:233]
	v_cmp_gt_f64_e64 s2, 0, v[234:235]
	v_xor_b32_e32 v212, 0x80000000, v233
	v_xor_b32_e32 v214, 0x80000000, v235
	s_delay_alu instid0(VALU_DEP_2) | instskip(NEXT) | instid1(VALU_DEP_2)
	v_cndmask_b32_e32 v213, v233, v212, vcc_lo
	v_cndmask_b32_e64 v215, v235, v214, s2
	v_cndmask_b32_e32 v212, v232, v232, vcc_lo
	v_cndmask_b32_e64 v214, v234, v234, s2
	s_mov_b32 s2, exec_lo
	s_delay_alu instid0(VALU_DEP_1)
	v_cmpx_ngt_f64_e32 v[212:213], v[214:215]
	s_xor_b32 s2, exec_lo, s2
	s_cbranch_execz .LBB114_301
; %bb.300:
	v_div_scale_f64 v[212:213], null, v[234:235], v[234:235], v[232:233]
	v_div_scale_f64 v[218:219], vcc_lo, v[232:233], v[234:235], v[232:233]
	s_delay_alu instid0(VALU_DEP_2) | instskip(SKIP_2) | instid1(VALU_DEP_1)
	v_rcp_f64_e32 v[214:215], v[212:213]
	s_waitcnt_depctr 0xfff
	v_fma_f64 v[216:217], -v[212:213], v[214:215], 1.0
	v_fma_f64 v[214:215], v[214:215], v[216:217], v[214:215]
	s_delay_alu instid0(VALU_DEP_1) | instskip(NEXT) | instid1(VALU_DEP_1)
	v_fma_f64 v[216:217], -v[212:213], v[214:215], 1.0
	v_fma_f64 v[214:215], v[214:215], v[216:217], v[214:215]
	s_delay_alu instid0(VALU_DEP_1) | instskip(NEXT) | instid1(VALU_DEP_1)
	v_mul_f64 v[216:217], v[218:219], v[214:215]
	v_fma_f64 v[212:213], -v[212:213], v[216:217], v[218:219]
	s_delay_alu instid0(VALU_DEP_1) | instskip(NEXT) | instid1(VALU_DEP_1)
	v_div_fmas_f64 v[212:213], v[212:213], v[214:215], v[216:217]
	v_div_fixup_f64 v[212:213], v[212:213], v[234:235], v[232:233]
	s_delay_alu instid0(VALU_DEP_1) | instskip(NEXT) | instid1(VALU_DEP_1)
	v_fma_f64 v[214:215], v[232:233], v[212:213], v[234:235]
	v_div_scale_f64 v[216:217], null, v[214:215], v[214:215], 1.0
	s_delay_alu instid0(VALU_DEP_1) | instskip(SKIP_2) | instid1(VALU_DEP_1)
	v_rcp_f64_e32 v[218:219], v[216:217]
	s_waitcnt_depctr 0xfff
	v_fma_f64 v[220:221], -v[216:217], v[218:219], 1.0
	v_fma_f64 v[218:219], v[218:219], v[220:221], v[218:219]
	s_delay_alu instid0(VALU_DEP_1) | instskip(NEXT) | instid1(VALU_DEP_1)
	v_fma_f64 v[220:221], -v[216:217], v[218:219], 1.0
	v_fma_f64 v[218:219], v[218:219], v[220:221], v[218:219]
	v_div_scale_f64 v[220:221], vcc_lo, 1.0, v[214:215], 1.0
	s_delay_alu instid0(VALU_DEP_1) | instskip(NEXT) | instid1(VALU_DEP_1)
	v_mul_f64 v[222:223], v[220:221], v[218:219]
	v_fma_f64 v[216:217], -v[216:217], v[222:223], v[220:221]
	s_delay_alu instid0(VALU_DEP_1) | instskip(NEXT) | instid1(VALU_DEP_1)
	v_div_fmas_f64 v[216:217], v[216:217], v[218:219], v[222:223]
	v_div_fixup_f64 v[234:235], v[216:217], v[214:215], 1.0
	s_delay_alu instid0(VALU_DEP_1)
	v_mul_f64 v[232:233], v[212:213], v[234:235]
	v_xor_b32_e32 v235, 0x80000000, v235
.LBB114_301:
	s_and_not1_saveexec_b32 s2, s2
	s_cbranch_execz .LBB114_303
; %bb.302:
	s_delay_alu instid0(VALU_DEP_1) | instskip(SKIP_1) | instid1(VALU_DEP_2)
	v_div_scale_f64 v[212:213], null, v[232:233], v[232:233], v[234:235]
	v_div_scale_f64 v[218:219], vcc_lo, v[234:235], v[232:233], v[234:235]
	v_rcp_f64_e32 v[214:215], v[212:213]
	s_waitcnt_depctr 0xfff
	v_fma_f64 v[216:217], -v[212:213], v[214:215], 1.0
	s_delay_alu instid0(VALU_DEP_1) | instskip(NEXT) | instid1(VALU_DEP_1)
	v_fma_f64 v[214:215], v[214:215], v[216:217], v[214:215]
	v_fma_f64 v[216:217], -v[212:213], v[214:215], 1.0
	s_delay_alu instid0(VALU_DEP_1) | instskip(NEXT) | instid1(VALU_DEP_1)
	v_fma_f64 v[214:215], v[214:215], v[216:217], v[214:215]
	v_mul_f64 v[216:217], v[218:219], v[214:215]
	s_delay_alu instid0(VALU_DEP_1) | instskip(NEXT) | instid1(VALU_DEP_1)
	v_fma_f64 v[212:213], -v[212:213], v[216:217], v[218:219]
	v_div_fmas_f64 v[212:213], v[212:213], v[214:215], v[216:217]
	s_delay_alu instid0(VALU_DEP_1) | instskip(NEXT) | instid1(VALU_DEP_1)
	v_div_fixup_f64 v[212:213], v[212:213], v[232:233], v[234:235]
	v_fma_f64 v[214:215], v[234:235], v[212:213], v[232:233]
	s_delay_alu instid0(VALU_DEP_1) | instskip(NEXT) | instid1(VALU_DEP_1)
	v_div_scale_f64 v[216:217], null, v[214:215], v[214:215], 1.0
	v_rcp_f64_e32 v[218:219], v[216:217]
	s_waitcnt_depctr 0xfff
	v_fma_f64 v[220:221], -v[216:217], v[218:219], 1.0
	s_delay_alu instid0(VALU_DEP_1) | instskip(NEXT) | instid1(VALU_DEP_1)
	v_fma_f64 v[218:219], v[218:219], v[220:221], v[218:219]
	v_fma_f64 v[220:221], -v[216:217], v[218:219], 1.0
	s_delay_alu instid0(VALU_DEP_1) | instskip(SKIP_1) | instid1(VALU_DEP_1)
	v_fma_f64 v[218:219], v[218:219], v[220:221], v[218:219]
	v_div_scale_f64 v[220:221], vcc_lo, 1.0, v[214:215], 1.0
	v_mul_f64 v[222:223], v[220:221], v[218:219]
	s_delay_alu instid0(VALU_DEP_1) | instskip(NEXT) | instid1(VALU_DEP_1)
	v_fma_f64 v[216:217], -v[216:217], v[222:223], v[220:221]
	v_div_fmas_f64 v[216:217], v[216:217], v[218:219], v[222:223]
	s_delay_alu instid0(VALU_DEP_1) | instskip(NEXT) | instid1(VALU_DEP_1)
	v_div_fixup_f64 v[232:233], v[216:217], v[214:215], 1.0
	v_mul_f64 v[234:235], v[212:213], -v[232:233]
.LBB114_303:
	s_or_b32 exec_lo, exec_lo, s2
.LBB114_304:
	s_delay_alu instid0(SALU_CYCLE_1) | instskip(NEXT) | instid1(SALU_CYCLE_1)
	s_or_b32 exec_lo, exec_lo, s3
	s_mov_b32 s2, exec_lo
	v_cmpx_ne_u32_e64 v248, v240
	s_xor_b32 s2, exec_lo, s2
	s_cbranch_execz .LBB114_310
; %bb.305:
	s_mov_b32 s3, exec_lo
	v_cmpx_eq_u32_e32 14, v248
	s_cbranch_execz .LBB114_309
; %bb.306:
	v_cmp_ne_u32_e32 vcc_lo, 14, v240
	s_xor_b32 s4, s5, -1
	s_delay_alu instid0(SALU_CYCLE_1) | instskip(NEXT) | instid1(SALU_CYCLE_1)
	s_and_b32 s6, s4, vcc_lo
	s_and_saveexec_b32 s4, s6
	s_cbranch_execz .LBB114_308
; %bb.307:
	scratch_load_b64 v[208:209], off, off   ; 8-byte Folded Reload
	v_ashrrev_i32_e32 v241, 31, v240
	s_delay_alu instid0(VALU_DEP_1) | instskip(SKIP_1) | instid1(VALU_DEP_1)
	v_lshlrev_b64 v[212:213], 2, v[240:241]
	s_waitcnt vmcnt(0)
	v_add_co_u32 v212, vcc_lo, v208, v212
	s_delay_alu instid0(VALU_DEP_2)
	v_add_co_ci_u32_e32 v213, vcc_lo, v209, v213, vcc_lo
	s_clause 0x1
	flat_load_b32 v214, v[212:213]
	flat_load_b32 v215, v[208:209] offset:56
	s_waitcnt vmcnt(1) lgkmcnt(1)
	flat_store_b32 v[208:209], v214 offset:56
	s_waitcnt vmcnt(0) lgkmcnt(1)
	flat_store_b32 v[212:213], v215
.LBB114_308:
	s_or_b32 exec_lo, exec_lo, s4
	v_mov_b32_e32 v248, v240
	v_mov_b32_e32 v236, v240
.LBB114_309:
	s_or_b32 exec_lo, exec_lo, s3
.LBB114_310:
	s_and_not1_saveexec_b32 s2, s2
	s_cbranch_execz .LBB114_312
; %bb.311:
	v_mov_b32_e32 v248, 14
	ds_store_2addr_b64 v242, v[168:169], v[170:171] offset0:30 offset1:31
	ds_store_2addr_b64 v242, v[164:165], v[166:167] offset0:32 offset1:33
	;; [unrolled: 1-line block ×43, first 2 shown]
.LBB114_312:
	s_or_b32 exec_lo, exec_lo, s2
	s_delay_alu instid0(SALU_CYCLE_1)
	s_mov_b32 s2, exec_lo
	s_waitcnt lgkmcnt(0)
	s_waitcnt_vscnt null, 0x0
	s_barrier
	buffer_gl0_inv
	v_cmpx_lt_i32_e32 14, v248
	s_cbranch_execz .LBB114_314
; %bb.313:
	v_mul_f64 v[212:213], v[234:235], v[174:175]
	v_mul_f64 v[174:175], v[232:233], v[174:175]
	s_delay_alu instid0(VALU_DEP_2) | instskip(NEXT) | instid1(VALU_DEP_2)
	v_fma_f64 v[240:241], v[232:233], v[172:173], -v[212:213]
	v_fma_f64 v[174:175], v[234:235], v[172:173], v[174:175]
	ds_load_2addr_b64 v[232:235], v242 offset0:30 offset1:31
	s_waitcnt lgkmcnt(0)
	v_mul_f64 v[172:173], v[234:235], v[174:175]
	v_mul_f64 v[212:213], v[232:233], v[174:175]
	s_delay_alu instid0(VALU_DEP_2) | instskip(NEXT) | instid1(VALU_DEP_2)
	v_fma_f64 v[172:173], v[232:233], v[240:241], -v[172:173]
	v_fma_f64 v[212:213], v[234:235], v[240:241], v[212:213]
	ds_load_2addr_b64 v[232:235], v242 offset0:32 offset1:33
	v_add_f64 v[168:169], v[168:169], -v[172:173]
	v_add_f64 v[170:171], v[170:171], -v[212:213]
	s_waitcnt lgkmcnt(0)
	v_mul_f64 v[172:173], v[234:235], v[174:175]
	v_mul_f64 v[212:213], v[232:233], v[174:175]
	s_delay_alu instid0(VALU_DEP_2) | instskip(NEXT) | instid1(VALU_DEP_2)
	v_fma_f64 v[172:173], v[232:233], v[240:241], -v[172:173]
	v_fma_f64 v[212:213], v[234:235], v[240:241], v[212:213]
	ds_load_2addr_b64 v[232:235], v242 offset0:34 offset1:35
	v_add_f64 v[164:165], v[164:165], -v[172:173]
	v_add_f64 v[166:167], v[166:167], -v[212:213]
	;; [unrolled: 9-line block ×42, first 2 shown]
	s_waitcnt lgkmcnt(0)
	v_mul_f64 v[172:173], v[234:235], v[174:175]
	v_mul_f64 v[212:213], v[232:233], v[174:175]
	s_delay_alu instid0(VALU_DEP_2) | instskip(NEXT) | instid1(VALU_DEP_2)
	v_fma_f64 v[172:173], v[232:233], v[240:241], -v[172:173]
	v_fma_f64 v[212:213], v[234:235], v[240:241], v[212:213]
	s_delay_alu instid0(VALU_DEP_2) | instskip(NEXT) | instid1(VALU_DEP_2)
	v_add_f64 v[0:1], v[0:1], -v[172:173]
	v_add_f64 v[2:3], v[2:3], -v[212:213]
	v_dual_mov_b32 v172, v240 :: v_dual_mov_b32 v173, v241
.LBB114_314:
	s_or_b32 exec_lo, exec_lo, s2
	v_lshl_add_u32 v212, v248, 4, v242
	s_barrier
	buffer_gl0_inv
	v_mov_b32_e32 v240, 15
	ds_store_2addr_b64 v212, v[168:169], v[170:171] offset1:1
	s_waitcnt lgkmcnt(0)
	s_barrier
	buffer_gl0_inv
	ds_load_2addr_b64 v[232:235], v242 offset0:30 offset1:31
	s_cmp_lt_i32 s12, 17
	s_cbranch_scc1 .LBB114_317
; %bb.315:
	v_add3_u32 v241, v246, 0, 0x100
	v_mov_b32_e32 v240, 15
	s_mov_b32 s6, 16
	s_set_inst_prefetch_distance 0x1
	.p2align	6
.LBB114_316:                            ; =>This Inner Loop Header: Depth=1
	ds_load_2addr_b64 v[249:252], v241 offset1:1
	s_waitcnt lgkmcnt(1)
	v_cmp_gt_f64_e32 vcc_lo, 0, v[232:233]
	v_cmp_gt_f64_e64 s2, 0, v[234:235]
	v_xor_b32_e32 v213, 0x80000000, v233
	v_xor_b32_e32 v215, 0x80000000, v235
	v_add_nc_u32_e32 v241, 16, v241
	s_waitcnt lgkmcnt(0)
	v_cmp_gt_f64_e64 s3, 0, v[249:250]
	v_cmp_gt_f64_e64 s4, 0, v[251:252]
	v_xor_b32_e32 v219, 0x80000000, v250
	v_mov_b32_e32 v212, v249
	v_xor_b32_e32 v220, 0x80000000, v252
	v_mov_b32_e32 v214, v251
	v_cndmask_b32_e32 v216, v233, v213, vcc_lo
	v_cndmask_b32_e64 v218, v235, v215, s2
	v_cndmask_b32_e32 v215, v232, v232, vcc_lo
	v_cndmask_b32_e64 v217, v234, v234, s2
	s_delay_alu instid0(VALU_DEP_1) | instskip(SKIP_2) | instid1(VALU_DEP_1)
	v_add_f64 v[216:217], v[215:216], v[217:218]
	v_cndmask_b32_e64 v213, v250, v219, s3
	v_cndmask_b32_e64 v215, v252, v220, s4
	v_add_f64 v[212:213], v[212:213], v[214:215]
	s_delay_alu instid0(VALU_DEP_1)
	v_cmp_lt_f64_e32 vcc_lo, v[216:217], v[212:213]
	v_cndmask_b32_e32 v235, v235, v252, vcc_lo
	v_dual_cndmask_b32 v233, v233, v250 :: v_dual_cndmask_b32 v232, v232, v249
	v_cndmask_b32_e32 v234, v234, v251, vcc_lo
	v_cndmask_b32_e64 v240, v240, s6, vcc_lo
	s_add_i32 s6, s6, 1
	s_delay_alu instid0(SALU_CYCLE_1)
	s_cmp_lg_u32 s12, s6
	s_cbranch_scc1 .LBB114_316
.LBB114_317:
	s_set_inst_prefetch_distance 0x2
	s_waitcnt lgkmcnt(0)
	v_cmp_eq_f64_e32 vcc_lo, 0, v[232:233]
	v_cmp_eq_f64_e64 s2, 0, v[234:235]
	s_delay_alu instid0(VALU_DEP_1) | instskip(NEXT) | instid1(SALU_CYCLE_1)
	s_and_b32 s2, vcc_lo, s2
	s_and_saveexec_b32 s3, s2
	s_delay_alu instid0(SALU_CYCLE_1)
	s_xor_b32 s2, exec_lo, s3
; %bb.318:
	v_cmp_ne_u32_e32 vcc_lo, 0, v245
	v_cndmask_b32_e32 v245, 16, v245, vcc_lo
; %bb.319:
	s_and_not1_saveexec_b32 s3, s2
	s_cbranch_execz .LBB114_325
; %bb.320:
	v_cmp_gt_f64_e32 vcc_lo, 0, v[232:233]
	v_cmp_gt_f64_e64 s2, 0, v[234:235]
	v_xor_b32_e32 v212, 0x80000000, v233
	v_xor_b32_e32 v214, 0x80000000, v235
	s_delay_alu instid0(VALU_DEP_2) | instskip(NEXT) | instid1(VALU_DEP_2)
	v_cndmask_b32_e32 v213, v233, v212, vcc_lo
	v_cndmask_b32_e64 v215, v235, v214, s2
	v_cndmask_b32_e32 v212, v232, v232, vcc_lo
	v_cndmask_b32_e64 v214, v234, v234, s2
	s_mov_b32 s2, exec_lo
	s_delay_alu instid0(VALU_DEP_1)
	v_cmpx_ngt_f64_e32 v[212:213], v[214:215]
	s_xor_b32 s2, exec_lo, s2
	s_cbranch_execz .LBB114_322
; %bb.321:
	v_div_scale_f64 v[212:213], null, v[234:235], v[234:235], v[232:233]
	v_div_scale_f64 v[218:219], vcc_lo, v[232:233], v[234:235], v[232:233]
	s_delay_alu instid0(VALU_DEP_2) | instskip(SKIP_2) | instid1(VALU_DEP_1)
	v_rcp_f64_e32 v[214:215], v[212:213]
	s_waitcnt_depctr 0xfff
	v_fma_f64 v[216:217], -v[212:213], v[214:215], 1.0
	v_fma_f64 v[214:215], v[214:215], v[216:217], v[214:215]
	s_delay_alu instid0(VALU_DEP_1) | instskip(NEXT) | instid1(VALU_DEP_1)
	v_fma_f64 v[216:217], -v[212:213], v[214:215], 1.0
	v_fma_f64 v[214:215], v[214:215], v[216:217], v[214:215]
	s_delay_alu instid0(VALU_DEP_1) | instskip(NEXT) | instid1(VALU_DEP_1)
	v_mul_f64 v[216:217], v[218:219], v[214:215]
	v_fma_f64 v[212:213], -v[212:213], v[216:217], v[218:219]
	s_delay_alu instid0(VALU_DEP_1) | instskip(NEXT) | instid1(VALU_DEP_1)
	v_div_fmas_f64 v[212:213], v[212:213], v[214:215], v[216:217]
	v_div_fixup_f64 v[212:213], v[212:213], v[234:235], v[232:233]
	s_delay_alu instid0(VALU_DEP_1) | instskip(NEXT) | instid1(VALU_DEP_1)
	v_fma_f64 v[214:215], v[232:233], v[212:213], v[234:235]
	v_div_scale_f64 v[216:217], null, v[214:215], v[214:215], 1.0
	s_delay_alu instid0(VALU_DEP_1) | instskip(SKIP_2) | instid1(VALU_DEP_1)
	v_rcp_f64_e32 v[218:219], v[216:217]
	s_waitcnt_depctr 0xfff
	v_fma_f64 v[220:221], -v[216:217], v[218:219], 1.0
	v_fma_f64 v[218:219], v[218:219], v[220:221], v[218:219]
	s_delay_alu instid0(VALU_DEP_1) | instskip(NEXT) | instid1(VALU_DEP_1)
	v_fma_f64 v[220:221], -v[216:217], v[218:219], 1.0
	v_fma_f64 v[218:219], v[218:219], v[220:221], v[218:219]
	v_div_scale_f64 v[220:221], vcc_lo, 1.0, v[214:215], 1.0
	s_delay_alu instid0(VALU_DEP_1) | instskip(NEXT) | instid1(VALU_DEP_1)
	v_mul_f64 v[222:223], v[220:221], v[218:219]
	v_fma_f64 v[216:217], -v[216:217], v[222:223], v[220:221]
	s_delay_alu instid0(VALU_DEP_1) | instskip(NEXT) | instid1(VALU_DEP_1)
	v_div_fmas_f64 v[216:217], v[216:217], v[218:219], v[222:223]
	v_div_fixup_f64 v[234:235], v[216:217], v[214:215], 1.0
	s_delay_alu instid0(VALU_DEP_1)
	v_mul_f64 v[232:233], v[212:213], v[234:235]
	v_xor_b32_e32 v235, 0x80000000, v235
.LBB114_322:
	s_and_not1_saveexec_b32 s2, s2
	s_cbranch_execz .LBB114_324
; %bb.323:
	s_delay_alu instid0(VALU_DEP_1) | instskip(SKIP_1) | instid1(VALU_DEP_2)
	v_div_scale_f64 v[212:213], null, v[232:233], v[232:233], v[234:235]
	v_div_scale_f64 v[218:219], vcc_lo, v[234:235], v[232:233], v[234:235]
	v_rcp_f64_e32 v[214:215], v[212:213]
	s_waitcnt_depctr 0xfff
	v_fma_f64 v[216:217], -v[212:213], v[214:215], 1.0
	s_delay_alu instid0(VALU_DEP_1) | instskip(NEXT) | instid1(VALU_DEP_1)
	v_fma_f64 v[214:215], v[214:215], v[216:217], v[214:215]
	v_fma_f64 v[216:217], -v[212:213], v[214:215], 1.0
	s_delay_alu instid0(VALU_DEP_1) | instskip(NEXT) | instid1(VALU_DEP_1)
	v_fma_f64 v[214:215], v[214:215], v[216:217], v[214:215]
	v_mul_f64 v[216:217], v[218:219], v[214:215]
	s_delay_alu instid0(VALU_DEP_1) | instskip(NEXT) | instid1(VALU_DEP_1)
	v_fma_f64 v[212:213], -v[212:213], v[216:217], v[218:219]
	v_div_fmas_f64 v[212:213], v[212:213], v[214:215], v[216:217]
	s_delay_alu instid0(VALU_DEP_1) | instskip(NEXT) | instid1(VALU_DEP_1)
	v_div_fixup_f64 v[212:213], v[212:213], v[232:233], v[234:235]
	v_fma_f64 v[214:215], v[234:235], v[212:213], v[232:233]
	s_delay_alu instid0(VALU_DEP_1) | instskip(NEXT) | instid1(VALU_DEP_1)
	v_div_scale_f64 v[216:217], null, v[214:215], v[214:215], 1.0
	v_rcp_f64_e32 v[218:219], v[216:217]
	s_waitcnt_depctr 0xfff
	v_fma_f64 v[220:221], -v[216:217], v[218:219], 1.0
	s_delay_alu instid0(VALU_DEP_1) | instskip(NEXT) | instid1(VALU_DEP_1)
	v_fma_f64 v[218:219], v[218:219], v[220:221], v[218:219]
	v_fma_f64 v[220:221], -v[216:217], v[218:219], 1.0
	s_delay_alu instid0(VALU_DEP_1) | instskip(SKIP_1) | instid1(VALU_DEP_1)
	v_fma_f64 v[218:219], v[218:219], v[220:221], v[218:219]
	v_div_scale_f64 v[220:221], vcc_lo, 1.0, v[214:215], 1.0
	v_mul_f64 v[222:223], v[220:221], v[218:219]
	s_delay_alu instid0(VALU_DEP_1) | instskip(NEXT) | instid1(VALU_DEP_1)
	v_fma_f64 v[216:217], -v[216:217], v[222:223], v[220:221]
	v_div_fmas_f64 v[216:217], v[216:217], v[218:219], v[222:223]
	s_delay_alu instid0(VALU_DEP_1) | instskip(NEXT) | instid1(VALU_DEP_1)
	v_div_fixup_f64 v[232:233], v[216:217], v[214:215], 1.0
	v_mul_f64 v[234:235], v[212:213], -v[232:233]
.LBB114_324:
	s_or_b32 exec_lo, exec_lo, s2
.LBB114_325:
	s_delay_alu instid0(SALU_CYCLE_1) | instskip(NEXT) | instid1(SALU_CYCLE_1)
	s_or_b32 exec_lo, exec_lo, s3
	s_mov_b32 s2, exec_lo
	v_cmpx_ne_u32_e64 v248, v240
	s_xor_b32 s2, exec_lo, s2
	s_cbranch_execz .LBB114_331
; %bb.326:
	s_mov_b32 s3, exec_lo
	v_cmpx_eq_u32_e32 15, v248
	s_cbranch_execz .LBB114_330
; %bb.327:
	v_cmp_ne_u32_e32 vcc_lo, 15, v240
	s_xor_b32 s4, s5, -1
	s_delay_alu instid0(SALU_CYCLE_1) | instskip(NEXT) | instid1(SALU_CYCLE_1)
	s_and_b32 s6, s4, vcc_lo
	s_and_saveexec_b32 s4, s6
	s_cbranch_execz .LBB114_329
; %bb.328:
	scratch_load_b64 v[208:209], off, off   ; 8-byte Folded Reload
	v_ashrrev_i32_e32 v241, 31, v240
	s_delay_alu instid0(VALU_DEP_1) | instskip(SKIP_1) | instid1(VALU_DEP_1)
	v_lshlrev_b64 v[212:213], 2, v[240:241]
	s_waitcnt vmcnt(0)
	v_add_co_u32 v212, vcc_lo, v208, v212
	s_delay_alu instid0(VALU_DEP_2)
	v_add_co_ci_u32_e32 v213, vcc_lo, v209, v213, vcc_lo
	s_clause 0x1
	flat_load_b32 v214, v[212:213]
	flat_load_b32 v215, v[208:209] offset:60
	s_waitcnt vmcnt(1) lgkmcnt(1)
	flat_store_b32 v[208:209], v214 offset:60
	s_waitcnt vmcnt(0) lgkmcnt(1)
	flat_store_b32 v[212:213], v215
.LBB114_329:
	s_or_b32 exec_lo, exec_lo, s4
	v_mov_b32_e32 v248, v240
	v_mov_b32_e32 v236, v240
.LBB114_330:
	s_or_b32 exec_lo, exec_lo, s3
.LBB114_331:
	s_and_not1_saveexec_b32 s2, s2
	s_cbranch_execz .LBB114_333
; %bb.332:
	v_mov_b32_e32 v248, 15
	ds_store_2addr_b64 v242, v[164:165], v[166:167] offset0:32 offset1:33
	ds_store_2addr_b64 v242, v[160:161], v[162:163] offset0:34 offset1:35
	;; [unrolled: 1-line block ×42, first 2 shown]
.LBB114_333:
	s_or_b32 exec_lo, exec_lo, s2
	s_delay_alu instid0(SALU_CYCLE_1)
	s_mov_b32 s2, exec_lo
	s_waitcnt lgkmcnt(0)
	s_waitcnt_vscnt null, 0x0
	s_barrier
	buffer_gl0_inv
	v_cmpx_lt_i32_e32 15, v248
	s_cbranch_execz .LBB114_335
; %bb.334:
	v_mul_f64 v[212:213], v[234:235], v[170:171]
	v_mul_f64 v[170:171], v[232:233], v[170:171]
	s_delay_alu instid0(VALU_DEP_2) | instskip(NEXT) | instid1(VALU_DEP_2)
	v_fma_f64 v[240:241], v[232:233], v[168:169], -v[212:213]
	v_fma_f64 v[170:171], v[234:235], v[168:169], v[170:171]
	ds_load_2addr_b64 v[232:235], v242 offset0:32 offset1:33
	s_waitcnt lgkmcnt(0)
	v_mul_f64 v[168:169], v[234:235], v[170:171]
	v_mul_f64 v[212:213], v[232:233], v[170:171]
	s_delay_alu instid0(VALU_DEP_2) | instskip(NEXT) | instid1(VALU_DEP_2)
	v_fma_f64 v[168:169], v[232:233], v[240:241], -v[168:169]
	v_fma_f64 v[212:213], v[234:235], v[240:241], v[212:213]
	ds_load_2addr_b64 v[232:235], v242 offset0:34 offset1:35
	v_add_f64 v[164:165], v[164:165], -v[168:169]
	v_add_f64 v[166:167], v[166:167], -v[212:213]
	s_waitcnt lgkmcnt(0)
	v_mul_f64 v[168:169], v[234:235], v[170:171]
	v_mul_f64 v[212:213], v[232:233], v[170:171]
	s_delay_alu instid0(VALU_DEP_2) | instskip(NEXT) | instid1(VALU_DEP_2)
	v_fma_f64 v[168:169], v[232:233], v[240:241], -v[168:169]
	v_fma_f64 v[212:213], v[234:235], v[240:241], v[212:213]
	ds_load_2addr_b64 v[232:235], v242 offset0:36 offset1:37
	v_add_f64 v[160:161], v[160:161], -v[168:169]
	v_add_f64 v[162:163], v[162:163], -v[212:213]
	;; [unrolled: 9-line block ×41, first 2 shown]
	s_waitcnt lgkmcnt(0)
	v_mul_f64 v[168:169], v[234:235], v[170:171]
	v_mul_f64 v[212:213], v[232:233], v[170:171]
	s_delay_alu instid0(VALU_DEP_2) | instskip(NEXT) | instid1(VALU_DEP_2)
	v_fma_f64 v[168:169], v[232:233], v[240:241], -v[168:169]
	v_fma_f64 v[212:213], v[234:235], v[240:241], v[212:213]
	s_delay_alu instid0(VALU_DEP_2) | instskip(NEXT) | instid1(VALU_DEP_2)
	v_add_f64 v[0:1], v[0:1], -v[168:169]
	v_add_f64 v[2:3], v[2:3], -v[212:213]
	v_dual_mov_b32 v168, v240 :: v_dual_mov_b32 v169, v241
.LBB114_335:
	s_or_b32 exec_lo, exec_lo, s2
	v_lshl_add_u32 v212, v248, 4, v242
	s_barrier
	buffer_gl0_inv
	v_mov_b32_e32 v240, 16
	ds_store_2addr_b64 v212, v[164:165], v[166:167] offset1:1
	s_waitcnt lgkmcnt(0)
	s_barrier
	buffer_gl0_inv
	ds_load_2addr_b64 v[232:235], v242 offset0:32 offset1:33
	s_cmp_lt_i32 s12, 18
	s_cbranch_scc1 .LBB114_338
; %bb.336:
	v_add3_u32 v241, v246, 0, 0x110
	v_mov_b32_e32 v240, 16
	s_mov_b32 s6, 17
	s_set_inst_prefetch_distance 0x1
	.p2align	6
.LBB114_337:                            ; =>This Inner Loop Header: Depth=1
	ds_load_2addr_b64 v[249:252], v241 offset1:1
	s_waitcnt lgkmcnt(1)
	v_cmp_gt_f64_e32 vcc_lo, 0, v[232:233]
	v_cmp_gt_f64_e64 s2, 0, v[234:235]
	v_xor_b32_e32 v213, 0x80000000, v233
	v_xor_b32_e32 v215, 0x80000000, v235
	v_add_nc_u32_e32 v241, 16, v241
	s_waitcnt lgkmcnt(0)
	v_cmp_gt_f64_e64 s3, 0, v[249:250]
	v_cmp_gt_f64_e64 s4, 0, v[251:252]
	v_xor_b32_e32 v219, 0x80000000, v250
	v_mov_b32_e32 v212, v249
	v_xor_b32_e32 v220, 0x80000000, v252
	v_mov_b32_e32 v214, v251
	v_cndmask_b32_e32 v216, v233, v213, vcc_lo
	v_cndmask_b32_e64 v218, v235, v215, s2
	v_cndmask_b32_e32 v215, v232, v232, vcc_lo
	v_cndmask_b32_e64 v217, v234, v234, s2
	s_delay_alu instid0(VALU_DEP_1) | instskip(SKIP_2) | instid1(VALU_DEP_1)
	v_add_f64 v[216:217], v[215:216], v[217:218]
	v_cndmask_b32_e64 v213, v250, v219, s3
	v_cndmask_b32_e64 v215, v252, v220, s4
	v_add_f64 v[212:213], v[212:213], v[214:215]
	s_delay_alu instid0(VALU_DEP_1)
	v_cmp_lt_f64_e32 vcc_lo, v[216:217], v[212:213]
	v_cndmask_b32_e32 v235, v235, v252, vcc_lo
	v_dual_cndmask_b32 v233, v233, v250 :: v_dual_cndmask_b32 v232, v232, v249
	v_cndmask_b32_e32 v234, v234, v251, vcc_lo
	v_cndmask_b32_e64 v240, v240, s6, vcc_lo
	s_add_i32 s6, s6, 1
	s_delay_alu instid0(SALU_CYCLE_1)
	s_cmp_lg_u32 s12, s6
	s_cbranch_scc1 .LBB114_337
.LBB114_338:
	s_set_inst_prefetch_distance 0x2
	s_waitcnt lgkmcnt(0)
	v_cmp_eq_f64_e32 vcc_lo, 0, v[232:233]
	v_cmp_eq_f64_e64 s2, 0, v[234:235]
	s_delay_alu instid0(VALU_DEP_1) | instskip(NEXT) | instid1(SALU_CYCLE_1)
	s_and_b32 s2, vcc_lo, s2
	s_and_saveexec_b32 s3, s2
	s_delay_alu instid0(SALU_CYCLE_1)
	s_xor_b32 s2, exec_lo, s3
; %bb.339:
	v_cmp_ne_u32_e32 vcc_lo, 0, v245
	v_cndmask_b32_e32 v245, 17, v245, vcc_lo
; %bb.340:
	s_and_not1_saveexec_b32 s3, s2
	s_cbranch_execz .LBB114_346
; %bb.341:
	v_cmp_gt_f64_e32 vcc_lo, 0, v[232:233]
	v_cmp_gt_f64_e64 s2, 0, v[234:235]
	v_xor_b32_e32 v212, 0x80000000, v233
	v_xor_b32_e32 v214, 0x80000000, v235
	s_delay_alu instid0(VALU_DEP_2) | instskip(NEXT) | instid1(VALU_DEP_2)
	v_cndmask_b32_e32 v213, v233, v212, vcc_lo
	v_cndmask_b32_e64 v215, v235, v214, s2
	v_cndmask_b32_e32 v212, v232, v232, vcc_lo
	v_cndmask_b32_e64 v214, v234, v234, s2
	s_mov_b32 s2, exec_lo
	s_delay_alu instid0(VALU_DEP_1)
	v_cmpx_ngt_f64_e32 v[212:213], v[214:215]
	s_xor_b32 s2, exec_lo, s2
	s_cbranch_execz .LBB114_343
; %bb.342:
	v_div_scale_f64 v[212:213], null, v[234:235], v[234:235], v[232:233]
	v_div_scale_f64 v[218:219], vcc_lo, v[232:233], v[234:235], v[232:233]
	s_delay_alu instid0(VALU_DEP_2) | instskip(SKIP_2) | instid1(VALU_DEP_1)
	v_rcp_f64_e32 v[214:215], v[212:213]
	s_waitcnt_depctr 0xfff
	v_fma_f64 v[216:217], -v[212:213], v[214:215], 1.0
	v_fma_f64 v[214:215], v[214:215], v[216:217], v[214:215]
	s_delay_alu instid0(VALU_DEP_1) | instskip(NEXT) | instid1(VALU_DEP_1)
	v_fma_f64 v[216:217], -v[212:213], v[214:215], 1.0
	v_fma_f64 v[214:215], v[214:215], v[216:217], v[214:215]
	s_delay_alu instid0(VALU_DEP_1) | instskip(NEXT) | instid1(VALU_DEP_1)
	v_mul_f64 v[216:217], v[218:219], v[214:215]
	v_fma_f64 v[212:213], -v[212:213], v[216:217], v[218:219]
	s_delay_alu instid0(VALU_DEP_1) | instskip(NEXT) | instid1(VALU_DEP_1)
	v_div_fmas_f64 v[212:213], v[212:213], v[214:215], v[216:217]
	v_div_fixup_f64 v[212:213], v[212:213], v[234:235], v[232:233]
	s_delay_alu instid0(VALU_DEP_1) | instskip(NEXT) | instid1(VALU_DEP_1)
	v_fma_f64 v[214:215], v[232:233], v[212:213], v[234:235]
	v_div_scale_f64 v[216:217], null, v[214:215], v[214:215], 1.0
	s_delay_alu instid0(VALU_DEP_1) | instskip(SKIP_2) | instid1(VALU_DEP_1)
	v_rcp_f64_e32 v[218:219], v[216:217]
	s_waitcnt_depctr 0xfff
	v_fma_f64 v[220:221], -v[216:217], v[218:219], 1.0
	v_fma_f64 v[218:219], v[218:219], v[220:221], v[218:219]
	s_delay_alu instid0(VALU_DEP_1) | instskip(NEXT) | instid1(VALU_DEP_1)
	v_fma_f64 v[220:221], -v[216:217], v[218:219], 1.0
	v_fma_f64 v[218:219], v[218:219], v[220:221], v[218:219]
	v_div_scale_f64 v[220:221], vcc_lo, 1.0, v[214:215], 1.0
	s_delay_alu instid0(VALU_DEP_1) | instskip(NEXT) | instid1(VALU_DEP_1)
	v_mul_f64 v[222:223], v[220:221], v[218:219]
	v_fma_f64 v[216:217], -v[216:217], v[222:223], v[220:221]
	s_delay_alu instid0(VALU_DEP_1) | instskip(NEXT) | instid1(VALU_DEP_1)
	v_div_fmas_f64 v[216:217], v[216:217], v[218:219], v[222:223]
	v_div_fixup_f64 v[234:235], v[216:217], v[214:215], 1.0
	s_delay_alu instid0(VALU_DEP_1)
	v_mul_f64 v[232:233], v[212:213], v[234:235]
	v_xor_b32_e32 v235, 0x80000000, v235
.LBB114_343:
	s_and_not1_saveexec_b32 s2, s2
	s_cbranch_execz .LBB114_345
; %bb.344:
	s_delay_alu instid0(VALU_DEP_1) | instskip(SKIP_1) | instid1(VALU_DEP_2)
	v_div_scale_f64 v[212:213], null, v[232:233], v[232:233], v[234:235]
	v_div_scale_f64 v[218:219], vcc_lo, v[234:235], v[232:233], v[234:235]
	v_rcp_f64_e32 v[214:215], v[212:213]
	s_waitcnt_depctr 0xfff
	v_fma_f64 v[216:217], -v[212:213], v[214:215], 1.0
	s_delay_alu instid0(VALU_DEP_1) | instskip(NEXT) | instid1(VALU_DEP_1)
	v_fma_f64 v[214:215], v[214:215], v[216:217], v[214:215]
	v_fma_f64 v[216:217], -v[212:213], v[214:215], 1.0
	s_delay_alu instid0(VALU_DEP_1) | instskip(NEXT) | instid1(VALU_DEP_1)
	v_fma_f64 v[214:215], v[214:215], v[216:217], v[214:215]
	v_mul_f64 v[216:217], v[218:219], v[214:215]
	s_delay_alu instid0(VALU_DEP_1) | instskip(NEXT) | instid1(VALU_DEP_1)
	v_fma_f64 v[212:213], -v[212:213], v[216:217], v[218:219]
	v_div_fmas_f64 v[212:213], v[212:213], v[214:215], v[216:217]
	s_delay_alu instid0(VALU_DEP_1) | instskip(NEXT) | instid1(VALU_DEP_1)
	v_div_fixup_f64 v[212:213], v[212:213], v[232:233], v[234:235]
	v_fma_f64 v[214:215], v[234:235], v[212:213], v[232:233]
	s_delay_alu instid0(VALU_DEP_1) | instskip(NEXT) | instid1(VALU_DEP_1)
	v_div_scale_f64 v[216:217], null, v[214:215], v[214:215], 1.0
	v_rcp_f64_e32 v[218:219], v[216:217]
	s_waitcnt_depctr 0xfff
	v_fma_f64 v[220:221], -v[216:217], v[218:219], 1.0
	s_delay_alu instid0(VALU_DEP_1) | instskip(NEXT) | instid1(VALU_DEP_1)
	v_fma_f64 v[218:219], v[218:219], v[220:221], v[218:219]
	v_fma_f64 v[220:221], -v[216:217], v[218:219], 1.0
	s_delay_alu instid0(VALU_DEP_1) | instskip(SKIP_1) | instid1(VALU_DEP_1)
	v_fma_f64 v[218:219], v[218:219], v[220:221], v[218:219]
	v_div_scale_f64 v[220:221], vcc_lo, 1.0, v[214:215], 1.0
	v_mul_f64 v[222:223], v[220:221], v[218:219]
	s_delay_alu instid0(VALU_DEP_1) | instskip(NEXT) | instid1(VALU_DEP_1)
	v_fma_f64 v[216:217], -v[216:217], v[222:223], v[220:221]
	v_div_fmas_f64 v[216:217], v[216:217], v[218:219], v[222:223]
	s_delay_alu instid0(VALU_DEP_1) | instskip(NEXT) | instid1(VALU_DEP_1)
	v_div_fixup_f64 v[232:233], v[216:217], v[214:215], 1.0
	v_mul_f64 v[234:235], v[212:213], -v[232:233]
.LBB114_345:
	s_or_b32 exec_lo, exec_lo, s2
.LBB114_346:
	s_delay_alu instid0(SALU_CYCLE_1) | instskip(NEXT) | instid1(SALU_CYCLE_1)
	s_or_b32 exec_lo, exec_lo, s3
	s_mov_b32 s2, exec_lo
	v_cmpx_ne_u32_e64 v248, v240
	s_xor_b32 s2, exec_lo, s2
	s_cbranch_execz .LBB114_352
; %bb.347:
	s_mov_b32 s3, exec_lo
	v_cmpx_eq_u32_e32 16, v248
	s_cbranch_execz .LBB114_351
; %bb.348:
	v_cmp_ne_u32_e32 vcc_lo, 16, v240
	s_xor_b32 s4, s5, -1
	s_delay_alu instid0(SALU_CYCLE_1) | instskip(NEXT) | instid1(SALU_CYCLE_1)
	s_and_b32 s6, s4, vcc_lo
	s_and_saveexec_b32 s4, s6
	s_cbranch_execz .LBB114_350
; %bb.349:
	scratch_load_b64 v[208:209], off, off   ; 8-byte Folded Reload
	v_ashrrev_i32_e32 v241, 31, v240
	s_delay_alu instid0(VALU_DEP_1) | instskip(SKIP_1) | instid1(VALU_DEP_1)
	v_lshlrev_b64 v[212:213], 2, v[240:241]
	s_waitcnt vmcnt(0)
	v_add_co_u32 v212, vcc_lo, v208, v212
	s_delay_alu instid0(VALU_DEP_2)
	v_add_co_ci_u32_e32 v213, vcc_lo, v209, v213, vcc_lo
	s_clause 0x1
	flat_load_b32 v214, v[212:213]
	flat_load_b32 v215, v[208:209] offset:64
	s_waitcnt vmcnt(1) lgkmcnt(1)
	flat_store_b32 v[208:209], v214 offset:64
	s_waitcnt vmcnt(0) lgkmcnt(1)
	flat_store_b32 v[212:213], v215
.LBB114_350:
	s_or_b32 exec_lo, exec_lo, s4
	v_mov_b32_e32 v248, v240
	v_mov_b32_e32 v236, v240
.LBB114_351:
	s_or_b32 exec_lo, exec_lo, s3
.LBB114_352:
	s_and_not1_saveexec_b32 s2, s2
	s_cbranch_execz .LBB114_354
; %bb.353:
	v_mov_b32_e32 v248, 16
	ds_store_2addr_b64 v242, v[160:161], v[162:163] offset0:34 offset1:35
	ds_store_2addr_b64 v242, v[156:157], v[158:159] offset0:36 offset1:37
	;; [unrolled: 1-line block ×41, first 2 shown]
.LBB114_354:
	s_or_b32 exec_lo, exec_lo, s2
	s_delay_alu instid0(SALU_CYCLE_1)
	s_mov_b32 s2, exec_lo
	s_waitcnt lgkmcnt(0)
	s_waitcnt_vscnt null, 0x0
	s_barrier
	buffer_gl0_inv
	v_cmpx_lt_i32_e32 16, v248
	s_cbranch_execz .LBB114_356
; %bb.355:
	v_mul_f64 v[212:213], v[234:235], v[166:167]
	v_mul_f64 v[166:167], v[232:233], v[166:167]
	s_delay_alu instid0(VALU_DEP_2) | instskip(NEXT) | instid1(VALU_DEP_2)
	v_fma_f64 v[240:241], v[232:233], v[164:165], -v[212:213]
	v_fma_f64 v[166:167], v[234:235], v[164:165], v[166:167]
	ds_load_2addr_b64 v[232:235], v242 offset0:34 offset1:35
	s_waitcnt lgkmcnt(0)
	v_mul_f64 v[164:165], v[234:235], v[166:167]
	v_mul_f64 v[212:213], v[232:233], v[166:167]
	s_delay_alu instid0(VALU_DEP_2) | instskip(NEXT) | instid1(VALU_DEP_2)
	v_fma_f64 v[164:165], v[232:233], v[240:241], -v[164:165]
	v_fma_f64 v[212:213], v[234:235], v[240:241], v[212:213]
	ds_load_2addr_b64 v[232:235], v242 offset0:36 offset1:37
	v_add_f64 v[160:161], v[160:161], -v[164:165]
	v_add_f64 v[162:163], v[162:163], -v[212:213]
	s_waitcnt lgkmcnt(0)
	v_mul_f64 v[164:165], v[234:235], v[166:167]
	v_mul_f64 v[212:213], v[232:233], v[166:167]
	s_delay_alu instid0(VALU_DEP_2) | instskip(NEXT) | instid1(VALU_DEP_2)
	v_fma_f64 v[164:165], v[232:233], v[240:241], -v[164:165]
	v_fma_f64 v[212:213], v[234:235], v[240:241], v[212:213]
	ds_load_2addr_b64 v[232:235], v242 offset0:38 offset1:39
	v_add_f64 v[156:157], v[156:157], -v[164:165]
	v_add_f64 v[158:159], v[158:159], -v[212:213]
	;; [unrolled: 9-line block ×40, first 2 shown]
	s_waitcnt lgkmcnt(0)
	v_mul_f64 v[164:165], v[234:235], v[166:167]
	v_mul_f64 v[212:213], v[232:233], v[166:167]
	s_delay_alu instid0(VALU_DEP_2) | instskip(NEXT) | instid1(VALU_DEP_2)
	v_fma_f64 v[164:165], v[232:233], v[240:241], -v[164:165]
	v_fma_f64 v[212:213], v[234:235], v[240:241], v[212:213]
	s_delay_alu instid0(VALU_DEP_2) | instskip(NEXT) | instid1(VALU_DEP_2)
	v_add_f64 v[0:1], v[0:1], -v[164:165]
	v_add_f64 v[2:3], v[2:3], -v[212:213]
	v_dual_mov_b32 v164, v240 :: v_dual_mov_b32 v165, v241
.LBB114_356:
	s_or_b32 exec_lo, exec_lo, s2
	v_lshl_add_u32 v212, v248, 4, v242
	s_barrier
	buffer_gl0_inv
	v_mov_b32_e32 v240, 17
	ds_store_2addr_b64 v212, v[160:161], v[162:163] offset1:1
	s_waitcnt lgkmcnt(0)
	s_barrier
	buffer_gl0_inv
	ds_load_2addr_b64 v[232:235], v242 offset0:34 offset1:35
	s_cmp_lt_i32 s12, 19
	s_cbranch_scc1 .LBB114_359
; %bb.357:
	v_add3_u32 v241, v246, 0, 0x120
	v_mov_b32_e32 v240, 17
	s_mov_b32 s6, 18
	s_set_inst_prefetch_distance 0x1
	.p2align	6
.LBB114_358:                            ; =>This Inner Loop Header: Depth=1
	ds_load_2addr_b64 v[249:252], v241 offset1:1
	s_waitcnt lgkmcnt(1)
	v_cmp_gt_f64_e32 vcc_lo, 0, v[232:233]
	v_cmp_gt_f64_e64 s2, 0, v[234:235]
	v_xor_b32_e32 v213, 0x80000000, v233
	v_xor_b32_e32 v217, 0x80000000, v235
	v_add_nc_u32_e32 v241, 16, v241
	s_waitcnt lgkmcnt(0)
	v_cmp_gt_f64_e64 s3, 0, v[249:250]
	v_cmp_gt_f64_e64 s4, 0, v[251:252]
	v_xor_b32_e32 v219, 0x80000000, v250
	v_mov_b32_e32 v212, v249
	v_xor_b32_e32 v220, 0x80000000, v252
	v_mov_b32_e32 v214, v251
	v_dual_cndmask_b32 v216, v233, v213 :: v_dual_cndmask_b32 v215, v232, v232
	v_cndmask_b32_e64 v218, v235, v217, s2
	v_cndmask_b32_e64 v217, v234, v234, s2
	s_delay_alu instid0(VALU_DEP_1) | instskip(SKIP_2) | instid1(VALU_DEP_1)
	v_add_f64 v[216:217], v[215:216], v[217:218]
	v_cndmask_b32_e64 v213, v250, v219, s3
	v_cndmask_b32_e64 v215, v252, v220, s4
	v_add_f64 v[212:213], v[212:213], v[214:215]
	s_delay_alu instid0(VALU_DEP_1)
	v_cmp_lt_f64_e32 vcc_lo, v[216:217], v[212:213]
	v_cndmask_b32_e32 v235, v235, v252, vcc_lo
	v_dual_cndmask_b32 v233, v233, v250 :: v_dual_cndmask_b32 v232, v232, v249
	v_cndmask_b32_e32 v234, v234, v251, vcc_lo
	v_cndmask_b32_e64 v240, v240, s6, vcc_lo
	s_add_i32 s6, s6, 1
	s_delay_alu instid0(SALU_CYCLE_1)
	s_cmp_lg_u32 s12, s6
	s_cbranch_scc1 .LBB114_358
.LBB114_359:
	s_set_inst_prefetch_distance 0x2
	s_waitcnt lgkmcnt(0)
	v_cmp_eq_f64_e32 vcc_lo, 0, v[232:233]
	v_cmp_eq_f64_e64 s2, 0, v[234:235]
	s_delay_alu instid0(VALU_DEP_1) | instskip(NEXT) | instid1(SALU_CYCLE_1)
	s_and_b32 s2, vcc_lo, s2
	s_and_saveexec_b32 s3, s2
	s_delay_alu instid0(SALU_CYCLE_1)
	s_xor_b32 s2, exec_lo, s3
; %bb.360:
	v_cmp_ne_u32_e32 vcc_lo, 0, v245
	v_cndmask_b32_e32 v245, 18, v245, vcc_lo
; %bb.361:
	s_and_not1_saveexec_b32 s3, s2
	s_cbranch_execz .LBB114_367
; %bb.362:
	v_cmp_gt_f64_e32 vcc_lo, 0, v[232:233]
	v_cmp_gt_f64_e64 s2, 0, v[234:235]
	v_xor_b32_e32 v212, 0x80000000, v233
	v_xor_b32_e32 v214, 0x80000000, v235
	s_delay_alu instid0(VALU_DEP_2) | instskip(NEXT) | instid1(VALU_DEP_2)
	v_cndmask_b32_e32 v213, v233, v212, vcc_lo
	v_cndmask_b32_e64 v215, v235, v214, s2
	v_cndmask_b32_e32 v212, v232, v232, vcc_lo
	v_cndmask_b32_e64 v214, v234, v234, s2
	s_mov_b32 s2, exec_lo
	s_delay_alu instid0(VALU_DEP_1)
	v_cmpx_ngt_f64_e32 v[212:213], v[214:215]
	s_xor_b32 s2, exec_lo, s2
	s_cbranch_execz .LBB114_364
; %bb.363:
	v_div_scale_f64 v[212:213], null, v[234:235], v[234:235], v[232:233]
	v_div_scale_f64 v[218:219], vcc_lo, v[232:233], v[234:235], v[232:233]
	s_delay_alu instid0(VALU_DEP_2) | instskip(SKIP_2) | instid1(VALU_DEP_1)
	v_rcp_f64_e32 v[214:215], v[212:213]
	s_waitcnt_depctr 0xfff
	v_fma_f64 v[216:217], -v[212:213], v[214:215], 1.0
	v_fma_f64 v[214:215], v[214:215], v[216:217], v[214:215]
	s_delay_alu instid0(VALU_DEP_1) | instskip(NEXT) | instid1(VALU_DEP_1)
	v_fma_f64 v[216:217], -v[212:213], v[214:215], 1.0
	v_fma_f64 v[214:215], v[214:215], v[216:217], v[214:215]
	s_delay_alu instid0(VALU_DEP_1) | instskip(NEXT) | instid1(VALU_DEP_1)
	v_mul_f64 v[216:217], v[218:219], v[214:215]
	v_fma_f64 v[212:213], -v[212:213], v[216:217], v[218:219]
	s_delay_alu instid0(VALU_DEP_1) | instskip(NEXT) | instid1(VALU_DEP_1)
	v_div_fmas_f64 v[212:213], v[212:213], v[214:215], v[216:217]
	v_div_fixup_f64 v[212:213], v[212:213], v[234:235], v[232:233]
	s_delay_alu instid0(VALU_DEP_1) | instskip(NEXT) | instid1(VALU_DEP_1)
	v_fma_f64 v[214:215], v[232:233], v[212:213], v[234:235]
	v_div_scale_f64 v[216:217], null, v[214:215], v[214:215], 1.0
	s_delay_alu instid0(VALU_DEP_1) | instskip(SKIP_2) | instid1(VALU_DEP_1)
	v_rcp_f64_e32 v[218:219], v[216:217]
	s_waitcnt_depctr 0xfff
	v_fma_f64 v[220:221], -v[216:217], v[218:219], 1.0
	v_fma_f64 v[218:219], v[218:219], v[220:221], v[218:219]
	s_delay_alu instid0(VALU_DEP_1) | instskip(NEXT) | instid1(VALU_DEP_1)
	v_fma_f64 v[220:221], -v[216:217], v[218:219], 1.0
	v_fma_f64 v[218:219], v[218:219], v[220:221], v[218:219]
	v_div_scale_f64 v[220:221], vcc_lo, 1.0, v[214:215], 1.0
	s_delay_alu instid0(VALU_DEP_1) | instskip(NEXT) | instid1(VALU_DEP_1)
	v_mul_f64 v[222:223], v[220:221], v[218:219]
	v_fma_f64 v[216:217], -v[216:217], v[222:223], v[220:221]
	s_delay_alu instid0(VALU_DEP_1) | instskip(NEXT) | instid1(VALU_DEP_1)
	v_div_fmas_f64 v[216:217], v[216:217], v[218:219], v[222:223]
	v_div_fixup_f64 v[234:235], v[216:217], v[214:215], 1.0
	s_delay_alu instid0(VALU_DEP_1)
	v_mul_f64 v[232:233], v[212:213], v[234:235]
	v_xor_b32_e32 v235, 0x80000000, v235
.LBB114_364:
	s_and_not1_saveexec_b32 s2, s2
	s_cbranch_execz .LBB114_366
; %bb.365:
	s_delay_alu instid0(VALU_DEP_1) | instskip(SKIP_1) | instid1(VALU_DEP_2)
	v_div_scale_f64 v[212:213], null, v[232:233], v[232:233], v[234:235]
	v_div_scale_f64 v[218:219], vcc_lo, v[234:235], v[232:233], v[234:235]
	v_rcp_f64_e32 v[214:215], v[212:213]
	s_waitcnt_depctr 0xfff
	v_fma_f64 v[216:217], -v[212:213], v[214:215], 1.0
	s_delay_alu instid0(VALU_DEP_1) | instskip(NEXT) | instid1(VALU_DEP_1)
	v_fma_f64 v[214:215], v[214:215], v[216:217], v[214:215]
	v_fma_f64 v[216:217], -v[212:213], v[214:215], 1.0
	s_delay_alu instid0(VALU_DEP_1) | instskip(NEXT) | instid1(VALU_DEP_1)
	v_fma_f64 v[214:215], v[214:215], v[216:217], v[214:215]
	v_mul_f64 v[216:217], v[218:219], v[214:215]
	s_delay_alu instid0(VALU_DEP_1) | instskip(NEXT) | instid1(VALU_DEP_1)
	v_fma_f64 v[212:213], -v[212:213], v[216:217], v[218:219]
	v_div_fmas_f64 v[212:213], v[212:213], v[214:215], v[216:217]
	s_delay_alu instid0(VALU_DEP_1) | instskip(NEXT) | instid1(VALU_DEP_1)
	v_div_fixup_f64 v[212:213], v[212:213], v[232:233], v[234:235]
	v_fma_f64 v[214:215], v[234:235], v[212:213], v[232:233]
	s_delay_alu instid0(VALU_DEP_1) | instskip(NEXT) | instid1(VALU_DEP_1)
	v_div_scale_f64 v[216:217], null, v[214:215], v[214:215], 1.0
	v_rcp_f64_e32 v[218:219], v[216:217]
	s_waitcnt_depctr 0xfff
	v_fma_f64 v[220:221], -v[216:217], v[218:219], 1.0
	s_delay_alu instid0(VALU_DEP_1) | instskip(NEXT) | instid1(VALU_DEP_1)
	v_fma_f64 v[218:219], v[218:219], v[220:221], v[218:219]
	v_fma_f64 v[220:221], -v[216:217], v[218:219], 1.0
	s_delay_alu instid0(VALU_DEP_1) | instskip(SKIP_1) | instid1(VALU_DEP_1)
	v_fma_f64 v[218:219], v[218:219], v[220:221], v[218:219]
	v_div_scale_f64 v[220:221], vcc_lo, 1.0, v[214:215], 1.0
	v_mul_f64 v[222:223], v[220:221], v[218:219]
	s_delay_alu instid0(VALU_DEP_1) | instskip(NEXT) | instid1(VALU_DEP_1)
	v_fma_f64 v[216:217], -v[216:217], v[222:223], v[220:221]
	v_div_fmas_f64 v[216:217], v[216:217], v[218:219], v[222:223]
	s_delay_alu instid0(VALU_DEP_1) | instskip(NEXT) | instid1(VALU_DEP_1)
	v_div_fixup_f64 v[232:233], v[216:217], v[214:215], 1.0
	v_mul_f64 v[234:235], v[212:213], -v[232:233]
.LBB114_366:
	s_or_b32 exec_lo, exec_lo, s2
.LBB114_367:
	s_delay_alu instid0(SALU_CYCLE_1) | instskip(NEXT) | instid1(SALU_CYCLE_1)
	s_or_b32 exec_lo, exec_lo, s3
	s_mov_b32 s2, exec_lo
	v_cmpx_ne_u32_e64 v248, v240
	s_xor_b32 s2, exec_lo, s2
	s_cbranch_execz .LBB114_373
; %bb.368:
	s_mov_b32 s3, exec_lo
	v_cmpx_eq_u32_e32 17, v248
	s_cbranch_execz .LBB114_372
; %bb.369:
	v_cmp_ne_u32_e32 vcc_lo, 17, v240
	s_xor_b32 s4, s5, -1
	s_delay_alu instid0(SALU_CYCLE_1) | instskip(NEXT) | instid1(SALU_CYCLE_1)
	s_and_b32 s6, s4, vcc_lo
	s_and_saveexec_b32 s4, s6
	s_cbranch_execz .LBB114_371
; %bb.370:
	scratch_load_b64 v[208:209], off, off   ; 8-byte Folded Reload
	v_ashrrev_i32_e32 v241, 31, v240
	s_delay_alu instid0(VALU_DEP_1) | instskip(SKIP_1) | instid1(VALU_DEP_1)
	v_lshlrev_b64 v[212:213], 2, v[240:241]
	s_waitcnt vmcnt(0)
	v_add_co_u32 v212, vcc_lo, v208, v212
	s_delay_alu instid0(VALU_DEP_2)
	v_add_co_ci_u32_e32 v213, vcc_lo, v209, v213, vcc_lo
	s_clause 0x1
	flat_load_b32 v214, v[212:213]
	flat_load_b32 v215, v[208:209] offset:68
	s_waitcnt vmcnt(1) lgkmcnt(1)
	flat_store_b32 v[208:209], v214 offset:68
	s_waitcnt vmcnt(0) lgkmcnt(1)
	flat_store_b32 v[212:213], v215
.LBB114_371:
	s_or_b32 exec_lo, exec_lo, s4
	v_mov_b32_e32 v248, v240
	v_mov_b32_e32 v236, v240
.LBB114_372:
	s_or_b32 exec_lo, exec_lo, s3
.LBB114_373:
	s_and_not1_saveexec_b32 s2, s2
	s_cbranch_execz .LBB114_375
; %bb.374:
	v_mov_b32_e32 v248, 17
	ds_store_2addr_b64 v242, v[156:157], v[158:159] offset0:36 offset1:37
	ds_store_2addr_b64 v242, v[152:153], v[154:155] offset0:38 offset1:39
	;; [unrolled: 1-line block ×40, first 2 shown]
.LBB114_375:
	s_or_b32 exec_lo, exec_lo, s2
	s_delay_alu instid0(SALU_CYCLE_1)
	s_mov_b32 s2, exec_lo
	s_waitcnt lgkmcnt(0)
	s_waitcnt_vscnt null, 0x0
	s_barrier
	buffer_gl0_inv
	v_cmpx_lt_i32_e32 17, v248
	s_cbranch_execz .LBB114_377
; %bb.376:
	v_mul_f64 v[212:213], v[234:235], v[162:163]
	v_mul_f64 v[162:163], v[232:233], v[162:163]
	s_delay_alu instid0(VALU_DEP_2) | instskip(NEXT) | instid1(VALU_DEP_2)
	v_fma_f64 v[240:241], v[232:233], v[160:161], -v[212:213]
	v_fma_f64 v[162:163], v[234:235], v[160:161], v[162:163]
	ds_load_2addr_b64 v[232:235], v242 offset0:36 offset1:37
	s_waitcnt lgkmcnt(0)
	v_mul_f64 v[160:161], v[234:235], v[162:163]
	v_mul_f64 v[212:213], v[232:233], v[162:163]
	s_delay_alu instid0(VALU_DEP_2) | instskip(NEXT) | instid1(VALU_DEP_2)
	v_fma_f64 v[160:161], v[232:233], v[240:241], -v[160:161]
	v_fma_f64 v[212:213], v[234:235], v[240:241], v[212:213]
	ds_load_2addr_b64 v[232:235], v242 offset0:38 offset1:39
	v_add_f64 v[156:157], v[156:157], -v[160:161]
	v_add_f64 v[158:159], v[158:159], -v[212:213]
	s_waitcnt lgkmcnt(0)
	v_mul_f64 v[160:161], v[234:235], v[162:163]
	v_mul_f64 v[212:213], v[232:233], v[162:163]
	s_delay_alu instid0(VALU_DEP_2) | instskip(NEXT) | instid1(VALU_DEP_2)
	v_fma_f64 v[160:161], v[232:233], v[240:241], -v[160:161]
	v_fma_f64 v[212:213], v[234:235], v[240:241], v[212:213]
	ds_load_2addr_b64 v[232:235], v242 offset0:40 offset1:41
	v_add_f64 v[152:153], v[152:153], -v[160:161]
	v_add_f64 v[154:155], v[154:155], -v[212:213]
	;; [unrolled: 9-line block ×39, first 2 shown]
	s_waitcnt lgkmcnt(0)
	v_mul_f64 v[160:161], v[234:235], v[162:163]
	v_mul_f64 v[212:213], v[232:233], v[162:163]
	s_delay_alu instid0(VALU_DEP_2) | instskip(NEXT) | instid1(VALU_DEP_2)
	v_fma_f64 v[160:161], v[232:233], v[240:241], -v[160:161]
	v_fma_f64 v[212:213], v[234:235], v[240:241], v[212:213]
	s_delay_alu instid0(VALU_DEP_2) | instskip(NEXT) | instid1(VALU_DEP_2)
	v_add_f64 v[0:1], v[0:1], -v[160:161]
	v_add_f64 v[2:3], v[2:3], -v[212:213]
	v_dual_mov_b32 v160, v240 :: v_dual_mov_b32 v161, v241
.LBB114_377:
	s_or_b32 exec_lo, exec_lo, s2
	v_lshl_add_u32 v212, v248, 4, v242
	s_barrier
	buffer_gl0_inv
	v_mov_b32_e32 v240, 18
	ds_store_2addr_b64 v212, v[156:157], v[158:159] offset1:1
	s_waitcnt lgkmcnt(0)
	s_barrier
	buffer_gl0_inv
	ds_load_2addr_b64 v[232:235], v242 offset0:36 offset1:37
	s_cmp_lt_i32 s12, 20
	s_cbranch_scc1 .LBB114_380
; %bb.378:
	v_add3_u32 v241, v246, 0, 0x130
	v_mov_b32_e32 v240, 18
	s_mov_b32 s6, 19
	s_set_inst_prefetch_distance 0x1
	.p2align	6
.LBB114_379:                            ; =>This Inner Loop Header: Depth=1
	ds_load_2addr_b64 v[249:252], v241 offset1:1
	s_waitcnt lgkmcnt(1)
	v_cmp_gt_f64_e32 vcc_lo, 0, v[232:233]
	v_cmp_gt_f64_e64 s2, 0, v[234:235]
	v_xor_b32_e32 v213, 0x80000000, v233
	v_xor_b32_e32 v217, 0x80000000, v235
	v_add_nc_u32_e32 v241, 16, v241
	s_waitcnt lgkmcnt(0)
	v_cmp_gt_f64_e64 s3, 0, v[249:250]
	v_cmp_gt_f64_e64 s4, 0, v[251:252]
	v_xor_b32_e32 v219, 0x80000000, v250
	v_mov_b32_e32 v212, v249
	v_xor_b32_e32 v220, 0x80000000, v252
	v_mov_b32_e32 v214, v251
	v_dual_cndmask_b32 v216, v233, v213 :: v_dual_cndmask_b32 v215, v232, v232
	v_cndmask_b32_e64 v218, v235, v217, s2
	v_cndmask_b32_e64 v217, v234, v234, s2
	s_delay_alu instid0(VALU_DEP_1) | instskip(SKIP_2) | instid1(VALU_DEP_1)
	v_add_f64 v[216:217], v[215:216], v[217:218]
	v_cndmask_b32_e64 v213, v250, v219, s3
	v_cndmask_b32_e64 v215, v252, v220, s4
	v_add_f64 v[212:213], v[212:213], v[214:215]
	s_delay_alu instid0(VALU_DEP_1)
	v_cmp_lt_f64_e32 vcc_lo, v[216:217], v[212:213]
	v_cndmask_b32_e32 v235, v235, v252, vcc_lo
	v_dual_cndmask_b32 v233, v233, v250 :: v_dual_cndmask_b32 v232, v232, v249
	v_cndmask_b32_e32 v234, v234, v251, vcc_lo
	v_cndmask_b32_e64 v240, v240, s6, vcc_lo
	s_add_i32 s6, s6, 1
	s_delay_alu instid0(SALU_CYCLE_1)
	s_cmp_lg_u32 s12, s6
	s_cbranch_scc1 .LBB114_379
.LBB114_380:
	s_set_inst_prefetch_distance 0x2
	s_waitcnt lgkmcnt(0)
	v_cmp_eq_f64_e32 vcc_lo, 0, v[232:233]
	v_cmp_eq_f64_e64 s2, 0, v[234:235]
	s_delay_alu instid0(VALU_DEP_1) | instskip(NEXT) | instid1(SALU_CYCLE_1)
	s_and_b32 s2, vcc_lo, s2
	s_and_saveexec_b32 s3, s2
	s_delay_alu instid0(SALU_CYCLE_1)
	s_xor_b32 s2, exec_lo, s3
; %bb.381:
	v_cmp_ne_u32_e32 vcc_lo, 0, v245
	v_cndmask_b32_e32 v245, 19, v245, vcc_lo
; %bb.382:
	s_and_not1_saveexec_b32 s3, s2
	s_cbranch_execz .LBB114_388
; %bb.383:
	v_cmp_gt_f64_e32 vcc_lo, 0, v[232:233]
	v_cmp_gt_f64_e64 s2, 0, v[234:235]
	v_xor_b32_e32 v212, 0x80000000, v233
	v_xor_b32_e32 v214, 0x80000000, v235
	s_delay_alu instid0(VALU_DEP_2) | instskip(NEXT) | instid1(VALU_DEP_2)
	v_cndmask_b32_e32 v213, v233, v212, vcc_lo
	v_cndmask_b32_e64 v215, v235, v214, s2
	v_cndmask_b32_e32 v212, v232, v232, vcc_lo
	v_cndmask_b32_e64 v214, v234, v234, s2
	s_mov_b32 s2, exec_lo
	s_delay_alu instid0(VALU_DEP_1)
	v_cmpx_ngt_f64_e32 v[212:213], v[214:215]
	s_xor_b32 s2, exec_lo, s2
	s_cbranch_execz .LBB114_385
; %bb.384:
	v_div_scale_f64 v[212:213], null, v[234:235], v[234:235], v[232:233]
	v_div_scale_f64 v[218:219], vcc_lo, v[232:233], v[234:235], v[232:233]
	s_delay_alu instid0(VALU_DEP_2) | instskip(SKIP_2) | instid1(VALU_DEP_1)
	v_rcp_f64_e32 v[214:215], v[212:213]
	s_waitcnt_depctr 0xfff
	v_fma_f64 v[216:217], -v[212:213], v[214:215], 1.0
	v_fma_f64 v[214:215], v[214:215], v[216:217], v[214:215]
	s_delay_alu instid0(VALU_DEP_1) | instskip(NEXT) | instid1(VALU_DEP_1)
	v_fma_f64 v[216:217], -v[212:213], v[214:215], 1.0
	v_fma_f64 v[214:215], v[214:215], v[216:217], v[214:215]
	s_delay_alu instid0(VALU_DEP_1) | instskip(NEXT) | instid1(VALU_DEP_1)
	v_mul_f64 v[216:217], v[218:219], v[214:215]
	v_fma_f64 v[212:213], -v[212:213], v[216:217], v[218:219]
	s_delay_alu instid0(VALU_DEP_1) | instskip(NEXT) | instid1(VALU_DEP_1)
	v_div_fmas_f64 v[212:213], v[212:213], v[214:215], v[216:217]
	v_div_fixup_f64 v[212:213], v[212:213], v[234:235], v[232:233]
	s_delay_alu instid0(VALU_DEP_1) | instskip(NEXT) | instid1(VALU_DEP_1)
	v_fma_f64 v[214:215], v[232:233], v[212:213], v[234:235]
	v_div_scale_f64 v[216:217], null, v[214:215], v[214:215], 1.0
	s_delay_alu instid0(VALU_DEP_1) | instskip(SKIP_2) | instid1(VALU_DEP_1)
	v_rcp_f64_e32 v[218:219], v[216:217]
	s_waitcnt_depctr 0xfff
	v_fma_f64 v[220:221], -v[216:217], v[218:219], 1.0
	v_fma_f64 v[218:219], v[218:219], v[220:221], v[218:219]
	s_delay_alu instid0(VALU_DEP_1) | instskip(NEXT) | instid1(VALU_DEP_1)
	v_fma_f64 v[220:221], -v[216:217], v[218:219], 1.0
	v_fma_f64 v[218:219], v[218:219], v[220:221], v[218:219]
	v_div_scale_f64 v[220:221], vcc_lo, 1.0, v[214:215], 1.0
	s_delay_alu instid0(VALU_DEP_1) | instskip(NEXT) | instid1(VALU_DEP_1)
	v_mul_f64 v[222:223], v[220:221], v[218:219]
	v_fma_f64 v[216:217], -v[216:217], v[222:223], v[220:221]
	s_delay_alu instid0(VALU_DEP_1) | instskip(NEXT) | instid1(VALU_DEP_1)
	v_div_fmas_f64 v[216:217], v[216:217], v[218:219], v[222:223]
	v_div_fixup_f64 v[234:235], v[216:217], v[214:215], 1.0
	s_delay_alu instid0(VALU_DEP_1)
	v_mul_f64 v[232:233], v[212:213], v[234:235]
	v_xor_b32_e32 v235, 0x80000000, v235
.LBB114_385:
	s_and_not1_saveexec_b32 s2, s2
	s_cbranch_execz .LBB114_387
; %bb.386:
	s_delay_alu instid0(VALU_DEP_1) | instskip(SKIP_1) | instid1(VALU_DEP_2)
	v_div_scale_f64 v[212:213], null, v[232:233], v[232:233], v[234:235]
	v_div_scale_f64 v[218:219], vcc_lo, v[234:235], v[232:233], v[234:235]
	v_rcp_f64_e32 v[214:215], v[212:213]
	s_waitcnt_depctr 0xfff
	v_fma_f64 v[216:217], -v[212:213], v[214:215], 1.0
	s_delay_alu instid0(VALU_DEP_1) | instskip(NEXT) | instid1(VALU_DEP_1)
	v_fma_f64 v[214:215], v[214:215], v[216:217], v[214:215]
	v_fma_f64 v[216:217], -v[212:213], v[214:215], 1.0
	s_delay_alu instid0(VALU_DEP_1) | instskip(NEXT) | instid1(VALU_DEP_1)
	v_fma_f64 v[214:215], v[214:215], v[216:217], v[214:215]
	v_mul_f64 v[216:217], v[218:219], v[214:215]
	s_delay_alu instid0(VALU_DEP_1) | instskip(NEXT) | instid1(VALU_DEP_1)
	v_fma_f64 v[212:213], -v[212:213], v[216:217], v[218:219]
	v_div_fmas_f64 v[212:213], v[212:213], v[214:215], v[216:217]
	s_delay_alu instid0(VALU_DEP_1) | instskip(NEXT) | instid1(VALU_DEP_1)
	v_div_fixup_f64 v[212:213], v[212:213], v[232:233], v[234:235]
	v_fma_f64 v[214:215], v[234:235], v[212:213], v[232:233]
	s_delay_alu instid0(VALU_DEP_1) | instskip(NEXT) | instid1(VALU_DEP_1)
	v_div_scale_f64 v[216:217], null, v[214:215], v[214:215], 1.0
	v_rcp_f64_e32 v[218:219], v[216:217]
	s_waitcnt_depctr 0xfff
	v_fma_f64 v[220:221], -v[216:217], v[218:219], 1.0
	s_delay_alu instid0(VALU_DEP_1) | instskip(NEXT) | instid1(VALU_DEP_1)
	v_fma_f64 v[218:219], v[218:219], v[220:221], v[218:219]
	v_fma_f64 v[220:221], -v[216:217], v[218:219], 1.0
	s_delay_alu instid0(VALU_DEP_1) | instskip(SKIP_1) | instid1(VALU_DEP_1)
	v_fma_f64 v[218:219], v[218:219], v[220:221], v[218:219]
	v_div_scale_f64 v[220:221], vcc_lo, 1.0, v[214:215], 1.0
	v_mul_f64 v[222:223], v[220:221], v[218:219]
	s_delay_alu instid0(VALU_DEP_1) | instskip(NEXT) | instid1(VALU_DEP_1)
	v_fma_f64 v[216:217], -v[216:217], v[222:223], v[220:221]
	v_div_fmas_f64 v[216:217], v[216:217], v[218:219], v[222:223]
	s_delay_alu instid0(VALU_DEP_1) | instskip(NEXT) | instid1(VALU_DEP_1)
	v_div_fixup_f64 v[232:233], v[216:217], v[214:215], 1.0
	v_mul_f64 v[234:235], v[212:213], -v[232:233]
.LBB114_387:
	s_or_b32 exec_lo, exec_lo, s2
.LBB114_388:
	s_delay_alu instid0(SALU_CYCLE_1) | instskip(NEXT) | instid1(SALU_CYCLE_1)
	s_or_b32 exec_lo, exec_lo, s3
	s_mov_b32 s2, exec_lo
	v_cmpx_ne_u32_e64 v248, v240
	s_xor_b32 s2, exec_lo, s2
	s_cbranch_execz .LBB114_394
; %bb.389:
	s_mov_b32 s3, exec_lo
	v_cmpx_eq_u32_e32 18, v248
	s_cbranch_execz .LBB114_393
; %bb.390:
	v_cmp_ne_u32_e32 vcc_lo, 18, v240
	s_xor_b32 s4, s5, -1
	s_delay_alu instid0(SALU_CYCLE_1) | instskip(NEXT) | instid1(SALU_CYCLE_1)
	s_and_b32 s6, s4, vcc_lo
	s_and_saveexec_b32 s4, s6
	s_cbranch_execz .LBB114_392
; %bb.391:
	scratch_load_b64 v[208:209], off, off   ; 8-byte Folded Reload
	v_ashrrev_i32_e32 v241, 31, v240
	s_delay_alu instid0(VALU_DEP_1) | instskip(SKIP_1) | instid1(VALU_DEP_1)
	v_lshlrev_b64 v[212:213], 2, v[240:241]
	s_waitcnt vmcnt(0)
	v_add_co_u32 v212, vcc_lo, v208, v212
	s_delay_alu instid0(VALU_DEP_2)
	v_add_co_ci_u32_e32 v213, vcc_lo, v209, v213, vcc_lo
	s_clause 0x1
	flat_load_b32 v214, v[212:213]
	flat_load_b32 v215, v[208:209] offset:72
	s_waitcnt vmcnt(1) lgkmcnt(1)
	flat_store_b32 v[208:209], v214 offset:72
	s_waitcnt vmcnt(0) lgkmcnt(1)
	flat_store_b32 v[212:213], v215
.LBB114_392:
	s_or_b32 exec_lo, exec_lo, s4
	v_mov_b32_e32 v248, v240
	v_mov_b32_e32 v236, v240
.LBB114_393:
	s_or_b32 exec_lo, exec_lo, s3
.LBB114_394:
	s_and_not1_saveexec_b32 s2, s2
	s_cbranch_execz .LBB114_396
; %bb.395:
	v_mov_b32_e32 v248, 18
	ds_store_2addr_b64 v242, v[152:153], v[154:155] offset0:38 offset1:39
	ds_store_2addr_b64 v242, v[148:149], v[150:151] offset0:40 offset1:41
	;; [unrolled: 1-line block ×39, first 2 shown]
.LBB114_396:
	s_or_b32 exec_lo, exec_lo, s2
	s_delay_alu instid0(SALU_CYCLE_1)
	s_mov_b32 s2, exec_lo
	s_waitcnt lgkmcnt(0)
	s_waitcnt_vscnt null, 0x0
	s_barrier
	buffer_gl0_inv
	v_cmpx_lt_i32_e32 18, v248
	s_cbranch_execz .LBB114_398
; %bb.397:
	v_mul_f64 v[212:213], v[234:235], v[158:159]
	v_mul_f64 v[158:159], v[232:233], v[158:159]
	s_delay_alu instid0(VALU_DEP_2) | instskip(NEXT) | instid1(VALU_DEP_2)
	v_fma_f64 v[240:241], v[232:233], v[156:157], -v[212:213]
	v_fma_f64 v[158:159], v[234:235], v[156:157], v[158:159]
	ds_load_2addr_b64 v[232:235], v242 offset0:38 offset1:39
	s_waitcnt lgkmcnt(0)
	v_mul_f64 v[156:157], v[234:235], v[158:159]
	v_mul_f64 v[212:213], v[232:233], v[158:159]
	s_delay_alu instid0(VALU_DEP_2) | instskip(NEXT) | instid1(VALU_DEP_2)
	v_fma_f64 v[156:157], v[232:233], v[240:241], -v[156:157]
	v_fma_f64 v[212:213], v[234:235], v[240:241], v[212:213]
	ds_load_2addr_b64 v[232:235], v242 offset0:40 offset1:41
	v_add_f64 v[152:153], v[152:153], -v[156:157]
	v_add_f64 v[154:155], v[154:155], -v[212:213]
	s_waitcnt lgkmcnt(0)
	v_mul_f64 v[156:157], v[234:235], v[158:159]
	v_mul_f64 v[212:213], v[232:233], v[158:159]
	s_delay_alu instid0(VALU_DEP_2) | instskip(NEXT) | instid1(VALU_DEP_2)
	v_fma_f64 v[156:157], v[232:233], v[240:241], -v[156:157]
	v_fma_f64 v[212:213], v[234:235], v[240:241], v[212:213]
	ds_load_2addr_b64 v[232:235], v242 offset0:42 offset1:43
	v_add_f64 v[148:149], v[148:149], -v[156:157]
	v_add_f64 v[150:151], v[150:151], -v[212:213]
	;; [unrolled: 9-line block ×38, first 2 shown]
	s_waitcnt lgkmcnt(0)
	v_mul_f64 v[156:157], v[234:235], v[158:159]
	v_mul_f64 v[212:213], v[232:233], v[158:159]
	s_delay_alu instid0(VALU_DEP_2) | instskip(NEXT) | instid1(VALU_DEP_2)
	v_fma_f64 v[156:157], v[232:233], v[240:241], -v[156:157]
	v_fma_f64 v[212:213], v[234:235], v[240:241], v[212:213]
	s_delay_alu instid0(VALU_DEP_2) | instskip(NEXT) | instid1(VALU_DEP_2)
	v_add_f64 v[0:1], v[0:1], -v[156:157]
	v_add_f64 v[2:3], v[2:3], -v[212:213]
	v_dual_mov_b32 v156, v240 :: v_dual_mov_b32 v157, v241
.LBB114_398:
	s_or_b32 exec_lo, exec_lo, s2
	v_lshl_add_u32 v212, v248, 4, v242
	s_barrier
	buffer_gl0_inv
	v_mov_b32_e32 v240, 19
	ds_store_2addr_b64 v212, v[152:153], v[154:155] offset1:1
	s_waitcnt lgkmcnt(0)
	s_barrier
	buffer_gl0_inv
	ds_load_2addr_b64 v[232:235], v242 offset0:38 offset1:39
	s_cmp_lt_i32 s12, 21
	s_cbranch_scc1 .LBB114_401
; %bb.399:
	v_add3_u32 v241, v246, 0, 0x140
	v_mov_b32_e32 v240, 19
	s_mov_b32 s6, 20
	s_set_inst_prefetch_distance 0x1
	.p2align	6
.LBB114_400:                            ; =>This Inner Loop Header: Depth=1
	ds_load_2addr_b64 v[249:252], v241 offset1:1
	s_waitcnt lgkmcnt(1)
	v_cmp_gt_f64_e32 vcc_lo, 0, v[232:233]
	v_cmp_gt_f64_e64 s2, 0, v[234:235]
	v_xor_b32_e32 v213, 0x80000000, v233
	v_xor_b32_e32 v217, 0x80000000, v235
	v_add_nc_u32_e32 v241, 16, v241
	s_waitcnt lgkmcnt(0)
	v_cmp_gt_f64_e64 s3, 0, v[249:250]
	v_cmp_gt_f64_e64 s4, 0, v[251:252]
	v_xor_b32_e32 v219, 0x80000000, v250
	v_mov_b32_e32 v212, v249
	v_xor_b32_e32 v220, 0x80000000, v252
	v_mov_b32_e32 v214, v251
	v_dual_cndmask_b32 v216, v233, v213 :: v_dual_cndmask_b32 v215, v232, v232
	v_cndmask_b32_e64 v218, v235, v217, s2
	v_cndmask_b32_e64 v217, v234, v234, s2
	s_delay_alu instid0(VALU_DEP_1) | instskip(SKIP_2) | instid1(VALU_DEP_1)
	v_add_f64 v[216:217], v[215:216], v[217:218]
	v_cndmask_b32_e64 v213, v250, v219, s3
	v_cndmask_b32_e64 v215, v252, v220, s4
	v_add_f64 v[212:213], v[212:213], v[214:215]
	s_delay_alu instid0(VALU_DEP_1)
	v_cmp_lt_f64_e32 vcc_lo, v[216:217], v[212:213]
	v_cndmask_b32_e32 v235, v235, v252, vcc_lo
	v_dual_cndmask_b32 v233, v233, v250 :: v_dual_cndmask_b32 v232, v232, v249
	v_cndmask_b32_e32 v234, v234, v251, vcc_lo
	v_cndmask_b32_e64 v240, v240, s6, vcc_lo
	s_add_i32 s6, s6, 1
	s_delay_alu instid0(SALU_CYCLE_1)
	s_cmp_lg_u32 s12, s6
	s_cbranch_scc1 .LBB114_400
.LBB114_401:
	s_set_inst_prefetch_distance 0x2
	s_waitcnt lgkmcnt(0)
	v_cmp_eq_f64_e32 vcc_lo, 0, v[232:233]
	v_cmp_eq_f64_e64 s2, 0, v[234:235]
	s_delay_alu instid0(VALU_DEP_1) | instskip(NEXT) | instid1(SALU_CYCLE_1)
	s_and_b32 s2, vcc_lo, s2
	s_and_saveexec_b32 s3, s2
	s_delay_alu instid0(SALU_CYCLE_1)
	s_xor_b32 s2, exec_lo, s3
; %bb.402:
	v_cmp_ne_u32_e32 vcc_lo, 0, v245
	v_cndmask_b32_e32 v245, 20, v245, vcc_lo
; %bb.403:
	s_and_not1_saveexec_b32 s3, s2
	s_cbranch_execz .LBB114_409
; %bb.404:
	v_cmp_gt_f64_e32 vcc_lo, 0, v[232:233]
	v_cmp_gt_f64_e64 s2, 0, v[234:235]
	v_xor_b32_e32 v212, 0x80000000, v233
	v_xor_b32_e32 v214, 0x80000000, v235
	s_delay_alu instid0(VALU_DEP_2) | instskip(NEXT) | instid1(VALU_DEP_2)
	v_cndmask_b32_e32 v213, v233, v212, vcc_lo
	v_cndmask_b32_e64 v215, v235, v214, s2
	v_cndmask_b32_e32 v212, v232, v232, vcc_lo
	v_cndmask_b32_e64 v214, v234, v234, s2
	s_mov_b32 s2, exec_lo
	s_delay_alu instid0(VALU_DEP_1)
	v_cmpx_ngt_f64_e32 v[212:213], v[214:215]
	s_xor_b32 s2, exec_lo, s2
	s_cbranch_execz .LBB114_406
; %bb.405:
	v_div_scale_f64 v[212:213], null, v[234:235], v[234:235], v[232:233]
	v_div_scale_f64 v[218:219], vcc_lo, v[232:233], v[234:235], v[232:233]
	s_delay_alu instid0(VALU_DEP_2) | instskip(SKIP_2) | instid1(VALU_DEP_1)
	v_rcp_f64_e32 v[214:215], v[212:213]
	s_waitcnt_depctr 0xfff
	v_fma_f64 v[216:217], -v[212:213], v[214:215], 1.0
	v_fma_f64 v[214:215], v[214:215], v[216:217], v[214:215]
	s_delay_alu instid0(VALU_DEP_1) | instskip(NEXT) | instid1(VALU_DEP_1)
	v_fma_f64 v[216:217], -v[212:213], v[214:215], 1.0
	v_fma_f64 v[214:215], v[214:215], v[216:217], v[214:215]
	s_delay_alu instid0(VALU_DEP_1) | instskip(NEXT) | instid1(VALU_DEP_1)
	v_mul_f64 v[216:217], v[218:219], v[214:215]
	v_fma_f64 v[212:213], -v[212:213], v[216:217], v[218:219]
	s_delay_alu instid0(VALU_DEP_1) | instskip(NEXT) | instid1(VALU_DEP_1)
	v_div_fmas_f64 v[212:213], v[212:213], v[214:215], v[216:217]
	v_div_fixup_f64 v[212:213], v[212:213], v[234:235], v[232:233]
	s_delay_alu instid0(VALU_DEP_1) | instskip(NEXT) | instid1(VALU_DEP_1)
	v_fma_f64 v[214:215], v[232:233], v[212:213], v[234:235]
	v_div_scale_f64 v[216:217], null, v[214:215], v[214:215], 1.0
	s_delay_alu instid0(VALU_DEP_1) | instskip(SKIP_2) | instid1(VALU_DEP_1)
	v_rcp_f64_e32 v[218:219], v[216:217]
	s_waitcnt_depctr 0xfff
	v_fma_f64 v[220:221], -v[216:217], v[218:219], 1.0
	v_fma_f64 v[218:219], v[218:219], v[220:221], v[218:219]
	s_delay_alu instid0(VALU_DEP_1) | instskip(NEXT) | instid1(VALU_DEP_1)
	v_fma_f64 v[220:221], -v[216:217], v[218:219], 1.0
	v_fma_f64 v[218:219], v[218:219], v[220:221], v[218:219]
	v_div_scale_f64 v[220:221], vcc_lo, 1.0, v[214:215], 1.0
	s_delay_alu instid0(VALU_DEP_1) | instskip(NEXT) | instid1(VALU_DEP_1)
	v_mul_f64 v[222:223], v[220:221], v[218:219]
	v_fma_f64 v[216:217], -v[216:217], v[222:223], v[220:221]
	s_delay_alu instid0(VALU_DEP_1) | instskip(NEXT) | instid1(VALU_DEP_1)
	v_div_fmas_f64 v[216:217], v[216:217], v[218:219], v[222:223]
	v_div_fixup_f64 v[234:235], v[216:217], v[214:215], 1.0
	s_delay_alu instid0(VALU_DEP_1)
	v_mul_f64 v[232:233], v[212:213], v[234:235]
	v_xor_b32_e32 v235, 0x80000000, v235
.LBB114_406:
	s_and_not1_saveexec_b32 s2, s2
	s_cbranch_execz .LBB114_408
; %bb.407:
	s_delay_alu instid0(VALU_DEP_1) | instskip(SKIP_1) | instid1(VALU_DEP_2)
	v_div_scale_f64 v[212:213], null, v[232:233], v[232:233], v[234:235]
	v_div_scale_f64 v[218:219], vcc_lo, v[234:235], v[232:233], v[234:235]
	v_rcp_f64_e32 v[214:215], v[212:213]
	s_waitcnt_depctr 0xfff
	v_fma_f64 v[216:217], -v[212:213], v[214:215], 1.0
	s_delay_alu instid0(VALU_DEP_1) | instskip(NEXT) | instid1(VALU_DEP_1)
	v_fma_f64 v[214:215], v[214:215], v[216:217], v[214:215]
	v_fma_f64 v[216:217], -v[212:213], v[214:215], 1.0
	s_delay_alu instid0(VALU_DEP_1) | instskip(NEXT) | instid1(VALU_DEP_1)
	v_fma_f64 v[214:215], v[214:215], v[216:217], v[214:215]
	v_mul_f64 v[216:217], v[218:219], v[214:215]
	s_delay_alu instid0(VALU_DEP_1) | instskip(NEXT) | instid1(VALU_DEP_1)
	v_fma_f64 v[212:213], -v[212:213], v[216:217], v[218:219]
	v_div_fmas_f64 v[212:213], v[212:213], v[214:215], v[216:217]
	s_delay_alu instid0(VALU_DEP_1) | instskip(NEXT) | instid1(VALU_DEP_1)
	v_div_fixup_f64 v[212:213], v[212:213], v[232:233], v[234:235]
	v_fma_f64 v[214:215], v[234:235], v[212:213], v[232:233]
	s_delay_alu instid0(VALU_DEP_1) | instskip(NEXT) | instid1(VALU_DEP_1)
	v_div_scale_f64 v[216:217], null, v[214:215], v[214:215], 1.0
	v_rcp_f64_e32 v[218:219], v[216:217]
	s_waitcnt_depctr 0xfff
	v_fma_f64 v[220:221], -v[216:217], v[218:219], 1.0
	s_delay_alu instid0(VALU_DEP_1) | instskip(NEXT) | instid1(VALU_DEP_1)
	v_fma_f64 v[218:219], v[218:219], v[220:221], v[218:219]
	v_fma_f64 v[220:221], -v[216:217], v[218:219], 1.0
	s_delay_alu instid0(VALU_DEP_1) | instskip(SKIP_1) | instid1(VALU_DEP_1)
	v_fma_f64 v[218:219], v[218:219], v[220:221], v[218:219]
	v_div_scale_f64 v[220:221], vcc_lo, 1.0, v[214:215], 1.0
	v_mul_f64 v[222:223], v[220:221], v[218:219]
	s_delay_alu instid0(VALU_DEP_1) | instskip(NEXT) | instid1(VALU_DEP_1)
	v_fma_f64 v[216:217], -v[216:217], v[222:223], v[220:221]
	v_div_fmas_f64 v[216:217], v[216:217], v[218:219], v[222:223]
	s_delay_alu instid0(VALU_DEP_1) | instskip(NEXT) | instid1(VALU_DEP_1)
	v_div_fixup_f64 v[232:233], v[216:217], v[214:215], 1.0
	v_mul_f64 v[234:235], v[212:213], -v[232:233]
.LBB114_408:
	s_or_b32 exec_lo, exec_lo, s2
.LBB114_409:
	s_delay_alu instid0(SALU_CYCLE_1) | instskip(NEXT) | instid1(SALU_CYCLE_1)
	s_or_b32 exec_lo, exec_lo, s3
	s_mov_b32 s2, exec_lo
	v_cmpx_ne_u32_e64 v248, v240
	s_xor_b32 s2, exec_lo, s2
	s_cbranch_execz .LBB114_415
; %bb.410:
	s_mov_b32 s3, exec_lo
	v_cmpx_eq_u32_e32 19, v248
	s_cbranch_execz .LBB114_414
; %bb.411:
	v_cmp_ne_u32_e32 vcc_lo, 19, v240
	s_xor_b32 s4, s5, -1
	s_delay_alu instid0(SALU_CYCLE_1) | instskip(NEXT) | instid1(SALU_CYCLE_1)
	s_and_b32 s6, s4, vcc_lo
	s_and_saveexec_b32 s4, s6
	s_cbranch_execz .LBB114_413
; %bb.412:
	scratch_load_b64 v[208:209], off, off   ; 8-byte Folded Reload
	v_ashrrev_i32_e32 v241, 31, v240
	s_delay_alu instid0(VALU_DEP_1) | instskip(SKIP_1) | instid1(VALU_DEP_1)
	v_lshlrev_b64 v[212:213], 2, v[240:241]
	s_waitcnt vmcnt(0)
	v_add_co_u32 v212, vcc_lo, v208, v212
	s_delay_alu instid0(VALU_DEP_2)
	v_add_co_ci_u32_e32 v213, vcc_lo, v209, v213, vcc_lo
	s_clause 0x1
	flat_load_b32 v214, v[212:213]
	flat_load_b32 v215, v[208:209] offset:76
	s_waitcnt vmcnt(1) lgkmcnt(1)
	flat_store_b32 v[208:209], v214 offset:76
	s_waitcnt vmcnt(0) lgkmcnt(1)
	flat_store_b32 v[212:213], v215
.LBB114_413:
	s_or_b32 exec_lo, exec_lo, s4
	v_mov_b32_e32 v248, v240
	v_mov_b32_e32 v236, v240
.LBB114_414:
	s_or_b32 exec_lo, exec_lo, s3
.LBB114_415:
	s_and_not1_saveexec_b32 s2, s2
	s_cbranch_execz .LBB114_417
; %bb.416:
	v_mov_b32_e32 v248, 19
	ds_store_2addr_b64 v242, v[148:149], v[150:151] offset0:40 offset1:41
	ds_store_2addr_b64 v242, v[144:145], v[146:147] offset0:42 offset1:43
	;; [unrolled: 1-line block ×38, first 2 shown]
.LBB114_417:
	s_or_b32 exec_lo, exec_lo, s2
	s_delay_alu instid0(SALU_CYCLE_1)
	s_mov_b32 s2, exec_lo
	s_waitcnt lgkmcnt(0)
	s_waitcnt_vscnt null, 0x0
	s_barrier
	buffer_gl0_inv
	v_cmpx_lt_i32_e32 19, v248
	s_cbranch_execz .LBB114_419
; %bb.418:
	v_mul_f64 v[212:213], v[234:235], v[154:155]
	v_mul_f64 v[154:155], v[232:233], v[154:155]
	s_delay_alu instid0(VALU_DEP_2) | instskip(NEXT) | instid1(VALU_DEP_2)
	v_fma_f64 v[240:241], v[232:233], v[152:153], -v[212:213]
	v_fma_f64 v[154:155], v[234:235], v[152:153], v[154:155]
	ds_load_2addr_b64 v[232:235], v242 offset0:40 offset1:41
	s_waitcnt lgkmcnt(0)
	v_mul_f64 v[152:153], v[234:235], v[154:155]
	v_mul_f64 v[212:213], v[232:233], v[154:155]
	s_delay_alu instid0(VALU_DEP_2) | instskip(NEXT) | instid1(VALU_DEP_2)
	v_fma_f64 v[152:153], v[232:233], v[240:241], -v[152:153]
	v_fma_f64 v[212:213], v[234:235], v[240:241], v[212:213]
	ds_load_2addr_b64 v[232:235], v242 offset0:42 offset1:43
	v_add_f64 v[148:149], v[148:149], -v[152:153]
	v_add_f64 v[150:151], v[150:151], -v[212:213]
	s_waitcnt lgkmcnt(0)
	v_mul_f64 v[152:153], v[234:235], v[154:155]
	v_mul_f64 v[212:213], v[232:233], v[154:155]
	s_delay_alu instid0(VALU_DEP_2) | instskip(NEXT) | instid1(VALU_DEP_2)
	v_fma_f64 v[152:153], v[232:233], v[240:241], -v[152:153]
	v_fma_f64 v[212:213], v[234:235], v[240:241], v[212:213]
	ds_load_2addr_b64 v[232:235], v242 offset0:44 offset1:45
	v_add_f64 v[144:145], v[144:145], -v[152:153]
	v_add_f64 v[146:147], v[146:147], -v[212:213]
	;; [unrolled: 9-line block ×37, first 2 shown]
	s_waitcnt lgkmcnt(0)
	v_mul_f64 v[152:153], v[234:235], v[154:155]
	v_mul_f64 v[212:213], v[232:233], v[154:155]
	s_delay_alu instid0(VALU_DEP_2) | instskip(NEXT) | instid1(VALU_DEP_2)
	v_fma_f64 v[152:153], v[232:233], v[240:241], -v[152:153]
	v_fma_f64 v[212:213], v[234:235], v[240:241], v[212:213]
	s_delay_alu instid0(VALU_DEP_2) | instskip(NEXT) | instid1(VALU_DEP_2)
	v_add_f64 v[0:1], v[0:1], -v[152:153]
	v_add_f64 v[2:3], v[2:3], -v[212:213]
	v_dual_mov_b32 v152, v240 :: v_dual_mov_b32 v153, v241
.LBB114_419:
	s_or_b32 exec_lo, exec_lo, s2
	v_lshl_add_u32 v212, v248, 4, v242
	s_barrier
	buffer_gl0_inv
	v_mov_b32_e32 v240, 20
	ds_store_2addr_b64 v212, v[148:149], v[150:151] offset1:1
	s_waitcnt lgkmcnt(0)
	s_barrier
	buffer_gl0_inv
	ds_load_2addr_b64 v[232:235], v242 offset0:40 offset1:41
	s_cmp_lt_i32 s12, 22
	s_cbranch_scc1 .LBB114_422
; %bb.420:
	v_add3_u32 v241, v246, 0, 0x150
	v_mov_b32_e32 v240, 20
	s_mov_b32 s6, 21
	s_set_inst_prefetch_distance 0x1
	.p2align	6
.LBB114_421:                            ; =>This Inner Loop Header: Depth=1
	ds_load_2addr_b64 v[249:252], v241 offset1:1
	s_waitcnt lgkmcnt(1)
	v_cmp_gt_f64_e32 vcc_lo, 0, v[232:233]
	v_cmp_gt_f64_e64 s2, 0, v[234:235]
	v_xor_b32_e32 v213, 0x80000000, v233
	v_xor_b32_e32 v217, 0x80000000, v235
	v_add_nc_u32_e32 v241, 16, v241
	s_waitcnt lgkmcnt(0)
	v_cmp_gt_f64_e64 s3, 0, v[249:250]
	v_cmp_gt_f64_e64 s4, 0, v[251:252]
	v_xor_b32_e32 v219, 0x80000000, v250
	v_mov_b32_e32 v212, v249
	v_xor_b32_e32 v220, 0x80000000, v252
	v_mov_b32_e32 v214, v251
	v_dual_cndmask_b32 v216, v233, v213 :: v_dual_cndmask_b32 v215, v232, v232
	v_cndmask_b32_e64 v218, v235, v217, s2
	v_cndmask_b32_e64 v217, v234, v234, s2
	s_delay_alu instid0(VALU_DEP_1) | instskip(SKIP_2) | instid1(VALU_DEP_1)
	v_add_f64 v[216:217], v[215:216], v[217:218]
	v_cndmask_b32_e64 v213, v250, v219, s3
	v_cndmask_b32_e64 v215, v252, v220, s4
	v_add_f64 v[212:213], v[212:213], v[214:215]
	s_delay_alu instid0(VALU_DEP_1)
	v_cmp_lt_f64_e32 vcc_lo, v[216:217], v[212:213]
	v_cndmask_b32_e32 v235, v235, v252, vcc_lo
	v_dual_cndmask_b32 v233, v233, v250 :: v_dual_cndmask_b32 v232, v232, v249
	v_cndmask_b32_e32 v234, v234, v251, vcc_lo
	v_cndmask_b32_e64 v240, v240, s6, vcc_lo
	s_add_i32 s6, s6, 1
	s_delay_alu instid0(SALU_CYCLE_1)
	s_cmp_lg_u32 s12, s6
	s_cbranch_scc1 .LBB114_421
.LBB114_422:
	s_set_inst_prefetch_distance 0x2
	s_waitcnt lgkmcnt(0)
	v_cmp_eq_f64_e32 vcc_lo, 0, v[232:233]
	v_cmp_eq_f64_e64 s2, 0, v[234:235]
	s_delay_alu instid0(VALU_DEP_1) | instskip(NEXT) | instid1(SALU_CYCLE_1)
	s_and_b32 s2, vcc_lo, s2
	s_and_saveexec_b32 s3, s2
	s_delay_alu instid0(SALU_CYCLE_1)
	s_xor_b32 s2, exec_lo, s3
; %bb.423:
	v_cmp_ne_u32_e32 vcc_lo, 0, v245
	v_cndmask_b32_e32 v245, 21, v245, vcc_lo
; %bb.424:
	s_and_not1_saveexec_b32 s3, s2
	s_cbranch_execz .LBB114_430
; %bb.425:
	v_cmp_gt_f64_e32 vcc_lo, 0, v[232:233]
	v_cmp_gt_f64_e64 s2, 0, v[234:235]
	v_xor_b32_e32 v212, 0x80000000, v233
	v_xor_b32_e32 v214, 0x80000000, v235
	s_delay_alu instid0(VALU_DEP_2) | instskip(NEXT) | instid1(VALU_DEP_2)
	v_cndmask_b32_e32 v213, v233, v212, vcc_lo
	v_cndmask_b32_e64 v215, v235, v214, s2
	v_cndmask_b32_e32 v212, v232, v232, vcc_lo
	v_cndmask_b32_e64 v214, v234, v234, s2
	s_mov_b32 s2, exec_lo
	s_delay_alu instid0(VALU_DEP_1)
	v_cmpx_ngt_f64_e32 v[212:213], v[214:215]
	s_xor_b32 s2, exec_lo, s2
	s_cbranch_execz .LBB114_427
; %bb.426:
	v_div_scale_f64 v[212:213], null, v[234:235], v[234:235], v[232:233]
	v_div_scale_f64 v[218:219], vcc_lo, v[232:233], v[234:235], v[232:233]
	s_delay_alu instid0(VALU_DEP_2) | instskip(SKIP_2) | instid1(VALU_DEP_1)
	v_rcp_f64_e32 v[214:215], v[212:213]
	s_waitcnt_depctr 0xfff
	v_fma_f64 v[216:217], -v[212:213], v[214:215], 1.0
	v_fma_f64 v[214:215], v[214:215], v[216:217], v[214:215]
	s_delay_alu instid0(VALU_DEP_1) | instskip(NEXT) | instid1(VALU_DEP_1)
	v_fma_f64 v[216:217], -v[212:213], v[214:215], 1.0
	v_fma_f64 v[214:215], v[214:215], v[216:217], v[214:215]
	s_delay_alu instid0(VALU_DEP_1) | instskip(NEXT) | instid1(VALU_DEP_1)
	v_mul_f64 v[216:217], v[218:219], v[214:215]
	v_fma_f64 v[212:213], -v[212:213], v[216:217], v[218:219]
	s_delay_alu instid0(VALU_DEP_1) | instskip(NEXT) | instid1(VALU_DEP_1)
	v_div_fmas_f64 v[212:213], v[212:213], v[214:215], v[216:217]
	v_div_fixup_f64 v[212:213], v[212:213], v[234:235], v[232:233]
	s_delay_alu instid0(VALU_DEP_1) | instskip(NEXT) | instid1(VALU_DEP_1)
	v_fma_f64 v[214:215], v[232:233], v[212:213], v[234:235]
	v_div_scale_f64 v[216:217], null, v[214:215], v[214:215], 1.0
	s_delay_alu instid0(VALU_DEP_1) | instskip(SKIP_2) | instid1(VALU_DEP_1)
	v_rcp_f64_e32 v[218:219], v[216:217]
	s_waitcnt_depctr 0xfff
	v_fma_f64 v[220:221], -v[216:217], v[218:219], 1.0
	v_fma_f64 v[218:219], v[218:219], v[220:221], v[218:219]
	s_delay_alu instid0(VALU_DEP_1) | instskip(NEXT) | instid1(VALU_DEP_1)
	v_fma_f64 v[220:221], -v[216:217], v[218:219], 1.0
	v_fma_f64 v[218:219], v[218:219], v[220:221], v[218:219]
	v_div_scale_f64 v[220:221], vcc_lo, 1.0, v[214:215], 1.0
	s_delay_alu instid0(VALU_DEP_1) | instskip(NEXT) | instid1(VALU_DEP_1)
	v_mul_f64 v[222:223], v[220:221], v[218:219]
	v_fma_f64 v[216:217], -v[216:217], v[222:223], v[220:221]
	s_delay_alu instid0(VALU_DEP_1) | instskip(NEXT) | instid1(VALU_DEP_1)
	v_div_fmas_f64 v[216:217], v[216:217], v[218:219], v[222:223]
	v_div_fixup_f64 v[234:235], v[216:217], v[214:215], 1.0
	s_delay_alu instid0(VALU_DEP_1)
	v_mul_f64 v[232:233], v[212:213], v[234:235]
	v_xor_b32_e32 v235, 0x80000000, v235
.LBB114_427:
	s_and_not1_saveexec_b32 s2, s2
	s_cbranch_execz .LBB114_429
; %bb.428:
	s_delay_alu instid0(VALU_DEP_1) | instskip(SKIP_1) | instid1(VALU_DEP_2)
	v_div_scale_f64 v[212:213], null, v[232:233], v[232:233], v[234:235]
	v_div_scale_f64 v[218:219], vcc_lo, v[234:235], v[232:233], v[234:235]
	v_rcp_f64_e32 v[214:215], v[212:213]
	s_waitcnt_depctr 0xfff
	v_fma_f64 v[216:217], -v[212:213], v[214:215], 1.0
	s_delay_alu instid0(VALU_DEP_1) | instskip(NEXT) | instid1(VALU_DEP_1)
	v_fma_f64 v[214:215], v[214:215], v[216:217], v[214:215]
	v_fma_f64 v[216:217], -v[212:213], v[214:215], 1.0
	s_delay_alu instid0(VALU_DEP_1) | instskip(NEXT) | instid1(VALU_DEP_1)
	v_fma_f64 v[214:215], v[214:215], v[216:217], v[214:215]
	v_mul_f64 v[216:217], v[218:219], v[214:215]
	s_delay_alu instid0(VALU_DEP_1) | instskip(NEXT) | instid1(VALU_DEP_1)
	v_fma_f64 v[212:213], -v[212:213], v[216:217], v[218:219]
	v_div_fmas_f64 v[212:213], v[212:213], v[214:215], v[216:217]
	s_delay_alu instid0(VALU_DEP_1) | instskip(NEXT) | instid1(VALU_DEP_1)
	v_div_fixup_f64 v[212:213], v[212:213], v[232:233], v[234:235]
	v_fma_f64 v[214:215], v[234:235], v[212:213], v[232:233]
	s_delay_alu instid0(VALU_DEP_1) | instskip(NEXT) | instid1(VALU_DEP_1)
	v_div_scale_f64 v[216:217], null, v[214:215], v[214:215], 1.0
	v_rcp_f64_e32 v[218:219], v[216:217]
	s_waitcnt_depctr 0xfff
	v_fma_f64 v[220:221], -v[216:217], v[218:219], 1.0
	s_delay_alu instid0(VALU_DEP_1) | instskip(NEXT) | instid1(VALU_DEP_1)
	v_fma_f64 v[218:219], v[218:219], v[220:221], v[218:219]
	v_fma_f64 v[220:221], -v[216:217], v[218:219], 1.0
	s_delay_alu instid0(VALU_DEP_1) | instskip(SKIP_1) | instid1(VALU_DEP_1)
	v_fma_f64 v[218:219], v[218:219], v[220:221], v[218:219]
	v_div_scale_f64 v[220:221], vcc_lo, 1.0, v[214:215], 1.0
	v_mul_f64 v[222:223], v[220:221], v[218:219]
	s_delay_alu instid0(VALU_DEP_1) | instskip(NEXT) | instid1(VALU_DEP_1)
	v_fma_f64 v[216:217], -v[216:217], v[222:223], v[220:221]
	v_div_fmas_f64 v[216:217], v[216:217], v[218:219], v[222:223]
	s_delay_alu instid0(VALU_DEP_1) | instskip(NEXT) | instid1(VALU_DEP_1)
	v_div_fixup_f64 v[232:233], v[216:217], v[214:215], 1.0
	v_mul_f64 v[234:235], v[212:213], -v[232:233]
.LBB114_429:
	s_or_b32 exec_lo, exec_lo, s2
.LBB114_430:
	s_delay_alu instid0(SALU_CYCLE_1) | instskip(NEXT) | instid1(SALU_CYCLE_1)
	s_or_b32 exec_lo, exec_lo, s3
	s_mov_b32 s2, exec_lo
	v_cmpx_ne_u32_e64 v248, v240
	s_xor_b32 s2, exec_lo, s2
	s_cbranch_execz .LBB114_436
; %bb.431:
	s_mov_b32 s3, exec_lo
	v_cmpx_eq_u32_e32 20, v248
	s_cbranch_execz .LBB114_435
; %bb.432:
	v_cmp_ne_u32_e32 vcc_lo, 20, v240
	s_xor_b32 s4, s5, -1
	s_delay_alu instid0(SALU_CYCLE_1) | instskip(NEXT) | instid1(SALU_CYCLE_1)
	s_and_b32 s6, s4, vcc_lo
	s_and_saveexec_b32 s4, s6
	s_cbranch_execz .LBB114_434
; %bb.433:
	scratch_load_b64 v[208:209], off, off   ; 8-byte Folded Reload
	v_ashrrev_i32_e32 v241, 31, v240
	s_delay_alu instid0(VALU_DEP_1) | instskip(SKIP_1) | instid1(VALU_DEP_1)
	v_lshlrev_b64 v[212:213], 2, v[240:241]
	s_waitcnt vmcnt(0)
	v_add_co_u32 v212, vcc_lo, v208, v212
	s_delay_alu instid0(VALU_DEP_2)
	v_add_co_ci_u32_e32 v213, vcc_lo, v209, v213, vcc_lo
	s_clause 0x1
	flat_load_b32 v214, v[212:213]
	flat_load_b32 v215, v[208:209] offset:80
	s_waitcnt vmcnt(1) lgkmcnt(1)
	flat_store_b32 v[208:209], v214 offset:80
	s_waitcnt vmcnt(0) lgkmcnt(1)
	flat_store_b32 v[212:213], v215
.LBB114_434:
	s_or_b32 exec_lo, exec_lo, s4
	v_mov_b32_e32 v248, v240
	v_mov_b32_e32 v236, v240
.LBB114_435:
	s_or_b32 exec_lo, exec_lo, s3
.LBB114_436:
	s_and_not1_saveexec_b32 s2, s2
	s_cbranch_execz .LBB114_438
; %bb.437:
	v_mov_b32_e32 v248, 20
	ds_store_2addr_b64 v242, v[144:145], v[146:147] offset0:42 offset1:43
	ds_store_2addr_b64 v242, v[140:141], v[142:143] offset0:44 offset1:45
	;; [unrolled: 1-line block ×37, first 2 shown]
.LBB114_438:
	s_or_b32 exec_lo, exec_lo, s2
	s_delay_alu instid0(SALU_CYCLE_1)
	s_mov_b32 s2, exec_lo
	s_waitcnt lgkmcnt(0)
	s_waitcnt_vscnt null, 0x0
	s_barrier
	buffer_gl0_inv
	v_cmpx_lt_i32_e32 20, v248
	s_cbranch_execz .LBB114_440
; %bb.439:
	v_mul_f64 v[212:213], v[234:235], v[150:151]
	v_mul_f64 v[150:151], v[232:233], v[150:151]
	s_delay_alu instid0(VALU_DEP_2) | instskip(NEXT) | instid1(VALU_DEP_2)
	v_fma_f64 v[240:241], v[232:233], v[148:149], -v[212:213]
	v_fma_f64 v[150:151], v[234:235], v[148:149], v[150:151]
	ds_load_2addr_b64 v[232:235], v242 offset0:42 offset1:43
	s_waitcnt lgkmcnt(0)
	v_mul_f64 v[148:149], v[234:235], v[150:151]
	v_mul_f64 v[212:213], v[232:233], v[150:151]
	s_delay_alu instid0(VALU_DEP_2) | instskip(NEXT) | instid1(VALU_DEP_2)
	v_fma_f64 v[148:149], v[232:233], v[240:241], -v[148:149]
	v_fma_f64 v[212:213], v[234:235], v[240:241], v[212:213]
	ds_load_2addr_b64 v[232:235], v242 offset0:44 offset1:45
	v_add_f64 v[144:145], v[144:145], -v[148:149]
	v_add_f64 v[146:147], v[146:147], -v[212:213]
	s_waitcnt lgkmcnt(0)
	v_mul_f64 v[148:149], v[234:235], v[150:151]
	v_mul_f64 v[212:213], v[232:233], v[150:151]
	s_delay_alu instid0(VALU_DEP_2) | instskip(NEXT) | instid1(VALU_DEP_2)
	v_fma_f64 v[148:149], v[232:233], v[240:241], -v[148:149]
	v_fma_f64 v[212:213], v[234:235], v[240:241], v[212:213]
	ds_load_2addr_b64 v[232:235], v242 offset0:46 offset1:47
	v_add_f64 v[140:141], v[140:141], -v[148:149]
	v_add_f64 v[142:143], v[142:143], -v[212:213]
	;; [unrolled: 9-line block ×36, first 2 shown]
	s_waitcnt lgkmcnt(0)
	v_mul_f64 v[148:149], v[234:235], v[150:151]
	v_mul_f64 v[212:213], v[232:233], v[150:151]
	s_delay_alu instid0(VALU_DEP_2) | instskip(NEXT) | instid1(VALU_DEP_2)
	v_fma_f64 v[148:149], v[232:233], v[240:241], -v[148:149]
	v_fma_f64 v[212:213], v[234:235], v[240:241], v[212:213]
	s_delay_alu instid0(VALU_DEP_2) | instskip(NEXT) | instid1(VALU_DEP_2)
	v_add_f64 v[0:1], v[0:1], -v[148:149]
	v_add_f64 v[2:3], v[2:3], -v[212:213]
	v_dual_mov_b32 v148, v240 :: v_dual_mov_b32 v149, v241
.LBB114_440:
	s_or_b32 exec_lo, exec_lo, s2
	v_lshl_add_u32 v212, v248, 4, v242
	s_barrier
	buffer_gl0_inv
	v_mov_b32_e32 v240, 21
	ds_store_2addr_b64 v212, v[144:145], v[146:147] offset1:1
	s_waitcnt lgkmcnt(0)
	s_barrier
	buffer_gl0_inv
	ds_load_2addr_b64 v[232:235], v242 offset0:42 offset1:43
	s_cmp_lt_i32 s12, 23
	s_cbranch_scc1 .LBB114_443
; %bb.441:
	v_add3_u32 v241, v246, 0, 0x160
	v_mov_b32_e32 v240, 21
	s_mov_b32 s6, 22
	s_set_inst_prefetch_distance 0x1
	.p2align	6
.LBB114_442:                            ; =>This Inner Loop Header: Depth=1
	ds_load_2addr_b64 v[249:252], v241 offset1:1
	s_waitcnt lgkmcnt(1)
	v_cmp_gt_f64_e32 vcc_lo, 0, v[232:233]
	v_cmp_gt_f64_e64 s2, 0, v[234:235]
	v_xor_b32_e32 v213, 0x80000000, v233
	v_xor_b32_e32 v217, 0x80000000, v235
	v_add_nc_u32_e32 v241, 16, v241
	s_waitcnt lgkmcnt(0)
	v_cmp_gt_f64_e64 s3, 0, v[249:250]
	v_cmp_gt_f64_e64 s4, 0, v[251:252]
	v_xor_b32_e32 v219, 0x80000000, v250
	v_mov_b32_e32 v212, v249
	v_xor_b32_e32 v220, 0x80000000, v252
	v_mov_b32_e32 v214, v251
	v_dual_cndmask_b32 v216, v233, v213 :: v_dual_cndmask_b32 v215, v232, v232
	v_cndmask_b32_e64 v218, v235, v217, s2
	v_cndmask_b32_e64 v217, v234, v234, s2
	s_delay_alu instid0(VALU_DEP_1) | instskip(SKIP_2) | instid1(VALU_DEP_1)
	v_add_f64 v[216:217], v[215:216], v[217:218]
	v_cndmask_b32_e64 v213, v250, v219, s3
	v_cndmask_b32_e64 v215, v252, v220, s4
	v_add_f64 v[212:213], v[212:213], v[214:215]
	s_delay_alu instid0(VALU_DEP_1)
	v_cmp_lt_f64_e32 vcc_lo, v[216:217], v[212:213]
	v_cndmask_b32_e32 v235, v235, v252, vcc_lo
	v_dual_cndmask_b32 v233, v233, v250 :: v_dual_cndmask_b32 v232, v232, v249
	v_cndmask_b32_e32 v234, v234, v251, vcc_lo
	v_cndmask_b32_e64 v240, v240, s6, vcc_lo
	s_add_i32 s6, s6, 1
	s_delay_alu instid0(SALU_CYCLE_1)
	s_cmp_lg_u32 s12, s6
	s_cbranch_scc1 .LBB114_442
.LBB114_443:
	s_set_inst_prefetch_distance 0x2
	s_waitcnt lgkmcnt(0)
	v_cmp_eq_f64_e32 vcc_lo, 0, v[232:233]
	v_cmp_eq_f64_e64 s2, 0, v[234:235]
	s_delay_alu instid0(VALU_DEP_1) | instskip(NEXT) | instid1(SALU_CYCLE_1)
	s_and_b32 s2, vcc_lo, s2
	s_and_saveexec_b32 s3, s2
	s_delay_alu instid0(SALU_CYCLE_1)
	s_xor_b32 s2, exec_lo, s3
; %bb.444:
	v_cmp_ne_u32_e32 vcc_lo, 0, v245
	v_cndmask_b32_e32 v245, 22, v245, vcc_lo
; %bb.445:
	s_and_not1_saveexec_b32 s3, s2
	s_cbranch_execz .LBB114_451
; %bb.446:
	v_cmp_gt_f64_e32 vcc_lo, 0, v[232:233]
	v_cmp_gt_f64_e64 s2, 0, v[234:235]
	v_xor_b32_e32 v212, 0x80000000, v233
	v_xor_b32_e32 v214, 0x80000000, v235
	s_delay_alu instid0(VALU_DEP_2) | instskip(NEXT) | instid1(VALU_DEP_2)
	v_cndmask_b32_e32 v213, v233, v212, vcc_lo
	v_cndmask_b32_e64 v215, v235, v214, s2
	v_cndmask_b32_e32 v212, v232, v232, vcc_lo
	v_cndmask_b32_e64 v214, v234, v234, s2
	s_mov_b32 s2, exec_lo
	s_delay_alu instid0(VALU_DEP_1)
	v_cmpx_ngt_f64_e32 v[212:213], v[214:215]
	s_xor_b32 s2, exec_lo, s2
	s_cbranch_execz .LBB114_448
; %bb.447:
	v_div_scale_f64 v[212:213], null, v[234:235], v[234:235], v[232:233]
	v_div_scale_f64 v[218:219], vcc_lo, v[232:233], v[234:235], v[232:233]
	s_delay_alu instid0(VALU_DEP_2) | instskip(SKIP_2) | instid1(VALU_DEP_1)
	v_rcp_f64_e32 v[214:215], v[212:213]
	s_waitcnt_depctr 0xfff
	v_fma_f64 v[216:217], -v[212:213], v[214:215], 1.0
	v_fma_f64 v[214:215], v[214:215], v[216:217], v[214:215]
	s_delay_alu instid0(VALU_DEP_1) | instskip(NEXT) | instid1(VALU_DEP_1)
	v_fma_f64 v[216:217], -v[212:213], v[214:215], 1.0
	v_fma_f64 v[214:215], v[214:215], v[216:217], v[214:215]
	s_delay_alu instid0(VALU_DEP_1) | instskip(NEXT) | instid1(VALU_DEP_1)
	v_mul_f64 v[216:217], v[218:219], v[214:215]
	v_fma_f64 v[212:213], -v[212:213], v[216:217], v[218:219]
	s_delay_alu instid0(VALU_DEP_1) | instskip(NEXT) | instid1(VALU_DEP_1)
	v_div_fmas_f64 v[212:213], v[212:213], v[214:215], v[216:217]
	v_div_fixup_f64 v[212:213], v[212:213], v[234:235], v[232:233]
	s_delay_alu instid0(VALU_DEP_1) | instskip(NEXT) | instid1(VALU_DEP_1)
	v_fma_f64 v[214:215], v[232:233], v[212:213], v[234:235]
	v_div_scale_f64 v[216:217], null, v[214:215], v[214:215], 1.0
	s_delay_alu instid0(VALU_DEP_1) | instskip(SKIP_2) | instid1(VALU_DEP_1)
	v_rcp_f64_e32 v[218:219], v[216:217]
	s_waitcnt_depctr 0xfff
	v_fma_f64 v[220:221], -v[216:217], v[218:219], 1.0
	v_fma_f64 v[218:219], v[218:219], v[220:221], v[218:219]
	s_delay_alu instid0(VALU_DEP_1) | instskip(NEXT) | instid1(VALU_DEP_1)
	v_fma_f64 v[220:221], -v[216:217], v[218:219], 1.0
	v_fma_f64 v[218:219], v[218:219], v[220:221], v[218:219]
	v_div_scale_f64 v[220:221], vcc_lo, 1.0, v[214:215], 1.0
	s_delay_alu instid0(VALU_DEP_1) | instskip(NEXT) | instid1(VALU_DEP_1)
	v_mul_f64 v[222:223], v[220:221], v[218:219]
	v_fma_f64 v[216:217], -v[216:217], v[222:223], v[220:221]
	s_delay_alu instid0(VALU_DEP_1) | instskip(NEXT) | instid1(VALU_DEP_1)
	v_div_fmas_f64 v[216:217], v[216:217], v[218:219], v[222:223]
	v_div_fixup_f64 v[234:235], v[216:217], v[214:215], 1.0
	s_delay_alu instid0(VALU_DEP_1)
	v_mul_f64 v[232:233], v[212:213], v[234:235]
	v_xor_b32_e32 v235, 0x80000000, v235
.LBB114_448:
	s_and_not1_saveexec_b32 s2, s2
	s_cbranch_execz .LBB114_450
; %bb.449:
	s_delay_alu instid0(VALU_DEP_1) | instskip(SKIP_1) | instid1(VALU_DEP_2)
	v_div_scale_f64 v[212:213], null, v[232:233], v[232:233], v[234:235]
	v_div_scale_f64 v[218:219], vcc_lo, v[234:235], v[232:233], v[234:235]
	v_rcp_f64_e32 v[214:215], v[212:213]
	s_waitcnt_depctr 0xfff
	v_fma_f64 v[216:217], -v[212:213], v[214:215], 1.0
	s_delay_alu instid0(VALU_DEP_1) | instskip(NEXT) | instid1(VALU_DEP_1)
	v_fma_f64 v[214:215], v[214:215], v[216:217], v[214:215]
	v_fma_f64 v[216:217], -v[212:213], v[214:215], 1.0
	s_delay_alu instid0(VALU_DEP_1) | instskip(NEXT) | instid1(VALU_DEP_1)
	v_fma_f64 v[214:215], v[214:215], v[216:217], v[214:215]
	v_mul_f64 v[216:217], v[218:219], v[214:215]
	s_delay_alu instid0(VALU_DEP_1) | instskip(NEXT) | instid1(VALU_DEP_1)
	v_fma_f64 v[212:213], -v[212:213], v[216:217], v[218:219]
	v_div_fmas_f64 v[212:213], v[212:213], v[214:215], v[216:217]
	s_delay_alu instid0(VALU_DEP_1) | instskip(NEXT) | instid1(VALU_DEP_1)
	v_div_fixup_f64 v[212:213], v[212:213], v[232:233], v[234:235]
	v_fma_f64 v[214:215], v[234:235], v[212:213], v[232:233]
	s_delay_alu instid0(VALU_DEP_1) | instskip(NEXT) | instid1(VALU_DEP_1)
	v_div_scale_f64 v[216:217], null, v[214:215], v[214:215], 1.0
	v_rcp_f64_e32 v[218:219], v[216:217]
	s_waitcnt_depctr 0xfff
	v_fma_f64 v[220:221], -v[216:217], v[218:219], 1.0
	s_delay_alu instid0(VALU_DEP_1) | instskip(NEXT) | instid1(VALU_DEP_1)
	v_fma_f64 v[218:219], v[218:219], v[220:221], v[218:219]
	v_fma_f64 v[220:221], -v[216:217], v[218:219], 1.0
	s_delay_alu instid0(VALU_DEP_1) | instskip(SKIP_1) | instid1(VALU_DEP_1)
	v_fma_f64 v[218:219], v[218:219], v[220:221], v[218:219]
	v_div_scale_f64 v[220:221], vcc_lo, 1.0, v[214:215], 1.0
	v_mul_f64 v[222:223], v[220:221], v[218:219]
	s_delay_alu instid0(VALU_DEP_1) | instskip(NEXT) | instid1(VALU_DEP_1)
	v_fma_f64 v[216:217], -v[216:217], v[222:223], v[220:221]
	v_div_fmas_f64 v[216:217], v[216:217], v[218:219], v[222:223]
	s_delay_alu instid0(VALU_DEP_1) | instskip(NEXT) | instid1(VALU_DEP_1)
	v_div_fixup_f64 v[232:233], v[216:217], v[214:215], 1.0
	v_mul_f64 v[234:235], v[212:213], -v[232:233]
.LBB114_450:
	s_or_b32 exec_lo, exec_lo, s2
.LBB114_451:
	s_delay_alu instid0(SALU_CYCLE_1) | instskip(NEXT) | instid1(SALU_CYCLE_1)
	s_or_b32 exec_lo, exec_lo, s3
	s_mov_b32 s2, exec_lo
	v_cmpx_ne_u32_e64 v248, v240
	s_xor_b32 s2, exec_lo, s2
	s_cbranch_execz .LBB114_457
; %bb.452:
	s_mov_b32 s3, exec_lo
	v_cmpx_eq_u32_e32 21, v248
	s_cbranch_execz .LBB114_456
; %bb.453:
	v_cmp_ne_u32_e32 vcc_lo, 21, v240
	s_xor_b32 s4, s5, -1
	s_delay_alu instid0(SALU_CYCLE_1) | instskip(NEXT) | instid1(SALU_CYCLE_1)
	s_and_b32 s6, s4, vcc_lo
	s_and_saveexec_b32 s4, s6
	s_cbranch_execz .LBB114_455
; %bb.454:
	scratch_load_b64 v[208:209], off, off   ; 8-byte Folded Reload
	v_ashrrev_i32_e32 v241, 31, v240
	s_delay_alu instid0(VALU_DEP_1) | instskip(SKIP_1) | instid1(VALU_DEP_1)
	v_lshlrev_b64 v[212:213], 2, v[240:241]
	s_waitcnt vmcnt(0)
	v_add_co_u32 v212, vcc_lo, v208, v212
	s_delay_alu instid0(VALU_DEP_2)
	v_add_co_ci_u32_e32 v213, vcc_lo, v209, v213, vcc_lo
	s_clause 0x1
	flat_load_b32 v214, v[212:213]
	flat_load_b32 v215, v[208:209] offset:84
	s_waitcnt vmcnt(1) lgkmcnt(1)
	flat_store_b32 v[208:209], v214 offset:84
	s_waitcnt vmcnt(0) lgkmcnt(1)
	flat_store_b32 v[212:213], v215
.LBB114_455:
	s_or_b32 exec_lo, exec_lo, s4
	v_mov_b32_e32 v248, v240
	v_mov_b32_e32 v236, v240
.LBB114_456:
	s_or_b32 exec_lo, exec_lo, s3
.LBB114_457:
	s_and_not1_saveexec_b32 s2, s2
	s_cbranch_execz .LBB114_459
; %bb.458:
	v_mov_b32_e32 v248, 21
	ds_store_2addr_b64 v242, v[140:141], v[142:143] offset0:44 offset1:45
	ds_store_2addr_b64 v242, v[136:137], v[138:139] offset0:46 offset1:47
	;; [unrolled: 1-line block ×36, first 2 shown]
.LBB114_459:
	s_or_b32 exec_lo, exec_lo, s2
	s_delay_alu instid0(SALU_CYCLE_1)
	s_mov_b32 s2, exec_lo
	s_waitcnt lgkmcnt(0)
	s_waitcnt_vscnt null, 0x0
	s_barrier
	buffer_gl0_inv
	v_cmpx_lt_i32_e32 21, v248
	s_cbranch_execz .LBB114_461
; %bb.460:
	v_mul_f64 v[212:213], v[234:235], v[146:147]
	v_mul_f64 v[146:147], v[232:233], v[146:147]
	s_delay_alu instid0(VALU_DEP_2) | instskip(NEXT) | instid1(VALU_DEP_2)
	v_fma_f64 v[240:241], v[232:233], v[144:145], -v[212:213]
	v_fma_f64 v[146:147], v[234:235], v[144:145], v[146:147]
	ds_load_2addr_b64 v[232:235], v242 offset0:44 offset1:45
	s_waitcnt lgkmcnt(0)
	v_mul_f64 v[144:145], v[234:235], v[146:147]
	v_mul_f64 v[212:213], v[232:233], v[146:147]
	s_delay_alu instid0(VALU_DEP_2) | instskip(NEXT) | instid1(VALU_DEP_2)
	v_fma_f64 v[144:145], v[232:233], v[240:241], -v[144:145]
	v_fma_f64 v[212:213], v[234:235], v[240:241], v[212:213]
	ds_load_2addr_b64 v[232:235], v242 offset0:46 offset1:47
	v_add_f64 v[140:141], v[140:141], -v[144:145]
	v_add_f64 v[142:143], v[142:143], -v[212:213]
	s_waitcnt lgkmcnt(0)
	v_mul_f64 v[144:145], v[234:235], v[146:147]
	v_mul_f64 v[212:213], v[232:233], v[146:147]
	s_delay_alu instid0(VALU_DEP_2) | instskip(NEXT) | instid1(VALU_DEP_2)
	v_fma_f64 v[144:145], v[232:233], v[240:241], -v[144:145]
	v_fma_f64 v[212:213], v[234:235], v[240:241], v[212:213]
	ds_load_2addr_b64 v[232:235], v242 offset0:48 offset1:49
	v_add_f64 v[136:137], v[136:137], -v[144:145]
	v_add_f64 v[138:139], v[138:139], -v[212:213]
	;; [unrolled: 9-line block ×35, first 2 shown]
	s_waitcnt lgkmcnt(0)
	v_mul_f64 v[144:145], v[234:235], v[146:147]
	v_mul_f64 v[212:213], v[232:233], v[146:147]
	s_delay_alu instid0(VALU_DEP_2) | instskip(NEXT) | instid1(VALU_DEP_2)
	v_fma_f64 v[144:145], v[232:233], v[240:241], -v[144:145]
	v_fma_f64 v[212:213], v[234:235], v[240:241], v[212:213]
	s_delay_alu instid0(VALU_DEP_2) | instskip(NEXT) | instid1(VALU_DEP_2)
	v_add_f64 v[0:1], v[0:1], -v[144:145]
	v_add_f64 v[2:3], v[2:3], -v[212:213]
	v_dual_mov_b32 v144, v240 :: v_dual_mov_b32 v145, v241
.LBB114_461:
	s_or_b32 exec_lo, exec_lo, s2
	v_lshl_add_u32 v212, v248, 4, v242
	s_barrier
	buffer_gl0_inv
	v_mov_b32_e32 v240, 22
	ds_store_2addr_b64 v212, v[140:141], v[142:143] offset1:1
	s_waitcnt lgkmcnt(0)
	s_barrier
	buffer_gl0_inv
	ds_load_2addr_b64 v[232:235], v242 offset0:44 offset1:45
	s_cmp_lt_i32 s12, 24
	s_cbranch_scc1 .LBB114_464
; %bb.462:
	v_add3_u32 v241, v246, 0, 0x170
	v_mov_b32_e32 v240, 22
	s_mov_b32 s6, 23
	s_set_inst_prefetch_distance 0x1
	.p2align	6
.LBB114_463:                            ; =>This Inner Loop Header: Depth=1
	ds_load_2addr_b64 v[249:252], v241 offset1:1
	s_waitcnt lgkmcnt(1)
	v_cmp_gt_f64_e32 vcc_lo, 0, v[232:233]
	v_cmp_gt_f64_e64 s2, 0, v[234:235]
	v_xor_b32_e32 v213, 0x80000000, v233
	v_xor_b32_e32 v217, 0x80000000, v235
	v_add_nc_u32_e32 v241, 16, v241
	s_waitcnt lgkmcnt(0)
	v_cmp_gt_f64_e64 s3, 0, v[249:250]
	v_cmp_gt_f64_e64 s4, 0, v[251:252]
	v_xor_b32_e32 v219, 0x80000000, v250
	v_mov_b32_e32 v212, v249
	v_xor_b32_e32 v220, 0x80000000, v252
	v_mov_b32_e32 v214, v251
	v_dual_cndmask_b32 v216, v233, v213 :: v_dual_cndmask_b32 v215, v232, v232
	v_cndmask_b32_e64 v218, v235, v217, s2
	v_cndmask_b32_e64 v217, v234, v234, s2
	s_delay_alu instid0(VALU_DEP_1) | instskip(SKIP_2) | instid1(VALU_DEP_1)
	v_add_f64 v[216:217], v[215:216], v[217:218]
	v_cndmask_b32_e64 v213, v250, v219, s3
	v_cndmask_b32_e64 v215, v252, v220, s4
	v_add_f64 v[212:213], v[212:213], v[214:215]
	s_delay_alu instid0(VALU_DEP_1)
	v_cmp_lt_f64_e32 vcc_lo, v[216:217], v[212:213]
	v_cndmask_b32_e32 v235, v235, v252, vcc_lo
	v_dual_cndmask_b32 v233, v233, v250 :: v_dual_cndmask_b32 v232, v232, v249
	v_cndmask_b32_e32 v234, v234, v251, vcc_lo
	v_cndmask_b32_e64 v240, v240, s6, vcc_lo
	s_add_i32 s6, s6, 1
	s_delay_alu instid0(SALU_CYCLE_1)
	s_cmp_lg_u32 s12, s6
	s_cbranch_scc1 .LBB114_463
.LBB114_464:
	s_set_inst_prefetch_distance 0x2
	s_waitcnt lgkmcnt(0)
	v_cmp_eq_f64_e32 vcc_lo, 0, v[232:233]
	v_cmp_eq_f64_e64 s2, 0, v[234:235]
	s_delay_alu instid0(VALU_DEP_1) | instskip(NEXT) | instid1(SALU_CYCLE_1)
	s_and_b32 s2, vcc_lo, s2
	s_and_saveexec_b32 s3, s2
	s_delay_alu instid0(SALU_CYCLE_1)
	s_xor_b32 s2, exec_lo, s3
; %bb.465:
	v_cmp_ne_u32_e32 vcc_lo, 0, v245
	v_cndmask_b32_e32 v245, 23, v245, vcc_lo
; %bb.466:
	s_and_not1_saveexec_b32 s3, s2
	s_cbranch_execz .LBB114_472
; %bb.467:
	v_cmp_gt_f64_e32 vcc_lo, 0, v[232:233]
	v_cmp_gt_f64_e64 s2, 0, v[234:235]
	v_xor_b32_e32 v212, 0x80000000, v233
	v_xor_b32_e32 v214, 0x80000000, v235
	s_delay_alu instid0(VALU_DEP_2) | instskip(NEXT) | instid1(VALU_DEP_2)
	v_cndmask_b32_e32 v213, v233, v212, vcc_lo
	v_cndmask_b32_e64 v215, v235, v214, s2
	v_cndmask_b32_e32 v212, v232, v232, vcc_lo
	v_cndmask_b32_e64 v214, v234, v234, s2
	s_mov_b32 s2, exec_lo
	s_delay_alu instid0(VALU_DEP_1)
	v_cmpx_ngt_f64_e32 v[212:213], v[214:215]
	s_xor_b32 s2, exec_lo, s2
	s_cbranch_execz .LBB114_469
; %bb.468:
	v_div_scale_f64 v[212:213], null, v[234:235], v[234:235], v[232:233]
	v_div_scale_f64 v[218:219], vcc_lo, v[232:233], v[234:235], v[232:233]
	s_delay_alu instid0(VALU_DEP_2) | instskip(SKIP_2) | instid1(VALU_DEP_1)
	v_rcp_f64_e32 v[214:215], v[212:213]
	s_waitcnt_depctr 0xfff
	v_fma_f64 v[216:217], -v[212:213], v[214:215], 1.0
	v_fma_f64 v[214:215], v[214:215], v[216:217], v[214:215]
	s_delay_alu instid0(VALU_DEP_1) | instskip(NEXT) | instid1(VALU_DEP_1)
	v_fma_f64 v[216:217], -v[212:213], v[214:215], 1.0
	v_fma_f64 v[214:215], v[214:215], v[216:217], v[214:215]
	s_delay_alu instid0(VALU_DEP_1) | instskip(NEXT) | instid1(VALU_DEP_1)
	v_mul_f64 v[216:217], v[218:219], v[214:215]
	v_fma_f64 v[212:213], -v[212:213], v[216:217], v[218:219]
	s_delay_alu instid0(VALU_DEP_1) | instskip(NEXT) | instid1(VALU_DEP_1)
	v_div_fmas_f64 v[212:213], v[212:213], v[214:215], v[216:217]
	v_div_fixup_f64 v[212:213], v[212:213], v[234:235], v[232:233]
	s_delay_alu instid0(VALU_DEP_1) | instskip(NEXT) | instid1(VALU_DEP_1)
	v_fma_f64 v[214:215], v[232:233], v[212:213], v[234:235]
	v_div_scale_f64 v[216:217], null, v[214:215], v[214:215], 1.0
	s_delay_alu instid0(VALU_DEP_1) | instskip(SKIP_2) | instid1(VALU_DEP_1)
	v_rcp_f64_e32 v[218:219], v[216:217]
	s_waitcnt_depctr 0xfff
	v_fma_f64 v[220:221], -v[216:217], v[218:219], 1.0
	v_fma_f64 v[218:219], v[218:219], v[220:221], v[218:219]
	s_delay_alu instid0(VALU_DEP_1) | instskip(NEXT) | instid1(VALU_DEP_1)
	v_fma_f64 v[220:221], -v[216:217], v[218:219], 1.0
	v_fma_f64 v[218:219], v[218:219], v[220:221], v[218:219]
	v_div_scale_f64 v[220:221], vcc_lo, 1.0, v[214:215], 1.0
	s_delay_alu instid0(VALU_DEP_1) | instskip(NEXT) | instid1(VALU_DEP_1)
	v_mul_f64 v[222:223], v[220:221], v[218:219]
	v_fma_f64 v[216:217], -v[216:217], v[222:223], v[220:221]
	s_delay_alu instid0(VALU_DEP_1) | instskip(NEXT) | instid1(VALU_DEP_1)
	v_div_fmas_f64 v[216:217], v[216:217], v[218:219], v[222:223]
	v_div_fixup_f64 v[234:235], v[216:217], v[214:215], 1.0
	s_delay_alu instid0(VALU_DEP_1)
	v_mul_f64 v[232:233], v[212:213], v[234:235]
	v_xor_b32_e32 v235, 0x80000000, v235
.LBB114_469:
	s_and_not1_saveexec_b32 s2, s2
	s_cbranch_execz .LBB114_471
; %bb.470:
	s_delay_alu instid0(VALU_DEP_1) | instskip(SKIP_1) | instid1(VALU_DEP_2)
	v_div_scale_f64 v[212:213], null, v[232:233], v[232:233], v[234:235]
	v_div_scale_f64 v[218:219], vcc_lo, v[234:235], v[232:233], v[234:235]
	v_rcp_f64_e32 v[214:215], v[212:213]
	s_waitcnt_depctr 0xfff
	v_fma_f64 v[216:217], -v[212:213], v[214:215], 1.0
	s_delay_alu instid0(VALU_DEP_1) | instskip(NEXT) | instid1(VALU_DEP_1)
	v_fma_f64 v[214:215], v[214:215], v[216:217], v[214:215]
	v_fma_f64 v[216:217], -v[212:213], v[214:215], 1.0
	s_delay_alu instid0(VALU_DEP_1) | instskip(NEXT) | instid1(VALU_DEP_1)
	v_fma_f64 v[214:215], v[214:215], v[216:217], v[214:215]
	v_mul_f64 v[216:217], v[218:219], v[214:215]
	s_delay_alu instid0(VALU_DEP_1) | instskip(NEXT) | instid1(VALU_DEP_1)
	v_fma_f64 v[212:213], -v[212:213], v[216:217], v[218:219]
	v_div_fmas_f64 v[212:213], v[212:213], v[214:215], v[216:217]
	s_delay_alu instid0(VALU_DEP_1) | instskip(NEXT) | instid1(VALU_DEP_1)
	v_div_fixup_f64 v[212:213], v[212:213], v[232:233], v[234:235]
	v_fma_f64 v[214:215], v[234:235], v[212:213], v[232:233]
	s_delay_alu instid0(VALU_DEP_1) | instskip(NEXT) | instid1(VALU_DEP_1)
	v_div_scale_f64 v[216:217], null, v[214:215], v[214:215], 1.0
	v_rcp_f64_e32 v[218:219], v[216:217]
	s_waitcnt_depctr 0xfff
	v_fma_f64 v[220:221], -v[216:217], v[218:219], 1.0
	s_delay_alu instid0(VALU_DEP_1) | instskip(NEXT) | instid1(VALU_DEP_1)
	v_fma_f64 v[218:219], v[218:219], v[220:221], v[218:219]
	v_fma_f64 v[220:221], -v[216:217], v[218:219], 1.0
	s_delay_alu instid0(VALU_DEP_1) | instskip(SKIP_1) | instid1(VALU_DEP_1)
	v_fma_f64 v[218:219], v[218:219], v[220:221], v[218:219]
	v_div_scale_f64 v[220:221], vcc_lo, 1.0, v[214:215], 1.0
	v_mul_f64 v[222:223], v[220:221], v[218:219]
	s_delay_alu instid0(VALU_DEP_1) | instskip(NEXT) | instid1(VALU_DEP_1)
	v_fma_f64 v[216:217], -v[216:217], v[222:223], v[220:221]
	v_div_fmas_f64 v[216:217], v[216:217], v[218:219], v[222:223]
	s_delay_alu instid0(VALU_DEP_1) | instskip(NEXT) | instid1(VALU_DEP_1)
	v_div_fixup_f64 v[232:233], v[216:217], v[214:215], 1.0
	v_mul_f64 v[234:235], v[212:213], -v[232:233]
.LBB114_471:
	s_or_b32 exec_lo, exec_lo, s2
.LBB114_472:
	s_delay_alu instid0(SALU_CYCLE_1) | instskip(NEXT) | instid1(SALU_CYCLE_1)
	s_or_b32 exec_lo, exec_lo, s3
	s_mov_b32 s2, exec_lo
	v_cmpx_ne_u32_e64 v248, v240
	s_xor_b32 s2, exec_lo, s2
	s_cbranch_execz .LBB114_478
; %bb.473:
	s_mov_b32 s3, exec_lo
	v_cmpx_eq_u32_e32 22, v248
	s_cbranch_execz .LBB114_477
; %bb.474:
	v_cmp_ne_u32_e32 vcc_lo, 22, v240
	s_xor_b32 s4, s5, -1
	s_delay_alu instid0(SALU_CYCLE_1) | instskip(NEXT) | instid1(SALU_CYCLE_1)
	s_and_b32 s6, s4, vcc_lo
	s_and_saveexec_b32 s4, s6
	s_cbranch_execz .LBB114_476
; %bb.475:
	scratch_load_b64 v[208:209], off, off   ; 8-byte Folded Reload
	v_ashrrev_i32_e32 v241, 31, v240
	s_delay_alu instid0(VALU_DEP_1) | instskip(SKIP_1) | instid1(VALU_DEP_1)
	v_lshlrev_b64 v[212:213], 2, v[240:241]
	s_waitcnt vmcnt(0)
	v_add_co_u32 v212, vcc_lo, v208, v212
	s_delay_alu instid0(VALU_DEP_2)
	v_add_co_ci_u32_e32 v213, vcc_lo, v209, v213, vcc_lo
	s_clause 0x1
	flat_load_b32 v214, v[212:213]
	flat_load_b32 v215, v[208:209] offset:88
	s_waitcnt vmcnt(1) lgkmcnt(1)
	flat_store_b32 v[208:209], v214 offset:88
	s_waitcnt vmcnt(0) lgkmcnt(1)
	flat_store_b32 v[212:213], v215
.LBB114_476:
	s_or_b32 exec_lo, exec_lo, s4
	v_mov_b32_e32 v248, v240
	v_mov_b32_e32 v236, v240
.LBB114_477:
	s_or_b32 exec_lo, exec_lo, s3
.LBB114_478:
	s_and_not1_saveexec_b32 s2, s2
	s_cbranch_execz .LBB114_480
; %bb.479:
	v_mov_b32_e32 v248, 22
	ds_store_2addr_b64 v242, v[136:137], v[138:139] offset0:46 offset1:47
	ds_store_2addr_b64 v242, v[132:133], v[134:135] offset0:48 offset1:49
	;; [unrolled: 1-line block ×35, first 2 shown]
.LBB114_480:
	s_or_b32 exec_lo, exec_lo, s2
	s_delay_alu instid0(SALU_CYCLE_1)
	s_mov_b32 s2, exec_lo
	s_waitcnt lgkmcnt(0)
	s_waitcnt_vscnt null, 0x0
	s_barrier
	buffer_gl0_inv
	v_cmpx_lt_i32_e32 22, v248
	s_cbranch_execz .LBB114_482
; %bb.481:
	v_mul_f64 v[212:213], v[234:235], v[142:143]
	v_mul_f64 v[142:143], v[232:233], v[142:143]
	s_delay_alu instid0(VALU_DEP_2) | instskip(NEXT) | instid1(VALU_DEP_2)
	v_fma_f64 v[240:241], v[232:233], v[140:141], -v[212:213]
	v_fma_f64 v[142:143], v[234:235], v[140:141], v[142:143]
	ds_load_2addr_b64 v[232:235], v242 offset0:46 offset1:47
	s_waitcnt lgkmcnt(0)
	v_mul_f64 v[140:141], v[234:235], v[142:143]
	v_mul_f64 v[212:213], v[232:233], v[142:143]
	s_delay_alu instid0(VALU_DEP_2) | instskip(NEXT) | instid1(VALU_DEP_2)
	v_fma_f64 v[140:141], v[232:233], v[240:241], -v[140:141]
	v_fma_f64 v[212:213], v[234:235], v[240:241], v[212:213]
	ds_load_2addr_b64 v[232:235], v242 offset0:48 offset1:49
	v_add_f64 v[136:137], v[136:137], -v[140:141]
	v_add_f64 v[138:139], v[138:139], -v[212:213]
	s_waitcnt lgkmcnt(0)
	v_mul_f64 v[140:141], v[234:235], v[142:143]
	v_mul_f64 v[212:213], v[232:233], v[142:143]
	s_delay_alu instid0(VALU_DEP_2) | instskip(NEXT) | instid1(VALU_DEP_2)
	v_fma_f64 v[140:141], v[232:233], v[240:241], -v[140:141]
	v_fma_f64 v[212:213], v[234:235], v[240:241], v[212:213]
	ds_load_2addr_b64 v[232:235], v242 offset0:50 offset1:51
	v_add_f64 v[132:133], v[132:133], -v[140:141]
	v_add_f64 v[134:135], v[134:135], -v[212:213]
	;; [unrolled: 9-line block ×34, first 2 shown]
	s_waitcnt lgkmcnt(0)
	v_mul_f64 v[140:141], v[234:235], v[142:143]
	v_mul_f64 v[212:213], v[232:233], v[142:143]
	s_delay_alu instid0(VALU_DEP_2) | instskip(NEXT) | instid1(VALU_DEP_2)
	v_fma_f64 v[140:141], v[232:233], v[240:241], -v[140:141]
	v_fma_f64 v[212:213], v[234:235], v[240:241], v[212:213]
	s_delay_alu instid0(VALU_DEP_2) | instskip(NEXT) | instid1(VALU_DEP_2)
	v_add_f64 v[0:1], v[0:1], -v[140:141]
	v_add_f64 v[2:3], v[2:3], -v[212:213]
	v_dual_mov_b32 v140, v240 :: v_dual_mov_b32 v141, v241
.LBB114_482:
	s_or_b32 exec_lo, exec_lo, s2
	v_lshl_add_u32 v212, v248, 4, v242
	s_barrier
	buffer_gl0_inv
	v_mov_b32_e32 v240, 23
	ds_store_2addr_b64 v212, v[136:137], v[138:139] offset1:1
	s_waitcnt lgkmcnt(0)
	s_barrier
	buffer_gl0_inv
	ds_load_2addr_b64 v[232:235], v242 offset0:46 offset1:47
	s_cmp_lt_i32 s12, 25
	s_cbranch_scc1 .LBB114_485
; %bb.483:
	v_add3_u32 v241, v246, 0, 0x180
	v_mov_b32_e32 v240, 23
	s_mov_b32 s6, 24
	s_set_inst_prefetch_distance 0x1
	.p2align	6
.LBB114_484:                            ; =>This Inner Loop Header: Depth=1
	ds_load_2addr_b64 v[249:252], v241 offset1:1
	s_waitcnt lgkmcnt(1)
	v_cmp_gt_f64_e32 vcc_lo, 0, v[232:233]
	v_cmp_gt_f64_e64 s2, 0, v[234:235]
	v_xor_b32_e32 v213, 0x80000000, v233
	v_xor_b32_e32 v217, 0x80000000, v235
	v_add_nc_u32_e32 v241, 16, v241
	s_waitcnt lgkmcnt(0)
	v_cmp_gt_f64_e64 s3, 0, v[249:250]
	v_cmp_gt_f64_e64 s4, 0, v[251:252]
	v_xor_b32_e32 v219, 0x80000000, v250
	v_mov_b32_e32 v212, v249
	v_xor_b32_e32 v220, 0x80000000, v252
	v_mov_b32_e32 v214, v251
	v_dual_cndmask_b32 v216, v233, v213 :: v_dual_cndmask_b32 v215, v232, v232
	v_cndmask_b32_e64 v218, v235, v217, s2
	v_cndmask_b32_e64 v217, v234, v234, s2
	s_delay_alu instid0(VALU_DEP_1) | instskip(SKIP_2) | instid1(VALU_DEP_1)
	v_add_f64 v[216:217], v[215:216], v[217:218]
	v_cndmask_b32_e64 v213, v250, v219, s3
	v_cndmask_b32_e64 v215, v252, v220, s4
	v_add_f64 v[212:213], v[212:213], v[214:215]
	s_delay_alu instid0(VALU_DEP_1)
	v_cmp_lt_f64_e32 vcc_lo, v[216:217], v[212:213]
	v_cndmask_b32_e32 v235, v235, v252, vcc_lo
	v_dual_cndmask_b32 v233, v233, v250 :: v_dual_cndmask_b32 v232, v232, v249
	v_cndmask_b32_e32 v234, v234, v251, vcc_lo
	v_cndmask_b32_e64 v240, v240, s6, vcc_lo
	s_add_i32 s6, s6, 1
	s_delay_alu instid0(SALU_CYCLE_1)
	s_cmp_lg_u32 s12, s6
	s_cbranch_scc1 .LBB114_484
.LBB114_485:
	s_set_inst_prefetch_distance 0x2
	s_waitcnt lgkmcnt(0)
	v_cmp_eq_f64_e32 vcc_lo, 0, v[232:233]
	v_cmp_eq_f64_e64 s2, 0, v[234:235]
	s_delay_alu instid0(VALU_DEP_1) | instskip(NEXT) | instid1(SALU_CYCLE_1)
	s_and_b32 s2, vcc_lo, s2
	s_and_saveexec_b32 s3, s2
	s_delay_alu instid0(SALU_CYCLE_1)
	s_xor_b32 s2, exec_lo, s3
; %bb.486:
	v_cmp_ne_u32_e32 vcc_lo, 0, v245
	v_cndmask_b32_e32 v245, 24, v245, vcc_lo
; %bb.487:
	s_and_not1_saveexec_b32 s3, s2
	s_cbranch_execz .LBB114_493
; %bb.488:
	v_cmp_gt_f64_e32 vcc_lo, 0, v[232:233]
	v_cmp_gt_f64_e64 s2, 0, v[234:235]
	v_xor_b32_e32 v212, 0x80000000, v233
	v_xor_b32_e32 v214, 0x80000000, v235
	s_delay_alu instid0(VALU_DEP_2) | instskip(NEXT) | instid1(VALU_DEP_2)
	v_cndmask_b32_e32 v213, v233, v212, vcc_lo
	v_cndmask_b32_e64 v215, v235, v214, s2
	v_cndmask_b32_e32 v212, v232, v232, vcc_lo
	v_cndmask_b32_e64 v214, v234, v234, s2
	s_mov_b32 s2, exec_lo
	s_delay_alu instid0(VALU_DEP_1)
	v_cmpx_ngt_f64_e32 v[212:213], v[214:215]
	s_xor_b32 s2, exec_lo, s2
	s_cbranch_execz .LBB114_490
; %bb.489:
	v_div_scale_f64 v[212:213], null, v[234:235], v[234:235], v[232:233]
	v_div_scale_f64 v[218:219], vcc_lo, v[232:233], v[234:235], v[232:233]
	s_delay_alu instid0(VALU_DEP_2) | instskip(SKIP_2) | instid1(VALU_DEP_1)
	v_rcp_f64_e32 v[214:215], v[212:213]
	s_waitcnt_depctr 0xfff
	v_fma_f64 v[216:217], -v[212:213], v[214:215], 1.0
	v_fma_f64 v[214:215], v[214:215], v[216:217], v[214:215]
	s_delay_alu instid0(VALU_DEP_1) | instskip(NEXT) | instid1(VALU_DEP_1)
	v_fma_f64 v[216:217], -v[212:213], v[214:215], 1.0
	v_fma_f64 v[214:215], v[214:215], v[216:217], v[214:215]
	s_delay_alu instid0(VALU_DEP_1) | instskip(NEXT) | instid1(VALU_DEP_1)
	v_mul_f64 v[216:217], v[218:219], v[214:215]
	v_fma_f64 v[212:213], -v[212:213], v[216:217], v[218:219]
	s_delay_alu instid0(VALU_DEP_1) | instskip(NEXT) | instid1(VALU_DEP_1)
	v_div_fmas_f64 v[212:213], v[212:213], v[214:215], v[216:217]
	v_div_fixup_f64 v[212:213], v[212:213], v[234:235], v[232:233]
	s_delay_alu instid0(VALU_DEP_1) | instskip(NEXT) | instid1(VALU_DEP_1)
	v_fma_f64 v[214:215], v[232:233], v[212:213], v[234:235]
	v_div_scale_f64 v[216:217], null, v[214:215], v[214:215], 1.0
	s_delay_alu instid0(VALU_DEP_1) | instskip(SKIP_2) | instid1(VALU_DEP_1)
	v_rcp_f64_e32 v[218:219], v[216:217]
	s_waitcnt_depctr 0xfff
	v_fma_f64 v[220:221], -v[216:217], v[218:219], 1.0
	v_fma_f64 v[218:219], v[218:219], v[220:221], v[218:219]
	s_delay_alu instid0(VALU_DEP_1) | instskip(NEXT) | instid1(VALU_DEP_1)
	v_fma_f64 v[220:221], -v[216:217], v[218:219], 1.0
	v_fma_f64 v[218:219], v[218:219], v[220:221], v[218:219]
	v_div_scale_f64 v[220:221], vcc_lo, 1.0, v[214:215], 1.0
	s_delay_alu instid0(VALU_DEP_1) | instskip(NEXT) | instid1(VALU_DEP_1)
	v_mul_f64 v[222:223], v[220:221], v[218:219]
	v_fma_f64 v[216:217], -v[216:217], v[222:223], v[220:221]
	s_delay_alu instid0(VALU_DEP_1) | instskip(NEXT) | instid1(VALU_DEP_1)
	v_div_fmas_f64 v[216:217], v[216:217], v[218:219], v[222:223]
	v_div_fixup_f64 v[234:235], v[216:217], v[214:215], 1.0
	s_delay_alu instid0(VALU_DEP_1)
	v_mul_f64 v[232:233], v[212:213], v[234:235]
	v_xor_b32_e32 v235, 0x80000000, v235
.LBB114_490:
	s_and_not1_saveexec_b32 s2, s2
	s_cbranch_execz .LBB114_492
; %bb.491:
	s_delay_alu instid0(VALU_DEP_1) | instskip(SKIP_1) | instid1(VALU_DEP_2)
	v_div_scale_f64 v[212:213], null, v[232:233], v[232:233], v[234:235]
	v_div_scale_f64 v[218:219], vcc_lo, v[234:235], v[232:233], v[234:235]
	v_rcp_f64_e32 v[214:215], v[212:213]
	s_waitcnt_depctr 0xfff
	v_fma_f64 v[216:217], -v[212:213], v[214:215], 1.0
	s_delay_alu instid0(VALU_DEP_1) | instskip(NEXT) | instid1(VALU_DEP_1)
	v_fma_f64 v[214:215], v[214:215], v[216:217], v[214:215]
	v_fma_f64 v[216:217], -v[212:213], v[214:215], 1.0
	s_delay_alu instid0(VALU_DEP_1) | instskip(NEXT) | instid1(VALU_DEP_1)
	v_fma_f64 v[214:215], v[214:215], v[216:217], v[214:215]
	v_mul_f64 v[216:217], v[218:219], v[214:215]
	s_delay_alu instid0(VALU_DEP_1) | instskip(NEXT) | instid1(VALU_DEP_1)
	v_fma_f64 v[212:213], -v[212:213], v[216:217], v[218:219]
	v_div_fmas_f64 v[212:213], v[212:213], v[214:215], v[216:217]
	s_delay_alu instid0(VALU_DEP_1) | instskip(NEXT) | instid1(VALU_DEP_1)
	v_div_fixup_f64 v[212:213], v[212:213], v[232:233], v[234:235]
	v_fma_f64 v[214:215], v[234:235], v[212:213], v[232:233]
	s_delay_alu instid0(VALU_DEP_1) | instskip(NEXT) | instid1(VALU_DEP_1)
	v_div_scale_f64 v[216:217], null, v[214:215], v[214:215], 1.0
	v_rcp_f64_e32 v[218:219], v[216:217]
	s_waitcnt_depctr 0xfff
	v_fma_f64 v[220:221], -v[216:217], v[218:219], 1.0
	s_delay_alu instid0(VALU_DEP_1) | instskip(NEXT) | instid1(VALU_DEP_1)
	v_fma_f64 v[218:219], v[218:219], v[220:221], v[218:219]
	v_fma_f64 v[220:221], -v[216:217], v[218:219], 1.0
	s_delay_alu instid0(VALU_DEP_1) | instskip(SKIP_1) | instid1(VALU_DEP_1)
	v_fma_f64 v[218:219], v[218:219], v[220:221], v[218:219]
	v_div_scale_f64 v[220:221], vcc_lo, 1.0, v[214:215], 1.0
	v_mul_f64 v[222:223], v[220:221], v[218:219]
	s_delay_alu instid0(VALU_DEP_1) | instskip(NEXT) | instid1(VALU_DEP_1)
	v_fma_f64 v[216:217], -v[216:217], v[222:223], v[220:221]
	v_div_fmas_f64 v[216:217], v[216:217], v[218:219], v[222:223]
	s_delay_alu instid0(VALU_DEP_1) | instskip(NEXT) | instid1(VALU_DEP_1)
	v_div_fixup_f64 v[232:233], v[216:217], v[214:215], 1.0
	v_mul_f64 v[234:235], v[212:213], -v[232:233]
.LBB114_492:
	s_or_b32 exec_lo, exec_lo, s2
.LBB114_493:
	s_delay_alu instid0(SALU_CYCLE_1) | instskip(NEXT) | instid1(SALU_CYCLE_1)
	s_or_b32 exec_lo, exec_lo, s3
	s_mov_b32 s2, exec_lo
	v_cmpx_ne_u32_e64 v248, v240
	s_xor_b32 s2, exec_lo, s2
	s_cbranch_execz .LBB114_499
; %bb.494:
	s_mov_b32 s3, exec_lo
	v_cmpx_eq_u32_e32 23, v248
	s_cbranch_execz .LBB114_498
; %bb.495:
	v_cmp_ne_u32_e32 vcc_lo, 23, v240
	s_xor_b32 s4, s5, -1
	s_delay_alu instid0(SALU_CYCLE_1) | instskip(NEXT) | instid1(SALU_CYCLE_1)
	s_and_b32 s6, s4, vcc_lo
	s_and_saveexec_b32 s4, s6
	s_cbranch_execz .LBB114_497
; %bb.496:
	scratch_load_b64 v[208:209], off, off   ; 8-byte Folded Reload
	v_ashrrev_i32_e32 v241, 31, v240
	s_delay_alu instid0(VALU_DEP_1) | instskip(SKIP_1) | instid1(VALU_DEP_1)
	v_lshlrev_b64 v[212:213], 2, v[240:241]
	s_waitcnt vmcnt(0)
	v_add_co_u32 v212, vcc_lo, v208, v212
	s_delay_alu instid0(VALU_DEP_2)
	v_add_co_ci_u32_e32 v213, vcc_lo, v209, v213, vcc_lo
	s_clause 0x1
	flat_load_b32 v214, v[212:213]
	flat_load_b32 v215, v[208:209] offset:92
	s_waitcnt vmcnt(1) lgkmcnt(1)
	flat_store_b32 v[208:209], v214 offset:92
	s_waitcnt vmcnt(0) lgkmcnt(1)
	flat_store_b32 v[212:213], v215
.LBB114_497:
	s_or_b32 exec_lo, exec_lo, s4
	v_mov_b32_e32 v248, v240
	v_mov_b32_e32 v236, v240
.LBB114_498:
	s_or_b32 exec_lo, exec_lo, s3
.LBB114_499:
	s_and_not1_saveexec_b32 s2, s2
	s_cbranch_execz .LBB114_501
; %bb.500:
	v_mov_b32_e32 v248, 23
	ds_store_2addr_b64 v242, v[132:133], v[134:135] offset0:48 offset1:49
	ds_store_2addr_b64 v242, v[128:129], v[130:131] offset0:50 offset1:51
	;; [unrolled: 1-line block ×34, first 2 shown]
.LBB114_501:
	s_or_b32 exec_lo, exec_lo, s2
	s_delay_alu instid0(SALU_CYCLE_1)
	s_mov_b32 s2, exec_lo
	s_waitcnt lgkmcnt(0)
	s_waitcnt_vscnt null, 0x0
	s_barrier
	buffer_gl0_inv
	v_cmpx_lt_i32_e32 23, v248
	s_cbranch_execz .LBB114_503
; %bb.502:
	v_mul_f64 v[212:213], v[234:235], v[138:139]
	v_mul_f64 v[138:139], v[232:233], v[138:139]
	s_delay_alu instid0(VALU_DEP_2) | instskip(NEXT) | instid1(VALU_DEP_2)
	v_fma_f64 v[240:241], v[232:233], v[136:137], -v[212:213]
	v_fma_f64 v[138:139], v[234:235], v[136:137], v[138:139]
	ds_load_2addr_b64 v[232:235], v242 offset0:48 offset1:49
	s_waitcnt lgkmcnt(0)
	v_mul_f64 v[136:137], v[234:235], v[138:139]
	v_mul_f64 v[212:213], v[232:233], v[138:139]
	s_delay_alu instid0(VALU_DEP_2) | instskip(NEXT) | instid1(VALU_DEP_2)
	v_fma_f64 v[136:137], v[232:233], v[240:241], -v[136:137]
	v_fma_f64 v[212:213], v[234:235], v[240:241], v[212:213]
	ds_load_2addr_b64 v[232:235], v242 offset0:50 offset1:51
	v_add_f64 v[132:133], v[132:133], -v[136:137]
	v_add_f64 v[134:135], v[134:135], -v[212:213]
	s_waitcnt lgkmcnt(0)
	v_mul_f64 v[136:137], v[234:235], v[138:139]
	v_mul_f64 v[212:213], v[232:233], v[138:139]
	s_delay_alu instid0(VALU_DEP_2) | instskip(NEXT) | instid1(VALU_DEP_2)
	v_fma_f64 v[136:137], v[232:233], v[240:241], -v[136:137]
	v_fma_f64 v[212:213], v[234:235], v[240:241], v[212:213]
	ds_load_2addr_b64 v[232:235], v242 offset0:52 offset1:53
	v_add_f64 v[128:129], v[128:129], -v[136:137]
	v_add_f64 v[130:131], v[130:131], -v[212:213]
	;; [unrolled: 9-line block ×33, first 2 shown]
	s_waitcnt lgkmcnt(0)
	v_mul_f64 v[136:137], v[234:235], v[138:139]
	v_mul_f64 v[212:213], v[232:233], v[138:139]
	s_delay_alu instid0(VALU_DEP_2) | instskip(NEXT) | instid1(VALU_DEP_2)
	v_fma_f64 v[136:137], v[232:233], v[240:241], -v[136:137]
	v_fma_f64 v[212:213], v[234:235], v[240:241], v[212:213]
	s_delay_alu instid0(VALU_DEP_2) | instskip(NEXT) | instid1(VALU_DEP_2)
	v_add_f64 v[0:1], v[0:1], -v[136:137]
	v_add_f64 v[2:3], v[2:3], -v[212:213]
	v_dual_mov_b32 v136, v240 :: v_dual_mov_b32 v137, v241
.LBB114_503:
	s_or_b32 exec_lo, exec_lo, s2
	v_lshl_add_u32 v212, v248, 4, v242
	s_barrier
	buffer_gl0_inv
	v_mov_b32_e32 v240, 24
	ds_store_2addr_b64 v212, v[132:133], v[134:135] offset1:1
	s_waitcnt lgkmcnt(0)
	s_barrier
	buffer_gl0_inv
	ds_load_2addr_b64 v[232:235], v242 offset0:48 offset1:49
	s_cmp_lt_i32 s12, 26
	s_cbranch_scc1 .LBB114_506
; %bb.504:
	v_add3_u32 v241, v246, 0, 0x190
	v_mov_b32_e32 v240, 24
	s_mov_b32 s2, 25
	s_set_inst_prefetch_distance 0x1
	.p2align	6
.LBB114_505:                            ; =>This Inner Loop Header: Depth=1
	s_waitcnt lgkmcnt(0)
	v_cmp_gt_f64_e32 vcc_lo, 0, v[232:233]
	v_xor_b32_e32 v212, 0x80000000, v233
	v_xor_b32_e32 v214, 0x80000000, v235
	ds_load_2addr_b64 v[249:252], v241 offset1:1
	v_add_nc_u32_e32 v241, 16, v241
	s_waitcnt lgkmcnt(0)
	v_xor_b32_e32 v216, 0x80000000, v252
	v_cndmask_b32_e32 v213, v233, v212, vcc_lo
	v_cndmask_b32_e32 v212, v232, v232, vcc_lo
	v_cmp_gt_f64_e32 vcc_lo, 0, v[234:235]
	v_cndmask_b32_e32 v215, v235, v214, vcc_lo
	v_cndmask_b32_e32 v214, v234, v234, vcc_lo
	v_cmp_gt_f64_e32 vcc_lo, 0, v[249:250]
	s_delay_alu instid0(VALU_DEP_2) | instskip(SKIP_1) | instid1(VALU_DEP_1)
	v_add_f64 v[212:213], v[212:213], v[214:215]
	v_xor_b32_e32 v214, 0x80000000, v250
	v_dual_cndmask_b32 v215, v250, v214 :: v_dual_mov_b32 v214, v249
	v_cmp_gt_f64_e32 vcc_lo, 0, v[251:252]
	v_dual_cndmask_b32 v217, v252, v216 :: v_dual_mov_b32 v216, v251
	s_delay_alu instid0(VALU_DEP_1) | instskip(NEXT) | instid1(VALU_DEP_1)
	v_add_f64 v[214:215], v[214:215], v[216:217]
	v_cmp_lt_f64_e32 vcc_lo, v[212:213], v[214:215]
	v_dual_cndmask_b32 v233, v233, v250 :: v_dual_cndmask_b32 v232, v232, v249
	v_dual_cndmask_b32 v235, v235, v252 :: v_dual_cndmask_b32 v234, v234, v251
	v_cndmask_b32_e64 v240, v240, s2, vcc_lo
	s_add_i32 s2, s2, 1
	s_delay_alu instid0(SALU_CYCLE_1)
	s_cmp_lg_u32 s12, s2
	s_cbranch_scc1 .LBB114_505
.LBB114_506:
	s_set_inst_prefetch_distance 0x2
	s_waitcnt lgkmcnt(0)
	v_cmp_eq_f64_e32 vcc_lo, 0, v[232:233]
	v_cmp_eq_f64_e64 s2, 0, v[234:235]
	s_delay_alu instid0(VALU_DEP_1) | instskip(NEXT) | instid1(SALU_CYCLE_1)
	s_and_b32 s2, vcc_lo, s2
	s_and_saveexec_b32 s3, s2
	s_delay_alu instid0(SALU_CYCLE_1)
	s_xor_b32 s2, exec_lo, s3
; %bb.507:
	v_cmp_ne_u32_e32 vcc_lo, 0, v245
	v_cndmask_b32_e32 v245, 25, v245, vcc_lo
; %bb.508:
	s_and_not1_saveexec_b32 s3, s2
	s_cbranch_execz .LBB114_514
; %bb.509:
	v_cmp_gt_f64_e32 vcc_lo, 0, v[232:233]
	v_cmp_gt_f64_e64 s2, 0, v[234:235]
	v_xor_b32_e32 v212, 0x80000000, v233
	v_xor_b32_e32 v214, 0x80000000, v235
	s_delay_alu instid0(VALU_DEP_2) | instskip(NEXT) | instid1(VALU_DEP_2)
	v_cndmask_b32_e32 v213, v233, v212, vcc_lo
	v_cndmask_b32_e64 v215, v235, v214, s2
	v_cndmask_b32_e32 v212, v232, v232, vcc_lo
	v_cndmask_b32_e64 v214, v234, v234, s2
	s_mov_b32 s2, exec_lo
	s_delay_alu instid0(VALU_DEP_1)
	v_cmpx_ngt_f64_e32 v[212:213], v[214:215]
	s_xor_b32 s2, exec_lo, s2
	s_cbranch_execz .LBB114_511
; %bb.510:
	v_div_scale_f64 v[212:213], null, v[234:235], v[234:235], v[232:233]
	v_div_scale_f64 v[218:219], vcc_lo, v[232:233], v[234:235], v[232:233]
	s_delay_alu instid0(VALU_DEP_2) | instskip(SKIP_2) | instid1(VALU_DEP_1)
	v_rcp_f64_e32 v[214:215], v[212:213]
	s_waitcnt_depctr 0xfff
	v_fma_f64 v[216:217], -v[212:213], v[214:215], 1.0
	v_fma_f64 v[214:215], v[214:215], v[216:217], v[214:215]
	s_delay_alu instid0(VALU_DEP_1) | instskip(NEXT) | instid1(VALU_DEP_1)
	v_fma_f64 v[216:217], -v[212:213], v[214:215], 1.0
	v_fma_f64 v[214:215], v[214:215], v[216:217], v[214:215]
	s_delay_alu instid0(VALU_DEP_1) | instskip(NEXT) | instid1(VALU_DEP_1)
	v_mul_f64 v[216:217], v[218:219], v[214:215]
	v_fma_f64 v[212:213], -v[212:213], v[216:217], v[218:219]
	s_delay_alu instid0(VALU_DEP_1) | instskip(NEXT) | instid1(VALU_DEP_1)
	v_div_fmas_f64 v[212:213], v[212:213], v[214:215], v[216:217]
	v_div_fixup_f64 v[212:213], v[212:213], v[234:235], v[232:233]
	s_delay_alu instid0(VALU_DEP_1) | instskip(NEXT) | instid1(VALU_DEP_1)
	v_fma_f64 v[214:215], v[232:233], v[212:213], v[234:235]
	v_div_scale_f64 v[216:217], null, v[214:215], v[214:215], 1.0
	s_delay_alu instid0(VALU_DEP_1) | instskip(SKIP_2) | instid1(VALU_DEP_1)
	v_rcp_f64_e32 v[218:219], v[216:217]
	s_waitcnt_depctr 0xfff
	v_fma_f64 v[220:221], -v[216:217], v[218:219], 1.0
	v_fma_f64 v[218:219], v[218:219], v[220:221], v[218:219]
	s_delay_alu instid0(VALU_DEP_1) | instskip(NEXT) | instid1(VALU_DEP_1)
	v_fma_f64 v[220:221], -v[216:217], v[218:219], 1.0
	v_fma_f64 v[218:219], v[218:219], v[220:221], v[218:219]
	v_div_scale_f64 v[220:221], vcc_lo, 1.0, v[214:215], 1.0
	s_delay_alu instid0(VALU_DEP_1) | instskip(NEXT) | instid1(VALU_DEP_1)
	v_mul_f64 v[222:223], v[220:221], v[218:219]
	v_fma_f64 v[216:217], -v[216:217], v[222:223], v[220:221]
	s_delay_alu instid0(VALU_DEP_1) | instskip(NEXT) | instid1(VALU_DEP_1)
	v_div_fmas_f64 v[216:217], v[216:217], v[218:219], v[222:223]
	v_div_fixup_f64 v[234:235], v[216:217], v[214:215], 1.0
	s_delay_alu instid0(VALU_DEP_1)
	v_mul_f64 v[232:233], v[212:213], v[234:235]
	v_xor_b32_e32 v235, 0x80000000, v235
.LBB114_511:
	s_and_not1_saveexec_b32 s2, s2
	s_cbranch_execz .LBB114_513
; %bb.512:
	s_delay_alu instid0(VALU_DEP_1) | instskip(SKIP_1) | instid1(VALU_DEP_2)
	v_div_scale_f64 v[212:213], null, v[232:233], v[232:233], v[234:235]
	v_div_scale_f64 v[218:219], vcc_lo, v[234:235], v[232:233], v[234:235]
	v_rcp_f64_e32 v[214:215], v[212:213]
	s_waitcnt_depctr 0xfff
	v_fma_f64 v[216:217], -v[212:213], v[214:215], 1.0
	s_delay_alu instid0(VALU_DEP_1) | instskip(NEXT) | instid1(VALU_DEP_1)
	v_fma_f64 v[214:215], v[214:215], v[216:217], v[214:215]
	v_fma_f64 v[216:217], -v[212:213], v[214:215], 1.0
	s_delay_alu instid0(VALU_DEP_1) | instskip(NEXT) | instid1(VALU_DEP_1)
	v_fma_f64 v[214:215], v[214:215], v[216:217], v[214:215]
	v_mul_f64 v[216:217], v[218:219], v[214:215]
	s_delay_alu instid0(VALU_DEP_1) | instskip(NEXT) | instid1(VALU_DEP_1)
	v_fma_f64 v[212:213], -v[212:213], v[216:217], v[218:219]
	v_div_fmas_f64 v[212:213], v[212:213], v[214:215], v[216:217]
	s_delay_alu instid0(VALU_DEP_1) | instskip(NEXT) | instid1(VALU_DEP_1)
	v_div_fixup_f64 v[212:213], v[212:213], v[232:233], v[234:235]
	v_fma_f64 v[214:215], v[234:235], v[212:213], v[232:233]
	s_delay_alu instid0(VALU_DEP_1) | instskip(NEXT) | instid1(VALU_DEP_1)
	v_div_scale_f64 v[216:217], null, v[214:215], v[214:215], 1.0
	v_rcp_f64_e32 v[218:219], v[216:217]
	s_waitcnt_depctr 0xfff
	v_fma_f64 v[220:221], -v[216:217], v[218:219], 1.0
	s_delay_alu instid0(VALU_DEP_1) | instskip(NEXT) | instid1(VALU_DEP_1)
	v_fma_f64 v[218:219], v[218:219], v[220:221], v[218:219]
	v_fma_f64 v[220:221], -v[216:217], v[218:219], 1.0
	s_delay_alu instid0(VALU_DEP_1) | instskip(SKIP_1) | instid1(VALU_DEP_1)
	v_fma_f64 v[218:219], v[218:219], v[220:221], v[218:219]
	v_div_scale_f64 v[220:221], vcc_lo, 1.0, v[214:215], 1.0
	v_mul_f64 v[222:223], v[220:221], v[218:219]
	s_delay_alu instid0(VALU_DEP_1) | instskip(NEXT) | instid1(VALU_DEP_1)
	v_fma_f64 v[216:217], -v[216:217], v[222:223], v[220:221]
	v_div_fmas_f64 v[216:217], v[216:217], v[218:219], v[222:223]
	s_delay_alu instid0(VALU_DEP_1) | instskip(NEXT) | instid1(VALU_DEP_1)
	v_div_fixup_f64 v[232:233], v[216:217], v[214:215], 1.0
	v_mul_f64 v[234:235], v[212:213], -v[232:233]
.LBB114_513:
	s_or_b32 exec_lo, exec_lo, s2
.LBB114_514:
	s_delay_alu instid0(SALU_CYCLE_1) | instskip(NEXT) | instid1(SALU_CYCLE_1)
	s_or_b32 exec_lo, exec_lo, s3
	s_mov_b32 s2, exec_lo
	v_cmpx_ne_u32_e64 v248, v240
	s_xor_b32 s2, exec_lo, s2
	s_cbranch_execz .LBB114_520
; %bb.515:
	s_mov_b32 s3, exec_lo
	v_cmpx_eq_u32_e32 24, v248
	s_cbranch_execz .LBB114_519
; %bb.516:
	v_cmp_ne_u32_e32 vcc_lo, 24, v240
	s_xor_b32 s4, s5, -1
	s_delay_alu instid0(SALU_CYCLE_1) | instskip(NEXT) | instid1(SALU_CYCLE_1)
	s_and_b32 s6, s4, vcc_lo
	s_and_saveexec_b32 s4, s6
	s_cbranch_execz .LBB114_518
; %bb.517:
	scratch_load_b64 v[208:209], off, off   ; 8-byte Folded Reload
	v_ashrrev_i32_e32 v241, 31, v240
	s_delay_alu instid0(VALU_DEP_1) | instskip(SKIP_1) | instid1(VALU_DEP_1)
	v_lshlrev_b64 v[212:213], 2, v[240:241]
	s_waitcnt vmcnt(0)
	v_add_co_u32 v212, vcc_lo, v208, v212
	s_delay_alu instid0(VALU_DEP_2)
	v_add_co_ci_u32_e32 v213, vcc_lo, v209, v213, vcc_lo
	s_clause 0x1
	flat_load_b32 v214, v[212:213]
	flat_load_b32 v215, v[208:209] offset:96
	s_waitcnt vmcnt(1) lgkmcnt(1)
	flat_store_b32 v[208:209], v214 offset:96
	s_waitcnt vmcnt(0) lgkmcnt(1)
	flat_store_b32 v[212:213], v215
.LBB114_518:
	s_or_b32 exec_lo, exec_lo, s4
	v_mov_b32_e32 v248, v240
	v_mov_b32_e32 v236, v240
.LBB114_519:
	s_or_b32 exec_lo, exec_lo, s3
.LBB114_520:
	s_and_not1_saveexec_b32 s2, s2
	s_cbranch_execz .LBB114_522
; %bb.521:
	v_mov_b32_e32 v248, 24
	ds_store_2addr_b64 v242, v[128:129], v[130:131] offset0:50 offset1:51
	ds_store_2addr_b64 v242, v[124:125], v[126:127] offset0:52 offset1:53
	;; [unrolled: 1-line block ×33, first 2 shown]
.LBB114_522:
	s_or_b32 exec_lo, exec_lo, s2
	s_delay_alu instid0(SALU_CYCLE_1)
	s_mov_b32 s2, exec_lo
	s_waitcnt lgkmcnt(0)
	s_waitcnt_vscnt null, 0x0
	s_barrier
	buffer_gl0_inv
	v_cmpx_lt_i32_e32 24, v248
	s_cbranch_execz .LBB114_524
; %bb.523:
	v_mul_f64 v[212:213], v[234:235], v[134:135]
	v_mul_f64 v[134:135], v[232:233], v[134:135]
	s_delay_alu instid0(VALU_DEP_2) | instskip(NEXT) | instid1(VALU_DEP_2)
	v_fma_f64 v[240:241], v[232:233], v[132:133], -v[212:213]
	v_fma_f64 v[134:135], v[234:235], v[132:133], v[134:135]
	ds_load_2addr_b64 v[232:235], v242 offset0:50 offset1:51
	s_waitcnt lgkmcnt(0)
	v_mul_f64 v[132:133], v[234:235], v[134:135]
	v_mul_f64 v[212:213], v[232:233], v[134:135]
	s_delay_alu instid0(VALU_DEP_2) | instskip(NEXT) | instid1(VALU_DEP_2)
	v_fma_f64 v[132:133], v[232:233], v[240:241], -v[132:133]
	v_fma_f64 v[212:213], v[234:235], v[240:241], v[212:213]
	ds_load_2addr_b64 v[232:235], v242 offset0:52 offset1:53
	v_add_f64 v[128:129], v[128:129], -v[132:133]
	v_add_f64 v[130:131], v[130:131], -v[212:213]
	s_waitcnt lgkmcnt(0)
	v_mul_f64 v[132:133], v[234:235], v[134:135]
	v_mul_f64 v[212:213], v[232:233], v[134:135]
	s_delay_alu instid0(VALU_DEP_2) | instskip(NEXT) | instid1(VALU_DEP_2)
	v_fma_f64 v[132:133], v[232:233], v[240:241], -v[132:133]
	v_fma_f64 v[212:213], v[234:235], v[240:241], v[212:213]
	ds_load_2addr_b64 v[232:235], v242 offset0:54 offset1:55
	v_add_f64 v[124:125], v[124:125], -v[132:133]
	v_add_f64 v[126:127], v[126:127], -v[212:213]
	;; [unrolled: 9-line block ×32, first 2 shown]
	s_waitcnt lgkmcnt(0)
	v_mul_f64 v[132:133], v[234:235], v[134:135]
	v_mul_f64 v[212:213], v[232:233], v[134:135]
	s_delay_alu instid0(VALU_DEP_2) | instskip(NEXT) | instid1(VALU_DEP_2)
	v_fma_f64 v[132:133], v[232:233], v[240:241], -v[132:133]
	v_fma_f64 v[212:213], v[234:235], v[240:241], v[212:213]
	s_delay_alu instid0(VALU_DEP_2) | instskip(NEXT) | instid1(VALU_DEP_2)
	v_add_f64 v[0:1], v[0:1], -v[132:133]
	v_add_f64 v[2:3], v[2:3], -v[212:213]
	v_dual_mov_b32 v132, v240 :: v_dual_mov_b32 v133, v241
.LBB114_524:
	s_or_b32 exec_lo, exec_lo, s2
	v_lshl_add_u32 v212, v248, 4, v242
	s_barrier
	buffer_gl0_inv
	v_mov_b32_e32 v240, 25
	ds_store_2addr_b64 v212, v[128:129], v[130:131] offset1:1
	s_waitcnt lgkmcnt(0)
	s_barrier
	buffer_gl0_inv
	ds_load_2addr_b64 v[232:235], v242 offset0:50 offset1:51
	s_cmp_lt_i32 s12, 27
	s_cbranch_scc1 .LBB114_527
; %bb.525:
	v_add3_u32 v241, v246, 0, 0x1a0
	v_mov_b32_e32 v240, 25
	s_mov_b32 s2, 26
	s_set_inst_prefetch_distance 0x1
	.p2align	6
.LBB114_526:                            ; =>This Inner Loop Header: Depth=1
	s_waitcnt lgkmcnt(0)
	v_cmp_gt_f64_e32 vcc_lo, 0, v[232:233]
	v_xor_b32_e32 v212, 0x80000000, v233
	v_xor_b32_e32 v214, 0x80000000, v235
	ds_load_2addr_b64 v[249:252], v241 offset1:1
	v_add_nc_u32_e32 v241, 16, v241
	s_waitcnt lgkmcnt(0)
	v_xor_b32_e32 v216, 0x80000000, v252
	v_cndmask_b32_e32 v213, v233, v212, vcc_lo
	v_cndmask_b32_e32 v212, v232, v232, vcc_lo
	v_cmp_gt_f64_e32 vcc_lo, 0, v[234:235]
	v_cndmask_b32_e32 v215, v235, v214, vcc_lo
	v_cndmask_b32_e32 v214, v234, v234, vcc_lo
	v_cmp_gt_f64_e32 vcc_lo, 0, v[249:250]
	s_delay_alu instid0(VALU_DEP_2) | instskip(SKIP_1) | instid1(VALU_DEP_1)
	v_add_f64 v[212:213], v[212:213], v[214:215]
	v_xor_b32_e32 v214, 0x80000000, v250
	v_dual_cndmask_b32 v215, v250, v214 :: v_dual_mov_b32 v214, v249
	v_cmp_gt_f64_e32 vcc_lo, 0, v[251:252]
	v_dual_cndmask_b32 v217, v252, v216 :: v_dual_mov_b32 v216, v251
	s_delay_alu instid0(VALU_DEP_1) | instskip(NEXT) | instid1(VALU_DEP_1)
	v_add_f64 v[214:215], v[214:215], v[216:217]
	v_cmp_lt_f64_e32 vcc_lo, v[212:213], v[214:215]
	v_dual_cndmask_b32 v233, v233, v250 :: v_dual_cndmask_b32 v232, v232, v249
	v_dual_cndmask_b32 v235, v235, v252 :: v_dual_cndmask_b32 v234, v234, v251
	v_cndmask_b32_e64 v240, v240, s2, vcc_lo
	s_add_i32 s2, s2, 1
	s_delay_alu instid0(SALU_CYCLE_1)
	s_cmp_lg_u32 s12, s2
	s_cbranch_scc1 .LBB114_526
.LBB114_527:
	s_set_inst_prefetch_distance 0x2
	s_waitcnt lgkmcnt(0)
	v_cmp_eq_f64_e32 vcc_lo, 0, v[232:233]
	v_cmp_eq_f64_e64 s2, 0, v[234:235]
	s_delay_alu instid0(VALU_DEP_1) | instskip(NEXT) | instid1(SALU_CYCLE_1)
	s_and_b32 s2, vcc_lo, s2
	s_and_saveexec_b32 s3, s2
	s_delay_alu instid0(SALU_CYCLE_1)
	s_xor_b32 s2, exec_lo, s3
; %bb.528:
	v_cmp_ne_u32_e32 vcc_lo, 0, v245
	v_cndmask_b32_e32 v245, 26, v245, vcc_lo
; %bb.529:
	s_and_not1_saveexec_b32 s3, s2
	s_cbranch_execz .LBB114_535
; %bb.530:
	v_cmp_gt_f64_e32 vcc_lo, 0, v[232:233]
	v_cmp_gt_f64_e64 s2, 0, v[234:235]
	v_xor_b32_e32 v212, 0x80000000, v233
	v_xor_b32_e32 v214, 0x80000000, v235
	s_delay_alu instid0(VALU_DEP_2) | instskip(NEXT) | instid1(VALU_DEP_2)
	v_cndmask_b32_e32 v213, v233, v212, vcc_lo
	v_cndmask_b32_e64 v215, v235, v214, s2
	v_cndmask_b32_e32 v212, v232, v232, vcc_lo
	v_cndmask_b32_e64 v214, v234, v234, s2
	s_mov_b32 s2, exec_lo
	s_delay_alu instid0(VALU_DEP_1)
	v_cmpx_ngt_f64_e32 v[212:213], v[214:215]
	s_xor_b32 s2, exec_lo, s2
	s_cbranch_execz .LBB114_532
; %bb.531:
	v_div_scale_f64 v[212:213], null, v[234:235], v[234:235], v[232:233]
	v_div_scale_f64 v[218:219], vcc_lo, v[232:233], v[234:235], v[232:233]
	s_delay_alu instid0(VALU_DEP_2) | instskip(SKIP_2) | instid1(VALU_DEP_1)
	v_rcp_f64_e32 v[214:215], v[212:213]
	s_waitcnt_depctr 0xfff
	v_fma_f64 v[216:217], -v[212:213], v[214:215], 1.0
	v_fma_f64 v[214:215], v[214:215], v[216:217], v[214:215]
	s_delay_alu instid0(VALU_DEP_1) | instskip(NEXT) | instid1(VALU_DEP_1)
	v_fma_f64 v[216:217], -v[212:213], v[214:215], 1.0
	v_fma_f64 v[214:215], v[214:215], v[216:217], v[214:215]
	s_delay_alu instid0(VALU_DEP_1) | instskip(NEXT) | instid1(VALU_DEP_1)
	v_mul_f64 v[216:217], v[218:219], v[214:215]
	v_fma_f64 v[212:213], -v[212:213], v[216:217], v[218:219]
	s_delay_alu instid0(VALU_DEP_1) | instskip(NEXT) | instid1(VALU_DEP_1)
	v_div_fmas_f64 v[212:213], v[212:213], v[214:215], v[216:217]
	v_div_fixup_f64 v[212:213], v[212:213], v[234:235], v[232:233]
	s_delay_alu instid0(VALU_DEP_1) | instskip(NEXT) | instid1(VALU_DEP_1)
	v_fma_f64 v[214:215], v[232:233], v[212:213], v[234:235]
	v_div_scale_f64 v[216:217], null, v[214:215], v[214:215], 1.0
	s_delay_alu instid0(VALU_DEP_1) | instskip(SKIP_2) | instid1(VALU_DEP_1)
	v_rcp_f64_e32 v[218:219], v[216:217]
	s_waitcnt_depctr 0xfff
	v_fma_f64 v[220:221], -v[216:217], v[218:219], 1.0
	v_fma_f64 v[218:219], v[218:219], v[220:221], v[218:219]
	s_delay_alu instid0(VALU_DEP_1) | instskip(NEXT) | instid1(VALU_DEP_1)
	v_fma_f64 v[220:221], -v[216:217], v[218:219], 1.0
	v_fma_f64 v[218:219], v[218:219], v[220:221], v[218:219]
	v_div_scale_f64 v[220:221], vcc_lo, 1.0, v[214:215], 1.0
	s_delay_alu instid0(VALU_DEP_1) | instskip(NEXT) | instid1(VALU_DEP_1)
	v_mul_f64 v[222:223], v[220:221], v[218:219]
	v_fma_f64 v[216:217], -v[216:217], v[222:223], v[220:221]
	s_delay_alu instid0(VALU_DEP_1) | instskip(NEXT) | instid1(VALU_DEP_1)
	v_div_fmas_f64 v[216:217], v[216:217], v[218:219], v[222:223]
	v_div_fixup_f64 v[234:235], v[216:217], v[214:215], 1.0
	s_delay_alu instid0(VALU_DEP_1)
	v_mul_f64 v[232:233], v[212:213], v[234:235]
	v_xor_b32_e32 v235, 0x80000000, v235
.LBB114_532:
	s_and_not1_saveexec_b32 s2, s2
	s_cbranch_execz .LBB114_534
; %bb.533:
	s_delay_alu instid0(VALU_DEP_1) | instskip(SKIP_1) | instid1(VALU_DEP_2)
	v_div_scale_f64 v[212:213], null, v[232:233], v[232:233], v[234:235]
	v_div_scale_f64 v[218:219], vcc_lo, v[234:235], v[232:233], v[234:235]
	v_rcp_f64_e32 v[214:215], v[212:213]
	s_waitcnt_depctr 0xfff
	v_fma_f64 v[216:217], -v[212:213], v[214:215], 1.0
	s_delay_alu instid0(VALU_DEP_1) | instskip(NEXT) | instid1(VALU_DEP_1)
	v_fma_f64 v[214:215], v[214:215], v[216:217], v[214:215]
	v_fma_f64 v[216:217], -v[212:213], v[214:215], 1.0
	s_delay_alu instid0(VALU_DEP_1) | instskip(NEXT) | instid1(VALU_DEP_1)
	v_fma_f64 v[214:215], v[214:215], v[216:217], v[214:215]
	v_mul_f64 v[216:217], v[218:219], v[214:215]
	s_delay_alu instid0(VALU_DEP_1) | instskip(NEXT) | instid1(VALU_DEP_1)
	v_fma_f64 v[212:213], -v[212:213], v[216:217], v[218:219]
	v_div_fmas_f64 v[212:213], v[212:213], v[214:215], v[216:217]
	s_delay_alu instid0(VALU_DEP_1) | instskip(NEXT) | instid1(VALU_DEP_1)
	v_div_fixup_f64 v[212:213], v[212:213], v[232:233], v[234:235]
	v_fma_f64 v[214:215], v[234:235], v[212:213], v[232:233]
	s_delay_alu instid0(VALU_DEP_1) | instskip(NEXT) | instid1(VALU_DEP_1)
	v_div_scale_f64 v[216:217], null, v[214:215], v[214:215], 1.0
	v_rcp_f64_e32 v[218:219], v[216:217]
	s_waitcnt_depctr 0xfff
	v_fma_f64 v[220:221], -v[216:217], v[218:219], 1.0
	s_delay_alu instid0(VALU_DEP_1) | instskip(NEXT) | instid1(VALU_DEP_1)
	v_fma_f64 v[218:219], v[218:219], v[220:221], v[218:219]
	v_fma_f64 v[220:221], -v[216:217], v[218:219], 1.0
	s_delay_alu instid0(VALU_DEP_1) | instskip(SKIP_1) | instid1(VALU_DEP_1)
	v_fma_f64 v[218:219], v[218:219], v[220:221], v[218:219]
	v_div_scale_f64 v[220:221], vcc_lo, 1.0, v[214:215], 1.0
	v_mul_f64 v[222:223], v[220:221], v[218:219]
	s_delay_alu instid0(VALU_DEP_1) | instskip(NEXT) | instid1(VALU_DEP_1)
	v_fma_f64 v[216:217], -v[216:217], v[222:223], v[220:221]
	v_div_fmas_f64 v[216:217], v[216:217], v[218:219], v[222:223]
	s_delay_alu instid0(VALU_DEP_1) | instskip(NEXT) | instid1(VALU_DEP_1)
	v_div_fixup_f64 v[232:233], v[216:217], v[214:215], 1.0
	v_mul_f64 v[234:235], v[212:213], -v[232:233]
.LBB114_534:
	s_or_b32 exec_lo, exec_lo, s2
.LBB114_535:
	s_delay_alu instid0(SALU_CYCLE_1) | instskip(NEXT) | instid1(SALU_CYCLE_1)
	s_or_b32 exec_lo, exec_lo, s3
	s_mov_b32 s2, exec_lo
	v_cmpx_ne_u32_e64 v248, v240
	s_xor_b32 s2, exec_lo, s2
	s_cbranch_execz .LBB114_541
; %bb.536:
	s_mov_b32 s3, exec_lo
	v_cmpx_eq_u32_e32 25, v248
	s_cbranch_execz .LBB114_540
; %bb.537:
	v_cmp_ne_u32_e32 vcc_lo, 25, v240
	s_xor_b32 s4, s5, -1
	s_delay_alu instid0(SALU_CYCLE_1) | instskip(NEXT) | instid1(SALU_CYCLE_1)
	s_and_b32 s6, s4, vcc_lo
	s_and_saveexec_b32 s4, s6
	s_cbranch_execz .LBB114_539
; %bb.538:
	scratch_load_b64 v[208:209], off, off   ; 8-byte Folded Reload
	v_ashrrev_i32_e32 v241, 31, v240
	s_delay_alu instid0(VALU_DEP_1) | instskip(SKIP_1) | instid1(VALU_DEP_1)
	v_lshlrev_b64 v[212:213], 2, v[240:241]
	s_waitcnt vmcnt(0)
	v_add_co_u32 v212, vcc_lo, v208, v212
	s_delay_alu instid0(VALU_DEP_2)
	v_add_co_ci_u32_e32 v213, vcc_lo, v209, v213, vcc_lo
	s_clause 0x1
	flat_load_b32 v214, v[212:213]
	flat_load_b32 v215, v[208:209] offset:100
	s_waitcnt vmcnt(1) lgkmcnt(1)
	flat_store_b32 v[208:209], v214 offset:100
	s_waitcnt vmcnt(0) lgkmcnt(1)
	flat_store_b32 v[212:213], v215
.LBB114_539:
	s_or_b32 exec_lo, exec_lo, s4
	v_mov_b32_e32 v248, v240
	v_mov_b32_e32 v236, v240
.LBB114_540:
	s_or_b32 exec_lo, exec_lo, s3
.LBB114_541:
	s_and_not1_saveexec_b32 s2, s2
	s_cbranch_execz .LBB114_543
; %bb.542:
	v_mov_b32_e32 v248, 25
	ds_store_2addr_b64 v242, v[124:125], v[126:127] offset0:52 offset1:53
	ds_store_2addr_b64 v242, v[120:121], v[122:123] offset0:54 offset1:55
	;; [unrolled: 1-line block ×32, first 2 shown]
.LBB114_543:
	s_or_b32 exec_lo, exec_lo, s2
	s_delay_alu instid0(SALU_CYCLE_1)
	s_mov_b32 s2, exec_lo
	s_waitcnt lgkmcnt(0)
	s_waitcnt_vscnt null, 0x0
	s_barrier
	buffer_gl0_inv
	v_cmpx_lt_i32_e32 25, v248
	s_cbranch_execz .LBB114_545
; %bb.544:
	v_mul_f64 v[212:213], v[234:235], v[130:131]
	v_mul_f64 v[130:131], v[232:233], v[130:131]
	s_delay_alu instid0(VALU_DEP_2) | instskip(NEXT) | instid1(VALU_DEP_2)
	v_fma_f64 v[240:241], v[232:233], v[128:129], -v[212:213]
	v_fma_f64 v[130:131], v[234:235], v[128:129], v[130:131]
	ds_load_2addr_b64 v[232:235], v242 offset0:52 offset1:53
	s_waitcnt lgkmcnt(0)
	v_mul_f64 v[128:129], v[234:235], v[130:131]
	v_mul_f64 v[212:213], v[232:233], v[130:131]
	s_delay_alu instid0(VALU_DEP_2) | instskip(NEXT) | instid1(VALU_DEP_2)
	v_fma_f64 v[128:129], v[232:233], v[240:241], -v[128:129]
	v_fma_f64 v[212:213], v[234:235], v[240:241], v[212:213]
	ds_load_2addr_b64 v[232:235], v242 offset0:54 offset1:55
	v_add_f64 v[124:125], v[124:125], -v[128:129]
	v_add_f64 v[126:127], v[126:127], -v[212:213]
	s_waitcnt lgkmcnt(0)
	v_mul_f64 v[128:129], v[234:235], v[130:131]
	v_mul_f64 v[212:213], v[232:233], v[130:131]
	s_delay_alu instid0(VALU_DEP_2) | instskip(NEXT) | instid1(VALU_DEP_2)
	v_fma_f64 v[128:129], v[232:233], v[240:241], -v[128:129]
	v_fma_f64 v[212:213], v[234:235], v[240:241], v[212:213]
	ds_load_2addr_b64 v[232:235], v242 offset0:56 offset1:57
	v_add_f64 v[120:121], v[120:121], -v[128:129]
	v_add_f64 v[122:123], v[122:123], -v[212:213]
	;; [unrolled: 9-line block ×31, first 2 shown]
	s_waitcnt lgkmcnt(0)
	v_mul_f64 v[128:129], v[234:235], v[130:131]
	v_mul_f64 v[212:213], v[232:233], v[130:131]
	s_delay_alu instid0(VALU_DEP_2) | instskip(NEXT) | instid1(VALU_DEP_2)
	v_fma_f64 v[128:129], v[232:233], v[240:241], -v[128:129]
	v_fma_f64 v[212:213], v[234:235], v[240:241], v[212:213]
	s_delay_alu instid0(VALU_DEP_2) | instskip(NEXT) | instid1(VALU_DEP_2)
	v_add_f64 v[0:1], v[0:1], -v[128:129]
	v_add_f64 v[2:3], v[2:3], -v[212:213]
	v_dual_mov_b32 v128, v240 :: v_dual_mov_b32 v129, v241
.LBB114_545:
	s_or_b32 exec_lo, exec_lo, s2
	v_lshl_add_u32 v212, v248, 4, v242
	s_barrier
	buffer_gl0_inv
	v_mov_b32_e32 v240, 26
	ds_store_2addr_b64 v212, v[124:125], v[126:127] offset1:1
	s_waitcnt lgkmcnt(0)
	s_barrier
	buffer_gl0_inv
	ds_load_2addr_b64 v[232:235], v242 offset0:52 offset1:53
	s_cmp_lt_i32 s12, 28
	s_cbranch_scc1 .LBB114_548
; %bb.546:
	v_add3_u32 v241, v246, 0, 0x1b0
	v_mov_b32_e32 v240, 26
	s_mov_b32 s2, 27
	s_set_inst_prefetch_distance 0x1
	.p2align	6
.LBB114_547:                            ; =>This Inner Loop Header: Depth=1
	s_waitcnt lgkmcnt(0)
	v_cmp_gt_f64_e32 vcc_lo, 0, v[232:233]
	v_xor_b32_e32 v212, 0x80000000, v233
	v_xor_b32_e32 v214, 0x80000000, v235
	ds_load_2addr_b64 v[249:252], v241 offset1:1
	v_add_nc_u32_e32 v241, 16, v241
	s_waitcnt lgkmcnt(0)
	v_xor_b32_e32 v216, 0x80000000, v252
	v_cndmask_b32_e32 v213, v233, v212, vcc_lo
	v_cndmask_b32_e32 v212, v232, v232, vcc_lo
	v_cmp_gt_f64_e32 vcc_lo, 0, v[234:235]
	v_cndmask_b32_e32 v215, v235, v214, vcc_lo
	v_cndmask_b32_e32 v214, v234, v234, vcc_lo
	v_cmp_gt_f64_e32 vcc_lo, 0, v[249:250]
	s_delay_alu instid0(VALU_DEP_2) | instskip(SKIP_1) | instid1(VALU_DEP_1)
	v_add_f64 v[212:213], v[212:213], v[214:215]
	v_xor_b32_e32 v214, 0x80000000, v250
	v_dual_cndmask_b32 v215, v250, v214 :: v_dual_mov_b32 v214, v249
	v_cmp_gt_f64_e32 vcc_lo, 0, v[251:252]
	v_dual_cndmask_b32 v217, v252, v216 :: v_dual_mov_b32 v216, v251
	s_delay_alu instid0(VALU_DEP_1) | instskip(NEXT) | instid1(VALU_DEP_1)
	v_add_f64 v[214:215], v[214:215], v[216:217]
	v_cmp_lt_f64_e32 vcc_lo, v[212:213], v[214:215]
	v_dual_cndmask_b32 v233, v233, v250 :: v_dual_cndmask_b32 v232, v232, v249
	v_dual_cndmask_b32 v235, v235, v252 :: v_dual_cndmask_b32 v234, v234, v251
	v_cndmask_b32_e64 v240, v240, s2, vcc_lo
	s_add_i32 s2, s2, 1
	s_delay_alu instid0(SALU_CYCLE_1)
	s_cmp_lg_u32 s12, s2
	s_cbranch_scc1 .LBB114_547
.LBB114_548:
	s_set_inst_prefetch_distance 0x2
	s_waitcnt lgkmcnt(0)
	v_cmp_eq_f64_e32 vcc_lo, 0, v[232:233]
	v_cmp_eq_f64_e64 s2, 0, v[234:235]
	s_delay_alu instid0(VALU_DEP_1) | instskip(NEXT) | instid1(SALU_CYCLE_1)
	s_and_b32 s2, vcc_lo, s2
	s_and_saveexec_b32 s3, s2
	s_delay_alu instid0(SALU_CYCLE_1)
	s_xor_b32 s2, exec_lo, s3
; %bb.549:
	v_cmp_ne_u32_e32 vcc_lo, 0, v245
	v_cndmask_b32_e32 v245, 27, v245, vcc_lo
; %bb.550:
	s_and_not1_saveexec_b32 s3, s2
	s_cbranch_execz .LBB114_556
; %bb.551:
	v_cmp_gt_f64_e32 vcc_lo, 0, v[232:233]
	v_cmp_gt_f64_e64 s2, 0, v[234:235]
	v_xor_b32_e32 v212, 0x80000000, v233
	v_xor_b32_e32 v214, 0x80000000, v235
	s_delay_alu instid0(VALU_DEP_2) | instskip(NEXT) | instid1(VALU_DEP_2)
	v_cndmask_b32_e32 v213, v233, v212, vcc_lo
	v_cndmask_b32_e64 v215, v235, v214, s2
	v_cndmask_b32_e32 v212, v232, v232, vcc_lo
	v_cndmask_b32_e64 v214, v234, v234, s2
	s_mov_b32 s2, exec_lo
	s_delay_alu instid0(VALU_DEP_1)
	v_cmpx_ngt_f64_e32 v[212:213], v[214:215]
	s_xor_b32 s2, exec_lo, s2
	s_cbranch_execz .LBB114_553
; %bb.552:
	v_div_scale_f64 v[212:213], null, v[234:235], v[234:235], v[232:233]
	v_div_scale_f64 v[218:219], vcc_lo, v[232:233], v[234:235], v[232:233]
	s_delay_alu instid0(VALU_DEP_2) | instskip(SKIP_2) | instid1(VALU_DEP_1)
	v_rcp_f64_e32 v[214:215], v[212:213]
	s_waitcnt_depctr 0xfff
	v_fma_f64 v[216:217], -v[212:213], v[214:215], 1.0
	v_fma_f64 v[214:215], v[214:215], v[216:217], v[214:215]
	s_delay_alu instid0(VALU_DEP_1) | instskip(NEXT) | instid1(VALU_DEP_1)
	v_fma_f64 v[216:217], -v[212:213], v[214:215], 1.0
	v_fma_f64 v[214:215], v[214:215], v[216:217], v[214:215]
	s_delay_alu instid0(VALU_DEP_1) | instskip(NEXT) | instid1(VALU_DEP_1)
	v_mul_f64 v[216:217], v[218:219], v[214:215]
	v_fma_f64 v[212:213], -v[212:213], v[216:217], v[218:219]
	s_delay_alu instid0(VALU_DEP_1) | instskip(NEXT) | instid1(VALU_DEP_1)
	v_div_fmas_f64 v[212:213], v[212:213], v[214:215], v[216:217]
	v_div_fixup_f64 v[212:213], v[212:213], v[234:235], v[232:233]
	s_delay_alu instid0(VALU_DEP_1) | instskip(NEXT) | instid1(VALU_DEP_1)
	v_fma_f64 v[214:215], v[232:233], v[212:213], v[234:235]
	v_div_scale_f64 v[216:217], null, v[214:215], v[214:215], 1.0
	s_delay_alu instid0(VALU_DEP_1) | instskip(SKIP_2) | instid1(VALU_DEP_1)
	v_rcp_f64_e32 v[218:219], v[216:217]
	s_waitcnt_depctr 0xfff
	v_fma_f64 v[220:221], -v[216:217], v[218:219], 1.0
	v_fma_f64 v[218:219], v[218:219], v[220:221], v[218:219]
	s_delay_alu instid0(VALU_DEP_1) | instskip(NEXT) | instid1(VALU_DEP_1)
	v_fma_f64 v[220:221], -v[216:217], v[218:219], 1.0
	v_fma_f64 v[218:219], v[218:219], v[220:221], v[218:219]
	v_div_scale_f64 v[220:221], vcc_lo, 1.0, v[214:215], 1.0
	s_delay_alu instid0(VALU_DEP_1) | instskip(NEXT) | instid1(VALU_DEP_1)
	v_mul_f64 v[222:223], v[220:221], v[218:219]
	v_fma_f64 v[216:217], -v[216:217], v[222:223], v[220:221]
	s_delay_alu instid0(VALU_DEP_1) | instskip(NEXT) | instid1(VALU_DEP_1)
	v_div_fmas_f64 v[216:217], v[216:217], v[218:219], v[222:223]
	v_div_fixup_f64 v[234:235], v[216:217], v[214:215], 1.0
	s_delay_alu instid0(VALU_DEP_1)
	v_mul_f64 v[232:233], v[212:213], v[234:235]
	v_xor_b32_e32 v235, 0x80000000, v235
.LBB114_553:
	s_and_not1_saveexec_b32 s2, s2
	s_cbranch_execz .LBB114_555
; %bb.554:
	s_delay_alu instid0(VALU_DEP_1) | instskip(SKIP_1) | instid1(VALU_DEP_2)
	v_div_scale_f64 v[212:213], null, v[232:233], v[232:233], v[234:235]
	v_div_scale_f64 v[218:219], vcc_lo, v[234:235], v[232:233], v[234:235]
	v_rcp_f64_e32 v[214:215], v[212:213]
	s_waitcnt_depctr 0xfff
	v_fma_f64 v[216:217], -v[212:213], v[214:215], 1.0
	s_delay_alu instid0(VALU_DEP_1) | instskip(NEXT) | instid1(VALU_DEP_1)
	v_fma_f64 v[214:215], v[214:215], v[216:217], v[214:215]
	v_fma_f64 v[216:217], -v[212:213], v[214:215], 1.0
	s_delay_alu instid0(VALU_DEP_1) | instskip(NEXT) | instid1(VALU_DEP_1)
	v_fma_f64 v[214:215], v[214:215], v[216:217], v[214:215]
	v_mul_f64 v[216:217], v[218:219], v[214:215]
	s_delay_alu instid0(VALU_DEP_1) | instskip(NEXT) | instid1(VALU_DEP_1)
	v_fma_f64 v[212:213], -v[212:213], v[216:217], v[218:219]
	v_div_fmas_f64 v[212:213], v[212:213], v[214:215], v[216:217]
	s_delay_alu instid0(VALU_DEP_1) | instskip(NEXT) | instid1(VALU_DEP_1)
	v_div_fixup_f64 v[212:213], v[212:213], v[232:233], v[234:235]
	v_fma_f64 v[214:215], v[234:235], v[212:213], v[232:233]
	s_delay_alu instid0(VALU_DEP_1) | instskip(NEXT) | instid1(VALU_DEP_1)
	v_div_scale_f64 v[216:217], null, v[214:215], v[214:215], 1.0
	v_rcp_f64_e32 v[218:219], v[216:217]
	s_waitcnt_depctr 0xfff
	v_fma_f64 v[220:221], -v[216:217], v[218:219], 1.0
	s_delay_alu instid0(VALU_DEP_1) | instskip(NEXT) | instid1(VALU_DEP_1)
	v_fma_f64 v[218:219], v[218:219], v[220:221], v[218:219]
	v_fma_f64 v[220:221], -v[216:217], v[218:219], 1.0
	s_delay_alu instid0(VALU_DEP_1) | instskip(SKIP_1) | instid1(VALU_DEP_1)
	v_fma_f64 v[218:219], v[218:219], v[220:221], v[218:219]
	v_div_scale_f64 v[220:221], vcc_lo, 1.0, v[214:215], 1.0
	v_mul_f64 v[222:223], v[220:221], v[218:219]
	s_delay_alu instid0(VALU_DEP_1) | instskip(NEXT) | instid1(VALU_DEP_1)
	v_fma_f64 v[216:217], -v[216:217], v[222:223], v[220:221]
	v_div_fmas_f64 v[216:217], v[216:217], v[218:219], v[222:223]
	s_delay_alu instid0(VALU_DEP_1) | instskip(NEXT) | instid1(VALU_DEP_1)
	v_div_fixup_f64 v[232:233], v[216:217], v[214:215], 1.0
	v_mul_f64 v[234:235], v[212:213], -v[232:233]
.LBB114_555:
	s_or_b32 exec_lo, exec_lo, s2
.LBB114_556:
	s_delay_alu instid0(SALU_CYCLE_1) | instskip(NEXT) | instid1(SALU_CYCLE_1)
	s_or_b32 exec_lo, exec_lo, s3
	s_mov_b32 s2, exec_lo
	v_cmpx_ne_u32_e64 v248, v240
	s_xor_b32 s2, exec_lo, s2
	s_cbranch_execz .LBB114_562
; %bb.557:
	s_mov_b32 s3, exec_lo
	v_cmpx_eq_u32_e32 26, v248
	s_cbranch_execz .LBB114_561
; %bb.558:
	v_cmp_ne_u32_e32 vcc_lo, 26, v240
	s_xor_b32 s4, s5, -1
	s_delay_alu instid0(SALU_CYCLE_1) | instskip(NEXT) | instid1(SALU_CYCLE_1)
	s_and_b32 s6, s4, vcc_lo
	s_and_saveexec_b32 s4, s6
	s_cbranch_execz .LBB114_560
; %bb.559:
	scratch_load_b64 v[208:209], off, off   ; 8-byte Folded Reload
	v_ashrrev_i32_e32 v241, 31, v240
	s_delay_alu instid0(VALU_DEP_1) | instskip(SKIP_1) | instid1(VALU_DEP_1)
	v_lshlrev_b64 v[212:213], 2, v[240:241]
	s_waitcnt vmcnt(0)
	v_add_co_u32 v212, vcc_lo, v208, v212
	s_delay_alu instid0(VALU_DEP_2)
	v_add_co_ci_u32_e32 v213, vcc_lo, v209, v213, vcc_lo
	s_clause 0x1
	flat_load_b32 v214, v[212:213]
	flat_load_b32 v215, v[208:209] offset:104
	s_waitcnt vmcnt(1) lgkmcnt(1)
	flat_store_b32 v[208:209], v214 offset:104
	s_waitcnt vmcnt(0) lgkmcnt(1)
	flat_store_b32 v[212:213], v215
.LBB114_560:
	s_or_b32 exec_lo, exec_lo, s4
	v_mov_b32_e32 v248, v240
	v_mov_b32_e32 v236, v240
.LBB114_561:
	s_or_b32 exec_lo, exec_lo, s3
.LBB114_562:
	s_and_not1_saveexec_b32 s2, s2
	s_cbranch_execz .LBB114_564
; %bb.563:
	v_mov_b32_e32 v248, 26
	ds_store_2addr_b64 v242, v[120:121], v[122:123] offset0:54 offset1:55
	ds_store_2addr_b64 v242, v[116:117], v[118:119] offset0:56 offset1:57
	;; [unrolled: 1-line block ×31, first 2 shown]
.LBB114_564:
	s_or_b32 exec_lo, exec_lo, s2
	s_delay_alu instid0(SALU_CYCLE_1)
	s_mov_b32 s2, exec_lo
	s_waitcnt lgkmcnt(0)
	s_waitcnt_vscnt null, 0x0
	s_barrier
	buffer_gl0_inv
	v_cmpx_lt_i32_e32 26, v248
	s_cbranch_execz .LBB114_566
; %bb.565:
	v_mul_f64 v[212:213], v[234:235], v[126:127]
	v_mul_f64 v[126:127], v[232:233], v[126:127]
	s_delay_alu instid0(VALU_DEP_2) | instskip(NEXT) | instid1(VALU_DEP_2)
	v_fma_f64 v[240:241], v[232:233], v[124:125], -v[212:213]
	v_fma_f64 v[126:127], v[234:235], v[124:125], v[126:127]
	ds_load_2addr_b64 v[232:235], v242 offset0:54 offset1:55
	s_waitcnt lgkmcnt(0)
	v_mul_f64 v[124:125], v[234:235], v[126:127]
	v_mul_f64 v[212:213], v[232:233], v[126:127]
	s_delay_alu instid0(VALU_DEP_2) | instskip(NEXT) | instid1(VALU_DEP_2)
	v_fma_f64 v[124:125], v[232:233], v[240:241], -v[124:125]
	v_fma_f64 v[212:213], v[234:235], v[240:241], v[212:213]
	ds_load_2addr_b64 v[232:235], v242 offset0:56 offset1:57
	v_add_f64 v[120:121], v[120:121], -v[124:125]
	v_add_f64 v[122:123], v[122:123], -v[212:213]
	s_waitcnt lgkmcnt(0)
	v_mul_f64 v[124:125], v[234:235], v[126:127]
	v_mul_f64 v[212:213], v[232:233], v[126:127]
	s_delay_alu instid0(VALU_DEP_2) | instskip(NEXT) | instid1(VALU_DEP_2)
	v_fma_f64 v[124:125], v[232:233], v[240:241], -v[124:125]
	v_fma_f64 v[212:213], v[234:235], v[240:241], v[212:213]
	ds_load_2addr_b64 v[232:235], v242 offset0:58 offset1:59
	v_add_f64 v[116:117], v[116:117], -v[124:125]
	v_add_f64 v[118:119], v[118:119], -v[212:213]
	;; [unrolled: 9-line block ×30, first 2 shown]
	s_waitcnt lgkmcnt(0)
	v_mul_f64 v[124:125], v[234:235], v[126:127]
	v_mul_f64 v[212:213], v[232:233], v[126:127]
	s_delay_alu instid0(VALU_DEP_2) | instskip(NEXT) | instid1(VALU_DEP_2)
	v_fma_f64 v[124:125], v[232:233], v[240:241], -v[124:125]
	v_fma_f64 v[212:213], v[234:235], v[240:241], v[212:213]
	s_delay_alu instid0(VALU_DEP_2) | instskip(NEXT) | instid1(VALU_DEP_2)
	v_add_f64 v[0:1], v[0:1], -v[124:125]
	v_add_f64 v[2:3], v[2:3], -v[212:213]
	v_dual_mov_b32 v124, v240 :: v_dual_mov_b32 v125, v241
.LBB114_566:
	s_or_b32 exec_lo, exec_lo, s2
	v_lshl_add_u32 v212, v248, 4, v242
	s_barrier
	buffer_gl0_inv
	v_mov_b32_e32 v240, 27
	ds_store_2addr_b64 v212, v[120:121], v[122:123] offset1:1
	s_waitcnt lgkmcnt(0)
	s_barrier
	buffer_gl0_inv
	ds_load_2addr_b64 v[232:235], v242 offset0:54 offset1:55
	s_cmp_lt_i32 s12, 29
	s_cbranch_scc1 .LBB114_569
; %bb.567:
	v_add3_u32 v241, v246, 0, 0x1c0
	v_mov_b32_e32 v240, 27
	s_mov_b32 s2, 28
	s_set_inst_prefetch_distance 0x1
	.p2align	6
.LBB114_568:                            ; =>This Inner Loop Header: Depth=1
	s_waitcnt lgkmcnt(0)
	v_cmp_gt_f64_e32 vcc_lo, 0, v[232:233]
	v_xor_b32_e32 v212, 0x80000000, v233
	v_xor_b32_e32 v214, 0x80000000, v235
	ds_load_2addr_b64 v[249:252], v241 offset1:1
	v_add_nc_u32_e32 v241, 16, v241
	s_waitcnt lgkmcnt(0)
	v_xor_b32_e32 v216, 0x80000000, v252
	v_cndmask_b32_e32 v213, v233, v212, vcc_lo
	v_cndmask_b32_e32 v212, v232, v232, vcc_lo
	v_cmp_gt_f64_e32 vcc_lo, 0, v[234:235]
	v_cndmask_b32_e32 v215, v235, v214, vcc_lo
	v_cndmask_b32_e32 v214, v234, v234, vcc_lo
	v_cmp_gt_f64_e32 vcc_lo, 0, v[249:250]
	s_delay_alu instid0(VALU_DEP_2) | instskip(SKIP_1) | instid1(VALU_DEP_1)
	v_add_f64 v[212:213], v[212:213], v[214:215]
	v_xor_b32_e32 v214, 0x80000000, v250
	v_dual_cndmask_b32 v215, v250, v214 :: v_dual_mov_b32 v214, v249
	v_cmp_gt_f64_e32 vcc_lo, 0, v[251:252]
	v_dual_cndmask_b32 v217, v252, v216 :: v_dual_mov_b32 v216, v251
	s_delay_alu instid0(VALU_DEP_1) | instskip(NEXT) | instid1(VALU_DEP_1)
	v_add_f64 v[214:215], v[214:215], v[216:217]
	v_cmp_lt_f64_e32 vcc_lo, v[212:213], v[214:215]
	v_dual_cndmask_b32 v233, v233, v250 :: v_dual_cndmask_b32 v232, v232, v249
	v_dual_cndmask_b32 v235, v235, v252 :: v_dual_cndmask_b32 v234, v234, v251
	v_cndmask_b32_e64 v240, v240, s2, vcc_lo
	s_add_i32 s2, s2, 1
	s_delay_alu instid0(SALU_CYCLE_1)
	s_cmp_lg_u32 s12, s2
	s_cbranch_scc1 .LBB114_568
.LBB114_569:
	s_set_inst_prefetch_distance 0x2
	s_waitcnt lgkmcnt(0)
	v_cmp_eq_f64_e32 vcc_lo, 0, v[232:233]
	v_cmp_eq_f64_e64 s2, 0, v[234:235]
	s_delay_alu instid0(VALU_DEP_1) | instskip(NEXT) | instid1(SALU_CYCLE_1)
	s_and_b32 s2, vcc_lo, s2
	s_and_saveexec_b32 s3, s2
	s_delay_alu instid0(SALU_CYCLE_1)
	s_xor_b32 s2, exec_lo, s3
; %bb.570:
	v_cmp_ne_u32_e32 vcc_lo, 0, v245
	v_cndmask_b32_e32 v245, 28, v245, vcc_lo
; %bb.571:
	s_and_not1_saveexec_b32 s3, s2
	s_cbranch_execz .LBB114_577
; %bb.572:
	v_cmp_gt_f64_e32 vcc_lo, 0, v[232:233]
	v_cmp_gt_f64_e64 s2, 0, v[234:235]
	v_xor_b32_e32 v212, 0x80000000, v233
	v_xor_b32_e32 v214, 0x80000000, v235
	s_delay_alu instid0(VALU_DEP_2) | instskip(NEXT) | instid1(VALU_DEP_2)
	v_cndmask_b32_e32 v213, v233, v212, vcc_lo
	v_cndmask_b32_e64 v215, v235, v214, s2
	v_cndmask_b32_e32 v212, v232, v232, vcc_lo
	v_cndmask_b32_e64 v214, v234, v234, s2
	s_mov_b32 s2, exec_lo
	s_delay_alu instid0(VALU_DEP_1)
	v_cmpx_ngt_f64_e32 v[212:213], v[214:215]
	s_xor_b32 s2, exec_lo, s2
	s_cbranch_execz .LBB114_574
; %bb.573:
	v_div_scale_f64 v[212:213], null, v[234:235], v[234:235], v[232:233]
	v_div_scale_f64 v[218:219], vcc_lo, v[232:233], v[234:235], v[232:233]
	s_delay_alu instid0(VALU_DEP_2) | instskip(SKIP_2) | instid1(VALU_DEP_1)
	v_rcp_f64_e32 v[214:215], v[212:213]
	s_waitcnt_depctr 0xfff
	v_fma_f64 v[216:217], -v[212:213], v[214:215], 1.0
	v_fma_f64 v[214:215], v[214:215], v[216:217], v[214:215]
	s_delay_alu instid0(VALU_DEP_1) | instskip(NEXT) | instid1(VALU_DEP_1)
	v_fma_f64 v[216:217], -v[212:213], v[214:215], 1.0
	v_fma_f64 v[214:215], v[214:215], v[216:217], v[214:215]
	s_delay_alu instid0(VALU_DEP_1) | instskip(NEXT) | instid1(VALU_DEP_1)
	v_mul_f64 v[216:217], v[218:219], v[214:215]
	v_fma_f64 v[212:213], -v[212:213], v[216:217], v[218:219]
	s_delay_alu instid0(VALU_DEP_1) | instskip(NEXT) | instid1(VALU_DEP_1)
	v_div_fmas_f64 v[212:213], v[212:213], v[214:215], v[216:217]
	v_div_fixup_f64 v[212:213], v[212:213], v[234:235], v[232:233]
	s_delay_alu instid0(VALU_DEP_1) | instskip(NEXT) | instid1(VALU_DEP_1)
	v_fma_f64 v[214:215], v[232:233], v[212:213], v[234:235]
	v_div_scale_f64 v[216:217], null, v[214:215], v[214:215], 1.0
	s_delay_alu instid0(VALU_DEP_1) | instskip(SKIP_2) | instid1(VALU_DEP_1)
	v_rcp_f64_e32 v[218:219], v[216:217]
	s_waitcnt_depctr 0xfff
	v_fma_f64 v[220:221], -v[216:217], v[218:219], 1.0
	v_fma_f64 v[218:219], v[218:219], v[220:221], v[218:219]
	s_delay_alu instid0(VALU_DEP_1) | instskip(NEXT) | instid1(VALU_DEP_1)
	v_fma_f64 v[220:221], -v[216:217], v[218:219], 1.0
	v_fma_f64 v[218:219], v[218:219], v[220:221], v[218:219]
	v_div_scale_f64 v[220:221], vcc_lo, 1.0, v[214:215], 1.0
	s_delay_alu instid0(VALU_DEP_1) | instskip(NEXT) | instid1(VALU_DEP_1)
	v_mul_f64 v[222:223], v[220:221], v[218:219]
	v_fma_f64 v[216:217], -v[216:217], v[222:223], v[220:221]
	s_delay_alu instid0(VALU_DEP_1) | instskip(NEXT) | instid1(VALU_DEP_1)
	v_div_fmas_f64 v[216:217], v[216:217], v[218:219], v[222:223]
	v_div_fixup_f64 v[234:235], v[216:217], v[214:215], 1.0
	s_delay_alu instid0(VALU_DEP_1)
	v_mul_f64 v[232:233], v[212:213], v[234:235]
	v_xor_b32_e32 v235, 0x80000000, v235
.LBB114_574:
	s_and_not1_saveexec_b32 s2, s2
	s_cbranch_execz .LBB114_576
; %bb.575:
	s_delay_alu instid0(VALU_DEP_1) | instskip(SKIP_1) | instid1(VALU_DEP_2)
	v_div_scale_f64 v[212:213], null, v[232:233], v[232:233], v[234:235]
	v_div_scale_f64 v[218:219], vcc_lo, v[234:235], v[232:233], v[234:235]
	v_rcp_f64_e32 v[214:215], v[212:213]
	s_waitcnt_depctr 0xfff
	v_fma_f64 v[216:217], -v[212:213], v[214:215], 1.0
	s_delay_alu instid0(VALU_DEP_1) | instskip(NEXT) | instid1(VALU_DEP_1)
	v_fma_f64 v[214:215], v[214:215], v[216:217], v[214:215]
	v_fma_f64 v[216:217], -v[212:213], v[214:215], 1.0
	s_delay_alu instid0(VALU_DEP_1) | instskip(NEXT) | instid1(VALU_DEP_1)
	v_fma_f64 v[214:215], v[214:215], v[216:217], v[214:215]
	v_mul_f64 v[216:217], v[218:219], v[214:215]
	s_delay_alu instid0(VALU_DEP_1) | instskip(NEXT) | instid1(VALU_DEP_1)
	v_fma_f64 v[212:213], -v[212:213], v[216:217], v[218:219]
	v_div_fmas_f64 v[212:213], v[212:213], v[214:215], v[216:217]
	s_delay_alu instid0(VALU_DEP_1) | instskip(NEXT) | instid1(VALU_DEP_1)
	v_div_fixup_f64 v[212:213], v[212:213], v[232:233], v[234:235]
	v_fma_f64 v[214:215], v[234:235], v[212:213], v[232:233]
	s_delay_alu instid0(VALU_DEP_1) | instskip(NEXT) | instid1(VALU_DEP_1)
	v_div_scale_f64 v[216:217], null, v[214:215], v[214:215], 1.0
	v_rcp_f64_e32 v[218:219], v[216:217]
	s_waitcnt_depctr 0xfff
	v_fma_f64 v[220:221], -v[216:217], v[218:219], 1.0
	s_delay_alu instid0(VALU_DEP_1) | instskip(NEXT) | instid1(VALU_DEP_1)
	v_fma_f64 v[218:219], v[218:219], v[220:221], v[218:219]
	v_fma_f64 v[220:221], -v[216:217], v[218:219], 1.0
	s_delay_alu instid0(VALU_DEP_1) | instskip(SKIP_1) | instid1(VALU_DEP_1)
	v_fma_f64 v[218:219], v[218:219], v[220:221], v[218:219]
	v_div_scale_f64 v[220:221], vcc_lo, 1.0, v[214:215], 1.0
	v_mul_f64 v[222:223], v[220:221], v[218:219]
	s_delay_alu instid0(VALU_DEP_1) | instskip(NEXT) | instid1(VALU_DEP_1)
	v_fma_f64 v[216:217], -v[216:217], v[222:223], v[220:221]
	v_div_fmas_f64 v[216:217], v[216:217], v[218:219], v[222:223]
	s_delay_alu instid0(VALU_DEP_1) | instskip(NEXT) | instid1(VALU_DEP_1)
	v_div_fixup_f64 v[232:233], v[216:217], v[214:215], 1.0
	v_mul_f64 v[234:235], v[212:213], -v[232:233]
.LBB114_576:
	s_or_b32 exec_lo, exec_lo, s2
.LBB114_577:
	s_delay_alu instid0(SALU_CYCLE_1) | instskip(NEXT) | instid1(SALU_CYCLE_1)
	s_or_b32 exec_lo, exec_lo, s3
	s_mov_b32 s2, exec_lo
	v_cmpx_ne_u32_e64 v248, v240
	s_xor_b32 s2, exec_lo, s2
	s_cbranch_execz .LBB114_583
; %bb.578:
	s_mov_b32 s3, exec_lo
	v_cmpx_eq_u32_e32 27, v248
	s_cbranch_execz .LBB114_582
; %bb.579:
	v_cmp_ne_u32_e32 vcc_lo, 27, v240
	s_xor_b32 s4, s5, -1
	s_delay_alu instid0(SALU_CYCLE_1) | instskip(NEXT) | instid1(SALU_CYCLE_1)
	s_and_b32 s6, s4, vcc_lo
	s_and_saveexec_b32 s4, s6
	s_cbranch_execz .LBB114_581
; %bb.580:
	scratch_load_b64 v[208:209], off, off   ; 8-byte Folded Reload
	v_ashrrev_i32_e32 v241, 31, v240
	s_delay_alu instid0(VALU_DEP_1) | instskip(SKIP_1) | instid1(VALU_DEP_1)
	v_lshlrev_b64 v[212:213], 2, v[240:241]
	s_waitcnt vmcnt(0)
	v_add_co_u32 v212, vcc_lo, v208, v212
	s_delay_alu instid0(VALU_DEP_2)
	v_add_co_ci_u32_e32 v213, vcc_lo, v209, v213, vcc_lo
	s_clause 0x1
	flat_load_b32 v214, v[212:213]
	flat_load_b32 v215, v[208:209] offset:108
	s_waitcnt vmcnt(1) lgkmcnt(1)
	flat_store_b32 v[208:209], v214 offset:108
	s_waitcnt vmcnt(0) lgkmcnt(1)
	flat_store_b32 v[212:213], v215
.LBB114_581:
	s_or_b32 exec_lo, exec_lo, s4
	v_mov_b32_e32 v248, v240
	v_mov_b32_e32 v236, v240
.LBB114_582:
	s_or_b32 exec_lo, exec_lo, s3
.LBB114_583:
	s_and_not1_saveexec_b32 s2, s2
	s_cbranch_execz .LBB114_585
; %bb.584:
	v_mov_b32_e32 v248, 27
	ds_store_2addr_b64 v242, v[116:117], v[118:119] offset0:56 offset1:57
	ds_store_2addr_b64 v242, v[112:113], v[114:115] offset0:58 offset1:59
	;; [unrolled: 1-line block ×30, first 2 shown]
.LBB114_585:
	s_or_b32 exec_lo, exec_lo, s2
	s_delay_alu instid0(SALU_CYCLE_1)
	s_mov_b32 s2, exec_lo
	s_waitcnt lgkmcnt(0)
	s_waitcnt_vscnt null, 0x0
	s_barrier
	buffer_gl0_inv
	v_cmpx_lt_i32_e32 27, v248
	s_cbranch_execz .LBB114_587
; %bb.586:
	v_mul_f64 v[212:213], v[234:235], v[122:123]
	v_mul_f64 v[122:123], v[232:233], v[122:123]
	s_delay_alu instid0(VALU_DEP_2) | instskip(NEXT) | instid1(VALU_DEP_2)
	v_fma_f64 v[240:241], v[232:233], v[120:121], -v[212:213]
	v_fma_f64 v[122:123], v[234:235], v[120:121], v[122:123]
	ds_load_2addr_b64 v[232:235], v242 offset0:56 offset1:57
	s_waitcnt lgkmcnt(0)
	v_mul_f64 v[120:121], v[234:235], v[122:123]
	v_mul_f64 v[212:213], v[232:233], v[122:123]
	s_delay_alu instid0(VALU_DEP_2) | instskip(NEXT) | instid1(VALU_DEP_2)
	v_fma_f64 v[120:121], v[232:233], v[240:241], -v[120:121]
	v_fma_f64 v[212:213], v[234:235], v[240:241], v[212:213]
	ds_load_2addr_b64 v[232:235], v242 offset0:58 offset1:59
	v_add_f64 v[116:117], v[116:117], -v[120:121]
	v_add_f64 v[118:119], v[118:119], -v[212:213]
	s_waitcnt lgkmcnt(0)
	v_mul_f64 v[120:121], v[234:235], v[122:123]
	v_mul_f64 v[212:213], v[232:233], v[122:123]
	s_delay_alu instid0(VALU_DEP_2) | instskip(NEXT) | instid1(VALU_DEP_2)
	v_fma_f64 v[120:121], v[232:233], v[240:241], -v[120:121]
	v_fma_f64 v[212:213], v[234:235], v[240:241], v[212:213]
	ds_load_2addr_b64 v[232:235], v242 offset0:60 offset1:61
	v_add_f64 v[112:113], v[112:113], -v[120:121]
	v_add_f64 v[114:115], v[114:115], -v[212:213]
	;; [unrolled: 9-line block ×29, first 2 shown]
	s_waitcnt lgkmcnt(0)
	v_mul_f64 v[120:121], v[234:235], v[122:123]
	v_mul_f64 v[212:213], v[232:233], v[122:123]
	s_delay_alu instid0(VALU_DEP_2) | instskip(NEXT) | instid1(VALU_DEP_2)
	v_fma_f64 v[120:121], v[232:233], v[240:241], -v[120:121]
	v_fma_f64 v[212:213], v[234:235], v[240:241], v[212:213]
	s_delay_alu instid0(VALU_DEP_2) | instskip(NEXT) | instid1(VALU_DEP_2)
	v_add_f64 v[0:1], v[0:1], -v[120:121]
	v_add_f64 v[2:3], v[2:3], -v[212:213]
	v_dual_mov_b32 v120, v240 :: v_dual_mov_b32 v121, v241
.LBB114_587:
	s_or_b32 exec_lo, exec_lo, s2
	v_lshl_add_u32 v212, v248, 4, v242
	s_barrier
	buffer_gl0_inv
	v_mov_b32_e32 v240, 28
	ds_store_2addr_b64 v212, v[116:117], v[118:119] offset1:1
	s_waitcnt lgkmcnt(0)
	s_barrier
	buffer_gl0_inv
	ds_load_2addr_b64 v[232:235], v242 offset0:56 offset1:57
	s_cmp_lt_i32 s12, 30
	s_cbranch_scc1 .LBB114_590
; %bb.588:
	v_add3_u32 v241, v246, 0, 0x1d0
	v_mov_b32_e32 v240, 28
	s_mov_b32 s2, 29
	s_set_inst_prefetch_distance 0x1
	.p2align	6
.LBB114_589:                            ; =>This Inner Loop Header: Depth=1
	s_waitcnt lgkmcnt(0)
	v_cmp_gt_f64_e32 vcc_lo, 0, v[232:233]
	v_xor_b32_e32 v212, 0x80000000, v233
	v_xor_b32_e32 v214, 0x80000000, v235
	ds_load_2addr_b64 v[249:252], v241 offset1:1
	v_add_nc_u32_e32 v241, 16, v241
	s_waitcnt lgkmcnt(0)
	v_xor_b32_e32 v216, 0x80000000, v252
	v_cndmask_b32_e32 v213, v233, v212, vcc_lo
	v_cndmask_b32_e32 v212, v232, v232, vcc_lo
	v_cmp_gt_f64_e32 vcc_lo, 0, v[234:235]
	v_cndmask_b32_e32 v215, v235, v214, vcc_lo
	v_cndmask_b32_e32 v214, v234, v234, vcc_lo
	v_cmp_gt_f64_e32 vcc_lo, 0, v[249:250]
	s_delay_alu instid0(VALU_DEP_2) | instskip(SKIP_1) | instid1(VALU_DEP_1)
	v_add_f64 v[212:213], v[212:213], v[214:215]
	v_xor_b32_e32 v214, 0x80000000, v250
	v_dual_cndmask_b32 v215, v250, v214 :: v_dual_mov_b32 v214, v249
	v_cmp_gt_f64_e32 vcc_lo, 0, v[251:252]
	v_dual_cndmask_b32 v217, v252, v216 :: v_dual_mov_b32 v216, v251
	s_delay_alu instid0(VALU_DEP_1) | instskip(NEXT) | instid1(VALU_DEP_1)
	v_add_f64 v[214:215], v[214:215], v[216:217]
	v_cmp_lt_f64_e32 vcc_lo, v[212:213], v[214:215]
	v_dual_cndmask_b32 v233, v233, v250 :: v_dual_cndmask_b32 v232, v232, v249
	v_dual_cndmask_b32 v235, v235, v252 :: v_dual_cndmask_b32 v234, v234, v251
	v_cndmask_b32_e64 v240, v240, s2, vcc_lo
	s_add_i32 s2, s2, 1
	s_delay_alu instid0(SALU_CYCLE_1)
	s_cmp_lg_u32 s12, s2
	s_cbranch_scc1 .LBB114_589
.LBB114_590:
	s_set_inst_prefetch_distance 0x2
	s_waitcnt lgkmcnt(0)
	v_cmp_eq_f64_e32 vcc_lo, 0, v[232:233]
	v_cmp_eq_f64_e64 s2, 0, v[234:235]
	s_delay_alu instid0(VALU_DEP_1) | instskip(NEXT) | instid1(SALU_CYCLE_1)
	s_and_b32 s2, vcc_lo, s2
	s_and_saveexec_b32 s3, s2
	s_delay_alu instid0(SALU_CYCLE_1)
	s_xor_b32 s2, exec_lo, s3
; %bb.591:
	v_cmp_ne_u32_e32 vcc_lo, 0, v245
	v_cndmask_b32_e32 v245, 29, v245, vcc_lo
; %bb.592:
	s_and_not1_saveexec_b32 s3, s2
	s_cbranch_execz .LBB114_598
; %bb.593:
	v_cmp_gt_f64_e32 vcc_lo, 0, v[232:233]
	v_cmp_gt_f64_e64 s2, 0, v[234:235]
	v_xor_b32_e32 v212, 0x80000000, v233
	v_xor_b32_e32 v214, 0x80000000, v235
	s_delay_alu instid0(VALU_DEP_2) | instskip(NEXT) | instid1(VALU_DEP_2)
	v_cndmask_b32_e32 v213, v233, v212, vcc_lo
	v_cndmask_b32_e64 v215, v235, v214, s2
	v_cndmask_b32_e32 v212, v232, v232, vcc_lo
	v_cndmask_b32_e64 v214, v234, v234, s2
	s_mov_b32 s2, exec_lo
	s_delay_alu instid0(VALU_DEP_1)
	v_cmpx_ngt_f64_e32 v[212:213], v[214:215]
	s_xor_b32 s2, exec_lo, s2
	s_cbranch_execz .LBB114_595
; %bb.594:
	v_div_scale_f64 v[212:213], null, v[234:235], v[234:235], v[232:233]
	v_div_scale_f64 v[218:219], vcc_lo, v[232:233], v[234:235], v[232:233]
	s_delay_alu instid0(VALU_DEP_2) | instskip(SKIP_2) | instid1(VALU_DEP_1)
	v_rcp_f64_e32 v[214:215], v[212:213]
	s_waitcnt_depctr 0xfff
	v_fma_f64 v[216:217], -v[212:213], v[214:215], 1.0
	v_fma_f64 v[214:215], v[214:215], v[216:217], v[214:215]
	s_delay_alu instid0(VALU_DEP_1) | instskip(NEXT) | instid1(VALU_DEP_1)
	v_fma_f64 v[216:217], -v[212:213], v[214:215], 1.0
	v_fma_f64 v[214:215], v[214:215], v[216:217], v[214:215]
	s_delay_alu instid0(VALU_DEP_1) | instskip(NEXT) | instid1(VALU_DEP_1)
	v_mul_f64 v[216:217], v[218:219], v[214:215]
	v_fma_f64 v[212:213], -v[212:213], v[216:217], v[218:219]
	s_delay_alu instid0(VALU_DEP_1) | instskip(NEXT) | instid1(VALU_DEP_1)
	v_div_fmas_f64 v[212:213], v[212:213], v[214:215], v[216:217]
	v_div_fixup_f64 v[212:213], v[212:213], v[234:235], v[232:233]
	s_delay_alu instid0(VALU_DEP_1) | instskip(NEXT) | instid1(VALU_DEP_1)
	v_fma_f64 v[214:215], v[232:233], v[212:213], v[234:235]
	v_div_scale_f64 v[216:217], null, v[214:215], v[214:215], 1.0
	s_delay_alu instid0(VALU_DEP_1) | instskip(SKIP_2) | instid1(VALU_DEP_1)
	v_rcp_f64_e32 v[218:219], v[216:217]
	s_waitcnt_depctr 0xfff
	v_fma_f64 v[220:221], -v[216:217], v[218:219], 1.0
	v_fma_f64 v[218:219], v[218:219], v[220:221], v[218:219]
	s_delay_alu instid0(VALU_DEP_1) | instskip(NEXT) | instid1(VALU_DEP_1)
	v_fma_f64 v[220:221], -v[216:217], v[218:219], 1.0
	v_fma_f64 v[218:219], v[218:219], v[220:221], v[218:219]
	v_div_scale_f64 v[220:221], vcc_lo, 1.0, v[214:215], 1.0
	s_delay_alu instid0(VALU_DEP_1) | instskip(NEXT) | instid1(VALU_DEP_1)
	v_mul_f64 v[222:223], v[220:221], v[218:219]
	v_fma_f64 v[216:217], -v[216:217], v[222:223], v[220:221]
	s_delay_alu instid0(VALU_DEP_1) | instskip(NEXT) | instid1(VALU_DEP_1)
	v_div_fmas_f64 v[216:217], v[216:217], v[218:219], v[222:223]
	v_div_fixup_f64 v[234:235], v[216:217], v[214:215], 1.0
	s_delay_alu instid0(VALU_DEP_1)
	v_mul_f64 v[232:233], v[212:213], v[234:235]
	v_xor_b32_e32 v235, 0x80000000, v235
.LBB114_595:
	s_and_not1_saveexec_b32 s2, s2
	s_cbranch_execz .LBB114_597
; %bb.596:
	s_delay_alu instid0(VALU_DEP_1) | instskip(SKIP_1) | instid1(VALU_DEP_2)
	v_div_scale_f64 v[212:213], null, v[232:233], v[232:233], v[234:235]
	v_div_scale_f64 v[218:219], vcc_lo, v[234:235], v[232:233], v[234:235]
	v_rcp_f64_e32 v[214:215], v[212:213]
	s_waitcnt_depctr 0xfff
	v_fma_f64 v[216:217], -v[212:213], v[214:215], 1.0
	s_delay_alu instid0(VALU_DEP_1) | instskip(NEXT) | instid1(VALU_DEP_1)
	v_fma_f64 v[214:215], v[214:215], v[216:217], v[214:215]
	v_fma_f64 v[216:217], -v[212:213], v[214:215], 1.0
	s_delay_alu instid0(VALU_DEP_1) | instskip(NEXT) | instid1(VALU_DEP_1)
	v_fma_f64 v[214:215], v[214:215], v[216:217], v[214:215]
	v_mul_f64 v[216:217], v[218:219], v[214:215]
	s_delay_alu instid0(VALU_DEP_1) | instskip(NEXT) | instid1(VALU_DEP_1)
	v_fma_f64 v[212:213], -v[212:213], v[216:217], v[218:219]
	v_div_fmas_f64 v[212:213], v[212:213], v[214:215], v[216:217]
	s_delay_alu instid0(VALU_DEP_1) | instskip(NEXT) | instid1(VALU_DEP_1)
	v_div_fixup_f64 v[212:213], v[212:213], v[232:233], v[234:235]
	v_fma_f64 v[214:215], v[234:235], v[212:213], v[232:233]
	s_delay_alu instid0(VALU_DEP_1) | instskip(NEXT) | instid1(VALU_DEP_1)
	v_div_scale_f64 v[216:217], null, v[214:215], v[214:215], 1.0
	v_rcp_f64_e32 v[218:219], v[216:217]
	s_waitcnt_depctr 0xfff
	v_fma_f64 v[220:221], -v[216:217], v[218:219], 1.0
	s_delay_alu instid0(VALU_DEP_1) | instskip(NEXT) | instid1(VALU_DEP_1)
	v_fma_f64 v[218:219], v[218:219], v[220:221], v[218:219]
	v_fma_f64 v[220:221], -v[216:217], v[218:219], 1.0
	s_delay_alu instid0(VALU_DEP_1) | instskip(SKIP_1) | instid1(VALU_DEP_1)
	v_fma_f64 v[218:219], v[218:219], v[220:221], v[218:219]
	v_div_scale_f64 v[220:221], vcc_lo, 1.0, v[214:215], 1.0
	v_mul_f64 v[222:223], v[220:221], v[218:219]
	s_delay_alu instid0(VALU_DEP_1) | instskip(NEXT) | instid1(VALU_DEP_1)
	v_fma_f64 v[216:217], -v[216:217], v[222:223], v[220:221]
	v_div_fmas_f64 v[216:217], v[216:217], v[218:219], v[222:223]
	s_delay_alu instid0(VALU_DEP_1) | instskip(NEXT) | instid1(VALU_DEP_1)
	v_div_fixup_f64 v[232:233], v[216:217], v[214:215], 1.0
	v_mul_f64 v[234:235], v[212:213], -v[232:233]
.LBB114_597:
	s_or_b32 exec_lo, exec_lo, s2
.LBB114_598:
	s_delay_alu instid0(SALU_CYCLE_1) | instskip(NEXT) | instid1(SALU_CYCLE_1)
	s_or_b32 exec_lo, exec_lo, s3
	s_mov_b32 s2, exec_lo
	v_cmpx_ne_u32_e64 v248, v240
	s_xor_b32 s2, exec_lo, s2
	s_cbranch_execz .LBB114_604
; %bb.599:
	s_mov_b32 s3, exec_lo
	v_cmpx_eq_u32_e32 28, v248
	s_cbranch_execz .LBB114_603
; %bb.600:
	v_cmp_ne_u32_e32 vcc_lo, 28, v240
	s_xor_b32 s4, s5, -1
	s_delay_alu instid0(SALU_CYCLE_1) | instskip(NEXT) | instid1(SALU_CYCLE_1)
	s_and_b32 s6, s4, vcc_lo
	s_and_saveexec_b32 s4, s6
	s_cbranch_execz .LBB114_602
; %bb.601:
	scratch_load_b64 v[208:209], off, off   ; 8-byte Folded Reload
	v_ashrrev_i32_e32 v241, 31, v240
	s_delay_alu instid0(VALU_DEP_1) | instskip(SKIP_1) | instid1(VALU_DEP_1)
	v_lshlrev_b64 v[212:213], 2, v[240:241]
	s_waitcnt vmcnt(0)
	v_add_co_u32 v212, vcc_lo, v208, v212
	s_delay_alu instid0(VALU_DEP_2)
	v_add_co_ci_u32_e32 v213, vcc_lo, v209, v213, vcc_lo
	s_clause 0x1
	flat_load_b32 v214, v[212:213]
	flat_load_b32 v215, v[208:209] offset:112
	s_waitcnt vmcnt(1) lgkmcnt(1)
	flat_store_b32 v[208:209], v214 offset:112
	s_waitcnt vmcnt(0) lgkmcnt(1)
	flat_store_b32 v[212:213], v215
.LBB114_602:
	s_or_b32 exec_lo, exec_lo, s4
	v_mov_b32_e32 v248, v240
	v_mov_b32_e32 v236, v240
.LBB114_603:
	s_or_b32 exec_lo, exec_lo, s3
.LBB114_604:
	s_and_not1_saveexec_b32 s2, s2
	s_cbranch_execz .LBB114_606
; %bb.605:
	v_mov_b32_e32 v248, 28
	ds_store_2addr_b64 v242, v[112:113], v[114:115] offset0:58 offset1:59
	ds_store_2addr_b64 v242, v[108:109], v[110:111] offset0:60 offset1:61
	;; [unrolled: 1-line block ×29, first 2 shown]
.LBB114_606:
	s_or_b32 exec_lo, exec_lo, s2
	s_delay_alu instid0(SALU_CYCLE_1)
	s_mov_b32 s2, exec_lo
	s_waitcnt lgkmcnt(0)
	s_waitcnt_vscnt null, 0x0
	s_barrier
	buffer_gl0_inv
	v_cmpx_lt_i32_e32 28, v248
	s_cbranch_execz .LBB114_608
; %bb.607:
	v_mul_f64 v[212:213], v[234:235], v[118:119]
	v_mul_f64 v[118:119], v[232:233], v[118:119]
	s_delay_alu instid0(VALU_DEP_2) | instskip(NEXT) | instid1(VALU_DEP_2)
	v_fma_f64 v[240:241], v[232:233], v[116:117], -v[212:213]
	v_fma_f64 v[118:119], v[234:235], v[116:117], v[118:119]
	ds_load_2addr_b64 v[232:235], v242 offset0:58 offset1:59
	s_waitcnt lgkmcnt(0)
	v_mul_f64 v[116:117], v[234:235], v[118:119]
	v_mul_f64 v[212:213], v[232:233], v[118:119]
	s_delay_alu instid0(VALU_DEP_2) | instskip(NEXT) | instid1(VALU_DEP_2)
	v_fma_f64 v[116:117], v[232:233], v[240:241], -v[116:117]
	v_fma_f64 v[212:213], v[234:235], v[240:241], v[212:213]
	ds_load_2addr_b64 v[232:235], v242 offset0:60 offset1:61
	v_add_f64 v[112:113], v[112:113], -v[116:117]
	v_add_f64 v[114:115], v[114:115], -v[212:213]
	s_waitcnt lgkmcnt(0)
	v_mul_f64 v[116:117], v[234:235], v[118:119]
	v_mul_f64 v[212:213], v[232:233], v[118:119]
	s_delay_alu instid0(VALU_DEP_2) | instskip(NEXT) | instid1(VALU_DEP_2)
	v_fma_f64 v[116:117], v[232:233], v[240:241], -v[116:117]
	v_fma_f64 v[212:213], v[234:235], v[240:241], v[212:213]
	ds_load_2addr_b64 v[232:235], v242 offset0:62 offset1:63
	v_add_f64 v[108:109], v[108:109], -v[116:117]
	v_add_f64 v[110:111], v[110:111], -v[212:213]
	;; [unrolled: 9-line block ×28, first 2 shown]
	s_waitcnt lgkmcnt(0)
	v_mul_f64 v[116:117], v[234:235], v[118:119]
	v_mul_f64 v[212:213], v[232:233], v[118:119]
	s_delay_alu instid0(VALU_DEP_2) | instskip(NEXT) | instid1(VALU_DEP_2)
	v_fma_f64 v[116:117], v[232:233], v[240:241], -v[116:117]
	v_fma_f64 v[212:213], v[234:235], v[240:241], v[212:213]
	s_delay_alu instid0(VALU_DEP_2) | instskip(NEXT) | instid1(VALU_DEP_2)
	v_add_f64 v[0:1], v[0:1], -v[116:117]
	v_add_f64 v[2:3], v[2:3], -v[212:213]
	v_dual_mov_b32 v116, v240 :: v_dual_mov_b32 v117, v241
.LBB114_608:
	s_or_b32 exec_lo, exec_lo, s2
	v_lshl_add_u32 v212, v248, 4, v242
	s_barrier
	buffer_gl0_inv
	v_mov_b32_e32 v240, 29
	ds_store_2addr_b64 v212, v[112:113], v[114:115] offset1:1
	s_waitcnt lgkmcnt(0)
	s_barrier
	buffer_gl0_inv
	ds_load_2addr_b64 v[232:235], v242 offset0:58 offset1:59
	s_cmp_lt_i32 s12, 31
	s_cbranch_scc1 .LBB114_611
; %bb.609:
	v_add3_u32 v241, v246, 0, 0x1e0
	v_mov_b32_e32 v240, 29
	s_mov_b32 s2, 30
	s_set_inst_prefetch_distance 0x1
	.p2align	6
.LBB114_610:                            ; =>This Inner Loop Header: Depth=1
	s_waitcnt lgkmcnt(0)
	v_cmp_gt_f64_e32 vcc_lo, 0, v[232:233]
	v_xor_b32_e32 v212, 0x80000000, v233
	v_xor_b32_e32 v214, 0x80000000, v235
	ds_load_2addr_b64 v[249:252], v241 offset1:1
	v_add_nc_u32_e32 v241, 16, v241
	s_waitcnt lgkmcnt(0)
	v_xor_b32_e32 v216, 0x80000000, v252
	v_cndmask_b32_e32 v213, v233, v212, vcc_lo
	v_cndmask_b32_e32 v212, v232, v232, vcc_lo
	v_cmp_gt_f64_e32 vcc_lo, 0, v[234:235]
	v_cndmask_b32_e32 v215, v235, v214, vcc_lo
	v_cndmask_b32_e32 v214, v234, v234, vcc_lo
	v_cmp_gt_f64_e32 vcc_lo, 0, v[249:250]
	s_delay_alu instid0(VALU_DEP_2) | instskip(SKIP_1) | instid1(VALU_DEP_1)
	v_add_f64 v[212:213], v[212:213], v[214:215]
	v_xor_b32_e32 v214, 0x80000000, v250
	v_dual_cndmask_b32 v215, v250, v214 :: v_dual_mov_b32 v214, v249
	v_cmp_gt_f64_e32 vcc_lo, 0, v[251:252]
	v_dual_cndmask_b32 v217, v252, v216 :: v_dual_mov_b32 v216, v251
	s_delay_alu instid0(VALU_DEP_1) | instskip(NEXT) | instid1(VALU_DEP_1)
	v_add_f64 v[214:215], v[214:215], v[216:217]
	v_cmp_lt_f64_e32 vcc_lo, v[212:213], v[214:215]
	v_dual_cndmask_b32 v233, v233, v250 :: v_dual_cndmask_b32 v232, v232, v249
	v_dual_cndmask_b32 v235, v235, v252 :: v_dual_cndmask_b32 v234, v234, v251
	v_cndmask_b32_e64 v240, v240, s2, vcc_lo
	s_add_i32 s2, s2, 1
	s_delay_alu instid0(SALU_CYCLE_1)
	s_cmp_lg_u32 s12, s2
	s_cbranch_scc1 .LBB114_610
.LBB114_611:
	s_set_inst_prefetch_distance 0x2
	s_waitcnt lgkmcnt(0)
	v_cmp_eq_f64_e32 vcc_lo, 0, v[232:233]
	v_cmp_eq_f64_e64 s2, 0, v[234:235]
	s_delay_alu instid0(VALU_DEP_1) | instskip(NEXT) | instid1(SALU_CYCLE_1)
	s_and_b32 s2, vcc_lo, s2
	s_and_saveexec_b32 s3, s2
	s_delay_alu instid0(SALU_CYCLE_1)
	s_xor_b32 s2, exec_lo, s3
; %bb.612:
	v_cmp_ne_u32_e32 vcc_lo, 0, v245
	v_cndmask_b32_e32 v245, 30, v245, vcc_lo
; %bb.613:
	s_and_not1_saveexec_b32 s3, s2
	s_cbranch_execz .LBB114_619
; %bb.614:
	v_cmp_gt_f64_e32 vcc_lo, 0, v[232:233]
	v_cmp_gt_f64_e64 s2, 0, v[234:235]
	v_xor_b32_e32 v212, 0x80000000, v233
	v_xor_b32_e32 v214, 0x80000000, v235
	s_delay_alu instid0(VALU_DEP_2) | instskip(NEXT) | instid1(VALU_DEP_2)
	v_cndmask_b32_e32 v213, v233, v212, vcc_lo
	v_cndmask_b32_e64 v215, v235, v214, s2
	v_cndmask_b32_e32 v212, v232, v232, vcc_lo
	v_cndmask_b32_e64 v214, v234, v234, s2
	s_mov_b32 s2, exec_lo
	s_delay_alu instid0(VALU_DEP_1)
	v_cmpx_ngt_f64_e32 v[212:213], v[214:215]
	s_xor_b32 s2, exec_lo, s2
	s_cbranch_execz .LBB114_616
; %bb.615:
	v_div_scale_f64 v[212:213], null, v[234:235], v[234:235], v[232:233]
	v_div_scale_f64 v[218:219], vcc_lo, v[232:233], v[234:235], v[232:233]
	s_delay_alu instid0(VALU_DEP_2) | instskip(SKIP_2) | instid1(VALU_DEP_1)
	v_rcp_f64_e32 v[214:215], v[212:213]
	s_waitcnt_depctr 0xfff
	v_fma_f64 v[216:217], -v[212:213], v[214:215], 1.0
	v_fma_f64 v[214:215], v[214:215], v[216:217], v[214:215]
	s_delay_alu instid0(VALU_DEP_1) | instskip(NEXT) | instid1(VALU_DEP_1)
	v_fma_f64 v[216:217], -v[212:213], v[214:215], 1.0
	v_fma_f64 v[214:215], v[214:215], v[216:217], v[214:215]
	s_delay_alu instid0(VALU_DEP_1) | instskip(NEXT) | instid1(VALU_DEP_1)
	v_mul_f64 v[216:217], v[218:219], v[214:215]
	v_fma_f64 v[212:213], -v[212:213], v[216:217], v[218:219]
	s_delay_alu instid0(VALU_DEP_1) | instskip(NEXT) | instid1(VALU_DEP_1)
	v_div_fmas_f64 v[212:213], v[212:213], v[214:215], v[216:217]
	v_div_fixup_f64 v[212:213], v[212:213], v[234:235], v[232:233]
	s_delay_alu instid0(VALU_DEP_1) | instskip(NEXT) | instid1(VALU_DEP_1)
	v_fma_f64 v[214:215], v[232:233], v[212:213], v[234:235]
	v_div_scale_f64 v[216:217], null, v[214:215], v[214:215], 1.0
	s_delay_alu instid0(VALU_DEP_1) | instskip(SKIP_2) | instid1(VALU_DEP_1)
	v_rcp_f64_e32 v[218:219], v[216:217]
	s_waitcnt_depctr 0xfff
	v_fma_f64 v[220:221], -v[216:217], v[218:219], 1.0
	v_fma_f64 v[218:219], v[218:219], v[220:221], v[218:219]
	s_delay_alu instid0(VALU_DEP_1) | instskip(NEXT) | instid1(VALU_DEP_1)
	v_fma_f64 v[220:221], -v[216:217], v[218:219], 1.0
	v_fma_f64 v[218:219], v[218:219], v[220:221], v[218:219]
	v_div_scale_f64 v[220:221], vcc_lo, 1.0, v[214:215], 1.0
	s_delay_alu instid0(VALU_DEP_1) | instskip(NEXT) | instid1(VALU_DEP_1)
	v_mul_f64 v[222:223], v[220:221], v[218:219]
	v_fma_f64 v[216:217], -v[216:217], v[222:223], v[220:221]
	s_delay_alu instid0(VALU_DEP_1) | instskip(NEXT) | instid1(VALU_DEP_1)
	v_div_fmas_f64 v[216:217], v[216:217], v[218:219], v[222:223]
	v_div_fixup_f64 v[234:235], v[216:217], v[214:215], 1.0
	s_delay_alu instid0(VALU_DEP_1)
	v_mul_f64 v[232:233], v[212:213], v[234:235]
	v_xor_b32_e32 v235, 0x80000000, v235
.LBB114_616:
	s_and_not1_saveexec_b32 s2, s2
	s_cbranch_execz .LBB114_618
; %bb.617:
	s_delay_alu instid0(VALU_DEP_1) | instskip(SKIP_1) | instid1(VALU_DEP_2)
	v_div_scale_f64 v[212:213], null, v[232:233], v[232:233], v[234:235]
	v_div_scale_f64 v[218:219], vcc_lo, v[234:235], v[232:233], v[234:235]
	v_rcp_f64_e32 v[214:215], v[212:213]
	s_waitcnt_depctr 0xfff
	v_fma_f64 v[216:217], -v[212:213], v[214:215], 1.0
	s_delay_alu instid0(VALU_DEP_1) | instskip(NEXT) | instid1(VALU_DEP_1)
	v_fma_f64 v[214:215], v[214:215], v[216:217], v[214:215]
	v_fma_f64 v[216:217], -v[212:213], v[214:215], 1.0
	s_delay_alu instid0(VALU_DEP_1) | instskip(NEXT) | instid1(VALU_DEP_1)
	v_fma_f64 v[214:215], v[214:215], v[216:217], v[214:215]
	v_mul_f64 v[216:217], v[218:219], v[214:215]
	s_delay_alu instid0(VALU_DEP_1) | instskip(NEXT) | instid1(VALU_DEP_1)
	v_fma_f64 v[212:213], -v[212:213], v[216:217], v[218:219]
	v_div_fmas_f64 v[212:213], v[212:213], v[214:215], v[216:217]
	s_delay_alu instid0(VALU_DEP_1) | instskip(NEXT) | instid1(VALU_DEP_1)
	v_div_fixup_f64 v[212:213], v[212:213], v[232:233], v[234:235]
	v_fma_f64 v[214:215], v[234:235], v[212:213], v[232:233]
	s_delay_alu instid0(VALU_DEP_1) | instskip(NEXT) | instid1(VALU_DEP_1)
	v_div_scale_f64 v[216:217], null, v[214:215], v[214:215], 1.0
	v_rcp_f64_e32 v[218:219], v[216:217]
	s_waitcnt_depctr 0xfff
	v_fma_f64 v[220:221], -v[216:217], v[218:219], 1.0
	s_delay_alu instid0(VALU_DEP_1) | instskip(NEXT) | instid1(VALU_DEP_1)
	v_fma_f64 v[218:219], v[218:219], v[220:221], v[218:219]
	v_fma_f64 v[220:221], -v[216:217], v[218:219], 1.0
	s_delay_alu instid0(VALU_DEP_1) | instskip(SKIP_1) | instid1(VALU_DEP_1)
	v_fma_f64 v[218:219], v[218:219], v[220:221], v[218:219]
	v_div_scale_f64 v[220:221], vcc_lo, 1.0, v[214:215], 1.0
	v_mul_f64 v[222:223], v[220:221], v[218:219]
	s_delay_alu instid0(VALU_DEP_1) | instskip(NEXT) | instid1(VALU_DEP_1)
	v_fma_f64 v[216:217], -v[216:217], v[222:223], v[220:221]
	v_div_fmas_f64 v[216:217], v[216:217], v[218:219], v[222:223]
	s_delay_alu instid0(VALU_DEP_1) | instskip(NEXT) | instid1(VALU_DEP_1)
	v_div_fixup_f64 v[232:233], v[216:217], v[214:215], 1.0
	v_mul_f64 v[234:235], v[212:213], -v[232:233]
.LBB114_618:
	s_or_b32 exec_lo, exec_lo, s2
.LBB114_619:
	s_delay_alu instid0(SALU_CYCLE_1) | instskip(NEXT) | instid1(SALU_CYCLE_1)
	s_or_b32 exec_lo, exec_lo, s3
	s_mov_b32 s2, exec_lo
	v_cmpx_ne_u32_e64 v248, v240
	s_xor_b32 s2, exec_lo, s2
	s_cbranch_execz .LBB114_625
; %bb.620:
	s_mov_b32 s3, exec_lo
	v_cmpx_eq_u32_e32 29, v248
	s_cbranch_execz .LBB114_624
; %bb.621:
	v_cmp_ne_u32_e32 vcc_lo, 29, v240
	s_xor_b32 s4, s5, -1
	s_delay_alu instid0(SALU_CYCLE_1) | instskip(NEXT) | instid1(SALU_CYCLE_1)
	s_and_b32 s6, s4, vcc_lo
	s_and_saveexec_b32 s4, s6
	s_cbranch_execz .LBB114_623
; %bb.622:
	scratch_load_b64 v[208:209], off, off   ; 8-byte Folded Reload
	v_ashrrev_i32_e32 v241, 31, v240
	s_delay_alu instid0(VALU_DEP_1) | instskip(SKIP_1) | instid1(VALU_DEP_1)
	v_lshlrev_b64 v[212:213], 2, v[240:241]
	s_waitcnt vmcnt(0)
	v_add_co_u32 v212, vcc_lo, v208, v212
	s_delay_alu instid0(VALU_DEP_2)
	v_add_co_ci_u32_e32 v213, vcc_lo, v209, v213, vcc_lo
	s_clause 0x1
	flat_load_b32 v214, v[212:213]
	flat_load_b32 v215, v[208:209] offset:116
	s_waitcnt vmcnt(1) lgkmcnt(1)
	flat_store_b32 v[208:209], v214 offset:116
	s_waitcnt vmcnt(0) lgkmcnt(1)
	flat_store_b32 v[212:213], v215
.LBB114_623:
	s_or_b32 exec_lo, exec_lo, s4
	v_mov_b32_e32 v248, v240
	v_mov_b32_e32 v236, v240
.LBB114_624:
	s_or_b32 exec_lo, exec_lo, s3
.LBB114_625:
	s_and_not1_saveexec_b32 s2, s2
	s_cbranch_execz .LBB114_627
; %bb.626:
	v_mov_b32_e32 v248, 29
	ds_store_2addr_b64 v242, v[108:109], v[110:111] offset0:60 offset1:61
	ds_store_2addr_b64 v242, v[104:105], v[106:107] offset0:62 offset1:63
	;; [unrolled: 1-line block ×28, first 2 shown]
.LBB114_627:
	s_or_b32 exec_lo, exec_lo, s2
	s_delay_alu instid0(SALU_CYCLE_1)
	s_mov_b32 s2, exec_lo
	s_waitcnt lgkmcnt(0)
	s_waitcnt_vscnt null, 0x0
	s_barrier
	buffer_gl0_inv
	v_cmpx_lt_i32_e32 29, v248
	s_cbranch_execz .LBB114_629
; %bb.628:
	v_mul_f64 v[212:213], v[234:235], v[114:115]
	v_mul_f64 v[114:115], v[232:233], v[114:115]
	s_delay_alu instid0(VALU_DEP_2) | instskip(NEXT) | instid1(VALU_DEP_2)
	v_fma_f64 v[240:241], v[232:233], v[112:113], -v[212:213]
	v_fma_f64 v[114:115], v[234:235], v[112:113], v[114:115]
	ds_load_2addr_b64 v[232:235], v242 offset0:60 offset1:61
	s_waitcnt lgkmcnt(0)
	v_mul_f64 v[112:113], v[234:235], v[114:115]
	v_mul_f64 v[212:213], v[232:233], v[114:115]
	s_delay_alu instid0(VALU_DEP_2) | instskip(NEXT) | instid1(VALU_DEP_2)
	v_fma_f64 v[112:113], v[232:233], v[240:241], -v[112:113]
	v_fma_f64 v[212:213], v[234:235], v[240:241], v[212:213]
	ds_load_2addr_b64 v[232:235], v242 offset0:62 offset1:63
	v_add_f64 v[108:109], v[108:109], -v[112:113]
	v_add_f64 v[110:111], v[110:111], -v[212:213]
	s_waitcnt lgkmcnt(0)
	v_mul_f64 v[112:113], v[234:235], v[114:115]
	v_mul_f64 v[212:213], v[232:233], v[114:115]
	s_delay_alu instid0(VALU_DEP_2) | instskip(NEXT) | instid1(VALU_DEP_2)
	v_fma_f64 v[112:113], v[232:233], v[240:241], -v[112:113]
	v_fma_f64 v[212:213], v[234:235], v[240:241], v[212:213]
	ds_load_2addr_b64 v[232:235], v242 offset0:64 offset1:65
	v_add_f64 v[104:105], v[104:105], -v[112:113]
	v_add_f64 v[106:107], v[106:107], -v[212:213]
	;; [unrolled: 9-line block ×27, first 2 shown]
	s_waitcnt lgkmcnt(0)
	v_mul_f64 v[112:113], v[234:235], v[114:115]
	v_mul_f64 v[212:213], v[232:233], v[114:115]
	s_delay_alu instid0(VALU_DEP_2) | instskip(NEXT) | instid1(VALU_DEP_2)
	v_fma_f64 v[112:113], v[232:233], v[240:241], -v[112:113]
	v_fma_f64 v[212:213], v[234:235], v[240:241], v[212:213]
	s_delay_alu instid0(VALU_DEP_2) | instskip(NEXT) | instid1(VALU_DEP_2)
	v_add_f64 v[0:1], v[0:1], -v[112:113]
	v_add_f64 v[2:3], v[2:3], -v[212:213]
	v_dual_mov_b32 v112, v240 :: v_dual_mov_b32 v113, v241
.LBB114_629:
	s_or_b32 exec_lo, exec_lo, s2
	v_lshl_add_u32 v212, v248, 4, v242
	s_barrier
	buffer_gl0_inv
	v_mov_b32_e32 v240, 30
	ds_store_2addr_b64 v212, v[108:109], v[110:111] offset1:1
	s_waitcnt lgkmcnt(0)
	s_barrier
	buffer_gl0_inv
	ds_load_2addr_b64 v[232:235], v242 offset0:60 offset1:61
	s_cmp_lt_i32 s12, 32
	s_cbranch_scc1 .LBB114_632
; %bb.630:
	v_add3_u32 v241, v246, 0, 0x1f0
	v_mov_b32_e32 v240, 30
	s_mov_b32 s2, 31
	s_set_inst_prefetch_distance 0x1
	.p2align	6
.LBB114_631:                            ; =>This Inner Loop Header: Depth=1
	s_waitcnt lgkmcnt(0)
	v_cmp_gt_f64_e32 vcc_lo, 0, v[232:233]
	v_xor_b32_e32 v212, 0x80000000, v233
	v_xor_b32_e32 v214, 0x80000000, v235
	ds_load_2addr_b64 v[249:252], v241 offset1:1
	v_add_nc_u32_e32 v241, 16, v241
	s_waitcnt lgkmcnt(0)
	v_xor_b32_e32 v216, 0x80000000, v252
	v_cndmask_b32_e32 v213, v233, v212, vcc_lo
	v_cndmask_b32_e32 v212, v232, v232, vcc_lo
	v_cmp_gt_f64_e32 vcc_lo, 0, v[234:235]
	v_cndmask_b32_e32 v215, v235, v214, vcc_lo
	v_cndmask_b32_e32 v214, v234, v234, vcc_lo
	v_cmp_gt_f64_e32 vcc_lo, 0, v[249:250]
	s_delay_alu instid0(VALU_DEP_2) | instskip(SKIP_1) | instid1(VALU_DEP_1)
	v_add_f64 v[212:213], v[212:213], v[214:215]
	v_xor_b32_e32 v214, 0x80000000, v250
	v_dual_cndmask_b32 v215, v250, v214 :: v_dual_mov_b32 v214, v249
	v_cmp_gt_f64_e32 vcc_lo, 0, v[251:252]
	v_dual_cndmask_b32 v217, v252, v216 :: v_dual_mov_b32 v216, v251
	s_delay_alu instid0(VALU_DEP_1) | instskip(NEXT) | instid1(VALU_DEP_1)
	v_add_f64 v[214:215], v[214:215], v[216:217]
	v_cmp_lt_f64_e32 vcc_lo, v[212:213], v[214:215]
	v_dual_cndmask_b32 v233, v233, v250 :: v_dual_cndmask_b32 v232, v232, v249
	v_dual_cndmask_b32 v235, v235, v252 :: v_dual_cndmask_b32 v234, v234, v251
	v_cndmask_b32_e64 v240, v240, s2, vcc_lo
	s_add_i32 s2, s2, 1
	s_delay_alu instid0(SALU_CYCLE_1)
	s_cmp_lg_u32 s12, s2
	s_cbranch_scc1 .LBB114_631
.LBB114_632:
	s_set_inst_prefetch_distance 0x2
	s_waitcnt lgkmcnt(0)
	v_cmp_eq_f64_e32 vcc_lo, 0, v[232:233]
	v_cmp_eq_f64_e64 s2, 0, v[234:235]
	s_delay_alu instid0(VALU_DEP_1) | instskip(NEXT) | instid1(SALU_CYCLE_1)
	s_and_b32 s2, vcc_lo, s2
	s_and_saveexec_b32 s3, s2
	s_delay_alu instid0(SALU_CYCLE_1)
	s_xor_b32 s2, exec_lo, s3
; %bb.633:
	v_cmp_ne_u32_e32 vcc_lo, 0, v245
	v_cndmask_b32_e32 v245, 31, v245, vcc_lo
; %bb.634:
	s_and_not1_saveexec_b32 s3, s2
	s_cbranch_execz .LBB114_640
; %bb.635:
	v_cmp_gt_f64_e32 vcc_lo, 0, v[232:233]
	v_cmp_gt_f64_e64 s2, 0, v[234:235]
	v_xor_b32_e32 v212, 0x80000000, v233
	v_xor_b32_e32 v214, 0x80000000, v235
	s_delay_alu instid0(VALU_DEP_2) | instskip(NEXT) | instid1(VALU_DEP_2)
	v_cndmask_b32_e32 v213, v233, v212, vcc_lo
	v_cndmask_b32_e64 v215, v235, v214, s2
	v_cndmask_b32_e32 v212, v232, v232, vcc_lo
	v_cndmask_b32_e64 v214, v234, v234, s2
	s_mov_b32 s2, exec_lo
	s_delay_alu instid0(VALU_DEP_1)
	v_cmpx_ngt_f64_e32 v[212:213], v[214:215]
	s_xor_b32 s2, exec_lo, s2
	s_cbranch_execz .LBB114_637
; %bb.636:
	v_div_scale_f64 v[212:213], null, v[234:235], v[234:235], v[232:233]
	v_div_scale_f64 v[218:219], vcc_lo, v[232:233], v[234:235], v[232:233]
	s_delay_alu instid0(VALU_DEP_2) | instskip(SKIP_2) | instid1(VALU_DEP_1)
	v_rcp_f64_e32 v[214:215], v[212:213]
	s_waitcnt_depctr 0xfff
	v_fma_f64 v[216:217], -v[212:213], v[214:215], 1.0
	v_fma_f64 v[214:215], v[214:215], v[216:217], v[214:215]
	s_delay_alu instid0(VALU_DEP_1) | instskip(NEXT) | instid1(VALU_DEP_1)
	v_fma_f64 v[216:217], -v[212:213], v[214:215], 1.0
	v_fma_f64 v[214:215], v[214:215], v[216:217], v[214:215]
	s_delay_alu instid0(VALU_DEP_1) | instskip(NEXT) | instid1(VALU_DEP_1)
	v_mul_f64 v[216:217], v[218:219], v[214:215]
	v_fma_f64 v[212:213], -v[212:213], v[216:217], v[218:219]
	s_delay_alu instid0(VALU_DEP_1) | instskip(NEXT) | instid1(VALU_DEP_1)
	v_div_fmas_f64 v[212:213], v[212:213], v[214:215], v[216:217]
	v_div_fixup_f64 v[212:213], v[212:213], v[234:235], v[232:233]
	s_delay_alu instid0(VALU_DEP_1) | instskip(NEXT) | instid1(VALU_DEP_1)
	v_fma_f64 v[214:215], v[232:233], v[212:213], v[234:235]
	v_div_scale_f64 v[216:217], null, v[214:215], v[214:215], 1.0
	s_delay_alu instid0(VALU_DEP_1) | instskip(SKIP_2) | instid1(VALU_DEP_1)
	v_rcp_f64_e32 v[218:219], v[216:217]
	s_waitcnt_depctr 0xfff
	v_fma_f64 v[220:221], -v[216:217], v[218:219], 1.0
	v_fma_f64 v[218:219], v[218:219], v[220:221], v[218:219]
	s_delay_alu instid0(VALU_DEP_1) | instskip(NEXT) | instid1(VALU_DEP_1)
	v_fma_f64 v[220:221], -v[216:217], v[218:219], 1.0
	v_fma_f64 v[218:219], v[218:219], v[220:221], v[218:219]
	v_div_scale_f64 v[220:221], vcc_lo, 1.0, v[214:215], 1.0
	s_delay_alu instid0(VALU_DEP_1) | instskip(NEXT) | instid1(VALU_DEP_1)
	v_mul_f64 v[222:223], v[220:221], v[218:219]
	v_fma_f64 v[216:217], -v[216:217], v[222:223], v[220:221]
	s_delay_alu instid0(VALU_DEP_1) | instskip(NEXT) | instid1(VALU_DEP_1)
	v_div_fmas_f64 v[216:217], v[216:217], v[218:219], v[222:223]
	v_div_fixup_f64 v[234:235], v[216:217], v[214:215], 1.0
	s_delay_alu instid0(VALU_DEP_1)
	v_mul_f64 v[232:233], v[212:213], v[234:235]
	v_xor_b32_e32 v235, 0x80000000, v235
.LBB114_637:
	s_and_not1_saveexec_b32 s2, s2
	s_cbranch_execz .LBB114_639
; %bb.638:
	s_delay_alu instid0(VALU_DEP_1) | instskip(SKIP_1) | instid1(VALU_DEP_2)
	v_div_scale_f64 v[212:213], null, v[232:233], v[232:233], v[234:235]
	v_div_scale_f64 v[218:219], vcc_lo, v[234:235], v[232:233], v[234:235]
	v_rcp_f64_e32 v[214:215], v[212:213]
	s_waitcnt_depctr 0xfff
	v_fma_f64 v[216:217], -v[212:213], v[214:215], 1.0
	s_delay_alu instid0(VALU_DEP_1) | instskip(NEXT) | instid1(VALU_DEP_1)
	v_fma_f64 v[214:215], v[214:215], v[216:217], v[214:215]
	v_fma_f64 v[216:217], -v[212:213], v[214:215], 1.0
	s_delay_alu instid0(VALU_DEP_1) | instskip(NEXT) | instid1(VALU_DEP_1)
	v_fma_f64 v[214:215], v[214:215], v[216:217], v[214:215]
	v_mul_f64 v[216:217], v[218:219], v[214:215]
	s_delay_alu instid0(VALU_DEP_1) | instskip(NEXT) | instid1(VALU_DEP_1)
	v_fma_f64 v[212:213], -v[212:213], v[216:217], v[218:219]
	v_div_fmas_f64 v[212:213], v[212:213], v[214:215], v[216:217]
	s_delay_alu instid0(VALU_DEP_1) | instskip(NEXT) | instid1(VALU_DEP_1)
	v_div_fixup_f64 v[212:213], v[212:213], v[232:233], v[234:235]
	v_fma_f64 v[214:215], v[234:235], v[212:213], v[232:233]
	s_delay_alu instid0(VALU_DEP_1) | instskip(NEXT) | instid1(VALU_DEP_1)
	v_div_scale_f64 v[216:217], null, v[214:215], v[214:215], 1.0
	v_rcp_f64_e32 v[218:219], v[216:217]
	s_waitcnt_depctr 0xfff
	v_fma_f64 v[220:221], -v[216:217], v[218:219], 1.0
	s_delay_alu instid0(VALU_DEP_1) | instskip(NEXT) | instid1(VALU_DEP_1)
	v_fma_f64 v[218:219], v[218:219], v[220:221], v[218:219]
	v_fma_f64 v[220:221], -v[216:217], v[218:219], 1.0
	s_delay_alu instid0(VALU_DEP_1) | instskip(SKIP_1) | instid1(VALU_DEP_1)
	v_fma_f64 v[218:219], v[218:219], v[220:221], v[218:219]
	v_div_scale_f64 v[220:221], vcc_lo, 1.0, v[214:215], 1.0
	v_mul_f64 v[222:223], v[220:221], v[218:219]
	s_delay_alu instid0(VALU_DEP_1) | instskip(NEXT) | instid1(VALU_DEP_1)
	v_fma_f64 v[216:217], -v[216:217], v[222:223], v[220:221]
	v_div_fmas_f64 v[216:217], v[216:217], v[218:219], v[222:223]
	s_delay_alu instid0(VALU_DEP_1) | instskip(NEXT) | instid1(VALU_DEP_1)
	v_div_fixup_f64 v[232:233], v[216:217], v[214:215], 1.0
	v_mul_f64 v[234:235], v[212:213], -v[232:233]
.LBB114_639:
	s_or_b32 exec_lo, exec_lo, s2
.LBB114_640:
	s_delay_alu instid0(SALU_CYCLE_1) | instskip(NEXT) | instid1(SALU_CYCLE_1)
	s_or_b32 exec_lo, exec_lo, s3
	s_mov_b32 s2, exec_lo
	v_cmpx_ne_u32_e64 v248, v240
	s_xor_b32 s2, exec_lo, s2
	s_cbranch_execz .LBB114_646
; %bb.641:
	s_mov_b32 s3, exec_lo
	v_cmpx_eq_u32_e32 30, v248
	s_cbranch_execz .LBB114_645
; %bb.642:
	v_cmp_ne_u32_e32 vcc_lo, 30, v240
	s_xor_b32 s4, s5, -1
	s_delay_alu instid0(SALU_CYCLE_1) | instskip(NEXT) | instid1(SALU_CYCLE_1)
	s_and_b32 s6, s4, vcc_lo
	s_and_saveexec_b32 s4, s6
	s_cbranch_execz .LBB114_644
; %bb.643:
	scratch_load_b64 v[208:209], off, off   ; 8-byte Folded Reload
	v_ashrrev_i32_e32 v241, 31, v240
	s_delay_alu instid0(VALU_DEP_1) | instskip(SKIP_1) | instid1(VALU_DEP_1)
	v_lshlrev_b64 v[212:213], 2, v[240:241]
	s_waitcnt vmcnt(0)
	v_add_co_u32 v212, vcc_lo, v208, v212
	s_delay_alu instid0(VALU_DEP_2)
	v_add_co_ci_u32_e32 v213, vcc_lo, v209, v213, vcc_lo
	s_clause 0x1
	flat_load_b32 v214, v[212:213]
	flat_load_b32 v215, v[208:209] offset:120
	s_waitcnt vmcnt(1) lgkmcnt(1)
	flat_store_b32 v[208:209], v214 offset:120
	s_waitcnt vmcnt(0) lgkmcnt(1)
	flat_store_b32 v[212:213], v215
.LBB114_644:
	s_or_b32 exec_lo, exec_lo, s4
	v_mov_b32_e32 v248, v240
	v_mov_b32_e32 v236, v240
.LBB114_645:
	s_or_b32 exec_lo, exec_lo, s3
.LBB114_646:
	s_and_not1_saveexec_b32 s2, s2
	s_cbranch_execz .LBB114_648
; %bb.647:
	v_mov_b32_e32 v248, 30
	ds_store_2addr_b64 v242, v[104:105], v[106:107] offset0:62 offset1:63
	ds_store_2addr_b64 v242, v[100:101], v[102:103] offset0:64 offset1:65
	;; [unrolled: 1-line block ×27, first 2 shown]
.LBB114_648:
	s_or_b32 exec_lo, exec_lo, s2
	s_delay_alu instid0(SALU_CYCLE_1)
	s_mov_b32 s2, exec_lo
	s_waitcnt lgkmcnt(0)
	s_waitcnt_vscnt null, 0x0
	s_barrier
	buffer_gl0_inv
	v_cmpx_lt_i32_e32 30, v248
	s_cbranch_execz .LBB114_650
; %bb.649:
	v_mul_f64 v[212:213], v[234:235], v[110:111]
	v_mul_f64 v[110:111], v[232:233], v[110:111]
	s_delay_alu instid0(VALU_DEP_2) | instskip(NEXT) | instid1(VALU_DEP_2)
	v_fma_f64 v[240:241], v[232:233], v[108:109], -v[212:213]
	v_fma_f64 v[110:111], v[234:235], v[108:109], v[110:111]
	ds_load_2addr_b64 v[232:235], v242 offset0:62 offset1:63
	s_waitcnt lgkmcnt(0)
	v_mul_f64 v[108:109], v[234:235], v[110:111]
	v_mul_f64 v[212:213], v[232:233], v[110:111]
	s_delay_alu instid0(VALU_DEP_2) | instskip(NEXT) | instid1(VALU_DEP_2)
	v_fma_f64 v[108:109], v[232:233], v[240:241], -v[108:109]
	v_fma_f64 v[212:213], v[234:235], v[240:241], v[212:213]
	ds_load_2addr_b64 v[232:235], v242 offset0:64 offset1:65
	v_add_f64 v[104:105], v[104:105], -v[108:109]
	v_add_f64 v[106:107], v[106:107], -v[212:213]
	s_waitcnt lgkmcnt(0)
	v_mul_f64 v[108:109], v[234:235], v[110:111]
	v_mul_f64 v[212:213], v[232:233], v[110:111]
	s_delay_alu instid0(VALU_DEP_2) | instskip(NEXT) | instid1(VALU_DEP_2)
	v_fma_f64 v[108:109], v[232:233], v[240:241], -v[108:109]
	v_fma_f64 v[212:213], v[234:235], v[240:241], v[212:213]
	ds_load_2addr_b64 v[232:235], v242 offset0:66 offset1:67
	v_add_f64 v[100:101], v[100:101], -v[108:109]
	v_add_f64 v[102:103], v[102:103], -v[212:213]
	;; [unrolled: 9-line block ×26, first 2 shown]
	s_waitcnt lgkmcnt(0)
	v_mul_f64 v[108:109], v[234:235], v[110:111]
	v_mul_f64 v[212:213], v[232:233], v[110:111]
	s_delay_alu instid0(VALU_DEP_2) | instskip(NEXT) | instid1(VALU_DEP_2)
	v_fma_f64 v[108:109], v[232:233], v[240:241], -v[108:109]
	v_fma_f64 v[212:213], v[234:235], v[240:241], v[212:213]
	s_delay_alu instid0(VALU_DEP_2) | instskip(NEXT) | instid1(VALU_DEP_2)
	v_add_f64 v[0:1], v[0:1], -v[108:109]
	v_add_f64 v[2:3], v[2:3], -v[212:213]
	v_dual_mov_b32 v108, v240 :: v_dual_mov_b32 v109, v241
.LBB114_650:
	s_or_b32 exec_lo, exec_lo, s2
	v_lshl_add_u32 v212, v248, 4, v242
	s_barrier
	buffer_gl0_inv
	v_mov_b32_e32 v240, 31
	ds_store_2addr_b64 v212, v[104:105], v[106:107] offset1:1
	s_waitcnt lgkmcnt(0)
	s_barrier
	buffer_gl0_inv
	ds_load_2addr_b64 v[232:235], v242 offset0:62 offset1:63
	s_cmp_lt_i32 s12, 33
	s_cbranch_scc1 .LBB114_653
; %bb.651:
	v_add3_u32 v241, v246, 0, 0x200
	v_mov_b32_e32 v240, 31
	s_mov_b32 s2, 32
	s_set_inst_prefetch_distance 0x1
	.p2align	6
.LBB114_652:                            ; =>This Inner Loop Header: Depth=1
	s_waitcnt lgkmcnt(0)
	v_cmp_gt_f64_e32 vcc_lo, 0, v[232:233]
	v_xor_b32_e32 v212, 0x80000000, v233
	v_xor_b32_e32 v214, 0x80000000, v235
	ds_load_2addr_b64 v[249:252], v241 offset1:1
	v_add_nc_u32_e32 v241, 16, v241
	s_waitcnt lgkmcnt(0)
	v_xor_b32_e32 v216, 0x80000000, v252
	v_cndmask_b32_e32 v213, v233, v212, vcc_lo
	v_cndmask_b32_e32 v212, v232, v232, vcc_lo
	v_cmp_gt_f64_e32 vcc_lo, 0, v[234:235]
	v_cndmask_b32_e32 v215, v235, v214, vcc_lo
	v_cndmask_b32_e32 v214, v234, v234, vcc_lo
	v_cmp_gt_f64_e32 vcc_lo, 0, v[249:250]
	s_delay_alu instid0(VALU_DEP_2) | instskip(SKIP_1) | instid1(VALU_DEP_1)
	v_add_f64 v[212:213], v[212:213], v[214:215]
	v_xor_b32_e32 v214, 0x80000000, v250
	v_dual_cndmask_b32 v215, v250, v214 :: v_dual_mov_b32 v214, v249
	v_cmp_gt_f64_e32 vcc_lo, 0, v[251:252]
	v_dual_cndmask_b32 v217, v252, v216 :: v_dual_mov_b32 v216, v251
	s_delay_alu instid0(VALU_DEP_1) | instskip(NEXT) | instid1(VALU_DEP_1)
	v_add_f64 v[214:215], v[214:215], v[216:217]
	v_cmp_lt_f64_e32 vcc_lo, v[212:213], v[214:215]
	v_dual_cndmask_b32 v233, v233, v250 :: v_dual_cndmask_b32 v232, v232, v249
	v_dual_cndmask_b32 v235, v235, v252 :: v_dual_cndmask_b32 v234, v234, v251
	v_cndmask_b32_e64 v240, v240, s2, vcc_lo
	s_add_i32 s2, s2, 1
	s_delay_alu instid0(SALU_CYCLE_1)
	s_cmp_lg_u32 s12, s2
	s_cbranch_scc1 .LBB114_652
.LBB114_653:
	s_set_inst_prefetch_distance 0x2
	s_waitcnt lgkmcnt(0)
	v_cmp_eq_f64_e32 vcc_lo, 0, v[232:233]
	v_cmp_eq_f64_e64 s2, 0, v[234:235]
	s_delay_alu instid0(VALU_DEP_1) | instskip(NEXT) | instid1(SALU_CYCLE_1)
	s_and_b32 s2, vcc_lo, s2
	s_and_saveexec_b32 s3, s2
	s_delay_alu instid0(SALU_CYCLE_1)
	s_xor_b32 s2, exec_lo, s3
; %bb.654:
	v_cmp_ne_u32_e32 vcc_lo, 0, v245
	v_cndmask_b32_e32 v245, 32, v245, vcc_lo
; %bb.655:
	s_and_not1_saveexec_b32 s3, s2
	s_cbranch_execz .LBB114_661
; %bb.656:
	v_cmp_gt_f64_e32 vcc_lo, 0, v[232:233]
	v_cmp_gt_f64_e64 s2, 0, v[234:235]
	v_xor_b32_e32 v212, 0x80000000, v233
	v_xor_b32_e32 v214, 0x80000000, v235
	s_delay_alu instid0(VALU_DEP_2) | instskip(NEXT) | instid1(VALU_DEP_2)
	v_cndmask_b32_e32 v213, v233, v212, vcc_lo
	v_cndmask_b32_e64 v215, v235, v214, s2
	v_cndmask_b32_e32 v212, v232, v232, vcc_lo
	v_cndmask_b32_e64 v214, v234, v234, s2
	s_mov_b32 s2, exec_lo
	s_delay_alu instid0(VALU_DEP_1)
	v_cmpx_ngt_f64_e32 v[212:213], v[214:215]
	s_xor_b32 s2, exec_lo, s2
	s_cbranch_execz .LBB114_658
; %bb.657:
	v_div_scale_f64 v[212:213], null, v[234:235], v[234:235], v[232:233]
	v_div_scale_f64 v[218:219], vcc_lo, v[232:233], v[234:235], v[232:233]
	s_delay_alu instid0(VALU_DEP_2) | instskip(SKIP_2) | instid1(VALU_DEP_1)
	v_rcp_f64_e32 v[214:215], v[212:213]
	s_waitcnt_depctr 0xfff
	v_fma_f64 v[216:217], -v[212:213], v[214:215], 1.0
	v_fma_f64 v[214:215], v[214:215], v[216:217], v[214:215]
	s_delay_alu instid0(VALU_DEP_1) | instskip(NEXT) | instid1(VALU_DEP_1)
	v_fma_f64 v[216:217], -v[212:213], v[214:215], 1.0
	v_fma_f64 v[214:215], v[214:215], v[216:217], v[214:215]
	s_delay_alu instid0(VALU_DEP_1) | instskip(NEXT) | instid1(VALU_DEP_1)
	v_mul_f64 v[216:217], v[218:219], v[214:215]
	v_fma_f64 v[212:213], -v[212:213], v[216:217], v[218:219]
	s_delay_alu instid0(VALU_DEP_1) | instskip(NEXT) | instid1(VALU_DEP_1)
	v_div_fmas_f64 v[212:213], v[212:213], v[214:215], v[216:217]
	v_div_fixup_f64 v[212:213], v[212:213], v[234:235], v[232:233]
	s_delay_alu instid0(VALU_DEP_1) | instskip(NEXT) | instid1(VALU_DEP_1)
	v_fma_f64 v[214:215], v[232:233], v[212:213], v[234:235]
	v_div_scale_f64 v[216:217], null, v[214:215], v[214:215], 1.0
	s_delay_alu instid0(VALU_DEP_1) | instskip(SKIP_2) | instid1(VALU_DEP_1)
	v_rcp_f64_e32 v[218:219], v[216:217]
	s_waitcnt_depctr 0xfff
	v_fma_f64 v[220:221], -v[216:217], v[218:219], 1.0
	v_fma_f64 v[218:219], v[218:219], v[220:221], v[218:219]
	s_delay_alu instid0(VALU_DEP_1) | instskip(NEXT) | instid1(VALU_DEP_1)
	v_fma_f64 v[220:221], -v[216:217], v[218:219], 1.0
	v_fma_f64 v[218:219], v[218:219], v[220:221], v[218:219]
	v_div_scale_f64 v[220:221], vcc_lo, 1.0, v[214:215], 1.0
	s_delay_alu instid0(VALU_DEP_1) | instskip(NEXT) | instid1(VALU_DEP_1)
	v_mul_f64 v[222:223], v[220:221], v[218:219]
	v_fma_f64 v[216:217], -v[216:217], v[222:223], v[220:221]
	s_delay_alu instid0(VALU_DEP_1) | instskip(NEXT) | instid1(VALU_DEP_1)
	v_div_fmas_f64 v[216:217], v[216:217], v[218:219], v[222:223]
	v_div_fixup_f64 v[234:235], v[216:217], v[214:215], 1.0
	s_delay_alu instid0(VALU_DEP_1)
	v_mul_f64 v[232:233], v[212:213], v[234:235]
	v_xor_b32_e32 v235, 0x80000000, v235
.LBB114_658:
	s_and_not1_saveexec_b32 s2, s2
	s_cbranch_execz .LBB114_660
; %bb.659:
	s_delay_alu instid0(VALU_DEP_1) | instskip(SKIP_1) | instid1(VALU_DEP_2)
	v_div_scale_f64 v[212:213], null, v[232:233], v[232:233], v[234:235]
	v_div_scale_f64 v[218:219], vcc_lo, v[234:235], v[232:233], v[234:235]
	v_rcp_f64_e32 v[214:215], v[212:213]
	s_waitcnt_depctr 0xfff
	v_fma_f64 v[216:217], -v[212:213], v[214:215], 1.0
	s_delay_alu instid0(VALU_DEP_1) | instskip(NEXT) | instid1(VALU_DEP_1)
	v_fma_f64 v[214:215], v[214:215], v[216:217], v[214:215]
	v_fma_f64 v[216:217], -v[212:213], v[214:215], 1.0
	s_delay_alu instid0(VALU_DEP_1) | instskip(NEXT) | instid1(VALU_DEP_1)
	v_fma_f64 v[214:215], v[214:215], v[216:217], v[214:215]
	v_mul_f64 v[216:217], v[218:219], v[214:215]
	s_delay_alu instid0(VALU_DEP_1) | instskip(NEXT) | instid1(VALU_DEP_1)
	v_fma_f64 v[212:213], -v[212:213], v[216:217], v[218:219]
	v_div_fmas_f64 v[212:213], v[212:213], v[214:215], v[216:217]
	s_delay_alu instid0(VALU_DEP_1) | instskip(NEXT) | instid1(VALU_DEP_1)
	v_div_fixup_f64 v[212:213], v[212:213], v[232:233], v[234:235]
	v_fma_f64 v[214:215], v[234:235], v[212:213], v[232:233]
	s_delay_alu instid0(VALU_DEP_1) | instskip(NEXT) | instid1(VALU_DEP_1)
	v_div_scale_f64 v[216:217], null, v[214:215], v[214:215], 1.0
	v_rcp_f64_e32 v[218:219], v[216:217]
	s_waitcnt_depctr 0xfff
	v_fma_f64 v[220:221], -v[216:217], v[218:219], 1.0
	s_delay_alu instid0(VALU_DEP_1) | instskip(NEXT) | instid1(VALU_DEP_1)
	v_fma_f64 v[218:219], v[218:219], v[220:221], v[218:219]
	v_fma_f64 v[220:221], -v[216:217], v[218:219], 1.0
	s_delay_alu instid0(VALU_DEP_1) | instskip(SKIP_1) | instid1(VALU_DEP_1)
	v_fma_f64 v[218:219], v[218:219], v[220:221], v[218:219]
	v_div_scale_f64 v[220:221], vcc_lo, 1.0, v[214:215], 1.0
	v_mul_f64 v[222:223], v[220:221], v[218:219]
	s_delay_alu instid0(VALU_DEP_1) | instskip(NEXT) | instid1(VALU_DEP_1)
	v_fma_f64 v[216:217], -v[216:217], v[222:223], v[220:221]
	v_div_fmas_f64 v[216:217], v[216:217], v[218:219], v[222:223]
	s_delay_alu instid0(VALU_DEP_1) | instskip(NEXT) | instid1(VALU_DEP_1)
	v_div_fixup_f64 v[232:233], v[216:217], v[214:215], 1.0
	v_mul_f64 v[234:235], v[212:213], -v[232:233]
.LBB114_660:
	s_or_b32 exec_lo, exec_lo, s2
.LBB114_661:
	s_delay_alu instid0(SALU_CYCLE_1) | instskip(NEXT) | instid1(SALU_CYCLE_1)
	s_or_b32 exec_lo, exec_lo, s3
	s_mov_b32 s2, exec_lo
	v_cmpx_ne_u32_e64 v248, v240
	s_xor_b32 s2, exec_lo, s2
	s_cbranch_execz .LBB114_667
; %bb.662:
	s_mov_b32 s3, exec_lo
	v_cmpx_eq_u32_e32 31, v248
	s_cbranch_execz .LBB114_666
; %bb.663:
	v_cmp_ne_u32_e32 vcc_lo, 31, v240
	s_xor_b32 s4, s5, -1
	s_delay_alu instid0(SALU_CYCLE_1) | instskip(NEXT) | instid1(SALU_CYCLE_1)
	s_and_b32 s6, s4, vcc_lo
	s_and_saveexec_b32 s4, s6
	s_cbranch_execz .LBB114_665
; %bb.664:
	scratch_load_b64 v[208:209], off, off   ; 8-byte Folded Reload
	v_ashrrev_i32_e32 v241, 31, v240
	s_delay_alu instid0(VALU_DEP_1) | instskip(SKIP_1) | instid1(VALU_DEP_1)
	v_lshlrev_b64 v[212:213], 2, v[240:241]
	s_waitcnt vmcnt(0)
	v_add_co_u32 v212, vcc_lo, v208, v212
	s_delay_alu instid0(VALU_DEP_2)
	v_add_co_ci_u32_e32 v213, vcc_lo, v209, v213, vcc_lo
	s_clause 0x1
	flat_load_b32 v214, v[212:213]
	flat_load_b32 v215, v[208:209] offset:124
	s_waitcnt vmcnt(1) lgkmcnt(1)
	flat_store_b32 v[208:209], v214 offset:124
	s_waitcnt vmcnt(0) lgkmcnt(1)
	flat_store_b32 v[212:213], v215
.LBB114_665:
	s_or_b32 exec_lo, exec_lo, s4
	v_mov_b32_e32 v248, v240
	v_mov_b32_e32 v236, v240
.LBB114_666:
	s_or_b32 exec_lo, exec_lo, s3
.LBB114_667:
	s_and_not1_saveexec_b32 s2, s2
	s_cbranch_execz .LBB114_669
; %bb.668:
	v_mov_b32_e32 v248, 31
	ds_store_2addr_b64 v242, v[100:101], v[102:103] offset0:64 offset1:65
	ds_store_2addr_b64 v242, v[96:97], v[98:99] offset0:66 offset1:67
	;; [unrolled: 1-line block ×26, first 2 shown]
.LBB114_669:
	s_or_b32 exec_lo, exec_lo, s2
	s_delay_alu instid0(SALU_CYCLE_1)
	s_mov_b32 s2, exec_lo
	s_waitcnt lgkmcnt(0)
	s_waitcnt_vscnt null, 0x0
	s_barrier
	buffer_gl0_inv
	v_cmpx_lt_i32_e32 31, v248
	s_cbranch_execz .LBB114_671
; %bb.670:
	v_mul_f64 v[212:213], v[234:235], v[106:107]
	v_mul_f64 v[106:107], v[232:233], v[106:107]
	s_delay_alu instid0(VALU_DEP_2) | instskip(NEXT) | instid1(VALU_DEP_2)
	v_fma_f64 v[240:241], v[232:233], v[104:105], -v[212:213]
	v_fma_f64 v[106:107], v[234:235], v[104:105], v[106:107]
	ds_load_2addr_b64 v[232:235], v242 offset0:64 offset1:65
	s_waitcnt lgkmcnt(0)
	v_mul_f64 v[104:105], v[234:235], v[106:107]
	v_mul_f64 v[212:213], v[232:233], v[106:107]
	s_delay_alu instid0(VALU_DEP_2) | instskip(NEXT) | instid1(VALU_DEP_2)
	v_fma_f64 v[104:105], v[232:233], v[240:241], -v[104:105]
	v_fma_f64 v[212:213], v[234:235], v[240:241], v[212:213]
	ds_load_2addr_b64 v[232:235], v242 offset0:66 offset1:67
	v_add_f64 v[100:101], v[100:101], -v[104:105]
	v_add_f64 v[102:103], v[102:103], -v[212:213]
	s_waitcnt lgkmcnt(0)
	v_mul_f64 v[104:105], v[234:235], v[106:107]
	v_mul_f64 v[212:213], v[232:233], v[106:107]
	s_delay_alu instid0(VALU_DEP_2) | instskip(NEXT) | instid1(VALU_DEP_2)
	v_fma_f64 v[104:105], v[232:233], v[240:241], -v[104:105]
	v_fma_f64 v[212:213], v[234:235], v[240:241], v[212:213]
	ds_load_2addr_b64 v[232:235], v242 offset0:68 offset1:69
	v_add_f64 v[96:97], v[96:97], -v[104:105]
	v_add_f64 v[98:99], v[98:99], -v[212:213]
	;; [unrolled: 9-line block ×25, first 2 shown]
	s_waitcnt lgkmcnt(0)
	v_mul_f64 v[104:105], v[234:235], v[106:107]
	v_mul_f64 v[212:213], v[232:233], v[106:107]
	s_delay_alu instid0(VALU_DEP_2) | instskip(NEXT) | instid1(VALU_DEP_2)
	v_fma_f64 v[104:105], v[232:233], v[240:241], -v[104:105]
	v_fma_f64 v[212:213], v[234:235], v[240:241], v[212:213]
	s_delay_alu instid0(VALU_DEP_2) | instskip(NEXT) | instid1(VALU_DEP_2)
	v_add_f64 v[0:1], v[0:1], -v[104:105]
	v_add_f64 v[2:3], v[2:3], -v[212:213]
	v_dual_mov_b32 v104, v240 :: v_dual_mov_b32 v105, v241
.LBB114_671:
	s_or_b32 exec_lo, exec_lo, s2
	v_lshl_add_u32 v212, v248, 4, v242
	s_barrier
	buffer_gl0_inv
	v_mov_b32_e32 v240, 32
	ds_store_2addr_b64 v212, v[100:101], v[102:103] offset1:1
	s_waitcnt lgkmcnt(0)
	s_barrier
	buffer_gl0_inv
	ds_load_2addr_b64 v[232:235], v242 offset0:64 offset1:65
	s_cmp_lt_i32 s12, 34
	s_cbranch_scc1 .LBB114_674
; %bb.672:
	v_add3_u32 v241, v246, 0, 0x210
	v_mov_b32_e32 v240, 32
	s_mov_b32 s2, 33
	s_set_inst_prefetch_distance 0x1
	.p2align	6
.LBB114_673:                            ; =>This Inner Loop Header: Depth=1
	s_waitcnt lgkmcnt(0)
	v_cmp_gt_f64_e32 vcc_lo, 0, v[232:233]
	v_xor_b32_e32 v212, 0x80000000, v233
	v_xor_b32_e32 v214, 0x80000000, v235
	ds_load_2addr_b64 v[249:252], v241 offset1:1
	v_add_nc_u32_e32 v241, 16, v241
	s_waitcnt lgkmcnt(0)
	v_xor_b32_e32 v216, 0x80000000, v252
	v_cndmask_b32_e32 v213, v233, v212, vcc_lo
	v_cndmask_b32_e32 v212, v232, v232, vcc_lo
	v_cmp_gt_f64_e32 vcc_lo, 0, v[234:235]
	v_cndmask_b32_e32 v215, v235, v214, vcc_lo
	v_cndmask_b32_e32 v214, v234, v234, vcc_lo
	v_cmp_gt_f64_e32 vcc_lo, 0, v[249:250]
	s_delay_alu instid0(VALU_DEP_2) | instskip(SKIP_1) | instid1(VALU_DEP_1)
	v_add_f64 v[212:213], v[212:213], v[214:215]
	v_xor_b32_e32 v214, 0x80000000, v250
	v_dual_cndmask_b32 v215, v250, v214 :: v_dual_mov_b32 v214, v249
	v_cmp_gt_f64_e32 vcc_lo, 0, v[251:252]
	v_dual_cndmask_b32 v217, v252, v216 :: v_dual_mov_b32 v216, v251
	s_delay_alu instid0(VALU_DEP_1) | instskip(NEXT) | instid1(VALU_DEP_1)
	v_add_f64 v[214:215], v[214:215], v[216:217]
	v_cmp_lt_f64_e32 vcc_lo, v[212:213], v[214:215]
	v_dual_cndmask_b32 v233, v233, v250 :: v_dual_cndmask_b32 v232, v232, v249
	v_dual_cndmask_b32 v235, v235, v252 :: v_dual_cndmask_b32 v234, v234, v251
	v_cndmask_b32_e64 v240, v240, s2, vcc_lo
	s_add_i32 s2, s2, 1
	s_delay_alu instid0(SALU_CYCLE_1)
	s_cmp_lg_u32 s12, s2
	s_cbranch_scc1 .LBB114_673
.LBB114_674:
	s_set_inst_prefetch_distance 0x2
	s_waitcnt lgkmcnt(0)
	v_cmp_eq_f64_e32 vcc_lo, 0, v[232:233]
	v_cmp_eq_f64_e64 s2, 0, v[234:235]
	s_delay_alu instid0(VALU_DEP_1) | instskip(NEXT) | instid1(SALU_CYCLE_1)
	s_and_b32 s2, vcc_lo, s2
	s_and_saveexec_b32 s3, s2
	s_delay_alu instid0(SALU_CYCLE_1)
	s_xor_b32 s2, exec_lo, s3
; %bb.675:
	v_cmp_ne_u32_e32 vcc_lo, 0, v245
	v_cndmask_b32_e32 v245, 33, v245, vcc_lo
; %bb.676:
	s_and_not1_saveexec_b32 s3, s2
	s_cbranch_execz .LBB114_682
; %bb.677:
	v_cmp_gt_f64_e32 vcc_lo, 0, v[232:233]
	v_cmp_gt_f64_e64 s2, 0, v[234:235]
	v_xor_b32_e32 v212, 0x80000000, v233
	v_xor_b32_e32 v214, 0x80000000, v235
	s_delay_alu instid0(VALU_DEP_2) | instskip(NEXT) | instid1(VALU_DEP_2)
	v_cndmask_b32_e32 v213, v233, v212, vcc_lo
	v_cndmask_b32_e64 v215, v235, v214, s2
	v_cndmask_b32_e32 v212, v232, v232, vcc_lo
	v_cndmask_b32_e64 v214, v234, v234, s2
	s_mov_b32 s2, exec_lo
	s_delay_alu instid0(VALU_DEP_1)
	v_cmpx_ngt_f64_e32 v[212:213], v[214:215]
	s_xor_b32 s2, exec_lo, s2
	s_cbranch_execz .LBB114_679
; %bb.678:
	v_div_scale_f64 v[212:213], null, v[234:235], v[234:235], v[232:233]
	v_div_scale_f64 v[218:219], vcc_lo, v[232:233], v[234:235], v[232:233]
	s_delay_alu instid0(VALU_DEP_2) | instskip(SKIP_2) | instid1(VALU_DEP_1)
	v_rcp_f64_e32 v[214:215], v[212:213]
	s_waitcnt_depctr 0xfff
	v_fma_f64 v[216:217], -v[212:213], v[214:215], 1.0
	v_fma_f64 v[214:215], v[214:215], v[216:217], v[214:215]
	s_delay_alu instid0(VALU_DEP_1) | instskip(NEXT) | instid1(VALU_DEP_1)
	v_fma_f64 v[216:217], -v[212:213], v[214:215], 1.0
	v_fma_f64 v[214:215], v[214:215], v[216:217], v[214:215]
	s_delay_alu instid0(VALU_DEP_1) | instskip(NEXT) | instid1(VALU_DEP_1)
	v_mul_f64 v[216:217], v[218:219], v[214:215]
	v_fma_f64 v[212:213], -v[212:213], v[216:217], v[218:219]
	s_delay_alu instid0(VALU_DEP_1) | instskip(NEXT) | instid1(VALU_DEP_1)
	v_div_fmas_f64 v[212:213], v[212:213], v[214:215], v[216:217]
	v_div_fixup_f64 v[212:213], v[212:213], v[234:235], v[232:233]
	s_delay_alu instid0(VALU_DEP_1) | instskip(NEXT) | instid1(VALU_DEP_1)
	v_fma_f64 v[214:215], v[232:233], v[212:213], v[234:235]
	v_div_scale_f64 v[216:217], null, v[214:215], v[214:215], 1.0
	s_delay_alu instid0(VALU_DEP_1) | instskip(SKIP_2) | instid1(VALU_DEP_1)
	v_rcp_f64_e32 v[218:219], v[216:217]
	s_waitcnt_depctr 0xfff
	v_fma_f64 v[220:221], -v[216:217], v[218:219], 1.0
	v_fma_f64 v[218:219], v[218:219], v[220:221], v[218:219]
	s_delay_alu instid0(VALU_DEP_1) | instskip(NEXT) | instid1(VALU_DEP_1)
	v_fma_f64 v[220:221], -v[216:217], v[218:219], 1.0
	v_fma_f64 v[218:219], v[218:219], v[220:221], v[218:219]
	v_div_scale_f64 v[220:221], vcc_lo, 1.0, v[214:215], 1.0
	s_delay_alu instid0(VALU_DEP_1) | instskip(NEXT) | instid1(VALU_DEP_1)
	v_mul_f64 v[222:223], v[220:221], v[218:219]
	v_fma_f64 v[216:217], -v[216:217], v[222:223], v[220:221]
	s_delay_alu instid0(VALU_DEP_1) | instskip(NEXT) | instid1(VALU_DEP_1)
	v_div_fmas_f64 v[216:217], v[216:217], v[218:219], v[222:223]
	v_div_fixup_f64 v[234:235], v[216:217], v[214:215], 1.0
	s_delay_alu instid0(VALU_DEP_1)
	v_mul_f64 v[232:233], v[212:213], v[234:235]
	v_xor_b32_e32 v235, 0x80000000, v235
.LBB114_679:
	s_and_not1_saveexec_b32 s2, s2
	s_cbranch_execz .LBB114_681
; %bb.680:
	s_delay_alu instid0(VALU_DEP_1) | instskip(SKIP_1) | instid1(VALU_DEP_2)
	v_div_scale_f64 v[212:213], null, v[232:233], v[232:233], v[234:235]
	v_div_scale_f64 v[218:219], vcc_lo, v[234:235], v[232:233], v[234:235]
	v_rcp_f64_e32 v[214:215], v[212:213]
	s_waitcnt_depctr 0xfff
	v_fma_f64 v[216:217], -v[212:213], v[214:215], 1.0
	s_delay_alu instid0(VALU_DEP_1) | instskip(NEXT) | instid1(VALU_DEP_1)
	v_fma_f64 v[214:215], v[214:215], v[216:217], v[214:215]
	v_fma_f64 v[216:217], -v[212:213], v[214:215], 1.0
	s_delay_alu instid0(VALU_DEP_1) | instskip(NEXT) | instid1(VALU_DEP_1)
	v_fma_f64 v[214:215], v[214:215], v[216:217], v[214:215]
	v_mul_f64 v[216:217], v[218:219], v[214:215]
	s_delay_alu instid0(VALU_DEP_1) | instskip(NEXT) | instid1(VALU_DEP_1)
	v_fma_f64 v[212:213], -v[212:213], v[216:217], v[218:219]
	v_div_fmas_f64 v[212:213], v[212:213], v[214:215], v[216:217]
	s_delay_alu instid0(VALU_DEP_1) | instskip(NEXT) | instid1(VALU_DEP_1)
	v_div_fixup_f64 v[212:213], v[212:213], v[232:233], v[234:235]
	v_fma_f64 v[214:215], v[234:235], v[212:213], v[232:233]
	s_delay_alu instid0(VALU_DEP_1) | instskip(NEXT) | instid1(VALU_DEP_1)
	v_div_scale_f64 v[216:217], null, v[214:215], v[214:215], 1.0
	v_rcp_f64_e32 v[218:219], v[216:217]
	s_waitcnt_depctr 0xfff
	v_fma_f64 v[220:221], -v[216:217], v[218:219], 1.0
	s_delay_alu instid0(VALU_DEP_1) | instskip(NEXT) | instid1(VALU_DEP_1)
	v_fma_f64 v[218:219], v[218:219], v[220:221], v[218:219]
	v_fma_f64 v[220:221], -v[216:217], v[218:219], 1.0
	s_delay_alu instid0(VALU_DEP_1) | instskip(SKIP_1) | instid1(VALU_DEP_1)
	v_fma_f64 v[218:219], v[218:219], v[220:221], v[218:219]
	v_div_scale_f64 v[220:221], vcc_lo, 1.0, v[214:215], 1.0
	v_mul_f64 v[222:223], v[220:221], v[218:219]
	s_delay_alu instid0(VALU_DEP_1) | instskip(NEXT) | instid1(VALU_DEP_1)
	v_fma_f64 v[216:217], -v[216:217], v[222:223], v[220:221]
	v_div_fmas_f64 v[216:217], v[216:217], v[218:219], v[222:223]
	s_delay_alu instid0(VALU_DEP_1) | instskip(NEXT) | instid1(VALU_DEP_1)
	v_div_fixup_f64 v[232:233], v[216:217], v[214:215], 1.0
	v_mul_f64 v[234:235], v[212:213], -v[232:233]
.LBB114_681:
	s_or_b32 exec_lo, exec_lo, s2
.LBB114_682:
	s_delay_alu instid0(SALU_CYCLE_1) | instskip(NEXT) | instid1(SALU_CYCLE_1)
	s_or_b32 exec_lo, exec_lo, s3
	s_mov_b32 s2, exec_lo
	v_cmpx_ne_u32_e64 v248, v240
	s_xor_b32 s2, exec_lo, s2
	s_cbranch_execz .LBB114_688
; %bb.683:
	s_mov_b32 s3, exec_lo
	v_cmpx_eq_u32_e32 32, v248
	s_cbranch_execz .LBB114_687
; %bb.684:
	v_cmp_ne_u32_e32 vcc_lo, 32, v240
	s_xor_b32 s4, s5, -1
	s_delay_alu instid0(SALU_CYCLE_1) | instskip(NEXT) | instid1(SALU_CYCLE_1)
	s_and_b32 s6, s4, vcc_lo
	s_and_saveexec_b32 s4, s6
	s_cbranch_execz .LBB114_686
; %bb.685:
	scratch_load_b64 v[208:209], off, off   ; 8-byte Folded Reload
	v_ashrrev_i32_e32 v241, 31, v240
	s_delay_alu instid0(VALU_DEP_1) | instskip(SKIP_1) | instid1(VALU_DEP_1)
	v_lshlrev_b64 v[212:213], 2, v[240:241]
	s_waitcnt vmcnt(0)
	v_add_co_u32 v212, vcc_lo, v208, v212
	s_delay_alu instid0(VALU_DEP_2)
	v_add_co_ci_u32_e32 v213, vcc_lo, v209, v213, vcc_lo
	s_clause 0x1
	flat_load_b32 v214, v[212:213]
	flat_load_b32 v215, v[208:209] offset:128
	s_waitcnt vmcnt(1) lgkmcnt(1)
	flat_store_b32 v[208:209], v214 offset:128
	s_waitcnt vmcnt(0) lgkmcnt(1)
	flat_store_b32 v[212:213], v215
.LBB114_686:
	s_or_b32 exec_lo, exec_lo, s4
	v_mov_b32_e32 v248, v240
	v_mov_b32_e32 v236, v240
.LBB114_687:
	s_or_b32 exec_lo, exec_lo, s3
.LBB114_688:
	s_and_not1_saveexec_b32 s2, s2
	s_cbranch_execz .LBB114_690
; %bb.689:
	v_mov_b32_e32 v248, 32
	ds_store_2addr_b64 v242, v[96:97], v[98:99] offset0:66 offset1:67
	ds_store_2addr_b64 v242, v[92:93], v[94:95] offset0:68 offset1:69
	;; [unrolled: 1-line block ×25, first 2 shown]
.LBB114_690:
	s_or_b32 exec_lo, exec_lo, s2
	s_delay_alu instid0(SALU_CYCLE_1)
	s_mov_b32 s2, exec_lo
	s_waitcnt lgkmcnt(0)
	s_waitcnt_vscnt null, 0x0
	s_barrier
	buffer_gl0_inv
	v_cmpx_lt_i32_e32 32, v248
	s_cbranch_execz .LBB114_692
; %bb.691:
	v_mul_f64 v[212:213], v[234:235], v[102:103]
	v_mul_f64 v[102:103], v[232:233], v[102:103]
	s_delay_alu instid0(VALU_DEP_2) | instskip(NEXT) | instid1(VALU_DEP_2)
	v_fma_f64 v[240:241], v[232:233], v[100:101], -v[212:213]
	v_fma_f64 v[102:103], v[234:235], v[100:101], v[102:103]
	ds_load_2addr_b64 v[232:235], v242 offset0:66 offset1:67
	s_waitcnt lgkmcnt(0)
	v_mul_f64 v[100:101], v[234:235], v[102:103]
	v_mul_f64 v[212:213], v[232:233], v[102:103]
	s_delay_alu instid0(VALU_DEP_2) | instskip(NEXT) | instid1(VALU_DEP_2)
	v_fma_f64 v[100:101], v[232:233], v[240:241], -v[100:101]
	v_fma_f64 v[212:213], v[234:235], v[240:241], v[212:213]
	ds_load_2addr_b64 v[232:235], v242 offset0:68 offset1:69
	v_add_f64 v[96:97], v[96:97], -v[100:101]
	v_add_f64 v[98:99], v[98:99], -v[212:213]
	s_waitcnt lgkmcnt(0)
	v_mul_f64 v[100:101], v[234:235], v[102:103]
	v_mul_f64 v[212:213], v[232:233], v[102:103]
	s_delay_alu instid0(VALU_DEP_2) | instskip(NEXT) | instid1(VALU_DEP_2)
	v_fma_f64 v[100:101], v[232:233], v[240:241], -v[100:101]
	v_fma_f64 v[212:213], v[234:235], v[240:241], v[212:213]
	ds_load_2addr_b64 v[232:235], v242 offset0:70 offset1:71
	v_add_f64 v[92:93], v[92:93], -v[100:101]
	v_add_f64 v[94:95], v[94:95], -v[212:213]
	s_waitcnt lgkmcnt(0)
	v_mul_f64 v[100:101], v[234:235], v[102:103]
	v_mul_f64 v[212:213], v[232:233], v[102:103]
	s_delay_alu instid0(VALU_DEP_2) | instskip(NEXT) | instid1(VALU_DEP_2)
	v_fma_f64 v[100:101], v[232:233], v[240:241], -v[100:101]
	v_fma_f64 v[212:213], v[234:235], v[240:241], v[212:213]
	ds_load_2addr_b64 v[232:235], v242 offset0:72 offset1:73
	v_add_f64 v[88:89], v[88:89], -v[100:101]
	v_add_f64 v[90:91], v[90:91], -v[212:213]
	s_waitcnt lgkmcnt(0)
	v_mul_f64 v[100:101], v[234:235], v[102:103]
	v_mul_f64 v[212:213], v[232:233], v[102:103]
	s_delay_alu instid0(VALU_DEP_2) | instskip(NEXT) | instid1(VALU_DEP_2)
	v_fma_f64 v[100:101], v[232:233], v[240:241], -v[100:101]
	v_fma_f64 v[212:213], v[234:235], v[240:241], v[212:213]
	ds_load_2addr_b64 v[232:235], v242 offset0:74 offset1:75
	v_add_f64 v[84:85], v[84:85], -v[100:101]
	v_add_f64 v[86:87], v[86:87], -v[212:213]
	s_waitcnt lgkmcnt(0)
	v_mul_f64 v[100:101], v[234:235], v[102:103]
	v_mul_f64 v[212:213], v[232:233], v[102:103]
	s_delay_alu instid0(VALU_DEP_2) | instskip(NEXT) | instid1(VALU_DEP_2)
	v_fma_f64 v[100:101], v[232:233], v[240:241], -v[100:101]
	v_fma_f64 v[212:213], v[234:235], v[240:241], v[212:213]
	ds_load_2addr_b64 v[232:235], v242 offset0:76 offset1:77
	v_add_f64 v[80:81], v[80:81], -v[100:101]
	v_add_f64 v[82:83], v[82:83], -v[212:213]
	s_waitcnt lgkmcnt(0)
	v_mul_f64 v[100:101], v[234:235], v[102:103]
	v_mul_f64 v[212:213], v[232:233], v[102:103]
	s_delay_alu instid0(VALU_DEP_2) | instskip(NEXT) | instid1(VALU_DEP_2)
	v_fma_f64 v[100:101], v[232:233], v[240:241], -v[100:101]
	v_fma_f64 v[212:213], v[234:235], v[240:241], v[212:213]
	ds_load_2addr_b64 v[232:235], v242 offset0:78 offset1:79
	v_add_f64 v[76:77], v[76:77], -v[100:101]
	v_add_f64 v[78:79], v[78:79], -v[212:213]
	s_waitcnt lgkmcnt(0)
	v_mul_f64 v[100:101], v[234:235], v[102:103]
	v_mul_f64 v[212:213], v[232:233], v[102:103]
	s_delay_alu instid0(VALU_DEP_2) | instskip(NEXT) | instid1(VALU_DEP_2)
	v_fma_f64 v[100:101], v[232:233], v[240:241], -v[100:101]
	v_fma_f64 v[212:213], v[234:235], v[240:241], v[212:213]
	ds_load_2addr_b64 v[232:235], v242 offset0:80 offset1:81
	v_add_f64 v[72:73], v[72:73], -v[100:101]
	v_add_f64 v[74:75], v[74:75], -v[212:213]
	s_waitcnt lgkmcnt(0)
	v_mul_f64 v[100:101], v[234:235], v[102:103]
	v_mul_f64 v[212:213], v[232:233], v[102:103]
	s_delay_alu instid0(VALU_DEP_2) | instskip(NEXT) | instid1(VALU_DEP_2)
	v_fma_f64 v[100:101], v[232:233], v[240:241], -v[100:101]
	v_fma_f64 v[212:213], v[234:235], v[240:241], v[212:213]
	ds_load_2addr_b64 v[232:235], v242 offset0:82 offset1:83
	v_add_f64 v[68:69], v[68:69], -v[100:101]
	v_add_f64 v[70:71], v[70:71], -v[212:213]
	s_waitcnt lgkmcnt(0)
	v_mul_f64 v[100:101], v[234:235], v[102:103]
	v_mul_f64 v[212:213], v[232:233], v[102:103]
	s_delay_alu instid0(VALU_DEP_2) | instskip(NEXT) | instid1(VALU_DEP_2)
	v_fma_f64 v[100:101], v[232:233], v[240:241], -v[100:101]
	v_fma_f64 v[212:213], v[234:235], v[240:241], v[212:213]
	ds_load_2addr_b64 v[232:235], v242 offset0:84 offset1:85
	v_add_f64 v[64:65], v[64:65], -v[100:101]
	v_add_f64 v[66:67], v[66:67], -v[212:213]
	s_waitcnt lgkmcnt(0)
	v_mul_f64 v[100:101], v[234:235], v[102:103]
	v_mul_f64 v[212:213], v[232:233], v[102:103]
	s_delay_alu instid0(VALU_DEP_2) | instskip(NEXT) | instid1(VALU_DEP_2)
	v_fma_f64 v[100:101], v[232:233], v[240:241], -v[100:101]
	v_fma_f64 v[212:213], v[234:235], v[240:241], v[212:213]
	ds_load_2addr_b64 v[232:235], v242 offset0:86 offset1:87
	v_add_f64 v[60:61], v[60:61], -v[100:101]
	v_add_f64 v[62:63], v[62:63], -v[212:213]
	s_waitcnt lgkmcnt(0)
	v_mul_f64 v[100:101], v[234:235], v[102:103]
	v_mul_f64 v[212:213], v[232:233], v[102:103]
	s_delay_alu instid0(VALU_DEP_2) | instskip(NEXT) | instid1(VALU_DEP_2)
	v_fma_f64 v[100:101], v[232:233], v[240:241], -v[100:101]
	v_fma_f64 v[212:213], v[234:235], v[240:241], v[212:213]
	ds_load_2addr_b64 v[232:235], v242 offset0:88 offset1:89
	v_add_f64 v[56:57], v[56:57], -v[100:101]
	v_add_f64 v[58:59], v[58:59], -v[212:213]
	s_waitcnt lgkmcnt(0)
	v_mul_f64 v[100:101], v[234:235], v[102:103]
	v_mul_f64 v[212:213], v[232:233], v[102:103]
	s_delay_alu instid0(VALU_DEP_2) | instskip(NEXT) | instid1(VALU_DEP_2)
	v_fma_f64 v[100:101], v[232:233], v[240:241], -v[100:101]
	v_fma_f64 v[212:213], v[234:235], v[240:241], v[212:213]
	ds_load_2addr_b64 v[232:235], v242 offset0:90 offset1:91
	v_add_f64 v[52:53], v[52:53], -v[100:101]
	v_add_f64 v[54:55], v[54:55], -v[212:213]
	s_waitcnt lgkmcnt(0)
	v_mul_f64 v[100:101], v[234:235], v[102:103]
	v_mul_f64 v[212:213], v[232:233], v[102:103]
	s_delay_alu instid0(VALU_DEP_2) | instskip(NEXT) | instid1(VALU_DEP_2)
	v_fma_f64 v[100:101], v[232:233], v[240:241], -v[100:101]
	v_fma_f64 v[212:213], v[234:235], v[240:241], v[212:213]
	ds_load_2addr_b64 v[232:235], v242 offset0:92 offset1:93
	v_add_f64 v[48:49], v[48:49], -v[100:101]
	v_add_f64 v[50:51], v[50:51], -v[212:213]
	s_waitcnt lgkmcnt(0)
	v_mul_f64 v[100:101], v[234:235], v[102:103]
	v_mul_f64 v[212:213], v[232:233], v[102:103]
	s_delay_alu instid0(VALU_DEP_2) | instskip(NEXT) | instid1(VALU_DEP_2)
	v_fma_f64 v[100:101], v[232:233], v[240:241], -v[100:101]
	v_fma_f64 v[212:213], v[234:235], v[240:241], v[212:213]
	ds_load_2addr_b64 v[232:235], v242 offset0:94 offset1:95
	v_add_f64 v[44:45], v[44:45], -v[100:101]
	v_add_f64 v[46:47], v[46:47], -v[212:213]
	s_waitcnt lgkmcnt(0)
	v_mul_f64 v[100:101], v[234:235], v[102:103]
	v_mul_f64 v[212:213], v[232:233], v[102:103]
	s_delay_alu instid0(VALU_DEP_2) | instskip(NEXT) | instid1(VALU_DEP_2)
	v_fma_f64 v[100:101], v[232:233], v[240:241], -v[100:101]
	v_fma_f64 v[212:213], v[234:235], v[240:241], v[212:213]
	ds_load_2addr_b64 v[232:235], v242 offset0:96 offset1:97
	v_add_f64 v[40:41], v[40:41], -v[100:101]
	v_add_f64 v[42:43], v[42:43], -v[212:213]
	s_waitcnt lgkmcnt(0)
	v_mul_f64 v[100:101], v[234:235], v[102:103]
	v_mul_f64 v[212:213], v[232:233], v[102:103]
	s_delay_alu instid0(VALU_DEP_2) | instskip(NEXT) | instid1(VALU_DEP_2)
	v_fma_f64 v[100:101], v[232:233], v[240:241], -v[100:101]
	v_fma_f64 v[212:213], v[234:235], v[240:241], v[212:213]
	ds_load_2addr_b64 v[232:235], v242 offset0:98 offset1:99
	v_add_f64 v[36:37], v[36:37], -v[100:101]
	v_add_f64 v[38:39], v[38:39], -v[212:213]
	s_waitcnt lgkmcnt(0)
	v_mul_f64 v[100:101], v[234:235], v[102:103]
	v_mul_f64 v[212:213], v[232:233], v[102:103]
	s_delay_alu instid0(VALU_DEP_2) | instskip(NEXT) | instid1(VALU_DEP_2)
	v_fma_f64 v[100:101], v[232:233], v[240:241], -v[100:101]
	v_fma_f64 v[212:213], v[234:235], v[240:241], v[212:213]
	ds_load_2addr_b64 v[232:235], v242 offset0:100 offset1:101
	v_add_f64 v[32:33], v[32:33], -v[100:101]
	v_add_f64 v[34:35], v[34:35], -v[212:213]
	s_waitcnt lgkmcnt(0)
	v_mul_f64 v[100:101], v[234:235], v[102:103]
	v_mul_f64 v[212:213], v[232:233], v[102:103]
	s_delay_alu instid0(VALU_DEP_2) | instskip(NEXT) | instid1(VALU_DEP_2)
	v_fma_f64 v[100:101], v[232:233], v[240:241], -v[100:101]
	v_fma_f64 v[212:213], v[234:235], v[240:241], v[212:213]
	ds_load_2addr_b64 v[232:235], v242 offset0:102 offset1:103
	v_add_f64 v[28:29], v[28:29], -v[100:101]
	v_add_f64 v[30:31], v[30:31], -v[212:213]
	s_waitcnt lgkmcnt(0)
	v_mul_f64 v[100:101], v[234:235], v[102:103]
	v_mul_f64 v[212:213], v[232:233], v[102:103]
	s_delay_alu instid0(VALU_DEP_2) | instskip(NEXT) | instid1(VALU_DEP_2)
	v_fma_f64 v[100:101], v[232:233], v[240:241], -v[100:101]
	v_fma_f64 v[212:213], v[234:235], v[240:241], v[212:213]
	ds_load_2addr_b64 v[232:235], v242 offset0:104 offset1:105
	v_add_f64 v[24:25], v[24:25], -v[100:101]
	v_add_f64 v[26:27], v[26:27], -v[212:213]
	s_waitcnt lgkmcnt(0)
	v_mul_f64 v[100:101], v[234:235], v[102:103]
	v_mul_f64 v[212:213], v[232:233], v[102:103]
	s_delay_alu instid0(VALU_DEP_2) | instskip(NEXT) | instid1(VALU_DEP_2)
	v_fma_f64 v[100:101], v[232:233], v[240:241], -v[100:101]
	v_fma_f64 v[212:213], v[234:235], v[240:241], v[212:213]
	ds_load_2addr_b64 v[232:235], v242 offset0:106 offset1:107
	v_add_f64 v[20:21], v[20:21], -v[100:101]
	v_add_f64 v[22:23], v[22:23], -v[212:213]
	s_waitcnt lgkmcnt(0)
	v_mul_f64 v[100:101], v[234:235], v[102:103]
	v_mul_f64 v[212:213], v[232:233], v[102:103]
	s_delay_alu instid0(VALU_DEP_2) | instskip(NEXT) | instid1(VALU_DEP_2)
	v_fma_f64 v[100:101], v[232:233], v[240:241], -v[100:101]
	v_fma_f64 v[212:213], v[234:235], v[240:241], v[212:213]
	ds_load_2addr_b64 v[232:235], v242 offset0:108 offset1:109
	v_add_f64 v[16:17], v[16:17], -v[100:101]
	v_add_f64 v[18:19], v[18:19], -v[212:213]
	s_waitcnt lgkmcnt(0)
	v_mul_f64 v[100:101], v[234:235], v[102:103]
	v_mul_f64 v[212:213], v[232:233], v[102:103]
	s_delay_alu instid0(VALU_DEP_2) | instskip(NEXT) | instid1(VALU_DEP_2)
	v_fma_f64 v[100:101], v[232:233], v[240:241], -v[100:101]
	v_fma_f64 v[212:213], v[234:235], v[240:241], v[212:213]
	ds_load_2addr_b64 v[232:235], v242 offset0:110 offset1:111
	v_add_f64 v[12:13], v[12:13], -v[100:101]
	v_add_f64 v[14:15], v[14:15], -v[212:213]
	s_waitcnt lgkmcnt(0)
	v_mul_f64 v[100:101], v[234:235], v[102:103]
	v_mul_f64 v[212:213], v[232:233], v[102:103]
	s_delay_alu instid0(VALU_DEP_2) | instskip(NEXT) | instid1(VALU_DEP_2)
	v_fma_f64 v[100:101], v[232:233], v[240:241], -v[100:101]
	v_fma_f64 v[212:213], v[234:235], v[240:241], v[212:213]
	ds_load_2addr_b64 v[232:235], v242 offset0:112 offset1:113
	v_add_f64 v[8:9], v[8:9], -v[100:101]
	v_add_f64 v[10:11], v[10:11], -v[212:213]
	s_waitcnt lgkmcnt(0)
	v_mul_f64 v[100:101], v[234:235], v[102:103]
	v_mul_f64 v[212:213], v[232:233], v[102:103]
	s_delay_alu instid0(VALU_DEP_2) | instskip(NEXT) | instid1(VALU_DEP_2)
	v_fma_f64 v[100:101], v[232:233], v[240:241], -v[100:101]
	v_fma_f64 v[212:213], v[234:235], v[240:241], v[212:213]
	ds_load_2addr_b64 v[232:235], v242 offset0:114 offset1:115
	v_add_f64 v[224:225], v[224:225], -v[100:101]
	v_add_f64 v[226:227], v[226:227], -v[212:213]
	s_waitcnt lgkmcnt(0)
	v_mul_f64 v[100:101], v[234:235], v[102:103]
	v_mul_f64 v[212:213], v[232:233], v[102:103]
	s_delay_alu instid0(VALU_DEP_2) | instskip(NEXT) | instid1(VALU_DEP_2)
	v_fma_f64 v[100:101], v[232:233], v[240:241], -v[100:101]
	v_fma_f64 v[212:213], v[234:235], v[240:241], v[212:213]
	s_delay_alu instid0(VALU_DEP_2) | instskip(NEXT) | instid1(VALU_DEP_2)
	v_add_f64 v[0:1], v[0:1], -v[100:101]
	v_add_f64 v[2:3], v[2:3], -v[212:213]
	v_dual_mov_b32 v100, v240 :: v_dual_mov_b32 v101, v241
.LBB114_692:
	s_or_b32 exec_lo, exec_lo, s2
	v_lshl_add_u32 v212, v248, 4, v242
	s_barrier
	buffer_gl0_inv
	v_mov_b32_e32 v240, 33
	ds_store_2addr_b64 v212, v[96:97], v[98:99] offset1:1
	s_waitcnt lgkmcnt(0)
	s_barrier
	buffer_gl0_inv
	ds_load_2addr_b64 v[232:235], v242 offset0:66 offset1:67
	s_cmp_lt_i32 s12, 35
	s_cbranch_scc1 .LBB114_695
; %bb.693:
	v_add3_u32 v241, v246, 0, 0x220
	v_mov_b32_e32 v240, 33
	s_mov_b32 s2, 34
	s_set_inst_prefetch_distance 0x1
	.p2align	6
.LBB114_694:                            ; =>This Inner Loop Header: Depth=1
	s_waitcnt lgkmcnt(0)
	v_cmp_gt_f64_e32 vcc_lo, 0, v[232:233]
	v_xor_b32_e32 v212, 0x80000000, v233
	v_xor_b32_e32 v214, 0x80000000, v235
	ds_load_2addr_b64 v[249:252], v241 offset1:1
	v_add_nc_u32_e32 v241, 16, v241
	s_waitcnt lgkmcnt(0)
	v_xor_b32_e32 v216, 0x80000000, v252
	v_cndmask_b32_e32 v213, v233, v212, vcc_lo
	v_cndmask_b32_e32 v212, v232, v232, vcc_lo
	v_cmp_gt_f64_e32 vcc_lo, 0, v[234:235]
	v_cndmask_b32_e32 v215, v235, v214, vcc_lo
	v_cndmask_b32_e32 v214, v234, v234, vcc_lo
	v_cmp_gt_f64_e32 vcc_lo, 0, v[249:250]
	s_delay_alu instid0(VALU_DEP_2) | instskip(SKIP_1) | instid1(VALU_DEP_1)
	v_add_f64 v[212:213], v[212:213], v[214:215]
	v_xor_b32_e32 v214, 0x80000000, v250
	v_dual_cndmask_b32 v215, v250, v214 :: v_dual_mov_b32 v214, v249
	v_cmp_gt_f64_e32 vcc_lo, 0, v[251:252]
	v_dual_cndmask_b32 v217, v252, v216 :: v_dual_mov_b32 v216, v251
	s_delay_alu instid0(VALU_DEP_1) | instskip(NEXT) | instid1(VALU_DEP_1)
	v_add_f64 v[214:215], v[214:215], v[216:217]
	v_cmp_lt_f64_e32 vcc_lo, v[212:213], v[214:215]
	v_dual_cndmask_b32 v233, v233, v250 :: v_dual_cndmask_b32 v232, v232, v249
	v_dual_cndmask_b32 v235, v235, v252 :: v_dual_cndmask_b32 v234, v234, v251
	v_cndmask_b32_e64 v240, v240, s2, vcc_lo
	s_add_i32 s2, s2, 1
	s_delay_alu instid0(SALU_CYCLE_1)
	s_cmp_lg_u32 s12, s2
	s_cbranch_scc1 .LBB114_694
.LBB114_695:
	s_set_inst_prefetch_distance 0x2
	s_waitcnt lgkmcnt(0)
	v_cmp_eq_f64_e32 vcc_lo, 0, v[232:233]
	v_cmp_eq_f64_e64 s2, 0, v[234:235]
	s_delay_alu instid0(VALU_DEP_1) | instskip(NEXT) | instid1(SALU_CYCLE_1)
	s_and_b32 s2, vcc_lo, s2
	s_and_saveexec_b32 s3, s2
	s_delay_alu instid0(SALU_CYCLE_1)
	s_xor_b32 s2, exec_lo, s3
; %bb.696:
	v_cmp_ne_u32_e32 vcc_lo, 0, v245
	v_cndmask_b32_e32 v245, 34, v245, vcc_lo
; %bb.697:
	s_and_not1_saveexec_b32 s3, s2
	s_cbranch_execz .LBB114_703
; %bb.698:
	v_cmp_gt_f64_e32 vcc_lo, 0, v[232:233]
	v_cmp_gt_f64_e64 s2, 0, v[234:235]
	v_xor_b32_e32 v212, 0x80000000, v233
	v_xor_b32_e32 v214, 0x80000000, v235
	s_delay_alu instid0(VALU_DEP_2) | instskip(NEXT) | instid1(VALU_DEP_2)
	v_cndmask_b32_e32 v213, v233, v212, vcc_lo
	v_cndmask_b32_e64 v215, v235, v214, s2
	v_cndmask_b32_e32 v212, v232, v232, vcc_lo
	v_cndmask_b32_e64 v214, v234, v234, s2
	s_mov_b32 s2, exec_lo
	s_delay_alu instid0(VALU_DEP_1)
	v_cmpx_ngt_f64_e32 v[212:213], v[214:215]
	s_xor_b32 s2, exec_lo, s2
	s_cbranch_execz .LBB114_700
; %bb.699:
	v_div_scale_f64 v[212:213], null, v[234:235], v[234:235], v[232:233]
	v_div_scale_f64 v[218:219], vcc_lo, v[232:233], v[234:235], v[232:233]
	s_delay_alu instid0(VALU_DEP_2) | instskip(SKIP_2) | instid1(VALU_DEP_1)
	v_rcp_f64_e32 v[214:215], v[212:213]
	s_waitcnt_depctr 0xfff
	v_fma_f64 v[216:217], -v[212:213], v[214:215], 1.0
	v_fma_f64 v[214:215], v[214:215], v[216:217], v[214:215]
	s_delay_alu instid0(VALU_DEP_1) | instskip(NEXT) | instid1(VALU_DEP_1)
	v_fma_f64 v[216:217], -v[212:213], v[214:215], 1.0
	v_fma_f64 v[214:215], v[214:215], v[216:217], v[214:215]
	s_delay_alu instid0(VALU_DEP_1) | instskip(NEXT) | instid1(VALU_DEP_1)
	v_mul_f64 v[216:217], v[218:219], v[214:215]
	v_fma_f64 v[212:213], -v[212:213], v[216:217], v[218:219]
	s_delay_alu instid0(VALU_DEP_1) | instskip(NEXT) | instid1(VALU_DEP_1)
	v_div_fmas_f64 v[212:213], v[212:213], v[214:215], v[216:217]
	v_div_fixup_f64 v[212:213], v[212:213], v[234:235], v[232:233]
	s_delay_alu instid0(VALU_DEP_1) | instskip(NEXT) | instid1(VALU_DEP_1)
	v_fma_f64 v[214:215], v[232:233], v[212:213], v[234:235]
	v_div_scale_f64 v[216:217], null, v[214:215], v[214:215], 1.0
	s_delay_alu instid0(VALU_DEP_1) | instskip(SKIP_2) | instid1(VALU_DEP_1)
	v_rcp_f64_e32 v[218:219], v[216:217]
	s_waitcnt_depctr 0xfff
	v_fma_f64 v[220:221], -v[216:217], v[218:219], 1.0
	v_fma_f64 v[218:219], v[218:219], v[220:221], v[218:219]
	s_delay_alu instid0(VALU_DEP_1) | instskip(NEXT) | instid1(VALU_DEP_1)
	v_fma_f64 v[220:221], -v[216:217], v[218:219], 1.0
	v_fma_f64 v[218:219], v[218:219], v[220:221], v[218:219]
	v_div_scale_f64 v[220:221], vcc_lo, 1.0, v[214:215], 1.0
	s_delay_alu instid0(VALU_DEP_1) | instskip(NEXT) | instid1(VALU_DEP_1)
	v_mul_f64 v[222:223], v[220:221], v[218:219]
	v_fma_f64 v[216:217], -v[216:217], v[222:223], v[220:221]
	s_delay_alu instid0(VALU_DEP_1) | instskip(NEXT) | instid1(VALU_DEP_1)
	v_div_fmas_f64 v[216:217], v[216:217], v[218:219], v[222:223]
	v_div_fixup_f64 v[234:235], v[216:217], v[214:215], 1.0
	s_delay_alu instid0(VALU_DEP_1)
	v_mul_f64 v[232:233], v[212:213], v[234:235]
	v_xor_b32_e32 v235, 0x80000000, v235
.LBB114_700:
	s_and_not1_saveexec_b32 s2, s2
	s_cbranch_execz .LBB114_702
; %bb.701:
	s_delay_alu instid0(VALU_DEP_1) | instskip(SKIP_1) | instid1(VALU_DEP_2)
	v_div_scale_f64 v[212:213], null, v[232:233], v[232:233], v[234:235]
	v_div_scale_f64 v[218:219], vcc_lo, v[234:235], v[232:233], v[234:235]
	v_rcp_f64_e32 v[214:215], v[212:213]
	s_waitcnt_depctr 0xfff
	v_fma_f64 v[216:217], -v[212:213], v[214:215], 1.0
	s_delay_alu instid0(VALU_DEP_1) | instskip(NEXT) | instid1(VALU_DEP_1)
	v_fma_f64 v[214:215], v[214:215], v[216:217], v[214:215]
	v_fma_f64 v[216:217], -v[212:213], v[214:215], 1.0
	s_delay_alu instid0(VALU_DEP_1) | instskip(NEXT) | instid1(VALU_DEP_1)
	v_fma_f64 v[214:215], v[214:215], v[216:217], v[214:215]
	v_mul_f64 v[216:217], v[218:219], v[214:215]
	s_delay_alu instid0(VALU_DEP_1) | instskip(NEXT) | instid1(VALU_DEP_1)
	v_fma_f64 v[212:213], -v[212:213], v[216:217], v[218:219]
	v_div_fmas_f64 v[212:213], v[212:213], v[214:215], v[216:217]
	s_delay_alu instid0(VALU_DEP_1) | instskip(NEXT) | instid1(VALU_DEP_1)
	v_div_fixup_f64 v[212:213], v[212:213], v[232:233], v[234:235]
	v_fma_f64 v[214:215], v[234:235], v[212:213], v[232:233]
	s_delay_alu instid0(VALU_DEP_1) | instskip(NEXT) | instid1(VALU_DEP_1)
	v_div_scale_f64 v[216:217], null, v[214:215], v[214:215], 1.0
	v_rcp_f64_e32 v[218:219], v[216:217]
	s_waitcnt_depctr 0xfff
	v_fma_f64 v[220:221], -v[216:217], v[218:219], 1.0
	s_delay_alu instid0(VALU_DEP_1) | instskip(NEXT) | instid1(VALU_DEP_1)
	v_fma_f64 v[218:219], v[218:219], v[220:221], v[218:219]
	v_fma_f64 v[220:221], -v[216:217], v[218:219], 1.0
	s_delay_alu instid0(VALU_DEP_1) | instskip(SKIP_1) | instid1(VALU_DEP_1)
	v_fma_f64 v[218:219], v[218:219], v[220:221], v[218:219]
	v_div_scale_f64 v[220:221], vcc_lo, 1.0, v[214:215], 1.0
	v_mul_f64 v[222:223], v[220:221], v[218:219]
	s_delay_alu instid0(VALU_DEP_1) | instskip(NEXT) | instid1(VALU_DEP_1)
	v_fma_f64 v[216:217], -v[216:217], v[222:223], v[220:221]
	v_div_fmas_f64 v[216:217], v[216:217], v[218:219], v[222:223]
	s_delay_alu instid0(VALU_DEP_1) | instskip(NEXT) | instid1(VALU_DEP_1)
	v_div_fixup_f64 v[232:233], v[216:217], v[214:215], 1.0
	v_mul_f64 v[234:235], v[212:213], -v[232:233]
.LBB114_702:
	s_or_b32 exec_lo, exec_lo, s2
.LBB114_703:
	s_delay_alu instid0(SALU_CYCLE_1) | instskip(NEXT) | instid1(SALU_CYCLE_1)
	s_or_b32 exec_lo, exec_lo, s3
	s_mov_b32 s2, exec_lo
	v_cmpx_ne_u32_e64 v248, v240
	s_xor_b32 s2, exec_lo, s2
	s_cbranch_execz .LBB114_709
; %bb.704:
	s_mov_b32 s3, exec_lo
	v_cmpx_eq_u32_e32 33, v248
	s_cbranch_execz .LBB114_708
; %bb.705:
	v_cmp_ne_u32_e32 vcc_lo, 33, v240
	s_xor_b32 s4, s5, -1
	s_delay_alu instid0(SALU_CYCLE_1) | instskip(NEXT) | instid1(SALU_CYCLE_1)
	s_and_b32 s6, s4, vcc_lo
	s_and_saveexec_b32 s4, s6
	s_cbranch_execz .LBB114_707
; %bb.706:
	scratch_load_b64 v[208:209], off, off   ; 8-byte Folded Reload
	v_ashrrev_i32_e32 v241, 31, v240
	s_delay_alu instid0(VALU_DEP_1) | instskip(SKIP_1) | instid1(VALU_DEP_1)
	v_lshlrev_b64 v[212:213], 2, v[240:241]
	s_waitcnt vmcnt(0)
	v_add_co_u32 v212, vcc_lo, v208, v212
	s_delay_alu instid0(VALU_DEP_2)
	v_add_co_ci_u32_e32 v213, vcc_lo, v209, v213, vcc_lo
	s_clause 0x1
	flat_load_b32 v214, v[212:213]
	flat_load_b32 v215, v[208:209] offset:132
	s_waitcnt vmcnt(1) lgkmcnt(1)
	flat_store_b32 v[208:209], v214 offset:132
	s_waitcnt vmcnt(0) lgkmcnt(1)
	flat_store_b32 v[212:213], v215
.LBB114_707:
	s_or_b32 exec_lo, exec_lo, s4
	v_mov_b32_e32 v248, v240
	v_mov_b32_e32 v236, v240
.LBB114_708:
	s_or_b32 exec_lo, exec_lo, s3
.LBB114_709:
	s_and_not1_saveexec_b32 s2, s2
	s_cbranch_execz .LBB114_711
; %bb.710:
	v_mov_b32_e32 v248, 33
	ds_store_2addr_b64 v242, v[92:93], v[94:95] offset0:68 offset1:69
	ds_store_2addr_b64 v242, v[88:89], v[90:91] offset0:70 offset1:71
	ds_store_2addr_b64 v242, v[84:85], v[86:87] offset0:72 offset1:73
	ds_store_2addr_b64 v242, v[80:81], v[82:83] offset0:74 offset1:75
	ds_store_2addr_b64 v242, v[76:77], v[78:79] offset0:76 offset1:77
	ds_store_2addr_b64 v242, v[72:73], v[74:75] offset0:78 offset1:79
	ds_store_2addr_b64 v242, v[68:69], v[70:71] offset0:80 offset1:81
	ds_store_2addr_b64 v242, v[64:65], v[66:67] offset0:82 offset1:83
	ds_store_2addr_b64 v242, v[60:61], v[62:63] offset0:84 offset1:85
	ds_store_2addr_b64 v242, v[56:57], v[58:59] offset0:86 offset1:87
	ds_store_2addr_b64 v242, v[52:53], v[54:55] offset0:88 offset1:89
	ds_store_2addr_b64 v242, v[48:49], v[50:51] offset0:90 offset1:91
	ds_store_2addr_b64 v242, v[44:45], v[46:47] offset0:92 offset1:93
	ds_store_2addr_b64 v242, v[40:41], v[42:43] offset0:94 offset1:95
	ds_store_2addr_b64 v242, v[36:37], v[38:39] offset0:96 offset1:97
	ds_store_2addr_b64 v242, v[32:33], v[34:35] offset0:98 offset1:99
	ds_store_2addr_b64 v242, v[28:29], v[30:31] offset0:100 offset1:101
	ds_store_2addr_b64 v242, v[24:25], v[26:27] offset0:102 offset1:103
	ds_store_2addr_b64 v242, v[20:21], v[22:23] offset0:104 offset1:105
	ds_store_2addr_b64 v242, v[16:17], v[18:19] offset0:106 offset1:107
	ds_store_2addr_b64 v242, v[12:13], v[14:15] offset0:108 offset1:109
	ds_store_2addr_b64 v242, v[8:9], v[10:11] offset0:110 offset1:111
	ds_store_2addr_b64 v242, v[224:225], v[226:227] offset0:112 offset1:113
	ds_store_2addr_b64 v242, v[0:1], v[2:3] offset0:114 offset1:115
.LBB114_711:
	s_or_b32 exec_lo, exec_lo, s2
	s_delay_alu instid0(SALU_CYCLE_1)
	s_mov_b32 s2, exec_lo
	s_waitcnt lgkmcnt(0)
	s_waitcnt_vscnt null, 0x0
	s_barrier
	buffer_gl0_inv
	v_cmpx_lt_i32_e32 33, v248
	s_cbranch_execz .LBB114_713
; %bb.712:
	v_mul_f64 v[212:213], v[234:235], v[98:99]
	v_mul_f64 v[98:99], v[232:233], v[98:99]
	s_delay_alu instid0(VALU_DEP_2) | instskip(NEXT) | instid1(VALU_DEP_2)
	v_fma_f64 v[240:241], v[232:233], v[96:97], -v[212:213]
	v_fma_f64 v[98:99], v[234:235], v[96:97], v[98:99]
	ds_load_2addr_b64 v[232:235], v242 offset0:68 offset1:69
	s_waitcnt lgkmcnt(0)
	v_mul_f64 v[96:97], v[234:235], v[98:99]
	v_mul_f64 v[212:213], v[232:233], v[98:99]
	s_delay_alu instid0(VALU_DEP_2) | instskip(NEXT) | instid1(VALU_DEP_2)
	v_fma_f64 v[96:97], v[232:233], v[240:241], -v[96:97]
	v_fma_f64 v[212:213], v[234:235], v[240:241], v[212:213]
	ds_load_2addr_b64 v[232:235], v242 offset0:70 offset1:71
	v_add_f64 v[92:93], v[92:93], -v[96:97]
	v_add_f64 v[94:95], v[94:95], -v[212:213]
	s_waitcnt lgkmcnt(0)
	v_mul_f64 v[96:97], v[234:235], v[98:99]
	v_mul_f64 v[212:213], v[232:233], v[98:99]
	s_delay_alu instid0(VALU_DEP_2) | instskip(NEXT) | instid1(VALU_DEP_2)
	v_fma_f64 v[96:97], v[232:233], v[240:241], -v[96:97]
	v_fma_f64 v[212:213], v[234:235], v[240:241], v[212:213]
	ds_load_2addr_b64 v[232:235], v242 offset0:72 offset1:73
	v_add_f64 v[88:89], v[88:89], -v[96:97]
	v_add_f64 v[90:91], v[90:91], -v[212:213]
	;; [unrolled: 9-line block ×23, first 2 shown]
	s_waitcnt lgkmcnt(0)
	v_mul_f64 v[96:97], v[234:235], v[98:99]
	v_mul_f64 v[212:213], v[232:233], v[98:99]
	s_delay_alu instid0(VALU_DEP_2) | instskip(NEXT) | instid1(VALU_DEP_2)
	v_fma_f64 v[96:97], v[232:233], v[240:241], -v[96:97]
	v_fma_f64 v[212:213], v[234:235], v[240:241], v[212:213]
	s_delay_alu instid0(VALU_DEP_2) | instskip(NEXT) | instid1(VALU_DEP_2)
	v_add_f64 v[0:1], v[0:1], -v[96:97]
	v_add_f64 v[2:3], v[2:3], -v[212:213]
	v_dual_mov_b32 v96, v240 :: v_dual_mov_b32 v97, v241
.LBB114_713:
	s_or_b32 exec_lo, exec_lo, s2
	v_lshl_add_u32 v212, v248, 4, v242
	s_barrier
	buffer_gl0_inv
	v_mov_b32_e32 v240, 34
	ds_store_2addr_b64 v212, v[92:93], v[94:95] offset1:1
	s_waitcnt lgkmcnt(0)
	s_barrier
	buffer_gl0_inv
	ds_load_2addr_b64 v[232:235], v242 offset0:68 offset1:69
	s_cmp_lt_i32 s12, 36
	s_cbranch_scc1 .LBB114_716
; %bb.714:
	v_add3_u32 v241, v246, 0, 0x230
	v_mov_b32_e32 v240, 34
	s_mov_b32 s2, 35
	s_set_inst_prefetch_distance 0x1
	.p2align	6
.LBB114_715:                            ; =>This Inner Loop Header: Depth=1
	s_waitcnt lgkmcnt(0)
	v_cmp_gt_f64_e32 vcc_lo, 0, v[232:233]
	v_xor_b32_e32 v212, 0x80000000, v233
	v_xor_b32_e32 v214, 0x80000000, v235
	ds_load_2addr_b64 v[249:252], v241 offset1:1
	v_add_nc_u32_e32 v241, 16, v241
	s_waitcnt lgkmcnt(0)
	v_xor_b32_e32 v216, 0x80000000, v252
	v_cndmask_b32_e32 v213, v233, v212, vcc_lo
	v_cndmask_b32_e32 v212, v232, v232, vcc_lo
	v_cmp_gt_f64_e32 vcc_lo, 0, v[234:235]
	v_cndmask_b32_e32 v215, v235, v214, vcc_lo
	v_cndmask_b32_e32 v214, v234, v234, vcc_lo
	v_cmp_gt_f64_e32 vcc_lo, 0, v[249:250]
	s_delay_alu instid0(VALU_DEP_2) | instskip(SKIP_1) | instid1(VALU_DEP_1)
	v_add_f64 v[212:213], v[212:213], v[214:215]
	v_xor_b32_e32 v214, 0x80000000, v250
	v_dual_cndmask_b32 v215, v250, v214 :: v_dual_mov_b32 v214, v249
	v_cmp_gt_f64_e32 vcc_lo, 0, v[251:252]
	v_dual_cndmask_b32 v217, v252, v216 :: v_dual_mov_b32 v216, v251
	s_delay_alu instid0(VALU_DEP_1) | instskip(NEXT) | instid1(VALU_DEP_1)
	v_add_f64 v[214:215], v[214:215], v[216:217]
	v_cmp_lt_f64_e32 vcc_lo, v[212:213], v[214:215]
	v_dual_cndmask_b32 v233, v233, v250 :: v_dual_cndmask_b32 v232, v232, v249
	v_dual_cndmask_b32 v235, v235, v252 :: v_dual_cndmask_b32 v234, v234, v251
	v_cndmask_b32_e64 v240, v240, s2, vcc_lo
	s_add_i32 s2, s2, 1
	s_delay_alu instid0(SALU_CYCLE_1)
	s_cmp_lg_u32 s12, s2
	s_cbranch_scc1 .LBB114_715
.LBB114_716:
	s_set_inst_prefetch_distance 0x2
	s_waitcnt lgkmcnt(0)
	v_cmp_eq_f64_e32 vcc_lo, 0, v[232:233]
	v_cmp_eq_f64_e64 s2, 0, v[234:235]
	s_delay_alu instid0(VALU_DEP_1) | instskip(NEXT) | instid1(SALU_CYCLE_1)
	s_and_b32 s2, vcc_lo, s2
	s_and_saveexec_b32 s3, s2
	s_delay_alu instid0(SALU_CYCLE_1)
	s_xor_b32 s2, exec_lo, s3
; %bb.717:
	v_cmp_ne_u32_e32 vcc_lo, 0, v245
	v_cndmask_b32_e32 v245, 35, v245, vcc_lo
; %bb.718:
	s_and_not1_saveexec_b32 s3, s2
	s_cbranch_execz .LBB114_724
; %bb.719:
	v_cmp_gt_f64_e32 vcc_lo, 0, v[232:233]
	v_cmp_gt_f64_e64 s2, 0, v[234:235]
	v_xor_b32_e32 v212, 0x80000000, v233
	v_xor_b32_e32 v214, 0x80000000, v235
	s_delay_alu instid0(VALU_DEP_2) | instskip(NEXT) | instid1(VALU_DEP_2)
	v_cndmask_b32_e32 v213, v233, v212, vcc_lo
	v_cndmask_b32_e64 v215, v235, v214, s2
	v_cndmask_b32_e32 v212, v232, v232, vcc_lo
	v_cndmask_b32_e64 v214, v234, v234, s2
	s_mov_b32 s2, exec_lo
	s_delay_alu instid0(VALU_DEP_1)
	v_cmpx_ngt_f64_e32 v[212:213], v[214:215]
	s_xor_b32 s2, exec_lo, s2
	s_cbranch_execz .LBB114_721
; %bb.720:
	v_div_scale_f64 v[212:213], null, v[234:235], v[234:235], v[232:233]
	v_div_scale_f64 v[218:219], vcc_lo, v[232:233], v[234:235], v[232:233]
	s_delay_alu instid0(VALU_DEP_2) | instskip(SKIP_2) | instid1(VALU_DEP_1)
	v_rcp_f64_e32 v[214:215], v[212:213]
	s_waitcnt_depctr 0xfff
	v_fma_f64 v[216:217], -v[212:213], v[214:215], 1.0
	v_fma_f64 v[214:215], v[214:215], v[216:217], v[214:215]
	s_delay_alu instid0(VALU_DEP_1) | instskip(NEXT) | instid1(VALU_DEP_1)
	v_fma_f64 v[216:217], -v[212:213], v[214:215], 1.0
	v_fma_f64 v[214:215], v[214:215], v[216:217], v[214:215]
	s_delay_alu instid0(VALU_DEP_1) | instskip(NEXT) | instid1(VALU_DEP_1)
	v_mul_f64 v[216:217], v[218:219], v[214:215]
	v_fma_f64 v[212:213], -v[212:213], v[216:217], v[218:219]
	s_delay_alu instid0(VALU_DEP_1) | instskip(NEXT) | instid1(VALU_DEP_1)
	v_div_fmas_f64 v[212:213], v[212:213], v[214:215], v[216:217]
	v_div_fixup_f64 v[212:213], v[212:213], v[234:235], v[232:233]
	s_delay_alu instid0(VALU_DEP_1) | instskip(NEXT) | instid1(VALU_DEP_1)
	v_fma_f64 v[214:215], v[232:233], v[212:213], v[234:235]
	v_div_scale_f64 v[216:217], null, v[214:215], v[214:215], 1.0
	s_delay_alu instid0(VALU_DEP_1) | instskip(SKIP_2) | instid1(VALU_DEP_1)
	v_rcp_f64_e32 v[218:219], v[216:217]
	s_waitcnt_depctr 0xfff
	v_fma_f64 v[220:221], -v[216:217], v[218:219], 1.0
	v_fma_f64 v[218:219], v[218:219], v[220:221], v[218:219]
	s_delay_alu instid0(VALU_DEP_1) | instskip(NEXT) | instid1(VALU_DEP_1)
	v_fma_f64 v[220:221], -v[216:217], v[218:219], 1.0
	v_fma_f64 v[218:219], v[218:219], v[220:221], v[218:219]
	v_div_scale_f64 v[220:221], vcc_lo, 1.0, v[214:215], 1.0
	s_delay_alu instid0(VALU_DEP_1) | instskip(NEXT) | instid1(VALU_DEP_1)
	v_mul_f64 v[222:223], v[220:221], v[218:219]
	v_fma_f64 v[216:217], -v[216:217], v[222:223], v[220:221]
	s_delay_alu instid0(VALU_DEP_1) | instskip(NEXT) | instid1(VALU_DEP_1)
	v_div_fmas_f64 v[216:217], v[216:217], v[218:219], v[222:223]
	v_div_fixup_f64 v[234:235], v[216:217], v[214:215], 1.0
	s_delay_alu instid0(VALU_DEP_1)
	v_mul_f64 v[232:233], v[212:213], v[234:235]
	v_xor_b32_e32 v235, 0x80000000, v235
.LBB114_721:
	s_and_not1_saveexec_b32 s2, s2
	s_cbranch_execz .LBB114_723
; %bb.722:
	s_delay_alu instid0(VALU_DEP_1) | instskip(SKIP_1) | instid1(VALU_DEP_2)
	v_div_scale_f64 v[212:213], null, v[232:233], v[232:233], v[234:235]
	v_div_scale_f64 v[218:219], vcc_lo, v[234:235], v[232:233], v[234:235]
	v_rcp_f64_e32 v[214:215], v[212:213]
	s_waitcnt_depctr 0xfff
	v_fma_f64 v[216:217], -v[212:213], v[214:215], 1.0
	s_delay_alu instid0(VALU_DEP_1) | instskip(NEXT) | instid1(VALU_DEP_1)
	v_fma_f64 v[214:215], v[214:215], v[216:217], v[214:215]
	v_fma_f64 v[216:217], -v[212:213], v[214:215], 1.0
	s_delay_alu instid0(VALU_DEP_1) | instskip(NEXT) | instid1(VALU_DEP_1)
	v_fma_f64 v[214:215], v[214:215], v[216:217], v[214:215]
	v_mul_f64 v[216:217], v[218:219], v[214:215]
	s_delay_alu instid0(VALU_DEP_1) | instskip(NEXT) | instid1(VALU_DEP_1)
	v_fma_f64 v[212:213], -v[212:213], v[216:217], v[218:219]
	v_div_fmas_f64 v[212:213], v[212:213], v[214:215], v[216:217]
	s_delay_alu instid0(VALU_DEP_1) | instskip(NEXT) | instid1(VALU_DEP_1)
	v_div_fixup_f64 v[212:213], v[212:213], v[232:233], v[234:235]
	v_fma_f64 v[214:215], v[234:235], v[212:213], v[232:233]
	s_delay_alu instid0(VALU_DEP_1) | instskip(NEXT) | instid1(VALU_DEP_1)
	v_div_scale_f64 v[216:217], null, v[214:215], v[214:215], 1.0
	v_rcp_f64_e32 v[218:219], v[216:217]
	s_waitcnt_depctr 0xfff
	v_fma_f64 v[220:221], -v[216:217], v[218:219], 1.0
	s_delay_alu instid0(VALU_DEP_1) | instskip(NEXT) | instid1(VALU_DEP_1)
	v_fma_f64 v[218:219], v[218:219], v[220:221], v[218:219]
	v_fma_f64 v[220:221], -v[216:217], v[218:219], 1.0
	s_delay_alu instid0(VALU_DEP_1) | instskip(SKIP_1) | instid1(VALU_DEP_1)
	v_fma_f64 v[218:219], v[218:219], v[220:221], v[218:219]
	v_div_scale_f64 v[220:221], vcc_lo, 1.0, v[214:215], 1.0
	v_mul_f64 v[222:223], v[220:221], v[218:219]
	s_delay_alu instid0(VALU_DEP_1) | instskip(NEXT) | instid1(VALU_DEP_1)
	v_fma_f64 v[216:217], -v[216:217], v[222:223], v[220:221]
	v_div_fmas_f64 v[216:217], v[216:217], v[218:219], v[222:223]
	s_delay_alu instid0(VALU_DEP_1) | instskip(NEXT) | instid1(VALU_DEP_1)
	v_div_fixup_f64 v[232:233], v[216:217], v[214:215], 1.0
	v_mul_f64 v[234:235], v[212:213], -v[232:233]
.LBB114_723:
	s_or_b32 exec_lo, exec_lo, s2
.LBB114_724:
	s_delay_alu instid0(SALU_CYCLE_1) | instskip(NEXT) | instid1(SALU_CYCLE_1)
	s_or_b32 exec_lo, exec_lo, s3
	s_mov_b32 s2, exec_lo
	v_cmpx_ne_u32_e64 v248, v240
	s_xor_b32 s2, exec_lo, s2
	s_cbranch_execz .LBB114_730
; %bb.725:
	s_mov_b32 s3, exec_lo
	v_cmpx_eq_u32_e32 34, v248
	s_cbranch_execz .LBB114_729
; %bb.726:
	v_cmp_ne_u32_e32 vcc_lo, 34, v240
	s_xor_b32 s4, s5, -1
	s_delay_alu instid0(SALU_CYCLE_1) | instskip(NEXT) | instid1(SALU_CYCLE_1)
	s_and_b32 s6, s4, vcc_lo
	s_and_saveexec_b32 s4, s6
	s_cbranch_execz .LBB114_728
; %bb.727:
	scratch_load_b64 v[208:209], off, off   ; 8-byte Folded Reload
	v_ashrrev_i32_e32 v241, 31, v240
	s_delay_alu instid0(VALU_DEP_1) | instskip(SKIP_1) | instid1(VALU_DEP_1)
	v_lshlrev_b64 v[212:213], 2, v[240:241]
	s_waitcnt vmcnt(0)
	v_add_co_u32 v212, vcc_lo, v208, v212
	s_delay_alu instid0(VALU_DEP_2)
	v_add_co_ci_u32_e32 v213, vcc_lo, v209, v213, vcc_lo
	s_clause 0x1
	flat_load_b32 v214, v[212:213]
	flat_load_b32 v215, v[208:209] offset:136
	s_waitcnt vmcnt(1) lgkmcnt(1)
	flat_store_b32 v[208:209], v214 offset:136
	s_waitcnt vmcnt(0) lgkmcnt(1)
	flat_store_b32 v[212:213], v215
.LBB114_728:
	s_or_b32 exec_lo, exec_lo, s4
	v_mov_b32_e32 v248, v240
	v_mov_b32_e32 v236, v240
.LBB114_729:
	s_or_b32 exec_lo, exec_lo, s3
.LBB114_730:
	s_and_not1_saveexec_b32 s2, s2
	s_cbranch_execz .LBB114_732
; %bb.731:
	v_mov_b32_e32 v248, 34
	ds_store_2addr_b64 v242, v[88:89], v[90:91] offset0:70 offset1:71
	ds_store_2addr_b64 v242, v[84:85], v[86:87] offset0:72 offset1:73
	;; [unrolled: 1-line block ×23, first 2 shown]
.LBB114_732:
	s_or_b32 exec_lo, exec_lo, s2
	s_delay_alu instid0(SALU_CYCLE_1)
	s_mov_b32 s2, exec_lo
	s_waitcnt lgkmcnt(0)
	s_waitcnt_vscnt null, 0x0
	s_barrier
	buffer_gl0_inv
	v_cmpx_lt_i32_e32 34, v248
	s_cbranch_execz .LBB114_734
; %bb.733:
	v_mul_f64 v[212:213], v[234:235], v[94:95]
	v_mul_f64 v[94:95], v[232:233], v[94:95]
	s_delay_alu instid0(VALU_DEP_2) | instskip(NEXT) | instid1(VALU_DEP_2)
	v_fma_f64 v[240:241], v[232:233], v[92:93], -v[212:213]
	v_fma_f64 v[94:95], v[234:235], v[92:93], v[94:95]
	ds_load_2addr_b64 v[232:235], v242 offset0:70 offset1:71
	s_waitcnt lgkmcnt(0)
	v_mul_f64 v[92:93], v[234:235], v[94:95]
	v_mul_f64 v[212:213], v[232:233], v[94:95]
	s_delay_alu instid0(VALU_DEP_2) | instskip(NEXT) | instid1(VALU_DEP_2)
	v_fma_f64 v[92:93], v[232:233], v[240:241], -v[92:93]
	v_fma_f64 v[212:213], v[234:235], v[240:241], v[212:213]
	ds_load_2addr_b64 v[232:235], v242 offset0:72 offset1:73
	v_add_f64 v[88:89], v[88:89], -v[92:93]
	v_add_f64 v[90:91], v[90:91], -v[212:213]
	s_waitcnt lgkmcnt(0)
	v_mul_f64 v[92:93], v[234:235], v[94:95]
	v_mul_f64 v[212:213], v[232:233], v[94:95]
	s_delay_alu instid0(VALU_DEP_2) | instskip(NEXT) | instid1(VALU_DEP_2)
	v_fma_f64 v[92:93], v[232:233], v[240:241], -v[92:93]
	v_fma_f64 v[212:213], v[234:235], v[240:241], v[212:213]
	ds_load_2addr_b64 v[232:235], v242 offset0:74 offset1:75
	v_add_f64 v[84:85], v[84:85], -v[92:93]
	v_add_f64 v[86:87], v[86:87], -v[212:213]
	;; [unrolled: 9-line block ×22, first 2 shown]
	s_waitcnt lgkmcnt(0)
	v_mul_f64 v[92:93], v[234:235], v[94:95]
	v_mul_f64 v[212:213], v[232:233], v[94:95]
	s_delay_alu instid0(VALU_DEP_2) | instskip(NEXT) | instid1(VALU_DEP_2)
	v_fma_f64 v[92:93], v[232:233], v[240:241], -v[92:93]
	v_fma_f64 v[212:213], v[234:235], v[240:241], v[212:213]
	s_delay_alu instid0(VALU_DEP_2) | instskip(NEXT) | instid1(VALU_DEP_2)
	v_add_f64 v[0:1], v[0:1], -v[92:93]
	v_add_f64 v[2:3], v[2:3], -v[212:213]
	v_dual_mov_b32 v92, v240 :: v_dual_mov_b32 v93, v241
.LBB114_734:
	s_or_b32 exec_lo, exec_lo, s2
	v_lshl_add_u32 v212, v248, 4, v242
	s_barrier
	buffer_gl0_inv
	v_mov_b32_e32 v240, 35
	ds_store_2addr_b64 v212, v[88:89], v[90:91] offset1:1
	s_waitcnt lgkmcnt(0)
	s_barrier
	buffer_gl0_inv
	ds_load_2addr_b64 v[232:235], v242 offset0:70 offset1:71
	s_cmp_lt_i32 s12, 37
	s_cbranch_scc1 .LBB114_737
; %bb.735:
	v_add3_u32 v241, v246, 0, 0x240
	v_mov_b32_e32 v240, 35
	s_mov_b32 s2, 36
	s_set_inst_prefetch_distance 0x1
	.p2align	6
.LBB114_736:                            ; =>This Inner Loop Header: Depth=1
	s_waitcnt lgkmcnt(0)
	v_cmp_gt_f64_e32 vcc_lo, 0, v[232:233]
	v_xor_b32_e32 v212, 0x80000000, v233
	v_xor_b32_e32 v214, 0x80000000, v235
	ds_load_2addr_b64 v[249:252], v241 offset1:1
	v_add_nc_u32_e32 v241, 16, v241
	s_waitcnt lgkmcnt(0)
	v_xor_b32_e32 v216, 0x80000000, v252
	v_cndmask_b32_e32 v213, v233, v212, vcc_lo
	v_cndmask_b32_e32 v212, v232, v232, vcc_lo
	v_cmp_gt_f64_e32 vcc_lo, 0, v[234:235]
	v_cndmask_b32_e32 v215, v235, v214, vcc_lo
	v_cndmask_b32_e32 v214, v234, v234, vcc_lo
	v_cmp_gt_f64_e32 vcc_lo, 0, v[249:250]
	s_delay_alu instid0(VALU_DEP_2) | instskip(SKIP_1) | instid1(VALU_DEP_1)
	v_add_f64 v[212:213], v[212:213], v[214:215]
	v_xor_b32_e32 v214, 0x80000000, v250
	v_dual_cndmask_b32 v215, v250, v214 :: v_dual_mov_b32 v214, v249
	v_cmp_gt_f64_e32 vcc_lo, 0, v[251:252]
	v_dual_cndmask_b32 v217, v252, v216 :: v_dual_mov_b32 v216, v251
	s_delay_alu instid0(VALU_DEP_1) | instskip(NEXT) | instid1(VALU_DEP_1)
	v_add_f64 v[214:215], v[214:215], v[216:217]
	v_cmp_lt_f64_e32 vcc_lo, v[212:213], v[214:215]
	v_dual_cndmask_b32 v233, v233, v250 :: v_dual_cndmask_b32 v232, v232, v249
	v_dual_cndmask_b32 v235, v235, v252 :: v_dual_cndmask_b32 v234, v234, v251
	v_cndmask_b32_e64 v240, v240, s2, vcc_lo
	s_add_i32 s2, s2, 1
	s_delay_alu instid0(SALU_CYCLE_1)
	s_cmp_lg_u32 s12, s2
	s_cbranch_scc1 .LBB114_736
.LBB114_737:
	s_set_inst_prefetch_distance 0x2
	s_waitcnt lgkmcnt(0)
	v_cmp_eq_f64_e32 vcc_lo, 0, v[232:233]
	v_cmp_eq_f64_e64 s2, 0, v[234:235]
	s_delay_alu instid0(VALU_DEP_1) | instskip(NEXT) | instid1(SALU_CYCLE_1)
	s_and_b32 s2, vcc_lo, s2
	s_and_saveexec_b32 s3, s2
	s_delay_alu instid0(SALU_CYCLE_1)
	s_xor_b32 s2, exec_lo, s3
; %bb.738:
	v_cmp_ne_u32_e32 vcc_lo, 0, v245
	v_cndmask_b32_e32 v245, 36, v245, vcc_lo
; %bb.739:
	s_and_not1_saveexec_b32 s3, s2
	s_cbranch_execz .LBB114_745
; %bb.740:
	v_cmp_gt_f64_e32 vcc_lo, 0, v[232:233]
	v_cmp_gt_f64_e64 s2, 0, v[234:235]
	v_xor_b32_e32 v212, 0x80000000, v233
	v_xor_b32_e32 v214, 0x80000000, v235
	s_delay_alu instid0(VALU_DEP_2) | instskip(NEXT) | instid1(VALU_DEP_2)
	v_cndmask_b32_e32 v213, v233, v212, vcc_lo
	v_cndmask_b32_e64 v215, v235, v214, s2
	v_cndmask_b32_e32 v212, v232, v232, vcc_lo
	v_cndmask_b32_e64 v214, v234, v234, s2
	s_mov_b32 s2, exec_lo
	s_delay_alu instid0(VALU_DEP_1)
	v_cmpx_ngt_f64_e32 v[212:213], v[214:215]
	s_xor_b32 s2, exec_lo, s2
	s_cbranch_execz .LBB114_742
; %bb.741:
	v_div_scale_f64 v[212:213], null, v[234:235], v[234:235], v[232:233]
	v_div_scale_f64 v[218:219], vcc_lo, v[232:233], v[234:235], v[232:233]
	s_delay_alu instid0(VALU_DEP_2) | instskip(SKIP_2) | instid1(VALU_DEP_1)
	v_rcp_f64_e32 v[214:215], v[212:213]
	s_waitcnt_depctr 0xfff
	v_fma_f64 v[216:217], -v[212:213], v[214:215], 1.0
	v_fma_f64 v[214:215], v[214:215], v[216:217], v[214:215]
	s_delay_alu instid0(VALU_DEP_1) | instskip(NEXT) | instid1(VALU_DEP_1)
	v_fma_f64 v[216:217], -v[212:213], v[214:215], 1.0
	v_fma_f64 v[214:215], v[214:215], v[216:217], v[214:215]
	s_delay_alu instid0(VALU_DEP_1) | instskip(NEXT) | instid1(VALU_DEP_1)
	v_mul_f64 v[216:217], v[218:219], v[214:215]
	v_fma_f64 v[212:213], -v[212:213], v[216:217], v[218:219]
	s_delay_alu instid0(VALU_DEP_1) | instskip(NEXT) | instid1(VALU_DEP_1)
	v_div_fmas_f64 v[212:213], v[212:213], v[214:215], v[216:217]
	v_div_fixup_f64 v[212:213], v[212:213], v[234:235], v[232:233]
	s_delay_alu instid0(VALU_DEP_1) | instskip(NEXT) | instid1(VALU_DEP_1)
	v_fma_f64 v[214:215], v[232:233], v[212:213], v[234:235]
	v_div_scale_f64 v[216:217], null, v[214:215], v[214:215], 1.0
	s_delay_alu instid0(VALU_DEP_1) | instskip(SKIP_2) | instid1(VALU_DEP_1)
	v_rcp_f64_e32 v[218:219], v[216:217]
	s_waitcnt_depctr 0xfff
	v_fma_f64 v[220:221], -v[216:217], v[218:219], 1.0
	v_fma_f64 v[218:219], v[218:219], v[220:221], v[218:219]
	s_delay_alu instid0(VALU_DEP_1) | instskip(NEXT) | instid1(VALU_DEP_1)
	v_fma_f64 v[220:221], -v[216:217], v[218:219], 1.0
	v_fma_f64 v[218:219], v[218:219], v[220:221], v[218:219]
	v_div_scale_f64 v[220:221], vcc_lo, 1.0, v[214:215], 1.0
	s_delay_alu instid0(VALU_DEP_1) | instskip(NEXT) | instid1(VALU_DEP_1)
	v_mul_f64 v[222:223], v[220:221], v[218:219]
	v_fma_f64 v[216:217], -v[216:217], v[222:223], v[220:221]
	s_delay_alu instid0(VALU_DEP_1) | instskip(NEXT) | instid1(VALU_DEP_1)
	v_div_fmas_f64 v[216:217], v[216:217], v[218:219], v[222:223]
	v_div_fixup_f64 v[234:235], v[216:217], v[214:215], 1.0
	s_delay_alu instid0(VALU_DEP_1)
	v_mul_f64 v[232:233], v[212:213], v[234:235]
	v_xor_b32_e32 v235, 0x80000000, v235
.LBB114_742:
	s_and_not1_saveexec_b32 s2, s2
	s_cbranch_execz .LBB114_744
; %bb.743:
	s_delay_alu instid0(VALU_DEP_1) | instskip(SKIP_1) | instid1(VALU_DEP_2)
	v_div_scale_f64 v[212:213], null, v[232:233], v[232:233], v[234:235]
	v_div_scale_f64 v[218:219], vcc_lo, v[234:235], v[232:233], v[234:235]
	v_rcp_f64_e32 v[214:215], v[212:213]
	s_waitcnt_depctr 0xfff
	v_fma_f64 v[216:217], -v[212:213], v[214:215], 1.0
	s_delay_alu instid0(VALU_DEP_1) | instskip(NEXT) | instid1(VALU_DEP_1)
	v_fma_f64 v[214:215], v[214:215], v[216:217], v[214:215]
	v_fma_f64 v[216:217], -v[212:213], v[214:215], 1.0
	s_delay_alu instid0(VALU_DEP_1) | instskip(NEXT) | instid1(VALU_DEP_1)
	v_fma_f64 v[214:215], v[214:215], v[216:217], v[214:215]
	v_mul_f64 v[216:217], v[218:219], v[214:215]
	s_delay_alu instid0(VALU_DEP_1) | instskip(NEXT) | instid1(VALU_DEP_1)
	v_fma_f64 v[212:213], -v[212:213], v[216:217], v[218:219]
	v_div_fmas_f64 v[212:213], v[212:213], v[214:215], v[216:217]
	s_delay_alu instid0(VALU_DEP_1) | instskip(NEXT) | instid1(VALU_DEP_1)
	v_div_fixup_f64 v[212:213], v[212:213], v[232:233], v[234:235]
	v_fma_f64 v[214:215], v[234:235], v[212:213], v[232:233]
	s_delay_alu instid0(VALU_DEP_1) | instskip(NEXT) | instid1(VALU_DEP_1)
	v_div_scale_f64 v[216:217], null, v[214:215], v[214:215], 1.0
	v_rcp_f64_e32 v[218:219], v[216:217]
	s_waitcnt_depctr 0xfff
	v_fma_f64 v[220:221], -v[216:217], v[218:219], 1.0
	s_delay_alu instid0(VALU_DEP_1) | instskip(NEXT) | instid1(VALU_DEP_1)
	v_fma_f64 v[218:219], v[218:219], v[220:221], v[218:219]
	v_fma_f64 v[220:221], -v[216:217], v[218:219], 1.0
	s_delay_alu instid0(VALU_DEP_1) | instskip(SKIP_1) | instid1(VALU_DEP_1)
	v_fma_f64 v[218:219], v[218:219], v[220:221], v[218:219]
	v_div_scale_f64 v[220:221], vcc_lo, 1.0, v[214:215], 1.0
	v_mul_f64 v[222:223], v[220:221], v[218:219]
	s_delay_alu instid0(VALU_DEP_1) | instskip(NEXT) | instid1(VALU_DEP_1)
	v_fma_f64 v[216:217], -v[216:217], v[222:223], v[220:221]
	v_div_fmas_f64 v[216:217], v[216:217], v[218:219], v[222:223]
	s_delay_alu instid0(VALU_DEP_1) | instskip(NEXT) | instid1(VALU_DEP_1)
	v_div_fixup_f64 v[232:233], v[216:217], v[214:215], 1.0
	v_mul_f64 v[234:235], v[212:213], -v[232:233]
.LBB114_744:
	s_or_b32 exec_lo, exec_lo, s2
.LBB114_745:
	s_delay_alu instid0(SALU_CYCLE_1) | instskip(NEXT) | instid1(SALU_CYCLE_1)
	s_or_b32 exec_lo, exec_lo, s3
	s_mov_b32 s2, exec_lo
	v_cmpx_ne_u32_e64 v248, v240
	s_xor_b32 s2, exec_lo, s2
	s_cbranch_execz .LBB114_751
; %bb.746:
	s_mov_b32 s3, exec_lo
	v_cmpx_eq_u32_e32 35, v248
	s_cbranch_execz .LBB114_750
; %bb.747:
	v_cmp_ne_u32_e32 vcc_lo, 35, v240
	s_xor_b32 s4, s5, -1
	s_delay_alu instid0(SALU_CYCLE_1) | instskip(NEXT) | instid1(SALU_CYCLE_1)
	s_and_b32 s6, s4, vcc_lo
	s_and_saveexec_b32 s4, s6
	s_cbranch_execz .LBB114_749
; %bb.748:
	scratch_load_b64 v[208:209], off, off   ; 8-byte Folded Reload
	v_ashrrev_i32_e32 v241, 31, v240
	s_delay_alu instid0(VALU_DEP_1) | instskip(SKIP_1) | instid1(VALU_DEP_1)
	v_lshlrev_b64 v[212:213], 2, v[240:241]
	s_waitcnt vmcnt(0)
	v_add_co_u32 v212, vcc_lo, v208, v212
	s_delay_alu instid0(VALU_DEP_2)
	v_add_co_ci_u32_e32 v213, vcc_lo, v209, v213, vcc_lo
	s_clause 0x1
	flat_load_b32 v214, v[212:213]
	flat_load_b32 v215, v[208:209] offset:140
	s_waitcnt vmcnt(1) lgkmcnt(1)
	flat_store_b32 v[208:209], v214 offset:140
	s_waitcnt vmcnt(0) lgkmcnt(1)
	flat_store_b32 v[212:213], v215
.LBB114_749:
	s_or_b32 exec_lo, exec_lo, s4
	v_mov_b32_e32 v248, v240
	v_mov_b32_e32 v236, v240
.LBB114_750:
	s_or_b32 exec_lo, exec_lo, s3
.LBB114_751:
	s_and_not1_saveexec_b32 s2, s2
	s_cbranch_execz .LBB114_753
; %bb.752:
	v_mov_b32_e32 v248, 35
	ds_store_2addr_b64 v242, v[84:85], v[86:87] offset0:72 offset1:73
	ds_store_2addr_b64 v242, v[80:81], v[82:83] offset0:74 offset1:75
	;; [unrolled: 1-line block ×22, first 2 shown]
.LBB114_753:
	s_or_b32 exec_lo, exec_lo, s2
	s_delay_alu instid0(SALU_CYCLE_1)
	s_mov_b32 s2, exec_lo
	s_waitcnt lgkmcnt(0)
	s_waitcnt_vscnt null, 0x0
	s_barrier
	buffer_gl0_inv
	v_cmpx_lt_i32_e32 35, v248
	s_cbranch_execz .LBB114_755
; %bb.754:
	v_mul_f64 v[212:213], v[234:235], v[90:91]
	v_mul_f64 v[90:91], v[232:233], v[90:91]
	s_delay_alu instid0(VALU_DEP_2) | instskip(NEXT) | instid1(VALU_DEP_2)
	v_fma_f64 v[240:241], v[232:233], v[88:89], -v[212:213]
	v_fma_f64 v[90:91], v[234:235], v[88:89], v[90:91]
	ds_load_2addr_b64 v[232:235], v242 offset0:72 offset1:73
	s_waitcnt lgkmcnt(0)
	v_mul_f64 v[88:89], v[234:235], v[90:91]
	v_mul_f64 v[212:213], v[232:233], v[90:91]
	s_delay_alu instid0(VALU_DEP_2) | instskip(NEXT) | instid1(VALU_DEP_2)
	v_fma_f64 v[88:89], v[232:233], v[240:241], -v[88:89]
	v_fma_f64 v[212:213], v[234:235], v[240:241], v[212:213]
	ds_load_2addr_b64 v[232:235], v242 offset0:74 offset1:75
	v_add_f64 v[84:85], v[84:85], -v[88:89]
	v_add_f64 v[86:87], v[86:87], -v[212:213]
	s_waitcnt lgkmcnt(0)
	v_mul_f64 v[88:89], v[234:235], v[90:91]
	v_mul_f64 v[212:213], v[232:233], v[90:91]
	s_delay_alu instid0(VALU_DEP_2) | instskip(NEXT) | instid1(VALU_DEP_2)
	v_fma_f64 v[88:89], v[232:233], v[240:241], -v[88:89]
	v_fma_f64 v[212:213], v[234:235], v[240:241], v[212:213]
	ds_load_2addr_b64 v[232:235], v242 offset0:76 offset1:77
	v_add_f64 v[80:81], v[80:81], -v[88:89]
	v_add_f64 v[82:83], v[82:83], -v[212:213]
	;; [unrolled: 9-line block ×21, first 2 shown]
	s_waitcnt lgkmcnt(0)
	v_mul_f64 v[88:89], v[234:235], v[90:91]
	v_mul_f64 v[212:213], v[232:233], v[90:91]
	s_delay_alu instid0(VALU_DEP_2) | instskip(NEXT) | instid1(VALU_DEP_2)
	v_fma_f64 v[88:89], v[232:233], v[240:241], -v[88:89]
	v_fma_f64 v[212:213], v[234:235], v[240:241], v[212:213]
	s_delay_alu instid0(VALU_DEP_2) | instskip(NEXT) | instid1(VALU_DEP_2)
	v_add_f64 v[0:1], v[0:1], -v[88:89]
	v_add_f64 v[2:3], v[2:3], -v[212:213]
	v_dual_mov_b32 v88, v240 :: v_dual_mov_b32 v89, v241
.LBB114_755:
	s_or_b32 exec_lo, exec_lo, s2
	v_lshl_add_u32 v212, v248, 4, v242
	s_barrier
	buffer_gl0_inv
	v_mov_b32_e32 v240, 36
	ds_store_2addr_b64 v212, v[84:85], v[86:87] offset1:1
	s_waitcnt lgkmcnt(0)
	s_barrier
	buffer_gl0_inv
	ds_load_2addr_b64 v[232:235], v242 offset0:72 offset1:73
	s_cmp_lt_i32 s12, 38
	s_cbranch_scc1 .LBB114_758
; %bb.756:
	v_add3_u32 v241, v246, 0, 0x250
	v_mov_b32_e32 v240, 36
	s_mov_b32 s2, 37
	s_set_inst_prefetch_distance 0x1
	.p2align	6
.LBB114_757:                            ; =>This Inner Loop Header: Depth=1
	s_waitcnt lgkmcnt(0)
	v_cmp_gt_f64_e32 vcc_lo, 0, v[232:233]
	v_xor_b32_e32 v212, 0x80000000, v233
	v_xor_b32_e32 v214, 0x80000000, v235
	ds_load_2addr_b64 v[249:252], v241 offset1:1
	v_add_nc_u32_e32 v241, 16, v241
	s_waitcnt lgkmcnt(0)
	v_xor_b32_e32 v216, 0x80000000, v252
	v_cndmask_b32_e32 v213, v233, v212, vcc_lo
	v_cndmask_b32_e32 v212, v232, v232, vcc_lo
	v_cmp_gt_f64_e32 vcc_lo, 0, v[234:235]
	v_cndmask_b32_e32 v215, v235, v214, vcc_lo
	v_cndmask_b32_e32 v214, v234, v234, vcc_lo
	v_cmp_gt_f64_e32 vcc_lo, 0, v[249:250]
	s_delay_alu instid0(VALU_DEP_2) | instskip(SKIP_1) | instid1(VALU_DEP_1)
	v_add_f64 v[212:213], v[212:213], v[214:215]
	v_xor_b32_e32 v214, 0x80000000, v250
	v_dual_cndmask_b32 v215, v250, v214 :: v_dual_mov_b32 v214, v249
	v_cmp_gt_f64_e32 vcc_lo, 0, v[251:252]
	v_dual_cndmask_b32 v217, v252, v216 :: v_dual_mov_b32 v216, v251
	s_delay_alu instid0(VALU_DEP_1) | instskip(NEXT) | instid1(VALU_DEP_1)
	v_add_f64 v[214:215], v[214:215], v[216:217]
	v_cmp_lt_f64_e32 vcc_lo, v[212:213], v[214:215]
	v_dual_cndmask_b32 v233, v233, v250 :: v_dual_cndmask_b32 v232, v232, v249
	v_dual_cndmask_b32 v235, v235, v252 :: v_dual_cndmask_b32 v234, v234, v251
	v_cndmask_b32_e64 v240, v240, s2, vcc_lo
	s_add_i32 s2, s2, 1
	s_delay_alu instid0(SALU_CYCLE_1)
	s_cmp_lg_u32 s12, s2
	s_cbranch_scc1 .LBB114_757
.LBB114_758:
	s_set_inst_prefetch_distance 0x2
	s_waitcnt lgkmcnt(0)
	v_cmp_eq_f64_e32 vcc_lo, 0, v[232:233]
	v_cmp_eq_f64_e64 s2, 0, v[234:235]
	s_delay_alu instid0(VALU_DEP_1) | instskip(NEXT) | instid1(SALU_CYCLE_1)
	s_and_b32 s2, vcc_lo, s2
	s_and_saveexec_b32 s3, s2
	s_delay_alu instid0(SALU_CYCLE_1)
	s_xor_b32 s2, exec_lo, s3
; %bb.759:
	v_cmp_ne_u32_e32 vcc_lo, 0, v245
	v_cndmask_b32_e32 v245, 37, v245, vcc_lo
; %bb.760:
	s_and_not1_saveexec_b32 s3, s2
	s_cbranch_execz .LBB114_766
; %bb.761:
	v_cmp_gt_f64_e32 vcc_lo, 0, v[232:233]
	v_cmp_gt_f64_e64 s2, 0, v[234:235]
	v_xor_b32_e32 v212, 0x80000000, v233
	v_xor_b32_e32 v214, 0x80000000, v235
	s_delay_alu instid0(VALU_DEP_2) | instskip(NEXT) | instid1(VALU_DEP_2)
	v_cndmask_b32_e32 v213, v233, v212, vcc_lo
	v_cndmask_b32_e64 v215, v235, v214, s2
	v_cndmask_b32_e32 v212, v232, v232, vcc_lo
	v_cndmask_b32_e64 v214, v234, v234, s2
	s_mov_b32 s2, exec_lo
	s_delay_alu instid0(VALU_DEP_1)
	v_cmpx_ngt_f64_e32 v[212:213], v[214:215]
	s_xor_b32 s2, exec_lo, s2
	s_cbranch_execz .LBB114_763
; %bb.762:
	v_div_scale_f64 v[212:213], null, v[234:235], v[234:235], v[232:233]
	v_div_scale_f64 v[218:219], vcc_lo, v[232:233], v[234:235], v[232:233]
	s_delay_alu instid0(VALU_DEP_2) | instskip(SKIP_2) | instid1(VALU_DEP_1)
	v_rcp_f64_e32 v[214:215], v[212:213]
	s_waitcnt_depctr 0xfff
	v_fma_f64 v[216:217], -v[212:213], v[214:215], 1.0
	v_fma_f64 v[214:215], v[214:215], v[216:217], v[214:215]
	s_delay_alu instid0(VALU_DEP_1) | instskip(NEXT) | instid1(VALU_DEP_1)
	v_fma_f64 v[216:217], -v[212:213], v[214:215], 1.0
	v_fma_f64 v[214:215], v[214:215], v[216:217], v[214:215]
	s_delay_alu instid0(VALU_DEP_1) | instskip(NEXT) | instid1(VALU_DEP_1)
	v_mul_f64 v[216:217], v[218:219], v[214:215]
	v_fma_f64 v[212:213], -v[212:213], v[216:217], v[218:219]
	s_delay_alu instid0(VALU_DEP_1) | instskip(NEXT) | instid1(VALU_DEP_1)
	v_div_fmas_f64 v[212:213], v[212:213], v[214:215], v[216:217]
	v_div_fixup_f64 v[212:213], v[212:213], v[234:235], v[232:233]
	s_delay_alu instid0(VALU_DEP_1) | instskip(NEXT) | instid1(VALU_DEP_1)
	v_fma_f64 v[214:215], v[232:233], v[212:213], v[234:235]
	v_div_scale_f64 v[216:217], null, v[214:215], v[214:215], 1.0
	s_delay_alu instid0(VALU_DEP_1) | instskip(SKIP_2) | instid1(VALU_DEP_1)
	v_rcp_f64_e32 v[218:219], v[216:217]
	s_waitcnt_depctr 0xfff
	v_fma_f64 v[220:221], -v[216:217], v[218:219], 1.0
	v_fma_f64 v[218:219], v[218:219], v[220:221], v[218:219]
	s_delay_alu instid0(VALU_DEP_1) | instskip(NEXT) | instid1(VALU_DEP_1)
	v_fma_f64 v[220:221], -v[216:217], v[218:219], 1.0
	v_fma_f64 v[218:219], v[218:219], v[220:221], v[218:219]
	v_div_scale_f64 v[220:221], vcc_lo, 1.0, v[214:215], 1.0
	s_delay_alu instid0(VALU_DEP_1) | instskip(NEXT) | instid1(VALU_DEP_1)
	v_mul_f64 v[222:223], v[220:221], v[218:219]
	v_fma_f64 v[216:217], -v[216:217], v[222:223], v[220:221]
	s_delay_alu instid0(VALU_DEP_1) | instskip(NEXT) | instid1(VALU_DEP_1)
	v_div_fmas_f64 v[216:217], v[216:217], v[218:219], v[222:223]
	v_div_fixup_f64 v[234:235], v[216:217], v[214:215], 1.0
	s_delay_alu instid0(VALU_DEP_1)
	v_mul_f64 v[232:233], v[212:213], v[234:235]
	v_xor_b32_e32 v235, 0x80000000, v235
.LBB114_763:
	s_and_not1_saveexec_b32 s2, s2
	s_cbranch_execz .LBB114_765
; %bb.764:
	s_delay_alu instid0(VALU_DEP_1) | instskip(SKIP_1) | instid1(VALU_DEP_2)
	v_div_scale_f64 v[212:213], null, v[232:233], v[232:233], v[234:235]
	v_div_scale_f64 v[218:219], vcc_lo, v[234:235], v[232:233], v[234:235]
	v_rcp_f64_e32 v[214:215], v[212:213]
	s_waitcnt_depctr 0xfff
	v_fma_f64 v[216:217], -v[212:213], v[214:215], 1.0
	s_delay_alu instid0(VALU_DEP_1) | instskip(NEXT) | instid1(VALU_DEP_1)
	v_fma_f64 v[214:215], v[214:215], v[216:217], v[214:215]
	v_fma_f64 v[216:217], -v[212:213], v[214:215], 1.0
	s_delay_alu instid0(VALU_DEP_1) | instskip(NEXT) | instid1(VALU_DEP_1)
	v_fma_f64 v[214:215], v[214:215], v[216:217], v[214:215]
	v_mul_f64 v[216:217], v[218:219], v[214:215]
	s_delay_alu instid0(VALU_DEP_1) | instskip(NEXT) | instid1(VALU_DEP_1)
	v_fma_f64 v[212:213], -v[212:213], v[216:217], v[218:219]
	v_div_fmas_f64 v[212:213], v[212:213], v[214:215], v[216:217]
	s_delay_alu instid0(VALU_DEP_1) | instskip(NEXT) | instid1(VALU_DEP_1)
	v_div_fixup_f64 v[212:213], v[212:213], v[232:233], v[234:235]
	v_fma_f64 v[214:215], v[234:235], v[212:213], v[232:233]
	s_delay_alu instid0(VALU_DEP_1) | instskip(NEXT) | instid1(VALU_DEP_1)
	v_div_scale_f64 v[216:217], null, v[214:215], v[214:215], 1.0
	v_rcp_f64_e32 v[218:219], v[216:217]
	s_waitcnt_depctr 0xfff
	v_fma_f64 v[220:221], -v[216:217], v[218:219], 1.0
	s_delay_alu instid0(VALU_DEP_1) | instskip(NEXT) | instid1(VALU_DEP_1)
	v_fma_f64 v[218:219], v[218:219], v[220:221], v[218:219]
	v_fma_f64 v[220:221], -v[216:217], v[218:219], 1.0
	s_delay_alu instid0(VALU_DEP_1) | instskip(SKIP_1) | instid1(VALU_DEP_1)
	v_fma_f64 v[218:219], v[218:219], v[220:221], v[218:219]
	v_div_scale_f64 v[220:221], vcc_lo, 1.0, v[214:215], 1.0
	v_mul_f64 v[222:223], v[220:221], v[218:219]
	s_delay_alu instid0(VALU_DEP_1) | instskip(NEXT) | instid1(VALU_DEP_1)
	v_fma_f64 v[216:217], -v[216:217], v[222:223], v[220:221]
	v_div_fmas_f64 v[216:217], v[216:217], v[218:219], v[222:223]
	s_delay_alu instid0(VALU_DEP_1) | instskip(NEXT) | instid1(VALU_DEP_1)
	v_div_fixup_f64 v[232:233], v[216:217], v[214:215], 1.0
	v_mul_f64 v[234:235], v[212:213], -v[232:233]
.LBB114_765:
	s_or_b32 exec_lo, exec_lo, s2
.LBB114_766:
	s_delay_alu instid0(SALU_CYCLE_1) | instskip(NEXT) | instid1(SALU_CYCLE_1)
	s_or_b32 exec_lo, exec_lo, s3
	s_mov_b32 s2, exec_lo
	v_cmpx_ne_u32_e64 v248, v240
	s_xor_b32 s2, exec_lo, s2
	s_cbranch_execz .LBB114_772
; %bb.767:
	s_mov_b32 s3, exec_lo
	v_cmpx_eq_u32_e32 36, v248
	s_cbranch_execz .LBB114_771
; %bb.768:
	v_cmp_ne_u32_e32 vcc_lo, 36, v240
	s_xor_b32 s4, s5, -1
	s_delay_alu instid0(SALU_CYCLE_1) | instskip(NEXT) | instid1(SALU_CYCLE_1)
	s_and_b32 s6, s4, vcc_lo
	s_and_saveexec_b32 s4, s6
	s_cbranch_execz .LBB114_770
; %bb.769:
	scratch_load_b64 v[208:209], off, off   ; 8-byte Folded Reload
	v_ashrrev_i32_e32 v241, 31, v240
	s_delay_alu instid0(VALU_DEP_1) | instskip(SKIP_1) | instid1(VALU_DEP_1)
	v_lshlrev_b64 v[212:213], 2, v[240:241]
	s_waitcnt vmcnt(0)
	v_add_co_u32 v212, vcc_lo, v208, v212
	s_delay_alu instid0(VALU_DEP_2)
	v_add_co_ci_u32_e32 v213, vcc_lo, v209, v213, vcc_lo
	s_clause 0x1
	flat_load_b32 v214, v[212:213]
	flat_load_b32 v215, v[208:209] offset:144
	s_waitcnt vmcnt(1) lgkmcnt(1)
	flat_store_b32 v[208:209], v214 offset:144
	s_waitcnt vmcnt(0) lgkmcnt(1)
	flat_store_b32 v[212:213], v215
.LBB114_770:
	s_or_b32 exec_lo, exec_lo, s4
	v_mov_b32_e32 v248, v240
	v_mov_b32_e32 v236, v240
.LBB114_771:
	s_or_b32 exec_lo, exec_lo, s3
.LBB114_772:
	s_and_not1_saveexec_b32 s2, s2
	s_cbranch_execz .LBB114_774
; %bb.773:
	v_mov_b32_e32 v248, 36
	ds_store_2addr_b64 v242, v[80:81], v[82:83] offset0:74 offset1:75
	ds_store_2addr_b64 v242, v[76:77], v[78:79] offset0:76 offset1:77
	;; [unrolled: 1-line block ×21, first 2 shown]
.LBB114_774:
	s_or_b32 exec_lo, exec_lo, s2
	s_delay_alu instid0(SALU_CYCLE_1)
	s_mov_b32 s2, exec_lo
	s_waitcnt lgkmcnt(0)
	s_waitcnt_vscnt null, 0x0
	s_barrier
	buffer_gl0_inv
	v_cmpx_lt_i32_e32 36, v248
	s_cbranch_execz .LBB114_776
; %bb.775:
	v_mul_f64 v[212:213], v[234:235], v[86:87]
	v_mul_f64 v[86:87], v[232:233], v[86:87]
	s_delay_alu instid0(VALU_DEP_2) | instskip(NEXT) | instid1(VALU_DEP_2)
	v_fma_f64 v[240:241], v[232:233], v[84:85], -v[212:213]
	v_fma_f64 v[86:87], v[234:235], v[84:85], v[86:87]
	ds_load_2addr_b64 v[232:235], v242 offset0:74 offset1:75
	s_waitcnt lgkmcnt(0)
	v_mul_f64 v[84:85], v[234:235], v[86:87]
	v_mul_f64 v[212:213], v[232:233], v[86:87]
	s_delay_alu instid0(VALU_DEP_2) | instskip(NEXT) | instid1(VALU_DEP_2)
	v_fma_f64 v[84:85], v[232:233], v[240:241], -v[84:85]
	v_fma_f64 v[212:213], v[234:235], v[240:241], v[212:213]
	ds_load_2addr_b64 v[232:235], v242 offset0:76 offset1:77
	v_add_f64 v[80:81], v[80:81], -v[84:85]
	v_add_f64 v[82:83], v[82:83], -v[212:213]
	s_waitcnt lgkmcnt(0)
	v_mul_f64 v[84:85], v[234:235], v[86:87]
	v_mul_f64 v[212:213], v[232:233], v[86:87]
	s_delay_alu instid0(VALU_DEP_2) | instskip(NEXT) | instid1(VALU_DEP_2)
	v_fma_f64 v[84:85], v[232:233], v[240:241], -v[84:85]
	v_fma_f64 v[212:213], v[234:235], v[240:241], v[212:213]
	ds_load_2addr_b64 v[232:235], v242 offset0:78 offset1:79
	v_add_f64 v[76:77], v[76:77], -v[84:85]
	v_add_f64 v[78:79], v[78:79], -v[212:213]
	;; [unrolled: 9-line block ×20, first 2 shown]
	s_waitcnt lgkmcnt(0)
	v_mul_f64 v[84:85], v[234:235], v[86:87]
	v_mul_f64 v[212:213], v[232:233], v[86:87]
	s_delay_alu instid0(VALU_DEP_2) | instskip(NEXT) | instid1(VALU_DEP_2)
	v_fma_f64 v[84:85], v[232:233], v[240:241], -v[84:85]
	v_fma_f64 v[212:213], v[234:235], v[240:241], v[212:213]
	s_delay_alu instid0(VALU_DEP_2) | instskip(NEXT) | instid1(VALU_DEP_2)
	v_add_f64 v[0:1], v[0:1], -v[84:85]
	v_add_f64 v[2:3], v[2:3], -v[212:213]
	v_dual_mov_b32 v84, v240 :: v_dual_mov_b32 v85, v241
.LBB114_776:
	s_or_b32 exec_lo, exec_lo, s2
	v_lshl_add_u32 v212, v248, 4, v242
	s_barrier
	buffer_gl0_inv
	v_mov_b32_e32 v240, 37
	ds_store_2addr_b64 v212, v[80:81], v[82:83] offset1:1
	s_waitcnt lgkmcnt(0)
	s_barrier
	buffer_gl0_inv
	ds_load_2addr_b64 v[232:235], v242 offset0:74 offset1:75
	s_cmp_lt_i32 s12, 39
	s_cbranch_scc1 .LBB114_779
; %bb.777:
	v_add3_u32 v241, v246, 0, 0x260
	v_mov_b32_e32 v240, 37
	s_mov_b32 s2, 38
	s_set_inst_prefetch_distance 0x1
	.p2align	6
.LBB114_778:                            ; =>This Inner Loop Header: Depth=1
	s_waitcnt lgkmcnt(0)
	v_cmp_gt_f64_e32 vcc_lo, 0, v[232:233]
	v_xor_b32_e32 v212, 0x80000000, v233
	v_xor_b32_e32 v214, 0x80000000, v235
	ds_load_2addr_b64 v[249:252], v241 offset1:1
	v_add_nc_u32_e32 v241, 16, v241
	s_waitcnt lgkmcnt(0)
	v_xor_b32_e32 v216, 0x80000000, v252
	v_cndmask_b32_e32 v213, v233, v212, vcc_lo
	v_cndmask_b32_e32 v212, v232, v232, vcc_lo
	v_cmp_gt_f64_e32 vcc_lo, 0, v[234:235]
	v_cndmask_b32_e32 v215, v235, v214, vcc_lo
	v_cndmask_b32_e32 v214, v234, v234, vcc_lo
	v_cmp_gt_f64_e32 vcc_lo, 0, v[249:250]
	s_delay_alu instid0(VALU_DEP_2) | instskip(SKIP_1) | instid1(VALU_DEP_1)
	v_add_f64 v[212:213], v[212:213], v[214:215]
	v_xor_b32_e32 v214, 0x80000000, v250
	v_dual_cndmask_b32 v215, v250, v214 :: v_dual_mov_b32 v214, v249
	v_cmp_gt_f64_e32 vcc_lo, 0, v[251:252]
	v_dual_cndmask_b32 v217, v252, v216 :: v_dual_mov_b32 v216, v251
	s_delay_alu instid0(VALU_DEP_1) | instskip(NEXT) | instid1(VALU_DEP_1)
	v_add_f64 v[214:215], v[214:215], v[216:217]
	v_cmp_lt_f64_e32 vcc_lo, v[212:213], v[214:215]
	v_dual_cndmask_b32 v233, v233, v250 :: v_dual_cndmask_b32 v232, v232, v249
	v_dual_cndmask_b32 v235, v235, v252 :: v_dual_cndmask_b32 v234, v234, v251
	v_cndmask_b32_e64 v240, v240, s2, vcc_lo
	s_add_i32 s2, s2, 1
	s_delay_alu instid0(SALU_CYCLE_1)
	s_cmp_lg_u32 s12, s2
	s_cbranch_scc1 .LBB114_778
.LBB114_779:
	s_set_inst_prefetch_distance 0x2
	s_waitcnt lgkmcnt(0)
	v_cmp_eq_f64_e32 vcc_lo, 0, v[232:233]
	v_cmp_eq_f64_e64 s2, 0, v[234:235]
	s_delay_alu instid0(VALU_DEP_1) | instskip(NEXT) | instid1(SALU_CYCLE_1)
	s_and_b32 s2, vcc_lo, s2
	s_and_saveexec_b32 s3, s2
	s_delay_alu instid0(SALU_CYCLE_1)
	s_xor_b32 s2, exec_lo, s3
; %bb.780:
	v_cmp_ne_u32_e32 vcc_lo, 0, v245
	v_cndmask_b32_e32 v245, 38, v245, vcc_lo
; %bb.781:
	s_and_not1_saveexec_b32 s3, s2
	s_cbranch_execz .LBB114_787
; %bb.782:
	v_cmp_gt_f64_e32 vcc_lo, 0, v[232:233]
	v_cmp_gt_f64_e64 s2, 0, v[234:235]
	v_xor_b32_e32 v212, 0x80000000, v233
	v_xor_b32_e32 v214, 0x80000000, v235
	s_delay_alu instid0(VALU_DEP_2) | instskip(NEXT) | instid1(VALU_DEP_2)
	v_cndmask_b32_e32 v213, v233, v212, vcc_lo
	v_cndmask_b32_e64 v215, v235, v214, s2
	v_cndmask_b32_e32 v212, v232, v232, vcc_lo
	v_cndmask_b32_e64 v214, v234, v234, s2
	s_mov_b32 s2, exec_lo
	s_delay_alu instid0(VALU_DEP_1)
	v_cmpx_ngt_f64_e32 v[212:213], v[214:215]
	s_xor_b32 s2, exec_lo, s2
	s_cbranch_execz .LBB114_784
; %bb.783:
	v_div_scale_f64 v[212:213], null, v[234:235], v[234:235], v[232:233]
	v_div_scale_f64 v[218:219], vcc_lo, v[232:233], v[234:235], v[232:233]
	s_delay_alu instid0(VALU_DEP_2) | instskip(SKIP_2) | instid1(VALU_DEP_1)
	v_rcp_f64_e32 v[214:215], v[212:213]
	s_waitcnt_depctr 0xfff
	v_fma_f64 v[216:217], -v[212:213], v[214:215], 1.0
	v_fma_f64 v[214:215], v[214:215], v[216:217], v[214:215]
	s_delay_alu instid0(VALU_DEP_1) | instskip(NEXT) | instid1(VALU_DEP_1)
	v_fma_f64 v[216:217], -v[212:213], v[214:215], 1.0
	v_fma_f64 v[214:215], v[214:215], v[216:217], v[214:215]
	s_delay_alu instid0(VALU_DEP_1) | instskip(NEXT) | instid1(VALU_DEP_1)
	v_mul_f64 v[216:217], v[218:219], v[214:215]
	v_fma_f64 v[212:213], -v[212:213], v[216:217], v[218:219]
	s_delay_alu instid0(VALU_DEP_1) | instskip(NEXT) | instid1(VALU_DEP_1)
	v_div_fmas_f64 v[212:213], v[212:213], v[214:215], v[216:217]
	v_div_fixup_f64 v[212:213], v[212:213], v[234:235], v[232:233]
	s_delay_alu instid0(VALU_DEP_1) | instskip(NEXT) | instid1(VALU_DEP_1)
	v_fma_f64 v[214:215], v[232:233], v[212:213], v[234:235]
	v_div_scale_f64 v[216:217], null, v[214:215], v[214:215], 1.0
	s_delay_alu instid0(VALU_DEP_1) | instskip(SKIP_2) | instid1(VALU_DEP_1)
	v_rcp_f64_e32 v[218:219], v[216:217]
	s_waitcnt_depctr 0xfff
	v_fma_f64 v[220:221], -v[216:217], v[218:219], 1.0
	v_fma_f64 v[218:219], v[218:219], v[220:221], v[218:219]
	s_delay_alu instid0(VALU_DEP_1) | instskip(NEXT) | instid1(VALU_DEP_1)
	v_fma_f64 v[220:221], -v[216:217], v[218:219], 1.0
	v_fma_f64 v[218:219], v[218:219], v[220:221], v[218:219]
	v_div_scale_f64 v[220:221], vcc_lo, 1.0, v[214:215], 1.0
	s_delay_alu instid0(VALU_DEP_1) | instskip(NEXT) | instid1(VALU_DEP_1)
	v_mul_f64 v[222:223], v[220:221], v[218:219]
	v_fma_f64 v[216:217], -v[216:217], v[222:223], v[220:221]
	s_delay_alu instid0(VALU_DEP_1) | instskip(NEXT) | instid1(VALU_DEP_1)
	v_div_fmas_f64 v[216:217], v[216:217], v[218:219], v[222:223]
	v_div_fixup_f64 v[234:235], v[216:217], v[214:215], 1.0
	s_delay_alu instid0(VALU_DEP_1)
	v_mul_f64 v[232:233], v[212:213], v[234:235]
	v_xor_b32_e32 v235, 0x80000000, v235
.LBB114_784:
	s_and_not1_saveexec_b32 s2, s2
	s_cbranch_execz .LBB114_786
; %bb.785:
	s_delay_alu instid0(VALU_DEP_1) | instskip(SKIP_1) | instid1(VALU_DEP_2)
	v_div_scale_f64 v[212:213], null, v[232:233], v[232:233], v[234:235]
	v_div_scale_f64 v[218:219], vcc_lo, v[234:235], v[232:233], v[234:235]
	v_rcp_f64_e32 v[214:215], v[212:213]
	s_waitcnt_depctr 0xfff
	v_fma_f64 v[216:217], -v[212:213], v[214:215], 1.0
	s_delay_alu instid0(VALU_DEP_1) | instskip(NEXT) | instid1(VALU_DEP_1)
	v_fma_f64 v[214:215], v[214:215], v[216:217], v[214:215]
	v_fma_f64 v[216:217], -v[212:213], v[214:215], 1.0
	s_delay_alu instid0(VALU_DEP_1) | instskip(NEXT) | instid1(VALU_DEP_1)
	v_fma_f64 v[214:215], v[214:215], v[216:217], v[214:215]
	v_mul_f64 v[216:217], v[218:219], v[214:215]
	s_delay_alu instid0(VALU_DEP_1) | instskip(NEXT) | instid1(VALU_DEP_1)
	v_fma_f64 v[212:213], -v[212:213], v[216:217], v[218:219]
	v_div_fmas_f64 v[212:213], v[212:213], v[214:215], v[216:217]
	s_delay_alu instid0(VALU_DEP_1) | instskip(NEXT) | instid1(VALU_DEP_1)
	v_div_fixup_f64 v[212:213], v[212:213], v[232:233], v[234:235]
	v_fma_f64 v[214:215], v[234:235], v[212:213], v[232:233]
	s_delay_alu instid0(VALU_DEP_1) | instskip(NEXT) | instid1(VALU_DEP_1)
	v_div_scale_f64 v[216:217], null, v[214:215], v[214:215], 1.0
	v_rcp_f64_e32 v[218:219], v[216:217]
	s_waitcnt_depctr 0xfff
	v_fma_f64 v[220:221], -v[216:217], v[218:219], 1.0
	s_delay_alu instid0(VALU_DEP_1) | instskip(NEXT) | instid1(VALU_DEP_1)
	v_fma_f64 v[218:219], v[218:219], v[220:221], v[218:219]
	v_fma_f64 v[220:221], -v[216:217], v[218:219], 1.0
	s_delay_alu instid0(VALU_DEP_1) | instskip(SKIP_1) | instid1(VALU_DEP_1)
	v_fma_f64 v[218:219], v[218:219], v[220:221], v[218:219]
	v_div_scale_f64 v[220:221], vcc_lo, 1.0, v[214:215], 1.0
	v_mul_f64 v[222:223], v[220:221], v[218:219]
	s_delay_alu instid0(VALU_DEP_1) | instskip(NEXT) | instid1(VALU_DEP_1)
	v_fma_f64 v[216:217], -v[216:217], v[222:223], v[220:221]
	v_div_fmas_f64 v[216:217], v[216:217], v[218:219], v[222:223]
	s_delay_alu instid0(VALU_DEP_1) | instskip(NEXT) | instid1(VALU_DEP_1)
	v_div_fixup_f64 v[232:233], v[216:217], v[214:215], 1.0
	v_mul_f64 v[234:235], v[212:213], -v[232:233]
.LBB114_786:
	s_or_b32 exec_lo, exec_lo, s2
.LBB114_787:
	s_delay_alu instid0(SALU_CYCLE_1) | instskip(NEXT) | instid1(SALU_CYCLE_1)
	s_or_b32 exec_lo, exec_lo, s3
	s_mov_b32 s2, exec_lo
	v_cmpx_ne_u32_e64 v248, v240
	s_xor_b32 s2, exec_lo, s2
	s_cbranch_execz .LBB114_793
; %bb.788:
	s_mov_b32 s3, exec_lo
	v_cmpx_eq_u32_e32 37, v248
	s_cbranch_execz .LBB114_792
; %bb.789:
	v_cmp_ne_u32_e32 vcc_lo, 37, v240
	s_xor_b32 s4, s5, -1
	s_delay_alu instid0(SALU_CYCLE_1) | instskip(NEXT) | instid1(SALU_CYCLE_1)
	s_and_b32 s6, s4, vcc_lo
	s_and_saveexec_b32 s4, s6
	s_cbranch_execz .LBB114_791
; %bb.790:
	scratch_load_b64 v[208:209], off, off   ; 8-byte Folded Reload
	v_ashrrev_i32_e32 v241, 31, v240
	s_delay_alu instid0(VALU_DEP_1) | instskip(SKIP_1) | instid1(VALU_DEP_1)
	v_lshlrev_b64 v[212:213], 2, v[240:241]
	s_waitcnt vmcnt(0)
	v_add_co_u32 v212, vcc_lo, v208, v212
	s_delay_alu instid0(VALU_DEP_2)
	v_add_co_ci_u32_e32 v213, vcc_lo, v209, v213, vcc_lo
	s_clause 0x1
	flat_load_b32 v214, v[212:213]
	flat_load_b32 v215, v[208:209] offset:148
	s_waitcnt vmcnt(1) lgkmcnt(1)
	flat_store_b32 v[208:209], v214 offset:148
	s_waitcnt vmcnt(0) lgkmcnt(1)
	flat_store_b32 v[212:213], v215
.LBB114_791:
	s_or_b32 exec_lo, exec_lo, s4
	v_mov_b32_e32 v248, v240
	v_mov_b32_e32 v236, v240
.LBB114_792:
	s_or_b32 exec_lo, exec_lo, s3
.LBB114_793:
	s_and_not1_saveexec_b32 s2, s2
	s_cbranch_execz .LBB114_795
; %bb.794:
	v_mov_b32_e32 v248, 37
	ds_store_2addr_b64 v242, v[76:77], v[78:79] offset0:76 offset1:77
	ds_store_2addr_b64 v242, v[72:73], v[74:75] offset0:78 offset1:79
	;; [unrolled: 1-line block ×20, first 2 shown]
.LBB114_795:
	s_or_b32 exec_lo, exec_lo, s2
	s_delay_alu instid0(SALU_CYCLE_1)
	s_mov_b32 s2, exec_lo
	s_waitcnt lgkmcnt(0)
	s_waitcnt_vscnt null, 0x0
	s_barrier
	buffer_gl0_inv
	v_cmpx_lt_i32_e32 37, v248
	s_cbranch_execz .LBB114_797
; %bb.796:
	v_mul_f64 v[212:213], v[234:235], v[82:83]
	v_mul_f64 v[82:83], v[232:233], v[82:83]
	s_delay_alu instid0(VALU_DEP_2) | instskip(NEXT) | instid1(VALU_DEP_2)
	v_fma_f64 v[240:241], v[232:233], v[80:81], -v[212:213]
	v_fma_f64 v[82:83], v[234:235], v[80:81], v[82:83]
	ds_load_2addr_b64 v[232:235], v242 offset0:76 offset1:77
	s_waitcnt lgkmcnt(0)
	v_mul_f64 v[80:81], v[234:235], v[82:83]
	v_mul_f64 v[212:213], v[232:233], v[82:83]
	s_delay_alu instid0(VALU_DEP_2) | instskip(NEXT) | instid1(VALU_DEP_2)
	v_fma_f64 v[80:81], v[232:233], v[240:241], -v[80:81]
	v_fma_f64 v[212:213], v[234:235], v[240:241], v[212:213]
	ds_load_2addr_b64 v[232:235], v242 offset0:78 offset1:79
	v_add_f64 v[76:77], v[76:77], -v[80:81]
	v_add_f64 v[78:79], v[78:79], -v[212:213]
	s_waitcnt lgkmcnt(0)
	v_mul_f64 v[80:81], v[234:235], v[82:83]
	v_mul_f64 v[212:213], v[232:233], v[82:83]
	s_delay_alu instid0(VALU_DEP_2) | instskip(NEXT) | instid1(VALU_DEP_2)
	v_fma_f64 v[80:81], v[232:233], v[240:241], -v[80:81]
	v_fma_f64 v[212:213], v[234:235], v[240:241], v[212:213]
	ds_load_2addr_b64 v[232:235], v242 offset0:80 offset1:81
	v_add_f64 v[72:73], v[72:73], -v[80:81]
	v_add_f64 v[74:75], v[74:75], -v[212:213]
	;; [unrolled: 9-line block ×19, first 2 shown]
	s_waitcnt lgkmcnt(0)
	v_mul_f64 v[80:81], v[234:235], v[82:83]
	v_mul_f64 v[212:213], v[232:233], v[82:83]
	s_delay_alu instid0(VALU_DEP_2) | instskip(NEXT) | instid1(VALU_DEP_2)
	v_fma_f64 v[80:81], v[232:233], v[240:241], -v[80:81]
	v_fma_f64 v[212:213], v[234:235], v[240:241], v[212:213]
	s_delay_alu instid0(VALU_DEP_2) | instskip(NEXT) | instid1(VALU_DEP_2)
	v_add_f64 v[0:1], v[0:1], -v[80:81]
	v_add_f64 v[2:3], v[2:3], -v[212:213]
	v_dual_mov_b32 v80, v240 :: v_dual_mov_b32 v81, v241
.LBB114_797:
	s_or_b32 exec_lo, exec_lo, s2
	v_lshl_add_u32 v212, v248, 4, v242
	s_barrier
	buffer_gl0_inv
	v_mov_b32_e32 v240, 38
	ds_store_2addr_b64 v212, v[76:77], v[78:79] offset1:1
	s_waitcnt lgkmcnt(0)
	s_barrier
	buffer_gl0_inv
	ds_load_2addr_b64 v[232:235], v242 offset0:76 offset1:77
	s_cmp_lt_i32 s12, 40
	s_cbranch_scc1 .LBB114_800
; %bb.798:
	v_add3_u32 v241, v246, 0, 0x270
	v_mov_b32_e32 v240, 38
	s_mov_b32 s2, 39
	s_set_inst_prefetch_distance 0x1
	.p2align	6
.LBB114_799:                            ; =>This Inner Loop Header: Depth=1
	s_waitcnt lgkmcnt(0)
	v_cmp_gt_f64_e32 vcc_lo, 0, v[232:233]
	v_xor_b32_e32 v212, 0x80000000, v233
	v_xor_b32_e32 v214, 0x80000000, v235
	ds_load_2addr_b64 v[249:252], v241 offset1:1
	v_add_nc_u32_e32 v241, 16, v241
	s_waitcnt lgkmcnt(0)
	v_xor_b32_e32 v216, 0x80000000, v252
	v_cndmask_b32_e32 v213, v233, v212, vcc_lo
	v_cndmask_b32_e32 v212, v232, v232, vcc_lo
	v_cmp_gt_f64_e32 vcc_lo, 0, v[234:235]
	v_cndmask_b32_e32 v215, v235, v214, vcc_lo
	v_cndmask_b32_e32 v214, v234, v234, vcc_lo
	v_cmp_gt_f64_e32 vcc_lo, 0, v[249:250]
	s_delay_alu instid0(VALU_DEP_2) | instskip(SKIP_1) | instid1(VALU_DEP_1)
	v_add_f64 v[212:213], v[212:213], v[214:215]
	v_xor_b32_e32 v214, 0x80000000, v250
	v_dual_cndmask_b32 v215, v250, v214 :: v_dual_mov_b32 v214, v249
	v_cmp_gt_f64_e32 vcc_lo, 0, v[251:252]
	v_dual_cndmask_b32 v217, v252, v216 :: v_dual_mov_b32 v216, v251
	s_delay_alu instid0(VALU_DEP_1) | instskip(NEXT) | instid1(VALU_DEP_1)
	v_add_f64 v[214:215], v[214:215], v[216:217]
	v_cmp_lt_f64_e32 vcc_lo, v[212:213], v[214:215]
	v_dual_cndmask_b32 v233, v233, v250 :: v_dual_cndmask_b32 v232, v232, v249
	v_dual_cndmask_b32 v235, v235, v252 :: v_dual_cndmask_b32 v234, v234, v251
	v_cndmask_b32_e64 v240, v240, s2, vcc_lo
	s_add_i32 s2, s2, 1
	s_delay_alu instid0(SALU_CYCLE_1)
	s_cmp_lg_u32 s12, s2
	s_cbranch_scc1 .LBB114_799
.LBB114_800:
	s_set_inst_prefetch_distance 0x2
	s_waitcnt lgkmcnt(0)
	v_cmp_eq_f64_e32 vcc_lo, 0, v[232:233]
	v_cmp_eq_f64_e64 s2, 0, v[234:235]
	s_delay_alu instid0(VALU_DEP_1) | instskip(NEXT) | instid1(SALU_CYCLE_1)
	s_and_b32 s2, vcc_lo, s2
	s_and_saveexec_b32 s3, s2
	s_delay_alu instid0(SALU_CYCLE_1)
	s_xor_b32 s2, exec_lo, s3
; %bb.801:
	v_cmp_ne_u32_e32 vcc_lo, 0, v245
	v_cndmask_b32_e32 v245, 39, v245, vcc_lo
; %bb.802:
	s_and_not1_saveexec_b32 s3, s2
	s_cbranch_execz .LBB114_808
; %bb.803:
	v_cmp_gt_f64_e32 vcc_lo, 0, v[232:233]
	v_cmp_gt_f64_e64 s2, 0, v[234:235]
	v_xor_b32_e32 v212, 0x80000000, v233
	v_xor_b32_e32 v214, 0x80000000, v235
	s_delay_alu instid0(VALU_DEP_2) | instskip(NEXT) | instid1(VALU_DEP_2)
	v_cndmask_b32_e32 v213, v233, v212, vcc_lo
	v_cndmask_b32_e64 v215, v235, v214, s2
	v_cndmask_b32_e32 v212, v232, v232, vcc_lo
	v_cndmask_b32_e64 v214, v234, v234, s2
	s_mov_b32 s2, exec_lo
	s_delay_alu instid0(VALU_DEP_1)
	v_cmpx_ngt_f64_e32 v[212:213], v[214:215]
	s_xor_b32 s2, exec_lo, s2
	s_cbranch_execz .LBB114_805
; %bb.804:
	v_div_scale_f64 v[212:213], null, v[234:235], v[234:235], v[232:233]
	v_div_scale_f64 v[218:219], vcc_lo, v[232:233], v[234:235], v[232:233]
	s_delay_alu instid0(VALU_DEP_2) | instskip(SKIP_2) | instid1(VALU_DEP_1)
	v_rcp_f64_e32 v[214:215], v[212:213]
	s_waitcnt_depctr 0xfff
	v_fma_f64 v[216:217], -v[212:213], v[214:215], 1.0
	v_fma_f64 v[214:215], v[214:215], v[216:217], v[214:215]
	s_delay_alu instid0(VALU_DEP_1) | instskip(NEXT) | instid1(VALU_DEP_1)
	v_fma_f64 v[216:217], -v[212:213], v[214:215], 1.0
	v_fma_f64 v[214:215], v[214:215], v[216:217], v[214:215]
	s_delay_alu instid0(VALU_DEP_1) | instskip(NEXT) | instid1(VALU_DEP_1)
	v_mul_f64 v[216:217], v[218:219], v[214:215]
	v_fma_f64 v[212:213], -v[212:213], v[216:217], v[218:219]
	s_delay_alu instid0(VALU_DEP_1) | instskip(NEXT) | instid1(VALU_DEP_1)
	v_div_fmas_f64 v[212:213], v[212:213], v[214:215], v[216:217]
	v_div_fixup_f64 v[212:213], v[212:213], v[234:235], v[232:233]
	s_delay_alu instid0(VALU_DEP_1) | instskip(NEXT) | instid1(VALU_DEP_1)
	v_fma_f64 v[214:215], v[232:233], v[212:213], v[234:235]
	v_div_scale_f64 v[216:217], null, v[214:215], v[214:215], 1.0
	s_delay_alu instid0(VALU_DEP_1) | instskip(SKIP_2) | instid1(VALU_DEP_1)
	v_rcp_f64_e32 v[218:219], v[216:217]
	s_waitcnt_depctr 0xfff
	v_fma_f64 v[220:221], -v[216:217], v[218:219], 1.0
	v_fma_f64 v[218:219], v[218:219], v[220:221], v[218:219]
	s_delay_alu instid0(VALU_DEP_1) | instskip(NEXT) | instid1(VALU_DEP_1)
	v_fma_f64 v[220:221], -v[216:217], v[218:219], 1.0
	v_fma_f64 v[218:219], v[218:219], v[220:221], v[218:219]
	v_div_scale_f64 v[220:221], vcc_lo, 1.0, v[214:215], 1.0
	s_delay_alu instid0(VALU_DEP_1) | instskip(NEXT) | instid1(VALU_DEP_1)
	v_mul_f64 v[222:223], v[220:221], v[218:219]
	v_fma_f64 v[216:217], -v[216:217], v[222:223], v[220:221]
	s_delay_alu instid0(VALU_DEP_1) | instskip(NEXT) | instid1(VALU_DEP_1)
	v_div_fmas_f64 v[216:217], v[216:217], v[218:219], v[222:223]
	v_div_fixup_f64 v[234:235], v[216:217], v[214:215], 1.0
	s_delay_alu instid0(VALU_DEP_1)
	v_mul_f64 v[232:233], v[212:213], v[234:235]
	v_xor_b32_e32 v235, 0x80000000, v235
.LBB114_805:
	s_and_not1_saveexec_b32 s2, s2
	s_cbranch_execz .LBB114_807
; %bb.806:
	s_delay_alu instid0(VALU_DEP_1) | instskip(SKIP_1) | instid1(VALU_DEP_2)
	v_div_scale_f64 v[212:213], null, v[232:233], v[232:233], v[234:235]
	v_div_scale_f64 v[218:219], vcc_lo, v[234:235], v[232:233], v[234:235]
	v_rcp_f64_e32 v[214:215], v[212:213]
	s_waitcnt_depctr 0xfff
	v_fma_f64 v[216:217], -v[212:213], v[214:215], 1.0
	s_delay_alu instid0(VALU_DEP_1) | instskip(NEXT) | instid1(VALU_DEP_1)
	v_fma_f64 v[214:215], v[214:215], v[216:217], v[214:215]
	v_fma_f64 v[216:217], -v[212:213], v[214:215], 1.0
	s_delay_alu instid0(VALU_DEP_1) | instskip(NEXT) | instid1(VALU_DEP_1)
	v_fma_f64 v[214:215], v[214:215], v[216:217], v[214:215]
	v_mul_f64 v[216:217], v[218:219], v[214:215]
	s_delay_alu instid0(VALU_DEP_1) | instskip(NEXT) | instid1(VALU_DEP_1)
	v_fma_f64 v[212:213], -v[212:213], v[216:217], v[218:219]
	v_div_fmas_f64 v[212:213], v[212:213], v[214:215], v[216:217]
	s_delay_alu instid0(VALU_DEP_1) | instskip(NEXT) | instid1(VALU_DEP_1)
	v_div_fixup_f64 v[212:213], v[212:213], v[232:233], v[234:235]
	v_fma_f64 v[214:215], v[234:235], v[212:213], v[232:233]
	s_delay_alu instid0(VALU_DEP_1) | instskip(NEXT) | instid1(VALU_DEP_1)
	v_div_scale_f64 v[216:217], null, v[214:215], v[214:215], 1.0
	v_rcp_f64_e32 v[218:219], v[216:217]
	s_waitcnt_depctr 0xfff
	v_fma_f64 v[220:221], -v[216:217], v[218:219], 1.0
	s_delay_alu instid0(VALU_DEP_1) | instskip(NEXT) | instid1(VALU_DEP_1)
	v_fma_f64 v[218:219], v[218:219], v[220:221], v[218:219]
	v_fma_f64 v[220:221], -v[216:217], v[218:219], 1.0
	s_delay_alu instid0(VALU_DEP_1) | instskip(SKIP_1) | instid1(VALU_DEP_1)
	v_fma_f64 v[218:219], v[218:219], v[220:221], v[218:219]
	v_div_scale_f64 v[220:221], vcc_lo, 1.0, v[214:215], 1.0
	v_mul_f64 v[222:223], v[220:221], v[218:219]
	s_delay_alu instid0(VALU_DEP_1) | instskip(NEXT) | instid1(VALU_DEP_1)
	v_fma_f64 v[216:217], -v[216:217], v[222:223], v[220:221]
	v_div_fmas_f64 v[216:217], v[216:217], v[218:219], v[222:223]
	s_delay_alu instid0(VALU_DEP_1) | instskip(NEXT) | instid1(VALU_DEP_1)
	v_div_fixup_f64 v[232:233], v[216:217], v[214:215], 1.0
	v_mul_f64 v[234:235], v[212:213], -v[232:233]
.LBB114_807:
	s_or_b32 exec_lo, exec_lo, s2
.LBB114_808:
	s_delay_alu instid0(SALU_CYCLE_1) | instskip(NEXT) | instid1(SALU_CYCLE_1)
	s_or_b32 exec_lo, exec_lo, s3
	s_mov_b32 s2, exec_lo
	v_cmpx_ne_u32_e64 v248, v240
	s_xor_b32 s2, exec_lo, s2
	s_cbranch_execz .LBB114_814
; %bb.809:
	s_mov_b32 s3, exec_lo
	v_cmpx_eq_u32_e32 38, v248
	s_cbranch_execz .LBB114_813
; %bb.810:
	v_cmp_ne_u32_e32 vcc_lo, 38, v240
	s_xor_b32 s4, s5, -1
	s_delay_alu instid0(SALU_CYCLE_1) | instskip(NEXT) | instid1(SALU_CYCLE_1)
	s_and_b32 s6, s4, vcc_lo
	s_and_saveexec_b32 s4, s6
	s_cbranch_execz .LBB114_812
; %bb.811:
	scratch_load_b64 v[208:209], off, off   ; 8-byte Folded Reload
	v_ashrrev_i32_e32 v241, 31, v240
	s_delay_alu instid0(VALU_DEP_1) | instskip(SKIP_1) | instid1(VALU_DEP_1)
	v_lshlrev_b64 v[212:213], 2, v[240:241]
	s_waitcnt vmcnt(0)
	v_add_co_u32 v212, vcc_lo, v208, v212
	s_delay_alu instid0(VALU_DEP_2)
	v_add_co_ci_u32_e32 v213, vcc_lo, v209, v213, vcc_lo
	s_clause 0x1
	flat_load_b32 v214, v[212:213]
	flat_load_b32 v215, v[208:209] offset:152
	s_waitcnt vmcnt(1) lgkmcnt(1)
	flat_store_b32 v[208:209], v214 offset:152
	s_waitcnt vmcnt(0) lgkmcnt(1)
	flat_store_b32 v[212:213], v215
.LBB114_812:
	s_or_b32 exec_lo, exec_lo, s4
	v_mov_b32_e32 v248, v240
	v_mov_b32_e32 v236, v240
.LBB114_813:
	s_or_b32 exec_lo, exec_lo, s3
.LBB114_814:
	s_and_not1_saveexec_b32 s2, s2
	s_cbranch_execz .LBB114_816
; %bb.815:
	v_mov_b32_e32 v248, 38
	ds_store_2addr_b64 v242, v[72:73], v[74:75] offset0:78 offset1:79
	ds_store_2addr_b64 v242, v[68:69], v[70:71] offset0:80 offset1:81
	ds_store_2addr_b64 v242, v[64:65], v[66:67] offset0:82 offset1:83
	ds_store_2addr_b64 v242, v[60:61], v[62:63] offset0:84 offset1:85
	ds_store_2addr_b64 v242, v[56:57], v[58:59] offset0:86 offset1:87
	ds_store_2addr_b64 v242, v[52:53], v[54:55] offset0:88 offset1:89
	ds_store_2addr_b64 v242, v[48:49], v[50:51] offset0:90 offset1:91
	ds_store_2addr_b64 v242, v[44:45], v[46:47] offset0:92 offset1:93
	ds_store_2addr_b64 v242, v[40:41], v[42:43] offset0:94 offset1:95
	ds_store_2addr_b64 v242, v[36:37], v[38:39] offset0:96 offset1:97
	ds_store_2addr_b64 v242, v[32:33], v[34:35] offset0:98 offset1:99
	ds_store_2addr_b64 v242, v[28:29], v[30:31] offset0:100 offset1:101
	ds_store_2addr_b64 v242, v[24:25], v[26:27] offset0:102 offset1:103
	ds_store_2addr_b64 v242, v[20:21], v[22:23] offset0:104 offset1:105
	ds_store_2addr_b64 v242, v[16:17], v[18:19] offset0:106 offset1:107
	ds_store_2addr_b64 v242, v[12:13], v[14:15] offset0:108 offset1:109
	ds_store_2addr_b64 v242, v[8:9], v[10:11] offset0:110 offset1:111
	ds_store_2addr_b64 v242, v[224:225], v[226:227] offset0:112 offset1:113
	ds_store_2addr_b64 v242, v[0:1], v[2:3] offset0:114 offset1:115
.LBB114_816:
	s_or_b32 exec_lo, exec_lo, s2
	s_delay_alu instid0(SALU_CYCLE_1)
	s_mov_b32 s2, exec_lo
	s_waitcnt lgkmcnt(0)
	s_waitcnt_vscnt null, 0x0
	s_barrier
	buffer_gl0_inv
	v_cmpx_lt_i32_e32 38, v248
	s_cbranch_execz .LBB114_818
; %bb.817:
	v_mul_f64 v[212:213], v[234:235], v[78:79]
	v_mul_f64 v[78:79], v[232:233], v[78:79]
	s_delay_alu instid0(VALU_DEP_2) | instskip(NEXT) | instid1(VALU_DEP_2)
	v_fma_f64 v[240:241], v[232:233], v[76:77], -v[212:213]
	v_fma_f64 v[78:79], v[234:235], v[76:77], v[78:79]
	ds_load_2addr_b64 v[232:235], v242 offset0:78 offset1:79
	s_waitcnt lgkmcnt(0)
	v_mul_f64 v[76:77], v[234:235], v[78:79]
	v_mul_f64 v[212:213], v[232:233], v[78:79]
	s_delay_alu instid0(VALU_DEP_2) | instskip(NEXT) | instid1(VALU_DEP_2)
	v_fma_f64 v[76:77], v[232:233], v[240:241], -v[76:77]
	v_fma_f64 v[212:213], v[234:235], v[240:241], v[212:213]
	ds_load_2addr_b64 v[232:235], v242 offset0:80 offset1:81
	v_add_f64 v[72:73], v[72:73], -v[76:77]
	v_add_f64 v[74:75], v[74:75], -v[212:213]
	s_waitcnt lgkmcnt(0)
	v_mul_f64 v[76:77], v[234:235], v[78:79]
	v_mul_f64 v[212:213], v[232:233], v[78:79]
	s_delay_alu instid0(VALU_DEP_2) | instskip(NEXT) | instid1(VALU_DEP_2)
	v_fma_f64 v[76:77], v[232:233], v[240:241], -v[76:77]
	v_fma_f64 v[212:213], v[234:235], v[240:241], v[212:213]
	ds_load_2addr_b64 v[232:235], v242 offset0:82 offset1:83
	v_add_f64 v[68:69], v[68:69], -v[76:77]
	v_add_f64 v[70:71], v[70:71], -v[212:213]
	;; [unrolled: 9-line block ×18, first 2 shown]
	s_waitcnt lgkmcnt(0)
	v_mul_f64 v[76:77], v[234:235], v[78:79]
	v_mul_f64 v[212:213], v[232:233], v[78:79]
	s_delay_alu instid0(VALU_DEP_2) | instskip(NEXT) | instid1(VALU_DEP_2)
	v_fma_f64 v[76:77], v[232:233], v[240:241], -v[76:77]
	v_fma_f64 v[212:213], v[234:235], v[240:241], v[212:213]
	s_delay_alu instid0(VALU_DEP_2) | instskip(NEXT) | instid1(VALU_DEP_2)
	v_add_f64 v[0:1], v[0:1], -v[76:77]
	v_add_f64 v[2:3], v[2:3], -v[212:213]
	v_dual_mov_b32 v76, v240 :: v_dual_mov_b32 v77, v241
.LBB114_818:
	s_or_b32 exec_lo, exec_lo, s2
	v_lshl_add_u32 v212, v248, 4, v242
	s_barrier
	buffer_gl0_inv
	v_mov_b32_e32 v240, 39
	ds_store_2addr_b64 v212, v[72:73], v[74:75] offset1:1
	s_waitcnt lgkmcnt(0)
	s_barrier
	buffer_gl0_inv
	ds_load_2addr_b64 v[232:235], v242 offset0:78 offset1:79
	s_cmp_lt_i32 s12, 41
	s_cbranch_scc1 .LBB114_821
; %bb.819:
	v_add3_u32 v241, v246, 0, 0x280
	v_mov_b32_e32 v240, 39
	s_mov_b32 s2, 40
	s_set_inst_prefetch_distance 0x1
	.p2align	6
.LBB114_820:                            ; =>This Inner Loop Header: Depth=1
	s_waitcnt lgkmcnt(0)
	v_cmp_gt_f64_e32 vcc_lo, 0, v[232:233]
	v_xor_b32_e32 v212, 0x80000000, v233
	v_xor_b32_e32 v214, 0x80000000, v235
	ds_load_2addr_b64 v[249:252], v241 offset1:1
	v_add_nc_u32_e32 v241, 16, v241
	s_waitcnt lgkmcnt(0)
	v_xor_b32_e32 v216, 0x80000000, v252
	v_cndmask_b32_e32 v213, v233, v212, vcc_lo
	v_cndmask_b32_e32 v212, v232, v232, vcc_lo
	v_cmp_gt_f64_e32 vcc_lo, 0, v[234:235]
	v_cndmask_b32_e32 v215, v235, v214, vcc_lo
	v_cndmask_b32_e32 v214, v234, v234, vcc_lo
	v_cmp_gt_f64_e32 vcc_lo, 0, v[249:250]
	s_delay_alu instid0(VALU_DEP_2) | instskip(SKIP_1) | instid1(VALU_DEP_1)
	v_add_f64 v[212:213], v[212:213], v[214:215]
	v_xor_b32_e32 v214, 0x80000000, v250
	v_dual_cndmask_b32 v215, v250, v214 :: v_dual_mov_b32 v214, v249
	v_cmp_gt_f64_e32 vcc_lo, 0, v[251:252]
	v_dual_cndmask_b32 v217, v252, v216 :: v_dual_mov_b32 v216, v251
	s_delay_alu instid0(VALU_DEP_1) | instskip(NEXT) | instid1(VALU_DEP_1)
	v_add_f64 v[214:215], v[214:215], v[216:217]
	v_cmp_lt_f64_e32 vcc_lo, v[212:213], v[214:215]
	v_dual_cndmask_b32 v233, v233, v250 :: v_dual_cndmask_b32 v232, v232, v249
	v_dual_cndmask_b32 v235, v235, v252 :: v_dual_cndmask_b32 v234, v234, v251
	v_cndmask_b32_e64 v240, v240, s2, vcc_lo
	s_add_i32 s2, s2, 1
	s_delay_alu instid0(SALU_CYCLE_1)
	s_cmp_lg_u32 s12, s2
	s_cbranch_scc1 .LBB114_820
.LBB114_821:
	s_set_inst_prefetch_distance 0x2
	s_waitcnt lgkmcnt(0)
	v_cmp_eq_f64_e32 vcc_lo, 0, v[232:233]
	v_cmp_eq_f64_e64 s2, 0, v[234:235]
	s_delay_alu instid0(VALU_DEP_1) | instskip(NEXT) | instid1(SALU_CYCLE_1)
	s_and_b32 s2, vcc_lo, s2
	s_and_saveexec_b32 s3, s2
	s_delay_alu instid0(SALU_CYCLE_1)
	s_xor_b32 s2, exec_lo, s3
; %bb.822:
	v_cmp_ne_u32_e32 vcc_lo, 0, v245
	v_cndmask_b32_e32 v245, 40, v245, vcc_lo
; %bb.823:
	s_and_not1_saveexec_b32 s3, s2
	s_cbranch_execz .LBB114_829
; %bb.824:
	v_cmp_gt_f64_e32 vcc_lo, 0, v[232:233]
	v_cmp_gt_f64_e64 s2, 0, v[234:235]
	v_xor_b32_e32 v212, 0x80000000, v233
	v_xor_b32_e32 v214, 0x80000000, v235
	s_delay_alu instid0(VALU_DEP_2) | instskip(NEXT) | instid1(VALU_DEP_2)
	v_cndmask_b32_e32 v213, v233, v212, vcc_lo
	v_cndmask_b32_e64 v215, v235, v214, s2
	v_cndmask_b32_e32 v212, v232, v232, vcc_lo
	v_cndmask_b32_e64 v214, v234, v234, s2
	s_mov_b32 s2, exec_lo
	s_delay_alu instid0(VALU_DEP_1)
	v_cmpx_ngt_f64_e32 v[212:213], v[214:215]
	s_xor_b32 s2, exec_lo, s2
	s_cbranch_execz .LBB114_826
; %bb.825:
	v_div_scale_f64 v[212:213], null, v[234:235], v[234:235], v[232:233]
	v_div_scale_f64 v[218:219], vcc_lo, v[232:233], v[234:235], v[232:233]
	s_delay_alu instid0(VALU_DEP_2) | instskip(SKIP_2) | instid1(VALU_DEP_1)
	v_rcp_f64_e32 v[214:215], v[212:213]
	s_waitcnt_depctr 0xfff
	v_fma_f64 v[216:217], -v[212:213], v[214:215], 1.0
	v_fma_f64 v[214:215], v[214:215], v[216:217], v[214:215]
	s_delay_alu instid0(VALU_DEP_1) | instskip(NEXT) | instid1(VALU_DEP_1)
	v_fma_f64 v[216:217], -v[212:213], v[214:215], 1.0
	v_fma_f64 v[214:215], v[214:215], v[216:217], v[214:215]
	s_delay_alu instid0(VALU_DEP_1) | instskip(NEXT) | instid1(VALU_DEP_1)
	v_mul_f64 v[216:217], v[218:219], v[214:215]
	v_fma_f64 v[212:213], -v[212:213], v[216:217], v[218:219]
	s_delay_alu instid0(VALU_DEP_1) | instskip(NEXT) | instid1(VALU_DEP_1)
	v_div_fmas_f64 v[212:213], v[212:213], v[214:215], v[216:217]
	v_div_fixup_f64 v[212:213], v[212:213], v[234:235], v[232:233]
	s_delay_alu instid0(VALU_DEP_1) | instskip(NEXT) | instid1(VALU_DEP_1)
	v_fma_f64 v[214:215], v[232:233], v[212:213], v[234:235]
	v_div_scale_f64 v[216:217], null, v[214:215], v[214:215], 1.0
	s_delay_alu instid0(VALU_DEP_1) | instskip(SKIP_2) | instid1(VALU_DEP_1)
	v_rcp_f64_e32 v[218:219], v[216:217]
	s_waitcnt_depctr 0xfff
	v_fma_f64 v[220:221], -v[216:217], v[218:219], 1.0
	v_fma_f64 v[218:219], v[218:219], v[220:221], v[218:219]
	s_delay_alu instid0(VALU_DEP_1) | instskip(NEXT) | instid1(VALU_DEP_1)
	v_fma_f64 v[220:221], -v[216:217], v[218:219], 1.0
	v_fma_f64 v[218:219], v[218:219], v[220:221], v[218:219]
	v_div_scale_f64 v[220:221], vcc_lo, 1.0, v[214:215], 1.0
	s_delay_alu instid0(VALU_DEP_1) | instskip(NEXT) | instid1(VALU_DEP_1)
	v_mul_f64 v[222:223], v[220:221], v[218:219]
	v_fma_f64 v[216:217], -v[216:217], v[222:223], v[220:221]
	s_delay_alu instid0(VALU_DEP_1) | instskip(NEXT) | instid1(VALU_DEP_1)
	v_div_fmas_f64 v[216:217], v[216:217], v[218:219], v[222:223]
	v_div_fixup_f64 v[234:235], v[216:217], v[214:215], 1.0
	s_delay_alu instid0(VALU_DEP_1)
	v_mul_f64 v[232:233], v[212:213], v[234:235]
	v_xor_b32_e32 v235, 0x80000000, v235
.LBB114_826:
	s_and_not1_saveexec_b32 s2, s2
	s_cbranch_execz .LBB114_828
; %bb.827:
	s_delay_alu instid0(VALU_DEP_1) | instskip(SKIP_1) | instid1(VALU_DEP_2)
	v_div_scale_f64 v[212:213], null, v[232:233], v[232:233], v[234:235]
	v_div_scale_f64 v[218:219], vcc_lo, v[234:235], v[232:233], v[234:235]
	v_rcp_f64_e32 v[214:215], v[212:213]
	s_waitcnt_depctr 0xfff
	v_fma_f64 v[216:217], -v[212:213], v[214:215], 1.0
	s_delay_alu instid0(VALU_DEP_1) | instskip(NEXT) | instid1(VALU_DEP_1)
	v_fma_f64 v[214:215], v[214:215], v[216:217], v[214:215]
	v_fma_f64 v[216:217], -v[212:213], v[214:215], 1.0
	s_delay_alu instid0(VALU_DEP_1) | instskip(NEXT) | instid1(VALU_DEP_1)
	v_fma_f64 v[214:215], v[214:215], v[216:217], v[214:215]
	v_mul_f64 v[216:217], v[218:219], v[214:215]
	s_delay_alu instid0(VALU_DEP_1) | instskip(NEXT) | instid1(VALU_DEP_1)
	v_fma_f64 v[212:213], -v[212:213], v[216:217], v[218:219]
	v_div_fmas_f64 v[212:213], v[212:213], v[214:215], v[216:217]
	s_delay_alu instid0(VALU_DEP_1) | instskip(NEXT) | instid1(VALU_DEP_1)
	v_div_fixup_f64 v[212:213], v[212:213], v[232:233], v[234:235]
	v_fma_f64 v[214:215], v[234:235], v[212:213], v[232:233]
	s_delay_alu instid0(VALU_DEP_1) | instskip(NEXT) | instid1(VALU_DEP_1)
	v_div_scale_f64 v[216:217], null, v[214:215], v[214:215], 1.0
	v_rcp_f64_e32 v[218:219], v[216:217]
	s_waitcnt_depctr 0xfff
	v_fma_f64 v[220:221], -v[216:217], v[218:219], 1.0
	s_delay_alu instid0(VALU_DEP_1) | instskip(NEXT) | instid1(VALU_DEP_1)
	v_fma_f64 v[218:219], v[218:219], v[220:221], v[218:219]
	v_fma_f64 v[220:221], -v[216:217], v[218:219], 1.0
	s_delay_alu instid0(VALU_DEP_1) | instskip(SKIP_1) | instid1(VALU_DEP_1)
	v_fma_f64 v[218:219], v[218:219], v[220:221], v[218:219]
	v_div_scale_f64 v[220:221], vcc_lo, 1.0, v[214:215], 1.0
	v_mul_f64 v[222:223], v[220:221], v[218:219]
	s_delay_alu instid0(VALU_DEP_1) | instskip(NEXT) | instid1(VALU_DEP_1)
	v_fma_f64 v[216:217], -v[216:217], v[222:223], v[220:221]
	v_div_fmas_f64 v[216:217], v[216:217], v[218:219], v[222:223]
	s_delay_alu instid0(VALU_DEP_1) | instskip(NEXT) | instid1(VALU_DEP_1)
	v_div_fixup_f64 v[232:233], v[216:217], v[214:215], 1.0
	v_mul_f64 v[234:235], v[212:213], -v[232:233]
.LBB114_828:
	s_or_b32 exec_lo, exec_lo, s2
.LBB114_829:
	s_delay_alu instid0(SALU_CYCLE_1) | instskip(NEXT) | instid1(SALU_CYCLE_1)
	s_or_b32 exec_lo, exec_lo, s3
	s_mov_b32 s2, exec_lo
	v_cmpx_ne_u32_e64 v248, v240
	s_xor_b32 s2, exec_lo, s2
	s_cbranch_execz .LBB114_835
; %bb.830:
	s_mov_b32 s3, exec_lo
	v_cmpx_eq_u32_e32 39, v248
	s_cbranch_execz .LBB114_834
; %bb.831:
	v_cmp_ne_u32_e32 vcc_lo, 39, v240
	s_xor_b32 s4, s5, -1
	s_delay_alu instid0(SALU_CYCLE_1) | instskip(NEXT) | instid1(SALU_CYCLE_1)
	s_and_b32 s6, s4, vcc_lo
	s_and_saveexec_b32 s4, s6
	s_cbranch_execz .LBB114_833
; %bb.832:
	scratch_load_b64 v[208:209], off, off   ; 8-byte Folded Reload
	v_ashrrev_i32_e32 v241, 31, v240
	s_delay_alu instid0(VALU_DEP_1) | instskip(SKIP_1) | instid1(VALU_DEP_1)
	v_lshlrev_b64 v[212:213], 2, v[240:241]
	s_waitcnt vmcnt(0)
	v_add_co_u32 v212, vcc_lo, v208, v212
	s_delay_alu instid0(VALU_DEP_2)
	v_add_co_ci_u32_e32 v213, vcc_lo, v209, v213, vcc_lo
	s_clause 0x1
	flat_load_b32 v214, v[212:213]
	flat_load_b32 v215, v[208:209] offset:156
	s_waitcnt vmcnt(1) lgkmcnt(1)
	flat_store_b32 v[208:209], v214 offset:156
	s_waitcnt vmcnt(0) lgkmcnt(1)
	flat_store_b32 v[212:213], v215
.LBB114_833:
	s_or_b32 exec_lo, exec_lo, s4
	v_mov_b32_e32 v248, v240
	v_mov_b32_e32 v236, v240
.LBB114_834:
	s_or_b32 exec_lo, exec_lo, s3
.LBB114_835:
	s_and_not1_saveexec_b32 s2, s2
	s_cbranch_execz .LBB114_837
; %bb.836:
	v_mov_b32_e32 v248, 39
	ds_store_2addr_b64 v242, v[68:69], v[70:71] offset0:80 offset1:81
	ds_store_2addr_b64 v242, v[64:65], v[66:67] offset0:82 offset1:83
	;; [unrolled: 1-line block ×18, first 2 shown]
.LBB114_837:
	s_or_b32 exec_lo, exec_lo, s2
	s_delay_alu instid0(SALU_CYCLE_1)
	s_mov_b32 s2, exec_lo
	s_waitcnt lgkmcnt(0)
	s_waitcnt_vscnt null, 0x0
	s_barrier
	buffer_gl0_inv
	v_cmpx_lt_i32_e32 39, v248
	s_cbranch_execz .LBB114_839
; %bb.838:
	v_mul_f64 v[212:213], v[234:235], v[74:75]
	v_mul_f64 v[74:75], v[232:233], v[74:75]
	s_delay_alu instid0(VALU_DEP_2) | instskip(NEXT) | instid1(VALU_DEP_2)
	v_fma_f64 v[240:241], v[232:233], v[72:73], -v[212:213]
	v_fma_f64 v[74:75], v[234:235], v[72:73], v[74:75]
	ds_load_2addr_b64 v[232:235], v242 offset0:80 offset1:81
	s_waitcnt lgkmcnt(0)
	v_mul_f64 v[72:73], v[234:235], v[74:75]
	v_mul_f64 v[212:213], v[232:233], v[74:75]
	s_delay_alu instid0(VALU_DEP_2) | instskip(NEXT) | instid1(VALU_DEP_2)
	v_fma_f64 v[72:73], v[232:233], v[240:241], -v[72:73]
	v_fma_f64 v[212:213], v[234:235], v[240:241], v[212:213]
	ds_load_2addr_b64 v[232:235], v242 offset0:82 offset1:83
	v_add_f64 v[68:69], v[68:69], -v[72:73]
	v_add_f64 v[70:71], v[70:71], -v[212:213]
	s_waitcnt lgkmcnt(0)
	v_mul_f64 v[72:73], v[234:235], v[74:75]
	v_mul_f64 v[212:213], v[232:233], v[74:75]
	s_delay_alu instid0(VALU_DEP_2) | instskip(NEXT) | instid1(VALU_DEP_2)
	v_fma_f64 v[72:73], v[232:233], v[240:241], -v[72:73]
	v_fma_f64 v[212:213], v[234:235], v[240:241], v[212:213]
	ds_load_2addr_b64 v[232:235], v242 offset0:84 offset1:85
	v_add_f64 v[64:65], v[64:65], -v[72:73]
	v_add_f64 v[66:67], v[66:67], -v[212:213]
	;; [unrolled: 9-line block ×17, first 2 shown]
	s_waitcnt lgkmcnt(0)
	v_mul_f64 v[72:73], v[234:235], v[74:75]
	v_mul_f64 v[212:213], v[232:233], v[74:75]
	s_delay_alu instid0(VALU_DEP_2) | instskip(NEXT) | instid1(VALU_DEP_2)
	v_fma_f64 v[72:73], v[232:233], v[240:241], -v[72:73]
	v_fma_f64 v[212:213], v[234:235], v[240:241], v[212:213]
	s_delay_alu instid0(VALU_DEP_2) | instskip(NEXT) | instid1(VALU_DEP_2)
	v_add_f64 v[0:1], v[0:1], -v[72:73]
	v_add_f64 v[2:3], v[2:3], -v[212:213]
	v_dual_mov_b32 v72, v240 :: v_dual_mov_b32 v73, v241
.LBB114_839:
	s_or_b32 exec_lo, exec_lo, s2
	v_lshl_add_u32 v212, v248, 4, v242
	s_barrier
	buffer_gl0_inv
	v_mov_b32_e32 v240, 40
	ds_store_2addr_b64 v212, v[68:69], v[70:71] offset1:1
	s_waitcnt lgkmcnt(0)
	s_barrier
	buffer_gl0_inv
	ds_load_2addr_b64 v[232:235], v242 offset0:80 offset1:81
	s_cmp_lt_i32 s12, 42
	s_cbranch_scc1 .LBB114_842
; %bb.840:
	v_add3_u32 v241, v246, 0, 0x290
	v_mov_b32_e32 v240, 40
	s_mov_b32 s2, 41
	s_set_inst_prefetch_distance 0x1
	.p2align	6
.LBB114_841:                            ; =>This Inner Loop Header: Depth=1
	s_waitcnt lgkmcnt(0)
	v_cmp_gt_f64_e32 vcc_lo, 0, v[232:233]
	v_xor_b32_e32 v212, 0x80000000, v233
	v_xor_b32_e32 v214, 0x80000000, v235
	ds_load_2addr_b64 v[249:252], v241 offset1:1
	v_add_nc_u32_e32 v241, 16, v241
	s_waitcnt lgkmcnt(0)
	v_xor_b32_e32 v216, 0x80000000, v252
	v_cndmask_b32_e32 v213, v233, v212, vcc_lo
	v_cndmask_b32_e32 v212, v232, v232, vcc_lo
	v_cmp_gt_f64_e32 vcc_lo, 0, v[234:235]
	v_cndmask_b32_e32 v215, v235, v214, vcc_lo
	v_cndmask_b32_e32 v214, v234, v234, vcc_lo
	v_cmp_gt_f64_e32 vcc_lo, 0, v[249:250]
	s_delay_alu instid0(VALU_DEP_2) | instskip(SKIP_1) | instid1(VALU_DEP_1)
	v_add_f64 v[212:213], v[212:213], v[214:215]
	v_xor_b32_e32 v214, 0x80000000, v250
	v_dual_cndmask_b32 v215, v250, v214 :: v_dual_mov_b32 v214, v249
	v_cmp_gt_f64_e32 vcc_lo, 0, v[251:252]
	v_dual_cndmask_b32 v217, v252, v216 :: v_dual_mov_b32 v216, v251
	s_delay_alu instid0(VALU_DEP_1) | instskip(NEXT) | instid1(VALU_DEP_1)
	v_add_f64 v[214:215], v[214:215], v[216:217]
	v_cmp_lt_f64_e32 vcc_lo, v[212:213], v[214:215]
	v_dual_cndmask_b32 v233, v233, v250 :: v_dual_cndmask_b32 v232, v232, v249
	v_dual_cndmask_b32 v235, v235, v252 :: v_dual_cndmask_b32 v234, v234, v251
	v_cndmask_b32_e64 v240, v240, s2, vcc_lo
	s_add_i32 s2, s2, 1
	s_delay_alu instid0(SALU_CYCLE_1)
	s_cmp_lg_u32 s12, s2
	s_cbranch_scc1 .LBB114_841
.LBB114_842:
	s_set_inst_prefetch_distance 0x2
	s_waitcnt lgkmcnt(0)
	v_cmp_eq_f64_e32 vcc_lo, 0, v[232:233]
	v_cmp_eq_f64_e64 s2, 0, v[234:235]
	s_delay_alu instid0(VALU_DEP_1) | instskip(NEXT) | instid1(SALU_CYCLE_1)
	s_and_b32 s2, vcc_lo, s2
	s_and_saveexec_b32 s3, s2
	s_delay_alu instid0(SALU_CYCLE_1)
	s_xor_b32 s2, exec_lo, s3
; %bb.843:
	v_cmp_ne_u32_e32 vcc_lo, 0, v245
	v_cndmask_b32_e32 v245, 41, v245, vcc_lo
; %bb.844:
	s_and_not1_saveexec_b32 s3, s2
	s_cbranch_execz .LBB114_850
; %bb.845:
	v_cmp_gt_f64_e32 vcc_lo, 0, v[232:233]
	v_cmp_gt_f64_e64 s2, 0, v[234:235]
	v_xor_b32_e32 v212, 0x80000000, v233
	v_xor_b32_e32 v214, 0x80000000, v235
	s_delay_alu instid0(VALU_DEP_2) | instskip(NEXT) | instid1(VALU_DEP_2)
	v_cndmask_b32_e32 v213, v233, v212, vcc_lo
	v_cndmask_b32_e64 v215, v235, v214, s2
	v_cndmask_b32_e32 v212, v232, v232, vcc_lo
	v_cndmask_b32_e64 v214, v234, v234, s2
	s_mov_b32 s2, exec_lo
	s_delay_alu instid0(VALU_DEP_1)
	v_cmpx_ngt_f64_e32 v[212:213], v[214:215]
	s_xor_b32 s2, exec_lo, s2
	s_cbranch_execz .LBB114_847
; %bb.846:
	v_div_scale_f64 v[212:213], null, v[234:235], v[234:235], v[232:233]
	v_div_scale_f64 v[218:219], vcc_lo, v[232:233], v[234:235], v[232:233]
	s_delay_alu instid0(VALU_DEP_2) | instskip(SKIP_2) | instid1(VALU_DEP_1)
	v_rcp_f64_e32 v[214:215], v[212:213]
	s_waitcnt_depctr 0xfff
	v_fma_f64 v[216:217], -v[212:213], v[214:215], 1.0
	v_fma_f64 v[214:215], v[214:215], v[216:217], v[214:215]
	s_delay_alu instid0(VALU_DEP_1) | instskip(NEXT) | instid1(VALU_DEP_1)
	v_fma_f64 v[216:217], -v[212:213], v[214:215], 1.0
	v_fma_f64 v[214:215], v[214:215], v[216:217], v[214:215]
	s_delay_alu instid0(VALU_DEP_1) | instskip(NEXT) | instid1(VALU_DEP_1)
	v_mul_f64 v[216:217], v[218:219], v[214:215]
	v_fma_f64 v[212:213], -v[212:213], v[216:217], v[218:219]
	s_delay_alu instid0(VALU_DEP_1) | instskip(NEXT) | instid1(VALU_DEP_1)
	v_div_fmas_f64 v[212:213], v[212:213], v[214:215], v[216:217]
	v_div_fixup_f64 v[212:213], v[212:213], v[234:235], v[232:233]
	s_delay_alu instid0(VALU_DEP_1) | instskip(NEXT) | instid1(VALU_DEP_1)
	v_fma_f64 v[214:215], v[232:233], v[212:213], v[234:235]
	v_div_scale_f64 v[216:217], null, v[214:215], v[214:215], 1.0
	s_delay_alu instid0(VALU_DEP_1) | instskip(SKIP_2) | instid1(VALU_DEP_1)
	v_rcp_f64_e32 v[218:219], v[216:217]
	s_waitcnt_depctr 0xfff
	v_fma_f64 v[220:221], -v[216:217], v[218:219], 1.0
	v_fma_f64 v[218:219], v[218:219], v[220:221], v[218:219]
	s_delay_alu instid0(VALU_DEP_1) | instskip(NEXT) | instid1(VALU_DEP_1)
	v_fma_f64 v[220:221], -v[216:217], v[218:219], 1.0
	v_fma_f64 v[218:219], v[218:219], v[220:221], v[218:219]
	v_div_scale_f64 v[220:221], vcc_lo, 1.0, v[214:215], 1.0
	s_delay_alu instid0(VALU_DEP_1) | instskip(NEXT) | instid1(VALU_DEP_1)
	v_mul_f64 v[222:223], v[220:221], v[218:219]
	v_fma_f64 v[216:217], -v[216:217], v[222:223], v[220:221]
	s_delay_alu instid0(VALU_DEP_1) | instskip(NEXT) | instid1(VALU_DEP_1)
	v_div_fmas_f64 v[216:217], v[216:217], v[218:219], v[222:223]
	v_div_fixup_f64 v[234:235], v[216:217], v[214:215], 1.0
	s_delay_alu instid0(VALU_DEP_1)
	v_mul_f64 v[232:233], v[212:213], v[234:235]
	v_xor_b32_e32 v235, 0x80000000, v235
.LBB114_847:
	s_and_not1_saveexec_b32 s2, s2
	s_cbranch_execz .LBB114_849
; %bb.848:
	s_delay_alu instid0(VALU_DEP_1) | instskip(SKIP_1) | instid1(VALU_DEP_2)
	v_div_scale_f64 v[212:213], null, v[232:233], v[232:233], v[234:235]
	v_div_scale_f64 v[218:219], vcc_lo, v[234:235], v[232:233], v[234:235]
	v_rcp_f64_e32 v[214:215], v[212:213]
	s_waitcnt_depctr 0xfff
	v_fma_f64 v[216:217], -v[212:213], v[214:215], 1.0
	s_delay_alu instid0(VALU_DEP_1) | instskip(NEXT) | instid1(VALU_DEP_1)
	v_fma_f64 v[214:215], v[214:215], v[216:217], v[214:215]
	v_fma_f64 v[216:217], -v[212:213], v[214:215], 1.0
	s_delay_alu instid0(VALU_DEP_1) | instskip(NEXT) | instid1(VALU_DEP_1)
	v_fma_f64 v[214:215], v[214:215], v[216:217], v[214:215]
	v_mul_f64 v[216:217], v[218:219], v[214:215]
	s_delay_alu instid0(VALU_DEP_1) | instskip(NEXT) | instid1(VALU_DEP_1)
	v_fma_f64 v[212:213], -v[212:213], v[216:217], v[218:219]
	v_div_fmas_f64 v[212:213], v[212:213], v[214:215], v[216:217]
	s_delay_alu instid0(VALU_DEP_1) | instskip(NEXT) | instid1(VALU_DEP_1)
	v_div_fixup_f64 v[212:213], v[212:213], v[232:233], v[234:235]
	v_fma_f64 v[214:215], v[234:235], v[212:213], v[232:233]
	s_delay_alu instid0(VALU_DEP_1) | instskip(NEXT) | instid1(VALU_DEP_1)
	v_div_scale_f64 v[216:217], null, v[214:215], v[214:215], 1.0
	v_rcp_f64_e32 v[218:219], v[216:217]
	s_waitcnt_depctr 0xfff
	v_fma_f64 v[220:221], -v[216:217], v[218:219], 1.0
	s_delay_alu instid0(VALU_DEP_1) | instskip(NEXT) | instid1(VALU_DEP_1)
	v_fma_f64 v[218:219], v[218:219], v[220:221], v[218:219]
	v_fma_f64 v[220:221], -v[216:217], v[218:219], 1.0
	s_delay_alu instid0(VALU_DEP_1) | instskip(SKIP_1) | instid1(VALU_DEP_1)
	v_fma_f64 v[218:219], v[218:219], v[220:221], v[218:219]
	v_div_scale_f64 v[220:221], vcc_lo, 1.0, v[214:215], 1.0
	v_mul_f64 v[222:223], v[220:221], v[218:219]
	s_delay_alu instid0(VALU_DEP_1) | instskip(NEXT) | instid1(VALU_DEP_1)
	v_fma_f64 v[216:217], -v[216:217], v[222:223], v[220:221]
	v_div_fmas_f64 v[216:217], v[216:217], v[218:219], v[222:223]
	s_delay_alu instid0(VALU_DEP_1) | instskip(NEXT) | instid1(VALU_DEP_1)
	v_div_fixup_f64 v[232:233], v[216:217], v[214:215], 1.0
	v_mul_f64 v[234:235], v[212:213], -v[232:233]
.LBB114_849:
	s_or_b32 exec_lo, exec_lo, s2
.LBB114_850:
	s_delay_alu instid0(SALU_CYCLE_1) | instskip(NEXT) | instid1(SALU_CYCLE_1)
	s_or_b32 exec_lo, exec_lo, s3
	s_mov_b32 s2, exec_lo
	v_cmpx_ne_u32_e64 v248, v240
	s_xor_b32 s2, exec_lo, s2
	s_cbranch_execz .LBB114_856
; %bb.851:
	s_mov_b32 s3, exec_lo
	v_cmpx_eq_u32_e32 40, v248
	s_cbranch_execz .LBB114_855
; %bb.852:
	v_cmp_ne_u32_e32 vcc_lo, 40, v240
	s_xor_b32 s4, s5, -1
	s_delay_alu instid0(SALU_CYCLE_1) | instskip(NEXT) | instid1(SALU_CYCLE_1)
	s_and_b32 s6, s4, vcc_lo
	s_and_saveexec_b32 s4, s6
	s_cbranch_execz .LBB114_854
; %bb.853:
	scratch_load_b64 v[208:209], off, off   ; 8-byte Folded Reload
	v_ashrrev_i32_e32 v241, 31, v240
	s_delay_alu instid0(VALU_DEP_1) | instskip(SKIP_1) | instid1(VALU_DEP_1)
	v_lshlrev_b64 v[212:213], 2, v[240:241]
	s_waitcnt vmcnt(0)
	v_add_co_u32 v212, vcc_lo, v208, v212
	s_delay_alu instid0(VALU_DEP_2)
	v_add_co_ci_u32_e32 v213, vcc_lo, v209, v213, vcc_lo
	s_clause 0x1
	flat_load_b32 v214, v[212:213]
	flat_load_b32 v215, v[208:209] offset:160
	s_waitcnt vmcnt(1) lgkmcnt(1)
	flat_store_b32 v[208:209], v214 offset:160
	s_waitcnt vmcnt(0) lgkmcnt(1)
	flat_store_b32 v[212:213], v215
.LBB114_854:
	s_or_b32 exec_lo, exec_lo, s4
	v_mov_b32_e32 v248, v240
	v_mov_b32_e32 v236, v240
.LBB114_855:
	s_or_b32 exec_lo, exec_lo, s3
.LBB114_856:
	s_and_not1_saveexec_b32 s2, s2
	s_cbranch_execz .LBB114_858
; %bb.857:
	v_mov_b32_e32 v248, 40
	ds_store_2addr_b64 v242, v[64:65], v[66:67] offset0:82 offset1:83
	ds_store_2addr_b64 v242, v[60:61], v[62:63] offset0:84 offset1:85
	;; [unrolled: 1-line block ×17, first 2 shown]
.LBB114_858:
	s_or_b32 exec_lo, exec_lo, s2
	s_delay_alu instid0(SALU_CYCLE_1)
	s_mov_b32 s2, exec_lo
	s_waitcnt lgkmcnt(0)
	s_waitcnt_vscnt null, 0x0
	s_barrier
	buffer_gl0_inv
	v_cmpx_lt_i32_e32 40, v248
	s_cbranch_execz .LBB114_860
; %bb.859:
	v_mul_f64 v[212:213], v[234:235], v[70:71]
	v_mul_f64 v[70:71], v[232:233], v[70:71]
	s_delay_alu instid0(VALU_DEP_2) | instskip(NEXT) | instid1(VALU_DEP_2)
	v_fma_f64 v[240:241], v[232:233], v[68:69], -v[212:213]
	v_fma_f64 v[70:71], v[234:235], v[68:69], v[70:71]
	ds_load_2addr_b64 v[232:235], v242 offset0:82 offset1:83
	s_waitcnt lgkmcnt(0)
	v_mul_f64 v[68:69], v[234:235], v[70:71]
	v_mul_f64 v[212:213], v[232:233], v[70:71]
	s_delay_alu instid0(VALU_DEP_2) | instskip(NEXT) | instid1(VALU_DEP_2)
	v_fma_f64 v[68:69], v[232:233], v[240:241], -v[68:69]
	v_fma_f64 v[212:213], v[234:235], v[240:241], v[212:213]
	ds_load_2addr_b64 v[232:235], v242 offset0:84 offset1:85
	v_add_f64 v[64:65], v[64:65], -v[68:69]
	v_add_f64 v[66:67], v[66:67], -v[212:213]
	s_waitcnt lgkmcnt(0)
	v_mul_f64 v[68:69], v[234:235], v[70:71]
	v_mul_f64 v[212:213], v[232:233], v[70:71]
	s_delay_alu instid0(VALU_DEP_2) | instskip(NEXT) | instid1(VALU_DEP_2)
	v_fma_f64 v[68:69], v[232:233], v[240:241], -v[68:69]
	v_fma_f64 v[212:213], v[234:235], v[240:241], v[212:213]
	ds_load_2addr_b64 v[232:235], v242 offset0:86 offset1:87
	v_add_f64 v[60:61], v[60:61], -v[68:69]
	v_add_f64 v[62:63], v[62:63], -v[212:213]
	s_waitcnt lgkmcnt(0)
	v_mul_f64 v[68:69], v[234:235], v[70:71]
	v_mul_f64 v[212:213], v[232:233], v[70:71]
	s_delay_alu instid0(VALU_DEP_2) | instskip(NEXT) | instid1(VALU_DEP_2)
	v_fma_f64 v[68:69], v[232:233], v[240:241], -v[68:69]
	v_fma_f64 v[212:213], v[234:235], v[240:241], v[212:213]
	ds_load_2addr_b64 v[232:235], v242 offset0:88 offset1:89
	v_add_f64 v[56:57], v[56:57], -v[68:69]
	v_add_f64 v[58:59], v[58:59], -v[212:213]
	s_waitcnt lgkmcnt(0)
	v_mul_f64 v[68:69], v[234:235], v[70:71]
	v_mul_f64 v[212:213], v[232:233], v[70:71]
	s_delay_alu instid0(VALU_DEP_2) | instskip(NEXT) | instid1(VALU_DEP_2)
	v_fma_f64 v[68:69], v[232:233], v[240:241], -v[68:69]
	v_fma_f64 v[212:213], v[234:235], v[240:241], v[212:213]
	ds_load_2addr_b64 v[232:235], v242 offset0:90 offset1:91
	v_add_f64 v[52:53], v[52:53], -v[68:69]
	v_add_f64 v[54:55], v[54:55], -v[212:213]
	s_waitcnt lgkmcnt(0)
	v_mul_f64 v[68:69], v[234:235], v[70:71]
	v_mul_f64 v[212:213], v[232:233], v[70:71]
	s_delay_alu instid0(VALU_DEP_2) | instskip(NEXT) | instid1(VALU_DEP_2)
	v_fma_f64 v[68:69], v[232:233], v[240:241], -v[68:69]
	v_fma_f64 v[212:213], v[234:235], v[240:241], v[212:213]
	ds_load_2addr_b64 v[232:235], v242 offset0:92 offset1:93
	v_add_f64 v[48:49], v[48:49], -v[68:69]
	v_add_f64 v[50:51], v[50:51], -v[212:213]
	s_waitcnt lgkmcnt(0)
	v_mul_f64 v[68:69], v[234:235], v[70:71]
	v_mul_f64 v[212:213], v[232:233], v[70:71]
	s_delay_alu instid0(VALU_DEP_2) | instskip(NEXT) | instid1(VALU_DEP_2)
	v_fma_f64 v[68:69], v[232:233], v[240:241], -v[68:69]
	v_fma_f64 v[212:213], v[234:235], v[240:241], v[212:213]
	ds_load_2addr_b64 v[232:235], v242 offset0:94 offset1:95
	v_add_f64 v[44:45], v[44:45], -v[68:69]
	v_add_f64 v[46:47], v[46:47], -v[212:213]
	s_waitcnt lgkmcnt(0)
	v_mul_f64 v[68:69], v[234:235], v[70:71]
	v_mul_f64 v[212:213], v[232:233], v[70:71]
	s_delay_alu instid0(VALU_DEP_2) | instskip(NEXT) | instid1(VALU_DEP_2)
	v_fma_f64 v[68:69], v[232:233], v[240:241], -v[68:69]
	v_fma_f64 v[212:213], v[234:235], v[240:241], v[212:213]
	ds_load_2addr_b64 v[232:235], v242 offset0:96 offset1:97
	v_add_f64 v[40:41], v[40:41], -v[68:69]
	v_add_f64 v[42:43], v[42:43], -v[212:213]
	s_waitcnt lgkmcnt(0)
	v_mul_f64 v[68:69], v[234:235], v[70:71]
	v_mul_f64 v[212:213], v[232:233], v[70:71]
	s_delay_alu instid0(VALU_DEP_2) | instskip(NEXT) | instid1(VALU_DEP_2)
	v_fma_f64 v[68:69], v[232:233], v[240:241], -v[68:69]
	v_fma_f64 v[212:213], v[234:235], v[240:241], v[212:213]
	ds_load_2addr_b64 v[232:235], v242 offset0:98 offset1:99
	v_add_f64 v[36:37], v[36:37], -v[68:69]
	v_add_f64 v[38:39], v[38:39], -v[212:213]
	s_waitcnt lgkmcnt(0)
	v_mul_f64 v[68:69], v[234:235], v[70:71]
	v_mul_f64 v[212:213], v[232:233], v[70:71]
	s_delay_alu instid0(VALU_DEP_2) | instskip(NEXT) | instid1(VALU_DEP_2)
	v_fma_f64 v[68:69], v[232:233], v[240:241], -v[68:69]
	v_fma_f64 v[212:213], v[234:235], v[240:241], v[212:213]
	ds_load_2addr_b64 v[232:235], v242 offset0:100 offset1:101
	v_add_f64 v[32:33], v[32:33], -v[68:69]
	v_add_f64 v[34:35], v[34:35], -v[212:213]
	s_waitcnt lgkmcnt(0)
	v_mul_f64 v[68:69], v[234:235], v[70:71]
	v_mul_f64 v[212:213], v[232:233], v[70:71]
	s_delay_alu instid0(VALU_DEP_2) | instskip(NEXT) | instid1(VALU_DEP_2)
	v_fma_f64 v[68:69], v[232:233], v[240:241], -v[68:69]
	v_fma_f64 v[212:213], v[234:235], v[240:241], v[212:213]
	ds_load_2addr_b64 v[232:235], v242 offset0:102 offset1:103
	v_add_f64 v[28:29], v[28:29], -v[68:69]
	v_add_f64 v[30:31], v[30:31], -v[212:213]
	s_waitcnt lgkmcnt(0)
	v_mul_f64 v[68:69], v[234:235], v[70:71]
	v_mul_f64 v[212:213], v[232:233], v[70:71]
	s_delay_alu instid0(VALU_DEP_2) | instskip(NEXT) | instid1(VALU_DEP_2)
	v_fma_f64 v[68:69], v[232:233], v[240:241], -v[68:69]
	v_fma_f64 v[212:213], v[234:235], v[240:241], v[212:213]
	ds_load_2addr_b64 v[232:235], v242 offset0:104 offset1:105
	v_add_f64 v[24:25], v[24:25], -v[68:69]
	v_add_f64 v[26:27], v[26:27], -v[212:213]
	s_waitcnt lgkmcnt(0)
	v_mul_f64 v[68:69], v[234:235], v[70:71]
	v_mul_f64 v[212:213], v[232:233], v[70:71]
	s_delay_alu instid0(VALU_DEP_2) | instskip(NEXT) | instid1(VALU_DEP_2)
	v_fma_f64 v[68:69], v[232:233], v[240:241], -v[68:69]
	v_fma_f64 v[212:213], v[234:235], v[240:241], v[212:213]
	ds_load_2addr_b64 v[232:235], v242 offset0:106 offset1:107
	v_add_f64 v[20:21], v[20:21], -v[68:69]
	v_add_f64 v[22:23], v[22:23], -v[212:213]
	s_waitcnt lgkmcnt(0)
	v_mul_f64 v[68:69], v[234:235], v[70:71]
	v_mul_f64 v[212:213], v[232:233], v[70:71]
	s_delay_alu instid0(VALU_DEP_2) | instskip(NEXT) | instid1(VALU_DEP_2)
	v_fma_f64 v[68:69], v[232:233], v[240:241], -v[68:69]
	v_fma_f64 v[212:213], v[234:235], v[240:241], v[212:213]
	ds_load_2addr_b64 v[232:235], v242 offset0:108 offset1:109
	v_add_f64 v[16:17], v[16:17], -v[68:69]
	v_add_f64 v[18:19], v[18:19], -v[212:213]
	s_waitcnt lgkmcnt(0)
	v_mul_f64 v[68:69], v[234:235], v[70:71]
	v_mul_f64 v[212:213], v[232:233], v[70:71]
	s_delay_alu instid0(VALU_DEP_2) | instskip(NEXT) | instid1(VALU_DEP_2)
	v_fma_f64 v[68:69], v[232:233], v[240:241], -v[68:69]
	v_fma_f64 v[212:213], v[234:235], v[240:241], v[212:213]
	ds_load_2addr_b64 v[232:235], v242 offset0:110 offset1:111
	v_add_f64 v[12:13], v[12:13], -v[68:69]
	v_add_f64 v[14:15], v[14:15], -v[212:213]
	s_waitcnt lgkmcnt(0)
	v_mul_f64 v[68:69], v[234:235], v[70:71]
	v_mul_f64 v[212:213], v[232:233], v[70:71]
	s_delay_alu instid0(VALU_DEP_2) | instskip(NEXT) | instid1(VALU_DEP_2)
	v_fma_f64 v[68:69], v[232:233], v[240:241], -v[68:69]
	v_fma_f64 v[212:213], v[234:235], v[240:241], v[212:213]
	ds_load_2addr_b64 v[232:235], v242 offset0:112 offset1:113
	v_add_f64 v[8:9], v[8:9], -v[68:69]
	v_add_f64 v[10:11], v[10:11], -v[212:213]
	s_waitcnt lgkmcnt(0)
	v_mul_f64 v[68:69], v[234:235], v[70:71]
	v_mul_f64 v[212:213], v[232:233], v[70:71]
	s_delay_alu instid0(VALU_DEP_2) | instskip(NEXT) | instid1(VALU_DEP_2)
	v_fma_f64 v[68:69], v[232:233], v[240:241], -v[68:69]
	v_fma_f64 v[212:213], v[234:235], v[240:241], v[212:213]
	ds_load_2addr_b64 v[232:235], v242 offset0:114 offset1:115
	v_add_f64 v[224:225], v[224:225], -v[68:69]
	v_add_f64 v[226:227], v[226:227], -v[212:213]
	s_waitcnt lgkmcnt(0)
	v_mul_f64 v[68:69], v[234:235], v[70:71]
	v_mul_f64 v[212:213], v[232:233], v[70:71]
	s_delay_alu instid0(VALU_DEP_2) | instskip(NEXT) | instid1(VALU_DEP_2)
	v_fma_f64 v[68:69], v[232:233], v[240:241], -v[68:69]
	v_fma_f64 v[212:213], v[234:235], v[240:241], v[212:213]
	s_delay_alu instid0(VALU_DEP_2) | instskip(NEXT) | instid1(VALU_DEP_2)
	v_add_f64 v[0:1], v[0:1], -v[68:69]
	v_add_f64 v[2:3], v[2:3], -v[212:213]
	v_dual_mov_b32 v68, v240 :: v_dual_mov_b32 v69, v241
.LBB114_860:
	s_or_b32 exec_lo, exec_lo, s2
	v_lshl_add_u32 v212, v248, 4, v242
	s_barrier
	buffer_gl0_inv
	v_mov_b32_e32 v240, 41
	ds_store_2addr_b64 v212, v[64:65], v[66:67] offset1:1
	s_waitcnt lgkmcnt(0)
	s_barrier
	buffer_gl0_inv
	ds_load_2addr_b64 v[232:235], v242 offset0:82 offset1:83
	s_cmp_lt_i32 s12, 43
	s_cbranch_scc1 .LBB114_863
; %bb.861:
	v_add3_u32 v241, v246, 0, 0x2a0
	v_mov_b32_e32 v240, 41
	s_mov_b32 s2, 42
	s_set_inst_prefetch_distance 0x1
	.p2align	6
.LBB114_862:                            ; =>This Inner Loop Header: Depth=1
	s_waitcnt lgkmcnt(0)
	v_cmp_gt_f64_e32 vcc_lo, 0, v[232:233]
	v_xor_b32_e32 v212, 0x80000000, v233
	v_xor_b32_e32 v214, 0x80000000, v235
	ds_load_2addr_b64 v[249:252], v241 offset1:1
	v_add_nc_u32_e32 v241, 16, v241
	s_waitcnt lgkmcnt(0)
	v_xor_b32_e32 v216, 0x80000000, v252
	v_cndmask_b32_e32 v213, v233, v212, vcc_lo
	v_cndmask_b32_e32 v212, v232, v232, vcc_lo
	v_cmp_gt_f64_e32 vcc_lo, 0, v[234:235]
	v_cndmask_b32_e32 v215, v235, v214, vcc_lo
	v_cndmask_b32_e32 v214, v234, v234, vcc_lo
	v_cmp_gt_f64_e32 vcc_lo, 0, v[249:250]
	s_delay_alu instid0(VALU_DEP_2) | instskip(SKIP_1) | instid1(VALU_DEP_1)
	v_add_f64 v[212:213], v[212:213], v[214:215]
	v_xor_b32_e32 v214, 0x80000000, v250
	v_dual_cndmask_b32 v215, v250, v214 :: v_dual_mov_b32 v214, v249
	v_cmp_gt_f64_e32 vcc_lo, 0, v[251:252]
	v_dual_cndmask_b32 v217, v252, v216 :: v_dual_mov_b32 v216, v251
	s_delay_alu instid0(VALU_DEP_1) | instskip(NEXT) | instid1(VALU_DEP_1)
	v_add_f64 v[214:215], v[214:215], v[216:217]
	v_cmp_lt_f64_e32 vcc_lo, v[212:213], v[214:215]
	v_dual_cndmask_b32 v233, v233, v250 :: v_dual_cndmask_b32 v232, v232, v249
	v_dual_cndmask_b32 v235, v235, v252 :: v_dual_cndmask_b32 v234, v234, v251
	v_cndmask_b32_e64 v240, v240, s2, vcc_lo
	s_add_i32 s2, s2, 1
	s_delay_alu instid0(SALU_CYCLE_1)
	s_cmp_lg_u32 s12, s2
	s_cbranch_scc1 .LBB114_862
.LBB114_863:
	s_set_inst_prefetch_distance 0x2
	s_waitcnt lgkmcnt(0)
	v_cmp_eq_f64_e32 vcc_lo, 0, v[232:233]
	v_cmp_eq_f64_e64 s2, 0, v[234:235]
	s_delay_alu instid0(VALU_DEP_1) | instskip(NEXT) | instid1(SALU_CYCLE_1)
	s_and_b32 s2, vcc_lo, s2
	s_and_saveexec_b32 s3, s2
	s_delay_alu instid0(SALU_CYCLE_1)
	s_xor_b32 s2, exec_lo, s3
; %bb.864:
	v_cmp_ne_u32_e32 vcc_lo, 0, v245
	v_cndmask_b32_e32 v245, 42, v245, vcc_lo
; %bb.865:
	s_and_not1_saveexec_b32 s3, s2
	s_cbranch_execz .LBB114_871
; %bb.866:
	v_cmp_gt_f64_e32 vcc_lo, 0, v[232:233]
	v_cmp_gt_f64_e64 s2, 0, v[234:235]
	v_xor_b32_e32 v212, 0x80000000, v233
	v_xor_b32_e32 v214, 0x80000000, v235
	s_delay_alu instid0(VALU_DEP_2) | instskip(NEXT) | instid1(VALU_DEP_2)
	v_cndmask_b32_e32 v213, v233, v212, vcc_lo
	v_cndmask_b32_e64 v215, v235, v214, s2
	v_cndmask_b32_e32 v212, v232, v232, vcc_lo
	v_cndmask_b32_e64 v214, v234, v234, s2
	s_mov_b32 s2, exec_lo
	s_delay_alu instid0(VALU_DEP_1)
	v_cmpx_ngt_f64_e32 v[212:213], v[214:215]
	s_xor_b32 s2, exec_lo, s2
	s_cbranch_execz .LBB114_868
; %bb.867:
	v_div_scale_f64 v[212:213], null, v[234:235], v[234:235], v[232:233]
	v_div_scale_f64 v[218:219], vcc_lo, v[232:233], v[234:235], v[232:233]
	s_delay_alu instid0(VALU_DEP_2) | instskip(SKIP_2) | instid1(VALU_DEP_1)
	v_rcp_f64_e32 v[214:215], v[212:213]
	s_waitcnt_depctr 0xfff
	v_fma_f64 v[216:217], -v[212:213], v[214:215], 1.0
	v_fma_f64 v[214:215], v[214:215], v[216:217], v[214:215]
	s_delay_alu instid0(VALU_DEP_1) | instskip(NEXT) | instid1(VALU_DEP_1)
	v_fma_f64 v[216:217], -v[212:213], v[214:215], 1.0
	v_fma_f64 v[214:215], v[214:215], v[216:217], v[214:215]
	s_delay_alu instid0(VALU_DEP_1) | instskip(NEXT) | instid1(VALU_DEP_1)
	v_mul_f64 v[216:217], v[218:219], v[214:215]
	v_fma_f64 v[212:213], -v[212:213], v[216:217], v[218:219]
	s_delay_alu instid0(VALU_DEP_1) | instskip(NEXT) | instid1(VALU_DEP_1)
	v_div_fmas_f64 v[212:213], v[212:213], v[214:215], v[216:217]
	v_div_fixup_f64 v[212:213], v[212:213], v[234:235], v[232:233]
	s_delay_alu instid0(VALU_DEP_1) | instskip(NEXT) | instid1(VALU_DEP_1)
	v_fma_f64 v[214:215], v[232:233], v[212:213], v[234:235]
	v_div_scale_f64 v[216:217], null, v[214:215], v[214:215], 1.0
	s_delay_alu instid0(VALU_DEP_1) | instskip(SKIP_2) | instid1(VALU_DEP_1)
	v_rcp_f64_e32 v[218:219], v[216:217]
	s_waitcnt_depctr 0xfff
	v_fma_f64 v[220:221], -v[216:217], v[218:219], 1.0
	v_fma_f64 v[218:219], v[218:219], v[220:221], v[218:219]
	s_delay_alu instid0(VALU_DEP_1) | instskip(NEXT) | instid1(VALU_DEP_1)
	v_fma_f64 v[220:221], -v[216:217], v[218:219], 1.0
	v_fma_f64 v[218:219], v[218:219], v[220:221], v[218:219]
	v_div_scale_f64 v[220:221], vcc_lo, 1.0, v[214:215], 1.0
	s_delay_alu instid0(VALU_DEP_1) | instskip(NEXT) | instid1(VALU_DEP_1)
	v_mul_f64 v[222:223], v[220:221], v[218:219]
	v_fma_f64 v[216:217], -v[216:217], v[222:223], v[220:221]
	s_delay_alu instid0(VALU_DEP_1) | instskip(NEXT) | instid1(VALU_DEP_1)
	v_div_fmas_f64 v[216:217], v[216:217], v[218:219], v[222:223]
	v_div_fixup_f64 v[234:235], v[216:217], v[214:215], 1.0
	s_delay_alu instid0(VALU_DEP_1)
	v_mul_f64 v[232:233], v[212:213], v[234:235]
	v_xor_b32_e32 v235, 0x80000000, v235
.LBB114_868:
	s_and_not1_saveexec_b32 s2, s2
	s_cbranch_execz .LBB114_870
; %bb.869:
	s_delay_alu instid0(VALU_DEP_1) | instskip(SKIP_1) | instid1(VALU_DEP_2)
	v_div_scale_f64 v[212:213], null, v[232:233], v[232:233], v[234:235]
	v_div_scale_f64 v[218:219], vcc_lo, v[234:235], v[232:233], v[234:235]
	v_rcp_f64_e32 v[214:215], v[212:213]
	s_waitcnt_depctr 0xfff
	v_fma_f64 v[216:217], -v[212:213], v[214:215], 1.0
	s_delay_alu instid0(VALU_DEP_1) | instskip(NEXT) | instid1(VALU_DEP_1)
	v_fma_f64 v[214:215], v[214:215], v[216:217], v[214:215]
	v_fma_f64 v[216:217], -v[212:213], v[214:215], 1.0
	s_delay_alu instid0(VALU_DEP_1) | instskip(NEXT) | instid1(VALU_DEP_1)
	v_fma_f64 v[214:215], v[214:215], v[216:217], v[214:215]
	v_mul_f64 v[216:217], v[218:219], v[214:215]
	s_delay_alu instid0(VALU_DEP_1) | instskip(NEXT) | instid1(VALU_DEP_1)
	v_fma_f64 v[212:213], -v[212:213], v[216:217], v[218:219]
	v_div_fmas_f64 v[212:213], v[212:213], v[214:215], v[216:217]
	s_delay_alu instid0(VALU_DEP_1) | instskip(NEXT) | instid1(VALU_DEP_1)
	v_div_fixup_f64 v[212:213], v[212:213], v[232:233], v[234:235]
	v_fma_f64 v[214:215], v[234:235], v[212:213], v[232:233]
	s_delay_alu instid0(VALU_DEP_1) | instskip(NEXT) | instid1(VALU_DEP_1)
	v_div_scale_f64 v[216:217], null, v[214:215], v[214:215], 1.0
	v_rcp_f64_e32 v[218:219], v[216:217]
	s_waitcnt_depctr 0xfff
	v_fma_f64 v[220:221], -v[216:217], v[218:219], 1.0
	s_delay_alu instid0(VALU_DEP_1) | instskip(NEXT) | instid1(VALU_DEP_1)
	v_fma_f64 v[218:219], v[218:219], v[220:221], v[218:219]
	v_fma_f64 v[220:221], -v[216:217], v[218:219], 1.0
	s_delay_alu instid0(VALU_DEP_1) | instskip(SKIP_1) | instid1(VALU_DEP_1)
	v_fma_f64 v[218:219], v[218:219], v[220:221], v[218:219]
	v_div_scale_f64 v[220:221], vcc_lo, 1.0, v[214:215], 1.0
	v_mul_f64 v[222:223], v[220:221], v[218:219]
	s_delay_alu instid0(VALU_DEP_1) | instskip(NEXT) | instid1(VALU_DEP_1)
	v_fma_f64 v[216:217], -v[216:217], v[222:223], v[220:221]
	v_div_fmas_f64 v[216:217], v[216:217], v[218:219], v[222:223]
	s_delay_alu instid0(VALU_DEP_1) | instskip(NEXT) | instid1(VALU_DEP_1)
	v_div_fixup_f64 v[232:233], v[216:217], v[214:215], 1.0
	v_mul_f64 v[234:235], v[212:213], -v[232:233]
.LBB114_870:
	s_or_b32 exec_lo, exec_lo, s2
.LBB114_871:
	s_delay_alu instid0(SALU_CYCLE_1) | instskip(NEXT) | instid1(SALU_CYCLE_1)
	s_or_b32 exec_lo, exec_lo, s3
	s_mov_b32 s2, exec_lo
	v_cmpx_ne_u32_e64 v248, v240
	s_xor_b32 s2, exec_lo, s2
	s_cbranch_execz .LBB114_877
; %bb.872:
	s_mov_b32 s3, exec_lo
	v_cmpx_eq_u32_e32 41, v248
	s_cbranch_execz .LBB114_876
; %bb.873:
	v_cmp_ne_u32_e32 vcc_lo, 41, v240
	s_xor_b32 s4, s5, -1
	s_delay_alu instid0(SALU_CYCLE_1) | instskip(NEXT) | instid1(SALU_CYCLE_1)
	s_and_b32 s6, s4, vcc_lo
	s_and_saveexec_b32 s4, s6
	s_cbranch_execz .LBB114_875
; %bb.874:
	scratch_load_b64 v[208:209], off, off   ; 8-byte Folded Reload
	v_ashrrev_i32_e32 v241, 31, v240
	s_delay_alu instid0(VALU_DEP_1) | instskip(SKIP_1) | instid1(VALU_DEP_1)
	v_lshlrev_b64 v[212:213], 2, v[240:241]
	s_waitcnt vmcnt(0)
	v_add_co_u32 v212, vcc_lo, v208, v212
	s_delay_alu instid0(VALU_DEP_2)
	v_add_co_ci_u32_e32 v213, vcc_lo, v209, v213, vcc_lo
	s_clause 0x1
	flat_load_b32 v214, v[212:213]
	flat_load_b32 v215, v[208:209] offset:164
	s_waitcnt vmcnt(1) lgkmcnt(1)
	flat_store_b32 v[208:209], v214 offset:164
	s_waitcnt vmcnt(0) lgkmcnt(1)
	flat_store_b32 v[212:213], v215
.LBB114_875:
	s_or_b32 exec_lo, exec_lo, s4
	v_mov_b32_e32 v248, v240
	v_mov_b32_e32 v236, v240
.LBB114_876:
	s_or_b32 exec_lo, exec_lo, s3
.LBB114_877:
	s_and_not1_saveexec_b32 s2, s2
	s_cbranch_execz .LBB114_879
; %bb.878:
	v_mov_b32_e32 v248, 41
	ds_store_2addr_b64 v242, v[60:61], v[62:63] offset0:84 offset1:85
	ds_store_2addr_b64 v242, v[56:57], v[58:59] offset0:86 offset1:87
	;; [unrolled: 1-line block ×16, first 2 shown]
.LBB114_879:
	s_or_b32 exec_lo, exec_lo, s2
	s_delay_alu instid0(SALU_CYCLE_1)
	s_mov_b32 s2, exec_lo
	s_waitcnt lgkmcnt(0)
	s_waitcnt_vscnt null, 0x0
	s_barrier
	buffer_gl0_inv
	v_cmpx_lt_i32_e32 41, v248
	s_cbranch_execz .LBB114_881
; %bb.880:
	v_mul_f64 v[212:213], v[232:233], v[66:67]
	v_mul_f64 v[66:67], v[234:235], v[66:67]
	s_delay_alu instid0(VALU_DEP_2) | instskip(NEXT) | instid1(VALU_DEP_2)
	v_fma_f64 v[240:241], v[234:235], v[64:65], v[212:213]
	v_fma_f64 v[64:65], v[232:233], v[64:65], -v[66:67]
	ds_load_2addr_b64 v[232:235], v242 offset0:84 offset1:85
	s_waitcnt lgkmcnt(0)
	v_mul_f64 v[66:67], v[234:235], v[240:241]
	v_mul_f64 v[212:213], v[232:233], v[240:241]
	s_delay_alu instid0(VALU_DEP_2) | instskip(NEXT) | instid1(VALU_DEP_2)
	v_fma_f64 v[66:67], v[232:233], v[64:65], -v[66:67]
	v_fma_f64 v[212:213], v[234:235], v[64:65], v[212:213]
	ds_load_2addr_b64 v[232:235], v242 offset0:86 offset1:87
	v_add_f64 v[60:61], v[60:61], -v[66:67]
	v_add_f64 v[62:63], v[62:63], -v[212:213]
	s_waitcnt lgkmcnt(0)
	v_mul_f64 v[66:67], v[234:235], v[240:241]
	v_mul_f64 v[212:213], v[232:233], v[240:241]
	s_delay_alu instid0(VALU_DEP_2) | instskip(NEXT) | instid1(VALU_DEP_2)
	v_fma_f64 v[66:67], v[232:233], v[64:65], -v[66:67]
	v_fma_f64 v[212:213], v[234:235], v[64:65], v[212:213]
	ds_load_2addr_b64 v[232:235], v242 offset0:88 offset1:89
	v_add_f64 v[56:57], v[56:57], -v[66:67]
	v_add_f64 v[58:59], v[58:59], -v[212:213]
	;; [unrolled: 9-line block ×15, first 2 shown]
	s_waitcnt lgkmcnt(0)
	v_mul_f64 v[66:67], v[234:235], v[240:241]
	v_mul_f64 v[212:213], v[232:233], v[240:241]
	s_delay_alu instid0(VALU_DEP_2) | instskip(NEXT) | instid1(VALU_DEP_2)
	v_fma_f64 v[66:67], v[232:233], v[64:65], -v[66:67]
	v_fma_f64 v[212:213], v[234:235], v[64:65], v[212:213]
	s_delay_alu instid0(VALU_DEP_2) | instskip(NEXT) | instid1(VALU_DEP_2)
	v_add_f64 v[0:1], v[0:1], -v[66:67]
	v_add_f64 v[2:3], v[2:3], -v[212:213]
	v_dual_mov_b32 v66, v240 :: v_dual_mov_b32 v67, v241
.LBB114_881:
	s_or_b32 exec_lo, exec_lo, s2
	v_lshl_add_u32 v212, v248, 4, v242
	s_barrier
	buffer_gl0_inv
	v_mov_b32_e32 v240, 42
	ds_store_2addr_b64 v212, v[60:61], v[62:63] offset1:1
	s_waitcnt lgkmcnt(0)
	s_barrier
	buffer_gl0_inv
	ds_load_2addr_b64 v[232:235], v242 offset0:84 offset1:85
	s_cmp_lt_i32 s12, 44
	s_cbranch_scc1 .LBB114_884
; %bb.882:
	v_add3_u32 v241, v246, 0, 0x2b0
	v_mov_b32_e32 v240, 42
	s_mov_b32 s2, 43
	s_set_inst_prefetch_distance 0x1
	.p2align	6
.LBB114_883:                            ; =>This Inner Loop Header: Depth=1
	s_waitcnt lgkmcnt(0)
	v_cmp_gt_f64_e32 vcc_lo, 0, v[232:233]
	v_xor_b32_e32 v212, 0x80000000, v233
	v_xor_b32_e32 v214, 0x80000000, v235
	ds_load_2addr_b64 v[249:252], v241 offset1:1
	v_add_nc_u32_e32 v241, 16, v241
	s_waitcnt lgkmcnt(0)
	v_xor_b32_e32 v216, 0x80000000, v252
	v_cndmask_b32_e32 v213, v233, v212, vcc_lo
	v_cndmask_b32_e32 v212, v232, v232, vcc_lo
	v_cmp_gt_f64_e32 vcc_lo, 0, v[234:235]
	v_cndmask_b32_e32 v215, v235, v214, vcc_lo
	v_cndmask_b32_e32 v214, v234, v234, vcc_lo
	v_cmp_gt_f64_e32 vcc_lo, 0, v[249:250]
	s_delay_alu instid0(VALU_DEP_2) | instskip(SKIP_1) | instid1(VALU_DEP_1)
	v_add_f64 v[212:213], v[212:213], v[214:215]
	v_xor_b32_e32 v214, 0x80000000, v250
	v_dual_cndmask_b32 v215, v250, v214 :: v_dual_mov_b32 v214, v249
	v_cmp_gt_f64_e32 vcc_lo, 0, v[251:252]
	v_dual_cndmask_b32 v217, v252, v216 :: v_dual_mov_b32 v216, v251
	s_delay_alu instid0(VALU_DEP_1) | instskip(NEXT) | instid1(VALU_DEP_1)
	v_add_f64 v[214:215], v[214:215], v[216:217]
	v_cmp_lt_f64_e32 vcc_lo, v[212:213], v[214:215]
	v_dual_cndmask_b32 v233, v233, v250 :: v_dual_cndmask_b32 v232, v232, v249
	v_dual_cndmask_b32 v235, v235, v252 :: v_dual_cndmask_b32 v234, v234, v251
	v_cndmask_b32_e64 v240, v240, s2, vcc_lo
	s_add_i32 s2, s2, 1
	s_delay_alu instid0(SALU_CYCLE_1)
	s_cmp_lg_u32 s12, s2
	s_cbranch_scc1 .LBB114_883
.LBB114_884:
	s_set_inst_prefetch_distance 0x2
	s_waitcnt lgkmcnt(0)
	v_cmp_eq_f64_e32 vcc_lo, 0, v[232:233]
	v_cmp_eq_f64_e64 s2, 0, v[234:235]
	s_delay_alu instid0(VALU_DEP_1) | instskip(NEXT) | instid1(SALU_CYCLE_1)
	s_and_b32 s2, vcc_lo, s2
	s_and_saveexec_b32 s3, s2
	s_delay_alu instid0(SALU_CYCLE_1)
	s_xor_b32 s2, exec_lo, s3
; %bb.885:
	v_cmp_ne_u32_e32 vcc_lo, 0, v245
	v_cndmask_b32_e32 v245, 43, v245, vcc_lo
; %bb.886:
	s_and_not1_saveexec_b32 s3, s2
	s_cbranch_execz .LBB114_892
; %bb.887:
	v_cmp_gt_f64_e32 vcc_lo, 0, v[232:233]
	v_cmp_gt_f64_e64 s2, 0, v[234:235]
	v_xor_b32_e32 v212, 0x80000000, v233
	v_xor_b32_e32 v214, 0x80000000, v235
	s_delay_alu instid0(VALU_DEP_2) | instskip(NEXT) | instid1(VALU_DEP_2)
	v_cndmask_b32_e32 v213, v233, v212, vcc_lo
	v_cndmask_b32_e64 v215, v235, v214, s2
	v_cndmask_b32_e32 v212, v232, v232, vcc_lo
	v_cndmask_b32_e64 v214, v234, v234, s2
	s_mov_b32 s2, exec_lo
	s_delay_alu instid0(VALU_DEP_1)
	v_cmpx_ngt_f64_e32 v[212:213], v[214:215]
	s_xor_b32 s2, exec_lo, s2
	s_cbranch_execz .LBB114_889
; %bb.888:
	v_div_scale_f64 v[212:213], null, v[234:235], v[234:235], v[232:233]
	v_div_scale_f64 v[218:219], vcc_lo, v[232:233], v[234:235], v[232:233]
	s_delay_alu instid0(VALU_DEP_2) | instskip(SKIP_2) | instid1(VALU_DEP_1)
	v_rcp_f64_e32 v[214:215], v[212:213]
	s_waitcnt_depctr 0xfff
	v_fma_f64 v[216:217], -v[212:213], v[214:215], 1.0
	v_fma_f64 v[214:215], v[214:215], v[216:217], v[214:215]
	s_delay_alu instid0(VALU_DEP_1) | instskip(NEXT) | instid1(VALU_DEP_1)
	v_fma_f64 v[216:217], -v[212:213], v[214:215], 1.0
	v_fma_f64 v[214:215], v[214:215], v[216:217], v[214:215]
	s_delay_alu instid0(VALU_DEP_1) | instskip(NEXT) | instid1(VALU_DEP_1)
	v_mul_f64 v[216:217], v[218:219], v[214:215]
	v_fma_f64 v[212:213], -v[212:213], v[216:217], v[218:219]
	s_delay_alu instid0(VALU_DEP_1) | instskip(NEXT) | instid1(VALU_DEP_1)
	v_div_fmas_f64 v[212:213], v[212:213], v[214:215], v[216:217]
	v_div_fixup_f64 v[212:213], v[212:213], v[234:235], v[232:233]
	s_delay_alu instid0(VALU_DEP_1) | instskip(NEXT) | instid1(VALU_DEP_1)
	v_fma_f64 v[214:215], v[232:233], v[212:213], v[234:235]
	v_div_scale_f64 v[216:217], null, v[214:215], v[214:215], 1.0
	s_delay_alu instid0(VALU_DEP_1) | instskip(SKIP_2) | instid1(VALU_DEP_1)
	v_rcp_f64_e32 v[218:219], v[216:217]
	s_waitcnt_depctr 0xfff
	v_fma_f64 v[220:221], -v[216:217], v[218:219], 1.0
	v_fma_f64 v[218:219], v[218:219], v[220:221], v[218:219]
	s_delay_alu instid0(VALU_DEP_1) | instskip(NEXT) | instid1(VALU_DEP_1)
	v_fma_f64 v[220:221], -v[216:217], v[218:219], 1.0
	v_fma_f64 v[218:219], v[218:219], v[220:221], v[218:219]
	v_div_scale_f64 v[220:221], vcc_lo, 1.0, v[214:215], 1.0
	s_delay_alu instid0(VALU_DEP_1) | instskip(NEXT) | instid1(VALU_DEP_1)
	v_mul_f64 v[222:223], v[220:221], v[218:219]
	v_fma_f64 v[216:217], -v[216:217], v[222:223], v[220:221]
	s_delay_alu instid0(VALU_DEP_1) | instskip(NEXT) | instid1(VALU_DEP_1)
	v_div_fmas_f64 v[216:217], v[216:217], v[218:219], v[222:223]
	v_div_fixup_f64 v[234:235], v[216:217], v[214:215], 1.0
	s_delay_alu instid0(VALU_DEP_1)
	v_mul_f64 v[232:233], v[212:213], v[234:235]
	v_xor_b32_e32 v235, 0x80000000, v235
.LBB114_889:
	s_and_not1_saveexec_b32 s2, s2
	s_cbranch_execz .LBB114_891
; %bb.890:
	s_delay_alu instid0(VALU_DEP_1) | instskip(SKIP_1) | instid1(VALU_DEP_2)
	v_div_scale_f64 v[212:213], null, v[232:233], v[232:233], v[234:235]
	v_div_scale_f64 v[218:219], vcc_lo, v[234:235], v[232:233], v[234:235]
	v_rcp_f64_e32 v[214:215], v[212:213]
	s_waitcnt_depctr 0xfff
	v_fma_f64 v[216:217], -v[212:213], v[214:215], 1.0
	s_delay_alu instid0(VALU_DEP_1) | instskip(NEXT) | instid1(VALU_DEP_1)
	v_fma_f64 v[214:215], v[214:215], v[216:217], v[214:215]
	v_fma_f64 v[216:217], -v[212:213], v[214:215], 1.0
	s_delay_alu instid0(VALU_DEP_1) | instskip(NEXT) | instid1(VALU_DEP_1)
	v_fma_f64 v[214:215], v[214:215], v[216:217], v[214:215]
	v_mul_f64 v[216:217], v[218:219], v[214:215]
	s_delay_alu instid0(VALU_DEP_1) | instskip(NEXT) | instid1(VALU_DEP_1)
	v_fma_f64 v[212:213], -v[212:213], v[216:217], v[218:219]
	v_div_fmas_f64 v[212:213], v[212:213], v[214:215], v[216:217]
	s_delay_alu instid0(VALU_DEP_1) | instskip(NEXT) | instid1(VALU_DEP_1)
	v_div_fixup_f64 v[212:213], v[212:213], v[232:233], v[234:235]
	v_fma_f64 v[214:215], v[234:235], v[212:213], v[232:233]
	s_delay_alu instid0(VALU_DEP_1) | instskip(NEXT) | instid1(VALU_DEP_1)
	v_div_scale_f64 v[216:217], null, v[214:215], v[214:215], 1.0
	v_rcp_f64_e32 v[218:219], v[216:217]
	s_waitcnt_depctr 0xfff
	v_fma_f64 v[220:221], -v[216:217], v[218:219], 1.0
	s_delay_alu instid0(VALU_DEP_1) | instskip(NEXT) | instid1(VALU_DEP_1)
	v_fma_f64 v[218:219], v[218:219], v[220:221], v[218:219]
	v_fma_f64 v[220:221], -v[216:217], v[218:219], 1.0
	s_delay_alu instid0(VALU_DEP_1) | instskip(SKIP_1) | instid1(VALU_DEP_1)
	v_fma_f64 v[218:219], v[218:219], v[220:221], v[218:219]
	v_div_scale_f64 v[220:221], vcc_lo, 1.0, v[214:215], 1.0
	v_mul_f64 v[222:223], v[220:221], v[218:219]
	s_delay_alu instid0(VALU_DEP_1) | instskip(NEXT) | instid1(VALU_DEP_1)
	v_fma_f64 v[216:217], -v[216:217], v[222:223], v[220:221]
	v_div_fmas_f64 v[216:217], v[216:217], v[218:219], v[222:223]
	s_delay_alu instid0(VALU_DEP_1) | instskip(NEXT) | instid1(VALU_DEP_1)
	v_div_fixup_f64 v[232:233], v[216:217], v[214:215], 1.0
	v_mul_f64 v[234:235], v[212:213], -v[232:233]
.LBB114_891:
	s_or_b32 exec_lo, exec_lo, s2
.LBB114_892:
	s_delay_alu instid0(SALU_CYCLE_1) | instskip(NEXT) | instid1(SALU_CYCLE_1)
	s_or_b32 exec_lo, exec_lo, s3
	s_mov_b32 s2, exec_lo
	v_cmpx_ne_u32_e64 v248, v240
	s_xor_b32 s2, exec_lo, s2
	s_cbranch_execz .LBB114_898
; %bb.893:
	s_mov_b32 s3, exec_lo
	v_cmpx_eq_u32_e32 42, v248
	s_cbranch_execz .LBB114_897
; %bb.894:
	v_cmp_ne_u32_e32 vcc_lo, 42, v240
	s_xor_b32 s4, s5, -1
	s_delay_alu instid0(SALU_CYCLE_1) | instskip(NEXT) | instid1(SALU_CYCLE_1)
	s_and_b32 s6, s4, vcc_lo
	s_and_saveexec_b32 s4, s6
	s_cbranch_execz .LBB114_896
; %bb.895:
	scratch_load_b64 v[208:209], off, off   ; 8-byte Folded Reload
	v_ashrrev_i32_e32 v241, 31, v240
	s_delay_alu instid0(VALU_DEP_1) | instskip(SKIP_1) | instid1(VALU_DEP_1)
	v_lshlrev_b64 v[212:213], 2, v[240:241]
	s_waitcnt vmcnt(0)
	v_add_co_u32 v212, vcc_lo, v208, v212
	s_delay_alu instid0(VALU_DEP_2)
	v_add_co_ci_u32_e32 v213, vcc_lo, v209, v213, vcc_lo
	s_clause 0x1
	flat_load_b32 v214, v[212:213]
	flat_load_b32 v215, v[208:209] offset:168
	s_waitcnt vmcnt(1) lgkmcnt(1)
	flat_store_b32 v[208:209], v214 offset:168
	s_waitcnt vmcnt(0) lgkmcnt(1)
	flat_store_b32 v[212:213], v215
.LBB114_896:
	s_or_b32 exec_lo, exec_lo, s4
	v_mov_b32_e32 v248, v240
	v_mov_b32_e32 v236, v240
.LBB114_897:
	s_or_b32 exec_lo, exec_lo, s3
.LBB114_898:
	s_and_not1_saveexec_b32 s2, s2
	s_cbranch_execz .LBB114_900
; %bb.899:
	v_mov_b32_e32 v248, 42
	ds_store_2addr_b64 v242, v[56:57], v[58:59] offset0:86 offset1:87
	ds_store_2addr_b64 v242, v[52:53], v[54:55] offset0:88 offset1:89
	;; [unrolled: 1-line block ×15, first 2 shown]
.LBB114_900:
	s_or_b32 exec_lo, exec_lo, s2
	s_delay_alu instid0(SALU_CYCLE_1)
	s_mov_b32 s2, exec_lo
	s_waitcnt lgkmcnt(0)
	s_waitcnt_vscnt null, 0x0
	s_barrier
	buffer_gl0_inv
	v_cmpx_lt_i32_e32 42, v248
	s_cbranch_execz .LBB114_902
; %bb.901:
	v_mul_f64 v[212:213], v[232:233], v[62:63]
	v_mul_f64 v[62:63], v[234:235], v[62:63]
	s_delay_alu instid0(VALU_DEP_2) | instskip(NEXT) | instid1(VALU_DEP_2)
	v_fma_f64 v[240:241], v[234:235], v[60:61], v[212:213]
	v_fma_f64 v[60:61], v[232:233], v[60:61], -v[62:63]
	ds_load_2addr_b64 v[232:235], v242 offset0:86 offset1:87
	s_waitcnt lgkmcnt(0)
	v_mul_f64 v[62:63], v[234:235], v[240:241]
	v_mul_f64 v[212:213], v[232:233], v[240:241]
	s_delay_alu instid0(VALU_DEP_2) | instskip(NEXT) | instid1(VALU_DEP_2)
	v_fma_f64 v[62:63], v[232:233], v[60:61], -v[62:63]
	v_fma_f64 v[212:213], v[234:235], v[60:61], v[212:213]
	ds_load_2addr_b64 v[232:235], v242 offset0:88 offset1:89
	v_add_f64 v[56:57], v[56:57], -v[62:63]
	v_add_f64 v[58:59], v[58:59], -v[212:213]
	s_waitcnt lgkmcnt(0)
	v_mul_f64 v[62:63], v[234:235], v[240:241]
	v_mul_f64 v[212:213], v[232:233], v[240:241]
	s_delay_alu instid0(VALU_DEP_2) | instskip(NEXT) | instid1(VALU_DEP_2)
	v_fma_f64 v[62:63], v[232:233], v[60:61], -v[62:63]
	v_fma_f64 v[212:213], v[234:235], v[60:61], v[212:213]
	ds_load_2addr_b64 v[232:235], v242 offset0:90 offset1:91
	v_add_f64 v[52:53], v[52:53], -v[62:63]
	v_add_f64 v[54:55], v[54:55], -v[212:213]
	;; [unrolled: 9-line block ×14, first 2 shown]
	s_waitcnt lgkmcnt(0)
	v_mul_f64 v[62:63], v[234:235], v[240:241]
	v_mul_f64 v[212:213], v[232:233], v[240:241]
	s_delay_alu instid0(VALU_DEP_2) | instskip(NEXT) | instid1(VALU_DEP_2)
	v_fma_f64 v[62:63], v[232:233], v[60:61], -v[62:63]
	v_fma_f64 v[212:213], v[234:235], v[60:61], v[212:213]
	s_delay_alu instid0(VALU_DEP_2) | instskip(NEXT) | instid1(VALU_DEP_2)
	v_add_f64 v[0:1], v[0:1], -v[62:63]
	v_add_f64 v[2:3], v[2:3], -v[212:213]
	v_dual_mov_b32 v62, v240 :: v_dual_mov_b32 v63, v241
.LBB114_902:
	s_or_b32 exec_lo, exec_lo, s2
	v_lshl_add_u32 v212, v248, 4, v242
	s_barrier
	buffer_gl0_inv
	v_mov_b32_e32 v240, 43
	ds_store_2addr_b64 v212, v[56:57], v[58:59] offset1:1
	s_waitcnt lgkmcnt(0)
	s_barrier
	buffer_gl0_inv
	ds_load_2addr_b64 v[232:235], v242 offset0:86 offset1:87
	s_cmp_lt_i32 s12, 45
	s_cbranch_scc1 .LBB114_905
; %bb.903:
	v_add3_u32 v241, v246, 0, 0x2c0
	v_mov_b32_e32 v240, 43
	s_mov_b32 s2, 44
	s_set_inst_prefetch_distance 0x1
	.p2align	6
.LBB114_904:                            ; =>This Inner Loop Header: Depth=1
	s_waitcnt lgkmcnt(0)
	v_cmp_gt_f64_e32 vcc_lo, 0, v[232:233]
	v_xor_b32_e32 v212, 0x80000000, v233
	v_xor_b32_e32 v214, 0x80000000, v235
	ds_load_2addr_b64 v[249:252], v241 offset1:1
	v_add_nc_u32_e32 v241, 16, v241
	s_waitcnt lgkmcnt(0)
	v_xor_b32_e32 v216, 0x80000000, v252
	v_cndmask_b32_e32 v213, v233, v212, vcc_lo
	v_cndmask_b32_e32 v212, v232, v232, vcc_lo
	v_cmp_gt_f64_e32 vcc_lo, 0, v[234:235]
	v_cndmask_b32_e32 v215, v235, v214, vcc_lo
	v_cndmask_b32_e32 v214, v234, v234, vcc_lo
	v_cmp_gt_f64_e32 vcc_lo, 0, v[249:250]
	s_delay_alu instid0(VALU_DEP_2) | instskip(SKIP_1) | instid1(VALU_DEP_1)
	v_add_f64 v[212:213], v[212:213], v[214:215]
	v_xor_b32_e32 v214, 0x80000000, v250
	v_dual_cndmask_b32 v215, v250, v214 :: v_dual_mov_b32 v214, v249
	v_cmp_gt_f64_e32 vcc_lo, 0, v[251:252]
	v_dual_cndmask_b32 v217, v252, v216 :: v_dual_mov_b32 v216, v251
	s_delay_alu instid0(VALU_DEP_1) | instskip(NEXT) | instid1(VALU_DEP_1)
	v_add_f64 v[214:215], v[214:215], v[216:217]
	v_cmp_lt_f64_e32 vcc_lo, v[212:213], v[214:215]
	v_dual_cndmask_b32 v233, v233, v250 :: v_dual_cndmask_b32 v232, v232, v249
	v_dual_cndmask_b32 v235, v235, v252 :: v_dual_cndmask_b32 v234, v234, v251
	v_cndmask_b32_e64 v240, v240, s2, vcc_lo
	s_add_i32 s2, s2, 1
	s_delay_alu instid0(SALU_CYCLE_1)
	s_cmp_lg_u32 s12, s2
	s_cbranch_scc1 .LBB114_904
.LBB114_905:
	s_set_inst_prefetch_distance 0x2
	s_waitcnt lgkmcnt(0)
	v_cmp_eq_f64_e32 vcc_lo, 0, v[232:233]
	v_cmp_eq_f64_e64 s2, 0, v[234:235]
	s_delay_alu instid0(VALU_DEP_1) | instskip(NEXT) | instid1(SALU_CYCLE_1)
	s_and_b32 s2, vcc_lo, s2
	s_and_saveexec_b32 s3, s2
	s_delay_alu instid0(SALU_CYCLE_1)
	s_xor_b32 s2, exec_lo, s3
; %bb.906:
	v_cmp_ne_u32_e32 vcc_lo, 0, v245
	v_cndmask_b32_e32 v245, 44, v245, vcc_lo
; %bb.907:
	s_and_not1_saveexec_b32 s3, s2
	s_cbranch_execz .LBB114_913
; %bb.908:
	v_cmp_gt_f64_e32 vcc_lo, 0, v[232:233]
	v_cmp_gt_f64_e64 s2, 0, v[234:235]
	v_xor_b32_e32 v212, 0x80000000, v233
	v_xor_b32_e32 v214, 0x80000000, v235
	s_delay_alu instid0(VALU_DEP_2) | instskip(NEXT) | instid1(VALU_DEP_2)
	v_cndmask_b32_e32 v213, v233, v212, vcc_lo
	v_cndmask_b32_e64 v215, v235, v214, s2
	v_cndmask_b32_e32 v212, v232, v232, vcc_lo
	v_cndmask_b32_e64 v214, v234, v234, s2
	s_mov_b32 s2, exec_lo
	s_delay_alu instid0(VALU_DEP_1)
	v_cmpx_ngt_f64_e32 v[212:213], v[214:215]
	s_xor_b32 s2, exec_lo, s2
	s_cbranch_execz .LBB114_910
; %bb.909:
	v_div_scale_f64 v[212:213], null, v[234:235], v[234:235], v[232:233]
	v_div_scale_f64 v[218:219], vcc_lo, v[232:233], v[234:235], v[232:233]
	s_delay_alu instid0(VALU_DEP_2) | instskip(SKIP_2) | instid1(VALU_DEP_1)
	v_rcp_f64_e32 v[214:215], v[212:213]
	s_waitcnt_depctr 0xfff
	v_fma_f64 v[216:217], -v[212:213], v[214:215], 1.0
	v_fma_f64 v[214:215], v[214:215], v[216:217], v[214:215]
	s_delay_alu instid0(VALU_DEP_1) | instskip(NEXT) | instid1(VALU_DEP_1)
	v_fma_f64 v[216:217], -v[212:213], v[214:215], 1.0
	v_fma_f64 v[214:215], v[214:215], v[216:217], v[214:215]
	s_delay_alu instid0(VALU_DEP_1) | instskip(NEXT) | instid1(VALU_DEP_1)
	v_mul_f64 v[216:217], v[218:219], v[214:215]
	v_fma_f64 v[212:213], -v[212:213], v[216:217], v[218:219]
	s_delay_alu instid0(VALU_DEP_1) | instskip(NEXT) | instid1(VALU_DEP_1)
	v_div_fmas_f64 v[212:213], v[212:213], v[214:215], v[216:217]
	v_div_fixup_f64 v[212:213], v[212:213], v[234:235], v[232:233]
	s_delay_alu instid0(VALU_DEP_1) | instskip(NEXT) | instid1(VALU_DEP_1)
	v_fma_f64 v[214:215], v[232:233], v[212:213], v[234:235]
	v_div_scale_f64 v[216:217], null, v[214:215], v[214:215], 1.0
	s_delay_alu instid0(VALU_DEP_1) | instskip(SKIP_2) | instid1(VALU_DEP_1)
	v_rcp_f64_e32 v[218:219], v[216:217]
	s_waitcnt_depctr 0xfff
	v_fma_f64 v[220:221], -v[216:217], v[218:219], 1.0
	v_fma_f64 v[218:219], v[218:219], v[220:221], v[218:219]
	s_delay_alu instid0(VALU_DEP_1) | instskip(NEXT) | instid1(VALU_DEP_1)
	v_fma_f64 v[220:221], -v[216:217], v[218:219], 1.0
	v_fma_f64 v[218:219], v[218:219], v[220:221], v[218:219]
	v_div_scale_f64 v[220:221], vcc_lo, 1.0, v[214:215], 1.0
	s_delay_alu instid0(VALU_DEP_1) | instskip(NEXT) | instid1(VALU_DEP_1)
	v_mul_f64 v[222:223], v[220:221], v[218:219]
	v_fma_f64 v[216:217], -v[216:217], v[222:223], v[220:221]
	s_delay_alu instid0(VALU_DEP_1) | instskip(NEXT) | instid1(VALU_DEP_1)
	v_div_fmas_f64 v[216:217], v[216:217], v[218:219], v[222:223]
	v_div_fixup_f64 v[234:235], v[216:217], v[214:215], 1.0
	s_delay_alu instid0(VALU_DEP_1)
	v_mul_f64 v[232:233], v[212:213], v[234:235]
	v_xor_b32_e32 v235, 0x80000000, v235
.LBB114_910:
	s_and_not1_saveexec_b32 s2, s2
	s_cbranch_execz .LBB114_912
; %bb.911:
	s_delay_alu instid0(VALU_DEP_1) | instskip(SKIP_1) | instid1(VALU_DEP_2)
	v_div_scale_f64 v[212:213], null, v[232:233], v[232:233], v[234:235]
	v_div_scale_f64 v[218:219], vcc_lo, v[234:235], v[232:233], v[234:235]
	v_rcp_f64_e32 v[214:215], v[212:213]
	s_waitcnt_depctr 0xfff
	v_fma_f64 v[216:217], -v[212:213], v[214:215], 1.0
	s_delay_alu instid0(VALU_DEP_1) | instskip(NEXT) | instid1(VALU_DEP_1)
	v_fma_f64 v[214:215], v[214:215], v[216:217], v[214:215]
	v_fma_f64 v[216:217], -v[212:213], v[214:215], 1.0
	s_delay_alu instid0(VALU_DEP_1) | instskip(NEXT) | instid1(VALU_DEP_1)
	v_fma_f64 v[214:215], v[214:215], v[216:217], v[214:215]
	v_mul_f64 v[216:217], v[218:219], v[214:215]
	s_delay_alu instid0(VALU_DEP_1) | instskip(NEXT) | instid1(VALU_DEP_1)
	v_fma_f64 v[212:213], -v[212:213], v[216:217], v[218:219]
	v_div_fmas_f64 v[212:213], v[212:213], v[214:215], v[216:217]
	s_delay_alu instid0(VALU_DEP_1) | instskip(NEXT) | instid1(VALU_DEP_1)
	v_div_fixup_f64 v[212:213], v[212:213], v[232:233], v[234:235]
	v_fma_f64 v[214:215], v[234:235], v[212:213], v[232:233]
	s_delay_alu instid0(VALU_DEP_1) | instskip(NEXT) | instid1(VALU_DEP_1)
	v_div_scale_f64 v[216:217], null, v[214:215], v[214:215], 1.0
	v_rcp_f64_e32 v[218:219], v[216:217]
	s_waitcnt_depctr 0xfff
	v_fma_f64 v[220:221], -v[216:217], v[218:219], 1.0
	s_delay_alu instid0(VALU_DEP_1) | instskip(NEXT) | instid1(VALU_DEP_1)
	v_fma_f64 v[218:219], v[218:219], v[220:221], v[218:219]
	v_fma_f64 v[220:221], -v[216:217], v[218:219], 1.0
	s_delay_alu instid0(VALU_DEP_1) | instskip(SKIP_1) | instid1(VALU_DEP_1)
	v_fma_f64 v[218:219], v[218:219], v[220:221], v[218:219]
	v_div_scale_f64 v[220:221], vcc_lo, 1.0, v[214:215], 1.0
	v_mul_f64 v[222:223], v[220:221], v[218:219]
	s_delay_alu instid0(VALU_DEP_1) | instskip(NEXT) | instid1(VALU_DEP_1)
	v_fma_f64 v[216:217], -v[216:217], v[222:223], v[220:221]
	v_div_fmas_f64 v[216:217], v[216:217], v[218:219], v[222:223]
	s_delay_alu instid0(VALU_DEP_1) | instskip(NEXT) | instid1(VALU_DEP_1)
	v_div_fixup_f64 v[232:233], v[216:217], v[214:215], 1.0
	v_mul_f64 v[234:235], v[212:213], -v[232:233]
.LBB114_912:
	s_or_b32 exec_lo, exec_lo, s2
.LBB114_913:
	s_delay_alu instid0(SALU_CYCLE_1) | instskip(NEXT) | instid1(SALU_CYCLE_1)
	s_or_b32 exec_lo, exec_lo, s3
	s_mov_b32 s2, exec_lo
	v_cmpx_ne_u32_e64 v248, v240
	s_xor_b32 s2, exec_lo, s2
	s_cbranch_execz .LBB114_919
; %bb.914:
	s_mov_b32 s3, exec_lo
	v_cmpx_eq_u32_e32 43, v248
	s_cbranch_execz .LBB114_918
; %bb.915:
	v_cmp_ne_u32_e32 vcc_lo, 43, v240
	s_xor_b32 s4, s5, -1
	s_delay_alu instid0(SALU_CYCLE_1) | instskip(NEXT) | instid1(SALU_CYCLE_1)
	s_and_b32 s6, s4, vcc_lo
	s_and_saveexec_b32 s4, s6
	s_cbranch_execz .LBB114_917
; %bb.916:
	scratch_load_b64 v[208:209], off, off   ; 8-byte Folded Reload
	v_ashrrev_i32_e32 v241, 31, v240
	s_delay_alu instid0(VALU_DEP_1) | instskip(SKIP_1) | instid1(VALU_DEP_1)
	v_lshlrev_b64 v[212:213], 2, v[240:241]
	s_waitcnt vmcnt(0)
	v_add_co_u32 v212, vcc_lo, v208, v212
	s_delay_alu instid0(VALU_DEP_2)
	v_add_co_ci_u32_e32 v213, vcc_lo, v209, v213, vcc_lo
	s_clause 0x1
	flat_load_b32 v214, v[212:213]
	flat_load_b32 v215, v[208:209] offset:172
	s_waitcnt vmcnt(1) lgkmcnt(1)
	flat_store_b32 v[208:209], v214 offset:172
	s_waitcnt vmcnt(0) lgkmcnt(1)
	flat_store_b32 v[212:213], v215
.LBB114_917:
	s_or_b32 exec_lo, exec_lo, s4
	v_mov_b32_e32 v248, v240
	v_mov_b32_e32 v236, v240
.LBB114_918:
	s_or_b32 exec_lo, exec_lo, s3
.LBB114_919:
	s_and_not1_saveexec_b32 s2, s2
	s_cbranch_execz .LBB114_921
; %bb.920:
	v_mov_b32_e32 v248, 43
	ds_store_2addr_b64 v242, v[52:53], v[54:55] offset0:88 offset1:89
	ds_store_2addr_b64 v242, v[48:49], v[50:51] offset0:90 offset1:91
	;; [unrolled: 1-line block ×14, first 2 shown]
.LBB114_921:
	s_or_b32 exec_lo, exec_lo, s2
	s_delay_alu instid0(SALU_CYCLE_1)
	s_mov_b32 s2, exec_lo
	s_waitcnt lgkmcnt(0)
	s_waitcnt_vscnt null, 0x0
	s_barrier
	buffer_gl0_inv
	v_cmpx_lt_i32_e32 43, v248
	s_cbranch_execz .LBB114_923
; %bb.922:
	v_mul_f64 v[212:213], v[232:233], v[58:59]
	v_mul_f64 v[58:59], v[234:235], v[58:59]
	s_delay_alu instid0(VALU_DEP_2) | instskip(NEXT) | instid1(VALU_DEP_2)
	v_fma_f64 v[240:241], v[234:235], v[56:57], v[212:213]
	v_fma_f64 v[56:57], v[232:233], v[56:57], -v[58:59]
	ds_load_2addr_b64 v[232:235], v242 offset0:88 offset1:89
	s_waitcnt lgkmcnt(0)
	v_mul_f64 v[58:59], v[234:235], v[240:241]
	v_mul_f64 v[212:213], v[232:233], v[240:241]
	s_delay_alu instid0(VALU_DEP_2) | instskip(NEXT) | instid1(VALU_DEP_2)
	v_fma_f64 v[58:59], v[232:233], v[56:57], -v[58:59]
	v_fma_f64 v[212:213], v[234:235], v[56:57], v[212:213]
	ds_load_2addr_b64 v[232:235], v242 offset0:90 offset1:91
	v_add_f64 v[52:53], v[52:53], -v[58:59]
	v_add_f64 v[54:55], v[54:55], -v[212:213]
	s_waitcnt lgkmcnt(0)
	v_mul_f64 v[58:59], v[234:235], v[240:241]
	v_mul_f64 v[212:213], v[232:233], v[240:241]
	s_delay_alu instid0(VALU_DEP_2) | instskip(NEXT) | instid1(VALU_DEP_2)
	v_fma_f64 v[58:59], v[232:233], v[56:57], -v[58:59]
	v_fma_f64 v[212:213], v[234:235], v[56:57], v[212:213]
	ds_load_2addr_b64 v[232:235], v242 offset0:92 offset1:93
	v_add_f64 v[48:49], v[48:49], -v[58:59]
	v_add_f64 v[50:51], v[50:51], -v[212:213]
	;; [unrolled: 9-line block ×13, first 2 shown]
	s_waitcnt lgkmcnt(0)
	v_mul_f64 v[58:59], v[234:235], v[240:241]
	v_mul_f64 v[212:213], v[232:233], v[240:241]
	s_delay_alu instid0(VALU_DEP_2) | instskip(NEXT) | instid1(VALU_DEP_2)
	v_fma_f64 v[58:59], v[232:233], v[56:57], -v[58:59]
	v_fma_f64 v[212:213], v[234:235], v[56:57], v[212:213]
	s_delay_alu instid0(VALU_DEP_2) | instskip(NEXT) | instid1(VALU_DEP_2)
	v_add_f64 v[0:1], v[0:1], -v[58:59]
	v_add_f64 v[2:3], v[2:3], -v[212:213]
	v_dual_mov_b32 v58, v240 :: v_dual_mov_b32 v59, v241
.LBB114_923:
	s_or_b32 exec_lo, exec_lo, s2
	v_lshl_add_u32 v212, v248, 4, v242
	s_barrier
	buffer_gl0_inv
	v_mov_b32_e32 v240, 44
	ds_store_2addr_b64 v212, v[52:53], v[54:55] offset1:1
	s_waitcnt lgkmcnt(0)
	s_barrier
	buffer_gl0_inv
	ds_load_2addr_b64 v[232:235], v242 offset0:88 offset1:89
	s_cmp_lt_i32 s12, 46
	s_cbranch_scc1 .LBB114_926
; %bb.924:
	v_add3_u32 v241, v246, 0, 0x2d0
	v_mov_b32_e32 v240, 44
	s_mov_b32 s2, 45
	s_set_inst_prefetch_distance 0x1
	.p2align	6
.LBB114_925:                            ; =>This Inner Loop Header: Depth=1
	s_waitcnt lgkmcnt(0)
	v_cmp_gt_f64_e32 vcc_lo, 0, v[232:233]
	v_xor_b32_e32 v212, 0x80000000, v233
	v_xor_b32_e32 v214, 0x80000000, v235
	ds_load_2addr_b64 v[249:252], v241 offset1:1
	v_add_nc_u32_e32 v241, 16, v241
	s_waitcnt lgkmcnt(0)
	v_xor_b32_e32 v216, 0x80000000, v252
	v_cndmask_b32_e32 v213, v233, v212, vcc_lo
	v_cndmask_b32_e32 v212, v232, v232, vcc_lo
	v_cmp_gt_f64_e32 vcc_lo, 0, v[234:235]
	v_cndmask_b32_e32 v215, v235, v214, vcc_lo
	v_cndmask_b32_e32 v214, v234, v234, vcc_lo
	v_cmp_gt_f64_e32 vcc_lo, 0, v[249:250]
	s_delay_alu instid0(VALU_DEP_2) | instskip(SKIP_1) | instid1(VALU_DEP_1)
	v_add_f64 v[212:213], v[212:213], v[214:215]
	v_xor_b32_e32 v214, 0x80000000, v250
	v_dual_cndmask_b32 v215, v250, v214 :: v_dual_mov_b32 v214, v249
	v_cmp_gt_f64_e32 vcc_lo, 0, v[251:252]
	v_dual_cndmask_b32 v217, v252, v216 :: v_dual_mov_b32 v216, v251
	s_delay_alu instid0(VALU_DEP_1) | instskip(NEXT) | instid1(VALU_DEP_1)
	v_add_f64 v[214:215], v[214:215], v[216:217]
	v_cmp_lt_f64_e32 vcc_lo, v[212:213], v[214:215]
	v_dual_cndmask_b32 v233, v233, v250 :: v_dual_cndmask_b32 v232, v232, v249
	v_dual_cndmask_b32 v235, v235, v252 :: v_dual_cndmask_b32 v234, v234, v251
	v_cndmask_b32_e64 v240, v240, s2, vcc_lo
	s_add_i32 s2, s2, 1
	s_delay_alu instid0(SALU_CYCLE_1)
	s_cmp_lg_u32 s12, s2
	s_cbranch_scc1 .LBB114_925
.LBB114_926:
	s_set_inst_prefetch_distance 0x2
	s_waitcnt lgkmcnt(0)
	v_cmp_eq_f64_e32 vcc_lo, 0, v[232:233]
	v_cmp_eq_f64_e64 s2, 0, v[234:235]
	s_delay_alu instid0(VALU_DEP_1) | instskip(NEXT) | instid1(SALU_CYCLE_1)
	s_and_b32 s2, vcc_lo, s2
	s_and_saveexec_b32 s3, s2
	s_delay_alu instid0(SALU_CYCLE_1)
	s_xor_b32 s2, exec_lo, s3
; %bb.927:
	v_cmp_ne_u32_e32 vcc_lo, 0, v245
	v_cndmask_b32_e32 v245, 45, v245, vcc_lo
; %bb.928:
	s_and_not1_saveexec_b32 s3, s2
	s_cbranch_execz .LBB114_934
; %bb.929:
	v_cmp_gt_f64_e32 vcc_lo, 0, v[232:233]
	v_cmp_gt_f64_e64 s2, 0, v[234:235]
	v_xor_b32_e32 v212, 0x80000000, v233
	v_xor_b32_e32 v214, 0x80000000, v235
	s_delay_alu instid0(VALU_DEP_2) | instskip(NEXT) | instid1(VALU_DEP_2)
	v_cndmask_b32_e32 v213, v233, v212, vcc_lo
	v_cndmask_b32_e64 v215, v235, v214, s2
	v_cndmask_b32_e32 v212, v232, v232, vcc_lo
	v_cndmask_b32_e64 v214, v234, v234, s2
	s_mov_b32 s2, exec_lo
	s_delay_alu instid0(VALU_DEP_1)
	v_cmpx_ngt_f64_e32 v[212:213], v[214:215]
	s_xor_b32 s2, exec_lo, s2
	s_cbranch_execz .LBB114_931
; %bb.930:
	v_div_scale_f64 v[212:213], null, v[234:235], v[234:235], v[232:233]
	v_div_scale_f64 v[218:219], vcc_lo, v[232:233], v[234:235], v[232:233]
	s_delay_alu instid0(VALU_DEP_2) | instskip(SKIP_2) | instid1(VALU_DEP_1)
	v_rcp_f64_e32 v[214:215], v[212:213]
	s_waitcnt_depctr 0xfff
	v_fma_f64 v[216:217], -v[212:213], v[214:215], 1.0
	v_fma_f64 v[214:215], v[214:215], v[216:217], v[214:215]
	s_delay_alu instid0(VALU_DEP_1) | instskip(NEXT) | instid1(VALU_DEP_1)
	v_fma_f64 v[216:217], -v[212:213], v[214:215], 1.0
	v_fma_f64 v[214:215], v[214:215], v[216:217], v[214:215]
	s_delay_alu instid0(VALU_DEP_1) | instskip(NEXT) | instid1(VALU_DEP_1)
	v_mul_f64 v[216:217], v[218:219], v[214:215]
	v_fma_f64 v[212:213], -v[212:213], v[216:217], v[218:219]
	s_delay_alu instid0(VALU_DEP_1) | instskip(NEXT) | instid1(VALU_DEP_1)
	v_div_fmas_f64 v[212:213], v[212:213], v[214:215], v[216:217]
	v_div_fixup_f64 v[212:213], v[212:213], v[234:235], v[232:233]
	s_delay_alu instid0(VALU_DEP_1) | instskip(NEXT) | instid1(VALU_DEP_1)
	v_fma_f64 v[214:215], v[232:233], v[212:213], v[234:235]
	v_div_scale_f64 v[216:217], null, v[214:215], v[214:215], 1.0
	s_delay_alu instid0(VALU_DEP_1) | instskip(SKIP_2) | instid1(VALU_DEP_1)
	v_rcp_f64_e32 v[218:219], v[216:217]
	s_waitcnt_depctr 0xfff
	v_fma_f64 v[220:221], -v[216:217], v[218:219], 1.0
	v_fma_f64 v[218:219], v[218:219], v[220:221], v[218:219]
	s_delay_alu instid0(VALU_DEP_1) | instskip(NEXT) | instid1(VALU_DEP_1)
	v_fma_f64 v[220:221], -v[216:217], v[218:219], 1.0
	v_fma_f64 v[218:219], v[218:219], v[220:221], v[218:219]
	v_div_scale_f64 v[220:221], vcc_lo, 1.0, v[214:215], 1.0
	s_delay_alu instid0(VALU_DEP_1) | instskip(NEXT) | instid1(VALU_DEP_1)
	v_mul_f64 v[222:223], v[220:221], v[218:219]
	v_fma_f64 v[216:217], -v[216:217], v[222:223], v[220:221]
	s_delay_alu instid0(VALU_DEP_1) | instskip(NEXT) | instid1(VALU_DEP_1)
	v_div_fmas_f64 v[216:217], v[216:217], v[218:219], v[222:223]
	v_div_fixup_f64 v[234:235], v[216:217], v[214:215], 1.0
	s_delay_alu instid0(VALU_DEP_1)
	v_mul_f64 v[232:233], v[212:213], v[234:235]
	v_xor_b32_e32 v235, 0x80000000, v235
.LBB114_931:
	s_and_not1_saveexec_b32 s2, s2
	s_cbranch_execz .LBB114_933
; %bb.932:
	s_delay_alu instid0(VALU_DEP_1) | instskip(SKIP_1) | instid1(VALU_DEP_2)
	v_div_scale_f64 v[212:213], null, v[232:233], v[232:233], v[234:235]
	v_div_scale_f64 v[218:219], vcc_lo, v[234:235], v[232:233], v[234:235]
	v_rcp_f64_e32 v[214:215], v[212:213]
	s_waitcnt_depctr 0xfff
	v_fma_f64 v[216:217], -v[212:213], v[214:215], 1.0
	s_delay_alu instid0(VALU_DEP_1) | instskip(NEXT) | instid1(VALU_DEP_1)
	v_fma_f64 v[214:215], v[214:215], v[216:217], v[214:215]
	v_fma_f64 v[216:217], -v[212:213], v[214:215], 1.0
	s_delay_alu instid0(VALU_DEP_1) | instskip(NEXT) | instid1(VALU_DEP_1)
	v_fma_f64 v[214:215], v[214:215], v[216:217], v[214:215]
	v_mul_f64 v[216:217], v[218:219], v[214:215]
	s_delay_alu instid0(VALU_DEP_1) | instskip(NEXT) | instid1(VALU_DEP_1)
	v_fma_f64 v[212:213], -v[212:213], v[216:217], v[218:219]
	v_div_fmas_f64 v[212:213], v[212:213], v[214:215], v[216:217]
	s_delay_alu instid0(VALU_DEP_1) | instskip(NEXT) | instid1(VALU_DEP_1)
	v_div_fixup_f64 v[212:213], v[212:213], v[232:233], v[234:235]
	v_fma_f64 v[214:215], v[234:235], v[212:213], v[232:233]
	s_delay_alu instid0(VALU_DEP_1) | instskip(NEXT) | instid1(VALU_DEP_1)
	v_div_scale_f64 v[216:217], null, v[214:215], v[214:215], 1.0
	v_rcp_f64_e32 v[218:219], v[216:217]
	s_waitcnt_depctr 0xfff
	v_fma_f64 v[220:221], -v[216:217], v[218:219], 1.0
	s_delay_alu instid0(VALU_DEP_1) | instskip(NEXT) | instid1(VALU_DEP_1)
	v_fma_f64 v[218:219], v[218:219], v[220:221], v[218:219]
	v_fma_f64 v[220:221], -v[216:217], v[218:219], 1.0
	s_delay_alu instid0(VALU_DEP_1) | instskip(SKIP_1) | instid1(VALU_DEP_1)
	v_fma_f64 v[218:219], v[218:219], v[220:221], v[218:219]
	v_div_scale_f64 v[220:221], vcc_lo, 1.0, v[214:215], 1.0
	v_mul_f64 v[222:223], v[220:221], v[218:219]
	s_delay_alu instid0(VALU_DEP_1) | instskip(NEXT) | instid1(VALU_DEP_1)
	v_fma_f64 v[216:217], -v[216:217], v[222:223], v[220:221]
	v_div_fmas_f64 v[216:217], v[216:217], v[218:219], v[222:223]
	s_delay_alu instid0(VALU_DEP_1) | instskip(NEXT) | instid1(VALU_DEP_1)
	v_div_fixup_f64 v[232:233], v[216:217], v[214:215], 1.0
	v_mul_f64 v[234:235], v[212:213], -v[232:233]
.LBB114_933:
	s_or_b32 exec_lo, exec_lo, s2
.LBB114_934:
	s_delay_alu instid0(SALU_CYCLE_1) | instskip(NEXT) | instid1(SALU_CYCLE_1)
	s_or_b32 exec_lo, exec_lo, s3
	s_mov_b32 s2, exec_lo
	v_cmpx_ne_u32_e64 v248, v240
	s_xor_b32 s2, exec_lo, s2
	s_cbranch_execz .LBB114_940
; %bb.935:
	s_mov_b32 s3, exec_lo
	v_cmpx_eq_u32_e32 44, v248
	s_cbranch_execz .LBB114_939
; %bb.936:
	v_cmp_ne_u32_e32 vcc_lo, 44, v240
	s_xor_b32 s4, s5, -1
	s_delay_alu instid0(SALU_CYCLE_1) | instskip(NEXT) | instid1(SALU_CYCLE_1)
	s_and_b32 s6, s4, vcc_lo
	s_and_saveexec_b32 s4, s6
	s_cbranch_execz .LBB114_938
; %bb.937:
	scratch_load_b64 v[208:209], off, off   ; 8-byte Folded Reload
	v_ashrrev_i32_e32 v241, 31, v240
	s_delay_alu instid0(VALU_DEP_1) | instskip(SKIP_1) | instid1(VALU_DEP_1)
	v_lshlrev_b64 v[212:213], 2, v[240:241]
	s_waitcnt vmcnt(0)
	v_add_co_u32 v212, vcc_lo, v208, v212
	s_delay_alu instid0(VALU_DEP_2)
	v_add_co_ci_u32_e32 v213, vcc_lo, v209, v213, vcc_lo
	s_clause 0x1
	flat_load_b32 v214, v[212:213]
	flat_load_b32 v215, v[208:209] offset:176
	s_waitcnt vmcnt(1) lgkmcnt(1)
	flat_store_b32 v[208:209], v214 offset:176
	s_waitcnt vmcnt(0) lgkmcnt(1)
	flat_store_b32 v[212:213], v215
.LBB114_938:
	s_or_b32 exec_lo, exec_lo, s4
	v_mov_b32_e32 v248, v240
	v_mov_b32_e32 v236, v240
.LBB114_939:
	s_or_b32 exec_lo, exec_lo, s3
.LBB114_940:
	s_and_not1_saveexec_b32 s2, s2
	s_cbranch_execz .LBB114_942
; %bb.941:
	v_mov_b32_e32 v248, 44
	ds_store_2addr_b64 v242, v[48:49], v[50:51] offset0:90 offset1:91
	ds_store_2addr_b64 v242, v[44:45], v[46:47] offset0:92 offset1:93
	;; [unrolled: 1-line block ×13, first 2 shown]
.LBB114_942:
	s_or_b32 exec_lo, exec_lo, s2
	s_delay_alu instid0(SALU_CYCLE_1)
	s_mov_b32 s2, exec_lo
	s_waitcnt lgkmcnt(0)
	s_waitcnt_vscnt null, 0x0
	s_barrier
	buffer_gl0_inv
	v_cmpx_lt_i32_e32 44, v248
	s_cbranch_execz .LBB114_944
; %bb.943:
	v_mul_f64 v[212:213], v[232:233], v[54:55]
	v_mul_f64 v[54:55], v[234:235], v[54:55]
	s_delay_alu instid0(VALU_DEP_2) | instskip(NEXT) | instid1(VALU_DEP_2)
	v_fma_f64 v[240:241], v[234:235], v[52:53], v[212:213]
	v_fma_f64 v[52:53], v[232:233], v[52:53], -v[54:55]
	ds_load_2addr_b64 v[232:235], v242 offset0:90 offset1:91
	s_waitcnt lgkmcnt(0)
	v_mul_f64 v[54:55], v[234:235], v[240:241]
	v_mul_f64 v[212:213], v[232:233], v[240:241]
	s_delay_alu instid0(VALU_DEP_2) | instskip(NEXT) | instid1(VALU_DEP_2)
	v_fma_f64 v[54:55], v[232:233], v[52:53], -v[54:55]
	v_fma_f64 v[212:213], v[234:235], v[52:53], v[212:213]
	ds_load_2addr_b64 v[232:235], v242 offset0:92 offset1:93
	v_add_f64 v[48:49], v[48:49], -v[54:55]
	v_add_f64 v[50:51], v[50:51], -v[212:213]
	s_waitcnt lgkmcnt(0)
	v_mul_f64 v[54:55], v[234:235], v[240:241]
	v_mul_f64 v[212:213], v[232:233], v[240:241]
	s_delay_alu instid0(VALU_DEP_2) | instskip(NEXT) | instid1(VALU_DEP_2)
	v_fma_f64 v[54:55], v[232:233], v[52:53], -v[54:55]
	v_fma_f64 v[212:213], v[234:235], v[52:53], v[212:213]
	ds_load_2addr_b64 v[232:235], v242 offset0:94 offset1:95
	v_add_f64 v[44:45], v[44:45], -v[54:55]
	v_add_f64 v[46:47], v[46:47], -v[212:213]
	;; [unrolled: 9-line block ×12, first 2 shown]
	s_waitcnt lgkmcnt(0)
	v_mul_f64 v[54:55], v[234:235], v[240:241]
	v_mul_f64 v[212:213], v[232:233], v[240:241]
	s_delay_alu instid0(VALU_DEP_2) | instskip(NEXT) | instid1(VALU_DEP_2)
	v_fma_f64 v[54:55], v[232:233], v[52:53], -v[54:55]
	v_fma_f64 v[212:213], v[234:235], v[52:53], v[212:213]
	s_delay_alu instid0(VALU_DEP_2) | instskip(NEXT) | instid1(VALU_DEP_2)
	v_add_f64 v[0:1], v[0:1], -v[54:55]
	v_add_f64 v[2:3], v[2:3], -v[212:213]
	v_dual_mov_b32 v54, v240 :: v_dual_mov_b32 v55, v241
.LBB114_944:
	s_or_b32 exec_lo, exec_lo, s2
	v_lshl_add_u32 v212, v248, 4, v242
	s_barrier
	buffer_gl0_inv
	v_mov_b32_e32 v240, 45
	ds_store_2addr_b64 v212, v[48:49], v[50:51] offset1:1
	s_waitcnt lgkmcnt(0)
	s_barrier
	buffer_gl0_inv
	ds_load_2addr_b64 v[232:235], v242 offset0:90 offset1:91
	s_cmp_lt_i32 s12, 47
	s_cbranch_scc1 .LBB114_947
; %bb.945:
	v_add3_u32 v241, v246, 0, 0x2e0
	v_mov_b32_e32 v240, 45
	s_mov_b32 s2, 46
	s_set_inst_prefetch_distance 0x1
	.p2align	6
.LBB114_946:                            ; =>This Inner Loop Header: Depth=1
	s_waitcnt lgkmcnt(0)
	v_cmp_gt_f64_e32 vcc_lo, 0, v[232:233]
	v_xor_b32_e32 v212, 0x80000000, v233
	v_xor_b32_e32 v214, 0x80000000, v235
	ds_load_2addr_b64 v[249:252], v241 offset1:1
	v_add_nc_u32_e32 v241, 16, v241
	s_waitcnt lgkmcnt(0)
	v_xor_b32_e32 v216, 0x80000000, v252
	v_cndmask_b32_e32 v213, v233, v212, vcc_lo
	v_cndmask_b32_e32 v212, v232, v232, vcc_lo
	v_cmp_gt_f64_e32 vcc_lo, 0, v[234:235]
	v_cndmask_b32_e32 v215, v235, v214, vcc_lo
	v_cndmask_b32_e32 v214, v234, v234, vcc_lo
	v_cmp_gt_f64_e32 vcc_lo, 0, v[249:250]
	s_delay_alu instid0(VALU_DEP_2) | instskip(SKIP_1) | instid1(VALU_DEP_1)
	v_add_f64 v[212:213], v[212:213], v[214:215]
	v_xor_b32_e32 v214, 0x80000000, v250
	v_dual_cndmask_b32 v215, v250, v214 :: v_dual_mov_b32 v214, v249
	v_cmp_gt_f64_e32 vcc_lo, 0, v[251:252]
	v_dual_cndmask_b32 v217, v252, v216 :: v_dual_mov_b32 v216, v251
	s_delay_alu instid0(VALU_DEP_1) | instskip(NEXT) | instid1(VALU_DEP_1)
	v_add_f64 v[214:215], v[214:215], v[216:217]
	v_cmp_lt_f64_e32 vcc_lo, v[212:213], v[214:215]
	v_dual_cndmask_b32 v233, v233, v250 :: v_dual_cndmask_b32 v232, v232, v249
	v_dual_cndmask_b32 v235, v235, v252 :: v_dual_cndmask_b32 v234, v234, v251
	v_cndmask_b32_e64 v240, v240, s2, vcc_lo
	s_add_i32 s2, s2, 1
	s_delay_alu instid0(SALU_CYCLE_1)
	s_cmp_lg_u32 s12, s2
	s_cbranch_scc1 .LBB114_946
.LBB114_947:
	s_set_inst_prefetch_distance 0x2
	s_waitcnt lgkmcnt(0)
	v_cmp_eq_f64_e32 vcc_lo, 0, v[232:233]
	v_cmp_eq_f64_e64 s2, 0, v[234:235]
	s_delay_alu instid0(VALU_DEP_1) | instskip(NEXT) | instid1(SALU_CYCLE_1)
	s_and_b32 s2, vcc_lo, s2
	s_and_saveexec_b32 s3, s2
	s_delay_alu instid0(SALU_CYCLE_1)
	s_xor_b32 s2, exec_lo, s3
; %bb.948:
	v_cmp_ne_u32_e32 vcc_lo, 0, v245
	v_cndmask_b32_e32 v245, 46, v245, vcc_lo
; %bb.949:
	s_and_not1_saveexec_b32 s3, s2
	s_cbranch_execz .LBB114_955
; %bb.950:
	v_cmp_gt_f64_e32 vcc_lo, 0, v[232:233]
	v_cmp_gt_f64_e64 s2, 0, v[234:235]
	v_xor_b32_e32 v212, 0x80000000, v233
	v_xor_b32_e32 v214, 0x80000000, v235
	s_delay_alu instid0(VALU_DEP_2) | instskip(NEXT) | instid1(VALU_DEP_2)
	v_cndmask_b32_e32 v213, v233, v212, vcc_lo
	v_cndmask_b32_e64 v215, v235, v214, s2
	v_cndmask_b32_e32 v212, v232, v232, vcc_lo
	v_cndmask_b32_e64 v214, v234, v234, s2
	s_mov_b32 s2, exec_lo
	s_delay_alu instid0(VALU_DEP_1)
	v_cmpx_ngt_f64_e32 v[212:213], v[214:215]
	s_xor_b32 s2, exec_lo, s2
	s_cbranch_execz .LBB114_952
; %bb.951:
	v_div_scale_f64 v[212:213], null, v[234:235], v[234:235], v[232:233]
	v_div_scale_f64 v[218:219], vcc_lo, v[232:233], v[234:235], v[232:233]
	s_delay_alu instid0(VALU_DEP_2) | instskip(SKIP_2) | instid1(VALU_DEP_1)
	v_rcp_f64_e32 v[214:215], v[212:213]
	s_waitcnt_depctr 0xfff
	v_fma_f64 v[216:217], -v[212:213], v[214:215], 1.0
	v_fma_f64 v[214:215], v[214:215], v[216:217], v[214:215]
	s_delay_alu instid0(VALU_DEP_1) | instskip(NEXT) | instid1(VALU_DEP_1)
	v_fma_f64 v[216:217], -v[212:213], v[214:215], 1.0
	v_fma_f64 v[214:215], v[214:215], v[216:217], v[214:215]
	s_delay_alu instid0(VALU_DEP_1) | instskip(NEXT) | instid1(VALU_DEP_1)
	v_mul_f64 v[216:217], v[218:219], v[214:215]
	v_fma_f64 v[212:213], -v[212:213], v[216:217], v[218:219]
	s_delay_alu instid0(VALU_DEP_1) | instskip(NEXT) | instid1(VALU_DEP_1)
	v_div_fmas_f64 v[212:213], v[212:213], v[214:215], v[216:217]
	v_div_fixup_f64 v[212:213], v[212:213], v[234:235], v[232:233]
	s_delay_alu instid0(VALU_DEP_1) | instskip(NEXT) | instid1(VALU_DEP_1)
	v_fma_f64 v[214:215], v[232:233], v[212:213], v[234:235]
	v_div_scale_f64 v[216:217], null, v[214:215], v[214:215], 1.0
	s_delay_alu instid0(VALU_DEP_1) | instskip(SKIP_2) | instid1(VALU_DEP_1)
	v_rcp_f64_e32 v[218:219], v[216:217]
	s_waitcnt_depctr 0xfff
	v_fma_f64 v[220:221], -v[216:217], v[218:219], 1.0
	v_fma_f64 v[218:219], v[218:219], v[220:221], v[218:219]
	s_delay_alu instid0(VALU_DEP_1) | instskip(NEXT) | instid1(VALU_DEP_1)
	v_fma_f64 v[220:221], -v[216:217], v[218:219], 1.0
	v_fma_f64 v[218:219], v[218:219], v[220:221], v[218:219]
	v_div_scale_f64 v[220:221], vcc_lo, 1.0, v[214:215], 1.0
	s_delay_alu instid0(VALU_DEP_1) | instskip(NEXT) | instid1(VALU_DEP_1)
	v_mul_f64 v[222:223], v[220:221], v[218:219]
	v_fma_f64 v[216:217], -v[216:217], v[222:223], v[220:221]
	s_delay_alu instid0(VALU_DEP_1) | instskip(NEXT) | instid1(VALU_DEP_1)
	v_div_fmas_f64 v[216:217], v[216:217], v[218:219], v[222:223]
	v_div_fixup_f64 v[234:235], v[216:217], v[214:215], 1.0
	s_delay_alu instid0(VALU_DEP_1)
	v_mul_f64 v[232:233], v[212:213], v[234:235]
	v_xor_b32_e32 v235, 0x80000000, v235
.LBB114_952:
	s_and_not1_saveexec_b32 s2, s2
	s_cbranch_execz .LBB114_954
; %bb.953:
	s_delay_alu instid0(VALU_DEP_1) | instskip(SKIP_1) | instid1(VALU_DEP_2)
	v_div_scale_f64 v[212:213], null, v[232:233], v[232:233], v[234:235]
	v_div_scale_f64 v[218:219], vcc_lo, v[234:235], v[232:233], v[234:235]
	v_rcp_f64_e32 v[214:215], v[212:213]
	s_waitcnt_depctr 0xfff
	v_fma_f64 v[216:217], -v[212:213], v[214:215], 1.0
	s_delay_alu instid0(VALU_DEP_1) | instskip(NEXT) | instid1(VALU_DEP_1)
	v_fma_f64 v[214:215], v[214:215], v[216:217], v[214:215]
	v_fma_f64 v[216:217], -v[212:213], v[214:215], 1.0
	s_delay_alu instid0(VALU_DEP_1) | instskip(NEXT) | instid1(VALU_DEP_1)
	v_fma_f64 v[214:215], v[214:215], v[216:217], v[214:215]
	v_mul_f64 v[216:217], v[218:219], v[214:215]
	s_delay_alu instid0(VALU_DEP_1) | instskip(NEXT) | instid1(VALU_DEP_1)
	v_fma_f64 v[212:213], -v[212:213], v[216:217], v[218:219]
	v_div_fmas_f64 v[212:213], v[212:213], v[214:215], v[216:217]
	s_delay_alu instid0(VALU_DEP_1) | instskip(NEXT) | instid1(VALU_DEP_1)
	v_div_fixup_f64 v[212:213], v[212:213], v[232:233], v[234:235]
	v_fma_f64 v[214:215], v[234:235], v[212:213], v[232:233]
	s_delay_alu instid0(VALU_DEP_1) | instskip(NEXT) | instid1(VALU_DEP_1)
	v_div_scale_f64 v[216:217], null, v[214:215], v[214:215], 1.0
	v_rcp_f64_e32 v[218:219], v[216:217]
	s_waitcnt_depctr 0xfff
	v_fma_f64 v[220:221], -v[216:217], v[218:219], 1.0
	s_delay_alu instid0(VALU_DEP_1) | instskip(NEXT) | instid1(VALU_DEP_1)
	v_fma_f64 v[218:219], v[218:219], v[220:221], v[218:219]
	v_fma_f64 v[220:221], -v[216:217], v[218:219], 1.0
	s_delay_alu instid0(VALU_DEP_1) | instskip(SKIP_1) | instid1(VALU_DEP_1)
	v_fma_f64 v[218:219], v[218:219], v[220:221], v[218:219]
	v_div_scale_f64 v[220:221], vcc_lo, 1.0, v[214:215], 1.0
	v_mul_f64 v[222:223], v[220:221], v[218:219]
	s_delay_alu instid0(VALU_DEP_1) | instskip(NEXT) | instid1(VALU_DEP_1)
	v_fma_f64 v[216:217], -v[216:217], v[222:223], v[220:221]
	v_div_fmas_f64 v[216:217], v[216:217], v[218:219], v[222:223]
	s_delay_alu instid0(VALU_DEP_1) | instskip(NEXT) | instid1(VALU_DEP_1)
	v_div_fixup_f64 v[232:233], v[216:217], v[214:215], 1.0
	v_mul_f64 v[234:235], v[212:213], -v[232:233]
.LBB114_954:
	s_or_b32 exec_lo, exec_lo, s2
.LBB114_955:
	s_delay_alu instid0(SALU_CYCLE_1) | instskip(NEXT) | instid1(SALU_CYCLE_1)
	s_or_b32 exec_lo, exec_lo, s3
	s_mov_b32 s2, exec_lo
	v_cmpx_ne_u32_e64 v248, v240
	s_xor_b32 s2, exec_lo, s2
	s_cbranch_execz .LBB114_961
; %bb.956:
	s_mov_b32 s3, exec_lo
	v_cmpx_eq_u32_e32 45, v248
	s_cbranch_execz .LBB114_960
; %bb.957:
	v_cmp_ne_u32_e32 vcc_lo, 45, v240
	s_xor_b32 s4, s5, -1
	s_delay_alu instid0(SALU_CYCLE_1) | instskip(NEXT) | instid1(SALU_CYCLE_1)
	s_and_b32 s6, s4, vcc_lo
	s_and_saveexec_b32 s4, s6
	s_cbranch_execz .LBB114_959
; %bb.958:
	scratch_load_b64 v[208:209], off, off   ; 8-byte Folded Reload
	v_ashrrev_i32_e32 v241, 31, v240
	s_delay_alu instid0(VALU_DEP_1) | instskip(SKIP_1) | instid1(VALU_DEP_1)
	v_lshlrev_b64 v[212:213], 2, v[240:241]
	s_waitcnt vmcnt(0)
	v_add_co_u32 v212, vcc_lo, v208, v212
	s_delay_alu instid0(VALU_DEP_2)
	v_add_co_ci_u32_e32 v213, vcc_lo, v209, v213, vcc_lo
	s_clause 0x1
	flat_load_b32 v214, v[212:213]
	flat_load_b32 v215, v[208:209] offset:180
	s_waitcnt vmcnt(1) lgkmcnt(1)
	flat_store_b32 v[208:209], v214 offset:180
	s_waitcnt vmcnt(0) lgkmcnt(1)
	flat_store_b32 v[212:213], v215
.LBB114_959:
	s_or_b32 exec_lo, exec_lo, s4
	v_mov_b32_e32 v248, v240
	v_mov_b32_e32 v236, v240
.LBB114_960:
	s_or_b32 exec_lo, exec_lo, s3
.LBB114_961:
	s_and_not1_saveexec_b32 s2, s2
	s_cbranch_execz .LBB114_963
; %bb.962:
	v_mov_b32_e32 v248, 45
	ds_store_2addr_b64 v242, v[44:45], v[46:47] offset0:92 offset1:93
	ds_store_2addr_b64 v242, v[40:41], v[42:43] offset0:94 offset1:95
	;; [unrolled: 1-line block ×12, first 2 shown]
.LBB114_963:
	s_or_b32 exec_lo, exec_lo, s2
	s_delay_alu instid0(SALU_CYCLE_1)
	s_mov_b32 s2, exec_lo
	s_waitcnt lgkmcnt(0)
	s_waitcnt_vscnt null, 0x0
	s_barrier
	buffer_gl0_inv
	v_cmpx_lt_i32_e32 45, v248
	s_cbranch_execz .LBB114_965
; %bb.964:
	v_mul_f64 v[212:213], v[232:233], v[50:51]
	v_mul_f64 v[50:51], v[234:235], v[50:51]
	s_delay_alu instid0(VALU_DEP_2) | instskip(NEXT) | instid1(VALU_DEP_2)
	v_fma_f64 v[212:213], v[234:235], v[48:49], v[212:213]
	v_fma_f64 v[48:49], v[232:233], v[48:49], -v[50:51]
	ds_load_2addr_b64 v[232:235], v242 offset0:92 offset1:93
	s_waitcnt lgkmcnt(0)
	v_mul_f64 v[50:51], v[234:235], v[212:213]
	v_mul_f64 v[214:215], v[232:233], v[212:213]
	s_delay_alu instid0(VALU_DEP_2) | instskip(NEXT) | instid1(VALU_DEP_2)
	v_fma_f64 v[50:51], v[232:233], v[48:49], -v[50:51]
	v_fma_f64 v[214:215], v[234:235], v[48:49], v[214:215]
	ds_load_2addr_b64 v[232:235], v242 offset0:94 offset1:95
	v_add_f64 v[44:45], v[44:45], -v[50:51]
	v_add_f64 v[46:47], v[46:47], -v[214:215]
	s_waitcnt lgkmcnt(0)
	v_mul_f64 v[50:51], v[234:235], v[212:213]
	v_mul_f64 v[214:215], v[232:233], v[212:213]
	s_delay_alu instid0(VALU_DEP_2) | instskip(NEXT) | instid1(VALU_DEP_2)
	v_fma_f64 v[50:51], v[232:233], v[48:49], -v[50:51]
	v_fma_f64 v[214:215], v[234:235], v[48:49], v[214:215]
	ds_load_2addr_b64 v[232:235], v242 offset0:96 offset1:97
	v_add_f64 v[40:41], v[40:41], -v[50:51]
	v_add_f64 v[42:43], v[42:43], -v[214:215]
	;; [unrolled: 9-line block ×11, first 2 shown]
	s_waitcnt lgkmcnt(0)
	v_mul_f64 v[50:51], v[234:235], v[212:213]
	v_mul_f64 v[214:215], v[232:233], v[212:213]
	s_delay_alu instid0(VALU_DEP_2) | instskip(NEXT) | instid1(VALU_DEP_2)
	v_fma_f64 v[50:51], v[232:233], v[48:49], -v[50:51]
	v_fma_f64 v[214:215], v[234:235], v[48:49], v[214:215]
	s_delay_alu instid0(VALU_DEP_2) | instskip(NEXT) | instid1(VALU_DEP_2)
	v_add_f64 v[0:1], v[0:1], -v[50:51]
	v_add_f64 v[2:3], v[2:3], -v[214:215]
	v_dual_mov_b32 v50, v212 :: v_dual_mov_b32 v51, v213
.LBB114_965:
	s_or_b32 exec_lo, exec_lo, s2
	v_lshl_add_u32 v212, v248, 4, v242
	s_barrier
	buffer_gl0_inv
	v_mov_b32_e32 v240, 46
	ds_store_2addr_b64 v212, v[44:45], v[46:47] offset1:1
	s_waitcnt lgkmcnt(0)
	s_barrier
	buffer_gl0_inv
	ds_load_2addr_b64 v[232:235], v242 offset0:92 offset1:93
	s_cmp_lt_i32 s12, 48
	s_cbranch_scc1 .LBB114_968
; %bb.966:
	v_add3_u32 v241, v246, 0, 0x2f0
	v_mov_b32_e32 v240, 46
	s_mov_b32 s2, 47
	s_set_inst_prefetch_distance 0x1
	.p2align	6
.LBB114_967:                            ; =>This Inner Loop Header: Depth=1
	s_waitcnt lgkmcnt(0)
	v_cmp_gt_f64_e32 vcc_lo, 0, v[232:233]
	v_xor_b32_e32 v212, 0x80000000, v233
	v_xor_b32_e32 v214, 0x80000000, v235
	ds_load_2addr_b64 v[249:252], v241 offset1:1
	v_add_nc_u32_e32 v241, 16, v241
	s_waitcnt lgkmcnt(0)
	v_xor_b32_e32 v216, 0x80000000, v252
	v_cndmask_b32_e32 v213, v233, v212, vcc_lo
	v_cndmask_b32_e32 v212, v232, v232, vcc_lo
	v_cmp_gt_f64_e32 vcc_lo, 0, v[234:235]
	v_cndmask_b32_e32 v215, v235, v214, vcc_lo
	v_cndmask_b32_e32 v214, v234, v234, vcc_lo
	v_cmp_gt_f64_e32 vcc_lo, 0, v[249:250]
	s_delay_alu instid0(VALU_DEP_2) | instskip(SKIP_1) | instid1(VALU_DEP_1)
	v_add_f64 v[212:213], v[212:213], v[214:215]
	v_xor_b32_e32 v214, 0x80000000, v250
	v_dual_cndmask_b32 v215, v250, v214 :: v_dual_mov_b32 v214, v249
	v_cmp_gt_f64_e32 vcc_lo, 0, v[251:252]
	v_dual_cndmask_b32 v217, v252, v216 :: v_dual_mov_b32 v216, v251
	s_delay_alu instid0(VALU_DEP_1) | instskip(NEXT) | instid1(VALU_DEP_1)
	v_add_f64 v[214:215], v[214:215], v[216:217]
	v_cmp_lt_f64_e32 vcc_lo, v[212:213], v[214:215]
	v_dual_cndmask_b32 v233, v233, v250 :: v_dual_cndmask_b32 v232, v232, v249
	v_dual_cndmask_b32 v235, v235, v252 :: v_dual_cndmask_b32 v234, v234, v251
	v_cndmask_b32_e64 v240, v240, s2, vcc_lo
	s_add_i32 s2, s2, 1
	s_delay_alu instid0(SALU_CYCLE_1)
	s_cmp_lg_u32 s12, s2
	s_cbranch_scc1 .LBB114_967
.LBB114_968:
	s_set_inst_prefetch_distance 0x2
	s_waitcnt lgkmcnt(0)
	v_cmp_eq_f64_e32 vcc_lo, 0, v[232:233]
	v_cmp_eq_f64_e64 s2, 0, v[234:235]
	s_delay_alu instid0(VALU_DEP_1) | instskip(NEXT) | instid1(SALU_CYCLE_1)
	s_and_b32 s2, vcc_lo, s2
	s_and_saveexec_b32 s3, s2
	s_delay_alu instid0(SALU_CYCLE_1)
	s_xor_b32 s2, exec_lo, s3
; %bb.969:
	v_cmp_ne_u32_e32 vcc_lo, 0, v245
	v_cndmask_b32_e32 v245, 47, v245, vcc_lo
; %bb.970:
	s_and_not1_saveexec_b32 s3, s2
	s_cbranch_execz .LBB114_976
; %bb.971:
	v_cmp_gt_f64_e32 vcc_lo, 0, v[232:233]
	v_cmp_gt_f64_e64 s2, 0, v[234:235]
	v_xor_b32_e32 v212, 0x80000000, v233
	v_xor_b32_e32 v214, 0x80000000, v235
	s_delay_alu instid0(VALU_DEP_2) | instskip(NEXT) | instid1(VALU_DEP_2)
	v_cndmask_b32_e32 v213, v233, v212, vcc_lo
	v_cndmask_b32_e64 v215, v235, v214, s2
	v_cndmask_b32_e32 v212, v232, v232, vcc_lo
	v_cndmask_b32_e64 v214, v234, v234, s2
	s_mov_b32 s2, exec_lo
	s_delay_alu instid0(VALU_DEP_1)
	v_cmpx_ngt_f64_e32 v[212:213], v[214:215]
	s_xor_b32 s2, exec_lo, s2
	s_cbranch_execz .LBB114_973
; %bb.972:
	v_div_scale_f64 v[212:213], null, v[234:235], v[234:235], v[232:233]
	v_div_scale_f64 v[218:219], vcc_lo, v[232:233], v[234:235], v[232:233]
	s_delay_alu instid0(VALU_DEP_2) | instskip(SKIP_2) | instid1(VALU_DEP_1)
	v_rcp_f64_e32 v[214:215], v[212:213]
	s_waitcnt_depctr 0xfff
	v_fma_f64 v[216:217], -v[212:213], v[214:215], 1.0
	v_fma_f64 v[214:215], v[214:215], v[216:217], v[214:215]
	s_delay_alu instid0(VALU_DEP_1) | instskip(NEXT) | instid1(VALU_DEP_1)
	v_fma_f64 v[216:217], -v[212:213], v[214:215], 1.0
	v_fma_f64 v[214:215], v[214:215], v[216:217], v[214:215]
	s_delay_alu instid0(VALU_DEP_1) | instskip(NEXT) | instid1(VALU_DEP_1)
	v_mul_f64 v[216:217], v[218:219], v[214:215]
	v_fma_f64 v[212:213], -v[212:213], v[216:217], v[218:219]
	s_delay_alu instid0(VALU_DEP_1) | instskip(NEXT) | instid1(VALU_DEP_1)
	v_div_fmas_f64 v[212:213], v[212:213], v[214:215], v[216:217]
	v_div_fixup_f64 v[212:213], v[212:213], v[234:235], v[232:233]
	s_delay_alu instid0(VALU_DEP_1) | instskip(NEXT) | instid1(VALU_DEP_1)
	v_fma_f64 v[214:215], v[232:233], v[212:213], v[234:235]
	v_div_scale_f64 v[216:217], null, v[214:215], v[214:215], 1.0
	s_delay_alu instid0(VALU_DEP_1) | instskip(SKIP_2) | instid1(VALU_DEP_1)
	v_rcp_f64_e32 v[218:219], v[216:217]
	s_waitcnt_depctr 0xfff
	v_fma_f64 v[220:221], -v[216:217], v[218:219], 1.0
	v_fma_f64 v[218:219], v[218:219], v[220:221], v[218:219]
	s_delay_alu instid0(VALU_DEP_1) | instskip(NEXT) | instid1(VALU_DEP_1)
	v_fma_f64 v[220:221], -v[216:217], v[218:219], 1.0
	v_fma_f64 v[218:219], v[218:219], v[220:221], v[218:219]
	v_div_scale_f64 v[220:221], vcc_lo, 1.0, v[214:215], 1.0
	s_delay_alu instid0(VALU_DEP_1) | instskip(NEXT) | instid1(VALU_DEP_1)
	v_mul_f64 v[222:223], v[220:221], v[218:219]
	v_fma_f64 v[216:217], -v[216:217], v[222:223], v[220:221]
	s_delay_alu instid0(VALU_DEP_1) | instskip(NEXT) | instid1(VALU_DEP_1)
	v_div_fmas_f64 v[216:217], v[216:217], v[218:219], v[222:223]
	v_div_fixup_f64 v[234:235], v[216:217], v[214:215], 1.0
	s_delay_alu instid0(VALU_DEP_1)
	v_mul_f64 v[232:233], v[212:213], v[234:235]
	v_xor_b32_e32 v235, 0x80000000, v235
.LBB114_973:
	s_and_not1_saveexec_b32 s2, s2
	s_cbranch_execz .LBB114_975
; %bb.974:
	s_delay_alu instid0(VALU_DEP_1) | instskip(SKIP_1) | instid1(VALU_DEP_2)
	v_div_scale_f64 v[212:213], null, v[232:233], v[232:233], v[234:235]
	v_div_scale_f64 v[218:219], vcc_lo, v[234:235], v[232:233], v[234:235]
	v_rcp_f64_e32 v[214:215], v[212:213]
	s_waitcnt_depctr 0xfff
	v_fma_f64 v[216:217], -v[212:213], v[214:215], 1.0
	s_delay_alu instid0(VALU_DEP_1) | instskip(NEXT) | instid1(VALU_DEP_1)
	v_fma_f64 v[214:215], v[214:215], v[216:217], v[214:215]
	v_fma_f64 v[216:217], -v[212:213], v[214:215], 1.0
	s_delay_alu instid0(VALU_DEP_1) | instskip(NEXT) | instid1(VALU_DEP_1)
	v_fma_f64 v[214:215], v[214:215], v[216:217], v[214:215]
	v_mul_f64 v[216:217], v[218:219], v[214:215]
	s_delay_alu instid0(VALU_DEP_1) | instskip(NEXT) | instid1(VALU_DEP_1)
	v_fma_f64 v[212:213], -v[212:213], v[216:217], v[218:219]
	v_div_fmas_f64 v[212:213], v[212:213], v[214:215], v[216:217]
	s_delay_alu instid0(VALU_DEP_1) | instskip(NEXT) | instid1(VALU_DEP_1)
	v_div_fixup_f64 v[212:213], v[212:213], v[232:233], v[234:235]
	v_fma_f64 v[214:215], v[234:235], v[212:213], v[232:233]
	s_delay_alu instid0(VALU_DEP_1) | instskip(NEXT) | instid1(VALU_DEP_1)
	v_div_scale_f64 v[216:217], null, v[214:215], v[214:215], 1.0
	v_rcp_f64_e32 v[218:219], v[216:217]
	s_waitcnt_depctr 0xfff
	v_fma_f64 v[220:221], -v[216:217], v[218:219], 1.0
	s_delay_alu instid0(VALU_DEP_1) | instskip(NEXT) | instid1(VALU_DEP_1)
	v_fma_f64 v[218:219], v[218:219], v[220:221], v[218:219]
	v_fma_f64 v[220:221], -v[216:217], v[218:219], 1.0
	s_delay_alu instid0(VALU_DEP_1) | instskip(SKIP_1) | instid1(VALU_DEP_1)
	v_fma_f64 v[218:219], v[218:219], v[220:221], v[218:219]
	v_div_scale_f64 v[220:221], vcc_lo, 1.0, v[214:215], 1.0
	v_mul_f64 v[222:223], v[220:221], v[218:219]
	s_delay_alu instid0(VALU_DEP_1) | instskip(NEXT) | instid1(VALU_DEP_1)
	v_fma_f64 v[216:217], -v[216:217], v[222:223], v[220:221]
	v_div_fmas_f64 v[216:217], v[216:217], v[218:219], v[222:223]
	s_delay_alu instid0(VALU_DEP_1) | instskip(NEXT) | instid1(VALU_DEP_1)
	v_div_fixup_f64 v[232:233], v[216:217], v[214:215], 1.0
	v_mul_f64 v[234:235], v[212:213], -v[232:233]
.LBB114_975:
	s_or_b32 exec_lo, exec_lo, s2
.LBB114_976:
	s_delay_alu instid0(SALU_CYCLE_1) | instskip(NEXT) | instid1(SALU_CYCLE_1)
	s_or_b32 exec_lo, exec_lo, s3
	s_mov_b32 s2, exec_lo
	v_cmpx_ne_u32_e64 v248, v240
	s_xor_b32 s2, exec_lo, s2
	s_cbranch_execz .LBB114_982
; %bb.977:
	s_mov_b32 s3, exec_lo
	v_cmpx_eq_u32_e32 46, v248
	s_cbranch_execz .LBB114_981
; %bb.978:
	v_cmp_ne_u32_e32 vcc_lo, 46, v240
	s_xor_b32 s4, s5, -1
	s_delay_alu instid0(SALU_CYCLE_1) | instskip(NEXT) | instid1(SALU_CYCLE_1)
	s_and_b32 s6, s4, vcc_lo
	s_and_saveexec_b32 s4, s6
	s_cbranch_execz .LBB114_980
; %bb.979:
	scratch_load_b64 v[208:209], off, off   ; 8-byte Folded Reload
	v_ashrrev_i32_e32 v241, 31, v240
	s_delay_alu instid0(VALU_DEP_1) | instskip(SKIP_1) | instid1(VALU_DEP_1)
	v_lshlrev_b64 v[212:213], 2, v[240:241]
	s_waitcnt vmcnt(0)
	v_add_co_u32 v212, vcc_lo, v208, v212
	s_delay_alu instid0(VALU_DEP_2)
	v_add_co_ci_u32_e32 v213, vcc_lo, v209, v213, vcc_lo
	s_clause 0x1
	flat_load_b32 v214, v[212:213]
	flat_load_b32 v215, v[208:209] offset:184
	s_waitcnt vmcnt(1) lgkmcnt(1)
	flat_store_b32 v[208:209], v214 offset:184
	s_waitcnt vmcnt(0) lgkmcnt(1)
	flat_store_b32 v[212:213], v215
.LBB114_980:
	s_or_b32 exec_lo, exec_lo, s4
	v_mov_b32_e32 v248, v240
	v_mov_b32_e32 v236, v240
.LBB114_981:
	s_or_b32 exec_lo, exec_lo, s3
.LBB114_982:
	s_and_not1_saveexec_b32 s2, s2
	s_cbranch_execz .LBB114_984
; %bb.983:
	v_mov_b32_e32 v248, 46
	ds_store_2addr_b64 v242, v[40:41], v[42:43] offset0:94 offset1:95
	ds_store_2addr_b64 v242, v[36:37], v[38:39] offset0:96 offset1:97
	;; [unrolled: 1-line block ×11, first 2 shown]
.LBB114_984:
	s_or_b32 exec_lo, exec_lo, s2
	s_delay_alu instid0(SALU_CYCLE_1)
	s_mov_b32 s2, exec_lo
	s_waitcnt lgkmcnt(0)
	s_waitcnt_vscnt null, 0x0
	s_barrier
	buffer_gl0_inv
	v_cmpx_lt_i32_e32 46, v248
	s_cbranch_execz .LBB114_986
; %bb.985:
	v_mul_f64 v[212:213], v[232:233], v[46:47]
	v_mul_f64 v[46:47], v[234:235], v[46:47]
	s_delay_alu instid0(VALU_DEP_2) | instskip(NEXT) | instid1(VALU_DEP_2)
	v_fma_f64 v[212:213], v[234:235], v[44:45], v[212:213]
	v_fma_f64 v[44:45], v[232:233], v[44:45], -v[46:47]
	ds_load_2addr_b64 v[232:235], v242 offset0:94 offset1:95
	s_waitcnt lgkmcnt(0)
	v_mul_f64 v[46:47], v[234:235], v[212:213]
	v_mul_f64 v[214:215], v[232:233], v[212:213]
	s_delay_alu instid0(VALU_DEP_2) | instskip(NEXT) | instid1(VALU_DEP_2)
	v_fma_f64 v[46:47], v[232:233], v[44:45], -v[46:47]
	v_fma_f64 v[214:215], v[234:235], v[44:45], v[214:215]
	ds_load_2addr_b64 v[232:235], v242 offset0:96 offset1:97
	v_add_f64 v[40:41], v[40:41], -v[46:47]
	v_add_f64 v[42:43], v[42:43], -v[214:215]
	s_waitcnt lgkmcnt(0)
	v_mul_f64 v[46:47], v[234:235], v[212:213]
	v_mul_f64 v[214:215], v[232:233], v[212:213]
	s_delay_alu instid0(VALU_DEP_2) | instskip(NEXT) | instid1(VALU_DEP_2)
	v_fma_f64 v[46:47], v[232:233], v[44:45], -v[46:47]
	v_fma_f64 v[214:215], v[234:235], v[44:45], v[214:215]
	ds_load_2addr_b64 v[232:235], v242 offset0:98 offset1:99
	v_add_f64 v[36:37], v[36:37], -v[46:47]
	v_add_f64 v[38:39], v[38:39], -v[214:215]
	s_waitcnt lgkmcnt(0)
	v_mul_f64 v[46:47], v[234:235], v[212:213]
	v_mul_f64 v[214:215], v[232:233], v[212:213]
	s_delay_alu instid0(VALU_DEP_2) | instskip(NEXT) | instid1(VALU_DEP_2)
	v_fma_f64 v[46:47], v[232:233], v[44:45], -v[46:47]
	v_fma_f64 v[214:215], v[234:235], v[44:45], v[214:215]
	ds_load_2addr_b64 v[232:235], v242 offset0:100 offset1:101
	v_add_f64 v[32:33], v[32:33], -v[46:47]
	v_add_f64 v[34:35], v[34:35], -v[214:215]
	s_waitcnt lgkmcnt(0)
	v_mul_f64 v[46:47], v[234:235], v[212:213]
	v_mul_f64 v[214:215], v[232:233], v[212:213]
	s_delay_alu instid0(VALU_DEP_2) | instskip(NEXT) | instid1(VALU_DEP_2)
	v_fma_f64 v[46:47], v[232:233], v[44:45], -v[46:47]
	v_fma_f64 v[214:215], v[234:235], v[44:45], v[214:215]
	ds_load_2addr_b64 v[232:235], v242 offset0:102 offset1:103
	v_add_f64 v[28:29], v[28:29], -v[46:47]
	v_add_f64 v[30:31], v[30:31], -v[214:215]
	s_waitcnt lgkmcnt(0)
	v_mul_f64 v[46:47], v[234:235], v[212:213]
	v_mul_f64 v[214:215], v[232:233], v[212:213]
	s_delay_alu instid0(VALU_DEP_2) | instskip(NEXT) | instid1(VALU_DEP_2)
	v_fma_f64 v[46:47], v[232:233], v[44:45], -v[46:47]
	v_fma_f64 v[214:215], v[234:235], v[44:45], v[214:215]
	ds_load_2addr_b64 v[232:235], v242 offset0:104 offset1:105
	v_add_f64 v[24:25], v[24:25], -v[46:47]
	v_add_f64 v[26:27], v[26:27], -v[214:215]
	s_waitcnt lgkmcnt(0)
	v_mul_f64 v[46:47], v[234:235], v[212:213]
	v_mul_f64 v[214:215], v[232:233], v[212:213]
	s_delay_alu instid0(VALU_DEP_2) | instskip(NEXT) | instid1(VALU_DEP_2)
	v_fma_f64 v[46:47], v[232:233], v[44:45], -v[46:47]
	v_fma_f64 v[214:215], v[234:235], v[44:45], v[214:215]
	ds_load_2addr_b64 v[232:235], v242 offset0:106 offset1:107
	v_add_f64 v[20:21], v[20:21], -v[46:47]
	v_add_f64 v[22:23], v[22:23], -v[214:215]
	s_waitcnt lgkmcnt(0)
	v_mul_f64 v[46:47], v[234:235], v[212:213]
	v_mul_f64 v[214:215], v[232:233], v[212:213]
	s_delay_alu instid0(VALU_DEP_2) | instskip(NEXT) | instid1(VALU_DEP_2)
	v_fma_f64 v[46:47], v[232:233], v[44:45], -v[46:47]
	v_fma_f64 v[214:215], v[234:235], v[44:45], v[214:215]
	ds_load_2addr_b64 v[232:235], v242 offset0:108 offset1:109
	v_add_f64 v[16:17], v[16:17], -v[46:47]
	v_add_f64 v[18:19], v[18:19], -v[214:215]
	s_waitcnt lgkmcnt(0)
	v_mul_f64 v[46:47], v[234:235], v[212:213]
	v_mul_f64 v[214:215], v[232:233], v[212:213]
	s_delay_alu instid0(VALU_DEP_2) | instskip(NEXT) | instid1(VALU_DEP_2)
	v_fma_f64 v[46:47], v[232:233], v[44:45], -v[46:47]
	v_fma_f64 v[214:215], v[234:235], v[44:45], v[214:215]
	ds_load_2addr_b64 v[232:235], v242 offset0:110 offset1:111
	v_add_f64 v[12:13], v[12:13], -v[46:47]
	v_add_f64 v[14:15], v[14:15], -v[214:215]
	s_waitcnt lgkmcnt(0)
	v_mul_f64 v[46:47], v[234:235], v[212:213]
	v_mul_f64 v[214:215], v[232:233], v[212:213]
	s_delay_alu instid0(VALU_DEP_2) | instskip(NEXT) | instid1(VALU_DEP_2)
	v_fma_f64 v[46:47], v[232:233], v[44:45], -v[46:47]
	v_fma_f64 v[214:215], v[234:235], v[44:45], v[214:215]
	ds_load_2addr_b64 v[232:235], v242 offset0:112 offset1:113
	v_add_f64 v[8:9], v[8:9], -v[46:47]
	v_add_f64 v[10:11], v[10:11], -v[214:215]
	s_waitcnt lgkmcnt(0)
	v_mul_f64 v[46:47], v[234:235], v[212:213]
	v_mul_f64 v[214:215], v[232:233], v[212:213]
	s_delay_alu instid0(VALU_DEP_2) | instskip(NEXT) | instid1(VALU_DEP_2)
	v_fma_f64 v[46:47], v[232:233], v[44:45], -v[46:47]
	v_fma_f64 v[214:215], v[234:235], v[44:45], v[214:215]
	ds_load_2addr_b64 v[232:235], v242 offset0:114 offset1:115
	v_add_f64 v[224:225], v[224:225], -v[46:47]
	v_add_f64 v[226:227], v[226:227], -v[214:215]
	s_waitcnt lgkmcnt(0)
	v_mul_f64 v[46:47], v[234:235], v[212:213]
	v_mul_f64 v[214:215], v[232:233], v[212:213]
	s_delay_alu instid0(VALU_DEP_2) | instskip(NEXT) | instid1(VALU_DEP_2)
	v_fma_f64 v[46:47], v[232:233], v[44:45], -v[46:47]
	v_fma_f64 v[214:215], v[234:235], v[44:45], v[214:215]
	s_delay_alu instid0(VALU_DEP_2) | instskip(NEXT) | instid1(VALU_DEP_2)
	v_add_f64 v[0:1], v[0:1], -v[46:47]
	v_add_f64 v[2:3], v[2:3], -v[214:215]
	v_dual_mov_b32 v46, v212 :: v_dual_mov_b32 v47, v213
.LBB114_986:
	s_or_b32 exec_lo, exec_lo, s2
	v_lshl_add_u32 v212, v248, 4, v242
	s_barrier
	buffer_gl0_inv
	v_mov_b32_e32 v240, 47
	ds_store_2addr_b64 v212, v[40:41], v[42:43] offset1:1
	s_waitcnt lgkmcnt(0)
	s_barrier
	buffer_gl0_inv
	ds_load_2addr_b64 v[232:235], v242 offset0:94 offset1:95
	s_cmp_lt_i32 s12, 49
	s_cbranch_scc1 .LBB114_989
; %bb.987:
	v_add3_u32 v241, v246, 0, 0x300
	v_mov_b32_e32 v240, 47
	s_mov_b32 s2, 48
	s_set_inst_prefetch_distance 0x1
	.p2align	6
.LBB114_988:                            ; =>This Inner Loop Header: Depth=1
	s_waitcnt lgkmcnt(0)
	v_cmp_gt_f64_e32 vcc_lo, 0, v[232:233]
	v_xor_b32_e32 v212, 0x80000000, v233
	v_xor_b32_e32 v214, 0x80000000, v235
	ds_load_2addr_b64 v[249:252], v241 offset1:1
	v_add_nc_u32_e32 v241, 16, v241
	s_waitcnt lgkmcnt(0)
	v_xor_b32_e32 v216, 0x80000000, v252
	v_cndmask_b32_e32 v213, v233, v212, vcc_lo
	v_cndmask_b32_e32 v212, v232, v232, vcc_lo
	v_cmp_gt_f64_e32 vcc_lo, 0, v[234:235]
	v_cndmask_b32_e32 v215, v235, v214, vcc_lo
	v_cndmask_b32_e32 v214, v234, v234, vcc_lo
	v_cmp_gt_f64_e32 vcc_lo, 0, v[249:250]
	s_delay_alu instid0(VALU_DEP_2) | instskip(SKIP_1) | instid1(VALU_DEP_1)
	v_add_f64 v[212:213], v[212:213], v[214:215]
	v_xor_b32_e32 v214, 0x80000000, v250
	v_dual_cndmask_b32 v215, v250, v214 :: v_dual_mov_b32 v214, v249
	v_cmp_gt_f64_e32 vcc_lo, 0, v[251:252]
	v_dual_cndmask_b32 v217, v252, v216 :: v_dual_mov_b32 v216, v251
	s_delay_alu instid0(VALU_DEP_1) | instskip(NEXT) | instid1(VALU_DEP_1)
	v_add_f64 v[214:215], v[214:215], v[216:217]
	v_cmp_lt_f64_e32 vcc_lo, v[212:213], v[214:215]
	v_dual_cndmask_b32 v233, v233, v250 :: v_dual_cndmask_b32 v232, v232, v249
	v_dual_cndmask_b32 v235, v235, v252 :: v_dual_cndmask_b32 v234, v234, v251
	v_cndmask_b32_e64 v240, v240, s2, vcc_lo
	s_add_i32 s2, s2, 1
	s_delay_alu instid0(SALU_CYCLE_1)
	s_cmp_lg_u32 s12, s2
	s_cbranch_scc1 .LBB114_988
.LBB114_989:
	s_set_inst_prefetch_distance 0x2
	s_waitcnt lgkmcnt(0)
	v_cmp_eq_f64_e32 vcc_lo, 0, v[232:233]
	v_cmp_eq_f64_e64 s2, 0, v[234:235]
	s_delay_alu instid0(VALU_DEP_1) | instskip(NEXT) | instid1(SALU_CYCLE_1)
	s_and_b32 s2, vcc_lo, s2
	s_and_saveexec_b32 s3, s2
	s_delay_alu instid0(SALU_CYCLE_1)
	s_xor_b32 s2, exec_lo, s3
; %bb.990:
	v_cmp_ne_u32_e32 vcc_lo, 0, v245
	v_cndmask_b32_e32 v245, 48, v245, vcc_lo
; %bb.991:
	s_and_not1_saveexec_b32 s3, s2
	s_cbranch_execz .LBB114_997
; %bb.992:
	v_cmp_gt_f64_e32 vcc_lo, 0, v[232:233]
	v_cmp_gt_f64_e64 s2, 0, v[234:235]
	v_xor_b32_e32 v212, 0x80000000, v233
	v_xor_b32_e32 v214, 0x80000000, v235
	s_delay_alu instid0(VALU_DEP_2) | instskip(NEXT) | instid1(VALU_DEP_2)
	v_cndmask_b32_e32 v213, v233, v212, vcc_lo
	v_cndmask_b32_e64 v215, v235, v214, s2
	v_cndmask_b32_e32 v212, v232, v232, vcc_lo
	v_cndmask_b32_e64 v214, v234, v234, s2
	s_mov_b32 s2, exec_lo
	s_delay_alu instid0(VALU_DEP_1)
	v_cmpx_ngt_f64_e32 v[212:213], v[214:215]
	s_xor_b32 s2, exec_lo, s2
	s_cbranch_execz .LBB114_994
; %bb.993:
	v_div_scale_f64 v[212:213], null, v[234:235], v[234:235], v[232:233]
	v_div_scale_f64 v[218:219], vcc_lo, v[232:233], v[234:235], v[232:233]
	s_delay_alu instid0(VALU_DEP_2) | instskip(SKIP_2) | instid1(VALU_DEP_1)
	v_rcp_f64_e32 v[214:215], v[212:213]
	s_waitcnt_depctr 0xfff
	v_fma_f64 v[216:217], -v[212:213], v[214:215], 1.0
	v_fma_f64 v[214:215], v[214:215], v[216:217], v[214:215]
	s_delay_alu instid0(VALU_DEP_1) | instskip(NEXT) | instid1(VALU_DEP_1)
	v_fma_f64 v[216:217], -v[212:213], v[214:215], 1.0
	v_fma_f64 v[214:215], v[214:215], v[216:217], v[214:215]
	s_delay_alu instid0(VALU_DEP_1) | instskip(NEXT) | instid1(VALU_DEP_1)
	v_mul_f64 v[216:217], v[218:219], v[214:215]
	v_fma_f64 v[212:213], -v[212:213], v[216:217], v[218:219]
	s_delay_alu instid0(VALU_DEP_1) | instskip(NEXT) | instid1(VALU_DEP_1)
	v_div_fmas_f64 v[212:213], v[212:213], v[214:215], v[216:217]
	v_div_fixup_f64 v[212:213], v[212:213], v[234:235], v[232:233]
	s_delay_alu instid0(VALU_DEP_1) | instskip(NEXT) | instid1(VALU_DEP_1)
	v_fma_f64 v[214:215], v[232:233], v[212:213], v[234:235]
	v_div_scale_f64 v[216:217], null, v[214:215], v[214:215], 1.0
	s_delay_alu instid0(VALU_DEP_1) | instskip(SKIP_2) | instid1(VALU_DEP_1)
	v_rcp_f64_e32 v[218:219], v[216:217]
	s_waitcnt_depctr 0xfff
	v_fma_f64 v[220:221], -v[216:217], v[218:219], 1.0
	v_fma_f64 v[218:219], v[218:219], v[220:221], v[218:219]
	s_delay_alu instid0(VALU_DEP_1) | instskip(NEXT) | instid1(VALU_DEP_1)
	v_fma_f64 v[220:221], -v[216:217], v[218:219], 1.0
	v_fma_f64 v[218:219], v[218:219], v[220:221], v[218:219]
	v_div_scale_f64 v[220:221], vcc_lo, 1.0, v[214:215], 1.0
	s_delay_alu instid0(VALU_DEP_1) | instskip(NEXT) | instid1(VALU_DEP_1)
	v_mul_f64 v[222:223], v[220:221], v[218:219]
	v_fma_f64 v[216:217], -v[216:217], v[222:223], v[220:221]
	s_delay_alu instid0(VALU_DEP_1) | instskip(NEXT) | instid1(VALU_DEP_1)
	v_div_fmas_f64 v[216:217], v[216:217], v[218:219], v[222:223]
	v_div_fixup_f64 v[234:235], v[216:217], v[214:215], 1.0
	s_delay_alu instid0(VALU_DEP_1)
	v_mul_f64 v[232:233], v[212:213], v[234:235]
	v_xor_b32_e32 v235, 0x80000000, v235
.LBB114_994:
	s_and_not1_saveexec_b32 s2, s2
	s_cbranch_execz .LBB114_996
; %bb.995:
	s_delay_alu instid0(VALU_DEP_1) | instskip(SKIP_1) | instid1(VALU_DEP_2)
	v_div_scale_f64 v[212:213], null, v[232:233], v[232:233], v[234:235]
	v_div_scale_f64 v[218:219], vcc_lo, v[234:235], v[232:233], v[234:235]
	v_rcp_f64_e32 v[214:215], v[212:213]
	s_waitcnt_depctr 0xfff
	v_fma_f64 v[216:217], -v[212:213], v[214:215], 1.0
	s_delay_alu instid0(VALU_DEP_1) | instskip(NEXT) | instid1(VALU_DEP_1)
	v_fma_f64 v[214:215], v[214:215], v[216:217], v[214:215]
	v_fma_f64 v[216:217], -v[212:213], v[214:215], 1.0
	s_delay_alu instid0(VALU_DEP_1) | instskip(NEXT) | instid1(VALU_DEP_1)
	v_fma_f64 v[214:215], v[214:215], v[216:217], v[214:215]
	v_mul_f64 v[216:217], v[218:219], v[214:215]
	s_delay_alu instid0(VALU_DEP_1) | instskip(NEXT) | instid1(VALU_DEP_1)
	v_fma_f64 v[212:213], -v[212:213], v[216:217], v[218:219]
	v_div_fmas_f64 v[212:213], v[212:213], v[214:215], v[216:217]
	s_delay_alu instid0(VALU_DEP_1) | instskip(NEXT) | instid1(VALU_DEP_1)
	v_div_fixup_f64 v[212:213], v[212:213], v[232:233], v[234:235]
	v_fma_f64 v[214:215], v[234:235], v[212:213], v[232:233]
	s_delay_alu instid0(VALU_DEP_1) | instskip(NEXT) | instid1(VALU_DEP_1)
	v_div_scale_f64 v[216:217], null, v[214:215], v[214:215], 1.0
	v_rcp_f64_e32 v[218:219], v[216:217]
	s_waitcnt_depctr 0xfff
	v_fma_f64 v[220:221], -v[216:217], v[218:219], 1.0
	s_delay_alu instid0(VALU_DEP_1) | instskip(NEXT) | instid1(VALU_DEP_1)
	v_fma_f64 v[218:219], v[218:219], v[220:221], v[218:219]
	v_fma_f64 v[220:221], -v[216:217], v[218:219], 1.0
	s_delay_alu instid0(VALU_DEP_1) | instskip(SKIP_1) | instid1(VALU_DEP_1)
	v_fma_f64 v[218:219], v[218:219], v[220:221], v[218:219]
	v_div_scale_f64 v[220:221], vcc_lo, 1.0, v[214:215], 1.0
	v_mul_f64 v[222:223], v[220:221], v[218:219]
	s_delay_alu instid0(VALU_DEP_1) | instskip(NEXT) | instid1(VALU_DEP_1)
	v_fma_f64 v[216:217], -v[216:217], v[222:223], v[220:221]
	v_div_fmas_f64 v[216:217], v[216:217], v[218:219], v[222:223]
	s_delay_alu instid0(VALU_DEP_1) | instskip(NEXT) | instid1(VALU_DEP_1)
	v_div_fixup_f64 v[232:233], v[216:217], v[214:215], 1.0
	v_mul_f64 v[234:235], v[212:213], -v[232:233]
.LBB114_996:
	s_or_b32 exec_lo, exec_lo, s2
.LBB114_997:
	s_delay_alu instid0(SALU_CYCLE_1) | instskip(NEXT) | instid1(SALU_CYCLE_1)
	s_or_b32 exec_lo, exec_lo, s3
	s_mov_b32 s2, exec_lo
	v_cmpx_ne_u32_e64 v248, v240
	s_xor_b32 s2, exec_lo, s2
	s_cbranch_execz .LBB114_1003
; %bb.998:
	s_mov_b32 s3, exec_lo
	v_cmpx_eq_u32_e32 47, v248
	s_cbranch_execz .LBB114_1002
; %bb.999:
	v_cmp_ne_u32_e32 vcc_lo, 47, v240
	s_xor_b32 s4, s5, -1
	s_delay_alu instid0(SALU_CYCLE_1) | instskip(NEXT) | instid1(SALU_CYCLE_1)
	s_and_b32 s6, s4, vcc_lo
	s_and_saveexec_b32 s4, s6
	s_cbranch_execz .LBB114_1001
; %bb.1000:
	scratch_load_b64 v[208:209], off, off   ; 8-byte Folded Reload
	v_ashrrev_i32_e32 v241, 31, v240
	s_delay_alu instid0(VALU_DEP_1) | instskip(SKIP_1) | instid1(VALU_DEP_1)
	v_lshlrev_b64 v[212:213], 2, v[240:241]
	s_waitcnt vmcnt(0)
	v_add_co_u32 v212, vcc_lo, v208, v212
	s_delay_alu instid0(VALU_DEP_2)
	v_add_co_ci_u32_e32 v213, vcc_lo, v209, v213, vcc_lo
	s_clause 0x1
	flat_load_b32 v214, v[212:213]
	flat_load_b32 v215, v[208:209] offset:188
	s_waitcnt vmcnt(1) lgkmcnt(1)
	flat_store_b32 v[208:209], v214 offset:188
	s_waitcnt vmcnt(0) lgkmcnt(1)
	flat_store_b32 v[212:213], v215
.LBB114_1001:
	s_or_b32 exec_lo, exec_lo, s4
	v_mov_b32_e32 v248, v240
	v_mov_b32_e32 v236, v240
.LBB114_1002:
	s_or_b32 exec_lo, exec_lo, s3
.LBB114_1003:
	s_and_not1_saveexec_b32 s2, s2
	s_cbranch_execz .LBB114_1005
; %bb.1004:
	v_mov_b32_e32 v248, 47
	ds_store_2addr_b64 v242, v[36:37], v[38:39] offset0:96 offset1:97
	ds_store_2addr_b64 v242, v[32:33], v[34:35] offset0:98 offset1:99
	;; [unrolled: 1-line block ×10, first 2 shown]
.LBB114_1005:
	s_or_b32 exec_lo, exec_lo, s2
	s_delay_alu instid0(SALU_CYCLE_1)
	s_mov_b32 s2, exec_lo
	s_waitcnt lgkmcnt(0)
	s_waitcnt_vscnt null, 0x0
	s_barrier
	buffer_gl0_inv
	v_cmpx_lt_i32_e32 47, v248
	s_cbranch_execz .LBB114_1007
; %bb.1006:
	v_mul_f64 v[212:213], v[232:233], v[42:43]
	v_mul_f64 v[42:43], v[234:235], v[42:43]
	s_delay_alu instid0(VALU_DEP_2) | instskip(NEXT) | instid1(VALU_DEP_2)
	v_fma_f64 v[212:213], v[234:235], v[40:41], v[212:213]
	v_fma_f64 v[40:41], v[232:233], v[40:41], -v[42:43]
	ds_load_2addr_b64 v[232:235], v242 offset0:96 offset1:97
	s_waitcnt lgkmcnt(0)
	v_mul_f64 v[42:43], v[234:235], v[212:213]
	v_mul_f64 v[214:215], v[232:233], v[212:213]
	s_delay_alu instid0(VALU_DEP_2) | instskip(NEXT) | instid1(VALU_DEP_2)
	v_fma_f64 v[42:43], v[232:233], v[40:41], -v[42:43]
	v_fma_f64 v[214:215], v[234:235], v[40:41], v[214:215]
	ds_load_2addr_b64 v[232:235], v242 offset0:98 offset1:99
	v_add_f64 v[36:37], v[36:37], -v[42:43]
	v_add_f64 v[38:39], v[38:39], -v[214:215]
	s_waitcnt lgkmcnt(0)
	v_mul_f64 v[42:43], v[234:235], v[212:213]
	v_mul_f64 v[214:215], v[232:233], v[212:213]
	s_delay_alu instid0(VALU_DEP_2) | instskip(NEXT) | instid1(VALU_DEP_2)
	v_fma_f64 v[42:43], v[232:233], v[40:41], -v[42:43]
	v_fma_f64 v[214:215], v[234:235], v[40:41], v[214:215]
	ds_load_2addr_b64 v[232:235], v242 offset0:100 offset1:101
	v_add_f64 v[32:33], v[32:33], -v[42:43]
	v_add_f64 v[34:35], v[34:35], -v[214:215]
	s_waitcnt lgkmcnt(0)
	v_mul_f64 v[42:43], v[234:235], v[212:213]
	v_mul_f64 v[214:215], v[232:233], v[212:213]
	s_delay_alu instid0(VALU_DEP_2) | instskip(NEXT) | instid1(VALU_DEP_2)
	v_fma_f64 v[42:43], v[232:233], v[40:41], -v[42:43]
	v_fma_f64 v[214:215], v[234:235], v[40:41], v[214:215]
	ds_load_2addr_b64 v[232:235], v242 offset0:102 offset1:103
	v_add_f64 v[28:29], v[28:29], -v[42:43]
	v_add_f64 v[30:31], v[30:31], -v[214:215]
	s_waitcnt lgkmcnt(0)
	v_mul_f64 v[42:43], v[234:235], v[212:213]
	v_mul_f64 v[214:215], v[232:233], v[212:213]
	s_delay_alu instid0(VALU_DEP_2) | instskip(NEXT) | instid1(VALU_DEP_2)
	v_fma_f64 v[42:43], v[232:233], v[40:41], -v[42:43]
	v_fma_f64 v[214:215], v[234:235], v[40:41], v[214:215]
	ds_load_2addr_b64 v[232:235], v242 offset0:104 offset1:105
	v_add_f64 v[24:25], v[24:25], -v[42:43]
	v_add_f64 v[26:27], v[26:27], -v[214:215]
	s_waitcnt lgkmcnt(0)
	v_mul_f64 v[42:43], v[234:235], v[212:213]
	v_mul_f64 v[214:215], v[232:233], v[212:213]
	s_delay_alu instid0(VALU_DEP_2) | instskip(NEXT) | instid1(VALU_DEP_2)
	v_fma_f64 v[42:43], v[232:233], v[40:41], -v[42:43]
	v_fma_f64 v[214:215], v[234:235], v[40:41], v[214:215]
	ds_load_2addr_b64 v[232:235], v242 offset0:106 offset1:107
	v_add_f64 v[20:21], v[20:21], -v[42:43]
	v_add_f64 v[22:23], v[22:23], -v[214:215]
	s_waitcnt lgkmcnt(0)
	v_mul_f64 v[42:43], v[234:235], v[212:213]
	v_mul_f64 v[214:215], v[232:233], v[212:213]
	s_delay_alu instid0(VALU_DEP_2) | instskip(NEXT) | instid1(VALU_DEP_2)
	v_fma_f64 v[42:43], v[232:233], v[40:41], -v[42:43]
	v_fma_f64 v[214:215], v[234:235], v[40:41], v[214:215]
	ds_load_2addr_b64 v[232:235], v242 offset0:108 offset1:109
	v_add_f64 v[16:17], v[16:17], -v[42:43]
	v_add_f64 v[18:19], v[18:19], -v[214:215]
	s_waitcnt lgkmcnt(0)
	v_mul_f64 v[42:43], v[234:235], v[212:213]
	v_mul_f64 v[214:215], v[232:233], v[212:213]
	s_delay_alu instid0(VALU_DEP_2) | instskip(NEXT) | instid1(VALU_DEP_2)
	v_fma_f64 v[42:43], v[232:233], v[40:41], -v[42:43]
	v_fma_f64 v[214:215], v[234:235], v[40:41], v[214:215]
	ds_load_2addr_b64 v[232:235], v242 offset0:110 offset1:111
	v_add_f64 v[12:13], v[12:13], -v[42:43]
	v_add_f64 v[14:15], v[14:15], -v[214:215]
	s_waitcnt lgkmcnt(0)
	v_mul_f64 v[42:43], v[234:235], v[212:213]
	v_mul_f64 v[214:215], v[232:233], v[212:213]
	s_delay_alu instid0(VALU_DEP_2) | instskip(NEXT) | instid1(VALU_DEP_2)
	v_fma_f64 v[42:43], v[232:233], v[40:41], -v[42:43]
	v_fma_f64 v[214:215], v[234:235], v[40:41], v[214:215]
	ds_load_2addr_b64 v[232:235], v242 offset0:112 offset1:113
	v_add_f64 v[8:9], v[8:9], -v[42:43]
	v_add_f64 v[10:11], v[10:11], -v[214:215]
	s_waitcnt lgkmcnt(0)
	v_mul_f64 v[42:43], v[234:235], v[212:213]
	v_mul_f64 v[214:215], v[232:233], v[212:213]
	s_delay_alu instid0(VALU_DEP_2) | instskip(NEXT) | instid1(VALU_DEP_2)
	v_fma_f64 v[42:43], v[232:233], v[40:41], -v[42:43]
	v_fma_f64 v[214:215], v[234:235], v[40:41], v[214:215]
	ds_load_2addr_b64 v[232:235], v242 offset0:114 offset1:115
	v_add_f64 v[224:225], v[224:225], -v[42:43]
	v_add_f64 v[226:227], v[226:227], -v[214:215]
	s_waitcnt lgkmcnt(0)
	v_mul_f64 v[42:43], v[234:235], v[212:213]
	v_mul_f64 v[214:215], v[232:233], v[212:213]
	s_delay_alu instid0(VALU_DEP_2) | instskip(NEXT) | instid1(VALU_DEP_2)
	v_fma_f64 v[42:43], v[232:233], v[40:41], -v[42:43]
	v_fma_f64 v[214:215], v[234:235], v[40:41], v[214:215]
	s_delay_alu instid0(VALU_DEP_2) | instskip(NEXT) | instid1(VALU_DEP_2)
	v_add_f64 v[0:1], v[0:1], -v[42:43]
	v_add_f64 v[2:3], v[2:3], -v[214:215]
	v_dual_mov_b32 v42, v212 :: v_dual_mov_b32 v43, v213
.LBB114_1007:
	s_or_b32 exec_lo, exec_lo, s2
	v_lshl_add_u32 v212, v248, 4, v242
	s_barrier
	buffer_gl0_inv
	v_mov_b32_e32 v240, 48
	ds_store_2addr_b64 v212, v[36:37], v[38:39] offset1:1
	s_waitcnt lgkmcnt(0)
	s_barrier
	buffer_gl0_inv
	ds_load_2addr_b64 v[232:235], v242 offset0:96 offset1:97
	s_cmp_lt_i32 s12, 50
	s_cbranch_scc1 .LBB114_1010
; %bb.1008:
	v_add3_u32 v241, v246, 0, 0x310
	v_mov_b32_e32 v240, 48
	s_mov_b32 s2, 49
	s_set_inst_prefetch_distance 0x1
	.p2align	6
.LBB114_1009:                           ; =>This Inner Loop Header: Depth=1
	s_waitcnt lgkmcnt(0)
	v_cmp_gt_f64_e32 vcc_lo, 0, v[232:233]
	v_xor_b32_e32 v212, 0x80000000, v233
	v_xor_b32_e32 v214, 0x80000000, v235
	ds_load_2addr_b64 v[249:252], v241 offset1:1
	v_add_nc_u32_e32 v241, 16, v241
	s_waitcnt lgkmcnt(0)
	v_xor_b32_e32 v216, 0x80000000, v252
	v_cndmask_b32_e32 v213, v233, v212, vcc_lo
	v_cndmask_b32_e32 v212, v232, v232, vcc_lo
	v_cmp_gt_f64_e32 vcc_lo, 0, v[234:235]
	v_cndmask_b32_e32 v215, v235, v214, vcc_lo
	v_cndmask_b32_e32 v214, v234, v234, vcc_lo
	v_cmp_gt_f64_e32 vcc_lo, 0, v[249:250]
	s_delay_alu instid0(VALU_DEP_2) | instskip(SKIP_1) | instid1(VALU_DEP_1)
	v_add_f64 v[212:213], v[212:213], v[214:215]
	v_xor_b32_e32 v214, 0x80000000, v250
	v_dual_cndmask_b32 v215, v250, v214 :: v_dual_mov_b32 v214, v249
	v_cmp_gt_f64_e32 vcc_lo, 0, v[251:252]
	v_dual_cndmask_b32 v217, v252, v216 :: v_dual_mov_b32 v216, v251
	s_delay_alu instid0(VALU_DEP_1) | instskip(NEXT) | instid1(VALU_DEP_1)
	v_add_f64 v[214:215], v[214:215], v[216:217]
	v_cmp_lt_f64_e32 vcc_lo, v[212:213], v[214:215]
	v_dual_cndmask_b32 v233, v233, v250 :: v_dual_cndmask_b32 v232, v232, v249
	v_dual_cndmask_b32 v235, v235, v252 :: v_dual_cndmask_b32 v234, v234, v251
	v_cndmask_b32_e64 v240, v240, s2, vcc_lo
	s_add_i32 s2, s2, 1
	s_delay_alu instid0(SALU_CYCLE_1)
	s_cmp_lg_u32 s12, s2
	s_cbranch_scc1 .LBB114_1009
.LBB114_1010:
	s_set_inst_prefetch_distance 0x2
	s_waitcnt lgkmcnt(0)
	v_cmp_eq_f64_e32 vcc_lo, 0, v[232:233]
	v_cmp_eq_f64_e64 s2, 0, v[234:235]
	s_delay_alu instid0(VALU_DEP_1) | instskip(NEXT) | instid1(SALU_CYCLE_1)
	s_and_b32 s2, vcc_lo, s2
	s_and_saveexec_b32 s3, s2
	s_delay_alu instid0(SALU_CYCLE_1)
	s_xor_b32 s2, exec_lo, s3
; %bb.1011:
	v_cmp_ne_u32_e32 vcc_lo, 0, v245
	v_cndmask_b32_e32 v245, 49, v245, vcc_lo
; %bb.1012:
	s_and_not1_saveexec_b32 s3, s2
	s_cbranch_execz .LBB114_1018
; %bb.1013:
	v_cmp_gt_f64_e32 vcc_lo, 0, v[232:233]
	v_cmp_gt_f64_e64 s2, 0, v[234:235]
	v_xor_b32_e32 v212, 0x80000000, v233
	v_xor_b32_e32 v214, 0x80000000, v235
	s_delay_alu instid0(VALU_DEP_2) | instskip(NEXT) | instid1(VALU_DEP_2)
	v_cndmask_b32_e32 v213, v233, v212, vcc_lo
	v_cndmask_b32_e64 v215, v235, v214, s2
	v_cndmask_b32_e32 v212, v232, v232, vcc_lo
	v_cndmask_b32_e64 v214, v234, v234, s2
	s_mov_b32 s2, exec_lo
	s_delay_alu instid0(VALU_DEP_1)
	v_cmpx_ngt_f64_e32 v[212:213], v[214:215]
	s_xor_b32 s2, exec_lo, s2
	s_cbranch_execz .LBB114_1015
; %bb.1014:
	v_div_scale_f64 v[212:213], null, v[234:235], v[234:235], v[232:233]
	v_div_scale_f64 v[218:219], vcc_lo, v[232:233], v[234:235], v[232:233]
	s_delay_alu instid0(VALU_DEP_2) | instskip(SKIP_2) | instid1(VALU_DEP_1)
	v_rcp_f64_e32 v[214:215], v[212:213]
	s_waitcnt_depctr 0xfff
	v_fma_f64 v[216:217], -v[212:213], v[214:215], 1.0
	v_fma_f64 v[214:215], v[214:215], v[216:217], v[214:215]
	s_delay_alu instid0(VALU_DEP_1) | instskip(NEXT) | instid1(VALU_DEP_1)
	v_fma_f64 v[216:217], -v[212:213], v[214:215], 1.0
	v_fma_f64 v[214:215], v[214:215], v[216:217], v[214:215]
	s_delay_alu instid0(VALU_DEP_1) | instskip(NEXT) | instid1(VALU_DEP_1)
	v_mul_f64 v[216:217], v[218:219], v[214:215]
	v_fma_f64 v[212:213], -v[212:213], v[216:217], v[218:219]
	s_delay_alu instid0(VALU_DEP_1) | instskip(NEXT) | instid1(VALU_DEP_1)
	v_div_fmas_f64 v[212:213], v[212:213], v[214:215], v[216:217]
	v_div_fixup_f64 v[212:213], v[212:213], v[234:235], v[232:233]
	s_delay_alu instid0(VALU_DEP_1) | instskip(NEXT) | instid1(VALU_DEP_1)
	v_fma_f64 v[214:215], v[232:233], v[212:213], v[234:235]
	v_div_scale_f64 v[216:217], null, v[214:215], v[214:215], 1.0
	s_delay_alu instid0(VALU_DEP_1) | instskip(SKIP_2) | instid1(VALU_DEP_1)
	v_rcp_f64_e32 v[218:219], v[216:217]
	s_waitcnt_depctr 0xfff
	v_fma_f64 v[220:221], -v[216:217], v[218:219], 1.0
	v_fma_f64 v[218:219], v[218:219], v[220:221], v[218:219]
	s_delay_alu instid0(VALU_DEP_1) | instskip(NEXT) | instid1(VALU_DEP_1)
	v_fma_f64 v[220:221], -v[216:217], v[218:219], 1.0
	v_fma_f64 v[218:219], v[218:219], v[220:221], v[218:219]
	v_div_scale_f64 v[220:221], vcc_lo, 1.0, v[214:215], 1.0
	s_delay_alu instid0(VALU_DEP_1) | instskip(NEXT) | instid1(VALU_DEP_1)
	v_mul_f64 v[222:223], v[220:221], v[218:219]
	v_fma_f64 v[216:217], -v[216:217], v[222:223], v[220:221]
	s_delay_alu instid0(VALU_DEP_1) | instskip(NEXT) | instid1(VALU_DEP_1)
	v_div_fmas_f64 v[216:217], v[216:217], v[218:219], v[222:223]
	v_div_fixup_f64 v[234:235], v[216:217], v[214:215], 1.0
	s_delay_alu instid0(VALU_DEP_1)
	v_mul_f64 v[232:233], v[212:213], v[234:235]
	v_xor_b32_e32 v235, 0x80000000, v235
.LBB114_1015:
	s_and_not1_saveexec_b32 s2, s2
	s_cbranch_execz .LBB114_1017
; %bb.1016:
	s_delay_alu instid0(VALU_DEP_1) | instskip(SKIP_1) | instid1(VALU_DEP_2)
	v_div_scale_f64 v[212:213], null, v[232:233], v[232:233], v[234:235]
	v_div_scale_f64 v[218:219], vcc_lo, v[234:235], v[232:233], v[234:235]
	v_rcp_f64_e32 v[214:215], v[212:213]
	s_waitcnt_depctr 0xfff
	v_fma_f64 v[216:217], -v[212:213], v[214:215], 1.0
	s_delay_alu instid0(VALU_DEP_1) | instskip(NEXT) | instid1(VALU_DEP_1)
	v_fma_f64 v[214:215], v[214:215], v[216:217], v[214:215]
	v_fma_f64 v[216:217], -v[212:213], v[214:215], 1.0
	s_delay_alu instid0(VALU_DEP_1) | instskip(NEXT) | instid1(VALU_DEP_1)
	v_fma_f64 v[214:215], v[214:215], v[216:217], v[214:215]
	v_mul_f64 v[216:217], v[218:219], v[214:215]
	s_delay_alu instid0(VALU_DEP_1) | instskip(NEXT) | instid1(VALU_DEP_1)
	v_fma_f64 v[212:213], -v[212:213], v[216:217], v[218:219]
	v_div_fmas_f64 v[212:213], v[212:213], v[214:215], v[216:217]
	s_delay_alu instid0(VALU_DEP_1) | instskip(NEXT) | instid1(VALU_DEP_1)
	v_div_fixup_f64 v[212:213], v[212:213], v[232:233], v[234:235]
	v_fma_f64 v[214:215], v[234:235], v[212:213], v[232:233]
	s_delay_alu instid0(VALU_DEP_1) | instskip(NEXT) | instid1(VALU_DEP_1)
	v_div_scale_f64 v[216:217], null, v[214:215], v[214:215], 1.0
	v_rcp_f64_e32 v[218:219], v[216:217]
	s_waitcnt_depctr 0xfff
	v_fma_f64 v[220:221], -v[216:217], v[218:219], 1.0
	s_delay_alu instid0(VALU_DEP_1) | instskip(NEXT) | instid1(VALU_DEP_1)
	v_fma_f64 v[218:219], v[218:219], v[220:221], v[218:219]
	v_fma_f64 v[220:221], -v[216:217], v[218:219], 1.0
	s_delay_alu instid0(VALU_DEP_1) | instskip(SKIP_1) | instid1(VALU_DEP_1)
	v_fma_f64 v[218:219], v[218:219], v[220:221], v[218:219]
	v_div_scale_f64 v[220:221], vcc_lo, 1.0, v[214:215], 1.0
	v_mul_f64 v[222:223], v[220:221], v[218:219]
	s_delay_alu instid0(VALU_DEP_1) | instskip(NEXT) | instid1(VALU_DEP_1)
	v_fma_f64 v[216:217], -v[216:217], v[222:223], v[220:221]
	v_div_fmas_f64 v[216:217], v[216:217], v[218:219], v[222:223]
	s_delay_alu instid0(VALU_DEP_1) | instskip(NEXT) | instid1(VALU_DEP_1)
	v_div_fixup_f64 v[232:233], v[216:217], v[214:215], 1.0
	v_mul_f64 v[234:235], v[212:213], -v[232:233]
.LBB114_1017:
	s_or_b32 exec_lo, exec_lo, s2
.LBB114_1018:
	s_delay_alu instid0(SALU_CYCLE_1) | instskip(NEXT) | instid1(SALU_CYCLE_1)
	s_or_b32 exec_lo, exec_lo, s3
	s_mov_b32 s2, exec_lo
	v_cmpx_ne_u32_e64 v248, v240
	s_xor_b32 s2, exec_lo, s2
	s_cbranch_execz .LBB114_1024
; %bb.1019:
	s_mov_b32 s3, exec_lo
	v_cmpx_eq_u32_e32 48, v248
	s_cbranch_execz .LBB114_1023
; %bb.1020:
	v_cmp_ne_u32_e32 vcc_lo, 48, v240
	s_xor_b32 s4, s5, -1
	s_delay_alu instid0(SALU_CYCLE_1) | instskip(NEXT) | instid1(SALU_CYCLE_1)
	s_and_b32 s6, s4, vcc_lo
	s_and_saveexec_b32 s4, s6
	s_cbranch_execz .LBB114_1022
; %bb.1021:
	scratch_load_b64 v[208:209], off, off   ; 8-byte Folded Reload
	v_ashrrev_i32_e32 v241, 31, v240
	s_delay_alu instid0(VALU_DEP_1) | instskip(SKIP_1) | instid1(VALU_DEP_1)
	v_lshlrev_b64 v[212:213], 2, v[240:241]
	s_waitcnt vmcnt(0)
	v_add_co_u32 v212, vcc_lo, v208, v212
	s_delay_alu instid0(VALU_DEP_2)
	v_add_co_ci_u32_e32 v213, vcc_lo, v209, v213, vcc_lo
	s_clause 0x1
	flat_load_b32 v214, v[212:213]
	flat_load_b32 v215, v[208:209] offset:192
	s_waitcnt vmcnt(1) lgkmcnt(1)
	flat_store_b32 v[208:209], v214 offset:192
	s_waitcnt vmcnt(0) lgkmcnt(1)
	flat_store_b32 v[212:213], v215
.LBB114_1022:
	s_or_b32 exec_lo, exec_lo, s4
	v_mov_b32_e32 v248, v240
	v_mov_b32_e32 v236, v240
.LBB114_1023:
	s_or_b32 exec_lo, exec_lo, s3
.LBB114_1024:
	s_and_not1_saveexec_b32 s2, s2
	s_cbranch_execz .LBB114_1026
; %bb.1025:
	v_mov_b32_e32 v248, 48
	ds_store_2addr_b64 v242, v[32:33], v[34:35] offset0:98 offset1:99
	ds_store_2addr_b64 v242, v[28:29], v[30:31] offset0:100 offset1:101
	;; [unrolled: 1-line block ×9, first 2 shown]
.LBB114_1026:
	s_or_b32 exec_lo, exec_lo, s2
	s_delay_alu instid0(SALU_CYCLE_1)
	s_mov_b32 s2, exec_lo
	s_waitcnt lgkmcnt(0)
	s_waitcnt_vscnt null, 0x0
	s_barrier
	buffer_gl0_inv
	v_cmpx_lt_i32_e32 48, v248
	s_cbranch_execz .LBB114_1028
; %bb.1027:
	v_mul_f64 v[212:213], v[232:233], v[38:39]
	v_mul_f64 v[38:39], v[234:235], v[38:39]
	s_delay_alu instid0(VALU_DEP_2) | instskip(NEXT) | instid1(VALU_DEP_2)
	v_fma_f64 v[212:213], v[234:235], v[36:37], v[212:213]
	v_fma_f64 v[36:37], v[232:233], v[36:37], -v[38:39]
	ds_load_2addr_b64 v[232:235], v242 offset0:98 offset1:99
	s_waitcnt lgkmcnt(0)
	v_mul_f64 v[38:39], v[234:235], v[212:213]
	v_mul_f64 v[214:215], v[232:233], v[212:213]
	s_delay_alu instid0(VALU_DEP_2) | instskip(NEXT) | instid1(VALU_DEP_2)
	v_fma_f64 v[38:39], v[232:233], v[36:37], -v[38:39]
	v_fma_f64 v[214:215], v[234:235], v[36:37], v[214:215]
	ds_load_2addr_b64 v[232:235], v242 offset0:100 offset1:101
	v_add_f64 v[32:33], v[32:33], -v[38:39]
	v_add_f64 v[34:35], v[34:35], -v[214:215]
	s_waitcnt lgkmcnt(0)
	v_mul_f64 v[38:39], v[234:235], v[212:213]
	v_mul_f64 v[214:215], v[232:233], v[212:213]
	s_delay_alu instid0(VALU_DEP_2) | instskip(NEXT) | instid1(VALU_DEP_2)
	v_fma_f64 v[38:39], v[232:233], v[36:37], -v[38:39]
	v_fma_f64 v[214:215], v[234:235], v[36:37], v[214:215]
	ds_load_2addr_b64 v[232:235], v242 offset0:102 offset1:103
	v_add_f64 v[28:29], v[28:29], -v[38:39]
	v_add_f64 v[30:31], v[30:31], -v[214:215]
	;; [unrolled: 9-line block ×8, first 2 shown]
	s_waitcnt lgkmcnt(0)
	v_mul_f64 v[38:39], v[234:235], v[212:213]
	v_mul_f64 v[214:215], v[232:233], v[212:213]
	s_delay_alu instid0(VALU_DEP_2) | instskip(NEXT) | instid1(VALU_DEP_2)
	v_fma_f64 v[38:39], v[232:233], v[36:37], -v[38:39]
	v_fma_f64 v[214:215], v[234:235], v[36:37], v[214:215]
	s_delay_alu instid0(VALU_DEP_2) | instskip(NEXT) | instid1(VALU_DEP_2)
	v_add_f64 v[0:1], v[0:1], -v[38:39]
	v_add_f64 v[2:3], v[2:3], -v[214:215]
	v_dual_mov_b32 v38, v212 :: v_dual_mov_b32 v39, v213
.LBB114_1028:
	s_or_b32 exec_lo, exec_lo, s2
	v_lshl_add_u32 v212, v248, 4, v242
	s_barrier
	buffer_gl0_inv
	v_mov_b32_e32 v240, 49
	ds_store_2addr_b64 v212, v[32:33], v[34:35] offset1:1
	s_waitcnt lgkmcnt(0)
	s_barrier
	buffer_gl0_inv
	ds_load_2addr_b64 v[232:235], v242 offset0:98 offset1:99
	s_cmp_lt_i32 s12, 51
	s_cbranch_scc1 .LBB114_1031
; %bb.1029:
	v_add3_u32 v241, v246, 0, 0x320
	v_mov_b32_e32 v240, 49
	s_mov_b32 s2, 50
	s_set_inst_prefetch_distance 0x1
	.p2align	6
.LBB114_1030:                           ; =>This Inner Loop Header: Depth=1
	s_waitcnt lgkmcnt(0)
	v_cmp_gt_f64_e32 vcc_lo, 0, v[232:233]
	v_xor_b32_e32 v212, 0x80000000, v233
	v_xor_b32_e32 v214, 0x80000000, v235
	ds_load_2addr_b64 v[249:252], v241 offset1:1
	v_add_nc_u32_e32 v241, 16, v241
	s_waitcnt lgkmcnt(0)
	v_xor_b32_e32 v216, 0x80000000, v252
	v_cndmask_b32_e32 v213, v233, v212, vcc_lo
	v_cndmask_b32_e32 v212, v232, v232, vcc_lo
	v_cmp_gt_f64_e32 vcc_lo, 0, v[234:235]
	v_cndmask_b32_e32 v215, v235, v214, vcc_lo
	v_cndmask_b32_e32 v214, v234, v234, vcc_lo
	v_cmp_gt_f64_e32 vcc_lo, 0, v[249:250]
	s_delay_alu instid0(VALU_DEP_2) | instskip(SKIP_1) | instid1(VALU_DEP_1)
	v_add_f64 v[212:213], v[212:213], v[214:215]
	v_xor_b32_e32 v214, 0x80000000, v250
	v_dual_cndmask_b32 v215, v250, v214 :: v_dual_mov_b32 v214, v249
	v_cmp_gt_f64_e32 vcc_lo, 0, v[251:252]
	v_dual_cndmask_b32 v217, v252, v216 :: v_dual_mov_b32 v216, v251
	s_delay_alu instid0(VALU_DEP_1) | instskip(NEXT) | instid1(VALU_DEP_1)
	v_add_f64 v[214:215], v[214:215], v[216:217]
	v_cmp_lt_f64_e32 vcc_lo, v[212:213], v[214:215]
	v_dual_cndmask_b32 v233, v233, v250 :: v_dual_cndmask_b32 v232, v232, v249
	v_dual_cndmask_b32 v235, v235, v252 :: v_dual_cndmask_b32 v234, v234, v251
	v_cndmask_b32_e64 v240, v240, s2, vcc_lo
	s_add_i32 s2, s2, 1
	s_delay_alu instid0(SALU_CYCLE_1)
	s_cmp_lg_u32 s12, s2
	s_cbranch_scc1 .LBB114_1030
.LBB114_1031:
	s_set_inst_prefetch_distance 0x2
	s_waitcnt lgkmcnt(0)
	v_cmp_eq_f64_e32 vcc_lo, 0, v[232:233]
	v_cmp_eq_f64_e64 s2, 0, v[234:235]
	s_delay_alu instid0(VALU_DEP_1) | instskip(NEXT) | instid1(SALU_CYCLE_1)
	s_and_b32 s2, vcc_lo, s2
	s_and_saveexec_b32 s3, s2
	s_delay_alu instid0(SALU_CYCLE_1)
	s_xor_b32 s2, exec_lo, s3
; %bb.1032:
	v_cmp_ne_u32_e32 vcc_lo, 0, v245
	v_cndmask_b32_e32 v245, 50, v245, vcc_lo
; %bb.1033:
	s_and_not1_saveexec_b32 s3, s2
	s_cbranch_execz .LBB114_1039
; %bb.1034:
	v_cmp_gt_f64_e32 vcc_lo, 0, v[232:233]
	v_cmp_gt_f64_e64 s2, 0, v[234:235]
	v_xor_b32_e32 v212, 0x80000000, v233
	v_xor_b32_e32 v214, 0x80000000, v235
	s_delay_alu instid0(VALU_DEP_2) | instskip(NEXT) | instid1(VALU_DEP_2)
	v_cndmask_b32_e32 v213, v233, v212, vcc_lo
	v_cndmask_b32_e64 v215, v235, v214, s2
	v_cndmask_b32_e32 v212, v232, v232, vcc_lo
	v_cndmask_b32_e64 v214, v234, v234, s2
	s_mov_b32 s2, exec_lo
	s_delay_alu instid0(VALU_DEP_1)
	v_cmpx_ngt_f64_e32 v[212:213], v[214:215]
	s_xor_b32 s2, exec_lo, s2
	s_cbranch_execz .LBB114_1036
; %bb.1035:
	v_div_scale_f64 v[212:213], null, v[234:235], v[234:235], v[232:233]
	v_div_scale_f64 v[218:219], vcc_lo, v[232:233], v[234:235], v[232:233]
	s_delay_alu instid0(VALU_DEP_2) | instskip(SKIP_2) | instid1(VALU_DEP_1)
	v_rcp_f64_e32 v[214:215], v[212:213]
	s_waitcnt_depctr 0xfff
	v_fma_f64 v[216:217], -v[212:213], v[214:215], 1.0
	v_fma_f64 v[214:215], v[214:215], v[216:217], v[214:215]
	s_delay_alu instid0(VALU_DEP_1) | instskip(NEXT) | instid1(VALU_DEP_1)
	v_fma_f64 v[216:217], -v[212:213], v[214:215], 1.0
	v_fma_f64 v[214:215], v[214:215], v[216:217], v[214:215]
	s_delay_alu instid0(VALU_DEP_1) | instskip(NEXT) | instid1(VALU_DEP_1)
	v_mul_f64 v[216:217], v[218:219], v[214:215]
	v_fma_f64 v[212:213], -v[212:213], v[216:217], v[218:219]
	s_delay_alu instid0(VALU_DEP_1) | instskip(NEXT) | instid1(VALU_DEP_1)
	v_div_fmas_f64 v[212:213], v[212:213], v[214:215], v[216:217]
	v_div_fixup_f64 v[212:213], v[212:213], v[234:235], v[232:233]
	s_delay_alu instid0(VALU_DEP_1) | instskip(NEXT) | instid1(VALU_DEP_1)
	v_fma_f64 v[214:215], v[232:233], v[212:213], v[234:235]
	v_div_scale_f64 v[216:217], null, v[214:215], v[214:215], 1.0
	s_delay_alu instid0(VALU_DEP_1) | instskip(SKIP_2) | instid1(VALU_DEP_1)
	v_rcp_f64_e32 v[218:219], v[216:217]
	s_waitcnt_depctr 0xfff
	v_fma_f64 v[220:221], -v[216:217], v[218:219], 1.0
	v_fma_f64 v[218:219], v[218:219], v[220:221], v[218:219]
	s_delay_alu instid0(VALU_DEP_1) | instskip(NEXT) | instid1(VALU_DEP_1)
	v_fma_f64 v[220:221], -v[216:217], v[218:219], 1.0
	v_fma_f64 v[218:219], v[218:219], v[220:221], v[218:219]
	v_div_scale_f64 v[220:221], vcc_lo, 1.0, v[214:215], 1.0
	s_delay_alu instid0(VALU_DEP_1) | instskip(NEXT) | instid1(VALU_DEP_1)
	v_mul_f64 v[222:223], v[220:221], v[218:219]
	v_fma_f64 v[216:217], -v[216:217], v[222:223], v[220:221]
	s_delay_alu instid0(VALU_DEP_1) | instskip(NEXT) | instid1(VALU_DEP_1)
	v_div_fmas_f64 v[216:217], v[216:217], v[218:219], v[222:223]
	v_div_fixup_f64 v[234:235], v[216:217], v[214:215], 1.0
	s_delay_alu instid0(VALU_DEP_1)
	v_mul_f64 v[232:233], v[212:213], v[234:235]
	v_xor_b32_e32 v235, 0x80000000, v235
.LBB114_1036:
	s_and_not1_saveexec_b32 s2, s2
	s_cbranch_execz .LBB114_1038
; %bb.1037:
	s_delay_alu instid0(VALU_DEP_1) | instskip(SKIP_1) | instid1(VALU_DEP_2)
	v_div_scale_f64 v[212:213], null, v[232:233], v[232:233], v[234:235]
	v_div_scale_f64 v[218:219], vcc_lo, v[234:235], v[232:233], v[234:235]
	v_rcp_f64_e32 v[214:215], v[212:213]
	s_waitcnt_depctr 0xfff
	v_fma_f64 v[216:217], -v[212:213], v[214:215], 1.0
	s_delay_alu instid0(VALU_DEP_1) | instskip(NEXT) | instid1(VALU_DEP_1)
	v_fma_f64 v[214:215], v[214:215], v[216:217], v[214:215]
	v_fma_f64 v[216:217], -v[212:213], v[214:215], 1.0
	s_delay_alu instid0(VALU_DEP_1) | instskip(NEXT) | instid1(VALU_DEP_1)
	v_fma_f64 v[214:215], v[214:215], v[216:217], v[214:215]
	v_mul_f64 v[216:217], v[218:219], v[214:215]
	s_delay_alu instid0(VALU_DEP_1) | instskip(NEXT) | instid1(VALU_DEP_1)
	v_fma_f64 v[212:213], -v[212:213], v[216:217], v[218:219]
	v_div_fmas_f64 v[212:213], v[212:213], v[214:215], v[216:217]
	s_delay_alu instid0(VALU_DEP_1) | instskip(NEXT) | instid1(VALU_DEP_1)
	v_div_fixup_f64 v[212:213], v[212:213], v[232:233], v[234:235]
	v_fma_f64 v[214:215], v[234:235], v[212:213], v[232:233]
	s_delay_alu instid0(VALU_DEP_1) | instskip(NEXT) | instid1(VALU_DEP_1)
	v_div_scale_f64 v[216:217], null, v[214:215], v[214:215], 1.0
	v_rcp_f64_e32 v[218:219], v[216:217]
	s_waitcnt_depctr 0xfff
	v_fma_f64 v[220:221], -v[216:217], v[218:219], 1.0
	s_delay_alu instid0(VALU_DEP_1) | instskip(NEXT) | instid1(VALU_DEP_1)
	v_fma_f64 v[218:219], v[218:219], v[220:221], v[218:219]
	v_fma_f64 v[220:221], -v[216:217], v[218:219], 1.0
	s_delay_alu instid0(VALU_DEP_1) | instskip(SKIP_1) | instid1(VALU_DEP_1)
	v_fma_f64 v[218:219], v[218:219], v[220:221], v[218:219]
	v_div_scale_f64 v[220:221], vcc_lo, 1.0, v[214:215], 1.0
	v_mul_f64 v[222:223], v[220:221], v[218:219]
	s_delay_alu instid0(VALU_DEP_1) | instskip(NEXT) | instid1(VALU_DEP_1)
	v_fma_f64 v[216:217], -v[216:217], v[222:223], v[220:221]
	v_div_fmas_f64 v[216:217], v[216:217], v[218:219], v[222:223]
	s_delay_alu instid0(VALU_DEP_1) | instskip(NEXT) | instid1(VALU_DEP_1)
	v_div_fixup_f64 v[232:233], v[216:217], v[214:215], 1.0
	v_mul_f64 v[234:235], v[212:213], -v[232:233]
.LBB114_1038:
	s_or_b32 exec_lo, exec_lo, s2
.LBB114_1039:
	s_delay_alu instid0(SALU_CYCLE_1) | instskip(NEXT) | instid1(SALU_CYCLE_1)
	s_or_b32 exec_lo, exec_lo, s3
	s_mov_b32 s2, exec_lo
	v_cmpx_ne_u32_e64 v248, v240
	s_xor_b32 s2, exec_lo, s2
	s_cbranch_execz .LBB114_1045
; %bb.1040:
	s_mov_b32 s3, exec_lo
	v_cmpx_eq_u32_e32 49, v248
	s_cbranch_execz .LBB114_1044
; %bb.1041:
	v_cmp_ne_u32_e32 vcc_lo, 49, v240
	s_xor_b32 s4, s5, -1
	s_delay_alu instid0(SALU_CYCLE_1) | instskip(NEXT) | instid1(SALU_CYCLE_1)
	s_and_b32 s6, s4, vcc_lo
	s_and_saveexec_b32 s4, s6
	s_cbranch_execz .LBB114_1043
; %bb.1042:
	scratch_load_b64 v[208:209], off, off   ; 8-byte Folded Reload
	v_ashrrev_i32_e32 v241, 31, v240
	s_delay_alu instid0(VALU_DEP_1) | instskip(SKIP_1) | instid1(VALU_DEP_1)
	v_lshlrev_b64 v[212:213], 2, v[240:241]
	s_waitcnt vmcnt(0)
	v_add_co_u32 v212, vcc_lo, v208, v212
	s_delay_alu instid0(VALU_DEP_2)
	v_add_co_ci_u32_e32 v213, vcc_lo, v209, v213, vcc_lo
	s_clause 0x1
	flat_load_b32 v214, v[212:213]
	flat_load_b32 v215, v[208:209] offset:196
	s_waitcnt vmcnt(1) lgkmcnt(1)
	flat_store_b32 v[208:209], v214 offset:196
	s_waitcnt vmcnt(0) lgkmcnt(1)
	flat_store_b32 v[212:213], v215
.LBB114_1043:
	s_or_b32 exec_lo, exec_lo, s4
	v_mov_b32_e32 v248, v240
	v_mov_b32_e32 v236, v240
.LBB114_1044:
	s_or_b32 exec_lo, exec_lo, s3
.LBB114_1045:
	s_and_not1_saveexec_b32 s2, s2
	s_cbranch_execz .LBB114_1047
; %bb.1046:
	v_mov_b32_e32 v248, 49
	ds_store_2addr_b64 v242, v[28:29], v[30:31] offset0:100 offset1:101
	ds_store_2addr_b64 v242, v[24:25], v[26:27] offset0:102 offset1:103
	;; [unrolled: 1-line block ×8, first 2 shown]
.LBB114_1047:
	s_or_b32 exec_lo, exec_lo, s2
	s_delay_alu instid0(SALU_CYCLE_1)
	s_mov_b32 s2, exec_lo
	s_waitcnt lgkmcnt(0)
	s_waitcnt_vscnt null, 0x0
	s_barrier
	buffer_gl0_inv
	v_cmpx_lt_i32_e32 49, v248
	s_cbranch_execz .LBB114_1049
; %bb.1048:
	v_mul_f64 v[212:213], v[232:233], v[34:35]
	v_mul_f64 v[34:35], v[234:235], v[34:35]
	s_delay_alu instid0(VALU_DEP_2) | instskip(NEXT) | instid1(VALU_DEP_2)
	v_fma_f64 v[212:213], v[234:235], v[32:33], v[212:213]
	v_fma_f64 v[32:33], v[232:233], v[32:33], -v[34:35]
	ds_load_2addr_b64 v[232:235], v242 offset0:100 offset1:101
	s_waitcnt lgkmcnt(0)
	v_mul_f64 v[34:35], v[234:235], v[212:213]
	v_mul_f64 v[214:215], v[232:233], v[212:213]
	s_delay_alu instid0(VALU_DEP_2) | instskip(NEXT) | instid1(VALU_DEP_2)
	v_fma_f64 v[34:35], v[232:233], v[32:33], -v[34:35]
	v_fma_f64 v[214:215], v[234:235], v[32:33], v[214:215]
	ds_load_2addr_b64 v[232:235], v242 offset0:102 offset1:103
	v_add_f64 v[28:29], v[28:29], -v[34:35]
	v_add_f64 v[30:31], v[30:31], -v[214:215]
	s_waitcnt lgkmcnt(0)
	v_mul_f64 v[34:35], v[234:235], v[212:213]
	v_mul_f64 v[214:215], v[232:233], v[212:213]
	s_delay_alu instid0(VALU_DEP_2) | instskip(NEXT) | instid1(VALU_DEP_2)
	v_fma_f64 v[34:35], v[232:233], v[32:33], -v[34:35]
	v_fma_f64 v[214:215], v[234:235], v[32:33], v[214:215]
	ds_load_2addr_b64 v[232:235], v242 offset0:104 offset1:105
	v_add_f64 v[24:25], v[24:25], -v[34:35]
	v_add_f64 v[26:27], v[26:27], -v[214:215]
	;; [unrolled: 9-line block ×7, first 2 shown]
	s_waitcnt lgkmcnt(0)
	v_mul_f64 v[34:35], v[234:235], v[212:213]
	v_mul_f64 v[214:215], v[232:233], v[212:213]
	s_delay_alu instid0(VALU_DEP_2) | instskip(NEXT) | instid1(VALU_DEP_2)
	v_fma_f64 v[34:35], v[232:233], v[32:33], -v[34:35]
	v_fma_f64 v[214:215], v[234:235], v[32:33], v[214:215]
	s_delay_alu instid0(VALU_DEP_2) | instskip(NEXT) | instid1(VALU_DEP_2)
	v_add_f64 v[0:1], v[0:1], -v[34:35]
	v_add_f64 v[2:3], v[2:3], -v[214:215]
	v_dual_mov_b32 v34, v212 :: v_dual_mov_b32 v35, v213
.LBB114_1049:
	s_or_b32 exec_lo, exec_lo, s2
	v_lshl_add_u32 v212, v248, 4, v242
	s_barrier
	buffer_gl0_inv
	v_mov_b32_e32 v240, 50
	ds_store_2addr_b64 v212, v[28:29], v[30:31] offset1:1
	s_waitcnt lgkmcnt(0)
	s_barrier
	buffer_gl0_inv
	ds_load_2addr_b64 v[232:235], v242 offset0:100 offset1:101
	s_cmp_lt_i32 s12, 52
	s_cbranch_scc1 .LBB114_1052
; %bb.1050:
	v_add3_u32 v241, v246, 0, 0x330
	v_mov_b32_e32 v240, 50
	s_mov_b32 s2, 51
	s_set_inst_prefetch_distance 0x1
	.p2align	6
.LBB114_1051:                           ; =>This Inner Loop Header: Depth=1
	s_waitcnt lgkmcnt(0)
	v_cmp_gt_f64_e32 vcc_lo, 0, v[232:233]
	v_xor_b32_e32 v212, 0x80000000, v233
	v_xor_b32_e32 v214, 0x80000000, v235
	ds_load_2addr_b64 v[249:252], v241 offset1:1
	v_add_nc_u32_e32 v241, 16, v241
	s_waitcnt lgkmcnt(0)
	v_xor_b32_e32 v216, 0x80000000, v252
	v_cndmask_b32_e32 v213, v233, v212, vcc_lo
	v_cndmask_b32_e32 v212, v232, v232, vcc_lo
	v_cmp_gt_f64_e32 vcc_lo, 0, v[234:235]
	v_cndmask_b32_e32 v215, v235, v214, vcc_lo
	v_cndmask_b32_e32 v214, v234, v234, vcc_lo
	v_cmp_gt_f64_e32 vcc_lo, 0, v[249:250]
	s_delay_alu instid0(VALU_DEP_2) | instskip(SKIP_1) | instid1(VALU_DEP_1)
	v_add_f64 v[212:213], v[212:213], v[214:215]
	v_xor_b32_e32 v214, 0x80000000, v250
	v_dual_cndmask_b32 v215, v250, v214 :: v_dual_mov_b32 v214, v249
	v_cmp_gt_f64_e32 vcc_lo, 0, v[251:252]
	v_dual_cndmask_b32 v217, v252, v216 :: v_dual_mov_b32 v216, v251
	s_delay_alu instid0(VALU_DEP_1) | instskip(NEXT) | instid1(VALU_DEP_1)
	v_add_f64 v[214:215], v[214:215], v[216:217]
	v_cmp_lt_f64_e32 vcc_lo, v[212:213], v[214:215]
	v_dual_cndmask_b32 v233, v233, v250 :: v_dual_cndmask_b32 v232, v232, v249
	v_dual_cndmask_b32 v235, v235, v252 :: v_dual_cndmask_b32 v234, v234, v251
	v_cndmask_b32_e64 v240, v240, s2, vcc_lo
	s_add_i32 s2, s2, 1
	s_delay_alu instid0(SALU_CYCLE_1)
	s_cmp_lg_u32 s12, s2
	s_cbranch_scc1 .LBB114_1051
.LBB114_1052:
	s_set_inst_prefetch_distance 0x2
	s_waitcnt lgkmcnt(0)
	v_cmp_eq_f64_e32 vcc_lo, 0, v[232:233]
	v_cmp_eq_f64_e64 s2, 0, v[234:235]
	s_delay_alu instid0(VALU_DEP_1) | instskip(NEXT) | instid1(SALU_CYCLE_1)
	s_and_b32 s2, vcc_lo, s2
	s_and_saveexec_b32 s3, s2
	s_delay_alu instid0(SALU_CYCLE_1)
	s_xor_b32 s2, exec_lo, s3
; %bb.1053:
	v_cmp_ne_u32_e32 vcc_lo, 0, v245
	v_cndmask_b32_e32 v245, 51, v245, vcc_lo
; %bb.1054:
	s_and_not1_saveexec_b32 s3, s2
	s_cbranch_execz .LBB114_1060
; %bb.1055:
	v_cmp_gt_f64_e32 vcc_lo, 0, v[232:233]
	v_cmp_gt_f64_e64 s2, 0, v[234:235]
	v_xor_b32_e32 v212, 0x80000000, v233
	v_xor_b32_e32 v214, 0x80000000, v235
	s_delay_alu instid0(VALU_DEP_2) | instskip(NEXT) | instid1(VALU_DEP_2)
	v_cndmask_b32_e32 v213, v233, v212, vcc_lo
	v_cndmask_b32_e64 v215, v235, v214, s2
	v_cndmask_b32_e32 v212, v232, v232, vcc_lo
	v_cndmask_b32_e64 v214, v234, v234, s2
	s_mov_b32 s2, exec_lo
	s_delay_alu instid0(VALU_DEP_1)
	v_cmpx_ngt_f64_e32 v[212:213], v[214:215]
	s_xor_b32 s2, exec_lo, s2
	s_cbranch_execz .LBB114_1057
; %bb.1056:
	v_div_scale_f64 v[212:213], null, v[234:235], v[234:235], v[232:233]
	v_div_scale_f64 v[218:219], vcc_lo, v[232:233], v[234:235], v[232:233]
	s_delay_alu instid0(VALU_DEP_2) | instskip(SKIP_2) | instid1(VALU_DEP_1)
	v_rcp_f64_e32 v[214:215], v[212:213]
	s_waitcnt_depctr 0xfff
	v_fma_f64 v[216:217], -v[212:213], v[214:215], 1.0
	v_fma_f64 v[214:215], v[214:215], v[216:217], v[214:215]
	s_delay_alu instid0(VALU_DEP_1) | instskip(NEXT) | instid1(VALU_DEP_1)
	v_fma_f64 v[216:217], -v[212:213], v[214:215], 1.0
	v_fma_f64 v[214:215], v[214:215], v[216:217], v[214:215]
	s_delay_alu instid0(VALU_DEP_1) | instskip(NEXT) | instid1(VALU_DEP_1)
	v_mul_f64 v[216:217], v[218:219], v[214:215]
	v_fma_f64 v[212:213], -v[212:213], v[216:217], v[218:219]
	s_delay_alu instid0(VALU_DEP_1) | instskip(NEXT) | instid1(VALU_DEP_1)
	v_div_fmas_f64 v[212:213], v[212:213], v[214:215], v[216:217]
	v_div_fixup_f64 v[212:213], v[212:213], v[234:235], v[232:233]
	s_delay_alu instid0(VALU_DEP_1) | instskip(NEXT) | instid1(VALU_DEP_1)
	v_fma_f64 v[214:215], v[232:233], v[212:213], v[234:235]
	v_div_scale_f64 v[216:217], null, v[214:215], v[214:215], 1.0
	s_delay_alu instid0(VALU_DEP_1) | instskip(SKIP_2) | instid1(VALU_DEP_1)
	v_rcp_f64_e32 v[218:219], v[216:217]
	s_waitcnt_depctr 0xfff
	v_fma_f64 v[220:221], -v[216:217], v[218:219], 1.0
	v_fma_f64 v[218:219], v[218:219], v[220:221], v[218:219]
	s_delay_alu instid0(VALU_DEP_1) | instskip(NEXT) | instid1(VALU_DEP_1)
	v_fma_f64 v[220:221], -v[216:217], v[218:219], 1.0
	v_fma_f64 v[218:219], v[218:219], v[220:221], v[218:219]
	v_div_scale_f64 v[220:221], vcc_lo, 1.0, v[214:215], 1.0
	s_delay_alu instid0(VALU_DEP_1) | instskip(NEXT) | instid1(VALU_DEP_1)
	v_mul_f64 v[222:223], v[220:221], v[218:219]
	v_fma_f64 v[216:217], -v[216:217], v[222:223], v[220:221]
	s_delay_alu instid0(VALU_DEP_1) | instskip(NEXT) | instid1(VALU_DEP_1)
	v_div_fmas_f64 v[216:217], v[216:217], v[218:219], v[222:223]
	v_div_fixup_f64 v[234:235], v[216:217], v[214:215], 1.0
	s_delay_alu instid0(VALU_DEP_1)
	v_mul_f64 v[232:233], v[212:213], v[234:235]
	v_xor_b32_e32 v235, 0x80000000, v235
.LBB114_1057:
	s_and_not1_saveexec_b32 s2, s2
	s_cbranch_execz .LBB114_1059
; %bb.1058:
	s_delay_alu instid0(VALU_DEP_1) | instskip(SKIP_1) | instid1(VALU_DEP_2)
	v_div_scale_f64 v[212:213], null, v[232:233], v[232:233], v[234:235]
	v_div_scale_f64 v[218:219], vcc_lo, v[234:235], v[232:233], v[234:235]
	v_rcp_f64_e32 v[214:215], v[212:213]
	s_waitcnt_depctr 0xfff
	v_fma_f64 v[216:217], -v[212:213], v[214:215], 1.0
	s_delay_alu instid0(VALU_DEP_1) | instskip(NEXT) | instid1(VALU_DEP_1)
	v_fma_f64 v[214:215], v[214:215], v[216:217], v[214:215]
	v_fma_f64 v[216:217], -v[212:213], v[214:215], 1.0
	s_delay_alu instid0(VALU_DEP_1) | instskip(NEXT) | instid1(VALU_DEP_1)
	v_fma_f64 v[214:215], v[214:215], v[216:217], v[214:215]
	v_mul_f64 v[216:217], v[218:219], v[214:215]
	s_delay_alu instid0(VALU_DEP_1) | instskip(NEXT) | instid1(VALU_DEP_1)
	v_fma_f64 v[212:213], -v[212:213], v[216:217], v[218:219]
	v_div_fmas_f64 v[212:213], v[212:213], v[214:215], v[216:217]
	s_delay_alu instid0(VALU_DEP_1) | instskip(NEXT) | instid1(VALU_DEP_1)
	v_div_fixup_f64 v[212:213], v[212:213], v[232:233], v[234:235]
	v_fma_f64 v[214:215], v[234:235], v[212:213], v[232:233]
	s_delay_alu instid0(VALU_DEP_1) | instskip(NEXT) | instid1(VALU_DEP_1)
	v_div_scale_f64 v[216:217], null, v[214:215], v[214:215], 1.0
	v_rcp_f64_e32 v[218:219], v[216:217]
	s_waitcnt_depctr 0xfff
	v_fma_f64 v[220:221], -v[216:217], v[218:219], 1.0
	s_delay_alu instid0(VALU_DEP_1) | instskip(NEXT) | instid1(VALU_DEP_1)
	v_fma_f64 v[218:219], v[218:219], v[220:221], v[218:219]
	v_fma_f64 v[220:221], -v[216:217], v[218:219], 1.0
	s_delay_alu instid0(VALU_DEP_1) | instskip(SKIP_1) | instid1(VALU_DEP_1)
	v_fma_f64 v[218:219], v[218:219], v[220:221], v[218:219]
	v_div_scale_f64 v[220:221], vcc_lo, 1.0, v[214:215], 1.0
	v_mul_f64 v[222:223], v[220:221], v[218:219]
	s_delay_alu instid0(VALU_DEP_1) | instskip(NEXT) | instid1(VALU_DEP_1)
	v_fma_f64 v[216:217], -v[216:217], v[222:223], v[220:221]
	v_div_fmas_f64 v[216:217], v[216:217], v[218:219], v[222:223]
	s_delay_alu instid0(VALU_DEP_1) | instskip(NEXT) | instid1(VALU_DEP_1)
	v_div_fixup_f64 v[232:233], v[216:217], v[214:215], 1.0
	v_mul_f64 v[234:235], v[212:213], -v[232:233]
.LBB114_1059:
	s_or_b32 exec_lo, exec_lo, s2
.LBB114_1060:
	s_delay_alu instid0(SALU_CYCLE_1) | instskip(NEXT) | instid1(SALU_CYCLE_1)
	s_or_b32 exec_lo, exec_lo, s3
	s_mov_b32 s2, exec_lo
	v_cmpx_ne_u32_e64 v248, v240
	s_xor_b32 s2, exec_lo, s2
	s_cbranch_execz .LBB114_1066
; %bb.1061:
	s_mov_b32 s3, exec_lo
	v_cmpx_eq_u32_e32 50, v248
	s_cbranch_execz .LBB114_1065
; %bb.1062:
	v_cmp_ne_u32_e32 vcc_lo, 50, v240
	s_xor_b32 s4, s5, -1
	s_delay_alu instid0(SALU_CYCLE_1) | instskip(NEXT) | instid1(SALU_CYCLE_1)
	s_and_b32 s6, s4, vcc_lo
	s_and_saveexec_b32 s4, s6
	s_cbranch_execz .LBB114_1064
; %bb.1063:
	scratch_load_b64 v[208:209], off, off   ; 8-byte Folded Reload
	v_ashrrev_i32_e32 v241, 31, v240
	s_delay_alu instid0(VALU_DEP_1) | instskip(SKIP_1) | instid1(VALU_DEP_1)
	v_lshlrev_b64 v[212:213], 2, v[240:241]
	s_waitcnt vmcnt(0)
	v_add_co_u32 v212, vcc_lo, v208, v212
	s_delay_alu instid0(VALU_DEP_2)
	v_add_co_ci_u32_e32 v213, vcc_lo, v209, v213, vcc_lo
	s_clause 0x1
	flat_load_b32 v214, v[212:213]
	flat_load_b32 v215, v[208:209] offset:200
	s_waitcnt vmcnt(1) lgkmcnt(1)
	flat_store_b32 v[208:209], v214 offset:200
	s_waitcnt vmcnt(0) lgkmcnt(1)
	flat_store_b32 v[212:213], v215
.LBB114_1064:
	s_or_b32 exec_lo, exec_lo, s4
	v_mov_b32_e32 v248, v240
	v_mov_b32_e32 v236, v240
.LBB114_1065:
	s_or_b32 exec_lo, exec_lo, s3
.LBB114_1066:
	s_and_not1_saveexec_b32 s2, s2
	s_cbranch_execz .LBB114_1068
; %bb.1067:
	v_mov_b32_e32 v248, 50
	ds_store_2addr_b64 v242, v[24:25], v[26:27] offset0:102 offset1:103
	ds_store_2addr_b64 v242, v[20:21], v[22:23] offset0:104 offset1:105
	;; [unrolled: 1-line block ×7, first 2 shown]
.LBB114_1068:
	s_or_b32 exec_lo, exec_lo, s2
	s_delay_alu instid0(SALU_CYCLE_1)
	s_mov_b32 s2, exec_lo
	s_waitcnt lgkmcnt(0)
	s_waitcnt_vscnt null, 0x0
	s_barrier
	buffer_gl0_inv
	v_cmpx_lt_i32_e32 50, v248
	s_cbranch_execz .LBB114_1070
; %bb.1069:
	v_mul_f64 v[212:213], v[232:233], v[30:31]
	v_mul_f64 v[30:31], v[234:235], v[30:31]
	s_delay_alu instid0(VALU_DEP_2) | instskip(NEXT) | instid1(VALU_DEP_2)
	v_fma_f64 v[212:213], v[234:235], v[28:29], v[212:213]
	v_fma_f64 v[28:29], v[232:233], v[28:29], -v[30:31]
	ds_load_2addr_b64 v[232:235], v242 offset0:102 offset1:103
	s_waitcnt lgkmcnt(0)
	v_mul_f64 v[30:31], v[234:235], v[212:213]
	v_mul_f64 v[214:215], v[232:233], v[212:213]
	s_delay_alu instid0(VALU_DEP_2) | instskip(NEXT) | instid1(VALU_DEP_2)
	v_fma_f64 v[30:31], v[232:233], v[28:29], -v[30:31]
	v_fma_f64 v[214:215], v[234:235], v[28:29], v[214:215]
	ds_load_2addr_b64 v[232:235], v242 offset0:104 offset1:105
	v_add_f64 v[24:25], v[24:25], -v[30:31]
	v_add_f64 v[26:27], v[26:27], -v[214:215]
	s_waitcnt lgkmcnt(0)
	v_mul_f64 v[30:31], v[234:235], v[212:213]
	v_mul_f64 v[214:215], v[232:233], v[212:213]
	s_delay_alu instid0(VALU_DEP_2) | instskip(NEXT) | instid1(VALU_DEP_2)
	v_fma_f64 v[30:31], v[232:233], v[28:29], -v[30:31]
	v_fma_f64 v[214:215], v[234:235], v[28:29], v[214:215]
	ds_load_2addr_b64 v[232:235], v242 offset0:106 offset1:107
	v_add_f64 v[20:21], v[20:21], -v[30:31]
	v_add_f64 v[22:23], v[22:23], -v[214:215]
	s_waitcnt lgkmcnt(0)
	v_mul_f64 v[30:31], v[234:235], v[212:213]
	v_mul_f64 v[214:215], v[232:233], v[212:213]
	s_delay_alu instid0(VALU_DEP_2) | instskip(NEXT) | instid1(VALU_DEP_2)
	v_fma_f64 v[30:31], v[232:233], v[28:29], -v[30:31]
	v_fma_f64 v[214:215], v[234:235], v[28:29], v[214:215]
	ds_load_2addr_b64 v[232:235], v242 offset0:108 offset1:109
	v_add_f64 v[16:17], v[16:17], -v[30:31]
	v_add_f64 v[18:19], v[18:19], -v[214:215]
	s_waitcnt lgkmcnt(0)
	v_mul_f64 v[30:31], v[234:235], v[212:213]
	v_mul_f64 v[214:215], v[232:233], v[212:213]
	s_delay_alu instid0(VALU_DEP_2) | instskip(NEXT) | instid1(VALU_DEP_2)
	v_fma_f64 v[30:31], v[232:233], v[28:29], -v[30:31]
	v_fma_f64 v[214:215], v[234:235], v[28:29], v[214:215]
	ds_load_2addr_b64 v[232:235], v242 offset0:110 offset1:111
	v_add_f64 v[12:13], v[12:13], -v[30:31]
	v_add_f64 v[14:15], v[14:15], -v[214:215]
	s_waitcnt lgkmcnt(0)
	v_mul_f64 v[30:31], v[234:235], v[212:213]
	v_mul_f64 v[214:215], v[232:233], v[212:213]
	s_delay_alu instid0(VALU_DEP_2) | instskip(NEXT) | instid1(VALU_DEP_2)
	v_fma_f64 v[30:31], v[232:233], v[28:29], -v[30:31]
	v_fma_f64 v[214:215], v[234:235], v[28:29], v[214:215]
	ds_load_2addr_b64 v[232:235], v242 offset0:112 offset1:113
	v_add_f64 v[8:9], v[8:9], -v[30:31]
	v_add_f64 v[10:11], v[10:11], -v[214:215]
	s_waitcnt lgkmcnt(0)
	v_mul_f64 v[30:31], v[234:235], v[212:213]
	v_mul_f64 v[214:215], v[232:233], v[212:213]
	s_delay_alu instid0(VALU_DEP_2) | instskip(NEXT) | instid1(VALU_DEP_2)
	v_fma_f64 v[30:31], v[232:233], v[28:29], -v[30:31]
	v_fma_f64 v[214:215], v[234:235], v[28:29], v[214:215]
	ds_load_2addr_b64 v[232:235], v242 offset0:114 offset1:115
	v_add_f64 v[224:225], v[224:225], -v[30:31]
	v_add_f64 v[226:227], v[226:227], -v[214:215]
	s_waitcnt lgkmcnt(0)
	v_mul_f64 v[30:31], v[234:235], v[212:213]
	v_mul_f64 v[214:215], v[232:233], v[212:213]
	s_delay_alu instid0(VALU_DEP_2) | instskip(NEXT) | instid1(VALU_DEP_2)
	v_fma_f64 v[30:31], v[232:233], v[28:29], -v[30:31]
	v_fma_f64 v[214:215], v[234:235], v[28:29], v[214:215]
	s_delay_alu instid0(VALU_DEP_2) | instskip(NEXT) | instid1(VALU_DEP_2)
	v_add_f64 v[0:1], v[0:1], -v[30:31]
	v_add_f64 v[2:3], v[2:3], -v[214:215]
	v_dual_mov_b32 v30, v212 :: v_dual_mov_b32 v31, v213
.LBB114_1070:
	s_or_b32 exec_lo, exec_lo, s2
	v_lshl_add_u32 v212, v248, 4, v242
	s_barrier
	buffer_gl0_inv
	v_mov_b32_e32 v240, 51
	ds_store_2addr_b64 v212, v[24:25], v[26:27] offset1:1
	s_waitcnt lgkmcnt(0)
	s_barrier
	buffer_gl0_inv
	ds_load_2addr_b64 v[232:235], v242 offset0:102 offset1:103
	s_cmp_lt_i32 s12, 53
	s_cbranch_scc1 .LBB114_1073
; %bb.1071:
	v_add3_u32 v241, v246, 0, 0x340
	v_mov_b32_e32 v240, 51
	s_mov_b32 s2, 52
	s_set_inst_prefetch_distance 0x1
	.p2align	6
.LBB114_1072:                           ; =>This Inner Loop Header: Depth=1
	s_waitcnt lgkmcnt(0)
	v_cmp_gt_f64_e32 vcc_lo, 0, v[232:233]
	v_xor_b32_e32 v212, 0x80000000, v233
	v_xor_b32_e32 v214, 0x80000000, v235
	ds_load_2addr_b64 v[249:252], v241 offset1:1
	v_add_nc_u32_e32 v241, 16, v241
	s_waitcnt lgkmcnt(0)
	v_xor_b32_e32 v216, 0x80000000, v252
	v_cndmask_b32_e32 v213, v233, v212, vcc_lo
	v_cndmask_b32_e32 v212, v232, v232, vcc_lo
	v_cmp_gt_f64_e32 vcc_lo, 0, v[234:235]
	v_cndmask_b32_e32 v215, v235, v214, vcc_lo
	v_cndmask_b32_e32 v214, v234, v234, vcc_lo
	v_cmp_gt_f64_e32 vcc_lo, 0, v[249:250]
	s_delay_alu instid0(VALU_DEP_2) | instskip(SKIP_1) | instid1(VALU_DEP_1)
	v_add_f64 v[212:213], v[212:213], v[214:215]
	v_xor_b32_e32 v214, 0x80000000, v250
	v_dual_cndmask_b32 v215, v250, v214 :: v_dual_mov_b32 v214, v249
	v_cmp_gt_f64_e32 vcc_lo, 0, v[251:252]
	v_dual_cndmask_b32 v217, v252, v216 :: v_dual_mov_b32 v216, v251
	s_delay_alu instid0(VALU_DEP_1) | instskip(NEXT) | instid1(VALU_DEP_1)
	v_add_f64 v[214:215], v[214:215], v[216:217]
	v_cmp_lt_f64_e32 vcc_lo, v[212:213], v[214:215]
	v_dual_cndmask_b32 v233, v233, v250 :: v_dual_cndmask_b32 v232, v232, v249
	v_dual_cndmask_b32 v235, v235, v252 :: v_dual_cndmask_b32 v234, v234, v251
	v_cndmask_b32_e64 v240, v240, s2, vcc_lo
	s_add_i32 s2, s2, 1
	s_delay_alu instid0(SALU_CYCLE_1)
	s_cmp_lg_u32 s12, s2
	s_cbranch_scc1 .LBB114_1072
.LBB114_1073:
	s_set_inst_prefetch_distance 0x2
	s_waitcnt lgkmcnt(0)
	v_cmp_eq_f64_e32 vcc_lo, 0, v[232:233]
	v_cmp_eq_f64_e64 s2, 0, v[234:235]
	s_delay_alu instid0(VALU_DEP_1) | instskip(NEXT) | instid1(SALU_CYCLE_1)
	s_and_b32 s2, vcc_lo, s2
	s_and_saveexec_b32 s3, s2
	s_delay_alu instid0(SALU_CYCLE_1)
	s_xor_b32 s2, exec_lo, s3
; %bb.1074:
	v_cmp_ne_u32_e32 vcc_lo, 0, v245
	v_cndmask_b32_e32 v245, 52, v245, vcc_lo
; %bb.1075:
	s_and_not1_saveexec_b32 s3, s2
	s_cbranch_execz .LBB114_1081
; %bb.1076:
	v_cmp_gt_f64_e32 vcc_lo, 0, v[232:233]
	v_cmp_gt_f64_e64 s2, 0, v[234:235]
	v_xor_b32_e32 v212, 0x80000000, v233
	v_xor_b32_e32 v214, 0x80000000, v235
	s_delay_alu instid0(VALU_DEP_2) | instskip(NEXT) | instid1(VALU_DEP_2)
	v_cndmask_b32_e32 v213, v233, v212, vcc_lo
	v_cndmask_b32_e64 v215, v235, v214, s2
	v_cndmask_b32_e32 v212, v232, v232, vcc_lo
	v_cndmask_b32_e64 v214, v234, v234, s2
	s_mov_b32 s2, exec_lo
	s_delay_alu instid0(VALU_DEP_1)
	v_cmpx_ngt_f64_e32 v[212:213], v[214:215]
	s_xor_b32 s2, exec_lo, s2
	s_cbranch_execz .LBB114_1078
; %bb.1077:
	v_div_scale_f64 v[212:213], null, v[234:235], v[234:235], v[232:233]
	v_div_scale_f64 v[218:219], vcc_lo, v[232:233], v[234:235], v[232:233]
	s_delay_alu instid0(VALU_DEP_2) | instskip(SKIP_2) | instid1(VALU_DEP_1)
	v_rcp_f64_e32 v[214:215], v[212:213]
	s_waitcnt_depctr 0xfff
	v_fma_f64 v[216:217], -v[212:213], v[214:215], 1.0
	v_fma_f64 v[214:215], v[214:215], v[216:217], v[214:215]
	s_delay_alu instid0(VALU_DEP_1) | instskip(NEXT) | instid1(VALU_DEP_1)
	v_fma_f64 v[216:217], -v[212:213], v[214:215], 1.0
	v_fma_f64 v[214:215], v[214:215], v[216:217], v[214:215]
	s_delay_alu instid0(VALU_DEP_1) | instskip(NEXT) | instid1(VALU_DEP_1)
	v_mul_f64 v[216:217], v[218:219], v[214:215]
	v_fma_f64 v[212:213], -v[212:213], v[216:217], v[218:219]
	s_delay_alu instid0(VALU_DEP_1) | instskip(NEXT) | instid1(VALU_DEP_1)
	v_div_fmas_f64 v[212:213], v[212:213], v[214:215], v[216:217]
	v_div_fixup_f64 v[212:213], v[212:213], v[234:235], v[232:233]
	s_delay_alu instid0(VALU_DEP_1) | instskip(NEXT) | instid1(VALU_DEP_1)
	v_fma_f64 v[214:215], v[232:233], v[212:213], v[234:235]
	v_div_scale_f64 v[216:217], null, v[214:215], v[214:215], 1.0
	s_delay_alu instid0(VALU_DEP_1) | instskip(SKIP_2) | instid1(VALU_DEP_1)
	v_rcp_f64_e32 v[218:219], v[216:217]
	s_waitcnt_depctr 0xfff
	v_fma_f64 v[220:221], -v[216:217], v[218:219], 1.0
	v_fma_f64 v[218:219], v[218:219], v[220:221], v[218:219]
	s_delay_alu instid0(VALU_DEP_1) | instskip(NEXT) | instid1(VALU_DEP_1)
	v_fma_f64 v[220:221], -v[216:217], v[218:219], 1.0
	v_fma_f64 v[218:219], v[218:219], v[220:221], v[218:219]
	v_div_scale_f64 v[220:221], vcc_lo, 1.0, v[214:215], 1.0
	s_delay_alu instid0(VALU_DEP_1) | instskip(NEXT) | instid1(VALU_DEP_1)
	v_mul_f64 v[222:223], v[220:221], v[218:219]
	v_fma_f64 v[216:217], -v[216:217], v[222:223], v[220:221]
	s_delay_alu instid0(VALU_DEP_1) | instskip(NEXT) | instid1(VALU_DEP_1)
	v_div_fmas_f64 v[216:217], v[216:217], v[218:219], v[222:223]
	v_div_fixup_f64 v[234:235], v[216:217], v[214:215], 1.0
	s_delay_alu instid0(VALU_DEP_1)
	v_mul_f64 v[232:233], v[212:213], v[234:235]
	v_xor_b32_e32 v235, 0x80000000, v235
.LBB114_1078:
	s_and_not1_saveexec_b32 s2, s2
	s_cbranch_execz .LBB114_1080
; %bb.1079:
	s_delay_alu instid0(VALU_DEP_1) | instskip(SKIP_1) | instid1(VALU_DEP_2)
	v_div_scale_f64 v[212:213], null, v[232:233], v[232:233], v[234:235]
	v_div_scale_f64 v[218:219], vcc_lo, v[234:235], v[232:233], v[234:235]
	v_rcp_f64_e32 v[214:215], v[212:213]
	s_waitcnt_depctr 0xfff
	v_fma_f64 v[216:217], -v[212:213], v[214:215], 1.0
	s_delay_alu instid0(VALU_DEP_1) | instskip(NEXT) | instid1(VALU_DEP_1)
	v_fma_f64 v[214:215], v[214:215], v[216:217], v[214:215]
	v_fma_f64 v[216:217], -v[212:213], v[214:215], 1.0
	s_delay_alu instid0(VALU_DEP_1) | instskip(NEXT) | instid1(VALU_DEP_1)
	v_fma_f64 v[214:215], v[214:215], v[216:217], v[214:215]
	v_mul_f64 v[216:217], v[218:219], v[214:215]
	s_delay_alu instid0(VALU_DEP_1) | instskip(NEXT) | instid1(VALU_DEP_1)
	v_fma_f64 v[212:213], -v[212:213], v[216:217], v[218:219]
	v_div_fmas_f64 v[212:213], v[212:213], v[214:215], v[216:217]
	s_delay_alu instid0(VALU_DEP_1) | instskip(NEXT) | instid1(VALU_DEP_1)
	v_div_fixup_f64 v[212:213], v[212:213], v[232:233], v[234:235]
	v_fma_f64 v[214:215], v[234:235], v[212:213], v[232:233]
	s_delay_alu instid0(VALU_DEP_1) | instskip(NEXT) | instid1(VALU_DEP_1)
	v_div_scale_f64 v[216:217], null, v[214:215], v[214:215], 1.0
	v_rcp_f64_e32 v[218:219], v[216:217]
	s_waitcnt_depctr 0xfff
	v_fma_f64 v[220:221], -v[216:217], v[218:219], 1.0
	s_delay_alu instid0(VALU_DEP_1) | instskip(NEXT) | instid1(VALU_DEP_1)
	v_fma_f64 v[218:219], v[218:219], v[220:221], v[218:219]
	v_fma_f64 v[220:221], -v[216:217], v[218:219], 1.0
	s_delay_alu instid0(VALU_DEP_1) | instskip(SKIP_1) | instid1(VALU_DEP_1)
	v_fma_f64 v[218:219], v[218:219], v[220:221], v[218:219]
	v_div_scale_f64 v[220:221], vcc_lo, 1.0, v[214:215], 1.0
	v_mul_f64 v[222:223], v[220:221], v[218:219]
	s_delay_alu instid0(VALU_DEP_1) | instskip(NEXT) | instid1(VALU_DEP_1)
	v_fma_f64 v[216:217], -v[216:217], v[222:223], v[220:221]
	v_div_fmas_f64 v[216:217], v[216:217], v[218:219], v[222:223]
	s_delay_alu instid0(VALU_DEP_1) | instskip(NEXT) | instid1(VALU_DEP_1)
	v_div_fixup_f64 v[232:233], v[216:217], v[214:215], 1.0
	v_mul_f64 v[234:235], v[212:213], -v[232:233]
.LBB114_1080:
	s_or_b32 exec_lo, exec_lo, s2
.LBB114_1081:
	s_delay_alu instid0(SALU_CYCLE_1) | instskip(NEXT) | instid1(SALU_CYCLE_1)
	s_or_b32 exec_lo, exec_lo, s3
	s_mov_b32 s2, exec_lo
	v_cmpx_ne_u32_e64 v248, v240
	s_xor_b32 s2, exec_lo, s2
	s_cbranch_execz .LBB114_1087
; %bb.1082:
	s_mov_b32 s3, exec_lo
	v_cmpx_eq_u32_e32 51, v248
	s_cbranch_execz .LBB114_1086
; %bb.1083:
	v_cmp_ne_u32_e32 vcc_lo, 51, v240
	s_xor_b32 s4, s5, -1
	s_delay_alu instid0(SALU_CYCLE_1) | instskip(NEXT) | instid1(SALU_CYCLE_1)
	s_and_b32 s6, s4, vcc_lo
	s_and_saveexec_b32 s4, s6
	s_cbranch_execz .LBB114_1085
; %bb.1084:
	scratch_load_b64 v[208:209], off, off   ; 8-byte Folded Reload
	v_ashrrev_i32_e32 v241, 31, v240
	s_delay_alu instid0(VALU_DEP_1) | instskip(SKIP_1) | instid1(VALU_DEP_1)
	v_lshlrev_b64 v[212:213], 2, v[240:241]
	s_waitcnt vmcnt(0)
	v_add_co_u32 v212, vcc_lo, v208, v212
	s_delay_alu instid0(VALU_DEP_2)
	v_add_co_ci_u32_e32 v213, vcc_lo, v209, v213, vcc_lo
	s_clause 0x1
	flat_load_b32 v214, v[212:213]
	flat_load_b32 v215, v[208:209] offset:204
	s_waitcnt vmcnt(1) lgkmcnt(1)
	flat_store_b32 v[208:209], v214 offset:204
	s_waitcnt vmcnt(0) lgkmcnt(1)
	flat_store_b32 v[212:213], v215
.LBB114_1085:
	s_or_b32 exec_lo, exec_lo, s4
	v_mov_b32_e32 v248, v240
	v_mov_b32_e32 v236, v240
.LBB114_1086:
	s_or_b32 exec_lo, exec_lo, s3
.LBB114_1087:
	s_and_not1_saveexec_b32 s2, s2
	s_cbranch_execz .LBB114_1089
; %bb.1088:
	v_mov_b32_e32 v248, 51
	ds_store_2addr_b64 v242, v[20:21], v[22:23] offset0:104 offset1:105
	ds_store_2addr_b64 v242, v[16:17], v[18:19] offset0:106 offset1:107
	ds_store_2addr_b64 v242, v[12:13], v[14:15] offset0:108 offset1:109
	ds_store_2addr_b64 v242, v[8:9], v[10:11] offset0:110 offset1:111
	ds_store_2addr_b64 v242, v[224:225], v[226:227] offset0:112 offset1:113
	ds_store_2addr_b64 v242, v[0:1], v[2:3] offset0:114 offset1:115
.LBB114_1089:
	s_or_b32 exec_lo, exec_lo, s2
	s_delay_alu instid0(SALU_CYCLE_1)
	s_mov_b32 s2, exec_lo
	s_waitcnt lgkmcnt(0)
	s_waitcnt_vscnt null, 0x0
	s_barrier
	buffer_gl0_inv
	v_cmpx_lt_i32_e32 51, v248
	s_cbranch_execz .LBB114_1091
; %bb.1090:
	v_mul_f64 v[212:213], v[232:233], v[26:27]
	v_mul_f64 v[26:27], v[234:235], v[26:27]
	s_delay_alu instid0(VALU_DEP_2) | instskip(NEXT) | instid1(VALU_DEP_2)
	v_fma_f64 v[212:213], v[234:235], v[24:25], v[212:213]
	v_fma_f64 v[24:25], v[232:233], v[24:25], -v[26:27]
	ds_load_2addr_b64 v[232:235], v242 offset0:104 offset1:105
	s_waitcnt lgkmcnt(0)
	v_mul_f64 v[26:27], v[234:235], v[212:213]
	v_mul_f64 v[214:215], v[232:233], v[212:213]
	s_delay_alu instid0(VALU_DEP_2) | instskip(NEXT) | instid1(VALU_DEP_2)
	v_fma_f64 v[26:27], v[232:233], v[24:25], -v[26:27]
	v_fma_f64 v[214:215], v[234:235], v[24:25], v[214:215]
	ds_load_2addr_b64 v[232:235], v242 offset0:106 offset1:107
	v_add_f64 v[20:21], v[20:21], -v[26:27]
	v_add_f64 v[22:23], v[22:23], -v[214:215]
	s_waitcnt lgkmcnt(0)
	v_mul_f64 v[26:27], v[234:235], v[212:213]
	v_mul_f64 v[214:215], v[232:233], v[212:213]
	s_delay_alu instid0(VALU_DEP_2) | instskip(NEXT) | instid1(VALU_DEP_2)
	v_fma_f64 v[26:27], v[232:233], v[24:25], -v[26:27]
	v_fma_f64 v[214:215], v[234:235], v[24:25], v[214:215]
	ds_load_2addr_b64 v[232:235], v242 offset0:108 offset1:109
	v_add_f64 v[16:17], v[16:17], -v[26:27]
	v_add_f64 v[18:19], v[18:19], -v[214:215]
	;; [unrolled: 9-line block ×5, first 2 shown]
	s_waitcnt lgkmcnt(0)
	v_mul_f64 v[26:27], v[234:235], v[212:213]
	v_mul_f64 v[214:215], v[232:233], v[212:213]
	s_delay_alu instid0(VALU_DEP_2) | instskip(NEXT) | instid1(VALU_DEP_2)
	v_fma_f64 v[26:27], v[232:233], v[24:25], -v[26:27]
	v_fma_f64 v[214:215], v[234:235], v[24:25], v[214:215]
	s_delay_alu instid0(VALU_DEP_2) | instskip(NEXT) | instid1(VALU_DEP_2)
	v_add_f64 v[0:1], v[0:1], -v[26:27]
	v_add_f64 v[2:3], v[2:3], -v[214:215]
	v_dual_mov_b32 v26, v212 :: v_dual_mov_b32 v27, v213
.LBB114_1091:
	s_or_b32 exec_lo, exec_lo, s2
	v_lshl_add_u32 v212, v248, 4, v242
	s_barrier
	buffer_gl0_inv
	v_mov_b32_e32 v240, 52
	ds_store_2addr_b64 v212, v[20:21], v[22:23] offset1:1
	s_waitcnt lgkmcnt(0)
	s_barrier
	buffer_gl0_inv
	ds_load_2addr_b64 v[232:235], v242 offset0:104 offset1:105
	s_cmp_lt_i32 s12, 54
	s_cbranch_scc1 .LBB114_1094
; %bb.1092:
	v_add3_u32 v241, v246, 0, 0x350
	v_mov_b32_e32 v240, 52
	s_mov_b32 s2, 53
	s_set_inst_prefetch_distance 0x1
	.p2align	6
.LBB114_1093:                           ; =>This Inner Loop Header: Depth=1
	s_waitcnt lgkmcnt(0)
	v_cmp_gt_f64_e32 vcc_lo, 0, v[232:233]
	v_xor_b32_e32 v212, 0x80000000, v233
	v_xor_b32_e32 v214, 0x80000000, v235
	ds_load_2addr_b64 v[249:252], v241 offset1:1
	v_add_nc_u32_e32 v241, 16, v241
	s_waitcnt lgkmcnt(0)
	v_xor_b32_e32 v216, 0x80000000, v252
	v_cndmask_b32_e32 v213, v233, v212, vcc_lo
	v_cndmask_b32_e32 v212, v232, v232, vcc_lo
	v_cmp_gt_f64_e32 vcc_lo, 0, v[234:235]
	v_cndmask_b32_e32 v215, v235, v214, vcc_lo
	v_cndmask_b32_e32 v214, v234, v234, vcc_lo
	v_cmp_gt_f64_e32 vcc_lo, 0, v[249:250]
	s_delay_alu instid0(VALU_DEP_2) | instskip(SKIP_1) | instid1(VALU_DEP_1)
	v_add_f64 v[212:213], v[212:213], v[214:215]
	v_xor_b32_e32 v214, 0x80000000, v250
	v_dual_cndmask_b32 v215, v250, v214 :: v_dual_mov_b32 v214, v249
	v_cmp_gt_f64_e32 vcc_lo, 0, v[251:252]
	v_dual_cndmask_b32 v217, v252, v216 :: v_dual_mov_b32 v216, v251
	s_delay_alu instid0(VALU_DEP_1) | instskip(NEXT) | instid1(VALU_DEP_1)
	v_add_f64 v[214:215], v[214:215], v[216:217]
	v_cmp_lt_f64_e32 vcc_lo, v[212:213], v[214:215]
	v_dual_cndmask_b32 v233, v233, v250 :: v_dual_cndmask_b32 v232, v232, v249
	v_dual_cndmask_b32 v235, v235, v252 :: v_dual_cndmask_b32 v234, v234, v251
	v_cndmask_b32_e64 v240, v240, s2, vcc_lo
	s_add_i32 s2, s2, 1
	s_delay_alu instid0(SALU_CYCLE_1)
	s_cmp_lg_u32 s12, s2
	s_cbranch_scc1 .LBB114_1093
.LBB114_1094:
	s_set_inst_prefetch_distance 0x2
	s_waitcnt lgkmcnt(0)
	v_cmp_eq_f64_e32 vcc_lo, 0, v[232:233]
	v_cmp_eq_f64_e64 s2, 0, v[234:235]
	s_delay_alu instid0(VALU_DEP_1) | instskip(NEXT) | instid1(SALU_CYCLE_1)
	s_and_b32 s2, vcc_lo, s2
	s_and_saveexec_b32 s3, s2
	s_delay_alu instid0(SALU_CYCLE_1)
	s_xor_b32 s2, exec_lo, s3
; %bb.1095:
	v_cmp_ne_u32_e32 vcc_lo, 0, v245
	v_cndmask_b32_e32 v245, 53, v245, vcc_lo
; %bb.1096:
	s_and_not1_saveexec_b32 s3, s2
	s_cbranch_execz .LBB114_1102
; %bb.1097:
	v_cmp_gt_f64_e32 vcc_lo, 0, v[232:233]
	v_cmp_gt_f64_e64 s2, 0, v[234:235]
	v_xor_b32_e32 v212, 0x80000000, v233
	v_xor_b32_e32 v214, 0x80000000, v235
	s_delay_alu instid0(VALU_DEP_2) | instskip(NEXT) | instid1(VALU_DEP_2)
	v_cndmask_b32_e32 v213, v233, v212, vcc_lo
	v_cndmask_b32_e64 v215, v235, v214, s2
	v_cndmask_b32_e32 v212, v232, v232, vcc_lo
	v_cndmask_b32_e64 v214, v234, v234, s2
	s_mov_b32 s2, exec_lo
	s_delay_alu instid0(VALU_DEP_1)
	v_cmpx_ngt_f64_e32 v[212:213], v[214:215]
	s_xor_b32 s2, exec_lo, s2
	s_cbranch_execz .LBB114_1099
; %bb.1098:
	v_div_scale_f64 v[212:213], null, v[234:235], v[234:235], v[232:233]
	v_div_scale_f64 v[218:219], vcc_lo, v[232:233], v[234:235], v[232:233]
	s_delay_alu instid0(VALU_DEP_2) | instskip(SKIP_2) | instid1(VALU_DEP_1)
	v_rcp_f64_e32 v[214:215], v[212:213]
	s_waitcnt_depctr 0xfff
	v_fma_f64 v[216:217], -v[212:213], v[214:215], 1.0
	v_fma_f64 v[214:215], v[214:215], v[216:217], v[214:215]
	s_delay_alu instid0(VALU_DEP_1) | instskip(NEXT) | instid1(VALU_DEP_1)
	v_fma_f64 v[216:217], -v[212:213], v[214:215], 1.0
	v_fma_f64 v[214:215], v[214:215], v[216:217], v[214:215]
	s_delay_alu instid0(VALU_DEP_1) | instskip(NEXT) | instid1(VALU_DEP_1)
	v_mul_f64 v[216:217], v[218:219], v[214:215]
	v_fma_f64 v[212:213], -v[212:213], v[216:217], v[218:219]
	s_delay_alu instid0(VALU_DEP_1) | instskip(NEXT) | instid1(VALU_DEP_1)
	v_div_fmas_f64 v[212:213], v[212:213], v[214:215], v[216:217]
	v_div_fixup_f64 v[212:213], v[212:213], v[234:235], v[232:233]
	s_delay_alu instid0(VALU_DEP_1) | instskip(NEXT) | instid1(VALU_DEP_1)
	v_fma_f64 v[214:215], v[232:233], v[212:213], v[234:235]
	v_div_scale_f64 v[216:217], null, v[214:215], v[214:215], 1.0
	s_delay_alu instid0(VALU_DEP_1) | instskip(SKIP_2) | instid1(VALU_DEP_1)
	v_rcp_f64_e32 v[218:219], v[216:217]
	s_waitcnt_depctr 0xfff
	v_fma_f64 v[220:221], -v[216:217], v[218:219], 1.0
	v_fma_f64 v[218:219], v[218:219], v[220:221], v[218:219]
	s_delay_alu instid0(VALU_DEP_1) | instskip(NEXT) | instid1(VALU_DEP_1)
	v_fma_f64 v[220:221], -v[216:217], v[218:219], 1.0
	v_fma_f64 v[218:219], v[218:219], v[220:221], v[218:219]
	v_div_scale_f64 v[220:221], vcc_lo, 1.0, v[214:215], 1.0
	s_delay_alu instid0(VALU_DEP_1) | instskip(NEXT) | instid1(VALU_DEP_1)
	v_mul_f64 v[222:223], v[220:221], v[218:219]
	v_fma_f64 v[216:217], -v[216:217], v[222:223], v[220:221]
	s_delay_alu instid0(VALU_DEP_1) | instskip(NEXT) | instid1(VALU_DEP_1)
	v_div_fmas_f64 v[216:217], v[216:217], v[218:219], v[222:223]
	v_div_fixup_f64 v[234:235], v[216:217], v[214:215], 1.0
	s_delay_alu instid0(VALU_DEP_1)
	v_mul_f64 v[232:233], v[212:213], v[234:235]
	v_xor_b32_e32 v235, 0x80000000, v235
.LBB114_1099:
	s_and_not1_saveexec_b32 s2, s2
	s_cbranch_execz .LBB114_1101
; %bb.1100:
	s_delay_alu instid0(VALU_DEP_1) | instskip(SKIP_1) | instid1(VALU_DEP_2)
	v_div_scale_f64 v[212:213], null, v[232:233], v[232:233], v[234:235]
	v_div_scale_f64 v[218:219], vcc_lo, v[234:235], v[232:233], v[234:235]
	v_rcp_f64_e32 v[214:215], v[212:213]
	s_waitcnt_depctr 0xfff
	v_fma_f64 v[216:217], -v[212:213], v[214:215], 1.0
	s_delay_alu instid0(VALU_DEP_1) | instskip(NEXT) | instid1(VALU_DEP_1)
	v_fma_f64 v[214:215], v[214:215], v[216:217], v[214:215]
	v_fma_f64 v[216:217], -v[212:213], v[214:215], 1.0
	s_delay_alu instid0(VALU_DEP_1) | instskip(NEXT) | instid1(VALU_DEP_1)
	v_fma_f64 v[214:215], v[214:215], v[216:217], v[214:215]
	v_mul_f64 v[216:217], v[218:219], v[214:215]
	s_delay_alu instid0(VALU_DEP_1) | instskip(NEXT) | instid1(VALU_DEP_1)
	v_fma_f64 v[212:213], -v[212:213], v[216:217], v[218:219]
	v_div_fmas_f64 v[212:213], v[212:213], v[214:215], v[216:217]
	s_delay_alu instid0(VALU_DEP_1) | instskip(NEXT) | instid1(VALU_DEP_1)
	v_div_fixup_f64 v[212:213], v[212:213], v[232:233], v[234:235]
	v_fma_f64 v[214:215], v[234:235], v[212:213], v[232:233]
	s_delay_alu instid0(VALU_DEP_1) | instskip(NEXT) | instid1(VALU_DEP_1)
	v_div_scale_f64 v[216:217], null, v[214:215], v[214:215], 1.0
	v_rcp_f64_e32 v[218:219], v[216:217]
	s_waitcnt_depctr 0xfff
	v_fma_f64 v[220:221], -v[216:217], v[218:219], 1.0
	s_delay_alu instid0(VALU_DEP_1) | instskip(NEXT) | instid1(VALU_DEP_1)
	v_fma_f64 v[218:219], v[218:219], v[220:221], v[218:219]
	v_fma_f64 v[220:221], -v[216:217], v[218:219], 1.0
	s_delay_alu instid0(VALU_DEP_1) | instskip(SKIP_1) | instid1(VALU_DEP_1)
	v_fma_f64 v[218:219], v[218:219], v[220:221], v[218:219]
	v_div_scale_f64 v[220:221], vcc_lo, 1.0, v[214:215], 1.0
	v_mul_f64 v[222:223], v[220:221], v[218:219]
	s_delay_alu instid0(VALU_DEP_1) | instskip(NEXT) | instid1(VALU_DEP_1)
	v_fma_f64 v[216:217], -v[216:217], v[222:223], v[220:221]
	v_div_fmas_f64 v[216:217], v[216:217], v[218:219], v[222:223]
	s_delay_alu instid0(VALU_DEP_1) | instskip(NEXT) | instid1(VALU_DEP_1)
	v_div_fixup_f64 v[232:233], v[216:217], v[214:215], 1.0
	v_mul_f64 v[234:235], v[212:213], -v[232:233]
.LBB114_1101:
	s_or_b32 exec_lo, exec_lo, s2
.LBB114_1102:
	s_delay_alu instid0(SALU_CYCLE_1) | instskip(NEXT) | instid1(SALU_CYCLE_1)
	s_or_b32 exec_lo, exec_lo, s3
	s_mov_b32 s2, exec_lo
	v_cmpx_ne_u32_e64 v248, v240
	s_xor_b32 s2, exec_lo, s2
	s_cbranch_execz .LBB114_1108
; %bb.1103:
	s_mov_b32 s3, exec_lo
	v_cmpx_eq_u32_e32 52, v248
	s_cbranch_execz .LBB114_1107
; %bb.1104:
	v_cmp_ne_u32_e32 vcc_lo, 52, v240
	s_xor_b32 s4, s5, -1
	s_delay_alu instid0(SALU_CYCLE_1) | instskip(NEXT) | instid1(SALU_CYCLE_1)
	s_and_b32 s6, s4, vcc_lo
	s_and_saveexec_b32 s4, s6
	s_cbranch_execz .LBB114_1106
; %bb.1105:
	scratch_load_b64 v[208:209], off, off   ; 8-byte Folded Reload
	v_ashrrev_i32_e32 v241, 31, v240
	s_delay_alu instid0(VALU_DEP_1) | instskip(SKIP_1) | instid1(VALU_DEP_1)
	v_lshlrev_b64 v[212:213], 2, v[240:241]
	s_waitcnt vmcnt(0)
	v_add_co_u32 v212, vcc_lo, v208, v212
	s_delay_alu instid0(VALU_DEP_2)
	v_add_co_ci_u32_e32 v213, vcc_lo, v209, v213, vcc_lo
	s_clause 0x1
	flat_load_b32 v214, v[212:213]
	flat_load_b32 v215, v[208:209] offset:208
	s_waitcnt vmcnt(1) lgkmcnt(1)
	flat_store_b32 v[208:209], v214 offset:208
	s_waitcnt vmcnt(0) lgkmcnt(1)
	flat_store_b32 v[212:213], v215
.LBB114_1106:
	s_or_b32 exec_lo, exec_lo, s4
	v_mov_b32_e32 v248, v240
	v_mov_b32_e32 v236, v240
.LBB114_1107:
	s_or_b32 exec_lo, exec_lo, s3
.LBB114_1108:
	s_and_not1_saveexec_b32 s2, s2
	s_cbranch_execz .LBB114_1110
; %bb.1109:
	v_mov_b32_e32 v248, 52
	ds_store_2addr_b64 v242, v[16:17], v[18:19] offset0:106 offset1:107
	ds_store_2addr_b64 v242, v[12:13], v[14:15] offset0:108 offset1:109
	;; [unrolled: 1-line block ×5, first 2 shown]
.LBB114_1110:
	s_or_b32 exec_lo, exec_lo, s2
	s_delay_alu instid0(SALU_CYCLE_1)
	s_mov_b32 s2, exec_lo
	s_waitcnt lgkmcnt(0)
	s_waitcnt_vscnt null, 0x0
	s_barrier
	buffer_gl0_inv
	v_cmpx_lt_i32_e32 52, v248
	s_cbranch_execz .LBB114_1112
; %bb.1111:
	v_mul_f64 v[212:213], v[232:233], v[22:23]
	v_mul_f64 v[22:23], v[234:235], v[22:23]
	s_delay_alu instid0(VALU_DEP_2) | instskip(NEXT) | instid1(VALU_DEP_2)
	v_fma_f64 v[212:213], v[234:235], v[20:21], v[212:213]
	v_fma_f64 v[20:21], v[232:233], v[20:21], -v[22:23]
	ds_load_2addr_b64 v[232:235], v242 offset0:106 offset1:107
	s_waitcnt lgkmcnt(0)
	v_mul_f64 v[22:23], v[234:235], v[212:213]
	v_mul_f64 v[214:215], v[232:233], v[212:213]
	s_delay_alu instid0(VALU_DEP_2) | instskip(NEXT) | instid1(VALU_DEP_2)
	v_fma_f64 v[22:23], v[232:233], v[20:21], -v[22:23]
	v_fma_f64 v[214:215], v[234:235], v[20:21], v[214:215]
	ds_load_2addr_b64 v[232:235], v242 offset0:108 offset1:109
	v_add_f64 v[16:17], v[16:17], -v[22:23]
	v_add_f64 v[18:19], v[18:19], -v[214:215]
	s_waitcnt lgkmcnt(0)
	v_mul_f64 v[22:23], v[234:235], v[212:213]
	v_mul_f64 v[214:215], v[232:233], v[212:213]
	s_delay_alu instid0(VALU_DEP_2) | instskip(NEXT) | instid1(VALU_DEP_2)
	v_fma_f64 v[22:23], v[232:233], v[20:21], -v[22:23]
	v_fma_f64 v[214:215], v[234:235], v[20:21], v[214:215]
	ds_load_2addr_b64 v[232:235], v242 offset0:110 offset1:111
	v_add_f64 v[12:13], v[12:13], -v[22:23]
	v_add_f64 v[14:15], v[14:15], -v[214:215]
	;; [unrolled: 9-line block ×4, first 2 shown]
	s_waitcnt lgkmcnt(0)
	v_mul_f64 v[22:23], v[234:235], v[212:213]
	v_mul_f64 v[214:215], v[232:233], v[212:213]
	s_delay_alu instid0(VALU_DEP_2) | instskip(NEXT) | instid1(VALU_DEP_2)
	v_fma_f64 v[22:23], v[232:233], v[20:21], -v[22:23]
	v_fma_f64 v[214:215], v[234:235], v[20:21], v[214:215]
	s_delay_alu instid0(VALU_DEP_2) | instskip(NEXT) | instid1(VALU_DEP_2)
	v_add_f64 v[0:1], v[0:1], -v[22:23]
	v_add_f64 v[2:3], v[2:3], -v[214:215]
	v_dual_mov_b32 v22, v212 :: v_dual_mov_b32 v23, v213
.LBB114_1112:
	s_or_b32 exec_lo, exec_lo, s2
	v_lshl_add_u32 v212, v248, 4, v242
	s_barrier
	buffer_gl0_inv
	v_mov_b32_e32 v240, 53
	ds_store_2addr_b64 v212, v[16:17], v[18:19] offset1:1
	s_waitcnt lgkmcnt(0)
	s_barrier
	buffer_gl0_inv
	ds_load_2addr_b64 v[232:235], v242 offset0:106 offset1:107
	s_cmp_lt_i32 s12, 55
	s_cbranch_scc1 .LBB114_1115
; %bb.1113:
	v_add3_u32 v241, v246, 0, 0x360
	v_mov_b32_e32 v240, 53
	s_mov_b32 s2, 54
	s_set_inst_prefetch_distance 0x1
	.p2align	6
.LBB114_1114:                           ; =>This Inner Loop Header: Depth=1
	s_waitcnt lgkmcnt(0)
	v_cmp_gt_f64_e32 vcc_lo, 0, v[232:233]
	v_xor_b32_e32 v212, 0x80000000, v233
	v_xor_b32_e32 v214, 0x80000000, v235
	ds_load_2addr_b64 v[249:252], v241 offset1:1
	v_add_nc_u32_e32 v241, 16, v241
	s_waitcnt lgkmcnt(0)
	v_xor_b32_e32 v216, 0x80000000, v252
	v_cndmask_b32_e32 v213, v233, v212, vcc_lo
	v_cndmask_b32_e32 v212, v232, v232, vcc_lo
	v_cmp_gt_f64_e32 vcc_lo, 0, v[234:235]
	v_cndmask_b32_e32 v215, v235, v214, vcc_lo
	v_cndmask_b32_e32 v214, v234, v234, vcc_lo
	v_cmp_gt_f64_e32 vcc_lo, 0, v[249:250]
	s_delay_alu instid0(VALU_DEP_2) | instskip(SKIP_1) | instid1(VALU_DEP_1)
	v_add_f64 v[212:213], v[212:213], v[214:215]
	v_xor_b32_e32 v214, 0x80000000, v250
	v_dual_cndmask_b32 v215, v250, v214 :: v_dual_mov_b32 v214, v249
	v_cmp_gt_f64_e32 vcc_lo, 0, v[251:252]
	v_dual_cndmask_b32 v217, v252, v216 :: v_dual_mov_b32 v216, v251
	s_delay_alu instid0(VALU_DEP_1) | instskip(NEXT) | instid1(VALU_DEP_1)
	v_add_f64 v[214:215], v[214:215], v[216:217]
	v_cmp_lt_f64_e32 vcc_lo, v[212:213], v[214:215]
	v_dual_cndmask_b32 v233, v233, v250 :: v_dual_cndmask_b32 v232, v232, v249
	v_dual_cndmask_b32 v235, v235, v252 :: v_dual_cndmask_b32 v234, v234, v251
	v_cndmask_b32_e64 v240, v240, s2, vcc_lo
	s_add_i32 s2, s2, 1
	s_delay_alu instid0(SALU_CYCLE_1)
	s_cmp_lg_u32 s12, s2
	s_cbranch_scc1 .LBB114_1114
.LBB114_1115:
	s_set_inst_prefetch_distance 0x2
	s_waitcnt lgkmcnt(0)
	v_cmp_eq_f64_e32 vcc_lo, 0, v[232:233]
	v_cmp_eq_f64_e64 s2, 0, v[234:235]
	s_delay_alu instid0(VALU_DEP_1) | instskip(NEXT) | instid1(SALU_CYCLE_1)
	s_and_b32 s2, vcc_lo, s2
	s_and_saveexec_b32 s3, s2
	s_delay_alu instid0(SALU_CYCLE_1)
	s_xor_b32 s2, exec_lo, s3
; %bb.1116:
	v_cmp_ne_u32_e32 vcc_lo, 0, v245
	v_cndmask_b32_e32 v245, 54, v245, vcc_lo
; %bb.1117:
	s_and_not1_saveexec_b32 s3, s2
	s_cbranch_execz .LBB114_1123
; %bb.1118:
	v_cmp_gt_f64_e32 vcc_lo, 0, v[232:233]
	v_cmp_gt_f64_e64 s2, 0, v[234:235]
	v_xor_b32_e32 v212, 0x80000000, v233
	v_xor_b32_e32 v214, 0x80000000, v235
	s_delay_alu instid0(VALU_DEP_2) | instskip(NEXT) | instid1(VALU_DEP_2)
	v_cndmask_b32_e32 v213, v233, v212, vcc_lo
	v_cndmask_b32_e64 v215, v235, v214, s2
	v_cndmask_b32_e32 v212, v232, v232, vcc_lo
	v_cndmask_b32_e64 v214, v234, v234, s2
	s_mov_b32 s2, exec_lo
	s_delay_alu instid0(VALU_DEP_1)
	v_cmpx_ngt_f64_e32 v[212:213], v[214:215]
	s_xor_b32 s2, exec_lo, s2
	s_cbranch_execz .LBB114_1120
; %bb.1119:
	v_div_scale_f64 v[212:213], null, v[234:235], v[234:235], v[232:233]
	v_div_scale_f64 v[218:219], vcc_lo, v[232:233], v[234:235], v[232:233]
	s_delay_alu instid0(VALU_DEP_2) | instskip(SKIP_2) | instid1(VALU_DEP_1)
	v_rcp_f64_e32 v[214:215], v[212:213]
	s_waitcnt_depctr 0xfff
	v_fma_f64 v[216:217], -v[212:213], v[214:215], 1.0
	v_fma_f64 v[214:215], v[214:215], v[216:217], v[214:215]
	s_delay_alu instid0(VALU_DEP_1) | instskip(NEXT) | instid1(VALU_DEP_1)
	v_fma_f64 v[216:217], -v[212:213], v[214:215], 1.0
	v_fma_f64 v[214:215], v[214:215], v[216:217], v[214:215]
	s_delay_alu instid0(VALU_DEP_1) | instskip(NEXT) | instid1(VALU_DEP_1)
	v_mul_f64 v[216:217], v[218:219], v[214:215]
	v_fma_f64 v[212:213], -v[212:213], v[216:217], v[218:219]
	s_delay_alu instid0(VALU_DEP_1) | instskip(NEXT) | instid1(VALU_DEP_1)
	v_div_fmas_f64 v[212:213], v[212:213], v[214:215], v[216:217]
	v_div_fixup_f64 v[212:213], v[212:213], v[234:235], v[232:233]
	s_delay_alu instid0(VALU_DEP_1) | instskip(NEXT) | instid1(VALU_DEP_1)
	v_fma_f64 v[214:215], v[232:233], v[212:213], v[234:235]
	v_div_scale_f64 v[216:217], null, v[214:215], v[214:215], 1.0
	s_delay_alu instid0(VALU_DEP_1) | instskip(SKIP_2) | instid1(VALU_DEP_1)
	v_rcp_f64_e32 v[218:219], v[216:217]
	s_waitcnt_depctr 0xfff
	v_fma_f64 v[220:221], -v[216:217], v[218:219], 1.0
	v_fma_f64 v[218:219], v[218:219], v[220:221], v[218:219]
	s_delay_alu instid0(VALU_DEP_1) | instskip(NEXT) | instid1(VALU_DEP_1)
	v_fma_f64 v[220:221], -v[216:217], v[218:219], 1.0
	v_fma_f64 v[218:219], v[218:219], v[220:221], v[218:219]
	v_div_scale_f64 v[220:221], vcc_lo, 1.0, v[214:215], 1.0
	s_delay_alu instid0(VALU_DEP_1) | instskip(NEXT) | instid1(VALU_DEP_1)
	v_mul_f64 v[222:223], v[220:221], v[218:219]
	v_fma_f64 v[216:217], -v[216:217], v[222:223], v[220:221]
	s_delay_alu instid0(VALU_DEP_1) | instskip(NEXT) | instid1(VALU_DEP_1)
	v_div_fmas_f64 v[216:217], v[216:217], v[218:219], v[222:223]
	v_div_fixup_f64 v[234:235], v[216:217], v[214:215], 1.0
	s_delay_alu instid0(VALU_DEP_1)
	v_mul_f64 v[232:233], v[212:213], v[234:235]
	v_xor_b32_e32 v235, 0x80000000, v235
.LBB114_1120:
	s_and_not1_saveexec_b32 s2, s2
	s_cbranch_execz .LBB114_1122
; %bb.1121:
	s_delay_alu instid0(VALU_DEP_1) | instskip(SKIP_1) | instid1(VALU_DEP_2)
	v_div_scale_f64 v[212:213], null, v[232:233], v[232:233], v[234:235]
	v_div_scale_f64 v[218:219], vcc_lo, v[234:235], v[232:233], v[234:235]
	v_rcp_f64_e32 v[214:215], v[212:213]
	s_waitcnt_depctr 0xfff
	v_fma_f64 v[216:217], -v[212:213], v[214:215], 1.0
	s_delay_alu instid0(VALU_DEP_1) | instskip(NEXT) | instid1(VALU_DEP_1)
	v_fma_f64 v[214:215], v[214:215], v[216:217], v[214:215]
	v_fma_f64 v[216:217], -v[212:213], v[214:215], 1.0
	s_delay_alu instid0(VALU_DEP_1) | instskip(NEXT) | instid1(VALU_DEP_1)
	v_fma_f64 v[214:215], v[214:215], v[216:217], v[214:215]
	v_mul_f64 v[216:217], v[218:219], v[214:215]
	s_delay_alu instid0(VALU_DEP_1) | instskip(NEXT) | instid1(VALU_DEP_1)
	v_fma_f64 v[212:213], -v[212:213], v[216:217], v[218:219]
	v_div_fmas_f64 v[212:213], v[212:213], v[214:215], v[216:217]
	s_delay_alu instid0(VALU_DEP_1) | instskip(NEXT) | instid1(VALU_DEP_1)
	v_div_fixup_f64 v[212:213], v[212:213], v[232:233], v[234:235]
	v_fma_f64 v[214:215], v[234:235], v[212:213], v[232:233]
	s_delay_alu instid0(VALU_DEP_1) | instskip(NEXT) | instid1(VALU_DEP_1)
	v_div_scale_f64 v[216:217], null, v[214:215], v[214:215], 1.0
	v_rcp_f64_e32 v[218:219], v[216:217]
	s_waitcnt_depctr 0xfff
	v_fma_f64 v[220:221], -v[216:217], v[218:219], 1.0
	s_delay_alu instid0(VALU_DEP_1) | instskip(NEXT) | instid1(VALU_DEP_1)
	v_fma_f64 v[218:219], v[218:219], v[220:221], v[218:219]
	v_fma_f64 v[220:221], -v[216:217], v[218:219], 1.0
	s_delay_alu instid0(VALU_DEP_1) | instskip(SKIP_1) | instid1(VALU_DEP_1)
	v_fma_f64 v[218:219], v[218:219], v[220:221], v[218:219]
	v_div_scale_f64 v[220:221], vcc_lo, 1.0, v[214:215], 1.0
	v_mul_f64 v[222:223], v[220:221], v[218:219]
	s_delay_alu instid0(VALU_DEP_1) | instskip(NEXT) | instid1(VALU_DEP_1)
	v_fma_f64 v[216:217], -v[216:217], v[222:223], v[220:221]
	v_div_fmas_f64 v[216:217], v[216:217], v[218:219], v[222:223]
	s_delay_alu instid0(VALU_DEP_1) | instskip(NEXT) | instid1(VALU_DEP_1)
	v_div_fixup_f64 v[232:233], v[216:217], v[214:215], 1.0
	v_mul_f64 v[234:235], v[212:213], -v[232:233]
.LBB114_1122:
	s_or_b32 exec_lo, exec_lo, s2
.LBB114_1123:
	s_delay_alu instid0(SALU_CYCLE_1) | instskip(NEXT) | instid1(SALU_CYCLE_1)
	s_or_b32 exec_lo, exec_lo, s3
	s_mov_b32 s2, exec_lo
	v_cmpx_ne_u32_e64 v248, v240
	s_xor_b32 s2, exec_lo, s2
	s_cbranch_execz .LBB114_1129
; %bb.1124:
	s_mov_b32 s3, exec_lo
	v_cmpx_eq_u32_e32 53, v248
	s_cbranch_execz .LBB114_1128
; %bb.1125:
	v_cmp_ne_u32_e32 vcc_lo, 53, v240
	s_xor_b32 s4, s5, -1
	s_delay_alu instid0(SALU_CYCLE_1) | instskip(NEXT) | instid1(SALU_CYCLE_1)
	s_and_b32 s6, s4, vcc_lo
	s_and_saveexec_b32 s4, s6
	s_cbranch_execz .LBB114_1127
; %bb.1126:
	scratch_load_b64 v[208:209], off, off   ; 8-byte Folded Reload
	v_ashrrev_i32_e32 v241, 31, v240
	s_delay_alu instid0(VALU_DEP_1) | instskip(SKIP_1) | instid1(VALU_DEP_1)
	v_lshlrev_b64 v[212:213], 2, v[240:241]
	s_waitcnt vmcnt(0)
	v_add_co_u32 v212, vcc_lo, v208, v212
	s_delay_alu instid0(VALU_DEP_2)
	v_add_co_ci_u32_e32 v213, vcc_lo, v209, v213, vcc_lo
	s_clause 0x1
	flat_load_b32 v214, v[212:213]
	flat_load_b32 v215, v[208:209] offset:212
	s_waitcnt vmcnt(1) lgkmcnt(1)
	flat_store_b32 v[208:209], v214 offset:212
	s_waitcnt vmcnt(0) lgkmcnt(1)
	flat_store_b32 v[212:213], v215
.LBB114_1127:
	s_or_b32 exec_lo, exec_lo, s4
	v_mov_b32_e32 v248, v240
	v_mov_b32_e32 v236, v240
.LBB114_1128:
	s_or_b32 exec_lo, exec_lo, s3
.LBB114_1129:
	s_and_not1_saveexec_b32 s2, s2
	s_cbranch_execz .LBB114_1131
; %bb.1130:
	v_mov_b32_e32 v248, 53
	ds_store_2addr_b64 v242, v[12:13], v[14:15] offset0:108 offset1:109
	ds_store_2addr_b64 v242, v[8:9], v[10:11] offset0:110 offset1:111
	;; [unrolled: 1-line block ×4, first 2 shown]
.LBB114_1131:
	s_or_b32 exec_lo, exec_lo, s2
	s_delay_alu instid0(SALU_CYCLE_1)
	s_mov_b32 s2, exec_lo
	s_waitcnt lgkmcnt(0)
	s_waitcnt_vscnt null, 0x0
	s_barrier
	buffer_gl0_inv
	v_cmpx_lt_i32_e32 53, v248
	s_cbranch_execz .LBB114_1133
; %bb.1132:
	v_mul_f64 v[212:213], v[232:233], v[18:19]
	v_mul_f64 v[18:19], v[234:235], v[18:19]
	s_delay_alu instid0(VALU_DEP_2) | instskip(NEXT) | instid1(VALU_DEP_2)
	v_fma_f64 v[212:213], v[234:235], v[16:17], v[212:213]
	v_fma_f64 v[16:17], v[232:233], v[16:17], -v[18:19]
	ds_load_2addr_b64 v[232:235], v242 offset0:108 offset1:109
	s_waitcnt lgkmcnt(0)
	v_mul_f64 v[18:19], v[234:235], v[212:213]
	v_mul_f64 v[214:215], v[232:233], v[212:213]
	s_delay_alu instid0(VALU_DEP_2) | instskip(NEXT) | instid1(VALU_DEP_2)
	v_fma_f64 v[18:19], v[232:233], v[16:17], -v[18:19]
	v_fma_f64 v[214:215], v[234:235], v[16:17], v[214:215]
	ds_load_2addr_b64 v[232:235], v242 offset0:110 offset1:111
	v_add_f64 v[12:13], v[12:13], -v[18:19]
	v_add_f64 v[14:15], v[14:15], -v[214:215]
	s_waitcnt lgkmcnt(0)
	v_mul_f64 v[18:19], v[234:235], v[212:213]
	v_mul_f64 v[214:215], v[232:233], v[212:213]
	s_delay_alu instid0(VALU_DEP_2) | instskip(NEXT) | instid1(VALU_DEP_2)
	v_fma_f64 v[18:19], v[232:233], v[16:17], -v[18:19]
	v_fma_f64 v[214:215], v[234:235], v[16:17], v[214:215]
	ds_load_2addr_b64 v[232:235], v242 offset0:112 offset1:113
	v_add_f64 v[8:9], v[8:9], -v[18:19]
	v_add_f64 v[10:11], v[10:11], -v[214:215]
	;; [unrolled: 9-line block ×3, first 2 shown]
	s_waitcnt lgkmcnt(0)
	v_mul_f64 v[18:19], v[234:235], v[212:213]
	v_mul_f64 v[214:215], v[232:233], v[212:213]
	s_delay_alu instid0(VALU_DEP_2) | instskip(NEXT) | instid1(VALU_DEP_2)
	v_fma_f64 v[18:19], v[232:233], v[16:17], -v[18:19]
	v_fma_f64 v[214:215], v[234:235], v[16:17], v[214:215]
	s_delay_alu instid0(VALU_DEP_2) | instskip(NEXT) | instid1(VALU_DEP_2)
	v_add_f64 v[0:1], v[0:1], -v[18:19]
	v_add_f64 v[2:3], v[2:3], -v[214:215]
	v_dual_mov_b32 v18, v212 :: v_dual_mov_b32 v19, v213
.LBB114_1133:
	s_or_b32 exec_lo, exec_lo, s2
	v_lshl_add_u32 v212, v248, 4, v242
	s_barrier
	buffer_gl0_inv
	v_mov_b32_e32 v240, 54
	ds_store_2addr_b64 v212, v[12:13], v[14:15] offset1:1
	s_waitcnt lgkmcnt(0)
	s_barrier
	buffer_gl0_inv
	ds_load_2addr_b64 v[232:235], v242 offset0:108 offset1:109
	s_cmp_lt_i32 s12, 56
	s_cbranch_scc1 .LBB114_1136
; %bb.1134:
	v_add3_u32 v241, v246, 0, 0x370
	v_mov_b32_e32 v240, 54
	s_mov_b32 s2, 55
	s_set_inst_prefetch_distance 0x1
	.p2align	6
.LBB114_1135:                           ; =>This Inner Loop Header: Depth=1
	s_waitcnt lgkmcnt(0)
	v_cmp_gt_f64_e32 vcc_lo, 0, v[232:233]
	v_xor_b32_e32 v212, 0x80000000, v233
	v_xor_b32_e32 v214, 0x80000000, v235
	ds_load_2addr_b64 v[249:252], v241 offset1:1
	v_add_nc_u32_e32 v241, 16, v241
	s_waitcnt lgkmcnt(0)
	v_xor_b32_e32 v216, 0x80000000, v252
	v_cndmask_b32_e32 v213, v233, v212, vcc_lo
	v_cndmask_b32_e32 v212, v232, v232, vcc_lo
	v_cmp_gt_f64_e32 vcc_lo, 0, v[234:235]
	v_cndmask_b32_e32 v215, v235, v214, vcc_lo
	v_cndmask_b32_e32 v214, v234, v234, vcc_lo
	v_cmp_gt_f64_e32 vcc_lo, 0, v[249:250]
	s_delay_alu instid0(VALU_DEP_2) | instskip(SKIP_1) | instid1(VALU_DEP_1)
	v_add_f64 v[212:213], v[212:213], v[214:215]
	v_xor_b32_e32 v214, 0x80000000, v250
	v_dual_cndmask_b32 v215, v250, v214 :: v_dual_mov_b32 v214, v249
	v_cmp_gt_f64_e32 vcc_lo, 0, v[251:252]
	v_dual_cndmask_b32 v217, v252, v216 :: v_dual_mov_b32 v216, v251
	s_delay_alu instid0(VALU_DEP_1) | instskip(NEXT) | instid1(VALU_DEP_1)
	v_add_f64 v[214:215], v[214:215], v[216:217]
	v_cmp_lt_f64_e32 vcc_lo, v[212:213], v[214:215]
	v_dual_cndmask_b32 v233, v233, v250 :: v_dual_cndmask_b32 v232, v232, v249
	v_dual_cndmask_b32 v235, v235, v252 :: v_dual_cndmask_b32 v234, v234, v251
	v_cndmask_b32_e64 v240, v240, s2, vcc_lo
	s_add_i32 s2, s2, 1
	s_delay_alu instid0(SALU_CYCLE_1)
	s_cmp_lg_u32 s12, s2
	s_cbranch_scc1 .LBB114_1135
.LBB114_1136:
	s_set_inst_prefetch_distance 0x2
	s_waitcnt lgkmcnt(0)
	v_cmp_eq_f64_e32 vcc_lo, 0, v[232:233]
	v_cmp_eq_f64_e64 s2, 0, v[234:235]
	s_delay_alu instid0(VALU_DEP_1) | instskip(NEXT) | instid1(SALU_CYCLE_1)
	s_and_b32 s2, vcc_lo, s2
	s_and_saveexec_b32 s3, s2
	s_delay_alu instid0(SALU_CYCLE_1)
	s_xor_b32 s2, exec_lo, s3
; %bb.1137:
	v_cmp_ne_u32_e32 vcc_lo, 0, v245
	v_cndmask_b32_e32 v245, 55, v245, vcc_lo
; %bb.1138:
	s_and_not1_saveexec_b32 s3, s2
	s_cbranch_execz .LBB114_1144
; %bb.1139:
	v_cmp_gt_f64_e32 vcc_lo, 0, v[232:233]
	v_cmp_gt_f64_e64 s2, 0, v[234:235]
	v_xor_b32_e32 v212, 0x80000000, v233
	v_xor_b32_e32 v214, 0x80000000, v235
	s_delay_alu instid0(VALU_DEP_2) | instskip(NEXT) | instid1(VALU_DEP_2)
	v_cndmask_b32_e32 v213, v233, v212, vcc_lo
	v_cndmask_b32_e64 v215, v235, v214, s2
	v_cndmask_b32_e32 v212, v232, v232, vcc_lo
	v_cndmask_b32_e64 v214, v234, v234, s2
	s_mov_b32 s2, exec_lo
	s_delay_alu instid0(VALU_DEP_1)
	v_cmpx_ngt_f64_e32 v[212:213], v[214:215]
	s_xor_b32 s2, exec_lo, s2
	s_cbranch_execz .LBB114_1141
; %bb.1140:
	v_div_scale_f64 v[212:213], null, v[234:235], v[234:235], v[232:233]
	v_div_scale_f64 v[218:219], vcc_lo, v[232:233], v[234:235], v[232:233]
	s_delay_alu instid0(VALU_DEP_2) | instskip(SKIP_2) | instid1(VALU_DEP_1)
	v_rcp_f64_e32 v[214:215], v[212:213]
	s_waitcnt_depctr 0xfff
	v_fma_f64 v[216:217], -v[212:213], v[214:215], 1.0
	v_fma_f64 v[214:215], v[214:215], v[216:217], v[214:215]
	s_delay_alu instid0(VALU_DEP_1) | instskip(NEXT) | instid1(VALU_DEP_1)
	v_fma_f64 v[216:217], -v[212:213], v[214:215], 1.0
	v_fma_f64 v[214:215], v[214:215], v[216:217], v[214:215]
	s_delay_alu instid0(VALU_DEP_1) | instskip(NEXT) | instid1(VALU_DEP_1)
	v_mul_f64 v[216:217], v[218:219], v[214:215]
	v_fma_f64 v[212:213], -v[212:213], v[216:217], v[218:219]
	s_delay_alu instid0(VALU_DEP_1) | instskip(NEXT) | instid1(VALU_DEP_1)
	v_div_fmas_f64 v[212:213], v[212:213], v[214:215], v[216:217]
	v_div_fixup_f64 v[212:213], v[212:213], v[234:235], v[232:233]
	s_delay_alu instid0(VALU_DEP_1) | instskip(NEXT) | instid1(VALU_DEP_1)
	v_fma_f64 v[214:215], v[232:233], v[212:213], v[234:235]
	v_div_scale_f64 v[216:217], null, v[214:215], v[214:215], 1.0
	s_delay_alu instid0(VALU_DEP_1) | instskip(SKIP_2) | instid1(VALU_DEP_1)
	v_rcp_f64_e32 v[218:219], v[216:217]
	s_waitcnt_depctr 0xfff
	v_fma_f64 v[220:221], -v[216:217], v[218:219], 1.0
	v_fma_f64 v[218:219], v[218:219], v[220:221], v[218:219]
	s_delay_alu instid0(VALU_DEP_1) | instskip(NEXT) | instid1(VALU_DEP_1)
	v_fma_f64 v[220:221], -v[216:217], v[218:219], 1.0
	v_fma_f64 v[218:219], v[218:219], v[220:221], v[218:219]
	v_div_scale_f64 v[220:221], vcc_lo, 1.0, v[214:215], 1.0
	s_delay_alu instid0(VALU_DEP_1) | instskip(NEXT) | instid1(VALU_DEP_1)
	v_mul_f64 v[222:223], v[220:221], v[218:219]
	v_fma_f64 v[216:217], -v[216:217], v[222:223], v[220:221]
	s_delay_alu instid0(VALU_DEP_1) | instskip(NEXT) | instid1(VALU_DEP_1)
	v_div_fmas_f64 v[216:217], v[216:217], v[218:219], v[222:223]
	v_div_fixup_f64 v[234:235], v[216:217], v[214:215], 1.0
	s_delay_alu instid0(VALU_DEP_1)
	v_mul_f64 v[232:233], v[212:213], v[234:235]
	v_xor_b32_e32 v235, 0x80000000, v235
.LBB114_1141:
	s_and_not1_saveexec_b32 s2, s2
	s_cbranch_execz .LBB114_1143
; %bb.1142:
	s_delay_alu instid0(VALU_DEP_1) | instskip(SKIP_1) | instid1(VALU_DEP_2)
	v_div_scale_f64 v[212:213], null, v[232:233], v[232:233], v[234:235]
	v_div_scale_f64 v[218:219], vcc_lo, v[234:235], v[232:233], v[234:235]
	v_rcp_f64_e32 v[214:215], v[212:213]
	s_waitcnt_depctr 0xfff
	v_fma_f64 v[216:217], -v[212:213], v[214:215], 1.0
	s_delay_alu instid0(VALU_DEP_1) | instskip(NEXT) | instid1(VALU_DEP_1)
	v_fma_f64 v[214:215], v[214:215], v[216:217], v[214:215]
	v_fma_f64 v[216:217], -v[212:213], v[214:215], 1.0
	s_delay_alu instid0(VALU_DEP_1) | instskip(NEXT) | instid1(VALU_DEP_1)
	v_fma_f64 v[214:215], v[214:215], v[216:217], v[214:215]
	v_mul_f64 v[216:217], v[218:219], v[214:215]
	s_delay_alu instid0(VALU_DEP_1) | instskip(NEXT) | instid1(VALU_DEP_1)
	v_fma_f64 v[212:213], -v[212:213], v[216:217], v[218:219]
	v_div_fmas_f64 v[212:213], v[212:213], v[214:215], v[216:217]
	s_delay_alu instid0(VALU_DEP_1) | instskip(NEXT) | instid1(VALU_DEP_1)
	v_div_fixup_f64 v[212:213], v[212:213], v[232:233], v[234:235]
	v_fma_f64 v[214:215], v[234:235], v[212:213], v[232:233]
	s_delay_alu instid0(VALU_DEP_1) | instskip(NEXT) | instid1(VALU_DEP_1)
	v_div_scale_f64 v[216:217], null, v[214:215], v[214:215], 1.0
	v_rcp_f64_e32 v[218:219], v[216:217]
	s_waitcnt_depctr 0xfff
	v_fma_f64 v[220:221], -v[216:217], v[218:219], 1.0
	s_delay_alu instid0(VALU_DEP_1) | instskip(NEXT) | instid1(VALU_DEP_1)
	v_fma_f64 v[218:219], v[218:219], v[220:221], v[218:219]
	v_fma_f64 v[220:221], -v[216:217], v[218:219], 1.0
	s_delay_alu instid0(VALU_DEP_1) | instskip(SKIP_1) | instid1(VALU_DEP_1)
	v_fma_f64 v[218:219], v[218:219], v[220:221], v[218:219]
	v_div_scale_f64 v[220:221], vcc_lo, 1.0, v[214:215], 1.0
	v_mul_f64 v[222:223], v[220:221], v[218:219]
	s_delay_alu instid0(VALU_DEP_1) | instskip(NEXT) | instid1(VALU_DEP_1)
	v_fma_f64 v[216:217], -v[216:217], v[222:223], v[220:221]
	v_div_fmas_f64 v[216:217], v[216:217], v[218:219], v[222:223]
	s_delay_alu instid0(VALU_DEP_1) | instskip(NEXT) | instid1(VALU_DEP_1)
	v_div_fixup_f64 v[232:233], v[216:217], v[214:215], 1.0
	v_mul_f64 v[234:235], v[212:213], -v[232:233]
.LBB114_1143:
	s_or_b32 exec_lo, exec_lo, s2
.LBB114_1144:
	s_delay_alu instid0(SALU_CYCLE_1) | instskip(NEXT) | instid1(SALU_CYCLE_1)
	s_or_b32 exec_lo, exec_lo, s3
	s_mov_b32 s2, exec_lo
	v_cmpx_ne_u32_e64 v248, v240
	s_xor_b32 s2, exec_lo, s2
	s_cbranch_execz .LBB114_1150
; %bb.1145:
	s_mov_b32 s3, exec_lo
	v_cmpx_eq_u32_e32 54, v248
	s_cbranch_execz .LBB114_1149
; %bb.1146:
	v_cmp_ne_u32_e32 vcc_lo, 54, v240
	s_xor_b32 s4, s5, -1
	s_delay_alu instid0(SALU_CYCLE_1) | instskip(NEXT) | instid1(SALU_CYCLE_1)
	s_and_b32 s6, s4, vcc_lo
	s_and_saveexec_b32 s4, s6
	s_cbranch_execz .LBB114_1148
; %bb.1147:
	scratch_load_b64 v[208:209], off, off   ; 8-byte Folded Reload
	v_ashrrev_i32_e32 v241, 31, v240
	s_delay_alu instid0(VALU_DEP_1) | instskip(SKIP_1) | instid1(VALU_DEP_1)
	v_lshlrev_b64 v[212:213], 2, v[240:241]
	s_waitcnt vmcnt(0)
	v_add_co_u32 v212, vcc_lo, v208, v212
	s_delay_alu instid0(VALU_DEP_2)
	v_add_co_ci_u32_e32 v213, vcc_lo, v209, v213, vcc_lo
	s_clause 0x1
	flat_load_b32 v214, v[212:213]
	flat_load_b32 v215, v[208:209] offset:216
	s_waitcnt vmcnt(1) lgkmcnt(1)
	flat_store_b32 v[208:209], v214 offset:216
	s_waitcnt vmcnt(0) lgkmcnt(1)
	flat_store_b32 v[212:213], v215
.LBB114_1148:
	s_or_b32 exec_lo, exec_lo, s4
	v_mov_b32_e32 v248, v240
	v_mov_b32_e32 v236, v240
.LBB114_1149:
	s_or_b32 exec_lo, exec_lo, s3
.LBB114_1150:
	s_and_not1_saveexec_b32 s2, s2
	s_cbranch_execz .LBB114_1152
; %bb.1151:
	v_mov_b32_e32 v248, 54
	ds_store_2addr_b64 v242, v[8:9], v[10:11] offset0:110 offset1:111
	ds_store_2addr_b64 v242, v[224:225], v[226:227] offset0:112 offset1:113
	;; [unrolled: 1-line block ×3, first 2 shown]
.LBB114_1152:
	s_or_b32 exec_lo, exec_lo, s2
	s_delay_alu instid0(SALU_CYCLE_1)
	s_mov_b32 s2, exec_lo
	s_waitcnt lgkmcnt(0)
	s_waitcnt_vscnt null, 0x0
	s_barrier
	buffer_gl0_inv
	v_cmpx_lt_i32_e32 54, v248
	s_cbranch_execz .LBB114_1154
; %bb.1153:
	v_mul_f64 v[212:213], v[232:233], v[14:15]
	v_mul_f64 v[14:15], v[234:235], v[14:15]
	s_delay_alu instid0(VALU_DEP_2) | instskip(NEXT) | instid1(VALU_DEP_2)
	v_fma_f64 v[212:213], v[234:235], v[12:13], v[212:213]
	v_fma_f64 v[12:13], v[232:233], v[12:13], -v[14:15]
	ds_load_2addr_b64 v[232:235], v242 offset0:110 offset1:111
	s_waitcnt lgkmcnt(0)
	v_mul_f64 v[14:15], v[234:235], v[212:213]
	v_mul_f64 v[214:215], v[232:233], v[212:213]
	s_delay_alu instid0(VALU_DEP_2) | instskip(NEXT) | instid1(VALU_DEP_2)
	v_fma_f64 v[14:15], v[232:233], v[12:13], -v[14:15]
	v_fma_f64 v[214:215], v[234:235], v[12:13], v[214:215]
	ds_load_2addr_b64 v[232:235], v242 offset0:112 offset1:113
	v_add_f64 v[8:9], v[8:9], -v[14:15]
	v_add_f64 v[10:11], v[10:11], -v[214:215]
	s_waitcnt lgkmcnt(0)
	v_mul_f64 v[14:15], v[234:235], v[212:213]
	v_mul_f64 v[214:215], v[232:233], v[212:213]
	s_delay_alu instid0(VALU_DEP_2) | instskip(NEXT) | instid1(VALU_DEP_2)
	v_fma_f64 v[14:15], v[232:233], v[12:13], -v[14:15]
	v_fma_f64 v[214:215], v[234:235], v[12:13], v[214:215]
	ds_load_2addr_b64 v[232:235], v242 offset0:114 offset1:115
	v_add_f64 v[224:225], v[224:225], -v[14:15]
	v_add_f64 v[226:227], v[226:227], -v[214:215]
	s_waitcnt lgkmcnt(0)
	v_mul_f64 v[14:15], v[234:235], v[212:213]
	v_mul_f64 v[214:215], v[232:233], v[212:213]
	s_delay_alu instid0(VALU_DEP_2) | instskip(NEXT) | instid1(VALU_DEP_2)
	v_fma_f64 v[14:15], v[232:233], v[12:13], -v[14:15]
	v_fma_f64 v[214:215], v[234:235], v[12:13], v[214:215]
	s_delay_alu instid0(VALU_DEP_2) | instskip(NEXT) | instid1(VALU_DEP_2)
	v_add_f64 v[0:1], v[0:1], -v[14:15]
	v_add_f64 v[2:3], v[2:3], -v[214:215]
	v_dual_mov_b32 v14, v212 :: v_dual_mov_b32 v15, v213
.LBB114_1154:
	s_or_b32 exec_lo, exec_lo, s2
	v_lshl_add_u32 v212, v248, 4, v242
	s_barrier
	buffer_gl0_inv
	v_mov_b32_e32 v240, 55
	ds_store_2addr_b64 v212, v[8:9], v[10:11] offset1:1
	s_waitcnt lgkmcnt(0)
	s_barrier
	buffer_gl0_inv
	ds_load_2addr_b64 v[232:235], v242 offset0:110 offset1:111
	s_cmp_lt_i32 s12, 57
	s_cbranch_scc1 .LBB114_1157
; %bb.1155:
	v_add3_u32 v241, v246, 0, 0x380
	v_mov_b32_e32 v240, 55
	s_mov_b32 s2, 56
	s_set_inst_prefetch_distance 0x1
	.p2align	6
.LBB114_1156:                           ; =>This Inner Loop Header: Depth=1
	s_waitcnt lgkmcnt(0)
	v_cmp_gt_f64_e32 vcc_lo, 0, v[232:233]
	v_xor_b32_e32 v212, 0x80000000, v233
	v_xor_b32_e32 v214, 0x80000000, v235
	ds_load_2addr_b64 v[249:252], v241 offset1:1
	v_add_nc_u32_e32 v241, 16, v241
	s_waitcnt lgkmcnt(0)
	v_xor_b32_e32 v216, 0x80000000, v252
	v_cndmask_b32_e32 v213, v233, v212, vcc_lo
	v_cndmask_b32_e32 v212, v232, v232, vcc_lo
	v_cmp_gt_f64_e32 vcc_lo, 0, v[234:235]
	v_cndmask_b32_e32 v215, v235, v214, vcc_lo
	v_cndmask_b32_e32 v214, v234, v234, vcc_lo
	v_cmp_gt_f64_e32 vcc_lo, 0, v[249:250]
	s_delay_alu instid0(VALU_DEP_2) | instskip(SKIP_1) | instid1(VALU_DEP_1)
	v_add_f64 v[212:213], v[212:213], v[214:215]
	v_xor_b32_e32 v214, 0x80000000, v250
	v_dual_cndmask_b32 v215, v250, v214 :: v_dual_mov_b32 v214, v249
	v_cmp_gt_f64_e32 vcc_lo, 0, v[251:252]
	v_dual_cndmask_b32 v217, v252, v216 :: v_dual_mov_b32 v216, v251
	s_delay_alu instid0(VALU_DEP_1) | instskip(NEXT) | instid1(VALU_DEP_1)
	v_add_f64 v[214:215], v[214:215], v[216:217]
	v_cmp_lt_f64_e32 vcc_lo, v[212:213], v[214:215]
	v_dual_cndmask_b32 v233, v233, v250 :: v_dual_cndmask_b32 v232, v232, v249
	v_dual_cndmask_b32 v235, v235, v252 :: v_dual_cndmask_b32 v234, v234, v251
	v_cndmask_b32_e64 v240, v240, s2, vcc_lo
	s_add_i32 s2, s2, 1
	s_delay_alu instid0(SALU_CYCLE_1)
	s_cmp_lg_u32 s12, s2
	s_cbranch_scc1 .LBB114_1156
.LBB114_1157:
	s_set_inst_prefetch_distance 0x2
	s_waitcnt lgkmcnt(0)
	v_cmp_eq_f64_e32 vcc_lo, 0, v[232:233]
	v_cmp_eq_f64_e64 s2, 0, v[234:235]
	s_delay_alu instid0(VALU_DEP_1) | instskip(NEXT) | instid1(SALU_CYCLE_1)
	s_and_b32 s2, vcc_lo, s2
	s_and_saveexec_b32 s3, s2
	s_delay_alu instid0(SALU_CYCLE_1)
	s_xor_b32 s2, exec_lo, s3
; %bb.1158:
	v_cmp_ne_u32_e32 vcc_lo, 0, v245
	v_cndmask_b32_e32 v245, 56, v245, vcc_lo
; %bb.1159:
	s_and_not1_saveexec_b32 s3, s2
	s_cbranch_execz .LBB114_1165
; %bb.1160:
	v_cmp_gt_f64_e32 vcc_lo, 0, v[232:233]
	v_cmp_gt_f64_e64 s2, 0, v[234:235]
	v_xor_b32_e32 v212, 0x80000000, v233
	v_xor_b32_e32 v214, 0x80000000, v235
	s_delay_alu instid0(VALU_DEP_2) | instskip(NEXT) | instid1(VALU_DEP_2)
	v_cndmask_b32_e32 v213, v233, v212, vcc_lo
	v_cndmask_b32_e64 v215, v235, v214, s2
	v_cndmask_b32_e32 v212, v232, v232, vcc_lo
	v_cndmask_b32_e64 v214, v234, v234, s2
	s_mov_b32 s2, exec_lo
	s_delay_alu instid0(VALU_DEP_1)
	v_cmpx_ngt_f64_e32 v[212:213], v[214:215]
	s_xor_b32 s2, exec_lo, s2
	s_cbranch_execz .LBB114_1162
; %bb.1161:
	v_div_scale_f64 v[212:213], null, v[234:235], v[234:235], v[232:233]
	v_div_scale_f64 v[218:219], vcc_lo, v[232:233], v[234:235], v[232:233]
	s_delay_alu instid0(VALU_DEP_2) | instskip(SKIP_2) | instid1(VALU_DEP_1)
	v_rcp_f64_e32 v[214:215], v[212:213]
	s_waitcnt_depctr 0xfff
	v_fma_f64 v[216:217], -v[212:213], v[214:215], 1.0
	v_fma_f64 v[214:215], v[214:215], v[216:217], v[214:215]
	s_delay_alu instid0(VALU_DEP_1) | instskip(NEXT) | instid1(VALU_DEP_1)
	v_fma_f64 v[216:217], -v[212:213], v[214:215], 1.0
	v_fma_f64 v[214:215], v[214:215], v[216:217], v[214:215]
	s_delay_alu instid0(VALU_DEP_1) | instskip(NEXT) | instid1(VALU_DEP_1)
	v_mul_f64 v[216:217], v[218:219], v[214:215]
	v_fma_f64 v[212:213], -v[212:213], v[216:217], v[218:219]
	s_delay_alu instid0(VALU_DEP_1) | instskip(NEXT) | instid1(VALU_DEP_1)
	v_div_fmas_f64 v[212:213], v[212:213], v[214:215], v[216:217]
	v_div_fixup_f64 v[212:213], v[212:213], v[234:235], v[232:233]
	s_delay_alu instid0(VALU_DEP_1) | instskip(NEXT) | instid1(VALU_DEP_1)
	v_fma_f64 v[214:215], v[232:233], v[212:213], v[234:235]
	v_div_scale_f64 v[216:217], null, v[214:215], v[214:215], 1.0
	s_delay_alu instid0(VALU_DEP_1) | instskip(SKIP_2) | instid1(VALU_DEP_1)
	v_rcp_f64_e32 v[218:219], v[216:217]
	s_waitcnt_depctr 0xfff
	v_fma_f64 v[220:221], -v[216:217], v[218:219], 1.0
	v_fma_f64 v[218:219], v[218:219], v[220:221], v[218:219]
	s_delay_alu instid0(VALU_DEP_1) | instskip(NEXT) | instid1(VALU_DEP_1)
	v_fma_f64 v[220:221], -v[216:217], v[218:219], 1.0
	v_fma_f64 v[218:219], v[218:219], v[220:221], v[218:219]
	v_div_scale_f64 v[220:221], vcc_lo, 1.0, v[214:215], 1.0
	s_delay_alu instid0(VALU_DEP_1) | instskip(NEXT) | instid1(VALU_DEP_1)
	v_mul_f64 v[222:223], v[220:221], v[218:219]
	v_fma_f64 v[216:217], -v[216:217], v[222:223], v[220:221]
	s_delay_alu instid0(VALU_DEP_1) | instskip(NEXT) | instid1(VALU_DEP_1)
	v_div_fmas_f64 v[216:217], v[216:217], v[218:219], v[222:223]
	v_div_fixup_f64 v[234:235], v[216:217], v[214:215], 1.0
	s_delay_alu instid0(VALU_DEP_1)
	v_mul_f64 v[232:233], v[212:213], v[234:235]
	v_xor_b32_e32 v235, 0x80000000, v235
.LBB114_1162:
	s_and_not1_saveexec_b32 s2, s2
	s_cbranch_execz .LBB114_1164
; %bb.1163:
	s_delay_alu instid0(VALU_DEP_1) | instskip(SKIP_1) | instid1(VALU_DEP_2)
	v_div_scale_f64 v[212:213], null, v[232:233], v[232:233], v[234:235]
	v_div_scale_f64 v[218:219], vcc_lo, v[234:235], v[232:233], v[234:235]
	v_rcp_f64_e32 v[214:215], v[212:213]
	s_waitcnt_depctr 0xfff
	v_fma_f64 v[216:217], -v[212:213], v[214:215], 1.0
	s_delay_alu instid0(VALU_DEP_1) | instskip(NEXT) | instid1(VALU_DEP_1)
	v_fma_f64 v[214:215], v[214:215], v[216:217], v[214:215]
	v_fma_f64 v[216:217], -v[212:213], v[214:215], 1.0
	s_delay_alu instid0(VALU_DEP_1) | instskip(NEXT) | instid1(VALU_DEP_1)
	v_fma_f64 v[214:215], v[214:215], v[216:217], v[214:215]
	v_mul_f64 v[216:217], v[218:219], v[214:215]
	s_delay_alu instid0(VALU_DEP_1) | instskip(NEXT) | instid1(VALU_DEP_1)
	v_fma_f64 v[212:213], -v[212:213], v[216:217], v[218:219]
	v_div_fmas_f64 v[212:213], v[212:213], v[214:215], v[216:217]
	s_delay_alu instid0(VALU_DEP_1) | instskip(NEXT) | instid1(VALU_DEP_1)
	v_div_fixup_f64 v[212:213], v[212:213], v[232:233], v[234:235]
	v_fma_f64 v[214:215], v[234:235], v[212:213], v[232:233]
	s_delay_alu instid0(VALU_DEP_1) | instskip(NEXT) | instid1(VALU_DEP_1)
	v_div_scale_f64 v[216:217], null, v[214:215], v[214:215], 1.0
	v_rcp_f64_e32 v[218:219], v[216:217]
	s_waitcnt_depctr 0xfff
	v_fma_f64 v[220:221], -v[216:217], v[218:219], 1.0
	s_delay_alu instid0(VALU_DEP_1) | instskip(NEXT) | instid1(VALU_DEP_1)
	v_fma_f64 v[218:219], v[218:219], v[220:221], v[218:219]
	v_fma_f64 v[220:221], -v[216:217], v[218:219], 1.0
	s_delay_alu instid0(VALU_DEP_1) | instskip(SKIP_1) | instid1(VALU_DEP_1)
	v_fma_f64 v[218:219], v[218:219], v[220:221], v[218:219]
	v_div_scale_f64 v[220:221], vcc_lo, 1.0, v[214:215], 1.0
	v_mul_f64 v[222:223], v[220:221], v[218:219]
	s_delay_alu instid0(VALU_DEP_1) | instskip(NEXT) | instid1(VALU_DEP_1)
	v_fma_f64 v[216:217], -v[216:217], v[222:223], v[220:221]
	v_div_fmas_f64 v[216:217], v[216:217], v[218:219], v[222:223]
	s_delay_alu instid0(VALU_DEP_1) | instskip(NEXT) | instid1(VALU_DEP_1)
	v_div_fixup_f64 v[232:233], v[216:217], v[214:215], 1.0
	v_mul_f64 v[234:235], v[212:213], -v[232:233]
.LBB114_1164:
	s_or_b32 exec_lo, exec_lo, s2
.LBB114_1165:
	s_delay_alu instid0(SALU_CYCLE_1) | instskip(NEXT) | instid1(SALU_CYCLE_1)
	s_or_b32 exec_lo, exec_lo, s3
	s_mov_b32 s2, exec_lo
	v_cmpx_ne_u32_e64 v248, v240
	s_xor_b32 s2, exec_lo, s2
	s_cbranch_execz .LBB114_1171
; %bb.1166:
	s_mov_b32 s3, exec_lo
	v_cmpx_eq_u32_e32 55, v248
	s_cbranch_execz .LBB114_1170
; %bb.1167:
	v_cmp_ne_u32_e32 vcc_lo, 55, v240
	s_xor_b32 s4, s5, -1
	s_delay_alu instid0(SALU_CYCLE_1) | instskip(NEXT) | instid1(SALU_CYCLE_1)
	s_and_b32 s6, s4, vcc_lo
	s_and_saveexec_b32 s4, s6
	s_cbranch_execz .LBB114_1169
; %bb.1168:
	scratch_load_b64 v[208:209], off, off   ; 8-byte Folded Reload
	v_ashrrev_i32_e32 v241, 31, v240
	s_delay_alu instid0(VALU_DEP_1) | instskip(SKIP_1) | instid1(VALU_DEP_1)
	v_lshlrev_b64 v[212:213], 2, v[240:241]
	s_waitcnt vmcnt(0)
	v_add_co_u32 v212, vcc_lo, v208, v212
	s_delay_alu instid0(VALU_DEP_2)
	v_add_co_ci_u32_e32 v213, vcc_lo, v209, v213, vcc_lo
	s_clause 0x1
	flat_load_b32 v214, v[212:213]
	flat_load_b32 v215, v[208:209] offset:220
	s_waitcnt vmcnt(1) lgkmcnt(1)
	flat_store_b32 v[208:209], v214 offset:220
	s_waitcnt vmcnt(0) lgkmcnt(1)
	flat_store_b32 v[212:213], v215
.LBB114_1169:
	s_or_b32 exec_lo, exec_lo, s4
	v_mov_b32_e32 v248, v240
	v_mov_b32_e32 v236, v240
.LBB114_1170:
	s_or_b32 exec_lo, exec_lo, s3
.LBB114_1171:
	s_and_not1_saveexec_b32 s2, s2
	s_cbranch_execz .LBB114_1173
; %bb.1172:
	v_mov_b32_e32 v248, 55
	ds_store_2addr_b64 v242, v[224:225], v[226:227] offset0:112 offset1:113
	ds_store_2addr_b64 v242, v[0:1], v[2:3] offset0:114 offset1:115
.LBB114_1173:
	s_or_b32 exec_lo, exec_lo, s2
	s_delay_alu instid0(SALU_CYCLE_1)
	s_mov_b32 s2, exec_lo
	s_waitcnt lgkmcnt(0)
	s_waitcnt_vscnt null, 0x0
	s_barrier
	buffer_gl0_inv
	v_cmpx_lt_i32_e32 55, v248
	s_cbranch_execz .LBB114_1175
; %bb.1174:
	v_mul_f64 v[212:213], v[232:233], v[10:11]
	v_mul_f64 v[10:11], v[234:235], v[10:11]
	s_delay_alu instid0(VALU_DEP_2) | instskip(NEXT) | instid1(VALU_DEP_2)
	v_fma_f64 v[212:213], v[234:235], v[8:9], v[212:213]
	v_fma_f64 v[8:9], v[232:233], v[8:9], -v[10:11]
	ds_load_2addr_b64 v[232:235], v242 offset0:112 offset1:113
	s_waitcnt lgkmcnt(0)
	v_mul_f64 v[10:11], v[234:235], v[212:213]
	v_mul_f64 v[214:215], v[232:233], v[212:213]
	s_delay_alu instid0(VALU_DEP_2) | instskip(NEXT) | instid1(VALU_DEP_2)
	v_fma_f64 v[10:11], v[232:233], v[8:9], -v[10:11]
	v_fma_f64 v[214:215], v[234:235], v[8:9], v[214:215]
	ds_load_2addr_b64 v[232:235], v242 offset0:114 offset1:115
	v_add_f64 v[224:225], v[224:225], -v[10:11]
	v_add_f64 v[226:227], v[226:227], -v[214:215]
	s_waitcnt lgkmcnt(0)
	v_mul_f64 v[10:11], v[234:235], v[212:213]
	v_mul_f64 v[214:215], v[232:233], v[212:213]
	s_delay_alu instid0(VALU_DEP_2) | instskip(NEXT) | instid1(VALU_DEP_2)
	v_fma_f64 v[10:11], v[232:233], v[8:9], -v[10:11]
	v_fma_f64 v[214:215], v[234:235], v[8:9], v[214:215]
	s_delay_alu instid0(VALU_DEP_2) | instskip(NEXT) | instid1(VALU_DEP_2)
	v_add_f64 v[0:1], v[0:1], -v[10:11]
	v_add_f64 v[2:3], v[2:3], -v[214:215]
	v_dual_mov_b32 v10, v212 :: v_dual_mov_b32 v11, v213
.LBB114_1175:
	s_or_b32 exec_lo, exec_lo, s2
	v_lshl_add_u32 v212, v248, 4, v242
	s_barrier
	buffer_gl0_inv
	v_mov_b32_e32 v240, 56
	ds_store_2addr_b64 v212, v[224:225], v[226:227] offset1:1
	s_waitcnt lgkmcnt(0)
	s_barrier
	buffer_gl0_inv
	ds_load_2addr_b64 v[232:235], v242 offset0:112 offset1:113
	s_cmp_lt_i32 s12, 58
	s_cbranch_scc1 .LBB114_1178
; %bb.1176:
	v_add3_u32 v241, v246, 0, 0x390
	v_mov_b32_e32 v240, 56
	s_mov_b32 s2, 57
	s_set_inst_prefetch_distance 0x1
	.p2align	6
.LBB114_1177:                           ; =>This Inner Loop Header: Depth=1
	s_waitcnt lgkmcnt(0)
	v_cmp_gt_f64_e32 vcc_lo, 0, v[232:233]
	v_xor_b32_e32 v212, 0x80000000, v233
	v_xor_b32_e32 v214, 0x80000000, v235
	ds_load_2addr_b64 v[249:252], v241 offset1:1
	v_add_nc_u32_e32 v241, 16, v241
	s_waitcnt lgkmcnt(0)
	v_xor_b32_e32 v216, 0x80000000, v252
	v_cndmask_b32_e32 v213, v233, v212, vcc_lo
	v_cndmask_b32_e32 v212, v232, v232, vcc_lo
	v_cmp_gt_f64_e32 vcc_lo, 0, v[234:235]
	v_cndmask_b32_e32 v215, v235, v214, vcc_lo
	v_cndmask_b32_e32 v214, v234, v234, vcc_lo
	v_cmp_gt_f64_e32 vcc_lo, 0, v[249:250]
	s_delay_alu instid0(VALU_DEP_2) | instskip(SKIP_1) | instid1(VALU_DEP_1)
	v_add_f64 v[212:213], v[212:213], v[214:215]
	v_xor_b32_e32 v214, 0x80000000, v250
	v_dual_cndmask_b32 v215, v250, v214 :: v_dual_mov_b32 v214, v249
	v_cmp_gt_f64_e32 vcc_lo, 0, v[251:252]
	v_dual_cndmask_b32 v217, v252, v216 :: v_dual_mov_b32 v216, v251
	s_delay_alu instid0(VALU_DEP_1) | instskip(NEXT) | instid1(VALU_DEP_1)
	v_add_f64 v[214:215], v[214:215], v[216:217]
	v_cmp_lt_f64_e32 vcc_lo, v[212:213], v[214:215]
	v_dual_cndmask_b32 v233, v233, v250 :: v_dual_cndmask_b32 v232, v232, v249
	v_dual_cndmask_b32 v235, v235, v252 :: v_dual_cndmask_b32 v234, v234, v251
	v_cndmask_b32_e64 v240, v240, s2, vcc_lo
	s_add_i32 s2, s2, 1
	s_delay_alu instid0(SALU_CYCLE_1)
	s_cmp_lg_u32 s12, s2
	s_cbranch_scc1 .LBB114_1177
.LBB114_1178:
	s_set_inst_prefetch_distance 0x2
	s_waitcnt lgkmcnt(0)
	v_cmp_eq_f64_e32 vcc_lo, 0, v[232:233]
	v_cmp_eq_f64_e64 s2, 0, v[234:235]
	s_delay_alu instid0(VALU_DEP_1) | instskip(NEXT) | instid1(SALU_CYCLE_1)
	s_and_b32 s2, vcc_lo, s2
	s_and_saveexec_b32 s3, s2
	s_delay_alu instid0(SALU_CYCLE_1)
	s_xor_b32 s2, exec_lo, s3
; %bb.1179:
	v_cmp_ne_u32_e32 vcc_lo, 0, v245
	v_cndmask_b32_e32 v245, 57, v245, vcc_lo
; %bb.1180:
	s_and_not1_saveexec_b32 s3, s2
	s_cbranch_execz .LBB114_1186
; %bb.1181:
	v_cmp_gt_f64_e32 vcc_lo, 0, v[232:233]
	v_cmp_gt_f64_e64 s2, 0, v[234:235]
	v_xor_b32_e32 v212, 0x80000000, v233
	v_xor_b32_e32 v214, 0x80000000, v235
	s_delay_alu instid0(VALU_DEP_2) | instskip(NEXT) | instid1(VALU_DEP_2)
	v_cndmask_b32_e32 v213, v233, v212, vcc_lo
	v_cndmask_b32_e64 v215, v235, v214, s2
	v_cndmask_b32_e32 v212, v232, v232, vcc_lo
	v_cndmask_b32_e64 v214, v234, v234, s2
	s_mov_b32 s2, exec_lo
	s_delay_alu instid0(VALU_DEP_1)
	v_cmpx_ngt_f64_e32 v[212:213], v[214:215]
	s_xor_b32 s2, exec_lo, s2
	s_cbranch_execz .LBB114_1183
; %bb.1182:
	v_div_scale_f64 v[212:213], null, v[234:235], v[234:235], v[232:233]
	v_div_scale_f64 v[218:219], vcc_lo, v[232:233], v[234:235], v[232:233]
	s_delay_alu instid0(VALU_DEP_2) | instskip(SKIP_2) | instid1(VALU_DEP_1)
	v_rcp_f64_e32 v[214:215], v[212:213]
	s_waitcnt_depctr 0xfff
	v_fma_f64 v[216:217], -v[212:213], v[214:215], 1.0
	v_fma_f64 v[214:215], v[214:215], v[216:217], v[214:215]
	s_delay_alu instid0(VALU_DEP_1) | instskip(NEXT) | instid1(VALU_DEP_1)
	v_fma_f64 v[216:217], -v[212:213], v[214:215], 1.0
	v_fma_f64 v[214:215], v[214:215], v[216:217], v[214:215]
	s_delay_alu instid0(VALU_DEP_1) | instskip(NEXT) | instid1(VALU_DEP_1)
	v_mul_f64 v[216:217], v[218:219], v[214:215]
	v_fma_f64 v[212:213], -v[212:213], v[216:217], v[218:219]
	s_delay_alu instid0(VALU_DEP_1) | instskip(NEXT) | instid1(VALU_DEP_1)
	v_div_fmas_f64 v[212:213], v[212:213], v[214:215], v[216:217]
	v_div_fixup_f64 v[212:213], v[212:213], v[234:235], v[232:233]
	s_delay_alu instid0(VALU_DEP_1) | instskip(NEXT) | instid1(VALU_DEP_1)
	v_fma_f64 v[214:215], v[232:233], v[212:213], v[234:235]
	v_div_scale_f64 v[216:217], null, v[214:215], v[214:215], 1.0
	s_delay_alu instid0(VALU_DEP_1) | instskip(SKIP_2) | instid1(VALU_DEP_1)
	v_rcp_f64_e32 v[218:219], v[216:217]
	s_waitcnt_depctr 0xfff
	v_fma_f64 v[220:221], -v[216:217], v[218:219], 1.0
	v_fma_f64 v[218:219], v[218:219], v[220:221], v[218:219]
	s_delay_alu instid0(VALU_DEP_1) | instskip(NEXT) | instid1(VALU_DEP_1)
	v_fma_f64 v[220:221], -v[216:217], v[218:219], 1.0
	v_fma_f64 v[218:219], v[218:219], v[220:221], v[218:219]
	v_div_scale_f64 v[220:221], vcc_lo, 1.0, v[214:215], 1.0
	s_delay_alu instid0(VALU_DEP_1) | instskip(NEXT) | instid1(VALU_DEP_1)
	v_mul_f64 v[222:223], v[220:221], v[218:219]
	v_fma_f64 v[216:217], -v[216:217], v[222:223], v[220:221]
	s_delay_alu instid0(VALU_DEP_1) | instskip(NEXT) | instid1(VALU_DEP_1)
	v_div_fmas_f64 v[216:217], v[216:217], v[218:219], v[222:223]
	v_div_fixup_f64 v[234:235], v[216:217], v[214:215], 1.0
	s_delay_alu instid0(VALU_DEP_1)
	v_mul_f64 v[232:233], v[212:213], v[234:235]
	v_xor_b32_e32 v235, 0x80000000, v235
.LBB114_1183:
	s_and_not1_saveexec_b32 s2, s2
	s_cbranch_execz .LBB114_1185
; %bb.1184:
	s_delay_alu instid0(VALU_DEP_1) | instskip(SKIP_1) | instid1(VALU_DEP_2)
	v_div_scale_f64 v[212:213], null, v[232:233], v[232:233], v[234:235]
	v_div_scale_f64 v[218:219], vcc_lo, v[234:235], v[232:233], v[234:235]
	v_rcp_f64_e32 v[214:215], v[212:213]
	s_waitcnt_depctr 0xfff
	v_fma_f64 v[216:217], -v[212:213], v[214:215], 1.0
	s_delay_alu instid0(VALU_DEP_1) | instskip(NEXT) | instid1(VALU_DEP_1)
	v_fma_f64 v[214:215], v[214:215], v[216:217], v[214:215]
	v_fma_f64 v[216:217], -v[212:213], v[214:215], 1.0
	s_delay_alu instid0(VALU_DEP_1) | instskip(NEXT) | instid1(VALU_DEP_1)
	v_fma_f64 v[214:215], v[214:215], v[216:217], v[214:215]
	v_mul_f64 v[216:217], v[218:219], v[214:215]
	s_delay_alu instid0(VALU_DEP_1) | instskip(NEXT) | instid1(VALU_DEP_1)
	v_fma_f64 v[212:213], -v[212:213], v[216:217], v[218:219]
	v_div_fmas_f64 v[212:213], v[212:213], v[214:215], v[216:217]
	s_delay_alu instid0(VALU_DEP_1) | instskip(NEXT) | instid1(VALU_DEP_1)
	v_div_fixup_f64 v[212:213], v[212:213], v[232:233], v[234:235]
	v_fma_f64 v[214:215], v[234:235], v[212:213], v[232:233]
	s_delay_alu instid0(VALU_DEP_1) | instskip(NEXT) | instid1(VALU_DEP_1)
	v_div_scale_f64 v[216:217], null, v[214:215], v[214:215], 1.0
	v_rcp_f64_e32 v[218:219], v[216:217]
	s_waitcnt_depctr 0xfff
	v_fma_f64 v[220:221], -v[216:217], v[218:219], 1.0
	s_delay_alu instid0(VALU_DEP_1) | instskip(NEXT) | instid1(VALU_DEP_1)
	v_fma_f64 v[218:219], v[218:219], v[220:221], v[218:219]
	v_fma_f64 v[220:221], -v[216:217], v[218:219], 1.0
	s_delay_alu instid0(VALU_DEP_1) | instskip(SKIP_1) | instid1(VALU_DEP_1)
	v_fma_f64 v[218:219], v[218:219], v[220:221], v[218:219]
	v_div_scale_f64 v[220:221], vcc_lo, 1.0, v[214:215], 1.0
	v_mul_f64 v[222:223], v[220:221], v[218:219]
	s_delay_alu instid0(VALU_DEP_1) | instskip(NEXT) | instid1(VALU_DEP_1)
	v_fma_f64 v[216:217], -v[216:217], v[222:223], v[220:221]
	v_div_fmas_f64 v[216:217], v[216:217], v[218:219], v[222:223]
	s_delay_alu instid0(VALU_DEP_1) | instskip(NEXT) | instid1(VALU_DEP_1)
	v_div_fixup_f64 v[232:233], v[216:217], v[214:215], 1.0
	v_mul_f64 v[234:235], v[212:213], -v[232:233]
.LBB114_1185:
	s_or_b32 exec_lo, exec_lo, s2
.LBB114_1186:
	s_delay_alu instid0(SALU_CYCLE_1) | instskip(NEXT) | instid1(SALU_CYCLE_1)
	s_or_b32 exec_lo, exec_lo, s3
	s_mov_b32 s2, exec_lo
	v_cmpx_ne_u32_e64 v248, v240
	s_xor_b32 s2, exec_lo, s2
	s_cbranch_execz .LBB114_1192
; %bb.1187:
	s_mov_b32 s3, exec_lo
	v_cmpx_eq_u32_e32 56, v248
	s_cbranch_execz .LBB114_1191
; %bb.1188:
	v_cmp_ne_u32_e32 vcc_lo, 56, v240
	s_xor_b32 s4, s5, -1
	s_delay_alu instid0(SALU_CYCLE_1) | instskip(NEXT) | instid1(SALU_CYCLE_1)
	s_and_b32 s6, s4, vcc_lo
	s_and_saveexec_b32 s4, s6
	s_cbranch_execz .LBB114_1190
; %bb.1189:
	scratch_load_b64 v[208:209], off, off   ; 8-byte Folded Reload
	v_ashrrev_i32_e32 v241, 31, v240
	s_delay_alu instid0(VALU_DEP_1) | instskip(SKIP_1) | instid1(VALU_DEP_1)
	v_lshlrev_b64 v[212:213], 2, v[240:241]
	s_waitcnt vmcnt(0)
	v_add_co_u32 v212, vcc_lo, v208, v212
	s_delay_alu instid0(VALU_DEP_2)
	v_add_co_ci_u32_e32 v213, vcc_lo, v209, v213, vcc_lo
	s_clause 0x1
	flat_load_b32 v214, v[212:213]
	flat_load_b32 v215, v[208:209] offset:224
	s_waitcnt vmcnt(1) lgkmcnt(1)
	flat_store_b32 v[208:209], v214 offset:224
	s_waitcnt vmcnt(0) lgkmcnt(1)
	flat_store_b32 v[212:213], v215
.LBB114_1190:
	s_or_b32 exec_lo, exec_lo, s4
	v_mov_b32_e32 v248, v240
	v_mov_b32_e32 v236, v240
.LBB114_1191:
	s_or_b32 exec_lo, exec_lo, s3
.LBB114_1192:
	s_and_not1_saveexec_b32 s2, s2
	s_cbranch_execz .LBB114_1194
; %bb.1193:
	v_mov_b32_e32 v248, 56
	ds_store_2addr_b64 v242, v[0:1], v[2:3] offset0:114 offset1:115
.LBB114_1194:
	s_or_b32 exec_lo, exec_lo, s2
	s_delay_alu instid0(SALU_CYCLE_1)
	s_mov_b32 s2, exec_lo
	s_waitcnt lgkmcnt(0)
	s_waitcnt_vscnt null, 0x0
	s_barrier
	buffer_gl0_inv
	v_cmpx_lt_i32_e32 56, v248
	s_cbranch_execz .LBB114_1196
; %bb.1195:
	v_mul_f64 v[212:213], v[232:233], v[226:227]
	v_dual_mov_b32 v211, v7 :: v_dual_mov_b32 v210, v6
	v_dual_mov_b32 v209, v5 :: v_dual_mov_b32 v208, v4
	v_mul_f64 v[6:7], v[234:235], v[226:227]
	ds_load_2addr_b64 v[249:252], v242 offset0:114 offset1:115
	v_fma_f64 v[212:213], v[234:235], v[224:225], v[212:213]
	v_fma_f64 v[224:225], v[232:233], v[224:225], -v[6:7]
	s_waitcnt lgkmcnt(0)
	s_delay_alu instid0(VALU_DEP_2) | instskip(SKIP_2) | instid1(VALU_DEP_3)
	v_mul_f64 v[6:7], v[251:252], v[212:213]
	v_mul_f64 v[214:215], v[249:250], v[212:213]
	v_dual_mov_b32 v227, v213 :: v_dual_mov_b32 v226, v212
	v_fma_f64 v[6:7], v[249:250], v[224:225], -v[6:7]
	s_delay_alu instid0(VALU_DEP_3) | instskip(NEXT) | instid1(VALU_DEP_2)
	v_fma_f64 v[214:215], v[251:252], v[224:225], v[214:215]
	v_add_f64 v[0:1], v[0:1], -v[6:7]
	s_delay_alu instid0(VALU_DEP_2)
	v_add_f64 v[2:3], v[2:3], -v[214:215]
	v_dual_mov_b32 v4, v208 :: v_dual_mov_b32 v5, v209
	v_dual_mov_b32 v6, v210 :: v_dual_mov_b32 v7, v211
.LBB114_1196:
	s_or_b32 exec_lo, exec_lo, s2
	v_lshl_add_u32 v212, v248, 4, v242
	s_barrier
	buffer_gl0_inv
	v_mov_b32_e32 v240, 57
	ds_store_2addr_b64 v212, v[0:1], v[2:3] offset1:1
	s_waitcnt lgkmcnt(0)
	s_barrier
	buffer_gl0_inv
	ds_load_2addr_b64 v[232:235], v242 offset0:114 offset1:115
	s_cmp_lt_i32 s12, 59
	s_cbranch_scc1 .LBB114_1199
; %bb.1197:
	v_add3_u32 v241, v246, 0, 0x3a0
	v_mov_b32_e32 v240, 57
	s_mov_b32 s2, 58
	s_set_inst_prefetch_distance 0x1
	.p2align	6
.LBB114_1198:                           ; =>This Inner Loop Header: Depth=1
	s_waitcnt lgkmcnt(0)
	v_cmp_gt_f64_e32 vcc_lo, 0, v[232:233]
	v_xor_b32_e32 v212, 0x80000000, v233
	v_xor_b32_e32 v214, 0x80000000, v235
	ds_load_2addr_b64 v[249:252], v241 offset1:1
	v_add_nc_u32_e32 v241, 16, v241
	s_waitcnt lgkmcnt(0)
	v_xor_b32_e32 v216, 0x80000000, v252
	v_cndmask_b32_e32 v213, v233, v212, vcc_lo
	v_cndmask_b32_e32 v212, v232, v232, vcc_lo
	v_cmp_gt_f64_e32 vcc_lo, 0, v[234:235]
	v_cndmask_b32_e32 v215, v235, v214, vcc_lo
	v_cndmask_b32_e32 v214, v234, v234, vcc_lo
	v_cmp_gt_f64_e32 vcc_lo, 0, v[249:250]
	s_delay_alu instid0(VALU_DEP_2) | instskip(SKIP_1) | instid1(VALU_DEP_1)
	v_add_f64 v[212:213], v[212:213], v[214:215]
	v_xor_b32_e32 v214, 0x80000000, v250
	v_dual_cndmask_b32 v215, v250, v214 :: v_dual_mov_b32 v214, v249
	v_cmp_gt_f64_e32 vcc_lo, 0, v[251:252]
	v_dual_cndmask_b32 v217, v252, v216 :: v_dual_mov_b32 v216, v251
	s_delay_alu instid0(VALU_DEP_1) | instskip(NEXT) | instid1(VALU_DEP_1)
	v_add_f64 v[214:215], v[214:215], v[216:217]
	v_cmp_lt_f64_e32 vcc_lo, v[212:213], v[214:215]
	v_dual_cndmask_b32 v233, v233, v250 :: v_dual_cndmask_b32 v232, v232, v249
	v_dual_cndmask_b32 v235, v235, v252 :: v_dual_cndmask_b32 v234, v234, v251
	v_cndmask_b32_e64 v240, v240, s2, vcc_lo
	s_add_i32 s2, s2, 1
	s_delay_alu instid0(SALU_CYCLE_1)
	s_cmp_lg_u32 s12, s2
	s_cbranch_scc1 .LBB114_1198
.LBB114_1199:
	s_set_inst_prefetch_distance 0x2
	s_waitcnt lgkmcnt(0)
	v_cmp_eq_f64_e32 vcc_lo, 0, v[232:233]
	v_cmp_eq_f64_e64 s2, 0, v[234:235]
	s_delay_alu instid0(VALU_DEP_1) | instskip(NEXT) | instid1(SALU_CYCLE_1)
	s_and_b32 s2, vcc_lo, s2
	s_and_saveexec_b32 s3, s2
	s_delay_alu instid0(SALU_CYCLE_1)
	s_xor_b32 s2, exec_lo, s3
; %bb.1200:
	v_cmp_ne_u32_e32 vcc_lo, 0, v245
	v_cndmask_b32_e32 v245, 58, v245, vcc_lo
; %bb.1201:
	s_and_not1_saveexec_b32 s3, s2
	s_cbranch_execz .LBB114_1207
; %bb.1202:
	v_cmp_gt_f64_e32 vcc_lo, 0, v[232:233]
	v_cmp_gt_f64_e64 s2, 0, v[234:235]
	v_xor_b32_e32 v212, 0x80000000, v233
	v_xor_b32_e32 v214, 0x80000000, v235
	s_delay_alu instid0(VALU_DEP_2) | instskip(NEXT) | instid1(VALU_DEP_2)
	v_cndmask_b32_e32 v213, v233, v212, vcc_lo
	v_cndmask_b32_e64 v215, v235, v214, s2
	v_cndmask_b32_e32 v212, v232, v232, vcc_lo
	v_cndmask_b32_e64 v214, v234, v234, s2
	s_mov_b32 s2, exec_lo
	s_delay_alu instid0(VALU_DEP_1)
	v_cmpx_ngt_f64_e32 v[212:213], v[214:215]
	s_xor_b32 s2, exec_lo, s2
	s_cbranch_execz .LBB114_1204
; %bb.1203:
	v_div_scale_f64 v[212:213], null, v[234:235], v[234:235], v[232:233]
	v_div_scale_f64 v[218:219], vcc_lo, v[232:233], v[234:235], v[232:233]
	s_delay_alu instid0(VALU_DEP_2) | instskip(SKIP_2) | instid1(VALU_DEP_1)
	v_rcp_f64_e32 v[214:215], v[212:213]
	s_waitcnt_depctr 0xfff
	v_fma_f64 v[216:217], -v[212:213], v[214:215], 1.0
	v_fma_f64 v[214:215], v[214:215], v[216:217], v[214:215]
	s_delay_alu instid0(VALU_DEP_1) | instskip(NEXT) | instid1(VALU_DEP_1)
	v_fma_f64 v[216:217], -v[212:213], v[214:215], 1.0
	v_fma_f64 v[214:215], v[214:215], v[216:217], v[214:215]
	s_delay_alu instid0(VALU_DEP_1) | instskip(NEXT) | instid1(VALU_DEP_1)
	v_mul_f64 v[216:217], v[218:219], v[214:215]
	v_fma_f64 v[212:213], -v[212:213], v[216:217], v[218:219]
	s_delay_alu instid0(VALU_DEP_1) | instskip(NEXT) | instid1(VALU_DEP_1)
	v_div_fmas_f64 v[212:213], v[212:213], v[214:215], v[216:217]
	v_div_fixup_f64 v[212:213], v[212:213], v[234:235], v[232:233]
	s_delay_alu instid0(VALU_DEP_1) | instskip(NEXT) | instid1(VALU_DEP_1)
	v_fma_f64 v[214:215], v[232:233], v[212:213], v[234:235]
	v_div_scale_f64 v[216:217], null, v[214:215], v[214:215], 1.0
	s_delay_alu instid0(VALU_DEP_1) | instskip(SKIP_2) | instid1(VALU_DEP_1)
	v_rcp_f64_e32 v[218:219], v[216:217]
	s_waitcnt_depctr 0xfff
	v_fma_f64 v[220:221], -v[216:217], v[218:219], 1.0
	v_fma_f64 v[218:219], v[218:219], v[220:221], v[218:219]
	s_delay_alu instid0(VALU_DEP_1) | instskip(NEXT) | instid1(VALU_DEP_1)
	v_fma_f64 v[220:221], -v[216:217], v[218:219], 1.0
	v_fma_f64 v[218:219], v[218:219], v[220:221], v[218:219]
	v_div_scale_f64 v[220:221], vcc_lo, 1.0, v[214:215], 1.0
	s_delay_alu instid0(VALU_DEP_1) | instskip(NEXT) | instid1(VALU_DEP_1)
	v_mul_f64 v[222:223], v[220:221], v[218:219]
	v_fma_f64 v[216:217], -v[216:217], v[222:223], v[220:221]
	s_delay_alu instid0(VALU_DEP_1) | instskip(NEXT) | instid1(VALU_DEP_1)
	v_div_fmas_f64 v[216:217], v[216:217], v[218:219], v[222:223]
	v_div_fixup_f64 v[234:235], v[216:217], v[214:215], 1.0
	s_delay_alu instid0(VALU_DEP_1)
	v_mul_f64 v[232:233], v[212:213], v[234:235]
	v_xor_b32_e32 v235, 0x80000000, v235
.LBB114_1204:
	s_and_not1_saveexec_b32 s2, s2
	s_cbranch_execz .LBB114_1206
; %bb.1205:
	s_delay_alu instid0(VALU_DEP_1) | instskip(SKIP_1) | instid1(VALU_DEP_2)
	v_div_scale_f64 v[212:213], null, v[232:233], v[232:233], v[234:235]
	v_div_scale_f64 v[218:219], vcc_lo, v[234:235], v[232:233], v[234:235]
	v_rcp_f64_e32 v[214:215], v[212:213]
	s_waitcnt_depctr 0xfff
	v_fma_f64 v[216:217], -v[212:213], v[214:215], 1.0
	s_delay_alu instid0(VALU_DEP_1) | instskip(NEXT) | instid1(VALU_DEP_1)
	v_fma_f64 v[214:215], v[214:215], v[216:217], v[214:215]
	v_fma_f64 v[216:217], -v[212:213], v[214:215], 1.0
	s_delay_alu instid0(VALU_DEP_1) | instskip(NEXT) | instid1(VALU_DEP_1)
	v_fma_f64 v[214:215], v[214:215], v[216:217], v[214:215]
	v_mul_f64 v[216:217], v[218:219], v[214:215]
	s_delay_alu instid0(VALU_DEP_1) | instskip(NEXT) | instid1(VALU_DEP_1)
	v_fma_f64 v[212:213], -v[212:213], v[216:217], v[218:219]
	v_div_fmas_f64 v[212:213], v[212:213], v[214:215], v[216:217]
	s_delay_alu instid0(VALU_DEP_1) | instskip(NEXT) | instid1(VALU_DEP_1)
	v_div_fixup_f64 v[212:213], v[212:213], v[232:233], v[234:235]
	v_fma_f64 v[214:215], v[234:235], v[212:213], v[232:233]
	s_delay_alu instid0(VALU_DEP_1) | instskip(NEXT) | instid1(VALU_DEP_1)
	v_div_scale_f64 v[216:217], null, v[214:215], v[214:215], 1.0
	v_rcp_f64_e32 v[218:219], v[216:217]
	s_waitcnt_depctr 0xfff
	v_fma_f64 v[220:221], -v[216:217], v[218:219], 1.0
	s_delay_alu instid0(VALU_DEP_1) | instskip(NEXT) | instid1(VALU_DEP_1)
	v_fma_f64 v[218:219], v[218:219], v[220:221], v[218:219]
	v_fma_f64 v[220:221], -v[216:217], v[218:219], 1.0
	s_delay_alu instid0(VALU_DEP_1) | instskip(SKIP_1) | instid1(VALU_DEP_1)
	v_fma_f64 v[218:219], v[218:219], v[220:221], v[218:219]
	v_div_scale_f64 v[220:221], vcc_lo, 1.0, v[214:215], 1.0
	v_mul_f64 v[222:223], v[220:221], v[218:219]
	s_delay_alu instid0(VALU_DEP_1) | instskip(NEXT) | instid1(VALU_DEP_1)
	v_fma_f64 v[216:217], -v[216:217], v[222:223], v[220:221]
	v_div_fmas_f64 v[216:217], v[216:217], v[218:219], v[222:223]
	s_delay_alu instid0(VALU_DEP_1) | instskip(NEXT) | instid1(VALU_DEP_1)
	v_div_fixup_f64 v[232:233], v[216:217], v[214:215], 1.0
	v_mul_f64 v[234:235], v[212:213], -v[232:233]
.LBB114_1206:
	s_or_b32 exec_lo, exec_lo, s2
.LBB114_1207:
	s_delay_alu instid0(SALU_CYCLE_1)
	s_or_b32 exec_lo, exec_lo, s3
	v_mov_b32_e32 v241, 57
	s_mov_b32 s2, exec_lo
	v_cmpx_ne_u32_e64 v248, v240
	s_cbranch_execz .LBB114_1213
; %bb.1208:
	s_mov_b32 s3, exec_lo
	v_cmpx_eq_u32_e32 57, v248
	s_cbranch_execz .LBB114_1212
; %bb.1209:
	v_cmp_ne_u32_e32 vcc_lo, 57, v240
	s_xor_b32 s4, s5, -1
	s_delay_alu instid0(SALU_CYCLE_1) | instskip(NEXT) | instid1(SALU_CYCLE_1)
	s_and_b32 s5, s4, vcc_lo
	s_and_saveexec_b32 s4, s5
	s_cbranch_execz .LBB114_1211
; %bb.1210:
	scratch_load_b64 v[208:209], off, off   ; 8-byte Folded Reload
	v_ashrrev_i32_e32 v241, 31, v240
	s_delay_alu instid0(VALU_DEP_1) | instskip(SKIP_1) | instid1(VALU_DEP_1)
	v_lshlrev_b64 v[212:213], 2, v[240:241]
	s_waitcnt vmcnt(0)
	v_add_co_u32 v212, vcc_lo, v208, v212
	s_delay_alu instid0(VALU_DEP_2)
	v_add_co_ci_u32_e32 v213, vcc_lo, v209, v213, vcc_lo
	s_clause 0x1
	flat_load_b32 v214, v[212:213]
	flat_load_b32 v215, v[208:209] offset:228
	s_waitcnt vmcnt(1) lgkmcnt(1)
	flat_store_b32 v[208:209], v214 offset:228
	s_waitcnt vmcnt(0) lgkmcnt(1)
	flat_store_b32 v[212:213], v215
.LBB114_1211:
	s_or_b32 exec_lo, exec_lo, s4
	v_mov_b32_e32 v248, v240
	v_mov_b32_e32 v236, v240
.LBB114_1212:
	s_or_b32 exec_lo, exec_lo, s3
	s_delay_alu instid0(VALU_DEP_2)
	v_mov_b32_e32 v241, v248
.LBB114_1213:
	s_or_b32 exec_lo, exec_lo, s2
	s_delay_alu instid0(SALU_CYCLE_1)
	s_mov_b32 s2, exec_lo
	s_waitcnt lgkmcnt(0)
	s_waitcnt_vscnt null, 0x0
	s_barrier
	buffer_gl0_inv
	v_cmpx_lt_i32_e32 57, v241
; %bb.1214:
	v_mul_f64 v[212:213], v[234:235], v[2:3]
	v_mul_f64 v[2:3], v[232:233], v[2:3]
	s_delay_alu instid0(VALU_DEP_2) | instskip(NEXT) | instid1(VALU_DEP_2)
	v_fma_f64 v[212:213], v[232:233], v[0:1], -v[212:213]
	v_fma_f64 v[2:3], v[234:235], v[0:1], v[2:3]
	s_delay_alu instid0(VALU_DEP_2)
	v_dual_mov_b32 v0, v212 :: v_dual_mov_b32 v1, v213
; %bb.1215:
	s_or_b32 exec_lo, exec_lo, s2
	s_load_b256 s[0:7], s[0:1], 0x28
	v_ashrrev_i32_e32 v242, 31, v241
	s_mov_b32 s9, exec_lo
	s_waitcnt lgkmcnt(0)
	s_barrier
	buffer_gl0_inv
	v_cmpx_gt_i32_e32 58, v241
	s_cbranch_execz .LBB114_1217
; %bb.1216:
	v_mul_lo_u32 v214, v255, s4
	v_mul_lo_u32 v215, v254, s5
	v_mad_u64_u32 v[212:213], null, v254, s4, 0
	s_lshl_b64 s[2:3], s[2:3], 2
	s_delay_alu instid0(SALU_CYCLE_1) | instskip(SKIP_1) | instid1(VALU_DEP_1)
	s_add_u32 s0, s2, s0
	s_addc_u32 s1, s3, s1
	v_add3_u32 v213, v213, v215, v214
	v_lshlrev_b64 v[214:215], 2, v[241:242]
	s_delay_alu instid0(VALU_DEP_2) | instskip(NEXT) | instid1(VALU_DEP_1)
	v_lshlrev_b64 v[212:213], 2, v[212:213]
	v_add_co_u32 v212, vcc_lo, s0, v212
	s_delay_alu instid0(VALU_DEP_2) | instskip(NEXT) | instid1(VALU_DEP_2)
	v_add_co_ci_u32_e32 v213, vcc_lo, s1, v213, vcc_lo
	v_add_co_u32 v212, vcc_lo, v212, v214
	s_delay_alu instid0(VALU_DEP_2)
	v_add_co_ci_u32_e32 v213, vcc_lo, v213, v215, vcc_lo
	v_add3_u32 v214, v236, s13, 1
	global_store_b32 v[212:213], v214, off
.LBB114_1217:
	s_or_b32 exec_lo, exec_lo, s9
	s_delay_alu instid0(SALU_CYCLE_1)
	s_mov_b32 s1, exec_lo
	v_cmpx_eq_u32_e32 0, v241
	s_cbranch_execz .LBB114_1220
; %bb.1218:
	v_lshlrev_b64 v[212:213], 2, v[254:255]
	v_cmp_lt_i32_e64 s0, 0, v245
	s_delay_alu instid0(VALU_DEP_2) | instskip(NEXT) | instid1(VALU_DEP_3)
	v_add_co_u32 v232, vcc_lo, s6, v212
	v_add_co_ci_u32_e32 v233, vcc_lo, s7, v213, vcc_lo
	global_load_b32 v212, v[232:233], off
	s_waitcnt vmcnt(0)
	v_cmp_eq_u32_e32 vcc_lo, 0, v212
	s_and_b32 s0, vcc_lo, s0
	s_delay_alu instid0(SALU_CYCLE_1)
	s_and_b32 exec_lo, exec_lo, s0
	s_cbranch_execz .LBB114_1220
; %bb.1219:
	v_add_nc_u32_e32 v212, s13, v245
	global_store_b32 v[232:233], v212, off
.LBB114_1220:
	s_or_b32 exec_lo, exec_lo, s1
	scratch_load_b128 v[208:211], off, off offset:56 ; 16-byte Folded Reload
	v_lshlrev_b64 v[214:215], 4, v[241:242]
	v_add3_u32 v212, s8, s8, v241
	s_delay_alu instid0(VALU_DEP_1) | instskip(NEXT) | instid1(VALU_DEP_3)
	v_ashrrev_i32_e32 v213, 31, v212
	v_add_co_u32 v214, vcc_lo, v247, v214
	s_delay_alu instid0(VALU_DEP_4) | instskip(SKIP_1) | instid1(VALU_DEP_4)
	v_add_co_ci_u32_e32 v215, vcc_lo, v244, v215, vcc_lo
	v_add_nc_u32_e32 v216, s8, v212
	v_lshlrev_b64 v[212:213], 4, v[212:213]
	s_delay_alu instid0(VALU_DEP_2) | instskip(SKIP_1) | instid1(VALU_DEP_2)
	v_add_nc_u32_e32 v218, s8, v216
	v_ashrrev_i32_e32 v217, 31, v216
	v_add_nc_u32_e32 v220, s8, v218
	v_ashrrev_i32_e32 v219, 31, v218
	s_delay_alu instid0(VALU_DEP_3) | instskip(NEXT) | instid1(VALU_DEP_3)
	v_lshlrev_b64 v[216:217], 4, v[216:217]
	v_ashrrev_i32_e32 v221, 31, v220
	s_waitcnt vmcnt(0)
	global_store_b128 v[214:215], v[208:211], off
	scratch_load_b128 v[208:211], off, off offset:40 ; 16-byte Folded Reload
	v_add_co_u32 v214, vcc_lo, v214, s10
	v_add_co_ci_u32_e32 v215, vcc_lo, s11, v215, vcc_lo
	v_add_co_u32 v212, vcc_lo, v247, v212
	v_add_co_ci_u32_e32 v213, vcc_lo, v244, v213, vcc_lo
	s_waitcnt vmcnt(0)
	global_store_b128 v[214:215], v[208:211], off
	scratch_load_b128 v[208:211], off, off offset:24 ; 16-byte Folded Reload
	v_add_co_u32 v214, vcc_lo, v247, v216
	v_add_co_ci_u32_e32 v215, vcc_lo, v244, v217, vcc_lo
	v_lshlrev_b64 v[216:217], 4, v[220:221]
	s_waitcnt vmcnt(0)
	global_store_b128 v[212:213], v[208:211], off
	scratch_load_b128 v[208:211], off, off offset:8 ; 16-byte Folded Reload
	v_lshlrev_b64 v[212:213], 4, v[218:219]
	v_add_nc_u32_e32 v218, s8, v220
	s_delay_alu instid0(VALU_DEP_1) | instskip(SKIP_1) | instid1(VALU_DEP_4)
	v_ashrrev_i32_e32 v219, 31, v218
	v_add_nc_u32_e32 v220, s8, v218
	v_add_co_u32 v212, vcc_lo, v247, v212
	v_add_co_ci_u32_e32 v213, vcc_lo, v244, v213, vcc_lo
	v_add_co_u32 v216, vcc_lo, v247, v216
	s_delay_alu instid0(VALU_DEP_4)
	v_ashrrev_i32_e32 v221, 31, v220
	v_add_co_ci_u32_e32 v217, vcc_lo, v244, v217, vcc_lo
	s_waitcnt vmcnt(0)
	global_store_b128 v[214:215], v[208:211], off
	v_lshlrev_b64 v[214:215], 4, v[218:219]
	v_add_nc_u32_e32 v210, s8, v220
	s_clause 0x1
	global_store_b128 v[212:213], v[4:7], off
	global_store_b128 v[216:217], v[228:231], off
	v_lshlrev_b64 v[208:209], 4, v[220:221]
	v_add_co_u32 v212, vcc_lo, v247, v214
	v_add_nc_u32_e32 v214, s8, v210
	v_ashrrev_i32_e32 v211, 31, v210
	v_add_co_ci_u32_e32 v213, vcc_lo, v244, v215, vcc_lo
	v_add_co_u32 v208, vcc_lo, v247, v208
	s_delay_alu instid0(VALU_DEP_4) | instskip(SKIP_3) | instid1(VALU_DEP_4)
	v_add_nc_u32_e32 v216, s8, v214
	v_ashrrev_i32_e32 v215, 31, v214
	v_add_co_ci_u32_e32 v209, vcc_lo, v244, v209, vcc_lo
	v_lshlrev_b64 v[210:211], 4, v[210:211]
	v_ashrrev_i32_e32 v217, 31, v216
	s_clause 0x1
	global_store_b128 v[212:213], v[204:207], off
	global_store_b128 v[208:209], v[200:203], off
	v_lshlrev_b64 v[200:201], 4, v[214:215]
	v_add_nc_u32_e32 v206, s8, v216
	v_add_co_u32 v202, vcc_lo, v247, v210
	v_lshlrev_b64 v[204:205], 4, v[216:217]
	v_add_co_ci_u32_e32 v203, vcc_lo, v244, v211, vcc_lo
	v_add_co_u32 v200, vcc_lo, v247, v200
	v_add_co_ci_u32_e32 v201, vcc_lo, v244, v201, vcc_lo
	s_delay_alu instid0(VALU_DEP_4)
	v_add_co_u32 v204, vcc_lo, v247, v204
	v_add_nc_u32_e32 v208, s8, v206
	v_add_co_ci_u32_e32 v205, vcc_lo, v244, v205, vcc_lo
	v_ashrrev_i32_e32 v207, 31, v206
	global_store_b128 v[202:203], v[196:199], off
	v_ashrrev_i32_e32 v209, 31, v208
	s_clause 0x1
	global_store_b128 v[200:201], v[192:195], off
	global_store_b128 v[204:205], v[188:191], off
	v_add_nc_u32_e32 v190, s8, v208
	v_lshlrev_b64 v[196:197], 4, v[206:207]
	v_lshlrev_b64 v[188:189], 4, v[208:209]
	s_delay_alu instid0(VALU_DEP_3) | instskip(SKIP_1) | instid1(VALU_DEP_4)
	v_add_nc_u32_e32 v194, s8, v190
	v_ashrrev_i32_e32 v191, 31, v190
	v_add_co_u32 v192, vcc_lo, v247, v196
	v_add_co_ci_u32_e32 v193, vcc_lo, v244, v197, vcc_lo
	s_delay_alu instid0(VALU_DEP_4)
	v_add_nc_u32_e32 v196, s8, v194
	v_add_co_u32 v188, vcc_lo, v247, v188
	v_ashrrev_i32_e32 v195, 31, v194
	v_add_co_ci_u32_e32 v189, vcc_lo, v244, v189, vcc_lo
	v_lshlrev_b64 v[190:191], 4, v[190:191]
	v_ashrrev_i32_e32 v197, 31, v196
	s_clause 0x1
	global_store_b128 v[192:193], v[184:187], off
	global_store_b128 v[188:189], v[180:183], off
	v_lshlrev_b64 v[180:181], 4, v[194:195]
	v_add_nc_u32_e32 v186, s8, v196
	v_add_co_u32 v182, vcc_lo, v247, v190
	v_lshlrev_b64 v[184:185], 4, v[196:197]
	v_add_co_ci_u32_e32 v183, vcc_lo, v244, v191, vcc_lo
	v_add_co_u32 v180, vcc_lo, v247, v180
	v_add_co_ci_u32_e32 v181, vcc_lo, v244, v181, vcc_lo
	s_delay_alu instid0(VALU_DEP_4)
	v_add_co_u32 v184, vcc_lo, v247, v184
	v_add_nc_u32_e32 v188, s8, v186
	v_add_co_ci_u32_e32 v185, vcc_lo, v244, v185, vcc_lo
	v_ashrrev_i32_e32 v187, 31, v186
	global_store_b128 v[182:183], v[176:179], off
	v_ashrrev_i32_e32 v189, 31, v188
	s_clause 0x1
	global_store_b128 v[180:181], v[172:175], off
	global_store_b128 v[184:185], v[168:171], off
	v_add_nc_u32_e32 v170, s8, v188
	v_lshlrev_b64 v[176:177], 4, v[186:187]
	v_lshlrev_b64 v[168:169], 4, v[188:189]
	s_delay_alu instid0(VALU_DEP_3) | instskip(SKIP_1) | instid1(VALU_DEP_4)
	v_add_nc_u32_e32 v174, s8, v170
	v_ashrrev_i32_e32 v171, 31, v170
	v_add_co_u32 v172, vcc_lo, v247, v176
	v_add_co_ci_u32_e32 v173, vcc_lo, v244, v177, vcc_lo
	s_delay_alu instid0(VALU_DEP_4)
	v_add_nc_u32_e32 v176, s8, v174
	v_add_co_u32 v168, vcc_lo, v247, v168
	;; [unrolled: 35-line block ×8, first 2 shown]
	v_ashrrev_i32_e32 v55, 31, v54
	v_add_co_ci_u32_e32 v49, vcc_lo, v244, v49, vcc_lo
	v_lshlrev_b64 v[50:51], 4, v[50:51]
	v_ashrrev_i32_e32 v57, 31, v56
	s_clause 0x1
	global_store_b128 v[52:53], v[44:47], off
	global_store_b128 v[48:49], v[40:43], off
	v_lshlrev_b64 v[40:41], 4, v[54:55]
	v_add_nc_u32_e32 v46, s8, v56
	v_add_co_u32 v42, vcc_lo, v247, v50
	v_lshlrev_b64 v[44:45], 4, v[56:57]
	v_add_co_ci_u32_e32 v43, vcc_lo, v244, v51, vcc_lo
	v_add_co_u32 v40, vcc_lo, v247, v40
	v_add_nc_u32_e32 v48, s8, v46
	v_add_co_ci_u32_e32 v41, vcc_lo, v244, v41, vcc_lo
	v_ashrrev_i32_e32 v47, 31, v46
	v_add_co_u32 v44, vcc_lo, v247, v44
	v_add_co_ci_u32_e32 v45, vcc_lo, v244, v45, vcc_lo
	v_ashrrev_i32_e32 v49, 31, v48
	global_store_b128 v[42:43], v[36:39], off
	v_lshlrev_b64 v[36:37], 4, v[46:47]
	s_clause 0x1
	global_store_b128 v[40:41], v[32:35], off
	global_store_b128 v[44:45], v[28:31], off
	v_add_nc_u32_e32 v30, s8, v48
	v_lshlrev_b64 v[28:29], 4, v[48:49]
	v_add_co_u32 v32, vcc_lo, v247, v36
	s_delay_alu instid0(VALU_DEP_3) | instskip(SKIP_1) | instid1(VALU_DEP_4)
	v_add_nc_u32_e32 v34, s8, v30
	v_add_co_ci_u32_e32 v33, vcc_lo, v244, v37, vcc_lo
	v_add_co_u32 v28, vcc_lo, v247, v28
	v_add_co_ci_u32_e32 v29, vcc_lo, v244, v29, vcc_lo
	s_delay_alu instid0(VALU_DEP_4)
	v_add_nc_u32_e32 v36, s8, v34
	v_ashrrev_i32_e32 v31, 31, v30
	s_clause 0x1
	global_store_b128 v[32:33], v[24:27], off
	global_store_b128 v[28:29], v[20:23], off
	v_ashrrev_i32_e32 v35, 31, v34
	v_add_nc_u32_e32 v22, s8, v36
	v_lshlrev_b64 v[24:25], 4, v[30:31]
	v_ashrrev_i32_e32 v37, 31, v36
	s_delay_alu instid0(VALU_DEP_4) | instskip(NEXT) | instid1(VALU_DEP_4)
	v_lshlrev_b64 v[20:21], 4, v[34:35]
	v_add_nc_u32_e32 v28, s8, v22
	v_ashrrev_i32_e32 v23, 31, v22
	v_add_co_u32 v24, vcc_lo, v247, v24
	v_lshlrev_b64 v[26:27], 4, v[36:37]
	s_delay_alu instid0(VALU_DEP_4)
	v_ashrrev_i32_e32 v29, 31, v28
	v_add_co_ci_u32_e32 v25, vcc_lo, v244, v25, vcc_lo
	v_add_co_u32 v20, vcc_lo, v247, v20
	v_lshlrev_b64 v[22:23], 4, v[22:23]
	v_add_co_ci_u32_e32 v21, vcc_lo, v244, v21, vcc_lo
	v_add_co_u32 v26, vcc_lo, v247, v26
	v_lshlrev_b64 v[28:29], 4, v[28:29]
	v_add_co_ci_u32_e32 v27, vcc_lo, v244, v27, vcc_lo
	v_add_co_u32 v22, vcc_lo, v247, v22
	v_add_co_ci_u32_e32 v23, vcc_lo, v244, v23, vcc_lo
	s_delay_alu instid0(VALU_DEP_4)
	v_add_co_u32 v28, vcc_lo, v247, v28
	v_add_co_ci_u32_e32 v29, vcc_lo, v244, v29, vcc_lo
	s_clause 0x4
	global_store_b128 v[24:25], v[16:19], off
	global_store_b128 v[20:21], v[12:15], off
	;; [unrolled: 1-line block ×5, first 2 shown]
.LBB114_1221:
	s_nop 0
	s_sendmsg sendmsg(MSG_DEALLOC_VGPRS)
	s_endpgm
	.section	.rodata,"a",@progbits
	.p2align	6, 0x0
	.amdhsa_kernel _ZN9rocsolver6v33100L18getf2_small_kernelILi58E19rocblas_complex_numIdEiiPKPS3_EEvT1_T3_lS7_lPS7_llPT2_S7_S7_S9_l
		.amdhsa_group_segment_fixed_size 0
		.amdhsa_private_segment_fixed_size 100
		.amdhsa_kernarg_size 352
		.amdhsa_user_sgpr_count 14
		.amdhsa_user_sgpr_dispatch_ptr 0
		.amdhsa_user_sgpr_queue_ptr 0
		.amdhsa_user_sgpr_kernarg_segment_ptr 1
		.amdhsa_user_sgpr_dispatch_id 0
		.amdhsa_user_sgpr_private_segment_size 0
		.amdhsa_wavefront_size32 1
		.amdhsa_uses_dynamic_stack 0
		.amdhsa_enable_private_segment 1
		.amdhsa_system_sgpr_workgroup_id_x 1
		.amdhsa_system_sgpr_workgroup_id_y 1
		.amdhsa_system_sgpr_workgroup_id_z 0
		.amdhsa_system_sgpr_workgroup_info 0
		.amdhsa_system_vgpr_workitem_id 1
		.amdhsa_next_free_vgpr 256
		.amdhsa_next_free_sgpr 18
		.amdhsa_reserve_vcc 1
		.amdhsa_float_round_mode_32 0
		.amdhsa_float_round_mode_16_64 0
		.amdhsa_float_denorm_mode_32 3
		.amdhsa_float_denorm_mode_16_64 3
		.amdhsa_dx10_clamp 1
		.amdhsa_ieee_mode 1
		.amdhsa_fp16_overflow 0
		.amdhsa_workgroup_processor_mode 1
		.amdhsa_memory_ordered 1
		.amdhsa_forward_progress 0
		.amdhsa_shared_vgpr_count 0
		.amdhsa_exception_fp_ieee_invalid_op 0
		.amdhsa_exception_fp_denorm_src 0
		.amdhsa_exception_fp_ieee_div_zero 0
		.amdhsa_exception_fp_ieee_overflow 0
		.amdhsa_exception_fp_ieee_underflow 0
		.amdhsa_exception_fp_ieee_inexact 0
		.amdhsa_exception_int_div_zero 0
	.end_amdhsa_kernel
	.section	.text._ZN9rocsolver6v33100L18getf2_small_kernelILi58E19rocblas_complex_numIdEiiPKPS3_EEvT1_T3_lS7_lPS7_llPT2_S7_S7_S9_l,"axG",@progbits,_ZN9rocsolver6v33100L18getf2_small_kernelILi58E19rocblas_complex_numIdEiiPKPS3_EEvT1_T3_lS7_lPS7_llPT2_S7_S7_S9_l,comdat
.Lfunc_end114:
	.size	_ZN9rocsolver6v33100L18getf2_small_kernelILi58E19rocblas_complex_numIdEiiPKPS3_EEvT1_T3_lS7_lPS7_llPT2_S7_S7_S9_l, .Lfunc_end114-_ZN9rocsolver6v33100L18getf2_small_kernelILi58E19rocblas_complex_numIdEiiPKPS3_EEvT1_T3_lS7_lPS7_llPT2_S7_S7_S9_l
                                        ; -- End function
	.section	.AMDGPU.csdata,"",@progbits
; Kernel info:
; codeLenInByte = 191656
; NumSgprs: 20
; NumVgprs: 256
; ScratchSize: 100
; MemoryBound: 0
; FloatMode: 240
; IeeeMode: 1
; LDSByteSize: 0 bytes/workgroup (compile time only)
; SGPRBlocks: 2
; VGPRBlocks: 31
; NumSGPRsForWavesPerEU: 20
; NumVGPRsForWavesPerEU: 256
; Occupancy: 5
; WaveLimiterHint : 1
; COMPUTE_PGM_RSRC2:SCRATCH_EN: 1
; COMPUTE_PGM_RSRC2:USER_SGPR: 14
; COMPUTE_PGM_RSRC2:TRAP_HANDLER: 0
; COMPUTE_PGM_RSRC2:TGID_X_EN: 1
; COMPUTE_PGM_RSRC2:TGID_Y_EN: 1
; COMPUTE_PGM_RSRC2:TGID_Z_EN: 0
; COMPUTE_PGM_RSRC2:TIDIG_COMP_CNT: 1
	.section	.text._ZN9rocsolver6v33100L23getf2_npvt_small_kernelILi58E19rocblas_complex_numIdEiiPKPS3_EEvT1_T3_lS7_lPT2_S7_S7_,"axG",@progbits,_ZN9rocsolver6v33100L23getf2_npvt_small_kernelILi58E19rocblas_complex_numIdEiiPKPS3_EEvT1_T3_lS7_lPT2_S7_S7_,comdat
	.globl	_ZN9rocsolver6v33100L23getf2_npvt_small_kernelILi58E19rocblas_complex_numIdEiiPKPS3_EEvT1_T3_lS7_lPT2_S7_S7_ ; -- Begin function _ZN9rocsolver6v33100L23getf2_npvt_small_kernelILi58E19rocblas_complex_numIdEiiPKPS3_EEvT1_T3_lS7_lPT2_S7_S7_
	.p2align	8
	.type	_ZN9rocsolver6v33100L23getf2_npvt_small_kernelILi58E19rocblas_complex_numIdEiiPKPS3_EEvT1_T3_lS7_lPT2_S7_S7_,@function
_ZN9rocsolver6v33100L23getf2_npvt_small_kernelILi58E19rocblas_complex_numIdEiiPKPS3_EEvT1_T3_lS7_lPT2_S7_S7_: ; @_ZN9rocsolver6v33100L23getf2_npvt_small_kernelILi58E19rocblas_complex_numIdEiiPKPS3_EEvT1_T3_lS7_lPT2_S7_S7_
; %bb.0:
	s_clause 0x1
	s_load_b32 s2, s[0:1], 0x44
	s_load_b64 s[10:11], s[0:1], 0x30
	v_bfe_u32 v1, v0, 10, 10
	s_waitcnt lgkmcnt(0)
	s_lshr_b32 s8, s2, 16
	s_mov_b32 s2, exec_lo
	s_delay_alu instid0(VALU_DEP_1) | instskip(NEXT) | instid1(VALU_DEP_1)
	v_mad_u64_u32 v[234:235], null, s15, s8, v[1:2]
	v_cmpx_gt_i32_e64 s10, v234
	s_cbranch_execnz .LBB115_1
; %bb.528:
	s_getpc_b64 s[16:17]
.Lpost_getpc23:
	s_add_u32 s16, s16, (.LBB115_527-.Lpost_getpc23)&4294967295
	s_addc_u32 s17, s17, (.LBB115_527-.Lpost_getpc23)>>32
	s_setpc_b64 s[16:17]
.LBB115_1:
	s_clause 0x1
	s_load_b128 s[4:7], s[0:1], 0x8
	s_load_b32 s2, s[0:1], 0x18
	v_ashrrev_i32_e32 v235, 31, v234
	v_and_b32_e32 v105, 0x3ff, v0
	s_mulk_i32 s8, 0x3a0
	v_mad_u32_u24 v214, 0x3a0, v1, 0
	s_delay_alu instid0(VALU_DEP_3) | instskip(SKIP_1) | instid1(VALU_DEP_1)
	v_lshlrev_b64 v[2:3], 3, v[234:235]
	s_waitcnt lgkmcnt(0)
	v_add_co_u32 v2, vcc_lo, s4, v2
	s_delay_alu instid0(VALU_DEP_2)
	v_add_co_ci_u32_e32 v3, vcc_lo, s5, v3, vcc_lo
	v_add3_u32 v4, s2, s2, v105
	s_lshl_b64 s[4:5], s[6:7], 4
	s_ashr_i32 s3, s2, 31
	global_load_b64 v[2:3], v[2:3], off
	v_add_nc_u32_e32 v8, s2, v4
	v_ashrrev_i32_e32 v5, 31, v4
	s_delay_alu instid0(VALU_DEP_2) | instskip(SKIP_1) | instid1(VALU_DEP_3)
	v_add_nc_u32_e32 v13, s2, v8
	v_ashrrev_i32_e32 v9, 31, v8
	v_lshlrev_b64 v[6:7], 4, v[4:5]
	s_delay_alu instid0(VALU_DEP_3) | instskip(SKIP_1) | instid1(VALU_DEP_4)
	v_add_nc_u32_e32 v10, s2, v13
	v_ashrrev_i32_e32 v14, 31, v13
	v_lshlrev_b64 v[8:9], 4, v[8:9]
	s_delay_alu instid0(VALU_DEP_3) | instskip(SKIP_1) | instid1(VALU_DEP_4)
	;; [unrolled: 4-line block ×11, first 2 shown]
	v_add_nc_u32_e32 v32, s2, v28
	v_ashrrev_i32_e32 v29, 31, v28
	v_lshlrev_b64 v[26:27], 4, v[26:27]
	s_delay_alu instid0(VALU_DEP_3) | instskip(NEXT) | instid1(VALU_DEP_3)
	v_add_nc_u32_e32 v39, s2, v32
	v_lshlrev_b64 v[30:31], 4, v[28:29]
	v_ashrrev_i32_e32 v33, 31, v32
	s_delay_alu instid0(VALU_DEP_3) | instskip(SKIP_1) | instid1(VALU_DEP_3)
	v_add_nc_u32_e32 v34, s2, v39
	v_ashrrev_i32_e32 v40, 31, v39
	v_lshlrev_b64 v[32:33], 4, v[32:33]
	s_delay_alu instid0(VALU_DEP_3) | instskip(NEXT) | instid1(VALU_DEP_3)
	v_add_nc_u32_e32 v38, s2, v34
	v_lshlrev_b64 v[28:29], 4, v[39:40]
	v_ashrrev_i32_e32 v35, 31, v34
	s_delay_alu instid0(VALU_DEP_3) | instskip(SKIP_1) | instid1(VALU_DEP_3)
	v_add_nc_u32_e32 v36, s2, v38
	v_ashrrev_i32_e32 v39, 31, v38
	v_lshlrev_b64 v[34:35], 4, v[34:35]
	s_delay_alu instid0(VALU_DEP_3) | instskip(SKIP_1) | instid1(VALU_DEP_4)
	v_add_nc_u32_e32 v47, s2, v36
	v_ashrrev_i32_e32 v37, 31, v36
	v_lshlrev_b64 v[38:39], 4, v[38:39]
	s_delay_alu instid0(VALU_DEP_3) | instskip(SKIP_1) | instid1(VALU_DEP_4)
	v_add_nc_u32_e32 v42, s2, v47
	v_ashrrev_i32_e32 v48, 31, v47
	v_lshlrev_b64 v[40:41], 4, v[36:37]
	s_delay_alu instid0(VALU_DEP_3) | instskip(NEXT) | instid1(VALU_DEP_3)
	v_add_nc_u32_e32 v46, s2, v42
	v_lshlrev_b64 v[36:37], 4, v[47:48]
	v_ashrrev_i32_e32 v43, 31, v42
	s_delay_alu instid0(VALU_DEP_3) | instskip(SKIP_1) | instid1(VALU_DEP_3)
	v_add_nc_u32_e32 v44, s2, v46
	v_ashrrev_i32_e32 v47, 31, v46
	v_lshlrev_b64 v[42:43], 4, v[42:43]
	s_delay_alu instid0(VALU_DEP_3) | instskip(SKIP_1) | instid1(VALU_DEP_4)
	v_add_nc_u32_e32 v50, s2, v44
	v_ashrrev_i32_e32 v45, 31, v44
	v_lshlrev_b64 v[46:47], 4, v[46:47]
	s_delay_alu instid0(VALU_DEP_3) | instskip(SKIP_1) | instid1(VALU_DEP_4)
	;; [unrolled: 4-line block ×3, first 2 shown]
	v_add_nc_u32_e32 v54, s2, v52
	v_ashrrev_i32_e32 v53, 31, v52
	v_lshlrev_b64 v[44:45], 4, v[50:51]
	s_delay_alu instid0(VALU_DEP_3) | instskip(NEXT) | instid1(VALU_DEP_3)
	v_add_nc_u32_e32 v56, s2, v54
	v_lshlrev_b64 v[50:51], 4, v[52:53]
	v_ashrrev_i32_e32 v55, 31, v54
	s_delay_alu instid0(VALU_DEP_3) | instskip(SKIP_1) | instid1(VALU_DEP_3)
	v_add_nc_u32_e32 v58, s2, v56
	v_ashrrev_i32_e32 v57, 31, v56
	v_lshlrev_b64 v[54:55], 4, v[54:55]
	s_delay_alu instid0(VALU_DEP_3) | instskip(SKIP_1) | instid1(VALU_DEP_4)
	v_add_nc_u32_e32 v60, s2, v58
	v_ashrrev_i32_e32 v59, 31, v58
	v_lshlrev_b64 v[56:57], 4, v[56:57]
	s_delay_alu instid0(VALU_DEP_3) | instskip(SKIP_1) | instid1(VALU_DEP_4)
	v_add_nc_u32_e32 v62, s2, v60
	v_ashrrev_i32_e32 v61, 31, v60
	v_lshlrev_b64 v[52:53], 4, v[58:59]
	s_delay_alu instid0(VALU_DEP_3) | instskip(NEXT) | instid1(VALU_DEP_3)
	v_add_nc_u32_e32 v64, s2, v62
	v_lshlrev_b64 v[58:59], 4, v[60:61]
	v_ashrrev_i32_e32 v63, 31, v62
	s_delay_alu instid0(VALU_DEP_3) | instskip(SKIP_1) | instid1(VALU_DEP_3)
	v_add_nc_u32_e32 v66, s2, v64
	v_ashrrev_i32_e32 v65, 31, v64
	v_lshlrev_b64 v[62:63], 4, v[62:63]
	s_delay_alu instid0(VALU_DEP_3) | instskip(SKIP_1) | instid1(VALU_DEP_4)
	v_add_nc_u32_e32 v68, s2, v66
	v_ashrrev_i32_e32 v67, 31, v66
	v_lshlrev_b64 v[64:65], 4, v[64:65]
	s_delay_alu instid0(VALU_DEP_3) | instskip(NEXT) | instid1(VALU_DEP_3)
	v_add_nc_u32_e32 v70, s2, v68
	v_lshlrev_b64 v[60:61], 4, v[66:67]
	v_ashrrev_i32_e32 v69, 31, v68
	s_delay_alu instid0(VALU_DEP_3) | instskip(SKIP_1) | instid1(VALU_DEP_3)
	v_add_nc_u32_e32 v72, s2, v70
	v_ashrrev_i32_e32 v71, 31, v70
	v_lshlrev_b64 v[68:69], 4, v[68:69]
	s_delay_alu instid0(VALU_DEP_3) | instskip(SKIP_1) | instid1(VALU_DEP_4)
	v_add_nc_u32_e32 v74, s2, v72
	v_ashrrev_i32_e32 v73, 31, v72
	v_lshlrev_b64 v[70:71], 4, v[70:71]
	s_delay_alu instid0(VALU_DEP_3) | instskip(SKIP_1) | instid1(VALU_DEP_4)
	v_add_nc_u32_e32 v76, s2, v74
	v_ashrrev_i32_e32 v75, 31, v74
	v_lshlrev_b64 v[72:73], 4, v[72:73]
	s_delay_alu instid0(VALU_DEP_3) | instskip(SKIP_1) | instid1(VALU_DEP_4)
	v_add_nc_u32_e32 v78, s2, v76
	v_ashrrev_i32_e32 v77, 31, v76
	v_lshlrev_b64 v[74:75], 4, v[74:75]
	s_delay_alu instid0(VALU_DEP_3) | instskip(SKIP_1) | instid1(VALU_DEP_4)
	v_add_nc_u32_e32 v80, s2, v78
	v_ashrrev_i32_e32 v79, 31, v78
	v_lshlrev_b64 v[76:77], 4, v[76:77]
	s_delay_alu instid0(VALU_DEP_3) | instskip(SKIP_1) | instid1(VALU_DEP_4)
	v_add_nc_u32_e32 v82, s2, v80
	v_ashrrev_i32_e32 v81, 31, v80
	v_lshlrev_b64 v[78:79], 4, v[78:79]
	s_delay_alu instid0(VALU_DEP_3) | instskip(SKIP_1) | instid1(VALU_DEP_4)
	v_add_nc_u32_e32 v84, s2, v82
	v_ashrrev_i32_e32 v83, 31, v82
	v_lshlrev_b64 v[80:81], 4, v[80:81]
	s_delay_alu instid0(VALU_DEP_3) | instskip(SKIP_1) | instid1(VALU_DEP_4)
	v_add_nc_u32_e32 v86, s2, v84
	v_ashrrev_i32_e32 v85, 31, v84
	v_lshlrev_b64 v[82:83], 4, v[82:83]
	s_delay_alu instid0(VALU_DEP_3) | instskip(SKIP_1) | instid1(VALU_DEP_4)
	v_add_nc_u32_e32 v66, s2, v86
	v_ashrrev_i32_e32 v87, 31, v86
	v_lshlrev_b64 v[84:85], 4, v[84:85]
	s_delay_alu instid0(VALU_DEP_3) | instskip(SKIP_1) | instid1(VALU_DEP_4)
	v_add_nc_u32_e32 v88, s2, v66
	v_ashrrev_i32_e32 v67, 31, v66
	v_lshlrev_b64 v[86:87], 4, v[86:87]
	s_delay_alu instid0(VALU_DEP_3) | instskip(SKIP_1) | instid1(VALU_DEP_4)
	v_add_nc_u32_e32 v90, s2, v88
	v_ashrrev_i32_e32 v89, 31, v88
	v_lshlrev_b64 v[66:67], 4, v[66:67]
	s_delay_alu instid0(VALU_DEP_3) | instskip(SKIP_1) | instid1(VALU_DEP_4)
	v_add_nc_u32_e32 v92, s2, v90
	v_ashrrev_i32_e32 v91, 31, v90
	v_lshlrev_b64 v[88:89], 4, v[88:89]
	s_delay_alu instid0(VALU_DEP_3) | instskip(SKIP_1) | instid1(VALU_DEP_4)
	v_add_nc_u32_e32 v94, s2, v92
	v_ashrrev_i32_e32 v93, 31, v92
	v_lshlrev_b64 v[90:91], 4, v[90:91]
	s_delay_alu instid0(VALU_DEP_3) | instskip(SKIP_1) | instid1(VALU_DEP_4)
	v_add_nc_u32_e32 v96, s2, v94
	v_ashrrev_i32_e32 v95, 31, v94
	v_lshlrev_b64 v[92:93], 4, v[92:93]
	s_delay_alu instid0(VALU_DEP_3) | instskip(SKIP_1) | instid1(VALU_DEP_4)
	v_add_nc_u32_e32 v98, s2, v96
	v_ashrrev_i32_e32 v97, 31, v96
	v_lshlrev_b64 v[94:95], 4, v[94:95]
	s_delay_alu instid0(VALU_DEP_3) | instskip(SKIP_1) | instid1(VALU_DEP_4)
	v_add_nc_u32_e32 v100, s2, v98
	v_ashrrev_i32_e32 v99, 31, v98
	v_lshlrev_b64 v[96:97], 4, v[96:97]
	s_delay_alu instid0(VALU_DEP_3) | instskip(SKIP_1) | instid1(VALU_DEP_4)
	v_ashrrev_i32_e32 v101, 31, v100
	v_add_nc_u32_e32 v102, s2, v100
	v_lshlrev_b64 v[98:99], 4, v[98:99]
	s_delay_alu instid0(VALU_DEP_2) | instskip(SKIP_4) | instid1(VALU_DEP_3)
	v_ashrrev_i32_e32 v103, 31, v102
	s_waitcnt vmcnt(0)
	v_add_co_u32 v0, vcc_lo, v2, s4
	v_add_co_ci_u32_e32 v104, vcc_lo, s5, v3, vcc_lo
	v_lshlrev_b64 v[2:3], 4, v[100:101]
	v_add_co_u32 v152, vcc_lo, v0, v6
	s_delay_alu instid0(VALU_DEP_3)
	v_add_co_ci_u32_e32 v153, vcc_lo, v104, v7, vcc_lo
	v_add_co_u32 v150, vcc_lo, v0, v8
	v_add_co_ci_u32_e32 v151, vcc_lo, v104, v9, vcc_lo
	v_add_co_u32 v148, vcc_lo, v0, v4
	;; [unrolled: 2-line block ×45, first 2 shown]
	v_add_co_ci_u32_e32 v233, vcc_lo, v104, v95, vcc_lo
	v_add_nc_u32_e32 v4, s2, v102
	v_add_co_u32 v10, vcc_lo, v0, v96
	v_add_co_ci_u32_e32 v11, vcc_lo, v104, v97, vcc_lo
	v_add_co_u32 v210, vcc_lo, v0, v98
	v_lshlrev_b64 v[6:7], 4, v[102:103]
	v_add_nc_u32_e32 v8, s2, v4
	v_add_co_ci_u32_e32 v211, vcc_lo, v104, v99, vcc_lo
	v_ashrrev_i32_e32 v5, 31, v4
	v_add_co_u32 v16, vcc_lo, v0, v2
	v_add_co_ci_u32_e32 v17, vcc_lo, v104, v3, vcc_lo
	v_add_co_u32 v14, vcc_lo, v0, v6
	v_add_nc_u32_e32 v6, s2, v8
	v_lshlrev_b64 v[2:3], 4, v[4:5]
	v_ashrrev_i32_e32 v9, 31, v8
	v_add_co_ci_u32_e32 v15, vcc_lo, v104, v7, vcc_lo
	s_delay_alu instid0(VALU_DEP_4) | instskip(NEXT) | instid1(VALU_DEP_3)
	v_ashrrev_i32_e32 v7, 31, v6
	v_lshlrev_b64 v[4:5], 4, v[8:9]
	v_add_co_u32 v20, vcc_lo, v0, v2
	v_add_co_ci_u32_e32 v21, vcc_lo, v104, v3, vcc_lo
	s_delay_alu instid0(VALU_DEP_4) | instskip(NEXT) | instid1(VALU_DEP_4)
	v_lshlrev_b64 v[2:3], 4, v[6:7]
	v_add_co_u32 v204, vcc_lo, v0, v4
	v_add_co_ci_u32_e32 v205, vcc_lo, v104, v5, vcc_lo
	s_delay_alu instid0(VALU_DEP_3) | instskip(SKIP_2) | instid1(VALU_DEP_2)
	v_add_co_u32 v7, vcc_lo, v0, v2
	v_add_nc_u32_e32 v2, s2, v6
	v_add_co_ci_u32_e32 v8, vcc_lo, v104, v3, vcc_lo
	v_ashrrev_i32_e32 v3, 31, v2
	s_delay_alu instid0(VALU_DEP_1) | instskip(SKIP_1) | instid1(VALU_DEP_2)
	v_lshlrev_b64 v[3:4], 4, v[2:3]
	v_add_nc_u32_e32 v2, s2, v2
	v_add_co_u32 v5, vcc_lo, v0, v3
	s_delay_alu instid0(VALU_DEP_2) | instskip(NEXT) | instid1(VALU_DEP_4)
	v_ashrrev_i32_e32 v3, 31, v2
	v_add_co_ci_u32_e32 v6, vcc_lo, v104, v4, vcc_lo
	s_delay_alu instid0(VALU_DEP_2) | instskip(SKIP_2) | instid1(VALU_DEP_2)
	v_lshlrev_b64 v[3:4], 4, v[2:3]
	v_add_nc_u32_e32 v2, s2, v2
	s_lshl_b64 s[2:3], s[2:3], 4
	v_add_co_u32 v208, vcc_lo, v0, v3
	s_delay_alu instid0(VALU_DEP_2) | instskip(NEXT) | instid1(VALU_DEP_4)
	v_ashrrev_i32_e32 v3, 31, v2
	v_add_co_ci_u32_e32 v209, vcc_lo, v104, v4, vcc_lo
	s_delay_alu instid0(VALU_DEP_2) | instskip(NEXT) | instid1(VALU_DEP_1)
	v_lshlrev_b64 v[2:3], 4, v[2:3]
	v_add_co_u32 v212, vcc_lo, v0, v2
	v_lshlrev_b32_e32 v2, 4, v105
	s_delay_alu instid0(VALU_DEP_3) | instskip(NEXT) | instid1(VALU_DEP_2)
	v_add_co_ci_u32_e32 v213, vcc_lo, v104, v3, vcc_lo
	v_add_co_u32 v2, vcc_lo, v0, v2
	v_add_co_ci_u32_e32 v3, vcc_lo, 0, v104, vcc_lo
	v_lshlrev_b32_e32 v0, 4, v1
	s_delay_alu instid0(VALU_DEP_3) | instskip(NEXT) | instid1(VALU_DEP_3)
	v_add_co_u32 v56, vcc_lo, v2, s2
	v_add_co_ci_u32_e32 v57, vcc_lo, s3, v3, vcc_lo
	s_delay_alu instid0(VALU_DEP_3)
	v_add3_u32 v215, 0, s8, v0
	s_clause 0x1
	scratch_store_b32 off, v105, off offset:112
	scratch_store_b64 off, v[2:3], off offset:540
	global_load_b128 v[0:3], v[2:3], off
	v_cmp_ne_u32_e64 s3, 0, v105
	v_cmp_eq_u32_e64 s2, 0, v105
	s_waitcnt vmcnt(0)
	s_clause 0x1
	scratch_store_b128 off, v[0:3], off offset:96
	scratch_store_b64 off, v[56:57], off offset:548
	global_load_b128 v[0:3], v[56:57], off
	s_waitcnt vmcnt(0)
	s_clause 0x1
	scratch_store_b128 off, v[0:3], off offset:80
	scratch_store_b64 off, v[152:153], off offset:532
	global_load_b128 v[0:3], v[152:153], off
	s_waitcnt vmcnt(0)
	s_clause 0x1
	scratch_store_b128 off, v[0:3], off offset:64
	scratch_store_b64 off, v[150:151], off offset:524
	global_load_b128 v[0:3], v[150:151], off
	s_waitcnt vmcnt(0)
	s_clause 0x1
	scratch_store_b128 off, v[0:3], off offset:48
	scratch_store_b64 off, v[148:149], off offset:516
	global_load_b128 v[0:3], v[148:149], off
	s_waitcnt vmcnt(0)
	s_clause 0x1
	scratch_store_b128 off, v[0:3], off offset:32
	scratch_store_b64 off, v[146:147], off offset:508
	global_load_b128 v[0:3], v[146:147], off
	s_waitcnt vmcnt(0)
	s_clause 0x1
	scratch_store_b128 off, v[0:3], off offset:16
	scratch_store_b64 off, v[144:145], off offset:500
	global_load_b128 v[0:3], v[144:145], off
	s_waitcnt vmcnt(0)
	s_clause 0x1f
	scratch_store_b128 off, v[0:3], off
	scratch_store_b64 off, v[142:143], off offset:492
	scratch_store_b64 off, v[140:141], off offset:484
	;; [unrolled: 1-line block ×31, first 2 shown]
	s_clause 0x8
	scratch_store_b64 off, v[34:35], off offset:252
	scratch_store_b64 off, v[32:33], off offset:244
	;; [unrolled: 1-line block ×9, first 2 shown]
	s_clause 0x1f
	global_load_b128 v[200:203], v[142:143], off
	global_load_b128 v[196:199], v[140:141], off
	;; [unrolled: 1-line block ×32, first 2 shown]
	s_clause 0x8
	global_load_b128 v[72:75], v[30:31], off
	global_load_b128 v[68:71], v[28:29], off
	;; [unrolled: 1-line block ×9, first 2 shown]
	scratch_store_b64 off, v[10:11], off offset:116 ; 8-byte Folded Spill
	s_clause 0x2
	global_load_b128 v[36:39], v[10:11], off
	global_load_b128 v[32:35], v[210:211], off
	;; [unrolled: 1-line block ×3, first 2 shown]
	s_clause 0x3
	scratch_store_b64 off, v[14:15], off offset:132
	scratch_store_b64 off, v[7:8], off offset:140
	;; [unrolled: 1-line block ×4, first 2 shown]
	s_clause 0x1
	global_load_b128 v[24:27], v[14:15], off
	global_load_b128 v[0:3], v[212:213], off
	s_clause 0x3
	scratch_store_b64 off, v[20:21], off offset:172
	scratch_store_b64 off, v[5:6], off offset:188
	;; [unrolled: 1-line block ×4, first 2 shown]
	s_clause 0x4
	global_load_b128 v[20:23], v[20:21], off
	global_load_b128 v[12:15], v[7:8], off
	;; [unrolled: 1-line block ×5, first 2 shown]
	v_mov_b32_e32 v209, v215
	s_and_saveexec_b32 s5, s2
	s_cbranch_execz .LBB115_8
; %bb.2:
	scratch_load_b128 v[215:218], off, off offset:96 ; 16-byte Folded Reload
	s_waitcnt vmcnt(0)
	ds_store_2addr_b64 v209, v[215:216], v[217:218] offset1:1
	scratch_load_b128 v[215:218], off, off offset:80 ; 16-byte Folded Reload
	s_waitcnt vmcnt(0)
	ds_store_2addr_b64 v214, v[215:216], v[217:218] offset0:2 offset1:3
	scratch_load_b128 v[215:218], off, off offset:64 ; 16-byte Folded Reload
	s_waitcnt vmcnt(0)
	ds_store_2addr_b64 v214, v[215:216], v[217:218] offset0:4 offset1:5
	scratch_load_b128 v[215:218], off, off offset:48 ; 16-byte Folded Reload
	s_waitcnt vmcnt(0)
	ds_store_2addr_b64 v214, v[215:216], v[217:218] offset0:6 offset1:7
	scratch_load_b128 v[215:218], off, off offset:32 ; 16-byte Folded Reload
	s_waitcnt vmcnt(0)
	ds_store_2addr_b64 v214, v[215:216], v[217:218] offset0:8 offset1:9
	scratch_load_b128 v[215:218], off, off offset:16 ; 16-byte Folded Reload
	s_waitcnt vmcnt(0)
	ds_store_2addr_b64 v214, v[215:216], v[217:218] offset0:10 offset1:11
	scratch_load_b128 v[215:218], off, off  ; 16-byte Folded Reload
	s_waitcnt vmcnt(0)
	ds_store_2addr_b64 v214, v[215:216], v[217:218] offset0:12 offset1:13
	ds_store_2addr_b64 v214, v[200:201], v[202:203] offset0:14 offset1:15
	;; [unrolled: 1-line block ×52, first 2 shown]
	ds_load_2addr_b64 v[216:219], v209 offset1:1
	s_waitcnt lgkmcnt(0)
	v_cmp_neq_f64_e32 vcc_lo, 0, v[216:217]
	v_cmp_neq_f64_e64 s4, 0, v[218:219]
	s_delay_alu instid0(VALU_DEP_1) | instskip(NEXT) | instid1(SALU_CYCLE_1)
	s_or_b32 s4, vcc_lo, s4
	s_and_b32 exec_lo, exec_lo, s4
	s_cbranch_execz .LBB115_8
; %bb.3:
	v_cmp_gt_f64_e32 vcc_lo, 0, v[216:217]
	v_xor_b32_e32 v212, 0x80000000, v217
	v_xor_b32_e32 v215, 0x80000000, v219
	s_delay_alu instid0(VALU_DEP_2) | instskip(SKIP_2) | instid1(VALU_DEP_4)
	v_cndmask_b32_e32 v213, v217, v212, vcc_lo
	v_cndmask_b32_e32 v212, v216, v216, vcc_lo
	v_cmp_gt_f64_e32 vcc_lo, 0, v[218:219]
	v_dual_cndmask_b32 v221, v219, v215 :: v_dual_cndmask_b32 v220, v218, v218
	s_delay_alu instid0(VALU_DEP_1) | instskip(SKIP_1) | instid1(SALU_CYCLE_1)
	v_cmp_ngt_f64_e32 vcc_lo, v[212:213], v[220:221]
                                        ; implicit-def: $vgpr212_vgpr213
	s_and_saveexec_b32 s4, vcc_lo
	s_xor_b32 s4, exec_lo, s4
                                        ; implicit-def: $vgpr220_vgpr221_vgpr222_vgpr223
	s_cbranch_execz .LBB115_5
; %bb.4:
	v_div_scale_f64 v[212:213], null, v[218:219], v[218:219], v[216:217]
	v_div_scale_f64 v[224:225], vcc_lo, v[216:217], v[218:219], v[216:217]
	s_delay_alu instid0(VALU_DEP_2) | instskip(SKIP_2) | instid1(VALU_DEP_1)
	v_rcp_f64_e32 v[220:221], v[212:213]
	s_waitcnt_depctr 0xfff
	v_fma_f64 v[222:223], -v[212:213], v[220:221], 1.0
	v_fma_f64 v[220:221], v[220:221], v[222:223], v[220:221]
	s_delay_alu instid0(VALU_DEP_1) | instskip(NEXT) | instid1(VALU_DEP_1)
	v_fma_f64 v[222:223], -v[212:213], v[220:221], 1.0
	v_fma_f64 v[220:221], v[220:221], v[222:223], v[220:221]
	s_delay_alu instid0(VALU_DEP_1) | instskip(NEXT) | instid1(VALU_DEP_1)
	v_mul_f64 v[222:223], v[224:225], v[220:221]
	v_fma_f64 v[212:213], -v[212:213], v[222:223], v[224:225]
	s_delay_alu instid0(VALU_DEP_1) | instskip(NEXT) | instid1(VALU_DEP_1)
	v_div_fmas_f64 v[212:213], v[212:213], v[220:221], v[222:223]
	v_div_fixup_f64 v[212:213], v[212:213], v[218:219], v[216:217]
	s_delay_alu instid0(VALU_DEP_1) | instskip(NEXT) | instid1(VALU_DEP_1)
	v_fma_f64 v[216:217], v[216:217], v[212:213], v[218:219]
	v_div_scale_f64 v[218:219], null, v[216:217], v[216:217], 1.0
	s_delay_alu instid0(VALU_DEP_1) | instskip(SKIP_2) | instid1(VALU_DEP_1)
	v_rcp_f64_e32 v[220:221], v[218:219]
	s_waitcnt_depctr 0xfff
	v_fma_f64 v[222:223], -v[218:219], v[220:221], 1.0
	v_fma_f64 v[220:221], v[220:221], v[222:223], v[220:221]
	s_delay_alu instid0(VALU_DEP_1) | instskip(NEXT) | instid1(VALU_DEP_1)
	v_fma_f64 v[222:223], -v[218:219], v[220:221], 1.0
	v_fma_f64 v[220:221], v[220:221], v[222:223], v[220:221]
	v_div_scale_f64 v[222:223], vcc_lo, 1.0, v[216:217], 1.0
	s_delay_alu instid0(VALU_DEP_1) | instskip(NEXT) | instid1(VALU_DEP_1)
	v_mul_f64 v[224:225], v[222:223], v[220:221]
	v_fma_f64 v[218:219], -v[218:219], v[224:225], v[222:223]
	s_delay_alu instid0(VALU_DEP_1) | instskip(NEXT) | instid1(VALU_DEP_1)
	v_div_fmas_f64 v[218:219], v[218:219], v[220:221], v[224:225]
	v_div_fixup_f64 v[222:223], v[218:219], v[216:217], 1.0
                                        ; implicit-def: $vgpr216_vgpr217
	s_delay_alu instid0(VALU_DEP_1)
	v_mul_f64 v[212:213], v[212:213], v[222:223]
	v_xor_b32_e32 v223, 0x80000000, v223
.LBB115_5:
	s_and_not1_saveexec_b32 s4, s4
	s_cbranch_execz .LBB115_7
; %bb.6:
	v_div_scale_f64 v[212:213], null, v[216:217], v[216:217], v[218:219]
	v_div_scale_f64 v[224:225], vcc_lo, v[218:219], v[216:217], v[218:219]
	s_delay_alu instid0(VALU_DEP_2) | instskip(SKIP_2) | instid1(VALU_DEP_1)
	v_rcp_f64_e32 v[220:221], v[212:213]
	s_waitcnt_depctr 0xfff
	v_fma_f64 v[222:223], -v[212:213], v[220:221], 1.0
	v_fma_f64 v[220:221], v[220:221], v[222:223], v[220:221]
	s_delay_alu instid0(VALU_DEP_1) | instskip(NEXT) | instid1(VALU_DEP_1)
	v_fma_f64 v[222:223], -v[212:213], v[220:221], 1.0
	v_fma_f64 v[220:221], v[220:221], v[222:223], v[220:221]
	s_delay_alu instid0(VALU_DEP_1) | instskip(NEXT) | instid1(VALU_DEP_1)
	v_mul_f64 v[222:223], v[224:225], v[220:221]
	v_fma_f64 v[212:213], -v[212:213], v[222:223], v[224:225]
	s_delay_alu instid0(VALU_DEP_1) | instskip(NEXT) | instid1(VALU_DEP_1)
	v_div_fmas_f64 v[212:213], v[212:213], v[220:221], v[222:223]
	v_div_fixup_f64 v[220:221], v[212:213], v[216:217], v[218:219]
	s_delay_alu instid0(VALU_DEP_1) | instskip(NEXT) | instid1(VALU_DEP_1)
	v_fma_f64 v[212:213], v[218:219], v[220:221], v[216:217]
	v_div_scale_f64 v[216:217], null, v[212:213], v[212:213], 1.0
	s_delay_alu instid0(VALU_DEP_1) | instskip(SKIP_2) | instid1(VALU_DEP_1)
	v_rcp_f64_e32 v[218:219], v[216:217]
	s_waitcnt_depctr 0xfff
	v_fma_f64 v[222:223], -v[216:217], v[218:219], 1.0
	v_fma_f64 v[218:219], v[218:219], v[222:223], v[218:219]
	s_delay_alu instid0(VALU_DEP_1) | instskip(NEXT) | instid1(VALU_DEP_1)
	v_fma_f64 v[222:223], -v[216:217], v[218:219], 1.0
	v_fma_f64 v[218:219], v[218:219], v[222:223], v[218:219]
	v_div_scale_f64 v[222:223], vcc_lo, 1.0, v[212:213], 1.0
	s_delay_alu instid0(VALU_DEP_1) | instskip(NEXT) | instid1(VALU_DEP_1)
	v_mul_f64 v[224:225], v[222:223], v[218:219]
	v_fma_f64 v[216:217], -v[216:217], v[224:225], v[222:223]
	s_delay_alu instid0(VALU_DEP_1) | instskip(NEXT) | instid1(VALU_DEP_1)
	v_div_fmas_f64 v[216:217], v[216:217], v[218:219], v[224:225]
	v_div_fixup_f64 v[212:213], v[216:217], v[212:213], 1.0
	s_delay_alu instid0(VALU_DEP_1)
	v_mul_f64 v[222:223], v[220:221], -v[212:213]
.LBB115_7:
	s_or_b32 exec_lo, exec_lo, s4
	ds_store_2addr_b64 v209, v[212:213], v[222:223] offset1:1
.LBB115_8:
	s_or_b32 exec_lo, exec_lo, s5
	s_waitcnt vmcnt(0) lgkmcnt(0)
	s_waitcnt_vscnt null, 0x0
	s_barrier
	buffer_gl0_inv
	ds_load_2addr_b64 v[204:207], v209 offset1:1
	s_waitcnt lgkmcnt(0)
	scratch_store_b128 off, v[204:207], off offset:564 ; 16-byte Folded Spill
	s_and_saveexec_b32 s4, s3
	s_cbranch_execz .LBB115_10
; %bb.9:
	s_clause 0x1
	scratch_load_b128 v[222:225], off, off offset:96
	scratch_load_b128 v[204:207], off, off offset:564
	ds_load_2addr_b64 v[218:221], v214 offset0:2 offset1:3
	s_waitcnt vmcnt(0)
	v_mul_f64 v[212:213], v[206:207], v[224:225]
	s_delay_alu instid0(VALU_DEP_1) | instskip(SKIP_1) | instid1(VALU_DEP_1)
	v_fma_f64 v[216:217], v[204:205], v[222:223], -v[212:213]
	v_mul_f64 v[212:213], v[204:205], v[224:225]
	v_fma_f64 v[224:225], v[206:207], v[222:223], v[212:213]
	s_waitcnt lgkmcnt(0)
	s_delay_alu instid0(VALU_DEP_1) | instskip(NEXT) | instid1(VALU_DEP_1)
	v_mul_f64 v[212:213], v[220:221], v[224:225]
	v_fma_f64 v[212:213], v[218:219], v[216:217], -v[212:213]
	v_mul_f64 v[218:219], v[218:219], v[224:225]
	s_delay_alu instid0(VALU_DEP_1)
	v_fma_f64 v[218:219], v[220:221], v[216:217], v[218:219]
	scratch_load_b128 v[220:223], off, off offset:80 ; 16-byte Folded Reload
	s_waitcnt vmcnt(0)
	v_add_f64 v[220:221], v[220:221], -v[212:213]
	v_add_f64 v[222:223], v[222:223], -v[218:219]
	scratch_store_b128 off, v[220:223], off offset:80 ; 16-byte Folded Spill
	ds_load_2addr_b64 v[218:221], v214 offset0:4 offset1:5
	s_waitcnt lgkmcnt(0)
	v_mul_f64 v[212:213], v[220:221], v[224:225]
	s_delay_alu instid0(VALU_DEP_1) | instskip(SKIP_1) | instid1(VALU_DEP_1)
	v_fma_f64 v[212:213], v[218:219], v[216:217], -v[212:213]
	v_mul_f64 v[218:219], v[218:219], v[224:225]
	v_fma_f64 v[218:219], v[220:221], v[216:217], v[218:219]
	scratch_load_b128 v[220:223], off, off offset:64 ; 16-byte Folded Reload
	s_waitcnt vmcnt(0)
	v_add_f64 v[220:221], v[220:221], -v[212:213]
	v_add_f64 v[222:223], v[222:223], -v[218:219]
	scratch_store_b128 off, v[220:223], off offset:64 ; 16-byte Folded Spill
	ds_load_2addr_b64 v[218:221], v214 offset0:6 offset1:7
	s_waitcnt lgkmcnt(0)
	v_mul_f64 v[212:213], v[220:221], v[224:225]
	s_delay_alu instid0(VALU_DEP_1) | instskip(SKIP_1) | instid1(VALU_DEP_1)
	v_fma_f64 v[212:213], v[218:219], v[216:217], -v[212:213]
	v_mul_f64 v[218:219], v[218:219], v[224:225]
	;; [unrolled: 12-line block ×5, first 2 shown]
	v_fma_f64 v[218:219], v[220:221], v[216:217], v[218:219]
	scratch_load_b128 v[220:223], off, off  ; 16-byte Folded Reload
	s_waitcnt vmcnt(0)
	v_add_f64 v[220:221], v[220:221], -v[212:213]
	v_add_f64 v[222:223], v[222:223], -v[218:219]
	scratch_store_b128 off, v[220:223], off ; 16-byte Folded Spill
	ds_load_2addr_b64 v[218:221], v214 offset0:14 offset1:15
	v_dual_mov_b32 v223, v217 :: v_dual_mov_b32 v222, v216
	scratch_store_b128 off, v[222:225], off offset:96 ; 16-byte Folded Spill
	s_waitcnt lgkmcnt(0)
	v_mul_f64 v[212:213], v[220:221], v[224:225]
	s_delay_alu instid0(VALU_DEP_1) | instskip(SKIP_1) | instid1(VALU_DEP_2)
	v_fma_f64 v[212:213], v[218:219], v[216:217], -v[212:213]
	v_mul_f64 v[218:219], v[218:219], v[224:225]
	v_add_f64 v[200:201], v[200:201], -v[212:213]
	s_delay_alu instid0(VALU_DEP_2) | instskip(NEXT) | instid1(VALU_DEP_1)
	v_fma_f64 v[218:219], v[220:221], v[216:217], v[218:219]
	v_add_f64 v[202:203], v[202:203], -v[218:219]
	ds_load_2addr_b64 v[218:221], v214 offset0:16 offset1:17
	s_waitcnt lgkmcnt(0)
	v_mul_f64 v[212:213], v[220:221], v[224:225]
	s_delay_alu instid0(VALU_DEP_1) | instskip(SKIP_1) | instid1(VALU_DEP_2)
	v_fma_f64 v[212:213], v[218:219], v[216:217], -v[212:213]
	v_mul_f64 v[218:219], v[218:219], v[224:225]
	v_add_f64 v[196:197], v[196:197], -v[212:213]
	s_delay_alu instid0(VALU_DEP_2) | instskip(NEXT) | instid1(VALU_DEP_1)
	v_fma_f64 v[218:219], v[220:221], v[216:217], v[218:219]
	v_add_f64 v[198:199], v[198:199], -v[218:219]
	ds_load_2addr_b64 v[218:221], v214 offset0:18 offset1:19
	;; [unrolled: 10-line block ×50, first 2 shown]
	s_waitcnt lgkmcnt(0)
	v_mul_f64 v[212:213], v[220:221], v[224:225]
	s_delay_alu instid0(VALU_DEP_1) | instskip(SKIP_1) | instid1(VALU_DEP_2)
	v_fma_f64 v[212:213], v[218:219], v[216:217], -v[212:213]
	v_mul_f64 v[218:219], v[218:219], v[224:225]
	v_add_f64 v[0:1], v[0:1], -v[212:213]
	s_delay_alu instid0(VALU_DEP_2) | instskip(NEXT) | instid1(VALU_DEP_1)
	v_fma_f64 v[218:219], v[220:221], v[216:217], v[218:219]
	v_add_f64 v[2:3], v[2:3], -v[218:219]
.LBB115_10:
	s_or_b32 exec_lo, exec_lo, s4
	scratch_load_b32 v208, off, off offset:112 ; 4-byte Folded Reload
	s_mov_b32 s4, exec_lo
	s_waitcnt vmcnt(0)
	s_waitcnt_vscnt null, 0x0
	s_barrier
	buffer_gl0_inv
	v_cmpx_eq_u32_e32 1, v208
	s_cbranch_execz .LBB115_17
; %bb.11:
	scratch_load_b128 v[215:218], off, off offset:80 ; 16-byte Folded Reload
	s_waitcnt vmcnt(0)
	ds_store_2addr_b64 v209, v[215:216], v[217:218] offset1:1
	scratch_load_b128 v[215:218], off, off offset:64 ; 16-byte Folded Reload
	s_waitcnt vmcnt(0)
	ds_store_2addr_b64 v214, v[215:216], v[217:218] offset0:4 offset1:5
	scratch_load_b128 v[215:218], off, off offset:48 ; 16-byte Folded Reload
	s_waitcnt vmcnt(0)
	ds_store_2addr_b64 v214, v[215:216], v[217:218] offset0:6 offset1:7
	;; [unrolled: 3-line block ×4, first 2 shown]
	scratch_load_b128 v[215:218], off, off  ; 16-byte Folded Reload
	s_waitcnt vmcnt(0)
	ds_store_2addr_b64 v214, v[215:216], v[217:218] offset0:12 offset1:13
	ds_store_2addr_b64 v214, v[200:201], v[202:203] offset0:14 offset1:15
	;; [unrolled: 1-line block ×52, first 2 shown]
	ds_load_2addr_b64 v[216:219], v209 offset1:1
	s_waitcnt lgkmcnt(0)
	v_cmp_neq_f64_e32 vcc_lo, 0, v[216:217]
	v_cmp_neq_f64_e64 s3, 0, v[218:219]
	s_delay_alu instid0(VALU_DEP_1) | instskip(NEXT) | instid1(SALU_CYCLE_1)
	s_or_b32 s3, vcc_lo, s3
	s_and_b32 exec_lo, exec_lo, s3
	s_cbranch_execz .LBB115_17
; %bb.12:
	v_cmp_gt_f64_e32 vcc_lo, 0, v[216:217]
	v_xor_b32_e32 v212, 0x80000000, v217
	v_xor_b32_e32 v215, 0x80000000, v219
	s_delay_alu instid0(VALU_DEP_2) | instskip(SKIP_2) | instid1(VALU_DEP_4)
	v_cndmask_b32_e32 v213, v217, v212, vcc_lo
	v_cndmask_b32_e32 v212, v216, v216, vcc_lo
	v_cmp_gt_f64_e32 vcc_lo, 0, v[218:219]
	v_dual_cndmask_b32 v221, v219, v215 :: v_dual_cndmask_b32 v220, v218, v218
	s_delay_alu instid0(VALU_DEP_1) | instskip(SKIP_1) | instid1(SALU_CYCLE_1)
	v_cmp_ngt_f64_e32 vcc_lo, v[212:213], v[220:221]
                                        ; implicit-def: $vgpr212_vgpr213
	s_and_saveexec_b32 s3, vcc_lo
	s_xor_b32 s3, exec_lo, s3
                                        ; implicit-def: $vgpr220_vgpr221_vgpr222_vgpr223
	s_cbranch_execz .LBB115_14
; %bb.13:
	v_div_scale_f64 v[212:213], null, v[218:219], v[218:219], v[216:217]
	v_div_scale_f64 v[224:225], vcc_lo, v[216:217], v[218:219], v[216:217]
	s_delay_alu instid0(VALU_DEP_2) | instskip(SKIP_2) | instid1(VALU_DEP_1)
	v_rcp_f64_e32 v[220:221], v[212:213]
	s_waitcnt_depctr 0xfff
	v_fma_f64 v[222:223], -v[212:213], v[220:221], 1.0
	v_fma_f64 v[220:221], v[220:221], v[222:223], v[220:221]
	s_delay_alu instid0(VALU_DEP_1) | instskip(NEXT) | instid1(VALU_DEP_1)
	v_fma_f64 v[222:223], -v[212:213], v[220:221], 1.0
	v_fma_f64 v[220:221], v[220:221], v[222:223], v[220:221]
	s_delay_alu instid0(VALU_DEP_1) | instskip(NEXT) | instid1(VALU_DEP_1)
	v_mul_f64 v[222:223], v[224:225], v[220:221]
	v_fma_f64 v[212:213], -v[212:213], v[222:223], v[224:225]
	s_delay_alu instid0(VALU_DEP_1) | instskip(NEXT) | instid1(VALU_DEP_1)
	v_div_fmas_f64 v[212:213], v[212:213], v[220:221], v[222:223]
	v_div_fixup_f64 v[212:213], v[212:213], v[218:219], v[216:217]
	s_delay_alu instid0(VALU_DEP_1) | instskip(NEXT) | instid1(VALU_DEP_1)
	v_fma_f64 v[216:217], v[216:217], v[212:213], v[218:219]
	v_div_scale_f64 v[218:219], null, v[216:217], v[216:217], 1.0
	s_delay_alu instid0(VALU_DEP_1) | instskip(SKIP_2) | instid1(VALU_DEP_1)
	v_rcp_f64_e32 v[220:221], v[218:219]
	s_waitcnt_depctr 0xfff
	v_fma_f64 v[222:223], -v[218:219], v[220:221], 1.0
	v_fma_f64 v[220:221], v[220:221], v[222:223], v[220:221]
	s_delay_alu instid0(VALU_DEP_1) | instskip(NEXT) | instid1(VALU_DEP_1)
	v_fma_f64 v[222:223], -v[218:219], v[220:221], 1.0
	v_fma_f64 v[220:221], v[220:221], v[222:223], v[220:221]
	v_div_scale_f64 v[222:223], vcc_lo, 1.0, v[216:217], 1.0
	s_delay_alu instid0(VALU_DEP_1) | instskip(NEXT) | instid1(VALU_DEP_1)
	v_mul_f64 v[224:225], v[222:223], v[220:221]
	v_fma_f64 v[218:219], -v[218:219], v[224:225], v[222:223]
	s_delay_alu instid0(VALU_DEP_1) | instskip(NEXT) | instid1(VALU_DEP_1)
	v_div_fmas_f64 v[218:219], v[218:219], v[220:221], v[224:225]
	v_div_fixup_f64 v[222:223], v[218:219], v[216:217], 1.0
                                        ; implicit-def: $vgpr216_vgpr217
	s_delay_alu instid0(VALU_DEP_1)
	v_mul_f64 v[212:213], v[212:213], v[222:223]
	v_xor_b32_e32 v223, 0x80000000, v223
.LBB115_14:
	s_and_not1_saveexec_b32 s3, s3
	s_cbranch_execz .LBB115_16
; %bb.15:
	v_div_scale_f64 v[212:213], null, v[216:217], v[216:217], v[218:219]
	v_div_scale_f64 v[224:225], vcc_lo, v[218:219], v[216:217], v[218:219]
	s_delay_alu instid0(VALU_DEP_2) | instskip(SKIP_2) | instid1(VALU_DEP_1)
	v_rcp_f64_e32 v[220:221], v[212:213]
	s_waitcnt_depctr 0xfff
	v_fma_f64 v[222:223], -v[212:213], v[220:221], 1.0
	v_fma_f64 v[220:221], v[220:221], v[222:223], v[220:221]
	s_delay_alu instid0(VALU_DEP_1) | instskip(NEXT) | instid1(VALU_DEP_1)
	v_fma_f64 v[222:223], -v[212:213], v[220:221], 1.0
	v_fma_f64 v[220:221], v[220:221], v[222:223], v[220:221]
	s_delay_alu instid0(VALU_DEP_1) | instskip(NEXT) | instid1(VALU_DEP_1)
	v_mul_f64 v[222:223], v[224:225], v[220:221]
	v_fma_f64 v[212:213], -v[212:213], v[222:223], v[224:225]
	s_delay_alu instid0(VALU_DEP_1) | instskip(NEXT) | instid1(VALU_DEP_1)
	v_div_fmas_f64 v[212:213], v[212:213], v[220:221], v[222:223]
	v_div_fixup_f64 v[220:221], v[212:213], v[216:217], v[218:219]
	s_delay_alu instid0(VALU_DEP_1) | instskip(NEXT) | instid1(VALU_DEP_1)
	v_fma_f64 v[212:213], v[218:219], v[220:221], v[216:217]
	v_div_scale_f64 v[216:217], null, v[212:213], v[212:213], 1.0
	s_delay_alu instid0(VALU_DEP_1) | instskip(SKIP_2) | instid1(VALU_DEP_1)
	v_rcp_f64_e32 v[218:219], v[216:217]
	s_waitcnt_depctr 0xfff
	v_fma_f64 v[222:223], -v[216:217], v[218:219], 1.0
	v_fma_f64 v[218:219], v[218:219], v[222:223], v[218:219]
	s_delay_alu instid0(VALU_DEP_1) | instskip(NEXT) | instid1(VALU_DEP_1)
	v_fma_f64 v[222:223], -v[216:217], v[218:219], 1.0
	v_fma_f64 v[218:219], v[218:219], v[222:223], v[218:219]
	v_div_scale_f64 v[222:223], vcc_lo, 1.0, v[212:213], 1.0
	s_delay_alu instid0(VALU_DEP_1) | instskip(NEXT) | instid1(VALU_DEP_1)
	v_mul_f64 v[224:225], v[222:223], v[218:219]
	v_fma_f64 v[216:217], -v[216:217], v[224:225], v[222:223]
	s_delay_alu instid0(VALU_DEP_1) | instskip(NEXT) | instid1(VALU_DEP_1)
	v_div_fmas_f64 v[216:217], v[216:217], v[218:219], v[224:225]
	v_div_fixup_f64 v[212:213], v[216:217], v[212:213], 1.0
	s_delay_alu instid0(VALU_DEP_1)
	v_mul_f64 v[222:223], v[220:221], -v[212:213]
.LBB115_16:
	s_or_b32 exec_lo, exec_lo, s3
	ds_store_2addr_b64 v209, v[212:213], v[222:223] offset1:1
.LBB115_17:
	s_or_b32 exec_lo, exec_lo, s4
	s_waitcnt lgkmcnt(0)
	s_barrier
	buffer_gl0_inv
	ds_load_2addr_b64 v[204:207], v209 offset1:1
	s_mov_b32 s3, exec_lo
	s_waitcnt lgkmcnt(0)
	scratch_store_b128 off, v[204:207], off offset:580 ; 16-byte Folded Spill
	v_cmpx_lt_u32_e32 1, v208
	s_cbranch_execz .LBB115_19
; %bb.18:
	s_clause 0x1
	scratch_load_b128 v[222:225], off, off offset:80
	scratch_load_b128 v[204:207], off, off offset:580
	ds_load_2addr_b64 v[218:221], v214 offset0:4 offset1:5
	s_waitcnt vmcnt(0)
	v_mul_f64 v[212:213], v[206:207], v[224:225]
	s_delay_alu instid0(VALU_DEP_1) | instskip(SKIP_1) | instid1(VALU_DEP_1)
	v_fma_f64 v[216:217], v[204:205], v[222:223], -v[212:213]
	v_mul_f64 v[212:213], v[204:205], v[224:225]
	v_fma_f64 v[224:225], v[206:207], v[222:223], v[212:213]
	s_waitcnt lgkmcnt(0)
	s_delay_alu instid0(VALU_DEP_1) | instskip(NEXT) | instid1(VALU_DEP_1)
	v_mul_f64 v[212:213], v[220:221], v[224:225]
	v_fma_f64 v[212:213], v[218:219], v[216:217], -v[212:213]
	v_mul_f64 v[218:219], v[218:219], v[224:225]
	s_delay_alu instid0(VALU_DEP_1)
	v_fma_f64 v[218:219], v[220:221], v[216:217], v[218:219]
	scratch_load_b128 v[220:223], off, off offset:64 ; 16-byte Folded Reload
	s_waitcnt vmcnt(0)
	v_add_f64 v[220:221], v[220:221], -v[212:213]
	v_add_f64 v[222:223], v[222:223], -v[218:219]
	scratch_store_b128 off, v[220:223], off offset:64 ; 16-byte Folded Spill
	ds_load_2addr_b64 v[218:221], v214 offset0:6 offset1:7
	s_waitcnt lgkmcnt(0)
	v_mul_f64 v[212:213], v[220:221], v[224:225]
	s_delay_alu instid0(VALU_DEP_1) | instskip(SKIP_1) | instid1(VALU_DEP_1)
	v_fma_f64 v[212:213], v[218:219], v[216:217], -v[212:213]
	v_mul_f64 v[218:219], v[218:219], v[224:225]
	v_fma_f64 v[218:219], v[220:221], v[216:217], v[218:219]
	scratch_load_b128 v[220:223], off, off offset:48 ; 16-byte Folded Reload
	s_waitcnt vmcnt(0)
	v_add_f64 v[220:221], v[220:221], -v[212:213]
	v_add_f64 v[222:223], v[222:223], -v[218:219]
	scratch_store_b128 off, v[220:223], off offset:48 ; 16-byte Folded Spill
	ds_load_2addr_b64 v[218:221], v214 offset0:8 offset1:9
	s_waitcnt lgkmcnt(0)
	v_mul_f64 v[212:213], v[220:221], v[224:225]
	s_delay_alu instid0(VALU_DEP_1) | instskip(SKIP_1) | instid1(VALU_DEP_1)
	v_fma_f64 v[212:213], v[218:219], v[216:217], -v[212:213]
	v_mul_f64 v[218:219], v[218:219], v[224:225]
	;; [unrolled: 12-line block ×4, first 2 shown]
	v_fma_f64 v[218:219], v[220:221], v[216:217], v[218:219]
	scratch_load_b128 v[220:223], off, off  ; 16-byte Folded Reload
	s_waitcnt vmcnt(0)
	v_add_f64 v[220:221], v[220:221], -v[212:213]
	v_add_f64 v[222:223], v[222:223], -v[218:219]
	scratch_store_b128 off, v[220:223], off ; 16-byte Folded Spill
	ds_load_2addr_b64 v[218:221], v214 offset0:14 offset1:15
	v_dual_mov_b32 v223, v217 :: v_dual_mov_b32 v222, v216
	scratch_store_b128 off, v[222:225], off offset:80 ; 16-byte Folded Spill
	s_waitcnt lgkmcnt(0)
	v_mul_f64 v[212:213], v[220:221], v[224:225]
	s_delay_alu instid0(VALU_DEP_1) | instskip(SKIP_1) | instid1(VALU_DEP_2)
	v_fma_f64 v[212:213], v[218:219], v[216:217], -v[212:213]
	v_mul_f64 v[218:219], v[218:219], v[224:225]
	v_add_f64 v[200:201], v[200:201], -v[212:213]
	s_delay_alu instid0(VALU_DEP_2) | instskip(NEXT) | instid1(VALU_DEP_1)
	v_fma_f64 v[218:219], v[220:221], v[216:217], v[218:219]
	v_add_f64 v[202:203], v[202:203], -v[218:219]
	ds_load_2addr_b64 v[218:221], v214 offset0:16 offset1:17
	s_waitcnt lgkmcnt(0)
	v_mul_f64 v[212:213], v[220:221], v[224:225]
	s_delay_alu instid0(VALU_DEP_1) | instskip(SKIP_1) | instid1(VALU_DEP_2)
	v_fma_f64 v[212:213], v[218:219], v[216:217], -v[212:213]
	v_mul_f64 v[218:219], v[218:219], v[224:225]
	v_add_f64 v[196:197], v[196:197], -v[212:213]
	s_delay_alu instid0(VALU_DEP_2) | instskip(NEXT) | instid1(VALU_DEP_1)
	v_fma_f64 v[218:219], v[220:221], v[216:217], v[218:219]
	v_add_f64 v[198:199], v[198:199], -v[218:219]
	ds_load_2addr_b64 v[218:221], v214 offset0:18 offset1:19
	;; [unrolled: 10-line block ×50, first 2 shown]
	s_waitcnt lgkmcnt(0)
	v_mul_f64 v[212:213], v[220:221], v[224:225]
	s_delay_alu instid0(VALU_DEP_1) | instskip(SKIP_1) | instid1(VALU_DEP_2)
	v_fma_f64 v[212:213], v[218:219], v[216:217], -v[212:213]
	v_mul_f64 v[218:219], v[218:219], v[224:225]
	v_add_f64 v[0:1], v[0:1], -v[212:213]
	s_delay_alu instid0(VALU_DEP_2) | instskip(NEXT) | instid1(VALU_DEP_1)
	v_fma_f64 v[218:219], v[220:221], v[216:217], v[218:219]
	v_add_f64 v[2:3], v[2:3], -v[218:219]
.LBB115_19:
	s_or_b32 exec_lo, exec_lo, s3
	s_delay_alu instid0(SALU_CYCLE_1)
	s_mov_b32 s4, exec_lo
	s_waitcnt_vscnt null, 0x0
	s_barrier
	buffer_gl0_inv
	v_cmpx_eq_u32_e32 2, v208
	s_cbranch_execz .LBB115_26
; %bb.20:
	scratch_load_b128 v[215:218], off, off offset:64 ; 16-byte Folded Reload
	s_waitcnt vmcnt(0)
	ds_store_2addr_b64 v209, v[215:216], v[217:218] offset1:1
	scratch_load_b128 v[215:218], off, off offset:48 ; 16-byte Folded Reload
	s_waitcnt vmcnt(0)
	ds_store_2addr_b64 v214, v[215:216], v[217:218] offset0:6 offset1:7
	scratch_load_b128 v[215:218], off, off offset:32 ; 16-byte Folded Reload
	s_waitcnt vmcnt(0)
	ds_store_2addr_b64 v214, v[215:216], v[217:218] offset0:8 offset1:9
	scratch_load_b128 v[215:218], off, off offset:16 ; 16-byte Folded Reload
	s_waitcnt vmcnt(0)
	ds_store_2addr_b64 v214, v[215:216], v[217:218] offset0:10 offset1:11
	scratch_load_b128 v[215:218], off, off  ; 16-byte Folded Reload
	s_waitcnt vmcnt(0)
	ds_store_2addr_b64 v214, v[215:216], v[217:218] offset0:12 offset1:13
	ds_store_2addr_b64 v214, v[200:201], v[202:203] offset0:14 offset1:15
	;; [unrolled: 1-line block ×52, first 2 shown]
	ds_load_2addr_b64 v[216:219], v209 offset1:1
	s_waitcnt lgkmcnt(0)
	v_cmp_neq_f64_e32 vcc_lo, 0, v[216:217]
	v_cmp_neq_f64_e64 s3, 0, v[218:219]
	s_delay_alu instid0(VALU_DEP_1) | instskip(NEXT) | instid1(SALU_CYCLE_1)
	s_or_b32 s3, vcc_lo, s3
	s_and_b32 exec_lo, exec_lo, s3
	s_cbranch_execz .LBB115_26
; %bb.21:
	v_cmp_gt_f64_e32 vcc_lo, 0, v[216:217]
	v_xor_b32_e32 v212, 0x80000000, v217
	v_xor_b32_e32 v215, 0x80000000, v219
	s_delay_alu instid0(VALU_DEP_2) | instskip(SKIP_2) | instid1(VALU_DEP_4)
	v_cndmask_b32_e32 v213, v217, v212, vcc_lo
	v_cndmask_b32_e32 v212, v216, v216, vcc_lo
	v_cmp_gt_f64_e32 vcc_lo, 0, v[218:219]
	v_dual_cndmask_b32 v221, v219, v215 :: v_dual_cndmask_b32 v220, v218, v218
	s_delay_alu instid0(VALU_DEP_1) | instskip(SKIP_1) | instid1(SALU_CYCLE_1)
	v_cmp_ngt_f64_e32 vcc_lo, v[212:213], v[220:221]
                                        ; implicit-def: $vgpr212_vgpr213
	s_and_saveexec_b32 s3, vcc_lo
	s_xor_b32 s3, exec_lo, s3
                                        ; implicit-def: $vgpr220_vgpr221_vgpr222_vgpr223
	s_cbranch_execz .LBB115_23
; %bb.22:
	v_div_scale_f64 v[212:213], null, v[218:219], v[218:219], v[216:217]
	v_div_scale_f64 v[224:225], vcc_lo, v[216:217], v[218:219], v[216:217]
	s_delay_alu instid0(VALU_DEP_2) | instskip(SKIP_2) | instid1(VALU_DEP_1)
	v_rcp_f64_e32 v[220:221], v[212:213]
	s_waitcnt_depctr 0xfff
	v_fma_f64 v[222:223], -v[212:213], v[220:221], 1.0
	v_fma_f64 v[220:221], v[220:221], v[222:223], v[220:221]
	s_delay_alu instid0(VALU_DEP_1) | instskip(NEXT) | instid1(VALU_DEP_1)
	v_fma_f64 v[222:223], -v[212:213], v[220:221], 1.0
	v_fma_f64 v[220:221], v[220:221], v[222:223], v[220:221]
	s_delay_alu instid0(VALU_DEP_1) | instskip(NEXT) | instid1(VALU_DEP_1)
	v_mul_f64 v[222:223], v[224:225], v[220:221]
	v_fma_f64 v[212:213], -v[212:213], v[222:223], v[224:225]
	s_delay_alu instid0(VALU_DEP_1) | instskip(NEXT) | instid1(VALU_DEP_1)
	v_div_fmas_f64 v[212:213], v[212:213], v[220:221], v[222:223]
	v_div_fixup_f64 v[212:213], v[212:213], v[218:219], v[216:217]
	s_delay_alu instid0(VALU_DEP_1) | instskip(NEXT) | instid1(VALU_DEP_1)
	v_fma_f64 v[216:217], v[216:217], v[212:213], v[218:219]
	v_div_scale_f64 v[218:219], null, v[216:217], v[216:217], 1.0
	s_delay_alu instid0(VALU_DEP_1) | instskip(SKIP_2) | instid1(VALU_DEP_1)
	v_rcp_f64_e32 v[220:221], v[218:219]
	s_waitcnt_depctr 0xfff
	v_fma_f64 v[222:223], -v[218:219], v[220:221], 1.0
	v_fma_f64 v[220:221], v[220:221], v[222:223], v[220:221]
	s_delay_alu instid0(VALU_DEP_1) | instskip(NEXT) | instid1(VALU_DEP_1)
	v_fma_f64 v[222:223], -v[218:219], v[220:221], 1.0
	v_fma_f64 v[220:221], v[220:221], v[222:223], v[220:221]
	v_div_scale_f64 v[222:223], vcc_lo, 1.0, v[216:217], 1.0
	s_delay_alu instid0(VALU_DEP_1) | instskip(NEXT) | instid1(VALU_DEP_1)
	v_mul_f64 v[224:225], v[222:223], v[220:221]
	v_fma_f64 v[218:219], -v[218:219], v[224:225], v[222:223]
	s_delay_alu instid0(VALU_DEP_1) | instskip(NEXT) | instid1(VALU_DEP_1)
	v_div_fmas_f64 v[218:219], v[218:219], v[220:221], v[224:225]
	v_div_fixup_f64 v[222:223], v[218:219], v[216:217], 1.0
                                        ; implicit-def: $vgpr216_vgpr217
	s_delay_alu instid0(VALU_DEP_1)
	v_mul_f64 v[212:213], v[212:213], v[222:223]
	v_xor_b32_e32 v223, 0x80000000, v223
.LBB115_23:
	s_and_not1_saveexec_b32 s3, s3
	s_cbranch_execz .LBB115_25
; %bb.24:
	v_div_scale_f64 v[212:213], null, v[216:217], v[216:217], v[218:219]
	v_div_scale_f64 v[224:225], vcc_lo, v[218:219], v[216:217], v[218:219]
	s_delay_alu instid0(VALU_DEP_2) | instskip(SKIP_2) | instid1(VALU_DEP_1)
	v_rcp_f64_e32 v[220:221], v[212:213]
	s_waitcnt_depctr 0xfff
	v_fma_f64 v[222:223], -v[212:213], v[220:221], 1.0
	v_fma_f64 v[220:221], v[220:221], v[222:223], v[220:221]
	s_delay_alu instid0(VALU_DEP_1) | instskip(NEXT) | instid1(VALU_DEP_1)
	v_fma_f64 v[222:223], -v[212:213], v[220:221], 1.0
	v_fma_f64 v[220:221], v[220:221], v[222:223], v[220:221]
	s_delay_alu instid0(VALU_DEP_1) | instskip(NEXT) | instid1(VALU_DEP_1)
	v_mul_f64 v[222:223], v[224:225], v[220:221]
	v_fma_f64 v[212:213], -v[212:213], v[222:223], v[224:225]
	s_delay_alu instid0(VALU_DEP_1) | instskip(NEXT) | instid1(VALU_DEP_1)
	v_div_fmas_f64 v[212:213], v[212:213], v[220:221], v[222:223]
	v_div_fixup_f64 v[220:221], v[212:213], v[216:217], v[218:219]
	s_delay_alu instid0(VALU_DEP_1) | instskip(NEXT) | instid1(VALU_DEP_1)
	v_fma_f64 v[212:213], v[218:219], v[220:221], v[216:217]
	v_div_scale_f64 v[216:217], null, v[212:213], v[212:213], 1.0
	s_delay_alu instid0(VALU_DEP_1) | instskip(SKIP_2) | instid1(VALU_DEP_1)
	v_rcp_f64_e32 v[218:219], v[216:217]
	s_waitcnt_depctr 0xfff
	v_fma_f64 v[222:223], -v[216:217], v[218:219], 1.0
	v_fma_f64 v[218:219], v[218:219], v[222:223], v[218:219]
	s_delay_alu instid0(VALU_DEP_1) | instskip(NEXT) | instid1(VALU_DEP_1)
	v_fma_f64 v[222:223], -v[216:217], v[218:219], 1.0
	v_fma_f64 v[218:219], v[218:219], v[222:223], v[218:219]
	v_div_scale_f64 v[222:223], vcc_lo, 1.0, v[212:213], 1.0
	s_delay_alu instid0(VALU_DEP_1) | instskip(NEXT) | instid1(VALU_DEP_1)
	v_mul_f64 v[224:225], v[222:223], v[218:219]
	v_fma_f64 v[216:217], -v[216:217], v[224:225], v[222:223]
	s_delay_alu instid0(VALU_DEP_1) | instskip(NEXT) | instid1(VALU_DEP_1)
	v_div_fmas_f64 v[216:217], v[216:217], v[218:219], v[224:225]
	v_div_fixup_f64 v[212:213], v[216:217], v[212:213], 1.0
	s_delay_alu instid0(VALU_DEP_1)
	v_mul_f64 v[222:223], v[220:221], -v[212:213]
.LBB115_25:
	s_or_b32 exec_lo, exec_lo, s3
	ds_store_2addr_b64 v209, v[212:213], v[222:223] offset1:1
.LBB115_26:
	s_or_b32 exec_lo, exec_lo, s4
	s_waitcnt lgkmcnt(0)
	s_barrier
	buffer_gl0_inv
	ds_load_2addr_b64 v[204:207], v209 offset1:1
	s_mov_b32 s3, exec_lo
	s_waitcnt lgkmcnt(0)
	scratch_store_b128 off, v[204:207], off offset:596 ; 16-byte Folded Spill
	v_cmpx_lt_u32_e32 2, v208
	s_cbranch_execz .LBB115_28
; %bb.27:
	s_clause 0x1
	scratch_load_b128 v[222:225], off, off offset:64
	scratch_load_b128 v[204:207], off, off offset:596
	ds_load_2addr_b64 v[218:221], v214 offset0:6 offset1:7
	s_waitcnt vmcnt(0)
	v_mul_f64 v[212:213], v[206:207], v[224:225]
	s_delay_alu instid0(VALU_DEP_1) | instskip(SKIP_1) | instid1(VALU_DEP_1)
	v_fma_f64 v[216:217], v[204:205], v[222:223], -v[212:213]
	v_mul_f64 v[212:213], v[204:205], v[224:225]
	v_fma_f64 v[224:225], v[206:207], v[222:223], v[212:213]
	s_waitcnt lgkmcnt(0)
	s_delay_alu instid0(VALU_DEP_1) | instskip(NEXT) | instid1(VALU_DEP_1)
	v_mul_f64 v[212:213], v[220:221], v[224:225]
	v_fma_f64 v[212:213], v[218:219], v[216:217], -v[212:213]
	v_mul_f64 v[218:219], v[218:219], v[224:225]
	s_delay_alu instid0(VALU_DEP_1)
	v_fma_f64 v[218:219], v[220:221], v[216:217], v[218:219]
	scratch_load_b128 v[220:223], off, off offset:48 ; 16-byte Folded Reload
	s_waitcnt vmcnt(0)
	v_add_f64 v[220:221], v[220:221], -v[212:213]
	v_add_f64 v[222:223], v[222:223], -v[218:219]
	scratch_store_b128 off, v[220:223], off offset:48 ; 16-byte Folded Spill
	ds_load_2addr_b64 v[218:221], v214 offset0:8 offset1:9
	s_waitcnt lgkmcnt(0)
	v_mul_f64 v[212:213], v[220:221], v[224:225]
	s_delay_alu instid0(VALU_DEP_1) | instskip(SKIP_1) | instid1(VALU_DEP_1)
	v_fma_f64 v[212:213], v[218:219], v[216:217], -v[212:213]
	v_mul_f64 v[218:219], v[218:219], v[224:225]
	v_fma_f64 v[218:219], v[220:221], v[216:217], v[218:219]
	scratch_load_b128 v[220:223], off, off offset:32 ; 16-byte Folded Reload
	s_waitcnt vmcnt(0)
	v_add_f64 v[220:221], v[220:221], -v[212:213]
	v_add_f64 v[222:223], v[222:223], -v[218:219]
	scratch_store_b128 off, v[220:223], off offset:32 ; 16-byte Folded Spill
	ds_load_2addr_b64 v[218:221], v214 offset0:10 offset1:11
	s_waitcnt lgkmcnt(0)
	v_mul_f64 v[212:213], v[220:221], v[224:225]
	s_delay_alu instid0(VALU_DEP_1) | instskip(SKIP_1) | instid1(VALU_DEP_1)
	v_fma_f64 v[212:213], v[218:219], v[216:217], -v[212:213]
	v_mul_f64 v[218:219], v[218:219], v[224:225]
	;; [unrolled: 12-line block ×3, first 2 shown]
	v_fma_f64 v[218:219], v[220:221], v[216:217], v[218:219]
	scratch_load_b128 v[220:223], off, off  ; 16-byte Folded Reload
	s_waitcnt vmcnt(0)
	v_add_f64 v[220:221], v[220:221], -v[212:213]
	v_add_f64 v[222:223], v[222:223], -v[218:219]
	scratch_store_b128 off, v[220:223], off ; 16-byte Folded Spill
	ds_load_2addr_b64 v[218:221], v214 offset0:14 offset1:15
	v_dual_mov_b32 v223, v217 :: v_dual_mov_b32 v222, v216
	scratch_store_b128 off, v[222:225], off offset:64 ; 16-byte Folded Spill
	s_waitcnt lgkmcnt(0)
	v_mul_f64 v[212:213], v[220:221], v[224:225]
	s_delay_alu instid0(VALU_DEP_1) | instskip(SKIP_1) | instid1(VALU_DEP_2)
	v_fma_f64 v[212:213], v[218:219], v[216:217], -v[212:213]
	v_mul_f64 v[218:219], v[218:219], v[224:225]
	v_add_f64 v[200:201], v[200:201], -v[212:213]
	s_delay_alu instid0(VALU_DEP_2) | instskip(NEXT) | instid1(VALU_DEP_1)
	v_fma_f64 v[218:219], v[220:221], v[216:217], v[218:219]
	v_add_f64 v[202:203], v[202:203], -v[218:219]
	ds_load_2addr_b64 v[218:221], v214 offset0:16 offset1:17
	s_waitcnt lgkmcnt(0)
	v_mul_f64 v[212:213], v[220:221], v[224:225]
	s_delay_alu instid0(VALU_DEP_1) | instskip(SKIP_1) | instid1(VALU_DEP_2)
	v_fma_f64 v[212:213], v[218:219], v[216:217], -v[212:213]
	v_mul_f64 v[218:219], v[218:219], v[224:225]
	v_add_f64 v[196:197], v[196:197], -v[212:213]
	s_delay_alu instid0(VALU_DEP_2) | instskip(NEXT) | instid1(VALU_DEP_1)
	v_fma_f64 v[218:219], v[220:221], v[216:217], v[218:219]
	v_add_f64 v[198:199], v[198:199], -v[218:219]
	ds_load_2addr_b64 v[218:221], v214 offset0:18 offset1:19
	;; [unrolled: 10-line block ×50, first 2 shown]
	s_waitcnt lgkmcnt(0)
	v_mul_f64 v[212:213], v[220:221], v[224:225]
	s_delay_alu instid0(VALU_DEP_1) | instskip(SKIP_1) | instid1(VALU_DEP_2)
	v_fma_f64 v[212:213], v[218:219], v[216:217], -v[212:213]
	v_mul_f64 v[218:219], v[218:219], v[224:225]
	v_add_f64 v[0:1], v[0:1], -v[212:213]
	s_delay_alu instid0(VALU_DEP_2) | instskip(NEXT) | instid1(VALU_DEP_1)
	v_fma_f64 v[218:219], v[220:221], v[216:217], v[218:219]
	v_add_f64 v[2:3], v[2:3], -v[218:219]
.LBB115_28:
	s_or_b32 exec_lo, exec_lo, s3
	s_delay_alu instid0(SALU_CYCLE_1)
	s_mov_b32 s4, exec_lo
	s_waitcnt_vscnt null, 0x0
	s_barrier
	buffer_gl0_inv
	v_cmpx_eq_u32_e32 3, v208
	s_cbranch_execz .LBB115_35
; %bb.29:
	scratch_load_b128 v[215:218], off, off offset:48 ; 16-byte Folded Reload
	s_waitcnt vmcnt(0)
	ds_store_2addr_b64 v209, v[215:216], v[217:218] offset1:1
	scratch_load_b128 v[215:218], off, off offset:32 ; 16-byte Folded Reload
	s_waitcnt vmcnt(0)
	ds_store_2addr_b64 v214, v[215:216], v[217:218] offset0:8 offset1:9
	scratch_load_b128 v[215:218], off, off offset:16 ; 16-byte Folded Reload
	s_waitcnt vmcnt(0)
	ds_store_2addr_b64 v214, v[215:216], v[217:218] offset0:10 offset1:11
	scratch_load_b128 v[215:218], off, off  ; 16-byte Folded Reload
	s_waitcnt vmcnt(0)
	ds_store_2addr_b64 v214, v[215:216], v[217:218] offset0:12 offset1:13
	ds_store_2addr_b64 v214, v[200:201], v[202:203] offset0:14 offset1:15
	;; [unrolled: 1-line block ×52, first 2 shown]
	ds_load_2addr_b64 v[216:219], v209 offset1:1
	s_waitcnt lgkmcnt(0)
	v_cmp_neq_f64_e32 vcc_lo, 0, v[216:217]
	v_cmp_neq_f64_e64 s3, 0, v[218:219]
	s_delay_alu instid0(VALU_DEP_1) | instskip(NEXT) | instid1(SALU_CYCLE_1)
	s_or_b32 s3, vcc_lo, s3
	s_and_b32 exec_lo, exec_lo, s3
	s_cbranch_execz .LBB115_35
; %bb.30:
	v_cmp_gt_f64_e32 vcc_lo, 0, v[216:217]
	v_xor_b32_e32 v212, 0x80000000, v217
	v_xor_b32_e32 v215, 0x80000000, v219
	s_delay_alu instid0(VALU_DEP_2) | instskip(SKIP_2) | instid1(VALU_DEP_4)
	v_cndmask_b32_e32 v213, v217, v212, vcc_lo
	v_cndmask_b32_e32 v212, v216, v216, vcc_lo
	v_cmp_gt_f64_e32 vcc_lo, 0, v[218:219]
	v_dual_cndmask_b32 v221, v219, v215 :: v_dual_cndmask_b32 v220, v218, v218
	s_delay_alu instid0(VALU_DEP_1) | instskip(SKIP_1) | instid1(SALU_CYCLE_1)
	v_cmp_ngt_f64_e32 vcc_lo, v[212:213], v[220:221]
                                        ; implicit-def: $vgpr212_vgpr213
	s_and_saveexec_b32 s3, vcc_lo
	s_xor_b32 s3, exec_lo, s3
                                        ; implicit-def: $vgpr220_vgpr221_vgpr222_vgpr223
	s_cbranch_execz .LBB115_32
; %bb.31:
	v_div_scale_f64 v[212:213], null, v[218:219], v[218:219], v[216:217]
	v_div_scale_f64 v[224:225], vcc_lo, v[216:217], v[218:219], v[216:217]
	s_delay_alu instid0(VALU_DEP_2) | instskip(SKIP_2) | instid1(VALU_DEP_1)
	v_rcp_f64_e32 v[220:221], v[212:213]
	s_waitcnt_depctr 0xfff
	v_fma_f64 v[222:223], -v[212:213], v[220:221], 1.0
	v_fma_f64 v[220:221], v[220:221], v[222:223], v[220:221]
	s_delay_alu instid0(VALU_DEP_1) | instskip(NEXT) | instid1(VALU_DEP_1)
	v_fma_f64 v[222:223], -v[212:213], v[220:221], 1.0
	v_fma_f64 v[220:221], v[220:221], v[222:223], v[220:221]
	s_delay_alu instid0(VALU_DEP_1) | instskip(NEXT) | instid1(VALU_DEP_1)
	v_mul_f64 v[222:223], v[224:225], v[220:221]
	v_fma_f64 v[212:213], -v[212:213], v[222:223], v[224:225]
	s_delay_alu instid0(VALU_DEP_1) | instskip(NEXT) | instid1(VALU_DEP_1)
	v_div_fmas_f64 v[212:213], v[212:213], v[220:221], v[222:223]
	v_div_fixup_f64 v[212:213], v[212:213], v[218:219], v[216:217]
	s_delay_alu instid0(VALU_DEP_1) | instskip(NEXT) | instid1(VALU_DEP_1)
	v_fma_f64 v[216:217], v[216:217], v[212:213], v[218:219]
	v_div_scale_f64 v[218:219], null, v[216:217], v[216:217], 1.0
	s_delay_alu instid0(VALU_DEP_1) | instskip(SKIP_2) | instid1(VALU_DEP_1)
	v_rcp_f64_e32 v[220:221], v[218:219]
	s_waitcnt_depctr 0xfff
	v_fma_f64 v[222:223], -v[218:219], v[220:221], 1.0
	v_fma_f64 v[220:221], v[220:221], v[222:223], v[220:221]
	s_delay_alu instid0(VALU_DEP_1) | instskip(NEXT) | instid1(VALU_DEP_1)
	v_fma_f64 v[222:223], -v[218:219], v[220:221], 1.0
	v_fma_f64 v[220:221], v[220:221], v[222:223], v[220:221]
	v_div_scale_f64 v[222:223], vcc_lo, 1.0, v[216:217], 1.0
	s_delay_alu instid0(VALU_DEP_1) | instskip(NEXT) | instid1(VALU_DEP_1)
	v_mul_f64 v[224:225], v[222:223], v[220:221]
	v_fma_f64 v[218:219], -v[218:219], v[224:225], v[222:223]
	s_delay_alu instid0(VALU_DEP_1) | instskip(NEXT) | instid1(VALU_DEP_1)
	v_div_fmas_f64 v[218:219], v[218:219], v[220:221], v[224:225]
	v_div_fixup_f64 v[222:223], v[218:219], v[216:217], 1.0
                                        ; implicit-def: $vgpr216_vgpr217
	s_delay_alu instid0(VALU_DEP_1)
	v_mul_f64 v[212:213], v[212:213], v[222:223]
	v_xor_b32_e32 v223, 0x80000000, v223
.LBB115_32:
	s_and_not1_saveexec_b32 s3, s3
	s_cbranch_execz .LBB115_34
; %bb.33:
	v_div_scale_f64 v[212:213], null, v[216:217], v[216:217], v[218:219]
	v_div_scale_f64 v[224:225], vcc_lo, v[218:219], v[216:217], v[218:219]
	s_delay_alu instid0(VALU_DEP_2) | instskip(SKIP_2) | instid1(VALU_DEP_1)
	v_rcp_f64_e32 v[220:221], v[212:213]
	s_waitcnt_depctr 0xfff
	v_fma_f64 v[222:223], -v[212:213], v[220:221], 1.0
	v_fma_f64 v[220:221], v[220:221], v[222:223], v[220:221]
	s_delay_alu instid0(VALU_DEP_1) | instskip(NEXT) | instid1(VALU_DEP_1)
	v_fma_f64 v[222:223], -v[212:213], v[220:221], 1.0
	v_fma_f64 v[220:221], v[220:221], v[222:223], v[220:221]
	s_delay_alu instid0(VALU_DEP_1) | instskip(NEXT) | instid1(VALU_DEP_1)
	v_mul_f64 v[222:223], v[224:225], v[220:221]
	v_fma_f64 v[212:213], -v[212:213], v[222:223], v[224:225]
	s_delay_alu instid0(VALU_DEP_1) | instskip(NEXT) | instid1(VALU_DEP_1)
	v_div_fmas_f64 v[212:213], v[212:213], v[220:221], v[222:223]
	v_div_fixup_f64 v[220:221], v[212:213], v[216:217], v[218:219]
	s_delay_alu instid0(VALU_DEP_1) | instskip(NEXT) | instid1(VALU_DEP_1)
	v_fma_f64 v[212:213], v[218:219], v[220:221], v[216:217]
	v_div_scale_f64 v[216:217], null, v[212:213], v[212:213], 1.0
	s_delay_alu instid0(VALU_DEP_1) | instskip(SKIP_2) | instid1(VALU_DEP_1)
	v_rcp_f64_e32 v[218:219], v[216:217]
	s_waitcnt_depctr 0xfff
	v_fma_f64 v[222:223], -v[216:217], v[218:219], 1.0
	v_fma_f64 v[218:219], v[218:219], v[222:223], v[218:219]
	s_delay_alu instid0(VALU_DEP_1) | instskip(NEXT) | instid1(VALU_DEP_1)
	v_fma_f64 v[222:223], -v[216:217], v[218:219], 1.0
	v_fma_f64 v[218:219], v[218:219], v[222:223], v[218:219]
	v_div_scale_f64 v[222:223], vcc_lo, 1.0, v[212:213], 1.0
	s_delay_alu instid0(VALU_DEP_1) | instskip(NEXT) | instid1(VALU_DEP_1)
	v_mul_f64 v[224:225], v[222:223], v[218:219]
	v_fma_f64 v[216:217], -v[216:217], v[224:225], v[222:223]
	s_delay_alu instid0(VALU_DEP_1) | instskip(NEXT) | instid1(VALU_DEP_1)
	v_div_fmas_f64 v[216:217], v[216:217], v[218:219], v[224:225]
	v_div_fixup_f64 v[212:213], v[216:217], v[212:213], 1.0
	s_delay_alu instid0(VALU_DEP_1)
	v_mul_f64 v[222:223], v[220:221], -v[212:213]
.LBB115_34:
	s_or_b32 exec_lo, exec_lo, s3
	ds_store_2addr_b64 v209, v[212:213], v[222:223] offset1:1
.LBB115_35:
	s_or_b32 exec_lo, exec_lo, s4
	s_waitcnt lgkmcnt(0)
	s_barrier
	buffer_gl0_inv
	ds_load_2addr_b64 v[204:207], v209 offset1:1
	s_mov_b32 s3, exec_lo
	s_waitcnt lgkmcnt(0)
	scratch_store_b128 off, v[204:207], off offset:612 ; 16-byte Folded Spill
	v_cmpx_lt_u32_e32 3, v208
	s_cbranch_execz .LBB115_37
; %bb.36:
	s_clause 0x1
	scratch_load_b128 v[222:225], off, off offset:48
	scratch_load_b128 v[204:207], off, off offset:612
	ds_load_2addr_b64 v[218:221], v214 offset0:8 offset1:9
	s_waitcnt vmcnt(0)
	v_mul_f64 v[212:213], v[206:207], v[224:225]
	s_delay_alu instid0(VALU_DEP_1) | instskip(SKIP_1) | instid1(VALU_DEP_1)
	v_fma_f64 v[216:217], v[204:205], v[222:223], -v[212:213]
	v_mul_f64 v[212:213], v[204:205], v[224:225]
	v_fma_f64 v[224:225], v[206:207], v[222:223], v[212:213]
	s_waitcnt lgkmcnt(0)
	s_delay_alu instid0(VALU_DEP_1) | instskip(NEXT) | instid1(VALU_DEP_1)
	v_mul_f64 v[212:213], v[220:221], v[224:225]
	v_fma_f64 v[212:213], v[218:219], v[216:217], -v[212:213]
	v_mul_f64 v[218:219], v[218:219], v[224:225]
	s_delay_alu instid0(VALU_DEP_1)
	v_fma_f64 v[218:219], v[220:221], v[216:217], v[218:219]
	scratch_load_b128 v[220:223], off, off offset:32 ; 16-byte Folded Reload
	s_waitcnt vmcnt(0)
	v_add_f64 v[220:221], v[220:221], -v[212:213]
	v_add_f64 v[222:223], v[222:223], -v[218:219]
	scratch_store_b128 off, v[220:223], off offset:32 ; 16-byte Folded Spill
	ds_load_2addr_b64 v[218:221], v214 offset0:10 offset1:11
	s_waitcnt lgkmcnt(0)
	v_mul_f64 v[212:213], v[220:221], v[224:225]
	s_delay_alu instid0(VALU_DEP_1) | instskip(SKIP_1) | instid1(VALU_DEP_1)
	v_fma_f64 v[212:213], v[218:219], v[216:217], -v[212:213]
	v_mul_f64 v[218:219], v[218:219], v[224:225]
	v_fma_f64 v[218:219], v[220:221], v[216:217], v[218:219]
	scratch_load_b128 v[220:223], off, off offset:16 ; 16-byte Folded Reload
	s_waitcnt vmcnt(0)
	v_add_f64 v[220:221], v[220:221], -v[212:213]
	v_add_f64 v[222:223], v[222:223], -v[218:219]
	scratch_store_b128 off, v[220:223], off offset:16 ; 16-byte Folded Spill
	ds_load_2addr_b64 v[218:221], v214 offset0:12 offset1:13
	s_waitcnt lgkmcnt(0)
	v_mul_f64 v[212:213], v[220:221], v[224:225]
	s_delay_alu instid0(VALU_DEP_1) | instskip(SKIP_1) | instid1(VALU_DEP_1)
	v_fma_f64 v[212:213], v[218:219], v[216:217], -v[212:213]
	v_mul_f64 v[218:219], v[218:219], v[224:225]
	v_fma_f64 v[218:219], v[220:221], v[216:217], v[218:219]
	scratch_load_b128 v[220:223], off, off  ; 16-byte Folded Reload
	s_waitcnt vmcnt(0)
	v_add_f64 v[220:221], v[220:221], -v[212:213]
	v_add_f64 v[222:223], v[222:223], -v[218:219]
	scratch_store_b128 off, v[220:223], off ; 16-byte Folded Spill
	ds_load_2addr_b64 v[218:221], v214 offset0:14 offset1:15
	v_dual_mov_b32 v223, v217 :: v_dual_mov_b32 v222, v216
	scratch_store_b128 off, v[222:225], off offset:48 ; 16-byte Folded Spill
	s_waitcnt lgkmcnt(0)
	v_mul_f64 v[212:213], v[220:221], v[224:225]
	s_delay_alu instid0(VALU_DEP_1) | instskip(SKIP_1) | instid1(VALU_DEP_2)
	v_fma_f64 v[212:213], v[218:219], v[216:217], -v[212:213]
	v_mul_f64 v[218:219], v[218:219], v[224:225]
	v_add_f64 v[200:201], v[200:201], -v[212:213]
	s_delay_alu instid0(VALU_DEP_2) | instskip(NEXT) | instid1(VALU_DEP_1)
	v_fma_f64 v[218:219], v[220:221], v[216:217], v[218:219]
	v_add_f64 v[202:203], v[202:203], -v[218:219]
	ds_load_2addr_b64 v[218:221], v214 offset0:16 offset1:17
	s_waitcnt lgkmcnt(0)
	v_mul_f64 v[212:213], v[220:221], v[224:225]
	s_delay_alu instid0(VALU_DEP_1) | instskip(SKIP_1) | instid1(VALU_DEP_2)
	v_fma_f64 v[212:213], v[218:219], v[216:217], -v[212:213]
	v_mul_f64 v[218:219], v[218:219], v[224:225]
	v_add_f64 v[196:197], v[196:197], -v[212:213]
	s_delay_alu instid0(VALU_DEP_2) | instskip(NEXT) | instid1(VALU_DEP_1)
	v_fma_f64 v[218:219], v[220:221], v[216:217], v[218:219]
	v_add_f64 v[198:199], v[198:199], -v[218:219]
	ds_load_2addr_b64 v[218:221], v214 offset0:18 offset1:19
	;; [unrolled: 10-line block ×50, first 2 shown]
	s_waitcnt lgkmcnt(0)
	v_mul_f64 v[212:213], v[220:221], v[224:225]
	s_delay_alu instid0(VALU_DEP_1) | instskip(SKIP_1) | instid1(VALU_DEP_2)
	v_fma_f64 v[212:213], v[218:219], v[216:217], -v[212:213]
	v_mul_f64 v[218:219], v[218:219], v[224:225]
	v_add_f64 v[0:1], v[0:1], -v[212:213]
	s_delay_alu instid0(VALU_DEP_2) | instskip(NEXT) | instid1(VALU_DEP_1)
	v_fma_f64 v[218:219], v[220:221], v[216:217], v[218:219]
	v_add_f64 v[2:3], v[2:3], -v[218:219]
.LBB115_37:
	s_or_b32 exec_lo, exec_lo, s3
	s_delay_alu instid0(SALU_CYCLE_1)
	s_mov_b32 s4, exec_lo
	s_waitcnt_vscnt null, 0x0
	s_barrier
	buffer_gl0_inv
	v_cmpx_eq_u32_e32 4, v208
	s_cbranch_execz .LBB115_44
; %bb.38:
	scratch_load_b128 v[215:218], off, off offset:32 ; 16-byte Folded Reload
	s_waitcnt vmcnt(0)
	ds_store_2addr_b64 v209, v[215:216], v[217:218] offset1:1
	scratch_load_b128 v[215:218], off, off offset:16 ; 16-byte Folded Reload
	s_waitcnt vmcnt(0)
	ds_store_2addr_b64 v214, v[215:216], v[217:218] offset0:10 offset1:11
	scratch_load_b128 v[215:218], off, off  ; 16-byte Folded Reload
	s_waitcnt vmcnt(0)
	ds_store_2addr_b64 v214, v[215:216], v[217:218] offset0:12 offset1:13
	ds_store_2addr_b64 v214, v[200:201], v[202:203] offset0:14 offset1:15
	;; [unrolled: 1-line block ×52, first 2 shown]
	ds_load_2addr_b64 v[216:219], v209 offset1:1
	s_waitcnt lgkmcnt(0)
	v_cmp_neq_f64_e32 vcc_lo, 0, v[216:217]
	v_cmp_neq_f64_e64 s3, 0, v[218:219]
	s_delay_alu instid0(VALU_DEP_1) | instskip(NEXT) | instid1(SALU_CYCLE_1)
	s_or_b32 s3, vcc_lo, s3
	s_and_b32 exec_lo, exec_lo, s3
	s_cbranch_execz .LBB115_44
; %bb.39:
	v_cmp_gt_f64_e32 vcc_lo, 0, v[216:217]
	v_xor_b32_e32 v212, 0x80000000, v217
	v_xor_b32_e32 v215, 0x80000000, v219
	s_delay_alu instid0(VALU_DEP_2) | instskip(SKIP_2) | instid1(VALU_DEP_4)
	v_cndmask_b32_e32 v213, v217, v212, vcc_lo
	v_cndmask_b32_e32 v212, v216, v216, vcc_lo
	v_cmp_gt_f64_e32 vcc_lo, 0, v[218:219]
	v_dual_cndmask_b32 v221, v219, v215 :: v_dual_cndmask_b32 v220, v218, v218
	s_delay_alu instid0(VALU_DEP_1) | instskip(SKIP_1) | instid1(SALU_CYCLE_1)
	v_cmp_ngt_f64_e32 vcc_lo, v[212:213], v[220:221]
                                        ; implicit-def: $vgpr212_vgpr213
	s_and_saveexec_b32 s3, vcc_lo
	s_xor_b32 s3, exec_lo, s3
                                        ; implicit-def: $vgpr220_vgpr221_vgpr222_vgpr223
	s_cbranch_execz .LBB115_41
; %bb.40:
	v_div_scale_f64 v[212:213], null, v[218:219], v[218:219], v[216:217]
	v_div_scale_f64 v[224:225], vcc_lo, v[216:217], v[218:219], v[216:217]
	s_delay_alu instid0(VALU_DEP_2) | instskip(SKIP_2) | instid1(VALU_DEP_1)
	v_rcp_f64_e32 v[220:221], v[212:213]
	s_waitcnt_depctr 0xfff
	v_fma_f64 v[222:223], -v[212:213], v[220:221], 1.0
	v_fma_f64 v[220:221], v[220:221], v[222:223], v[220:221]
	s_delay_alu instid0(VALU_DEP_1) | instskip(NEXT) | instid1(VALU_DEP_1)
	v_fma_f64 v[222:223], -v[212:213], v[220:221], 1.0
	v_fma_f64 v[220:221], v[220:221], v[222:223], v[220:221]
	s_delay_alu instid0(VALU_DEP_1) | instskip(NEXT) | instid1(VALU_DEP_1)
	v_mul_f64 v[222:223], v[224:225], v[220:221]
	v_fma_f64 v[212:213], -v[212:213], v[222:223], v[224:225]
	s_delay_alu instid0(VALU_DEP_1) | instskip(NEXT) | instid1(VALU_DEP_1)
	v_div_fmas_f64 v[212:213], v[212:213], v[220:221], v[222:223]
	v_div_fixup_f64 v[212:213], v[212:213], v[218:219], v[216:217]
	s_delay_alu instid0(VALU_DEP_1) | instskip(NEXT) | instid1(VALU_DEP_1)
	v_fma_f64 v[216:217], v[216:217], v[212:213], v[218:219]
	v_div_scale_f64 v[218:219], null, v[216:217], v[216:217], 1.0
	s_delay_alu instid0(VALU_DEP_1) | instskip(SKIP_2) | instid1(VALU_DEP_1)
	v_rcp_f64_e32 v[220:221], v[218:219]
	s_waitcnt_depctr 0xfff
	v_fma_f64 v[222:223], -v[218:219], v[220:221], 1.0
	v_fma_f64 v[220:221], v[220:221], v[222:223], v[220:221]
	s_delay_alu instid0(VALU_DEP_1) | instskip(NEXT) | instid1(VALU_DEP_1)
	v_fma_f64 v[222:223], -v[218:219], v[220:221], 1.0
	v_fma_f64 v[220:221], v[220:221], v[222:223], v[220:221]
	v_div_scale_f64 v[222:223], vcc_lo, 1.0, v[216:217], 1.0
	s_delay_alu instid0(VALU_DEP_1) | instskip(NEXT) | instid1(VALU_DEP_1)
	v_mul_f64 v[224:225], v[222:223], v[220:221]
	v_fma_f64 v[218:219], -v[218:219], v[224:225], v[222:223]
	s_delay_alu instid0(VALU_DEP_1) | instskip(NEXT) | instid1(VALU_DEP_1)
	v_div_fmas_f64 v[218:219], v[218:219], v[220:221], v[224:225]
	v_div_fixup_f64 v[222:223], v[218:219], v[216:217], 1.0
                                        ; implicit-def: $vgpr216_vgpr217
	s_delay_alu instid0(VALU_DEP_1)
	v_mul_f64 v[212:213], v[212:213], v[222:223]
	v_xor_b32_e32 v223, 0x80000000, v223
.LBB115_41:
	s_and_not1_saveexec_b32 s3, s3
	s_cbranch_execz .LBB115_43
; %bb.42:
	v_div_scale_f64 v[212:213], null, v[216:217], v[216:217], v[218:219]
	v_div_scale_f64 v[224:225], vcc_lo, v[218:219], v[216:217], v[218:219]
	s_delay_alu instid0(VALU_DEP_2) | instskip(SKIP_2) | instid1(VALU_DEP_1)
	v_rcp_f64_e32 v[220:221], v[212:213]
	s_waitcnt_depctr 0xfff
	v_fma_f64 v[222:223], -v[212:213], v[220:221], 1.0
	v_fma_f64 v[220:221], v[220:221], v[222:223], v[220:221]
	s_delay_alu instid0(VALU_DEP_1) | instskip(NEXT) | instid1(VALU_DEP_1)
	v_fma_f64 v[222:223], -v[212:213], v[220:221], 1.0
	v_fma_f64 v[220:221], v[220:221], v[222:223], v[220:221]
	s_delay_alu instid0(VALU_DEP_1) | instskip(NEXT) | instid1(VALU_DEP_1)
	v_mul_f64 v[222:223], v[224:225], v[220:221]
	v_fma_f64 v[212:213], -v[212:213], v[222:223], v[224:225]
	s_delay_alu instid0(VALU_DEP_1) | instskip(NEXT) | instid1(VALU_DEP_1)
	v_div_fmas_f64 v[212:213], v[212:213], v[220:221], v[222:223]
	v_div_fixup_f64 v[220:221], v[212:213], v[216:217], v[218:219]
	s_delay_alu instid0(VALU_DEP_1) | instskip(NEXT) | instid1(VALU_DEP_1)
	v_fma_f64 v[212:213], v[218:219], v[220:221], v[216:217]
	v_div_scale_f64 v[216:217], null, v[212:213], v[212:213], 1.0
	s_delay_alu instid0(VALU_DEP_1) | instskip(SKIP_2) | instid1(VALU_DEP_1)
	v_rcp_f64_e32 v[218:219], v[216:217]
	s_waitcnt_depctr 0xfff
	v_fma_f64 v[222:223], -v[216:217], v[218:219], 1.0
	v_fma_f64 v[218:219], v[218:219], v[222:223], v[218:219]
	s_delay_alu instid0(VALU_DEP_1) | instskip(NEXT) | instid1(VALU_DEP_1)
	v_fma_f64 v[222:223], -v[216:217], v[218:219], 1.0
	v_fma_f64 v[218:219], v[218:219], v[222:223], v[218:219]
	v_div_scale_f64 v[222:223], vcc_lo, 1.0, v[212:213], 1.0
	s_delay_alu instid0(VALU_DEP_1) | instskip(NEXT) | instid1(VALU_DEP_1)
	v_mul_f64 v[224:225], v[222:223], v[218:219]
	v_fma_f64 v[216:217], -v[216:217], v[224:225], v[222:223]
	s_delay_alu instid0(VALU_DEP_1) | instskip(NEXT) | instid1(VALU_DEP_1)
	v_div_fmas_f64 v[216:217], v[216:217], v[218:219], v[224:225]
	v_div_fixup_f64 v[212:213], v[216:217], v[212:213], 1.0
	s_delay_alu instid0(VALU_DEP_1)
	v_mul_f64 v[222:223], v[220:221], -v[212:213]
.LBB115_43:
	s_or_b32 exec_lo, exec_lo, s3
	ds_store_2addr_b64 v209, v[212:213], v[222:223] offset1:1
.LBB115_44:
	s_or_b32 exec_lo, exec_lo, s4
	s_waitcnt lgkmcnt(0)
	s_barrier
	buffer_gl0_inv
	ds_load_2addr_b64 v[204:207], v209 offset1:1
	s_mov_b32 s3, exec_lo
	s_waitcnt lgkmcnt(0)
	scratch_store_b128 off, v[204:207], off offset:628 ; 16-byte Folded Spill
	v_cmpx_lt_u32_e32 4, v208
	s_cbranch_execz .LBB115_46
; %bb.45:
	s_clause 0x1
	scratch_load_b128 v[222:225], off, off offset:32
	scratch_load_b128 v[204:207], off, off offset:628
	ds_load_2addr_b64 v[218:221], v214 offset0:10 offset1:11
	s_waitcnt vmcnt(0)
	v_mul_f64 v[212:213], v[206:207], v[224:225]
	s_delay_alu instid0(VALU_DEP_1) | instskip(SKIP_1) | instid1(VALU_DEP_1)
	v_fma_f64 v[216:217], v[204:205], v[222:223], -v[212:213]
	v_mul_f64 v[212:213], v[204:205], v[224:225]
	v_fma_f64 v[224:225], v[206:207], v[222:223], v[212:213]
	s_waitcnt lgkmcnt(0)
	s_delay_alu instid0(VALU_DEP_1) | instskip(NEXT) | instid1(VALU_DEP_1)
	v_mul_f64 v[212:213], v[220:221], v[224:225]
	v_fma_f64 v[212:213], v[218:219], v[216:217], -v[212:213]
	v_mul_f64 v[218:219], v[218:219], v[224:225]
	s_delay_alu instid0(VALU_DEP_1)
	v_fma_f64 v[218:219], v[220:221], v[216:217], v[218:219]
	scratch_load_b128 v[220:223], off, off offset:16 ; 16-byte Folded Reload
	s_waitcnt vmcnt(0)
	v_add_f64 v[220:221], v[220:221], -v[212:213]
	v_add_f64 v[222:223], v[222:223], -v[218:219]
	scratch_store_b128 off, v[220:223], off offset:16 ; 16-byte Folded Spill
	ds_load_2addr_b64 v[218:221], v214 offset0:12 offset1:13
	s_waitcnt lgkmcnt(0)
	v_mul_f64 v[212:213], v[220:221], v[224:225]
	s_delay_alu instid0(VALU_DEP_1) | instskip(SKIP_1) | instid1(VALU_DEP_1)
	v_fma_f64 v[212:213], v[218:219], v[216:217], -v[212:213]
	v_mul_f64 v[218:219], v[218:219], v[224:225]
	v_fma_f64 v[218:219], v[220:221], v[216:217], v[218:219]
	scratch_load_b128 v[220:223], off, off  ; 16-byte Folded Reload
	s_waitcnt vmcnt(0)
	v_add_f64 v[220:221], v[220:221], -v[212:213]
	v_add_f64 v[222:223], v[222:223], -v[218:219]
	scratch_store_b128 off, v[220:223], off ; 16-byte Folded Spill
	ds_load_2addr_b64 v[218:221], v214 offset0:14 offset1:15
	v_dual_mov_b32 v223, v217 :: v_dual_mov_b32 v222, v216
	scratch_store_b128 off, v[222:225], off offset:32 ; 16-byte Folded Spill
	s_waitcnt lgkmcnt(0)
	v_mul_f64 v[212:213], v[220:221], v[224:225]
	s_delay_alu instid0(VALU_DEP_1) | instskip(SKIP_1) | instid1(VALU_DEP_2)
	v_fma_f64 v[212:213], v[218:219], v[216:217], -v[212:213]
	v_mul_f64 v[218:219], v[218:219], v[224:225]
	v_add_f64 v[200:201], v[200:201], -v[212:213]
	s_delay_alu instid0(VALU_DEP_2) | instskip(NEXT) | instid1(VALU_DEP_1)
	v_fma_f64 v[218:219], v[220:221], v[216:217], v[218:219]
	v_add_f64 v[202:203], v[202:203], -v[218:219]
	ds_load_2addr_b64 v[218:221], v214 offset0:16 offset1:17
	s_waitcnt lgkmcnt(0)
	v_mul_f64 v[212:213], v[220:221], v[224:225]
	s_delay_alu instid0(VALU_DEP_1) | instskip(SKIP_1) | instid1(VALU_DEP_2)
	v_fma_f64 v[212:213], v[218:219], v[216:217], -v[212:213]
	v_mul_f64 v[218:219], v[218:219], v[224:225]
	v_add_f64 v[196:197], v[196:197], -v[212:213]
	s_delay_alu instid0(VALU_DEP_2) | instskip(NEXT) | instid1(VALU_DEP_1)
	v_fma_f64 v[218:219], v[220:221], v[216:217], v[218:219]
	v_add_f64 v[198:199], v[198:199], -v[218:219]
	ds_load_2addr_b64 v[218:221], v214 offset0:18 offset1:19
	;; [unrolled: 10-line block ×50, first 2 shown]
	s_waitcnt lgkmcnt(0)
	v_mul_f64 v[212:213], v[220:221], v[224:225]
	s_delay_alu instid0(VALU_DEP_1) | instskip(SKIP_1) | instid1(VALU_DEP_2)
	v_fma_f64 v[212:213], v[218:219], v[216:217], -v[212:213]
	v_mul_f64 v[218:219], v[218:219], v[224:225]
	v_add_f64 v[0:1], v[0:1], -v[212:213]
	s_delay_alu instid0(VALU_DEP_2) | instskip(NEXT) | instid1(VALU_DEP_1)
	v_fma_f64 v[218:219], v[220:221], v[216:217], v[218:219]
	v_add_f64 v[2:3], v[2:3], -v[218:219]
.LBB115_46:
	s_or_b32 exec_lo, exec_lo, s3
	s_delay_alu instid0(SALU_CYCLE_1)
	s_mov_b32 s4, exec_lo
	s_waitcnt_vscnt null, 0x0
	s_barrier
	buffer_gl0_inv
	v_cmpx_eq_u32_e32 5, v208
	s_cbranch_execz .LBB115_53
; %bb.47:
	scratch_load_b128 v[215:218], off, off offset:16 ; 16-byte Folded Reload
	s_waitcnt vmcnt(0)
	ds_store_2addr_b64 v209, v[215:216], v[217:218] offset1:1
	scratch_load_b128 v[215:218], off, off  ; 16-byte Folded Reload
	s_waitcnt vmcnt(0)
	ds_store_2addr_b64 v214, v[215:216], v[217:218] offset0:12 offset1:13
	ds_store_2addr_b64 v214, v[200:201], v[202:203] offset0:14 offset1:15
	;; [unrolled: 1-line block ×52, first 2 shown]
	ds_load_2addr_b64 v[216:219], v209 offset1:1
	s_waitcnt lgkmcnt(0)
	v_cmp_neq_f64_e32 vcc_lo, 0, v[216:217]
	v_cmp_neq_f64_e64 s3, 0, v[218:219]
	s_delay_alu instid0(VALU_DEP_1) | instskip(NEXT) | instid1(SALU_CYCLE_1)
	s_or_b32 s3, vcc_lo, s3
	s_and_b32 exec_lo, exec_lo, s3
	s_cbranch_execz .LBB115_53
; %bb.48:
	v_cmp_gt_f64_e32 vcc_lo, 0, v[216:217]
	v_xor_b32_e32 v212, 0x80000000, v217
	v_xor_b32_e32 v215, 0x80000000, v219
	s_delay_alu instid0(VALU_DEP_2) | instskip(SKIP_2) | instid1(VALU_DEP_4)
	v_cndmask_b32_e32 v213, v217, v212, vcc_lo
	v_cndmask_b32_e32 v212, v216, v216, vcc_lo
	v_cmp_gt_f64_e32 vcc_lo, 0, v[218:219]
	v_dual_cndmask_b32 v221, v219, v215 :: v_dual_cndmask_b32 v220, v218, v218
	s_delay_alu instid0(VALU_DEP_1) | instskip(SKIP_1) | instid1(SALU_CYCLE_1)
	v_cmp_ngt_f64_e32 vcc_lo, v[212:213], v[220:221]
                                        ; implicit-def: $vgpr212_vgpr213
	s_and_saveexec_b32 s3, vcc_lo
	s_xor_b32 s3, exec_lo, s3
                                        ; implicit-def: $vgpr220_vgpr221_vgpr222_vgpr223
	s_cbranch_execz .LBB115_50
; %bb.49:
	v_div_scale_f64 v[212:213], null, v[218:219], v[218:219], v[216:217]
	v_div_scale_f64 v[224:225], vcc_lo, v[216:217], v[218:219], v[216:217]
	s_delay_alu instid0(VALU_DEP_2) | instskip(SKIP_2) | instid1(VALU_DEP_1)
	v_rcp_f64_e32 v[220:221], v[212:213]
	s_waitcnt_depctr 0xfff
	v_fma_f64 v[222:223], -v[212:213], v[220:221], 1.0
	v_fma_f64 v[220:221], v[220:221], v[222:223], v[220:221]
	s_delay_alu instid0(VALU_DEP_1) | instskip(NEXT) | instid1(VALU_DEP_1)
	v_fma_f64 v[222:223], -v[212:213], v[220:221], 1.0
	v_fma_f64 v[220:221], v[220:221], v[222:223], v[220:221]
	s_delay_alu instid0(VALU_DEP_1) | instskip(NEXT) | instid1(VALU_DEP_1)
	v_mul_f64 v[222:223], v[224:225], v[220:221]
	v_fma_f64 v[212:213], -v[212:213], v[222:223], v[224:225]
	s_delay_alu instid0(VALU_DEP_1) | instskip(NEXT) | instid1(VALU_DEP_1)
	v_div_fmas_f64 v[212:213], v[212:213], v[220:221], v[222:223]
	v_div_fixup_f64 v[212:213], v[212:213], v[218:219], v[216:217]
	s_delay_alu instid0(VALU_DEP_1) | instskip(NEXT) | instid1(VALU_DEP_1)
	v_fma_f64 v[216:217], v[216:217], v[212:213], v[218:219]
	v_div_scale_f64 v[218:219], null, v[216:217], v[216:217], 1.0
	s_delay_alu instid0(VALU_DEP_1) | instskip(SKIP_2) | instid1(VALU_DEP_1)
	v_rcp_f64_e32 v[220:221], v[218:219]
	s_waitcnt_depctr 0xfff
	v_fma_f64 v[222:223], -v[218:219], v[220:221], 1.0
	v_fma_f64 v[220:221], v[220:221], v[222:223], v[220:221]
	s_delay_alu instid0(VALU_DEP_1) | instskip(NEXT) | instid1(VALU_DEP_1)
	v_fma_f64 v[222:223], -v[218:219], v[220:221], 1.0
	v_fma_f64 v[220:221], v[220:221], v[222:223], v[220:221]
	v_div_scale_f64 v[222:223], vcc_lo, 1.0, v[216:217], 1.0
	s_delay_alu instid0(VALU_DEP_1) | instskip(NEXT) | instid1(VALU_DEP_1)
	v_mul_f64 v[224:225], v[222:223], v[220:221]
	v_fma_f64 v[218:219], -v[218:219], v[224:225], v[222:223]
	s_delay_alu instid0(VALU_DEP_1) | instskip(NEXT) | instid1(VALU_DEP_1)
	v_div_fmas_f64 v[218:219], v[218:219], v[220:221], v[224:225]
	v_div_fixup_f64 v[222:223], v[218:219], v[216:217], 1.0
                                        ; implicit-def: $vgpr216_vgpr217
	s_delay_alu instid0(VALU_DEP_1)
	v_mul_f64 v[212:213], v[212:213], v[222:223]
	v_xor_b32_e32 v223, 0x80000000, v223
.LBB115_50:
	s_and_not1_saveexec_b32 s3, s3
	s_cbranch_execz .LBB115_52
; %bb.51:
	v_div_scale_f64 v[212:213], null, v[216:217], v[216:217], v[218:219]
	v_div_scale_f64 v[224:225], vcc_lo, v[218:219], v[216:217], v[218:219]
	s_delay_alu instid0(VALU_DEP_2) | instskip(SKIP_2) | instid1(VALU_DEP_1)
	v_rcp_f64_e32 v[220:221], v[212:213]
	s_waitcnt_depctr 0xfff
	v_fma_f64 v[222:223], -v[212:213], v[220:221], 1.0
	v_fma_f64 v[220:221], v[220:221], v[222:223], v[220:221]
	s_delay_alu instid0(VALU_DEP_1) | instskip(NEXT) | instid1(VALU_DEP_1)
	v_fma_f64 v[222:223], -v[212:213], v[220:221], 1.0
	v_fma_f64 v[220:221], v[220:221], v[222:223], v[220:221]
	s_delay_alu instid0(VALU_DEP_1) | instskip(NEXT) | instid1(VALU_DEP_1)
	v_mul_f64 v[222:223], v[224:225], v[220:221]
	v_fma_f64 v[212:213], -v[212:213], v[222:223], v[224:225]
	s_delay_alu instid0(VALU_DEP_1) | instskip(NEXT) | instid1(VALU_DEP_1)
	v_div_fmas_f64 v[212:213], v[212:213], v[220:221], v[222:223]
	v_div_fixup_f64 v[220:221], v[212:213], v[216:217], v[218:219]
	s_delay_alu instid0(VALU_DEP_1) | instskip(NEXT) | instid1(VALU_DEP_1)
	v_fma_f64 v[212:213], v[218:219], v[220:221], v[216:217]
	v_div_scale_f64 v[216:217], null, v[212:213], v[212:213], 1.0
	s_delay_alu instid0(VALU_DEP_1) | instskip(SKIP_2) | instid1(VALU_DEP_1)
	v_rcp_f64_e32 v[218:219], v[216:217]
	s_waitcnt_depctr 0xfff
	v_fma_f64 v[222:223], -v[216:217], v[218:219], 1.0
	v_fma_f64 v[218:219], v[218:219], v[222:223], v[218:219]
	s_delay_alu instid0(VALU_DEP_1) | instskip(NEXT) | instid1(VALU_DEP_1)
	v_fma_f64 v[222:223], -v[216:217], v[218:219], 1.0
	v_fma_f64 v[218:219], v[218:219], v[222:223], v[218:219]
	v_div_scale_f64 v[222:223], vcc_lo, 1.0, v[212:213], 1.0
	s_delay_alu instid0(VALU_DEP_1) | instskip(NEXT) | instid1(VALU_DEP_1)
	v_mul_f64 v[224:225], v[222:223], v[218:219]
	v_fma_f64 v[216:217], -v[216:217], v[224:225], v[222:223]
	s_delay_alu instid0(VALU_DEP_1) | instskip(NEXT) | instid1(VALU_DEP_1)
	v_div_fmas_f64 v[216:217], v[216:217], v[218:219], v[224:225]
	v_div_fixup_f64 v[212:213], v[216:217], v[212:213], 1.0
	s_delay_alu instid0(VALU_DEP_1)
	v_mul_f64 v[222:223], v[220:221], -v[212:213]
.LBB115_52:
	s_or_b32 exec_lo, exec_lo, s3
	ds_store_2addr_b64 v209, v[212:213], v[222:223] offset1:1
.LBB115_53:
	s_or_b32 exec_lo, exec_lo, s4
	s_waitcnt lgkmcnt(0)
	s_barrier
	buffer_gl0_inv
	ds_load_2addr_b64 v[204:207], v209 offset1:1
	s_mov_b32 s3, exec_lo
	s_waitcnt lgkmcnt(0)
	scratch_store_b128 off, v[204:207], off offset:644 ; 16-byte Folded Spill
	v_cmpx_lt_u32_e32 5, v208
	s_cbranch_execz .LBB115_55
; %bb.54:
	s_clause 0x1
	scratch_load_b128 v[220:223], off, off offset:16
	scratch_load_b128 v[224:227], off, off offset:644
	v_dual_mov_b32 v204, v210 :: v_dual_mov_b32 v205, v211
	s_waitcnt vmcnt(0)
	v_mul_f64 v[210:211], v[224:225], v[222:223]
	v_mul_f64 v[212:213], v[226:227], v[222:223]
	s_delay_alu instid0(VALU_DEP_2) | instskip(NEXT) | instid1(VALU_DEP_2)
	v_fma_f64 v[222:223], v[226:227], v[220:221], v[210:211]
	v_fma_f64 v[216:217], v[224:225], v[220:221], -v[212:213]
	ds_load_2addr_b64 v[218:221], v214 offset0:12 offset1:13
	v_dual_mov_b32 v211, v205 :: v_dual_mov_b32 v210, v204
	v_mov_b32_e32 v204, v209
	s_waitcnt lgkmcnt(0)
	v_mul_f64 v[208:209], v[220:221], v[222:223]
	v_mul_f64 v[212:213], v[218:219], v[222:223]
	s_delay_alu instid0(VALU_DEP_2) | instskip(NEXT) | instid1(VALU_DEP_2)
	v_fma_f64 v[208:209], v[218:219], v[216:217], -v[208:209]
	v_fma_f64 v[212:213], v[220:221], v[216:217], v[212:213]
	scratch_load_b128 v[218:221], off, off  ; 16-byte Folded Reload
	s_waitcnt vmcnt(0)
	v_add_f64 v[218:219], v[218:219], -v[208:209]
	v_add_f64 v[220:221], v[220:221], -v[212:213]
	scratch_store_b128 off, v[218:221], off ; 16-byte Folded Spill
	ds_load_2addr_b64 v[218:221], v214 offset0:14 offset1:15
	s_waitcnt lgkmcnt(0)
	v_mul_f64 v[208:209], v[220:221], v[222:223]
	v_mul_f64 v[212:213], v[218:219], v[222:223]
	s_delay_alu instid0(VALU_DEP_2) | instskip(NEXT) | instid1(VALU_DEP_2)
	v_fma_f64 v[208:209], v[218:219], v[216:217], -v[208:209]
	v_fma_f64 v[212:213], v[220:221], v[216:217], v[212:213]
	ds_load_2addr_b64 v[218:221], v214 offset0:16 offset1:17
	v_add_f64 v[200:201], v[200:201], -v[208:209]
	s_waitcnt lgkmcnt(0)
	v_mul_f64 v[208:209], v[220:221], v[222:223]
	v_add_f64 v[202:203], v[202:203], -v[212:213]
	v_mul_f64 v[212:213], v[218:219], v[222:223]
	s_delay_alu instid0(VALU_DEP_3) | instskip(NEXT) | instid1(VALU_DEP_2)
	v_fma_f64 v[208:209], v[218:219], v[216:217], -v[208:209]
	v_fma_f64 v[212:213], v[220:221], v[216:217], v[212:213]
	ds_load_2addr_b64 v[218:221], v214 offset0:18 offset1:19
	v_add_f64 v[196:197], v[196:197], -v[208:209]
	s_waitcnt lgkmcnt(0)
	v_mul_f64 v[208:209], v[220:221], v[222:223]
	v_add_f64 v[198:199], v[198:199], -v[212:213]
	v_mul_f64 v[212:213], v[218:219], v[222:223]
	s_delay_alu instid0(VALU_DEP_3) | instskip(NEXT) | instid1(VALU_DEP_2)
	;; [unrolled: 9-line block ×50, first 2 shown]
	v_fma_f64 v[208:209], v[218:219], v[216:217], -v[208:209]
	v_fma_f64 v[212:213], v[220:221], v[216:217], v[212:213]
	v_dual_mov_b32 v221, v217 :: v_dual_mov_b32 v220, v216
	scratch_store_b128 off, v[220:223], off offset:16 ; 16-byte Folded Spill
	v_add_f64 v[0:1], v[0:1], -v[208:209]
	scratch_load_b32 v208, off, off offset:112 ; 4-byte Folded Reload
	v_add_f64 v[2:3], v[2:3], -v[212:213]
	v_mov_b32_e32 v209, v204
.LBB115_55:
	s_or_b32 exec_lo, exec_lo, s3
	s_delay_alu instid0(SALU_CYCLE_1)
	s_mov_b32 s4, exec_lo
	s_waitcnt vmcnt(0)
	s_waitcnt_vscnt null, 0x0
	s_barrier
	buffer_gl0_inv
	v_cmpx_eq_u32_e32 6, v208
	s_cbranch_execz .LBB115_62
; %bb.56:
	scratch_load_b128 v[215:218], off, off  ; 16-byte Folded Reload
	s_waitcnt vmcnt(0)
	ds_store_2addr_b64 v209, v[215:216], v[217:218] offset1:1
	ds_store_2addr_b64 v214, v[200:201], v[202:203] offset0:14 offset1:15
	ds_store_2addr_b64 v214, v[196:197], v[198:199] offset0:16 offset1:17
	;; [unrolled: 1-line block ×51, first 2 shown]
	ds_load_2addr_b64 v[216:219], v209 offset1:1
	s_waitcnt lgkmcnt(0)
	v_cmp_neq_f64_e32 vcc_lo, 0, v[216:217]
	v_cmp_neq_f64_e64 s3, 0, v[218:219]
	s_delay_alu instid0(VALU_DEP_1) | instskip(NEXT) | instid1(SALU_CYCLE_1)
	s_or_b32 s3, vcc_lo, s3
	s_and_b32 exec_lo, exec_lo, s3
	s_cbranch_execz .LBB115_62
; %bb.57:
	v_cmp_gt_f64_e32 vcc_lo, 0, v[216:217]
	v_xor_b32_e32 v212, 0x80000000, v217
	v_xor_b32_e32 v215, 0x80000000, v219
	s_delay_alu instid0(VALU_DEP_2) | instskip(SKIP_2) | instid1(VALU_DEP_4)
	v_cndmask_b32_e32 v213, v217, v212, vcc_lo
	v_cndmask_b32_e32 v212, v216, v216, vcc_lo
	v_cmp_gt_f64_e32 vcc_lo, 0, v[218:219]
	v_dual_cndmask_b32 v221, v219, v215 :: v_dual_cndmask_b32 v220, v218, v218
	s_delay_alu instid0(VALU_DEP_1) | instskip(SKIP_1) | instid1(SALU_CYCLE_1)
	v_cmp_ngt_f64_e32 vcc_lo, v[212:213], v[220:221]
                                        ; implicit-def: $vgpr212_vgpr213
	s_and_saveexec_b32 s3, vcc_lo
	s_xor_b32 s3, exec_lo, s3
                                        ; implicit-def: $vgpr220_vgpr221_vgpr222_vgpr223
	s_cbranch_execz .LBB115_59
; %bb.58:
	v_div_scale_f64 v[212:213], null, v[218:219], v[218:219], v[216:217]
	v_div_scale_f64 v[224:225], vcc_lo, v[216:217], v[218:219], v[216:217]
	s_delay_alu instid0(VALU_DEP_2) | instskip(SKIP_2) | instid1(VALU_DEP_1)
	v_rcp_f64_e32 v[220:221], v[212:213]
	s_waitcnt_depctr 0xfff
	v_fma_f64 v[222:223], -v[212:213], v[220:221], 1.0
	v_fma_f64 v[220:221], v[220:221], v[222:223], v[220:221]
	s_delay_alu instid0(VALU_DEP_1) | instskip(NEXT) | instid1(VALU_DEP_1)
	v_fma_f64 v[222:223], -v[212:213], v[220:221], 1.0
	v_fma_f64 v[220:221], v[220:221], v[222:223], v[220:221]
	s_delay_alu instid0(VALU_DEP_1) | instskip(NEXT) | instid1(VALU_DEP_1)
	v_mul_f64 v[222:223], v[224:225], v[220:221]
	v_fma_f64 v[212:213], -v[212:213], v[222:223], v[224:225]
	s_delay_alu instid0(VALU_DEP_1) | instskip(NEXT) | instid1(VALU_DEP_1)
	v_div_fmas_f64 v[212:213], v[212:213], v[220:221], v[222:223]
	v_div_fixup_f64 v[212:213], v[212:213], v[218:219], v[216:217]
	s_delay_alu instid0(VALU_DEP_1) | instskip(NEXT) | instid1(VALU_DEP_1)
	v_fma_f64 v[216:217], v[216:217], v[212:213], v[218:219]
	v_div_scale_f64 v[218:219], null, v[216:217], v[216:217], 1.0
	s_delay_alu instid0(VALU_DEP_1) | instskip(SKIP_2) | instid1(VALU_DEP_1)
	v_rcp_f64_e32 v[220:221], v[218:219]
	s_waitcnt_depctr 0xfff
	v_fma_f64 v[222:223], -v[218:219], v[220:221], 1.0
	v_fma_f64 v[220:221], v[220:221], v[222:223], v[220:221]
	s_delay_alu instid0(VALU_DEP_1) | instskip(NEXT) | instid1(VALU_DEP_1)
	v_fma_f64 v[222:223], -v[218:219], v[220:221], 1.0
	v_fma_f64 v[220:221], v[220:221], v[222:223], v[220:221]
	v_div_scale_f64 v[222:223], vcc_lo, 1.0, v[216:217], 1.0
	s_delay_alu instid0(VALU_DEP_1) | instskip(NEXT) | instid1(VALU_DEP_1)
	v_mul_f64 v[224:225], v[222:223], v[220:221]
	v_fma_f64 v[218:219], -v[218:219], v[224:225], v[222:223]
	s_delay_alu instid0(VALU_DEP_1) | instskip(NEXT) | instid1(VALU_DEP_1)
	v_div_fmas_f64 v[218:219], v[218:219], v[220:221], v[224:225]
	v_div_fixup_f64 v[222:223], v[218:219], v[216:217], 1.0
                                        ; implicit-def: $vgpr216_vgpr217
	s_delay_alu instid0(VALU_DEP_1)
	v_mul_f64 v[212:213], v[212:213], v[222:223]
	v_xor_b32_e32 v223, 0x80000000, v223
.LBB115_59:
	s_and_not1_saveexec_b32 s3, s3
	s_cbranch_execz .LBB115_61
; %bb.60:
	v_div_scale_f64 v[212:213], null, v[216:217], v[216:217], v[218:219]
	v_div_scale_f64 v[224:225], vcc_lo, v[218:219], v[216:217], v[218:219]
	s_delay_alu instid0(VALU_DEP_2) | instskip(SKIP_2) | instid1(VALU_DEP_1)
	v_rcp_f64_e32 v[220:221], v[212:213]
	s_waitcnt_depctr 0xfff
	v_fma_f64 v[222:223], -v[212:213], v[220:221], 1.0
	v_fma_f64 v[220:221], v[220:221], v[222:223], v[220:221]
	s_delay_alu instid0(VALU_DEP_1) | instskip(NEXT) | instid1(VALU_DEP_1)
	v_fma_f64 v[222:223], -v[212:213], v[220:221], 1.0
	v_fma_f64 v[220:221], v[220:221], v[222:223], v[220:221]
	s_delay_alu instid0(VALU_DEP_1) | instskip(NEXT) | instid1(VALU_DEP_1)
	v_mul_f64 v[222:223], v[224:225], v[220:221]
	v_fma_f64 v[212:213], -v[212:213], v[222:223], v[224:225]
	s_delay_alu instid0(VALU_DEP_1) | instskip(NEXT) | instid1(VALU_DEP_1)
	v_div_fmas_f64 v[212:213], v[212:213], v[220:221], v[222:223]
	v_div_fixup_f64 v[220:221], v[212:213], v[216:217], v[218:219]
	s_delay_alu instid0(VALU_DEP_1) | instskip(NEXT) | instid1(VALU_DEP_1)
	v_fma_f64 v[212:213], v[218:219], v[220:221], v[216:217]
	v_div_scale_f64 v[216:217], null, v[212:213], v[212:213], 1.0
	s_delay_alu instid0(VALU_DEP_1) | instskip(SKIP_2) | instid1(VALU_DEP_1)
	v_rcp_f64_e32 v[218:219], v[216:217]
	s_waitcnt_depctr 0xfff
	v_fma_f64 v[222:223], -v[216:217], v[218:219], 1.0
	v_fma_f64 v[218:219], v[218:219], v[222:223], v[218:219]
	s_delay_alu instid0(VALU_DEP_1) | instskip(NEXT) | instid1(VALU_DEP_1)
	v_fma_f64 v[222:223], -v[216:217], v[218:219], 1.0
	v_fma_f64 v[218:219], v[218:219], v[222:223], v[218:219]
	v_div_scale_f64 v[222:223], vcc_lo, 1.0, v[212:213], 1.0
	s_delay_alu instid0(VALU_DEP_1) | instskip(NEXT) | instid1(VALU_DEP_1)
	v_mul_f64 v[224:225], v[222:223], v[218:219]
	v_fma_f64 v[216:217], -v[216:217], v[224:225], v[222:223]
	s_delay_alu instid0(VALU_DEP_1) | instskip(NEXT) | instid1(VALU_DEP_1)
	v_div_fmas_f64 v[216:217], v[216:217], v[218:219], v[224:225]
	v_div_fixup_f64 v[212:213], v[216:217], v[212:213], 1.0
	s_delay_alu instid0(VALU_DEP_1)
	v_mul_f64 v[222:223], v[220:221], -v[212:213]
.LBB115_61:
	s_or_b32 exec_lo, exec_lo, s3
	ds_store_2addr_b64 v209, v[212:213], v[222:223] offset1:1
.LBB115_62:
	s_or_b32 exec_lo, exec_lo, s4
	s_waitcnt lgkmcnt(0)
	s_barrier
	buffer_gl0_inv
	ds_load_2addr_b64 v[204:207], v209 offset1:1
	s_mov_b32 s3, exec_lo
	s_waitcnt lgkmcnt(0)
	scratch_store_b128 off, v[204:207], off offset:660 ; 16-byte Folded Spill
	v_cmpx_lt_u32_e32 6, v208
	s_cbranch_execz .LBB115_64
; %bb.63:
	s_clause 0x1
	scratch_load_b128 v[220:223], off, off
	scratch_load_b128 v[224:227], off, off offset:660
	s_waitcnt vmcnt(0)
	v_mul_f64 v[206:207], v[224:225], v[222:223]
	v_mul_f64 v[212:213], v[226:227], v[222:223]
	s_delay_alu instid0(VALU_DEP_2) | instskip(NEXT) | instid1(VALU_DEP_2)
	v_fma_f64 v[222:223], v[226:227], v[220:221], v[206:207]
	v_fma_f64 v[216:217], v[224:225], v[220:221], -v[212:213]
	ds_load_2addr_b64 v[218:221], v214 offset0:14 offset1:15
	s_waitcnt lgkmcnt(0)
	v_mul_f64 v[204:205], v[220:221], v[222:223]
	v_mul_f64 v[212:213], v[218:219], v[222:223]
	s_delay_alu instid0(VALU_DEP_2) | instskip(NEXT) | instid1(VALU_DEP_2)
	v_fma_f64 v[204:205], v[218:219], v[216:217], -v[204:205]
	v_fma_f64 v[212:213], v[220:221], v[216:217], v[212:213]
	ds_load_2addr_b64 v[218:221], v214 offset0:16 offset1:17
	v_add_f64 v[200:201], v[200:201], -v[204:205]
	v_add_f64 v[202:203], v[202:203], -v[212:213]
	s_waitcnt lgkmcnt(0)
	v_mul_f64 v[204:205], v[220:221], v[222:223]
	v_mul_f64 v[212:213], v[218:219], v[222:223]
	s_delay_alu instid0(VALU_DEP_2) | instskip(NEXT) | instid1(VALU_DEP_2)
	v_fma_f64 v[204:205], v[218:219], v[216:217], -v[204:205]
	v_fma_f64 v[212:213], v[220:221], v[216:217], v[212:213]
	ds_load_2addr_b64 v[218:221], v214 offset0:18 offset1:19
	v_add_f64 v[196:197], v[196:197], -v[204:205]
	v_add_f64 v[198:199], v[198:199], -v[212:213]
	;; [unrolled: 9-line block ×50, first 2 shown]
	s_waitcnt lgkmcnt(0)
	v_mul_f64 v[204:205], v[220:221], v[222:223]
	v_mul_f64 v[212:213], v[218:219], v[222:223]
	s_delay_alu instid0(VALU_DEP_2) | instskip(NEXT) | instid1(VALU_DEP_2)
	v_fma_f64 v[204:205], v[218:219], v[216:217], -v[204:205]
	v_fma_f64 v[212:213], v[220:221], v[216:217], v[212:213]
	v_dual_mov_b32 v221, v217 :: v_dual_mov_b32 v220, v216
	scratch_store_b128 off, v[220:223], off ; 16-byte Folded Spill
	v_add_f64 v[0:1], v[0:1], -v[204:205]
	v_add_f64 v[2:3], v[2:3], -v[212:213]
.LBB115_64:
	s_or_b32 exec_lo, exec_lo, s3
	s_delay_alu instid0(SALU_CYCLE_1)
	s_mov_b32 s4, exec_lo
	s_waitcnt_vscnt null, 0x0
	s_barrier
	buffer_gl0_inv
	v_cmpx_eq_u32_e32 7, v208
	s_cbranch_execz .LBB115_71
; %bb.65:
	ds_store_2addr_b64 v209, v[200:201], v[202:203] offset1:1
	ds_store_2addr_b64 v214, v[196:197], v[198:199] offset0:16 offset1:17
	ds_store_2addr_b64 v214, v[192:193], v[194:195] offset0:18 offset1:19
	;; [unrolled: 1-line block ×50, first 2 shown]
	ds_load_2addr_b64 v[216:219], v209 offset1:1
	s_waitcnt lgkmcnt(0)
	v_cmp_neq_f64_e32 vcc_lo, 0, v[216:217]
	v_cmp_neq_f64_e64 s3, 0, v[218:219]
	s_delay_alu instid0(VALU_DEP_1) | instskip(NEXT) | instid1(SALU_CYCLE_1)
	s_or_b32 s3, vcc_lo, s3
	s_and_b32 exec_lo, exec_lo, s3
	s_cbranch_execz .LBB115_71
; %bb.66:
	v_cmp_gt_f64_e32 vcc_lo, 0, v[216:217]
	v_xor_b32_e32 v212, 0x80000000, v217
	v_xor_b32_e32 v215, 0x80000000, v219
	s_delay_alu instid0(VALU_DEP_2) | instskip(SKIP_2) | instid1(VALU_DEP_4)
	v_cndmask_b32_e32 v213, v217, v212, vcc_lo
	v_cndmask_b32_e32 v212, v216, v216, vcc_lo
	v_cmp_gt_f64_e32 vcc_lo, 0, v[218:219]
	v_dual_cndmask_b32 v221, v219, v215 :: v_dual_cndmask_b32 v220, v218, v218
	s_delay_alu instid0(VALU_DEP_1) | instskip(SKIP_1) | instid1(SALU_CYCLE_1)
	v_cmp_ngt_f64_e32 vcc_lo, v[212:213], v[220:221]
                                        ; implicit-def: $vgpr212_vgpr213
	s_and_saveexec_b32 s3, vcc_lo
	s_xor_b32 s3, exec_lo, s3
                                        ; implicit-def: $vgpr220_vgpr221_vgpr222_vgpr223
	s_cbranch_execz .LBB115_68
; %bb.67:
	v_div_scale_f64 v[212:213], null, v[218:219], v[218:219], v[216:217]
	v_div_scale_f64 v[224:225], vcc_lo, v[216:217], v[218:219], v[216:217]
	s_delay_alu instid0(VALU_DEP_2) | instskip(SKIP_2) | instid1(VALU_DEP_1)
	v_rcp_f64_e32 v[220:221], v[212:213]
	s_waitcnt_depctr 0xfff
	v_fma_f64 v[222:223], -v[212:213], v[220:221], 1.0
	v_fma_f64 v[220:221], v[220:221], v[222:223], v[220:221]
	s_delay_alu instid0(VALU_DEP_1) | instskip(NEXT) | instid1(VALU_DEP_1)
	v_fma_f64 v[222:223], -v[212:213], v[220:221], 1.0
	v_fma_f64 v[220:221], v[220:221], v[222:223], v[220:221]
	s_delay_alu instid0(VALU_DEP_1) | instskip(NEXT) | instid1(VALU_DEP_1)
	v_mul_f64 v[222:223], v[224:225], v[220:221]
	v_fma_f64 v[212:213], -v[212:213], v[222:223], v[224:225]
	s_delay_alu instid0(VALU_DEP_1) | instskip(NEXT) | instid1(VALU_DEP_1)
	v_div_fmas_f64 v[212:213], v[212:213], v[220:221], v[222:223]
	v_div_fixup_f64 v[212:213], v[212:213], v[218:219], v[216:217]
	s_delay_alu instid0(VALU_DEP_1) | instskip(NEXT) | instid1(VALU_DEP_1)
	v_fma_f64 v[216:217], v[216:217], v[212:213], v[218:219]
	v_div_scale_f64 v[218:219], null, v[216:217], v[216:217], 1.0
	s_delay_alu instid0(VALU_DEP_1) | instskip(SKIP_2) | instid1(VALU_DEP_1)
	v_rcp_f64_e32 v[220:221], v[218:219]
	s_waitcnt_depctr 0xfff
	v_fma_f64 v[222:223], -v[218:219], v[220:221], 1.0
	v_fma_f64 v[220:221], v[220:221], v[222:223], v[220:221]
	s_delay_alu instid0(VALU_DEP_1) | instskip(NEXT) | instid1(VALU_DEP_1)
	v_fma_f64 v[222:223], -v[218:219], v[220:221], 1.0
	v_fma_f64 v[220:221], v[220:221], v[222:223], v[220:221]
	v_div_scale_f64 v[222:223], vcc_lo, 1.0, v[216:217], 1.0
	s_delay_alu instid0(VALU_DEP_1) | instskip(NEXT) | instid1(VALU_DEP_1)
	v_mul_f64 v[224:225], v[222:223], v[220:221]
	v_fma_f64 v[218:219], -v[218:219], v[224:225], v[222:223]
	s_delay_alu instid0(VALU_DEP_1) | instskip(NEXT) | instid1(VALU_DEP_1)
	v_div_fmas_f64 v[218:219], v[218:219], v[220:221], v[224:225]
	v_div_fixup_f64 v[222:223], v[218:219], v[216:217], 1.0
                                        ; implicit-def: $vgpr216_vgpr217
	s_delay_alu instid0(VALU_DEP_1)
	v_mul_f64 v[212:213], v[212:213], v[222:223]
	v_xor_b32_e32 v223, 0x80000000, v223
.LBB115_68:
	s_and_not1_saveexec_b32 s3, s3
	s_cbranch_execz .LBB115_70
; %bb.69:
	v_div_scale_f64 v[212:213], null, v[216:217], v[216:217], v[218:219]
	v_div_scale_f64 v[224:225], vcc_lo, v[218:219], v[216:217], v[218:219]
	s_delay_alu instid0(VALU_DEP_2) | instskip(SKIP_2) | instid1(VALU_DEP_1)
	v_rcp_f64_e32 v[220:221], v[212:213]
	s_waitcnt_depctr 0xfff
	v_fma_f64 v[222:223], -v[212:213], v[220:221], 1.0
	v_fma_f64 v[220:221], v[220:221], v[222:223], v[220:221]
	s_delay_alu instid0(VALU_DEP_1) | instskip(NEXT) | instid1(VALU_DEP_1)
	v_fma_f64 v[222:223], -v[212:213], v[220:221], 1.0
	v_fma_f64 v[220:221], v[220:221], v[222:223], v[220:221]
	s_delay_alu instid0(VALU_DEP_1) | instskip(NEXT) | instid1(VALU_DEP_1)
	v_mul_f64 v[222:223], v[224:225], v[220:221]
	v_fma_f64 v[212:213], -v[212:213], v[222:223], v[224:225]
	s_delay_alu instid0(VALU_DEP_1) | instskip(NEXT) | instid1(VALU_DEP_1)
	v_div_fmas_f64 v[212:213], v[212:213], v[220:221], v[222:223]
	v_div_fixup_f64 v[220:221], v[212:213], v[216:217], v[218:219]
	s_delay_alu instid0(VALU_DEP_1) | instskip(NEXT) | instid1(VALU_DEP_1)
	v_fma_f64 v[212:213], v[218:219], v[220:221], v[216:217]
	v_div_scale_f64 v[216:217], null, v[212:213], v[212:213], 1.0
	s_delay_alu instid0(VALU_DEP_1) | instskip(SKIP_2) | instid1(VALU_DEP_1)
	v_rcp_f64_e32 v[218:219], v[216:217]
	s_waitcnt_depctr 0xfff
	v_fma_f64 v[222:223], -v[216:217], v[218:219], 1.0
	v_fma_f64 v[218:219], v[218:219], v[222:223], v[218:219]
	s_delay_alu instid0(VALU_DEP_1) | instskip(NEXT) | instid1(VALU_DEP_1)
	v_fma_f64 v[222:223], -v[216:217], v[218:219], 1.0
	v_fma_f64 v[218:219], v[218:219], v[222:223], v[218:219]
	v_div_scale_f64 v[222:223], vcc_lo, 1.0, v[212:213], 1.0
	s_delay_alu instid0(VALU_DEP_1) | instskip(NEXT) | instid1(VALU_DEP_1)
	v_mul_f64 v[224:225], v[222:223], v[218:219]
	v_fma_f64 v[216:217], -v[216:217], v[224:225], v[222:223]
	s_delay_alu instid0(VALU_DEP_1) | instskip(NEXT) | instid1(VALU_DEP_1)
	v_div_fmas_f64 v[216:217], v[216:217], v[218:219], v[224:225]
	v_div_fixup_f64 v[212:213], v[216:217], v[212:213], 1.0
	s_delay_alu instid0(VALU_DEP_1)
	v_mul_f64 v[222:223], v[220:221], -v[212:213]
.LBB115_70:
	s_or_b32 exec_lo, exec_lo, s3
	ds_store_2addr_b64 v209, v[212:213], v[222:223] offset1:1
.LBB115_71:
	s_or_b32 exec_lo, exec_lo, s4
	s_waitcnt lgkmcnt(0)
	s_barrier
	buffer_gl0_inv
	ds_load_2addr_b64 v[204:207], v209 offset1:1
	s_mov_b32 s3, exec_lo
	s_waitcnt lgkmcnt(0)
	scratch_store_b128 off, v[204:207], off offset:676 ; 16-byte Folded Spill
	v_cmpx_lt_u32_e32 7, v208
	s_cbranch_execz .LBB115_73
; %bb.72:
	scratch_load_b128 v[204:207], off, off offset:676 ; 16-byte Folded Reload
	ds_load_2addr_b64 v[218:221], v214 offset0:16 offset1:17
	s_waitcnt vmcnt(0)
	v_mul_f64 v[212:213], v[206:207], v[202:203]
	v_mul_f64 v[202:203], v[204:205], v[202:203]
	s_delay_alu instid0(VALU_DEP_2) | instskip(NEXT) | instid1(VALU_DEP_2)
	v_fma_f64 v[216:217], v[204:205], v[200:201], -v[212:213]
	v_fma_f64 v[202:203], v[206:207], v[200:201], v[202:203]
	s_waitcnt lgkmcnt(0)
	s_delay_alu instid0(VALU_DEP_1) | instskip(SKIP_1) | instid1(VALU_DEP_2)
	v_mul_f64 v[200:201], v[220:221], v[202:203]
	v_mul_f64 v[212:213], v[218:219], v[202:203]
	v_fma_f64 v[200:201], v[218:219], v[216:217], -v[200:201]
	s_delay_alu instid0(VALU_DEP_2)
	v_fma_f64 v[212:213], v[220:221], v[216:217], v[212:213]
	ds_load_2addr_b64 v[218:221], v214 offset0:18 offset1:19
	v_add_f64 v[196:197], v[196:197], -v[200:201]
	v_add_f64 v[198:199], v[198:199], -v[212:213]
	s_waitcnt lgkmcnt(0)
	v_mul_f64 v[200:201], v[220:221], v[202:203]
	v_mul_f64 v[212:213], v[218:219], v[202:203]
	s_delay_alu instid0(VALU_DEP_2) | instskip(NEXT) | instid1(VALU_DEP_2)
	v_fma_f64 v[200:201], v[218:219], v[216:217], -v[200:201]
	v_fma_f64 v[212:213], v[220:221], v[216:217], v[212:213]
	ds_load_2addr_b64 v[218:221], v214 offset0:20 offset1:21
	v_add_f64 v[192:193], v[192:193], -v[200:201]
	v_add_f64 v[194:195], v[194:195], -v[212:213]
	s_waitcnt lgkmcnt(0)
	v_mul_f64 v[200:201], v[220:221], v[202:203]
	v_mul_f64 v[212:213], v[218:219], v[202:203]
	s_delay_alu instid0(VALU_DEP_2) | instskip(NEXT) | instid1(VALU_DEP_2)
	v_fma_f64 v[200:201], v[218:219], v[216:217], -v[200:201]
	;; [unrolled: 9-line block ×49, first 2 shown]
	v_fma_f64 v[212:213], v[220:221], v[216:217], v[212:213]
	s_delay_alu instid0(VALU_DEP_2) | instskip(NEXT) | instid1(VALU_DEP_2)
	v_add_f64 v[0:1], v[0:1], -v[200:201]
	v_add_f64 v[2:3], v[2:3], -v[212:213]
	v_dual_mov_b32 v200, v216 :: v_dual_mov_b32 v201, v217
.LBB115_73:
	s_or_b32 exec_lo, exec_lo, s3
	s_delay_alu instid0(SALU_CYCLE_1)
	s_mov_b32 s4, exec_lo
	s_waitcnt_vscnt null, 0x0
	s_barrier
	buffer_gl0_inv
	v_cmpx_eq_u32_e32 8, v208
	s_cbranch_execz .LBB115_80
; %bb.74:
	ds_store_2addr_b64 v209, v[196:197], v[198:199] offset1:1
	ds_store_2addr_b64 v214, v[192:193], v[194:195] offset0:18 offset1:19
	ds_store_2addr_b64 v214, v[188:189], v[190:191] offset0:20 offset1:21
	;; [unrolled: 1-line block ×49, first 2 shown]
	ds_load_2addr_b64 v[216:219], v209 offset1:1
	s_waitcnt lgkmcnt(0)
	v_cmp_neq_f64_e32 vcc_lo, 0, v[216:217]
	v_cmp_neq_f64_e64 s3, 0, v[218:219]
	s_delay_alu instid0(VALU_DEP_1) | instskip(NEXT) | instid1(SALU_CYCLE_1)
	s_or_b32 s3, vcc_lo, s3
	s_and_b32 exec_lo, exec_lo, s3
	s_cbranch_execz .LBB115_80
; %bb.75:
	v_cmp_gt_f64_e32 vcc_lo, 0, v[216:217]
	v_xor_b32_e32 v212, 0x80000000, v217
	v_xor_b32_e32 v215, 0x80000000, v219
	s_delay_alu instid0(VALU_DEP_2) | instskip(SKIP_2) | instid1(VALU_DEP_4)
	v_cndmask_b32_e32 v213, v217, v212, vcc_lo
	v_cndmask_b32_e32 v212, v216, v216, vcc_lo
	v_cmp_gt_f64_e32 vcc_lo, 0, v[218:219]
	v_dual_cndmask_b32 v221, v219, v215 :: v_dual_cndmask_b32 v220, v218, v218
	s_delay_alu instid0(VALU_DEP_1) | instskip(SKIP_1) | instid1(SALU_CYCLE_1)
	v_cmp_ngt_f64_e32 vcc_lo, v[212:213], v[220:221]
                                        ; implicit-def: $vgpr212_vgpr213
	s_and_saveexec_b32 s3, vcc_lo
	s_xor_b32 s3, exec_lo, s3
                                        ; implicit-def: $vgpr220_vgpr221_vgpr222_vgpr223
	s_cbranch_execz .LBB115_77
; %bb.76:
	v_div_scale_f64 v[212:213], null, v[218:219], v[218:219], v[216:217]
	v_div_scale_f64 v[224:225], vcc_lo, v[216:217], v[218:219], v[216:217]
	s_delay_alu instid0(VALU_DEP_2) | instskip(SKIP_2) | instid1(VALU_DEP_1)
	v_rcp_f64_e32 v[220:221], v[212:213]
	s_waitcnt_depctr 0xfff
	v_fma_f64 v[222:223], -v[212:213], v[220:221], 1.0
	v_fma_f64 v[220:221], v[220:221], v[222:223], v[220:221]
	s_delay_alu instid0(VALU_DEP_1) | instskip(NEXT) | instid1(VALU_DEP_1)
	v_fma_f64 v[222:223], -v[212:213], v[220:221], 1.0
	v_fma_f64 v[220:221], v[220:221], v[222:223], v[220:221]
	s_delay_alu instid0(VALU_DEP_1) | instskip(NEXT) | instid1(VALU_DEP_1)
	v_mul_f64 v[222:223], v[224:225], v[220:221]
	v_fma_f64 v[212:213], -v[212:213], v[222:223], v[224:225]
	s_delay_alu instid0(VALU_DEP_1) | instskip(NEXT) | instid1(VALU_DEP_1)
	v_div_fmas_f64 v[212:213], v[212:213], v[220:221], v[222:223]
	v_div_fixup_f64 v[212:213], v[212:213], v[218:219], v[216:217]
	s_delay_alu instid0(VALU_DEP_1) | instskip(NEXT) | instid1(VALU_DEP_1)
	v_fma_f64 v[216:217], v[216:217], v[212:213], v[218:219]
	v_div_scale_f64 v[218:219], null, v[216:217], v[216:217], 1.0
	s_delay_alu instid0(VALU_DEP_1) | instskip(SKIP_2) | instid1(VALU_DEP_1)
	v_rcp_f64_e32 v[220:221], v[218:219]
	s_waitcnt_depctr 0xfff
	v_fma_f64 v[222:223], -v[218:219], v[220:221], 1.0
	v_fma_f64 v[220:221], v[220:221], v[222:223], v[220:221]
	s_delay_alu instid0(VALU_DEP_1) | instskip(NEXT) | instid1(VALU_DEP_1)
	v_fma_f64 v[222:223], -v[218:219], v[220:221], 1.0
	v_fma_f64 v[220:221], v[220:221], v[222:223], v[220:221]
	v_div_scale_f64 v[222:223], vcc_lo, 1.0, v[216:217], 1.0
	s_delay_alu instid0(VALU_DEP_1) | instskip(NEXT) | instid1(VALU_DEP_1)
	v_mul_f64 v[224:225], v[222:223], v[220:221]
	v_fma_f64 v[218:219], -v[218:219], v[224:225], v[222:223]
	s_delay_alu instid0(VALU_DEP_1) | instskip(NEXT) | instid1(VALU_DEP_1)
	v_div_fmas_f64 v[218:219], v[218:219], v[220:221], v[224:225]
	v_div_fixup_f64 v[222:223], v[218:219], v[216:217], 1.0
                                        ; implicit-def: $vgpr216_vgpr217
	s_delay_alu instid0(VALU_DEP_1)
	v_mul_f64 v[212:213], v[212:213], v[222:223]
	v_xor_b32_e32 v223, 0x80000000, v223
.LBB115_77:
	s_and_not1_saveexec_b32 s3, s3
	s_cbranch_execz .LBB115_79
; %bb.78:
	v_div_scale_f64 v[212:213], null, v[216:217], v[216:217], v[218:219]
	v_div_scale_f64 v[224:225], vcc_lo, v[218:219], v[216:217], v[218:219]
	s_delay_alu instid0(VALU_DEP_2) | instskip(SKIP_2) | instid1(VALU_DEP_1)
	v_rcp_f64_e32 v[220:221], v[212:213]
	s_waitcnt_depctr 0xfff
	v_fma_f64 v[222:223], -v[212:213], v[220:221], 1.0
	v_fma_f64 v[220:221], v[220:221], v[222:223], v[220:221]
	s_delay_alu instid0(VALU_DEP_1) | instskip(NEXT) | instid1(VALU_DEP_1)
	v_fma_f64 v[222:223], -v[212:213], v[220:221], 1.0
	v_fma_f64 v[220:221], v[220:221], v[222:223], v[220:221]
	s_delay_alu instid0(VALU_DEP_1) | instskip(NEXT) | instid1(VALU_DEP_1)
	v_mul_f64 v[222:223], v[224:225], v[220:221]
	v_fma_f64 v[212:213], -v[212:213], v[222:223], v[224:225]
	s_delay_alu instid0(VALU_DEP_1) | instskip(NEXT) | instid1(VALU_DEP_1)
	v_div_fmas_f64 v[212:213], v[212:213], v[220:221], v[222:223]
	v_div_fixup_f64 v[220:221], v[212:213], v[216:217], v[218:219]
	s_delay_alu instid0(VALU_DEP_1) | instskip(NEXT) | instid1(VALU_DEP_1)
	v_fma_f64 v[212:213], v[218:219], v[220:221], v[216:217]
	v_div_scale_f64 v[216:217], null, v[212:213], v[212:213], 1.0
	s_delay_alu instid0(VALU_DEP_1) | instskip(SKIP_2) | instid1(VALU_DEP_1)
	v_rcp_f64_e32 v[218:219], v[216:217]
	s_waitcnt_depctr 0xfff
	v_fma_f64 v[222:223], -v[216:217], v[218:219], 1.0
	v_fma_f64 v[218:219], v[218:219], v[222:223], v[218:219]
	s_delay_alu instid0(VALU_DEP_1) | instskip(NEXT) | instid1(VALU_DEP_1)
	v_fma_f64 v[222:223], -v[216:217], v[218:219], 1.0
	v_fma_f64 v[218:219], v[218:219], v[222:223], v[218:219]
	v_div_scale_f64 v[222:223], vcc_lo, 1.0, v[212:213], 1.0
	s_delay_alu instid0(VALU_DEP_1) | instskip(NEXT) | instid1(VALU_DEP_1)
	v_mul_f64 v[224:225], v[222:223], v[218:219]
	v_fma_f64 v[216:217], -v[216:217], v[224:225], v[222:223]
	s_delay_alu instid0(VALU_DEP_1) | instskip(NEXT) | instid1(VALU_DEP_1)
	v_div_fmas_f64 v[216:217], v[216:217], v[218:219], v[224:225]
	v_div_fixup_f64 v[212:213], v[216:217], v[212:213], 1.0
	s_delay_alu instid0(VALU_DEP_1)
	v_mul_f64 v[222:223], v[220:221], -v[212:213]
.LBB115_79:
	s_or_b32 exec_lo, exec_lo, s3
	ds_store_2addr_b64 v209, v[212:213], v[222:223] offset1:1
.LBB115_80:
	s_or_b32 exec_lo, exec_lo, s4
	s_waitcnt lgkmcnt(0)
	s_barrier
	buffer_gl0_inv
	ds_load_2addr_b64 v[204:207], v209 offset1:1
	s_mov_b32 s3, exec_lo
	s_waitcnt lgkmcnt(0)
	scratch_store_b128 off, v[204:207], off offset:692 ; 16-byte Folded Spill
	v_cmpx_lt_u32_e32 8, v208
	s_cbranch_execz .LBB115_82
; %bb.81:
	scratch_load_b128 v[204:207], off, off offset:692 ; 16-byte Folded Reload
	ds_load_2addr_b64 v[218:221], v214 offset0:18 offset1:19
	s_waitcnt vmcnt(0)
	v_mul_f64 v[212:213], v[206:207], v[198:199]
	v_mul_f64 v[198:199], v[204:205], v[198:199]
	s_delay_alu instid0(VALU_DEP_2) | instskip(NEXT) | instid1(VALU_DEP_2)
	v_fma_f64 v[216:217], v[204:205], v[196:197], -v[212:213]
	v_fma_f64 v[198:199], v[206:207], v[196:197], v[198:199]
	s_waitcnt lgkmcnt(0)
	s_delay_alu instid0(VALU_DEP_1) | instskip(SKIP_1) | instid1(VALU_DEP_2)
	v_mul_f64 v[196:197], v[220:221], v[198:199]
	v_mul_f64 v[212:213], v[218:219], v[198:199]
	v_fma_f64 v[196:197], v[218:219], v[216:217], -v[196:197]
	s_delay_alu instid0(VALU_DEP_2)
	v_fma_f64 v[212:213], v[220:221], v[216:217], v[212:213]
	ds_load_2addr_b64 v[218:221], v214 offset0:20 offset1:21
	v_add_f64 v[192:193], v[192:193], -v[196:197]
	v_add_f64 v[194:195], v[194:195], -v[212:213]
	s_waitcnt lgkmcnt(0)
	v_mul_f64 v[196:197], v[220:221], v[198:199]
	v_mul_f64 v[212:213], v[218:219], v[198:199]
	s_delay_alu instid0(VALU_DEP_2) | instskip(NEXT) | instid1(VALU_DEP_2)
	v_fma_f64 v[196:197], v[218:219], v[216:217], -v[196:197]
	v_fma_f64 v[212:213], v[220:221], v[216:217], v[212:213]
	ds_load_2addr_b64 v[218:221], v214 offset0:22 offset1:23
	v_add_f64 v[188:189], v[188:189], -v[196:197]
	v_add_f64 v[190:191], v[190:191], -v[212:213]
	s_waitcnt lgkmcnt(0)
	v_mul_f64 v[196:197], v[220:221], v[198:199]
	v_mul_f64 v[212:213], v[218:219], v[198:199]
	s_delay_alu instid0(VALU_DEP_2) | instskip(NEXT) | instid1(VALU_DEP_2)
	v_fma_f64 v[196:197], v[218:219], v[216:217], -v[196:197]
	;; [unrolled: 9-line block ×48, first 2 shown]
	v_fma_f64 v[212:213], v[220:221], v[216:217], v[212:213]
	s_delay_alu instid0(VALU_DEP_2) | instskip(NEXT) | instid1(VALU_DEP_2)
	v_add_f64 v[0:1], v[0:1], -v[196:197]
	v_add_f64 v[2:3], v[2:3], -v[212:213]
	v_dual_mov_b32 v196, v216 :: v_dual_mov_b32 v197, v217
.LBB115_82:
	s_or_b32 exec_lo, exec_lo, s3
	s_delay_alu instid0(SALU_CYCLE_1)
	s_mov_b32 s4, exec_lo
	s_waitcnt_vscnt null, 0x0
	s_barrier
	buffer_gl0_inv
	v_cmpx_eq_u32_e32 9, v208
	s_cbranch_execz .LBB115_89
; %bb.83:
	ds_store_2addr_b64 v209, v[192:193], v[194:195] offset1:1
	ds_store_2addr_b64 v214, v[188:189], v[190:191] offset0:20 offset1:21
	ds_store_2addr_b64 v214, v[184:185], v[186:187] offset0:22 offset1:23
	;; [unrolled: 1-line block ×48, first 2 shown]
	ds_load_2addr_b64 v[216:219], v209 offset1:1
	s_waitcnt lgkmcnt(0)
	v_cmp_neq_f64_e32 vcc_lo, 0, v[216:217]
	v_cmp_neq_f64_e64 s3, 0, v[218:219]
	s_delay_alu instid0(VALU_DEP_1) | instskip(NEXT) | instid1(SALU_CYCLE_1)
	s_or_b32 s3, vcc_lo, s3
	s_and_b32 exec_lo, exec_lo, s3
	s_cbranch_execz .LBB115_89
; %bb.84:
	v_cmp_gt_f64_e32 vcc_lo, 0, v[216:217]
	v_xor_b32_e32 v212, 0x80000000, v217
	v_xor_b32_e32 v215, 0x80000000, v219
	s_delay_alu instid0(VALU_DEP_2) | instskip(SKIP_2) | instid1(VALU_DEP_4)
	v_cndmask_b32_e32 v213, v217, v212, vcc_lo
	v_cndmask_b32_e32 v212, v216, v216, vcc_lo
	v_cmp_gt_f64_e32 vcc_lo, 0, v[218:219]
	v_dual_cndmask_b32 v221, v219, v215 :: v_dual_cndmask_b32 v220, v218, v218
	s_delay_alu instid0(VALU_DEP_1) | instskip(SKIP_1) | instid1(SALU_CYCLE_1)
	v_cmp_ngt_f64_e32 vcc_lo, v[212:213], v[220:221]
                                        ; implicit-def: $vgpr212_vgpr213
	s_and_saveexec_b32 s3, vcc_lo
	s_xor_b32 s3, exec_lo, s3
                                        ; implicit-def: $vgpr220_vgpr221_vgpr222_vgpr223
	s_cbranch_execz .LBB115_86
; %bb.85:
	v_div_scale_f64 v[212:213], null, v[218:219], v[218:219], v[216:217]
	v_div_scale_f64 v[224:225], vcc_lo, v[216:217], v[218:219], v[216:217]
	s_delay_alu instid0(VALU_DEP_2) | instskip(SKIP_2) | instid1(VALU_DEP_1)
	v_rcp_f64_e32 v[220:221], v[212:213]
	s_waitcnt_depctr 0xfff
	v_fma_f64 v[222:223], -v[212:213], v[220:221], 1.0
	v_fma_f64 v[220:221], v[220:221], v[222:223], v[220:221]
	s_delay_alu instid0(VALU_DEP_1) | instskip(NEXT) | instid1(VALU_DEP_1)
	v_fma_f64 v[222:223], -v[212:213], v[220:221], 1.0
	v_fma_f64 v[220:221], v[220:221], v[222:223], v[220:221]
	s_delay_alu instid0(VALU_DEP_1) | instskip(NEXT) | instid1(VALU_DEP_1)
	v_mul_f64 v[222:223], v[224:225], v[220:221]
	v_fma_f64 v[212:213], -v[212:213], v[222:223], v[224:225]
	s_delay_alu instid0(VALU_DEP_1) | instskip(NEXT) | instid1(VALU_DEP_1)
	v_div_fmas_f64 v[212:213], v[212:213], v[220:221], v[222:223]
	v_div_fixup_f64 v[212:213], v[212:213], v[218:219], v[216:217]
	s_delay_alu instid0(VALU_DEP_1) | instskip(NEXT) | instid1(VALU_DEP_1)
	v_fma_f64 v[216:217], v[216:217], v[212:213], v[218:219]
	v_div_scale_f64 v[218:219], null, v[216:217], v[216:217], 1.0
	s_delay_alu instid0(VALU_DEP_1) | instskip(SKIP_2) | instid1(VALU_DEP_1)
	v_rcp_f64_e32 v[220:221], v[218:219]
	s_waitcnt_depctr 0xfff
	v_fma_f64 v[222:223], -v[218:219], v[220:221], 1.0
	v_fma_f64 v[220:221], v[220:221], v[222:223], v[220:221]
	s_delay_alu instid0(VALU_DEP_1) | instskip(NEXT) | instid1(VALU_DEP_1)
	v_fma_f64 v[222:223], -v[218:219], v[220:221], 1.0
	v_fma_f64 v[220:221], v[220:221], v[222:223], v[220:221]
	v_div_scale_f64 v[222:223], vcc_lo, 1.0, v[216:217], 1.0
	s_delay_alu instid0(VALU_DEP_1) | instskip(NEXT) | instid1(VALU_DEP_1)
	v_mul_f64 v[224:225], v[222:223], v[220:221]
	v_fma_f64 v[218:219], -v[218:219], v[224:225], v[222:223]
	s_delay_alu instid0(VALU_DEP_1) | instskip(NEXT) | instid1(VALU_DEP_1)
	v_div_fmas_f64 v[218:219], v[218:219], v[220:221], v[224:225]
	v_div_fixup_f64 v[222:223], v[218:219], v[216:217], 1.0
                                        ; implicit-def: $vgpr216_vgpr217
	s_delay_alu instid0(VALU_DEP_1)
	v_mul_f64 v[212:213], v[212:213], v[222:223]
	v_xor_b32_e32 v223, 0x80000000, v223
.LBB115_86:
	s_and_not1_saveexec_b32 s3, s3
	s_cbranch_execz .LBB115_88
; %bb.87:
	v_div_scale_f64 v[212:213], null, v[216:217], v[216:217], v[218:219]
	v_div_scale_f64 v[224:225], vcc_lo, v[218:219], v[216:217], v[218:219]
	s_delay_alu instid0(VALU_DEP_2) | instskip(SKIP_2) | instid1(VALU_DEP_1)
	v_rcp_f64_e32 v[220:221], v[212:213]
	s_waitcnt_depctr 0xfff
	v_fma_f64 v[222:223], -v[212:213], v[220:221], 1.0
	v_fma_f64 v[220:221], v[220:221], v[222:223], v[220:221]
	s_delay_alu instid0(VALU_DEP_1) | instskip(NEXT) | instid1(VALU_DEP_1)
	v_fma_f64 v[222:223], -v[212:213], v[220:221], 1.0
	v_fma_f64 v[220:221], v[220:221], v[222:223], v[220:221]
	s_delay_alu instid0(VALU_DEP_1) | instskip(NEXT) | instid1(VALU_DEP_1)
	v_mul_f64 v[222:223], v[224:225], v[220:221]
	v_fma_f64 v[212:213], -v[212:213], v[222:223], v[224:225]
	s_delay_alu instid0(VALU_DEP_1) | instskip(NEXT) | instid1(VALU_DEP_1)
	v_div_fmas_f64 v[212:213], v[212:213], v[220:221], v[222:223]
	v_div_fixup_f64 v[220:221], v[212:213], v[216:217], v[218:219]
	s_delay_alu instid0(VALU_DEP_1) | instskip(NEXT) | instid1(VALU_DEP_1)
	v_fma_f64 v[212:213], v[218:219], v[220:221], v[216:217]
	v_div_scale_f64 v[216:217], null, v[212:213], v[212:213], 1.0
	s_delay_alu instid0(VALU_DEP_1) | instskip(SKIP_2) | instid1(VALU_DEP_1)
	v_rcp_f64_e32 v[218:219], v[216:217]
	s_waitcnt_depctr 0xfff
	v_fma_f64 v[222:223], -v[216:217], v[218:219], 1.0
	v_fma_f64 v[218:219], v[218:219], v[222:223], v[218:219]
	s_delay_alu instid0(VALU_DEP_1) | instskip(NEXT) | instid1(VALU_DEP_1)
	v_fma_f64 v[222:223], -v[216:217], v[218:219], 1.0
	v_fma_f64 v[218:219], v[218:219], v[222:223], v[218:219]
	v_div_scale_f64 v[222:223], vcc_lo, 1.0, v[212:213], 1.0
	s_delay_alu instid0(VALU_DEP_1) | instskip(NEXT) | instid1(VALU_DEP_1)
	v_mul_f64 v[224:225], v[222:223], v[218:219]
	v_fma_f64 v[216:217], -v[216:217], v[224:225], v[222:223]
	s_delay_alu instid0(VALU_DEP_1) | instskip(NEXT) | instid1(VALU_DEP_1)
	v_div_fmas_f64 v[216:217], v[216:217], v[218:219], v[224:225]
	v_div_fixup_f64 v[212:213], v[216:217], v[212:213], 1.0
	s_delay_alu instid0(VALU_DEP_1)
	v_mul_f64 v[222:223], v[220:221], -v[212:213]
.LBB115_88:
	s_or_b32 exec_lo, exec_lo, s3
	ds_store_2addr_b64 v209, v[212:213], v[222:223] offset1:1
.LBB115_89:
	s_or_b32 exec_lo, exec_lo, s4
	s_waitcnt lgkmcnt(0)
	s_barrier
	buffer_gl0_inv
	ds_load_2addr_b64 v[204:207], v209 offset1:1
	s_mov_b32 s3, exec_lo
	s_waitcnt lgkmcnt(0)
	scratch_store_b128 off, v[204:207], off offset:708 ; 16-byte Folded Spill
	v_cmpx_lt_u32_e32 9, v208
	s_cbranch_execz .LBB115_91
; %bb.90:
	scratch_load_b128 v[204:207], off, off offset:708 ; 16-byte Folded Reload
	ds_load_2addr_b64 v[218:221], v214 offset0:20 offset1:21
	s_waitcnt vmcnt(0)
	v_mul_f64 v[212:213], v[206:207], v[194:195]
	v_mul_f64 v[194:195], v[204:205], v[194:195]
	s_delay_alu instid0(VALU_DEP_2) | instskip(NEXT) | instid1(VALU_DEP_2)
	v_fma_f64 v[216:217], v[204:205], v[192:193], -v[212:213]
	v_fma_f64 v[194:195], v[206:207], v[192:193], v[194:195]
	s_waitcnt lgkmcnt(0)
	s_delay_alu instid0(VALU_DEP_1) | instskip(SKIP_1) | instid1(VALU_DEP_2)
	v_mul_f64 v[192:193], v[220:221], v[194:195]
	v_mul_f64 v[212:213], v[218:219], v[194:195]
	v_fma_f64 v[192:193], v[218:219], v[216:217], -v[192:193]
	s_delay_alu instid0(VALU_DEP_2)
	v_fma_f64 v[212:213], v[220:221], v[216:217], v[212:213]
	ds_load_2addr_b64 v[218:221], v214 offset0:22 offset1:23
	v_add_f64 v[188:189], v[188:189], -v[192:193]
	v_add_f64 v[190:191], v[190:191], -v[212:213]
	s_waitcnt lgkmcnt(0)
	v_mul_f64 v[192:193], v[220:221], v[194:195]
	v_mul_f64 v[212:213], v[218:219], v[194:195]
	s_delay_alu instid0(VALU_DEP_2) | instskip(NEXT) | instid1(VALU_DEP_2)
	v_fma_f64 v[192:193], v[218:219], v[216:217], -v[192:193]
	v_fma_f64 v[212:213], v[220:221], v[216:217], v[212:213]
	ds_load_2addr_b64 v[218:221], v214 offset0:24 offset1:25
	v_add_f64 v[184:185], v[184:185], -v[192:193]
	v_add_f64 v[186:187], v[186:187], -v[212:213]
	s_waitcnt lgkmcnt(0)
	v_mul_f64 v[192:193], v[220:221], v[194:195]
	v_mul_f64 v[212:213], v[218:219], v[194:195]
	s_delay_alu instid0(VALU_DEP_2) | instskip(NEXT) | instid1(VALU_DEP_2)
	v_fma_f64 v[192:193], v[218:219], v[216:217], -v[192:193]
	;; [unrolled: 9-line block ×47, first 2 shown]
	v_fma_f64 v[212:213], v[220:221], v[216:217], v[212:213]
	s_delay_alu instid0(VALU_DEP_2) | instskip(NEXT) | instid1(VALU_DEP_2)
	v_add_f64 v[0:1], v[0:1], -v[192:193]
	v_add_f64 v[2:3], v[2:3], -v[212:213]
	v_dual_mov_b32 v192, v216 :: v_dual_mov_b32 v193, v217
.LBB115_91:
	s_or_b32 exec_lo, exec_lo, s3
	s_delay_alu instid0(SALU_CYCLE_1)
	s_mov_b32 s4, exec_lo
	s_waitcnt_vscnt null, 0x0
	s_barrier
	buffer_gl0_inv
	v_cmpx_eq_u32_e32 10, v208
	s_cbranch_execz .LBB115_98
; %bb.92:
	ds_store_2addr_b64 v209, v[188:189], v[190:191] offset1:1
	ds_store_2addr_b64 v214, v[184:185], v[186:187] offset0:22 offset1:23
	ds_store_2addr_b64 v214, v[180:181], v[182:183] offset0:24 offset1:25
	;; [unrolled: 1-line block ×47, first 2 shown]
	ds_load_2addr_b64 v[216:219], v209 offset1:1
	s_waitcnt lgkmcnt(0)
	v_cmp_neq_f64_e32 vcc_lo, 0, v[216:217]
	v_cmp_neq_f64_e64 s3, 0, v[218:219]
	s_delay_alu instid0(VALU_DEP_1) | instskip(NEXT) | instid1(SALU_CYCLE_1)
	s_or_b32 s3, vcc_lo, s3
	s_and_b32 exec_lo, exec_lo, s3
	s_cbranch_execz .LBB115_98
; %bb.93:
	v_cmp_gt_f64_e32 vcc_lo, 0, v[216:217]
	v_xor_b32_e32 v212, 0x80000000, v217
	v_xor_b32_e32 v215, 0x80000000, v219
	s_delay_alu instid0(VALU_DEP_2) | instskip(SKIP_2) | instid1(VALU_DEP_4)
	v_cndmask_b32_e32 v213, v217, v212, vcc_lo
	v_cndmask_b32_e32 v212, v216, v216, vcc_lo
	v_cmp_gt_f64_e32 vcc_lo, 0, v[218:219]
	v_dual_cndmask_b32 v221, v219, v215 :: v_dual_cndmask_b32 v220, v218, v218
	s_delay_alu instid0(VALU_DEP_1) | instskip(SKIP_1) | instid1(SALU_CYCLE_1)
	v_cmp_ngt_f64_e32 vcc_lo, v[212:213], v[220:221]
                                        ; implicit-def: $vgpr212_vgpr213
	s_and_saveexec_b32 s3, vcc_lo
	s_xor_b32 s3, exec_lo, s3
                                        ; implicit-def: $vgpr220_vgpr221_vgpr222_vgpr223
	s_cbranch_execz .LBB115_95
; %bb.94:
	v_div_scale_f64 v[212:213], null, v[218:219], v[218:219], v[216:217]
	v_div_scale_f64 v[224:225], vcc_lo, v[216:217], v[218:219], v[216:217]
	s_delay_alu instid0(VALU_DEP_2) | instskip(SKIP_2) | instid1(VALU_DEP_1)
	v_rcp_f64_e32 v[220:221], v[212:213]
	s_waitcnt_depctr 0xfff
	v_fma_f64 v[222:223], -v[212:213], v[220:221], 1.0
	v_fma_f64 v[220:221], v[220:221], v[222:223], v[220:221]
	s_delay_alu instid0(VALU_DEP_1) | instskip(NEXT) | instid1(VALU_DEP_1)
	v_fma_f64 v[222:223], -v[212:213], v[220:221], 1.0
	v_fma_f64 v[220:221], v[220:221], v[222:223], v[220:221]
	s_delay_alu instid0(VALU_DEP_1) | instskip(NEXT) | instid1(VALU_DEP_1)
	v_mul_f64 v[222:223], v[224:225], v[220:221]
	v_fma_f64 v[212:213], -v[212:213], v[222:223], v[224:225]
	s_delay_alu instid0(VALU_DEP_1) | instskip(NEXT) | instid1(VALU_DEP_1)
	v_div_fmas_f64 v[212:213], v[212:213], v[220:221], v[222:223]
	v_div_fixup_f64 v[212:213], v[212:213], v[218:219], v[216:217]
	s_delay_alu instid0(VALU_DEP_1) | instskip(NEXT) | instid1(VALU_DEP_1)
	v_fma_f64 v[216:217], v[216:217], v[212:213], v[218:219]
	v_div_scale_f64 v[218:219], null, v[216:217], v[216:217], 1.0
	s_delay_alu instid0(VALU_DEP_1) | instskip(SKIP_2) | instid1(VALU_DEP_1)
	v_rcp_f64_e32 v[220:221], v[218:219]
	s_waitcnt_depctr 0xfff
	v_fma_f64 v[222:223], -v[218:219], v[220:221], 1.0
	v_fma_f64 v[220:221], v[220:221], v[222:223], v[220:221]
	s_delay_alu instid0(VALU_DEP_1) | instskip(NEXT) | instid1(VALU_DEP_1)
	v_fma_f64 v[222:223], -v[218:219], v[220:221], 1.0
	v_fma_f64 v[220:221], v[220:221], v[222:223], v[220:221]
	v_div_scale_f64 v[222:223], vcc_lo, 1.0, v[216:217], 1.0
	s_delay_alu instid0(VALU_DEP_1) | instskip(NEXT) | instid1(VALU_DEP_1)
	v_mul_f64 v[224:225], v[222:223], v[220:221]
	v_fma_f64 v[218:219], -v[218:219], v[224:225], v[222:223]
	s_delay_alu instid0(VALU_DEP_1) | instskip(NEXT) | instid1(VALU_DEP_1)
	v_div_fmas_f64 v[218:219], v[218:219], v[220:221], v[224:225]
	v_div_fixup_f64 v[222:223], v[218:219], v[216:217], 1.0
                                        ; implicit-def: $vgpr216_vgpr217
	s_delay_alu instid0(VALU_DEP_1)
	v_mul_f64 v[212:213], v[212:213], v[222:223]
	v_xor_b32_e32 v223, 0x80000000, v223
.LBB115_95:
	s_and_not1_saveexec_b32 s3, s3
	s_cbranch_execz .LBB115_97
; %bb.96:
	v_div_scale_f64 v[212:213], null, v[216:217], v[216:217], v[218:219]
	v_div_scale_f64 v[224:225], vcc_lo, v[218:219], v[216:217], v[218:219]
	s_delay_alu instid0(VALU_DEP_2) | instskip(SKIP_2) | instid1(VALU_DEP_1)
	v_rcp_f64_e32 v[220:221], v[212:213]
	s_waitcnt_depctr 0xfff
	v_fma_f64 v[222:223], -v[212:213], v[220:221], 1.0
	v_fma_f64 v[220:221], v[220:221], v[222:223], v[220:221]
	s_delay_alu instid0(VALU_DEP_1) | instskip(NEXT) | instid1(VALU_DEP_1)
	v_fma_f64 v[222:223], -v[212:213], v[220:221], 1.0
	v_fma_f64 v[220:221], v[220:221], v[222:223], v[220:221]
	s_delay_alu instid0(VALU_DEP_1) | instskip(NEXT) | instid1(VALU_DEP_1)
	v_mul_f64 v[222:223], v[224:225], v[220:221]
	v_fma_f64 v[212:213], -v[212:213], v[222:223], v[224:225]
	s_delay_alu instid0(VALU_DEP_1) | instskip(NEXT) | instid1(VALU_DEP_1)
	v_div_fmas_f64 v[212:213], v[212:213], v[220:221], v[222:223]
	v_div_fixup_f64 v[220:221], v[212:213], v[216:217], v[218:219]
	s_delay_alu instid0(VALU_DEP_1) | instskip(NEXT) | instid1(VALU_DEP_1)
	v_fma_f64 v[212:213], v[218:219], v[220:221], v[216:217]
	v_div_scale_f64 v[216:217], null, v[212:213], v[212:213], 1.0
	s_delay_alu instid0(VALU_DEP_1) | instskip(SKIP_2) | instid1(VALU_DEP_1)
	v_rcp_f64_e32 v[218:219], v[216:217]
	s_waitcnt_depctr 0xfff
	v_fma_f64 v[222:223], -v[216:217], v[218:219], 1.0
	v_fma_f64 v[218:219], v[218:219], v[222:223], v[218:219]
	s_delay_alu instid0(VALU_DEP_1) | instskip(NEXT) | instid1(VALU_DEP_1)
	v_fma_f64 v[222:223], -v[216:217], v[218:219], 1.0
	v_fma_f64 v[218:219], v[218:219], v[222:223], v[218:219]
	v_div_scale_f64 v[222:223], vcc_lo, 1.0, v[212:213], 1.0
	s_delay_alu instid0(VALU_DEP_1) | instskip(NEXT) | instid1(VALU_DEP_1)
	v_mul_f64 v[224:225], v[222:223], v[218:219]
	v_fma_f64 v[216:217], -v[216:217], v[224:225], v[222:223]
	s_delay_alu instid0(VALU_DEP_1) | instskip(NEXT) | instid1(VALU_DEP_1)
	v_div_fmas_f64 v[216:217], v[216:217], v[218:219], v[224:225]
	v_div_fixup_f64 v[212:213], v[216:217], v[212:213], 1.0
	s_delay_alu instid0(VALU_DEP_1)
	v_mul_f64 v[222:223], v[220:221], -v[212:213]
.LBB115_97:
	s_or_b32 exec_lo, exec_lo, s3
	ds_store_2addr_b64 v209, v[212:213], v[222:223] offset1:1
.LBB115_98:
	s_or_b32 exec_lo, exec_lo, s4
	s_waitcnt lgkmcnt(0)
	s_barrier
	buffer_gl0_inv
	ds_load_2addr_b64 v[204:207], v209 offset1:1
	s_mov_b32 s3, exec_lo
	s_waitcnt lgkmcnt(0)
	scratch_store_b128 off, v[204:207], off offset:724 ; 16-byte Folded Spill
	v_cmpx_lt_u32_e32 10, v208
	s_cbranch_execz .LBB115_100
; %bb.99:
	scratch_load_b128 v[204:207], off, off offset:724 ; 16-byte Folded Reload
	ds_load_2addr_b64 v[218:221], v214 offset0:22 offset1:23
	s_waitcnt vmcnt(0)
	v_mul_f64 v[212:213], v[206:207], v[190:191]
	v_mul_f64 v[190:191], v[204:205], v[190:191]
	s_delay_alu instid0(VALU_DEP_2) | instskip(NEXT) | instid1(VALU_DEP_2)
	v_fma_f64 v[216:217], v[204:205], v[188:189], -v[212:213]
	v_fma_f64 v[190:191], v[206:207], v[188:189], v[190:191]
	s_waitcnt lgkmcnt(0)
	s_delay_alu instid0(VALU_DEP_1) | instskip(SKIP_1) | instid1(VALU_DEP_2)
	v_mul_f64 v[188:189], v[220:221], v[190:191]
	v_mul_f64 v[212:213], v[218:219], v[190:191]
	v_fma_f64 v[188:189], v[218:219], v[216:217], -v[188:189]
	s_delay_alu instid0(VALU_DEP_2)
	v_fma_f64 v[212:213], v[220:221], v[216:217], v[212:213]
	ds_load_2addr_b64 v[218:221], v214 offset0:24 offset1:25
	v_add_f64 v[184:185], v[184:185], -v[188:189]
	v_add_f64 v[186:187], v[186:187], -v[212:213]
	s_waitcnt lgkmcnt(0)
	v_mul_f64 v[188:189], v[220:221], v[190:191]
	v_mul_f64 v[212:213], v[218:219], v[190:191]
	s_delay_alu instid0(VALU_DEP_2) | instskip(NEXT) | instid1(VALU_DEP_2)
	v_fma_f64 v[188:189], v[218:219], v[216:217], -v[188:189]
	v_fma_f64 v[212:213], v[220:221], v[216:217], v[212:213]
	ds_load_2addr_b64 v[218:221], v214 offset0:26 offset1:27
	v_add_f64 v[180:181], v[180:181], -v[188:189]
	v_add_f64 v[182:183], v[182:183], -v[212:213]
	s_waitcnt lgkmcnt(0)
	v_mul_f64 v[188:189], v[220:221], v[190:191]
	v_mul_f64 v[212:213], v[218:219], v[190:191]
	s_delay_alu instid0(VALU_DEP_2) | instskip(NEXT) | instid1(VALU_DEP_2)
	v_fma_f64 v[188:189], v[218:219], v[216:217], -v[188:189]
	;; [unrolled: 9-line block ×46, first 2 shown]
	v_fma_f64 v[212:213], v[220:221], v[216:217], v[212:213]
	s_delay_alu instid0(VALU_DEP_2) | instskip(NEXT) | instid1(VALU_DEP_2)
	v_add_f64 v[0:1], v[0:1], -v[188:189]
	v_add_f64 v[2:3], v[2:3], -v[212:213]
	v_dual_mov_b32 v188, v216 :: v_dual_mov_b32 v189, v217
.LBB115_100:
	s_or_b32 exec_lo, exec_lo, s3
	s_delay_alu instid0(SALU_CYCLE_1)
	s_mov_b32 s4, exec_lo
	s_waitcnt_vscnt null, 0x0
	s_barrier
	buffer_gl0_inv
	v_cmpx_eq_u32_e32 11, v208
	s_cbranch_execz .LBB115_107
; %bb.101:
	ds_store_2addr_b64 v209, v[184:185], v[186:187] offset1:1
	ds_store_2addr_b64 v214, v[180:181], v[182:183] offset0:24 offset1:25
	ds_store_2addr_b64 v214, v[176:177], v[178:179] offset0:26 offset1:27
	;; [unrolled: 1-line block ×46, first 2 shown]
	ds_load_2addr_b64 v[216:219], v209 offset1:1
	s_waitcnt lgkmcnt(0)
	v_cmp_neq_f64_e32 vcc_lo, 0, v[216:217]
	v_cmp_neq_f64_e64 s3, 0, v[218:219]
	s_delay_alu instid0(VALU_DEP_1) | instskip(NEXT) | instid1(SALU_CYCLE_1)
	s_or_b32 s3, vcc_lo, s3
	s_and_b32 exec_lo, exec_lo, s3
	s_cbranch_execz .LBB115_107
; %bb.102:
	v_cmp_gt_f64_e32 vcc_lo, 0, v[216:217]
	v_xor_b32_e32 v212, 0x80000000, v217
	v_xor_b32_e32 v215, 0x80000000, v219
	s_delay_alu instid0(VALU_DEP_2) | instskip(SKIP_2) | instid1(VALU_DEP_4)
	v_cndmask_b32_e32 v213, v217, v212, vcc_lo
	v_cndmask_b32_e32 v212, v216, v216, vcc_lo
	v_cmp_gt_f64_e32 vcc_lo, 0, v[218:219]
	v_dual_cndmask_b32 v221, v219, v215 :: v_dual_cndmask_b32 v220, v218, v218
	s_delay_alu instid0(VALU_DEP_1) | instskip(SKIP_1) | instid1(SALU_CYCLE_1)
	v_cmp_ngt_f64_e32 vcc_lo, v[212:213], v[220:221]
                                        ; implicit-def: $vgpr212_vgpr213
	s_and_saveexec_b32 s3, vcc_lo
	s_xor_b32 s3, exec_lo, s3
                                        ; implicit-def: $vgpr220_vgpr221_vgpr222_vgpr223
	s_cbranch_execz .LBB115_104
; %bb.103:
	v_div_scale_f64 v[212:213], null, v[218:219], v[218:219], v[216:217]
	v_div_scale_f64 v[224:225], vcc_lo, v[216:217], v[218:219], v[216:217]
	s_delay_alu instid0(VALU_DEP_2) | instskip(SKIP_2) | instid1(VALU_DEP_1)
	v_rcp_f64_e32 v[220:221], v[212:213]
	s_waitcnt_depctr 0xfff
	v_fma_f64 v[222:223], -v[212:213], v[220:221], 1.0
	v_fma_f64 v[220:221], v[220:221], v[222:223], v[220:221]
	s_delay_alu instid0(VALU_DEP_1) | instskip(NEXT) | instid1(VALU_DEP_1)
	v_fma_f64 v[222:223], -v[212:213], v[220:221], 1.0
	v_fma_f64 v[220:221], v[220:221], v[222:223], v[220:221]
	s_delay_alu instid0(VALU_DEP_1) | instskip(NEXT) | instid1(VALU_DEP_1)
	v_mul_f64 v[222:223], v[224:225], v[220:221]
	v_fma_f64 v[212:213], -v[212:213], v[222:223], v[224:225]
	s_delay_alu instid0(VALU_DEP_1) | instskip(NEXT) | instid1(VALU_DEP_1)
	v_div_fmas_f64 v[212:213], v[212:213], v[220:221], v[222:223]
	v_div_fixup_f64 v[212:213], v[212:213], v[218:219], v[216:217]
	s_delay_alu instid0(VALU_DEP_1) | instskip(NEXT) | instid1(VALU_DEP_1)
	v_fma_f64 v[216:217], v[216:217], v[212:213], v[218:219]
	v_div_scale_f64 v[218:219], null, v[216:217], v[216:217], 1.0
	s_delay_alu instid0(VALU_DEP_1) | instskip(SKIP_2) | instid1(VALU_DEP_1)
	v_rcp_f64_e32 v[220:221], v[218:219]
	s_waitcnt_depctr 0xfff
	v_fma_f64 v[222:223], -v[218:219], v[220:221], 1.0
	v_fma_f64 v[220:221], v[220:221], v[222:223], v[220:221]
	s_delay_alu instid0(VALU_DEP_1) | instskip(NEXT) | instid1(VALU_DEP_1)
	v_fma_f64 v[222:223], -v[218:219], v[220:221], 1.0
	v_fma_f64 v[220:221], v[220:221], v[222:223], v[220:221]
	v_div_scale_f64 v[222:223], vcc_lo, 1.0, v[216:217], 1.0
	s_delay_alu instid0(VALU_DEP_1) | instskip(NEXT) | instid1(VALU_DEP_1)
	v_mul_f64 v[224:225], v[222:223], v[220:221]
	v_fma_f64 v[218:219], -v[218:219], v[224:225], v[222:223]
	s_delay_alu instid0(VALU_DEP_1) | instskip(NEXT) | instid1(VALU_DEP_1)
	v_div_fmas_f64 v[218:219], v[218:219], v[220:221], v[224:225]
	v_div_fixup_f64 v[222:223], v[218:219], v[216:217], 1.0
                                        ; implicit-def: $vgpr216_vgpr217
	s_delay_alu instid0(VALU_DEP_1)
	v_mul_f64 v[212:213], v[212:213], v[222:223]
	v_xor_b32_e32 v223, 0x80000000, v223
.LBB115_104:
	s_and_not1_saveexec_b32 s3, s3
	s_cbranch_execz .LBB115_106
; %bb.105:
	v_div_scale_f64 v[212:213], null, v[216:217], v[216:217], v[218:219]
	v_div_scale_f64 v[224:225], vcc_lo, v[218:219], v[216:217], v[218:219]
	s_delay_alu instid0(VALU_DEP_2) | instskip(SKIP_2) | instid1(VALU_DEP_1)
	v_rcp_f64_e32 v[220:221], v[212:213]
	s_waitcnt_depctr 0xfff
	v_fma_f64 v[222:223], -v[212:213], v[220:221], 1.0
	v_fma_f64 v[220:221], v[220:221], v[222:223], v[220:221]
	s_delay_alu instid0(VALU_DEP_1) | instskip(NEXT) | instid1(VALU_DEP_1)
	v_fma_f64 v[222:223], -v[212:213], v[220:221], 1.0
	v_fma_f64 v[220:221], v[220:221], v[222:223], v[220:221]
	s_delay_alu instid0(VALU_DEP_1) | instskip(NEXT) | instid1(VALU_DEP_1)
	v_mul_f64 v[222:223], v[224:225], v[220:221]
	v_fma_f64 v[212:213], -v[212:213], v[222:223], v[224:225]
	s_delay_alu instid0(VALU_DEP_1) | instskip(NEXT) | instid1(VALU_DEP_1)
	v_div_fmas_f64 v[212:213], v[212:213], v[220:221], v[222:223]
	v_div_fixup_f64 v[220:221], v[212:213], v[216:217], v[218:219]
	s_delay_alu instid0(VALU_DEP_1) | instskip(NEXT) | instid1(VALU_DEP_1)
	v_fma_f64 v[212:213], v[218:219], v[220:221], v[216:217]
	v_div_scale_f64 v[216:217], null, v[212:213], v[212:213], 1.0
	s_delay_alu instid0(VALU_DEP_1) | instskip(SKIP_2) | instid1(VALU_DEP_1)
	v_rcp_f64_e32 v[218:219], v[216:217]
	s_waitcnt_depctr 0xfff
	v_fma_f64 v[222:223], -v[216:217], v[218:219], 1.0
	v_fma_f64 v[218:219], v[218:219], v[222:223], v[218:219]
	s_delay_alu instid0(VALU_DEP_1) | instskip(NEXT) | instid1(VALU_DEP_1)
	v_fma_f64 v[222:223], -v[216:217], v[218:219], 1.0
	v_fma_f64 v[218:219], v[218:219], v[222:223], v[218:219]
	v_div_scale_f64 v[222:223], vcc_lo, 1.0, v[212:213], 1.0
	s_delay_alu instid0(VALU_DEP_1) | instskip(NEXT) | instid1(VALU_DEP_1)
	v_mul_f64 v[224:225], v[222:223], v[218:219]
	v_fma_f64 v[216:217], -v[216:217], v[224:225], v[222:223]
	s_delay_alu instid0(VALU_DEP_1) | instskip(NEXT) | instid1(VALU_DEP_1)
	v_div_fmas_f64 v[216:217], v[216:217], v[218:219], v[224:225]
	v_div_fixup_f64 v[212:213], v[216:217], v[212:213], 1.0
	s_delay_alu instid0(VALU_DEP_1)
	v_mul_f64 v[222:223], v[220:221], -v[212:213]
.LBB115_106:
	s_or_b32 exec_lo, exec_lo, s3
	ds_store_2addr_b64 v209, v[212:213], v[222:223] offset1:1
.LBB115_107:
	s_or_b32 exec_lo, exec_lo, s4
	s_waitcnt lgkmcnt(0)
	s_barrier
	buffer_gl0_inv
	ds_load_2addr_b64 v[204:207], v209 offset1:1
	s_mov_b32 s3, exec_lo
	s_waitcnt lgkmcnt(0)
	scratch_store_b128 off, v[204:207], off offset:740 ; 16-byte Folded Spill
	v_cmpx_lt_u32_e32 11, v208
	s_cbranch_execz .LBB115_109
; %bb.108:
	scratch_load_b128 v[204:207], off, off offset:740 ; 16-byte Folded Reload
	ds_load_2addr_b64 v[218:221], v214 offset0:24 offset1:25
	s_waitcnt vmcnt(0)
	v_mul_f64 v[212:213], v[206:207], v[186:187]
	v_mul_f64 v[186:187], v[204:205], v[186:187]
	s_delay_alu instid0(VALU_DEP_2) | instskip(NEXT) | instid1(VALU_DEP_2)
	v_fma_f64 v[216:217], v[204:205], v[184:185], -v[212:213]
	v_fma_f64 v[186:187], v[206:207], v[184:185], v[186:187]
	s_waitcnt lgkmcnt(0)
	s_delay_alu instid0(VALU_DEP_1) | instskip(SKIP_1) | instid1(VALU_DEP_2)
	v_mul_f64 v[184:185], v[220:221], v[186:187]
	v_mul_f64 v[212:213], v[218:219], v[186:187]
	v_fma_f64 v[184:185], v[218:219], v[216:217], -v[184:185]
	s_delay_alu instid0(VALU_DEP_2)
	v_fma_f64 v[212:213], v[220:221], v[216:217], v[212:213]
	ds_load_2addr_b64 v[218:221], v214 offset0:26 offset1:27
	v_add_f64 v[180:181], v[180:181], -v[184:185]
	v_add_f64 v[182:183], v[182:183], -v[212:213]
	s_waitcnt lgkmcnt(0)
	v_mul_f64 v[184:185], v[220:221], v[186:187]
	v_mul_f64 v[212:213], v[218:219], v[186:187]
	s_delay_alu instid0(VALU_DEP_2) | instskip(NEXT) | instid1(VALU_DEP_2)
	v_fma_f64 v[184:185], v[218:219], v[216:217], -v[184:185]
	v_fma_f64 v[212:213], v[220:221], v[216:217], v[212:213]
	ds_load_2addr_b64 v[218:221], v214 offset0:28 offset1:29
	v_add_f64 v[176:177], v[176:177], -v[184:185]
	v_add_f64 v[178:179], v[178:179], -v[212:213]
	s_waitcnt lgkmcnt(0)
	v_mul_f64 v[184:185], v[220:221], v[186:187]
	v_mul_f64 v[212:213], v[218:219], v[186:187]
	s_delay_alu instid0(VALU_DEP_2) | instskip(NEXT) | instid1(VALU_DEP_2)
	v_fma_f64 v[184:185], v[218:219], v[216:217], -v[184:185]
	;; [unrolled: 9-line block ×45, first 2 shown]
	v_fma_f64 v[212:213], v[220:221], v[216:217], v[212:213]
	s_delay_alu instid0(VALU_DEP_2) | instskip(NEXT) | instid1(VALU_DEP_2)
	v_add_f64 v[0:1], v[0:1], -v[184:185]
	v_add_f64 v[2:3], v[2:3], -v[212:213]
	v_dual_mov_b32 v184, v216 :: v_dual_mov_b32 v185, v217
.LBB115_109:
	s_or_b32 exec_lo, exec_lo, s3
	s_delay_alu instid0(SALU_CYCLE_1)
	s_mov_b32 s4, exec_lo
	s_waitcnt_vscnt null, 0x0
	s_barrier
	buffer_gl0_inv
	v_cmpx_eq_u32_e32 12, v208
	s_cbranch_execz .LBB115_116
; %bb.110:
	ds_store_2addr_b64 v209, v[180:181], v[182:183] offset1:1
	ds_store_2addr_b64 v214, v[176:177], v[178:179] offset0:26 offset1:27
	ds_store_2addr_b64 v214, v[172:173], v[174:175] offset0:28 offset1:29
	;; [unrolled: 1-line block ×45, first 2 shown]
	ds_load_2addr_b64 v[216:219], v209 offset1:1
	s_waitcnt lgkmcnt(0)
	v_cmp_neq_f64_e32 vcc_lo, 0, v[216:217]
	v_cmp_neq_f64_e64 s3, 0, v[218:219]
	s_delay_alu instid0(VALU_DEP_1) | instskip(NEXT) | instid1(SALU_CYCLE_1)
	s_or_b32 s3, vcc_lo, s3
	s_and_b32 exec_lo, exec_lo, s3
	s_cbranch_execz .LBB115_116
; %bb.111:
	v_cmp_gt_f64_e32 vcc_lo, 0, v[216:217]
	v_xor_b32_e32 v212, 0x80000000, v217
	v_xor_b32_e32 v215, 0x80000000, v219
	s_delay_alu instid0(VALU_DEP_2) | instskip(SKIP_2) | instid1(VALU_DEP_4)
	v_cndmask_b32_e32 v213, v217, v212, vcc_lo
	v_cndmask_b32_e32 v212, v216, v216, vcc_lo
	v_cmp_gt_f64_e32 vcc_lo, 0, v[218:219]
	v_dual_cndmask_b32 v221, v219, v215 :: v_dual_cndmask_b32 v220, v218, v218
	s_delay_alu instid0(VALU_DEP_1) | instskip(SKIP_1) | instid1(SALU_CYCLE_1)
	v_cmp_ngt_f64_e32 vcc_lo, v[212:213], v[220:221]
                                        ; implicit-def: $vgpr212_vgpr213
	s_and_saveexec_b32 s3, vcc_lo
	s_xor_b32 s3, exec_lo, s3
                                        ; implicit-def: $vgpr220_vgpr221_vgpr222_vgpr223
	s_cbranch_execz .LBB115_113
; %bb.112:
	v_div_scale_f64 v[212:213], null, v[218:219], v[218:219], v[216:217]
	v_div_scale_f64 v[224:225], vcc_lo, v[216:217], v[218:219], v[216:217]
	s_delay_alu instid0(VALU_DEP_2) | instskip(SKIP_2) | instid1(VALU_DEP_1)
	v_rcp_f64_e32 v[220:221], v[212:213]
	s_waitcnt_depctr 0xfff
	v_fma_f64 v[222:223], -v[212:213], v[220:221], 1.0
	v_fma_f64 v[220:221], v[220:221], v[222:223], v[220:221]
	s_delay_alu instid0(VALU_DEP_1) | instskip(NEXT) | instid1(VALU_DEP_1)
	v_fma_f64 v[222:223], -v[212:213], v[220:221], 1.0
	v_fma_f64 v[220:221], v[220:221], v[222:223], v[220:221]
	s_delay_alu instid0(VALU_DEP_1) | instskip(NEXT) | instid1(VALU_DEP_1)
	v_mul_f64 v[222:223], v[224:225], v[220:221]
	v_fma_f64 v[212:213], -v[212:213], v[222:223], v[224:225]
	s_delay_alu instid0(VALU_DEP_1) | instskip(NEXT) | instid1(VALU_DEP_1)
	v_div_fmas_f64 v[212:213], v[212:213], v[220:221], v[222:223]
	v_div_fixup_f64 v[212:213], v[212:213], v[218:219], v[216:217]
	s_delay_alu instid0(VALU_DEP_1) | instskip(NEXT) | instid1(VALU_DEP_1)
	v_fma_f64 v[216:217], v[216:217], v[212:213], v[218:219]
	v_div_scale_f64 v[218:219], null, v[216:217], v[216:217], 1.0
	s_delay_alu instid0(VALU_DEP_1) | instskip(SKIP_2) | instid1(VALU_DEP_1)
	v_rcp_f64_e32 v[220:221], v[218:219]
	s_waitcnt_depctr 0xfff
	v_fma_f64 v[222:223], -v[218:219], v[220:221], 1.0
	v_fma_f64 v[220:221], v[220:221], v[222:223], v[220:221]
	s_delay_alu instid0(VALU_DEP_1) | instskip(NEXT) | instid1(VALU_DEP_1)
	v_fma_f64 v[222:223], -v[218:219], v[220:221], 1.0
	v_fma_f64 v[220:221], v[220:221], v[222:223], v[220:221]
	v_div_scale_f64 v[222:223], vcc_lo, 1.0, v[216:217], 1.0
	s_delay_alu instid0(VALU_DEP_1) | instskip(NEXT) | instid1(VALU_DEP_1)
	v_mul_f64 v[224:225], v[222:223], v[220:221]
	v_fma_f64 v[218:219], -v[218:219], v[224:225], v[222:223]
	s_delay_alu instid0(VALU_DEP_1) | instskip(NEXT) | instid1(VALU_DEP_1)
	v_div_fmas_f64 v[218:219], v[218:219], v[220:221], v[224:225]
	v_div_fixup_f64 v[222:223], v[218:219], v[216:217], 1.0
                                        ; implicit-def: $vgpr216_vgpr217
	s_delay_alu instid0(VALU_DEP_1)
	v_mul_f64 v[212:213], v[212:213], v[222:223]
	v_xor_b32_e32 v223, 0x80000000, v223
.LBB115_113:
	s_and_not1_saveexec_b32 s3, s3
	s_cbranch_execz .LBB115_115
; %bb.114:
	v_div_scale_f64 v[212:213], null, v[216:217], v[216:217], v[218:219]
	v_div_scale_f64 v[224:225], vcc_lo, v[218:219], v[216:217], v[218:219]
	s_delay_alu instid0(VALU_DEP_2) | instskip(SKIP_2) | instid1(VALU_DEP_1)
	v_rcp_f64_e32 v[220:221], v[212:213]
	s_waitcnt_depctr 0xfff
	v_fma_f64 v[222:223], -v[212:213], v[220:221], 1.0
	v_fma_f64 v[220:221], v[220:221], v[222:223], v[220:221]
	s_delay_alu instid0(VALU_DEP_1) | instskip(NEXT) | instid1(VALU_DEP_1)
	v_fma_f64 v[222:223], -v[212:213], v[220:221], 1.0
	v_fma_f64 v[220:221], v[220:221], v[222:223], v[220:221]
	s_delay_alu instid0(VALU_DEP_1) | instskip(NEXT) | instid1(VALU_DEP_1)
	v_mul_f64 v[222:223], v[224:225], v[220:221]
	v_fma_f64 v[212:213], -v[212:213], v[222:223], v[224:225]
	s_delay_alu instid0(VALU_DEP_1) | instskip(NEXT) | instid1(VALU_DEP_1)
	v_div_fmas_f64 v[212:213], v[212:213], v[220:221], v[222:223]
	v_div_fixup_f64 v[220:221], v[212:213], v[216:217], v[218:219]
	s_delay_alu instid0(VALU_DEP_1) | instskip(NEXT) | instid1(VALU_DEP_1)
	v_fma_f64 v[212:213], v[218:219], v[220:221], v[216:217]
	v_div_scale_f64 v[216:217], null, v[212:213], v[212:213], 1.0
	s_delay_alu instid0(VALU_DEP_1) | instskip(SKIP_2) | instid1(VALU_DEP_1)
	v_rcp_f64_e32 v[218:219], v[216:217]
	s_waitcnt_depctr 0xfff
	v_fma_f64 v[222:223], -v[216:217], v[218:219], 1.0
	v_fma_f64 v[218:219], v[218:219], v[222:223], v[218:219]
	s_delay_alu instid0(VALU_DEP_1) | instskip(NEXT) | instid1(VALU_DEP_1)
	v_fma_f64 v[222:223], -v[216:217], v[218:219], 1.0
	v_fma_f64 v[218:219], v[218:219], v[222:223], v[218:219]
	v_div_scale_f64 v[222:223], vcc_lo, 1.0, v[212:213], 1.0
	s_delay_alu instid0(VALU_DEP_1) | instskip(NEXT) | instid1(VALU_DEP_1)
	v_mul_f64 v[224:225], v[222:223], v[218:219]
	v_fma_f64 v[216:217], -v[216:217], v[224:225], v[222:223]
	s_delay_alu instid0(VALU_DEP_1) | instskip(NEXT) | instid1(VALU_DEP_1)
	v_div_fmas_f64 v[216:217], v[216:217], v[218:219], v[224:225]
	v_div_fixup_f64 v[212:213], v[216:217], v[212:213], 1.0
	s_delay_alu instid0(VALU_DEP_1)
	v_mul_f64 v[222:223], v[220:221], -v[212:213]
.LBB115_115:
	s_or_b32 exec_lo, exec_lo, s3
	ds_store_2addr_b64 v209, v[212:213], v[222:223] offset1:1
.LBB115_116:
	s_or_b32 exec_lo, exec_lo, s4
	s_waitcnt lgkmcnt(0)
	s_barrier
	buffer_gl0_inv
	ds_load_2addr_b64 v[204:207], v209 offset1:1
	s_mov_b32 s3, exec_lo
	s_waitcnt lgkmcnt(0)
	scratch_store_b128 off, v[204:207], off offset:756 ; 16-byte Folded Spill
	v_cmpx_lt_u32_e32 12, v208
	s_cbranch_execz .LBB115_118
; %bb.117:
	scratch_load_b128 v[204:207], off, off offset:756 ; 16-byte Folded Reload
	ds_load_2addr_b64 v[218:221], v214 offset0:26 offset1:27
	s_waitcnt vmcnt(0)
	v_mul_f64 v[212:213], v[206:207], v[182:183]
	v_mul_f64 v[182:183], v[204:205], v[182:183]
	s_delay_alu instid0(VALU_DEP_2) | instskip(NEXT) | instid1(VALU_DEP_2)
	v_fma_f64 v[216:217], v[204:205], v[180:181], -v[212:213]
	v_fma_f64 v[182:183], v[206:207], v[180:181], v[182:183]
	s_waitcnt lgkmcnt(0)
	s_delay_alu instid0(VALU_DEP_1) | instskip(SKIP_1) | instid1(VALU_DEP_2)
	v_mul_f64 v[180:181], v[220:221], v[182:183]
	v_mul_f64 v[212:213], v[218:219], v[182:183]
	v_fma_f64 v[180:181], v[218:219], v[216:217], -v[180:181]
	s_delay_alu instid0(VALU_DEP_2)
	v_fma_f64 v[212:213], v[220:221], v[216:217], v[212:213]
	ds_load_2addr_b64 v[218:221], v214 offset0:28 offset1:29
	v_add_f64 v[176:177], v[176:177], -v[180:181]
	v_add_f64 v[178:179], v[178:179], -v[212:213]
	s_waitcnt lgkmcnt(0)
	v_mul_f64 v[180:181], v[220:221], v[182:183]
	v_mul_f64 v[212:213], v[218:219], v[182:183]
	s_delay_alu instid0(VALU_DEP_2) | instskip(NEXT) | instid1(VALU_DEP_2)
	v_fma_f64 v[180:181], v[218:219], v[216:217], -v[180:181]
	v_fma_f64 v[212:213], v[220:221], v[216:217], v[212:213]
	ds_load_2addr_b64 v[218:221], v214 offset0:30 offset1:31
	v_add_f64 v[172:173], v[172:173], -v[180:181]
	v_add_f64 v[174:175], v[174:175], -v[212:213]
	s_waitcnt lgkmcnt(0)
	v_mul_f64 v[180:181], v[220:221], v[182:183]
	v_mul_f64 v[212:213], v[218:219], v[182:183]
	s_delay_alu instid0(VALU_DEP_2) | instskip(NEXT) | instid1(VALU_DEP_2)
	v_fma_f64 v[180:181], v[218:219], v[216:217], -v[180:181]
	;; [unrolled: 9-line block ×44, first 2 shown]
	v_fma_f64 v[212:213], v[220:221], v[216:217], v[212:213]
	s_delay_alu instid0(VALU_DEP_2) | instskip(NEXT) | instid1(VALU_DEP_2)
	v_add_f64 v[0:1], v[0:1], -v[180:181]
	v_add_f64 v[2:3], v[2:3], -v[212:213]
	v_dual_mov_b32 v180, v216 :: v_dual_mov_b32 v181, v217
.LBB115_118:
	s_or_b32 exec_lo, exec_lo, s3
	s_delay_alu instid0(SALU_CYCLE_1)
	s_mov_b32 s4, exec_lo
	s_waitcnt_vscnt null, 0x0
	s_barrier
	buffer_gl0_inv
	v_cmpx_eq_u32_e32 13, v208
	s_cbranch_execz .LBB115_125
; %bb.119:
	ds_store_2addr_b64 v209, v[176:177], v[178:179] offset1:1
	ds_store_2addr_b64 v214, v[172:173], v[174:175] offset0:28 offset1:29
	ds_store_2addr_b64 v214, v[168:169], v[170:171] offset0:30 offset1:31
	;; [unrolled: 1-line block ×44, first 2 shown]
	ds_load_2addr_b64 v[216:219], v209 offset1:1
	s_waitcnt lgkmcnt(0)
	v_cmp_neq_f64_e32 vcc_lo, 0, v[216:217]
	v_cmp_neq_f64_e64 s3, 0, v[218:219]
	s_delay_alu instid0(VALU_DEP_1) | instskip(NEXT) | instid1(SALU_CYCLE_1)
	s_or_b32 s3, vcc_lo, s3
	s_and_b32 exec_lo, exec_lo, s3
	s_cbranch_execz .LBB115_125
; %bb.120:
	v_cmp_gt_f64_e32 vcc_lo, 0, v[216:217]
	v_xor_b32_e32 v212, 0x80000000, v217
	v_xor_b32_e32 v215, 0x80000000, v219
	s_delay_alu instid0(VALU_DEP_2) | instskip(SKIP_2) | instid1(VALU_DEP_4)
	v_cndmask_b32_e32 v213, v217, v212, vcc_lo
	v_cndmask_b32_e32 v212, v216, v216, vcc_lo
	v_cmp_gt_f64_e32 vcc_lo, 0, v[218:219]
	v_dual_cndmask_b32 v221, v219, v215 :: v_dual_cndmask_b32 v220, v218, v218
	s_delay_alu instid0(VALU_DEP_1) | instskip(SKIP_1) | instid1(SALU_CYCLE_1)
	v_cmp_ngt_f64_e32 vcc_lo, v[212:213], v[220:221]
                                        ; implicit-def: $vgpr212_vgpr213
	s_and_saveexec_b32 s3, vcc_lo
	s_xor_b32 s3, exec_lo, s3
                                        ; implicit-def: $vgpr220_vgpr221_vgpr222_vgpr223
	s_cbranch_execz .LBB115_122
; %bb.121:
	v_div_scale_f64 v[212:213], null, v[218:219], v[218:219], v[216:217]
	v_div_scale_f64 v[224:225], vcc_lo, v[216:217], v[218:219], v[216:217]
	s_delay_alu instid0(VALU_DEP_2) | instskip(SKIP_2) | instid1(VALU_DEP_1)
	v_rcp_f64_e32 v[220:221], v[212:213]
	s_waitcnt_depctr 0xfff
	v_fma_f64 v[222:223], -v[212:213], v[220:221], 1.0
	v_fma_f64 v[220:221], v[220:221], v[222:223], v[220:221]
	s_delay_alu instid0(VALU_DEP_1) | instskip(NEXT) | instid1(VALU_DEP_1)
	v_fma_f64 v[222:223], -v[212:213], v[220:221], 1.0
	v_fma_f64 v[220:221], v[220:221], v[222:223], v[220:221]
	s_delay_alu instid0(VALU_DEP_1) | instskip(NEXT) | instid1(VALU_DEP_1)
	v_mul_f64 v[222:223], v[224:225], v[220:221]
	v_fma_f64 v[212:213], -v[212:213], v[222:223], v[224:225]
	s_delay_alu instid0(VALU_DEP_1) | instskip(NEXT) | instid1(VALU_DEP_1)
	v_div_fmas_f64 v[212:213], v[212:213], v[220:221], v[222:223]
	v_div_fixup_f64 v[212:213], v[212:213], v[218:219], v[216:217]
	s_delay_alu instid0(VALU_DEP_1) | instskip(NEXT) | instid1(VALU_DEP_1)
	v_fma_f64 v[216:217], v[216:217], v[212:213], v[218:219]
	v_div_scale_f64 v[218:219], null, v[216:217], v[216:217], 1.0
	s_delay_alu instid0(VALU_DEP_1) | instskip(SKIP_2) | instid1(VALU_DEP_1)
	v_rcp_f64_e32 v[220:221], v[218:219]
	s_waitcnt_depctr 0xfff
	v_fma_f64 v[222:223], -v[218:219], v[220:221], 1.0
	v_fma_f64 v[220:221], v[220:221], v[222:223], v[220:221]
	s_delay_alu instid0(VALU_DEP_1) | instskip(NEXT) | instid1(VALU_DEP_1)
	v_fma_f64 v[222:223], -v[218:219], v[220:221], 1.0
	v_fma_f64 v[220:221], v[220:221], v[222:223], v[220:221]
	v_div_scale_f64 v[222:223], vcc_lo, 1.0, v[216:217], 1.0
	s_delay_alu instid0(VALU_DEP_1) | instskip(NEXT) | instid1(VALU_DEP_1)
	v_mul_f64 v[224:225], v[222:223], v[220:221]
	v_fma_f64 v[218:219], -v[218:219], v[224:225], v[222:223]
	s_delay_alu instid0(VALU_DEP_1) | instskip(NEXT) | instid1(VALU_DEP_1)
	v_div_fmas_f64 v[218:219], v[218:219], v[220:221], v[224:225]
	v_div_fixup_f64 v[222:223], v[218:219], v[216:217], 1.0
                                        ; implicit-def: $vgpr216_vgpr217
	s_delay_alu instid0(VALU_DEP_1)
	v_mul_f64 v[212:213], v[212:213], v[222:223]
	v_xor_b32_e32 v223, 0x80000000, v223
.LBB115_122:
	s_and_not1_saveexec_b32 s3, s3
	s_cbranch_execz .LBB115_124
; %bb.123:
	v_div_scale_f64 v[212:213], null, v[216:217], v[216:217], v[218:219]
	v_div_scale_f64 v[224:225], vcc_lo, v[218:219], v[216:217], v[218:219]
	s_delay_alu instid0(VALU_DEP_2) | instskip(SKIP_2) | instid1(VALU_DEP_1)
	v_rcp_f64_e32 v[220:221], v[212:213]
	s_waitcnt_depctr 0xfff
	v_fma_f64 v[222:223], -v[212:213], v[220:221], 1.0
	v_fma_f64 v[220:221], v[220:221], v[222:223], v[220:221]
	s_delay_alu instid0(VALU_DEP_1) | instskip(NEXT) | instid1(VALU_DEP_1)
	v_fma_f64 v[222:223], -v[212:213], v[220:221], 1.0
	v_fma_f64 v[220:221], v[220:221], v[222:223], v[220:221]
	s_delay_alu instid0(VALU_DEP_1) | instskip(NEXT) | instid1(VALU_DEP_1)
	v_mul_f64 v[222:223], v[224:225], v[220:221]
	v_fma_f64 v[212:213], -v[212:213], v[222:223], v[224:225]
	s_delay_alu instid0(VALU_DEP_1) | instskip(NEXT) | instid1(VALU_DEP_1)
	v_div_fmas_f64 v[212:213], v[212:213], v[220:221], v[222:223]
	v_div_fixup_f64 v[220:221], v[212:213], v[216:217], v[218:219]
	s_delay_alu instid0(VALU_DEP_1) | instskip(NEXT) | instid1(VALU_DEP_1)
	v_fma_f64 v[212:213], v[218:219], v[220:221], v[216:217]
	v_div_scale_f64 v[216:217], null, v[212:213], v[212:213], 1.0
	s_delay_alu instid0(VALU_DEP_1) | instskip(SKIP_2) | instid1(VALU_DEP_1)
	v_rcp_f64_e32 v[218:219], v[216:217]
	s_waitcnt_depctr 0xfff
	v_fma_f64 v[222:223], -v[216:217], v[218:219], 1.0
	v_fma_f64 v[218:219], v[218:219], v[222:223], v[218:219]
	s_delay_alu instid0(VALU_DEP_1) | instskip(NEXT) | instid1(VALU_DEP_1)
	v_fma_f64 v[222:223], -v[216:217], v[218:219], 1.0
	v_fma_f64 v[218:219], v[218:219], v[222:223], v[218:219]
	v_div_scale_f64 v[222:223], vcc_lo, 1.0, v[212:213], 1.0
	s_delay_alu instid0(VALU_DEP_1) | instskip(NEXT) | instid1(VALU_DEP_1)
	v_mul_f64 v[224:225], v[222:223], v[218:219]
	v_fma_f64 v[216:217], -v[216:217], v[224:225], v[222:223]
	s_delay_alu instid0(VALU_DEP_1) | instskip(NEXT) | instid1(VALU_DEP_1)
	v_div_fmas_f64 v[216:217], v[216:217], v[218:219], v[224:225]
	v_div_fixup_f64 v[212:213], v[216:217], v[212:213], 1.0
	s_delay_alu instid0(VALU_DEP_1)
	v_mul_f64 v[222:223], v[220:221], -v[212:213]
.LBB115_124:
	s_or_b32 exec_lo, exec_lo, s3
	ds_store_2addr_b64 v209, v[212:213], v[222:223] offset1:1
.LBB115_125:
	s_or_b32 exec_lo, exec_lo, s4
	s_waitcnt lgkmcnt(0)
	s_barrier
	buffer_gl0_inv
	ds_load_2addr_b64 v[204:207], v209 offset1:1
	s_mov_b32 s3, exec_lo
	s_waitcnt lgkmcnt(0)
	scratch_store_b128 off, v[204:207], off offset:772 ; 16-byte Folded Spill
	v_cmpx_lt_u32_e32 13, v208
	s_cbranch_execz .LBB115_127
; %bb.126:
	scratch_load_b128 v[204:207], off, off offset:772 ; 16-byte Folded Reload
	ds_load_2addr_b64 v[218:221], v214 offset0:28 offset1:29
	s_waitcnt vmcnt(0)
	v_mul_f64 v[212:213], v[206:207], v[178:179]
	v_mul_f64 v[178:179], v[204:205], v[178:179]
	s_delay_alu instid0(VALU_DEP_2) | instskip(NEXT) | instid1(VALU_DEP_2)
	v_fma_f64 v[216:217], v[204:205], v[176:177], -v[212:213]
	v_fma_f64 v[178:179], v[206:207], v[176:177], v[178:179]
	s_waitcnt lgkmcnt(0)
	s_delay_alu instid0(VALU_DEP_1) | instskip(SKIP_1) | instid1(VALU_DEP_2)
	v_mul_f64 v[176:177], v[220:221], v[178:179]
	v_mul_f64 v[212:213], v[218:219], v[178:179]
	v_fma_f64 v[176:177], v[218:219], v[216:217], -v[176:177]
	s_delay_alu instid0(VALU_DEP_2)
	v_fma_f64 v[212:213], v[220:221], v[216:217], v[212:213]
	ds_load_2addr_b64 v[218:221], v214 offset0:30 offset1:31
	v_add_f64 v[172:173], v[172:173], -v[176:177]
	v_add_f64 v[174:175], v[174:175], -v[212:213]
	s_waitcnt lgkmcnt(0)
	v_mul_f64 v[176:177], v[220:221], v[178:179]
	v_mul_f64 v[212:213], v[218:219], v[178:179]
	s_delay_alu instid0(VALU_DEP_2) | instskip(NEXT) | instid1(VALU_DEP_2)
	v_fma_f64 v[176:177], v[218:219], v[216:217], -v[176:177]
	v_fma_f64 v[212:213], v[220:221], v[216:217], v[212:213]
	ds_load_2addr_b64 v[218:221], v214 offset0:32 offset1:33
	v_add_f64 v[168:169], v[168:169], -v[176:177]
	v_add_f64 v[170:171], v[170:171], -v[212:213]
	s_waitcnt lgkmcnt(0)
	v_mul_f64 v[176:177], v[220:221], v[178:179]
	v_mul_f64 v[212:213], v[218:219], v[178:179]
	s_delay_alu instid0(VALU_DEP_2) | instskip(NEXT) | instid1(VALU_DEP_2)
	v_fma_f64 v[176:177], v[218:219], v[216:217], -v[176:177]
	v_fma_f64 v[212:213], v[220:221], v[216:217], v[212:213]
	ds_load_2addr_b64 v[218:221], v214 offset0:34 offset1:35
	v_add_f64 v[164:165], v[164:165], -v[176:177]
	v_add_f64 v[166:167], v[166:167], -v[212:213]
	s_waitcnt lgkmcnt(0)
	v_mul_f64 v[176:177], v[220:221], v[178:179]
	v_mul_f64 v[212:213], v[218:219], v[178:179]
	s_delay_alu instid0(VALU_DEP_2) | instskip(NEXT) | instid1(VALU_DEP_2)
	v_fma_f64 v[176:177], v[218:219], v[216:217], -v[176:177]
	v_fma_f64 v[212:213], v[220:221], v[216:217], v[212:213]
	ds_load_2addr_b64 v[218:221], v214 offset0:36 offset1:37
	v_add_f64 v[160:161], v[160:161], -v[176:177]
	v_add_f64 v[162:163], v[162:163], -v[212:213]
	s_waitcnt lgkmcnt(0)
	v_mul_f64 v[176:177], v[220:221], v[178:179]
	v_mul_f64 v[212:213], v[218:219], v[178:179]
	s_delay_alu instid0(VALU_DEP_2) | instskip(NEXT) | instid1(VALU_DEP_2)
	v_fma_f64 v[176:177], v[218:219], v[216:217], -v[176:177]
	v_fma_f64 v[212:213], v[220:221], v[216:217], v[212:213]
	ds_load_2addr_b64 v[218:221], v214 offset0:38 offset1:39
	v_add_f64 v[156:157], v[156:157], -v[176:177]
	v_add_f64 v[158:159], v[158:159], -v[212:213]
	s_waitcnt lgkmcnt(0)
	v_mul_f64 v[176:177], v[220:221], v[178:179]
	v_mul_f64 v[212:213], v[218:219], v[178:179]
	s_delay_alu instid0(VALU_DEP_2) | instskip(NEXT) | instid1(VALU_DEP_2)
	v_fma_f64 v[176:177], v[218:219], v[216:217], -v[176:177]
	v_fma_f64 v[212:213], v[220:221], v[216:217], v[212:213]
	ds_load_2addr_b64 v[218:221], v214 offset0:40 offset1:41
	v_add_f64 v[152:153], v[152:153], -v[176:177]
	v_add_f64 v[154:155], v[154:155], -v[212:213]
	s_waitcnt lgkmcnt(0)
	v_mul_f64 v[176:177], v[220:221], v[178:179]
	v_mul_f64 v[212:213], v[218:219], v[178:179]
	s_delay_alu instid0(VALU_DEP_2) | instskip(NEXT) | instid1(VALU_DEP_2)
	v_fma_f64 v[176:177], v[218:219], v[216:217], -v[176:177]
	v_fma_f64 v[212:213], v[220:221], v[216:217], v[212:213]
	ds_load_2addr_b64 v[218:221], v214 offset0:42 offset1:43
	v_add_f64 v[148:149], v[148:149], -v[176:177]
	v_add_f64 v[150:151], v[150:151], -v[212:213]
	s_waitcnt lgkmcnt(0)
	v_mul_f64 v[176:177], v[220:221], v[178:179]
	v_mul_f64 v[212:213], v[218:219], v[178:179]
	s_delay_alu instid0(VALU_DEP_2) | instskip(NEXT) | instid1(VALU_DEP_2)
	v_fma_f64 v[176:177], v[218:219], v[216:217], -v[176:177]
	v_fma_f64 v[212:213], v[220:221], v[216:217], v[212:213]
	ds_load_2addr_b64 v[218:221], v214 offset0:44 offset1:45
	v_add_f64 v[144:145], v[144:145], -v[176:177]
	v_add_f64 v[146:147], v[146:147], -v[212:213]
	s_waitcnt lgkmcnt(0)
	v_mul_f64 v[176:177], v[220:221], v[178:179]
	v_mul_f64 v[212:213], v[218:219], v[178:179]
	s_delay_alu instid0(VALU_DEP_2) | instskip(NEXT) | instid1(VALU_DEP_2)
	v_fma_f64 v[176:177], v[218:219], v[216:217], -v[176:177]
	v_fma_f64 v[212:213], v[220:221], v[216:217], v[212:213]
	ds_load_2addr_b64 v[218:221], v214 offset0:46 offset1:47
	v_add_f64 v[140:141], v[140:141], -v[176:177]
	v_add_f64 v[142:143], v[142:143], -v[212:213]
	s_waitcnt lgkmcnt(0)
	v_mul_f64 v[176:177], v[220:221], v[178:179]
	v_mul_f64 v[212:213], v[218:219], v[178:179]
	s_delay_alu instid0(VALU_DEP_2) | instskip(NEXT) | instid1(VALU_DEP_2)
	v_fma_f64 v[176:177], v[218:219], v[216:217], -v[176:177]
	v_fma_f64 v[212:213], v[220:221], v[216:217], v[212:213]
	ds_load_2addr_b64 v[218:221], v214 offset0:48 offset1:49
	v_add_f64 v[136:137], v[136:137], -v[176:177]
	v_add_f64 v[138:139], v[138:139], -v[212:213]
	s_waitcnt lgkmcnt(0)
	v_mul_f64 v[176:177], v[220:221], v[178:179]
	v_mul_f64 v[212:213], v[218:219], v[178:179]
	s_delay_alu instid0(VALU_DEP_2) | instskip(NEXT) | instid1(VALU_DEP_2)
	v_fma_f64 v[176:177], v[218:219], v[216:217], -v[176:177]
	v_fma_f64 v[212:213], v[220:221], v[216:217], v[212:213]
	ds_load_2addr_b64 v[218:221], v214 offset0:50 offset1:51
	v_add_f64 v[132:133], v[132:133], -v[176:177]
	v_add_f64 v[134:135], v[134:135], -v[212:213]
	s_waitcnt lgkmcnt(0)
	v_mul_f64 v[176:177], v[220:221], v[178:179]
	v_mul_f64 v[212:213], v[218:219], v[178:179]
	s_delay_alu instid0(VALU_DEP_2) | instskip(NEXT) | instid1(VALU_DEP_2)
	v_fma_f64 v[176:177], v[218:219], v[216:217], -v[176:177]
	v_fma_f64 v[212:213], v[220:221], v[216:217], v[212:213]
	ds_load_2addr_b64 v[218:221], v214 offset0:52 offset1:53
	v_add_f64 v[128:129], v[128:129], -v[176:177]
	v_add_f64 v[130:131], v[130:131], -v[212:213]
	s_waitcnt lgkmcnt(0)
	v_mul_f64 v[176:177], v[220:221], v[178:179]
	v_mul_f64 v[212:213], v[218:219], v[178:179]
	s_delay_alu instid0(VALU_DEP_2) | instskip(NEXT) | instid1(VALU_DEP_2)
	v_fma_f64 v[176:177], v[218:219], v[216:217], -v[176:177]
	v_fma_f64 v[212:213], v[220:221], v[216:217], v[212:213]
	ds_load_2addr_b64 v[218:221], v214 offset0:54 offset1:55
	v_add_f64 v[124:125], v[124:125], -v[176:177]
	v_add_f64 v[126:127], v[126:127], -v[212:213]
	s_waitcnt lgkmcnt(0)
	v_mul_f64 v[176:177], v[220:221], v[178:179]
	v_mul_f64 v[212:213], v[218:219], v[178:179]
	s_delay_alu instid0(VALU_DEP_2) | instskip(NEXT) | instid1(VALU_DEP_2)
	v_fma_f64 v[176:177], v[218:219], v[216:217], -v[176:177]
	v_fma_f64 v[212:213], v[220:221], v[216:217], v[212:213]
	ds_load_2addr_b64 v[218:221], v214 offset0:56 offset1:57
	v_add_f64 v[120:121], v[120:121], -v[176:177]
	v_add_f64 v[122:123], v[122:123], -v[212:213]
	s_waitcnt lgkmcnt(0)
	v_mul_f64 v[176:177], v[220:221], v[178:179]
	v_mul_f64 v[212:213], v[218:219], v[178:179]
	s_delay_alu instid0(VALU_DEP_2) | instskip(NEXT) | instid1(VALU_DEP_2)
	v_fma_f64 v[176:177], v[218:219], v[216:217], -v[176:177]
	v_fma_f64 v[212:213], v[220:221], v[216:217], v[212:213]
	ds_load_2addr_b64 v[218:221], v214 offset0:58 offset1:59
	v_add_f64 v[116:117], v[116:117], -v[176:177]
	v_add_f64 v[118:119], v[118:119], -v[212:213]
	s_waitcnt lgkmcnt(0)
	v_mul_f64 v[176:177], v[220:221], v[178:179]
	v_mul_f64 v[212:213], v[218:219], v[178:179]
	s_delay_alu instid0(VALU_DEP_2) | instskip(NEXT) | instid1(VALU_DEP_2)
	v_fma_f64 v[176:177], v[218:219], v[216:217], -v[176:177]
	v_fma_f64 v[212:213], v[220:221], v[216:217], v[212:213]
	ds_load_2addr_b64 v[218:221], v214 offset0:60 offset1:61
	v_add_f64 v[112:113], v[112:113], -v[176:177]
	v_add_f64 v[114:115], v[114:115], -v[212:213]
	s_waitcnt lgkmcnt(0)
	v_mul_f64 v[176:177], v[220:221], v[178:179]
	v_mul_f64 v[212:213], v[218:219], v[178:179]
	s_delay_alu instid0(VALU_DEP_2) | instskip(NEXT) | instid1(VALU_DEP_2)
	v_fma_f64 v[176:177], v[218:219], v[216:217], -v[176:177]
	v_fma_f64 v[212:213], v[220:221], v[216:217], v[212:213]
	ds_load_2addr_b64 v[218:221], v214 offset0:62 offset1:63
	v_add_f64 v[108:109], v[108:109], -v[176:177]
	v_add_f64 v[110:111], v[110:111], -v[212:213]
	s_waitcnt lgkmcnt(0)
	v_mul_f64 v[176:177], v[220:221], v[178:179]
	v_mul_f64 v[212:213], v[218:219], v[178:179]
	s_delay_alu instid0(VALU_DEP_2) | instskip(NEXT) | instid1(VALU_DEP_2)
	v_fma_f64 v[176:177], v[218:219], v[216:217], -v[176:177]
	v_fma_f64 v[212:213], v[220:221], v[216:217], v[212:213]
	ds_load_2addr_b64 v[218:221], v214 offset0:64 offset1:65
	v_add_f64 v[104:105], v[104:105], -v[176:177]
	v_add_f64 v[106:107], v[106:107], -v[212:213]
	s_waitcnt lgkmcnt(0)
	v_mul_f64 v[176:177], v[220:221], v[178:179]
	v_mul_f64 v[212:213], v[218:219], v[178:179]
	s_delay_alu instid0(VALU_DEP_2) | instskip(NEXT) | instid1(VALU_DEP_2)
	v_fma_f64 v[176:177], v[218:219], v[216:217], -v[176:177]
	v_fma_f64 v[212:213], v[220:221], v[216:217], v[212:213]
	ds_load_2addr_b64 v[218:221], v214 offset0:66 offset1:67
	v_add_f64 v[100:101], v[100:101], -v[176:177]
	v_add_f64 v[102:103], v[102:103], -v[212:213]
	s_waitcnt lgkmcnt(0)
	v_mul_f64 v[176:177], v[220:221], v[178:179]
	v_mul_f64 v[212:213], v[218:219], v[178:179]
	s_delay_alu instid0(VALU_DEP_2) | instskip(NEXT) | instid1(VALU_DEP_2)
	v_fma_f64 v[176:177], v[218:219], v[216:217], -v[176:177]
	v_fma_f64 v[212:213], v[220:221], v[216:217], v[212:213]
	ds_load_2addr_b64 v[218:221], v214 offset0:68 offset1:69
	v_add_f64 v[96:97], v[96:97], -v[176:177]
	v_add_f64 v[98:99], v[98:99], -v[212:213]
	s_waitcnt lgkmcnt(0)
	v_mul_f64 v[176:177], v[220:221], v[178:179]
	v_mul_f64 v[212:213], v[218:219], v[178:179]
	s_delay_alu instid0(VALU_DEP_2) | instskip(NEXT) | instid1(VALU_DEP_2)
	v_fma_f64 v[176:177], v[218:219], v[216:217], -v[176:177]
	v_fma_f64 v[212:213], v[220:221], v[216:217], v[212:213]
	ds_load_2addr_b64 v[218:221], v214 offset0:70 offset1:71
	v_add_f64 v[92:93], v[92:93], -v[176:177]
	v_add_f64 v[94:95], v[94:95], -v[212:213]
	s_waitcnt lgkmcnt(0)
	v_mul_f64 v[176:177], v[220:221], v[178:179]
	v_mul_f64 v[212:213], v[218:219], v[178:179]
	s_delay_alu instid0(VALU_DEP_2) | instskip(NEXT) | instid1(VALU_DEP_2)
	v_fma_f64 v[176:177], v[218:219], v[216:217], -v[176:177]
	v_fma_f64 v[212:213], v[220:221], v[216:217], v[212:213]
	ds_load_2addr_b64 v[218:221], v214 offset0:72 offset1:73
	v_add_f64 v[88:89], v[88:89], -v[176:177]
	v_add_f64 v[90:91], v[90:91], -v[212:213]
	s_waitcnt lgkmcnt(0)
	v_mul_f64 v[176:177], v[220:221], v[178:179]
	v_mul_f64 v[212:213], v[218:219], v[178:179]
	s_delay_alu instid0(VALU_DEP_2) | instskip(NEXT) | instid1(VALU_DEP_2)
	v_fma_f64 v[176:177], v[218:219], v[216:217], -v[176:177]
	v_fma_f64 v[212:213], v[220:221], v[216:217], v[212:213]
	ds_load_2addr_b64 v[218:221], v214 offset0:74 offset1:75
	v_add_f64 v[84:85], v[84:85], -v[176:177]
	v_add_f64 v[86:87], v[86:87], -v[212:213]
	s_waitcnt lgkmcnt(0)
	v_mul_f64 v[176:177], v[220:221], v[178:179]
	v_mul_f64 v[212:213], v[218:219], v[178:179]
	s_delay_alu instid0(VALU_DEP_2) | instskip(NEXT) | instid1(VALU_DEP_2)
	v_fma_f64 v[176:177], v[218:219], v[216:217], -v[176:177]
	v_fma_f64 v[212:213], v[220:221], v[216:217], v[212:213]
	ds_load_2addr_b64 v[218:221], v214 offset0:76 offset1:77
	v_add_f64 v[80:81], v[80:81], -v[176:177]
	v_add_f64 v[82:83], v[82:83], -v[212:213]
	s_waitcnt lgkmcnt(0)
	v_mul_f64 v[176:177], v[220:221], v[178:179]
	v_mul_f64 v[212:213], v[218:219], v[178:179]
	s_delay_alu instid0(VALU_DEP_2) | instskip(NEXT) | instid1(VALU_DEP_2)
	v_fma_f64 v[176:177], v[218:219], v[216:217], -v[176:177]
	v_fma_f64 v[212:213], v[220:221], v[216:217], v[212:213]
	ds_load_2addr_b64 v[218:221], v214 offset0:78 offset1:79
	v_add_f64 v[76:77], v[76:77], -v[176:177]
	v_add_f64 v[78:79], v[78:79], -v[212:213]
	s_waitcnt lgkmcnt(0)
	v_mul_f64 v[176:177], v[220:221], v[178:179]
	v_mul_f64 v[212:213], v[218:219], v[178:179]
	s_delay_alu instid0(VALU_DEP_2) | instskip(NEXT) | instid1(VALU_DEP_2)
	v_fma_f64 v[176:177], v[218:219], v[216:217], -v[176:177]
	v_fma_f64 v[212:213], v[220:221], v[216:217], v[212:213]
	ds_load_2addr_b64 v[218:221], v214 offset0:80 offset1:81
	v_add_f64 v[72:73], v[72:73], -v[176:177]
	v_add_f64 v[74:75], v[74:75], -v[212:213]
	s_waitcnt lgkmcnt(0)
	v_mul_f64 v[176:177], v[220:221], v[178:179]
	v_mul_f64 v[212:213], v[218:219], v[178:179]
	s_delay_alu instid0(VALU_DEP_2) | instskip(NEXT) | instid1(VALU_DEP_2)
	v_fma_f64 v[176:177], v[218:219], v[216:217], -v[176:177]
	v_fma_f64 v[212:213], v[220:221], v[216:217], v[212:213]
	ds_load_2addr_b64 v[218:221], v214 offset0:82 offset1:83
	v_add_f64 v[68:69], v[68:69], -v[176:177]
	v_add_f64 v[70:71], v[70:71], -v[212:213]
	s_waitcnt lgkmcnt(0)
	v_mul_f64 v[176:177], v[220:221], v[178:179]
	v_mul_f64 v[212:213], v[218:219], v[178:179]
	s_delay_alu instid0(VALU_DEP_2) | instskip(NEXT) | instid1(VALU_DEP_2)
	v_fma_f64 v[176:177], v[218:219], v[216:217], -v[176:177]
	v_fma_f64 v[212:213], v[220:221], v[216:217], v[212:213]
	ds_load_2addr_b64 v[218:221], v214 offset0:84 offset1:85
	v_add_f64 v[64:65], v[64:65], -v[176:177]
	v_add_f64 v[66:67], v[66:67], -v[212:213]
	s_waitcnt lgkmcnt(0)
	v_mul_f64 v[176:177], v[220:221], v[178:179]
	v_mul_f64 v[212:213], v[218:219], v[178:179]
	s_delay_alu instid0(VALU_DEP_2) | instskip(NEXT) | instid1(VALU_DEP_2)
	v_fma_f64 v[176:177], v[218:219], v[216:217], -v[176:177]
	v_fma_f64 v[212:213], v[220:221], v[216:217], v[212:213]
	ds_load_2addr_b64 v[218:221], v214 offset0:86 offset1:87
	v_add_f64 v[60:61], v[60:61], -v[176:177]
	v_add_f64 v[62:63], v[62:63], -v[212:213]
	s_waitcnt lgkmcnt(0)
	v_mul_f64 v[176:177], v[220:221], v[178:179]
	v_mul_f64 v[212:213], v[218:219], v[178:179]
	s_delay_alu instid0(VALU_DEP_2) | instskip(NEXT) | instid1(VALU_DEP_2)
	v_fma_f64 v[176:177], v[218:219], v[216:217], -v[176:177]
	v_fma_f64 v[212:213], v[220:221], v[216:217], v[212:213]
	ds_load_2addr_b64 v[218:221], v214 offset0:88 offset1:89
	v_add_f64 v[56:57], v[56:57], -v[176:177]
	v_add_f64 v[58:59], v[58:59], -v[212:213]
	s_waitcnt lgkmcnt(0)
	v_mul_f64 v[176:177], v[220:221], v[178:179]
	v_mul_f64 v[212:213], v[218:219], v[178:179]
	s_delay_alu instid0(VALU_DEP_2) | instskip(NEXT) | instid1(VALU_DEP_2)
	v_fma_f64 v[176:177], v[218:219], v[216:217], -v[176:177]
	v_fma_f64 v[212:213], v[220:221], v[216:217], v[212:213]
	ds_load_2addr_b64 v[218:221], v214 offset0:90 offset1:91
	v_add_f64 v[52:53], v[52:53], -v[176:177]
	v_add_f64 v[54:55], v[54:55], -v[212:213]
	s_waitcnt lgkmcnt(0)
	v_mul_f64 v[176:177], v[220:221], v[178:179]
	v_mul_f64 v[212:213], v[218:219], v[178:179]
	s_delay_alu instid0(VALU_DEP_2) | instskip(NEXT) | instid1(VALU_DEP_2)
	v_fma_f64 v[176:177], v[218:219], v[216:217], -v[176:177]
	v_fma_f64 v[212:213], v[220:221], v[216:217], v[212:213]
	ds_load_2addr_b64 v[218:221], v214 offset0:92 offset1:93
	v_add_f64 v[48:49], v[48:49], -v[176:177]
	v_add_f64 v[50:51], v[50:51], -v[212:213]
	s_waitcnt lgkmcnt(0)
	v_mul_f64 v[176:177], v[220:221], v[178:179]
	v_mul_f64 v[212:213], v[218:219], v[178:179]
	s_delay_alu instid0(VALU_DEP_2) | instskip(NEXT) | instid1(VALU_DEP_2)
	v_fma_f64 v[176:177], v[218:219], v[216:217], -v[176:177]
	v_fma_f64 v[212:213], v[220:221], v[216:217], v[212:213]
	ds_load_2addr_b64 v[218:221], v214 offset0:94 offset1:95
	v_add_f64 v[44:45], v[44:45], -v[176:177]
	v_add_f64 v[46:47], v[46:47], -v[212:213]
	s_waitcnt lgkmcnt(0)
	v_mul_f64 v[176:177], v[220:221], v[178:179]
	v_mul_f64 v[212:213], v[218:219], v[178:179]
	s_delay_alu instid0(VALU_DEP_2) | instskip(NEXT) | instid1(VALU_DEP_2)
	v_fma_f64 v[176:177], v[218:219], v[216:217], -v[176:177]
	v_fma_f64 v[212:213], v[220:221], v[216:217], v[212:213]
	ds_load_2addr_b64 v[218:221], v214 offset0:96 offset1:97
	v_add_f64 v[40:41], v[40:41], -v[176:177]
	v_add_f64 v[42:43], v[42:43], -v[212:213]
	s_waitcnt lgkmcnt(0)
	v_mul_f64 v[176:177], v[220:221], v[178:179]
	v_mul_f64 v[212:213], v[218:219], v[178:179]
	s_delay_alu instid0(VALU_DEP_2) | instskip(NEXT) | instid1(VALU_DEP_2)
	v_fma_f64 v[176:177], v[218:219], v[216:217], -v[176:177]
	v_fma_f64 v[212:213], v[220:221], v[216:217], v[212:213]
	ds_load_2addr_b64 v[218:221], v214 offset0:98 offset1:99
	v_add_f64 v[36:37], v[36:37], -v[176:177]
	v_add_f64 v[38:39], v[38:39], -v[212:213]
	s_waitcnt lgkmcnt(0)
	v_mul_f64 v[176:177], v[220:221], v[178:179]
	v_mul_f64 v[212:213], v[218:219], v[178:179]
	s_delay_alu instid0(VALU_DEP_2) | instskip(NEXT) | instid1(VALU_DEP_2)
	v_fma_f64 v[176:177], v[218:219], v[216:217], -v[176:177]
	v_fma_f64 v[212:213], v[220:221], v[216:217], v[212:213]
	ds_load_2addr_b64 v[218:221], v214 offset0:100 offset1:101
	v_add_f64 v[32:33], v[32:33], -v[176:177]
	v_add_f64 v[34:35], v[34:35], -v[212:213]
	s_waitcnt lgkmcnt(0)
	v_mul_f64 v[176:177], v[220:221], v[178:179]
	v_mul_f64 v[212:213], v[218:219], v[178:179]
	s_delay_alu instid0(VALU_DEP_2) | instskip(NEXT) | instid1(VALU_DEP_2)
	v_fma_f64 v[176:177], v[218:219], v[216:217], -v[176:177]
	v_fma_f64 v[212:213], v[220:221], v[216:217], v[212:213]
	ds_load_2addr_b64 v[218:221], v214 offset0:102 offset1:103
	v_add_f64 v[28:29], v[28:29], -v[176:177]
	v_add_f64 v[30:31], v[30:31], -v[212:213]
	s_waitcnt lgkmcnt(0)
	v_mul_f64 v[176:177], v[220:221], v[178:179]
	v_mul_f64 v[212:213], v[218:219], v[178:179]
	s_delay_alu instid0(VALU_DEP_2) | instskip(NEXT) | instid1(VALU_DEP_2)
	v_fma_f64 v[176:177], v[218:219], v[216:217], -v[176:177]
	v_fma_f64 v[212:213], v[220:221], v[216:217], v[212:213]
	ds_load_2addr_b64 v[218:221], v214 offset0:104 offset1:105
	v_add_f64 v[24:25], v[24:25], -v[176:177]
	v_add_f64 v[26:27], v[26:27], -v[212:213]
	s_waitcnt lgkmcnt(0)
	v_mul_f64 v[176:177], v[220:221], v[178:179]
	v_mul_f64 v[212:213], v[218:219], v[178:179]
	s_delay_alu instid0(VALU_DEP_2) | instskip(NEXT) | instid1(VALU_DEP_2)
	v_fma_f64 v[176:177], v[218:219], v[216:217], -v[176:177]
	v_fma_f64 v[212:213], v[220:221], v[216:217], v[212:213]
	ds_load_2addr_b64 v[218:221], v214 offset0:106 offset1:107
	v_add_f64 v[20:21], v[20:21], -v[176:177]
	v_add_f64 v[22:23], v[22:23], -v[212:213]
	s_waitcnt lgkmcnt(0)
	v_mul_f64 v[176:177], v[220:221], v[178:179]
	v_mul_f64 v[212:213], v[218:219], v[178:179]
	s_delay_alu instid0(VALU_DEP_2) | instskip(NEXT) | instid1(VALU_DEP_2)
	v_fma_f64 v[176:177], v[218:219], v[216:217], -v[176:177]
	v_fma_f64 v[212:213], v[220:221], v[216:217], v[212:213]
	ds_load_2addr_b64 v[218:221], v214 offset0:108 offset1:109
	v_add_f64 v[16:17], v[16:17], -v[176:177]
	v_add_f64 v[18:19], v[18:19], -v[212:213]
	s_waitcnt lgkmcnt(0)
	v_mul_f64 v[176:177], v[220:221], v[178:179]
	v_mul_f64 v[212:213], v[218:219], v[178:179]
	s_delay_alu instid0(VALU_DEP_2) | instskip(NEXT) | instid1(VALU_DEP_2)
	v_fma_f64 v[176:177], v[218:219], v[216:217], -v[176:177]
	v_fma_f64 v[212:213], v[220:221], v[216:217], v[212:213]
	ds_load_2addr_b64 v[218:221], v214 offset0:110 offset1:111
	v_add_f64 v[12:13], v[12:13], -v[176:177]
	v_add_f64 v[14:15], v[14:15], -v[212:213]
	s_waitcnt lgkmcnt(0)
	v_mul_f64 v[176:177], v[220:221], v[178:179]
	v_mul_f64 v[212:213], v[218:219], v[178:179]
	s_delay_alu instid0(VALU_DEP_2) | instskip(NEXT) | instid1(VALU_DEP_2)
	v_fma_f64 v[176:177], v[218:219], v[216:217], -v[176:177]
	v_fma_f64 v[212:213], v[220:221], v[216:217], v[212:213]
	ds_load_2addr_b64 v[218:221], v214 offset0:112 offset1:113
	v_add_f64 v[8:9], v[8:9], -v[176:177]
	v_add_f64 v[10:11], v[10:11], -v[212:213]
	s_waitcnt lgkmcnt(0)
	v_mul_f64 v[176:177], v[220:221], v[178:179]
	v_mul_f64 v[212:213], v[218:219], v[178:179]
	s_delay_alu instid0(VALU_DEP_2) | instskip(NEXT) | instid1(VALU_DEP_2)
	v_fma_f64 v[176:177], v[218:219], v[216:217], -v[176:177]
	v_fma_f64 v[212:213], v[220:221], v[216:217], v[212:213]
	ds_load_2addr_b64 v[218:221], v214 offset0:114 offset1:115
	v_add_f64 v[4:5], v[4:5], -v[176:177]
	v_add_f64 v[6:7], v[6:7], -v[212:213]
	s_waitcnt lgkmcnt(0)
	v_mul_f64 v[176:177], v[220:221], v[178:179]
	v_mul_f64 v[212:213], v[218:219], v[178:179]
	s_delay_alu instid0(VALU_DEP_2) | instskip(NEXT) | instid1(VALU_DEP_2)
	v_fma_f64 v[176:177], v[218:219], v[216:217], -v[176:177]
	v_fma_f64 v[212:213], v[220:221], v[216:217], v[212:213]
	s_delay_alu instid0(VALU_DEP_2) | instskip(NEXT) | instid1(VALU_DEP_2)
	v_add_f64 v[0:1], v[0:1], -v[176:177]
	v_add_f64 v[2:3], v[2:3], -v[212:213]
	v_dual_mov_b32 v176, v216 :: v_dual_mov_b32 v177, v217
.LBB115_127:
	s_or_b32 exec_lo, exec_lo, s3
	s_delay_alu instid0(SALU_CYCLE_1)
	s_mov_b32 s4, exec_lo
	s_waitcnt_vscnt null, 0x0
	s_barrier
	buffer_gl0_inv
	v_cmpx_eq_u32_e32 14, v208
	s_cbranch_execz .LBB115_134
; %bb.128:
	ds_store_2addr_b64 v209, v[172:173], v[174:175] offset1:1
	ds_store_2addr_b64 v214, v[168:169], v[170:171] offset0:30 offset1:31
	ds_store_2addr_b64 v214, v[164:165], v[166:167] offset0:32 offset1:33
	;; [unrolled: 1-line block ×43, first 2 shown]
	ds_load_2addr_b64 v[216:219], v209 offset1:1
	s_waitcnt lgkmcnt(0)
	v_cmp_neq_f64_e32 vcc_lo, 0, v[216:217]
	v_cmp_neq_f64_e64 s3, 0, v[218:219]
	s_delay_alu instid0(VALU_DEP_1) | instskip(NEXT) | instid1(SALU_CYCLE_1)
	s_or_b32 s3, vcc_lo, s3
	s_and_b32 exec_lo, exec_lo, s3
	s_cbranch_execz .LBB115_134
; %bb.129:
	v_cmp_gt_f64_e32 vcc_lo, 0, v[216:217]
	v_xor_b32_e32 v212, 0x80000000, v217
	v_xor_b32_e32 v215, 0x80000000, v219
	s_delay_alu instid0(VALU_DEP_2) | instskip(SKIP_2) | instid1(VALU_DEP_4)
	v_cndmask_b32_e32 v213, v217, v212, vcc_lo
	v_cndmask_b32_e32 v212, v216, v216, vcc_lo
	v_cmp_gt_f64_e32 vcc_lo, 0, v[218:219]
	v_dual_cndmask_b32 v221, v219, v215 :: v_dual_cndmask_b32 v220, v218, v218
	s_delay_alu instid0(VALU_DEP_1) | instskip(SKIP_1) | instid1(SALU_CYCLE_1)
	v_cmp_ngt_f64_e32 vcc_lo, v[212:213], v[220:221]
                                        ; implicit-def: $vgpr212_vgpr213
	s_and_saveexec_b32 s3, vcc_lo
	s_xor_b32 s3, exec_lo, s3
                                        ; implicit-def: $vgpr220_vgpr221_vgpr222_vgpr223
	s_cbranch_execz .LBB115_131
; %bb.130:
	v_div_scale_f64 v[212:213], null, v[218:219], v[218:219], v[216:217]
	v_div_scale_f64 v[224:225], vcc_lo, v[216:217], v[218:219], v[216:217]
	s_delay_alu instid0(VALU_DEP_2) | instskip(SKIP_2) | instid1(VALU_DEP_1)
	v_rcp_f64_e32 v[220:221], v[212:213]
	s_waitcnt_depctr 0xfff
	v_fma_f64 v[222:223], -v[212:213], v[220:221], 1.0
	v_fma_f64 v[220:221], v[220:221], v[222:223], v[220:221]
	s_delay_alu instid0(VALU_DEP_1) | instskip(NEXT) | instid1(VALU_DEP_1)
	v_fma_f64 v[222:223], -v[212:213], v[220:221], 1.0
	v_fma_f64 v[220:221], v[220:221], v[222:223], v[220:221]
	s_delay_alu instid0(VALU_DEP_1) | instskip(NEXT) | instid1(VALU_DEP_1)
	v_mul_f64 v[222:223], v[224:225], v[220:221]
	v_fma_f64 v[212:213], -v[212:213], v[222:223], v[224:225]
	s_delay_alu instid0(VALU_DEP_1) | instskip(NEXT) | instid1(VALU_DEP_1)
	v_div_fmas_f64 v[212:213], v[212:213], v[220:221], v[222:223]
	v_div_fixup_f64 v[212:213], v[212:213], v[218:219], v[216:217]
	s_delay_alu instid0(VALU_DEP_1) | instskip(NEXT) | instid1(VALU_DEP_1)
	v_fma_f64 v[216:217], v[216:217], v[212:213], v[218:219]
	v_div_scale_f64 v[218:219], null, v[216:217], v[216:217], 1.0
	s_delay_alu instid0(VALU_DEP_1) | instskip(SKIP_2) | instid1(VALU_DEP_1)
	v_rcp_f64_e32 v[220:221], v[218:219]
	s_waitcnt_depctr 0xfff
	v_fma_f64 v[222:223], -v[218:219], v[220:221], 1.0
	v_fma_f64 v[220:221], v[220:221], v[222:223], v[220:221]
	s_delay_alu instid0(VALU_DEP_1) | instskip(NEXT) | instid1(VALU_DEP_1)
	v_fma_f64 v[222:223], -v[218:219], v[220:221], 1.0
	v_fma_f64 v[220:221], v[220:221], v[222:223], v[220:221]
	v_div_scale_f64 v[222:223], vcc_lo, 1.0, v[216:217], 1.0
	s_delay_alu instid0(VALU_DEP_1) | instskip(NEXT) | instid1(VALU_DEP_1)
	v_mul_f64 v[224:225], v[222:223], v[220:221]
	v_fma_f64 v[218:219], -v[218:219], v[224:225], v[222:223]
	s_delay_alu instid0(VALU_DEP_1) | instskip(NEXT) | instid1(VALU_DEP_1)
	v_div_fmas_f64 v[218:219], v[218:219], v[220:221], v[224:225]
	v_div_fixup_f64 v[222:223], v[218:219], v[216:217], 1.0
                                        ; implicit-def: $vgpr216_vgpr217
	s_delay_alu instid0(VALU_DEP_1)
	v_mul_f64 v[212:213], v[212:213], v[222:223]
	v_xor_b32_e32 v223, 0x80000000, v223
.LBB115_131:
	s_and_not1_saveexec_b32 s3, s3
	s_cbranch_execz .LBB115_133
; %bb.132:
	v_div_scale_f64 v[212:213], null, v[216:217], v[216:217], v[218:219]
	v_div_scale_f64 v[224:225], vcc_lo, v[218:219], v[216:217], v[218:219]
	s_delay_alu instid0(VALU_DEP_2) | instskip(SKIP_2) | instid1(VALU_DEP_1)
	v_rcp_f64_e32 v[220:221], v[212:213]
	s_waitcnt_depctr 0xfff
	v_fma_f64 v[222:223], -v[212:213], v[220:221], 1.0
	v_fma_f64 v[220:221], v[220:221], v[222:223], v[220:221]
	s_delay_alu instid0(VALU_DEP_1) | instskip(NEXT) | instid1(VALU_DEP_1)
	v_fma_f64 v[222:223], -v[212:213], v[220:221], 1.0
	v_fma_f64 v[220:221], v[220:221], v[222:223], v[220:221]
	s_delay_alu instid0(VALU_DEP_1) | instskip(NEXT) | instid1(VALU_DEP_1)
	v_mul_f64 v[222:223], v[224:225], v[220:221]
	v_fma_f64 v[212:213], -v[212:213], v[222:223], v[224:225]
	s_delay_alu instid0(VALU_DEP_1) | instskip(NEXT) | instid1(VALU_DEP_1)
	v_div_fmas_f64 v[212:213], v[212:213], v[220:221], v[222:223]
	v_div_fixup_f64 v[220:221], v[212:213], v[216:217], v[218:219]
	s_delay_alu instid0(VALU_DEP_1) | instskip(NEXT) | instid1(VALU_DEP_1)
	v_fma_f64 v[212:213], v[218:219], v[220:221], v[216:217]
	v_div_scale_f64 v[216:217], null, v[212:213], v[212:213], 1.0
	s_delay_alu instid0(VALU_DEP_1) | instskip(SKIP_2) | instid1(VALU_DEP_1)
	v_rcp_f64_e32 v[218:219], v[216:217]
	s_waitcnt_depctr 0xfff
	v_fma_f64 v[222:223], -v[216:217], v[218:219], 1.0
	v_fma_f64 v[218:219], v[218:219], v[222:223], v[218:219]
	s_delay_alu instid0(VALU_DEP_1) | instskip(NEXT) | instid1(VALU_DEP_1)
	v_fma_f64 v[222:223], -v[216:217], v[218:219], 1.0
	v_fma_f64 v[218:219], v[218:219], v[222:223], v[218:219]
	v_div_scale_f64 v[222:223], vcc_lo, 1.0, v[212:213], 1.0
	s_delay_alu instid0(VALU_DEP_1) | instskip(NEXT) | instid1(VALU_DEP_1)
	v_mul_f64 v[224:225], v[222:223], v[218:219]
	v_fma_f64 v[216:217], -v[216:217], v[224:225], v[222:223]
	s_delay_alu instid0(VALU_DEP_1) | instskip(NEXT) | instid1(VALU_DEP_1)
	v_div_fmas_f64 v[216:217], v[216:217], v[218:219], v[224:225]
	v_div_fixup_f64 v[212:213], v[216:217], v[212:213], 1.0
	s_delay_alu instid0(VALU_DEP_1)
	v_mul_f64 v[222:223], v[220:221], -v[212:213]
.LBB115_133:
	s_or_b32 exec_lo, exec_lo, s3
	ds_store_2addr_b64 v209, v[212:213], v[222:223] offset1:1
.LBB115_134:
	s_or_b32 exec_lo, exec_lo, s4
	s_waitcnt lgkmcnt(0)
	s_barrier
	buffer_gl0_inv
	ds_load_2addr_b64 v[204:207], v209 offset1:1
	s_mov_b32 s3, exec_lo
	s_waitcnt lgkmcnt(0)
	scratch_store_b128 off, v[204:207], off offset:788 ; 16-byte Folded Spill
	v_cmpx_lt_u32_e32 14, v208
	s_cbranch_execz .LBB115_136
; %bb.135:
	scratch_load_b128 v[204:207], off, off offset:788 ; 16-byte Folded Reload
	ds_load_2addr_b64 v[218:221], v214 offset0:30 offset1:31
	s_waitcnt vmcnt(0)
	v_mul_f64 v[212:213], v[206:207], v[174:175]
	v_mul_f64 v[174:175], v[204:205], v[174:175]
	s_delay_alu instid0(VALU_DEP_2) | instskip(NEXT) | instid1(VALU_DEP_2)
	v_fma_f64 v[216:217], v[204:205], v[172:173], -v[212:213]
	v_fma_f64 v[174:175], v[206:207], v[172:173], v[174:175]
	s_waitcnt lgkmcnt(0)
	s_delay_alu instid0(VALU_DEP_1) | instskip(SKIP_1) | instid1(VALU_DEP_2)
	v_mul_f64 v[172:173], v[220:221], v[174:175]
	v_mul_f64 v[212:213], v[218:219], v[174:175]
	v_fma_f64 v[172:173], v[218:219], v[216:217], -v[172:173]
	s_delay_alu instid0(VALU_DEP_2)
	v_fma_f64 v[212:213], v[220:221], v[216:217], v[212:213]
	ds_load_2addr_b64 v[218:221], v214 offset0:32 offset1:33
	v_add_f64 v[168:169], v[168:169], -v[172:173]
	v_add_f64 v[170:171], v[170:171], -v[212:213]
	s_waitcnt lgkmcnt(0)
	v_mul_f64 v[172:173], v[220:221], v[174:175]
	v_mul_f64 v[212:213], v[218:219], v[174:175]
	s_delay_alu instid0(VALU_DEP_2) | instskip(NEXT) | instid1(VALU_DEP_2)
	v_fma_f64 v[172:173], v[218:219], v[216:217], -v[172:173]
	v_fma_f64 v[212:213], v[220:221], v[216:217], v[212:213]
	ds_load_2addr_b64 v[218:221], v214 offset0:34 offset1:35
	v_add_f64 v[164:165], v[164:165], -v[172:173]
	v_add_f64 v[166:167], v[166:167], -v[212:213]
	s_waitcnt lgkmcnt(0)
	v_mul_f64 v[172:173], v[220:221], v[174:175]
	v_mul_f64 v[212:213], v[218:219], v[174:175]
	s_delay_alu instid0(VALU_DEP_2) | instskip(NEXT) | instid1(VALU_DEP_2)
	v_fma_f64 v[172:173], v[218:219], v[216:217], -v[172:173]
	;; [unrolled: 9-line block ×42, first 2 shown]
	v_fma_f64 v[212:213], v[220:221], v[216:217], v[212:213]
	s_delay_alu instid0(VALU_DEP_2) | instskip(NEXT) | instid1(VALU_DEP_2)
	v_add_f64 v[0:1], v[0:1], -v[172:173]
	v_add_f64 v[2:3], v[2:3], -v[212:213]
	v_dual_mov_b32 v172, v216 :: v_dual_mov_b32 v173, v217
.LBB115_136:
	s_or_b32 exec_lo, exec_lo, s3
	s_delay_alu instid0(SALU_CYCLE_1)
	s_mov_b32 s4, exec_lo
	s_waitcnt_vscnt null, 0x0
	s_barrier
	buffer_gl0_inv
	v_cmpx_eq_u32_e32 15, v208
	s_cbranch_execz .LBB115_143
; %bb.137:
	ds_store_2addr_b64 v209, v[168:169], v[170:171] offset1:1
	ds_store_2addr_b64 v214, v[164:165], v[166:167] offset0:32 offset1:33
	ds_store_2addr_b64 v214, v[160:161], v[162:163] offset0:34 offset1:35
	ds_store_2addr_b64 v214, v[156:157], v[158:159] offset0:36 offset1:37
	ds_store_2addr_b64 v214, v[152:153], v[154:155] offset0:38 offset1:39
	ds_store_2addr_b64 v214, v[148:149], v[150:151] offset0:40 offset1:41
	ds_store_2addr_b64 v214, v[144:145], v[146:147] offset0:42 offset1:43
	ds_store_2addr_b64 v214, v[140:141], v[142:143] offset0:44 offset1:45
	ds_store_2addr_b64 v214, v[136:137], v[138:139] offset0:46 offset1:47
	ds_store_2addr_b64 v214, v[132:133], v[134:135] offset0:48 offset1:49
	ds_store_2addr_b64 v214, v[128:129], v[130:131] offset0:50 offset1:51
	ds_store_2addr_b64 v214, v[124:125], v[126:127] offset0:52 offset1:53
	ds_store_2addr_b64 v214, v[120:121], v[122:123] offset0:54 offset1:55
	ds_store_2addr_b64 v214, v[116:117], v[118:119] offset0:56 offset1:57
	ds_store_2addr_b64 v214, v[112:113], v[114:115] offset0:58 offset1:59
	ds_store_2addr_b64 v214, v[108:109], v[110:111] offset0:60 offset1:61
	ds_store_2addr_b64 v214, v[104:105], v[106:107] offset0:62 offset1:63
	ds_store_2addr_b64 v214, v[100:101], v[102:103] offset0:64 offset1:65
	ds_store_2addr_b64 v214, v[96:97], v[98:99] offset0:66 offset1:67
	ds_store_2addr_b64 v214, v[92:93], v[94:95] offset0:68 offset1:69
	ds_store_2addr_b64 v214, v[88:89], v[90:91] offset0:70 offset1:71
	ds_store_2addr_b64 v214, v[84:85], v[86:87] offset0:72 offset1:73
	ds_store_2addr_b64 v214, v[80:81], v[82:83] offset0:74 offset1:75
	ds_store_2addr_b64 v214, v[76:77], v[78:79] offset0:76 offset1:77
	ds_store_2addr_b64 v214, v[72:73], v[74:75] offset0:78 offset1:79
	ds_store_2addr_b64 v214, v[68:69], v[70:71] offset0:80 offset1:81
	ds_store_2addr_b64 v214, v[64:65], v[66:67] offset0:82 offset1:83
	ds_store_2addr_b64 v214, v[60:61], v[62:63] offset0:84 offset1:85
	ds_store_2addr_b64 v214, v[56:57], v[58:59] offset0:86 offset1:87
	ds_store_2addr_b64 v214, v[52:53], v[54:55] offset0:88 offset1:89
	ds_store_2addr_b64 v214, v[48:49], v[50:51] offset0:90 offset1:91
	ds_store_2addr_b64 v214, v[44:45], v[46:47] offset0:92 offset1:93
	ds_store_2addr_b64 v214, v[40:41], v[42:43] offset0:94 offset1:95
	ds_store_2addr_b64 v214, v[36:37], v[38:39] offset0:96 offset1:97
	ds_store_2addr_b64 v214, v[32:33], v[34:35] offset0:98 offset1:99
	ds_store_2addr_b64 v214, v[28:29], v[30:31] offset0:100 offset1:101
	ds_store_2addr_b64 v214, v[24:25], v[26:27] offset0:102 offset1:103
	ds_store_2addr_b64 v214, v[20:21], v[22:23] offset0:104 offset1:105
	ds_store_2addr_b64 v214, v[16:17], v[18:19] offset0:106 offset1:107
	ds_store_2addr_b64 v214, v[12:13], v[14:15] offset0:108 offset1:109
	ds_store_2addr_b64 v214, v[8:9], v[10:11] offset0:110 offset1:111
	ds_store_2addr_b64 v214, v[4:5], v[6:7] offset0:112 offset1:113
	ds_store_2addr_b64 v214, v[0:1], v[2:3] offset0:114 offset1:115
	ds_load_2addr_b64 v[216:219], v209 offset1:1
	s_waitcnt lgkmcnt(0)
	v_cmp_neq_f64_e32 vcc_lo, 0, v[216:217]
	v_cmp_neq_f64_e64 s3, 0, v[218:219]
	s_delay_alu instid0(VALU_DEP_1) | instskip(NEXT) | instid1(SALU_CYCLE_1)
	s_or_b32 s3, vcc_lo, s3
	s_and_b32 exec_lo, exec_lo, s3
	s_cbranch_execz .LBB115_143
; %bb.138:
	v_cmp_gt_f64_e32 vcc_lo, 0, v[216:217]
	v_xor_b32_e32 v212, 0x80000000, v217
	v_xor_b32_e32 v215, 0x80000000, v219
	s_delay_alu instid0(VALU_DEP_2) | instskip(SKIP_2) | instid1(VALU_DEP_4)
	v_cndmask_b32_e32 v213, v217, v212, vcc_lo
	v_cndmask_b32_e32 v212, v216, v216, vcc_lo
	v_cmp_gt_f64_e32 vcc_lo, 0, v[218:219]
	v_dual_cndmask_b32 v221, v219, v215 :: v_dual_cndmask_b32 v220, v218, v218
	s_delay_alu instid0(VALU_DEP_1) | instskip(SKIP_1) | instid1(SALU_CYCLE_1)
	v_cmp_ngt_f64_e32 vcc_lo, v[212:213], v[220:221]
                                        ; implicit-def: $vgpr212_vgpr213
	s_and_saveexec_b32 s3, vcc_lo
	s_xor_b32 s3, exec_lo, s3
                                        ; implicit-def: $vgpr220_vgpr221_vgpr222_vgpr223
	s_cbranch_execz .LBB115_140
; %bb.139:
	v_div_scale_f64 v[212:213], null, v[218:219], v[218:219], v[216:217]
	v_div_scale_f64 v[224:225], vcc_lo, v[216:217], v[218:219], v[216:217]
	s_delay_alu instid0(VALU_DEP_2) | instskip(SKIP_2) | instid1(VALU_DEP_1)
	v_rcp_f64_e32 v[220:221], v[212:213]
	s_waitcnt_depctr 0xfff
	v_fma_f64 v[222:223], -v[212:213], v[220:221], 1.0
	v_fma_f64 v[220:221], v[220:221], v[222:223], v[220:221]
	s_delay_alu instid0(VALU_DEP_1) | instskip(NEXT) | instid1(VALU_DEP_1)
	v_fma_f64 v[222:223], -v[212:213], v[220:221], 1.0
	v_fma_f64 v[220:221], v[220:221], v[222:223], v[220:221]
	s_delay_alu instid0(VALU_DEP_1) | instskip(NEXT) | instid1(VALU_DEP_1)
	v_mul_f64 v[222:223], v[224:225], v[220:221]
	v_fma_f64 v[212:213], -v[212:213], v[222:223], v[224:225]
	s_delay_alu instid0(VALU_DEP_1) | instskip(NEXT) | instid1(VALU_DEP_1)
	v_div_fmas_f64 v[212:213], v[212:213], v[220:221], v[222:223]
	v_div_fixup_f64 v[212:213], v[212:213], v[218:219], v[216:217]
	s_delay_alu instid0(VALU_DEP_1) | instskip(NEXT) | instid1(VALU_DEP_1)
	v_fma_f64 v[216:217], v[216:217], v[212:213], v[218:219]
	v_div_scale_f64 v[218:219], null, v[216:217], v[216:217], 1.0
	s_delay_alu instid0(VALU_DEP_1) | instskip(SKIP_2) | instid1(VALU_DEP_1)
	v_rcp_f64_e32 v[220:221], v[218:219]
	s_waitcnt_depctr 0xfff
	v_fma_f64 v[222:223], -v[218:219], v[220:221], 1.0
	v_fma_f64 v[220:221], v[220:221], v[222:223], v[220:221]
	s_delay_alu instid0(VALU_DEP_1) | instskip(NEXT) | instid1(VALU_DEP_1)
	v_fma_f64 v[222:223], -v[218:219], v[220:221], 1.0
	v_fma_f64 v[220:221], v[220:221], v[222:223], v[220:221]
	v_div_scale_f64 v[222:223], vcc_lo, 1.0, v[216:217], 1.0
	s_delay_alu instid0(VALU_DEP_1) | instskip(NEXT) | instid1(VALU_DEP_1)
	v_mul_f64 v[224:225], v[222:223], v[220:221]
	v_fma_f64 v[218:219], -v[218:219], v[224:225], v[222:223]
	s_delay_alu instid0(VALU_DEP_1) | instskip(NEXT) | instid1(VALU_DEP_1)
	v_div_fmas_f64 v[218:219], v[218:219], v[220:221], v[224:225]
	v_div_fixup_f64 v[222:223], v[218:219], v[216:217], 1.0
                                        ; implicit-def: $vgpr216_vgpr217
	s_delay_alu instid0(VALU_DEP_1)
	v_mul_f64 v[212:213], v[212:213], v[222:223]
	v_xor_b32_e32 v223, 0x80000000, v223
.LBB115_140:
	s_and_not1_saveexec_b32 s3, s3
	s_cbranch_execz .LBB115_142
; %bb.141:
	v_div_scale_f64 v[212:213], null, v[216:217], v[216:217], v[218:219]
	v_div_scale_f64 v[224:225], vcc_lo, v[218:219], v[216:217], v[218:219]
	s_delay_alu instid0(VALU_DEP_2) | instskip(SKIP_2) | instid1(VALU_DEP_1)
	v_rcp_f64_e32 v[220:221], v[212:213]
	s_waitcnt_depctr 0xfff
	v_fma_f64 v[222:223], -v[212:213], v[220:221], 1.0
	v_fma_f64 v[220:221], v[220:221], v[222:223], v[220:221]
	s_delay_alu instid0(VALU_DEP_1) | instskip(NEXT) | instid1(VALU_DEP_1)
	v_fma_f64 v[222:223], -v[212:213], v[220:221], 1.0
	v_fma_f64 v[220:221], v[220:221], v[222:223], v[220:221]
	s_delay_alu instid0(VALU_DEP_1) | instskip(NEXT) | instid1(VALU_DEP_1)
	v_mul_f64 v[222:223], v[224:225], v[220:221]
	v_fma_f64 v[212:213], -v[212:213], v[222:223], v[224:225]
	s_delay_alu instid0(VALU_DEP_1) | instskip(NEXT) | instid1(VALU_DEP_1)
	v_div_fmas_f64 v[212:213], v[212:213], v[220:221], v[222:223]
	v_div_fixup_f64 v[220:221], v[212:213], v[216:217], v[218:219]
	s_delay_alu instid0(VALU_DEP_1) | instskip(NEXT) | instid1(VALU_DEP_1)
	v_fma_f64 v[212:213], v[218:219], v[220:221], v[216:217]
	v_div_scale_f64 v[216:217], null, v[212:213], v[212:213], 1.0
	s_delay_alu instid0(VALU_DEP_1) | instskip(SKIP_2) | instid1(VALU_DEP_1)
	v_rcp_f64_e32 v[218:219], v[216:217]
	s_waitcnt_depctr 0xfff
	v_fma_f64 v[222:223], -v[216:217], v[218:219], 1.0
	v_fma_f64 v[218:219], v[218:219], v[222:223], v[218:219]
	s_delay_alu instid0(VALU_DEP_1) | instskip(NEXT) | instid1(VALU_DEP_1)
	v_fma_f64 v[222:223], -v[216:217], v[218:219], 1.0
	v_fma_f64 v[218:219], v[218:219], v[222:223], v[218:219]
	v_div_scale_f64 v[222:223], vcc_lo, 1.0, v[212:213], 1.0
	s_delay_alu instid0(VALU_DEP_1) | instskip(NEXT) | instid1(VALU_DEP_1)
	v_mul_f64 v[224:225], v[222:223], v[218:219]
	v_fma_f64 v[216:217], -v[216:217], v[224:225], v[222:223]
	s_delay_alu instid0(VALU_DEP_1) | instskip(NEXT) | instid1(VALU_DEP_1)
	v_div_fmas_f64 v[216:217], v[216:217], v[218:219], v[224:225]
	v_div_fixup_f64 v[212:213], v[216:217], v[212:213], 1.0
	s_delay_alu instid0(VALU_DEP_1)
	v_mul_f64 v[222:223], v[220:221], -v[212:213]
.LBB115_142:
	s_or_b32 exec_lo, exec_lo, s3
	ds_store_2addr_b64 v209, v[212:213], v[222:223] offset1:1
.LBB115_143:
	s_or_b32 exec_lo, exec_lo, s4
	s_waitcnt lgkmcnt(0)
	s_barrier
	buffer_gl0_inv
	ds_load_2addr_b64 v[204:207], v209 offset1:1
	s_mov_b32 s3, exec_lo
	s_waitcnt lgkmcnt(0)
	scratch_store_b128 off, v[204:207], off offset:804 ; 16-byte Folded Spill
	v_cmpx_lt_u32_e32 15, v208
	s_cbranch_execz .LBB115_145
; %bb.144:
	scratch_load_b128 v[204:207], off, off offset:804 ; 16-byte Folded Reload
	ds_load_2addr_b64 v[218:221], v214 offset0:32 offset1:33
	s_waitcnt vmcnt(0)
	v_mul_f64 v[212:213], v[206:207], v[170:171]
	v_mul_f64 v[170:171], v[204:205], v[170:171]
	s_delay_alu instid0(VALU_DEP_2) | instskip(NEXT) | instid1(VALU_DEP_2)
	v_fma_f64 v[216:217], v[204:205], v[168:169], -v[212:213]
	v_fma_f64 v[170:171], v[206:207], v[168:169], v[170:171]
	s_waitcnt lgkmcnt(0)
	s_delay_alu instid0(VALU_DEP_1) | instskip(SKIP_1) | instid1(VALU_DEP_2)
	v_mul_f64 v[168:169], v[220:221], v[170:171]
	v_mul_f64 v[212:213], v[218:219], v[170:171]
	v_fma_f64 v[168:169], v[218:219], v[216:217], -v[168:169]
	s_delay_alu instid0(VALU_DEP_2)
	v_fma_f64 v[212:213], v[220:221], v[216:217], v[212:213]
	ds_load_2addr_b64 v[218:221], v214 offset0:34 offset1:35
	v_add_f64 v[164:165], v[164:165], -v[168:169]
	v_add_f64 v[166:167], v[166:167], -v[212:213]
	s_waitcnt lgkmcnt(0)
	v_mul_f64 v[168:169], v[220:221], v[170:171]
	v_mul_f64 v[212:213], v[218:219], v[170:171]
	s_delay_alu instid0(VALU_DEP_2) | instskip(NEXT) | instid1(VALU_DEP_2)
	v_fma_f64 v[168:169], v[218:219], v[216:217], -v[168:169]
	v_fma_f64 v[212:213], v[220:221], v[216:217], v[212:213]
	ds_load_2addr_b64 v[218:221], v214 offset0:36 offset1:37
	v_add_f64 v[160:161], v[160:161], -v[168:169]
	v_add_f64 v[162:163], v[162:163], -v[212:213]
	s_waitcnt lgkmcnt(0)
	v_mul_f64 v[168:169], v[220:221], v[170:171]
	v_mul_f64 v[212:213], v[218:219], v[170:171]
	s_delay_alu instid0(VALU_DEP_2) | instskip(NEXT) | instid1(VALU_DEP_2)
	v_fma_f64 v[168:169], v[218:219], v[216:217], -v[168:169]
	;; [unrolled: 9-line block ×41, first 2 shown]
	v_fma_f64 v[212:213], v[220:221], v[216:217], v[212:213]
	s_delay_alu instid0(VALU_DEP_2) | instskip(NEXT) | instid1(VALU_DEP_2)
	v_add_f64 v[0:1], v[0:1], -v[168:169]
	v_add_f64 v[2:3], v[2:3], -v[212:213]
	v_dual_mov_b32 v168, v216 :: v_dual_mov_b32 v169, v217
.LBB115_145:
	s_or_b32 exec_lo, exec_lo, s3
	s_delay_alu instid0(SALU_CYCLE_1)
	s_mov_b32 s4, exec_lo
	s_waitcnt_vscnt null, 0x0
	s_barrier
	buffer_gl0_inv
	v_cmpx_eq_u32_e32 16, v208
	s_cbranch_execz .LBB115_152
; %bb.146:
	ds_store_2addr_b64 v209, v[164:165], v[166:167] offset1:1
	ds_store_2addr_b64 v214, v[160:161], v[162:163] offset0:34 offset1:35
	ds_store_2addr_b64 v214, v[156:157], v[158:159] offset0:36 offset1:37
	;; [unrolled: 1-line block ×41, first 2 shown]
	ds_load_2addr_b64 v[216:219], v209 offset1:1
	s_waitcnt lgkmcnt(0)
	v_cmp_neq_f64_e32 vcc_lo, 0, v[216:217]
	v_cmp_neq_f64_e64 s3, 0, v[218:219]
	s_delay_alu instid0(VALU_DEP_1) | instskip(NEXT) | instid1(SALU_CYCLE_1)
	s_or_b32 s3, vcc_lo, s3
	s_and_b32 exec_lo, exec_lo, s3
	s_cbranch_execz .LBB115_152
; %bb.147:
	v_cmp_gt_f64_e32 vcc_lo, 0, v[216:217]
	v_xor_b32_e32 v212, 0x80000000, v217
	v_xor_b32_e32 v215, 0x80000000, v219
	s_delay_alu instid0(VALU_DEP_2) | instskip(SKIP_2) | instid1(VALU_DEP_4)
	v_cndmask_b32_e32 v213, v217, v212, vcc_lo
	v_cndmask_b32_e32 v212, v216, v216, vcc_lo
	v_cmp_gt_f64_e32 vcc_lo, 0, v[218:219]
	v_dual_cndmask_b32 v221, v219, v215 :: v_dual_cndmask_b32 v220, v218, v218
	s_delay_alu instid0(VALU_DEP_1) | instskip(SKIP_1) | instid1(SALU_CYCLE_1)
	v_cmp_ngt_f64_e32 vcc_lo, v[212:213], v[220:221]
                                        ; implicit-def: $vgpr212_vgpr213
	s_and_saveexec_b32 s3, vcc_lo
	s_xor_b32 s3, exec_lo, s3
                                        ; implicit-def: $vgpr220_vgpr221_vgpr222_vgpr223
	s_cbranch_execz .LBB115_149
; %bb.148:
	v_div_scale_f64 v[212:213], null, v[218:219], v[218:219], v[216:217]
	v_div_scale_f64 v[224:225], vcc_lo, v[216:217], v[218:219], v[216:217]
	s_delay_alu instid0(VALU_DEP_2) | instskip(SKIP_2) | instid1(VALU_DEP_1)
	v_rcp_f64_e32 v[220:221], v[212:213]
	s_waitcnt_depctr 0xfff
	v_fma_f64 v[222:223], -v[212:213], v[220:221], 1.0
	v_fma_f64 v[220:221], v[220:221], v[222:223], v[220:221]
	s_delay_alu instid0(VALU_DEP_1) | instskip(NEXT) | instid1(VALU_DEP_1)
	v_fma_f64 v[222:223], -v[212:213], v[220:221], 1.0
	v_fma_f64 v[220:221], v[220:221], v[222:223], v[220:221]
	s_delay_alu instid0(VALU_DEP_1) | instskip(NEXT) | instid1(VALU_DEP_1)
	v_mul_f64 v[222:223], v[224:225], v[220:221]
	v_fma_f64 v[212:213], -v[212:213], v[222:223], v[224:225]
	s_delay_alu instid0(VALU_DEP_1) | instskip(NEXT) | instid1(VALU_DEP_1)
	v_div_fmas_f64 v[212:213], v[212:213], v[220:221], v[222:223]
	v_div_fixup_f64 v[212:213], v[212:213], v[218:219], v[216:217]
	s_delay_alu instid0(VALU_DEP_1) | instskip(NEXT) | instid1(VALU_DEP_1)
	v_fma_f64 v[216:217], v[216:217], v[212:213], v[218:219]
	v_div_scale_f64 v[218:219], null, v[216:217], v[216:217], 1.0
	s_delay_alu instid0(VALU_DEP_1) | instskip(SKIP_2) | instid1(VALU_DEP_1)
	v_rcp_f64_e32 v[220:221], v[218:219]
	s_waitcnt_depctr 0xfff
	v_fma_f64 v[222:223], -v[218:219], v[220:221], 1.0
	v_fma_f64 v[220:221], v[220:221], v[222:223], v[220:221]
	s_delay_alu instid0(VALU_DEP_1) | instskip(NEXT) | instid1(VALU_DEP_1)
	v_fma_f64 v[222:223], -v[218:219], v[220:221], 1.0
	v_fma_f64 v[220:221], v[220:221], v[222:223], v[220:221]
	v_div_scale_f64 v[222:223], vcc_lo, 1.0, v[216:217], 1.0
	s_delay_alu instid0(VALU_DEP_1) | instskip(NEXT) | instid1(VALU_DEP_1)
	v_mul_f64 v[224:225], v[222:223], v[220:221]
	v_fma_f64 v[218:219], -v[218:219], v[224:225], v[222:223]
	s_delay_alu instid0(VALU_DEP_1) | instskip(NEXT) | instid1(VALU_DEP_1)
	v_div_fmas_f64 v[218:219], v[218:219], v[220:221], v[224:225]
	v_div_fixup_f64 v[222:223], v[218:219], v[216:217], 1.0
                                        ; implicit-def: $vgpr216_vgpr217
	s_delay_alu instid0(VALU_DEP_1)
	v_mul_f64 v[212:213], v[212:213], v[222:223]
	v_xor_b32_e32 v223, 0x80000000, v223
.LBB115_149:
	s_and_not1_saveexec_b32 s3, s3
	s_cbranch_execz .LBB115_151
; %bb.150:
	v_div_scale_f64 v[212:213], null, v[216:217], v[216:217], v[218:219]
	v_div_scale_f64 v[224:225], vcc_lo, v[218:219], v[216:217], v[218:219]
	s_delay_alu instid0(VALU_DEP_2) | instskip(SKIP_2) | instid1(VALU_DEP_1)
	v_rcp_f64_e32 v[220:221], v[212:213]
	s_waitcnt_depctr 0xfff
	v_fma_f64 v[222:223], -v[212:213], v[220:221], 1.0
	v_fma_f64 v[220:221], v[220:221], v[222:223], v[220:221]
	s_delay_alu instid0(VALU_DEP_1) | instskip(NEXT) | instid1(VALU_DEP_1)
	v_fma_f64 v[222:223], -v[212:213], v[220:221], 1.0
	v_fma_f64 v[220:221], v[220:221], v[222:223], v[220:221]
	s_delay_alu instid0(VALU_DEP_1) | instskip(NEXT) | instid1(VALU_DEP_1)
	v_mul_f64 v[222:223], v[224:225], v[220:221]
	v_fma_f64 v[212:213], -v[212:213], v[222:223], v[224:225]
	s_delay_alu instid0(VALU_DEP_1) | instskip(NEXT) | instid1(VALU_DEP_1)
	v_div_fmas_f64 v[212:213], v[212:213], v[220:221], v[222:223]
	v_div_fixup_f64 v[220:221], v[212:213], v[216:217], v[218:219]
	s_delay_alu instid0(VALU_DEP_1) | instskip(NEXT) | instid1(VALU_DEP_1)
	v_fma_f64 v[212:213], v[218:219], v[220:221], v[216:217]
	v_div_scale_f64 v[216:217], null, v[212:213], v[212:213], 1.0
	s_delay_alu instid0(VALU_DEP_1) | instskip(SKIP_2) | instid1(VALU_DEP_1)
	v_rcp_f64_e32 v[218:219], v[216:217]
	s_waitcnt_depctr 0xfff
	v_fma_f64 v[222:223], -v[216:217], v[218:219], 1.0
	v_fma_f64 v[218:219], v[218:219], v[222:223], v[218:219]
	s_delay_alu instid0(VALU_DEP_1) | instskip(NEXT) | instid1(VALU_DEP_1)
	v_fma_f64 v[222:223], -v[216:217], v[218:219], 1.0
	v_fma_f64 v[218:219], v[218:219], v[222:223], v[218:219]
	v_div_scale_f64 v[222:223], vcc_lo, 1.0, v[212:213], 1.0
	s_delay_alu instid0(VALU_DEP_1) | instskip(NEXT) | instid1(VALU_DEP_1)
	v_mul_f64 v[224:225], v[222:223], v[218:219]
	v_fma_f64 v[216:217], -v[216:217], v[224:225], v[222:223]
	s_delay_alu instid0(VALU_DEP_1) | instskip(NEXT) | instid1(VALU_DEP_1)
	v_div_fmas_f64 v[216:217], v[216:217], v[218:219], v[224:225]
	v_div_fixup_f64 v[212:213], v[216:217], v[212:213], 1.0
	s_delay_alu instid0(VALU_DEP_1)
	v_mul_f64 v[222:223], v[220:221], -v[212:213]
.LBB115_151:
	s_or_b32 exec_lo, exec_lo, s3
	ds_store_2addr_b64 v209, v[212:213], v[222:223] offset1:1
.LBB115_152:
	s_or_b32 exec_lo, exec_lo, s4
	s_waitcnt lgkmcnt(0)
	s_barrier
	buffer_gl0_inv
	ds_load_2addr_b64 v[204:207], v209 offset1:1
	s_mov_b32 s3, exec_lo
	s_waitcnt lgkmcnt(0)
	scratch_store_b128 off, v[204:207], off offset:820 ; 16-byte Folded Spill
	v_cmpx_lt_u32_e32 16, v208
	s_cbranch_execz .LBB115_154
; %bb.153:
	scratch_load_b128 v[204:207], off, off offset:820 ; 16-byte Folded Reload
	ds_load_2addr_b64 v[218:221], v214 offset0:34 offset1:35
	s_waitcnt vmcnt(0)
	v_mul_f64 v[212:213], v[206:207], v[166:167]
	v_mul_f64 v[166:167], v[204:205], v[166:167]
	s_delay_alu instid0(VALU_DEP_2) | instskip(NEXT) | instid1(VALU_DEP_2)
	v_fma_f64 v[216:217], v[204:205], v[164:165], -v[212:213]
	v_fma_f64 v[166:167], v[206:207], v[164:165], v[166:167]
	s_waitcnt lgkmcnt(0)
	s_delay_alu instid0(VALU_DEP_1) | instskip(SKIP_1) | instid1(VALU_DEP_2)
	v_mul_f64 v[164:165], v[220:221], v[166:167]
	v_mul_f64 v[212:213], v[218:219], v[166:167]
	v_fma_f64 v[164:165], v[218:219], v[216:217], -v[164:165]
	s_delay_alu instid0(VALU_DEP_2)
	v_fma_f64 v[212:213], v[220:221], v[216:217], v[212:213]
	ds_load_2addr_b64 v[218:221], v214 offset0:36 offset1:37
	v_add_f64 v[160:161], v[160:161], -v[164:165]
	v_add_f64 v[162:163], v[162:163], -v[212:213]
	s_waitcnt lgkmcnt(0)
	v_mul_f64 v[164:165], v[220:221], v[166:167]
	v_mul_f64 v[212:213], v[218:219], v[166:167]
	s_delay_alu instid0(VALU_DEP_2) | instskip(NEXT) | instid1(VALU_DEP_2)
	v_fma_f64 v[164:165], v[218:219], v[216:217], -v[164:165]
	v_fma_f64 v[212:213], v[220:221], v[216:217], v[212:213]
	ds_load_2addr_b64 v[218:221], v214 offset0:38 offset1:39
	v_add_f64 v[156:157], v[156:157], -v[164:165]
	v_add_f64 v[158:159], v[158:159], -v[212:213]
	s_waitcnt lgkmcnt(0)
	v_mul_f64 v[164:165], v[220:221], v[166:167]
	v_mul_f64 v[212:213], v[218:219], v[166:167]
	s_delay_alu instid0(VALU_DEP_2) | instskip(NEXT) | instid1(VALU_DEP_2)
	v_fma_f64 v[164:165], v[218:219], v[216:217], -v[164:165]
	;; [unrolled: 9-line block ×40, first 2 shown]
	v_fma_f64 v[212:213], v[220:221], v[216:217], v[212:213]
	s_delay_alu instid0(VALU_DEP_2) | instskip(NEXT) | instid1(VALU_DEP_2)
	v_add_f64 v[0:1], v[0:1], -v[164:165]
	v_add_f64 v[2:3], v[2:3], -v[212:213]
	v_dual_mov_b32 v164, v216 :: v_dual_mov_b32 v165, v217
.LBB115_154:
	s_or_b32 exec_lo, exec_lo, s3
	s_delay_alu instid0(SALU_CYCLE_1)
	s_mov_b32 s4, exec_lo
	s_waitcnt_vscnt null, 0x0
	s_barrier
	buffer_gl0_inv
	v_cmpx_eq_u32_e32 17, v208
	s_cbranch_execz .LBB115_161
; %bb.155:
	ds_store_2addr_b64 v209, v[160:161], v[162:163] offset1:1
	ds_store_2addr_b64 v214, v[156:157], v[158:159] offset0:36 offset1:37
	ds_store_2addr_b64 v214, v[152:153], v[154:155] offset0:38 offset1:39
	;; [unrolled: 1-line block ×40, first 2 shown]
	ds_load_2addr_b64 v[216:219], v209 offset1:1
	s_waitcnt lgkmcnt(0)
	v_cmp_neq_f64_e32 vcc_lo, 0, v[216:217]
	v_cmp_neq_f64_e64 s3, 0, v[218:219]
	s_delay_alu instid0(VALU_DEP_1) | instskip(NEXT) | instid1(SALU_CYCLE_1)
	s_or_b32 s3, vcc_lo, s3
	s_and_b32 exec_lo, exec_lo, s3
	s_cbranch_execz .LBB115_161
; %bb.156:
	v_cmp_gt_f64_e32 vcc_lo, 0, v[216:217]
	v_xor_b32_e32 v212, 0x80000000, v217
	v_xor_b32_e32 v215, 0x80000000, v219
	s_delay_alu instid0(VALU_DEP_2) | instskip(SKIP_2) | instid1(VALU_DEP_4)
	v_cndmask_b32_e32 v213, v217, v212, vcc_lo
	v_cndmask_b32_e32 v212, v216, v216, vcc_lo
	v_cmp_gt_f64_e32 vcc_lo, 0, v[218:219]
	v_dual_cndmask_b32 v221, v219, v215 :: v_dual_cndmask_b32 v220, v218, v218
	s_delay_alu instid0(VALU_DEP_1) | instskip(SKIP_1) | instid1(SALU_CYCLE_1)
	v_cmp_ngt_f64_e32 vcc_lo, v[212:213], v[220:221]
                                        ; implicit-def: $vgpr212_vgpr213
	s_and_saveexec_b32 s3, vcc_lo
	s_xor_b32 s3, exec_lo, s3
                                        ; implicit-def: $vgpr220_vgpr221_vgpr222_vgpr223
	s_cbranch_execz .LBB115_158
; %bb.157:
	v_div_scale_f64 v[212:213], null, v[218:219], v[218:219], v[216:217]
	v_div_scale_f64 v[224:225], vcc_lo, v[216:217], v[218:219], v[216:217]
	s_delay_alu instid0(VALU_DEP_2) | instskip(SKIP_2) | instid1(VALU_DEP_1)
	v_rcp_f64_e32 v[220:221], v[212:213]
	s_waitcnt_depctr 0xfff
	v_fma_f64 v[222:223], -v[212:213], v[220:221], 1.0
	v_fma_f64 v[220:221], v[220:221], v[222:223], v[220:221]
	s_delay_alu instid0(VALU_DEP_1) | instskip(NEXT) | instid1(VALU_DEP_1)
	v_fma_f64 v[222:223], -v[212:213], v[220:221], 1.0
	v_fma_f64 v[220:221], v[220:221], v[222:223], v[220:221]
	s_delay_alu instid0(VALU_DEP_1) | instskip(NEXT) | instid1(VALU_DEP_1)
	v_mul_f64 v[222:223], v[224:225], v[220:221]
	v_fma_f64 v[212:213], -v[212:213], v[222:223], v[224:225]
	s_delay_alu instid0(VALU_DEP_1) | instskip(NEXT) | instid1(VALU_DEP_1)
	v_div_fmas_f64 v[212:213], v[212:213], v[220:221], v[222:223]
	v_div_fixup_f64 v[212:213], v[212:213], v[218:219], v[216:217]
	s_delay_alu instid0(VALU_DEP_1) | instskip(NEXT) | instid1(VALU_DEP_1)
	v_fma_f64 v[216:217], v[216:217], v[212:213], v[218:219]
	v_div_scale_f64 v[218:219], null, v[216:217], v[216:217], 1.0
	s_delay_alu instid0(VALU_DEP_1) | instskip(SKIP_2) | instid1(VALU_DEP_1)
	v_rcp_f64_e32 v[220:221], v[218:219]
	s_waitcnt_depctr 0xfff
	v_fma_f64 v[222:223], -v[218:219], v[220:221], 1.0
	v_fma_f64 v[220:221], v[220:221], v[222:223], v[220:221]
	s_delay_alu instid0(VALU_DEP_1) | instskip(NEXT) | instid1(VALU_DEP_1)
	v_fma_f64 v[222:223], -v[218:219], v[220:221], 1.0
	v_fma_f64 v[220:221], v[220:221], v[222:223], v[220:221]
	v_div_scale_f64 v[222:223], vcc_lo, 1.0, v[216:217], 1.0
	s_delay_alu instid0(VALU_DEP_1) | instskip(NEXT) | instid1(VALU_DEP_1)
	v_mul_f64 v[224:225], v[222:223], v[220:221]
	v_fma_f64 v[218:219], -v[218:219], v[224:225], v[222:223]
	s_delay_alu instid0(VALU_DEP_1) | instskip(NEXT) | instid1(VALU_DEP_1)
	v_div_fmas_f64 v[218:219], v[218:219], v[220:221], v[224:225]
	v_div_fixup_f64 v[222:223], v[218:219], v[216:217], 1.0
                                        ; implicit-def: $vgpr216_vgpr217
	s_delay_alu instid0(VALU_DEP_1)
	v_mul_f64 v[212:213], v[212:213], v[222:223]
	v_xor_b32_e32 v223, 0x80000000, v223
.LBB115_158:
	s_and_not1_saveexec_b32 s3, s3
	s_cbranch_execz .LBB115_160
; %bb.159:
	v_div_scale_f64 v[212:213], null, v[216:217], v[216:217], v[218:219]
	v_div_scale_f64 v[224:225], vcc_lo, v[218:219], v[216:217], v[218:219]
	s_delay_alu instid0(VALU_DEP_2) | instskip(SKIP_2) | instid1(VALU_DEP_1)
	v_rcp_f64_e32 v[220:221], v[212:213]
	s_waitcnt_depctr 0xfff
	v_fma_f64 v[222:223], -v[212:213], v[220:221], 1.0
	v_fma_f64 v[220:221], v[220:221], v[222:223], v[220:221]
	s_delay_alu instid0(VALU_DEP_1) | instskip(NEXT) | instid1(VALU_DEP_1)
	v_fma_f64 v[222:223], -v[212:213], v[220:221], 1.0
	v_fma_f64 v[220:221], v[220:221], v[222:223], v[220:221]
	s_delay_alu instid0(VALU_DEP_1) | instskip(NEXT) | instid1(VALU_DEP_1)
	v_mul_f64 v[222:223], v[224:225], v[220:221]
	v_fma_f64 v[212:213], -v[212:213], v[222:223], v[224:225]
	s_delay_alu instid0(VALU_DEP_1) | instskip(NEXT) | instid1(VALU_DEP_1)
	v_div_fmas_f64 v[212:213], v[212:213], v[220:221], v[222:223]
	v_div_fixup_f64 v[220:221], v[212:213], v[216:217], v[218:219]
	s_delay_alu instid0(VALU_DEP_1) | instskip(NEXT) | instid1(VALU_DEP_1)
	v_fma_f64 v[212:213], v[218:219], v[220:221], v[216:217]
	v_div_scale_f64 v[216:217], null, v[212:213], v[212:213], 1.0
	s_delay_alu instid0(VALU_DEP_1) | instskip(SKIP_2) | instid1(VALU_DEP_1)
	v_rcp_f64_e32 v[218:219], v[216:217]
	s_waitcnt_depctr 0xfff
	v_fma_f64 v[222:223], -v[216:217], v[218:219], 1.0
	v_fma_f64 v[218:219], v[218:219], v[222:223], v[218:219]
	s_delay_alu instid0(VALU_DEP_1) | instskip(NEXT) | instid1(VALU_DEP_1)
	v_fma_f64 v[222:223], -v[216:217], v[218:219], 1.0
	v_fma_f64 v[218:219], v[218:219], v[222:223], v[218:219]
	v_div_scale_f64 v[222:223], vcc_lo, 1.0, v[212:213], 1.0
	s_delay_alu instid0(VALU_DEP_1) | instskip(NEXT) | instid1(VALU_DEP_1)
	v_mul_f64 v[224:225], v[222:223], v[218:219]
	v_fma_f64 v[216:217], -v[216:217], v[224:225], v[222:223]
	s_delay_alu instid0(VALU_DEP_1) | instskip(NEXT) | instid1(VALU_DEP_1)
	v_div_fmas_f64 v[216:217], v[216:217], v[218:219], v[224:225]
	v_div_fixup_f64 v[212:213], v[216:217], v[212:213], 1.0
	s_delay_alu instid0(VALU_DEP_1)
	v_mul_f64 v[222:223], v[220:221], -v[212:213]
.LBB115_160:
	s_or_b32 exec_lo, exec_lo, s3
	ds_store_2addr_b64 v209, v[212:213], v[222:223] offset1:1
.LBB115_161:
	s_or_b32 exec_lo, exec_lo, s4
	s_waitcnt lgkmcnt(0)
	s_barrier
	buffer_gl0_inv
	ds_load_2addr_b64 v[204:207], v209 offset1:1
	s_mov_b32 s3, exec_lo
	s_waitcnt lgkmcnt(0)
	scratch_store_b128 off, v[204:207], off offset:836 ; 16-byte Folded Spill
	v_cmpx_lt_u32_e32 17, v208
	s_cbranch_execz .LBB115_163
; %bb.162:
	scratch_load_b128 v[204:207], off, off offset:836 ; 16-byte Folded Reload
	ds_load_2addr_b64 v[218:221], v214 offset0:36 offset1:37
	s_waitcnt vmcnt(0)
	v_mul_f64 v[212:213], v[206:207], v[162:163]
	v_mul_f64 v[162:163], v[204:205], v[162:163]
	s_delay_alu instid0(VALU_DEP_2) | instskip(NEXT) | instid1(VALU_DEP_2)
	v_fma_f64 v[216:217], v[204:205], v[160:161], -v[212:213]
	v_fma_f64 v[162:163], v[206:207], v[160:161], v[162:163]
	s_waitcnt lgkmcnt(0)
	s_delay_alu instid0(VALU_DEP_1) | instskip(SKIP_1) | instid1(VALU_DEP_2)
	v_mul_f64 v[160:161], v[220:221], v[162:163]
	v_mul_f64 v[212:213], v[218:219], v[162:163]
	v_fma_f64 v[160:161], v[218:219], v[216:217], -v[160:161]
	s_delay_alu instid0(VALU_DEP_2)
	v_fma_f64 v[212:213], v[220:221], v[216:217], v[212:213]
	ds_load_2addr_b64 v[218:221], v214 offset0:38 offset1:39
	v_add_f64 v[156:157], v[156:157], -v[160:161]
	v_add_f64 v[158:159], v[158:159], -v[212:213]
	s_waitcnt lgkmcnt(0)
	v_mul_f64 v[160:161], v[220:221], v[162:163]
	v_mul_f64 v[212:213], v[218:219], v[162:163]
	s_delay_alu instid0(VALU_DEP_2) | instskip(NEXT) | instid1(VALU_DEP_2)
	v_fma_f64 v[160:161], v[218:219], v[216:217], -v[160:161]
	v_fma_f64 v[212:213], v[220:221], v[216:217], v[212:213]
	ds_load_2addr_b64 v[218:221], v214 offset0:40 offset1:41
	v_add_f64 v[152:153], v[152:153], -v[160:161]
	v_add_f64 v[154:155], v[154:155], -v[212:213]
	s_waitcnt lgkmcnt(0)
	v_mul_f64 v[160:161], v[220:221], v[162:163]
	v_mul_f64 v[212:213], v[218:219], v[162:163]
	s_delay_alu instid0(VALU_DEP_2) | instskip(NEXT) | instid1(VALU_DEP_2)
	v_fma_f64 v[160:161], v[218:219], v[216:217], -v[160:161]
	;; [unrolled: 9-line block ×39, first 2 shown]
	v_fma_f64 v[212:213], v[220:221], v[216:217], v[212:213]
	s_delay_alu instid0(VALU_DEP_2) | instskip(NEXT) | instid1(VALU_DEP_2)
	v_add_f64 v[0:1], v[0:1], -v[160:161]
	v_add_f64 v[2:3], v[2:3], -v[212:213]
	v_dual_mov_b32 v160, v216 :: v_dual_mov_b32 v161, v217
.LBB115_163:
	s_or_b32 exec_lo, exec_lo, s3
	s_delay_alu instid0(SALU_CYCLE_1)
	s_mov_b32 s4, exec_lo
	s_waitcnt_vscnt null, 0x0
	s_barrier
	buffer_gl0_inv
	v_cmpx_eq_u32_e32 18, v208
	s_cbranch_execz .LBB115_170
; %bb.164:
	ds_store_2addr_b64 v209, v[156:157], v[158:159] offset1:1
	ds_store_2addr_b64 v214, v[152:153], v[154:155] offset0:38 offset1:39
	ds_store_2addr_b64 v214, v[148:149], v[150:151] offset0:40 offset1:41
	;; [unrolled: 1-line block ×39, first 2 shown]
	ds_load_2addr_b64 v[216:219], v209 offset1:1
	s_waitcnt lgkmcnt(0)
	v_cmp_neq_f64_e32 vcc_lo, 0, v[216:217]
	v_cmp_neq_f64_e64 s3, 0, v[218:219]
	s_delay_alu instid0(VALU_DEP_1) | instskip(NEXT) | instid1(SALU_CYCLE_1)
	s_or_b32 s3, vcc_lo, s3
	s_and_b32 exec_lo, exec_lo, s3
	s_cbranch_execz .LBB115_170
; %bb.165:
	v_cmp_gt_f64_e32 vcc_lo, 0, v[216:217]
	v_xor_b32_e32 v212, 0x80000000, v217
	v_xor_b32_e32 v215, 0x80000000, v219
	s_delay_alu instid0(VALU_DEP_2) | instskip(SKIP_2) | instid1(VALU_DEP_4)
	v_cndmask_b32_e32 v213, v217, v212, vcc_lo
	v_cndmask_b32_e32 v212, v216, v216, vcc_lo
	v_cmp_gt_f64_e32 vcc_lo, 0, v[218:219]
	v_dual_cndmask_b32 v221, v219, v215 :: v_dual_cndmask_b32 v220, v218, v218
	s_delay_alu instid0(VALU_DEP_1) | instskip(SKIP_1) | instid1(SALU_CYCLE_1)
	v_cmp_ngt_f64_e32 vcc_lo, v[212:213], v[220:221]
                                        ; implicit-def: $vgpr212_vgpr213
	s_and_saveexec_b32 s3, vcc_lo
	s_xor_b32 s3, exec_lo, s3
                                        ; implicit-def: $vgpr220_vgpr221_vgpr222_vgpr223
	s_cbranch_execz .LBB115_167
; %bb.166:
	v_div_scale_f64 v[212:213], null, v[218:219], v[218:219], v[216:217]
	v_div_scale_f64 v[224:225], vcc_lo, v[216:217], v[218:219], v[216:217]
	s_delay_alu instid0(VALU_DEP_2) | instskip(SKIP_2) | instid1(VALU_DEP_1)
	v_rcp_f64_e32 v[220:221], v[212:213]
	s_waitcnt_depctr 0xfff
	v_fma_f64 v[222:223], -v[212:213], v[220:221], 1.0
	v_fma_f64 v[220:221], v[220:221], v[222:223], v[220:221]
	s_delay_alu instid0(VALU_DEP_1) | instskip(NEXT) | instid1(VALU_DEP_1)
	v_fma_f64 v[222:223], -v[212:213], v[220:221], 1.0
	v_fma_f64 v[220:221], v[220:221], v[222:223], v[220:221]
	s_delay_alu instid0(VALU_DEP_1) | instskip(NEXT) | instid1(VALU_DEP_1)
	v_mul_f64 v[222:223], v[224:225], v[220:221]
	v_fma_f64 v[212:213], -v[212:213], v[222:223], v[224:225]
	s_delay_alu instid0(VALU_DEP_1) | instskip(NEXT) | instid1(VALU_DEP_1)
	v_div_fmas_f64 v[212:213], v[212:213], v[220:221], v[222:223]
	v_div_fixup_f64 v[212:213], v[212:213], v[218:219], v[216:217]
	s_delay_alu instid0(VALU_DEP_1) | instskip(NEXT) | instid1(VALU_DEP_1)
	v_fma_f64 v[216:217], v[216:217], v[212:213], v[218:219]
	v_div_scale_f64 v[218:219], null, v[216:217], v[216:217], 1.0
	s_delay_alu instid0(VALU_DEP_1) | instskip(SKIP_2) | instid1(VALU_DEP_1)
	v_rcp_f64_e32 v[220:221], v[218:219]
	s_waitcnt_depctr 0xfff
	v_fma_f64 v[222:223], -v[218:219], v[220:221], 1.0
	v_fma_f64 v[220:221], v[220:221], v[222:223], v[220:221]
	s_delay_alu instid0(VALU_DEP_1) | instskip(NEXT) | instid1(VALU_DEP_1)
	v_fma_f64 v[222:223], -v[218:219], v[220:221], 1.0
	v_fma_f64 v[220:221], v[220:221], v[222:223], v[220:221]
	v_div_scale_f64 v[222:223], vcc_lo, 1.0, v[216:217], 1.0
	s_delay_alu instid0(VALU_DEP_1) | instskip(NEXT) | instid1(VALU_DEP_1)
	v_mul_f64 v[224:225], v[222:223], v[220:221]
	v_fma_f64 v[218:219], -v[218:219], v[224:225], v[222:223]
	s_delay_alu instid0(VALU_DEP_1) | instskip(NEXT) | instid1(VALU_DEP_1)
	v_div_fmas_f64 v[218:219], v[218:219], v[220:221], v[224:225]
	v_div_fixup_f64 v[222:223], v[218:219], v[216:217], 1.0
                                        ; implicit-def: $vgpr216_vgpr217
	s_delay_alu instid0(VALU_DEP_1)
	v_mul_f64 v[212:213], v[212:213], v[222:223]
	v_xor_b32_e32 v223, 0x80000000, v223
.LBB115_167:
	s_and_not1_saveexec_b32 s3, s3
	s_cbranch_execz .LBB115_169
; %bb.168:
	v_div_scale_f64 v[212:213], null, v[216:217], v[216:217], v[218:219]
	v_div_scale_f64 v[224:225], vcc_lo, v[218:219], v[216:217], v[218:219]
	s_delay_alu instid0(VALU_DEP_2) | instskip(SKIP_2) | instid1(VALU_DEP_1)
	v_rcp_f64_e32 v[220:221], v[212:213]
	s_waitcnt_depctr 0xfff
	v_fma_f64 v[222:223], -v[212:213], v[220:221], 1.0
	v_fma_f64 v[220:221], v[220:221], v[222:223], v[220:221]
	s_delay_alu instid0(VALU_DEP_1) | instskip(NEXT) | instid1(VALU_DEP_1)
	v_fma_f64 v[222:223], -v[212:213], v[220:221], 1.0
	v_fma_f64 v[220:221], v[220:221], v[222:223], v[220:221]
	s_delay_alu instid0(VALU_DEP_1) | instskip(NEXT) | instid1(VALU_DEP_1)
	v_mul_f64 v[222:223], v[224:225], v[220:221]
	v_fma_f64 v[212:213], -v[212:213], v[222:223], v[224:225]
	s_delay_alu instid0(VALU_DEP_1) | instskip(NEXT) | instid1(VALU_DEP_1)
	v_div_fmas_f64 v[212:213], v[212:213], v[220:221], v[222:223]
	v_div_fixup_f64 v[220:221], v[212:213], v[216:217], v[218:219]
	s_delay_alu instid0(VALU_DEP_1) | instskip(NEXT) | instid1(VALU_DEP_1)
	v_fma_f64 v[212:213], v[218:219], v[220:221], v[216:217]
	v_div_scale_f64 v[216:217], null, v[212:213], v[212:213], 1.0
	s_delay_alu instid0(VALU_DEP_1) | instskip(SKIP_2) | instid1(VALU_DEP_1)
	v_rcp_f64_e32 v[218:219], v[216:217]
	s_waitcnt_depctr 0xfff
	v_fma_f64 v[222:223], -v[216:217], v[218:219], 1.0
	v_fma_f64 v[218:219], v[218:219], v[222:223], v[218:219]
	s_delay_alu instid0(VALU_DEP_1) | instskip(NEXT) | instid1(VALU_DEP_1)
	v_fma_f64 v[222:223], -v[216:217], v[218:219], 1.0
	v_fma_f64 v[218:219], v[218:219], v[222:223], v[218:219]
	v_div_scale_f64 v[222:223], vcc_lo, 1.0, v[212:213], 1.0
	s_delay_alu instid0(VALU_DEP_1) | instskip(NEXT) | instid1(VALU_DEP_1)
	v_mul_f64 v[224:225], v[222:223], v[218:219]
	v_fma_f64 v[216:217], -v[216:217], v[224:225], v[222:223]
	s_delay_alu instid0(VALU_DEP_1) | instskip(NEXT) | instid1(VALU_DEP_1)
	v_div_fmas_f64 v[216:217], v[216:217], v[218:219], v[224:225]
	v_div_fixup_f64 v[212:213], v[216:217], v[212:213], 1.0
	s_delay_alu instid0(VALU_DEP_1)
	v_mul_f64 v[222:223], v[220:221], -v[212:213]
.LBB115_169:
	s_or_b32 exec_lo, exec_lo, s3
	ds_store_2addr_b64 v209, v[212:213], v[222:223] offset1:1
.LBB115_170:
	s_or_b32 exec_lo, exec_lo, s4
	s_waitcnt lgkmcnt(0)
	s_barrier
	buffer_gl0_inv
	ds_load_2addr_b64 v[204:207], v209 offset1:1
	s_mov_b32 s3, exec_lo
	s_waitcnt lgkmcnt(0)
	scratch_store_b128 off, v[204:207], off offset:852 ; 16-byte Folded Spill
	v_cmpx_lt_u32_e32 18, v208
	s_cbranch_execz .LBB115_172
; %bb.171:
	scratch_load_b128 v[204:207], off, off offset:852 ; 16-byte Folded Reload
	ds_load_2addr_b64 v[218:221], v214 offset0:38 offset1:39
	s_waitcnt vmcnt(0)
	v_mul_f64 v[212:213], v[206:207], v[158:159]
	v_mul_f64 v[158:159], v[204:205], v[158:159]
	s_delay_alu instid0(VALU_DEP_2) | instskip(NEXT) | instid1(VALU_DEP_2)
	v_fma_f64 v[216:217], v[204:205], v[156:157], -v[212:213]
	v_fma_f64 v[158:159], v[206:207], v[156:157], v[158:159]
	s_waitcnt lgkmcnt(0)
	s_delay_alu instid0(VALU_DEP_1) | instskip(SKIP_1) | instid1(VALU_DEP_2)
	v_mul_f64 v[156:157], v[220:221], v[158:159]
	v_mul_f64 v[212:213], v[218:219], v[158:159]
	v_fma_f64 v[156:157], v[218:219], v[216:217], -v[156:157]
	s_delay_alu instid0(VALU_DEP_2)
	v_fma_f64 v[212:213], v[220:221], v[216:217], v[212:213]
	ds_load_2addr_b64 v[218:221], v214 offset0:40 offset1:41
	v_add_f64 v[152:153], v[152:153], -v[156:157]
	v_add_f64 v[154:155], v[154:155], -v[212:213]
	s_waitcnt lgkmcnt(0)
	v_mul_f64 v[156:157], v[220:221], v[158:159]
	v_mul_f64 v[212:213], v[218:219], v[158:159]
	s_delay_alu instid0(VALU_DEP_2) | instskip(NEXT) | instid1(VALU_DEP_2)
	v_fma_f64 v[156:157], v[218:219], v[216:217], -v[156:157]
	v_fma_f64 v[212:213], v[220:221], v[216:217], v[212:213]
	ds_load_2addr_b64 v[218:221], v214 offset0:42 offset1:43
	v_add_f64 v[148:149], v[148:149], -v[156:157]
	v_add_f64 v[150:151], v[150:151], -v[212:213]
	s_waitcnt lgkmcnt(0)
	v_mul_f64 v[156:157], v[220:221], v[158:159]
	v_mul_f64 v[212:213], v[218:219], v[158:159]
	s_delay_alu instid0(VALU_DEP_2) | instskip(NEXT) | instid1(VALU_DEP_2)
	v_fma_f64 v[156:157], v[218:219], v[216:217], -v[156:157]
	v_fma_f64 v[212:213], v[220:221], v[216:217], v[212:213]
	ds_load_2addr_b64 v[218:221], v214 offset0:44 offset1:45
	v_add_f64 v[144:145], v[144:145], -v[156:157]
	v_add_f64 v[146:147], v[146:147], -v[212:213]
	s_waitcnt lgkmcnt(0)
	v_mul_f64 v[156:157], v[220:221], v[158:159]
	v_mul_f64 v[212:213], v[218:219], v[158:159]
	s_delay_alu instid0(VALU_DEP_2) | instskip(NEXT) | instid1(VALU_DEP_2)
	v_fma_f64 v[156:157], v[218:219], v[216:217], -v[156:157]
	v_fma_f64 v[212:213], v[220:221], v[216:217], v[212:213]
	ds_load_2addr_b64 v[218:221], v214 offset0:46 offset1:47
	v_add_f64 v[140:141], v[140:141], -v[156:157]
	v_add_f64 v[142:143], v[142:143], -v[212:213]
	s_waitcnt lgkmcnt(0)
	v_mul_f64 v[156:157], v[220:221], v[158:159]
	v_mul_f64 v[212:213], v[218:219], v[158:159]
	s_delay_alu instid0(VALU_DEP_2) | instskip(NEXT) | instid1(VALU_DEP_2)
	v_fma_f64 v[156:157], v[218:219], v[216:217], -v[156:157]
	v_fma_f64 v[212:213], v[220:221], v[216:217], v[212:213]
	ds_load_2addr_b64 v[218:221], v214 offset0:48 offset1:49
	v_add_f64 v[136:137], v[136:137], -v[156:157]
	v_add_f64 v[138:139], v[138:139], -v[212:213]
	s_waitcnt lgkmcnt(0)
	v_mul_f64 v[156:157], v[220:221], v[158:159]
	v_mul_f64 v[212:213], v[218:219], v[158:159]
	s_delay_alu instid0(VALU_DEP_2) | instskip(NEXT) | instid1(VALU_DEP_2)
	v_fma_f64 v[156:157], v[218:219], v[216:217], -v[156:157]
	v_fma_f64 v[212:213], v[220:221], v[216:217], v[212:213]
	ds_load_2addr_b64 v[218:221], v214 offset0:50 offset1:51
	v_add_f64 v[132:133], v[132:133], -v[156:157]
	v_add_f64 v[134:135], v[134:135], -v[212:213]
	s_waitcnt lgkmcnt(0)
	v_mul_f64 v[156:157], v[220:221], v[158:159]
	v_mul_f64 v[212:213], v[218:219], v[158:159]
	s_delay_alu instid0(VALU_DEP_2) | instskip(NEXT) | instid1(VALU_DEP_2)
	v_fma_f64 v[156:157], v[218:219], v[216:217], -v[156:157]
	v_fma_f64 v[212:213], v[220:221], v[216:217], v[212:213]
	ds_load_2addr_b64 v[218:221], v214 offset0:52 offset1:53
	v_add_f64 v[128:129], v[128:129], -v[156:157]
	v_add_f64 v[130:131], v[130:131], -v[212:213]
	s_waitcnt lgkmcnt(0)
	v_mul_f64 v[156:157], v[220:221], v[158:159]
	v_mul_f64 v[212:213], v[218:219], v[158:159]
	s_delay_alu instid0(VALU_DEP_2) | instskip(NEXT) | instid1(VALU_DEP_2)
	v_fma_f64 v[156:157], v[218:219], v[216:217], -v[156:157]
	v_fma_f64 v[212:213], v[220:221], v[216:217], v[212:213]
	ds_load_2addr_b64 v[218:221], v214 offset0:54 offset1:55
	v_add_f64 v[124:125], v[124:125], -v[156:157]
	v_add_f64 v[126:127], v[126:127], -v[212:213]
	s_waitcnt lgkmcnt(0)
	v_mul_f64 v[156:157], v[220:221], v[158:159]
	v_mul_f64 v[212:213], v[218:219], v[158:159]
	s_delay_alu instid0(VALU_DEP_2) | instskip(NEXT) | instid1(VALU_DEP_2)
	v_fma_f64 v[156:157], v[218:219], v[216:217], -v[156:157]
	v_fma_f64 v[212:213], v[220:221], v[216:217], v[212:213]
	ds_load_2addr_b64 v[218:221], v214 offset0:56 offset1:57
	v_add_f64 v[120:121], v[120:121], -v[156:157]
	v_add_f64 v[122:123], v[122:123], -v[212:213]
	s_waitcnt lgkmcnt(0)
	v_mul_f64 v[156:157], v[220:221], v[158:159]
	v_mul_f64 v[212:213], v[218:219], v[158:159]
	s_delay_alu instid0(VALU_DEP_2) | instskip(NEXT) | instid1(VALU_DEP_2)
	v_fma_f64 v[156:157], v[218:219], v[216:217], -v[156:157]
	v_fma_f64 v[212:213], v[220:221], v[216:217], v[212:213]
	ds_load_2addr_b64 v[218:221], v214 offset0:58 offset1:59
	v_add_f64 v[116:117], v[116:117], -v[156:157]
	v_add_f64 v[118:119], v[118:119], -v[212:213]
	s_waitcnt lgkmcnt(0)
	v_mul_f64 v[156:157], v[220:221], v[158:159]
	v_mul_f64 v[212:213], v[218:219], v[158:159]
	s_delay_alu instid0(VALU_DEP_2) | instskip(NEXT) | instid1(VALU_DEP_2)
	v_fma_f64 v[156:157], v[218:219], v[216:217], -v[156:157]
	v_fma_f64 v[212:213], v[220:221], v[216:217], v[212:213]
	ds_load_2addr_b64 v[218:221], v214 offset0:60 offset1:61
	v_add_f64 v[112:113], v[112:113], -v[156:157]
	v_add_f64 v[114:115], v[114:115], -v[212:213]
	s_waitcnt lgkmcnt(0)
	v_mul_f64 v[156:157], v[220:221], v[158:159]
	v_mul_f64 v[212:213], v[218:219], v[158:159]
	s_delay_alu instid0(VALU_DEP_2) | instskip(NEXT) | instid1(VALU_DEP_2)
	v_fma_f64 v[156:157], v[218:219], v[216:217], -v[156:157]
	v_fma_f64 v[212:213], v[220:221], v[216:217], v[212:213]
	ds_load_2addr_b64 v[218:221], v214 offset0:62 offset1:63
	v_add_f64 v[108:109], v[108:109], -v[156:157]
	v_add_f64 v[110:111], v[110:111], -v[212:213]
	s_waitcnt lgkmcnt(0)
	v_mul_f64 v[156:157], v[220:221], v[158:159]
	v_mul_f64 v[212:213], v[218:219], v[158:159]
	s_delay_alu instid0(VALU_DEP_2) | instskip(NEXT) | instid1(VALU_DEP_2)
	v_fma_f64 v[156:157], v[218:219], v[216:217], -v[156:157]
	v_fma_f64 v[212:213], v[220:221], v[216:217], v[212:213]
	ds_load_2addr_b64 v[218:221], v214 offset0:64 offset1:65
	v_add_f64 v[104:105], v[104:105], -v[156:157]
	v_add_f64 v[106:107], v[106:107], -v[212:213]
	s_waitcnt lgkmcnt(0)
	v_mul_f64 v[156:157], v[220:221], v[158:159]
	v_mul_f64 v[212:213], v[218:219], v[158:159]
	s_delay_alu instid0(VALU_DEP_2) | instskip(NEXT) | instid1(VALU_DEP_2)
	v_fma_f64 v[156:157], v[218:219], v[216:217], -v[156:157]
	v_fma_f64 v[212:213], v[220:221], v[216:217], v[212:213]
	ds_load_2addr_b64 v[218:221], v214 offset0:66 offset1:67
	v_add_f64 v[100:101], v[100:101], -v[156:157]
	v_add_f64 v[102:103], v[102:103], -v[212:213]
	s_waitcnt lgkmcnt(0)
	v_mul_f64 v[156:157], v[220:221], v[158:159]
	v_mul_f64 v[212:213], v[218:219], v[158:159]
	s_delay_alu instid0(VALU_DEP_2) | instskip(NEXT) | instid1(VALU_DEP_2)
	v_fma_f64 v[156:157], v[218:219], v[216:217], -v[156:157]
	v_fma_f64 v[212:213], v[220:221], v[216:217], v[212:213]
	ds_load_2addr_b64 v[218:221], v214 offset0:68 offset1:69
	v_add_f64 v[96:97], v[96:97], -v[156:157]
	v_add_f64 v[98:99], v[98:99], -v[212:213]
	s_waitcnt lgkmcnt(0)
	v_mul_f64 v[156:157], v[220:221], v[158:159]
	v_mul_f64 v[212:213], v[218:219], v[158:159]
	s_delay_alu instid0(VALU_DEP_2) | instskip(NEXT) | instid1(VALU_DEP_2)
	v_fma_f64 v[156:157], v[218:219], v[216:217], -v[156:157]
	v_fma_f64 v[212:213], v[220:221], v[216:217], v[212:213]
	ds_load_2addr_b64 v[218:221], v214 offset0:70 offset1:71
	v_add_f64 v[92:93], v[92:93], -v[156:157]
	v_add_f64 v[94:95], v[94:95], -v[212:213]
	s_waitcnt lgkmcnt(0)
	v_mul_f64 v[156:157], v[220:221], v[158:159]
	v_mul_f64 v[212:213], v[218:219], v[158:159]
	s_delay_alu instid0(VALU_DEP_2) | instskip(NEXT) | instid1(VALU_DEP_2)
	v_fma_f64 v[156:157], v[218:219], v[216:217], -v[156:157]
	v_fma_f64 v[212:213], v[220:221], v[216:217], v[212:213]
	ds_load_2addr_b64 v[218:221], v214 offset0:72 offset1:73
	v_add_f64 v[88:89], v[88:89], -v[156:157]
	v_add_f64 v[90:91], v[90:91], -v[212:213]
	s_waitcnt lgkmcnt(0)
	v_mul_f64 v[156:157], v[220:221], v[158:159]
	v_mul_f64 v[212:213], v[218:219], v[158:159]
	s_delay_alu instid0(VALU_DEP_2) | instskip(NEXT) | instid1(VALU_DEP_2)
	v_fma_f64 v[156:157], v[218:219], v[216:217], -v[156:157]
	v_fma_f64 v[212:213], v[220:221], v[216:217], v[212:213]
	ds_load_2addr_b64 v[218:221], v214 offset0:74 offset1:75
	v_add_f64 v[84:85], v[84:85], -v[156:157]
	v_add_f64 v[86:87], v[86:87], -v[212:213]
	s_waitcnt lgkmcnt(0)
	v_mul_f64 v[156:157], v[220:221], v[158:159]
	v_mul_f64 v[212:213], v[218:219], v[158:159]
	s_delay_alu instid0(VALU_DEP_2) | instskip(NEXT) | instid1(VALU_DEP_2)
	v_fma_f64 v[156:157], v[218:219], v[216:217], -v[156:157]
	v_fma_f64 v[212:213], v[220:221], v[216:217], v[212:213]
	ds_load_2addr_b64 v[218:221], v214 offset0:76 offset1:77
	v_add_f64 v[80:81], v[80:81], -v[156:157]
	v_add_f64 v[82:83], v[82:83], -v[212:213]
	s_waitcnt lgkmcnt(0)
	v_mul_f64 v[156:157], v[220:221], v[158:159]
	v_mul_f64 v[212:213], v[218:219], v[158:159]
	s_delay_alu instid0(VALU_DEP_2) | instskip(NEXT) | instid1(VALU_DEP_2)
	v_fma_f64 v[156:157], v[218:219], v[216:217], -v[156:157]
	v_fma_f64 v[212:213], v[220:221], v[216:217], v[212:213]
	ds_load_2addr_b64 v[218:221], v214 offset0:78 offset1:79
	v_add_f64 v[76:77], v[76:77], -v[156:157]
	v_add_f64 v[78:79], v[78:79], -v[212:213]
	s_waitcnt lgkmcnt(0)
	v_mul_f64 v[156:157], v[220:221], v[158:159]
	v_mul_f64 v[212:213], v[218:219], v[158:159]
	s_delay_alu instid0(VALU_DEP_2) | instskip(NEXT) | instid1(VALU_DEP_2)
	v_fma_f64 v[156:157], v[218:219], v[216:217], -v[156:157]
	v_fma_f64 v[212:213], v[220:221], v[216:217], v[212:213]
	ds_load_2addr_b64 v[218:221], v214 offset0:80 offset1:81
	v_add_f64 v[72:73], v[72:73], -v[156:157]
	v_add_f64 v[74:75], v[74:75], -v[212:213]
	s_waitcnt lgkmcnt(0)
	v_mul_f64 v[156:157], v[220:221], v[158:159]
	v_mul_f64 v[212:213], v[218:219], v[158:159]
	s_delay_alu instid0(VALU_DEP_2) | instskip(NEXT) | instid1(VALU_DEP_2)
	v_fma_f64 v[156:157], v[218:219], v[216:217], -v[156:157]
	v_fma_f64 v[212:213], v[220:221], v[216:217], v[212:213]
	ds_load_2addr_b64 v[218:221], v214 offset0:82 offset1:83
	v_add_f64 v[68:69], v[68:69], -v[156:157]
	v_add_f64 v[70:71], v[70:71], -v[212:213]
	s_waitcnt lgkmcnt(0)
	v_mul_f64 v[156:157], v[220:221], v[158:159]
	v_mul_f64 v[212:213], v[218:219], v[158:159]
	s_delay_alu instid0(VALU_DEP_2) | instskip(NEXT) | instid1(VALU_DEP_2)
	v_fma_f64 v[156:157], v[218:219], v[216:217], -v[156:157]
	v_fma_f64 v[212:213], v[220:221], v[216:217], v[212:213]
	ds_load_2addr_b64 v[218:221], v214 offset0:84 offset1:85
	v_add_f64 v[64:65], v[64:65], -v[156:157]
	v_add_f64 v[66:67], v[66:67], -v[212:213]
	s_waitcnt lgkmcnt(0)
	v_mul_f64 v[156:157], v[220:221], v[158:159]
	v_mul_f64 v[212:213], v[218:219], v[158:159]
	s_delay_alu instid0(VALU_DEP_2) | instskip(NEXT) | instid1(VALU_DEP_2)
	v_fma_f64 v[156:157], v[218:219], v[216:217], -v[156:157]
	v_fma_f64 v[212:213], v[220:221], v[216:217], v[212:213]
	ds_load_2addr_b64 v[218:221], v214 offset0:86 offset1:87
	v_add_f64 v[60:61], v[60:61], -v[156:157]
	v_add_f64 v[62:63], v[62:63], -v[212:213]
	s_waitcnt lgkmcnt(0)
	v_mul_f64 v[156:157], v[220:221], v[158:159]
	v_mul_f64 v[212:213], v[218:219], v[158:159]
	s_delay_alu instid0(VALU_DEP_2) | instskip(NEXT) | instid1(VALU_DEP_2)
	v_fma_f64 v[156:157], v[218:219], v[216:217], -v[156:157]
	v_fma_f64 v[212:213], v[220:221], v[216:217], v[212:213]
	ds_load_2addr_b64 v[218:221], v214 offset0:88 offset1:89
	v_add_f64 v[56:57], v[56:57], -v[156:157]
	v_add_f64 v[58:59], v[58:59], -v[212:213]
	s_waitcnt lgkmcnt(0)
	v_mul_f64 v[156:157], v[220:221], v[158:159]
	v_mul_f64 v[212:213], v[218:219], v[158:159]
	s_delay_alu instid0(VALU_DEP_2) | instskip(NEXT) | instid1(VALU_DEP_2)
	v_fma_f64 v[156:157], v[218:219], v[216:217], -v[156:157]
	v_fma_f64 v[212:213], v[220:221], v[216:217], v[212:213]
	ds_load_2addr_b64 v[218:221], v214 offset0:90 offset1:91
	v_add_f64 v[52:53], v[52:53], -v[156:157]
	v_add_f64 v[54:55], v[54:55], -v[212:213]
	s_waitcnt lgkmcnt(0)
	v_mul_f64 v[156:157], v[220:221], v[158:159]
	v_mul_f64 v[212:213], v[218:219], v[158:159]
	s_delay_alu instid0(VALU_DEP_2) | instskip(NEXT) | instid1(VALU_DEP_2)
	v_fma_f64 v[156:157], v[218:219], v[216:217], -v[156:157]
	v_fma_f64 v[212:213], v[220:221], v[216:217], v[212:213]
	ds_load_2addr_b64 v[218:221], v214 offset0:92 offset1:93
	v_add_f64 v[48:49], v[48:49], -v[156:157]
	v_add_f64 v[50:51], v[50:51], -v[212:213]
	s_waitcnt lgkmcnt(0)
	v_mul_f64 v[156:157], v[220:221], v[158:159]
	v_mul_f64 v[212:213], v[218:219], v[158:159]
	s_delay_alu instid0(VALU_DEP_2) | instskip(NEXT) | instid1(VALU_DEP_2)
	v_fma_f64 v[156:157], v[218:219], v[216:217], -v[156:157]
	v_fma_f64 v[212:213], v[220:221], v[216:217], v[212:213]
	ds_load_2addr_b64 v[218:221], v214 offset0:94 offset1:95
	v_add_f64 v[44:45], v[44:45], -v[156:157]
	v_add_f64 v[46:47], v[46:47], -v[212:213]
	s_waitcnt lgkmcnt(0)
	v_mul_f64 v[156:157], v[220:221], v[158:159]
	v_mul_f64 v[212:213], v[218:219], v[158:159]
	s_delay_alu instid0(VALU_DEP_2) | instskip(NEXT) | instid1(VALU_DEP_2)
	v_fma_f64 v[156:157], v[218:219], v[216:217], -v[156:157]
	v_fma_f64 v[212:213], v[220:221], v[216:217], v[212:213]
	ds_load_2addr_b64 v[218:221], v214 offset0:96 offset1:97
	v_add_f64 v[40:41], v[40:41], -v[156:157]
	v_add_f64 v[42:43], v[42:43], -v[212:213]
	s_waitcnt lgkmcnt(0)
	v_mul_f64 v[156:157], v[220:221], v[158:159]
	v_mul_f64 v[212:213], v[218:219], v[158:159]
	s_delay_alu instid0(VALU_DEP_2) | instskip(NEXT) | instid1(VALU_DEP_2)
	v_fma_f64 v[156:157], v[218:219], v[216:217], -v[156:157]
	v_fma_f64 v[212:213], v[220:221], v[216:217], v[212:213]
	ds_load_2addr_b64 v[218:221], v214 offset0:98 offset1:99
	v_add_f64 v[36:37], v[36:37], -v[156:157]
	v_add_f64 v[38:39], v[38:39], -v[212:213]
	s_waitcnt lgkmcnt(0)
	v_mul_f64 v[156:157], v[220:221], v[158:159]
	v_mul_f64 v[212:213], v[218:219], v[158:159]
	s_delay_alu instid0(VALU_DEP_2) | instskip(NEXT) | instid1(VALU_DEP_2)
	v_fma_f64 v[156:157], v[218:219], v[216:217], -v[156:157]
	v_fma_f64 v[212:213], v[220:221], v[216:217], v[212:213]
	ds_load_2addr_b64 v[218:221], v214 offset0:100 offset1:101
	v_add_f64 v[32:33], v[32:33], -v[156:157]
	v_add_f64 v[34:35], v[34:35], -v[212:213]
	s_waitcnt lgkmcnt(0)
	v_mul_f64 v[156:157], v[220:221], v[158:159]
	v_mul_f64 v[212:213], v[218:219], v[158:159]
	s_delay_alu instid0(VALU_DEP_2) | instskip(NEXT) | instid1(VALU_DEP_2)
	v_fma_f64 v[156:157], v[218:219], v[216:217], -v[156:157]
	v_fma_f64 v[212:213], v[220:221], v[216:217], v[212:213]
	ds_load_2addr_b64 v[218:221], v214 offset0:102 offset1:103
	v_add_f64 v[28:29], v[28:29], -v[156:157]
	v_add_f64 v[30:31], v[30:31], -v[212:213]
	s_waitcnt lgkmcnt(0)
	v_mul_f64 v[156:157], v[220:221], v[158:159]
	v_mul_f64 v[212:213], v[218:219], v[158:159]
	s_delay_alu instid0(VALU_DEP_2) | instskip(NEXT) | instid1(VALU_DEP_2)
	v_fma_f64 v[156:157], v[218:219], v[216:217], -v[156:157]
	v_fma_f64 v[212:213], v[220:221], v[216:217], v[212:213]
	ds_load_2addr_b64 v[218:221], v214 offset0:104 offset1:105
	v_add_f64 v[24:25], v[24:25], -v[156:157]
	v_add_f64 v[26:27], v[26:27], -v[212:213]
	s_waitcnt lgkmcnt(0)
	v_mul_f64 v[156:157], v[220:221], v[158:159]
	v_mul_f64 v[212:213], v[218:219], v[158:159]
	s_delay_alu instid0(VALU_DEP_2) | instskip(NEXT) | instid1(VALU_DEP_2)
	v_fma_f64 v[156:157], v[218:219], v[216:217], -v[156:157]
	v_fma_f64 v[212:213], v[220:221], v[216:217], v[212:213]
	ds_load_2addr_b64 v[218:221], v214 offset0:106 offset1:107
	v_add_f64 v[20:21], v[20:21], -v[156:157]
	v_add_f64 v[22:23], v[22:23], -v[212:213]
	s_waitcnt lgkmcnt(0)
	v_mul_f64 v[156:157], v[220:221], v[158:159]
	v_mul_f64 v[212:213], v[218:219], v[158:159]
	s_delay_alu instid0(VALU_DEP_2) | instskip(NEXT) | instid1(VALU_DEP_2)
	v_fma_f64 v[156:157], v[218:219], v[216:217], -v[156:157]
	v_fma_f64 v[212:213], v[220:221], v[216:217], v[212:213]
	ds_load_2addr_b64 v[218:221], v214 offset0:108 offset1:109
	v_add_f64 v[16:17], v[16:17], -v[156:157]
	v_add_f64 v[18:19], v[18:19], -v[212:213]
	s_waitcnt lgkmcnt(0)
	v_mul_f64 v[156:157], v[220:221], v[158:159]
	v_mul_f64 v[212:213], v[218:219], v[158:159]
	s_delay_alu instid0(VALU_DEP_2) | instskip(NEXT) | instid1(VALU_DEP_2)
	v_fma_f64 v[156:157], v[218:219], v[216:217], -v[156:157]
	v_fma_f64 v[212:213], v[220:221], v[216:217], v[212:213]
	ds_load_2addr_b64 v[218:221], v214 offset0:110 offset1:111
	v_add_f64 v[12:13], v[12:13], -v[156:157]
	v_add_f64 v[14:15], v[14:15], -v[212:213]
	s_waitcnt lgkmcnt(0)
	v_mul_f64 v[156:157], v[220:221], v[158:159]
	v_mul_f64 v[212:213], v[218:219], v[158:159]
	s_delay_alu instid0(VALU_DEP_2) | instskip(NEXT) | instid1(VALU_DEP_2)
	v_fma_f64 v[156:157], v[218:219], v[216:217], -v[156:157]
	v_fma_f64 v[212:213], v[220:221], v[216:217], v[212:213]
	ds_load_2addr_b64 v[218:221], v214 offset0:112 offset1:113
	v_add_f64 v[8:9], v[8:9], -v[156:157]
	v_add_f64 v[10:11], v[10:11], -v[212:213]
	s_waitcnt lgkmcnt(0)
	v_mul_f64 v[156:157], v[220:221], v[158:159]
	v_mul_f64 v[212:213], v[218:219], v[158:159]
	s_delay_alu instid0(VALU_DEP_2) | instskip(NEXT) | instid1(VALU_DEP_2)
	v_fma_f64 v[156:157], v[218:219], v[216:217], -v[156:157]
	v_fma_f64 v[212:213], v[220:221], v[216:217], v[212:213]
	ds_load_2addr_b64 v[218:221], v214 offset0:114 offset1:115
	v_add_f64 v[4:5], v[4:5], -v[156:157]
	v_add_f64 v[6:7], v[6:7], -v[212:213]
	s_waitcnt lgkmcnt(0)
	v_mul_f64 v[156:157], v[220:221], v[158:159]
	v_mul_f64 v[212:213], v[218:219], v[158:159]
	s_delay_alu instid0(VALU_DEP_2) | instskip(NEXT) | instid1(VALU_DEP_2)
	v_fma_f64 v[156:157], v[218:219], v[216:217], -v[156:157]
	v_fma_f64 v[212:213], v[220:221], v[216:217], v[212:213]
	s_delay_alu instid0(VALU_DEP_2) | instskip(NEXT) | instid1(VALU_DEP_2)
	v_add_f64 v[0:1], v[0:1], -v[156:157]
	v_add_f64 v[2:3], v[2:3], -v[212:213]
	v_dual_mov_b32 v156, v216 :: v_dual_mov_b32 v157, v217
.LBB115_172:
	s_or_b32 exec_lo, exec_lo, s3
	s_delay_alu instid0(SALU_CYCLE_1)
	s_mov_b32 s4, exec_lo
	s_waitcnt_vscnt null, 0x0
	s_barrier
	buffer_gl0_inv
	v_cmpx_eq_u32_e32 19, v208
	s_cbranch_execz .LBB115_179
; %bb.173:
	ds_store_2addr_b64 v209, v[152:153], v[154:155] offset1:1
	ds_store_2addr_b64 v214, v[148:149], v[150:151] offset0:40 offset1:41
	ds_store_2addr_b64 v214, v[144:145], v[146:147] offset0:42 offset1:43
	;; [unrolled: 1-line block ×38, first 2 shown]
	ds_load_2addr_b64 v[216:219], v209 offset1:1
	s_waitcnt lgkmcnt(0)
	v_cmp_neq_f64_e32 vcc_lo, 0, v[216:217]
	v_cmp_neq_f64_e64 s3, 0, v[218:219]
	s_delay_alu instid0(VALU_DEP_1) | instskip(NEXT) | instid1(SALU_CYCLE_1)
	s_or_b32 s3, vcc_lo, s3
	s_and_b32 exec_lo, exec_lo, s3
	s_cbranch_execz .LBB115_179
; %bb.174:
	v_cmp_gt_f64_e32 vcc_lo, 0, v[216:217]
	v_xor_b32_e32 v212, 0x80000000, v217
	v_xor_b32_e32 v215, 0x80000000, v219
	s_delay_alu instid0(VALU_DEP_2) | instskip(SKIP_2) | instid1(VALU_DEP_4)
	v_cndmask_b32_e32 v213, v217, v212, vcc_lo
	v_cndmask_b32_e32 v212, v216, v216, vcc_lo
	v_cmp_gt_f64_e32 vcc_lo, 0, v[218:219]
	v_dual_cndmask_b32 v221, v219, v215 :: v_dual_cndmask_b32 v220, v218, v218
	s_delay_alu instid0(VALU_DEP_1) | instskip(SKIP_1) | instid1(SALU_CYCLE_1)
	v_cmp_ngt_f64_e32 vcc_lo, v[212:213], v[220:221]
                                        ; implicit-def: $vgpr212_vgpr213
	s_and_saveexec_b32 s3, vcc_lo
	s_xor_b32 s3, exec_lo, s3
                                        ; implicit-def: $vgpr220_vgpr221_vgpr222_vgpr223
	s_cbranch_execz .LBB115_176
; %bb.175:
	v_div_scale_f64 v[212:213], null, v[218:219], v[218:219], v[216:217]
	v_div_scale_f64 v[224:225], vcc_lo, v[216:217], v[218:219], v[216:217]
	s_delay_alu instid0(VALU_DEP_2) | instskip(SKIP_2) | instid1(VALU_DEP_1)
	v_rcp_f64_e32 v[220:221], v[212:213]
	s_waitcnt_depctr 0xfff
	v_fma_f64 v[222:223], -v[212:213], v[220:221], 1.0
	v_fma_f64 v[220:221], v[220:221], v[222:223], v[220:221]
	s_delay_alu instid0(VALU_DEP_1) | instskip(NEXT) | instid1(VALU_DEP_1)
	v_fma_f64 v[222:223], -v[212:213], v[220:221], 1.0
	v_fma_f64 v[220:221], v[220:221], v[222:223], v[220:221]
	s_delay_alu instid0(VALU_DEP_1) | instskip(NEXT) | instid1(VALU_DEP_1)
	v_mul_f64 v[222:223], v[224:225], v[220:221]
	v_fma_f64 v[212:213], -v[212:213], v[222:223], v[224:225]
	s_delay_alu instid0(VALU_DEP_1) | instskip(NEXT) | instid1(VALU_DEP_1)
	v_div_fmas_f64 v[212:213], v[212:213], v[220:221], v[222:223]
	v_div_fixup_f64 v[212:213], v[212:213], v[218:219], v[216:217]
	s_delay_alu instid0(VALU_DEP_1) | instskip(NEXT) | instid1(VALU_DEP_1)
	v_fma_f64 v[216:217], v[216:217], v[212:213], v[218:219]
	v_div_scale_f64 v[218:219], null, v[216:217], v[216:217], 1.0
	s_delay_alu instid0(VALU_DEP_1) | instskip(SKIP_2) | instid1(VALU_DEP_1)
	v_rcp_f64_e32 v[220:221], v[218:219]
	s_waitcnt_depctr 0xfff
	v_fma_f64 v[222:223], -v[218:219], v[220:221], 1.0
	v_fma_f64 v[220:221], v[220:221], v[222:223], v[220:221]
	s_delay_alu instid0(VALU_DEP_1) | instskip(NEXT) | instid1(VALU_DEP_1)
	v_fma_f64 v[222:223], -v[218:219], v[220:221], 1.0
	v_fma_f64 v[220:221], v[220:221], v[222:223], v[220:221]
	v_div_scale_f64 v[222:223], vcc_lo, 1.0, v[216:217], 1.0
	s_delay_alu instid0(VALU_DEP_1) | instskip(NEXT) | instid1(VALU_DEP_1)
	v_mul_f64 v[224:225], v[222:223], v[220:221]
	v_fma_f64 v[218:219], -v[218:219], v[224:225], v[222:223]
	s_delay_alu instid0(VALU_DEP_1) | instskip(NEXT) | instid1(VALU_DEP_1)
	v_div_fmas_f64 v[218:219], v[218:219], v[220:221], v[224:225]
	v_div_fixup_f64 v[222:223], v[218:219], v[216:217], 1.0
                                        ; implicit-def: $vgpr216_vgpr217
	s_delay_alu instid0(VALU_DEP_1)
	v_mul_f64 v[212:213], v[212:213], v[222:223]
	v_xor_b32_e32 v223, 0x80000000, v223
.LBB115_176:
	s_and_not1_saveexec_b32 s3, s3
	s_cbranch_execz .LBB115_178
; %bb.177:
	v_div_scale_f64 v[212:213], null, v[216:217], v[216:217], v[218:219]
	v_div_scale_f64 v[224:225], vcc_lo, v[218:219], v[216:217], v[218:219]
	s_delay_alu instid0(VALU_DEP_2) | instskip(SKIP_2) | instid1(VALU_DEP_1)
	v_rcp_f64_e32 v[220:221], v[212:213]
	s_waitcnt_depctr 0xfff
	v_fma_f64 v[222:223], -v[212:213], v[220:221], 1.0
	v_fma_f64 v[220:221], v[220:221], v[222:223], v[220:221]
	s_delay_alu instid0(VALU_DEP_1) | instskip(NEXT) | instid1(VALU_DEP_1)
	v_fma_f64 v[222:223], -v[212:213], v[220:221], 1.0
	v_fma_f64 v[220:221], v[220:221], v[222:223], v[220:221]
	s_delay_alu instid0(VALU_DEP_1) | instskip(NEXT) | instid1(VALU_DEP_1)
	v_mul_f64 v[222:223], v[224:225], v[220:221]
	v_fma_f64 v[212:213], -v[212:213], v[222:223], v[224:225]
	s_delay_alu instid0(VALU_DEP_1) | instskip(NEXT) | instid1(VALU_DEP_1)
	v_div_fmas_f64 v[212:213], v[212:213], v[220:221], v[222:223]
	v_div_fixup_f64 v[220:221], v[212:213], v[216:217], v[218:219]
	s_delay_alu instid0(VALU_DEP_1) | instskip(NEXT) | instid1(VALU_DEP_1)
	v_fma_f64 v[212:213], v[218:219], v[220:221], v[216:217]
	v_div_scale_f64 v[216:217], null, v[212:213], v[212:213], 1.0
	s_delay_alu instid0(VALU_DEP_1) | instskip(SKIP_2) | instid1(VALU_DEP_1)
	v_rcp_f64_e32 v[218:219], v[216:217]
	s_waitcnt_depctr 0xfff
	v_fma_f64 v[222:223], -v[216:217], v[218:219], 1.0
	v_fma_f64 v[218:219], v[218:219], v[222:223], v[218:219]
	s_delay_alu instid0(VALU_DEP_1) | instskip(NEXT) | instid1(VALU_DEP_1)
	v_fma_f64 v[222:223], -v[216:217], v[218:219], 1.0
	v_fma_f64 v[218:219], v[218:219], v[222:223], v[218:219]
	v_div_scale_f64 v[222:223], vcc_lo, 1.0, v[212:213], 1.0
	s_delay_alu instid0(VALU_DEP_1) | instskip(NEXT) | instid1(VALU_DEP_1)
	v_mul_f64 v[224:225], v[222:223], v[218:219]
	v_fma_f64 v[216:217], -v[216:217], v[224:225], v[222:223]
	s_delay_alu instid0(VALU_DEP_1) | instskip(NEXT) | instid1(VALU_DEP_1)
	v_div_fmas_f64 v[216:217], v[216:217], v[218:219], v[224:225]
	v_div_fixup_f64 v[212:213], v[216:217], v[212:213], 1.0
	s_delay_alu instid0(VALU_DEP_1)
	v_mul_f64 v[222:223], v[220:221], -v[212:213]
.LBB115_178:
	s_or_b32 exec_lo, exec_lo, s3
	ds_store_2addr_b64 v209, v[212:213], v[222:223] offset1:1
.LBB115_179:
	s_or_b32 exec_lo, exec_lo, s4
	s_waitcnt lgkmcnt(0)
	s_barrier
	buffer_gl0_inv
	ds_load_2addr_b64 v[204:207], v209 offset1:1
	s_mov_b32 s3, exec_lo
	s_waitcnt lgkmcnt(0)
	scratch_store_b128 off, v[204:207], off offset:868 ; 16-byte Folded Spill
	v_cmpx_lt_u32_e32 19, v208
	s_cbranch_execz .LBB115_181
; %bb.180:
	scratch_load_b128 v[204:207], off, off offset:868 ; 16-byte Folded Reload
	ds_load_2addr_b64 v[218:221], v214 offset0:40 offset1:41
	s_waitcnt vmcnt(0)
	v_mul_f64 v[212:213], v[206:207], v[154:155]
	v_mul_f64 v[154:155], v[204:205], v[154:155]
	s_delay_alu instid0(VALU_DEP_2) | instskip(NEXT) | instid1(VALU_DEP_2)
	v_fma_f64 v[216:217], v[204:205], v[152:153], -v[212:213]
	v_fma_f64 v[154:155], v[206:207], v[152:153], v[154:155]
	s_waitcnt lgkmcnt(0)
	s_delay_alu instid0(VALU_DEP_1) | instskip(SKIP_1) | instid1(VALU_DEP_2)
	v_mul_f64 v[152:153], v[220:221], v[154:155]
	v_mul_f64 v[212:213], v[218:219], v[154:155]
	v_fma_f64 v[152:153], v[218:219], v[216:217], -v[152:153]
	s_delay_alu instid0(VALU_DEP_2)
	v_fma_f64 v[212:213], v[220:221], v[216:217], v[212:213]
	ds_load_2addr_b64 v[218:221], v214 offset0:42 offset1:43
	v_add_f64 v[148:149], v[148:149], -v[152:153]
	v_add_f64 v[150:151], v[150:151], -v[212:213]
	s_waitcnt lgkmcnt(0)
	v_mul_f64 v[152:153], v[220:221], v[154:155]
	v_mul_f64 v[212:213], v[218:219], v[154:155]
	s_delay_alu instid0(VALU_DEP_2) | instskip(NEXT) | instid1(VALU_DEP_2)
	v_fma_f64 v[152:153], v[218:219], v[216:217], -v[152:153]
	v_fma_f64 v[212:213], v[220:221], v[216:217], v[212:213]
	ds_load_2addr_b64 v[218:221], v214 offset0:44 offset1:45
	v_add_f64 v[144:145], v[144:145], -v[152:153]
	v_add_f64 v[146:147], v[146:147], -v[212:213]
	s_waitcnt lgkmcnt(0)
	v_mul_f64 v[152:153], v[220:221], v[154:155]
	v_mul_f64 v[212:213], v[218:219], v[154:155]
	s_delay_alu instid0(VALU_DEP_2) | instskip(NEXT) | instid1(VALU_DEP_2)
	v_fma_f64 v[152:153], v[218:219], v[216:217], -v[152:153]
	;; [unrolled: 9-line block ×37, first 2 shown]
	v_fma_f64 v[212:213], v[220:221], v[216:217], v[212:213]
	s_delay_alu instid0(VALU_DEP_2) | instskip(NEXT) | instid1(VALU_DEP_2)
	v_add_f64 v[0:1], v[0:1], -v[152:153]
	v_add_f64 v[2:3], v[2:3], -v[212:213]
	v_dual_mov_b32 v152, v216 :: v_dual_mov_b32 v153, v217
.LBB115_181:
	s_or_b32 exec_lo, exec_lo, s3
	s_delay_alu instid0(SALU_CYCLE_1)
	s_mov_b32 s4, exec_lo
	s_waitcnt_vscnt null, 0x0
	s_barrier
	buffer_gl0_inv
	v_cmpx_eq_u32_e32 20, v208
	s_cbranch_execz .LBB115_188
; %bb.182:
	ds_store_2addr_b64 v209, v[148:149], v[150:151] offset1:1
	ds_store_2addr_b64 v214, v[144:145], v[146:147] offset0:42 offset1:43
	ds_store_2addr_b64 v214, v[140:141], v[142:143] offset0:44 offset1:45
	;; [unrolled: 1-line block ×37, first 2 shown]
	ds_load_2addr_b64 v[216:219], v209 offset1:1
	s_waitcnt lgkmcnt(0)
	v_cmp_neq_f64_e32 vcc_lo, 0, v[216:217]
	v_cmp_neq_f64_e64 s3, 0, v[218:219]
	s_delay_alu instid0(VALU_DEP_1) | instskip(NEXT) | instid1(SALU_CYCLE_1)
	s_or_b32 s3, vcc_lo, s3
	s_and_b32 exec_lo, exec_lo, s3
	s_cbranch_execz .LBB115_188
; %bb.183:
	v_cmp_gt_f64_e32 vcc_lo, 0, v[216:217]
	v_xor_b32_e32 v212, 0x80000000, v217
	v_xor_b32_e32 v215, 0x80000000, v219
	s_delay_alu instid0(VALU_DEP_2) | instskip(SKIP_2) | instid1(VALU_DEP_4)
	v_cndmask_b32_e32 v213, v217, v212, vcc_lo
	v_cndmask_b32_e32 v212, v216, v216, vcc_lo
	v_cmp_gt_f64_e32 vcc_lo, 0, v[218:219]
	v_dual_cndmask_b32 v221, v219, v215 :: v_dual_cndmask_b32 v220, v218, v218
	s_delay_alu instid0(VALU_DEP_1) | instskip(SKIP_1) | instid1(SALU_CYCLE_1)
	v_cmp_ngt_f64_e32 vcc_lo, v[212:213], v[220:221]
                                        ; implicit-def: $vgpr212_vgpr213
	s_and_saveexec_b32 s3, vcc_lo
	s_xor_b32 s3, exec_lo, s3
                                        ; implicit-def: $vgpr220_vgpr221_vgpr222_vgpr223
	s_cbranch_execz .LBB115_185
; %bb.184:
	v_div_scale_f64 v[212:213], null, v[218:219], v[218:219], v[216:217]
	v_div_scale_f64 v[224:225], vcc_lo, v[216:217], v[218:219], v[216:217]
	s_delay_alu instid0(VALU_DEP_2) | instskip(SKIP_2) | instid1(VALU_DEP_1)
	v_rcp_f64_e32 v[220:221], v[212:213]
	s_waitcnt_depctr 0xfff
	v_fma_f64 v[222:223], -v[212:213], v[220:221], 1.0
	v_fma_f64 v[220:221], v[220:221], v[222:223], v[220:221]
	s_delay_alu instid0(VALU_DEP_1) | instskip(NEXT) | instid1(VALU_DEP_1)
	v_fma_f64 v[222:223], -v[212:213], v[220:221], 1.0
	v_fma_f64 v[220:221], v[220:221], v[222:223], v[220:221]
	s_delay_alu instid0(VALU_DEP_1) | instskip(NEXT) | instid1(VALU_DEP_1)
	v_mul_f64 v[222:223], v[224:225], v[220:221]
	v_fma_f64 v[212:213], -v[212:213], v[222:223], v[224:225]
	s_delay_alu instid0(VALU_DEP_1) | instskip(NEXT) | instid1(VALU_DEP_1)
	v_div_fmas_f64 v[212:213], v[212:213], v[220:221], v[222:223]
	v_div_fixup_f64 v[212:213], v[212:213], v[218:219], v[216:217]
	s_delay_alu instid0(VALU_DEP_1) | instskip(NEXT) | instid1(VALU_DEP_1)
	v_fma_f64 v[216:217], v[216:217], v[212:213], v[218:219]
	v_div_scale_f64 v[218:219], null, v[216:217], v[216:217], 1.0
	s_delay_alu instid0(VALU_DEP_1) | instskip(SKIP_2) | instid1(VALU_DEP_1)
	v_rcp_f64_e32 v[220:221], v[218:219]
	s_waitcnt_depctr 0xfff
	v_fma_f64 v[222:223], -v[218:219], v[220:221], 1.0
	v_fma_f64 v[220:221], v[220:221], v[222:223], v[220:221]
	s_delay_alu instid0(VALU_DEP_1) | instskip(NEXT) | instid1(VALU_DEP_1)
	v_fma_f64 v[222:223], -v[218:219], v[220:221], 1.0
	v_fma_f64 v[220:221], v[220:221], v[222:223], v[220:221]
	v_div_scale_f64 v[222:223], vcc_lo, 1.0, v[216:217], 1.0
	s_delay_alu instid0(VALU_DEP_1) | instskip(NEXT) | instid1(VALU_DEP_1)
	v_mul_f64 v[224:225], v[222:223], v[220:221]
	v_fma_f64 v[218:219], -v[218:219], v[224:225], v[222:223]
	s_delay_alu instid0(VALU_DEP_1) | instskip(NEXT) | instid1(VALU_DEP_1)
	v_div_fmas_f64 v[218:219], v[218:219], v[220:221], v[224:225]
	v_div_fixup_f64 v[222:223], v[218:219], v[216:217], 1.0
                                        ; implicit-def: $vgpr216_vgpr217
	s_delay_alu instid0(VALU_DEP_1)
	v_mul_f64 v[212:213], v[212:213], v[222:223]
	v_xor_b32_e32 v223, 0x80000000, v223
.LBB115_185:
	s_and_not1_saveexec_b32 s3, s3
	s_cbranch_execz .LBB115_187
; %bb.186:
	v_div_scale_f64 v[212:213], null, v[216:217], v[216:217], v[218:219]
	v_div_scale_f64 v[224:225], vcc_lo, v[218:219], v[216:217], v[218:219]
	s_delay_alu instid0(VALU_DEP_2) | instskip(SKIP_2) | instid1(VALU_DEP_1)
	v_rcp_f64_e32 v[220:221], v[212:213]
	s_waitcnt_depctr 0xfff
	v_fma_f64 v[222:223], -v[212:213], v[220:221], 1.0
	v_fma_f64 v[220:221], v[220:221], v[222:223], v[220:221]
	s_delay_alu instid0(VALU_DEP_1) | instskip(NEXT) | instid1(VALU_DEP_1)
	v_fma_f64 v[222:223], -v[212:213], v[220:221], 1.0
	v_fma_f64 v[220:221], v[220:221], v[222:223], v[220:221]
	s_delay_alu instid0(VALU_DEP_1) | instskip(NEXT) | instid1(VALU_DEP_1)
	v_mul_f64 v[222:223], v[224:225], v[220:221]
	v_fma_f64 v[212:213], -v[212:213], v[222:223], v[224:225]
	s_delay_alu instid0(VALU_DEP_1) | instskip(NEXT) | instid1(VALU_DEP_1)
	v_div_fmas_f64 v[212:213], v[212:213], v[220:221], v[222:223]
	v_div_fixup_f64 v[220:221], v[212:213], v[216:217], v[218:219]
	s_delay_alu instid0(VALU_DEP_1) | instskip(NEXT) | instid1(VALU_DEP_1)
	v_fma_f64 v[212:213], v[218:219], v[220:221], v[216:217]
	v_div_scale_f64 v[216:217], null, v[212:213], v[212:213], 1.0
	s_delay_alu instid0(VALU_DEP_1) | instskip(SKIP_2) | instid1(VALU_DEP_1)
	v_rcp_f64_e32 v[218:219], v[216:217]
	s_waitcnt_depctr 0xfff
	v_fma_f64 v[222:223], -v[216:217], v[218:219], 1.0
	v_fma_f64 v[218:219], v[218:219], v[222:223], v[218:219]
	s_delay_alu instid0(VALU_DEP_1) | instskip(NEXT) | instid1(VALU_DEP_1)
	v_fma_f64 v[222:223], -v[216:217], v[218:219], 1.0
	v_fma_f64 v[218:219], v[218:219], v[222:223], v[218:219]
	v_div_scale_f64 v[222:223], vcc_lo, 1.0, v[212:213], 1.0
	s_delay_alu instid0(VALU_DEP_1) | instskip(NEXT) | instid1(VALU_DEP_1)
	v_mul_f64 v[224:225], v[222:223], v[218:219]
	v_fma_f64 v[216:217], -v[216:217], v[224:225], v[222:223]
	s_delay_alu instid0(VALU_DEP_1) | instskip(NEXT) | instid1(VALU_DEP_1)
	v_div_fmas_f64 v[216:217], v[216:217], v[218:219], v[224:225]
	v_div_fixup_f64 v[212:213], v[216:217], v[212:213], 1.0
	s_delay_alu instid0(VALU_DEP_1)
	v_mul_f64 v[222:223], v[220:221], -v[212:213]
.LBB115_187:
	s_or_b32 exec_lo, exec_lo, s3
	ds_store_2addr_b64 v209, v[212:213], v[222:223] offset1:1
.LBB115_188:
	s_or_b32 exec_lo, exec_lo, s4
	s_waitcnt lgkmcnt(0)
	s_barrier
	buffer_gl0_inv
	ds_load_2addr_b64 v[204:207], v209 offset1:1
	s_mov_b32 s3, exec_lo
	s_waitcnt lgkmcnt(0)
	scratch_store_b128 off, v[204:207], off offset:884 ; 16-byte Folded Spill
	v_cmpx_lt_u32_e32 20, v208
	s_cbranch_execz .LBB115_190
; %bb.189:
	scratch_load_b128 v[204:207], off, off offset:884 ; 16-byte Folded Reload
	ds_load_2addr_b64 v[218:221], v214 offset0:42 offset1:43
	s_waitcnt vmcnt(0)
	v_mul_f64 v[212:213], v[206:207], v[150:151]
	v_mul_f64 v[150:151], v[204:205], v[150:151]
	s_delay_alu instid0(VALU_DEP_2) | instskip(NEXT) | instid1(VALU_DEP_2)
	v_fma_f64 v[216:217], v[204:205], v[148:149], -v[212:213]
	v_fma_f64 v[150:151], v[206:207], v[148:149], v[150:151]
	s_waitcnt lgkmcnt(0)
	s_delay_alu instid0(VALU_DEP_1) | instskip(SKIP_1) | instid1(VALU_DEP_2)
	v_mul_f64 v[148:149], v[220:221], v[150:151]
	v_mul_f64 v[212:213], v[218:219], v[150:151]
	v_fma_f64 v[148:149], v[218:219], v[216:217], -v[148:149]
	s_delay_alu instid0(VALU_DEP_2)
	v_fma_f64 v[212:213], v[220:221], v[216:217], v[212:213]
	ds_load_2addr_b64 v[218:221], v214 offset0:44 offset1:45
	v_add_f64 v[144:145], v[144:145], -v[148:149]
	v_add_f64 v[146:147], v[146:147], -v[212:213]
	s_waitcnt lgkmcnt(0)
	v_mul_f64 v[148:149], v[220:221], v[150:151]
	v_mul_f64 v[212:213], v[218:219], v[150:151]
	s_delay_alu instid0(VALU_DEP_2) | instskip(NEXT) | instid1(VALU_DEP_2)
	v_fma_f64 v[148:149], v[218:219], v[216:217], -v[148:149]
	v_fma_f64 v[212:213], v[220:221], v[216:217], v[212:213]
	ds_load_2addr_b64 v[218:221], v214 offset0:46 offset1:47
	v_add_f64 v[140:141], v[140:141], -v[148:149]
	v_add_f64 v[142:143], v[142:143], -v[212:213]
	s_waitcnt lgkmcnt(0)
	v_mul_f64 v[148:149], v[220:221], v[150:151]
	v_mul_f64 v[212:213], v[218:219], v[150:151]
	s_delay_alu instid0(VALU_DEP_2) | instskip(NEXT) | instid1(VALU_DEP_2)
	v_fma_f64 v[148:149], v[218:219], v[216:217], -v[148:149]
	;; [unrolled: 9-line block ×36, first 2 shown]
	v_fma_f64 v[212:213], v[220:221], v[216:217], v[212:213]
	s_delay_alu instid0(VALU_DEP_2) | instskip(NEXT) | instid1(VALU_DEP_2)
	v_add_f64 v[0:1], v[0:1], -v[148:149]
	v_add_f64 v[2:3], v[2:3], -v[212:213]
	v_dual_mov_b32 v148, v216 :: v_dual_mov_b32 v149, v217
.LBB115_190:
	s_or_b32 exec_lo, exec_lo, s3
	s_delay_alu instid0(SALU_CYCLE_1)
	s_mov_b32 s4, exec_lo
	s_waitcnt_vscnt null, 0x0
	s_barrier
	buffer_gl0_inv
	v_cmpx_eq_u32_e32 21, v208
	s_cbranch_execz .LBB115_197
; %bb.191:
	ds_store_2addr_b64 v209, v[144:145], v[146:147] offset1:1
	ds_store_2addr_b64 v214, v[140:141], v[142:143] offset0:44 offset1:45
	ds_store_2addr_b64 v214, v[136:137], v[138:139] offset0:46 offset1:47
	;; [unrolled: 1-line block ×36, first 2 shown]
	ds_load_2addr_b64 v[216:219], v209 offset1:1
	s_waitcnt lgkmcnt(0)
	v_cmp_neq_f64_e32 vcc_lo, 0, v[216:217]
	v_cmp_neq_f64_e64 s3, 0, v[218:219]
	s_delay_alu instid0(VALU_DEP_1) | instskip(NEXT) | instid1(SALU_CYCLE_1)
	s_or_b32 s3, vcc_lo, s3
	s_and_b32 exec_lo, exec_lo, s3
	s_cbranch_execz .LBB115_197
; %bb.192:
	v_cmp_gt_f64_e32 vcc_lo, 0, v[216:217]
	v_xor_b32_e32 v212, 0x80000000, v217
	v_xor_b32_e32 v215, 0x80000000, v219
	s_delay_alu instid0(VALU_DEP_2) | instskip(SKIP_2) | instid1(VALU_DEP_4)
	v_cndmask_b32_e32 v213, v217, v212, vcc_lo
	v_cndmask_b32_e32 v212, v216, v216, vcc_lo
	v_cmp_gt_f64_e32 vcc_lo, 0, v[218:219]
	v_dual_cndmask_b32 v221, v219, v215 :: v_dual_cndmask_b32 v220, v218, v218
	s_delay_alu instid0(VALU_DEP_1) | instskip(SKIP_1) | instid1(SALU_CYCLE_1)
	v_cmp_ngt_f64_e32 vcc_lo, v[212:213], v[220:221]
                                        ; implicit-def: $vgpr212_vgpr213
	s_and_saveexec_b32 s3, vcc_lo
	s_xor_b32 s3, exec_lo, s3
                                        ; implicit-def: $vgpr220_vgpr221_vgpr222_vgpr223
	s_cbranch_execz .LBB115_194
; %bb.193:
	v_div_scale_f64 v[212:213], null, v[218:219], v[218:219], v[216:217]
	v_div_scale_f64 v[224:225], vcc_lo, v[216:217], v[218:219], v[216:217]
	s_delay_alu instid0(VALU_DEP_2) | instskip(SKIP_2) | instid1(VALU_DEP_1)
	v_rcp_f64_e32 v[220:221], v[212:213]
	s_waitcnt_depctr 0xfff
	v_fma_f64 v[222:223], -v[212:213], v[220:221], 1.0
	v_fma_f64 v[220:221], v[220:221], v[222:223], v[220:221]
	s_delay_alu instid0(VALU_DEP_1) | instskip(NEXT) | instid1(VALU_DEP_1)
	v_fma_f64 v[222:223], -v[212:213], v[220:221], 1.0
	v_fma_f64 v[220:221], v[220:221], v[222:223], v[220:221]
	s_delay_alu instid0(VALU_DEP_1) | instskip(NEXT) | instid1(VALU_DEP_1)
	v_mul_f64 v[222:223], v[224:225], v[220:221]
	v_fma_f64 v[212:213], -v[212:213], v[222:223], v[224:225]
	s_delay_alu instid0(VALU_DEP_1) | instskip(NEXT) | instid1(VALU_DEP_1)
	v_div_fmas_f64 v[212:213], v[212:213], v[220:221], v[222:223]
	v_div_fixup_f64 v[212:213], v[212:213], v[218:219], v[216:217]
	s_delay_alu instid0(VALU_DEP_1) | instskip(NEXT) | instid1(VALU_DEP_1)
	v_fma_f64 v[216:217], v[216:217], v[212:213], v[218:219]
	v_div_scale_f64 v[218:219], null, v[216:217], v[216:217], 1.0
	s_delay_alu instid0(VALU_DEP_1) | instskip(SKIP_2) | instid1(VALU_DEP_1)
	v_rcp_f64_e32 v[220:221], v[218:219]
	s_waitcnt_depctr 0xfff
	v_fma_f64 v[222:223], -v[218:219], v[220:221], 1.0
	v_fma_f64 v[220:221], v[220:221], v[222:223], v[220:221]
	s_delay_alu instid0(VALU_DEP_1) | instskip(NEXT) | instid1(VALU_DEP_1)
	v_fma_f64 v[222:223], -v[218:219], v[220:221], 1.0
	v_fma_f64 v[220:221], v[220:221], v[222:223], v[220:221]
	v_div_scale_f64 v[222:223], vcc_lo, 1.0, v[216:217], 1.0
	s_delay_alu instid0(VALU_DEP_1) | instskip(NEXT) | instid1(VALU_DEP_1)
	v_mul_f64 v[224:225], v[222:223], v[220:221]
	v_fma_f64 v[218:219], -v[218:219], v[224:225], v[222:223]
	s_delay_alu instid0(VALU_DEP_1) | instskip(NEXT) | instid1(VALU_DEP_1)
	v_div_fmas_f64 v[218:219], v[218:219], v[220:221], v[224:225]
	v_div_fixup_f64 v[222:223], v[218:219], v[216:217], 1.0
                                        ; implicit-def: $vgpr216_vgpr217
	s_delay_alu instid0(VALU_DEP_1)
	v_mul_f64 v[212:213], v[212:213], v[222:223]
	v_xor_b32_e32 v223, 0x80000000, v223
.LBB115_194:
	s_and_not1_saveexec_b32 s3, s3
	s_cbranch_execz .LBB115_196
; %bb.195:
	v_div_scale_f64 v[212:213], null, v[216:217], v[216:217], v[218:219]
	v_div_scale_f64 v[224:225], vcc_lo, v[218:219], v[216:217], v[218:219]
	s_delay_alu instid0(VALU_DEP_2) | instskip(SKIP_2) | instid1(VALU_DEP_1)
	v_rcp_f64_e32 v[220:221], v[212:213]
	s_waitcnt_depctr 0xfff
	v_fma_f64 v[222:223], -v[212:213], v[220:221], 1.0
	v_fma_f64 v[220:221], v[220:221], v[222:223], v[220:221]
	s_delay_alu instid0(VALU_DEP_1) | instskip(NEXT) | instid1(VALU_DEP_1)
	v_fma_f64 v[222:223], -v[212:213], v[220:221], 1.0
	v_fma_f64 v[220:221], v[220:221], v[222:223], v[220:221]
	s_delay_alu instid0(VALU_DEP_1) | instskip(NEXT) | instid1(VALU_DEP_1)
	v_mul_f64 v[222:223], v[224:225], v[220:221]
	v_fma_f64 v[212:213], -v[212:213], v[222:223], v[224:225]
	s_delay_alu instid0(VALU_DEP_1) | instskip(NEXT) | instid1(VALU_DEP_1)
	v_div_fmas_f64 v[212:213], v[212:213], v[220:221], v[222:223]
	v_div_fixup_f64 v[220:221], v[212:213], v[216:217], v[218:219]
	s_delay_alu instid0(VALU_DEP_1) | instskip(NEXT) | instid1(VALU_DEP_1)
	v_fma_f64 v[212:213], v[218:219], v[220:221], v[216:217]
	v_div_scale_f64 v[216:217], null, v[212:213], v[212:213], 1.0
	s_delay_alu instid0(VALU_DEP_1) | instskip(SKIP_2) | instid1(VALU_DEP_1)
	v_rcp_f64_e32 v[218:219], v[216:217]
	s_waitcnt_depctr 0xfff
	v_fma_f64 v[222:223], -v[216:217], v[218:219], 1.0
	v_fma_f64 v[218:219], v[218:219], v[222:223], v[218:219]
	s_delay_alu instid0(VALU_DEP_1) | instskip(NEXT) | instid1(VALU_DEP_1)
	v_fma_f64 v[222:223], -v[216:217], v[218:219], 1.0
	v_fma_f64 v[218:219], v[218:219], v[222:223], v[218:219]
	v_div_scale_f64 v[222:223], vcc_lo, 1.0, v[212:213], 1.0
	s_delay_alu instid0(VALU_DEP_1) | instskip(NEXT) | instid1(VALU_DEP_1)
	v_mul_f64 v[224:225], v[222:223], v[218:219]
	v_fma_f64 v[216:217], -v[216:217], v[224:225], v[222:223]
	s_delay_alu instid0(VALU_DEP_1) | instskip(NEXT) | instid1(VALU_DEP_1)
	v_div_fmas_f64 v[216:217], v[216:217], v[218:219], v[224:225]
	v_div_fixup_f64 v[212:213], v[216:217], v[212:213], 1.0
	s_delay_alu instid0(VALU_DEP_1)
	v_mul_f64 v[222:223], v[220:221], -v[212:213]
.LBB115_196:
	s_or_b32 exec_lo, exec_lo, s3
	ds_store_2addr_b64 v209, v[212:213], v[222:223] offset1:1
.LBB115_197:
	s_or_b32 exec_lo, exec_lo, s4
	s_waitcnt lgkmcnt(0)
	s_barrier
	buffer_gl0_inv
	ds_load_2addr_b64 v[204:207], v209 offset1:1
	s_mov_b32 s3, exec_lo
	s_waitcnt lgkmcnt(0)
	scratch_store_b128 off, v[204:207], off offset:900 ; 16-byte Folded Spill
	v_cmpx_lt_u32_e32 21, v208
	s_cbranch_execz .LBB115_199
; %bb.198:
	scratch_load_b128 v[204:207], off, off offset:900 ; 16-byte Folded Reload
	ds_load_2addr_b64 v[218:221], v214 offset0:44 offset1:45
	s_waitcnt vmcnt(0)
	v_mul_f64 v[212:213], v[206:207], v[146:147]
	v_mul_f64 v[146:147], v[204:205], v[146:147]
	s_delay_alu instid0(VALU_DEP_2) | instskip(NEXT) | instid1(VALU_DEP_2)
	v_fma_f64 v[216:217], v[204:205], v[144:145], -v[212:213]
	v_fma_f64 v[146:147], v[206:207], v[144:145], v[146:147]
	s_waitcnt lgkmcnt(0)
	s_delay_alu instid0(VALU_DEP_1) | instskip(SKIP_1) | instid1(VALU_DEP_2)
	v_mul_f64 v[144:145], v[220:221], v[146:147]
	v_mul_f64 v[212:213], v[218:219], v[146:147]
	v_fma_f64 v[144:145], v[218:219], v[216:217], -v[144:145]
	s_delay_alu instid0(VALU_DEP_2)
	v_fma_f64 v[212:213], v[220:221], v[216:217], v[212:213]
	ds_load_2addr_b64 v[218:221], v214 offset0:46 offset1:47
	v_add_f64 v[140:141], v[140:141], -v[144:145]
	v_add_f64 v[142:143], v[142:143], -v[212:213]
	s_waitcnt lgkmcnt(0)
	v_mul_f64 v[144:145], v[220:221], v[146:147]
	v_mul_f64 v[212:213], v[218:219], v[146:147]
	s_delay_alu instid0(VALU_DEP_2) | instskip(NEXT) | instid1(VALU_DEP_2)
	v_fma_f64 v[144:145], v[218:219], v[216:217], -v[144:145]
	v_fma_f64 v[212:213], v[220:221], v[216:217], v[212:213]
	ds_load_2addr_b64 v[218:221], v214 offset0:48 offset1:49
	v_add_f64 v[136:137], v[136:137], -v[144:145]
	v_add_f64 v[138:139], v[138:139], -v[212:213]
	s_waitcnt lgkmcnt(0)
	v_mul_f64 v[144:145], v[220:221], v[146:147]
	v_mul_f64 v[212:213], v[218:219], v[146:147]
	s_delay_alu instid0(VALU_DEP_2) | instskip(NEXT) | instid1(VALU_DEP_2)
	v_fma_f64 v[144:145], v[218:219], v[216:217], -v[144:145]
	;; [unrolled: 9-line block ×35, first 2 shown]
	v_fma_f64 v[212:213], v[220:221], v[216:217], v[212:213]
	s_delay_alu instid0(VALU_DEP_2) | instskip(NEXT) | instid1(VALU_DEP_2)
	v_add_f64 v[0:1], v[0:1], -v[144:145]
	v_add_f64 v[2:3], v[2:3], -v[212:213]
	v_dual_mov_b32 v144, v216 :: v_dual_mov_b32 v145, v217
.LBB115_199:
	s_or_b32 exec_lo, exec_lo, s3
	s_delay_alu instid0(SALU_CYCLE_1)
	s_mov_b32 s4, exec_lo
	s_waitcnt_vscnt null, 0x0
	s_barrier
	buffer_gl0_inv
	v_cmpx_eq_u32_e32 22, v208
	s_cbranch_execz .LBB115_206
; %bb.200:
	ds_store_2addr_b64 v209, v[140:141], v[142:143] offset1:1
	ds_store_2addr_b64 v214, v[136:137], v[138:139] offset0:46 offset1:47
	ds_store_2addr_b64 v214, v[132:133], v[134:135] offset0:48 offset1:49
	;; [unrolled: 1-line block ×35, first 2 shown]
	ds_load_2addr_b64 v[216:219], v209 offset1:1
	s_waitcnt lgkmcnt(0)
	v_cmp_neq_f64_e32 vcc_lo, 0, v[216:217]
	v_cmp_neq_f64_e64 s3, 0, v[218:219]
	s_delay_alu instid0(VALU_DEP_1) | instskip(NEXT) | instid1(SALU_CYCLE_1)
	s_or_b32 s3, vcc_lo, s3
	s_and_b32 exec_lo, exec_lo, s3
	s_cbranch_execz .LBB115_206
; %bb.201:
	v_cmp_gt_f64_e32 vcc_lo, 0, v[216:217]
	v_xor_b32_e32 v212, 0x80000000, v217
	v_xor_b32_e32 v215, 0x80000000, v219
	s_delay_alu instid0(VALU_DEP_2) | instskip(SKIP_2) | instid1(VALU_DEP_4)
	v_cndmask_b32_e32 v213, v217, v212, vcc_lo
	v_cndmask_b32_e32 v212, v216, v216, vcc_lo
	v_cmp_gt_f64_e32 vcc_lo, 0, v[218:219]
	v_dual_cndmask_b32 v221, v219, v215 :: v_dual_cndmask_b32 v220, v218, v218
	s_delay_alu instid0(VALU_DEP_1) | instskip(SKIP_1) | instid1(SALU_CYCLE_1)
	v_cmp_ngt_f64_e32 vcc_lo, v[212:213], v[220:221]
                                        ; implicit-def: $vgpr212_vgpr213
	s_and_saveexec_b32 s3, vcc_lo
	s_xor_b32 s3, exec_lo, s3
                                        ; implicit-def: $vgpr220_vgpr221_vgpr222_vgpr223
	s_cbranch_execz .LBB115_203
; %bb.202:
	v_div_scale_f64 v[212:213], null, v[218:219], v[218:219], v[216:217]
	v_div_scale_f64 v[224:225], vcc_lo, v[216:217], v[218:219], v[216:217]
	s_delay_alu instid0(VALU_DEP_2) | instskip(SKIP_2) | instid1(VALU_DEP_1)
	v_rcp_f64_e32 v[220:221], v[212:213]
	s_waitcnt_depctr 0xfff
	v_fma_f64 v[222:223], -v[212:213], v[220:221], 1.0
	v_fma_f64 v[220:221], v[220:221], v[222:223], v[220:221]
	s_delay_alu instid0(VALU_DEP_1) | instskip(NEXT) | instid1(VALU_DEP_1)
	v_fma_f64 v[222:223], -v[212:213], v[220:221], 1.0
	v_fma_f64 v[220:221], v[220:221], v[222:223], v[220:221]
	s_delay_alu instid0(VALU_DEP_1) | instskip(NEXT) | instid1(VALU_DEP_1)
	v_mul_f64 v[222:223], v[224:225], v[220:221]
	v_fma_f64 v[212:213], -v[212:213], v[222:223], v[224:225]
	s_delay_alu instid0(VALU_DEP_1) | instskip(NEXT) | instid1(VALU_DEP_1)
	v_div_fmas_f64 v[212:213], v[212:213], v[220:221], v[222:223]
	v_div_fixup_f64 v[212:213], v[212:213], v[218:219], v[216:217]
	s_delay_alu instid0(VALU_DEP_1) | instskip(NEXT) | instid1(VALU_DEP_1)
	v_fma_f64 v[216:217], v[216:217], v[212:213], v[218:219]
	v_div_scale_f64 v[218:219], null, v[216:217], v[216:217], 1.0
	s_delay_alu instid0(VALU_DEP_1) | instskip(SKIP_2) | instid1(VALU_DEP_1)
	v_rcp_f64_e32 v[220:221], v[218:219]
	s_waitcnt_depctr 0xfff
	v_fma_f64 v[222:223], -v[218:219], v[220:221], 1.0
	v_fma_f64 v[220:221], v[220:221], v[222:223], v[220:221]
	s_delay_alu instid0(VALU_DEP_1) | instskip(NEXT) | instid1(VALU_DEP_1)
	v_fma_f64 v[222:223], -v[218:219], v[220:221], 1.0
	v_fma_f64 v[220:221], v[220:221], v[222:223], v[220:221]
	v_div_scale_f64 v[222:223], vcc_lo, 1.0, v[216:217], 1.0
	s_delay_alu instid0(VALU_DEP_1) | instskip(NEXT) | instid1(VALU_DEP_1)
	v_mul_f64 v[224:225], v[222:223], v[220:221]
	v_fma_f64 v[218:219], -v[218:219], v[224:225], v[222:223]
	s_delay_alu instid0(VALU_DEP_1) | instskip(NEXT) | instid1(VALU_DEP_1)
	v_div_fmas_f64 v[218:219], v[218:219], v[220:221], v[224:225]
	v_div_fixup_f64 v[222:223], v[218:219], v[216:217], 1.0
                                        ; implicit-def: $vgpr216_vgpr217
	s_delay_alu instid0(VALU_DEP_1)
	v_mul_f64 v[212:213], v[212:213], v[222:223]
	v_xor_b32_e32 v223, 0x80000000, v223
.LBB115_203:
	s_and_not1_saveexec_b32 s3, s3
	s_cbranch_execz .LBB115_205
; %bb.204:
	v_div_scale_f64 v[212:213], null, v[216:217], v[216:217], v[218:219]
	v_div_scale_f64 v[224:225], vcc_lo, v[218:219], v[216:217], v[218:219]
	s_delay_alu instid0(VALU_DEP_2) | instskip(SKIP_2) | instid1(VALU_DEP_1)
	v_rcp_f64_e32 v[220:221], v[212:213]
	s_waitcnt_depctr 0xfff
	v_fma_f64 v[222:223], -v[212:213], v[220:221], 1.0
	v_fma_f64 v[220:221], v[220:221], v[222:223], v[220:221]
	s_delay_alu instid0(VALU_DEP_1) | instskip(NEXT) | instid1(VALU_DEP_1)
	v_fma_f64 v[222:223], -v[212:213], v[220:221], 1.0
	v_fma_f64 v[220:221], v[220:221], v[222:223], v[220:221]
	s_delay_alu instid0(VALU_DEP_1) | instskip(NEXT) | instid1(VALU_DEP_1)
	v_mul_f64 v[222:223], v[224:225], v[220:221]
	v_fma_f64 v[212:213], -v[212:213], v[222:223], v[224:225]
	s_delay_alu instid0(VALU_DEP_1) | instskip(NEXT) | instid1(VALU_DEP_1)
	v_div_fmas_f64 v[212:213], v[212:213], v[220:221], v[222:223]
	v_div_fixup_f64 v[220:221], v[212:213], v[216:217], v[218:219]
	s_delay_alu instid0(VALU_DEP_1) | instskip(NEXT) | instid1(VALU_DEP_1)
	v_fma_f64 v[212:213], v[218:219], v[220:221], v[216:217]
	v_div_scale_f64 v[216:217], null, v[212:213], v[212:213], 1.0
	s_delay_alu instid0(VALU_DEP_1) | instskip(SKIP_2) | instid1(VALU_DEP_1)
	v_rcp_f64_e32 v[218:219], v[216:217]
	s_waitcnt_depctr 0xfff
	v_fma_f64 v[222:223], -v[216:217], v[218:219], 1.0
	v_fma_f64 v[218:219], v[218:219], v[222:223], v[218:219]
	s_delay_alu instid0(VALU_DEP_1) | instskip(NEXT) | instid1(VALU_DEP_1)
	v_fma_f64 v[222:223], -v[216:217], v[218:219], 1.0
	v_fma_f64 v[218:219], v[218:219], v[222:223], v[218:219]
	v_div_scale_f64 v[222:223], vcc_lo, 1.0, v[212:213], 1.0
	s_delay_alu instid0(VALU_DEP_1) | instskip(NEXT) | instid1(VALU_DEP_1)
	v_mul_f64 v[224:225], v[222:223], v[218:219]
	v_fma_f64 v[216:217], -v[216:217], v[224:225], v[222:223]
	s_delay_alu instid0(VALU_DEP_1) | instskip(NEXT) | instid1(VALU_DEP_1)
	v_div_fmas_f64 v[216:217], v[216:217], v[218:219], v[224:225]
	v_div_fixup_f64 v[212:213], v[216:217], v[212:213], 1.0
	s_delay_alu instid0(VALU_DEP_1)
	v_mul_f64 v[222:223], v[220:221], -v[212:213]
.LBB115_205:
	s_or_b32 exec_lo, exec_lo, s3
	ds_store_2addr_b64 v209, v[212:213], v[222:223] offset1:1
.LBB115_206:
	s_or_b32 exec_lo, exec_lo, s4
	s_waitcnt lgkmcnt(0)
	s_barrier
	buffer_gl0_inv
	ds_load_2addr_b64 v[204:207], v209 offset1:1
	s_mov_b32 s3, exec_lo
	s_waitcnt lgkmcnt(0)
	scratch_store_b128 off, v[204:207], off offset:916 ; 16-byte Folded Spill
	v_cmpx_lt_u32_e32 22, v208
	s_cbranch_execz .LBB115_208
; %bb.207:
	scratch_load_b128 v[204:207], off, off offset:916 ; 16-byte Folded Reload
	ds_load_2addr_b64 v[218:221], v214 offset0:46 offset1:47
	s_waitcnt vmcnt(0)
	v_mul_f64 v[212:213], v[206:207], v[142:143]
	v_mul_f64 v[142:143], v[204:205], v[142:143]
	s_delay_alu instid0(VALU_DEP_2) | instskip(NEXT) | instid1(VALU_DEP_2)
	v_fma_f64 v[216:217], v[204:205], v[140:141], -v[212:213]
	v_fma_f64 v[142:143], v[206:207], v[140:141], v[142:143]
	s_waitcnt lgkmcnt(0)
	s_delay_alu instid0(VALU_DEP_1) | instskip(SKIP_1) | instid1(VALU_DEP_2)
	v_mul_f64 v[140:141], v[220:221], v[142:143]
	v_mul_f64 v[212:213], v[218:219], v[142:143]
	v_fma_f64 v[140:141], v[218:219], v[216:217], -v[140:141]
	s_delay_alu instid0(VALU_DEP_2)
	v_fma_f64 v[212:213], v[220:221], v[216:217], v[212:213]
	ds_load_2addr_b64 v[218:221], v214 offset0:48 offset1:49
	v_add_f64 v[136:137], v[136:137], -v[140:141]
	v_add_f64 v[138:139], v[138:139], -v[212:213]
	s_waitcnt lgkmcnt(0)
	v_mul_f64 v[140:141], v[220:221], v[142:143]
	v_mul_f64 v[212:213], v[218:219], v[142:143]
	s_delay_alu instid0(VALU_DEP_2) | instskip(NEXT) | instid1(VALU_DEP_2)
	v_fma_f64 v[140:141], v[218:219], v[216:217], -v[140:141]
	v_fma_f64 v[212:213], v[220:221], v[216:217], v[212:213]
	ds_load_2addr_b64 v[218:221], v214 offset0:50 offset1:51
	v_add_f64 v[132:133], v[132:133], -v[140:141]
	v_add_f64 v[134:135], v[134:135], -v[212:213]
	s_waitcnt lgkmcnt(0)
	v_mul_f64 v[140:141], v[220:221], v[142:143]
	v_mul_f64 v[212:213], v[218:219], v[142:143]
	s_delay_alu instid0(VALU_DEP_2) | instskip(NEXT) | instid1(VALU_DEP_2)
	v_fma_f64 v[140:141], v[218:219], v[216:217], -v[140:141]
	v_fma_f64 v[212:213], v[220:221], v[216:217], v[212:213]
	ds_load_2addr_b64 v[218:221], v214 offset0:52 offset1:53
	v_add_f64 v[128:129], v[128:129], -v[140:141]
	v_add_f64 v[130:131], v[130:131], -v[212:213]
	s_waitcnt lgkmcnt(0)
	v_mul_f64 v[140:141], v[220:221], v[142:143]
	v_mul_f64 v[212:213], v[218:219], v[142:143]
	s_delay_alu instid0(VALU_DEP_2) | instskip(NEXT) | instid1(VALU_DEP_2)
	v_fma_f64 v[140:141], v[218:219], v[216:217], -v[140:141]
	v_fma_f64 v[212:213], v[220:221], v[216:217], v[212:213]
	ds_load_2addr_b64 v[218:221], v214 offset0:54 offset1:55
	v_add_f64 v[124:125], v[124:125], -v[140:141]
	v_add_f64 v[126:127], v[126:127], -v[212:213]
	s_waitcnt lgkmcnt(0)
	v_mul_f64 v[140:141], v[220:221], v[142:143]
	v_mul_f64 v[212:213], v[218:219], v[142:143]
	s_delay_alu instid0(VALU_DEP_2) | instskip(NEXT) | instid1(VALU_DEP_2)
	v_fma_f64 v[140:141], v[218:219], v[216:217], -v[140:141]
	v_fma_f64 v[212:213], v[220:221], v[216:217], v[212:213]
	ds_load_2addr_b64 v[218:221], v214 offset0:56 offset1:57
	v_add_f64 v[120:121], v[120:121], -v[140:141]
	v_add_f64 v[122:123], v[122:123], -v[212:213]
	s_waitcnt lgkmcnt(0)
	v_mul_f64 v[140:141], v[220:221], v[142:143]
	v_mul_f64 v[212:213], v[218:219], v[142:143]
	s_delay_alu instid0(VALU_DEP_2) | instskip(NEXT) | instid1(VALU_DEP_2)
	v_fma_f64 v[140:141], v[218:219], v[216:217], -v[140:141]
	v_fma_f64 v[212:213], v[220:221], v[216:217], v[212:213]
	ds_load_2addr_b64 v[218:221], v214 offset0:58 offset1:59
	v_add_f64 v[116:117], v[116:117], -v[140:141]
	v_add_f64 v[118:119], v[118:119], -v[212:213]
	s_waitcnt lgkmcnt(0)
	v_mul_f64 v[140:141], v[220:221], v[142:143]
	v_mul_f64 v[212:213], v[218:219], v[142:143]
	s_delay_alu instid0(VALU_DEP_2) | instskip(NEXT) | instid1(VALU_DEP_2)
	v_fma_f64 v[140:141], v[218:219], v[216:217], -v[140:141]
	v_fma_f64 v[212:213], v[220:221], v[216:217], v[212:213]
	ds_load_2addr_b64 v[218:221], v214 offset0:60 offset1:61
	v_add_f64 v[112:113], v[112:113], -v[140:141]
	v_add_f64 v[114:115], v[114:115], -v[212:213]
	s_waitcnt lgkmcnt(0)
	v_mul_f64 v[140:141], v[220:221], v[142:143]
	v_mul_f64 v[212:213], v[218:219], v[142:143]
	s_delay_alu instid0(VALU_DEP_2) | instskip(NEXT) | instid1(VALU_DEP_2)
	v_fma_f64 v[140:141], v[218:219], v[216:217], -v[140:141]
	v_fma_f64 v[212:213], v[220:221], v[216:217], v[212:213]
	ds_load_2addr_b64 v[218:221], v214 offset0:62 offset1:63
	v_add_f64 v[108:109], v[108:109], -v[140:141]
	v_add_f64 v[110:111], v[110:111], -v[212:213]
	s_waitcnt lgkmcnt(0)
	v_mul_f64 v[140:141], v[220:221], v[142:143]
	v_mul_f64 v[212:213], v[218:219], v[142:143]
	s_delay_alu instid0(VALU_DEP_2) | instskip(NEXT) | instid1(VALU_DEP_2)
	v_fma_f64 v[140:141], v[218:219], v[216:217], -v[140:141]
	v_fma_f64 v[212:213], v[220:221], v[216:217], v[212:213]
	ds_load_2addr_b64 v[218:221], v214 offset0:64 offset1:65
	v_add_f64 v[104:105], v[104:105], -v[140:141]
	v_add_f64 v[106:107], v[106:107], -v[212:213]
	s_waitcnt lgkmcnt(0)
	v_mul_f64 v[140:141], v[220:221], v[142:143]
	v_mul_f64 v[212:213], v[218:219], v[142:143]
	s_delay_alu instid0(VALU_DEP_2) | instskip(NEXT) | instid1(VALU_DEP_2)
	v_fma_f64 v[140:141], v[218:219], v[216:217], -v[140:141]
	v_fma_f64 v[212:213], v[220:221], v[216:217], v[212:213]
	ds_load_2addr_b64 v[218:221], v214 offset0:66 offset1:67
	v_add_f64 v[100:101], v[100:101], -v[140:141]
	v_add_f64 v[102:103], v[102:103], -v[212:213]
	s_waitcnt lgkmcnt(0)
	v_mul_f64 v[140:141], v[220:221], v[142:143]
	v_mul_f64 v[212:213], v[218:219], v[142:143]
	s_delay_alu instid0(VALU_DEP_2) | instskip(NEXT) | instid1(VALU_DEP_2)
	v_fma_f64 v[140:141], v[218:219], v[216:217], -v[140:141]
	v_fma_f64 v[212:213], v[220:221], v[216:217], v[212:213]
	ds_load_2addr_b64 v[218:221], v214 offset0:68 offset1:69
	v_add_f64 v[96:97], v[96:97], -v[140:141]
	v_add_f64 v[98:99], v[98:99], -v[212:213]
	s_waitcnt lgkmcnt(0)
	v_mul_f64 v[140:141], v[220:221], v[142:143]
	v_mul_f64 v[212:213], v[218:219], v[142:143]
	s_delay_alu instid0(VALU_DEP_2) | instskip(NEXT) | instid1(VALU_DEP_2)
	v_fma_f64 v[140:141], v[218:219], v[216:217], -v[140:141]
	v_fma_f64 v[212:213], v[220:221], v[216:217], v[212:213]
	ds_load_2addr_b64 v[218:221], v214 offset0:70 offset1:71
	v_add_f64 v[92:93], v[92:93], -v[140:141]
	v_add_f64 v[94:95], v[94:95], -v[212:213]
	s_waitcnt lgkmcnt(0)
	v_mul_f64 v[140:141], v[220:221], v[142:143]
	v_mul_f64 v[212:213], v[218:219], v[142:143]
	s_delay_alu instid0(VALU_DEP_2) | instskip(NEXT) | instid1(VALU_DEP_2)
	v_fma_f64 v[140:141], v[218:219], v[216:217], -v[140:141]
	v_fma_f64 v[212:213], v[220:221], v[216:217], v[212:213]
	ds_load_2addr_b64 v[218:221], v214 offset0:72 offset1:73
	v_add_f64 v[88:89], v[88:89], -v[140:141]
	v_add_f64 v[90:91], v[90:91], -v[212:213]
	s_waitcnt lgkmcnt(0)
	v_mul_f64 v[140:141], v[220:221], v[142:143]
	v_mul_f64 v[212:213], v[218:219], v[142:143]
	s_delay_alu instid0(VALU_DEP_2) | instskip(NEXT) | instid1(VALU_DEP_2)
	v_fma_f64 v[140:141], v[218:219], v[216:217], -v[140:141]
	v_fma_f64 v[212:213], v[220:221], v[216:217], v[212:213]
	ds_load_2addr_b64 v[218:221], v214 offset0:74 offset1:75
	v_add_f64 v[84:85], v[84:85], -v[140:141]
	v_add_f64 v[86:87], v[86:87], -v[212:213]
	s_waitcnt lgkmcnt(0)
	v_mul_f64 v[140:141], v[220:221], v[142:143]
	v_mul_f64 v[212:213], v[218:219], v[142:143]
	s_delay_alu instid0(VALU_DEP_2) | instskip(NEXT) | instid1(VALU_DEP_2)
	v_fma_f64 v[140:141], v[218:219], v[216:217], -v[140:141]
	v_fma_f64 v[212:213], v[220:221], v[216:217], v[212:213]
	ds_load_2addr_b64 v[218:221], v214 offset0:76 offset1:77
	v_add_f64 v[80:81], v[80:81], -v[140:141]
	v_add_f64 v[82:83], v[82:83], -v[212:213]
	s_waitcnt lgkmcnt(0)
	v_mul_f64 v[140:141], v[220:221], v[142:143]
	v_mul_f64 v[212:213], v[218:219], v[142:143]
	s_delay_alu instid0(VALU_DEP_2) | instskip(NEXT) | instid1(VALU_DEP_2)
	v_fma_f64 v[140:141], v[218:219], v[216:217], -v[140:141]
	v_fma_f64 v[212:213], v[220:221], v[216:217], v[212:213]
	ds_load_2addr_b64 v[218:221], v214 offset0:78 offset1:79
	v_add_f64 v[76:77], v[76:77], -v[140:141]
	v_add_f64 v[78:79], v[78:79], -v[212:213]
	s_waitcnt lgkmcnt(0)
	v_mul_f64 v[140:141], v[220:221], v[142:143]
	v_mul_f64 v[212:213], v[218:219], v[142:143]
	s_delay_alu instid0(VALU_DEP_2) | instskip(NEXT) | instid1(VALU_DEP_2)
	v_fma_f64 v[140:141], v[218:219], v[216:217], -v[140:141]
	v_fma_f64 v[212:213], v[220:221], v[216:217], v[212:213]
	ds_load_2addr_b64 v[218:221], v214 offset0:80 offset1:81
	v_add_f64 v[72:73], v[72:73], -v[140:141]
	v_add_f64 v[74:75], v[74:75], -v[212:213]
	s_waitcnt lgkmcnt(0)
	v_mul_f64 v[140:141], v[220:221], v[142:143]
	v_mul_f64 v[212:213], v[218:219], v[142:143]
	s_delay_alu instid0(VALU_DEP_2) | instskip(NEXT) | instid1(VALU_DEP_2)
	v_fma_f64 v[140:141], v[218:219], v[216:217], -v[140:141]
	v_fma_f64 v[212:213], v[220:221], v[216:217], v[212:213]
	ds_load_2addr_b64 v[218:221], v214 offset0:82 offset1:83
	v_add_f64 v[68:69], v[68:69], -v[140:141]
	v_add_f64 v[70:71], v[70:71], -v[212:213]
	s_waitcnt lgkmcnt(0)
	v_mul_f64 v[140:141], v[220:221], v[142:143]
	v_mul_f64 v[212:213], v[218:219], v[142:143]
	s_delay_alu instid0(VALU_DEP_2) | instskip(NEXT) | instid1(VALU_DEP_2)
	v_fma_f64 v[140:141], v[218:219], v[216:217], -v[140:141]
	v_fma_f64 v[212:213], v[220:221], v[216:217], v[212:213]
	ds_load_2addr_b64 v[218:221], v214 offset0:84 offset1:85
	v_add_f64 v[64:65], v[64:65], -v[140:141]
	v_add_f64 v[66:67], v[66:67], -v[212:213]
	s_waitcnt lgkmcnt(0)
	v_mul_f64 v[140:141], v[220:221], v[142:143]
	v_mul_f64 v[212:213], v[218:219], v[142:143]
	s_delay_alu instid0(VALU_DEP_2) | instskip(NEXT) | instid1(VALU_DEP_2)
	v_fma_f64 v[140:141], v[218:219], v[216:217], -v[140:141]
	v_fma_f64 v[212:213], v[220:221], v[216:217], v[212:213]
	ds_load_2addr_b64 v[218:221], v214 offset0:86 offset1:87
	v_add_f64 v[60:61], v[60:61], -v[140:141]
	v_add_f64 v[62:63], v[62:63], -v[212:213]
	s_waitcnt lgkmcnt(0)
	v_mul_f64 v[140:141], v[220:221], v[142:143]
	v_mul_f64 v[212:213], v[218:219], v[142:143]
	s_delay_alu instid0(VALU_DEP_2) | instskip(NEXT) | instid1(VALU_DEP_2)
	v_fma_f64 v[140:141], v[218:219], v[216:217], -v[140:141]
	v_fma_f64 v[212:213], v[220:221], v[216:217], v[212:213]
	ds_load_2addr_b64 v[218:221], v214 offset0:88 offset1:89
	v_add_f64 v[56:57], v[56:57], -v[140:141]
	v_add_f64 v[58:59], v[58:59], -v[212:213]
	s_waitcnt lgkmcnt(0)
	v_mul_f64 v[140:141], v[220:221], v[142:143]
	v_mul_f64 v[212:213], v[218:219], v[142:143]
	s_delay_alu instid0(VALU_DEP_2) | instskip(NEXT) | instid1(VALU_DEP_2)
	v_fma_f64 v[140:141], v[218:219], v[216:217], -v[140:141]
	v_fma_f64 v[212:213], v[220:221], v[216:217], v[212:213]
	ds_load_2addr_b64 v[218:221], v214 offset0:90 offset1:91
	v_add_f64 v[52:53], v[52:53], -v[140:141]
	v_add_f64 v[54:55], v[54:55], -v[212:213]
	s_waitcnt lgkmcnt(0)
	v_mul_f64 v[140:141], v[220:221], v[142:143]
	v_mul_f64 v[212:213], v[218:219], v[142:143]
	s_delay_alu instid0(VALU_DEP_2) | instskip(NEXT) | instid1(VALU_DEP_2)
	v_fma_f64 v[140:141], v[218:219], v[216:217], -v[140:141]
	v_fma_f64 v[212:213], v[220:221], v[216:217], v[212:213]
	ds_load_2addr_b64 v[218:221], v214 offset0:92 offset1:93
	v_add_f64 v[48:49], v[48:49], -v[140:141]
	v_add_f64 v[50:51], v[50:51], -v[212:213]
	s_waitcnt lgkmcnt(0)
	v_mul_f64 v[140:141], v[220:221], v[142:143]
	v_mul_f64 v[212:213], v[218:219], v[142:143]
	s_delay_alu instid0(VALU_DEP_2) | instskip(NEXT) | instid1(VALU_DEP_2)
	v_fma_f64 v[140:141], v[218:219], v[216:217], -v[140:141]
	v_fma_f64 v[212:213], v[220:221], v[216:217], v[212:213]
	ds_load_2addr_b64 v[218:221], v214 offset0:94 offset1:95
	v_add_f64 v[44:45], v[44:45], -v[140:141]
	v_add_f64 v[46:47], v[46:47], -v[212:213]
	s_waitcnt lgkmcnt(0)
	v_mul_f64 v[140:141], v[220:221], v[142:143]
	v_mul_f64 v[212:213], v[218:219], v[142:143]
	s_delay_alu instid0(VALU_DEP_2) | instskip(NEXT) | instid1(VALU_DEP_2)
	v_fma_f64 v[140:141], v[218:219], v[216:217], -v[140:141]
	v_fma_f64 v[212:213], v[220:221], v[216:217], v[212:213]
	ds_load_2addr_b64 v[218:221], v214 offset0:96 offset1:97
	v_add_f64 v[40:41], v[40:41], -v[140:141]
	v_add_f64 v[42:43], v[42:43], -v[212:213]
	s_waitcnt lgkmcnt(0)
	v_mul_f64 v[140:141], v[220:221], v[142:143]
	v_mul_f64 v[212:213], v[218:219], v[142:143]
	s_delay_alu instid0(VALU_DEP_2) | instskip(NEXT) | instid1(VALU_DEP_2)
	v_fma_f64 v[140:141], v[218:219], v[216:217], -v[140:141]
	v_fma_f64 v[212:213], v[220:221], v[216:217], v[212:213]
	ds_load_2addr_b64 v[218:221], v214 offset0:98 offset1:99
	v_add_f64 v[36:37], v[36:37], -v[140:141]
	v_add_f64 v[38:39], v[38:39], -v[212:213]
	s_waitcnt lgkmcnt(0)
	v_mul_f64 v[140:141], v[220:221], v[142:143]
	v_mul_f64 v[212:213], v[218:219], v[142:143]
	s_delay_alu instid0(VALU_DEP_2) | instskip(NEXT) | instid1(VALU_DEP_2)
	v_fma_f64 v[140:141], v[218:219], v[216:217], -v[140:141]
	v_fma_f64 v[212:213], v[220:221], v[216:217], v[212:213]
	ds_load_2addr_b64 v[218:221], v214 offset0:100 offset1:101
	v_add_f64 v[32:33], v[32:33], -v[140:141]
	v_add_f64 v[34:35], v[34:35], -v[212:213]
	s_waitcnt lgkmcnt(0)
	v_mul_f64 v[140:141], v[220:221], v[142:143]
	v_mul_f64 v[212:213], v[218:219], v[142:143]
	s_delay_alu instid0(VALU_DEP_2) | instskip(NEXT) | instid1(VALU_DEP_2)
	v_fma_f64 v[140:141], v[218:219], v[216:217], -v[140:141]
	v_fma_f64 v[212:213], v[220:221], v[216:217], v[212:213]
	ds_load_2addr_b64 v[218:221], v214 offset0:102 offset1:103
	v_add_f64 v[28:29], v[28:29], -v[140:141]
	v_add_f64 v[30:31], v[30:31], -v[212:213]
	s_waitcnt lgkmcnt(0)
	v_mul_f64 v[140:141], v[220:221], v[142:143]
	v_mul_f64 v[212:213], v[218:219], v[142:143]
	s_delay_alu instid0(VALU_DEP_2) | instskip(NEXT) | instid1(VALU_DEP_2)
	v_fma_f64 v[140:141], v[218:219], v[216:217], -v[140:141]
	v_fma_f64 v[212:213], v[220:221], v[216:217], v[212:213]
	ds_load_2addr_b64 v[218:221], v214 offset0:104 offset1:105
	v_add_f64 v[24:25], v[24:25], -v[140:141]
	v_add_f64 v[26:27], v[26:27], -v[212:213]
	s_waitcnt lgkmcnt(0)
	v_mul_f64 v[140:141], v[220:221], v[142:143]
	v_mul_f64 v[212:213], v[218:219], v[142:143]
	s_delay_alu instid0(VALU_DEP_2) | instskip(NEXT) | instid1(VALU_DEP_2)
	v_fma_f64 v[140:141], v[218:219], v[216:217], -v[140:141]
	v_fma_f64 v[212:213], v[220:221], v[216:217], v[212:213]
	ds_load_2addr_b64 v[218:221], v214 offset0:106 offset1:107
	v_add_f64 v[20:21], v[20:21], -v[140:141]
	v_add_f64 v[22:23], v[22:23], -v[212:213]
	s_waitcnt lgkmcnt(0)
	v_mul_f64 v[140:141], v[220:221], v[142:143]
	v_mul_f64 v[212:213], v[218:219], v[142:143]
	s_delay_alu instid0(VALU_DEP_2) | instskip(NEXT) | instid1(VALU_DEP_2)
	v_fma_f64 v[140:141], v[218:219], v[216:217], -v[140:141]
	v_fma_f64 v[212:213], v[220:221], v[216:217], v[212:213]
	ds_load_2addr_b64 v[218:221], v214 offset0:108 offset1:109
	v_add_f64 v[16:17], v[16:17], -v[140:141]
	v_add_f64 v[18:19], v[18:19], -v[212:213]
	s_waitcnt lgkmcnt(0)
	v_mul_f64 v[140:141], v[220:221], v[142:143]
	v_mul_f64 v[212:213], v[218:219], v[142:143]
	s_delay_alu instid0(VALU_DEP_2) | instskip(NEXT) | instid1(VALU_DEP_2)
	v_fma_f64 v[140:141], v[218:219], v[216:217], -v[140:141]
	v_fma_f64 v[212:213], v[220:221], v[216:217], v[212:213]
	ds_load_2addr_b64 v[218:221], v214 offset0:110 offset1:111
	v_add_f64 v[12:13], v[12:13], -v[140:141]
	v_add_f64 v[14:15], v[14:15], -v[212:213]
	s_waitcnt lgkmcnt(0)
	v_mul_f64 v[140:141], v[220:221], v[142:143]
	v_mul_f64 v[212:213], v[218:219], v[142:143]
	s_delay_alu instid0(VALU_DEP_2) | instskip(NEXT) | instid1(VALU_DEP_2)
	v_fma_f64 v[140:141], v[218:219], v[216:217], -v[140:141]
	v_fma_f64 v[212:213], v[220:221], v[216:217], v[212:213]
	ds_load_2addr_b64 v[218:221], v214 offset0:112 offset1:113
	v_add_f64 v[8:9], v[8:9], -v[140:141]
	v_add_f64 v[10:11], v[10:11], -v[212:213]
	s_waitcnt lgkmcnt(0)
	v_mul_f64 v[140:141], v[220:221], v[142:143]
	v_mul_f64 v[212:213], v[218:219], v[142:143]
	s_delay_alu instid0(VALU_DEP_2) | instskip(NEXT) | instid1(VALU_DEP_2)
	v_fma_f64 v[140:141], v[218:219], v[216:217], -v[140:141]
	v_fma_f64 v[212:213], v[220:221], v[216:217], v[212:213]
	ds_load_2addr_b64 v[218:221], v214 offset0:114 offset1:115
	v_add_f64 v[4:5], v[4:5], -v[140:141]
	v_add_f64 v[6:7], v[6:7], -v[212:213]
	s_waitcnt lgkmcnt(0)
	v_mul_f64 v[140:141], v[220:221], v[142:143]
	v_mul_f64 v[212:213], v[218:219], v[142:143]
	s_delay_alu instid0(VALU_DEP_2) | instskip(NEXT) | instid1(VALU_DEP_2)
	v_fma_f64 v[140:141], v[218:219], v[216:217], -v[140:141]
	v_fma_f64 v[212:213], v[220:221], v[216:217], v[212:213]
	s_delay_alu instid0(VALU_DEP_2) | instskip(NEXT) | instid1(VALU_DEP_2)
	v_add_f64 v[0:1], v[0:1], -v[140:141]
	v_add_f64 v[2:3], v[2:3], -v[212:213]
	v_dual_mov_b32 v140, v216 :: v_dual_mov_b32 v141, v217
.LBB115_208:
	s_or_b32 exec_lo, exec_lo, s3
	s_delay_alu instid0(SALU_CYCLE_1)
	s_mov_b32 s4, exec_lo
	s_waitcnt_vscnt null, 0x0
	s_barrier
	buffer_gl0_inv
	v_cmpx_eq_u32_e32 23, v208
	s_cbranch_execz .LBB115_215
; %bb.209:
	ds_store_2addr_b64 v209, v[136:137], v[138:139] offset1:1
	ds_store_2addr_b64 v214, v[132:133], v[134:135] offset0:48 offset1:49
	ds_store_2addr_b64 v214, v[128:129], v[130:131] offset0:50 offset1:51
	;; [unrolled: 1-line block ×34, first 2 shown]
	ds_load_2addr_b64 v[216:219], v209 offset1:1
	s_waitcnt lgkmcnt(0)
	v_cmp_neq_f64_e32 vcc_lo, 0, v[216:217]
	v_cmp_neq_f64_e64 s3, 0, v[218:219]
	s_delay_alu instid0(VALU_DEP_1) | instskip(NEXT) | instid1(SALU_CYCLE_1)
	s_or_b32 s3, vcc_lo, s3
	s_and_b32 exec_lo, exec_lo, s3
	s_cbranch_execz .LBB115_215
; %bb.210:
	v_cmp_gt_f64_e32 vcc_lo, 0, v[216:217]
	v_xor_b32_e32 v212, 0x80000000, v217
	v_xor_b32_e32 v215, 0x80000000, v219
	s_delay_alu instid0(VALU_DEP_2) | instskip(SKIP_2) | instid1(VALU_DEP_4)
	v_cndmask_b32_e32 v213, v217, v212, vcc_lo
	v_cndmask_b32_e32 v212, v216, v216, vcc_lo
	v_cmp_gt_f64_e32 vcc_lo, 0, v[218:219]
	v_dual_cndmask_b32 v221, v219, v215 :: v_dual_cndmask_b32 v220, v218, v218
	s_delay_alu instid0(VALU_DEP_1) | instskip(SKIP_1) | instid1(SALU_CYCLE_1)
	v_cmp_ngt_f64_e32 vcc_lo, v[212:213], v[220:221]
                                        ; implicit-def: $vgpr212_vgpr213
	s_and_saveexec_b32 s3, vcc_lo
	s_xor_b32 s3, exec_lo, s3
                                        ; implicit-def: $vgpr220_vgpr221_vgpr222_vgpr223
	s_cbranch_execz .LBB115_212
; %bb.211:
	v_div_scale_f64 v[212:213], null, v[218:219], v[218:219], v[216:217]
	v_div_scale_f64 v[224:225], vcc_lo, v[216:217], v[218:219], v[216:217]
	s_delay_alu instid0(VALU_DEP_2) | instskip(SKIP_2) | instid1(VALU_DEP_1)
	v_rcp_f64_e32 v[220:221], v[212:213]
	s_waitcnt_depctr 0xfff
	v_fma_f64 v[222:223], -v[212:213], v[220:221], 1.0
	v_fma_f64 v[220:221], v[220:221], v[222:223], v[220:221]
	s_delay_alu instid0(VALU_DEP_1) | instskip(NEXT) | instid1(VALU_DEP_1)
	v_fma_f64 v[222:223], -v[212:213], v[220:221], 1.0
	v_fma_f64 v[220:221], v[220:221], v[222:223], v[220:221]
	s_delay_alu instid0(VALU_DEP_1) | instskip(NEXT) | instid1(VALU_DEP_1)
	v_mul_f64 v[222:223], v[224:225], v[220:221]
	v_fma_f64 v[212:213], -v[212:213], v[222:223], v[224:225]
	s_delay_alu instid0(VALU_DEP_1) | instskip(NEXT) | instid1(VALU_DEP_1)
	v_div_fmas_f64 v[212:213], v[212:213], v[220:221], v[222:223]
	v_div_fixup_f64 v[212:213], v[212:213], v[218:219], v[216:217]
	s_delay_alu instid0(VALU_DEP_1) | instskip(NEXT) | instid1(VALU_DEP_1)
	v_fma_f64 v[216:217], v[216:217], v[212:213], v[218:219]
	v_div_scale_f64 v[218:219], null, v[216:217], v[216:217], 1.0
	s_delay_alu instid0(VALU_DEP_1) | instskip(SKIP_2) | instid1(VALU_DEP_1)
	v_rcp_f64_e32 v[220:221], v[218:219]
	s_waitcnt_depctr 0xfff
	v_fma_f64 v[222:223], -v[218:219], v[220:221], 1.0
	v_fma_f64 v[220:221], v[220:221], v[222:223], v[220:221]
	s_delay_alu instid0(VALU_DEP_1) | instskip(NEXT) | instid1(VALU_DEP_1)
	v_fma_f64 v[222:223], -v[218:219], v[220:221], 1.0
	v_fma_f64 v[220:221], v[220:221], v[222:223], v[220:221]
	v_div_scale_f64 v[222:223], vcc_lo, 1.0, v[216:217], 1.0
	s_delay_alu instid0(VALU_DEP_1) | instskip(NEXT) | instid1(VALU_DEP_1)
	v_mul_f64 v[224:225], v[222:223], v[220:221]
	v_fma_f64 v[218:219], -v[218:219], v[224:225], v[222:223]
	s_delay_alu instid0(VALU_DEP_1) | instskip(NEXT) | instid1(VALU_DEP_1)
	v_div_fmas_f64 v[218:219], v[218:219], v[220:221], v[224:225]
	v_div_fixup_f64 v[222:223], v[218:219], v[216:217], 1.0
                                        ; implicit-def: $vgpr216_vgpr217
	s_delay_alu instid0(VALU_DEP_1)
	v_mul_f64 v[212:213], v[212:213], v[222:223]
	v_xor_b32_e32 v223, 0x80000000, v223
.LBB115_212:
	s_and_not1_saveexec_b32 s3, s3
	s_cbranch_execz .LBB115_214
; %bb.213:
	v_div_scale_f64 v[212:213], null, v[216:217], v[216:217], v[218:219]
	v_div_scale_f64 v[224:225], vcc_lo, v[218:219], v[216:217], v[218:219]
	s_delay_alu instid0(VALU_DEP_2) | instskip(SKIP_2) | instid1(VALU_DEP_1)
	v_rcp_f64_e32 v[220:221], v[212:213]
	s_waitcnt_depctr 0xfff
	v_fma_f64 v[222:223], -v[212:213], v[220:221], 1.0
	v_fma_f64 v[220:221], v[220:221], v[222:223], v[220:221]
	s_delay_alu instid0(VALU_DEP_1) | instskip(NEXT) | instid1(VALU_DEP_1)
	v_fma_f64 v[222:223], -v[212:213], v[220:221], 1.0
	v_fma_f64 v[220:221], v[220:221], v[222:223], v[220:221]
	s_delay_alu instid0(VALU_DEP_1) | instskip(NEXT) | instid1(VALU_DEP_1)
	v_mul_f64 v[222:223], v[224:225], v[220:221]
	v_fma_f64 v[212:213], -v[212:213], v[222:223], v[224:225]
	s_delay_alu instid0(VALU_DEP_1) | instskip(NEXT) | instid1(VALU_DEP_1)
	v_div_fmas_f64 v[212:213], v[212:213], v[220:221], v[222:223]
	v_div_fixup_f64 v[220:221], v[212:213], v[216:217], v[218:219]
	s_delay_alu instid0(VALU_DEP_1) | instskip(NEXT) | instid1(VALU_DEP_1)
	v_fma_f64 v[212:213], v[218:219], v[220:221], v[216:217]
	v_div_scale_f64 v[216:217], null, v[212:213], v[212:213], 1.0
	s_delay_alu instid0(VALU_DEP_1) | instskip(SKIP_2) | instid1(VALU_DEP_1)
	v_rcp_f64_e32 v[218:219], v[216:217]
	s_waitcnt_depctr 0xfff
	v_fma_f64 v[222:223], -v[216:217], v[218:219], 1.0
	v_fma_f64 v[218:219], v[218:219], v[222:223], v[218:219]
	s_delay_alu instid0(VALU_DEP_1) | instskip(NEXT) | instid1(VALU_DEP_1)
	v_fma_f64 v[222:223], -v[216:217], v[218:219], 1.0
	v_fma_f64 v[218:219], v[218:219], v[222:223], v[218:219]
	v_div_scale_f64 v[222:223], vcc_lo, 1.0, v[212:213], 1.0
	s_delay_alu instid0(VALU_DEP_1) | instskip(NEXT) | instid1(VALU_DEP_1)
	v_mul_f64 v[224:225], v[222:223], v[218:219]
	v_fma_f64 v[216:217], -v[216:217], v[224:225], v[222:223]
	s_delay_alu instid0(VALU_DEP_1) | instskip(NEXT) | instid1(VALU_DEP_1)
	v_div_fmas_f64 v[216:217], v[216:217], v[218:219], v[224:225]
	v_div_fixup_f64 v[212:213], v[216:217], v[212:213], 1.0
	s_delay_alu instid0(VALU_DEP_1)
	v_mul_f64 v[222:223], v[220:221], -v[212:213]
.LBB115_214:
	s_or_b32 exec_lo, exec_lo, s3
	ds_store_2addr_b64 v209, v[212:213], v[222:223] offset1:1
.LBB115_215:
	s_or_b32 exec_lo, exec_lo, s4
	s_waitcnt lgkmcnt(0)
	s_barrier
	buffer_gl0_inv
	ds_load_2addr_b64 v[204:207], v209 offset1:1
	s_mov_b32 s3, exec_lo
	s_waitcnt lgkmcnt(0)
	scratch_store_b128 off, v[204:207], off offset:932 ; 16-byte Folded Spill
	v_cmpx_lt_u32_e32 23, v208
	s_cbranch_execz .LBB115_217
; %bb.216:
	scratch_load_b128 v[204:207], off, off offset:932 ; 16-byte Folded Reload
	ds_load_2addr_b64 v[218:221], v214 offset0:48 offset1:49
	s_waitcnt vmcnt(0)
	v_mul_f64 v[212:213], v[206:207], v[138:139]
	v_mul_f64 v[138:139], v[204:205], v[138:139]
	s_delay_alu instid0(VALU_DEP_2) | instskip(NEXT) | instid1(VALU_DEP_2)
	v_fma_f64 v[216:217], v[204:205], v[136:137], -v[212:213]
	v_fma_f64 v[138:139], v[206:207], v[136:137], v[138:139]
	s_waitcnt lgkmcnt(0)
	s_delay_alu instid0(VALU_DEP_1) | instskip(SKIP_1) | instid1(VALU_DEP_2)
	v_mul_f64 v[136:137], v[220:221], v[138:139]
	v_mul_f64 v[212:213], v[218:219], v[138:139]
	v_fma_f64 v[136:137], v[218:219], v[216:217], -v[136:137]
	s_delay_alu instid0(VALU_DEP_2)
	v_fma_f64 v[212:213], v[220:221], v[216:217], v[212:213]
	ds_load_2addr_b64 v[218:221], v214 offset0:50 offset1:51
	v_add_f64 v[132:133], v[132:133], -v[136:137]
	v_add_f64 v[134:135], v[134:135], -v[212:213]
	s_waitcnt lgkmcnt(0)
	v_mul_f64 v[136:137], v[220:221], v[138:139]
	v_mul_f64 v[212:213], v[218:219], v[138:139]
	s_delay_alu instid0(VALU_DEP_2) | instskip(NEXT) | instid1(VALU_DEP_2)
	v_fma_f64 v[136:137], v[218:219], v[216:217], -v[136:137]
	v_fma_f64 v[212:213], v[220:221], v[216:217], v[212:213]
	ds_load_2addr_b64 v[218:221], v214 offset0:52 offset1:53
	v_add_f64 v[128:129], v[128:129], -v[136:137]
	v_add_f64 v[130:131], v[130:131], -v[212:213]
	s_waitcnt lgkmcnt(0)
	v_mul_f64 v[136:137], v[220:221], v[138:139]
	v_mul_f64 v[212:213], v[218:219], v[138:139]
	s_delay_alu instid0(VALU_DEP_2) | instskip(NEXT) | instid1(VALU_DEP_2)
	v_fma_f64 v[136:137], v[218:219], v[216:217], -v[136:137]
	v_fma_f64 v[212:213], v[220:221], v[216:217], v[212:213]
	ds_load_2addr_b64 v[218:221], v214 offset0:54 offset1:55
	v_add_f64 v[124:125], v[124:125], -v[136:137]
	v_add_f64 v[126:127], v[126:127], -v[212:213]
	s_waitcnt lgkmcnt(0)
	v_mul_f64 v[136:137], v[220:221], v[138:139]
	v_mul_f64 v[212:213], v[218:219], v[138:139]
	s_delay_alu instid0(VALU_DEP_2) | instskip(NEXT) | instid1(VALU_DEP_2)
	v_fma_f64 v[136:137], v[218:219], v[216:217], -v[136:137]
	v_fma_f64 v[212:213], v[220:221], v[216:217], v[212:213]
	ds_load_2addr_b64 v[218:221], v214 offset0:56 offset1:57
	v_add_f64 v[120:121], v[120:121], -v[136:137]
	v_add_f64 v[122:123], v[122:123], -v[212:213]
	s_waitcnt lgkmcnt(0)
	v_mul_f64 v[136:137], v[220:221], v[138:139]
	v_mul_f64 v[212:213], v[218:219], v[138:139]
	s_delay_alu instid0(VALU_DEP_2) | instskip(NEXT) | instid1(VALU_DEP_2)
	v_fma_f64 v[136:137], v[218:219], v[216:217], -v[136:137]
	v_fma_f64 v[212:213], v[220:221], v[216:217], v[212:213]
	ds_load_2addr_b64 v[218:221], v214 offset0:58 offset1:59
	v_add_f64 v[116:117], v[116:117], -v[136:137]
	v_add_f64 v[118:119], v[118:119], -v[212:213]
	s_waitcnt lgkmcnt(0)
	v_mul_f64 v[136:137], v[220:221], v[138:139]
	v_mul_f64 v[212:213], v[218:219], v[138:139]
	s_delay_alu instid0(VALU_DEP_2) | instskip(NEXT) | instid1(VALU_DEP_2)
	v_fma_f64 v[136:137], v[218:219], v[216:217], -v[136:137]
	v_fma_f64 v[212:213], v[220:221], v[216:217], v[212:213]
	ds_load_2addr_b64 v[218:221], v214 offset0:60 offset1:61
	v_add_f64 v[112:113], v[112:113], -v[136:137]
	v_add_f64 v[114:115], v[114:115], -v[212:213]
	s_waitcnt lgkmcnt(0)
	v_mul_f64 v[136:137], v[220:221], v[138:139]
	v_mul_f64 v[212:213], v[218:219], v[138:139]
	s_delay_alu instid0(VALU_DEP_2) | instskip(NEXT) | instid1(VALU_DEP_2)
	v_fma_f64 v[136:137], v[218:219], v[216:217], -v[136:137]
	v_fma_f64 v[212:213], v[220:221], v[216:217], v[212:213]
	ds_load_2addr_b64 v[218:221], v214 offset0:62 offset1:63
	v_add_f64 v[108:109], v[108:109], -v[136:137]
	v_add_f64 v[110:111], v[110:111], -v[212:213]
	s_waitcnt lgkmcnt(0)
	v_mul_f64 v[136:137], v[220:221], v[138:139]
	v_mul_f64 v[212:213], v[218:219], v[138:139]
	s_delay_alu instid0(VALU_DEP_2) | instskip(NEXT) | instid1(VALU_DEP_2)
	v_fma_f64 v[136:137], v[218:219], v[216:217], -v[136:137]
	v_fma_f64 v[212:213], v[220:221], v[216:217], v[212:213]
	ds_load_2addr_b64 v[218:221], v214 offset0:64 offset1:65
	v_add_f64 v[104:105], v[104:105], -v[136:137]
	v_add_f64 v[106:107], v[106:107], -v[212:213]
	s_waitcnt lgkmcnt(0)
	v_mul_f64 v[136:137], v[220:221], v[138:139]
	v_mul_f64 v[212:213], v[218:219], v[138:139]
	s_delay_alu instid0(VALU_DEP_2) | instskip(NEXT) | instid1(VALU_DEP_2)
	v_fma_f64 v[136:137], v[218:219], v[216:217], -v[136:137]
	v_fma_f64 v[212:213], v[220:221], v[216:217], v[212:213]
	ds_load_2addr_b64 v[218:221], v214 offset0:66 offset1:67
	v_add_f64 v[100:101], v[100:101], -v[136:137]
	v_add_f64 v[102:103], v[102:103], -v[212:213]
	s_waitcnt lgkmcnt(0)
	v_mul_f64 v[136:137], v[220:221], v[138:139]
	v_mul_f64 v[212:213], v[218:219], v[138:139]
	s_delay_alu instid0(VALU_DEP_2) | instskip(NEXT) | instid1(VALU_DEP_2)
	v_fma_f64 v[136:137], v[218:219], v[216:217], -v[136:137]
	v_fma_f64 v[212:213], v[220:221], v[216:217], v[212:213]
	ds_load_2addr_b64 v[218:221], v214 offset0:68 offset1:69
	v_add_f64 v[96:97], v[96:97], -v[136:137]
	v_add_f64 v[98:99], v[98:99], -v[212:213]
	s_waitcnt lgkmcnt(0)
	v_mul_f64 v[136:137], v[220:221], v[138:139]
	v_mul_f64 v[212:213], v[218:219], v[138:139]
	s_delay_alu instid0(VALU_DEP_2) | instskip(NEXT) | instid1(VALU_DEP_2)
	v_fma_f64 v[136:137], v[218:219], v[216:217], -v[136:137]
	v_fma_f64 v[212:213], v[220:221], v[216:217], v[212:213]
	ds_load_2addr_b64 v[218:221], v214 offset0:70 offset1:71
	v_add_f64 v[92:93], v[92:93], -v[136:137]
	v_add_f64 v[94:95], v[94:95], -v[212:213]
	s_waitcnt lgkmcnt(0)
	v_mul_f64 v[136:137], v[220:221], v[138:139]
	v_mul_f64 v[212:213], v[218:219], v[138:139]
	s_delay_alu instid0(VALU_DEP_2) | instskip(NEXT) | instid1(VALU_DEP_2)
	v_fma_f64 v[136:137], v[218:219], v[216:217], -v[136:137]
	v_fma_f64 v[212:213], v[220:221], v[216:217], v[212:213]
	ds_load_2addr_b64 v[218:221], v214 offset0:72 offset1:73
	v_add_f64 v[88:89], v[88:89], -v[136:137]
	v_add_f64 v[90:91], v[90:91], -v[212:213]
	s_waitcnt lgkmcnt(0)
	v_mul_f64 v[136:137], v[220:221], v[138:139]
	v_mul_f64 v[212:213], v[218:219], v[138:139]
	s_delay_alu instid0(VALU_DEP_2) | instskip(NEXT) | instid1(VALU_DEP_2)
	v_fma_f64 v[136:137], v[218:219], v[216:217], -v[136:137]
	v_fma_f64 v[212:213], v[220:221], v[216:217], v[212:213]
	ds_load_2addr_b64 v[218:221], v214 offset0:74 offset1:75
	v_add_f64 v[84:85], v[84:85], -v[136:137]
	v_add_f64 v[86:87], v[86:87], -v[212:213]
	s_waitcnt lgkmcnt(0)
	v_mul_f64 v[136:137], v[220:221], v[138:139]
	v_mul_f64 v[212:213], v[218:219], v[138:139]
	s_delay_alu instid0(VALU_DEP_2) | instskip(NEXT) | instid1(VALU_DEP_2)
	v_fma_f64 v[136:137], v[218:219], v[216:217], -v[136:137]
	v_fma_f64 v[212:213], v[220:221], v[216:217], v[212:213]
	ds_load_2addr_b64 v[218:221], v214 offset0:76 offset1:77
	v_add_f64 v[80:81], v[80:81], -v[136:137]
	v_add_f64 v[82:83], v[82:83], -v[212:213]
	s_waitcnt lgkmcnt(0)
	v_mul_f64 v[136:137], v[220:221], v[138:139]
	v_mul_f64 v[212:213], v[218:219], v[138:139]
	s_delay_alu instid0(VALU_DEP_2) | instskip(NEXT) | instid1(VALU_DEP_2)
	v_fma_f64 v[136:137], v[218:219], v[216:217], -v[136:137]
	v_fma_f64 v[212:213], v[220:221], v[216:217], v[212:213]
	ds_load_2addr_b64 v[218:221], v214 offset0:78 offset1:79
	v_add_f64 v[76:77], v[76:77], -v[136:137]
	v_add_f64 v[78:79], v[78:79], -v[212:213]
	s_waitcnt lgkmcnt(0)
	v_mul_f64 v[136:137], v[220:221], v[138:139]
	v_mul_f64 v[212:213], v[218:219], v[138:139]
	s_delay_alu instid0(VALU_DEP_2) | instskip(NEXT) | instid1(VALU_DEP_2)
	v_fma_f64 v[136:137], v[218:219], v[216:217], -v[136:137]
	v_fma_f64 v[212:213], v[220:221], v[216:217], v[212:213]
	ds_load_2addr_b64 v[218:221], v214 offset0:80 offset1:81
	v_add_f64 v[72:73], v[72:73], -v[136:137]
	v_add_f64 v[74:75], v[74:75], -v[212:213]
	s_waitcnt lgkmcnt(0)
	v_mul_f64 v[136:137], v[220:221], v[138:139]
	v_mul_f64 v[212:213], v[218:219], v[138:139]
	s_delay_alu instid0(VALU_DEP_2) | instskip(NEXT) | instid1(VALU_DEP_2)
	v_fma_f64 v[136:137], v[218:219], v[216:217], -v[136:137]
	v_fma_f64 v[212:213], v[220:221], v[216:217], v[212:213]
	ds_load_2addr_b64 v[218:221], v214 offset0:82 offset1:83
	v_add_f64 v[68:69], v[68:69], -v[136:137]
	v_add_f64 v[70:71], v[70:71], -v[212:213]
	s_waitcnt lgkmcnt(0)
	v_mul_f64 v[136:137], v[220:221], v[138:139]
	v_mul_f64 v[212:213], v[218:219], v[138:139]
	s_delay_alu instid0(VALU_DEP_2) | instskip(NEXT) | instid1(VALU_DEP_2)
	v_fma_f64 v[136:137], v[218:219], v[216:217], -v[136:137]
	v_fma_f64 v[212:213], v[220:221], v[216:217], v[212:213]
	ds_load_2addr_b64 v[218:221], v214 offset0:84 offset1:85
	v_add_f64 v[64:65], v[64:65], -v[136:137]
	v_add_f64 v[66:67], v[66:67], -v[212:213]
	s_waitcnt lgkmcnt(0)
	v_mul_f64 v[136:137], v[220:221], v[138:139]
	v_mul_f64 v[212:213], v[218:219], v[138:139]
	s_delay_alu instid0(VALU_DEP_2) | instskip(NEXT) | instid1(VALU_DEP_2)
	v_fma_f64 v[136:137], v[218:219], v[216:217], -v[136:137]
	v_fma_f64 v[212:213], v[220:221], v[216:217], v[212:213]
	ds_load_2addr_b64 v[218:221], v214 offset0:86 offset1:87
	v_add_f64 v[60:61], v[60:61], -v[136:137]
	v_add_f64 v[62:63], v[62:63], -v[212:213]
	s_waitcnt lgkmcnt(0)
	v_mul_f64 v[136:137], v[220:221], v[138:139]
	v_mul_f64 v[212:213], v[218:219], v[138:139]
	s_delay_alu instid0(VALU_DEP_2) | instskip(NEXT) | instid1(VALU_DEP_2)
	v_fma_f64 v[136:137], v[218:219], v[216:217], -v[136:137]
	v_fma_f64 v[212:213], v[220:221], v[216:217], v[212:213]
	ds_load_2addr_b64 v[218:221], v214 offset0:88 offset1:89
	v_add_f64 v[56:57], v[56:57], -v[136:137]
	v_add_f64 v[58:59], v[58:59], -v[212:213]
	s_waitcnt lgkmcnt(0)
	v_mul_f64 v[136:137], v[220:221], v[138:139]
	v_mul_f64 v[212:213], v[218:219], v[138:139]
	s_delay_alu instid0(VALU_DEP_2) | instskip(NEXT) | instid1(VALU_DEP_2)
	v_fma_f64 v[136:137], v[218:219], v[216:217], -v[136:137]
	v_fma_f64 v[212:213], v[220:221], v[216:217], v[212:213]
	ds_load_2addr_b64 v[218:221], v214 offset0:90 offset1:91
	v_add_f64 v[52:53], v[52:53], -v[136:137]
	v_add_f64 v[54:55], v[54:55], -v[212:213]
	s_waitcnt lgkmcnt(0)
	v_mul_f64 v[136:137], v[220:221], v[138:139]
	v_mul_f64 v[212:213], v[218:219], v[138:139]
	s_delay_alu instid0(VALU_DEP_2) | instskip(NEXT) | instid1(VALU_DEP_2)
	v_fma_f64 v[136:137], v[218:219], v[216:217], -v[136:137]
	v_fma_f64 v[212:213], v[220:221], v[216:217], v[212:213]
	ds_load_2addr_b64 v[218:221], v214 offset0:92 offset1:93
	v_add_f64 v[48:49], v[48:49], -v[136:137]
	v_add_f64 v[50:51], v[50:51], -v[212:213]
	s_waitcnt lgkmcnt(0)
	v_mul_f64 v[136:137], v[220:221], v[138:139]
	v_mul_f64 v[212:213], v[218:219], v[138:139]
	s_delay_alu instid0(VALU_DEP_2) | instskip(NEXT) | instid1(VALU_DEP_2)
	v_fma_f64 v[136:137], v[218:219], v[216:217], -v[136:137]
	v_fma_f64 v[212:213], v[220:221], v[216:217], v[212:213]
	ds_load_2addr_b64 v[218:221], v214 offset0:94 offset1:95
	v_add_f64 v[44:45], v[44:45], -v[136:137]
	v_add_f64 v[46:47], v[46:47], -v[212:213]
	s_waitcnt lgkmcnt(0)
	v_mul_f64 v[136:137], v[220:221], v[138:139]
	v_mul_f64 v[212:213], v[218:219], v[138:139]
	s_delay_alu instid0(VALU_DEP_2) | instskip(NEXT) | instid1(VALU_DEP_2)
	v_fma_f64 v[136:137], v[218:219], v[216:217], -v[136:137]
	v_fma_f64 v[212:213], v[220:221], v[216:217], v[212:213]
	ds_load_2addr_b64 v[218:221], v214 offset0:96 offset1:97
	v_add_f64 v[40:41], v[40:41], -v[136:137]
	v_add_f64 v[42:43], v[42:43], -v[212:213]
	s_waitcnt lgkmcnt(0)
	v_mul_f64 v[136:137], v[220:221], v[138:139]
	v_mul_f64 v[212:213], v[218:219], v[138:139]
	s_delay_alu instid0(VALU_DEP_2) | instskip(NEXT) | instid1(VALU_DEP_2)
	v_fma_f64 v[136:137], v[218:219], v[216:217], -v[136:137]
	v_fma_f64 v[212:213], v[220:221], v[216:217], v[212:213]
	ds_load_2addr_b64 v[218:221], v214 offset0:98 offset1:99
	v_add_f64 v[36:37], v[36:37], -v[136:137]
	v_add_f64 v[38:39], v[38:39], -v[212:213]
	s_waitcnt lgkmcnt(0)
	v_mul_f64 v[136:137], v[220:221], v[138:139]
	v_mul_f64 v[212:213], v[218:219], v[138:139]
	s_delay_alu instid0(VALU_DEP_2) | instskip(NEXT) | instid1(VALU_DEP_2)
	v_fma_f64 v[136:137], v[218:219], v[216:217], -v[136:137]
	v_fma_f64 v[212:213], v[220:221], v[216:217], v[212:213]
	ds_load_2addr_b64 v[218:221], v214 offset0:100 offset1:101
	v_add_f64 v[32:33], v[32:33], -v[136:137]
	v_add_f64 v[34:35], v[34:35], -v[212:213]
	s_waitcnt lgkmcnt(0)
	v_mul_f64 v[136:137], v[220:221], v[138:139]
	v_mul_f64 v[212:213], v[218:219], v[138:139]
	s_delay_alu instid0(VALU_DEP_2) | instskip(NEXT) | instid1(VALU_DEP_2)
	v_fma_f64 v[136:137], v[218:219], v[216:217], -v[136:137]
	v_fma_f64 v[212:213], v[220:221], v[216:217], v[212:213]
	ds_load_2addr_b64 v[218:221], v214 offset0:102 offset1:103
	v_add_f64 v[28:29], v[28:29], -v[136:137]
	v_add_f64 v[30:31], v[30:31], -v[212:213]
	s_waitcnt lgkmcnt(0)
	v_mul_f64 v[136:137], v[220:221], v[138:139]
	v_mul_f64 v[212:213], v[218:219], v[138:139]
	s_delay_alu instid0(VALU_DEP_2) | instskip(NEXT) | instid1(VALU_DEP_2)
	v_fma_f64 v[136:137], v[218:219], v[216:217], -v[136:137]
	v_fma_f64 v[212:213], v[220:221], v[216:217], v[212:213]
	ds_load_2addr_b64 v[218:221], v214 offset0:104 offset1:105
	v_add_f64 v[24:25], v[24:25], -v[136:137]
	v_add_f64 v[26:27], v[26:27], -v[212:213]
	s_waitcnt lgkmcnt(0)
	v_mul_f64 v[136:137], v[220:221], v[138:139]
	v_mul_f64 v[212:213], v[218:219], v[138:139]
	s_delay_alu instid0(VALU_DEP_2) | instskip(NEXT) | instid1(VALU_DEP_2)
	v_fma_f64 v[136:137], v[218:219], v[216:217], -v[136:137]
	v_fma_f64 v[212:213], v[220:221], v[216:217], v[212:213]
	ds_load_2addr_b64 v[218:221], v214 offset0:106 offset1:107
	v_add_f64 v[20:21], v[20:21], -v[136:137]
	v_add_f64 v[22:23], v[22:23], -v[212:213]
	s_waitcnt lgkmcnt(0)
	v_mul_f64 v[136:137], v[220:221], v[138:139]
	v_mul_f64 v[212:213], v[218:219], v[138:139]
	s_delay_alu instid0(VALU_DEP_2) | instskip(NEXT) | instid1(VALU_DEP_2)
	v_fma_f64 v[136:137], v[218:219], v[216:217], -v[136:137]
	v_fma_f64 v[212:213], v[220:221], v[216:217], v[212:213]
	ds_load_2addr_b64 v[218:221], v214 offset0:108 offset1:109
	v_add_f64 v[16:17], v[16:17], -v[136:137]
	v_add_f64 v[18:19], v[18:19], -v[212:213]
	s_waitcnt lgkmcnt(0)
	v_mul_f64 v[136:137], v[220:221], v[138:139]
	v_mul_f64 v[212:213], v[218:219], v[138:139]
	s_delay_alu instid0(VALU_DEP_2) | instskip(NEXT) | instid1(VALU_DEP_2)
	v_fma_f64 v[136:137], v[218:219], v[216:217], -v[136:137]
	v_fma_f64 v[212:213], v[220:221], v[216:217], v[212:213]
	ds_load_2addr_b64 v[218:221], v214 offset0:110 offset1:111
	v_add_f64 v[12:13], v[12:13], -v[136:137]
	v_add_f64 v[14:15], v[14:15], -v[212:213]
	s_waitcnt lgkmcnt(0)
	v_mul_f64 v[136:137], v[220:221], v[138:139]
	v_mul_f64 v[212:213], v[218:219], v[138:139]
	s_delay_alu instid0(VALU_DEP_2) | instskip(NEXT) | instid1(VALU_DEP_2)
	v_fma_f64 v[136:137], v[218:219], v[216:217], -v[136:137]
	v_fma_f64 v[212:213], v[220:221], v[216:217], v[212:213]
	ds_load_2addr_b64 v[218:221], v214 offset0:112 offset1:113
	v_add_f64 v[8:9], v[8:9], -v[136:137]
	v_add_f64 v[10:11], v[10:11], -v[212:213]
	s_waitcnt lgkmcnt(0)
	v_mul_f64 v[136:137], v[220:221], v[138:139]
	v_mul_f64 v[212:213], v[218:219], v[138:139]
	s_delay_alu instid0(VALU_DEP_2) | instskip(NEXT) | instid1(VALU_DEP_2)
	v_fma_f64 v[136:137], v[218:219], v[216:217], -v[136:137]
	v_fma_f64 v[212:213], v[220:221], v[216:217], v[212:213]
	ds_load_2addr_b64 v[218:221], v214 offset0:114 offset1:115
	v_add_f64 v[4:5], v[4:5], -v[136:137]
	v_add_f64 v[6:7], v[6:7], -v[212:213]
	s_waitcnt lgkmcnt(0)
	v_mul_f64 v[136:137], v[220:221], v[138:139]
	v_mul_f64 v[212:213], v[218:219], v[138:139]
	s_delay_alu instid0(VALU_DEP_2) | instskip(NEXT) | instid1(VALU_DEP_2)
	v_fma_f64 v[136:137], v[218:219], v[216:217], -v[136:137]
	v_fma_f64 v[212:213], v[220:221], v[216:217], v[212:213]
	s_delay_alu instid0(VALU_DEP_2) | instskip(NEXT) | instid1(VALU_DEP_2)
	v_add_f64 v[0:1], v[0:1], -v[136:137]
	v_add_f64 v[2:3], v[2:3], -v[212:213]
	v_dual_mov_b32 v136, v216 :: v_dual_mov_b32 v137, v217
.LBB115_217:
	s_or_b32 exec_lo, exec_lo, s3
	s_delay_alu instid0(SALU_CYCLE_1)
	s_mov_b32 s4, exec_lo
	s_waitcnt_vscnt null, 0x0
	s_barrier
	buffer_gl0_inv
	v_cmpx_eq_u32_e32 24, v208
	s_cbranch_execz .LBB115_224
; %bb.218:
	ds_store_2addr_b64 v209, v[132:133], v[134:135] offset1:1
	ds_store_2addr_b64 v214, v[128:129], v[130:131] offset0:50 offset1:51
	ds_store_2addr_b64 v214, v[124:125], v[126:127] offset0:52 offset1:53
	;; [unrolled: 1-line block ×33, first 2 shown]
	ds_load_2addr_b64 v[216:219], v209 offset1:1
	s_waitcnt lgkmcnt(0)
	v_cmp_neq_f64_e32 vcc_lo, 0, v[216:217]
	v_cmp_neq_f64_e64 s3, 0, v[218:219]
	s_delay_alu instid0(VALU_DEP_1) | instskip(NEXT) | instid1(SALU_CYCLE_1)
	s_or_b32 s3, vcc_lo, s3
	s_and_b32 exec_lo, exec_lo, s3
	s_cbranch_execz .LBB115_224
; %bb.219:
	v_cmp_gt_f64_e32 vcc_lo, 0, v[216:217]
	v_xor_b32_e32 v212, 0x80000000, v217
	v_xor_b32_e32 v215, 0x80000000, v219
	s_delay_alu instid0(VALU_DEP_2) | instskip(SKIP_2) | instid1(VALU_DEP_4)
	v_cndmask_b32_e32 v213, v217, v212, vcc_lo
	v_cndmask_b32_e32 v212, v216, v216, vcc_lo
	v_cmp_gt_f64_e32 vcc_lo, 0, v[218:219]
	v_dual_cndmask_b32 v221, v219, v215 :: v_dual_cndmask_b32 v220, v218, v218
	s_delay_alu instid0(VALU_DEP_1) | instskip(SKIP_1) | instid1(SALU_CYCLE_1)
	v_cmp_ngt_f64_e32 vcc_lo, v[212:213], v[220:221]
                                        ; implicit-def: $vgpr212_vgpr213
	s_and_saveexec_b32 s3, vcc_lo
	s_xor_b32 s3, exec_lo, s3
                                        ; implicit-def: $vgpr220_vgpr221_vgpr222_vgpr223
	s_cbranch_execz .LBB115_221
; %bb.220:
	v_div_scale_f64 v[212:213], null, v[218:219], v[218:219], v[216:217]
	v_div_scale_f64 v[224:225], vcc_lo, v[216:217], v[218:219], v[216:217]
	s_delay_alu instid0(VALU_DEP_2) | instskip(SKIP_2) | instid1(VALU_DEP_1)
	v_rcp_f64_e32 v[220:221], v[212:213]
	s_waitcnt_depctr 0xfff
	v_fma_f64 v[222:223], -v[212:213], v[220:221], 1.0
	v_fma_f64 v[220:221], v[220:221], v[222:223], v[220:221]
	s_delay_alu instid0(VALU_DEP_1) | instskip(NEXT) | instid1(VALU_DEP_1)
	v_fma_f64 v[222:223], -v[212:213], v[220:221], 1.0
	v_fma_f64 v[220:221], v[220:221], v[222:223], v[220:221]
	s_delay_alu instid0(VALU_DEP_1) | instskip(NEXT) | instid1(VALU_DEP_1)
	v_mul_f64 v[222:223], v[224:225], v[220:221]
	v_fma_f64 v[212:213], -v[212:213], v[222:223], v[224:225]
	s_delay_alu instid0(VALU_DEP_1) | instskip(NEXT) | instid1(VALU_DEP_1)
	v_div_fmas_f64 v[212:213], v[212:213], v[220:221], v[222:223]
	v_div_fixup_f64 v[212:213], v[212:213], v[218:219], v[216:217]
	s_delay_alu instid0(VALU_DEP_1) | instskip(NEXT) | instid1(VALU_DEP_1)
	v_fma_f64 v[216:217], v[216:217], v[212:213], v[218:219]
	v_div_scale_f64 v[218:219], null, v[216:217], v[216:217], 1.0
	s_delay_alu instid0(VALU_DEP_1) | instskip(SKIP_2) | instid1(VALU_DEP_1)
	v_rcp_f64_e32 v[220:221], v[218:219]
	s_waitcnt_depctr 0xfff
	v_fma_f64 v[222:223], -v[218:219], v[220:221], 1.0
	v_fma_f64 v[220:221], v[220:221], v[222:223], v[220:221]
	s_delay_alu instid0(VALU_DEP_1) | instskip(NEXT) | instid1(VALU_DEP_1)
	v_fma_f64 v[222:223], -v[218:219], v[220:221], 1.0
	v_fma_f64 v[220:221], v[220:221], v[222:223], v[220:221]
	v_div_scale_f64 v[222:223], vcc_lo, 1.0, v[216:217], 1.0
	s_delay_alu instid0(VALU_DEP_1) | instskip(NEXT) | instid1(VALU_DEP_1)
	v_mul_f64 v[224:225], v[222:223], v[220:221]
	v_fma_f64 v[218:219], -v[218:219], v[224:225], v[222:223]
	s_delay_alu instid0(VALU_DEP_1) | instskip(NEXT) | instid1(VALU_DEP_1)
	v_div_fmas_f64 v[218:219], v[218:219], v[220:221], v[224:225]
	v_div_fixup_f64 v[222:223], v[218:219], v[216:217], 1.0
                                        ; implicit-def: $vgpr216_vgpr217
	s_delay_alu instid0(VALU_DEP_1)
	v_mul_f64 v[212:213], v[212:213], v[222:223]
	v_xor_b32_e32 v223, 0x80000000, v223
.LBB115_221:
	s_and_not1_saveexec_b32 s3, s3
	s_cbranch_execz .LBB115_223
; %bb.222:
	v_div_scale_f64 v[212:213], null, v[216:217], v[216:217], v[218:219]
	v_div_scale_f64 v[224:225], vcc_lo, v[218:219], v[216:217], v[218:219]
	s_delay_alu instid0(VALU_DEP_2) | instskip(SKIP_2) | instid1(VALU_DEP_1)
	v_rcp_f64_e32 v[220:221], v[212:213]
	s_waitcnt_depctr 0xfff
	v_fma_f64 v[222:223], -v[212:213], v[220:221], 1.0
	v_fma_f64 v[220:221], v[220:221], v[222:223], v[220:221]
	s_delay_alu instid0(VALU_DEP_1) | instskip(NEXT) | instid1(VALU_DEP_1)
	v_fma_f64 v[222:223], -v[212:213], v[220:221], 1.0
	v_fma_f64 v[220:221], v[220:221], v[222:223], v[220:221]
	s_delay_alu instid0(VALU_DEP_1) | instskip(NEXT) | instid1(VALU_DEP_1)
	v_mul_f64 v[222:223], v[224:225], v[220:221]
	v_fma_f64 v[212:213], -v[212:213], v[222:223], v[224:225]
	s_delay_alu instid0(VALU_DEP_1) | instskip(NEXT) | instid1(VALU_DEP_1)
	v_div_fmas_f64 v[212:213], v[212:213], v[220:221], v[222:223]
	v_div_fixup_f64 v[220:221], v[212:213], v[216:217], v[218:219]
	s_delay_alu instid0(VALU_DEP_1) | instskip(NEXT) | instid1(VALU_DEP_1)
	v_fma_f64 v[212:213], v[218:219], v[220:221], v[216:217]
	v_div_scale_f64 v[216:217], null, v[212:213], v[212:213], 1.0
	s_delay_alu instid0(VALU_DEP_1) | instskip(SKIP_2) | instid1(VALU_DEP_1)
	v_rcp_f64_e32 v[218:219], v[216:217]
	s_waitcnt_depctr 0xfff
	v_fma_f64 v[222:223], -v[216:217], v[218:219], 1.0
	v_fma_f64 v[218:219], v[218:219], v[222:223], v[218:219]
	s_delay_alu instid0(VALU_DEP_1) | instskip(NEXT) | instid1(VALU_DEP_1)
	v_fma_f64 v[222:223], -v[216:217], v[218:219], 1.0
	v_fma_f64 v[218:219], v[218:219], v[222:223], v[218:219]
	v_div_scale_f64 v[222:223], vcc_lo, 1.0, v[212:213], 1.0
	s_delay_alu instid0(VALU_DEP_1) | instskip(NEXT) | instid1(VALU_DEP_1)
	v_mul_f64 v[224:225], v[222:223], v[218:219]
	v_fma_f64 v[216:217], -v[216:217], v[224:225], v[222:223]
	s_delay_alu instid0(VALU_DEP_1) | instskip(NEXT) | instid1(VALU_DEP_1)
	v_div_fmas_f64 v[216:217], v[216:217], v[218:219], v[224:225]
	v_div_fixup_f64 v[212:213], v[216:217], v[212:213], 1.0
	s_delay_alu instid0(VALU_DEP_1)
	v_mul_f64 v[222:223], v[220:221], -v[212:213]
.LBB115_223:
	s_or_b32 exec_lo, exec_lo, s3
	ds_store_2addr_b64 v209, v[212:213], v[222:223] offset1:1
.LBB115_224:
	s_or_b32 exec_lo, exec_lo, s4
	s_waitcnt lgkmcnt(0)
	s_barrier
	buffer_gl0_inv
	ds_load_2addr_b64 v[204:207], v209 offset1:1
	s_mov_b32 s3, exec_lo
	s_waitcnt lgkmcnt(0)
	scratch_store_b128 off, v[204:207], off offset:948 ; 16-byte Folded Spill
	v_cmpx_lt_u32_e32 24, v208
	s_cbranch_execz .LBB115_226
; %bb.225:
	scratch_load_b128 v[204:207], off, off offset:948 ; 16-byte Folded Reload
	ds_load_2addr_b64 v[218:221], v214 offset0:50 offset1:51
	s_waitcnt vmcnt(0)
	v_mul_f64 v[212:213], v[206:207], v[134:135]
	v_mul_f64 v[134:135], v[204:205], v[134:135]
	s_delay_alu instid0(VALU_DEP_2) | instskip(NEXT) | instid1(VALU_DEP_2)
	v_fma_f64 v[216:217], v[204:205], v[132:133], -v[212:213]
	v_fma_f64 v[134:135], v[206:207], v[132:133], v[134:135]
	s_waitcnt lgkmcnt(0)
	s_delay_alu instid0(VALU_DEP_1) | instskip(SKIP_1) | instid1(VALU_DEP_2)
	v_mul_f64 v[132:133], v[220:221], v[134:135]
	v_mul_f64 v[212:213], v[218:219], v[134:135]
	v_fma_f64 v[132:133], v[218:219], v[216:217], -v[132:133]
	s_delay_alu instid0(VALU_DEP_2)
	v_fma_f64 v[212:213], v[220:221], v[216:217], v[212:213]
	ds_load_2addr_b64 v[218:221], v214 offset0:52 offset1:53
	v_add_f64 v[128:129], v[128:129], -v[132:133]
	v_add_f64 v[130:131], v[130:131], -v[212:213]
	s_waitcnt lgkmcnt(0)
	v_mul_f64 v[132:133], v[220:221], v[134:135]
	v_mul_f64 v[212:213], v[218:219], v[134:135]
	s_delay_alu instid0(VALU_DEP_2) | instskip(NEXT) | instid1(VALU_DEP_2)
	v_fma_f64 v[132:133], v[218:219], v[216:217], -v[132:133]
	v_fma_f64 v[212:213], v[220:221], v[216:217], v[212:213]
	ds_load_2addr_b64 v[218:221], v214 offset0:54 offset1:55
	v_add_f64 v[124:125], v[124:125], -v[132:133]
	v_add_f64 v[126:127], v[126:127], -v[212:213]
	s_waitcnt lgkmcnt(0)
	v_mul_f64 v[132:133], v[220:221], v[134:135]
	v_mul_f64 v[212:213], v[218:219], v[134:135]
	s_delay_alu instid0(VALU_DEP_2) | instskip(NEXT) | instid1(VALU_DEP_2)
	v_fma_f64 v[132:133], v[218:219], v[216:217], -v[132:133]
	v_fma_f64 v[212:213], v[220:221], v[216:217], v[212:213]
	ds_load_2addr_b64 v[218:221], v214 offset0:56 offset1:57
	v_add_f64 v[120:121], v[120:121], -v[132:133]
	v_add_f64 v[122:123], v[122:123], -v[212:213]
	s_waitcnt lgkmcnt(0)
	v_mul_f64 v[132:133], v[220:221], v[134:135]
	v_mul_f64 v[212:213], v[218:219], v[134:135]
	s_delay_alu instid0(VALU_DEP_2) | instskip(NEXT) | instid1(VALU_DEP_2)
	v_fma_f64 v[132:133], v[218:219], v[216:217], -v[132:133]
	v_fma_f64 v[212:213], v[220:221], v[216:217], v[212:213]
	ds_load_2addr_b64 v[218:221], v214 offset0:58 offset1:59
	v_add_f64 v[116:117], v[116:117], -v[132:133]
	v_add_f64 v[118:119], v[118:119], -v[212:213]
	s_waitcnt lgkmcnt(0)
	v_mul_f64 v[132:133], v[220:221], v[134:135]
	v_mul_f64 v[212:213], v[218:219], v[134:135]
	s_delay_alu instid0(VALU_DEP_2) | instskip(NEXT) | instid1(VALU_DEP_2)
	v_fma_f64 v[132:133], v[218:219], v[216:217], -v[132:133]
	v_fma_f64 v[212:213], v[220:221], v[216:217], v[212:213]
	ds_load_2addr_b64 v[218:221], v214 offset0:60 offset1:61
	v_add_f64 v[112:113], v[112:113], -v[132:133]
	v_add_f64 v[114:115], v[114:115], -v[212:213]
	s_waitcnt lgkmcnt(0)
	v_mul_f64 v[132:133], v[220:221], v[134:135]
	v_mul_f64 v[212:213], v[218:219], v[134:135]
	s_delay_alu instid0(VALU_DEP_2) | instskip(NEXT) | instid1(VALU_DEP_2)
	v_fma_f64 v[132:133], v[218:219], v[216:217], -v[132:133]
	v_fma_f64 v[212:213], v[220:221], v[216:217], v[212:213]
	ds_load_2addr_b64 v[218:221], v214 offset0:62 offset1:63
	v_add_f64 v[108:109], v[108:109], -v[132:133]
	v_add_f64 v[110:111], v[110:111], -v[212:213]
	s_waitcnt lgkmcnt(0)
	v_mul_f64 v[132:133], v[220:221], v[134:135]
	v_mul_f64 v[212:213], v[218:219], v[134:135]
	s_delay_alu instid0(VALU_DEP_2) | instskip(NEXT) | instid1(VALU_DEP_2)
	v_fma_f64 v[132:133], v[218:219], v[216:217], -v[132:133]
	v_fma_f64 v[212:213], v[220:221], v[216:217], v[212:213]
	ds_load_2addr_b64 v[218:221], v214 offset0:64 offset1:65
	v_add_f64 v[104:105], v[104:105], -v[132:133]
	v_add_f64 v[106:107], v[106:107], -v[212:213]
	s_waitcnt lgkmcnt(0)
	v_mul_f64 v[132:133], v[220:221], v[134:135]
	v_mul_f64 v[212:213], v[218:219], v[134:135]
	s_delay_alu instid0(VALU_DEP_2) | instskip(NEXT) | instid1(VALU_DEP_2)
	v_fma_f64 v[132:133], v[218:219], v[216:217], -v[132:133]
	v_fma_f64 v[212:213], v[220:221], v[216:217], v[212:213]
	ds_load_2addr_b64 v[218:221], v214 offset0:66 offset1:67
	v_add_f64 v[100:101], v[100:101], -v[132:133]
	v_add_f64 v[102:103], v[102:103], -v[212:213]
	s_waitcnt lgkmcnt(0)
	v_mul_f64 v[132:133], v[220:221], v[134:135]
	v_mul_f64 v[212:213], v[218:219], v[134:135]
	s_delay_alu instid0(VALU_DEP_2) | instskip(NEXT) | instid1(VALU_DEP_2)
	v_fma_f64 v[132:133], v[218:219], v[216:217], -v[132:133]
	v_fma_f64 v[212:213], v[220:221], v[216:217], v[212:213]
	ds_load_2addr_b64 v[218:221], v214 offset0:68 offset1:69
	v_add_f64 v[96:97], v[96:97], -v[132:133]
	v_add_f64 v[98:99], v[98:99], -v[212:213]
	s_waitcnt lgkmcnt(0)
	v_mul_f64 v[132:133], v[220:221], v[134:135]
	v_mul_f64 v[212:213], v[218:219], v[134:135]
	s_delay_alu instid0(VALU_DEP_2) | instskip(NEXT) | instid1(VALU_DEP_2)
	v_fma_f64 v[132:133], v[218:219], v[216:217], -v[132:133]
	v_fma_f64 v[212:213], v[220:221], v[216:217], v[212:213]
	ds_load_2addr_b64 v[218:221], v214 offset0:70 offset1:71
	v_add_f64 v[92:93], v[92:93], -v[132:133]
	v_add_f64 v[94:95], v[94:95], -v[212:213]
	s_waitcnt lgkmcnt(0)
	v_mul_f64 v[132:133], v[220:221], v[134:135]
	v_mul_f64 v[212:213], v[218:219], v[134:135]
	s_delay_alu instid0(VALU_DEP_2) | instskip(NEXT) | instid1(VALU_DEP_2)
	v_fma_f64 v[132:133], v[218:219], v[216:217], -v[132:133]
	v_fma_f64 v[212:213], v[220:221], v[216:217], v[212:213]
	ds_load_2addr_b64 v[218:221], v214 offset0:72 offset1:73
	v_add_f64 v[88:89], v[88:89], -v[132:133]
	v_add_f64 v[90:91], v[90:91], -v[212:213]
	s_waitcnt lgkmcnt(0)
	v_mul_f64 v[132:133], v[220:221], v[134:135]
	v_mul_f64 v[212:213], v[218:219], v[134:135]
	s_delay_alu instid0(VALU_DEP_2) | instskip(NEXT) | instid1(VALU_DEP_2)
	v_fma_f64 v[132:133], v[218:219], v[216:217], -v[132:133]
	v_fma_f64 v[212:213], v[220:221], v[216:217], v[212:213]
	ds_load_2addr_b64 v[218:221], v214 offset0:74 offset1:75
	v_add_f64 v[84:85], v[84:85], -v[132:133]
	v_add_f64 v[86:87], v[86:87], -v[212:213]
	s_waitcnt lgkmcnt(0)
	v_mul_f64 v[132:133], v[220:221], v[134:135]
	v_mul_f64 v[212:213], v[218:219], v[134:135]
	s_delay_alu instid0(VALU_DEP_2) | instskip(NEXT) | instid1(VALU_DEP_2)
	v_fma_f64 v[132:133], v[218:219], v[216:217], -v[132:133]
	v_fma_f64 v[212:213], v[220:221], v[216:217], v[212:213]
	ds_load_2addr_b64 v[218:221], v214 offset0:76 offset1:77
	v_add_f64 v[80:81], v[80:81], -v[132:133]
	v_add_f64 v[82:83], v[82:83], -v[212:213]
	s_waitcnt lgkmcnt(0)
	v_mul_f64 v[132:133], v[220:221], v[134:135]
	v_mul_f64 v[212:213], v[218:219], v[134:135]
	s_delay_alu instid0(VALU_DEP_2) | instskip(NEXT) | instid1(VALU_DEP_2)
	v_fma_f64 v[132:133], v[218:219], v[216:217], -v[132:133]
	v_fma_f64 v[212:213], v[220:221], v[216:217], v[212:213]
	ds_load_2addr_b64 v[218:221], v214 offset0:78 offset1:79
	v_add_f64 v[76:77], v[76:77], -v[132:133]
	v_add_f64 v[78:79], v[78:79], -v[212:213]
	s_waitcnt lgkmcnt(0)
	v_mul_f64 v[132:133], v[220:221], v[134:135]
	v_mul_f64 v[212:213], v[218:219], v[134:135]
	s_delay_alu instid0(VALU_DEP_2) | instskip(NEXT) | instid1(VALU_DEP_2)
	v_fma_f64 v[132:133], v[218:219], v[216:217], -v[132:133]
	v_fma_f64 v[212:213], v[220:221], v[216:217], v[212:213]
	ds_load_2addr_b64 v[218:221], v214 offset0:80 offset1:81
	v_add_f64 v[72:73], v[72:73], -v[132:133]
	v_add_f64 v[74:75], v[74:75], -v[212:213]
	s_waitcnt lgkmcnt(0)
	v_mul_f64 v[132:133], v[220:221], v[134:135]
	v_mul_f64 v[212:213], v[218:219], v[134:135]
	s_delay_alu instid0(VALU_DEP_2) | instskip(NEXT) | instid1(VALU_DEP_2)
	v_fma_f64 v[132:133], v[218:219], v[216:217], -v[132:133]
	v_fma_f64 v[212:213], v[220:221], v[216:217], v[212:213]
	ds_load_2addr_b64 v[218:221], v214 offset0:82 offset1:83
	v_add_f64 v[68:69], v[68:69], -v[132:133]
	v_add_f64 v[70:71], v[70:71], -v[212:213]
	s_waitcnt lgkmcnt(0)
	v_mul_f64 v[132:133], v[220:221], v[134:135]
	v_mul_f64 v[212:213], v[218:219], v[134:135]
	s_delay_alu instid0(VALU_DEP_2) | instskip(NEXT) | instid1(VALU_DEP_2)
	v_fma_f64 v[132:133], v[218:219], v[216:217], -v[132:133]
	v_fma_f64 v[212:213], v[220:221], v[216:217], v[212:213]
	ds_load_2addr_b64 v[218:221], v214 offset0:84 offset1:85
	v_add_f64 v[64:65], v[64:65], -v[132:133]
	v_add_f64 v[66:67], v[66:67], -v[212:213]
	s_waitcnt lgkmcnt(0)
	v_mul_f64 v[132:133], v[220:221], v[134:135]
	v_mul_f64 v[212:213], v[218:219], v[134:135]
	s_delay_alu instid0(VALU_DEP_2) | instskip(NEXT) | instid1(VALU_DEP_2)
	v_fma_f64 v[132:133], v[218:219], v[216:217], -v[132:133]
	v_fma_f64 v[212:213], v[220:221], v[216:217], v[212:213]
	ds_load_2addr_b64 v[218:221], v214 offset0:86 offset1:87
	v_add_f64 v[60:61], v[60:61], -v[132:133]
	v_add_f64 v[62:63], v[62:63], -v[212:213]
	s_waitcnt lgkmcnt(0)
	v_mul_f64 v[132:133], v[220:221], v[134:135]
	v_mul_f64 v[212:213], v[218:219], v[134:135]
	s_delay_alu instid0(VALU_DEP_2) | instskip(NEXT) | instid1(VALU_DEP_2)
	v_fma_f64 v[132:133], v[218:219], v[216:217], -v[132:133]
	v_fma_f64 v[212:213], v[220:221], v[216:217], v[212:213]
	ds_load_2addr_b64 v[218:221], v214 offset0:88 offset1:89
	v_add_f64 v[56:57], v[56:57], -v[132:133]
	v_add_f64 v[58:59], v[58:59], -v[212:213]
	s_waitcnt lgkmcnt(0)
	v_mul_f64 v[132:133], v[220:221], v[134:135]
	v_mul_f64 v[212:213], v[218:219], v[134:135]
	s_delay_alu instid0(VALU_DEP_2) | instskip(NEXT) | instid1(VALU_DEP_2)
	v_fma_f64 v[132:133], v[218:219], v[216:217], -v[132:133]
	v_fma_f64 v[212:213], v[220:221], v[216:217], v[212:213]
	ds_load_2addr_b64 v[218:221], v214 offset0:90 offset1:91
	v_add_f64 v[52:53], v[52:53], -v[132:133]
	v_add_f64 v[54:55], v[54:55], -v[212:213]
	s_waitcnt lgkmcnt(0)
	v_mul_f64 v[132:133], v[220:221], v[134:135]
	v_mul_f64 v[212:213], v[218:219], v[134:135]
	s_delay_alu instid0(VALU_DEP_2) | instskip(NEXT) | instid1(VALU_DEP_2)
	v_fma_f64 v[132:133], v[218:219], v[216:217], -v[132:133]
	v_fma_f64 v[212:213], v[220:221], v[216:217], v[212:213]
	ds_load_2addr_b64 v[218:221], v214 offset0:92 offset1:93
	v_add_f64 v[48:49], v[48:49], -v[132:133]
	v_add_f64 v[50:51], v[50:51], -v[212:213]
	s_waitcnt lgkmcnt(0)
	v_mul_f64 v[132:133], v[220:221], v[134:135]
	v_mul_f64 v[212:213], v[218:219], v[134:135]
	s_delay_alu instid0(VALU_DEP_2) | instskip(NEXT) | instid1(VALU_DEP_2)
	v_fma_f64 v[132:133], v[218:219], v[216:217], -v[132:133]
	v_fma_f64 v[212:213], v[220:221], v[216:217], v[212:213]
	ds_load_2addr_b64 v[218:221], v214 offset0:94 offset1:95
	v_add_f64 v[44:45], v[44:45], -v[132:133]
	v_add_f64 v[46:47], v[46:47], -v[212:213]
	s_waitcnt lgkmcnt(0)
	v_mul_f64 v[132:133], v[220:221], v[134:135]
	v_mul_f64 v[212:213], v[218:219], v[134:135]
	s_delay_alu instid0(VALU_DEP_2) | instskip(NEXT) | instid1(VALU_DEP_2)
	v_fma_f64 v[132:133], v[218:219], v[216:217], -v[132:133]
	v_fma_f64 v[212:213], v[220:221], v[216:217], v[212:213]
	ds_load_2addr_b64 v[218:221], v214 offset0:96 offset1:97
	v_add_f64 v[40:41], v[40:41], -v[132:133]
	v_add_f64 v[42:43], v[42:43], -v[212:213]
	s_waitcnt lgkmcnt(0)
	v_mul_f64 v[132:133], v[220:221], v[134:135]
	v_mul_f64 v[212:213], v[218:219], v[134:135]
	s_delay_alu instid0(VALU_DEP_2) | instskip(NEXT) | instid1(VALU_DEP_2)
	v_fma_f64 v[132:133], v[218:219], v[216:217], -v[132:133]
	v_fma_f64 v[212:213], v[220:221], v[216:217], v[212:213]
	ds_load_2addr_b64 v[218:221], v214 offset0:98 offset1:99
	v_add_f64 v[36:37], v[36:37], -v[132:133]
	v_add_f64 v[38:39], v[38:39], -v[212:213]
	s_waitcnt lgkmcnt(0)
	v_mul_f64 v[132:133], v[220:221], v[134:135]
	v_mul_f64 v[212:213], v[218:219], v[134:135]
	s_delay_alu instid0(VALU_DEP_2) | instskip(NEXT) | instid1(VALU_DEP_2)
	v_fma_f64 v[132:133], v[218:219], v[216:217], -v[132:133]
	v_fma_f64 v[212:213], v[220:221], v[216:217], v[212:213]
	ds_load_2addr_b64 v[218:221], v214 offset0:100 offset1:101
	v_add_f64 v[32:33], v[32:33], -v[132:133]
	v_add_f64 v[34:35], v[34:35], -v[212:213]
	s_waitcnt lgkmcnt(0)
	v_mul_f64 v[132:133], v[220:221], v[134:135]
	v_mul_f64 v[212:213], v[218:219], v[134:135]
	s_delay_alu instid0(VALU_DEP_2) | instskip(NEXT) | instid1(VALU_DEP_2)
	v_fma_f64 v[132:133], v[218:219], v[216:217], -v[132:133]
	v_fma_f64 v[212:213], v[220:221], v[216:217], v[212:213]
	ds_load_2addr_b64 v[218:221], v214 offset0:102 offset1:103
	v_add_f64 v[28:29], v[28:29], -v[132:133]
	v_add_f64 v[30:31], v[30:31], -v[212:213]
	s_waitcnt lgkmcnt(0)
	v_mul_f64 v[132:133], v[220:221], v[134:135]
	v_mul_f64 v[212:213], v[218:219], v[134:135]
	s_delay_alu instid0(VALU_DEP_2) | instskip(NEXT) | instid1(VALU_DEP_2)
	v_fma_f64 v[132:133], v[218:219], v[216:217], -v[132:133]
	v_fma_f64 v[212:213], v[220:221], v[216:217], v[212:213]
	ds_load_2addr_b64 v[218:221], v214 offset0:104 offset1:105
	v_add_f64 v[24:25], v[24:25], -v[132:133]
	v_add_f64 v[26:27], v[26:27], -v[212:213]
	s_waitcnt lgkmcnt(0)
	v_mul_f64 v[132:133], v[220:221], v[134:135]
	v_mul_f64 v[212:213], v[218:219], v[134:135]
	s_delay_alu instid0(VALU_DEP_2) | instskip(NEXT) | instid1(VALU_DEP_2)
	v_fma_f64 v[132:133], v[218:219], v[216:217], -v[132:133]
	v_fma_f64 v[212:213], v[220:221], v[216:217], v[212:213]
	ds_load_2addr_b64 v[218:221], v214 offset0:106 offset1:107
	v_add_f64 v[20:21], v[20:21], -v[132:133]
	v_add_f64 v[22:23], v[22:23], -v[212:213]
	s_waitcnt lgkmcnt(0)
	v_mul_f64 v[132:133], v[220:221], v[134:135]
	v_mul_f64 v[212:213], v[218:219], v[134:135]
	s_delay_alu instid0(VALU_DEP_2) | instskip(NEXT) | instid1(VALU_DEP_2)
	v_fma_f64 v[132:133], v[218:219], v[216:217], -v[132:133]
	v_fma_f64 v[212:213], v[220:221], v[216:217], v[212:213]
	ds_load_2addr_b64 v[218:221], v214 offset0:108 offset1:109
	v_add_f64 v[16:17], v[16:17], -v[132:133]
	v_add_f64 v[18:19], v[18:19], -v[212:213]
	s_waitcnt lgkmcnt(0)
	v_mul_f64 v[132:133], v[220:221], v[134:135]
	v_mul_f64 v[212:213], v[218:219], v[134:135]
	s_delay_alu instid0(VALU_DEP_2) | instskip(NEXT) | instid1(VALU_DEP_2)
	v_fma_f64 v[132:133], v[218:219], v[216:217], -v[132:133]
	v_fma_f64 v[212:213], v[220:221], v[216:217], v[212:213]
	ds_load_2addr_b64 v[218:221], v214 offset0:110 offset1:111
	v_add_f64 v[12:13], v[12:13], -v[132:133]
	v_add_f64 v[14:15], v[14:15], -v[212:213]
	s_waitcnt lgkmcnt(0)
	v_mul_f64 v[132:133], v[220:221], v[134:135]
	v_mul_f64 v[212:213], v[218:219], v[134:135]
	s_delay_alu instid0(VALU_DEP_2) | instskip(NEXT) | instid1(VALU_DEP_2)
	v_fma_f64 v[132:133], v[218:219], v[216:217], -v[132:133]
	v_fma_f64 v[212:213], v[220:221], v[216:217], v[212:213]
	ds_load_2addr_b64 v[218:221], v214 offset0:112 offset1:113
	v_add_f64 v[8:9], v[8:9], -v[132:133]
	v_add_f64 v[10:11], v[10:11], -v[212:213]
	s_waitcnt lgkmcnt(0)
	v_mul_f64 v[132:133], v[220:221], v[134:135]
	v_mul_f64 v[212:213], v[218:219], v[134:135]
	s_delay_alu instid0(VALU_DEP_2) | instskip(NEXT) | instid1(VALU_DEP_2)
	v_fma_f64 v[132:133], v[218:219], v[216:217], -v[132:133]
	v_fma_f64 v[212:213], v[220:221], v[216:217], v[212:213]
	ds_load_2addr_b64 v[218:221], v214 offset0:114 offset1:115
	v_add_f64 v[4:5], v[4:5], -v[132:133]
	v_add_f64 v[6:7], v[6:7], -v[212:213]
	s_waitcnt lgkmcnt(0)
	v_mul_f64 v[132:133], v[220:221], v[134:135]
	v_mul_f64 v[212:213], v[218:219], v[134:135]
	s_delay_alu instid0(VALU_DEP_2) | instskip(NEXT) | instid1(VALU_DEP_2)
	v_fma_f64 v[132:133], v[218:219], v[216:217], -v[132:133]
	v_fma_f64 v[212:213], v[220:221], v[216:217], v[212:213]
	s_delay_alu instid0(VALU_DEP_2) | instskip(NEXT) | instid1(VALU_DEP_2)
	v_add_f64 v[0:1], v[0:1], -v[132:133]
	v_add_f64 v[2:3], v[2:3], -v[212:213]
	v_dual_mov_b32 v132, v216 :: v_dual_mov_b32 v133, v217
.LBB115_226:
	s_or_b32 exec_lo, exec_lo, s3
	s_delay_alu instid0(SALU_CYCLE_1)
	s_mov_b32 s4, exec_lo
	s_waitcnt_vscnt null, 0x0
	s_barrier
	buffer_gl0_inv
	v_cmpx_eq_u32_e32 25, v208
	s_cbranch_execz .LBB115_233
; %bb.227:
	ds_store_2addr_b64 v209, v[128:129], v[130:131] offset1:1
	ds_store_2addr_b64 v214, v[124:125], v[126:127] offset0:52 offset1:53
	ds_store_2addr_b64 v214, v[120:121], v[122:123] offset0:54 offset1:55
	;; [unrolled: 1-line block ×32, first 2 shown]
	ds_load_2addr_b64 v[216:219], v209 offset1:1
	s_waitcnt lgkmcnt(0)
	v_cmp_neq_f64_e32 vcc_lo, 0, v[216:217]
	v_cmp_neq_f64_e64 s3, 0, v[218:219]
	s_delay_alu instid0(VALU_DEP_1) | instskip(NEXT) | instid1(SALU_CYCLE_1)
	s_or_b32 s3, vcc_lo, s3
	s_and_b32 exec_lo, exec_lo, s3
	s_cbranch_execz .LBB115_233
; %bb.228:
	v_cmp_gt_f64_e32 vcc_lo, 0, v[216:217]
	v_xor_b32_e32 v212, 0x80000000, v217
	v_xor_b32_e32 v215, 0x80000000, v219
	s_delay_alu instid0(VALU_DEP_2) | instskip(SKIP_2) | instid1(VALU_DEP_4)
	v_cndmask_b32_e32 v213, v217, v212, vcc_lo
	v_cndmask_b32_e32 v212, v216, v216, vcc_lo
	v_cmp_gt_f64_e32 vcc_lo, 0, v[218:219]
	v_dual_cndmask_b32 v221, v219, v215 :: v_dual_cndmask_b32 v220, v218, v218
	s_delay_alu instid0(VALU_DEP_1) | instskip(SKIP_1) | instid1(SALU_CYCLE_1)
	v_cmp_ngt_f64_e32 vcc_lo, v[212:213], v[220:221]
                                        ; implicit-def: $vgpr212_vgpr213
	s_and_saveexec_b32 s3, vcc_lo
	s_xor_b32 s3, exec_lo, s3
                                        ; implicit-def: $vgpr220_vgpr221_vgpr222_vgpr223
	s_cbranch_execz .LBB115_230
; %bb.229:
	v_div_scale_f64 v[212:213], null, v[218:219], v[218:219], v[216:217]
	v_div_scale_f64 v[224:225], vcc_lo, v[216:217], v[218:219], v[216:217]
	s_delay_alu instid0(VALU_DEP_2) | instskip(SKIP_2) | instid1(VALU_DEP_1)
	v_rcp_f64_e32 v[220:221], v[212:213]
	s_waitcnt_depctr 0xfff
	v_fma_f64 v[222:223], -v[212:213], v[220:221], 1.0
	v_fma_f64 v[220:221], v[220:221], v[222:223], v[220:221]
	s_delay_alu instid0(VALU_DEP_1) | instskip(NEXT) | instid1(VALU_DEP_1)
	v_fma_f64 v[222:223], -v[212:213], v[220:221], 1.0
	v_fma_f64 v[220:221], v[220:221], v[222:223], v[220:221]
	s_delay_alu instid0(VALU_DEP_1) | instskip(NEXT) | instid1(VALU_DEP_1)
	v_mul_f64 v[222:223], v[224:225], v[220:221]
	v_fma_f64 v[212:213], -v[212:213], v[222:223], v[224:225]
	s_delay_alu instid0(VALU_DEP_1) | instskip(NEXT) | instid1(VALU_DEP_1)
	v_div_fmas_f64 v[212:213], v[212:213], v[220:221], v[222:223]
	v_div_fixup_f64 v[212:213], v[212:213], v[218:219], v[216:217]
	s_delay_alu instid0(VALU_DEP_1) | instskip(NEXT) | instid1(VALU_DEP_1)
	v_fma_f64 v[216:217], v[216:217], v[212:213], v[218:219]
	v_div_scale_f64 v[218:219], null, v[216:217], v[216:217], 1.0
	s_delay_alu instid0(VALU_DEP_1) | instskip(SKIP_2) | instid1(VALU_DEP_1)
	v_rcp_f64_e32 v[220:221], v[218:219]
	s_waitcnt_depctr 0xfff
	v_fma_f64 v[222:223], -v[218:219], v[220:221], 1.0
	v_fma_f64 v[220:221], v[220:221], v[222:223], v[220:221]
	s_delay_alu instid0(VALU_DEP_1) | instskip(NEXT) | instid1(VALU_DEP_1)
	v_fma_f64 v[222:223], -v[218:219], v[220:221], 1.0
	v_fma_f64 v[220:221], v[220:221], v[222:223], v[220:221]
	v_div_scale_f64 v[222:223], vcc_lo, 1.0, v[216:217], 1.0
	s_delay_alu instid0(VALU_DEP_1) | instskip(NEXT) | instid1(VALU_DEP_1)
	v_mul_f64 v[224:225], v[222:223], v[220:221]
	v_fma_f64 v[218:219], -v[218:219], v[224:225], v[222:223]
	s_delay_alu instid0(VALU_DEP_1) | instskip(NEXT) | instid1(VALU_DEP_1)
	v_div_fmas_f64 v[218:219], v[218:219], v[220:221], v[224:225]
	v_div_fixup_f64 v[222:223], v[218:219], v[216:217], 1.0
                                        ; implicit-def: $vgpr216_vgpr217
	s_delay_alu instid0(VALU_DEP_1)
	v_mul_f64 v[212:213], v[212:213], v[222:223]
	v_xor_b32_e32 v223, 0x80000000, v223
.LBB115_230:
	s_and_not1_saveexec_b32 s3, s3
	s_cbranch_execz .LBB115_232
; %bb.231:
	v_div_scale_f64 v[212:213], null, v[216:217], v[216:217], v[218:219]
	v_div_scale_f64 v[224:225], vcc_lo, v[218:219], v[216:217], v[218:219]
	s_delay_alu instid0(VALU_DEP_2) | instskip(SKIP_2) | instid1(VALU_DEP_1)
	v_rcp_f64_e32 v[220:221], v[212:213]
	s_waitcnt_depctr 0xfff
	v_fma_f64 v[222:223], -v[212:213], v[220:221], 1.0
	v_fma_f64 v[220:221], v[220:221], v[222:223], v[220:221]
	s_delay_alu instid0(VALU_DEP_1) | instskip(NEXT) | instid1(VALU_DEP_1)
	v_fma_f64 v[222:223], -v[212:213], v[220:221], 1.0
	v_fma_f64 v[220:221], v[220:221], v[222:223], v[220:221]
	s_delay_alu instid0(VALU_DEP_1) | instskip(NEXT) | instid1(VALU_DEP_1)
	v_mul_f64 v[222:223], v[224:225], v[220:221]
	v_fma_f64 v[212:213], -v[212:213], v[222:223], v[224:225]
	s_delay_alu instid0(VALU_DEP_1) | instskip(NEXT) | instid1(VALU_DEP_1)
	v_div_fmas_f64 v[212:213], v[212:213], v[220:221], v[222:223]
	v_div_fixup_f64 v[220:221], v[212:213], v[216:217], v[218:219]
	s_delay_alu instid0(VALU_DEP_1) | instskip(NEXT) | instid1(VALU_DEP_1)
	v_fma_f64 v[212:213], v[218:219], v[220:221], v[216:217]
	v_div_scale_f64 v[216:217], null, v[212:213], v[212:213], 1.0
	s_delay_alu instid0(VALU_DEP_1) | instskip(SKIP_2) | instid1(VALU_DEP_1)
	v_rcp_f64_e32 v[218:219], v[216:217]
	s_waitcnt_depctr 0xfff
	v_fma_f64 v[222:223], -v[216:217], v[218:219], 1.0
	v_fma_f64 v[218:219], v[218:219], v[222:223], v[218:219]
	s_delay_alu instid0(VALU_DEP_1) | instskip(NEXT) | instid1(VALU_DEP_1)
	v_fma_f64 v[222:223], -v[216:217], v[218:219], 1.0
	v_fma_f64 v[218:219], v[218:219], v[222:223], v[218:219]
	v_div_scale_f64 v[222:223], vcc_lo, 1.0, v[212:213], 1.0
	s_delay_alu instid0(VALU_DEP_1) | instskip(NEXT) | instid1(VALU_DEP_1)
	v_mul_f64 v[224:225], v[222:223], v[218:219]
	v_fma_f64 v[216:217], -v[216:217], v[224:225], v[222:223]
	s_delay_alu instid0(VALU_DEP_1) | instskip(NEXT) | instid1(VALU_DEP_1)
	v_div_fmas_f64 v[216:217], v[216:217], v[218:219], v[224:225]
	v_div_fixup_f64 v[212:213], v[216:217], v[212:213], 1.0
	s_delay_alu instid0(VALU_DEP_1)
	v_mul_f64 v[222:223], v[220:221], -v[212:213]
.LBB115_232:
	s_or_b32 exec_lo, exec_lo, s3
	ds_store_2addr_b64 v209, v[212:213], v[222:223] offset1:1
.LBB115_233:
	s_or_b32 exec_lo, exec_lo, s4
	s_waitcnt lgkmcnt(0)
	s_barrier
	buffer_gl0_inv
	ds_load_2addr_b64 v[204:207], v209 offset1:1
	s_mov_b32 s3, exec_lo
	s_waitcnt lgkmcnt(0)
	scratch_store_b128 off, v[204:207], off offset:964 ; 16-byte Folded Spill
	v_cmpx_lt_u32_e32 25, v208
	s_cbranch_execz .LBB115_235
; %bb.234:
	scratch_load_b128 v[204:207], off, off offset:964 ; 16-byte Folded Reload
	ds_load_2addr_b64 v[218:221], v214 offset0:52 offset1:53
	s_waitcnt vmcnt(0)
	v_mul_f64 v[212:213], v[206:207], v[130:131]
	v_mul_f64 v[130:131], v[204:205], v[130:131]
	s_delay_alu instid0(VALU_DEP_2) | instskip(NEXT) | instid1(VALU_DEP_2)
	v_fma_f64 v[216:217], v[204:205], v[128:129], -v[212:213]
	v_fma_f64 v[130:131], v[206:207], v[128:129], v[130:131]
	s_waitcnt lgkmcnt(0)
	s_delay_alu instid0(VALU_DEP_1) | instskip(SKIP_1) | instid1(VALU_DEP_2)
	v_mul_f64 v[128:129], v[220:221], v[130:131]
	v_mul_f64 v[212:213], v[218:219], v[130:131]
	v_fma_f64 v[128:129], v[218:219], v[216:217], -v[128:129]
	s_delay_alu instid0(VALU_DEP_2)
	v_fma_f64 v[212:213], v[220:221], v[216:217], v[212:213]
	ds_load_2addr_b64 v[218:221], v214 offset0:54 offset1:55
	v_add_f64 v[124:125], v[124:125], -v[128:129]
	v_add_f64 v[126:127], v[126:127], -v[212:213]
	s_waitcnt lgkmcnt(0)
	v_mul_f64 v[128:129], v[220:221], v[130:131]
	v_mul_f64 v[212:213], v[218:219], v[130:131]
	s_delay_alu instid0(VALU_DEP_2) | instskip(NEXT) | instid1(VALU_DEP_2)
	v_fma_f64 v[128:129], v[218:219], v[216:217], -v[128:129]
	v_fma_f64 v[212:213], v[220:221], v[216:217], v[212:213]
	ds_load_2addr_b64 v[218:221], v214 offset0:56 offset1:57
	v_add_f64 v[120:121], v[120:121], -v[128:129]
	v_add_f64 v[122:123], v[122:123], -v[212:213]
	s_waitcnt lgkmcnt(0)
	v_mul_f64 v[128:129], v[220:221], v[130:131]
	v_mul_f64 v[212:213], v[218:219], v[130:131]
	s_delay_alu instid0(VALU_DEP_2) | instskip(NEXT) | instid1(VALU_DEP_2)
	v_fma_f64 v[128:129], v[218:219], v[216:217], -v[128:129]
	;; [unrolled: 9-line block ×31, first 2 shown]
	v_fma_f64 v[212:213], v[220:221], v[216:217], v[212:213]
	s_delay_alu instid0(VALU_DEP_2) | instskip(NEXT) | instid1(VALU_DEP_2)
	v_add_f64 v[0:1], v[0:1], -v[128:129]
	v_add_f64 v[2:3], v[2:3], -v[212:213]
	v_dual_mov_b32 v128, v216 :: v_dual_mov_b32 v129, v217
.LBB115_235:
	s_or_b32 exec_lo, exec_lo, s3
	s_delay_alu instid0(SALU_CYCLE_1)
	s_mov_b32 s4, exec_lo
	s_waitcnt_vscnt null, 0x0
	s_barrier
	buffer_gl0_inv
	v_cmpx_eq_u32_e32 26, v208
	s_cbranch_execz .LBB115_242
; %bb.236:
	ds_store_2addr_b64 v209, v[124:125], v[126:127] offset1:1
	ds_store_2addr_b64 v214, v[120:121], v[122:123] offset0:54 offset1:55
	ds_store_2addr_b64 v214, v[116:117], v[118:119] offset0:56 offset1:57
	;; [unrolled: 1-line block ×31, first 2 shown]
	ds_load_2addr_b64 v[216:219], v209 offset1:1
	s_waitcnt lgkmcnt(0)
	v_cmp_neq_f64_e32 vcc_lo, 0, v[216:217]
	v_cmp_neq_f64_e64 s3, 0, v[218:219]
	s_delay_alu instid0(VALU_DEP_1) | instskip(NEXT) | instid1(SALU_CYCLE_1)
	s_or_b32 s3, vcc_lo, s3
	s_and_b32 exec_lo, exec_lo, s3
	s_cbranch_execz .LBB115_242
; %bb.237:
	v_cmp_gt_f64_e32 vcc_lo, 0, v[216:217]
	v_xor_b32_e32 v212, 0x80000000, v217
	v_xor_b32_e32 v215, 0x80000000, v219
	s_delay_alu instid0(VALU_DEP_2) | instskip(SKIP_2) | instid1(VALU_DEP_4)
	v_cndmask_b32_e32 v213, v217, v212, vcc_lo
	v_cndmask_b32_e32 v212, v216, v216, vcc_lo
	v_cmp_gt_f64_e32 vcc_lo, 0, v[218:219]
	v_dual_cndmask_b32 v221, v219, v215 :: v_dual_cndmask_b32 v220, v218, v218
	s_delay_alu instid0(VALU_DEP_1) | instskip(SKIP_1) | instid1(SALU_CYCLE_1)
	v_cmp_ngt_f64_e32 vcc_lo, v[212:213], v[220:221]
                                        ; implicit-def: $vgpr212_vgpr213
	s_and_saveexec_b32 s3, vcc_lo
	s_xor_b32 s3, exec_lo, s3
                                        ; implicit-def: $vgpr220_vgpr221_vgpr222_vgpr223
	s_cbranch_execz .LBB115_239
; %bb.238:
	v_div_scale_f64 v[212:213], null, v[218:219], v[218:219], v[216:217]
	v_div_scale_f64 v[224:225], vcc_lo, v[216:217], v[218:219], v[216:217]
	s_delay_alu instid0(VALU_DEP_2) | instskip(SKIP_2) | instid1(VALU_DEP_1)
	v_rcp_f64_e32 v[220:221], v[212:213]
	s_waitcnt_depctr 0xfff
	v_fma_f64 v[222:223], -v[212:213], v[220:221], 1.0
	v_fma_f64 v[220:221], v[220:221], v[222:223], v[220:221]
	s_delay_alu instid0(VALU_DEP_1) | instskip(NEXT) | instid1(VALU_DEP_1)
	v_fma_f64 v[222:223], -v[212:213], v[220:221], 1.0
	v_fma_f64 v[220:221], v[220:221], v[222:223], v[220:221]
	s_delay_alu instid0(VALU_DEP_1) | instskip(NEXT) | instid1(VALU_DEP_1)
	v_mul_f64 v[222:223], v[224:225], v[220:221]
	v_fma_f64 v[212:213], -v[212:213], v[222:223], v[224:225]
	s_delay_alu instid0(VALU_DEP_1) | instskip(NEXT) | instid1(VALU_DEP_1)
	v_div_fmas_f64 v[212:213], v[212:213], v[220:221], v[222:223]
	v_div_fixup_f64 v[212:213], v[212:213], v[218:219], v[216:217]
	s_delay_alu instid0(VALU_DEP_1) | instskip(NEXT) | instid1(VALU_DEP_1)
	v_fma_f64 v[216:217], v[216:217], v[212:213], v[218:219]
	v_div_scale_f64 v[218:219], null, v[216:217], v[216:217], 1.0
	s_delay_alu instid0(VALU_DEP_1) | instskip(SKIP_2) | instid1(VALU_DEP_1)
	v_rcp_f64_e32 v[220:221], v[218:219]
	s_waitcnt_depctr 0xfff
	v_fma_f64 v[222:223], -v[218:219], v[220:221], 1.0
	v_fma_f64 v[220:221], v[220:221], v[222:223], v[220:221]
	s_delay_alu instid0(VALU_DEP_1) | instskip(NEXT) | instid1(VALU_DEP_1)
	v_fma_f64 v[222:223], -v[218:219], v[220:221], 1.0
	v_fma_f64 v[220:221], v[220:221], v[222:223], v[220:221]
	v_div_scale_f64 v[222:223], vcc_lo, 1.0, v[216:217], 1.0
	s_delay_alu instid0(VALU_DEP_1) | instskip(NEXT) | instid1(VALU_DEP_1)
	v_mul_f64 v[224:225], v[222:223], v[220:221]
	v_fma_f64 v[218:219], -v[218:219], v[224:225], v[222:223]
	s_delay_alu instid0(VALU_DEP_1) | instskip(NEXT) | instid1(VALU_DEP_1)
	v_div_fmas_f64 v[218:219], v[218:219], v[220:221], v[224:225]
	v_div_fixup_f64 v[222:223], v[218:219], v[216:217], 1.0
                                        ; implicit-def: $vgpr216_vgpr217
	s_delay_alu instid0(VALU_DEP_1)
	v_mul_f64 v[212:213], v[212:213], v[222:223]
	v_xor_b32_e32 v223, 0x80000000, v223
.LBB115_239:
	s_and_not1_saveexec_b32 s3, s3
	s_cbranch_execz .LBB115_241
; %bb.240:
	v_div_scale_f64 v[212:213], null, v[216:217], v[216:217], v[218:219]
	v_div_scale_f64 v[224:225], vcc_lo, v[218:219], v[216:217], v[218:219]
	s_delay_alu instid0(VALU_DEP_2) | instskip(SKIP_2) | instid1(VALU_DEP_1)
	v_rcp_f64_e32 v[220:221], v[212:213]
	s_waitcnt_depctr 0xfff
	v_fma_f64 v[222:223], -v[212:213], v[220:221], 1.0
	v_fma_f64 v[220:221], v[220:221], v[222:223], v[220:221]
	s_delay_alu instid0(VALU_DEP_1) | instskip(NEXT) | instid1(VALU_DEP_1)
	v_fma_f64 v[222:223], -v[212:213], v[220:221], 1.0
	v_fma_f64 v[220:221], v[220:221], v[222:223], v[220:221]
	s_delay_alu instid0(VALU_DEP_1) | instskip(NEXT) | instid1(VALU_DEP_1)
	v_mul_f64 v[222:223], v[224:225], v[220:221]
	v_fma_f64 v[212:213], -v[212:213], v[222:223], v[224:225]
	s_delay_alu instid0(VALU_DEP_1) | instskip(NEXT) | instid1(VALU_DEP_1)
	v_div_fmas_f64 v[212:213], v[212:213], v[220:221], v[222:223]
	v_div_fixup_f64 v[220:221], v[212:213], v[216:217], v[218:219]
	s_delay_alu instid0(VALU_DEP_1) | instskip(NEXT) | instid1(VALU_DEP_1)
	v_fma_f64 v[212:213], v[218:219], v[220:221], v[216:217]
	v_div_scale_f64 v[216:217], null, v[212:213], v[212:213], 1.0
	s_delay_alu instid0(VALU_DEP_1) | instskip(SKIP_2) | instid1(VALU_DEP_1)
	v_rcp_f64_e32 v[218:219], v[216:217]
	s_waitcnt_depctr 0xfff
	v_fma_f64 v[222:223], -v[216:217], v[218:219], 1.0
	v_fma_f64 v[218:219], v[218:219], v[222:223], v[218:219]
	s_delay_alu instid0(VALU_DEP_1) | instskip(NEXT) | instid1(VALU_DEP_1)
	v_fma_f64 v[222:223], -v[216:217], v[218:219], 1.0
	v_fma_f64 v[218:219], v[218:219], v[222:223], v[218:219]
	v_div_scale_f64 v[222:223], vcc_lo, 1.0, v[212:213], 1.0
	s_delay_alu instid0(VALU_DEP_1) | instskip(NEXT) | instid1(VALU_DEP_1)
	v_mul_f64 v[224:225], v[222:223], v[218:219]
	v_fma_f64 v[216:217], -v[216:217], v[224:225], v[222:223]
	s_delay_alu instid0(VALU_DEP_1) | instskip(NEXT) | instid1(VALU_DEP_1)
	v_div_fmas_f64 v[216:217], v[216:217], v[218:219], v[224:225]
	v_div_fixup_f64 v[212:213], v[216:217], v[212:213], 1.0
	s_delay_alu instid0(VALU_DEP_1)
	v_mul_f64 v[222:223], v[220:221], -v[212:213]
.LBB115_241:
	s_or_b32 exec_lo, exec_lo, s3
	ds_store_2addr_b64 v209, v[212:213], v[222:223] offset1:1
.LBB115_242:
	s_or_b32 exec_lo, exec_lo, s4
	s_waitcnt lgkmcnt(0)
	s_barrier
	buffer_gl0_inv
	ds_load_2addr_b64 v[204:207], v209 offset1:1
	s_mov_b32 s3, exec_lo
	s_waitcnt lgkmcnt(0)
	scratch_store_b128 off, v[204:207], off offset:980 ; 16-byte Folded Spill
	v_cmpx_lt_u32_e32 26, v208
	s_cbranch_execz .LBB115_244
; %bb.243:
	scratch_load_b128 v[204:207], off, off offset:980 ; 16-byte Folded Reload
	ds_load_2addr_b64 v[218:221], v214 offset0:54 offset1:55
	s_waitcnt vmcnt(0)
	v_mul_f64 v[212:213], v[206:207], v[126:127]
	v_mul_f64 v[126:127], v[204:205], v[126:127]
	s_delay_alu instid0(VALU_DEP_2) | instskip(NEXT) | instid1(VALU_DEP_2)
	v_fma_f64 v[216:217], v[204:205], v[124:125], -v[212:213]
	v_fma_f64 v[126:127], v[206:207], v[124:125], v[126:127]
	s_waitcnt lgkmcnt(0)
	s_delay_alu instid0(VALU_DEP_1) | instskip(SKIP_1) | instid1(VALU_DEP_2)
	v_mul_f64 v[124:125], v[220:221], v[126:127]
	v_mul_f64 v[212:213], v[218:219], v[126:127]
	v_fma_f64 v[124:125], v[218:219], v[216:217], -v[124:125]
	s_delay_alu instid0(VALU_DEP_2)
	v_fma_f64 v[212:213], v[220:221], v[216:217], v[212:213]
	ds_load_2addr_b64 v[218:221], v214 offset0:56 offset1:57
	v_add_f64 v[120:121], v[120:121], -v[124:125]
	v_add_f64 v[122:123], v[122:123], -v[212:213]
	s_waitcnt lgkmcnt(0)
	v_mul_f64 v[124:125], v[220:221], v[126:127]
	v_mul_f64 v[212:213], v[218:219], v[126:127]
	s_delay_alu instid0(VALU_DEP_2) | instskip(NEXT) | instid1(VALU_DEP_2)
	v_fma_f64 v[124:125], v[218:219], v[216:217], -v[124:125]
	v_fma_f64 v[212:213], v[220:221], v[216:217], v[212:213]
	ds_load_2addr_b64 v[218:221], v214 offset0:58 offset1:59
	v_add_f64 v[116:117], v[116:117], -v[124:125]
	v_add_f64 v[118:119], v[118:119], -v[212:213]
	s_waitcnt lgkmcnt(0)
	v_mul_f64 v[124:125], v[220:221], v[126:127]
	v_mul_f64 v[212:213], v[218:219], v[126:127]
	s_delay_alu instid0(VALU_DEP_2) | instskip(NEXT) | instid1(VALU_DEP_2)
	v_fma_f64 v[124:125], v[218:219], v[216:217], -v[124:125]
	;; [unrolled: 9-line block ×30, first 2 shown]
	v_fma_f64 v[212:213], v[220:221], v[216:217], v[212:213]
	s_delay_alu instid0(VALU_DEP_2) | instskip(NEXT) | instid1(VALU_DEP_2)
	v_add_f64 v[0:1], v[0:1], -v[124:125]
	v_add_f64 v[2:3], v[2:3], -v[212:213]
	v_dual_mov_b32 v124, v216 :: v_dual_mov_b32 v125, v217
.LBB115_244:
	s_or_b32 exec_lo, exec_lo, s3
	s_delay_alu instid0(SALU_CYCLE_1)
	s_mov_b32 s4, exec_lo
	s_waitcnt_vscnt null, 0x0
	s_barrier
	buffer_gl0_inv
	v_cmpx_eq_u32_e32 27, v208
	s_cbranch_execz .LBB115_251
; %bb.245:
	ds_store_2addr_b64 v209, v[120:121], v[122:123] offset1:1
	ds_store_2addr_b64 v214, v[116:117], v[118:119] offset0:56 offset1:57
	ds_store_2addr_b64 v214, v[112:113], v[114:115] offset0:58 offset1:59
	;; [unrolled: 1-line block ×30, first 2 shown]
	ds_load_2addr_b64 v[216:219], v209 offset1:1
	s_waitcnt lgkmcnt(0)
	v_cmp_neq_f64_e32 vcc_lo, 0, v[216:217]
	v_cmp_neq_f64_e64 s3, 0, v[218:219]
	s_delay_alu instid0(VALU_DEP_1) | instskip(NEXT) | instid1(SALU_CYCLE_1)
	s_or_b32 s3, vcc_lo, s3
	s_and_b32 exec_lo, exec_lo, s3
	s_cbranch_execz .LBB115_251
; %bb.246:
	v_cmp_gt_f64_e32 vcc_lo, 0, v[216:217]
	v_xor_b32_e32 v212, 0x80000000, v217
	v_xor_b32_e32 v215, 0x80000000, v219
	s_delay_alu instid0(VALU_DEP_2) | instskip(SKIP_2) | instid1(VALU_DEP_4)
	v_cndmask_b32_e32 v213, v217, v212, vcc_lo
	v_cndmask_b32_e32 v212, v216, v216, vcc_lo
	v_cmp_gt_f64_e32 vcc_lo, 0, v[218:219]
	v_dual_cndmask_b32 v221, v219, v215 :: v_dual_cndmask_b32 v220, v218, v218
	s_delay_alu instid0(VALU_DEP_1) | instskip(SKIP_1) | instid1(SALU_CYCLE_1)
	v_cmp_ngt_f64_e32 vcc_lo, v[212:213], v[220:221]
                                        ; implicit-def: $vgpr212_vgpr213
	s_and_saveexec_b32 s3, vcc_lo
	s_xor_b32 s3, exec_lo, s3
                                        ; implicit-def: $vgpr220_vgpr221_vgpr222_vgpr223
	s_cbranch_execz .LBB115_248
; %bb.247:
	v_div_scale_f64 v[212:213], null, v[218:219], v[218:219], v[216:217]
	v_div_scale_f64 v[224:225], vcc_lo, v[216:217], v[218:219], v[216:217]
	s_delay_alu instid0(VALU_DEP_2) | instskip(SKIP_2) | instid1(VALU_DEP_1)
	v_rcp_f64_e32 v[220:221], v[212:213]
	s_waitcnt_depctr 0xfff
	v_fma_f64 v[222:223], -v[212:213], v[220:221], 1.0
	v_fma_f64 v[220:221], v[220:221], v[222:223], v[220:221]
	s_delay_alu instid0(VALU_DEP_1) | instskip(NEXT) | instid1(VALU_DEP_1)
	v_fma_f64 v[222:223], -v[212:213], v[220:221], 1.0
	v_fma_f64 v[220:221], v[220:221], v[222:223], v[220:221]
	s_delay_alu instid0(VALU_DEP_1) | instskip(NEXT) | instid1(VALU_DEP_1)
	v_mul_f64 v[222:223], v[224:225], v[220:221]
	v_fma_f64 v[212:213], -v[212:213], v[222:223], v[224:225]
	s_delay_alu instid0(VALU_DEP_1) | instskip(NEXT) | instid1(VALU_DEP_1)
	v_div_fmas_f64 v[212:213], v[212:213], v[220:221], v[222:223]
	v_div_fixup_f64 v[212:213], v[212:213], v[218:219], v[216:217]
	s_delay_alu instid0(VALU_DEP_1) | instskip(NEXT) | instid1(VALU_DEP_1)
	v_fma_f64 v[216:217], v[216:217], v[212:213], v[218:219]
	v_div_scale_f64 v[218:219], null, v[216:217], v[216:217], 1.0
	s_delay_alu instid0(VALU_DEP_1) | instskip(SKIP_2) | instid1(VALU_DEP_1)
	v_rcp_f64_e32 v[220:221], v[218:219]
	s_waitcnt_depctr 0xfff
	v_fma_f64 v[222:223], -v[218:219], v[220:221], 1.0
	v_fma_f64 v[220:221], v[220:221], v[222:223], v[220:221]
	s_delay_alu instid0(VALU_DEP_1) | instskip(NEXT) | instid1(VALU_DEP_1)
	v_fma_f64 v[222:223], -v[218:219], v[220:221], 1.0
	v_fma_f64 v[220:221], v[220:221], v[222:223], v[220:221]
	v_div_scale_f64 v[222:223], vcc_lo, 1.0, v[216:217], 1.0
	s_delay_alu instid0(VALU_DEP_1) | instskip(NEXT) | instid1(VALU_DEP_1)
	v_mul_f64 v[224:225], v[222:223], v[220:221]
	v_fma_f64 v[218:219], -v[218:219], v[224:225], v[222:223]
	s_delay_alu instid0(VALU_DEP_1) | instskip(NEXT) | instid1(VALU_DEP_1)
	v_div_fmas_f64 v[218:219], v[218:219], v[220:221], v[224:225]
	v_div_fixup_f64 v[222:223], v[218:219], v[216:217], 1.0
                                        ; implicit-def: $vgpr216_vgpr217
	s_delay_alu instid0(VALU_DEP_1)
	v_mul_f64 v[212:213], v[212:213], v[222:223]
	v_xor_b32_e32 v223, 0x80000000, v223
.LBB115_248:
	s_and_not1_saveexec_b32 s3, s3
	s_cbranch_execz .LBB115_250
; %bb.249:
	v_div_scale_f64 v[212:213], null, v[216:217], v[216:217], v[218:219]
	v_div_scale_f64 v[224:225], vcc_lo, v[218:219], v[216:217], v[218:219]
	s_delay_alu instid0(VALU_DEP_2) | instskip(SKIP_2) | instid1(VALU_DEP_1)
	v_rcp_f64_e32 v[220:221], v[212:213]
	s_waitcnt_depctr 0xfff
	v_fma_f64 v[222:223], -v[212:213], v[220:221], 1.0
	v_fma_f64 v[220:221], v[220:221], v[222:223], v[220:221]
	s_delay_alu instid0(VALU_DEP_1) | instskip(NEXT) | instid1(VALU_DEP_1)
	v_fma_f64 v[222:223], -v[212:213], v[220:221], 1.0
	v_fma_f64 v[220:221], v[220:221], v[222:223], v[220:221]
	s_delay_alu instid0(VALU_DEP_1) | instskip(NEXT) | instid1(VALU_DEP_1)
	v_mul_f64 v[222:223], v[224:225], v[220:221]
	v_fma_f64 v[212:213], -v[212:213], v[222:223], v[224:225]
	s_delay_alu instid0(VALU_DEP_1) | instskip(NEXT) | instid1(VALU_DEP_1)
	v_div_fmas_f64 v[212:213], v[212:213], v[220:221], v[222:223]
	v_div_fixup_f64 v[220:221], v[212:213], v[216:217], v[218:219]
	s_delay_alu instid0(VALU_DEP_1) | instskip(NEXT) | instid1(VALU_DEP_1)
	v_fma_f64 v[212:213], v[218:219], v[220:221], v[216:217]
	v_div_scale_f64 v[216:217], null, v[212:213], v[212:213], 1.0
	s_delay_alu instid0(VALU_DEP_1) | instskip(SKIP_2) | instid1(VALU_DEP_1)
	v_rcp_f64_e32 v[218:219], v[216:217]
	s_waitcnt_depctr 0xfff
	v_fma_f64 v[222:223], -v[216:217], v[218:219], 1.0
	v_fma_f64 v[218:219], v[218:219], v[222:223], v[218:219]
	s_delay_alu instid0(VALU_DEP_1) | instskip(NEXT) | instid1(VALU_DEP_1)
	v_fma_f64 v[222:223], -v[216:217], v[218:219], 1.0
	v_fma_f64 v[218:219], v[218:219], v[222:223], v[218:219]
	v_div_scale_f64 v[222:223], vcc_lo, 1.0, v[212:213], 1.0
	s_delay_alu instid0(VALU_DEP_1) | instskip(NEXT) | instid1(VALU_DEP_1)
	v_mul_f64 v[224:225], v[222:223], v[218:219]
	v_fma_f64 v[216:217], -v[216:217], v[224:225], v[222:223]
	s_delay_alu instid0(VALU_DEP_1) | instskip(NEXT) | instid1(VALU_DEP_1)
	v_div_fmas_f64 v[216:217], v[216:217], v[218:219], v[224:225]
	v_div_fixup_f64 v[212:213], v[216:217], v[212:213], 1.0
	s_delay_alu instid0(VALU_DEP_1)
	v_mul_f64 v[222:223], v[220:221], -v[212:213]
.LBB115_250:
	s_or_b32 exec_lo, exec_lo, s3
	ds_store_2addr_b64 v209, v[212:213], v[222:223] offset1:1
.LBB115_251:
	s_or_b32 exec_lo, exec_lo, s4
	s_waitcnt lgkmcnt(0)
	s_barrier
	buffer_gl0_inv
	ds_load_2addr_b64 v[204:207], v209 offset1:1
	s_mov_b32 s3, exec_lo
	s_waitcnt lgkmcnt(0)
	scratch_store_b128 off, v[204:207], off offset:996 ; 16-byte Folded Spill
	v_cmpx_lt_u32_e32 27, v208
	s_cbranch_execz .LBB115_253
; %bb.252:
	scratch_load_b128 v[204:207], off, off offset:996 ; 16-byte Folded Reload
	ds_load_2addr_b64 v[218:221], v214 offset0:56 offset1:57
	s_waitcnt vmcnt(0)
	v_mul_f64 v[212:213], v[206:207], v[122:123]
	v_mul_f64 v[122:123], v[204:205], v[122:123]
	s_delay_alu instid0(VALU_DEP_2) | instskip(NEXT) | instid1(VALU_DEP_2)
	v_fma_f64 v[216:217], v[204:205], v[120:121], -v[212:213]
	v_fma_f64 v[122:123], v[206:207], v[120:121], v[122:123]
	s_waitcnt lgkmcnt(0)
	s_delay_alu instid0(VALU_DEP_1) | instskip(SKIP_1) | instid1(VALU_DEP_2)
	v_mul_f64 v[120:121], v[220:221], v[122:123]
	v_mul_f64 v[212:213], v[218:219], v[122:123]
	v_fma_f64 v[120:121], v[218:219], v[216:217], -v[120:121]
	s_delay_alu instid0(VALU_DEP_2)
	v_fma_f64 v[212:213], v[220:221], v[216:217], v[212:213]
	ds_load_2addr_b64 v[218:221], v214 offset0:58 offset1:59
	v_add_f64 v[116:117], v[116:117], -v[120:121]
	v_add_f64 v[118:119], v[118:119], -v[212:213]
	s_waitcnt lgkmcnt(0)
	v_mul_f64 v[120:121], v[220:221], v[122:123]
	v_mul_f64 v[212:213], v[218:219], v[122:123]
	s_delay_alu instid0(VALU_DEP_2) | instskip(NEXT) | instid1(VALU_DEP_2)
	v_fma_f64 v[120:121], v[218:219], v[216:217], -v[120:121]
	v_fma_f64 v[212:213], v[220:221], v[216:217], v[212:213]
	ds_load_2addr_b64 v[218:221], v214 offset0:60 offset1:61
	v_add_f64 v[112:113], v[112:113], -v[120:121]
	v_add_f64 v[114:115], v[114:115], -v[212:213]
	s_waitcnt lgkmcnt(0)
	v_mul_f64 v[120:121], v[220:221], v[122:123]
	v_mul_f64 v[212:213], v[218:219], v[122:123]
	s_delay_alu instid0(VALU_DEP_2) | instskip(NEXT) | instid1(VALU_DEP_2)
	v_fma_f64 v[120:121], v[218:219], v[216:217], -v[120:121]
	;; [unrolled: 9-line block ×29, first 2 shown]
	v_fma_f64 v[212:213], v[220:221], v[216:217], v[212:213]
	s_delay_alu instid0(VALU_DEP_2) | instskip(NEXT) | instid1(VALU_DEP_2)
	v_add_f64 v[0:1], v[0:1], -v[120:121]
	v_add_f64 v[2:3], v[2:3], -v[212:213]
	v_dual_mov_b32 v120, v216 :: v_dual_mov_b32 v121, v217
.LBB115_253:
	s_or_b32 exec_lo, exec_lo, s3
	s_delay_alu instid0(SALU_CYCLE_1)
	s_mov_b32 s4, exec_lo
	s_waitcnt_vscnt null, 0x0
	s_barrier
	buffer_gl0_inv
	v_cmpx_eq_u32_e32 28, v208
	s_cbranch_execz .LBB115_260
; %bb.254:
	ds_store_2addr_b64 v209, v[116:117], v[118:119] offset1:1
	ds_store_2addr_b64 v214, v[112:113], v[114:115] offset0:58 offset1:59
	ds_store_2addr_b64 v214, v[108:109], v[110:111] offset0:60 offset1:61
	;; [unrolled: 1-line block ×29, first 2 shown]
	ds_load_2addr_b64 v[216:219], v209 offset1:1
	s_waitcnt lgkmcnt(0)
	v_cmp_neq_f64_e32 vcc_lo, 0, v[216:217]
	v_cmp_neq_f64_e64 s3, 0, v[218:219]
	s_delay_alu instid0(VALU_DEP_1) | instskip(NEXT) | instid1(SALU_CYCLE_1)
	s_or_b32 s3, vcc_lo, s3
	s_and_b32 exec_lo, exec_lo, s3
	s_cbranch_execz .LBB115_260
; %bb.255:
	v_cmp_gt_f64_e32 vcc_lo, 0, v[216:217]
	v_xor_b32_e32 v212, 0x80000000, v217
	v_xor_b32_e32 v215, 0x80000000, v219
	s_delay_alu instid0(VALU_DEP_2) | instskip(SKIP_2) | instid1(VALU_DEP_4)
	v_cndmask_b32_e32 v213, v217, v212, vcc_lo
	v_cndmask_b32_e32 v212, v216, v216, vcc_lo
	v_cmp_gt_f64_e32 vcc_lo, 0, v[218:219]
	v_dual_cndmask_b32 v221, v219, v215 :: v_dual_cndmask_b32 v220, v218, v218
	s_delay_alu instid0(VALU_DEP_1) | instskip(SKIP_1) | instid1(SALU_CYCLE_1)
	v_cmp_ngt_f64_e32 vcc_lo, v[212:213], v[220:221]
                                        ; implicit-def: $vgpr212_vgpr213
	s_and_saveexec_b32 s3, vcc_lo
	s_xor_b32 s3, exec_lo, s3
                                        ; implicit-def: $vgpr220_vgpr221_vgpr222_vgpr223
	s_cbranch_execz .LBB115_257
; %bb.256:
	v_div_scale_f64 v[212:213], null, v[218:219], v[218:219], v[216:217]
	v_div_scale_f64 v[224:225], vcc_lo, v[216:217], v[218:219], v[216:217]
	s_delay_alu instid0(VALU_DEP_2) | instskip(SKIP_2) | instid1(VALU_DEP_1)
	v_rcp_f64_e32 v[220:221], v[212:213]
	s_waitcnt_depctr 0xfff
	v_fma_f64 v[222:223], -v[212:213], v[220:221], 1.0
	v_fma_f64 v[220:221], v[220:221], v[222:223], v[220:221]
	s_delay_alu instid0(VALU_DEP_1) | instskip(NEXT) | instid1(VALU_DEP_1)
	v_fma_f64 v[222:223], -v[212:213], v[220:221], 1.0
	v_fma_f64 v[220:221], v[220:221], v[222:223], v[220:221]
	s_delay_alu instid0(VALU_DEP_1) | instskip(NEXT) | instid1(VALU_DEP_1)
	v_mul_f64 v[222:223], v[224:225], v[220:221]
	v_fma_f64 v[212:213], -v[212:213], v[222:223], v[224:225]
	s_delay_alu instid0(VALU_DEP_1) | instskip(NEXT) | instid1(VALU_DEP_1)
	v_div_fmas_f64 v[212:213], v[212:213], v[220:221], v[222:223]
	v_div_fixup_f64 v[212:213], v[212:213], v[218:219], v[216:217]
	s_delay_alu instid0(VALU_DEP_1) | instskip(NEXT) | instid1(VALU_DEP_1)
	v_fma_f64 v[216:217], v[216:217], v[212:213], v[218:219]
	v_div_scale_f64 v[218:219], null, v[216:217], v[216:217], 1.0
	s_delay_alu instid0(VALU_DEP_1) | instskip(SKIP_2) | instid1(VALU_DEP_1)
	v_rcp_f64_e32 v[220:221], v[218:219]
	s_waitcnt_depctr 0xfff
	v_fma_f64 v[222:223], -v[218:219], v[220:221], 1.0
	v_fma_f64 v[220:221], v[220:221], v[222:223], v[220:221]
	s_delay_alu instid0(VALU_DEP_1) | instskip(NEXT) | instid1(VALU_DEP_1)
	v_fma_f64 v[222:223], -v[218:219], v[220:221], 1.0
	v_fma_f64 v[220:221], v[220:221], v[222:223], v[220:221]
	v_div_scale_f64 v[222:223], vcc_lo, 1.0, v[216:217], 1.0
	s_delay_alu instid0(VALU_DEP_1) | instskip(NEXT) | instid1(VALU_DEP_1)
	v_mul_f64 v[224:225], v[222:223], v[220:221]
	v_fma_f64 v[218:219], -v[218:219], v[224:225], v[222:223]
	s_delay_alu instid0(VALU_DEP_1) | instskip(NEXT) | instid1(VALU_DEP_1)
	v_div_fmas_f64 v[218:219], v[218:219], v[220:221], v[224:225]
	v_div_fixup_f64 v[222:223], v[218:219], v[216:217], 1.0
                                        ; implicit-def: $vgpr216_vgpr217
	s_delay_alu instid0(VALU_DEP_1)
	v_mul_f64 v[212:213], v[212:213], v[222:223]
	v_xor_b32_e32 v223, 0x80000000, v223
.LBB115_257:
	s_and_not1_saveexec_b32 s3, s3
	s_cbranch_execz .LBB115_259
; %bb.258:
	v_div_scale_f64 v[212:213], null, v[216:217], v[216:217], v[218:219]
	v_div_scale_f64 v[224:225], vcc_lo, v[218:219], v[216:217], v[218:219]
	s_delay_alu instid0(VALU_DEP_2) | instskip(SKIP_2) | instid1(VALU_DEP_1)
	v_rcp_f64_e32 v[220:221], v[212:213]
	s_waitcnt_depctr 0xfff
	v_fma_f64 v[222:223], -v[212:213], v[220:221], 1.0
	v_fma_f64 v[220:221], v[220:221], v[222:223], v[220:221]
	s_delay_alu instid0(VALU_DEP_1) | instskip(NEXT) | instid1(VALU_DEP_1)
	v_fma_f64 v[222:223], -v[212:213], v[220:221], 1.0
	v_fma_f64 v[220:221], v[220:221], v[222:223], v[220:221]
	s_delay_alu instid0(VALU_DEP_1) | instskip(NEXT) | instid1(VALU_DEP_1)
	v_mul_f64 v[222:223], v[224:225], v[220:221]
	v_fma_f64 v[212:213], -v[212:213], v[222:223], v[224:225]
	s_delay_alu instid0(VALU_DEP_1) | instskip(NEXT) | instid1(VALU_DEP_1)
	v_div_fmas_f64 v[212:213], v[212:213], v[220:221], v[222:223]
	v_div_fixup_f64 v[220:221], v[212:213], v[216:217], v[218:219]
	s_delay_alu instid0(VALU_DEP_1) | instskip(NEXT) | instid1(VALU_DEP_1)
	v_fma_f64 v[212:213], v[218:219], v[220:221], v[216:217]
	v_div_scale_f64 v[216:217], null, v[212:213], v[212:213], 1.0
	s_delay_alu instid0(VALU_DEP_1) | instskip(SKIP_2) | instid1(VALU_DEP_1)
	v_rcp_f64_e32 v[218:219], v[216:217]
	s_waitcnt_depctr 0xfff
	v_fma_f64 v[222:223], -v[216:217], v[218:219], 1.0
	v_fma_f64 v[218:219], v[218:219], v[222:223], v[218:219]
	s_delay_alu instid0(VALU_DEP_1) | instskip(NEXT) | instid1(VALU_DEP_1)
	v_fma_f64 v[222:223], -v[216:217], v[218:219], 1.0
	v_fma_f64 v[218:219], v[218:219], v[222:223], v[218:219]
	v_div_scale_f64 v[222:223], vcc_lo, 1.0, v[212:213], 1.0
	s_delay_alu instid0(VALU_DEP_1) | instskip(NEXT) | instid1(VALU_DEP_1)
	v_mul_f64 v[224:225], v[222:223], v[218:219]
	v_fma_f64 v[216:217], -v[216:217], v[224:225], v[222:223]
	s_delay_alu instid0(VALU_DEP_1) | instskip(NEXT) | instid1(VALU_DEP_1)
	v_div_fmas_f64 v[216:217], v[216:217], v[218:219], v[224:225]
	v_div_fixup_f64 v[212:213], v[216:217], v[212:213], 1.0
	s_delay_alu instid0(VALU_DEP_1)
	v_mul_f64 v[222:223], v[220:221], -v[212:213]
.LBB115_259:
	s_or_b32 exec_lo, exec_lo, s3
	ds_store_2addr_b64 v209, v[212:213], v[222:223] offset1:1
.LBB115_260:
	s_or_b32 exec_lo, exec_lo, s4
	s_waitcnt lgkmcnt(0)
	s_barrier
	buffer_gl0_inv
	ds_load_2addr_b64 v[204:207], v209 offset1:1
	s_mov_b32 s3, exec_lo
	s_waitcnt lgkmcnt(0)
	scratch_store_b128 off, v[204:207], off offset:1012 ; 16-byte Folded Spill
	v_cmpx_lt_u32_e32 28, v208
	s_cbranch_execz .LBB115_262
; %bb.261:
	scratch_load_b128 v[204:207], off, off offset:1012 ; 16-byte Folded Reload
	ds_load_2addr_b64 v[218:221], v214 offset0:58 offset1:59
	s_waitcnt vmcnt(0)
	v_mul_f64 v[212:213], v[206:207], v[118:119]
	v_mul_f64 v[118:119], v[204:205], v[118:119]
	s_delay_alu instid0(VALU_DEP_2) | instskip(NEXT) | instid1(VALU_DEP_2)
	v_fma_f64 v[216:217], v[204:205], v[116:117], -v[212:213]
	v_fma_f64 v[118:119], v[206:207], v[116:117], v[118:119]
	s_waitcnt lgkmcnt(0)
	s_delay_alu instid0(VALU_DEP_1) | instskip(SKIP_1) | instid1(VALU_DEP_2)
	v_mul_f64 v[116:117], v[220:221], v[118:119]
	v_mul_f64 v[212:213], v[218:219], v[118:119]
	v_fma_f64 v[116:117], v[218:219], v[216:217], -v[116:117]
	s_delay_alu instid0(VALU_DEP_2)
	v_fma_f64 v[212:213], v[220:221], v[216:217], v[212:213]
	ds_load_2addr_b64 v[218:221], v214 offset0:60 offset1:61
	v_add_f64 v[112:113], v[112:113], -v[116:117]
	v_add_f64 v[114:115], v[114:115], -v[212:213]
	s_waitcnt lgkmcnt(0)
	v_mul_f64 v[116:117], v[220:221], v[118:119]
	v_mul_f64 v[212:213], v[218:219], v[118:119]
	s_delay_alu instid0(VALU_DEP_2) | instskip(NEXT) | instid1(VALU_DEP_2)
	v_fma_f64 v[116:117], v[218:219], v[216:217], -v[116:117]
	v_fma_f64 v[212:213], v[220:221], v[216:217], v[212:213]
	ds_load_2addr_b64 v[218:221], v214 offset0:62 offset1:63
	v_add_f64 v[108:109], v[108:109], -v[116:117]
	v_add_f64 v[110:111], v[110:111], -v[212:213]
	s_waitcnt lgkmcnt(0)
	v_mul_f64 v[116:117], v[220:221], v[118:119]
	v_mul_f64 v[212:213], v[218:219], v[118:119]
	s_delay_alu instid0(VALU_DEP_2) | instskip(NEXT) | instid1(VALU_DEP_2)
	v_fma_f64 v[116:117], v[218:219], v[216:217], -v[116:117]
	;; [unrolled: 9-line block ×28, first 2 shown]
	v_fma_f64 v[212:213], v[220:221], v[216:217], v[212:213]
	s_delay_alu instid0(VALU_DEP_2) | instskip(NEXT) | instid1(VALU_DEP_2)
	v_add_f64 v[0:1], v[0:1], -v[116:117]
	v_add_f64 v[2:3], v[2:3], -v[212:213]
	v_dual_mov_b32 v116, v216 :: v_dual_mov_b32 v117, v217
.LBB115_262:
	s_or_b32 exec_lo, exec_lo, s3
	s_delay_alu instid0(SALU_CYCLE_1)
	s_mov_b32 s4, exec_lo
	s_waitcnt_vscnt null, 0x0
	s_barrier
	buffer_gl0_inv
	v_cmpx_eq_u32_e32 29, v208
	s_cbranch_execz .LBB115_269
; %bb.263:
	ds_store_2addr_b64 v209, v[112:113], v[114:115] offset1:1
	ds_store_2addr_b64 v214, v[108:109], v[110:111] offset0:60 offset1:61
	ds_store_2addr_b64 v214, v[104:105], v[106:107] offset0:62 offset1:63
	;; [unrolled: 1-line block ×28, first 2 shown]
	ds_load_2addr_b64 v[216:219], v209 offset1:1
	s_waitcnt lgkmcnt(0)
	v_cmp_neq_f64_e32 vcc_lo, 0, v[216:217]
	v_cmp_neq_f64_e64 s3, 0, v[218:219]
	s_delay_alu instid0(VALU_DEP_1) | instskip(NEXT) | instid1(SALU_CYCLE_1)
	s_or_b32 s3, vcc_lo, s3
	s_and_b32 exec_lo, exec_lo, s3
	s_cbranch_execz .LBB115_269
; %bb.264:
	v_cmp_gt_f64_e32 vcc_lo, 0, v[216:217]
	v_xor_b32_e32 v212, 0x80000000, v217
	v_xor_b32_e32 v215, 0x80000000, v219
	s_delay_alu instid0(VALU_DEP_2) | instskip(SKIP_2) | instid1(VALU_DEP_4)
	v_cndmask_b32_e32 v213, v217, v212, vcc_lo
	v_cndmask_b32_e32 v212, v216, v216, vcc_lo
	v_cmp_gt_f64_e32 vcc_lo, 0, v[218:219]
	v_dual_cndmask_b32 v221, v219, v215 :: v_dual_cndmask_b32 v220, v218, v218
	s_delay_alu instid0(VALU_DEP_1) | instskip(SKIP_1) | instid1(SALU_CYCLE_1)
	v_cmp_ngt_f64_e32 vcc_lo, v[212:213], v[220:221]
                                        ; implicit-def: $vgpr212_vgpr213
	s_and_saveexec_b32 s3, vcc_lo
	s_xor_b32 s3, exec_lo, s3
                                        ; implicit-def: $vgpr220_vgpr221_vgpr222_vgpr223
	s_cbranch_execz .LBB115_266
; %bb.265:
	v_div_scale_f64 v[212:213], null, v[218:219], v[218:219], v[216:217]
	v_div_scale_f64 v[224:225], vcc_lo, v[216:217], v[218:219], v[216:217]
	s_delay_alu instid0(VALU_DEP_2) | instskip(SKIP_2) | instid1(VALU_DEP_1)
	v_rcp_f64_e32 v[220:221], v[212:213]
	s_waitcnt_depctr 0xfff
	v_fma_f64 v[222:223], -v[212:213], v[220:221], 1.0
	v_fma_f64 v[220:221], v[220:221], v[222:223], v[220:221]
	s_delay_alu instid0(VALU_DEP_1) | instskip(NEXT) | instid1(VALU_DEP_1)
	v_fma_f64 v[222:223], -v[212:213], v[220:221], 1.0
	v_fma_f64 v[220:221], v[220:221], v[222:223], v[220:221]
	s_delay_alu instid0(VALU_DEP_1) | instskip(NEXT) | instid1(VALU_DEP_1)
	v_mul_f64 v[222:223], v[224:225], v[220:221]
	v_fma_f64 v[212:213], -v[212:213], v[222:223], v[224:225]
	s_delay_alu instid0(VALU_DEP_1) | instskip(NEXT) | instid1(VALU_DEP_1)
	v_div_fmas_f64 v[212:213], v[212:213], v[220:221], v[222:223]
	v_div_fixup_f64 v[212:213], v[212:213], v[218:219], v[216:217]
	s_delay_alu instid0(VALU_DEP_1) | instskip(NEXT) | instid1(VALU_DEP_1)
	v_fma_f64 v[216:217], v[216:217], v[212:213], v[218:219]
	v_div_scale_f64 v[218:219], null, v[216:217], v[216:217], 1.0
	s_delay_alu instid0(VALU_DEP_1) | instskip(SKIP_2) | instid1(VALU_DEP_1)
	v_rcp_f64_e32 v[220:221], v[218:219]
	s_waitcnt_depctr 0xfff
	v_fma_f64 v[222:223], -v[218:219], v[220:221], 1.0
	v_fma_f64 v[220:221], v[220:221], v[222:223], v[220:221]
	s_delay_alu instid0(VALU_DEP_1) | instskip(NEXT) | instid1(VALU_DEP_1)
	v_fma_f64 v[222:223], -v[218:219], v[220:221], 1.0
	v_fma_f64 v[220:221], v[220:221], v[222:223], v[220:221]
	v_div_scale_f64 v[222:223], vcc_lo, 1.0, v[216:217], 1.0
	s_delay_alu instid0(VALU_DEP_1) | instskip(NEXT) | instid1(VALU_DEP_1)
	v_mul_f64 v[224:225], v[222:223], v[220:221]
	v_fma_f64 v[218:219], -v[218:219], v[224:225], v[222:223]
	s_delay_alu instid0(VALU_DEP_1) | instskip(NEXT) | instid1(VALU_DEP_1)
	v_div_fmas_f64 v[218:219], v[218:219], v[220:221], v[224:225]
	v_div_fixup_f64 v[222:223], v[218:219], v[216:217], 1.0
                                        ; implicit-def: $vgpr216_vgpr217
	s_delay_alu instid0(VALU_DEP_1)
	v_mul_f64 v[212:213], v[212:213], v[222:223]
	v_xor_b32_e32 v223, 0x80000000, v223
.LBB115_266:
	s_and_not1_saveexec_b32 s3, s3
	s_cbranch_execz .LBB115_268
; %bb.267:
	v_div_scale_f64 v[212:213], null, v[216:217], v[216:217], v[218:219]
	v_div_scale_f64 v[224:225], vcc_lo, v[218:219], v[216:217], v[218:219]
	s_delay_alu instid0(VALU_DEP_2) | instskip(SKIP_2) | instid1(VALU_DEP_1)
	v_rcp_f64_e32 v[220:221], v[212:213]
	s_waitcnt_depctr 0xfff
	v_fma_f64 v[222:223], -v[212:213], v[220:221], 1.0
	v_fma_f64 v[220:221], v[220:221], v[222:223], v[220:221]
	s_delay_alu instid0(VALU_DEP_1) | instskip(NEXT) | instid1(VALU_DEP_1)
	v_fma_f64 v[222:223], -v[212:213], v[220:221], 1.0
	v_fma_f64 v[220:221], v[220:221], v[222:223], v[220:221]
	s_delay_alu instid0(VALU_DEP_1) | instskip(NEXT) | instid1(VALU_DEP_1)
	v_mul_f64 v[222:223], v[224:225], v[220:221]
	v_fma_f64 v[212:213], -v[212:213], v[222:223], v[224:225]
	s_delay_alu instid0(VALU_DEP_1) | instskip(NEXT) | instid1(VALU_DEP_1)
	v_div_fmas_f64 v[212:213], v[212:213], v[220:221], v[222:223]
	v_div_fixup_f64 v[220:221], v[212:213], v[216:217], v[218:219]
	s_delay_alu instid0(VALU_DEP_1) | instskip(NEXT) | instid1(VALU_DEP_1)
	v_fma_f64 v[212:213], v[218:219], v[220:221], v[216:217]
	v_div_scale_f64 v[216:217], null, v[212:213], v[212:213], 1.0
	s_delay_alu instid0(VALU_DEP_1) | instskip(SKIP_2) | instid1(VALU_DEP_1)
	v_rcp_f64_e32 v[218:219], v[216:217]
	s_waitcnt_depctr 0xfff
	v_fma_f64 v[222:223], -v[216:217], v[218:219], 1.0
	v_fma_f64 v[218:219], v[218:219], v[222:223], v[218:219]
	s_delay_alu instid0(VALU_DEP_1) | instskip(NEXT) | instid1(VALU_DEP_1)
	v_fma_f64 v[222:223], -v[216:217], v[218:219], 1.0
	v_fma_f64 v[218:219], v[218:219], v[222:223], v[218:219]
	v_div_scale_f64 v[222:223], vcc_lo, 1.0, v[212:213], 1.0
	s_delay_alu instid0(VALU_DEP_1) | instskip(NEXT) | instid1(VALU_DEP_1)
	v_mul_f64 v[224:225], v[222:223], v[218:219]
	v_fma_f64 v[216:217], -v[216:217], v[224:225], v[222:223]
	s_delay_alu instid0(VALU_DEP_1) | instskip(NEXT) | instid1(VALU_DEP_1)
	v_div_fmas_f64 v[216:217], v[216:217], v[218:219], v[224:225]
	v_div_fixup_f64 v[212:213], v[216:217], v[212:213], 1.0
	s_delay_alu instid0(VALU_DEP_1)
	v_mul_f64 v[222:223], v[220:221], -v[212:213]
.LBB115_268:
	s_or_b32 exec_lo, exec_lo, s3
	ds_store_2addr_b64 v209, v[212:213], v[222:223] offset1:1
.LBB115_269:
	s_or_b32 exec_lo, exec_lo, s4
	s_waitcnt lgkmcnt(0)
	s_barrier
	buffer_gl0_inv
	ds_load_2addr_b64 v[204:207], v209 offset1:1
	s_mov_b32 s3, exec_lo
	s_waitcnt lgkmcnt(0)
	scratch_store_b128 off, v[204:207], off offset:1028 ; 16-byte Folded Spill
	v_cmpx_lt_u32_e32 29, v208
	s_cbranch_execz .LBB115_271
; %bb.270:
	scratch_load_b128 v[204:207], off, off offset:1028 ; 16-byte Folded Reload
	ds_load_2addr_b64 v[218:221], v214 offset0:60 offset1:61
	s_waitcnt vmcnt(0)
	v_mul_f64 v[212:213], v[206:207], v[114:115]
	v_mul_f64 v[114:115], v[204:205], v[114:115]
	s_delay_alu instid0(VALU_DEP_2) | instskip(NEXT) | instid1(VALU_DEP_2)
	v_fma_f64 v[216:217], v[204:205], v[112:113], -v[212:213]
	v_fma_f64 v[114:115], v[206:207], v[112:113], v[114:115]
	s_waitcnt lgkmcnt(0)
	s_delay_alu instid0(VALU_DEP_1) | instskip(SKIP_1) | instid1(VALU_DEP_2)
	v_mul_f64 v[112:113], v[220:221], v[114:115]
	v_mul_f64 v[212:213], v[218:219], v[114:115]
	v_fma_f64 v[112:113], v[218:219], v[216:217], -v[112:113]
	s_delay_alu instid0(VALU_DEP_2)
	v_fma_f64 v[212:213], v[220:221], v[216:217], v[212:213]
	ds_load_2addr_b64 v[218:221], v214 offset0:62 offset1:63
	v_add_f64 v[108:109], v[108:109], -v[112:113]
	v_add_f64 v[110:111], v[110:111], -v[212:213]
	s_waitcnt lgkmcnt(0)
	v_mul_f64 v[112:113], v[220:221], v[114:115]
	v_mul_f64 v[212:213], v[218:219], v[114:115]
	s_delay_alu instid0(VALU_DEP_2) | instskip(NEXT) | instid1(VALU_DEP_2)
	v_fma_f64 v[112:113], v[218:219], v[216:217], -v[112:113]
	v_fma_f64 v[212:213], v[220:221], v[216:217], v[212:213]
	ds_load_2addr_b64 v[218:221], v214 offset0:64 offset1:65
	v_add_f64 v[104:105], v[104:105], -v[112:113]
	v_add_f64 v[106:107], v[106:107], -v[212:213]
	s_waitcnt lgkmcnt(0)
	v_mul_f64 v[112:113], v[220:221], v[114:115]
	v_mul_f64 v[212:213], v[218:219], v[114:115]
	s_delay_alu instid0(VALU_DEP_2) | instskip(NEXT) | instid1(VALU_DEP_2)
	v_fma_f64 v[112:113], v[218:219], v[216:217], -v[112:113]
	;; [unrolled: 9-line block ×27, first 2 shown]
	v_fma_f64 v[212:213], v[220:221], v[216:217], v[212:213]
	s_delay_alu instid0(VALU_DEP_2) | instskip(NEXT) | instid1(VALU_DEP_2)
	v_add_f64 v[0:1], v[0:1], -v[112:113]
	v_add_f64 v[2:3], v[2:3], -v[212:213]
	v_dual_mov_b32 v112, v216 :: v_dual_mov_b32 v113, v217
.LBB115_271:
	s_or_b32 exec_lo, exec_lo, s3
	s_delay_alu instid0(SALU_CYCLE_1)
	s_mov_b32 s4, exec_lo
	s_waitcnt_vscnt null, 0x0
	s_barrier
	buffer_gl0_inv
	v_cmpx_eq_u32_e32 30, v208
	s_cbranch_execz .LBB115_278
; %bb.272:
	ds_store_2addr_b64 v209, v[108:109], v[110:111] offset1:1
	ds_store_2addr_b64 v214, v[104:105], v[106:107] offset0:62 offset1:63
	ds_store_2addr_b64 v214, v[100:101], v[102:103] offset0:64 offset1:65
	;; [unrolled: 1-line block ×27, first 2 shown]
	ds_load_2addr_b64 v[216:219], v209 offset1:1
	s_waitcnt lgkmcnt(0)
	v_cmp_neq_f64_e32 vcc_lo, 0, v[216:217]
	v_cmp_neq_f64_e64 s3, 0, v[218:219]
	s_delay_alu instid0(VALU_DEP_1) | instskip(NEXT) | instid1(SALU_CYCLE_1)
	s_or_b32 s3, vcc_lo, s3
	s_and_b32 exec_lo, exec_lo, s3
	s_cbranch_execz .LBB115_278
; %bb.273:
	v_cmp_gt_f64_e32 vcc_lo, 0, v[216:217]
	v_xor_b32_e32 v212, 0x80000000, v217
	v_xor_b32_e32 v215, 0x80000000, v219
	s_delay_alu instid0(VALU_DEP_2) | instskip(SKIP_2) | instid1(VALU_DEP_4)
	v_cndmask_b32_e32 v213, v217, v212, vcc_lo
	v_cndmask_b32_e32 v212, v216, v216, vcc_lo
	v_cmp_gt_f64_e32 vcc_lo, 0, v[218:219]
	v_dual_cndmask_b32 v221, v219, v215 :: v_dual_cndmask_b32 v220, v218, v218
	s_delay_alu instid0(VALU_DEP_1) | instskip(SKIP_1) | instid1(SALU_CYCLE_1)
	v_cmp_ngt_f64_e32 vcc_lo, v[212:213], v[220:221]
                                        ; implicit-def: $vgpr212_vgpr213
	s_and_saveexec_b32 s3, vcc_lo
	s_xor_b32 s3, exec_lo, s3
                                        ; implicit-def: $vgpr220_vgpr221_vgpr222_vgpr223
	s_cbranch_execz .LBB115_275
; %bb.274:
	v_div_scale_f64 v[212:213], null, v[218:219], v[218:219], v[216:217]
	v_div_scale_f64 v[224:225], vcc_lo, v[216:217], v[218:219], v[216:217]
	s_delay_alu instid0(VALU_DEP_2) | instskip(SKIP_2) | instid1(VALU_DEP_1)
	v_rcp_f64_e32 v[220:221], v[212:213]
	s_waitcnt_depctr 0xfff
	v_fma_f64 v[222:223], -v[212:213], v[220:221], 1.0
	v_fma_f64 v[220:221], v[220:221], v[222:223], v[220:221]
	s_delay_alu instid0(VALU_DEP_1) | instskip(NEXT) | instid1(VALU_DEP_1)
	v_fma_f64 v[222:223], -v[212:213], v[220:221], 1.0
	v_fma_f64 v[220:221], v[220:221], v[222:223], v[220:221]
	s_delay_alu instid0(VALU_DEP_1) | instskip(NEXT) | instid1(VALU_DEP_1)
	v_mul_f64 v[222:223], v[224:225], v[220:221]
	v_fma_f64 v[212:213], -v[212:213], v[222:223], v[224:225]
	s_delay_alu instid0(VALU_DEP_1) | instskip(NEXT) | instid1(VALU_DEP_1)
	v_div_fmas_f64 v[212:213], v[212:213], v[220:221], v[222:223]
	v_div_fixup_f64 v[212:213], v[212:213], v[218:219], v[216:217]
	s_delay_alu instid0(VALU_DEP_1) | instskip(NEXT) | instid1(VALU_DEP_1)
	v_fma_f64 v[216:217], v[216:217], v[212:213], v[218:219]
	v_div_scale_f64 v[218:219], null, v[216:217], v[216:217], 1.0
	s_delay_alu instid0(VALU_DEP_1) | instskip(SKIP_2) | instid1(VALU_DEP_1)
	v_rcp_f64_e32 v[220:221], v[218:219]
	s_waitcnt_depctr 0xfff
	v_fma_f64 v[222:223], -v[218:219], v[220:221], 1.0
	v_fma_f64 v[220:221], v[220:221], v[222:223], v[220:221]
	s_delay_alu instid0(VALU_DEP_1) | instskip(NEXT) | instid1(VALU_DEP_1)
	v_fma_f64 v[222:223], -v[218:219], v[220:221], 1.0
	v_fma_f64 v[220:221], v[220:221], v[222:223], v[220:221]
	v_div_scale_f64 v[222:223], vcc_lo, 1.0, v[216:217], 1.0
	s_delay_alu instid0(VALU_DEP_1) | instskip(NEXT) | instid1(VALU_DEP_1)
	v_mul_f64 v[224:225], v[222:223], v[220:221]
	v_fma_f64 v[218:219], -v[218:219], v[224:225], v[222:223]
	s_delay_alu instid0(VALU_DEP_1) | instskip(NEXT) | instid1(VALU_DEP_1)
	v_div_fmas_f64 v[218:219], v[218:219], v[220:221], v[224:225]
	v_div_fixup_f64 v[222:223], v[218:219], v[216:217], 1.0
                                        ; implicit-def: $vgpr216_vgpr217
	s_delay_alu instid0(VALU_DEP_1)
	v_mul_f64 v[212:213], v[212:213], v[222:223]
	v_xor_b32_e32 v223, 0x80000000, v223
.LBB115_275:
	s_and_not1_saveexec_b32 s3, s3
	s_cbranch_execz .LBB115_277
; %bb.276:
	v_div_scale_f64 v[212:213], null, v[216:217], v[216:217], v[218:219]
	v_div_scale_f64 v[224:225], vcc_lo, v[218:219], v[216:217], v[218:219]
	s_delay_alu instid0(VALU_DEP_2) | instskip(SKIP_2) | instid1(VALU_DEP_1)
	v_rcp_f64_e32 v[220:221], v[212:213]
	s_waitcnt_depctr 0xfff
	v_fma_f64 v[222:223], -v[212:213], v[220:221], 1.0
	v_fma_f64 v[220:221], v[220:221], v[222:223], v[220:221]
	s_delay_alu instid0(VALU_DEP_1) | instskip(NEXT) | instid1(VALU_DEP_1)
	v_fma_f64 v[222:223], -v[212:213], v[220:221], 1.0
	v_fma_f64 v[220:221], v[220:221], v[222:223], v[220:221]
	s_delay_alu instid0(VALU_DEP_1) | instskip(NEXT) | instid1(VALU_DEP_1)
	v_mul_f64 v[222:223], v[224:225], v[220:221]
	v_fma_f64 v[212:213], -v[212:213], v[222:223], v[224:225]
	s_delay_alu instid0(VALU_DEP_1) | instskip(NEXT) | instid1(VALU_DEP_1)
	v_div_fmas_f64 v[212:213], v[212:213], v[220:221], v[222:223]
	v_div_fixup_f64 v[220:221], v[212:213], v[216:217], v[218:219]
	s_delay_alu instid0(VALU_DEP_1) | instskip(NEXT) | instid1(VALU_DEP_1)
	v_fma_f64 v[212:213], v[218:219], v[220:221], v[216:217]
	v_div_scale_f64 v[216:217], null, v[212:213], v[212:213], 1.0
	s_delay_alu instid0(VALU_DEP_1) | instskip(SKIP_2) | instid1(VALU_DEP_1)
	v_rcp_f64_e32 v[218:219], v[216:217]
	s_waitcnt_depctr 0xfff
	v_fma_f64 v[222:223], -v[216:217], v[218:219], 1.0
	v_fma_f64 v[218:219], v[218:219], v[222:223], v[218:219]
	s_delay_alu instid0(VALU_DEP_1) | instskip(NEXT) | instid1(VALU_DEP_1)
	v_fma_f64 v[222:223], -v[216:217], v[218:219], 1.0
	v_fma_f64 v[218:219], v[218:219], v[222:223], v[218:219]
	v_div_scale_f64 v[222:223], vcc_lo, 1.0, v[212:213], 1.0
	s_delay_alu instid0(VALU_DEP_1) | instskip(NEXT) | instid1(VALU_DEP_1)
	v_mul_f64 v[224:225], v[222:223], v[218:219]
	v_fma_f64 v[216:217], -v[216:217], v[224:225], v[222:223]
	s_delay_alu instid0(VALU_DEP_1) | instskip(NEXT) | instid1(VALU_DEP_1)
	v_div_fmas_f64 v[216:217], v[216:217], v[218:219], v[224:225]
	v_div_fixup_f64 v[212:213], v[216:217], v[212:213], 1.0
	s_delay_alu instid0(VALU_DEP_1)
	v_mul_f64 v[222:223], v[220:221], -v[212:213]
.LBB115_277:
	s_or_b32 exec_lo, exec_lo, s3
	ds_store_2addr_b64 v209, v[212:213], v[222:223] offset1:1
.LBB115_278:
	s_or_b32 exec_lo, exec_lo, s4
	s_waitcnt lgkmcnt(0)
	s_barrier
	buffer_gl0_inv
	ds_load_2addr_b64 v[204:207], v209 offset1:1
	s_mov_b32 s3, exec_lo
	s_waitcnt lgkmcnt(0)
	scratch_store_b128 off, v[204:207], off offset:1044 ; 16-byte Folded Spill
	v_cmpx_lt_u32_e32 30, v208
	s_cbranch_execz .LBB115_280
; %bb.279:
	scratch_load_b128 v[204:207], off, off offset:1044 ; 16-byte Folded Reload
	ds_load_2addr_b64 v[218:221], v214 offset0:62 offset1:63
	s_waitcnt vmcnt(0)
	v_mul_f64 v[212:213], v[206:207], v[110:111]
	v_mul_f64 v[110:111], v[204:205], v[110:111]
	s_delay_alu instid0(VALU_DEP_2) | instskip(NEXT) | instid1(VALU_DEP_2)
	v_fma_f64 v[216:217], v[204:205], v[108:109], -v[212:213]
	v_fma_f64 v[110:111], v[206:207], v[108:109], v[110:111]
	s_waitcnt lgkmcnt(0)
	s_delay_alu instid0(VALU_DEP_1) | instskip(SKIP_1) | instid1(VALU_DEP_2)
	v_mul_f64 v[108:109], v[220:221], v[110:111]
	v_mul_f64 v[212:213], v[218:219], v[110:111]
	v_fma_f64 v[108:109], v[218:219], v[216:217], -v[108:109]
	s_delay_alu instid0(VALU_DEP_2)
	v_fma_f64 v[212:213], v[220:221], v[216:217], v[212:213]
	ds_load_2addr_b64 v[218:221], v214 offset0:64 offset1:65
	v_add_f64 v[104:105], v[104:105], -v[108:109]
	v_add_f64 v[106:107], v[106:107], -v[212:213]
	s_waitcnt lgkmcnt(0)
	v_mul_f64 v[108:109], v[220:221], v[110:111]
	v_mul_f64 v[212:213], v[218:219], v[110:111]
	s_delay_alu instid0(VALU_DEP_2) | instskip(NEXT) | instid1(VALU_DEP_2)
	v_fma_f64 v[108:109], v[218:219], v[216:217], -v[108:109]
	v_fma_f64 v[212:213], v[220:221], v[216:217], v[212:213]
	ds_load_2addr_b64 v[218:221], v214 offset0:66 offset1:67
	v_add_f64 v[100:101], v[100:101], -v[108:109]
	v_add_f64 v[102:103], v[102:103], -v[212:213]
	s_waitcnt lgkmcnt(0)
	v_mul_f64 v[108:109], v[220:221], v[110:111]
	v_mul_f64 v[212:213], v[218:219], v[110:111]
	s_delay_alu instid0(VALU_DEP_2) | instskip(NEXT) | instid1(VALU_DEP_2)
	v_fma_f64 v[108:109], v[218:219], v[216:217], -v[108:109]
	;; [unrolled: 9-line block ×26, first 2 shown]
	v_fma_f64 v[212:213], v[220:221], v[216:217], v[212:213]
	s_delay_alu instid0(VALU_DEP_2) | instskip(NEXT) | instid1(VALU_DEP_2)
	v_add_f64 v[0:1], v[0:1], -v[108:109]
	v_add_f64 v[2:3], v[2:3], -v[212:213]
	v_dual_mov_b32 v108, v216 :: v_dual_mov_b32 v109, v217
.LBB115_280:
	s_or_b32 exec_lo, exec_lo, s3
	s_delay_alu instid0(SALU_CYCLE_1)
	s_mov_b32 s4, exec_lo
	s_waitcnt_vscnt null, 0x0
	s_barrier
	buffer_gl0_inv
	v_cmpx_eq_u32_e32 31, v208
	s_cbranch_execz .LBB115_287
; %bb.281:
	ds_store_2addr_b64 v209, v[104:105], v[106:107] offset1:1
	ds_store_2addr_b64 v214, v[100:101], v[102:103] offset0:64 offset1:65
	ds_store_2addr_b64 v214, v[96:97], v[98:99] offset0:66 offset1:67
	;; [unrolled: 1-line block ×26, first 2 shown]
	ds_load_2addr_b64 v[216:219], v209 offset1:1
	s_waitcnt lgkmcnt(0)
	v_cmp_neq_f64_e32 vcc_lo, 0, v[216:217]
	v_cmp_neq_f64_e64 s3, 0, v[218:219]
	s_delay_alu instid0(VALU_DEP_1) | instskip(NEXT) | instid1(SALU_CYCLE_1)
	s_or_b32 s3, vcc_lo, s3
	s_and_b32 exec_lo, exec_lo, s3
	s_cbranch_execz .LBB115_287
; %bb.282:
	v_cmp_gt_f64_e32 vcc_lo, 0, v[216:217]
	v_xor_b32_e32 v212, 0x80000000, v217
	v_xor_b32_e32 v215, 0x80000000, v219
	s_delay_alu instid0(VALU_DEP_2) | instskip(SKIP_2) | instid1(VALU_DEP_4)
	v_cndmask_b32_e32 v213, v217, v212, vcc_lo
	v_cndmask_b32_e32 v212, v216, v216, vcc_lo
	v_cmp_gt_f64_e32 vcc_lo, 0, v[218:219]
	v_dual_cndmask_b32 v221, v219, v215 :: v_dual_cndmask_b32 v220, v218, v218
	s_delay_alu instid0(VALU_DEP_1) | instskip(SKIP_1) | instid1(SALU_CYCLE_1)
	v_cmp_ngt_f64_e32 vcc_lo, v[212:213], v[220:221]
                                        ; implicit-def: $vgpr212_vgpr213
	s_and_saveexec_b32 s3, vcc_lo
	s_xor_b32 s3, exec_lo, s3
                                        ; implicit-def: $vgpr220_vgpr221_vgpr222_vgpr223
	s_cbranch_execz .LBB115_284
; %bb.283:
	v_div_scale_f64 v[212:213], null, v[218:219], v[218:219], v[216:217]
	v_div_scale_f64 v[224:225], vcc_lo, v[216:217], v[218:219], v[216:217]
	s_delay_alu instid0(VALU_DEP_2) | instskip(SKIP_2) | instid1(VALU_DEP_1)
	v_rcp_f64_e32 v[220:221], v[212:213]
	s_waitcnt_depctr 0xfff
	v_fma_f64 v[222:223], -v[212:213], v[220:221], 1.0
	v_fma_f64 v[220:221], v[220:221], v[222:223], v[220:221]
	s_delay_alu instid0(VALU_DEP_1) | instskip(NEXT) | instid1(VALU_DEP_1)
	v_fma_f64 v[222:223], -v[212:213], v[220:221], 1.0
	v_fma_f64 v[220:221], v[220:221], v[222:223], v[220:221]
	s_delay_alu instid0(VALU_DEP_1) | instskip(NEXT) | instid1(VALU_DEP_1)
	v_mul_f64 v[222:223], v[224:225], v[220:221]
	v_fma_f64 v[212:213], -v[212:213], v[222:223], v[224:225]
	s_delay_alu instid0(VALU_DEP_1) | instskip(NEXT) | instid1(VALU_DEP_1)
	v_div_fmas_f64 v[212:213], v[212:213], v[220:221], v[222:223]
	v_div_fixup_f64 v[212:213], v[212:213], v[218:219], v[216:217]
	s_delay_alu instid0(VALU_DEP_1) | instskip(NEXT) | instid1(VALU_DEP_1)
	v_fma_f64 v[216:217], v[216:217], v[212:213], v[218:219]
	v_div_scale_f64 v[218:219], null, v[216:217], v[216:217], 1.0
	s_delay_alu instid0(VALU_DEP_1) | instskip(SKIP_2) | instid1(VALU_DEP_1)
	v_rcp_f64_e32 v[220:221], v[218:219]
	s_waitcnt_depctr 0xfff
	v_fma_f64 v[222:223], -v[218:219], v[220:221], 1.0
	v_fma_f64 v[220:221], v[220:221], v[222:223], v[220:221]
	s_delay_alu instid0(VALU_DEP_1) | instskip(NEXT) | instid1(VALU_DEP_1)
	v_fma_f64 v[222:223], -v[218:219], v[220:221], 1.0
	v_fma_f64 v[220:221], v[220:221], v[222:223], v[220:221]
	v_div_scale_f64 v[222:223], vcc_lo, 1.0, v[216:217], 1.0
	s_delay_alu instid0(VALU_DEP_1) | instskip(NEXT) | instid1(VALU_DEP_1)
	v_mul_f64 v[224:225], v[222:223], v[220:221]
	v_fma_f64 v[218:219], -v[218:219], v[224:225], v[222:223]
	s_delay_alu instid0(VALU_DEP_1) | instskip(NEXT) | instid1(VALU_DEP_1)
	v_div_fmas_f64 v[218:219], v[218:219], v[220:221], v[224:225]
	v_div_fixup_f64 v[222:223], v[218:219], v[216:217], 1.0
                                        ; implicit-def: $vgpr216_vgpr217
	s_delay_alu instid0(VALU_DEP_1)
	v_mul_f64 v[212:213], v[212:213], v[222:223]
	v_xor_b32_e32 v223, 0x80000000, v223
.LBB115_284:
	s_and_not1_saveexec_b32 s3, s3
	s_cbranch_execz .LBB115_286
; %bb.285:
	v_div_scale_f64 v[212:213], null, v[216:217], v[216:217], v[218:219]
	v_div_scale_f64 v[224:225], vcc_lo, v[218:219], v[216:217], v[218:219]
	s_delay_alu instid0(VALU_DEP_2) | instskip(SKIP_2) | instid1(VALU_DEP_1)
	v_rcp_f64_e32 v[220:221], v[212:213]
	s_waitcnt_depctr 0xfff
	v_fma_f64 v[222:223], -v[212:213], v[220:221], 1.0
	v_fma_f64 v[220:221], v[220:221], v[222:223], v[220:221]
	s_delay_alu instid0(VALU_DEP_1) | instskip(NEXT) | instid1(VALU_DEP_1)
	v_fma_f64 v[222:223], -v[212:213], v[220:221], 1.0
	v_fma_f64 v[220:221], v[220:221], v[222:223], v[220:221]
	s_delay_alu instid0(VALU_DEP_1) | instskip(NEXT) | instid1(VALU_DEP_1)
	v_mul_f64 v[222:223], v[224:225], v[220:221]
	v_fma_f64 v[212:213], -v[212:213], v[222:223], v[224:225]
	s_delay_alu instid0(VALU_DEP_1) | instskip(NEXT) | instid1(VALU_DEP_1)
	v_div_fmas_f64 v[212:213], v[212:213], v[220:221], v[222:223]
	v_div_fixup_f64 v[220:221], v[212:213], v[216:217], v[218:219]
	s_delay_alu instid0(VALU_DEP_1) | instskip(NEXT) | instid1(VALU_DEP_1)
	v_fma_f64 v[212:213], v[218:219], v[220:221], v[216:217]
	v_div_scale_f64 v[216:217], null, v[212:213], v[212:213], 1.0
	s_delay_alu instid0(VALU_DEP_1) | instskip(SKIP_2) | instid1(VALU_DEP_1)
	v_rcp_f64_e32 v[218:219], v[216:217]
	s_waitcnt_depctr 0xfff
	v_fma_f64 v[222:223], -v[216:217], v[218:219], 1.0
	v_fma_f64 v[218:219], v[218:219], v[222:223], v[218:219]
	s_delay_alu instid0(VALU_DEP_1) | instskip(NEXT) | instid1(VALU_DEP_1)
	v_fma_f64 v[222:223], -v[216:217], v[218:219], 1.0
	v_fma_f64 v[218:219], v[218:219], v[222:223], v[218:219]
	v_div_scale_f64 v[222:223], vcc_lo, 1.0, v[212:213], 1.0
	s_delay_alu instid0(VALU_DEP_1) | instskip(NEXT) | instid1(VALU_DEP_1)
	v_mul_f64 v[224:225], v[222:223], v[218:219]
	v_fma_f64 v[216:217], -v[216:217], v[224:225], v[222:223]
	s_delay_alu instid0(VALU_DEP_1) | instskip(NEXT) | instid1(VALU_DEP_1)
	v_div_fmas_f64 v[216:217], v[216:217], v[218:219], v[224:225]
	v_div_fixup_f64 v[212:213], v[216:217], v[212:213], 1.0
	s_delay_alu instid0(VALU_DEP_1)
	v_mul_f64 v[222:223], v[220:221], -v[212:213]
.LBB115_286:
	s_or_b32 exec_lo, exec_lo, s3
	ds_store_2addr_b64 v209, v[212:213], v[222:223] offset1:1
.LBB115_287:
	s_or_b32 exec_lo, exec_lo, s4
	s_waitcnt lgkmcnt(0)
	s_barrier
	buffer_gl0_inv
	ds_load_2addr_b64 v[204:207], v209 offset1:1
	s_mov_b32 s3, exec_lo
	s_waitcnt lgkmcnt(0)
	scratch_store_b128 off, v[204:207], off offset:1060 ; 16-byte Folded Spill
	v_cmpx_lt_u32_e32 31, v208
	s_cbranch_execz .LBB115_289
; %bb.288:
	scratch_load_b128 v[204:207], off, off offset:1060 ; 16-byte Folded Reload
	ds_load_2addr_b64 v[218:221], v214 offset0:64 offset1:65
	s_waitcnt vmcnt(0)
	v_mul_f64 v[212:213], v[206:207], v[106:107]
	v_mul_f64 v[106:107], v[204:205], v[106:107]
	s_delay_alu instid0(VALU_DEP_2) | instskip(NEXT) | instid1(VALU_DEP_2)
	v_fma_f64 v[216:217], v[204:205], v[104:105], -v[212:213]
	v_fma_f64 v[106:107], v[206:207], v[104:105], v[106:107]
	s_waitcnt lgkmcnt(0)
	s_delay_alu instid0(VALU_DEP_1) | instskip(SKIP_1) | instid1(VALU_DEP_2)
	v_mul_f64 v[104:105], v[220:221], v[106:107]
	v_mul_f64 v[212:213], v[218:219], v[106:107]
	v_fma_f64 v[104:105], v[218:219], v[216:217], -v[104:105]
	s_delay_alu instid0(VALU_DEP_2)
	v_fma_f64 v[212:213], v[220:221], v[216:217], v[212:213]
	ds_load_2addr_b64 v[218:221], v214 offset0:66 offset1:67
	v_add_f64 v[100:101], v[100:101], -v[104:105]
	v_add_f64 v[102:103], v[102:103], -v[212:213]
	s_waitcnt lgkmcnt(0)
	v_mul_f64 v[104:105], v[220:221], v[106:107]
	v_mul_f64 v[212:213], v[218:219], v[106:107]
	s_delay_alu instid0(VALU_DEP_2) | instskip(NEXT) | instid1(VALU_DEP_2)
	v_fma_f64 v[104:105], v[218:219], v[216:217], -v[104:105]
	v_fma_f64 v[212:213], v[220:221], v[216:217], v[212:213]
	ds_load_2addr_b64 v[218:221], v214 offset0:68 offset1:69
	v_add_f64 v[96:97], v[96:97], -v[104:105]
	v_add_f64 v[98:99], v[98:99], -v[212:213]
	s_waitcnt lgkmcnt(0)
	v_mul_f64 v[104:105], v[220:221], v[106:107]
	v_mul_f64 v[212:213], v[218:219], v[106:107]
	s_delay_alu instid0(VALU_DEP_2) | instskip(NEXT) | instid1(VALU_DEP_2)
	v_fma_f64 v[104:105], v[218:219], v[216:217], -v[104:105]
	;; [unrolled: 9-line block ×25, first 2 shown]
	v_fma_f64 v[212:213], v[220:221], v[216:217], v[212:213]
	s_delay_alu instid0(VALU_DEP_2) | instskip(NEXT) | instid1(VALU_DEP_2)
	v_add_f64 v[0:1], v[0:1], -v[104:105]
	v_add_f64 v[2:3], v[2:3], -v[212:213]
	v_dual_mov_b32 v104, v216 :: v_dual_mov_b32 v105, v217
.LBB115_289:
	s_or_b32 exec_lo, exec_lo, s3
	s_delay_alu instid0(SALU_CYCLE_1)
	s_mov_b32 s4, exec_lo
	s_waitcnt_vscnt null, 0x0
	s_barrier
	buffer_gl0_inv
	v_cmpx_eq_u32_e32 32, v208
	s_cbranch_execz .LBB115_296
; %bb.290:
	ds_store_2addr_b64 v209, v[100:101], v[102:103] offset1:1
	ds_store_2addr_b64 v214, v[96:97], v[98:99] offset0:66 offset1:67
	ds_store_2addr_b64 v214, v[92:93], v[94:95] offset0:68 offset1:69
	;; [unrolled: 1-line block ×25, first 2 shown]
	ds_load_2addr_b64 v[216:219], v209 offset1:1
	s_waitcnt lgkmcnt(0)
	v_cmp_neq_f64_e32 vcc_lo, 0, v[216:217]
	v_cmp_neq_f64_e64 s3, 0, v[218:219]
	s_delay_alu instid0(VALU_DEP_1) | instskip(NEXT) | instid1(SALU_CYCLE_1)
	s_or_b32 s3, vcc_lo, s3
	s_and_b32 exec_lo, exec_lo, s3
	s_cbranch_execz .LBB115_296
; %bb.291:
	v_cmp_gt_f64_e32 vcc_lo, 0, v[216:217]
	v_xor_b32_e32 v212, 0x80000000, v217
	v_xor_b32_e32 v215, 0x80000000, v219
	s_delay_alu instid0(VALU_DEP_2) | instskip(SKIP_2) | instid1(VALU_DEP_4)
	v_cndmask_b32_e32 v213, v217, v212, vcc_lo
	v_cndmask_b32_e32 v212, v216, v216, vcc_lo
	v_cmp_gt_f64_e32 vcc_lo, 0, v[218:219]
	v_dual_cndmask_b32 v221, v219, v215 :: v_dual_cndmask_b32 v220, v218, v218
	s_delay_alu instid0(VALU_DEP_1) | instskip(SKIP_1) | instid1(SALU_CYCLE_1)
	v_cmp_ngt_f64_e32 vcc_lo, v[212:213], v[220:221]
                                        ; implicit-def: $vgpr212_vgpr213
	s_and_saveexec_b32 s3, vcc_lo
	s_xor_b32 s3, exec_lo, s3
                                        ; implicit-def: $vgpr220_vgpr221_vgpr222_vgpr223
	s_cbranch_execz .LBB115_293
; %bb.292:
	v_div_scale_f64 v[212:213], null, v[218:219], v[218:219], v[216:217]
	v_div_scale_f64 v[224:225], vcc_lo, v[216:217], v[218:219], v[216:217]
	s_delay_alu instid0(VALU_DEP_2) | instskip(SKIP_2) | instid1(VALU_DEP_1)
	v_rcp_f64_e32 v[220:221], v[212:213]
	s_waitcnt_depctr 0xfff
	v_fma_f64 v[222:223], -v[212:213], v[220:221], 1.0
	v_fma_f64 v[220:221], v[220:221], v[222:223], v[220:221]
	s_delay_alu instid0(VALU_DEP_1) | instskip(NEXT) | instid1(VALU_DEP_1)
	v_fma_f64 v[222:223], -v[212:213], v[220:221], 1.0
	v_fma_f64 v[220:221], v[220:221], v[222:223], v[220:221]
	s_delay_alu instid0(VALU_DEP_1) | instskip(NEXT) | instid1(VALU_DEP_1)
	v_mul_f64 v[222:223], v[224:225], v[220:221]
	v_fma_f64 v[212:213], -v[212:213], v[222:223], v[224:225]
	s_delay_alu instid0(VALU_DEP_1) | instskip(NEXT) | instid1(VALU_DEP_1)
	v_div_fmas_f64 v[212:213], v[212:213], v[220:221], v[222:223]
	v_div_fixup_f64 v[212:213], v[212:213], v[218:219], v[216:217]
	s_delay_alu instid0(VALU_DEP_1) | instskip(NEXT) | instid1(VALU_DEP_1)
	v_fma_f64 v[216:217], v[216:217], v[212:213], v[218:219]
	v_div_scale_f64 v[218:219], null, v[216:217], v[216:217], 1.0
	s_delay_alu instid0(VALU_DEP_1) | instskip(SKIP_2) | instid1(VALU_DEP_1)
	v_rcp_f64_e32 v[220:221], v[218:219]
	s_waitcnt_depctr 0xfff
	v_fma_f64 v[222:223], -v[218:219], v[220:221], 1.0
	v_fma_f64 v[220:221], v[220:221], v[222:223], v[220:221]
	s_delay_alu instid0(VALU_DEP_1) | instskip(NEXT) | instid1(VALU_DEP_1)
	v_fma_f64 v[222:223], -v[218:219], v[220:221], 1.0
	v_fma_f64 v[220:221], v[220:221], v[222:223], v[220:221]
	v_div_scale_f64 v[222:223], vcc_lo, 1.0, v[216:217], 1.0
	s_delay_alu instid0(VALU_DEP_1) | instskip(NEXT) | instid1(VALU_DEP_1)
	v_mul_f64 v[224:225], v[222:223], v[220:221]
	v_fma_f64 v[218:219], -v[218:219], v[224:225], v[222:223]
	s_delay_alu instid0(VALU_DEP_1) | instskip(NEXT) | instid1(VALU_DEP_1)
	v_div_fmas_f64 v[218:219], v[218:219], v[220:221], v[224:225]
	v_div_fixup_f64 v[222:223], v[218:219], v[216:217], 1.0
                                        ; implicit-def: $vgpr216_vgpr217
	s_delay_alu instid0(VALU_DEP_1)
	v_mul_f64 v[212:213], v[212:213], v[222:223]
	v_xor_b32_e32 v223, 0x80000000, v223
.LBB115_293:
	s_and_not1_saveexec_b32 s3, s3
	s_cbranch_execz .LBB115_295
; %bb.294:
	v_div_scale_f64 v[212:213], null, v[216:217], v[216:217], v[218:219]
	v_div_scale_f64 v[224:225], vcc_lo, v[218:219], v[216:217], v[218:219]
	s_delay_alu instid0(VALU_DEP_2) | instskip(SKIP_2) | instid1(VALU_DEP_1)
	v_rcp_f64_e32 v[220:221], v[212:213]
	s_waitcnt_depctr 0xfff
	v_fma_f64 v[222:223], -v[212:213], v[220:221], 1.0
	v_fma_f64 v[220:221], v[220:221], v[222:223], v[220:221]
	s_delay_alu instid0(VALU_DEP_1) | instskip(NEXT) | instid1(VALU_DEP_1)
	v_fma_f64 v[222:223], -v[212:213], v[220:221], 1.0
	v_fma_f64 v[220:221], v[220:221], v[222:223], v[220:221]
	s_delay_alu instid0(VALU_DEP_1) | instskip(NEXT) | instid1(VALU_DEP_1)
	v_mul_f64 v[222:223], v[224:225], v[220:221]
	v_fma_f64 v[212:213], -v[212:213], v[222:223], v[224:225]
	s_delay_alu instid0(VALU_DEP_1) | instskip(NEXT) | instid1(VALU_DEP_1)
	v_div_fmas_f64 v[212:213], v[212:213], v[220:221], v[222:223]
	v_div_fixup_f64 v[220:221], v[212:213], v[216:217], v[218:219]
	s_delay_alu instid0(VALU_DEP_1) | instskip(NEXT) | instid1(VALU_DEP_1)
	v_fma_f64 v[212:213], v[218:219], v[220:221], v[216:217]
	v_div_scale_f64 v[216:217], null, v[212:213], v[212:213], 1.0
	s_delay_alu instid0(VALU_DEP_1) | instskip(SKIP_2) | instid1(VALU_DEP_1)
	v_rcp_f64_e32 v[218:219], v[216:217]
	s_waitcnt_depctr 0xfff
	v_fma_f64 v[222:223], -v[216:217], v[218:219], 1.0
	v_fma_f64 v[218:219], v[218:219], v[222:223], v[218:219]
	s_delay_alu instid0(VALU_DEP_1) | instskip(NEXT) | instid1(VALU_DEP_1)
	v_fma_f64 v[222:223], -v[216:217], v[218:219], 1.0
	v_fma_f64 v[218:219], v[218:219], v[222:223], v[218:219]
	v_div_scale_f64 v[222:223], vcc_lo, 1.0, v[212:213], 1.0
	s_delay_alu instid0(VALU_DEP_1) | instskip(NEXT) | instid1(VALU_DEP_1)
	v_mul_f64 v[224:225], v[222:223], v[218:219]
	v_fma_f64 v[216:217], -v[216:217], v[224:225], v[222:223]
	s_delay_alu instid0(VALU_DEP_1) | instskip(NEXT) | instid1(VALU_DEP_1)
	v_div_fmas_f64 v[216:217], v[216:217], v[218:219], v[224:225]
	v_div_fixup_f64 v[212:213], v[216:217], v[212:213], 1.0
	s_delay_alu instid0(VALU_DEP_1)
	v_mul_f64 v[222:223], v[220:221], -v[212:213]
.LBB115_295:
	s_or_b32 exec_lo, exec_lo, s3
	ds_store_2addr_b64 v209, v[212:213], v[222:223] offset1:1
.LBB115_296:
	s_or_b32 exec_lo, exec_lo, s4
	s_waitcnt lgkmcnt(0)
	s_barrier
	buffer_gl0_inv
	ds_load_2addr_b64 v[204:207], v209 offset1:1
	s_mov_b32 s3, exec_lo
	s_waitcnt lgkmcnt(0)
	scratch_store_b128 off, v[204:207], off offset:1076 ; 16-byte Folded Spill
	v_cmpx_lt_u32_e32 32, v208
	s_cbranch_execz .LBB115_298
; %bb.297:
	scratch_load_b128 v[204:207], off, off offset:1076 ; 16-byte Folded Reload
	ds_load_2addr_b64 v[218:221], v214 offset0:66 offset1:67
	s_waitcnt vmcnt(0)
	v_mul_f64 v[212:213], v[206:207], v[102:103]
	v_mul_f64 v[102:103], v[204:205], v[102:103]
	s_delay_alu instid0(VALU_DEP_2) | instskip(NEXT) | instid1(VALU_DEP_2)
	v_fma_f64 v[216:217], v[204:205], v[100:101], -v[212:213]
	v_fma_f64 v[102:103], v[206:207], v[100:101], v[102:103]
	s_waitcnt lgkmcnt(0)
	s_delay_alu instid0(VALU_DEP_1) | instskip(SKIP_1) | instid1(VALU_DEP_2)
	v_mul_f64 v[100:101], v[220:221], v[102:103]
	v_mul_f64 v[212:213], v[218:219], v[102:103]
	v_fma_f64 v[100:101], v[218:219], v[216:217], -v[100:101]
	s_delay_alu instid0(VALU_DEP_2)
	v_fma_f64 v[212:213], v[220:221], v[216:217], v[212:213]
	ds_load_2addr_b64 v[218:221], v214 offset0:68 offset1:69
	v_add_f64 v[96:97], v[96:97], -v[100:101]
	v_add_f64 v[98:99], v[98:99], -v[212:213]
	s_waitcnt lgkmcnt(0)
	v_mul_f64 v[100:101], v[220:221], v[102:103]
	v_mul_f64 v[212:213], v[218:219], v[102:103]
	s_delay_alu instid0(VALU_DEP_2) | instskip(NEXT) | instid1(VALU_DEP_2)
	v_fma_f64 v[100:101], v[218:219], v[216:217], -v[100:101]
	v_fma_f64 v[212:213], v[220:221], v[216:217], v[212:213]
	ds_load_2addr_b64 v[218:221], v214 offset0:70 offset1:71
	v_add_f64 v[92:93], v[92:93], -v[100:101]
	v_add_f64 v[94:95], v[94:95], -v[212:213]
	s_waitcnt lgkmcnt(0)
	v_mul_f64 v[100:101], v[220:221], v[102:103]
	v_mul_f64 v[212:213], v[218:219], v[102:103]
	s_delay_alu instid0(VALU_DEP_2) | instskip(NEXT) | instid1(VALU_DEP_2)
	v_fma_f64 v[100:101], v[218:219], v[216:217], -v[100:101]
	v_fma_f64 v[212:213], v[220:221], v[216:217], v[212:213]
	ds_load_2addr_b64 v[218:221], v214 offset0:72 offset1:73
	v_add_f64 v[88:89], v[88:89], -v[100:101]
	v_add_f64 v[90:91], v[90:91], -v[212:213]
	s_waitcnt lgkmcnt(0)
	v_mul_f64 v[100:101], v[220:221], v[102:103]
	v_mul_f64 v[212:213], v[218:219], v[102:103]
	s_delay_alu instid0(VALU_DEP_2) | instskip(NEXT) | instid1(VALU_DEP_2)
	v_fma_f64 v[100:101], v[218:219], v[216:217], -v[100:101]
	v_fma_f64 v[212:213], v[220:221], v[216:217], v[212:213]
	ds_load_2addr_b64 v[218:221], v214 offset0:74 offset1:75
	v_add_f64 v[84:85], v[84:85], -v[100:101]
	v_add_f64 v[86:87], v[86:87], -v[212:213]
	s_waitcnt lgkmcnt(0)
	v_mul_f64 v[100:101], v[220:221], v[102:103]
	v_mul_f64 v[212:213], v[218:219], v[102:103]
	s_delay_alu instid0(VALU_DEP_2) | instskip(NEXT) | instid1(VALU_DEP_2)
	v_fma_f64 v[100:101], v[218:219], v[216:217], -v[100:101]
	v_fma_f64 v[212:213], v[220:221], v[216:217], v[212:213]
	ds_load_2addr_b64 v[218:221], v214 offset0:76 offset1:77
	v_add_f64 v[80:81], v[80:81], -v[100:101]
	v_add_f64 v[82:83], v[82:83], -v[212:213]
	s_waitcnt lgkmcnt(0)
	v_mul_f64 v[100:101], v[220:221], v[102:103]
	v_mul_f64 v[212:213], v[218:219], v[102:103]
	s_delay_alu instid0(VALU_DEP_2) | instskip(NEXT) | instid1(VALU_DEP_2)
	v_fma_f64 v[100:101], v[218:219], v[216:217], -v[100:101]
	v_fma_f64 v[212:213], v[220:221], v[216:217], v[212:213]
	ds_load_2addr_b64 v[218:221], v214 offset0:78 offset1:79
	v_add_f64 v[76:77], v[76:77], -v[100:101]
	v_add_f64 v[78:79], v[78:79], -v[212:213]
	s_waitcnt lgkmcnt(0)
	v_mul_f64 v[100:101], v[220:221], v[102:103]
	v_mul_f64 v[212:213], v[218:219], v[102:103]
	s_delay_alu instid0(VALU_DEP_2) | instskip(NEXT) | instid1(VALU_DEP_2)
	v_fma_f64 v[100:101], v[218:219], v[216:217], -v[100:101]
	v_fma_f64 v[212:213], v[220:221], v[216:217], v[212:213]
	ds_load_2addr_b64 v[218:221], v214 offset0:80 offset1:81
	v_add_f64 v[72:73], v[72:73], -v[100:101]
	v_add_f64 v[74:75], v[74:75], -v[212:213]
	s_waitcnt lgkmcnt(0)
	v_mul_f64 v[100:101], v[220:221], v[102:103]
	v_mul_f64 v[212:213], v[218:219], v[102:103]
	s_delay_alu instid0(VALU_DEP_2) | instskip(NEXT) | instid1(VALU_DEP_2)
	v_fma_f64 v[100:101], v[218:219], v[216:217], -v[100:101]
	v_fma_f64 v[212:213], v[220:221], v[216:217], v[212:213]
	ds_load_2addr_b64 v[218:221], v214 offset0:82 offset1:83
	v_add_f64 v[68:69], v[68:69], -v[100:101]
	v_add_f64 v[70:71], v[70:71], -v[212:213]
	s_waitcnt lgkmcnt(0)
	v_mul_f64 v[100:101], v[220:221], v[102:103]
	v_mul_f64 v[212:213], v[218:219], v[102:103]
	s_delay_alu instid0(VALU_DEP_2) | instskip(NEXT) | instid1(VALU_DEP_2)
	v_fma_f64 v[100:101], v[218:219], v[216:217], -v[100:101]
	v_fma_f64 v[212:213], v[220:221], v[216:217], v[212:213]
	ds_load_2addr_b64 v[218:221], v214 offset0:84 offset1:85
	v_add_f64 v[64:65], v[64:65], -v[100:101]
	v_add_f64 v[66:67], v[66:67], -v[212:213]
	s_waitcnt lgkmcnt(0)
	v_mul_f64 v[100:101], v[220:221], v[102:103]
	v_mul_f64 v[212:213], v[218:219], v[102:103]
	s_delay_alu instid0(VALU_DEP_2) | instskip(NEXT) | instid1(VALU_DEP_2)
	v_fma_f64 v[100:101], v[218:219], v[216:217], -v[100:101]
	v_fma_f64 v[212:213], v[220:221], v[216:217], v[212:213]
	ds_load_2addr_b64 v[218:221], v214 offset0:86 offset1:87
	v_add_f64 v[60:61], v[60:61], -v[100:101]
	v_add_f64 v[62:63], v[62:63], -v[212:213]
	s_waitcnt lgkmcnt(0)
	v_mul_f64 v[100:101], v[220:221], v[102:103]
	v_mul_f64 v[212:213], v[218:219], v[102:103]
	s_delay_alu instid0(VALU_DEP_2) | instskip(NEXT) | instid1(VALU_DEP_2)
	v_fma_f64 v[100:101], v[218:219], v[216:217], -v[100:101]
	v_fma_f64 v[212:213], v[220:221], v[216:217], v[212:213]
	ds_load_2addr_b64 v[218:221], v214 offset0:88 offset1:89
	v_add_f64 v[56:57], v[56:57], -v[100:101]
	v_add_f64 v[58:59], v[58:59], -v[212:213]
	s_waitcnt lgkmcnt(0)
	v_mul_f64 v[100:101], v[220:221], v[102:103]
	v_mul_f64 v[212:213], v[218:219], v[102:103]
	s_delay_alu instid0(VALU_DEP_2) | instskip(NEXT) | instid1(VALU_DEP_2)
	v_fma_f64 v[100:101], v[218:219], v[216:217], -v[100:101]
	v_fma_f64 v[212:213], v[220:221], v[216:217], v[212:213]
	ds_load_2addr_b64 v[218:221], v214 offset0:90 offset1:91
	v_add_f64 v[52:53], v[52:53], -v[100:101]
	v_add_f64 v[54:55], v[54:55], -v[212:213]
	s_waitcnt lgkmcnt(0)
	v_mul_f64 v[100:101], v[220:221], v[102:103]
	v_mul_f64 v[212:213], v[218:219], v[102:103]
	s_delay_alu instid0(VALU_DEP_2) | instskip(NEXT) | instid1(VALU_DEP_2)
	v_fma_f64 v[100:101], v[218:219], v[216:217], -v[100:101]
	v_fma_f64 v[212:213], v[220:221], v[216:217], v[212:213]
	ds_load_2addr_b64 v[218:221], v214 offset0:92 offset1:93
	v_add_f64 v[48:49], v[48:49], -v[100:101]
	v_add_f64 v[50:51], v[50:51], -v[212:213]
	s_waitcnt lgkmcnt(0)
	v_mul_f64 v[100:101], v[220:221], v[102:103]
	v_mul_f64 v[212:213], v[218:219], v[102:103]
	s_delay_alu instid0(VALU_DEP_2) | instskip(NEXT) | instid1(VALU_DEP_2)
	v_fma_f64 v[100:101], v[218:219], v[216:217], -v[100:101]
	v_fma_f64 v[212:213], v[220:221], v[216:217], v[212:213]
	ds_load_2addr_b64 v[218:221], v214 offset0:94 offset1:95
	v_add_f64 v[44:45], v[44:45], -v[100:101]
	v_add_f64 v[46:47], v[46:47], -v[212:213]
	s_waitcnt lgkmcnt(0)
	v_mul_f64 v[100:101], v[220:221], v[102:103]
	v_mul_f64 v[212:213], v[218:219], v[102:103]
	s_delay_alu instid0(VALU_DEP_2) | instskip(NEXT) | instid1(VALU_DEP_2)
	v_fma_f64 v[100:101], v[218:219], v[216:217], -v[100:101]
	v_fma_f64 v[212:213], v[220:221], v[216:217], v[212:213]
	ds_load_2addr_b64 v[218:221], v214 offset0:96 offset1:97
	v_add_f64 v[40:41], v[40:41], -v[100:101]
	v_add_f64 v[42:43], v[42:43], -v[212:213]
	s_waitcnt lgkmcnt(0)
	v_mul_f64 v[100:101], v[220:221], v[102:103]
	v_mul_f64 v[212:213], v[218:219], v[102:103]
	s_delay_alu instid0(VALU_DEP_2) | instskip(NEXT) | instid1(VALU_DEP_2)
	v_fma_f64 v[100:101], v[218:219], v[216:217], -v[100:101]
	v_fma_f64 v[212:213], v[220:221], v[216:217], v[212:213]
	ds_load_2addr_b64 v[218:221], v214 offset0:98 offset1:99
	v_add_f64 v[36:37], v[36:37], -v[100:101]
	v_add_f64 v[38:39], v[38:39], -v[212:213]
	s_waitcnt lgkmcnt(0)
	v_mul_f64 v[100:101], v[220:221], v[102:103]
	v_mul_f64 v[212:213], v[218:219], v[102:103]
	s_delay_alu instid0(VALU_DEP_2) | instskip(NEXT) | instid1(VALU_DEP_2)
	v_fma_f64 v[100:101], v[218:219], v[216:217], -v[100:101]
	v_fma_f64 v[212:213], v[220:221], v[216:217], v[212:213]
	ds_load_2addr_b64 v[218:221], v214 offset0:100 offset1:101
	v_add_f64 v[32:33], v[32:33], -v[100:101]
	v_add_f64 v[34:35], v[34:35], -v[212:213]
	s_waitcnt lgkmcnt(0)
	v_mul_f64 v[100:101], v[220:221], v[102:103]
	v_mul_f64 v[212:213], v[218:219], v[102:103]
	s_delay_alu instid0(VALU_DEP_2) | instskip(NEXT) | instid1(VALU_DEP_2)
	v_fma_f64 v[100:101], v[218:219], v[216:217], -v[100:101]
	v_fma_f64 v[212:213], v[220:221], v[216:217], v[212:213]
	ds_load_2addr_b64 v[218:221], v214 offset0:102 offset1:103
	v_add_f64 v[28:29], v[28:29], -v[100:101]
	v_add_f64 v[30:31], v[30:31], -v[212:213]
	s_waitcnt lgkmcnt(0)
	v_mul_f64 v[100:101], v[220:221], v[102:103]
	v_mul_f64 v[212:213], v[218:219], v[102:103]
	s_delay_alu instid0(VALU_DEP_2) | instskip(NEXT) | instid1(VALU_DEP_2)
	v_fma_f64 v[100:101], v[218:219], v[216:217], -v[100:101]
	v_fma_f64 v[212:213], v[220:221], v[216:217], v[212:213]
	ds_load_2addr_b64 v[218:221], v214 offset0:104 offset1:105
	v_add_f64 v[24:25], v[24:25], -v[100:101]
	v_add_f64 v[26:27], v[26:27], -v[212:213]
	s_waitcnt lgkmcnt(0)
	v_mul_f64 v[100:101], v[220:221], v[102:103]
	v_mul_f64 v[212:213], v[218:219], v[102:103]
	s_delay_alu instid0(VALU_DEP_2) | instskip(NEXT) | instid1(VALU_DEP_2)
	v_fma_f64 v[100:101], v[218:219], v[216:217], -v[100:101]
	v_fma_f64 v[212:213], v[220:221], v[216:217], v[212:213]
	ds_load_2addr_b64 v[218:221], v214 offset0:106 offset1:107
	v_add_f64 v[20:21], v[20:21], -v[100:101]
	v_add_f64 v[22:23], v[22:23], -v[212:213]
	s_waitcnt lgkmcnt(0)
	v_mul_f64 v[100:101], v[220:221], v[102:103]
	v_mul_f64 v[212:213], v[218:219], v[102:103]
	s_delay_alu instid0(VALU_DEP_2) | instskip(NEXT) | instid1(VALU_DEP_2)
	v_fma_f64 v[100:101], v[218:219], v[216:217], -v[100:101]
	v_fma_f64 v[212:213], v[220:221], v[216:217], v[212:213]
	ds_load_2addr_b64 v[218:221], v214 offset0:108 offset1:109
	v_add_f64 v[16:17], v[16:17], -v[100:101]
	v_add_f64 v[18:19], v[18:19], -v[212:213]
	s_waitcnt lgkmcnt(0)
	v_mul_f64 v[100:101], v[220:221], v[102:103]
	v_mul_f64 v[212:213], v[218:219], v[102:103]
	s_delay_alu instid0(VALU_DEP_2) | instskip(NEXT) | instid1(VALU_DEP_2)
	v_fma_f64 v[100:101], v[218:219], v[216:217], -v[100:101]
	v_fma_f64 v[212:213], v[220:221], v[216:217], v[212:213]
	ds_load_2addr_b64 v[218:221], v214 offset0:110 offset1:111
	v_add_f64 v[12:13], v[12:13], -v[100:101]
	v_add_f64 v[14:15], v[14:15], -v[212:213]
	s_waitcnt lgkmcnt(0)
	v_mul_f64 v[100:101], v[220:221], v[102:103]
	v_mul_f64 v[212:213], v[218:219], v[102:103]
	s_delay_alu instid0(VALU_DEP_2) | instskip(NEXT) | instid1(VALU_DEP_2)
	v_fma_f64 v[100:101], v[218:219], v[216:217], -v[100:101]
	v_fma_f64 v[212:213], v[220:221], v[216:217], v[212:213]
	ds_load_2addr_b64 v[218:221], v214 offset0:112 offset1:113
	v_add_f64 v[8:9], v[8:9], -v[100:101]
	v_add_f64 v[10:11], v[10:11], -v[212:213]
	s_waitcnt lgkmcnt(0)
	v_mul_f64 v[100:101], v[220:221], v[102:103]
	v_mul_f64 v[212:213], v[218:219], v[102:103]
	s_delay_alu instid0(VALU_DEP_2) | instskip(NEXT) | instid1(VALU_DEP_2)
	v_fma_f64 v[100:101], v[218:219], v[216:217], -v[100:101]
	v_fma_f64 v[212:213], v[220:221], v[216:217], v[212:213]
	ds_load_2addr_b64 v[218:221], v214 offset0:114 offset1:115
	v_add_f64 v[4:5], v[4:5], -v[100:101]
	v_add_f64 v[6:7], v[6:7], -v[212:213]
	s_waitcnt lgkmcnt(0)
	v_mul_f64 v[100:101], v[220:221], v[102:103]
	v_mul_f64 v[212:213], v[218:219], v[102:103]
	s_delay_alu instid0(VALU_DEP_2) | instskip(NEXT) | instid1(VALU_DEP_2)
	v_fma_f64 v[100:101], v[218:219], v[216:217], -v[100:101]
	v_fma_f64 v[212:213], v[220:221], v[216:217], v[212:213]
	s_delay_alu instid0(VALU_DEP_2) | instskip(NEXT) | instid1(VALU_DEP_2)
	v_add_f64 v[0:1], v[0:1], -v[100:101]
	v_add_f64 v[2:3], v[2:3], -v[212:213]
	v_dual_mov_b32 v100, v216 :: v_dual_mov_b32 v101, v217
.LBB115_298:
	s_or_b32 exec_lo, exec_lo, s3
	s_delay_alu instid0(SALU_CYCLE_1)
	s_mov_b32 s4, exec_lo
	s_waitcnt_vscnt null, 0x0
	s_barrier
	buffer_gl0_inv
	v_cmpx_eq_u32_e32 33, v208
	s_cbranch_execz .LBB115_305
; %bb.299:
	ds_store_2addr_b64 v209, v[96:97], v[98:99] offset1:1
	ds_store_2addr_b64 v214, v[92:93], v[94:95] offset0:68 offset1:69
	ds_store_2addr_b64 v214, v[88:89], v[90:91] offset0:70 offset1:71
	;; [unrolled: 1-line block ×24, first 2 shown]
	ds_load_2addr_b64 v[216:219], v209 offset1:1
	s_waitcnt lgkmcnt(0)
	v_cmp_neq_f64_e32 vcc_lo, 0, v[216:217]
	v_cmp_neq_f64_e64 s3, 0, v[218:219]
	s_delay_alu instid0(VALU_DEP_1) | instskip(NEXT) | instid1(SALU_CYCLE_1)
	s_or_b32 s3, vcc_lo, s3
	s_and_b32 exec_lo, exec_lo, s3
	s_cbranch_execz .LBB115_305
; %bb.300:
	v_cmp_gt_f64_e32 vcc_lo, 0, v[216:217]
	v_xor_b32_e32 v212, 0x80000000, v217
	v_xor_b32_e32 v215, 0x80000000, v219
	s_delay_alu instid0(VALU_DEP_2) | instskip(SKIP_2) | instid1(VALU_DEP_4)
	v_cndmask_b32_e32 v213, v217, v212, vcc_lo
	v_cndmask_b32_e32 v212, v216, v216, vcc_lo
	v_cmp_gt_f64_e32 vcc_lo, 0, v[218:219]
	v_dual_cndmask_b32 v221, v219, v215 :: v_dual_cndmask_b32 v220, v218, v218
	s_delay_alu instid0(VALU_DEP_1) | instskip(SKIP_1) | instid1(SALU_CYCLE_1)
	v_cmp_ngt_f64_e32 vcc_lo, v[212:213], v[220:221]
                                        ; implicit-def: $vgpr212_vgpr213
	s_and_saveexec_b32 s3, vcc_lo
	s_xor_b32 s3, exec_lo, s3
                                        ; implicit-def: $vgpr220_vgpr221_vgpr222_vgpr223
	s_cbranch_execz .LBB115_302
; %bb.301:
	v_div_scale_f64 v[212:213], null, v[218:219], v[218:219], v[216:217]
	v_div_scale_f64 v[224:225], vcc_lo, v[216:217], v[218:219], v[216:217]
	s_delay_alu instid0(VALU_DEP_2) | instskip(SKIP_2) | instid1(VALU_DEP_1)
	v_rcp_f64_e32 v[220:221], v[212:213]
	s_waitcnt_depctr 0xfff
	v_fma_f64 v[222:223], -v[212:213], v[220:221], 1.0
	v_fma_f64 v[220:221], v[220:221], v[222:223], v[220:221]
	s_delay_alu instid0(VALU_DEP_1) | instskip(NEXT) | instid1(VALU_DEP_1)
	v_fma_f64 v[222:223], -v[212:213], v[220:221], 1.0
	v_fma_f64 v[220:221], v[220:221], v[222:223], v[220:221]
	s_delay_alu instid0(VALU_DEP_1) | instskip(NEXT) | instid1(VALU_DEP_1)
	v_mul_f64 v[222:223], v[224:225], v[220:221]
	v_fma_f64 v[212:213], -v[212:213], v[222:223], v[224:225]
	s_delay_alu instid0(VALU_DEP_1) | instskip(NEXT) | instid1(VALU_DEP_1)
	v_div_fmas_f64 v[212:213], v[212:213], v[220:221], v[222:223]
	v_div_fixup_f64 v[212:213], v[212:213], v[218:219], v[216:217]
	s_delay_alu instid0(VALU_DEP_1) | instskip(NEXT) | instid1(VALU_DEP_1)
	v_fma_f64 v[216:217], v[216:217], v[212:213], v[218:219]
	v_div_scale_f64 v[218:219], null, v[216:217], v[216:217], 1.0
	s_delay_alu instid0(VALU_DEP_1) | instskip(SKIP_2) | instid1(VALU_DEP_1)
	v_rcp_f64_e32 v[220:221], v[218:219]
	s_waitcnt_depctr 0xfff
	v_fma_f64 v[222:223], -v[218:219], v[220:221], 1.0
	v_fma_f64 v[220:221], v[220:221], v[222:223], v[220:221]
	s_delay_alu instid0(VALU_DEP_1) | instskip(NEXT) | instid1(VALU_DEP_1)
	v_fma_f64 v[222:223], -v[218:219], v[220:221], 1.0
	v_fma_f64 v[220:221], v[220:221], v[222:223], v[220:221]
	v_div_scale_f64 v[222:223], vcc_lo, 1.0, v[216:217], 1.0
	s_delay_alu instid0(VALU_DEP_1) | instskip(NEXT) | instid1(VALU_DEP_1)
	v_mul_f64 v[224:225], v[222:223], v[220:221]
	v_fma_f64 v[218:219], -v[218:219], v[224:225], v[222:223]
	s_delay_alu instid0(VALU_DEP_1) | instskip(NEXT) | instid1(VALU_DEP_1)
	v_div_fmas_f64 v[218:219], v[218:219], v[220:221], v[224:225]
	v_div_fixup_f64 v[222:223], v[218:219], v[216:217], 1.0
                                        ; implicit-def: $vgpr216_vgpr217
	s_delay_alu instid0(VALU_DEP_1)
	v_mul_f64 v[212:213], v[212:213], v[222:223]
	v_xor_b32_e32 v223, 0x80000000, v223
.LBB115_302:
	s_and_not1_saveexec_b32 s3, s3
	s_cbranch_execz .LBB115_304
; %bb.303:
	v_div_scale_f64 v[212:213], null, v[216:217], v[216:217], v[218:219]
	v_div_scale_f64 v[224:225], vcc_lo, v[218:219], v[216:217], v[218:219]
	s_delay_alu instid0(VALU_DEP_2) | instskip(SKIP_2) | instid1(VALU_DEP_1)
	v_rcp_f64_e32 v[220:221], v[212:213]
	s_waitcnt_depctr 0xfff
	v_fma_f64 v[222:223], -v[212:213], v[220:221], 1.0
	v_fma_f64 v[220:221], v[220:221], v[222:223], v[220:221]
	s_delay_alu instid0(VALU_DEP_1) | instskip(NEXT) | instid1(VALU_DEP_1)
	v_fma_f64 v[222:223], -v[212:213], v[220:221], 1.0
	v_fma_f64 v[220:221], v[220:221], v[222:223], v[220:221]
	s_delay_alu instid0(VALU_DEP_1) | instskip(NEXT) | instid1(VALU_DEP_1)
	v_mul_f64 v[222:223], v[224:225], v[220:221]
	v_fma_f64 v[212:213], -v[212:213], v[222:223], v[224:225]
	s_delay_alu instid0(VALU_DEP_1) | instskip(NEXT) | instid1(VALU_DEP_1)
	v_div_fmas_f64 v[212:213], v[212:213], v[220:221], v[222:223]
	v_div_fixup_f64 v[220:221], v[212:213], v[216:217], v[218:219]
	s_delay_alu instid0(VALU_DEP_1) | instskip(NEXT) | instid1(VALU_DEP_1)
	v_fma_f64 v[212:213], v[218:219], v[220:221], v[216:217]
	v_div_scale_f64 v[216:217], null, v[212:213], v[212:213], 1.0
	s_delay_alu instid0(VALU_DEP_1) | instskip(SKIP_2) | instid1(VALU_DEP_1)
	v_rcp_f64_e32 v[218:219], v[216:217]
	s_waitcnt_depctr 0xfff
	v_fma_f64 v[222:223], -v[216:217], v[218:219], 1.0
	v_fma_f64 v[218:219], v[218:219], v[222:223], v[218:219]
	s_delay_alu instid0(VALU_DEP_1) | instskip(NEXT) | instid1(VALU_DEP_1)
	v_fma_f64 v[222:223], -v[216:217], v[218:219], 1.0
	v_fma_f64 v[218:219], v[218:219], v[222:223], v[218:219]
	v_div_scale_f64 v[222:223], vcc_lo, 1.0, v[212:213], 1.0
	s_delay_alu instid0(VALU_DEP_1) | instskip(NEXT) | instid1(VALU_DEP_1)
	v_mul_f64 v[224:225], v[222:223], v[218:219]
	v_fma_f64 v[216:217], -v[216:217], v[224:225], v[222:223]
	s_delay_alu instid0(VALU_DEP_1) | instskip(NEXT) | instid1(VALU_DEP_1)
	v_div_fmas_f64 v[216:217], v[216:217], v[218:219], v[224:225]
	v_div_fixup_f64 v[212:213], v[216:217], v[212:213], 1.0
	s_delay_alu instid0(VALU_DEP_1)
	v_mul_f64 v[222:223], v[220:221], -v[212:213]
.LBB115_304:
	s_or_b32 exec_lo, exec_lo, s3
	ds_store_2addr_b64 v209, v[212:213], v[222:223] offset1:1
.LBB115_305:
	s_or_b32 exec_lo, exec_lo, s4
	s_waitcnt lgkmcnt(0)
	s_barrier
	buffer_gl0_inv
	ds_load_2addr_b64 v[204:207], v209 offset1:1
	s_mov_b32 s3, exec_lo
	s_waitcnt lgkmcnt(0)
	scratch_store_b128 off, v[204:207], off offset:1092 ; 16-byte Folded Spill
	v_cmpx_lt_u32_e32 33, v208
	s_cbranch_execz .LBB115_307
; %bb.306:
	scratch_load_b128 v[204:207], off, off offset:1092 ; 16-byte Folded Reload
	ds_load_2addr_b64 v[218:221], v214 offset0:68 offset1:69
	s_waitcnt vmcnt(0)
	v_mul_f64 v[212:213], v[206:207], v[98:99]
	v_mul_f64 v[98:99], v[204:205], v[98:99]
	s_delay_alu instid0(VALU_DEP_2) | instskip(NEXT) | instid1(VALU_DEP_2)
	v_fma_f64 v[216:217], v[204:205], v[96:97], -v[212:213]
	v_fma_f64 v[98:99], v[206:207], v[96:97], v[98:99]
	s_waitcnt lgkmcnt(0)
	s_delay_alu instid0(VALU_DEP_1) | instskip(SKIP_1) | instid1(VALU_DEP_2)
	v_mul_f64 v[96:97], v[220:221], v[98:99]
	v_mul_f64 v[212:213], v[218:219], v[98:99]
	v_fma_f64 v[96:97], v[218:219], v[216:217], -v[96:97]
	s_delay_alu instid0(VALU_DEP_2)
	v_fma_f64 v[212:213], v[220:221], v[216:217], v[212:213]
	ds_load_2addr_b64 v[218:221], v214 offset0:70 offset1:71
	v_add_f64 v[92:93], v[92:93], -v[96:97]
	v_add_f64 v[94:95], v[94:95], -v[212:213]
	s_waitcnt lgkmcnt(0)
	v_mul_f64 v[96:97], v[220:221], v[98:99]
	v_mul_f64 v[212:213], v[218:219], v[98:99]
	s_delay_alu instid0(VALU_DEP_2) | instskip(NEXT) | instid1(VALU_DEP_2)
	v_fma_f64 v[96:97], v[218:219], v[216:217], -v[96:97]
	v_fma_f64 v[212:213], v[220:221], v[216:217], v[212:213]
	ds_load_2addr_b64 v[218:221], v214 offset0:72 offset1:73
	v_add_f64 v[88:89], v[88:89], -v[96:97]
	v_add_f64 v[90:91], v[90:91], -v[212:213]
	s_waitcnt lgkmcnt(0)
	v_mul_f64 v[96:97], v[220:221], v[98:99]
	v_mul_f64 v[212:213], v[218:219], v[98:99]
	s_delay_alu instid0(VALU_DEP_2) | instskip(NEXT) | instid1(VALU_DEP_2)
	v_fma_f64 v[96:97], v[218:219], v[216:217], -v[96:97]
	;; [unrolled: 9-line block ×23, first 2 shown]
	v_fma_f64 v[212:213], v[220:221], v[216:217], v[212:213]
	s_delay_alu instid0(VALU_DEP_2) | instskip(NEXT) | instid1(VALU_DEP_2)
	v_add_f64 v[0:1], v[0:1], -v[96:97]
	v_add_f64 v[2:3], v[2:3], -v[212:213]
	v_dual_mov_b32 v96, v216 :: v_dual_mov_b32 v97, v217
.LBB115_307:
	s_or_b32 exec_lo, exec_lo, s3
	s_delay_alu instid0(SALU_CYCLE_1)
	s_mov_b32 s4, exec_lo
	s_waitcnt_vscnt null, 0x0
	s_barrier
	buffer_gl0_inv
	v_cmpx_eq_u32_e32 34, v208
	s_cbranch_execz .LBB115_314
; %bb.308:
	ds_store_2addr_b64 v209, v[92:93], v[94:95] offset1:1
	ds_store_2addr_b64 v214, v[88:89], v[90:91] offset0:70 offset1:71
	ds_store_2addr_b64 v214, v[84:85], v[86:87] offset0:72 offset1:73
	ds_store_2addr_b64 v214, v[80:81], v[82:83] offset0:74 offset1:75
	ds_store_2addr_b64 v214, v[76:77], v[78:79] offset0:76 offset1:77
	ds_store_2addr_b64 v214, v[72:73], v[74:75] offset0:78 offset1:79
	ds_store_2addr_b64 v214, v[68:69], v[70:71] offset0:80 offset1:81
	ds_store_2addr_b64 v214, v[64:65], v[66:67] offset0:82 offset1:83
	ds_store_2addr_b64 v214, v[60:61], v[62:63] offset0:84 offset1:85
	ds_store_2addr_b64 v214, v[56:57], v[58:59] offset0:86 offset1:87
	ds_store_2addr_b64 v214, v[52:53], v[54:55] offset0:88 offset1:89
	ds_store_2addr_b64 v214, v[48:49], v[50:51] offset0:90 offset1:91
	ds_store_2addr_b64 v214, v[44:45], v[46:47] offset0:92 offset1:93
	ds_store_2addr_b64 v214, v[40:41], v[42:43] offset0:94 offset1:95
	ds_store_2addr_b64 v214, v[36:37], v[38:39] offset0:96 offset1:97
	ds_store_2addr_b64 v214, v[32:33], v[34:35] offset0:98 offset1:99
	ds_store_2addr_b64 v214, v[28:29], v[30:31] offset0:100 offset1:101
	ds_store_2addr_b64 v214, v[24:25], v[26:27] offset0:102 offset1:103
	ds_store_2addr_b64 v214, v[20:21], v[22:23] offset0:104 offset1:105
	ds_store_2addr_b64 v214, v[16:17], v[18:19] offset0:106 offset1:107
	ds_store_2addr_b64 v214, v[12:13], v[14:15] offset0:108 offset1:109
	ds_store_2addr_b64 v214, v[8:9], v[10:11] offset0:110 offset1:111
	ds_store_2addr_b64 v214, v[4:5], v[6:7] offset0:112 offset1:113
	ds_store_2addr_b64 v214, v[0:1], v[2:3] offset0:114 offset1:115
	ds_load_2addr_b64 v[216:219], v209 offset1:1
	s_waitcnt lgkmcnt(0)
	v_cmp_neq_f64_e32 vcc_lo, 0, v[216:217]
	v_cmp_neq_f64_e64 s3, 0, v[218:219]
	s_delay_alu instid0(VALU_DEP_1) | instskip(NEXT) | instid1(SALU_CYCLE_1)
	s_or_b32 s3, vcc_lo, s3
	s_and_b32 exec_lo, exec_lo, s3
	s_cbranch_execz .LBB115_314
; %bb.309:
	v_cmp_gt_f64_e32 vcc_lo, 0, v[216:217]
	v_xor_b32_e32 v212, 0x80000000, v217
	v_xor_b32_e32 v215, 0x80000000, v219
	s_delay_alu instid0(VALU_DEP_2) | instskip(SKIP_2) | instid1(VALU_DEP_4)
	v_cndmask_b32_e32 v213, v217, v212, vcc_lo
	v_cndmask_b32_e32 v212, v216, v216, vcc_lo
	v_cmp_gt_f64_e32 vcc_lo, 0, v[218:219]
	v_dual_cndmask_b32 v221, v219, v215 :: v_dual_cndmask_b32 v220, v218, v218
	s_delay_alu instid0(VALU_DEP_1) | instskip(SKIP_1) | instid1(SALU_CYCLE_1)
	v_cmp_ngt_f64_e32 vcc_lo, v[212:213], v[220:221]
                                        ; implicit-def: $vgpr212_vgpr213
	s_and_saveexec_b32 s3, vcc_lo
	s_xor_b32 s3, exec_lo, s3
                                        ; implicit-def: $vgpr220_vgpr221_vgpr222_vgpr223
	s_cbranch_execz .LBB115_311
; %bb.310:
	v_div_scale_f64 v[212:213], null, v[218:219], v[218:219], v[216:217]
	v_div_scale_f64 v[224:225], vcc_lo, v[216:217], v[218:219], v[216:217]
	s_delay_alu instid0(VALU_DEP_2) | instskip(SKIP_2) | instid1(VALU_DEP_1)
	v_rcp_f64_e32 v[220:221], v[212:213]
	s_waitcnt_depctr 0xfff
	v_fma_f64 v[222:223], -v[212:213], v[220:221], 1.0
	v_fma_f64 v[220:221], v[220:221], v[222:223], v[220:221]
	s_delay_alu instid0(VALU_DEP_1) | instskip(NEXT) | instid1(VALU_DEP_1)
	v_fma_f64 v[222:223], -v[212:213], v[220:221], 1.0
	v_fma_f64 v[220:221], v[220:221], v[222:223], v[220:221]
	s_delay_alu instid0(VALU_DEP_1) | instskip(NEXT) | instid1(VALU_DEP_1)
	v_mul_f64 v[222:223], v[224:225], v[220:221]
	v_fma_f64 v[212:213], -v[212:213], v[222:223], v[224:225]
	s_delay_alu instid0(VALU_DEP_1) | instskip(NEXT) | instid1(VALU_DEP_1)
	v_div_fmas_f64 v[212:213], v[212:213], v[220:221], v[222:223]
	v_div_fixup_f64 v[212:213], v[212:213], v[218:219], v[216:217]
	s_delay_alu instid0(VALU_DEP_1) | instskip(NEXT) | instid1(VALU_DEP_1)
	v_fma_f64 v[216:217], v[216:217], v[212:213], v[218:219]
	v_div_scale_f64 v[218:219], null, v[216:217], v[216:217], 1.0
	s_delay_alu instid0(VALU_DEP_1) | instskip(SKIP_2) | instid1(VALU_DEP_1)
	v_rcp_f64_e32 v[220:221], v[218:219]
	s_waitcnt_depctr 0xfff
	v_fma_f64 v[222:223], -v[218:219], v[220:221], 1.0
	v_fma_f64 v[220:221], v[220:221], v[222:223], v[220:221]
	s_delay_alu instid0(VALU_DEP_1) | instskip(NEXT) | instid1(VALU_DEP_1)
	v_fma_f64 v[222:223], -v[218:219], v[220:221], 1.0
	v_fma_f64 v[220:221], v[220:221], v[222:223], v[220:221]
	v_div_scale_f64 v[222:223], vcc_lo, 1.0, v[216:217], 1.0
	s_delay_alu instid0(VALU_DEP_1) | instskip(NEXT) | instid1(VALU_DEP_1)
	v_mul_f64 v[224:225], v[222:223], v[220:221]
	v_fma_f64 v[218:219], -v[218:219], v[224:225], v[222:223]
	s_delay_alu instid0(VALU_DEP_1) | instskip(NEXT) | instid1(VALU_DEP_1)
	v_div_fmas_f64 v[218:219], v[218:219], v[220:221], v[224:225]
	v_div_fixup_f64 v[222:223], v[218:219], v[216:217], 1.0
                                        ; implicit-def: $vgpr216_vgpr217
	s_delay_alu instid0(VALU_DEP_1)
	v_mul_f64 v[212:213], v[212:213], v[222:223]
	v_xor_b32_e32 v223, 0x80000000, v223
.LBB115_311:
	s_and_not1_saveexec_b32 s3, s3
	s_cbranch_execz .LBB115_313
; %bb.312:
	v_div_scale_f64 v[212:213], null, v[216:217], v[216:217], v[218:219]
	v_div_scale_f64 v[224:225], vcc_lo, v[218:219], v[216:217], v[218:219]
	s_delay_alu instid0(VALU_DEP_2) | instskip(SKIP_2) | instid1(VALU_DEP_1)
	v_rcp_f64_e32 v[220:221], v[212:213]
	s_waitcnt_depctr 0xfff
	v_fma_f64 v[222:223], -v[212:213], v[220:221], 1.0
	v_fma_f64 v[220:221], v[220:221], v[222:223], v[220:221]
	s_delay_alu instid0(VALU_DEP_1) | instskip(NEXT) | instid1(VALU_DEP_1)
	v_fma_f64 v[222:223], -v[212:213], v[220:221], 1.0
	v_fma_f64 v[220:221], v[220:221], v[222:223], v[220:221]
	s_delay_alu instid0(VALU_DEP_1) | instskip(NEXT) | instid1(VALU_DEP_1)
	v_mul_f64 v[222:223], v[224:225], v[220:221]
	v_fma_f64 v[212:213], -v[212:213], v[222:223], v[224:225]
	s_delay_alu instid0(VALU_DEP_1) | instskip(NEXT) | instid1(VALU_DEP_1)
	v_div_fmas_f64 v[212:213], v[212:213], v[220:221], v[222:223]
	v_div_fixup_f64 v[220:221], v[212:213], v[216:217], v[218:219]
	s_delay_alu instid0(VALU_DEP_1) | instskip(NEXT) | instid1(VALU_DEP_1)
	v_fma_f64 v[212:213], v[218:219], v[220:221], v[216:217]
	v_div_scale_f64 v[216:217], null, v[212:213], v[212:213], 1.0
	s_delay_alu instid0(VALU_DEP_1) | instskip(SKIP_2) | instid1(VALU_DEP_1)
	v_rcp_f64_e32 v[218:219], v[216:217]
	s_waitcnt_depctr 0xfff
	v_fma_f64 v[222:223], -v[216:217], v[218:219], 1.0
	v_fma_f64 v[218:219], v[218:219], v[222:223], v[218:219]
	s_delay_alu instid0(VALU_DEP_1) | instskip(NEXT) | instid1(VALU_DEP_1)
	v_fma_f64 v[222:223], -v[216:217], v[218:219], 1.0
	v_fma_f64 v[218:219], v[218:219], v[222:223], v[218:219]
	v_div_scale_f64 v[222:223], vcc_lo, 1.0, v[212:213], 1.0
	s_delay_alu instid0(VALU_DEP_1) | instskip(NEXT) | instid1(VALU_DEP_1)
	v_mul_f64 v[224:225], v[222:223], v[218:219]
	v_fma_f64 v[216:217], -v[216:217], v[224:225], v[222:223]
	s_delay_alu instid0(VALU_DEP_1) | instskip(NEXT) | instid1(VALU_DEP_1)
	v_div_fmas_f64 v[216:217], v[216:217], v[218:219], v[224:225]
	v_div_fixup_f64 v[212:213], v[216:217], v[212:213], 1.0
	s_delay_alu instid0(VALU_DEP_1)
	v_mul_f64 v[222:223], v[220:221], -v[212:213]
.LBB115_313:
	s_or_b32 exec_lo, exec_lo, s3
	ds_store_2addr_b64 v209, v[212:213], v[222:223] offset1:1
.LBB115_314:
	s_or_b32 exec_lo, exec_lo, s4
	s_waitcnt lgkmcnt(0)
	s_barrier
	buffer_gl0_inv
	ds_load_2addr_b64 v[204:207], v209 offset1:1
	s_mov_b32 s3, exec_lo
	s_waitcnt lgkmcnt(0)
	scratch_store_b128 off, v[204:207], off offset:1108 ; 16-byte Folded Spill
	v_cmpx_lt_u32_e32 34, v208
	s_cbranch_execz .LBB115_316
; %bb.315:
	scratch_load_b128 v[204:207], off, off offset:1108 ; 16-byte Folded Reload
	ds_load_2addr_b64 v[218:221], v214 offset0:70 offset1:71
	s_waitcnt vmcnt(0)
	v_mul_f64 v[212:213], v[206:207], v[94:95]
	v_mul_f64 v[94:95], v[204:205], v[94:95]
	s_delay_alu instid0(VALU_DEP_2) | instskip(NEXT) | instid1(VALU_DEP_2)
	v_fma_f64 v[216:217], v[204:205], v[92:93], -v[212:213]
	v_fma_f64 v[94:95], v[206:207], v[92:93], v[94:95]
	s_waitcnt lgkmcnt(0)
	s_delay_alu instid0(VALU_DEP_1) | instskip(SKIP_1) | instid1(VALU_DEP_2)
	v_mul_f64 v[92:93], v[220:221], v[94:95]
	v_mul_f64 v[212:213], v[218:219], v[94:95]
	v_fma_f64 v[92:93], v[218:219], v[216:217], -v[92:93]
	s_delay_alu instid0(VALU_DEP_2)
	v_fma_f64 v[212:213], v[220:221], v[216:217], v[212:213]
	ds_load_2addr_b64 v[218:221], v214 offset0:72 offset1:73
	v_add_f64 v[88:89], v[88:89], -v[92:93]
	v_add_f64 v[90:91], v[90:91], -v[212:213]
	s_waitcnt lgkmcnt(0)
	v_mul_f64 v[92:93], v[220:221], v[94:95]
	v_mul_f64 v[212:213], v[218:219], v[94:95]
	s_delay_alu instid0(VALU_DEP_2) | instskip(NEXT) | instid1(VALU_DEP_2)
	v_fma_f64 v[92:93], v[218:219], v[216:217], -v[92:93]
	v_fma_f64 v[212:213], v[220:221], v[216:217], v[212:213]
	ds_load_2addr_b64 v[218:221], v214 offset0:74 offset1:75
	v_add_f64 v[84:85], v[84:85], -v[92:93]
	v_add_f64 v[86:87], v[86:87], -v[212:213]
	s_waitcnt lgkmcnt(0)
	v_mul_f64 v[92:93], v[220:221], v[94:95]
	v_mul_f64 v[212:213], v[218:219], v[94:95]
	s_delay_alu instid0(VALU_DEP_2) | instskip(NEXT) | instid1(VALU_DEP_2)
	v_fma_f64 v[92:93], v[218:219], v[216:217], -v[92:93]
	;; [unrolled: 9-line block ×22, first 2 shown]
	v_fma_f64 v[212:213], v[220:221], v[216:217], v[212:213]
	s_delay_alu instid0(VALU_DEP_2) | instskip(NEXT) | instid1(VALU_DEP_2)
	v_add_f64 v[0:1], v[0:1], -v[92:93]
	v_add_f64 v[2:3], v[2:3], -v[212:213]
	v_dual_mov_b32 v92, v216 :: v_dual_mov_b32 v93, v217
.LBB115_316:
	s_or_b32 exec_lo, exec_lo, s3
	s_delay_alu instid0(SALU_CYCLE_1)
	s_mov_b32 s4, exec_lo
	s_waitcnt_vscnt null, 0x0
	s_barrier
	buffer_gl0_inv
	v_cmpx_eq_u32_e32 35, v208
	s_cbranch_execz .LBB115_323
; %bb.317:
	ds_store_2addr_b64 v209, v[88:89], v[90:91] offset1:1
	ds_store_2addr_b64 v214, v[84:85], v[86:87] offset0:72 offset1:73
	ds_store_2addr_b64 v214, v[80:81], v[82:83] offset0:74 offset1:75
	ds_store_2addr_b64 v214, v[76:77], v[78:79] offset0:76 offset1:77
	ds_store_2addr_b64 v214, v[72:73], v[74:75] offset0:78 offset1:79
	ds_store_2addr_b64 v214, v[68:69], v[70:71] offset0:80 offset1:81
	ds_store_2addr_b64 v214, v[64:65], v[66:67] offset0:82 offset1:83
	ds_store_2addr_b64 v214, v[60:61], v[62:63] offset0:84 offset1:85
	ds_store_2addr_b64 v214, v[56:57], v[58:59] offset0:86 offset1:87
	ds_store_2addr_b64 v214, v[52:53], v[54:55] offset0:88 offset1:89
	ds_store_2addr_b64 v214, v[48:49], v[50:51] offset0:90 offset1:91
	ds_store_2addr_b64 v214, v[44:45], v[46:47] offset0:92 offset1:93
	ds_store_2addr_b64 v214, v[40:41], v[42:43] offset0:94 offset1:95
	ds_store_2addr_b64 v214, v[36:37], v[38:39] offset0:96 offset1:97
	ds_store_2addr_b64 v214, v[32:33], v[34:35] offset0:98 offset1:99
	ds_store_2addr_b64 v214, v[28:29], v[30:31] offset0:100 offset1:101
	ds_store_2addr_b64 v214, v[24:25], v[26:27] offset0:102 offset1:103
	ds_store_2addr_b64 v214, v[20:21], v[22:23] offset0:104 offset1:105
	ds_store_2addr_b64 v214, v[16:17], v[18:19] offset0:106 offset1:107
	ds_store_2addr_b64 v214, v[12:13], v[14:15] offset0:108 offset1:109
	ds_store_2addr_b64 v214, v[8:9], v[10:11] offset0:110 offset1:111
	ds_store_2addr_b64 v214, v[4:5], v[6:7] offset0:112 offset1:113
	ds_store_2addr_b64 v214, v[0:1], v[2:3] offset0:114 offset1:115
	ds_load_2addr_b64 v[216:219], v209 offset1:1
	s_waitcnt lgkmcnt(0)
	v_cmp_neq_f64_e32 vcc_lo, 0, v[216:217]
	v_cmp_neq_f64_e64 s3, 0, v[218:219]
	s_delay_alu instid0(VALU_DEP_1) | instskip(NEXT) | instid1(SALU_CYCLE_1)
	s_or_b32 s3, vcc_lo, s3
	s_and_b32 exec_lo, exec_lo, s3
	s_cbranch_execz .LBB115_323
; %bb.318:
	v_cmp_gt_f64_e32 vcc_lo, 0, v[216:217]
	v_xor_b32_e32 v212, 0x80000000, v217
	v_xor_b32_e32 v215, 0x80000000, v219
	s_delay_alu instid0(VALU_DEP_2) | instskip(SKIP_2) | instid1(VALU_DEP_4)
	v_cndmask_b32_e32 v213, v217, v212, vcc_lo
	v_cndmask_b32_e32 v212, v216, v216, vcc_lo
	v_cmp_gt_f64_e32 vcc_lo, 0, v[218:219]
	v_dual_cndmask_b32 v221, v219, v215 :: v_dual_cndmask_b32 v220, v218, v218
	s_delay_alu instid0(VALU_DEP_1) | instskip(SKIP_1) | instid1(SALU_CYCLE_1)
	v_cmp_ngt_f64_e32 vcc_lo, v[212:213], v[220:221]
                                        ; implicit-def: $vgpr212_vgpr213
	s_and_saveexec_b32 s3, vcc_lo
	s_xor_b32 s3, exec_lo, s3
                                        ; implicit-def: $vgpr220_vgpr221_vgpr222_vgpr223
	s_cbranch_execz .LBB115_320
; %bb.319:
	v_div_scale_f64 v[212:213], null, v[218:219], v[218:219], v[216:217]
	v_div_scale_f64 v[224:225], vcc_lo, v[216:217], v[218:219], v[216:217]
	s_delay_alu instid0(VALU_DEP_2) | instskip(SKIP_2) | instid1(VALU_DEP_1)
	v_rcp_f64_e32 v[220:221], v[212:213]
	s_waitcnt_depctr 0xfff
	v_fma_f64 v[222:223], -v[212:213], v[220:221], 1.0
	v_fma_f64 v[220:221], v[220:221], v[222:223], v[220:221]
	s_delay_alu instid0(VALU_DEP_1) | instskip(NEXT) | instid1(VALU_DEP_1)
	v_fma_f64 v[222:223], -v[212:213], v[220:221], 1.0
	v_fma_f64 v[220:221], v[220:221], v[222:223], v[220:221]
	s_delay_alu instid0(VALU_DEP_1) | instskip(NEXT) | instid1(VALU_DEP_1)
	v_mul_f64 v[222:223], v[224:225], v[220:221]
	v_fma_f64 v[212:213], -v[212:213], v[222:223], v[224:225]
	s_delay_alu instid0(VALU_DEP_1) | instskip(NEXT) | instid1(VALU_DEP_1)
	v_div_fmas_f64 v[212:213], v[212:213], v[220:221], v[222:223]
	v_div_fixup_f64 v[212:213], v[212:213], v[218:219], v[216:217]
	s_delay_alu instid0(VALU_DEP_1) | instskip(NEXT) | instid1(VALU_DEP_1)
	v_fma_f64 v[216:217], v[216:217], v[212:213], v[218:219]
	v_div_scale_f64 v[218:219], null, v[216:217], v[216:217], 1.0
	s_delay_alu instid0(VALU_DEP_1) | instskip(SKIP_2) | instid1(VALU_DEP_1)
	v_rcp_f64_e32 v[220:221], v[218:219]
	s_waitcnt_depctr 0xfff
	v_fma_f64 v[222:223], -v[218:219], v[220:221], 1.0
	v_fma_f64 v[220:221], v[220:221], v[222:223], v[220:221]
	s_delay_alu instid0(VALU_DEP_1) | instskip(NEXT) | instid1(VALU_DEP_1)
	v_fma_f64 v[222:223], -v[218:219], v[220:221], 1.0
	v_fma_f64 v[220:221], v[220:221], v[222:223], v[220:221]
	v_div_scale_f64 v[222:223], vcc_lo, 1.0, v[216:217], 1.0
	s_delay_alu instid0(VALU_DEP_1) | instskip(NEXT) | instid1(VALU_DEP_1)
	v_mul_f64 v[224:225], v[222:223], v[220:221]
	v_fma_f64 v[218:219], -v[218:219], v[224:225], v[222:223]
	s_delay_alu instid0(VALU_DEP_1) | instskip(NEXT) | instid1(VALU_DEP_1)
	v_div_fmas_f64 v[218:219], v[218:219], v[220:221], v[224:225]
	v_div_fixup_f64 v[222:223], v[218:219], v[216:217], 1.0
                                        ; implicit-def: $vgpr216_vgpr217
	s_delay_alu instid0(VALU_DEP_1)
	v_mul_f64 v[212:213], v[212:213], v[222:223]
	v_xor_b32_e32 v223, 0x80000000, v223
.LBB115_320:
	s_and_not1_saveexec_b32 s3, s3
	s_cbranch_execz .LBB115_322
; %bb.321:
	v_div_scale_f64 v[212:213], null, v[216:217], v[216:217], v[218:219]
	v_div_scale_f64 v[224:225], vcc_lo, v[218:219], v[216:217], v[218:219]
	s_delay_alu instid0(VALU_DEP_2) | instskip(SKIP_2) | instid1(VALU_DEP_1)
	v_rcp_f64_e32 v[220:221], v[212:213]
	s_waitcnt_depctr 0xfff
	v_fma_f64 v[222:223], -v[212:213], v[220:221], 1.0
	v_fma_f64 v[220:221], v[220:221], v[222:223], v[220:221]
	s_delay_alu instid0(VALU_DEP_1) | instskip(NEXT) | instid1(VALU_DEP_1)
	v_fma_f64 v[222:223], -v[212:213], v[220:221], 1.0
	v_fma_f64 v[220:221], v[220:221], v[222:223], v[220:221]
	s_delay_alu instid0(VALU_DEP_1) | instskip(NEXT) | instid1(VALU_DEP_1)
	v_mul_f64 v[222:223], v[224:225], v[220:221]
	v_fma_f64 v[212:213], -v[212:213], v[222:223], v[224:225]
	s_delay_alu instid0(VALU_DEP_1) | instskip(NEXT) | instid1(VALU_DEP_1)
	v_div_fmas_f64 v[212:213], v[212:213], v[220:221], v[222:223]
	v_div_fixup_f64 v[220:221], v[212:213], v[216:217], v[218:219]
	s_delay_alu instid0(VALU_DEP_1) | instskip(NEXT) | instid1(VALU_DEP_1)
	v_fma_f64 v[212:213], v[218:219], v[220:221], v[216:217]
	v_div_scale_f64 v[216:217], null, v[212:213], v[212:213], 1.0
	s_delay_alu instid0(VALU_DEP_1) | instskip(SKIP_2) | instid1(VALU_DEP_1)
	v_rcp_f64_e32 v[218:219], v[216:217]
	s_waitcnt_depctr 0xfff
	v_fma_f64 v[222:223], -v[216:217], v[218:219], 1.0
	v_fma_f64 v[218:219], v[218:219], v[222:223], v[218:219]
	s_delay_alu instid0(VALU_DEP_1) | instskip(NEXT) | instid1(VALU_DEP_1)
	v_fma_f64 v[222:223], -v[216:217], v[218:219], 1.0
	v_fma_f64 v[218:219], v[218:219], v[222:223], v[218:219]
	v_div_scale_f64 v[222:223], vcc_lo, 1.0, v[212:213], 1.0
	s_delay_alu instid0(VALU_DEP_1) | instskip(NEXT) | instid1(VALU_DEP_1)
	v_mul_f64 v[224:225], v[222:223], v[218:219]
	v_fma_f64 v[216:217], -v[216:217], v[224:225], v[222:223]
	s_delay_alu instid0(VALU_DEP_1) | instskip(NEXT) | instid1(VALU_DEP_1)
	v_div_fmas_f64 v[216:217], v[216:217], v[218:219], v[224:225]
	v_div_fixup_f64 v[212:213], v[216:217], v[212:213], 1.0
	s_delay_alu instid0(VALU_DEP_1)
	v_mul_f64 v[222:223], v[220:221], -v[212:213]
.LBB115_322:
	s_or_b32 exec_lo, exec_lo, s3
	ds_store_2addr_b64 v209, v[212:213], v[222:223] offset1:1
.LBB115_323:
	s_or_b32 exec_lo, exec_lo, s4
	s_waitcnt lgkmcnt(0)
	s_barrier
	buffer_gl0_inv
	ds_load_2addr_b64 v[204:207], v209 offset1:1
	s_mov_b32 s3, exec_lo
	s_waitcnt lgkmcnt(0)
	scratch_store_b128 off, v[204:207], off offset:1124 ; 16-byte Folded Spill
	v_cmpx_lt_u32_e32 35, v208
	s_cbranch_execz .LBB115_325
; %bb.324:
	scratch_load_b128 v[204:207], off, off offset:1124 ; 16-byte Folded Reload
	ds_load_2addr_b64 v[218:221], v214 offset0:72 offset1:73
	s_waitcnt vmcnt(0)
	v_mul_f64 v[212:213], v[206:207], v[90:91]
	v_mul_f64 v[90:91], v[204:205], v[90:91]
	s_delay_alu instid0(VALU_DEP_2) | instskip(NEXT) | instid1(VALU_DEP_2)
	v_fma_f64 v[216:217], v[204:205], v[88:89], -v[212:213]
	v_fma_f64 v[90:91], v[206:207], v[88:89], v[90:91]
	s_waitcnt lgkmcnt(0)
	s_delay_alu instid0(VALU_DEP_1) | instskip(SKIP_1) | instid1(VALU_DEP_2)
	v_mul_f64 v[88:89], v[220:221], v[90:91]
	v_mul_f64 v[212:213], v[218:219], v[90:91]
	v_fma_f64 v[88:89], v[218:219], v[216:217], -v[88:89]
	s_delay_alu instid0(VALU_DEP_2)
	v_fma_f64 v[212:213], v[220:221], v[216:217], v[212:213]
	ds_load_2addr_b64 v[218:221], v214 offset0:74 offset1:75
	v_add_f64 v[84:85], v[84:85], -v[88:89]
	v_add_f64 v[86:87], v[86:87], -v[212:213]
	s_waitcnt lgkmcnt(0)
	v_mul_f64 v[88:89], v[220:221], v[90:91]
	v_mul_f64 v[212:213], v[218:219], v[90:91]
	s_delay_alu instid0(VALU_DEP_2) | instskip(NEXT) | instid1(VALU_DEP_2)
	v_fma_f64 v[88:89], v[218:219], v[216:217], -v[88:89]
	v_fma_f64 v[212:213], v[220:221], v[216:217], v[212:213]
	ds_load_2addr_b64 v[218:221], v214 offset0:76 offset1:77
	v_add_f64 v[80:81], v[80:81], -v[88:89]
	v_add_f64 v[82:83], v[82:83], -v[212:213]
	s_waitcnt lgkmcnt(0)
	v_mul_f64 v[88:89], v[220:221], v[90:91]
	v_mul_f64 v[212:213], v[218:219], v[90:91]
	s_delay_alu instid0(VALU_DEP_2) | instskip(NEXT) | instid1(VALU_DEP_2)
	v_fma_f64 v[88:89], v[218:219], v[216:217], -v[88:89]
	;; [unrolled: 9-line block ×21, first 2 shown]
	v_fma_f64 v[212:213], v[220:221], v[216:217], v[212:213]
	s_delay_alu instid0(VALU_DEP_2) | instskip(NEXT) | instid1(VALU_DEP_2)
	v_add_f64 v[0:1], v[0:1], -v[88:89]
	v_add_f64 v[2:3], v[2:3], -v[212:213]
	v_dual_mov_b32 v88, v216 :: v_dual_mov_b32 v89, v217
.LBB115_325:
	s_or_b32 exec_lo, exec_lo, s3
	s_delay_alu instid0(SALU_CYCLE_1)
	s_mov_b32 s4, exec_lo
	s_waitcnt_vscnt null, 0x0
	s_barrier
	buffer_gl0_inv
	v_cmpx_eq_u32_e32 36, v208
	s_cbranch_execz .LBB115_332
; %bb.326:
	ds_store_2addr_b64 v209, v[84:85], v[86:87] offset1:1
	ds_store_2addr_b64 v214, v[80:81], v[82:83] offset0:74 offset1:75
	ds_store_2addr_b64 v214, v[76:77], v[78:79] offset0:76 offset1:77
	;; [unrolled: 1-line block ×21, first 2 shown]
	ds_load_2addr_b64 v[216:219], v209 offset1:1
	s_waitcnt lgkmcnt(0)
	v_cmp_neq_f64_e32 vcc_lo, 0, v[216:217]
	v_cmp_neq_f64_e64 s3, 0, v[218:219]
	s_delay_alu instid0(VALU_DEP_1) | instskip(NEXT) | instid1(SALU_CYCLE_1)
	s_or_b32 s3, vcc_lo, s3
	s_and_b32 exec_lo, exec_lo, s3
	s_cbranch_execz .LBB115_332
; %bb.327:
	v_cmp_gt_f64_e32 vcc_lo, 0, v[216:217]
	v_xor_b32_e32 v212, 0x80000000, v217
	v_xor_b32_e32 v215, 0x80000000, v219
	s_delay_alu instid0(VALU_DEP_2) | instskip(SKIP_2) | instid1(VALU_DEP_4)
	v_cndmask_b32_e32 v213, v217, v212, vcc_lo
	v_cndmask_b32_e32 v212, v216, v216, vcc_lo
	v_cmp_gt_f64_e32 vcc_lo, 0, v[218:219]
	v_dual_cndmask_b32 v221, v219, v215 :: v_dual_cndmask_b32 v220, v218, v218
	s_delay_alu instid0(VALU_DEP_1) | instskip(SKIP_1) | instid1(SALU_CYCLE_1)
	v_cmp_ngt_f64_e32 vcc_lo, v[212:213], v[220:221]
                                        ; implicit-def: $vgpr212_vgpr213
	s_and_saveexec_b32 s3, vcc_lo
	s_xor_b32 s3, exec_lo, s3
                                        ; implicit-def: $vgpr220_vgpr221_vgpr222_vgpr223
	s_cbranch_execz .LBB115_329
; %bb.328:
	v_div_scale_f64 v[212:213], null, v[218:219], v[218:219], v[216:217]
	v_div_scale_f64 v[224:225], vcc_lo, v[216:217], v[218:219], v[216:217]
	s_delay_alu instid0(VALU_DEP_2) | instskip(SKIP_2) | instid1(VALU_DEP_1)
	v_rcp_f64_e32 v[220:221], v[212:213]
	s_waitcnt_depctr 0xfff
	v_fma_f64 v[222:223], -v[212:213], v[220:221], 1.0
	v_fma_f64 v[220:221], v[220:221], v[222:223], v[220:221]
	s_delay_alu instid0(VALU_DEP_1) | instskip(NEXT) | instid1(VALU_DEP_1)
	v_fma_f64 v[222:223], -v[212:213], v[220:221], 1.0
	v_fma_f64 v[220:221], v[220:221], v[222:223], v[220:221]
	s_delay_alu instid0(VALU_DEP_1) | instskip(NEXT) | instid1(VALU_DEP_1)
	v_mul_f64 v[222:223], v[224:225], v[220:221]
	v_fma_f64 v[212:213], -v[212:213], v[222:223], v[224:225]
	s_delay_alu instid0(VALU_DEP_1) | instskip(NEXT) | instid1(VALU_DEP_1)
	v_div_fmas_f64 v[212:213], v[212:213], v[220:221], v[222:223]
	v_div_fixup_f64 v[212:213], v[212:213], v[218:219], v[216:217]
	s_delay_alu instid0(VALU_DEP_1) | instskip(NEXT) | instid1(VALU_DEP_1)
	v_fma_f64 v[216:217], v[216:217], v[212:213], v[218:219]
	v_div_scale_f64 v[218:219], null, v[216:217], v[216:217], 1.0
	s_delay_alu instid0(VALU_DEP_1) | instskip(SKIP_2) | instid1(VALU_DEP_1)
	v_rcp_f64_e32 v[220:221], v[218:219]
	s_waitcnt_depctr 0xfff
	v_fma_f64 v[222:223], -v[218:219], v[220:221], 1.0
	v_fma_f64 v[220:221], v[220:221], v[222:223], v[220:221]
	s_delay_alu instid0(VALU_DEP_1) | instskip(NEXT) | instid1(VALU_DEP_1)
	v_fma_f64 v[222:223], -v[218:219], v[220:221], 1.0
	v_fma_f64 v[220:221], v[220:221], v[222:223], v[220:221]
	v_div_scale_f64 v[222:223], vcc_lo, 1.0, v[216:217], 1.0
	s_delay_alu instid0(VALU_DEP_1) | instskip(NEXT) | instid1(VALU_DEP_1)
	v_mul_f64 v[224:225], v[222:223], v[220:221]
	v_fma_f64 v[218:219], -v[218:219], v[224:225], v[222:223]
	s_delay_alu instid0(VALU_DEP_1) | instskip(NEXT) | instid1(VALU_DEP_1)
	v_div_fmas_f64 v[218:219], v[218:219], v[220:221], v[224:225]
	v_div_fixup_f64 v[222:223], v[218:219], v[216:217], 1.0
                                        ; implicit-def: $vgpr216_vgpr217
	s_delay_alu instid0(VALU_DEP_1)
	v_mul_f64 v[212:213], v[212:213], v[222:223]
	v_xor_b32_e32 v223, 0x80000000, v223
.LBB115_329:
	s_and_not1_saveexec_b32 s3, s3
	s_cbranch_execz .LBB115_331
; %bb.330:
	v_div_scale_f64 v[212:213], null, v[216:217], v[216:217], v[218:219]
	v_div_scale_f64 v[224:225], vcc_lo, v[218:219], v[216:217], v[218:219]
	s_delay_alu instid0(VALU_DEP_2) | instskip(SKIP_2) | instid1(VALU_DEP_1)
	v_rcp_f64_e32 v[220:221], v[212:213]
	s_waitcnt_depctr 0xfff
	v_fma_f64 v[222:223], -v[212:213], v[220:221], 1.0
	v_fma_f64 v[220:221], v[220:221], v[222:223], v[220:221]
	s_delay_alu instid0(VALU_DEP_1) | instskip(NEXT) | instid1(VALU_DEP_1)
	v_fma_f64 v[222:223], -v[212:213], v[220:221], 1.0
	v_fma_f64 v[220:221], v[220:221], v[222:223], v[220:221]
	s_delay_alu instid0(VALU_DEP_1) | instskip(NEXT) | instid1(VALU_DEP_1)
	v_mul_f64 v[222:223], v[224:225], v[220:221]
	v_fma_f64 v[212:213], -v[212:213], v[222:223], v[224:225]
	s_delay_alu instid0(VALU_DEP_1) | instskip(NEXT) | instid1(VALU_DEP_1)
	v_div_fmas_f64 v[212:213], v[212:213], v[220:221], v[222:223]
	v_div_fixup_f64 v[220:221], v[212:213], v[216:217], v[218:219]
	s_delay_alu instid0(VALU_DEP_1) | instskip(NEXT) | instid1(VALU_DEP_1)
	v_fma_f64 v[212:213], v[218:219], v[220:221], v[216:217]
	v_div_scale_f64 v[216:217], null, v[212:213], v[212:213], 1.0
	s_delay_alu instid0(VALU_DEP_1) | instskip(SKIP_2) | instid1(VALU_DEP_1)
	v_rcp_f64_e32 v[218:219], v[216:217]
	s_waitcnt_depctr 0xfff
	v_fma_f64 v[222:223], -v[216:217], v[218:219], 1.0
	v_fma_f64 v[218:219], v[218:219], v[222:223], v[218:219]
	s_delay_alu instid0(VALU_DEP_1) | instskip(NEXT) | instid1(VALU_DEP_1)
	v_fma_f64 v[222:223], -v[216:217], v[218:219], 1.0
	v_fma_f64 v[218:219], v[218:219], v[222:223], v[218:219]
	v_div_scale_f64 v[222:223], vcc_lo, 1.0, v[212:213], 1.0
	s_delay_alu instid0(VALU_DEP_1) | instskip(NEXT) | instid1(VALU_DEP_1)
	v_mul_f64 v[224:225], v[222:223], v[218:219]
	v_fma_f64 v[216:217], -v[216:217], v[224:225], v[222:223]
	s_delay_alu instid0(VALU_DEP_1) | instskip(NEXT) | instid1(VALU_DEP_1)
	v_div_fmas_f64 v[216:217], v[216:217], v[218:219], v[224:225]
	v_div_fixup_f64 v[212:213], v[216:217], v[212:213], 1.0
	s_delay_alu instid0(VALU_DEP_1)
	v_mul_f64 v[222:223], v[220:221], -v[212:213]
.LBB115_331:
	s_or_b32 exec_lo, exec_lo, s3
	ds_store_2addr_b64 v209, v[212:213], v[222:223] offset1:1
.LBB115_332:
	s_or_b32 exec_lo, exec_lo, s4
	s_waitcnt lgkmcnt(0)
	s_barrier
	buffer_gl0_inv
	ds_load_2addr_b64 v[204:207], v209 offset1:1
	s_mov_b32 s3, exec_lo
	s_waitcnt lgkmcnt(0)
	scratch_store_b128 off, v[204:207], off offset:1140 ; 16-byte Folded Spill
	v_cmpx_lt_u32_e32 36, v208
	s_cbranch_execz .LBB115_334
; %bb.333:
	scratch_load_b128 v[204:207], off, off offset:1140 ; 16-byte Folded Reload
	ds_load_2addr_b64 v[218:221], v214 offset0:74 offset1:75
	s_waitcnt vmcnt(0)
	v_mul_f64 v[212:213], v[206:207], v[86:87]
	v_mul_f64 v[86:87], v[204:205], v[86:87]
	s_delay_alu instid0(VALU_DEP_2) | instskip(NEXT) | instid1(VALU_DEP_2)
	v_fma_f64 v[216:217], v[204:205], v[84:85], -v[212:213]
	v_fma_f64 v[86:87], v[206:207], v[84:85], v[86:87]
	s_waitcnt lgkmcnt(0)
	s_delay_alu instid0(VALU_DEP_1) | instskip(SKIP_1) | instid1(VALU_DEP_2)
	v_mul_f64 v[84:85], v[220:221], v[86:87]
	v_mul_f64 v[212:213], v[218:219], v[86:87]
	v_fma_f64 v[84:85], v[218:219], v[216:217], -v[84:85]
	s_delay_alu instid0(VALU_DEP_2)
	v_fma_f64 v[212:213], v[220:221], v[216:217], v[212:213]
	ds_load_2addr_b64 v[218:221], v214 offset0:76 offset1:77
	v_add_f64 v[80:81], v[80:81], -v[84:85]
	v_add_f64 v[82:83], v[82:83], -v[212:213]
	s_waitcnt lgkmcnt(0)
	v_mul_f64 v[84:85], v[220:221], v[86:87]
	v_mul_f64 v[212:213], v[218:219], v[86:87]
	s_delay_alu instid0(VALU_DEP_2) | instskip(NEXT) | instid1(VALU_DEP_2)
	v_fma_f64 v[84:85], v[218:219], v[216:217], -v[84:85]
	v_fma_f64 v[212:213], v[220:221], v[216:217], v[212:213]
	ds_load_2addr_b64 v[218:221], v214 offset0:78 offset1:79
	v_add_f64 v[76:77], v[76:77], -v[84:85]
	v_add_f64 v[78:79], v[78:79], -v[212:213]
	s_waitcnt lgkmcnt(0)
	v_mul_f64 v[84:85], v[220:221], v[86:87]
	v_mul_f64 v[212:213], v[218:219], v[86:87]
	s_delay_alu instid0(VALU_DEP_2) | instskip(NEXT) | instid1(VALU_DEP_2)
	v_fma_f64 v[84:85], v[218:219], v[216:217], -v[84:85]
	;; [unrolled: 9-line block ×20, first 2 shown]
	v_fma_f64 v[212:213], v[220:221], v[216:217], v[212:213]
	s_delay_alu instid0(VALU_DEP_2) | instskip(NEXT) | instid1(VALU_DEP_2)
	v_add_f64 v[0:1], v[0:1], -v[84:85]
	v_add_f64 v[2:3], v[2:3], -v[212:213]
	v_dual_mov_b32 v84, v216 :: v_dual_mov_b32 v85, v217
.LBB115_334:
	s_or_b32 exec_lo, exec_lo, s3
	s_delay_alu instid0(SALU_CYCLE_1)
	s_mov_b32 s4, exec_lo
	s_waitcnt_vscnt null, 0x0
	s_barrier
	buffer_gl0_inv
	v_cmpx_eq_u32_e32 37, v208
	s_cbranch_execz .LBB115_341
; %bb.335:
	ds_store_2addr_b64 v209, v[80:81], v[82:83] offset1:1
	ds_store_2addr_b64 v214, v[76:77], v[78:79] offset0:76 offset1:77
	ds_store_2addr_b64 v214, v[72:73], v[74:75] offset0:78 offset1:79
	;; [unrolled: 1-line block ×20, first 2 shown]
	ds_load_2addr_b64 v[216:219], v209 offset1:1
	s_waitcnt lgkmcnt(0)
	v_cmp_neq_f64_e32 vcc_lo, 0, v[216:217]
	v_cmp_neq_f64_e64 s3, 0, v[218:219]
	s_delay_alu instid0(VALU_DEP_1) | instskip(NEXT) | instid1(SALU_CYCLE_1)
	s_or_b32 s3, vcc_lo, s3
	s_and_b32 exec_lo, exec_lo, s3
	s_cbranch_execz .LBB115_341
; %bb.336:
	v_cmp_gt_f64_e32 vcc_lo, 0, v[216:217]
	v_xor_b32_e32 v212, 0x80000000, v217
	v_xor_b32_e32 v215, 0x80000000, v219
	s_delay_alu instid0(VALU_DEP_2) | instskip(SKIP_2) | instid1(VALU_DEP_4)
	v_cndmask_b32_e32 v213, v217, v212, vcc_lo
	v_cndmask_b32_e32 v212, v216, v216, vcc_lo
	v_cmp_gt_f64_e32 vcc_lo, 0, v[218:219]
	v_dual_cndmask_b32 v221, v219, v215 :: v_dual_cndmask_b32 v220, v218, v218
	s_delay_alu instid0(VALU_DEP_1) | instskip(SKIP_1) | instid1(SALU_CYCLE_1)
	v_cmp_ngt_f64_e32 vcc_lo, v[212:213], v[220:221]
                                        ; implicit-def: $vgpr212_vgpr213
	s_and_saveexec_b32 s3, vcc_lo
	s_xor_b32 s3, exec_lo, s3
                                        ; implicit-def: $vgpr220_vgpr221_vgpr222_vgpr223
	s_cbranch_execz .LBB115_338
; %bb.337:
	v_div_scale_f64 v[212:213], null, v[218:219], v[218:219], v[216:217]
	v_div_scale_f64 v[224:225], vcc_lo, v[216:217], v[218:219], v[216:217]
	s_delay_alu instid0(VALU_DEP_2) | instskip(SKIP_2) | instid1(VALU_DEP_1)
	v_rcp_f64_e32 v[220:221], v[212:213]
	s_waitcnt_depctr 0xfff
	v_fma_f64 v[222:223], -v[212:213], v[220:221], 1.0
	v_fma_f64 v[220:221], v[220:221], v[222:223], v[220:221]
	s_delay_alu instid0(VALU_DEP_1) | instskip(NEXT) | instid1(VALU_DEP_1)
	v_fma_f64 v[222:223], -v[212:213], v[220:221], 1.0
	v_fma_f64 v[220:221], v[220:221], v[222:223], v[220:221]
	s_delay_alu instid0(VALU_DEP_1) | instskip(NEXT) | instid1(VALU_DEP_1)
	v_mul_f64 v[222:223], v[224:225], v[220:221]
	v_fma_f64 v[212:213], -v[212:213], v[222:223], v[224:225]
	s_delay_alu instid0(VALU_DEP_1) | instskip(NEXT) | instid1(VALU_DEP_1)
	v_div_fmas_f64 v[212:213], v[212:213], v[220:221], v[222:223]
	v_div_fixup_f64 v[212:213], v[212:213], v[218:219], v[216:217]
	s_delay_alu instid0(VALU_DEP_1) | instskip(NEXT) | instid1(VALU_DEP_1)
	v_fma_f64 v[216:217], v[216:217], v[212:213], v[218:219]
	v_div_scale_f64 v[218:219], null, v[216:217], v[216:217], 1.0
	s_delay_alu instid0(VALU_DEP_1) | instskip(SKIP_2) | instid1(VALU_DEP_1)
	v_rcp_f64_e32 v[220:221], v[218:219]
	s_waitcnt_depctr 0xfff
	v_fma_f64 v[222:223], -v[218:219], v[220:221], 1.0
	v_fma_f64 v[220:221], v[220:221], v[222:223], v[220:221]
	s_delay_alu instid0(VALU_DEP_1) | instskip(NEXT) | instid1(VALU_DEP_1)
	v_fma_f64 v[222:223], -v[218:219], v[220:221], 1.0
	v_fma_f64 v[220:221], v[220:221], v[222:223], v[220:221]
	v_div_scale_f64 v[222:223], vcc_lo, 1.0, v[216:217], 1.0
	s_delay_alu instid0(VALU_DEP_1) | instskip(NEXT) | instid1(VALU_DEP_1)
	v_mul_f64 v[224:225], v[222:223], v[220:221]
	v_fma_f64 v[218:219], -v[218:219], v[224:225], v[222:223]
	s_delay_alu instid0(VALU_DEP_1) | instskip(NEXT) | instid1(VALU_DEP_1)
	v_div_fmas_f64 v[218:219], v[218:219], v[220:221], v[224:225]
	v_div_fixup_f64 v[222:223], v[218:219], v[216:217], 1.0
                                        ; implicit-def: $vgpr216_vgpr217
	s_delay_alu instid0(VALU_DEP_1)
	v_mul_f64 v[212:213], v[212:213], v[222:223]
	v_xor_b32_e32 v223, 0x80000000, v223
.LBB115_338:
	s_and_not1_saveexec_b32 s3, s3
	s_cbranch_execz .LBB115_340
; %bb.339:
	v_div_scale_f64 v[212:213], null, v[216:217], v[216:217], v[218:219]
	v_div_scale_f64 v[224:225], vcc_lo, v[218:219], v[216:217], v[218:219]
	s_delay_alu instid0(VALU_DEP_2) | instskip(SKIP_2) | instid1(VALU_DEP_1)
	v_rcp_f64_e32 v[220:221], v[212:213]
	s_waitcnt_depctr 0xfff
	v_fma_f64 v[222:223], -v[212:213], v[220:221], 1.0
	v_fma_f64 v[220:221], v[220:221], v[222:223], v[220:221]
	s_delay_alu instid0(VALU_DEP_1) | instskip(NEXT) | instid1(VALU_DEP_1)
	v_fma_f64 v[222:223], -v[212:213], v[220:221], 1.0
	v_fma_f64 v[220:221], v[220:221], v[222:223], v[220:221]
	s_delay_alu instid0(VALU_DEP_1) | instskip(NEXT) | instid1(VALU_DEP_1)
	v_mul_f64 v[222:223], v[224:225], v[220:221]
	v_fma_f64 v[212:213], -v[212:213], v[222:223], v[224:225]
	s_delay_alu instid0(VALU_DEP_1) | instskip(NEXT) | instid1(VALU_DEP_1)
	v_div_fmas_f64 v[212:213], v[212:213], v[220:221], v[222:223]
	v_div_fixup_f64 v[220:221], v[212:213], v[216:217], v[218:219]
	s_delay_alu instid0(VALU_DEP_1) | instskip(NEXT) | instid1(VALU_DEP_1)
	v_fma_f64 v[212:213], v[218:219], v[220:221], v[216:217]
	v_div_scale_f64 v[216:217], null, v[212:213], v[212:213], 1.0
	s_delay_alu instid0(VALU_DEP_1) | instskip(SKIP_2) | instid1(VALU_DEP_1)
	v_rcp_f64_e32 v[218:219], v[216:217]
	s_waitcnt_depctr 0xfff
	v_fma_f64 v[222:223], -v[216:217], v[218:219], 1.0
	v_fma_f64 v[218:219], v[218:219], v[222:223], v[218:219]
	s_delay_alu instid0(VALU_DEP_1) | instskip(NEXT) | instid1(VALU_DEP_1)
	v_fma_f64 v[222:223], -v[216:217], v[218:219], 1.0
	v_fma_f64 v[218:219], v[218:219], v[222:223], v[218:219]
	v_div_scale_f64 v[222:223], vcc_lo, 1.0, v[212:213], 1.0
	s_delay_alu instid0(VALU_DEP_1) | instskip(NEXT) | instid1(VALU_DEP_1)
	v_mul_f64 v[224:225], v[222:223], v[218:219]
	v_fma_f64 v[216:217], -v[216:217], v[224:225], v[222:223]
	s_delay_alu instid0(VALU_DEP_1) | instskip(NEXT) | instid1(VALU_DEP_1)
	v_div_fmas_f64 v[216:217], v[216:217], v[218:219], v[224:225]
	v_div_fixup_f64 v[212:213], v[216:217], v[212:213], 1.0
	s_delay_alu instid0(VALU_DEP_1)
	v_mul_f64 v[222:223], v[220:221], -v[212:213]
.LBB115_340:
	s_or_b32 exec_lo, exec_lo, s3
	ds_store_2addr_b64 v209, v[212:213], v[222:223] offset1:1
.LBB115_341:
	s_or_b32 exec_lo, exec_lo, s4
	s_waitcnt lgkmcnt(0)
	s_barrier
	buffer_gl0_inv
	ds_load_2addr_b64 v[204:207], v209 offset1:1
	s_mov_b32 s3, exec_lo
	s_waitcnt lgkmcnt(0)
	scratch_store_b128 off, v[204:207], off offset:1156 ; 16-byte Folded Spill
	v_cmpx_lt_u32_e32 37, v208
	s_cbranch_execz .LBB115_343
; %bb.342:
	scratch_load_b128 v[204:207], off, off offset:1156 ; 16-byte Folded Reload
	ds_load_2addr_b64 v[218:221], v214 offset0:76 offset1:77
	s_waitcnt vmcnt(0)
	v_mul_f64 v[212:213], v[206:207], v[82:83]
	v_mul_f64 v[82:83], v[204:205], v[82:83]
	s_delay_alu instid0(VALU_DEP_2) | instskip(NEXT) | instid1(VALU_DEP_2)
	v_fma_f64 v[216:217], v[204:205], v[80:81], -v[212:213]
	v_fma_f64 v[82:83], v[206:207], v[80:81], v[82:83]
	s_waitcnt lgkmcnt(0)
	s_delay_alu instid0(VALU_DEP_1) | instskip(SKIP_1) | instid1(VALU_DEP_2)
	v_mul_f64 v[80:81], v[220:221], v[82:83]
	v_mul_f64 v[212:213], v[218:219], v[82:83]
	v_fma_f64 v[80:81], v[218:219], v[216:217], -v[80:81]
	s_delay_alu instid0(VALU_DEP_2)
	v_fma_f64 v[212:213], v[220:221], v[216:217], v[212:213]
	ds_load_2addr_b64 v[218:221], v214 offset0:78 offset1:79
	v_add_f64 v[76:77], v[76:77], -v[80:81]
	v_add_f64 v[78:79], v[78:79], -v[212:213]
	s_waitcnt lgkmcnt(0)
	v_mul_f64 v[80:81], v[220:221], v[82:83]
	v_mul_f64 v[212:213], v[218:219], v[82:83]
	s_delay_alu instid0(VALU_DEP_2) | instskip(NEXT) | instid1(VALU_DEP_2)
	v_fma_f64 v[80:81], v[218:219], v[216:217], -v[80:81]
	v_fma_f64 v[212:213], v[220:221], v[216:217], v[212:213]
	ds_load_2addr_b64 v[218:221], v214 offset0:80 offset1:81
	v_add_f64 v[72:73], v[72:73], -v[80:81]
	v_add_f64 v[74:75], v[74:75], -v[212:213]
	s_waitcnt lgkmcnt(0)
	v_mul_f64 v[80:81], v[220:221], v[82:83]
	v_mul_f64 v[212:213], v[218:219], v[82:83]
	s_delay_alu instid0(VALU_DEP_2) | instskip(NEXT) | instid1(VALU_DEP_2)
	v_fma_f64 v[80:81], v[218:219], v[216:217], -v[80:81]
	;; [unrolled: 9-line block ×19, first 2 shown]
	v_fma_f64 v[212:213], v[220:221], v[216:217], v[212:213]
	s_delay_alu instid0(VALU_DEP_2) | instskip(NEXT) | instid1(VALU_DEP_2)
	v_add_f64 v[0:1], v[0:1], -v[80:81]
	v_add_f64 v[2:3], v[2:3], -v[212:213]
	v_dual_mov_b32 v80, v216 :: v_dual_mov_b32 v81, v217
.LBB115_343:
	s_or_b32 exec_lo, exec_lo, s3
	s_delay_alu instid0(SALU_CYCLE_1)
	s_mov_b32 s4, exec_lo
	s_waitcnt_vscnt null, 0x0
	s_barrier
	buffer_gl0_inv
	v_cmpx_eq_u32_e32 38, v208
	s_cbranch_execz .LBB115_350
; %bb.344:
	ds_store_2addr_b64 v209, v[76:77], v[78:79] offset1:1
	ds_store_2addr_b64 v214, v[72:73], v[74:75] offset0:78 offset1:79
	ds_store_2addr_b64 v214, v[68:69], v[70:71] offset0:80 offset1:81
	;; [unrolled: 1-line block ×19, first 2 shown]
	ds_load_2addr_b64 v[216:219], v209 offset1:1
	s_waitcnt lgkmcnt(0)
	v_cmp_neq_f64_e32 vcc_lo, 0, v[216:217]
	v_cmp_neq_f64_e64 s3, 0, v[218:219]
	s_delay_alu instid0(VALU_DEP_1) | instskip(NEXT) | instid1(SALU_CYCLE_1)
	s_or_b32 s3, vcc_lo, s3
	s_and_b32 exec_lo, exec_lo, s3
	s_cbranch_execz .LBB115_350
; %bb.345:
	v_cmp_gt_f64_e32 vcc_lo, 0, v[216:217]
	v_xor_b32_e32 v212, 0x80000000, v217
	v_xor_b32_e32 v215, 0x80000000, v219
	s_delay_alu instid0(VALU_DEP_2) | instskip(SKIP_2) | instid1(VALU_DEP_4)
	v_cndmask_b32_e32 v213, v217, v212, vcc_lo
	v_cndmask_b32_e32 v212, v216, v216, vcc_lo
	v_cmp_gt_f64_e32 vcc_lo, 0, v[218:219]
	v_dual_cndmask_b32 v221, v219, v215 :: v_dual_cndmask_b32 v220, v218, v218
	s_delay_alu instid0(VALU_DEP_1) | instskip(SKIP_1) | instid1(SALU_CYCLE_1)
	v_cmp_ngt_f64_e32 vcc_lo, v[212:213], v[220:221]
                                        ; implicit-def: $vgpr212_vgpr213
	s_and_saveexec_b32 s3, vcc_lo
	s_xor_b32 s3, exec_lo, s3
                                        ; implicit-def: $vgpr220_vgpr221_vgpr222_vgpr223
	s_cbranch_execz .LBB115_347
; %bb.346:
	v_div_scale_f64 v[212:213], null, v[218:219], v[218:219], v[216:217]
	v_div_scale_f64 v[224:225], vcc_lo, v[216:217], v[218:219], v[216:217]
	s_delay_alu instid0(VALU_DEP_2) | instskip(SKIP_2) | instid1(VALU_DEP_1)
	v_rcp_f64_e32 v[220:221], v[212:213]
	s_waitcnt_depctr 0xfff
	v_fma_f64 v[222:223], -v[212:213], v[220:221], 1.0
	v_fma_f64 v[220:221], v[220:221], v[222:223], v[220:221]
	s_delay_alu instid0(VALU_DEP_1) | instskip(NEXT) | instid1(VALU_DEP_1)
	v_fma_f64 v[222:223], -v[212:213], v[220:221], 1.0
	v_fma_f64 v[220:221], v[220:221], v[222:223], v[220:221]
	s_delay_alu instid0(VALU_DEP_1) | instskip(NEXT) | instid1(VALU_DEP_1)
	v_mul_f64 v[222:223], v[224:225], v[220:221]
	v_fma_f64 v[212:213], -v[212:213], v[222:223], v[224:225]
	s_delay_alu instid0(VALU_DEP_1) | instskip(NEXT) | instid1(VALU_DEP_1)
	v_div_fmas_f64 v[212:213], v[212:213], v[220:221], v[222:223]
	v_div_fixup_f64 v[212:213], v[212:213], v[218:219], v[216:217]
	s_delay_alu instid0(VALU_DEP_1) | instskip(NEXT) | instid1(VALU_DEP_1)
	v_fma_f64 v[216:217], v[216:217], v[212:213], v[218:219]
	v_div_scale_f64 v[218:219], null, v[216:217], v[216:217], 1.0
	s_delay_alu instid0(VALU_DEP_1) | instskip(SKIP_2) | instid1(VALU_DEP_1)
	v_rcp_f64_e32 v[220:221], v[218:219]
	s_waitcnt_depctr 0xfff
	v_fma_f64 v[222:223], -v[218:219], v[220:221], 1.0
	v_fma_f64 v[220:221], v[220:221], v[222:223], v[220:221]
	s_delay_alu instid0(VALU_DEP_1) | instskip(NEXT) | instid1(VALU_DEP_1)
	v_fma_f64 v[222:223], -v[218:219], v[220:221], 1.0
	v_fma_f64 v[220:221], v[220:221], v[222:223], v[220:221]
	v_div_scale_f64 v[222:223], vcc_lo, 1.0, v[216:217], 1.0
	s_delay_alu instid0(VALU_DEP_1) | instskip(NEXT) | instid1(VALU_DEP_1)
	v_mul_f64 v[224:225], v[222:223], v[220:221]
	v_fma_f64 v[218:219], -v[218:219], v[224:225], v[222:223]
	s_delay_alu instid0(VALU_DEP_1) | instskip(NEXT) | instid1(VALU_DEP_1)
	v_div_fmas_f64 v[218:219], v[218:219], v[220:221], v[224:225]
	v_div_fixup_f64 v[222:223], v[218:219], v[216:217], 1.0
                                        ; implicit-def: $vgpr216_vgpr217
	s_delay_alu instid0(VALU_DEP_1)
	v_mul_f64 v[212:213], v[212:213], v[222:223]
	v_xor_b32_e32 v223, 0x80000000, v223
.LBB115_347:
	s_and_not1_saveexec_b32 s3, s3
	s_cbranch_execz .LBB115_349
; %bb.348:
	v_div_scale_f64 v[212:213], null, v[216:217], v[216:217], v[218:219]
	v_div_scale_f64 v[224:225], vcc_lo, v[218:219], v[216:217], v[218:219]
	s_delay_alu instid0(VALU_DEP_2) | instskip(SKIP_2) | instid1(VALU_DEP_1)
	v_rcp_f64_e32 v[220:221], v[212:213]
	s_waitcnt_depctr 0xfff
	v_fma_f64 v[222:223], -v[212:213], v[220:221], 1.0
	v_fma_f64 v[220:221], v[220:221], v[222:223], v[220:221]
	s_delay_alu instid0(VALU_DEP_1) | instskip(NEXT) | instid1(VALU_DEP_1)
	v_fma_f64 v[222:223], -v[212:213], v[220:221], 1.0
	v_fma_f64 v[220:221], v[220:221], v[222:223], v[220:221]
	s_delay_alu instid0(VALU_DEP_1) | instskip(NEXT) | instid1(VALU_DEP_1)
	v_mul_f64 v[222:223], v[224:225], v[220:221]
	v_fma_f64 v[212:213], -v[212:213], v[222:223], v[224:225]
	s_delay_alu instid0(VALU_DEP_1) | instskip(NEXT) | instid1(VALU_DEP_1)
	v_div_fmas_f64 v[212:213], v[212:213], v[220:221], v[222:223]
	v_div_fixup_f64 v[220:221], v[212:213], v[216:217], v[218:219]
	s_delay_alu instid0(VALU_DEP_1) | instskip(NEXT) | instid1(VALU_DEP_1)
	v_fma_f64 v[212:213], v[218:219], v[220:221], v[216:217]
	v_div_scale_f64 v[216:217], null, v[212:213], v[212:213], 1.0
	s_delay_alu instid0(VALU_DEP_1) | instskip(SKIP_2) | instid1(VALU_DEP_1)
	v_rcp_f64_e32 v[218:219], v[216:217]
	s_waitcnt_depctr 0xfff
	v_fma_f64 v[222:223], -v[216:217], v[218:219], 1.0
	v_fma_f64 v[218:219], v[218:219], v[222:223], v[218:219]
	s_delay_alu instid0(VALU_DEP_1) | instskip(NEXT) | instid1(VALU_DEP_1)
	v_fma_f64 v[222:223], -v[216:217], v[218:219], 1.0
	v_fma_f64 v[218:219], v[218:219], v[222:223], v[218:219]
	v_div_scale_f64 v[222:223], vcc_lo, 1.0, v[212:213], 1.0
	s_delay_alu instid0(VALU_DEP_1) | instskip(NEXT) | instid1(VALU_DEP_1)
	v_mul_f64 v[224:225], v[222:223], v[218:219]
	v_fma_f64 v[216:217], -v[216:217], v[224:225], v[222:223]
	s_delay_alu instid0(VALU_DEP_1) | instskip(NEXT) | instid1(VALU_DEP_1)
	v_div_fmas_f64 v[216:217], v[216:217], v[218:219], v[224:225]
	v_div_fixup_f64 v[212:213], v[216:217], v[212:213], 1.0
	s_delay_alu instid0(VALU_DEP_1)
	v_mul_f64 v[222:223], v[220:221], -v[212:213]
.LBB115_349:
	s_or_b32 exec_lo, exec_lo, s3
	ds_store_2addr_b64 v209, v[212:213], v[222:223] offset1:1
.LBB115_350:
	s_or_b32 exec_lo, exec_lo, s4
	s_waitcnt lgkmcnt(0)
	s_barrier
	buffer_gl0_inv
	ds_load_2addr_b64 v[204:207], v209 offset1:1
	s_mov_b32 s3, exec_lo
	s_waitcnt lgkmcnt(0)
	scratch_store_b128 off, v[204:207], off offset:1172 ; 16-byte Folded Spill
	v_cmpx_lt_u32_e32 38, v208
	s_cbranch_execz .LBB115_352
; %bb.351:
	scratch_load_b128 v[204:207], off, off offset:1172 ; 16-byte Folded Reload
	ds_load_2addr_b64 v[218:221], v214 offset0:78 offset1:79
	s_waitcnt vmcnt(0)
	v_mul_f64 v[212:213], v[206:207], v[78:79]
	v_mul_f64 v[78:79], v[204:205], v[78:79]
	s_delay_alu instid0(VALU_DEP_2) | instskip(NEXT) | instid1(VALU_DEP_2)
	v_fma_f64 v[216:217], v[204:205], v[76:77], -v[212:213]
	v_fma_f64 v[78:79], v[206:207], v[76:77], v[78:79]
	s_waitcnt lgkmcnt(0)
	s_delay_alu instid0(VALU_DEP_1) | instskip(SKIP_1) | instid1(VALU_DEP_2)
	v_mul_f64 v[76:77], v[220:221], v[78:79]
	v_mul_f64 v[212:213], v[218:219], v[78:79]
	v_fma_f64 v[76:77], v[218:219], v[216:217], -v[76:77]
	s_delay_alu instid0(VALU_DEP_2)
	v_fma_f64 v[212:213], v[220:221], v[216:217], v[212:213]
	ds_load_2addr_b64 v[218:221], v214 offset0:80 offset1:81
	v_add_f64 v[72:73], v[72:73], -v[76:77]
	v_add_f64 v[74:75], v[74:75], -v[212:213]
	s_waitcnt lgkmcnt(0)
	v_mul_f64 v[76:77], v[220:221], v[78:79]
	v_mul_f64 v[212:213], v[218:219], v[78:79]
	s_delay_alu instid0(VALU_DEP_2) | instskip(NEXT) | instid1(VALU_DEP_2)
	v_fma_f64 v[76:77], v[218:219], v[216:217], -v[76:77]
	v_fma_f64 v[212:213], v[220:221], v[216:217], v[212:213]
	ds_load_2addr_b64 v[218:221], v214 offset0:82 offset1:83
	v_add_f64 v[68:69], v[68:69], -v[76:77]
	v_add_f64 v[70:71], v[70:71], -v[212:213]
	s_waitcnt lgkmcnt(0)
	v_mul_f64 v[76:77], v[220:221], v[78:79]
	v_mul_f64 v[212:213], v[218:219], v[78:79]
	s_delay_alu instid0(VALU_DEP_2) | instskip(NEXT) | instid1(VALU_DEP_2)
	v_fma_f64 v[76:77], v[218:219], v[216:217], -v[76:77]
	;; [unrolled: 9-line block ×18, first 2 shown]
	v_fma_f64 v[212:213], v[220:221], v[216:217], v[212:213]
	s_delay_alu instid0(VALU_DEP_2) | instskip(NEXT) | instid1(VALU_DEP_2)
	v_add_f64 v[0:1], v[0:1], -v[76:77]
	v_add_f64 v[2:3], v[2:3], -v[212:213]
	v_dual_mov_b32 v76, v216 :: v_dual_mov_b32 v77, v217
.LBB115_352:
	s_or_b32 exec_lo, exec_lo, s3
	s_delay_alu instid0(SALU_CYCLE_1)
	s_mov_b32 s4, exec_lo
	s_waitcnt_vscnt null, 0x0
	s_barrier
	buffer_gl0_inv
	v_cmpx_eq_u32_e32 39, v208
	s_cbranch_execz .LBB115_359
; %bb.353:
	ds_store_2addr_b64 v209, v[72:73], v[74:75] offset1:1
	ds_store_2addr_b64 v214, v[68:69], v[70:71] offset0:80 offset1:81
	ds_store_2addr_b64 v214, v[64:65], v[66:67] offset0:82 offset1:83
	;; [unrolled: 1-line block ×18, first 2 shown]
	ds_load_2addr_b64 v[216:219], v209 offset1:1
	s_waitcnt lgkmcnt(0)
	v_cmp_neq_f64_e32 vcc_lo, 0, v[216:217]
	v_cmp_neq_f64_e64 s3, 0, v[218:219]
	s_delay_alu instid0(VALU_DEP_1) | instskip(NEXT) | instid1(SALU_CYCLE_1)
	s_or_b32 s3, vcc_lo, s3
	s_and_b32 exec_lo, exec_lo, s3
	s_cbranch_execz .LBB115_359
; %bb.354:
	v_cmp_gt_f64_e32 vcc_lo, 0, v[216:217]
	v_xor_b32_e32 v212, 0x80000000, v217
	v_xor_b32_e32 v215, 0x80000000, v219
	s_delay_alu instid0(VALU_DEP_2) | instskip(SKIP_2) | instid1(VALU_DEP_4)
	v_cndmask_b32_e32 v213, v217, v212, vcc_lo
	v_cndmask_b32_e32 v212, v216, v216, vcc_lo
	v_cmp_gt_f64_e32 vcc_lo, 0, v[218:219]
	v_dual_cndmask_b32 v221, v219, v215 :: v_dual_cndmask_b32 v220, v218, v218
	s_delay_alu instid0(VALU_DEP_1) | instskip(SKIP_1) | instid1(SALU_CYCLE_1)
	v_cmp_ngt_f64_e32 vcc_lo, v[212:213], v[220:221]
                                        ; implicit-def: $vgpr212_vgpr213
	s_and_saveexec_b32 s3, vcc_lo
	s_xor_b32 s3, exec_lo, s3
                                        ; implicit-def: $vgpr220_vgpr221_vgpr222_vgpr223
	s_cbranch_execz .LBB115_356
; %bb.355:
	v_div_scale_f64 v[212:213], null, v[218:219], v[218:219], v[216:217]
	v_div_scale_f64 v[224:225], vcc_lo, v[216:217], v[218:219], v[216:217]
	s_delay_alu instid0(VALU_DEP_2) | instskip(SKIP_2) | instid1(VALU_DEP_1)
	v_rcp_f64_e32 v[220:221], v[212:213]
	s_waitcnt_depctr 0xfff
	v_fma_f64 v[222:223], -v[212:213], v[220:221], 1.0
	v_fma_f64 v[220:221], v[220:221], v[222:223], v[220:221]
	s_delay_alu instid0(VALU_DEP_1) | instskip(NEXT) | instid1(VALU_DEP_1)
	v_fma_f64 v[222:223], -v[212:213], v[220:221], 1.0
	v_fma_f64 v[220:221], v[220:221], v[222:223], v[220:221]
	s_delay_alu instid0(VALU_DEP_1) | instskip(NEXT) | instid1(VALU_DEP_1)
	v_mul_f64 v[222:223], v[224:225], v[220:221]
	v_fma_f64 v[212:213], -v[212:213], v[222:223], v[224:225]
	s_delay_alu instid0(VALU_DEP_1) | instskip(NEXT) | instid1(VALU_DEP_1)
	v_div_fmas_f64 v[212:213], v[212:213], v[220:221], v[222:223]
	v_div_fixup_f64 v[212:213], v[212:213], v[218:219], v[216:217]
	s_delay_alu instid0(VALU_DEP_1) | instskip(NEXT) | instid1(VALU_DEP_1)
	v_fma_f64 v[216:217], v[216:217], v[212:213], v[218:219]
	v_div_scale_f64 v[218:219], null, v[216:217], v[216:217], 1.0
	s_delay_alu instid0(VALU_DEP_1) | instskip(SKIP_2) | instid1(VALU_DEP_1)
	v_rcp_f64_e32 v[220:221], v[218:219]
	s_waitcnt_depctr 0xfff
	v_fma_f64 v[222:223], -v[218:219], v[220:221], 1.0
	v_fma_f64 v[220:221], v[220:221], v[222:223], v[220:221]
	s_delay_alu instid0(VALU_DEP_1) | instskip(NEXT) | instid1(VALU_DEP_1)
	v_fma_f64 v[222:223], -v[218:219], v[220:221], 1.0
	v_fma_f64 v[220:221], v[220:221], v[222:223], v[220:221]
	v_div_scale_f64 v[222:223], vcc_lo, 1.0, v[216:217], 1.0
	s_delay_alu instid0(VALU_DEP_1) | instskip(NEXT) | instid1(VALU_DEP_1)
	v_mul_f64 v[224:225], v[222:223], v[220:221]
	v_fma_f64 v[218:219], -v[218:219], v[224:225], v[222:223]
	s_delay_alu instid0(VALU_DEP_1) | instskip(NEXT) | instid1(VALU_DEP_1)
	v_div_fmas_f64 v[218:219], v[218:219], v[220:221], v[224:225]
	v_div_fixup_f64 v[222:223], v[218:219], v[216:217], 1.0
                                        ; implicit-def: $vgpr216_vgpr217
	s_delay_alu instid0(VALU_DEP_1)
	v_mul_f64 v[212:213], v[212:213], v[222:223]
	v_xor_b32_e32 v223, 0x80000000, v223
.LBB115_356:
	s_and_not1_saveexec_b32 s3, s3
	s_cbranch_execz .LBB115_358
; %bb.357:
	v_div_scale_f64 v[212:213], null, v[216:217], v[216:217], v[218:219]
	v_div_scale_f64 v[224:225], vcc_lo, v[218:219], v[216:217], v[218:219]
	s_delay_alu instid0(VALU_DEP_2) | instskip(SKIP_2) | instid1(VALU_DEP_1)
	v_rcp_f64_e32 v[220:221], v[212:213]
	s_waitcnt_depctr 0xfff
	v_fma_f64 v[222:223], -v[212:213], v[220:221], 1.0
	v_fma_f64 v[220:221], v[220:221], v[222:223], v[220:221]
	s_delay_alu instid0(VALU_DEP_1) | instskip(NEXT) | instid1(VALU_DEP_1)
	v_fma_f64 v[222:223], -v[212:213], v[220:221], 1.0
	v_fma_f64 v[220:221], v[220:221], v[222:223], v[220:221]
	s_delay_alu instid0(VALU_DEP_1) | instskip(NEXT) | instid1(VALU_DEP_1)
	v_mul_f64 v[222:223], v[224:225], v[220:221]
	v_fma_f64 v[212:213], -v[212:213], v[222:223], v[224:225]
	s_delay_alu instid0(VALU_DEP_1) | instskip(NEXT) | instid1(VALU_DEP_1)
	v_div_fmas_f64 v[212:213], v[212:213], v[220:221], v[222:223]
	v_div_fixup_f64 v[220:221], v[212:213], v[216:217], v[218:219]
	s_delay_alu instid0(VALU_DEP_1) | instskip(NEXT) | instid1(VALU_DEP_1)
	v_fma_f64 v[212:213], v[218:219], v[220:221], v[216:217]
	v_div_scale_f64 v[216:217], null, v[212:213], v[212:213], 1.0
	s_delay_alu instid0(VALU_DEP_1) | instskip(SKIP_2) | instid1(VALU_DEP_1)
	v_rcp_f64_e32 v[218:219], v[216:217]
	s_waitcnt_depctr 0xfff
	v_fma_f64 v[222:223], -v[216:217], v[218:219], 1.0
	v_fma_f64 v[218:219], v[218:219], v[222:223], v[218:219]
	s_delay_alu instid0(VALU_DEP_1) | instskip(NEXT) | instid1(VALU_DEP_1)
	v_fma_f64 v[222:223], -v[216:217], v[218:219], 1.0
	v_fma_f64 v[218:219], v[218:219], v[222:223], v[218:219]
	v_div_scale_f64 v[222:223], vcc_lo, 1.0, v[212:213], 1.0
	s_delay_alu instid0(VALU_DEP_1) | instskip(NEXT) | instid1(VALU_DEP_1)
	v_mul_f64 v[224:225], v[222:223], v[218:219]
	v_fma_f64 v[216:217], -v[216:217], v[224:225], v[222:223]
	s_delay_alu instid0(VALU_DEP_1) | instskip(NEXT) | instid1(VALU_DEP_1)
	v_div_fmas_f64 v[216:217], v[216:217], v[218:219], v[224:225]
	v_div_fixup_f64 v[212:213], v[216:217], v[212:213], 1.0
	s_delay_alu instid0(VALU_DEP_1)
	v_mul_f64 v[222:223], v[220:221], -v[212:213]
.LBB115_358:
	s_or_b32 exec_lo, exec_lo, s3
	ds_store_2addr_b64 v209, v[212:213], v[222:223] offset1:1
.LBB115_359:
	s_or_b32 exec_lo, exec_lo, s4
	s_waitcnt lgkmcnt(0)
	s_barrier
	buffer_gl0_inv
	ds_load_2addr_b64 v[204:207], v209 offset1:1
	s_mov_b32 s3, exec_lo
	s_waitcnt lgkmcnt(0)
	scratch_store_b128 off, v[204:207], off offset:1188 ; 16-byte Folded Spill
	v_cmpx_lt_u32_e32 39, v208
	s_cbranch_execz .LBB115_361
; %bb.360:
	scratch_load_b128 v[204:207], off, off offset:1188 ; 16-byte Folded Reload
	ds_load_2addr_b64 v[218:221], v214 offset0:80 offset1:81
	s_waitcnt vmcnt(0)
	v_mul_f64 v[212:213], v[206:207], v[74:75]
	v_mul_f64 v[74:75], v[204:205], v[74:75]
	s_delay_alu instid0(VALU_DEP_2) | instskip(NEXT) | instid1(VALU_DEP_2)
	v_fma_f64 v[216:217], v[204:205], v[72:73], -v[212:213]
	v_fma_f64 v[74:75], v[206:207], v[72:73], v[74:75]
	s_waitcnt lgkmcnt(0)
	s_delay_alu instid0(VALU_DEP_1) | instskip(SKIP_1) | instid1(VALU_DEP_2)
	v_mul_f64 v[72:73], v[220:221], v[74:75]
	v_mul_f64 v[212:213], v[218:219], v[74:75]
	v_fma_f64 v[72:73], v[218:219], v[216:217], -v[72:73]
	s_delay_alu instid0(VALU_DEP_2)
	v_fma_f64 v[212:213], v[220:221], v[216:217], v[212:213]
	ds_load_2addr_b64 v[218:221], v214 offset0:82 offset1:83
	v_add_f64 v[68:69], v[68:69], -v[72:73]
	v_add_f64 v[70:71], v[70:71], -v[212:213]
	s_waitcnt lgkmcnt(0)
	v_mul_f64 v[72:73], v[220:221], v[74:75]
	v_mul_f64 v[212:213], v[218:219], v[74:75]
	s_delay_alu instid0(VALU_DEP_2) | instskip(NEXT) | instid1(VALU_DEP_2)
	v_fma_f64 v[72:73], v[218:219], v[216:217], -v[72:73]
	v_fma_f64 v[212:213], v[220:221], v[216:217], v[212:213]
	ds_load_2addr_b64 v[218:221], v214 offset0:84 offset1:85
	v_add_f64 v[64:65], v[64:65], -v[72:73]
	v_add_f64 v[66:67], v[66:67], -v[212:213]
	s_waitcnt lgkmcnt(0)
	v_mul_f64 v[72:73], v[220:221], v[74:75]
	v_mul_f64 v[212:213], v[218:219], v[74:75]
	s_delay_alu instid0(VALU_DEP_2) | instskip(NEXT) | instid1(VALU_DEP_2)
	v_fma_f64 v[72:73], v[218:219], v[216:217], -v[72:73]
	v_fma_f64 v[212:213], v[220:221], v[216:217], v[212:213]
	ds_load_2addr_b64 v[218:221], v214 offset0:86 offset1:87
	v_add_f64 v[60:61], v[60:61], -v[72:73]
	v_add_f64 v[62:63], v[62:63], -v[212:213]
	s_waitcnt lgkmcnt(0)
	v_mul_f64 v[72:73], v[220:221], v[74:75]
	v_mul_f64 v[212:213], v[218:219], v[74:75]
	s_delay_alu instid0(VALU_DEP_2) | instskip(NEXT) | instid1(VALU_DEP_2)
	v_fma_f64 v[72:73], v[218:219], v[216:217], -v[72:73]
	v_fma_f64 v[212:213], v[220:221], v[216:217], v[212:213]
	ds_load_2addr_b64 v[218:221], v214 offset0:88 offset1:89
	v_add_f64 v[56:57], v[56:57], -v[72:73]
	v_add_f64 v[58:59], v[58:59], -v[212:213]
	s_waitcnt lgkmcnt(0)
	v_mul_f64 v[72:73], v[220:221], v[74:75]
	v_mul_f64 v[212:213], v[218:219], v[74:75]
	s_delay_alu instid0(VALU_DEP_2) | instskip(NEXT) | instid1(VALU_DEP_2)
	v_fma_f64 v[72:73], v[218:219], v[216:217], -v[72:73]
	v_fma_f64 v[212:213], v[220:221], v[216:217], v[212:213]
	ds_load_2addr_b64 v[218:221], v214 offset0:90 offset1:91
	v_add_f64 v[52:53], v[52:53], -v[72:73]
	v_add_f64 v[54:55], v[54:55], -v[212:213]
	s_waitcnt lgkmcnt(0)
	v_mul_f64 v[72:73], v[220:221], v[74:75]
	v_mul_f64 v[212:213], v[218:219], v[74:75]
	s_delay_alu instid0(VALU_DEP_2) | instskip(NEXT) | instid1(VALU_DEP_2)
	v_fma_f64 v[72:73], v[218:219], v[216:217], -v[72:73]
	v_fma_f64 v[212:213], v[220:221], v[216:217], v[212:213]
	ds_load_2addr_b64 v[218:221], v214 offset0:92 offset1:93
	v_add_f64 v[48:49], v[48:49], -v[72:73]
	v_add_f64 v[50:51], v[50:51], -v[212:213]
	s_waitcnt lgkmcnt(0)
	v_mul_f64 v[72:73], v[220:221], v[74:75]
	v_mul_f64 v[212:213], v[218:219], v[74:75]
	s_delay_alu instid0(VALU_DEP_2) | instskip(NEXT) | instid1(VALU_DEP_2)
	v_fma_f64 v[72:73], v[218:219], v[216:217], -v[72:73]
	v_fma_f64 v[212:213], v[220:221], v[216:217], v[212:213]
	ds_load_2addr_b64 v[218:221], v214 offset0:94 offset1:95
	v_add_f64 v[44:45], v[44:45], -v[72:73]
	v_add_f64 v[46:47], v[46:47], -v[212:213]
	s_waitcnt lgkmcnt(0)
	v_mul_f64 v[72:73], v[220:221], v[74:75]
	v_mul_f64 v[212:213], v[218:219], v[74:75]
	s_delay_alu instid0(VALU_DEP_2) | instskip(NEXT) | instid1(VALU_DEP_2)
	v_fma_f64 v[72:73], v[218:219], v[216:217], -v[72:73]
	v_fma_f64 v[212:213], v[220:221], v[216:217], v[212:213]
	ds_load_2addr_b64 v[218:221], v214 offset0:96 offset1:97
	v_add_f64 v[40:41], v[40:41], -v[72:73]
	v_add_f64 v[42:43], v[42:43], -v[212:213]
	s_waitcnt lgkmcnt(0)
	v_mul_f64 v[72:73], v[220:221], v[74:75]
	v_mul_f64 v[212:213], v[218:219], v[74:75]
	s_delay_alu instid0(VALU_DEP_2) | instskip(NEXT) | instid1(VALU_DEP_2)
	v_fma_f64 v[72:73], v[218:219], v[216:217], -v[72:73]
	v_fma_f64 v[212:213], v[220:221], v[216:217], v[212:213]
	ds_load_2addr_b64 v[218:221], v214 offset0:98 offset1:99
	v_add_f64 v[36:37], v[36:37], -v[72:73]
	v_add_f64 v[38:39], v[38:39], -v[212:213]
	s_waitcnt lgkmcnt(0)
	v_mul_f64 v[72:73], v[220:221], v[74:75]
	v_mul_f64 v[212:213], v[218:219], v[74:75]
	s_delay_alu instid0(VALU_DEP_2) | instskip(NEXT) | instid1(VALU_DEP_2)
	v_fma_f64 v[72:73], v[218:219], v[216:217], -v[72:73]
	v_fma_f64 v[212:213], v[220:221], v[216:217], v[212:213]
	ds_load_2addr_b64 v[218:221], v214 offset0:100 offset1:101
	v_add_f64 v[32:33], v[32:33], -v[72:73]
	v_add_f64 v[34:35], v[34:35], -v[212:213]
	s_waitcnt lgkmcnt(0)
	v_mul_f64 v[72:73], v[220:221], v[74:75]
	v_mul_f64 v[212:213], v[218:219], v[74:75]
	s_delay_alu instid0(VALU_DEP_2) | instskip(NEXT) | instid1(VALU_DEP_2)
	v_fma_f64 v[72:73], v[218:219], v[216:217], -v[72:73]
	v_fma_f64 v[212:213], v[220:221], v[216:217], v[212:213]
	ds_load_2addr_b64 v[218:221], v214 offset0:102 offset1:103
	v_add_f64 v[28:29], v[28:29], -v[72:73]
	v_add_f64 v[30:31], v[30:31], -v[212:213]
	s_waitcnt lgkmcnt(0)
	v_mul_f64 v[72:73], v[220:221], v[74:75]
	v_mul_f64 v[212:213], v[218:219], v[74:75]
	s_delay_alu instid0(VALU_DEP_2) | instskip(NEXT) | instid1(VALU_DEP_2)
	v_fma_f64 v[72:73], v[218:219], v[216:217], -v[72:73]
	v_fma_f64 v[212:213], v[220:221], v[216:217], v[212:213]
	ds_load_2addr_b64 v[218:221], v214 offset0:104 offset1:105
	v_add_f64 v[24:25], v[24:25], -v[72:73]
	v_add_f64 v[26:27], v[26:27], -v[212:213]
	s_waitcnt lgkmcnt(0)
	v_mul_f64 v[72:73], v[220:221], v[74:75]
	v_mul_f64 v[212:213], v[218:219], v[74:75]
	s_delay_alu instid0(VALU_DEP_2) | instskip(NEXT) | instid1(VALU_DEP_2)
	v_fma_f64 v[72:73], v[218:219], v[216:217], -v[72:73]
	v_fma_f64 v[212:213], v[220:221], v[216:217], v[212:213]
	ds_load_2addr_b64 v[218:221], v214 offset0:106 offset1:107
	v_add_f64 v[20:21], v[20:21], -v[72:73]
	v_add_f64 v[22:23], v[22:23], -v[212:213]
	s_waitcnt lgkmcnt(0)
	v_mul_f64 v[72:73], v[220:221], v[74:75]
	v_mul_f64 v[212:213], v[218:219], v[74:75]
	s_delay_alu instid0(VALU_DEP_2) | instskip(NEXT) | instid1(VALU_DEP_2)
	v_fma_f64 v[72:73], v[218:219], v[216:217], -v[72:73]
	v_fma_f64 v[212:213], v[220:221], v[216:217], v[212:213]
	ds_load_2addr_b64 v[218:221], v214 offset0:108 offset1:109
	v_add_f64 v[16:17], v[16:17], -v[72:73]
	v_add_f64 v[18:19], v[18:19], -v[212:213]
	s_waitcnt lgkmcnt(0)
	v_mul_f64 v[72:73], v[220:221], v[74:75]
	v_mul_f64 v[212:213], v[218:219], v[74:75]
	s_delay_alu instid0(VALU_DEP_2) | instskip(NEXT) | instid1(VALU_DEP_2)
	v_fma_f64 v[72:73], v[218:219], v[216:217], -v[72:73]
	v_fma_f64 v[212:213], v[220:221], v[216:217], v[212:213]
	ds_load_2addr_b64 v[218:221], v214 offset0:110 offset1:111
	v_add_f64 v[12:13], v[12:13], -v[72:73]
	v_add_f64 v[14:15], v[14:15], -v[212:213]
	s_waitcnt lgkmcnt(0)
	v_mul_f64 v[72:73], v[220:221], v[74:75]
	v_mul_f64 v[212:213], v[218:219], v[74:75]
	s_delay_alu instid0(VALU_DEP_2) | instskip(NEXT) | instid1(VALU_DEP_2)
	v_fma_f64 v[72:73], v[218:219], v[216:217], -v[72:73]
	v_fma_f64 v[212:213], v[220:221], v[216:217], v[212:213]
	ds_load_2addr_b64 v[218:221], v214 offset0:112 offset1:113
	v_add_f64 v[8:9], v[8:9], -v[72:73]
	v_add_f64 v[10:11], v[10:11], -v[212:213]
	s_waitcnt lgkmcnt(0)
	v_mul_f64 v[72:73], v[220:221], v[74:75]
	v_mul_f64 v[212:213], v[218:219], v[74:75]
	s_delay_alu instid0(VALU_DEP_2) | instskip(NEXT) | instid1(VALU_DEP_2)
	v_fma_f64 v[72:73], v[218:219], v[216:217], -v[72:73]
	v_fma_f64 v[212:213], v[220:221], v[216:217], v[212:213]
	ds_load_2addr_b64 v[218:221], v214 offset0:114 offset1:115
	v_add_f64 v[4:5], v[4:5], -v[72:73]
	v_add_f64 v[6:7], v[6:7], -v[212:213]
	s_waitcnt lgkmcnt(0)
	v_mul_f64 v[72:73], v[220:221], v[74:75]
	v_mul_f64 v[212:213], v[218:219], v[74:75]
	s_delay_alu instid0(VALU_DEP_2) | instskip(NEXT) | instid1(VALU_DEP_2)
	v_fma_f64 v[72:73], v[218:219], v[216:217], -v[72:73]
	v_fma_f64 v[212:213], v[220:221], v[216:217], v[212:213]
	s_delay_alu instid0(VALU_DEP_2) | instskip(NEXT) | instid1(VALU_DEP_2)
	v_add_f64 v[0:1], v[0:1], -v[72:73]
	v_add_f64 v[2:3], v[2:3], -v[212:213]
	v_dual_mov_b32 v72, v216 :: v_dual_mov_b32 v73, v217
.LBB115_361:
	s_or_b32 exec_lo, exec_lo, s3
	s_delay_alu instid0(SALU_CYCLE_1)
	s_mov_b32 s4, exec_lo
	s_waitcnt_vscnt null, 0x0
	s_barrier
	buffer_gl0_inv
	v_cmpx_eq_u32_e32 40, v208
	s_cbranch_execz .LBB115_368
; %bb.362:
	ds_store_2addr_b64 v209, v[68:69], v[70:71] offset1:1
	ds_store_2addr_b64 v214, v[64:65], v[66:67] offset0:82 offset1:83
	ds_store_2addr_b64 v214, v[60:61], v[62:63] offset0:84 offset1:85
	;; [unrolled: 1-line block ×17, first 2 shown]
	ds_load_2addr_b64 v[216:219], v209 offset1:1
	s_waitcnt lgkmcnt(0)
	v_cmp_neq_f64_e32 vcc_lo, 0, v[216:217]
	v_cmp_neq_f64_e64 s3, 0, v[218:219]
	s_delay_alu instid0(VALU_DEP_1) | instskip(NEXT) | instid1(SALU_CYCLE_1)
	s_or_b32 s3, vcc_lo, s3
	s_and_b32 exec_lo, exec_lo, s3
	s_cbranch_execz .LBB115_368
; %bb.363:
	v_cmp_gt_f64_e32 vcc_lo, 0, v[216:217]
	v_xor_b32_e32 v212, 0x80000000, v217
	v_xor_b32_e32 v215, 0x80000000, v219
	s_delay_alu instid0(VALU_DEP_2) | instskip(SKIP_2) | instid1(VALU_DEP_4)
	v_cndmask_b32_e32 v213, v217, v212, vcc_lo
	v_cndmask_b32_e32 v212, v216, v216, vcc_lo
	v_cmp_gt_f64_e32 vcc_lo, 0, v[218:219]
	v_dual_cndmask_b32 v221, v219, v215 :: v_dual_cndmask_b32 v220, v218, v218
	s_delay_alu instid0(VALU_DEP_1) | instskip(SKIP_1) | instid1(SALU_CYCLE_1)
	v_cmp_ngt_f64_e32 vcc_lo, v[212:213], v[220:221]
                                        ; implicit-def: $vgpr212_vgpr213
	s_and_saveexec_b32 s3, vcc_lo
	s_xor_b32 s3, exec_lo, s3
                                        ; implicit-def: $vgpr220_vgpr221_vgpr222_vgpr223
	s_cbranch_execz .LBB115_365
; %bb.364:
	v_div_scale_f64 v[212:213], null, v[218:219], v[218:219], v[216:217]
	v_div_scale_f64 v[224:225], vcc_lo, v[216:217], v[218:219], v[216:217]
	s_delay_alu instid0(VALU_DEP_2) | instskip(SKIP_2) | instid1(VALU_DEP_1)
	v_rcp_f64_e32 v[220:221], v[212:213]
	s_waitcnt_depctr 0xfff
	v_fma_f64 v[222:223], -v[212:213], v[220:221], 1.0
	v_fma_f64 v[220:221], v[220:221], v[222:223], v[220:221]
	s_delay_alu instid0(VALU_DEP_1) | instskip(NEXT) | instid1(VALU_DEP_1)
	v_fma_f64 v[222:223], -v[212:213], v[220:221], 1.0
	v_fma_f64 v[220:221], v[220:221], v[222:223], v[220:221]
	s_delay_alu instid0(VALU_DEP_1) | instskip(NEXT) | instid1(VALU_DEP_1)
	v_mul_f64 v[222:223], v[224:225], v[220:221]
	v_fma_f64 v[212:213], -v[212:213], v[222:223], v[224:225]
	s_delay_alu instid0(VALU_DEP_1) | instskip(NEXT) | instid1(VALU_DEP_1)
	v_div_fmas_f64 v[212:213], v[212:213], v[220:221], v[222:223]
	v_div_fixup_f64 v[212:213], v[212:213], v[218:219], v[216:217]
	s_delay_alu instid0(VALU_DEP_1) | instskip(NEXT) | instid1(VALU_DEP_1)
	v_fma_f64 v[216:217], v[216:217], v[212:213], v[218:219]
	v_div_scale_f64 v[218:219], null, v[216:217], v[216:217], 1.0
	s_delay_alu instid0(VALU_DEP_1) | instskip(SKIP_2) | instid1(VALU_DEP_1)
	v_rcp_f64_e32 v[220:221], v[218:219]
	s_waitcnt_depctr 0xfff
	v_fma_f64 v[222:223], -v[218:219], v[220:221], 1.0
	v_fma_f64 v[220:221], v[220:221], v[222:223], v[220:221]
	s_delay_alu instid0(VALU_DEP_1) | instskip(NEXT) | instid1(VALU_DEP_1)
	v_fma_f64 v[222:223], -v[218:219], v[220:221], 1.0
	v_fma_f64 v[220:221], v[220:221], v[222:223], v[220:221]
	v_div_scale_f64 v[222:223], vcc_lo, 1.0, v[216:217], 1.0
	s_delay_alu instid0(VALU_DEP_1) | instskip(NEXT) | instid1(VALU_DEP_1)
	v_mul_f64 v[224:225], v[222:223], v[220:221]
	v_fma_f64 v[218:219], -v[218:219], v[224:225], v[222:223]
	s_delay_alu instid0(VALU_DEP_1) | instskip(NEXT) | instid1(VALU_DEP_1)
	v_div_fmas_f64 v[218:219], v[218:219], v[220:221], v[224:225]
	v_div_fixup_f64 v[222:223], v[218:219], v[216:217], 1.0
                                        ; implicit-def: $vgpr216_vgpr217
	s_delay_alu instid0(VALU_DEP_1)
	v_mul_f64 v[212:213], v[212:213], v[222:223]
	v_xor_b32_e32 v223, 0x80000000, v223
.LBB115_365:
	s_and_not1_saveexec_b32 s3, s3
	s_cbranch_execz .LBB115_367
; %bb.366:
	v_div_scale_f64 v[212:213], null, v[216:217], v[216:217], v[218:219]
	v_div_scale_f64 v[224:225], vcc_lo, v[218:219], v[216:217], v[218:219]
	s_delay_alu instid0(VALU_DEP_2) | instskip(SKIP_2) | instid1(VALU_DEP_1)
	v_rcp_f64_e32 v[220:221], v[212:213]
	s_waitcnt_depctr 0xfff
	v_fma_f64 v[222:223], -v[212:213], v[220:221], 1.0
	v_fma_f64 v[220:221], v[220:221], v[222:223], v[220:221]
	s_delay_alu instid0(VALU_DEP_1) | instskip(NEXT) | instid1(VALU_DEP_1)
	v_fma_f64 v[222:223], -v[212:213], v[220:221], 1.0
	v_fma_f64 v[220:221], v[220:221], v[222:223], v[220:221]
	s_delay_alu instid0(VALU_DEP_1) | instskip(NEXT) | instid1(VALU_DEP_1)
	v_mul_f64 v[222:223], v[224:225], v[220:221]
	v_fma_f64 v[212:213], -v[212:213], v[222:223], v[224:225]
	s_delay_alu instid0(VALU_DEP_1) | instskip(NEXT) | instid1(VALU_DEP_1)
	v_div_fmas_f64 v[212:213], v[212:213], v[220:221], v[222:223]
	v_div_fixup_f64 v[220:221], v[212:213], v[216:217], v[218:219]
	s_delay_alu instid0(VALU_DEP_1) | instskip(NEXT) | instid1(VALU_DEP_1)
	v_fma_f64 v[212:213], v[218:219], v[220:221], v[216:217]
	v_div_scale_f64 v[216:217], null, v[212:213], v[212:213], 1.0
	s_delay_alu instid0(VALU_DEP_1) | instskip(SKIP_2) | instid1(VALU_DEP_1)
	v_rcp_f64_e32 v[218:219], v[216:217]
	s_waitcnt_depctr 0xfff
	v_fma_f64 v[222:223], -v[216:217], v[218:219], 1.0
	v_fma_f64 v[218:219], v[218:219], v[222:223], v[218:219]
	s_delay_alu instid0(VALU_DEP_1) | instskip(NEXT) | instid1(VALU_DEP_1)
	v_fma_f64 v[222:223], -v[216:217], v[218:219], 1.0
	v_fma_f64 v[218:219], v[218:219], v[222:223], v[218:219]
	v_div_scale_f64 v[222:223], vcc_lo, 1.0, v[212:213], 1.0
	s_delay_alu instid0(VALU_DEP_1) | instskip(NEXT) | instid1(VALU_DEP_1)
	v_mul_f64 v[224:225], v[222:223], v[218:219]
	v_fma_f64 v[216:217], -v[216:217], v[224:225], v[222:223]
	s_delay_alu instid0(VALU_DEP_1) | instskip(NEXT) | instid1(VALU_DEP_1)
	v_div_fmas_f64 v[216:217], v[216:217], v[218:219], v[224:225]
	v_div_fixup_f64 v[212:213], v[216:217], v[212:213], 1.0
	s_delay_alu instid0(VALU_DEP_1)
	v_mul_f64 v[222:223], v[220:221], -v[212:213]
.LBB115_367:
	s_or_b32 exec_lo, exec_lo, s3
	ds_store_2addr_b64 v209, v[212:213], v[222:223] offset1:1
.LBB115_368:
	s_or_b32 exec_lo, exec_lo, s4
	s_waitcnt lgkmcnt(0)
	s_barrier
	buffer_gl0_inv
	ds_load_2addr_b64 v[204:207], v209 offset1:1
	s_mov_b32 s3, exec_lo
	s_waitcnt lgkmcnt(0)
	scratch_store_b128 off, v[204:207], off offset:1204 ; 16-byte Folded Spill
	v_cmpx_lt_u32_e32 40, v208
	s_cbranch_execz .LBB115_370
; %bb.369:
	scratch_load_b128 v[204:207], off, off offset:1204 ; 16-byte Folded Reload
	ds_load_2addr_b64 v[218:221], v214 offset0:82 offset1:83
	s_waitcnt vmcnt(0)
	v_mul_f64 v[212:213], v[206:207], v[70:71]
	v_mul_f64 v[70:71], v[204:205], v[70:71]
	s_delay_alu instid0(VALU_DEP_2) | instskip(NEXT) | instid1(VALU_DEP_2)
	v_fma_f64 v[216:217], v[204:205], v[68:69], -v[212:213]
	v_fma_f64 v[70:71], v[206:207], v[68:69], v[70:71]
	s_waitcnt lgkmcnt(0)
	s_delay_alu instid0(VALU_DEP_1) | instskip(SKIP_1) | instid1(VALU_DEP_2)
	v_mul_f64 v[68:69], v[220:221], v[70:71]
	v_mul_f64 v[212:213], v[218:219], v[70:71]
	v_fma_f64 v[68:69], v[218:219], v[216:217], -v[68:69]
	s_delay_alu instid0(VALU_DEP_2)
	v_fma_f64 v[212:213], v[220:221], v[216:217], v[212:213]
	ds_load_2addr_b64 v[218:221], v214 offset0:84 offset1:85
	v_add_f64 v[64:65], v[64:65], -v[68:69]
	v_add_f64 v[66:67], v[66:67], -v[212:213]
	s_waitcnt lgkmcnt(0)
	v_mul_f64 v[68:69], v[220:221], v[70:71]
	v_mul_f64 v[212:213], v[218:219], v[70:71]
	s_delay_alu instid0(VALU_DEP_2) | instskip(NEXT) | instid1(VALU_DEP_2)
	v_fma_f64 v[68:69], v[218:219], v[216:217], -v[68:69]
	v_fma_f64 v[212:213], v[220:221], v[216:217], v[212:213]
	ds_load_2addr_b64 v[218:221], v214 offset0:86 offset1:87
	v_add_f64 v[60:61], v[60:61], -v[68:69]
	v_add_f64 v[62:63], v[62:63], -v[212:213]
	s_waitcnt lgkmcnt(0)
	v_mul_f64 v[68:69], v[220:221], v[70:71]
	v_mul_f64 v[212:213], v[218:219], v[70:71]
	s_delay_alu instid0(VALU_DEP_2) | instskip(NEXT) | instid1(VALU_DEP_2)
	v_fma_f64 v[68:69], v[218:219], v[216:217], -v[68:69]
	v_fma_f64 v[212:213], v[220:221], v[216:217], v[212:213]
	ds_load_2addr_b64 v[218:221], v214 offset0:88 offset1:89
	v_add_f64 v[56:57], v[56:57], -v[68:69]
	v_add_f64 v[58:59], v[58:59], -v[212:213]
	s_waitcnt lgkmcnt(0)
	v_mul_f64 v[68:69], v[220:221], v[70:71]
	v_mul_f64 v[212:213], v[218:219], v[70:71]
	s_delay_alu instid0(VALU_DEP_2) | instskip(NEXT) | instid1(VALU_DEP_2)
	v_fma_f64 v[68:69], v[218:219], v[216:217], -v[68:69]
	v_fma_f64 v[212:213], v[220:221], v[216:217], v[212:213]
	ds_load_2addr_b64 v[218:221], v214 offset0:90 offset1:91
	v_add_f64 v[52:53], v[52:53], -v[68:69]
	v_add_f64 v[54:55], v[54:55], -v[212:213]
	s_waitcnt lgkmcnt(0)
	v_mul_f64 v[68:69], v[220:221], v[70:71]
	v_mul_f64 v[212:213], v[218:219], v[70:71]
	s_delay_alu instid0(VALU_DEP_2) | instskip(NEXT) | instid1(VALU_DEP_2)
	v_fma_f64 v[68:69], v[218:219], v[216:217], -v[68:69]
	v_fma_f64 v[212:213], v[220:221], v[216:217], v[212:213]
	ds_load_2addr_b64 v[218:221], v214 offset0:92 offset1:93
	v_add_f64 v[48:49], v[48:49], -v[68:69]
	v_add_f64 v[50:51], v[50:51], -v[212:213]
	s_waitcnt lgkmcnt(0)
	v_mul_f64 v[68:69], v[220:221], v[70:71]
	v_mul_f64 v[212:213], v[218:219], v[70:71]
	s_delay_alu instid0(VALU_DEP_2) | instskip(NEXT) | instid1(VALU_DEP_2)
	v_fma_f64 v[68:69], v[218:219], v[216:217], -v[68:69]
	v_fma_f64 v[212:213], v[220:221], v[216:217], v[212:213]
	ds_load_2addr_b64 v[218:221], v214 offset0:94 offset1:95
	v_add_f64 v[44:45], v[44:45], -v[68:69]
	v_add_f64 v[46:47], v[46:47], -v[212:213]
	s_waitcnt lgkmcnt(0)
	v_mul_f64 v[68:69], v[220:221], v[70:71]
	v_mul_f64 v[212:213], v[218:219], v[70:71]
	s_delay_alu instid0(VALU_DEP_2) | instskip(NEXT) | instid1(VALU_DEP_2)
	v_fma_f64 v[68:69], v[218:219], v[216:217], -v[68:69]
	v_fma_f64 v[212:213], v[220:221], v[216:217], v[212:213]
	ds_load_2addr_b64 v[218:221], v214 offset0:96 offset1:97
	v_add_f64 v[40:41], v[40:41], -v[68:69]
	v_add_f64 v[42:43], v[42:43], -v[212:213]
	s_waitcnt lgkmcnt(0)
	v_mul_f64 v[68:69], v[220:221], v[70:71]
	v_mul_f64 v[212:213], v[218:219], v[70:71]
	s_delay_alu instid0(VALU_DEP_2) | instskip(NEXT) | instid1(VALU_DEP_2)
	v_fma_f64 v[68:69], v[218:219], v[216:217], -v[68:69]
	v_fma_f64 v[212:213], v[220:221], v[216:217], v[212:213]
	ds_load_2addr_b64 v[218:221], v214 offset0:98 offset1:99
	v_add_f64 v[36:37], v[36:37], -v[68:69]
	v_add_f64 v[38:39], v[38:39], -v[212:213]
	s_waitcnt lgkmcnt(0)
	v_mul_f64 v[68:69], v[220:221], v[70:71]
	v_mul_f64 v[212:213], v[218:219], v[70:71]
	s_delay_alu instid0(VALU_DEP_2) | instskip(NEXT) | instid1(VALU_DEP_2)
	v_fma_f64 v[68:69], v[218:219], v[216:217], -v[68:69]
	v_fma_f64 v[212:213], v[220:221], v[216:217], v[212:213]
	ds_load_2addr_b64 v[218:221], v214 offset0:100 offset1:101
	v_add_f64 v[32:33], v[32:33], -v[68:69]
	v_add_f64 v[34:35], v[34:35], -v[212:213]
	s_waitcnt lgkmcnt(0)
	v_mul_f64 v[68:69], v[220:221], v[70:71]
	v_mul_f64 v[212:213], v[218:219], v[70:71]
	s_delay_alu instid0(VALU_DEP_2) | instskip(NEXT) | instid1(VALU_DEP_2)
	v_fma_f64 v[68:69], v[218:219], v[216:217], -v[68:69]
	v_fma_f64 v[212:213], v[220:221], v[216:217], v[212:213]
	ds_load_2addr_b64 v[218:221], v214 offset0:102 offset1:103
	v_add_f64 v[28:29], v[28:29], -v[68:69]
	v_add_f64 v[30:31], v[30:31], -v[212:213]
	s_waitcnt lgkmcnt(0)
	v_mul_f64 v[68:69], v[220:221], v[70:71]
	v_mul_f64 v[212:213], v[218:219], v[70:71]
	s_delay_alu instid0(VALU_DEP_2) | instskip(NEXT) | instid1(VALU_DEP_2)
	v_fma_f64 v[68:69], v[218:219], v[216:217], -v[68:69]
	v_fma_f64 v[212:213], v[220:221], v[216:217], v[212:213]
	ds_load_2addr_b64 v[218:221], v214 offset0:104 offset1:105
	v_add_f64 v[24:25], v[24:25], -v[68:69]
	v_add_f64 v[26:27], v[26:27], -v[212:213]
	s_waitcnt lgkmcnt(0)
	v_mul_f64 v[68:69], v[220:221], v[70:71]
	v_mul_f64 v[212:213], v[218:219], v[70:71]
	s_delay_alu instid0(VALU_DEP_2) | instskip(NEXT) | instid1(VALU_DEP_2)
	v_fma_f64 v[68:69], v[218:219], v[216:217], -v[68:69]
	v_fma_f64 v[212:213], v[220:221], v[216:217], v[212:213]
	ds_load_2addr_b64 v[218:221], v214 offset0:106 offset1:107
	v_add_f64 v[20:21], v[20:21], -v[68:69]
	v_add_f64 v[22:23], v[22:23], -v[212:213]
	s_waitcnt lgkmcnt(0)
	v_mul_f64 v[68:69], v[220:221], v[70:71]
	v_mul_f64 v[212:213], v[218:219], v[70:71]
	s_delay_alu instid0(VALU_DEP_2) | instskip(NEXT) | instid1(VALU_DEP_2)
	v_fma_f64 v[68:69], v[218:219], v[216:217], -v[68:69]
	v_fma_f64 v[212:213], v[220:221], v[216:217], v[212:213]
	ds_load_2addr_b64 v[218:221], v214 offset0:108 offset1:109
	v_add_f64 v[16:17], v[16:17], -v[68:69]
	v_add_f64 v[18:19], v[18:19], -v[212:213]
	s_waitcnt lgkmcnt(0)
	v_mul_f64 v[68:69], v[220:221], v[70:71]
	v_mul_f64 v[212:213], v[218:219], v[70:71]
	s_delay_alu instid0(VALU_DEP_2) | instskip(NEXT) | instid1(VALU_DEP_2)
	v_fma_f64 v[68:69], v[218:219], v[216:217], -v[68:69]
	v_fma_f64 v[212:213], v[220:221], v[216:217], v[212:213]
	ds_load_2addr_b64 v[218:221], v214 offset0:110 offset1:111
	v_add_f64 v[12:13], v[12:13], -v[68:69]
	v_add_f64 v[14:15], v[14:15], -v[212:213]
	s_waitcnt lgkmcnt(0)
	v_mul_f64 v[68:69], v[220:221], v[70:71]
	v_mul_f64 v[212:213], v[218:219], v[70:71]
	s_delay_alu instid0(VALU_DEP_2) | instskip(NEXT) | instid1(VALU_DEP_2)
	v_fma_f64 v[68:69], v[218:219], v[216:217], -v[68:69]
	v_fma_f64 v[212:213], v[220:221], v[216:217], v[212:213]
	ds_load_2addr_b64 v[218:221], v214 offset0:112 offset1:113
	v_add_f64 v[8:9], v[8:9], -v[68:69]
	v_add_f64 v[10:11], v[10:11], -v[212:213]
	s_waitcnt lgkmcnt(0)
	v_mul_f64 v[68:69], v[220:221], v[70:71]
	v_mul_f64 v[212:213], v[218:219], v[70:71]
	s_delay_alu instid0(VALU_DEP_2) | instskip(NEXT) | instid1(VALU_DEP_2)
	v_fma_f64 v[68:69], v[218:219], v[216:217], -v[68:69]
	v_fma_f64 v[212:213], v[220:221], v[216:217], v[212:213]
	ds_load_2addr_b64 v[218:221], v214 offset0:114 offset1:115
	v_add_f64 v[4:5], v[4:5], -v[68:69]
	v_add_f64 v[6:7], v[6:7], -v[212:213]
	s_waitcnt lgkmcnt(0)
	v_mul_f64 v[68:69], v[220:221], v[70:71]
	v_mul_f64 v[212:213], v[218:219], v[70:71]
	s_delay_alu instid0(VALU_DEP_2) | instskip(NEXT) | instid1(VALU_DEP_2)
	v_fma_f64 v[68:69], v[218:219], v[216:217], -v[68:69]
	v_fma_f64 v[212:213], v[220:221], v[216:217], v[212:213]
	s_delay_alu instid0(VALU_DEP_2) | instskip(NEXT) | instid1(VALU_DEP_2)
	v_add_f64 v[0:1], v[0:1], -v[68:69]
	v_add_f64 v[2:3], v[2:3], -v[212:213]
	v_dual_mov_b32 v68, v216 :: v_dual_mov_b32 v69, v217
.LBB115_370:
	s_or_b32 exec_lo, exec_lo, s3
	s_delay_alu instid0(SALU_CYCLE_1)
	s_mov_b32 s4, exec_lo
	s_waitcnt_vscnt null, 0x0
	s_barrier
	buffer_gl0_inv
	v_cmpx_eq_u32_e32 41, v208
	s_cbranch_execz .LBB115_377
; %bb.371:
	ds_store_2addr_b64 v209, v[64:65], v[66:67] offset1:1
	ds_store_2addr_b64 v214, v[60:61], v[62:63] offset0:84 offset1:85
	ds_store_2addr_b64 v214, v[56:57], v[58:59] offset0:86 offset1:87
	;; [unrolled: 1-line block ×16, first 2 shown]
	ds_load_2addr_b64 v[216:219], v209 offset1:1
	s_waitcnt lgkmcnt(0)
	v_cmp_neq_f64_e32 vcc_lo, 0, v[216:217]
	v_cmp_neq_f64_e64 s3, 0, v[218:219]
	s_delay_alu instid0(VALU_DEP_1) | instskip(NEXT) | instid1(SALU_CYCLE_1)
	s_or_b32 s3, vcc_lo, s3
	s_and_b32 exec_lo, exec_lo, s3
	s_cbranch_execz .LBB115_377
; %bb.372:
	v_cmp_gt_f64_e32 vcc_lo, 0, v[216:217]
	v_xor_b32_e32 v212, 0x80000000, v217
	v_xor_b32_e32 v215, 0x80000000, v219
	s_delay_alu instid0(VALU_DEP_2) | instskip(SKIP_2) | instid1(VALU_DEP_4)
	v_cndmask_b32_e32 v213, v217, v212, vcc_lo
	v_cndmask_b32_e32 v212, v216, v216, vcc_lo
	v_cmp_gt_f64_e32 vcc_lo, 0, v[218:219]
	v_dual_cndmask_b32 v221, v219, v215 :: v_dual_cndmask_b32 v220, v218, v218
	s_delay_alu instid0(VALU_DEP_1) | instskip(SKIP_1) | instid1(SALU_CYCLE_1)
	v_cmp_ngt_f64_e32 vcc_lo, v[212:213], v[220:221]
                                        ; implicit-def: $vgpr212_vgpr213
	s_and_saveexec_b32 s3, vcc_lo
	s_xor_b32 s3, exec_lo, s3
                                        ; implicit-def: $vgpr220_vgpr221_vgpr222_vgpr223
	s_cbranch_execz .LBB115_374
; %bb.373:
	v_div_scale_f64 v[212:213], null, v[218:219], v[218:219], v[216:217]
	v_div_scale_f64 v[224:225], vcc_lo, v[216:217], v[218:219], v[216:217]
	s_delay_alu instid0(VALU_DEP_2) | instskip(SKIP_2) | instid1(VALU_DEP_1)
	v_rcp_f64_e32 v[220:221], v[212:213]
	s_waitcnt_depctr 0xfff
	v_fma_f64 v[222:223], -v[212:213], v[220:221], 1.0
	v_fma_f64 v[220:221], v[220:221], v[222:223], v[220:221]
	s_delay_alu instid0(VALU_DEP_1) | instskip(NEXT) | instid1(VALU_DEP_1)
	v_fma_f64 v[222:223], -v[212:213], v[220:221], 1.0
	v_fma_f64 v[220:221], v[220:221], v[222:223], v[220:221]
	s_delay_alu instid0(VALU_DEP_1) | instskip(NEXT) | instid1(VALU_DEP_1)
	v_mul_f64 v[222:223], v[224:225], v[220:221]
	v_fma_f64 v[212:213], -v[212:213], v[222:223], v[224:225]
	s_delay_alu instid0(VALU_DEP_1) | instskip(NEXT) | instid1(VALU_DEP_1)
	v_div_fmas_f64 v[212:213], v[212:213], v[220:221], v[222:223]
	v_div_fixup_f64 v[212:213], v[212:213], v[218:219], v[216:217]
	s_delay_alu instid0(VALU_DEP_1) | instskip(NEXT) | instid1(VALU_DEP_1)
	v_fma_f64 v[216:217], v[216:217], v[212:213], v[218:219]
	v_div_scale_f64 v[218:219], null, v[216:217], v[216:217], 1.0
	s_delay_alu instid0(VALU_DEP_1) | instskip(SKIP_2) | instid1(VALU_DEP_1)
	v_rcp_f64_e32 v[220:221], v[218:219]
	s_waitcnt_depctr 0xfff
	v_fma_f64 v[222:223], -v[218:219], v[220:221], 1.0
	v_fma_f64 v[220:221], v[220:221], v[222:223], v[220:221]
	s_delay_alu instid0(VALU_DEP_1) | instskip(NEXT) | instid1(VALU_DEP_1)
	v_fma_f64 v[222:223], -v[218:219], v[220:221], 1.0
	v_fma_f64 v[220:221], v[220:221], v[222:223], v[220:221]
	v_div_scale_f64 v[222:223], vcc_lo, 1.0, v[216:217], 1.0
	s_delay_alu instid0(VALU_DEP_1) | instskip(NEXT) | instid1(VALU_DEP_1)
	v_mul_f64 v[224:225], v[222:223], v[220:221]
	v_fma_f64 v[218:219], -v[218:219], v[224:225], v[222:223]
	s_delay_alu instid0(VALU_DEP_1) | instskip(NEXT) | instid1(VALU_DEP_1)
	v_div_fmas_f64 v[218:219], v[218:219], v[220:221], v[224:225]
	v_div_fixup_f64 v[222:223], v[218:219], v[216:217], 1.0
                                        ; implicit-def: $vgpr216_vgpr217
	s_delay_alu instid0(VALU_DEP_1)
	v_mul_f64 v[212:213], v[212:213], v[222:223]
	v_xor_b32_e32 v223, 0x80000000, v223
.LBB115_374:
	s_and_not1_saveexec_b32 s3, s3
	s_cbranch_execz .LBB115_376
; %bb.375:
	v_div_scale_f64 v[212:213], null, v[216:217], v[216:217], v[218:219]
	v_div_scale_f64 v[224:225], vcc_lo, v[218:219], v[216:217], v[218:219]
	s_delay_alu instid0(VALU_DEP_2) | instskip(SKIP_2) | instid1(VALU_DEP_1)
	v_rcp_f64_e32 v[220:221], v[212:213]
	s_waitcnt_depctr 0xfff
	v_fma_f64 v[222:223], -v[212:213], v[220:221], 1.0
	v_fma_f64 v[220:221], v[220:221], v[222:223], v[220:221]
	s_delay_alu instid0(VALU_DEP_1) | instskip(NEXT) | instid1(VALU_DEP_1)
	v_fma_f64 v[222:223], -v[212:213], v[220:221], 1.0
	v_fma_f64 v[220:221], v[220:221], v[222:223], v[220:221]
	s_delay_alu instid0(VALU_DEP_1) | instskip(NEXT) | instid1(VALU_DEP_1)
	v_mul_f64 v[222:223], v[224:225], v[220:221]
	v_fma_f64 v[212:213], -v[212:213], v[222:223], v[224:225]
	s_delay_alu instid0(VALU_DEP_1) | instskip(NEXT) | instid1(VALU_DEP_1)
	v_div_fmas_f64 v[212:213], v[212:213], v[220:221], v[222:223]
	v_div_fixup_f64 v[220:221], v[212:213], v[216:217], v[218:219]
	s_delay_alu instid0(VALU_DEP_1) | instskip(NEXT) | instid1(VALU_DEP_1)
	v_fma_f64 v[212:213], v[218:219], v[220:221], v[216:217]
	v_div_scale_f64 v[216:217], null, v[212:213], v[212:213], 1.0
	s_delay_alu instid0(VALU_DEP_1) | instskip(SKIP_2) | instid1(VALU_DEP_1)
	v_rcp_f64_e32 v[218:219], v[216:217]
	s_waitcnt_depctr 0xfff
	v_fma_f64 v[222:223], -v[216:217], v[218:219], 1.0
	v_fma_f64 v[218:219], v[218:219], v[222:223], v[218:219]
	s_delay_alu instid0(VALU_DEP_1) | instskip(NEXT) | instid1(VALU_DEP_1)
	v_fma_f64 v[222:223], -v[216:217], v[218:219], 1.0
	v_fma_f64 v[218:219], v[218:219], v[222:223], v[218:219]
	v_div_scale_f64 v[222:223], vcc_lo, 1.0, v[212:213], 1.0
	s_delay_alu instid0(VALU_DEP_1) | instskip(NEXT) | instid1(VALU_DEP_1)
	v_mul_f64 v[224:225], v[222:223], v[218:219]
	v_fma_f64 v[216:217], -v[216:217], v[224:225], v[222:223]
	s_delay_alu instid0(VALU_DEP_1) | instskip(NEXT) | instid1(VALU_DEP_1)
	v_div_fmas_f64 v[216:217], v[216:217], v[218:219], v[224:225]
	v_div_fixup_f64 v[212:213], v[216:217], v[212:213], 1.0
	s_delay_alu instid0(VALU_DEP_1)
	v_mul_f64 v[222:223], v[220:221], -v[212:213]
.LBB115_376:
	s_or_b32 exec_lo, exec_lo, s3
	ds_store_2addr_b64 v209, v[212:213], v[222:223] offset1:1
.LBB115_377:
	s_or_b32 exec_lo, exec_lo, s4
	s_waitcnt lgkmcnt(0)
	s_barrier
	buffer_gl0_inv
	ds_load_2addr_b64 v[204:207], v209 offset1:1
	s_mov_b32 s3, exec_lo
	s_waitcnt lgkmcnt(0)
	scratch_store_b128 off, v[204:207], off offset:1220 ; 16-byte Folded Spill
	v_cmpx_lt_u32_e32 41, v208
	s_cbranch_execz .LBB115_379
; %bb.378:
	scratch_load_b128 v[204:207], off, off offset:1220 ; 16-byte Folded Reload
	ds_load_2addr_b64 v[218:221], v214 offset0:84 offset1:85
	s_waitcnt vmcnt(0)
	v_mul_f64 v[212:213], v[204:205], v[66:67]
	v_mul_f64 v[66:67], v[206:207], v[66:67]
	s_delay_alu instid0(VALU_DEP_2) | instskip(NEXT) | instid1(VALU_DEP_2)
	v_fma_f64 v[216:217], v[206:207], v[64:65], v[212:213]
	v_fma_f64 v[64:65], v[204:205], v[64:65], -v[66:67]
	s_waitcnt lgkmcnt(0)
	s_delay_alu instid0(VALU_DEP_2) | instskip(SKIP_1) | instid1(VALU_DEP_2)
	v_mul_f64 v[66:67], v[220:221], v[216:217]
	v_mul_f64 v[212:213], v[218:219], v[216:217]
	v_fma_f64 v[66:67], v[218:219], v[64:65], -v[66:67]
	s_delay_alu instid0(VALU_DEP_2)
	v_fma_f64 v[212:213], v[220:221], v[64:65], v[212:213]
	ds_load_2addr_b64 v[218:221], v214 offset0:86 offset1:87
	v_add_f64 v[60:61], v[60:61], -v[66:67]
	v_add_f64 v[62:63], v[62:63], -v[212:213]
	s_waitcnt lgkmcnt(0)
	v_mul_f64 v[66:67], v[220:221], v[216:217]
	v_mul_f64 v[212:213], v[218:219], v[216:217]
	s_delay_alu instid0(VALU_DEP_2) | instskip(NEXT) | instid1(VALU_DEP_2)
	v_fma_f64 v[66:67], v[218:219], v[64:65], -v[66:67]
	v_fma_f64 v[212:213], v[220:221], v[64:65], v[212:213]
	ds_load_2addr_b64 v[218:221], v214 offset0:88 offset1:89
	v_add_f64 v[56:57], v[56:57], -v[66:67]
	v_add_f64 v[58:59], v[58:59], -v[212:213]
	s_waitcnt lgkmcnt(0)
	v_mul_f64 v[66:67], v[220:221], v[216:217]
	v_mul_f64 v[212:213], v[218:219], v[216:217]
	s_delay_alu instid0(VALU_DEP_2) | instskip(NEXT) | instid1(VALU_DEP_2)
	v_fma_f64 v[66:67], v[218:219], v[64:65], -v[66:67]
	;; [unrolled: 9-line block ×15, first 2 shown]
	v_fma_f64 v[212:213], v[220:221], v[64:65], v[212:213]
	s_delay_alu instid0(VALU_DEP_2) | instskip(NEXT) | instid1(VALU_DEP_2)
	v_add_f64 v[0:1], v[0:1], -v[66:67]
	v_add_f64 v[2:3], v[2:3], -v[212:213]
	v_dual_mov_b32 v66, v216 :: v_dual_mov_b32 v67, v217
.LBB115_379:
	s_or_b32 exec_lo, exec_lo, s3
	s_delay_alu instid0(SALU_CYCLE_1)
	s_mov_b32 s4, exec_lo
	s_waitcnt_vscnt null, 0x0
	s_barrier
	buffer_gl0_inv
	v_cmpx_eq_u32_e32 42, v208
	s_cbranch_execz .LBB115_386
; %bb.380:
	ds_store_2addr_b64 v209, v[60:61], v[62:63] offset1:1
	ds_store_2addr_b64 v214, v[56:57], v[58:59] offset0:86 offset1:87
	ds_store_2addr_b64 v214, v[52:53], v[54:55] offset0:88 offset1:89
	;; [unrolled: 1-line block ×15, first 2 shown]
	ds_load_2addr_b64 v[216:219], v209 offset1:1
	s_waitcnt lgkmcnt(0)
	v_cmp_neq_f64_e32 vcc_lo, 0, v[216:217]
	v_cmp_neq_f64_e64 s3, 0, v[218:219]
	s_delay_alu instid0(VALU_DEP_1) | instskip(NEXT) | instid1(SALU_CYCLE_1)
	s_or_b32 s3, vcc_lo, s3
	s_and_b32 exec_lo, exec_lo, s3
	s_cbranch_execz .LBB115_386
; %bb.381:
	v_cmp_gt_f64_e32 vcc_lo, 0, v[216:217]
	v_xor_b32_e32 v212, 0x80000000, v217
	v_xor_b32_e32 v215, 0x80000000, v219
	s_delay_alu instid0(VALU_DEP_2) | instskip(SKIP_2) | instid1(VALU_DEP_4)
	v_cndmask_b32_e32 v213, v217, v212, vcc_lo
	v_cndmask_b32_e32 v212, v216, v216, vcc_lo
	v_cmp_gt_f64_e32 vcc_lo, 0, v[218:219]
	v_dual_cndmask_b32 v221, v219, v215 :: v_dual_cndmask_b32 v220, v218, v218
	s_delay_alu instid0(VALU_DEP_1) | instskip(SKIP_1) | instid1(SALU_CYCLE_1)
	v_cmp_ngt_f64_e32 vcc_lo, v[212:213], v[220:221]
                                        ; implicit-def: $vgpr212_vgpr213
	s_and_saveexec_b32 s3, vcc_lo
	s_xor_b32 s3, exec_lo, s3
                                        ; implicit-def: $vgpr220_vgpr221_vgpr222_vgpr223
	s_cbranch_execz .LBB115_383
; %bb.382:
	v_div_scale_f64 v[212:213], null, v[218:219], v[218:219], v[216:217]
	v_div_scale_f64 v[224:225], vcc_lo, v[216:217], v[218:219], v[216:217]
	s_delay_alu instid0(VALU_DEP_2) | instskip(SKIP_2) | instid1(VALU_DEP_1)
	v_rcp_f64_e32 v[220:221], v[212:213]
	s_waitcnt_depctr 0xfff
	v_fma_f64 v[222:223], -v[212:213], v[220:221], 1.0
	v_fma_f64 v[220:221], v[220:221], v[222:223], v[220:221]
	s_delay_alu instid0(VALU_DEP_1) | instskip(NEXT) | instid1(VALU_DEP_1)
	v_fma_f64 v[222:223], -v[212:213], v[220:221], 1.0
	v_fma_f64 v[220:221], v[220:221], v[222:223], v[220:221]
	s_delay_alu instid0(VALU_DEP_1) | instskip(NEXT) | instid1(VALU_DEP_1)
	v_mul_f64 v[222:223], v[224:225], v[220:221]
	v_fma_f64 v[212:213], -v[212:213], v[222:223], v[224:225]
	s_delay_alu instid0(VALU_DEP_1) | instskip(NEXT) | instid1(VALU_DEP_1)
	v_div_fmas_f64 v[212:213], v[212:213], v[220:221], v[222:223]
	v_div_fixup_f64 v[212:213], v[212:213], v[218:219], v[216:217]
	s_delay_alu instid0(VALU_DEP_1) | instskip(NEXT) | instid1(VALU_DEP_1)
	v_fma_f64 v[216:217], v[216:217], v[212:213], v[218:219]
	v_div_scale_f64 v[218:219], null, v[216:217], v[216:217], 1.0
	s_delay_alu instid0(VALU_DEP_1) | instskip(SKIP_2) | instid1(VALU_DEP_1)
	v_rcp_f64_e32 v[220:221], v[218:219]
	s_waitcnt_depctr 0xfff
	v_fma_f64 v[222:223], -v[218:219], v[220:221], 1.0
	v_fma_f64 v[220:221], v[220:221], v[222:223], v[220:221]
	s_delay_alu instid0(VALU_DEP_1) | instskip(NEXT) | instid1(VALU_DEP_1)
	v_fma_f64 v[222:223], -v[218:219], v[220:221], 1.0
	v_fma_f64 v[220:221], v[220:221], v[222:223], v[220:221]
	v_div_scale_f64 v[222:223], vcc_lo, 1.0, v[216:217], 1.0
	s_delay_alu instid0(VALU_DEP_1) | instskip(NEXT) | instid1(VALU_DEP_1)
	v_mul_f64 v[224:225], v[222:223], v[220:221]
	v_fma_f64 v[218:219], -v[218:219], v[224:225], v[222:223]
	s_delay_alu instid0(VALU_DEP_1) | instskip(NEXT) | instid1(VALU_DEP_1)
	v_div_fmas_f64 v[218:219], v[218:219], v[220:221], v[224:225]
	v_div_fixup_f64 v[222:223], v[218:219], v[216:217], 1.0
                                        ; implicit-def: $vgpr216_vgpr217
	s_delay_alu instid0(VALU_DEP_1)
	v_mul_f64 v[212:213], v[212:213], v[222:223]
	v_xor_b32_e32 v223, 0x80000000, v223
.LBB115_383:
	s_and_not1_saveexec_b32 s3, s3
	s_cbranch_execz .LBB115_385
; %bb.384:
	v_div_scale_f64 v[212:213], null, v[216:217], v[216:217], v[218:219]
	v_div_scale_f64 v[224:225], vcc_lo, v[218:219], v[216:217], v[218:219]
	s_delay_alu instid0(VALU_DEP_2) | instskip(SKIP_2) | instid1(VALU_DEP_1)
	v_rcp_f64_e32 v[220:221], v[212:213]
	s_waitcnt_depctr 0xfff
	v_fma_f64 v[222:223], -v[212:213], v[220:221], 1.0
	v_fma_f64 v[220:221], v[220:221], v[222:223], v[220:221]
	s_delay_alu instid0(VALU_DEP_1) | instskip(NEXT) | instid1(VALU_DEP_1)
	v_fma_f64 v[222:223], -v[212:213], v[220:221], 1.0
	v_fma_f64 v[220:221], v[220:221], v[222:223], v[220:221]
	s_delay_alu instid0(VALU_DEP_1) | instskip(NEXT) | instid1(VALU_DEP_1)
	v_mul_f64 v[222:223], v[224:225], v[220:221]
	v_fma_f64 v[212:213], -v[212:213], v[222:223], v[224:225]
	s_delay_alu instid0(VALU_DEP_1) | instskip(NEXT) | instid1(VALU_DEP_1)
	v_div_fmas_f64 v[212:213], v[212:213], v[220:221], v[222:223]
	v_div_fixup_f64 v[220:221], v[212:213], v[216:217], v[218:219]
	s_delay_alu instid0(VALU_DEP_1) | instskip(NEXT) | instid1(VALU_DEP_1)
	v_fma_f64 v[212:213], v[218:219], v[220:221], v[216:217]
	v_div_scale_f64 v[216:217], null, v[212:213], v[212:213], 1.0
	s_delay_alu instid0(VALU_DEP_1) | instskip(SKIP_2) | instid1(VALU_DEP_1)
	v_rcp_f64_e32 v[218:219], v[216:217]
	s_waitcnt_depctr 0xfff
	v_fma_f64 v[222:223], -v[216:217], v[218:219], 1.0
	v_fma_f64 v[218:219], v[218:219], v[222:223], v[218:219]
	s_delay_alu instid0(VALU_DEP_1) | instskip(NEXT) | instid1(VALU_DEP_1)
	v_fma_f64 v[222:223], -v[216:217], v[218:219], 1.0
	v_fma_f64 v[218:219], v[218:219], v[222:223], v[218:219]
	v_div_scale_f64 v[222:223], vcc_lo, 1.0, v[212:213], 1.0
	s_delay_alu instid0(VALU_DEP_1) | instskip(NEXT) | instid1(VALU_DEP_1)
	v_mul_f64 v[224:225], v[222:223], v[218:219]
	v_fma_f64 v[216:217], -v[216:217], v[224:225], v[222:223]
	s_delay_alu instid0(VALU_DEP_1) | instskip(NEXT) | instid1(VALU_DEP_1)
	v_div_fmas_f64 v[216:217], v[216:217], v[218:219], v[224:225]
	v_div_fixup_f64 v[212:213], v[216:217], v[212:213], 1.0
	s_delay_alu instid0(VALU_DEP_1)
	v_mul_f64 v[222:223], v[220:221], -v[212:213]
.LBB115_385:
	s_or_b32 exec_lo, exec_lo, s3
	ds_store_2addr_b64 v209, v[212:213], v[222:223] offset1:1
.LBB115_386:
	s_or_b32 exec_lo, exec_lo, s4
	s_waitcnt lgkmcnt(0)
	s_barrier
	buffer_gl0_inv
	ds_load_2addr_b64 v[204:207], v209 offset1:1
	s_mov_b32 s3, exec_lo
	s_waitcnt lgkmcnt(0)
	scratch_store_b128 off, v[204:207], off offset:1236 ; 16-byte Folded Spill
	v_cmpx_lt_u32_e32 42, v208
	s_cbranch_execz .LBB115_388
; %bb.387:
	scratch_load_b128 v[204:207], off, off offset:1236 ; 16-byte Folded Reload
	ds_load_2addr_b64 v[218:221], v214 offset0:86 offset1:87
	s_waitcnt vmcnt(0)
	v_mul_f64 v[212:213], v[204:205], v[62:63]
	v_mul_f64 v[62:63], v[206:207], v[62:63]
	s_delay_alu instid0(VALU_DEP_2) | instskip(NEXT) | instid1(VALU_DEP_2)
	v_fma_f64 v[216:217], v[206:207], v[60:61], v[212:213]
	v_fma_f64 v[60:61], v[204:205], v[60:61], -v[62:63]
	s_waitcnt lgkmcnt(0)
	s_delay_alu instid0(VALU_DEP_2) | instskip(SKIP_1) | instid1(VALU_DEP_2)
	v_mul_f64 v[62:63], v[220:221], v[216:217]
	v_mul_f64 v[212:213], v[218:219], v[216:217]
	v_fma_f64 v[62:63], v[218:219], v[60:61], -v[62:63]
	s_delay_alu instid0(VALU_DEP_2)
	v_fma_f64 v[212:213], v[220:221], v[60:61], v[212:213]
	ds_load_2addr_b64 v[218:221], v214 offset0:88 offset1:89
	v_add_f64 v[56:57], v[56:57], -v[62:63]
	v_add_f64 v[58:59], v[58:59], -v[212:213]
	s_waitcnt lgkmcnt(0)
	v_mul_f64 v[62:63], v[220:221], v[216:217]
	v_mul_f64 v[212:213], v[218:219], v[216:217]
	s_delay_alu instid0(VALU_DEP_2) | instskip(NEXT) | instid1(VALU_DEP_2)
	v_fma_f64 v[62:63], v[218:219], v[60:61], -v[62:63]
	v_fma_f64 v[212:213], v[220:221], v[60:61], v[212:213]
	ds_load_2addr_b64 v[218:221], v214 offset0:90 offset1:91
	v_add_f64 v[52:53], v[52:53], -v[62:63]
	v_add_f64 v[54:55], v[54:55], -v[212:213]
	s_waitcnt lgkmcnt(0)
	v_mul_f64 v[62:63], v[220:221], v[216:217]
	v_mul_f64 v[212:213], v[218:219], v[216:217]
	s_delay_alu instid0(VALU_DEP_2) | instskip(NEXT) | instid1(VALU_DEP_2)
	v_fma_f64 v[62:63], v[218:219], v[60:61], -v[62:63]
	;; [unrolled: 9-line block ×14, first 2 shown]
	v_fma_f64 v[212:213], v[220:221], v[60:61], v[212:213]
	s_delay_alu instid0(VALU_DEP_2) | instskip(NEXT) | instid1(VALU_DEP_2)
	v_add_f64 v[0:1], v[0:1], -v[62:63]
	v_add_f64 v[2:3], v[2:3], -v[212:213]
	v_dual_mov_b32 v62, v216 :: v_dual_mov_b32 v63, v217
.LBB115_388:
	s_or_b32 exec_lo, exec_lo, s3
	s_delay_alu instid0(SALU_CYCLE_1)
	s_mov_b32 s4, exec_lo
	s_waitcnt_vscnt null, 0x0
	s_barrier
	buffer_gl0_inv
	v_cmpx_eq_u32_e32 43, v208
	s_cbranch_execz .LBB115_395
; %bb.389:
	ds_store_2addr_b64 v209, v[56:57], v[58:59] offset1:1
	ds_store_2addr_b64 v214, v[52:53], v[54:55] offset0:88 offset1:89
	ds_store_2addr_b64 v214, v[48:49], v[50:51] offset0:90 offset1:91
	;; [unrolled: 1-line block ×14, first 2 shown]
	ds_load_2addr_b64 v[216:219], v209 offset1:1
	s_waitcnt lgkmcnt(0)
	v_cmp_neq_f64_e32 vcc_lo, 0, v[216:217]
	v_cmp_neq_f64_e64 s3, 0, v[218:219]
	s_delay_alu instid0(VALU_DEP_1) | instskip(NEXT) | instid1(SALU_CYCLE_1)
	s_or_b32 s3, vcc_lo, s3
	s_and_b32 exec_lo, exec_lo, s3
	s_cbranch_execz .LBB115_395
; %bb.390:
	v_cmp_gt_f64_e32 vcc_lo, 0, v[216:217]
	v_xor_b32_e32 v212, 0x80000000, v217
	v_xor_b32_e32 v215, 0x80000000, v219
	s_delay_alu instid0(VALU_DEP_2) | instskip(SKIP_2) | instid1(VALU_DEP_4)
	v_cndmask_b32_e32 v213, v217, v212, vcc_lo
	v_cndmask_b32_e32 v212, v216, v216, vcc_lo
	v_cmp_gt_f64_e32 vcc_lo, 0, v[218:219]
	v_dual_cndmask_b32 v221, v219, v215 :: v_dual_cndmask_b32 v220, v218, v218
	s_delay_alu instid0(VALU_DEP_1) | instskip(SKIP_1) | instid1(SALU_CYCLE_1)
	v_cmp_ngt_f64_e32 vcc_lo, v[212:213], v[220:221]
                                        ; implicit-def: $vgpr212_vgpr213
	s_and_saveexec_b32 s3, vcc_lo
	s_xor_b32 s3, exec_lo, s3
                                        ; implicit-def: $vgpr220_vgpr221_vgpr222_vgpr223
	s_cbranch_execz .LBB115_392
; %bb.391:
	v_div_scale_f64 v[212:213], null, v[218:219], v[218:219], v[216:217]
	v_div_scale_f64 v[224:225], vcc_lo, v[216:217], v[218:219], v[216:217]
	s_delay_alu instid0(VALU_DEP_2) | instskip(SKIP_2) | instid1(VALU_DEP_1)
	v_rcp_f64_e32 v[220:221], v[212:213]
	s_waitcnt_depctr 0xfff
	v_fma_f64 v[222:223], -v[212:213], v[220:221], 1.0
	v_fma_f64 v[220:221], v[220:221], v[222:223], v[220:221]
	s_delay_alu instid0(VALU_DEP_1) | instskip(NEXT) | instid1(VALU_DEP_1)
	v_fma_f64 v[222:223], -v[212:213], v[220:221], 1.0
	v_fma_f64 v[220:221], v[220:221], v[222:223], v[220:221]
	s_delay_alu instid0(VALU_DEP_1) | instskip(NEXT) | instid1(VALU_DEP_1)
	v_mul_f64 v[222:223], v[224:225], v[220:221]
	v_fma_f64 v[212:213], -v[212:213], v[222:223], v[224:225]
	s_delay_alu instid0(VALU_DEP_1) | instskip(NEXT) | instid1(VALU_DEP_1)
	v_div_fmas_f64 v[212:213], v[212:213], v[220:221], v[222:223]
	v_div_fixup_f64 v[212:213], v[212:213], v[218:219], v[216:217]
	s_delay_alu instid0(VALU_DEP_1) | instskip(NEXT) | instid1(VALU_DEP_1)
	v_fma_f64 v[216:217], v[216:217], v[212:213], v[218:219]
	v_div_scale_f64 v[218:219], null, v[216:217], v[216:217], 1.0
	s_delay_alu instid0(VALU_DEP_1) | instskip(SKIP_2) | instid1(VALU_DEP_1)
	v_rcp_f64_e32 v[220:221], v[218:219]
	s_waitcnt_depctr 0xfff
	v_fma_f64 v[222:223], -v[218:219], v[220:221], 1.0
	v_fma_f64 v[220:221], v[220:221], v[222:223], v[220:221]
	s_delay_alu instid0(VALU_DEP_1) | instskip(NEXT) | instid1(VALU_DEP_1)
	v_fma_f64 v[222:223], -v[218:219], v[220:221], 1.0
	v_fma_f64 v[220:221], v[220:221], v[222:223], v[220:221]
	v_div_scale_f64 v[222:223], vcc_lo, 1.0, v[216:217], 1.0
	s_delay_alu instid0(VALU_DEP_1) | instskip(NEXT) | instid1(VALU_DEP_1)
	v_mul_f64 v[224:225], v[222:223], v[220:221]
	v_fma_f64 v[218:219], -v[218:219], v[224:225], v[222:223]
	s_delay_alu instid0(VALU_DEP_1) | instskip(NEXT) | instid1(VALU_DEP_1)
	v_div_fmas_f64 v[218:219], v[218:219], v[220:221], v[224:225]
	v_div_fixup_f64 v[222:223], v[218:219], v[216:217], 1.0
                                        ; implicit-def: $vgpr216_vgpr217
	s_delay_alu instid0(VALU_DEP_1)
	v_mul_f64 v[212:213], v[212:213], v[222:223]
	v_xor_b32_e32 v223, 0x80000000, v223
.LBB115_392:
	s_and_not1_saveexec_b32 s3, s3
	s_cbranch_execz .LBB115_394
; %bb.393:
	v_div_scale_f64 v[212:213], null, v[216:217], v[216:217], v[218:219]
	v_div_scale_f64 v[224:225], vcc_lo, v[218:219], v[216:217], v[218:219]
	s_delay_alu instid0(VALU_DEP_2) | instskip(SKIP_2) | instid1(VALU_DEP_1)
	v_rcp_f64_e32 v[220:221], v[212:213]
	s_waitcnt_depctr 0xfff
	v_fma_f64 v[222:223], -v[212:213], v[220:221], 1.0
	v_fma_f64 v[220:221], v[220:221], v[222:223], v[220:221]
	s_delay_alu instid0(VALU_DEP_1) | instskip(NEXT) | instid1(VALU_DEP_1)
	v_fma_f64 v[222:223], -v[212:213], v[220:221], 1.0
	v_fma_f64 v[220:221], v[220:221], v[222:223], v[220:221]
	s_delay_alu instid0(VALU_DEP_1) | instskip(NEXT) | instid1(VALU_DEP_1)
	v_mul_f64 v[222:223], v[224:225], v[220:221]
	v_fma_f64 v[212:213], -v[212:213], v[222:223], v[224:225]
	s_delay_alu instid0(VALU_DEP_1) | instskip(NEXT) | instid1(VALU_DEP_1)
	v_div_fmas_f64 v[212:213], v[212:213], v[220:221], v[222:223]
	v_div_fixup_f64 v[220:221], v[212:213], v[216:217], v[218:219]
	s_delay_alu instid0(VALU_DEP_1) | instskip(NEXT) | instid1(VALU_DEP_1)
	v_fma_f64 v[212:213], v[218:219], v[220:221], v[216:217]
	v_div_scale_f64 v[216:217], null, v[212:213], v[212:213], 1.0
	s_delay_alu instid0(VALU_DEP_1) | instskip(SKIP_2) | instid1(VALU_DEP_1)
	v_rcp_f64_e32 v[218:219], v[216:217]
	s_waitcnt_depctr 0xfff
	v_fma_f64 v[222:223], -v[216:217], v[218:219], 1.0
	v_fma_f64 v[218:219], v[218:219], v[222:223], v[218:219]
	s_delay_alu instid0(VALU_DEP_1) | instskip(NEXT) | instid1(VALU_DEP_1)
	v_fma_f64 v[222:223], -v[216:217], v[218:219], 1.0
	v_fma_f64 v[218:219], v[218:219], v[222:223], v[218:219]
	v_div_scale_f64 v[222:223], vcc_lo, 1.0, v[212:213], 1.0
	s_delay_alu instid0(VALU_DEP_1) | instskip(NEXT) | instid1(VALU_DEP_1)
	v_mul_f64 v[224:225], v[222:223], v[218:219]
	v_fma_f64 v[216:217], -v[216:217], v[224:225], v[222:223]
	s_delay_alu instid0(VALU_DEP_1) | instskip(NEXT) | instid1(VALU_DEP_1)
	v_div_fmas_f64 v[216:217], v[216:217], v[218:219], v[224:225]
	v_div_fixup_f64 v[212:213], v[216:217], v[212:213], 1.0
	s_delay_alu instid0(VALU_DEP_1)
	v_mul_f64 v[222:223], v[220:221], -v[212:213]
.LBB115_394:
	s_or_b32 exec_lo, exec_lo, s3
	ds_store_2addr_b64 v209, v[212:213], v[222:223] offset1:1
.LBB115_395:
	s_or_b32 exec_lo, exec_lo, s4
	s_waitcnt lgkmcnt(0)
	s_barrier
	buffer_gl0_inv
	ds_load_2addr_b64 v[204:207], v209 offset1:1
	s_mov_b32 s3, exec_lo
	s_waitcnt lgkmcnt(0)
	scratch_store_b128 off, v[204:207], off offset:1252 ; 16-byte Folded Spill
	v_cmpx_lt_u32_e32 43, v208
	s_cbranch_execz .LBB115_397
; %bb.396:
	scratch_load_b128 v[204:207], off, off offset:1252 ; 16-byte Folded Reload
	ds_load_2addr_b64 v[218:221], v214 offset0:88 offset1:89
	s_waitcnt vmcnt(0)
	v_mul_f64 v[212:213], v[204:205], v[58:59]
	v_mul_f64 v[58:59], v[206:207], v[58:59]
	s_delay_alu instid0(VALU_DEP_2) | instskip(NEXT) | instid1(VALU_DEP_2)
	v_fma_f64 v[216:217], v[206:207], v[56:57], v[212:213]
	v_fma_f64 v[56:57], v[204:205], v[56:57], -v[58:59]
	s_waitcnt lgkmcnt(0)
	s_delay_alu instid0(VALU_DEP_2) | instskip(SKIP_1) | instid1(VALU_DEP_2)
	v_mul_f64 v[58:59], v[220:221], v[216:217]
	v_mul_f64 v[212:213], v[218:219], v[216:217]
	v_fma_f64 v[58:59], v[218:219], v[56:57], -v[58:59]
	s_delay_alu instid0(VALU_DEP_2)
	v_fma_f64 v[212:213], v[220:221], v[56:57], v[212:213]
	ds_load_2addr_b64 v[218:221], v214 offset0:90 offset1:91
	v_add_f64 v[52:53], v[52:53], -v[58:59]
	v_add_f64 v[54:55], v[54:55], -v[212:213]
	s_waitcnt lgkmcnt(0)
	v_mul_f64 v[58:59], v[220:221], v[216:217]
	v_mul_f64 v[212:213], v[218:219], v[216:217]
	s_delay_alu instid0(VALU_DEP_2) | instskip(NEXT) | instid1(VALU_DEP_2)
	v_fma_f64 v[58:59], v[218:219], v[56:57], -v[58:59]
	v_fma_f64 v[212:213], v[220:221], v[56:57], v[212:213]
	ds_load_2addr_b64 v[218:221], v214 offset0:92 offset1:93
	v_add_f64 v[48:49], v[48:49], -v[58:59]
	v_add_f64 v[50:51], v[50:51], -v[212:213]
	s_waitcnt lgkmcnt(0)
	v_mul_f64 v[58:59], v[220:221], v[216:217]
	v_mul_f64 v[212:213], v[218:219], v[216:217]
	s_delay_alu instid0(VALU_DEP_2) | instskip(NEXT) | instid1(VALU_DEP_2)
	v_fma_f64 v[58:59], v[218:219], v[56:57], -v[58:59]
	;; [unrolled: 9-line block ×13, first 2 shown]
	v_fma_f64 v[212:213], v[220:221], v[56:57], v[212:213]
	s_delay_alu instid0(VALU_DEP_2) | instskip(NEXT) | instid1(VALU_DEP_2)
	v_add_f64 v[0:1], v[0:1], -v[58:59]
	v_add_f64 v[2:3], v[2:3], -v[212:213]
	v_dual_mov_b32 v58, v216 :: v_dual_mov_b32 v59, v217
.LBB115_397:
	s_or_b32 exec_lo, exec_lo, s3
	s_delay_alu instid0(SALU_CYCLE_1)
	s_mov_b32 s4, exec_lo
	s_waitcnt_vscnt null, 0x0
	s_barrier
	buffer_gl0_inv
	v_cmpx_eq_u32_e32 44, v208
	s_cbranch_execz .LBB115_404
; %bb.398:
	ds_store_2addr_b64 v209, v[52:53], v[54:55] offset1:1
	ds_store_2addr_b64 v214, v[48:49], v[50:51] offset0:90 offset1:91
	ds_store_2addr_b64 v214, v[44:45], v[46:47] offset0:92 offset1:93
	;; [unrolled: 1-line block ×13, first 2 shown]
	ds_load_2addr_b64 v[216:219], v209 offset1:1
	s_waitcnt lgkmcnt(0)
	v_cmp_neq_f64_e32 vcc_lo, 0, v[216:217]
	v_cmp_neq_f64_e64 s3, 0, v[218:219]
	s_delay_alu instid0(VALU_DEP_1) | instskip(NEXT) | instid1(SALU_CYCLE_1)
	s_or_b32 s3, vcc_lo, s3
	s_and_b32 exec_lo, exec_lo, s3
	s_cbranch_execz .LBB115_404
; %bb.399:
	v_cmp_gt_f64_e32 vcc_lo, 0, v[216:217]
	v_xor_b32_e32 v212, 0x80000000, v217
	v_xor_b32_e32 v215, 0x80000000, v219
	s_delay_alu instid0(VALU_DEP_2) | instskip(SKIP_2) | instid1(VALU_DEP_4)
	v_cndmask_b32_e32 v213, v217, v212, vcc_lo
	v_cndmask_b32_e32 v212, v216, v216, vcc_lo
	v_cmp_gt_f64_e32 vcc_lo, 0, v[218:219]
	v_dual_cndmask_b32 v221, v219, v215 :: v_dual_cndmask_b32 v220, v218, v218
	s_delay_alu instid0(VALU_DEP_1) | instskip(SKIP_1) | instid1(SALU_CYCLE_1)
	v_cmp_ngt_f64_e32 vcc_lo, v[212:213], v[220:221]
                                        ; implicit-def: $vgpr212_vgpr213
	s_and_saveexec_b32 s3, vcc_lo
	s_xor_b32 s3, exec_lo, s3
                                        ; implicit-def: $vgpr220_vgpr221_vgpr222_vgpr223
	s_cbranch_execz .LBB115_401
; %bb.400:
	v_div_scale_f64 v[212:213], null, v[218:219], v[218:219], v[216:217]
	v_div_scale_f64 v[224:225], vcc_lo, v[216:217], v[218:219], v[216:217]
	s_delay_alu instid0(VALU_DEP_2) | instskip(SKIP_2) | instid1(VALU_DEP_1)
	v_rcp_f64_e32 v[220:221], v[212:213]
	s_waitcnt_depctr 0xfff
	v_fma_f64 v[222:223], -v[212:213], v[220:221], 1.0
	v_fma_f64 v[220:221], v[220:221], v[222:223], v[220:221]
	s_delay_alu instid0(VALU_DEP_1) | instskip(NEXT) | instid1(VALU_DEP_1)
	v_fma_f64 v[222:223], -v[212:213], v[220:221], 1.0
	v_fma_f64 v[220:221], v[220:221], v[222:223], v[220:221]
	s_delay_alu instid0(VALU_DEP_1) | instskip(NEXT) | instid1(VALU_DEP_1)
	v_mul_f64 v[222:223], v[224:225], v[220:221]
	v_fma_f64 v[212:213], -v[212:213], v[222:223], v[224:225]
	s_delay_alu instid0(VALU_DEP_1) | instskip(NEXT) | instid1(VALU_DEP_1)
	v_div_fmas_f64 v[212:213], v[212:213], v[220:221], v[222:223]
	v_div_fixup_f64 v[212:213], v[212:213], v[218:219], v[216:217]
	s_delay_alu instid0(VALU_DEP_1) | instskip(NEXT) | instid1(VALU_DEP_1)
	v_fma_f64 v[216:217], v[216:217], v[212:213], v[218:219]
	v_div_scale_f64 v[218:219], null, v[216:217], v[216:217], 1.0
	s_delay_alu instid0(VALU_DEP_1) | instskip(SKIP_2) | instid1(VALU_DEP_1)
	v_rcp_f64_e32 v[220:221], v[218:219]
	s_waitcnt_depctr 0xfff
	v_fma_f64 v[222:223], -v[218:219], v[220:221], 1.0
	v_fma_f64 v[220:221], v[220:221], v[222:223], v[220:221]
	s_delay_alu instid0(VALU_DEP_1) | instskip(NEXT) | instid1(VALU_DEP_1)
	v_fma_f64 v[222:223], -v[218:219], v[220:221], 1.0
	v_fma_f64 v[220:221], v[220:221], v[222:223], v[220:221]
	v_div_scale_f64 v[222:223], vcc_lo, 1.0, v[216:217], 1.0
	s_delay_alu instid0(VALU_DEP_1) | instskip(NEXT) | instid1(VALU_DEP_1)
	v_mul_f64 v[224:225], v[222:223], v[220:221]
	v_fma_f64 v[218:219], -v[218:219], v[224:225], v[222:223]
	s_delay_alu instid0(VALU_DEP_1) | instskip(NEXT) | instid1(VALU_DEP_1)
	v_div_fmas_f64 v[218:219], v[218:219], v[220:221], v[224:225]
	v_div_fixup_f64 v[222:223], v[218:219], v[216:217], 1.0
                                        ; implicit-def: $vgpr216_vgpr217
	s_delay_alu instid0(VALU_DEP_1)
	v_mul_f64 v[212:213], v[212:213], v[222:223]
	v_xor_b32_e32 v223, 0x80000000, v223
.LBB115_401:
	s_and_not1_saveexec_b32 s3, s3
	s_cbranch_execz .LBB115_403
; %bb.402:
	v_div_scale_f64 v[212:213], null, v[216:217], v[216:217], v[218:219]
	v_div_scale_f64 v[224:225], vcc_lo, v[218:219], v[216:217], v[218:219]
	s_delay_alu instid0(VALU_DEP_2) | instskip(SKIP_2) | instid1(VALU_DEP_1)
	v_rcp_f64_e32 v[220:221], v[212:213]
	s_waitcnt_depctr 0xfff
	v_fma_f64 v[222:223], -v[212:213], v[220:221], 1.0
	v_fma_f64 v[220:221], v[220:221], v[222:223], v[220:221]
	s_delay_alu instid0(VALU_DEP_1) | instskip(NEXT) | instid1(VALU_DEP_1)
	v_fma_f64 v[222:223], -v[212:213], v[220:221], 1.0
	v_fma_f64 v[220:221], v[220:221], v[222:223], v[220:221]
	s_delay_alu instid0(VALU_DEP_1) | instskip(NEXT) | instid1(VALU_DEP_1)
	v_mul_f64 v[222:223], v[224:225], v[220:221]
	v_fma_f64 v[212:213], -v[212:213], v[222:223], v[224:225]
	s_delay_alu instid0(VALU_DEP_1) | instskip(NEXT) | instid1(VALU_DEP_1)
	v_div_fmas_f64 v[212:213], v[212:213], v[220:221], v[222:223]
	v_div_fixup_f64 v[220:221], v[212:213], v[216:217], v[218:219]
	s_delay_alu instid0(VALU_DEP_1) | instskip(NEXT) | instid1(VALU_DEP_1)
	v_fma_f64 v[212:213], v[218:219], v[220:221], v[216:217]
	v_div_scale_f64 v[216:217], null, v[212:213], v[212:213], 1.0
	s_delay_alu instid0(VALU_DEP_1) | instskip(SKIP_2) | instid1(VALU_DEP_1)
	v_rcp_f64_e32 v[218:219], v[216:217]
	s_waitcnt_depctr 0xfff
	v_fma_f64 v[222:223], -v[216:217], v[218:219], 1.0
	v_fma_f64 v[218:219], v[218:219], v[222:223], v[218:219]
	s_delay_alu instid0(VALU_DEP_1) | instskip(NEXT) | instid1(VALU_DEP_1)
	v_fma_f64 v[222:223], -v[216:217], v[218:219], 1.0
	v_fma_f64 v[218:219], v[218:219], v[222:223], v[218:219]
	v_div_scale_f64 v[222:223], vcc_lo, 1.0, v[212:213], 1.0
	s_delay_alu instid0(VALU_DEP_1) | instskip(NEXT) | instid1(VALU_DEP_1)
	v_mul_f64 v[224:225], v[222:223], v[218:219]
	v_fma_f64 v[216:217], -v[216:217], v[224:225], v[222:223]
	s_delay_alu instid0(VALU_DEP_1) | instskip(NEXT) | instid1(VALU_DEP_1)
	v_div_fmas_f64 v[216:217], v[216:217], v[218:219], v[224:225]
	v_div_fixup_f64 v[212:213], v[216:217], v[212:213], 1.0
	s_delay_alu instid0(VALU_DEP_1)
	v_mul_f64 v[222:223], v[220:221], -v[212:213]
.LBB115_403:
	s_or_b32 exec_lo, exec_lo, s3
	ds_store_2addr_b64 v209, v[212:213], v[222:223] offset1:1
.LBB115_404:
	s_or_b32 exec_lo, exec_lo, s4
	s_waitcnt lgkmcnt(0)
	s_barrier
	buffer_gl0_inv
	ds_load_2addr_b64 v[204:207], v209 offset1:1
	s_mov_b32 s3, exec_lo
	s_waitcnt lgkmcnt(0)
	scratch_store_b128 off, v[204:207], off offset:1268 ; 16-byte Folded Spill
	v_cmpx_lt_u32_e32 44, v208
	s_cbranch_execz .LBB115_406
; %bb.405:
	scratch_load_b128 v[204:207], off, off offset:1268 ; 16-byte Folded Reload
	ds_load_2addr_b64 v[218:221], v214 offset0:90 offset1:91
	s_waitcnt vmcnt(0)
	v_mul_f64 v[212:213], v[204:205], v[54:55]
	v_mul_f64 v[54:55], v[206:207], v[54:55]
	s_delay_alu instid0(VALU_DEP_2) | instskip(NEXT) | instid1(VALU_DEP_2)
	v_fma_f64 v[216:217], v[206:207], v[52:53], v[212:213]
	v_fma_f64 v[52:53], v[204:205], v[52:53], -v[54:55]
	s_waitcnt lgkmcnt(0)
	s_delay_alu instid0(VALU_DEP_2) | instskip(SKIP_1) | instid1(VALU_DEP_2)
	v_mul_f64 v[54:55], v[220:221], v[216:217]
	v_mul_f64 v[212:213], v[218:219], v[216:217]
	v_fma_f64 v[54:55], v[218:219], v[52:53], -v[54:55]
	s_delay_alu instid0(VALU_DEP_2)
	v_fma_f64 v[212:213], v[220:221], v[52:53], v[212:213]
	ds_load_2addr_b64 v[218:221], v214 offset0:92 offset1:93
	v_add_f64 v[48:49], v[48:49], -v[54:55]
	v_add_f64 v[50:51], v[50:51], -v[212:213]
	s_waitcnt lgkmcnt(0)
	v_mul_f64 v[54:55], v[220:221], v[216:217]
	v_mul_f64 v[212:213], v[218:219], v[216:217]
	s_delay_alu instid0(VALU_DEP_2) | instskip(NEXT) | instid1(VALU_DEP_2)
	v_fma_f64 v[54:55], v[218:219], v[52:53], -v[54:55]
	v_fma_f64 v[212:213], v[220:221], v[52:53], v[212:213]
	ds_load_2addr_b64 v[218:221], v214 offset0:94 offset1:95
	v_add_f64 v[44:45], v[44:45], -v[54:55]
	v_add_f64 v[46:47], v[46:47], -v[212:213]
	s_waitcnt lgkmcnt(0)
	v_mul_f64 v[54:55], v[220:221], v[216:217]
	v_mul_f64 v[212:213], v[218:219], v[216:217]
	s_delay_alu instid0(VALU_DEP_2) | instskip(NEXT) | instid1(VALU_DEP_2)
	v_fma_f64 v[54:55], v[218:219], v[52:53], -v[54:55]
	;; [unrolled: 9-line block ×12, first 2 shown]
	v_fma_f64 v[212:213], v[220:221], v[52:53], v[212:213]
	s_delay_alu instid0(VALU_DEP_2) | instskip(NEXT) | instid1(VALU_DEP_2)
	v_add_f64 v[0:1], v[0:1], -v[54:55]
	v_add_f64 v[2:3], v[2:3], -v[212:213]
	v_dual_mov_b32 v54, v216 :: v_dual_mov_b32 v55, v217
.LBB115_406:
	s_or_b32 exec_lo, exec_lo, s3
	s_delay_alu instid0(SALU_CYCLE_1)
	s_mov_b32 s4, exec_lo
	s_waitcnt_vscnt null, 0x0
	s_barrier
	buffer_gl0_inv
	v_cmpx_eq_u32_e32 45, v208
	s_cbranch_execz .LBB115_413
; %bb.407:
	ds_store_2addr_b64 v209, v[48:49], v[50:51] offset1:1
	ds_store_2addr_b64 v214, v[44:45], v[46:47] offset0:92 offset1:93
	ds_store_2addr_b64 v214, v[40:41], v[42:43] offset0:94 offset1:95
	;; [unrolled: 1-line block ×12, first 2 shown]
	ds_load_2addr_b64 v[216:219], v209 offset1:1
	s_waitcnt lgkmcnt(0)
	v_cmp_neq_f64_e32 vcc_lo, 0, v[216:217]
	v_cmp_neq_f64_e64 s3, 0, v[218:219]
	s_delay_alu instid0(VALU_DEP_1) | instskip(NEXT) | instid1(SALU_CYCLE_1)
	s_or_b32 s3, vcc_lo, s3
	s_and_b32 exec_lo, exec_lo, s3
	s_cbranch_execz .LBB115_413
; %bb.408:
	v_cmp_gt_f64_e32 vcc_lo, 0, v[216:217]
	v_xor_b32_e32 v212, 0x80000000, v217
	v_xor_b32_e32 v215, 0x80000000, v219
	s_delay_alu instid0(VALU_DEP_2) | instskip(SKIP_2) | instid1(VALU_DEP_4)
	v_cndmask_b32_e32 v213, v217, v212, vcc_lo
	v_cndmask_b32_e32 v212, v216, v216, vcc_lo
	v_cmp_gt_f64_e32 vcc_lo, 0, v[218:219]
	v_dual_cndmask_b32 v221, v219, v215 :: v_dual_cndmask_b32 v220, v218, v218
	s_delay_alu instid0(VALU_DEP_1) | instskip(SKIP_1) | instid1(SALU_CYCLE_1)
	v_cmp_ngt_f64_e32 vcc_lo, v[212:213], v[220:221]
                                        ; implicit-def: $vgpr212_vgpr213
	s_and_saveexec_b32 s3, vcc_lo
	s_xor_b32 s3, exec_lo, s3
                                        ; implicit-def: $vgpr220_vgpr221_vgpr222_vgpr223
	s_cbranch_execz .LBB115_410
; %bb.409:
	v_div_scale_f64 v[212:213], null, v[218:219], v[218:219], v[216:217]
	v_div_scale_f64 v[224:225], vcc_lo, v[216:217], v[218:219], v[216:217]
	s_delay_alu instid0(VALU_DEP_2) | instskip(SKIP_2) | instid1(VALU_DEP_1)
	v_rcp_f64_e32 v[220:221], v[212:213]
	s_waitcnt_depctr 0xfff
	v_fma_f64 v[222:223], -v[212:213], v[220:221], 1.0
	v_fma_f64 v[220:221], v[220:221], v[222:223], v[220:221]
	s_delay_alu instid0(VALU_DEP_1) | instskip(NEXT) | instid1(VALU_DEP_1)
	v_fma_f64 v[222:223], -v[212:213], v[220:221], 1.0
	v_fma_f64 v[220:221], v[220:221], v[222:223], v[220:221]
	s_delay_alu instid0(VALU_DEP_1) | instskip(NEXT) | instid1(VALU_DEP_1)
	v_mul_f64 v[222:223], v[224:225], v[220:221]
	v_fma_f64 v[212:213], -v[212:213], v[222:223], v[224:225]
	s_delay_alu instid0(VALU_DEP_1) | instskip(NEXT) | instid1(VALU_DEP_1)
	v_div_fmas_f64 v[212:213], v[212:213], v[220:221], v[222:223]
	v_div_fixup_f64 v[212:213], v[212:213], v[218:219], v[216:217]
	s_delay_alu instid0(VALU_DEP_1) | instskip(NEXT) | instid1(VALU_DEP_1)
	v_fma_f64 v[216:217], v[216:217], v[212:213], v[218:219]
	v_div_scale_f64 v[218:219], null, v[216:217], v[216:217], 1.0
	s_delay_alu instid0(VALU_DEP_1) | instskip(SKIP_2) | instid1(VALU_DEP_1)
	v_rcp_f64_e32 v[220:221], v[218:219]
	s_waitcnt_depctr 0xfff
	v_fma_f64 v[222:223], -v[218:219], v[220:221], 1.0
	v_fma_f64 v[220:221], v[220:221], v[222:223], v[220:221]
	s_delay_alu instid0(VALU_DEP_1) | instskip(NEXT) | instid1(VALU_DEP_1)
	v_fma_f64 v[222:223], -v[218:219], v[220:221], 1.0
	v_fma_f64 v[220:221], v[220:221], v[222:223], v[220:221]
	v_div_scale_f64 v[222:223], vcc_lo, 1.0, v[216:217], 1.0
	s_delay_alu instid0(VALU_DEP_1) | instskip(NEXT) | instid1(VALU_DEP_1)
	v_mul_f64 v[224:225], v[222:223], v[220:221]
	v_fma_f64 v[218:219], -v[218:219], v[224:225], v[222:223]
	s_delay_alu instid0(VALU_DEP_1) | instskip(NEXT) | instid1(VALU_DEP_1)
	v_div_fmas_f64 v[218:219], v[218:219], v[220:221], v[224:225]
	v_div_fixup_f64 v[222:223], v[218:219], v[216:217], 1.0
                                        ; implicit-def: $vgpr216_vgpr217
	s_delay_alu instid0(VALU_DEP_1)
	v_mul_f64 v[212:213], v[212:213], v[222:223]
	v_xor_b32_e32 v223, 0x80000000, v223
.LBB115_410:
	s_and_not1_saveexec_b32 s3, s3
	s_cbranch_execz .LBB115_412
; %bb.411:
	v_div_scale_f64 v[212:213], null, v[216:217], v[216:217], v[218:219]
	v_div_scale_f64 v[224:225], vcc_lo, v[218:219], v[216:217], v[218:219]
	s_delay_alu instid0(VALU_DEP_2) | instskip(SKIP_2) | instid1(VALU_DEP_1)
	v_rcp_f64_e32 v[220:221], v[212:213]
	s_waitcnt_depctr 0xfff
	v_fma_f64 v[222:223], -v[212:213], v[220:221], 1.0
	v_fma_f64 v[220:221], v[220:221], v[222:223], v[220:221]
	s_delay_alu instid0(VALU_DEP_1) | instskip(NEXT) | instid1(VALU_DEP_1)
	v_fma_f64 v[222:223], -v[212:213], v[220:221], 1.0
	v_fma_f64 v[220:221], v[220:221], v[222:223], v[220:221]
	s_delay_alu instid0(VALU_DEP_1) | instskip(NEXT) | instid1(VALU_DEP_1)
	v_mul_f64 v[222:223], v[224:225], v[220:221]
	v_fma_f64 v[212:213], -v[212:213], v[222:223], v[224:225]
	s_delay_alu instid0(VALU_DEP_1) | instskip(NEXT) | instid1(VALU_DEP_1)
	v_div_fmas_f64 v[212:213], v[212:213], v[220:221], v[222:223]
	v_div_fixup_f64 v[220:221], v[212:213], v[216:217], v[218:219]
	s_delay_alu instid0(VALU_DEP_1) | instskip(NEXT) | instid1(VALU_DEP_1)
	v_fma_f64 v[212:213], v[218:219], v[220:221], v[216:217]
	v_div_scale_f64 v[216:217], null, v[212:213], v[212:213], 1.0
	s_delay_alu instid0(VALU_DEP_1) | instskip(SKIP_2) | instid1(VALU_DEP_1)
	v_rcp_f64_e32 v[218:219], v[216:217]
	s_waitcnt_depctr 0xfff
	v_fma_f64 v[222:223], -v[216:217], v[218:219], 1.0
	v_fma_f64 v[218:219], v[218:219], v[222:223], v[218:219]
	s_delay_alu instid0(VALU_DEP_1) | instskip(NEXT) | instid1(VALU_DEP_1)
	v_fma_f64 v[222:223], -v[216:217], v[218:219], 1.0
	v_fma_f64 v[218:219], v[218:219], v[222:223], v[218:219]
	v_div_scale_f64 v[222:223], vcc_lo, 1.0, v[212:213], 1.0
	s_delay_alu instid0(VALU_DEP_1) | instskip(NEXT) | instid1(VALU_DEP_1)
	v_mul_f64 v[224:225], v[222:223], v[218:219]
	v_fma_f64 v[216:217], -v[216:217], v[224:225], v[222:223]
	s_delay_alu instid0(VALU_DEP_1) | instskip(NEXT) | instid1(VALU_DEP_1)
	v_div_fmas_f64 v[216:217], v[216:217], v[218:219], v[224:225]
	v_div_fixup_f64 v[212:213], v[216:217], v[212:213], 1.0
	s_delay_alu instid0(VALU_DEP_1)
	v_mul_f64 v[222:223], v[220:221], -v[212:213]
.LBB115_412:
	s_or_b32 exec_lo, exec_lo, s3
	ds_store_2addr_b64 v209, v[212:213], v[222:223] offset1:1
.LBB115_413:
	s_or_b32 exec_lo, exec_lo, s4
	s_waitcnt lgkmcnt(0)
	s_barrier
	buffer_gl0_inv
	ds_load_2addr_b64 v[204:207], v209 offset1:1
	s_mov_b32 s3, exec_lo
	s_waitcnt lgkmcnt(0)
	scratch_store_b128 off, v[204:207], off offset:1284 ; 16-byte Folded Spill
	v_cmpx_lt_u32_e32 45, v208
	s_cbranch_execz .LBB115_415
; %bb.414:
	scratch_load_b128 v[204:207], off, off offset:1284 ; 16-byte Folded Reload
	ds_load_2addr_b64 v[218:221], v214 offset0:92 offset1:93
	s_waitcnt vmcnt(0)
	v_mul_f64 v[212:213], v[204:205], v[50:51]
	v_mul_f64 v[50:51], v[206:207], v[50:51]
	s_delay_alu instid0(VALU_DEP_2) | instskip(NEXT) | instid1(VALU_DEP_2)
	v_fma_f64 v[216:217], v[206:207], v[48:49], v[212:213]
	v_fma_f64 v[48:49], v[204:205], v[48:49], -v[50:51]
	s_waitcnt lgkmcnt(0)
	s_delay_alu instid0(VALU_DEP_2) | instskip(SKIP_1) | instid1(VALU_DEP_2)
	v_mul_f64 v[50:51], v[220:221], v[216:217]
	v_mul_f64 v[212:213], v[218:219], v[216:217]
	v_fma_f64 v[50:51], v[218:219], v[48:49], -v[50:51]
	s_delay_alu instid0(VALU_DEP_2)
	v_fma_f64 v[212:213], v[220:221], v[48:49], v[212:213]
	ds_load_2addr_b64 v[218:221], v214 offset0:94 offset1:95
	v_add_f64 v[44:45], v[44:45], -v[50:51]
	v_add_f64 v[46:47], v[46:47], -v[212:213]
	s_waitcnt lgkmcnt(0)
	v_mul_f64 v[50:51], v[220:221], v[216:217]
	v_mul_f64 v[212:213], v[218:219], v[216:217]
	s_delay_alu instid0(VALU_DEP_2) | instskip(NEXT) | instid1(VALU_DEP_2)
	v_fma_f64 v[50:51], v[218:219], v[48:49], -v[50:51]
	v_fma_f64 v[212:213], v[220:221], v[48:49], v[212:213]
	ds_load_2addr_b64 v[218:221], v214 offset0:96 offset1:97
	v_add_f64 v[40:41], v[40:41], -v[50:51]
	v_add_f64 v[42:43], v[42:43], -v[212:213]
	s_waitcnt lgkmcnt(0)
	v_mul_f64 v[50:51], v[220:221], v[216:217]
	v_mul_f64 v[212:213], v[218:219], v[216:217]
	s_delay_alu instid0(VALU_DEP_2) | instskip(NEXT) | instid1(VALU_DEP_2)
	v_fma_f64 v[50:51], v[218:219], v[48:49], -v[50:51]
	;; [unrolled: 9-line block ×11, first 2 shown]
	v_fma_f64 v[212:213], v[220:221], v[48:49], v[212:213]
	s_delay_alu instid0(VALU_DEP_2) | instskip(NEXT) | instid1(VALU_DEP_2)
	v_add_f64 v[0:1], v[0:1], -v[50:51]
	v_add_f64 v[2:3], v[2:3], -v[212:213]
	v_dual_mov_b32 v50, v216 :: v_dual_mov_b32 v51, v217
.LBB115_415:
	s_or_b32 exec_lo, exec_lo, s3
	s_delay_alu instid0(SALU_CYCLE_1)
	s_mov_b32 s4, exec_lo
	s_waitcnt_vscnt null, 0x0
	s_barrier
	buffer_gl0_inv
	v_cmpx_eq_u32_e32 46, v208
	s_cbranch_execz .LBB115_422
; %bb.416:
	ds_store_2addr_b64 v209, v[44:45], v[46:47] offset1:1
	ds_store_2addr_b64 v214, v[40:41], v[42:43] offset0:94 offset1:95
	ds_store_2addr_b64 v214, v[36:37], v[38:39] offset0:96 offset1:97
	;; [unrolled: 1-line block ×11, first 2 shown]
	ds_load_2addr_b64 v[216:219], v209 offset1:1
	s_waitcnt lgkmcnt(0)
	v_cmp_neq_f64_e32 vcc_lo, 0, v[216:217]
	v_cmp_neq_f64_e64 s3, 0, v[218:219]
	s_delay_alu instid0(VALU_DEP_1) | instskip(NEXT) | instid1(SALU_CYCLE_1)
	s_or_b32 s3, vcc_lo, s3
	s_and_b32 exec_lo, exec_lo, s3
	s_cbranch_execz .LBB115_422
; %bb.417:
	v_cmp_gt_f64_e32 vcc_lo, 0, v[216:217]
	v_xor_b32_e32 v212, 0x80000000, v217
	v_xor_b32_e32 v215, 0x80000000, v219
	s_delay_alu instid0(VALU_DEP_2) | instskip(SKIP_2) | instid1(VALU_DEP_4)
	v_cndmask_b32_e32 v213, v217, v212, vcc_lo
	v_cndmask_b32_e32 v212, v216, v216, vcc_lo
	v_cmp_gt_f64_e32 vcc_lo, 0, v[218:219]
	v_dual_cndmask_b32 v221, v219, v215 :: v_dual_cndmask_b32 v220, v218, v218
	s_delay_alu instid0(VALU_DEP_1) | instskip(SKIP_1) | instid1(SALU_CYCLE_1)
	v_cmp_ngt_f64_e32 vcc_lo, v[212:213], v[220:221]
                                        ; implicit-def: $vgpr212_vgpr213
	s_and_saveexec_b32 s3, vcc_lo
	s_xor_b32 s3, exec_lo, s3
                                        ; implicit-def: $vgpr220_vgpr221_vgpr222_vgpr223
	s_cbranch_execz .LBB115_419
; %bb.418:
	v_div_scale_f64 v[212:213], null, v[218:219], v[218:219], v[216:217]
	v_div_scale_f64 v[224:225], vcc_lo, v[216:217], v[218:219], v[216:217]
	s_delay_alu instid0(VALU_DEP_2) | instskip(SKIP_2) | instid1(VALU_DEP_1)
	v_rcp_f64_e32 v[220:221], v[212:213]
	s_waitcnt_depctr 0xfff
	v_fma_f64 v[222:223], -v[212:213], v[220:221], 1.0
	v_fma_f64 v[220:221], v[220:221], v[222:223], v[220:221]
	s_delay_alu instid0(VALU_DEP_1) | instskip(NEXT) | instid1(VALU_DEP_1)
	v_fma_f64 v[222:223], -v[212:213], v[220:221], 1.0
	v_fma_f64 v[220:221], v[220:221], v[222:223], v[220:221]
	s_delay_alu instid0(VALU_DEP_1) | instskip(NEXT) | instid1(VALU_DEP_1)
	v_mul_f64 v[222:223], v[224:225], v[220:221]
	v_fma_f64 v[212:213], -v[212:213], v[222:223], v[224:225]
	s_delay_alu instid0(VALU_DEP_1) | instskip(NEXT) | instid1(VALU_DEP_1)
	v_div_fmas_f64 v[212:213], v[212:213], v[220:221], v[222:223]
	v_div_fixup_f64 v[212:213], v[212:213], v[218:219], v[216:217]
	s_delay_alu instid0(VALU_DEP_1) | instskip(NEXT) | instid1(VALU_DEP_1)
	v_fma_f64 v[216:217], v[216:217], v[212:213], v[218:219]
	v_div_scale_f64 v[218:219], null, v[216:217], v[216:217], 1.0
	s_delay_alu instid0(VALU_DEP_1) | instskip(SKIP_2) | instid1(VALU_DEP_1)
	v_rcp_f64_e32 v[220:221], v[218:219]
	s_waitcnt_depctr 0xfff
	v_fma_f64 v[222:223], -v[218:219], v[220:221], 1.0
	v_fma_f64 v[220:221], v[220:221], v[222:223], v[220:221]
	s_delay_alu instid0(VALU_DEP_1) | instskip(NEXT) | instid1(VALU_DEP_1)
	v_fma_f64 v[222:223], -v[218:219], v[220:221], 1.0
	v_fma_f64 v[220:221], v[220:221], v[222:223], v[220:221]
	v_div_scale_f64 v[222:223], vcc_lo, 1.0, v[216:217], 1.0
	s_delay_alu instid0(VALU_DEP_1) | instskip(NEXT) | instid1(VALU_DEP_1)
	v_mul_f64 v[224:225], v[222:223], v[220:221]
	v_fma_f64 v[218:219], -v[218:219], v[224:225], v[222:223]
	s_delay_alu instid0(VALU_DEP_1) | instskip(NEXT) | instid1(VALU_DEP_1)
	v_div_fmas_f64 v[218:219], v[218:219], v[220:221], v[224:225]
	v_div_fixup_f64 v[222:223], v[218:219], v[216:217], 1.0
                                        ; implicit-def: $vgpr216_vgpr217
	s_delay_alu instid0(VALU_DEP_1)
	v_mul_f64 v[212:213], v[212:213], v[222:223]
	v_xor_b32_e32 v223, 0x80000000, v223
.LBB115_419:
	s_and_not1_saveexec_b32 s3, s3
	s_cbranch_execz .LBB115_421
; %bb.420:
	v_div_scale_f64 v[212:213], null, v[216:217], v[216:217], v[218:219]
	v_div_scale_f64 v[224:225], vcc_lo, v[218:219], v[216:217], v[218:219]
	s_delay_alu instid0(VALU_DEP_2) | instskip(SKIP_2) | instid1(VALU_DEP_1)
	v_rcp_f64_e32 v[220:221], v[212:213]
	s_waitcnt_depctr 0xfff
	v_fma_f64 v[222:223], -v[212:213], v[220:221], 1.0
	v_fma_f64 v[220:221], v[220:221], v[222:223], v[220:221]
	s_delay_alu instid0(VALU_DEP_1) | instskip(NEXT) | instid1(VALU_DEP_1)
	v_fma_f64 v[222:223], -v[212:213], v[220:221], 1.0
	v_fma_f64 v[220:221], v[220:221], v[222:223], v[220:221]
	s_delay_alu instid0(VALU_DEP_1) | instskip(NEXT) | instid1(VALU_DEP_1)
	v_mul_f64 v[222:223], v[224:225], v[220:221]
	v_fma_f64 v[212:213], -v[212:213], v[222:223], v[224:225]
	s_delay_alu instid0(VALU_DEP_1) | instskip(NEXT) | instid1(VALU_DEP_1)
	v_div_fmas_f64 v[212:213], v[212:213], v[220:221], v[222:223]
	v_div_fixup_f64 v[220:221], v[212:213], v[216:217], v[218:219]
	s_delay_alu instid0(VALU_DEP_1) | instskip(NEXT) | instid1(VALU_DEP_1)
	v_fma_f64 v[212:213], v[218:219], v[220:221], v[216:217]
	v_div_scale_f64 v[216:217], null, v[212:213], v[212:213], 1.0
	s_delay_alu instid0(VALU_DEP_1) | instskip(SKIP_2) | instid1(VALU_DEP_1)
	v_rcp_f64_e32 v[218:219], v[216:217]
	s_waitcnt_depctr 0xfff
	v_fma_f64 v[222:223], -v[216:217], v[218:219], 1.0
	v_fma_f64 v[218:219], v[218:219], v[222:223], v[218:219]
	s_delay_alu instid0(VALU_DEP_1) | instskip(NEXT) | instid1(VALU_DEP_1)
	v_fma_f64 v[222:223], -v[216:217], v[218:219], 1.0
	v_fma_f64 v[218:219], v[218:219], v[222:223], v[218:219]
	v_div_scale_f64 v[222:223], vcc_lo, 1.0, v[212:213], 1.0
	s_delay_alu instid0(VALU_DEP_1) | instskip(NEXT) | instid1(VALU_DEP_1)
	v_mul_f64 v[224:225], v[222:223], v[218:219]
	v_fma_f64 v[216:217], -v[216:217], v[224:225], v[222:223]
	s_delay_alu instid0(VALU_DEP_1) | instskip(NEXT) | instid1(VALU_DEP_1)
	v_div_fmas_f64 v[216:217], v[216:217], v[218:219], v[224:225]
	v_div_fixup_f64 v[212:213], v[216:217], v[212:213], 1.0
	s_delay_alu instid0(VALU_DEP_1)
	v_mul_f64 v[222:223], v[220:221], -v[212:213]
.LBB115_421:
	s_or_b32 exec_lo, exec_lo, s3
	ds_store_2addr_b64 v209, v[212:213], v[222:223] offset1:1
.LBB115_422:
	s_or_b32 exec_lo, exec_lo, s4
	s_waitcnt lgkmcnt(0)
	s_barrier
	buffer_gl0_inv
	ds_load_2addr_b64 v[204:207], v209 offset1:1
	s_mov_b32 s3, exec_lo
	s_waitcnt lgkmcnt(0)
	scratch_store_b128 off, v[204:207], off offset:1300 ; 16-byte Folded Spill
	v_cmpx_lt_u32_e32 46, v208
	s_cbranch_execz .LBB115_424
; %bb.423:
	scratch_load_b128 v[204:207], off, off offset:1300 ; 16-byte Folded Reload
	ds_load_2addr_b64 v[218:221], v214 offset0:94 offset1:95
	s_waitcnt vmcnt(0)
	v_mul_f64 v[212:213], v[204:205], v[46:47]
	v_mul_f64 v[46:47], v[206:207], v[46:47]
	s_delay_alu instid0(VALU_DEP_2) | instskip(NEXT) | instid1(VALU_DEP_2)
	v_fma_f64 v[216:217], v[206:207], v[44:45], v[212:213]
	v_fma_f64 v[44:45], v[204:205], v[44:45], -v[46:47]
	s_waitcnt lgkmcnt(0)
	s_delay_alu instid0(VALU_DEP_2) | instskip(SKIP_1) | instid1(VALU_DEP_2)
	v_mul_f64 v[46:47], v[220:221], v[216:217]
	v_mul_f64 v[212:213], v[218:219], v[216:217]
	v_fma_f64 v[46:47], v[218:219], v[44:45], -v[46:47]
	s_delay_alu instid0(VALU_DEP_2)
	v_fma_f64 v[212:213], v[220:221], v[44:45], v[212:213]
	ds_load_2addr_b64 v[218:221], v214 offset0:96 offset1:97
	v_add_f64 v[40:41], v[40:41], -v[46:47]
	v_add_f64 v[42:43], v[42:43], -v[212:213]
	s_waitcnt lgkmcnt(0)
	v_mul_f64 v[46:47], v[220:221], v[216:217]
	v_mul_f64 v[212:213], v[218:219], v[216:217]
	s_delay_alu instid0(VALU_DEP_2) | instskip(NEXT) | instid1(VALU_DEP_2)
	v_fma_f64 v[46:47], v[218:219], v[44:45], -v[46:47]
	v_fma_f64 v[212:213], v[220:221], v[44:45], v[212:213]
	ds_load_2addr_b64 v[218:221], v214 offset0:98 offset1:99
	v_add_f64 v[36:37], v[36:37], -v[46:47]
	v_add_f64 v[38:39], v[38:39], -v[212:213]
	s_waitcnt lgkmcnt(0)
	v_mul_f64 v[46:47], v[220:221], v[216:217]
	v_mul_f64 v[212:213], v[218:219], v[216:217]
	s_delay_alu instid0(VALU_DEP_2) | instskip(NEXT) | instid1(VALU_DEP_2)
	v_fma_f64 v[46:47], v[218:219], v[44:45], -v[46:47]
	;; [unrolled: 9-line block ×10, first 2 shown]
	v_fma_f64 v[212:213], v[220:221], v[44:45], v[212:213]
	s_delay_alu instid0(VALU_DEP_2) | instskip(NEXT) | instid1(VALU_DEP_2)
	v_add_f64 v[0:1], v[0:1], -v[46:47]
	v_add_f64 v[2:3], v[2:3], -v[212:213]
	v_dual_mov_b32 v46, v216 :: v_dual_mov_b32 v47, v217
.LBB115_424:
	s_or_b32 exec_lo, exec_lo, s3
	s_delay_alu instid0(SALU_CYCLE_1)
	s_mov_b32 s4, exec_lo
	s_waitcnt_vscnt null, 0x0
	s_barrier
	buffer_gl0_inv
	v_cmpx_eq_u32_e32 47, v208
	s_cbranch_execz .LBB115_431
; %bb.425:
	ds_store_2addr_b64 v209, v[40:41], v[42:43] offset1:1
	ds_store_2addr_b64 v214, v[36:37], v[38:39] offset0:96 offset1:97
	ds_store_2addr_b64 v214, v[32:33], v[34:35] offset0:98 offset1:99
	;; [unrolled: 1-line block ×10, first 2 shown]
	ds_load_2addr_b64 v[216:219], v209 offset1:1
	s_waitcnt lgkmcnt(0)
	v_cmp_neq_f64_e32 vcc_lo, 0, v[216:217]
	v_cmp_neq_f64_e64 s3, 0, v[218:219]
	s_delay_alu instid0(VALU_DEP_1) | instskip(NEXT) | instid1(SALU_CYCLE_1)
	s_or_b32 s3, vcc_lo, s3
	s_and_b32 exec_lo, exec_lo, s3
	s_cbranch_execz .LBB115_431
; %bb.426:
	v_cmp_gt_f64_e32 vcc_lo, 0, v[216:217]
	v_xor_b32_e32 v212, 0x80000000, v217
	v_xor_b32_e32 v215, 0x80000000, v219
	s_delay_alu instid0(VALU_DEP_2) | instskip(SKIP_2) | instid1(VALU_DEP_4)
	v_cndmask_b32_e32 v213, v217, v212, vcc_lo
	v_cndmask_b32_e32 v212, v216, v216, vcc_lo
	v_cmp_gt_f64_e32 vcc_lo, 0, v[218:219]
	v_dual_cndmask_b32 v221, v219, v215 :: v_dual_cndmask_b32 v220, v218, v218
	s_delay_alu instid0(VALU_DEP_1) | instskip(SKIP_1) | instid1(SALU_CYCLE_1)
	v_cmp_ngt_f64_e32 vcc_lo, v[212:213], v[220:221]
                                        ; implicit-def: $vgpr212_vgpr213
	s_and_saveexec_b32 s3, vcc_lo
	s_xor_b32 s3, exec_lo, s3
                                        ; implicit-def: $vgpr220_vgpr221_vgpr222_vgpr223
	s_cbranch_execz .LBB115_428
; %bb.427:
	v_div_scale_f64 v[212:213], null, v[218:219], v[218:219], v[216:217]
	v_div_scale_f64 v[224:225], vcc_lo, v[216:217], v[218:219], v[216:217]
	s_delay_alu instid0(VALU_DEP_2) | instskip(SKIP_2) | instid1(VALU_DEP_1)
	v_rcp_f64_e32 v[220:221], v[212:213]
	s_waitcnt_depctr 0xfff
	v_fma_f64 v[222:223], -v[212:213], v[220:221], 1.0
	v_fma_f64 v[220:221], v[220:221], v[222:223], v[220:221]
	s_delay_alu instid0(VALU_DEP_1) | instskip(NEXT) | instid1(VALU_DEP_1)
	v_fma_f64 v[222:223], -v[212:213], v[220:221], 1.0
	v_fma_f64 v[220:221], v[220:221], v[222:223], v[220:221]
	s_delay_alu instid0(VALU_DEP_1) | instskip(NEXT) | instid1(VALU_DEP_1)
	v_mul_f64 v[222:223], v[224:225], v[220:221]
	v_fma_f64 v[212:213], -v[212:213], v[222:223], v[224:225]
	s_delay_alu instid0(VALU_DEP_1) | instskip(NEXT) | instid1(VALU_DEP_1)
	v_div_fmas_f64 v[212:213], v[212:213], v[220:221], v[222:223]
	v_div_fixup_f64 v[212:213], v[212:213], v[218:219], v[216:217]
	s_delay_alu instid0(VALU_DEP_1) | instskip(NEXT) | instid1(VALU_DEP_1)
	v_fma_f64 v[216:217], v[216:217], v[212:213], v[218:219]
	v_div_scale_f64 v[218:219], null, v[216:217], v[216:217], 1.0
	s_delay_alu instid0(VALU_DEP_1) | instskip(SKIP_2) | instid1(VALU_DEP_1)
	v_rcp_f64_e32 v[220:221], v[218:219]
	s_waitcnt_depctr 0xfff
	v_fma_f64 v[222:223], -v[218:219], v[220:221], 1.0
	v_fma_f64 v[220:221], v[220:221], v[222:223], v[220:221]
	s_delay_alu instid0(VALU_DEP_1) | instskip(NEXT) | instid1(VALU_DEP_1)
	v_fma_f64 v[222:223], -v[218:219], v[220:221], 1.0
	v_fma_f64 v[220:221], v[220:221], v[222:223], v[220:221]
	v_div_scale_f64 v[222:223], vcc_lo, 1.0, v[216:217], 1.0
	s_delay_alu instid0(VALU_DEP_1) | instskip(NEXT) | instid1(VALU_DEP_1)
	v_mul_f64 v[224:225], v[222:223], v[220:221]
	v_fma_f64 v[218:219], -v[218:219], v[224:225], v[222:223]
	s_delay_alu instid0(VALU_DEP_1) | instskip(NEXT) | instid1(VALU_DEP_1)
	v_div_fmas_f64 v[218:219], v[218:219], v[220:221], v[224:225]
	v_div_fixup_f64 v[222:223], v[218:219], v[216:217], 1.0
                                        ; implicit-def: $vgpr216_vgpr217
	s_delay_alu instid0(VALU_DEP_1)
	v_mul_f64 v[212:213], v[212:213], v[222:223]
	v_xor_b32_e32 v223, 0x80000000, v223
.LBB115_428:
	s_and_not1_saveexec_b32 s3, s3
	s_cbranch_execz .LBB115_430
; %bb.429:
	v_div_scale_f64 v[212:213], null, v[216:217], v[216:217], v[218:219]
	v_div_scale_f64 v[224:225], vcc_lo, v[218:219], v[216:217], v[218:219]
	s_delay_alu instid0(VALU_DEP_2) | instskip(SKIP_2) | instid1(VALU_DEP_1)
	v_rcp_f64_e32 v[220:221], v[212:213]
	s_waitcnt_depctr 0xfff
	v_fma_f64 v[222:223], -v[212:213], v[220:221], 1.0
	v_fma_f64 v[220:221], v[220:221], v[222:223], v[220:221]
	s_delay_alu instid0(VALU_DEP_1) | instskip(NEXT) | instid1(VALU_DEP_1)
	v_fma_f64 v[222:223], -v[212:213], v[220:221], 1.0
	v_fma_f64 v[220:221], v[220:221], v[222:223], v[220:221]
	s_delay_alu instid0(VALU_DEP_1) | instskip(NEXT) | instid1(VALU_DEP_1)
	v_mul_f64 v[222:223], v[224:225], v[220:221]
	v_fma_f64 v[212:213], -v[212:213], v[222:223], v[224:225]
	s_delay_alu instid0(VALU_DEP_1) | instskip(NEXT) | instid1(VALU_DEP_1)
	v_div_fmas_f64 v[212:213], v[212:213], v[220:221], v[222:223]
	v_div_fixup_f64 v[220:221], v[212:213], v[216:217], v[218:219]
	s_delay_alu instid0(VALU_DEP_1) | instskip(NEXT) | instid1(VALU_DEP_1)
	v_fma_f64 v[212:213], v[218:219], v[220:221], v[216:217]
	v_div_scale_f64 v[216:217], null, v[212:213], v[212:213], 1.0
	s_delay_alu instid0(VALU_DEP_1) | instskip(SKIP_2) | instid1(VALU_DEP_1)
	v_rcp_f64_e32 v[218:219], v[216:217]
	s_waitcnt_depctr 0xfff
	v_fma_f64 v[222:223], -v[216:217], v[218:219], 1.0
	v_fma_f64 v[218:219], v[218:219], v[222:223], v[218:219]
	s_delay_alu instid0(VALU_DEP_1) | instskip(NEXT) | instid1(VALU_DEP_1)
	v_fma_f64 v[222:223], -v[216:217], v[218:219], 1.0
	v_fma_f64 v[218:219], v[218:219], v[222:223], v[218:219]
	v_div_scale_f64 v[222:223], vcc_lo, 1.0, v[212:213], 1.0
	s_delay_alu instid0(VALU_DEP_1) | instskip(NEXT) | instid1(VALU_DEP_1)
	v_mul_f64 v[224:225], v[222:223], v[218:219]
	v_fma_f64 v[216:217], -v[216:217], v[224:225], v[222:223]
	s_delay_alu instid0(VALU_DEP_1) | instskip(NEXT) | instid1(VALU_DEP_1)
	v_div_fmas_f64 v[216:217], v[216:217], v[218:219], v[224:225]
	v_div_fixup_f64 v[212:213], v[216:217], v[212:213], 1.0
	s_delay_alu instid0(VALU_DEP_1)
	v_mul_f64 v[222:223], v[220:221], -v[212:213]
.LBB115_430:
	s_or_b32 exec_lo, exec_lo, s3
	ds_store_2addr_b64 v209, v[212:213], v[222:223] offset1:1
.LBB115_431:
	s_or_b32 exec_lo, exec_lo, s4
	s_waitcnt lgkmcnt(0)
	s_barrier
	buffer_gl0_inv
	ds_load_2addr_b64 v[204:207], v209 offset1:1
	s_mov_b32 s3, exec_lo
	s_waitcnt lgkmcnt(0)
	scratch_store_b128 off, v[204:207], off offset:1316 ; 16-byte Folded Spill
	v_cmpx_lt_u32_e32 47, v208
	s_cbranch_execz .LBB115_433
; %bb.432:
	scratch_load_b128 v[204:207], off, off offset:1316 ; 16-byte Folded Reload
	ds_load_2addr_b64 v[216:219], v214 offset0:96 offset1:97
	s_waitcnt vmcnt(0)
	v_mul_f64 v[212:213], v[204:205], v[42:43]
	v_mul_f64 v[42:43], v[206:207], v[42:43]
	s_delay_alu instid0(VALU_DEP_2) | instskip(NEXT) | instid1(VALU_DEP_2)
	v_fma_f64 v[212:213], v[206:207], v[40:41], v[212:213]
	v_fma_f64 v[40:41], v[204:205], v[40:41], -v[42:43]
	s_waitcnt lgkmcnt(0)
	s_delay_alu instid0(VALU_DEP_2) | instskip(NEXT) | instid1(VALU_DEP_1)
	v_mul_f64 v[42:43], v[218:219], v[212:213]
	v_fma_f64 v[42:43], v[216:217], v[40:41], -v[42:43]
	v_mul_f64 v[216:217], v[216:217], v[212:213]
	s_delay_alu instid0(VALU_DEP_2) | instskip(NEXT) | instid1(VALU_DEP_2)
	v_add_f64 v[36:37], v[36:37], -v[42:43]
	v_fma_f64 v[216:217], v[218:219], v[40:41], v[216:217]
	s_delay_alu instid0(VALU_DEP_1) | instskip(SKIP_3) | instid1(VALU_DEP_1)
	v_add_f64 v[38:39], v[38:39], -v[216:217]
	ds_load_2addr_b64 v[216:219], v214 offset0:98 offset1:99
	s_waitcnt lgkmcnt(0)
	v_mul_f64 v[42:43], v[218:219], v[212:213]
	v_fma_f64 v[42:43], v[216:217], v[40:41], -v[42:43]
	v_mul_f64 v[216:217], v[216:217], v[212:213]
	s_delay_alu instid0(VALU_DEP_2) | instskip(NEXT) | instid1(VALU_DEP_2)
	v_add_f64 v[32:33], v[32:33], -v[42:43]
	v_fma_f64 v[216:217], v[218:219], v[40:41], v[216:217]
	s_delay_alu instid0(VALU_DEP_1) | instskip(SKIP_3) | instid1(VALU_DEP_1)
	v_add_f64 v[34:35], v[34:35], -v[216:217]
	ds_load_2addr_b64 v[216:219], v214 offset0:100 offset1:101
	s_waitcnt lgkmcnt(0)
	;; [unrolled: 10-line block ×9, first 2 shown]
	v_mul_f64 v[42:43], v[218:219], v[212:213]
	v_fma_f64 v[42:43], v[216:217], v[40:41], -v[42:43]
	v_mul_f64 v[216:217], v[216:217], v[212:213]
	s_delay_alu instid0(VALU_DEP_2) | instskip(NEXT) | instid1(VALU_DEP_2)
	v_add_f64 v[0:1], v[0:1], -v[42:43]
	v_fma_f64 v[216:217], v[218:219], v[40:41], v[216:217]
	v_dual_mov_b32 v42, v212 :: v_dual_mov_b32 v43, v213
	s_delay_alu instid0(VALU_DEP_2)
	v_add_f64 v[2:3], v[2:3], -v[216:217]
.LBB115_433:
	s_or_b32 exec_lo, exec_lo, s3
	s_delay_alu instid0(SALU_CYCLE_1)
	s_mov_b32 s4, exec_lo
	s_waitcnt_vscnt null, 0x0
	s_barrier
	buffer_gl0_inv
	v_cmpx_eq_u32_e32 48, v208
	s_cbranch_execz .LBB115_440
; %bb.434:
	ds_store_2addr_b64 v209, v[36:37], v[38:39] offset1:1
	ds_store_2addr_b64 v214, v[32:33], v[34:35] offset0:98 offset1:99
	ds_store_2addr_b64 v214, v[28:29], v[30:31] offset0:100 offset1:101
	;; [unrolled: 1-line block ×9, first 2 shown]
	ds_load_2addr_b64 v[216:219], v209 offset1:1
	s_waitcnt lgkmcnt(0)
	v_cmp_neq_f64_e32 vcc_lo, 0, v[216:217]
	v_cmp_neq_f64_e64 s3, 0, v[218:219]
	s_delay_alu instid0(VALU_DEP_1) | instskip(NEXT) | instid1(SALU_CYCLE_1)
	s_or_b32 s3, vcc_lo, s3
	s_and_b32 exec_lo, exec_lo, s3
	s_cbranch_execz .LBB115_440
; %bb.435:
	v_cmp_gt_f64_e32 vcc_lo, 0, v[216:217]
	v_xor_b32_e32 v212, 0x80000000, v217
	v_xor_b32_e32 v215, 0x80000000, v219
	s_delay_alu instid0(VALU_DEP_2) | instskip(SKIP_2) | instid1(VALU_DEP_4)
	v_cndmask_b32_e32 v213, v217, v212, vcc_lo
	v_cndmask_b32_e32 v212, v216, v216, vcc_lo
	v_cmp_gt_f64_e32 vcc_lo, 0, v[218:219]
	v_dual_cndmask_b32 v221, v219, v215 :: v_dual_cndmask_b32 v220, v218, v218
	s_delay_alu instid0(VALU_DEP_1) | instskip(SKIP_1) | instid1(SALU_CYCLE_1)
	v_cmp_ngt_f64_e32 vcc_lo, v[212:213], v[220:221]
                                        ; implicit-def: $vgpr212_vgpr213
	s_and_saveexec_b32 s3, vcc_lo
	s_xor_b32 s3, exec_lo, s3
                                        ; implicit-def: $vgpr220_vgpr221_vgpr222_vgpr223
	s_cbranch_execz .LBB115_437
; %bb.436:
	v_div_scale_f64 v[212:213], null, v[218:219], v[218:219], v[216:217]
	v_div_scale_f64 v[224:225], vcc_lo, v[216:217], v[218:219], v[216:217]
	s_delay_alu instid0(VALU_DEP_2) | instskip(SKIP_2) | instid1(VALU_DEP_1)
	v_rcp_f64_e32 v[220:221], v[212:213]
	s_waitcnt_depctr 0xfff
	v_fma_f64 v[222:223], -v[212:213], v[220:221], 1.0
	v_fma_f64 v[220:221], v[220:221], v[222:223], v[220:221]
	s_delay_alu instid0(VALU_DEP_1) | instskip(NEXT) | instid1(VALU_DEP_1)
	v_fma_f64 v[222:223], -v[212:213], v[220:221], 1.0
	v_fma_f64 v[220:221], v[220:221], v[222:223], v[220:221]
	s_delay_alu instid0(VALU_DEP_1) | instskip(NEXT) | instid1(VALU_DEP_1)
	v_mul_f64 v[222:223], v[224:225], v[220:221]
	v_fma_f64 v[212:213], -v[212:213], v[222:223], v[224:225]
	s_delay_alu instid0(VALU_DEP_1) | instskip(NEXT) | instid1(VALU_DEP_1)
	v_div_fmas_f64 v[212:213], v[212:213], v[220:221], v[222:223]
	v_div_fixup_f64 v[212:213], v[212:213], v[218:219], v[216:217]
	s_delay_alu instid0(VALU_DEP_1) | instskip(NEXT) | instid1(VALU_DEP_1)
	v_fma_f64 v[216:217], v[216:217], v[212:213], v[218:219]
	v_div_scale_f64 v[218:219], null, v[216:217], v[216:217], 1.0
	s_delay_alu instid0(VALU_DEP_1) | instskip(SKIP_2) | instid1(VALU_DEP_1)
	v_rcp_f64_e32 v[220:221], v[218:219]
	s_waitcnt_depctr 0xfff
	v_fma_f64 v[222:223], -v[218:219], v[220:221], 1.0
	v_fma_f64 v[220:221], v[220:221], v[222:223], v[220:221]
	s_delay_alu instid0(VALU_DEP_1) | instskip(NEXT) | instid1(VALU_DEP_1)
	v_fma_f64 v[222:223], -v[218:219], v[220:221], 1.0
	v_fma_f64 v[220:221], v[220:221], v[222:223], v[220:221]
	v_div_scale_f64 v[222:223], vcc_lo, 1.0, v[216:217], 1.0
	s_delay_alu instid0(VALU_DEP_1) | instskip(NEXT) | instid1(VALU_DEP_1)
	v_mul_f64 v[224:225], v[222:223], v[220:221]
	v_fma_f64 v[218:219], -v[218:219], v[224:225], v[222:223]
	s_delay_alu instid0(VALU_DEP_1) | instskip(NEXT) | instid1(VALU_DEP_1)
	v_div_fmas_f64 v[218:219], v[218:219], v[220:221], v[224:225]
	v_div_fixup_f64 v[222:223], v[218:219], v[216:217], 1.0
                                        ; implicit-def: $vgpr216_vgpr217
	s_delay_alu instid0(VALU_DEP_1)
	v_mul_f64 v[212:213], v[212:213], v[222:223]
	v_xor_b32_e32 v223, 0x80000000, v223
.LBB115_437:
	s_and_not1_saveexec_b32 s3, s3
	s_cbranch_execz .LBB115_439
; %bb.438:
	v_div_scale_f64 v[212:213], null, v[216:217], v[216:217], v[218:219]
	v_div_scale_f64 v[224:225], vcc_lo, v[218:219], v[216:217], v[218:219]
	s_delay_alu instid0(VALU_DEP_2) | instskip(SKIP_2) | instid1(VALU_DEP_1)
	v_rcp_f64_e32 v[220:221], v[212:213]
	s_waitcnt_depctr 0xfff
	v_fma_f64 v[222:223], -v[212:213], v[220:221], 1.0
	v_fma_f64 v[220:221], v[220:221], v[222:223], v[220:221]
	s_delay_alu instid0(VALU_DEP_1) | instskip(NEXT) | instid1(VALU_DEP_1)
	v_fma_f64 v[222:223], -v[212:213], v[220:221], 1.0
	v_fma_f64 v[220:221], v[220:221], v[222:223], v[220:221]
	s_delay_alu instid0(VALU_DEP_1) | instskip(NEXT) | instid1(VALU_DEP_1)
	v_mul_f64 v[222:223], v[224:225], v[220:221]
	v_fma_f64 v[212:213], -v[212:213], v[222:223], v[224:225]
	s_delay_alu instid0(VALU_DEP_1) | instskip(NEXT) | instid1(VALU_DEP_1)
	v_div_fmas_f64 v[212:213], v[212:213], v[220:221], v[222:223]
	v_div_fixup_f64 v[220:221], v[212:213], v[216:217], v[218:219]
	s_delay_alu instid0(VALU_DEP_1) | instskip(NEXT) | instid1(VALU_DEP_1)
	v_fma_f64 v[212:213], v[218:219], v[220:221], v[216:217]
	v_div_scale_f64 v[216:217], null, v[212:213], v[212:213], 1.0
	s_delay_alu instid0(VALU_DEP_1) | instskip(SKIP_2) | instid1(VALU_DEP_1)
	v_rcp_f64_e32 v[218:219], v[216:217]
	s_waitcnt_depctr 0xfff
	v_fma_f64 v[222:223], -v[216:217], v[218:219], 1.0
	v_fma_f64 v[218:219], v[218:219], v[222:223], v[218:219]
	s_delay_alu instid0(VALU_DEP_1) | instskip(NEXT) | instid1(VALU_DEP_1)
	v_fma_f64 v[222:223], -v[216:217], v[218:219], 1.0
	v_fma_f64 v[218:219], v[218:219], v[222:223], v[218:219]
	v_div_scale_f64 v[222:223], vcc_lo, 1.0, v[212:213], 1.0
	s_delay_alu instid0(VALU_DEP_1) | instskip(NEXT) | instid1(VALU_DEP_1)
	v_mul_f64 v[224:225], v[222:223], v[218:219]
	v_fma_f64 v[216:217], -v[216:217], v[224:225], v[222:223]
	s_delay_alu instid0(VALU_DEP_1) | instskip(NEXT) | instid1(VALU_DEP_1)
	v_div_fmas_f64 v[216:217], v[216:217], v[218:219], v[224:225]
	v_div_fixup_f64 v[212:213], v[216:217], v[212:213], 1.0
	s_delay_alu instid0(VALU_DEP_1)
	v_mul_f64 v[222:223], v[220:221], -v[212:213]
.LBB115_439:
	s_or_b32 exec_lo, exec_lo, s3
	ds_store_2addr_b64 v209, v[212:213], v[222:223] offset1:1
.LBB115_440:
	s_or_b32 exec_lo, exec_lo, s4
	s_waitcnt lgkmcnt(0)
	s_barrier
	buffer_gl0_inv
	ds_load_2addr_b64 v[204:207], v209 offset1:1
	s_mov_b32 s3, exec_lo
	s_waitcnt lgkmcnt(0)
	scratch_store_b128 off, v[204:207], off offset:1332 ; 16-byte Folded Spill
	v_cmpx_lt_u32_e32 48, v208
	s_cbranch_execz .LBB115_442
; %bb.441:
	scratch_load_b128 v[204:207], off, off offset:1332 ; 16-byte Folded Reload
	ds_load_2addr_b64 v[216:219], v214 offset0:98 offset1:99
	s_waitcnt vmcnt(0)
	v_mul_f64 v[212:213], v[204:205], v[38:39]
	v_mul_f64 v[38:39], v[206:207], v[38:39]
	s_delay_alu instid0(VALU_DEP_2) | instskip(NEXT) | instid1(VALU_DEP_2)
	v_fma_f64 v[212:213], v[206:207], v[36:37], v[212:213]
	v_fma_f64 v[36:37], v[204:205], v[36:37], -v[38:39]
	s_waitcnt lgkmcnt(0)
	s_delay_alu instid0(VALU_DEP_2) | instskip(NEXT) | instid1(VALU_DEP_1)
	v_mul_f64 v[38:39], v[218:219], v[212:213]
	v_fma_f64 v[38:39], v[216:217], v[36:37], -v[38:39]
	v_mul_f64 v[216:217], v[216:217], v[212:213]
	s_delay_alu instid0(VALU_DEP_2) | instskip(NEXT) | instid1(VALU_DEP_2)
	v_add_f64 v[32:33], v[32:33], -v[38:39]
	v_fma_f64 v[216:217], v[218:219], v[36:37], v[216:217]
	s_delay_alu instid0(VALU_DEP_1) | instskip(SKIP_3) | instid1(VALU_DEP_1)
	v_add_f64 v[34:35], v[34:35], -v[216:217]
	ds_load_2addr_b64 v[216:219], v214 offset0:100 offset1:101
	s_waitcnt lgkmcnt(0)
	v_mul_f64 v[38:39], v[218:219], v[212:213]
	v_fma_f64 v[38:39], v[216:217], v[36:37], -v[38:39]
	v_mul_f64 v[216:217], v[216:217], v[212:213]
	s_delay_alu instid0(VALU_DEP_2) | instskip(NEXT) | instid1(VALU_DEP_2)
	v_add_f64 v[28:29], v[28:29], -v[38:39]
	v_fma_f64 v[216:217], v[218:219], v[36:37], v[216:217]
	s_delay_alu instid0(VALU_DEP_1) | instskip(SKIP_3) | instid1(VALU_DEP_1)
	v_add_f64 v[30:31], v[30:31], -v[216:217]
	ds_load_2addr_b64 v[216:219], v214 offset0:102 offset1:103
	s_waitcnt lgkmcnt(0)
	;; [unrolled: 10-line block ×8, first 2 shown]
	v_mul_f64 v[38:39], v[218:219], v[212:213]
	v_fma_f64 v[38:39], v[216:217], v[36:37], -v[38:39]
	v_mul_f64 v[216:217], v[216:217], v[212:213]
	s_delay_alu instid0(VALU_DEP_2) | instskip(NEXT) | instid1(VALU_DEP_2)
	v_add_f64 v[0:1], v[0:1], -v[38:39]
	v_fma_f64 v[216:217], v[218:219], v[36:37], v[216:217]
	v_dual_mov_b32 v38, v212 :: v_dual_mov_b32 v39, v213
	s_delay_alu instid0(VALU_DEP_2)
	v_add_f64 v[2:3], v[2:3], -v[216:217]
.LBB115_442:
	s_or_b32 exec_lo, exec_lo, s3
	s_delay_alu instid0(SALU_CYCLE_1)
	s_mov_b32 s4, exec_lo
	s_waitcnt_vscnt null, 0x0
	s_barrier
	buffer_gl0_inv
	v_cmpx_eq_u32_e32 49, v208
	s_cbranch_execz .LBB115_449
; %bb.443:
	ds_store_2addr_b64 v209, v[32:33], v[34:35] offset1:1
	ds_store_2addr_b64 v214, v[28:29], v[30:31] offset0:100 offset1:101
	ds_store_2addr_b64 v214, v[24:25], v[26:27] offset0:102 offset1:103
	;; [unrolled: 1-line block ×8, first 2 shown]
	ds_load_2addr_b64 v[216:219], v209 offset1:1
	s_waitcnt lgkmcnt(0)
	v_cmp_neq_f64_e32 vcc_lo, 0, v[216:217]
	v_cmp_neq_f64_e64 s3, 0, v[218:219]
	s_delay_alu instid0(VALU_DEP_1) | instskip(NEXT) | instid1(SALU_CYCLE_1)
	s_or_b32 s3, vcc_lo, s3
	s_and_b32 exec_lo, exec_lo, s3
	s_cbranch_execz .LBB115_449
; %bb.444:
	v_cmp_gt_f64_e32 vcc_lo, 0, v[216:217]
	v_xor_b32_e32 v212, 0x80000000, v217
	v_xor_b32_e32 v215, 0x80000000, v219
	s_delay_alu instid0(VALU_DEP_2) | instskip(SKIP_2) | instid1(VALU_DEP_4)
	v_cndmask_b32_e32 v213, v217, v212, vcc_lo
	v_cndmask_b32_e32 v212, v216, v216, vcc_lo
	v_cmp_gt_f64_e32 vcc_lo, 0, v[218:219]
	v_dual_cndmask_b32 v221, v219, v215 :: v_dual_cndmask_b32 v220, v218, v218
	s_delay_alu instid0(VALU_DEP_1) | instskip(SKIP_1) | instid1(SALU_CYCLE_1)
	v_cmp_ngt_f64_e32 vcc_lo, v[212:213], v[220:221]
                                        ; implicit-def: $vgpr212_vgpr213
	s_and_saveexec_b32 s3, vcc_lo
	s_xor_b32 s3, exec_lo, s3
                                        ; implicit-def: $vgpr220_vgpr221_vgpr222_vgpr223
	s_cbranch_execz .LBB115_446
; %bb.445:
	v_div_scale_f64 v[212:213], null, v[218:219], v[218:219], v[216:217]
	v_div_scale_f64 v[224:225], vcc_lo, v[216:217], v[218:219], v[216:217]
	s_delay_alu instid0(VALU_DEP_2) | instskip(SKIP_2) | instid1(VALU_DEP_1)
	v_rcp_f64_e32 v[220:221], v[212:213]
	s_waitcnt_depctr 0xfff
	v_fma_f64 v[222:223], -v[212:213], v[220:221], 1.0
	v_fma_f64 v[220:221], v[220:221], v[222:223], v[220:221]
	s_delay_alu instid0(VALU_DEP_1) | instskip(NEXT) | instid1(VALU_DEP_1)
	v_fma_f64 v[222:223], -v[212:213], v[220:221], 1.0
	v_fma_f64 v[220:221], v[220:221], v[222:223], v[220:221]
	s_delay_alu instid0(VALU_DEP_1) | instskip(NEXT) | instid1(VALU_DEP_1)
	v_mul_f64 v[222:223], v[224:225], v[220:221]
	v_fma_f64 v[212:213], -v[212:213], v[222:223], v[224:225]
	s_delay_alu instid0(VALU_DEP_1) | instskip(NEXT) | instid1(VALU_DEP_1)
	v_div_fmas_f64 v[212:213], v[212:213], v[220:221], v[222:223]
	v_div_fixup_f64 v[212:213], v[212:213], v[218:219], v[216:217]
	s_delay_alu instid0(VALU_DEP_1) | instskip(NEXT) | instid1(VALU_DEP_1)
	v_fma_f64 v[216:217], v[216:217], v[212:213], v[218:219]
	v_div_scale_f64 v[218:219], null, v[216:217], v[216:217], 1.0
	s_delay_alu instid0(VALU_DEP_1) | instskip(SKIP_2) | instid1(VALU_DEP_1)
	v_rcp_f64_e32 v[220:221], v[218:219]
	s_waitcnt_depctr 0xfff
	v_fma_f64 v[222:223], -v[218:219], v[220:221], 1.0
	v_fma_f64 v[220:221], v[220:221], v[222:223], v[220:221]
	s_delay_alu instid0(VALU_DEP_1) | instskip(NEXT) | instid1(VALU_DEP_1)
	v_fma_f64 v[222:223], -v[218:219], v[220:221], 1.0
	v_fma_f64 v[220:221], v[220:221], v[222:223], v[220:221]
	v_div_scale_f64 v[222:223], vcc_lo, 1.0, v[216:217], 1.0
	s_delay_alu instid0(VALU_DEP_1) | instskip(NEXT) | instid1(VALU_DEP_1)
	v_mul_f64 v[224:225], v[222:223], v[220:221]
	v_fma_f64 v[218:219], -v[218:219], v[224:225], v[222:223]
	s_delay_alu instid0(VALU_DEP_1) | instskip(NEXT) | instid1(VALU_DEP_1)
	v_div_fmas_f64 v[218:219], v[218:219], v[220:221], v[224:225]
	v_div_fixup_f64 v[222:223], v[218:219], v[216:217], 1.0
                                        ; implicit-def: $vgpr216_vgpr217
	s_delay_alu instid0(VALU_DEP_1)
	v_mul_f64 v[212:213], v[212:213], v[222:223]
	v_xor_b32_e32 v223, 0x80000000, v223
.LBB115_446:
	s_and_not1_saveexec_b32 s3, s3
	s_cbranch_execz .LBB115_448
; %bb.447:
	v_div_scale_f64 v[212:213], null, v[216:217], v[216:217], v[218:219]
	v_div_scale_f64 v[224:225], vcc_lo, v[218:219], v[216:217], v[218:219]
	s_delay_alu instid0(VALU_DEP_2) | instskip(SKIP_2) | instid1(VALU_DEP_1)
	v_rcp_f64_e32 v[220:221], v[212:213]
	s_waitcnt_depctr 0xfff
	v_fma_f64 v[222:223], -v[212:213], v[220:221], 1.0
	v_fma_f64 v[220:221], v[220:221], v[222:223], v[220:221]
	s_delay_alu instid0(VALU_DEP_1) | instskip(NEXT) | instid1(VALU_DEP_1)
	v_fma_f64 v[222:223], -v[212:213], v[220:221], 1.0
	v_fma_f64 v[220:221], v[220:221], v[222:223], v[220:221]
	s_delay_alu instid0(VALU_DEP_1) | instskip(NEXT) | instid1(VALU_DEP_1)
	v_mul_f64 v[222:223], v[224:225], v[220:221]
	v_fma_f64 v[212:213], -v[212:213], v[222:223], v[224:225]
	s_delay_alu instid0(VALU_DEP_1) | instskip(NEXT) | instid1(VALU_DEP_1)
	v_div_fmas_f64 v[212:213], v[212:213], v[220:221], v[222:223]
	v_div_fixup_f64 v[220:221], v[212:213], v[216:217], v[218:219]
	s_delay_alu instid0(VALU_DEP_1) | instskip(NEXT) | instid1(VALU_DEP_1)
	v_fma_f64 v[212:213], v[218:219], v[220:221], v[216:217]
	v_div_scale_f64 v[216:217], null, v[212:213], v[212:213], 1.0
	s_delay_alu instid0(VALU_DEP_1) | instskip(SKIP_2) | instid1(VALU_DEP_1)
	v_rcp_f64_e32 v[218:219], v[216:217]
	s_waitcnt_depctr 0xfff
	v_fma_f64 v[222:223], -v[216:217], v[218:219], 1.0
	v_fma_f64 v[218:219], v[218:219], v[222:223], v[218:219]
	s_delay_alu instid0(VALU_DEP_1) | instskip(NEXT) | instid1(VALU_DEP_1)
	v_fma_f64 v[222:223], -v[216:217], v[218:219], 1.0
	v_fma_f64 v[218:219], v[218:219], v[222:223], v[218:219]
	v_div_scale_f64 v[222:223], vcc_lo, 1.0, v[212:213], 1.0
	s_delay_alu instid0(VALU_DEP_1) | instskip(NEXT) | instid1(VALU_DEP_1)
	v_mul_f64 v[224:225], v[222:223], v[218:219]
	v_fma_f64 v[216:217], -v[216:217], v[224:225], v[222:223]
	s_delay_alu instid0(VALU_DEP_1) | instskip(NEXT) | instid1(VALU_DEP_1)
	v_div_fmas_f64 v[216:217], v[216:217], v[218:219], v[224:225]
	v_div_fixup_f64 v[212:213], v[216:217], v[212:213], 1.0
	s_delay_alu instid0(VALU_DEP_1)
	v_mul_f64 v[222:223], v[220:221], -v[212:213]
.LBB115_448:
	s_or_b32 exec_lo, exec_lo, s3
	ds_store_2addr_b64 v209, v[212:213], v[222:223] offset1:1
.LBB115_449:
	s_or_b32 exec_lo, exec_lo, s4
	s_waitcnt lgkmcnt(0)
	s_barrier
	buffer_gl0_inv
	ds_load_2addr_b64 v[236:239], v209 offset1:1
	s_mov_b32 s3, exec_lo
	v_cmpx_lt_u32_e32 49, v208
	s_cbranch_execz .LBB115_451
; %bb.450:
	s_waitcnt lgkmcnt(0)
	v_mul_f64 v[212:213], v[236:237], v[34:35]
	v_mul_f64 v[34:35], v[238:239], v[34:35]
	ds_load_2addr_b64 v[216:219], v214 offset0:100 offset1:101
	v_fma_f64 v[212:213], v[238:239], v[32:33], v[212:213]
	v_fma_f64 v[32:33], v[236:237], v[32:33], -v[34:35]
	s_waitcnt lgkmcnt(0)
	s_delay_alu instid0(VALU_DEP_2) | instskip(NEXT) | instid1(VALU_DEP_1)
	v_mul_f64 v[34:35], v[218:219], v[212:213]
	v_fma_f64 v[34:35], v[216:217], v[32:33], -v[34:35]
	v_mul_f64 v[216:217], v[216:217], v[212:213]
	s_delay_alu instid0(VALU_DEP_2) | instskip(NEXT) | instid1(VALU_DEP_2)
	v_add_f64 v[28:29], v[28:29], -v[34:35]
	v_fma_f64 v[216:217], v[218:219], v[32:33], v[216:217]
	s_delay_alu instid0(VALU_DEP_1) | instskip(SKIP_3) | instid1(VALU_DEP_1)
	v_add_f64 v[30:31], v[30:31], -v[216:217]
	ds_load_2addr_b64 v[216:219], v214 offset0:102 offset1:103
	s_waitcnt lgkmcnt(0)
	v_mul_f64 v[34:35], v[218:219], v[212:213]
	v_fma_f64 v[34:35], v[216:217], v[32:33], -v[34:35]
	v_mul_f64 v[216:217], v[216:217], v[212:213]
	s_delay_alu instid0(VALU_DEP_2) | instskip(NEXT) | instid1(VALU_DEP_2)
	v_add_f64 v[24:25], v[24:25], -v[34:35]
	v_fma_f64 v[216:217], v[218:219], v[32:33], v[216:217]
	s_delay_alu instid0(VALU_DEP_1) | instskip(SKIP_3) | instid1(VALU_DEP_1)
	v_add_f64 v[26:27], v[26:27], -v[216:217]
	ds_load_2addr_b64 v[216:219], v214 offset0:104 offset1:105
	s_waitcnt lgkmcnt(0)
	;; [unrolled: 10-line block ×7, first 2 shown]
	v_mul_f64 v[34:35], v[218:219], v[212:213]
	v_fma_f64 v[34:35], v[216:217], v[32:33], -v[34:35]
	v_mul_f64 v[216:217], v[216:217], v[212:213]
	s_delay_alu instid0(VALU_DEP_2) | instskip(NEXT) | instid1(VALU_DEP_2)
	v_add_f64 v[0:1], v[0:1], -v[34:35]
	v_fma_f64 v[216:217], v[218:219], v[32:33], v[216:217]
	v_dual_mov_b32 v34, v212 :: v_dual_mov_b32 v35, v213
	s_delay_alu instid0(VALU_DEP_2)
	v_add_f64 v[2:3], v[2:3], -v[216:217]
.LBB115_451:
	s_or_b32 exec_lo, exec_lo, s3
	s_delay_alu instid0(SALU_CYCLE_1)
	s_mov_b32 s4, exec_lo
	s_waitcnt lgkmcnt(0)
	s_barrier
	buffer_gl0_inv
	v_cmpx_eq_u32_e32 50, v208
	s_cbranch_execz .LBB115_458
; %bb.452:
	ds_store_2addr_b64 v209, v[28:29], v[30:31] offset1:1
	ds_store_2addr_b64 v214, v[24:25], v[26:27] offset0:102 offset1:103
	ds_store_2addr_b64 v214, v[20:21], v[22:23] offset0:104 offset1:105
	;; [unrolled: 1-line block ×7, first 2 shown]
	ds_load_2addr_b64 v[216:219], v209 offset1:1
	s_waitcnt lgkmcnt(0)
	v_cmp_neq_f64_e32 vcc_lo, 0, v[216:217]
	v_cmp_neq_f64_e64 s3, 0, v[218:219]
	s_delay_alu instid0(VALU_DEP_1) | instskip(NEXT) | instid1(SALU_CYCLE_1)
	s_or_b32 s3, vcc_lo, s3
	s_and_b32 exec_lo, exec_lo, s3
	s_cbranch_execz .LBB115_458
; %bb.453:
	v_cmp_gt_f64_e32 vcc_lo, 0, v[216:217]
	v_xor_b32_e32 v212, 0x80000000, v217
	v_xor_b32_e32 v215, 0x80000000, v219
	s_delay_alu instid0(VALU_DEP_2) | instskip(SKIP_2) | instid1(VALU_DEP_4)
	v_cndmask_b32_e32 v213, v217, v212, vcc_lo
	v_cndmask_b32_e32 v212, v216, v216, vcc_lo
	v_cmp_gt_f64_e32 vcc_lo, 0, v[218:219]
	v_dual_cndmask_b32 v221, v219, v215 :: v_dual_cndmask_b32 v220, v218, v218
	s_delay_alu instid0(VALU_DEP_1) | instskip(SKIP_1) | instid1(SALU_CYCLE_1)
	v_cmp_ngt_f64_e32 vcc_lo, v[212:213], v[220:221]
                                        ; implicit-def: $vgpr212_vgpr213
	s_and_saveexec_b32 s3, vcc_lo
	s_xor_b32 s3, exec_lo, s3
                                        ; implicit-def: $vgpr220_vgpr221_vgpr222_vgpr223
	s_cbranch_execz .LBB115_455
; %bb.454:
	v_div_scale_f64 v[212:213], null, v[218:219], v[218:219], v[216:217]
	v_div_scale_f64 v[224:225], vcc_lo, v[216:217], v[218:219], v[216:217]
	s_delay_alu instid0(VALU_DEP_2) | instskip(SKIP_2) | instid1(VALU_DEP_1)
	v_rcp_f64_e32 v[220:221], v[212:213]
	s_waitcnt_depctr 0xfff
	v_fma_f64 v[222:223], -v[212:213], v[220:221], 1.0
	v_fma_f64 v[220:221], v[220:221], v[222:223], v[220:221]
	s_delay_alu instid0(VALU_DEP_1) | instskip(NEXT) | instid1(VALU_DEP_1)
	v_fma_f64 v[222:223], -v[212:213], v[220:221], 1.0
	v_fma_f64 v[220:221], v[220:221], v[222:223], v[220:221]
	s_delay_alu instid0(VALU_DEP_1) | instskip(NEXT) | instid1(VALU_DEP_1)
	v_mul_f64 v[222:223], v[224:225], v[220:221]
	v_fma_f64 v[212:213], -v[212:213], v[222:223], v[224:225]
	s_delay_alu instid0(VALU_DEP_1) | instskip(NEXT) | instid1(VALU_DEP_1)
	v_div_fmas_f64 v[212:213], v[212:213], v[220:221], v[222:223]
	v_div_fixup_f64 v[212:213], v[212:213], v[218:219], v[216:217]
	s_delay_alu instid0(VALU_DEP_1) | instskip(NEXT) | instid1(VALU_DEP_1)
	v_fma_f64 v[216:217], v[216:217], v[212:213], v[218:219]
	v_div_scale_f64 v[218:219], null, v[216:217], v[216:217], 1.0
	s_delay_alu instid0(VALU_DEP_1) | instskip(SKIP_2) | instid1(VALU_DEP_1)
	v_rcp_f64_e32 v[220:221], v[218:219]
	s_waitcnt_depctr 0xfff
	v_fma_f64 v[222:223], -v[218:219], v[220:221], 1.0
	v_fma_f64 v[220:221], v[220:221], v[222:223], v[220:221]
	s_delay_alu instid0(VALU_DEP_1) | instskip(NEXT) | instid1(VALU_DEP_1)
	v_fma_f64 v[222:223], -v[218:219], v[220:221], 1.0
	v_fma_f64 v[220:221], v[220:221], v[222:223], v[220:221]
	v_div_scale_f64 v[222:223], vcc_lo, 1.0, v[216:217], 1.0
	s_delay_alu instid0(VALU_DEP_1) | instskip(NEXT) | instid1(VALU_DEP_1)
	v_mul_f64 v[224:225], v[222:223], v[220:221]
	v_fma_f64 v[218:219], -v[218:219], v[224:225], v[222:223]
	s_delay_alu instid0(VALU_DEP_1) | instskip(NEXT) | instid1(VALU_DEP_1)
	v_div_fmas_f64 v[218:219], v[218:219], v[220:221], v[224:225]
	v_div_fixup_f64 v[222:223], v[218:219], v[216:217], 1.0
                                        ; implicit-def: $vgpr216_vgpr217
	s_delay_alu instid0(VALU_DEP_1)
	v_mul_f64 v[212:213], v[212:213], v[222:223]
	v_xor_b32_e32 v223, 0x80000000, v223
.LBB115_455:
	s_and_not1_saveexec_b32 s3, s3
	s_cbranch_execz .LBB115_457
; %bb.456:
	v_div_scale_f64 v[212:213], null, v[216:217], v[216:217], v[218:219]
	v_div_scale_f64 v[224:225], vcc_lo, v[218:219], v[216:217], v[218:219]
	s_delay_alu instid0(VALU_DEP_2) | instskip(SKIP_2) | instid1(VALU_DEP_1)
	v_rcp_f64_e32 v[220:221], v[212:213]
	s_waitcnt_depctr 0xfff
	v_fma_f64 v[222:223], -v[212:213], v[220:221], 1.0
	v_fma_f64 v[220:221], v[220:221], v[222:223], v[220:221]
	s_delay_alu instid0(VALU_DEP_1) | instskip(NEXT) | instid1(VALU_DEP_1)
	v_fma_f64 v[222:223], -v[212:213], v[220:221], 1.0
	v_fma_f64 v[220:221], v[220:221], v[222:223], v[220:221]
	s_delay_alu instid0(VALU_DEP_1) | instskip(NEXT) | instid1(VALU_DEP_1)
	v_mul_f64 v[222:223], v[224:225], v[220:221]
	v_fma_f64 v[212:213], -v[212:213], v[222:223], v[224:225]
	s_delay_alu instid0(VALU_DEP_1) | instskip(NEXT) | instid1(VALU_DEP_1)
	v_div_fmas_f64 v[212:213], v[212:213], v[220:221], v[222:223]
	v_div_fixup_f64 v[220:221], v[212:213], v[216:217], v[218:219]
	s_delay_alu instid0(VALU_DEP_1) | instskip(NEXT) | instid1(VALU_DEP_1)
	v_fma_f64 v[212:213], v[218:219], v[220:221], v[216:217]
	v_div_scale_f64 v[216:217], null, v[212:213], v[212:213], 1.0
	s_delay_alu instid0(VALU_DEP_1) | instskip(SKIP_2) | instid1(VALU_DEP_1)
	v_rcp_f64_e32 v[218:219], v[216:217]
	s_waitcnt_depctr 0xfff
	v_fma_f64 v[222:223], -v[216:217], v[218:219], 1.0
	v_fma_f64 v[218:219], v[218:219], v[222:223], v[218:219]
	s_delay_alu instid0(VALU_DEP_1) | instskip(NEXT) | instid1(VALU_DEP_1)
	v_fma_f64 v[222:223], -v[216:217], v[218:219], 1.0
	v_fma_f64 v[218:219], v[218:219], v[222:223], v[218:219]
	v_div_scale_f64 v[222:223], vcc_lo, 1.0, v[212:213], 1.0
	s_delay_alu instid0(VALU_DEP_1) | instskip(NEXT) | instid1(VALU_DEP_1)
	v_mul_f64 v[224:225], v[222:223], v[218:219]
	v_fma_f64 v[216:217], -v[216:217], v[224:225], v[222:223]
	s_delay_alu instid0(VALU_DEP_1) | instskip(NEXT) | instid1(VALU_DEP_1)
	v_div_fmas_f64 v[216:217], v[216:217], v[218:219], v[224:225]
	v_div_fixup_f64 v[212:213], v[216:217], v[212:213], 1.0
	s_delay_alu instid0(VALU_DEP_1)
	v_mul_f64 v[222:223], v[220:221], -v[212:213]
.LBB115_457:
	s_or_b32 exec_lo, exec_lo, s3
	ds_store_2addr_b64 v209, v[212:213], v[222:223] offset1:1
.LBB115_458:
	s_or_b32 exec_lo, exec_lo, s4
	s_waitcnt lgkmcnt(0)
	s_barrier
	buffer_gl0_inv
	ds_load_2addr_b64 v[240:243], v209 offset1:1
	s_mov_b32 s3, exec_lo
	v_cmpx_lt_u32_e32 50, v208
	s_cbranch_execz .LBB115_460
; %bb.459:
	s_waitcnt lgkmcnt(0)
	v_mul_f64 v[212:213], v[240:241], v[30:31]
	v_mul_f64 v[30:31], v[242:243], v[30:31]
	ds_load_2addr_b64 v[216:219], v214 offset0:102 offset1:103
	v_fma_f64 v[212:213], v[242:243], v[28:29], v[212:213]
	v_fma_f64 v[28:29], v[240:241], v[28:29], -v[30:31]
	s_waitcnt lgkmcnt(0)
	s_delay_alu instid0(VALU_DEP_2) | instskip(NEXT) | instid1(VALU_DEP_1)
	v_mul_f64 v[30:31], v[218:219], v[212:213]
	v_fma_f64 v[30:31], v[216:217], v[28:29], -v[30:31]
	v_mul_f64 v[216:217], v[216:217], v[212:213]
	s_delay_alu instid0(VALU_DEP_2) | instskip(NEXT) | instid1(VALU_DEP_2)
	v_add_f64 v[24:25], v[24:25], -v[30:31]
	v_fma_f64 v[216:217], v[218:219], v[28:29], v[216:217]
	s_delay_alu instid0(VALU_DEP_1) | instskip(SKIP_3) | instid1(VALU_DEP_1)
	v_add_f64 v[26:27], v[26:27], -v[216:217]
	ds_load_2addr_b64 v[216:219], v214 offset0:104 offset1:105
	s_waitcnt lgkmcnt(0)
	v_mul_f64 v[30:31], v[218:219], v[212:213]
	v_fma_f64 v[30:31], v[216:217], v[28:29], -v[30:31]
	v_mul_f64 v[216:217], v[216:217], v[212:213]
	s_delay_alu instid0(VALU_DEP_2) | instskip(NEXT) | instid1(VALU_DEP_2)
	v_add_f64 v[20:21], v[20:21], -v[30:31]
	v_fma_f64 v[216:217], v[218:219], v[28:29], v[216:217]
	s_delay_alu instid0(VALU_DEP_1) | instskip(SKIP_3) | instid1(VALU_DEP_1)
	v_add_f64 v[22:23], v[22:23], -v[216:217]
	ds_load_2addr_b64 v[216:219], v214 offset0:106 offset1:107
	s_waitcnt lgkmcnt(0)
	;; [unrolled: 10-line block ×6, first 2 shown]
	v_mul_f64 v[30:31], v[218:219], v[212:213]
	v_fma_f64 v[30:31], v[216:217], v[28:29], -v[30:31]
	v_mul_f64 v[216:217], v[216:217], v[212:213]
	s_delay_alu instid0(VALU_DEP_2) | instskip(NEXT) | instid1(VALU_DEP_2)
	v_add_f64 v[0:1], v[0:1], -v[30:31]
	v_fma_f64 v[216:217], v[218:219], v[28:29], v[216:217]
	v_dual_mov_b32 v30, v212 :: v_dual_mov_b32 v31, v213
	s_delay_alu instid0(VALU_DEP_2)
	v_add_f64 v[2:3], v[2:3], -v[216:217]
.LBB115_460:
	s_or_b32 exec_lo, exec_lo, s3
	s_delay_alu instid0(SALU_CYCLE_1)
	s_mov_b32 s4, exec_lo
	s_waitcnt lgkmcnt(0)
	s_barrier
	buffer_gl0_inv
	v_cmpx_eq_u32_e32 51, v208
	s_cbranch_execz .LBB115_467
; %bb.461:
	ds_store_2addr_b64 v209, v[24:25], v[26:27] offset1:1
	ds_store_2addr_b64 v214, v[20:21], v[22:23] offset0:104 offset1:105
	ds_store_2addr_b64 v214, v[16:17], v[18:19] offset0:106 offset1:107
	;; [unrolled: 1-line block ×6, first 2 shown]
	ds_load_2addr_b64 v[216:219], v209 offset1:1
	s_waitcnt lgkmcnt(0)
	v_cmp_neq_f64_e32 vcc_lo, 0, v[216:217]
	v_cmp_neq_f64_e64 s3, 0, v[218:219]
	s_delay_alu instid0(VALU_DEP_1) | instskip(NEXT) | instid1(SALU_CYCLE_1)
	s_or_b32 s3, vcc_lo, s3
	s_and_b32 exec_lo, exec_lo, s3
	s_cbranch_execz .LBB115_467
; %bb.462:
	v_cmp_gt_f64_e32 vcc_lo, 0, v[216:217]
	v_xor_b32_e32 v212, 0x80000000, v217
	v_xor_b32_e32 v215, 0x80000000, v219
	s_delay_alu instid0(VALU_DEP_2) | instskip(SKIP_2) | instid1(VALU_DEP_4)
	v_cndmask_b32_e32 v213, v217, v212, vcc_lo
	v_cndmask_b32_e32 v212, v216, v216, vcc_lo
	v_cmp_gt_f64_e32 vcc_lo, 0, v[218:219]
	v_dual_cndmask_b32 v221, v219, v215 :: v_dual_cndmask_b32 v220, v218, v218
	s_delay_alu instid0(VALU_DEP_1) | instskip(SKIP_1) | instid1(SALU_CYCLE_1)
	v_cmp_ngt_f64_e32 vcc_lo, v[212:213], v[220:221]
                                        ; implicit-def: $vgpr212_vgpr213
	s_and_saveexec_b32 s3, vcc_lo
	s_xor_b32 s3, exec_lo, s3
                                        ; implicit-def: $vgpr220_vgpr221_vgpr222_vgpr223
	s_cbranch_execz .LBB115_464
; %bb.463:
	v_div_scale_f64 v[212:213], null, v[218:219], v[218:219], v[216:217]
	v_div_scale_f64 v[224:225], vcc_lo, v[216:217], v[218:219], v[216:217]
	s_delay_alu instid0(VALU_DEP_2) | instskip(SKIP_2) | instid1(VALU_DEP_1)
	v_rcp_f64_e32 v[220:221], v[212:213]
	s_waitcnt_depctr 0xfff
	v_fma_f64 v[222:223], -v[212:213], v[220:221], 1.0
	v_fma_f64 v[220:221], v[220:221], v[222:223], v[220:221]
	s_delay_alu instid0(VALU_DEP_1) | instskip(NEXT) | instid1(VALU_DEP_1)
	v_fma_f64 v[222:223], -v[212:213], v[220:221], 1.0
	v_fma_f64 v[220:221], v[220:221], v[222:223], v[220:221]
	s_delay_alu instid0(VALU_DEP_1) | instskip(NEXT) | instid1(VALU_DEP_1)
	v_mul_f64 v[222:223], v[224:225], v[220:221]
	v_fma_f64 v[212:213], -v[212:213], v[222:223], v[224:225]
	s_delay_alu instid0(VALU_DEP_1) | instskip(NEXT) | instid1(VALU_DEP_1)
	v_div_fmas_f64 v[212:213], v[212:213], v[220:221], v[222:223]
	v_div_fixup_f64 v[212:213], v[212:213], v[218:219], v[216:217]
	s_delay_alu instid0(VALU_DEP_1) | instskip(NEXT) | instid1(VALU_DEP_1)
	v_fma_f64 v[216:217], v[216:217], v[212:213], v[218:219]
	v_div_scale_f64 v[218:219], null, v[216:217], v[216:217], 1.0
	s_delay_alu instid0(VALU_DEP_1) | instskip(SKIP_2) | instid1(VALU_DEP_1)
	v_rcp_f64_e32 v[220:221], v[218:219]
	s_waitcnt_depctr 0xfff
	v_fma_f64 v[222:223], -v[218:219], v[220:221], 1.0
	v_fma_f64 v[220:221], v[220:221], v[222:223], v[220:221]
	s_delay_alu instid0(VALU_DEP_1) | instskip(NEXT) | instid1(VALU_DEP_1)
	v_fma_f64 v[222:223], -v[218:219], v[220:221], 1.0
	v_fma_f64 v[220:221], v[220:221], v[222:223], v[220:221]
	v_div_scale_f64 v[222:223], vcc_lo, 1.0, v[216:217], 1.0
	s_delay_alu instid0(VALU_DEP_1) | instskip(NEXT) | instid1(VALU_DEP_1)
	v_mul_f64 v[224:225], v[222:223], v[220:221]
	v_fma_f64 v[218:219], -v[218:219], v[224:225], v[222:223]
	s_delay_alu instid0(VALU_DEP_1) | instskip(NEXT) | instid1(VALU_DEP_1)
	v_div_fmas_f64 v[218:219], v[218:219], v[220:221], v[224:225]
	v_div_fixup_f64 v[222:223], v[218:219], v[216:217], 1.0
                                        ; implicit-def: $vgpr216_vgpr217
	s_delay_alu instid0(VALU_DEP_1)
	v_mul_f64 v[212:213], v[212:213], v[222:223]
	v_xor_b32_e32 v223, 0x80000000, v223
.LBB115_464:
	s_and_not1_saveexec_b32 s3, s3
	s_cbranch_execz .LBB115_466
; %bb.465:
	v_div_scale_f64 v[212:213], null, v[216:217], v[216:217], v[218:219]
	v_div_scale_f64 v[224:225], vcc_lo, v[218:219], v[216:217], v[218:219]
	s_delay_alu instid0(VALU_DEP_2) | instskip(SKIP_2) | instid1(VALU_DEP_1)
	v_rcp_f64_e32 v[220:221], v[212:213]
	s_waitcnt_depctr 0xfff
	v_fma_f64 v[222:223], -v[212:213], v[220:221], 1.0
	v_fma_f64 v[220:221], v[220:221], v[222:223], v[220:221]
	s_delay_alu instid0(VALU_DEP_1) | instskip(NEXT) | instid1(VALU_DEP_1)
	v_fma_f64 v[222:223], -v[212:213], v[220:221], 1.0
	v_fma_f64 v[220:221], v[220:221], v[222:223], v[220:221]
	s_delay_alu instid0(VALU_DEP_1) | instskip(NEXT) | instid1(VALU_DEP_1)
	v_mul_f64 v[222:223], v[224:225], v[220:221]
	v_fma_f64 v[212:213], -v[212:213], v[222:223], v[224:225]
	s_delay_alu instid0(VALU_DEP_1) | instskip(NEXT) | instid1(VALU_DEP_1)
	v_div_fmas_f64 v[212:213], v[212:213], v[220:221], v[222:223]
	v_div_fixup_f64 v[220:221], v[212:213], v[216:217], v[218:219]
	s_delay_alu instid0(VALU_DEP_1) | instskip(NEXT) | instid1(VALU_DEP_1)
	v_fma_f64 v[212:213], v[218:219], v[220:221], v[216:217]
	v_div_scale_f64 v[216:217], null, v[212:213], v[212:213], 1.0
	s_delay_alu instid0(VALU_DEP_1) | instskip(SKIP_2) | instid1(VALU_DEP_1)
	v_rcp_f64_e32 v[218:219], v[216:217]
	s_waitcnt_depctr 0xfff
	v_fma_f64 v[222:223], -v[216:217], v[218:219], 1.0
	v_fma_f64 v[218:219], v[218:219], v[222:223], v[218:219]
	s_delay_alu instid0(VALU_DEP_1) | instskip(NEXT) | instid1(VALU_DEP_1)
	v_fma_f64 v[222:223], -v[216:217], v[218:219], 1.0
	v_fma_f64 v[218:219], v[218:219], v[222:223], v[218:219]
	v_div_scale_f64 v[222:223], vcc_lo, 1.0, v[212:213], 1.0
	s_delay_alu instid0(VALU_DEP_1) | instskip(NEXT) | instid1(VALU_DEP_1)
	v_mul_f64 v[224:225], v[222:223], v[218:219]
	v_fma_f64 v[216:217], -v[216:217], v[224:225], v[222:223]
	s_delay_alu instid0(VALU_DEP_1) | instskip(NEXT) | instid1(VALU_DEP_1)
	v_div_fmas_f64 v[216:217], v[216:217], v[218:219], v[224:225]
	v_div_fixup_f64 v[212:213], v[216:217], v[212:213], 1.0
	s_delay_alu instid0(VALU_DEP_1)
	v_mul_f64 v[222:223], v[220:221], -v[212:213]
.LBB115_466:
	s_or_b32 exec_lo, exec_lo, s3
	ds_store_2addr_b64 v209, v[212:213], v[222:223] offset1:1
.LBB115_467:
	s_or_b32 exec_lo, exec_lo, s4
	s_waitcnt lgkmcnt(0)
	s_barrier
	buffer_gl0_inv
	ds_load_2addr_b64 v[244:247], v209 offset1:1
	s_mov_b32 s3, exec_lo
	v_cmpx_lt_u32_e32 51, v208
	s_cbranch_execz .LBB115_469
; %bb.468:
	s_waitcnt lgkmcnt(0)
	v_mul_f64 v[212:213], v[244:245], v[26:27]
	v_mul_f64 v[26:27], v[246:247], v[26:27]
	ds_load_2addr_b64 v[216:219], v214 offset0:104 offset1:105
	v_fma_f64 v[212:213], v[246:247], v[24:25], v[212:213]
	v_fma_f64 v[24:25], v[244:245], v[24:25], -v[26:27]
	s_waitcnt lgkmcnt(0)
	s_delay_alu instid0(VALU_DEP_2) | instskip(NEXT) | instid1(VALU_DEP_1)
	v_mul_f64 v[26:27], v[218:219], v[212:213]
	v_fma_f64 v[26:27], v[216:217], v[24:25], -v[26:27]
	v_mul_f64 v[216:217], v[216:217], v[212:213]
	s_delay_alu instid0(VALU_DEP_2) | instskip(NEXT) | instid1(VALU_DEP_2)
	v_add_f64 v[20:21], v[20:21], -v[26:27]
	v_fma_f64 v[216:217], v[218:219], v[24:25], v[216:217]
	s_delay_alu instid0(VALU_DEP_1) | instskip(SKIP_3) | instid1(VALU_DEP_1)
	v_add_f64 v[22:23], v[22:23], -v[216:217]
	ds_load_2addr_b64 v[216:219], v214 offset0:106 offset1:107
	s_waitcnt lgkmcnt(0)
	v_mul_f64 v[26:27], v[218:219], v[212:213]
	v_fma_f64 v[26:27], v[216:217], v[24:25], -v[26:27]
	v_mul_f64 v[216:217], v[216:217], v[212:213]
	s_delay_alu instid0(VALU_DEP_2) | instskip(NEXT) | instid1(VALU_DEP_2)
	v_add_f64 v[16:17], v[16:17], -v[26:27]
	v_fma_f64 v[216:217], v[218:219], v[24:25], v[216:217]
	s_delay_alu instid0(VALU_DEP_1) | instskip(SKIP_3) | instid1(VALU_DEP_1)
	v_add_f64 v[18:19], v[18:19], -v[216:217]
	ds_load_2addr_b64 v[216:219], v214 offset0:108 offset1:109
	s_waitcnt lgkmcnt(0)
	;; [unrolled: 10-line block ×5, first 2 shown]
	v_mul_f64 v[26:27], v[218:219], v[212:213]
	v_fma_f64 v[26:27], v[216:217], v[24:25], -v[26:27]
	v_mul_f64 v[216:217], v[216:217], v[212:213]
	s_delay_alu instid0(VALU_DEP_2) | instskip(NEXT) | instid1(VALU_DEP_2)
	v_add_f64 v[0:1], v[0:1], -v[26:27]
	v_fma_f64 v[216:217], v[218:219], v[24:25], v[216:217]
	v_dual_mov_b32 v26, v212 :: v_dual_mov_b32 v27, v213
	s_delay_alu instid0(VALU_DEP_2)
	v_add_f64 v[2:3], v[2:3], -v[216:217]
.LBB115_469:
	s_or_b32 exec_lo, exec_lo, s3
	s_delay_alu instid0(SALU_CYCLE_1)
	s_mov_b32 s4, exec_lo
	s_waitcnt lgkmcnt(0)
	s_barrier
	buffer_gl0_inv
	v_cmpx_eq_u32_e32 52, v208
	s_cbranch_execz .LBB115_476
; %bb.470:
	ds_store_2addr_b64 v209, v[20:21], v[22:23] offset1:1
	ds_store_2addr_b64 v214, v[16:17], v[18:19] offset0:106 offset1:107
	ds_store_2addr_b64 v214, v[12:13], v[14:15] offset0:108 offset1:109
	ds_store_2addr_b64 v214, v[8:9], v[10:11] offset0:110 offset1:111
	ds_store_2addr_b64 v214, v[4:5], v[6:7] offset0:112 offset1:113
	ds_store_2addr_b64 v214, v[0:1], v[2:3] offset0:114 offset1:115
	ds_load_2addr_b64 v[216:219], v209 offset1:1
	s_waitcnt lgkmcnt(0)
	v_cmp_neq_f64_e32 vcc_lo, 0, v[216:217]
	v_cmp_neq_f64_e64 s3, 0, v[218:219]
	s_delay_alu instid0(VALU_DEP_1) | instskip(NEXT) | instid1(SALU_CYCLE_1)
	s_or_b32 s3, vcc_lo, s3
	s_and_b32 exec_lo, exec_lo, s3
	s_cbranch_execz .LBB115_476
; %bb.471:
	v_cmp_gt_f64_e32 vcc_lo, 0, v[216:217]
	v_xor_b32_e32 v212, 0x80000000, v217
	v_xor_b32_e32 v215, 0x80000000, v219
	s_delay_alu instid0(VALU_DEP_2) | instskip(SKIP_2) | instid1(VALU_DEP_4)
	v_cndmask_b32_e32 v213, v217, v212, vcc_lo
	v_cndmask_b32_e32 v212, v216, v216, vcc_lo
	v_cmp_gt_f64_e32 vcc_lo, 0, v[218:219]
	v_dual_cndmask_b32 v221, v219, v215 :: v_dual_cndmask_b32 v220, v218, v218
	s_delay_alu instid0(VALU_DEP_1) | instskip(SKIP_1) | instid1(SALU_CYCLE_1)
	v_cmp_ngt_f64_e32 vcc_lo, v[212:213], v[220:221]
                                        ; implicit-def: $vgpr212_vgpr213
	s_and_saveexec_b32 s3, vcc_lo
	s_xor_b32 s3, exec_lo, s3
                                        ; implicit-def: $vgpr220_vgpr221_vgpr222_vgpr223
	s_cbranch_execz .LBB115_473
; %bb.472:
	v_div_scale_f64 v[212:213], null, v[218:219], v[218:219], v[216:217]
	v_div_scale_f64 v[224:225], vcc_lo, v[216:217], v[218:219], v[216:217]
	s_delay_alu instid0(VALU_DEP_2) | instskip(SKIP_2) | instid1(VALU_DEP_1)
	v_rcp_f64_e32 v[220:221], v[212:213]
	s_waitcnt_depctr 0xfff
	v_fma_f64 v[222:223], -v[212:213], v[220:221], 1.0
	v_fma_f64 v[220:221], v[220:221], v[222:223], v[220:221]
	s_delay_alu instid0(VALU_DEP_1) | instskip(NEXT) | instid1(VALU_DEP_1)
	v_fma_f64 v[222:223], -v[212:213], v[220:221], 1.0
	v_fma_f64 v[220:221], v[220:221], v[222:223], v[220:221]
	s_delay_alu instid0(VALU_DEP_1) | instskip(NEXT) | instid1(VALU_DEP_1)
	v_mul_f64 v[222:223], v[224:225], v[220:221]
	v_fma_f64 v[212:213], -v[212:213], v[222:223], v[224:225]
	s_delay_alu instid0(VALU_DEP_1) | instskip(NEXT) | instid1(VALU_DEP_1)
	v_div_fmas_f64 v[212:213], v[212:213], v[220:221], v[222:223]
	v_div_fixup_f64 v[212:213], v[212:213], v[218:219], v[216:217]
	s_delay_alu instid0(VALU_DEP_1) | instskip(NEXT) | instid1(VALU_DEP_1)
	v_fma_f64 v[216:217], v[216:217], v[212:213], v[218:219]
	v_div_scale_f64 v[218:219], null, v[216:217], v[216:217], 1.0
	s_delay_alu instid0(VALU_DEP_1) | instskip(SKIP_2) | instid1(VALU_DEP_1)
	v_rcp_f64_e32 v[220:221], v[218:219]
	s_waitcnt_depctr 0xfff
	v_fma_f64 v[222:223], -v[218:219], v[220:221], 1.0
	v_fma_f64 v[220:221], v[220:221], v[222:223], v[220:221]
	s_delay_alu instid0(VALU_DEP_1) | instskip(NEXT) | instid1(VALU_DEP_1)
	v_fma_f64 v[222:223], -v[218:219], v[220:221], 1.0
	v_fma_f64 v[220:221], v[220:221], v[222:223], v[220:221]
	v_div_scale_f64 v[222:223], vcc_lo, 1.0, v[216:217], 1.0
	s_delay_alu instid0(VALU_DEP_1) | instskip(NEXT) | instid1(VALU_DEP_1)
	v_mul_f64 v[224:225], v[222:223], v[220:221]
	v_fma_f64 v[218:219], -v[218:219], v[224:225], v[222:223]
	s_delay_alu instid0(VALU_DEP_1) | instskip(NEXT) | instid1(VALU_DEP_1)
	v_div_fmas_f64 v[218:219], v[218:219], v[220:221], v[224:225]
	v_div_fixup_f64 v[222:223], v[218:219], v[216:217], 1.0
                                        ; implicit-def: $vgpr216_vgpr217
	s_delay_alu instid0(VALU_DEP_1)
	v_mul_f64 v[212:213], v[212:213], v[222:223]
	v_xor_b32_e32 v223, 0x80000000, v223
.LBB115_473:
	s_and_not1_saveexec_b32 s3, s3
	s_cbranch_execz .LBB115_475
; %bb.474:
	v_div_scale_f64 v[212:213], null, v[216:217], v[216:217], v[218:219]
	v_div_scale_f64 v[224:225], vcc_lo, v[218:219], v[216:217], v[218:219]
	s_delay_alu instid0(VALU_DEP_2) | instskip(SKIP_2) | instid1(VALU_DEP_1)
	v_rcp_f64_e32 v[220:221], v[212:213]
	s_waitcnt_depctr 0xfff
	v_fma_f64 v[222:223], -v[212:213], v[220:221], 1.0
	v_fma_f64 v[220:221], v[220:221], v[222:223], v[220:221]
	s_delay_alu instid0(VALU_DEP_1) | instskip(NEXT) | instid1(VALU_DEP_1)
	v_fma_f64 v[222:223], -v[212:213], v[220:221], 1.0
	v_fma_f64 v[220:221], v[220:221], v[222:223], v[220:221]
	s_delay_alu instid0(VALU_DEP_1) | instskip(NEXT) | instid1(VALU_DEP_1)
	v_mul_f64 v[222:223], v[224:225], v[220:221]
	v_fma_f64 v[212:213], -v[212:213], v[222:223], v[224:225]
	s_delay_alu instid0(VALU_DEP_1) | instskip(NEXT) | instid1(VALU_DEP_1)
	v_div_fmas_f64 v[212:213], v[212:213], v[220:221], v[222:223]
	v_div_fixup_f64 v[220:221], v[212:213], v[216:217], v[218:219]
	s_delay_alu instid0(VALU_DEP_1) | instskip(NEXT) | instid1(VALU_DEP_1)
	v_fma_f64 v[212:213], v[218:219], v[220:221], v[216:217]
	v_div_scale_f64 v[216:217], null, v[212:213], v[212:213], 1.0
	s_delay_alu instid0(VALU_DEP_1) | instskip(SKIP_2) | instid1(VALU_DEP_1)
	v_rcp_f64_e32 v[218:219], v[216:217]
	s_waitcnt_depctr 0xfff
	v_fma_f64 v[222:223], -v[216:217], v[218:219], 1.0
	v_fma_f64 v[218:219], v[218:219], v[222:223], v[218:219]
	s_delay_alu instid0(VALU_DEP_1) | instskip(NEXT) | instid1(VALU_DEP_1)
	v_fma_f64 v[222:223], -v[216:217], v[218:219], 1.0
	v_fma_f64 v[218:219], v[218:219], v[222:223], v[218:219]
	v_div_scale_f64 v[222:223], vcc_lo, 1.0, v[212:213], 1.0
	s_delay_alu instid0(VALU_DEP_1) | instskip(NEXT) | instid1(VALU_DEP_1)
	v_mul_f64 v[224:225], v[222:223], v[218:219]
	v_fma_f64 v[216:217], -v[216:217], v[224:225], v[222:223]
	s_delay_alu instid0(VALU_DEP_1) | instskip(NEXT) | instid1(VALU_DEP_1)
	v_div_fmas_f64 v[216:217], v[216:217], v[218:219], v[224:225]
	v_div_fixup_f64 v[212:213], v[216:217], v[212:213], 1.0
	s_delay_alu instid0(VALU_DEP_1)
	v_mul_f64 v[222:223], v[220:221], -v[212:213]
.LBB115_475:
	s_or_b32 exec_lo, exec_lo, s3
	ds_store_2addr_b64 v209, v[212:213], v[222:223] offset1:1
.LBB115_476:
	s_or_b32 exec_lo, exec_lo, s4
	s_waitcnt lgkmcnt(0)
	s_barrier
	buffer_gl0_inv
	ds_load_2addr_b64 v[248:251], v209 offset1:1
	s_mov_b32 s3, exec_lo
	v_cmpx_lt_u32_e32 52, v208
	s_cbranch_execz .LBB115_478
; %bb.477:
	s_waitcnt lgkmcnt(0)
	v_mul_f64 v[212:213], v[248:249], v[22:23]
	v_mul_f64 v[22:23], v[250:251], v[22:23]
	ds_load_2addr_b64 v[216:219], v214 offset0:106 offset1:107
	v_fma_f64 v[212:213], v[250:251], v[20:21], v[212:213]
	v_fma_f64 v[20:21], v[248:249], v[20:21], -v[22:23]
	s_waitcnt lgkmcnt(0)
	s_delay_alu instid0(VALU_DEP_2) | instskip(NEXT) | instid1(VALU_DEP_1)
	v_mul_f64 v[22:23], v[218:219], v[212:213]
	v_fma_f64 v[22:23], v[216:217], v[20:21], -v[22:23]
	v_mul_f64 v[216:217], v[216:217], v[212:213]
	s_delay_alu instid0(VALU_DEP_2) | instskip(NEXT) | instid1(VALU_DEP_2)
	v_add_f64 v[16:17], v[16:17], -v[22:23]
	v_fma_f64 v[216:217], v[218:219], v[20:21], v[216:217]
	s_delay_alu instid0(VALU_DEP_1) | instskip(SKIP_3) | instid1(VALU_DEP_1)
	v_add_f64 v[18:19], v[18:19], -v[216:217]
	ds_load_2addr_b64 v[216:219], v214 offset0:108 offset1:109
	s_waitcnt lgkmcnt(0)
	v_mul_f64 v[22:23], v[218:219], v[212:213]
	v_fma_f64 v[22:23], v[216:217], v[20:21], -v[22:23]
	v_mul_f64 v[216:217], v[216:217], v[212:213]
	s_delay_alu instid0(VALU_DEP_2) | instskip(NEXT) | instid1(VALU_DEP_2)
	v_add_f64 v[12:13], v[12:13], -v[22:23]
	v_fma_f64 v[216:217], v[218:219], v[20:21], v[216:217]
	s_delay_alu instid0(VALU_DEP_1) | instskip(SKIP_3) | instid1(VALU_DEP_1)
	v_add_f64 v[14:15], v[14:15], -v[216:217]
	ds_load_2addr_b64 v[216:219], v214 offset0:110 offset1:111
	s_waitcnt lgkmcnt(0)
	;; [unrolled: 10-line block ×4, first 2 shown]
	v_mul_f64 v[22:23], v[218:219], v[212:213]
	v_fma_f64 v[22:23], v[216:217], v[20:21], -v[22:23]
	v_mul_f64 v[216:217], v[216:217], v[212:213]
	s_delay_alu instid0(VALU_DEP_2) | instskip(NEXT) | instid1(VALU_DEP_2)
	v_add_f64 v[0:1], v[0:1], -v[22:23]
	v_fma_f64 v[216:217], v[218:219], v[20:21], v[216:217]
	v_dual_mov_b32 v22, v212 :: v_dual_mov_b32 v23, v213
	s_delay_alu instid0(VALU_DEP_2)
	v_add_f64 v[2:3], v[2:3], -v[216:217]
.LBB115_478:
	s_or_b32 exec_lo, exec_lo, s3
	s_delay_alu instid0(SALU_CYCLE_1)
	s_mov_b32 s4, exec_lo
	s_waitcnt lgkmcnt(0)
	s_barrier
	buffer_gl0_inv
	v_cmpx_eq_u32_e32 53, v208
	s_cbranch_execz .LBB115_485
; %bb.479:
	ds_store_2addr_b64 v209, v[16:17], v[18:19] offset1:1
	ds_store_2addr_b64 v214, v[12:13], v[14:15] offset0:108 offset1:109
	ds_store_2addr_b64 v214, v[8:9], v[10:11] offset0:110 offset1:111
	;; [unrolled: 1-line block ×4, first 2 shown]
	ds_load_2addr_b64 v[216:219], v209 offset1:1
	s_waitcnt lgkmcnt(0)
	v_cmp_neq_f64_e32 vcc_lo, 0, v[216:217]
	v_cmp_neq_f64_e64 s3, 0, v[218:219]
	s_delay_alu instid0(VALU_DEP_1) | instskip(NEXT) | instid1(SALU_CYCLE_1)
	s_or_b32 s3, vcc_lo, s3
	s_and_b32 exec_lo, exec_lo, s3
	s_cbranch_execz .LBB115_485
; %bb.480:
	v_cmp_gt_f64_e32 vcc_lo, 0, v[216:217]
	v_xor_b32_e32 v212, 0x80000000, v217
	v_xor_b32_e32 v215, 0x80000000, v219
	s_delay_alu instid0(VALU_DEP_2) | instskip(SKIP_2) | instid1(VALU_DEP_4)
	v_cndmask_b32_e32 v213, v217, v212, vcc_lo
	v_cndmask_b32_e32 v212, v216, v216, vcc_lo
	v_cmp_gt_f64_e32 vcc_lo, 0, v[218:219]
	v_dual_cndmask_b32 v221, v219, v215 :: v_dual_cndmask_b32 v220, v218, v218
	s_delay_alu instid0(VALU_DEP_1) | instskip(SKIP_1) | instid1(SALU_CYCLE_1)
	v_cmp_ngt_f64_e32 vcc_lo, v[212:213], v[220:221]
                                        ; implicit-def: $vgpr212_vgpr213
	s_and_saveexec_b32 s3, vcc_lo
	s_xor_b32 s3, exec_lo, s3
                                        ; implicit-def: $vgpr220_vgpr221_vgpr222_vgpr223
	s_cbranch_execz .LBB115_482
; %bb.481:
	v_div_scale_f64 v[212:213], null, v[218:219], v[218:219], v[216:217]
	v_div_scale_f64 v[224:225], vcc_lo, v[216:217], v[218:219], v[216:217]
	s_delay_alu instid0(VALU_DEP_2) | instskip(SKIP_2) | instid1(VALU_DEP_1)
	v_rcp_f64_e32 v[220:221], v[212:213]
	s_waitcnt_depctr 0xfff
	v_fma_f64 v[222:223], -v[212:213], v[220:221], 1.0
	v_fma_f64 v[220:221], v[220:221], v[222:223], v[220:221]
	s_delay_alu instid0(VALU_DEP_1) | instskip(NEXT) | instid1(VALU_DEP_1)
	v_fma_f64 v[222:223], -v[212:213], v[220:221], 1.0
	v_fma_f64 v[220:221], v[220:221], v[222:223], v[220:221]
	s_delay_alu instid0(VALU_DEP_1) | instskip(NEXT) | instid1(VALU_DEP_1)
	v_mul_f64 v[222:223], v[224:225], v[220:221]
	v_fma_f64 v[212:213], -v[212:213], v[222:223], v[224:225]
	s_delay_alu instid0(VALU_DEP_1) | instskip(NEXT) | instid1(VALU_DEP_1)
	v_div_fmas_f64 v[212:213], v[212:213], v[220:221], v[222:223]
	v_div_fixup_f64 v[212:213], v[212:213], v[218:219], v[216:217]
	s_delay_alu instid0(VALU_DEP_1) | instskip(NEXT) | instid1(VALU_DEP_1)
	v_fma_f64 v[216:217], v[216:217], v[212:213], v[218:219]
	v_div_scale_f64 v[218:219], null, v[216:217], v[216:217], 1.0
	s_delay_alu instid0(VALU_DEP_1) | instskip(SKIP_2) | instid1(VALU_DEP_1)
	v_rcp_f64_e32 v[220:221], v[218:219]
	s_waitcnt_depctr 0xfff
	v_fma_f64 v[222:223], -v[218:219], v[220:221], 1.0
	v_fma_f64 v[220:221], v[220:221], v[222:223], v[220:221]
	s_delay_alu instid0(VALU_DEP_1) | instskip(NEXT) | instid1(VALU_DEP_1)
	v_fma_f64 v[222:223], -v[218:219], v[220:221], 1.0
	v_fma_f64 v[220:221], v[220:221], v[222:223], v[220:221]
	v_div_scale_f64 v[222:223], vcc_lo, 1.0, v[216:217], 1.0
	s_delay_alu instid0(VALU_DEP_1) | instskip(NEXT) | instid1(VALU_DEP_1)
	v_mul_f64 v[224:225], v[222:223], v[220:221]
	v_fma_f64 v[218:219], -v[218:219], v[224:225], v[222:223]
	s_delay_alu instid0(VALU_DEP_1) | instskip(NEXT) | instid1(VALU_DEP_1)
	v_div_fmas_f64 v[218:219], v[218:219], v[220:221], v[224:225]
	v_div_fixup_f64 v[222:223], v[218:219], v[216:217], 1.0
                                        ; implicit-def: $vgpr216_vgpr217
	s_delay_alu instid0(VALU_DEP_1)
	v_mul_f64 v[212:213], v[212:213], v[222:223]
	v_xor_b32_e32 v223, 0x80000000, v223
.LBB115_482:
	s_and_not1_saveexec_b32 s3, s3
	s_cbranch_execz .LBB115_484
; %bb.483:
	v_div_scale_f64 v[212:213], null, v[216:217], v[216:217], v[218:219]
	v_div_scale_f64 v[224:225], vcc_lo, v[218:219], v[216:217], v[218:219]
	s_delay_alu instid0(VALU_DEP_2) | instskip(SKIP_2) | instid1(VALU_DEP_1)
	v_rcp_f64_e32 v[220:221], v[212:213]
	s_waitcnt_depctr 0xfff
	v_fma_f64 v[222:223], -v[212:213], v[220:221], 1.0
	v_fma_f64 v[220:221], v[220:221], v[222:223], v[220:221]
	s_delay_alu instid0(VALU_DEP_1) | instskip(NEXT) | instid1(VALU_DEP_1)
	v_fma_f64 v[222:223], -v[212:213], v[220:221], 1.0
	v_fma_f64 v[220:221], v[220:221], v[222:223], v[220:221]
	s_delay_alu instid0(VALU_DEP_1) | instskip(NEXT) | instid1(VALU_DEP_1)
	v_mul_f64 v[222:223], v[224:225], v[220:221]
	v_fma_f64 v[212:213], -v[212:213], v[222:223], v[224:225]
	s_delay_alu instid0(VALU_DEP_1) | instskip(NEXT) | instid1(VALU_DEP_1)
	v_div_fmas_f64 v[212:213], v[212:213], v[220:221], v[222:223]
	v_div_fixup_f64 v[220:221], v[212:213], v[216:217], v[218:219]
	s_delay_alu instid0(VALU_DEP_1) | instskip(NEXT) | instid1(VALU_DEP_1)
	v_fma_f64 v[212:213], v[218:219], v[220:221], v[216:217]
	v_div_scale_f64 v[216:217], null, v[212:213], v[212:213], 1.0
	s_delay_alu instid0(VALU_DEP_1) | instskip(SKIP_2) | instid1(VALU_DEP_1)
	v_rcp_f64_e32 v[218:219], v[216:217]
	s_waitcnt_depctr 0xfff
	v_fma_f64 v[222:223], -v[216:217], v[218:219], 1.0
	v_fma_f64 v[218:219], v[218:219], v[222:223], v[218:219]
	s_delay_alu instid0(VALU_DEP_1) | instskip(NEXT) | instid1(VALU_DEP_1)
	v_fma_f64 v[222:223], -v[216:217], v[218:219], 1.0
	v_fma_f64 v[218:219], v[218:219], v[222:223], v[218:219]
	v_div_scale_f64 v[222:223], vcc_lo, 1.0, v[212:213], 1.0
	s_delay_alu instid0(VALU_DEP_1) | instskip(NEXT) | instid1(VALU_DEP_1)
	v_mul_f64 v[224:225], v[222:223], v[218:219]
	v_fma_f64 v[216:217], -v[216:217], v[224:225], v[222:223]
	s_delay_alu instid0(VALU_DEP_1) | instskip(NEXT) | instid1(VALU_DEP_1)
	v_div_fmas_f64 v[216:217], v[216:217], v[218:219], v[224:225]
	v_div_fixup_f64 v[212:213], v[216:217], v[212:213], 1.0
	s_delay_alu instid0(VALU_DEP_1)
	v_mul_f64 v[222:223], v[220:221], -v[212:213]
.LBB115_484:
	s_or_b32 exec_lo, exec_lo, s3
	ds_store_2addr_b64 v209, v[212:213], v[222:223] offset1:1
.LBB115_485:
	s_or_b32 exec_lo, exec_lo, s4
	s_waitcnt lgkmcnt(0)
	s_barrier
	buffer_gl0_inv
	ds_load_2addr_b64 v[252:255], v209 offset1:1
	s_mov_b32 s3, exec_lo
	v_cmpx_lt_u32_e32 53, v208
	s_cbranch_execz .LBB115_487
; %bb.486:
	s_waitcnt lgkmcnt(0)
	v_mul_f64 v[212:213], v[252:253], v[18:19]
	v_mul_f64 v[18:19], v[254:255], v[18:19]
	ds_load_2addr_b64 v[216:219], v214 offset0:108 offset1:109
	v_fma_f64 v[212:213], v[254:255], v[16:17], v[212:213]
	v_fma_f64 v[16:17], v[252:253], v[16:17], -v[18:19]
	s_waitcnt lgkmcnt(0)
	s_delay_alu instid0(VALU_DEP_2) | instskip(NEXT) | instid1(VALU_DEP_1)
	v_mul_f64 v[18:19], v[218:219], v[212:213]
	v_fma_f64 v[18:19], v[216:217], v[16:17], -v[18:19]
	v_mul_f64 v[216:217], v[216:217], v[212:213]
	s_delay_alu instid0(VALU_DEP_2) | instskip(NEXT) | instid1(VALU_DEP_2)
	v_add_f64 v[12:13], v[12:13], -v[18:19]
	v_fma_f64 v[216:217], v[218:219], v[16:17], v[216:217]
	s_delay_alu instid0(VALU_DEP_1) | instskip(SKIP_3) | instid1(VALU_DEP_1)
	v_add_f64 v[14:15], v[14:15], -v[216:217]
	ds_load_2addr_b64 v[216:219], v214 offset0:110 offset1:111
	s_waitcnt lgkmcnt(0)
	v_mul_f64 v[18:19], v[218:219], v[212:213]
	v_fma_f64 v[18:19], v[216:217], v[16:17], -v[18:19]
	v_mul_f64 v[216:217], v[216:217], v[212:213]
	s_delay_alu instid0(VALU_DEP_2) | instskip(NEXT) | instid1(VALU_DEP_2)
	v_add_f64 v[8:9], v[8:9], -v[18:19]
	v_fma_f64 v[216:217], v[218:219], v[16:17], v[216:217]
	s_delay_alu instid0(VALU_DEP_1) | instskip(SKIP_3) | instid1(VALU_DEP_1)
	v_add_f64 v[10:11], v[10:11], -v[216:217]
	ds_load_2addr_b64 v[216:219], v214 offset0:112 offset1:113
	s_waitcnt lgkmcnt(0)
	;; [unrolled: 10-line block ×3, first 2 shown]
	v_mul_f64 v[18:19], v[218:219], v[212:213]
	v_fma_f64 v[18:19], v[216:217], v[16:17], -v[18:19]
	v_mul_f64 v[216:217], v[216:217], v[212:213]
	s_delay_alu instid0(VALU_DEP_2) | instskip(NEXT) | instid1(VALU_DEP_2)
	v_add_f64 v[0:1], v[0:1], -v[18:19]
	v_fma_f64 v[216:217], v[218:219], v[16:17], v[216:217]
	v_dual_mov_b32 v18, v212 :: v_dual_mov_b32 v19, v213
	s_delay_alu instid0(VALU_DEP_2)
	v_add_f64 v[2:3], v[2:3], -v[216:217]
.LBB115_487:
	s_or_b32 exec_lo, exec_lo, s3
	s_delay_alu instid0(SALU_CYCLE_1)
	s_mov_b32 s4, exec_lo
	s_waitcnt lgkmcnt(0)
	s_barrier
	buffer_gl0_inv
	v_cmpx_eq_u32_e32 54, v208
	s_cbranch_execz .LBB115_494
; %bb.488:
	ds_store_2addr_b64 v209, v[12:13], v[14:15] offset1:1
	ds_store_2addr_b64 v214, v[8:9], v[10:11] offset0:110 offset1:111
	ds_store_2addr_b64 v214, v[4:5], v[6:7] offset0:112 offset1:113
	;; [unrolled: 1-line block ×3, first 2 shown]
	ds_load_2addr_b64 v[216:219], v209 offset1:1
	s_waitcnt lgkmcnt(0)
	v_cmp_neq_f64_e32 vcc_lo, 0, v[216:217]
	v_cmp_neq_f64_e64 s3, 0, v[218:219]
	s_delay_alu instid0(VALU_DEP_1) | instskip(NEXT) | instid1(SALU_CYCLE_1)
	s_or_b32 s3, vcc_lo, s3
	s_and_b32 exec_lo, exec_lo, s3
	s_cbranch_execz .LBB115_494
; %bb.489:
	v_cmp_gt_f64_e32 vcc_lo, 0, v[216:217]
	v_xor_b32_e32 v212, 0x80000000, v217
	v_xor_b32_e32 v215, 0x80000000, v219
	s_delay_alu instid0(VALU_DEP_2) | instskip(SKIP_2) | instid1(VALU_DEP_4)
	v_cndmask_b32_e32 v213, v217, v212, vcc_lo
	v_cndmask_b32_e32 v212, v216, v216, vcc_lo
	v_cmp_gt_f64_e32 vcc_lo, 0, v[218:219]
	v_dual_cndmask_b32 v221, v219, v215 :: v_dual_cndmask_b32 v220, v218, v218
	s_delay_alu instid0(VALU_DEP_1) | instskip(SKIP_1) | instid1(SALU_CYCLE_1)
	v_cmp_ngt_f64_e32 vcc_lo, v[212:213], v[220:221]
                                        ; implicit-def: $vgpr212_vgpr213
	s_and_saveexec_b32 s3, vcc_lo
	s_xor_b32 s3, exec_lo, s3
                                        ; implicit-def: $vgpr220_vgpr221_vgpr222_vgpr223
	s_cbranch_execz .LBB115_491
; %bb.490:
	v_div_scale_f64 v[212:213], null, v[218:219], v[218:219], v[216:217]
	v_div_scale_f64 v[224:225], vcc_lo, v[216:217], v[218:219], v[216:217]
	s_delay_alu instid0(VALU_DEP_2) | instskip(SKIP_2) | instid1(VALU_DEP_1)
	v_rcp_f64_e32 v[220:221], v[212:213]
	s_waitcnt_depctr 0xfff
	v_fma_f64 v[222:223], -v[212:213], v[220:221], 1.0
	v_fma_f64 v[220:221], v[220:221], v[222:223], v[220:221]
	s_delay_alu instid0(VALU_DEP_1) | instskip(NEXT) | instid1(VALU_DEP_1)
	v_fma_f64 v[222:223], -v[212:213], v[220:221], 1.0
	v_fma_f64 v[220:221], v[220:221], v[222:223], v[220:221]
	s_delay_alu instid0(VALU_DEP_1) | instskip(NEXT) | instid1(VALU_DEP_1)
	v_mul_f64 v[222:223], v[224:225], v[220:221]
	v_fma_f64 v[212:213], -v[212:213], v[222:223], v[224:225]
	s_delay_alu instid0(VALU_DEP_1) | instskip(NEXT) | instid1(VALU_DEP_1)
	v_div_fmas_f64 v[212:213], v[212:213], v[220:221], v[222:223]
	v_div_fixup_f64 v[212:213], v[212:213], v[218:219], v[216:217]
	s_delay_alu instid0(VALU_DEP_1) | instskip(NEXT) | instid1(VALU_DEP_1)
	v_fma_f64 v[216:217], v[216:217], v[212:213], v[218:219]
	v_div_scale_f64 v[218:219], null, v[216:217], v[216:217], 1.0
	s_delay_alu instid0(VALU_DEP_1) | instskip(SKIP_2) | instid1(VALU_DEP_1)
	v_rcp_f64_e32 v[220:221], v[218:219]
	s_waitcnt_depctr 0xfff
	v_fma_f64 v[222:223], -v[218:219], v[220:221], 1.0
	v_fma_f64 v[220:221], v[220:221], v[222:223], v[220:221]
	s_delay_alu instid0(VALU_DEP_1) | instskip(NEXT) | instid1(VALU_DEP_1)
	v_fma_f64 v[222:223], -v[218:219], v[220:221], 1.0
	v_fma_f64 v[220:221], v[220:221], v[222:223], v[220:221]
	v_div_scale_f64 v[222:223], vcc_lo, 1.0, v[216:217], 1.0
	s_delay_alu instid0(VALU_DEP_1) | instskip(NEXT) | instid1(VALU_DEP_1)
	v_mul_f64 v[224:225], v[222:223], v[220:221]
	v_fma_f64 v[218:219], -v[218:219], v[224:225], v[222:223]
	s_delay_alu instid0(VALU_DEP_1) | instskip(NEXT) | instid1(VALU_DEP_1)
	v_div_fmas_f64 v[218:219], v[218:219], v[220:221], v[224:225]
	v_div_fixup_f64 v[222:223], v[218:219], v[216:217], 1.0
                                        ; implicit-def: $vgpr216_vgpr217
	s_delay_alu instid0(VALU_DEP_1)
	v_mul_f64 v[212:213], v[212:213], v[222:223]
	v_xor_b32_e32 v223, 0x80000000, v223
.LBB115_491:
	s_and_not1_saveexec_b32 s3, s3
	s_cbranch_execz .LBB115_493
; %bb.492:
	v_div_scale_f64 v[212:213], null, v[216:217], v[216:217], v[218:219]
	v_div_scale_f64 v[224:225], vcc_lo, v[218:219], v[216:217], v[218:219]
	s_delay_alu instid0(VALU_DEP_2) | instskip(SKIP_2) | instid1(VALU_DEP_1)
	v_rcp_f64_e32 v[220:221], v[212:213]
	s_waitcnt_depctr 0xfff
	v_fma_f64 v[222:223], -v[212:213], v[220:221], 1.0
	v_fma_f64 v[220:221], v[220:221], v[222:223], v[220:221]
	s_delay_alu instid0(VALU_DEP_1) | instskip(NEXT) | instid1(VALU_DEP_1)
	v_fma_f64 v[222:223], -v[212:213], v[220:221], 1.0
	v_fma_f64 v[220:221], v[220:221], v[222:223], v[220:221]
	s_delay_alu instid0(VALU_DEP_1) | instskip(NEXT) | instid1(VALU_DEP_1)
	v_mul_f64 v[222:223], v[224:225], v[220:221]
	v_fma_f64 v[212:213], -v[212:213], v[222:223], v[224:225]
	s_delay_alu instid0(VALU_DEP_1) | instskip(NEXT) | instid1(VALU_DEP_1)
	v_div_fmas_f64 v[212:213], v[212:213], v[220:221], v[222:223]
	v_div_fixup_f64 v[220:221], v[212:213], v[216:217], v[218:219]
	s_delay_alu instid0(VALU_DEP_1) | instskip(NEXT) | instid1(VALU_DEP_1)
	v_fma_f64 v[212:213], v[218:219], v[220:221], v[216:217]
	v_div_scale_f64 v[216:217], null, v[212:213], v[212:213], 1.0
	s_delay_alu instid0(VALU_DEP_1) | instskip(SKIP_2) | instid1(VALU_DEP_1)
	v_rcp_f64_e32 v[218:219], v[216:217]
	s_waitcnt_depctr 0xfff
	v_fma_f64 v[222:223], -v[216:217], v[218:219], 1.0
	v_fma_f64 v[218:219], v[218:219], v[222:223], v[218:219]
	s_delay_alu instid0(VALU_DEP_1) | instskip(NEXT) | instid1(VALU_DEP_1)
	v_fma_f64 v[222:223], -v[216:217], v[218:219], 1.0
	v_fma_f64 v[218:219], v[218:219], v[222:223], v[218:219]
	v_div_scale_f64 v[222:223], vcc_lo, 1.0, v[212:213], 1.0
	s_delay_alu instid0(VALU_DEP_1) | instskip(NEXT) | instid1(VALU_DEP_1)
	v_mul_f64 v[224:225], v[222:223], v[218:219]
	v_fma_f64 v[216:217], -v[216:217], v[224:225], v[222:223]
	s_delay_alu instid0(VALU_DEP_1) | instskip(NEXT) | instid1(VALU_DEP_1)
	v_div_fmas_f64 v[216:217], v[216:217], v[218:219], v[224:225]
	v_div_fixup_f64 v[212:213], v[216:217], v[212:213], 1.0
	s_delay_alu instid0(VALU_DEP_1)
	v_mul_f64 v[222:223], v[220:221], -v[212:213]
.LBB115_493:
	s_or_b32 exec_lo, exec_lo, s3
	ds_store_2addr_b64 v209, v[212:213], v[222:223] offset1:1
.LBB115_494:
	s_or_b32 exec_lo, exec_lo, s4
	s_waitcnt lgkmcnt(0)
	s_barrier
	buffer_gl0_inv
	ds_load_2addr_b64 v[228:231], v209 offset1:1
	s_mov_b32 s3, exec_lo
	v_cmpx_lt_u32_e32 54, v208
	s_cbranch_execz .LBB115_496
; %bb.495:
	s_waitcnt lgkmcnt(0)
	v_mul_f64 v[212:213], v[228:229], v[14:15]
	v_mul_f64 v[14:15], v[230:231], v[14:15]
	ds_load_2addr_b64 v[216:219], v214 offset0:110 offset1:111
	v_fma_f64 v[212:213], v[230:231], v[12:13], v[212:213]
	v_fma_f64 v[12:13], v[228:229], v[12:13], -v[14:15]
	s_waitcnt lgkmcnt(0)
	s_delay_alu instid0(VALU_DEP_2) | instskip(NEXT) | instid1(VALU_DEP_1)
	v_mul_f64 v[14:15], v[218:219], v[212:213]
	v_fma_f64 v[14:15], v[216:217], v[12:13], -v[14:15]
	v_mul_f64 v[216:217], v[216:217], v[212:213]
	s_delay_alu instid0(VALU_DEP_2) | instskip(NEXT) | instid1(VALU_DEP_2)
	v_add_f64 v[8:9], v[8:9], -v[14:15]
	v_fma_f64 v[216:217], v[218:219], v[12:13], v[216:217]
	s_delay_alu instid0(VALU_DEP_1) | instskip(SKIP_3) | instid1(VALU_DEP_1)
	v_add_f64 v[10:11], v[10:11], -v[216:217]
	ds_load_2addr_b64 v[216:219], v214 offset0:112 offset1:113
	s_waitcnt lgkmcnt(0)
	v_mul_f64 v[14:15], v[218:219], v[212:213]
	v_fma_f64 v[14:15], v[216:217], v[12:13], -v[14:15]
	v_mul_f64 v[216:217], v[216:217], v[212:213]
	s_delay_alu instid0(VALU_DEP_2) | instskip(NEXT) | instid1(VALU_DEP_2)
	v_add_f64 v[4:5], v[4:5], -v[14:15]
	v_fma_f64 v[216:217], v[218:219], v[12:13], v[216:217]
	s_delay_alu instid0(VALU_DEP_1) | instskip(SKIP_3) | instid1(VALU_DEP_1)
	v_add_f64 v[6:7], v[6:7], -v[216:217]
	ds_load_2addr_b64 v[216:219], v214 offset0:114 offset1:115
	s_waitcnt lgkmcnt(0)
	v_mul_f64 v[14:15], v[218:219], v[212:213]
	v_fma_f64 v[14:15], v[216:217], v[12:13], -v[14:15]
	v_mul_f64 v[216:217], v[216:217], v[212:213]
	s_delay_alu instid0(VALU_DEP_2) | instskip(NEXT) | instid1(VALU_DEP_2)
	v_add_f64 v[0:1], v[0:1], -v[14:15]
	v_fma_f64 v[216:217], v[218:219], v[12:13], v[216:217]
	v_dual_mov_b32 v14, v212 :: v_dual_mov_b32 v15, v213
	s_delay_alu instid0(VALU_DEP_2)
	v_add_f64 v[2:3], v[2:3], -v[216:217]
.LBB115_496:
	s_or_b32 exec_lo, exec_lo, s3
	s_delay_alu instid0(SALU_CYCLE_1)
	s_mov_b32 s4, exec_lo
	s_waitcnt lgkmcnt(0)
	s_barrier
	buffer_gl0_inv
	v_cmpx_eq_u32_e32 55, v208
	s_cbranch_execz .LBB115_503
; %bb.497:
	ds_store_2addr_b64 v209, v[8:9], v[10:11] offset1:1
	ds_store_2addr_b64 v214, v[4:5], v[6:7] offset0:112 offset1:113
	ds_store_2addr_b64 v214, v[0:1], v[2:3] offset0:114 offset1:115
	ds_load_2addr_b64 v[216:219], v209 offset1:1
	s_waitcnt lgkmcnt(0)
	v_cmp_neq_f64_e32 vcc_lo, 0, v[216:217]
	v_cmp_neq_f64_e64 s3, 0, v[218:219]
	s_delay_alu instid0(VALU_DEP_1) | instskip(NEXT) | instid1(SALU_CYCLE_1)
	s_or_b32 s3, vcc_lo, s3
	s_and_b32 exec_lo, exec_lo, s3
	s_cbranch_execz .LBB115_503
; %bb.498:
	v_cmp_gt_f64_e32 vcc_lo, 0, v[216:217]
	v_xor_b32_e32 v212, 0x80000000, v217
	v_xor_b32_e32 v215, 0x80000000, v219
	s_delay_alu instid0(VALU_DEP_2) | instskip(SKIP_2) | instid1(VALU_DEP_4)
	v_cndmask_b32_e32 v213, v217, v212, vcc_lo
	v_cndmask_b32_e32 v212, v216, v216, vcc_lo
	v_cmp_gt_f64_e32 vcc_lo, 0, v[218:219]
	v_dual_cndmask_b32 v221, v219, v215 :: v_dual_cndmask_b32 v220, v218, v218
	s_delay_alu instid0(VALU_DEP_1) | instskip(SKIP_1) | instid1(SALU_CYCLE_1)
	v_cmp_ngt_f64_e32 vcc_lo, v[212:213], v[220:221]
                                        ; implicit-def: $vgpr212_vgpr213
	s_and_saveexec_b32 s3, vcc_lo
	s_xor_b32 s3, exec_lo, s3
                                        ; implicit-def: $vgpr220_vgpr221_vgpr222_vgpr223
	s_cbranch_execz .LBB115_500
; %bb.499:
	v_div_scale_f64 v[212:213], null, v[218:219], v[218:219], v[216:217]
	v_div_scale_f64 v[224:225], vcc_lo, v[216:217], v[218:219], v[216:217]
	s_delay_alu instid0(VALU_DEP_2) | instskip(SKIP_2) | instid1(VALU_DEP_1)
	v_rcp_f64_e32 v[220:221], v[212:213]
	s_waitcnt_depctr 0xfff
	v_fma_f64 v[222:223], -v[212:213], v[220:221], 1.0
	v_fma_f64 v[220:221], v[220:221], v[222:223], v[220:221]
	s_delay_alu instid0(VALU_DEP_1) | instskip(NEXT) | instid1(VALU_DEP_1)
	v_fma_f64 v[222:223], -v[212:213], v[220:221], 1.0
	v_fma_f64 v[220:221], v[220:221], v[222:223], v[220:221]
	s_delay_alu instid0(VALU_DEP_1) | instskip(NEXT) | instid1(VALU_DEP_1)
	v_mul_f64 v[222:223], v[224:225], v[220:221]
	v_fma_f64 v[212:213], -v[212:213], v[222:223], v[224:225]
	s_delay_alu instid0(VALU_DEP_1) | instskip(NEXT) | instid1(VALU_DEP_1)
	v_div_fmas_f64 v[212:213], v[212:213], v[220:221], v[222:223]
	v_div_fixup_f64 v[212:213], v[212:213], v[218:219], v[216:217]
	s_delay_alu instid0(VALU_DEP_1) | instskip(NEXT) | instid1(VALU_DEP_1)
	v_fma_f64 v[216:217], v[216:217], v[212:213], v[218:219]
	v_div_scale_f64 v[218:219], null, v[216:217], v[216:217], 1.0
	s_delay_alu instid0(VALU_DEP_1) | instskip(SKIP_2) | instid1(VALU_DEP_1)
	v_rcp_f64_e32 v[220:221], v[218:219]
	s_waitcnt_depctr 0xfff
	v_fma_f64 v[222:223], -v[218:219], v[220:221], 1.0
	v_fma_f64 v[220:221], v[220:221], v[222:223], v[220:221]
	s_delay_alu instid0(VALU_DEP_1) | instskip(NEXT) | instid1(VALU_DEP_1)
	v_fma_f64 v[222:223], -v[218:219], v[220:221], 1.0
	v_fma_f64 v[220:221], v[220:221], v[222:223], v[220:221]
	v_div_scale_f64 v[222:223], vcc_lo, 1.0, v[216:217], 1.0
	s_delay_alu instid0(VALU_DEP_1) | instskip(NEXT) | instid1(VALU_DEP_1)
	v_mul_f64 v[224:225], v[222:223], v[220:221]
	v_fma_f64 v[218:219], -v[218:219], v[224:225], v[222:223]
	s_delay_alu instid0(VALU_DEP_1) | instskip(NEXT) | instid1(VALU_DEP_1)
	v_div_fmas_f64 v[218:219], v[218:219], v[220:221], v[224:225]
	v_div_fixup_f64 v[222:223], v[218:219], v[216:217], 1.0
                                        ; implicit-def: $vgpr216_vgpr217
	s_delay_alu instid0(VALU_DEP_1)
	v_mul_f64 v[212:213], v[212:213], v[222:223]
	v_xor_b32_e32 v223, 0x80000000, v223
.LBB115_500:
	s_and_not1_saveexec_b32 s3, s3
	s_cbranch_execz .LBB115_502
; %bb.501:
	v_div_scale_f64 v[212:213], null, v[216:217], v[216:217], v[218:219]
	v_div_scale_f64 v[224:225], vcc_lo, v[218:219], v[216:217], v[218:219]
	s_delay_alu instid0(VALU_DEP_2) | instskip(SKIP_2) | instid1(VALU_DEP_1)
	v_rcp_f64_e32 v[220:221], v[212:213]
	s_waitcnt_depctr 0xfff
	v_fma_f64 v[222:223], -v[212:213], v[220:221], 1.0
	v_fma_f64 v[220:221], v[220:221], v[222:223], v[220:221]
	s_delay_alu instid0(VALU_DEP_1) | instskip(NEXT) | instid1(VALU_DEP_1)
	v_fma_f64 v[222:223], -v[212:213], v[220:221], 1.0
	v_fma_f64 v[220:221], v[220:221], v[222:223], v[220:221]
	s_delay_alu instid0(VALU_DEP_1) | instskip(NEXT) | instid1(VALU_DEP_1)
	v_mul_f64 v[222:223], v[224:225], v[220:221]
	v_fma_f64 v[212:213], -v[212:213], v[222:223], v[224:225]
	s_delay_alu instid0(VALU_DEP_1) | instskip(NEXT) | instid1(VALU_DEP_1)
	v_div_fmas_f64 v[212:213], v[212:213], v[220:221], v[222:223]
	v_div_fixup_f64 v[220:221], v[212:213], v[216:217], v[218:219]
	s_delay_alu instid0(VALU_DEP_1) | instskip(NEXT) | instid1(VALU_DEP_1)
	v_fma_f64 v[212:213], v[218:219], v[220:221], v[216:217]
	v_div_scale_f64 v[216:217], null, v[212:213], v[212:213], 1.0
	s_delay_alu instid0(VALU_DEP_1) | instskip(SKIP_2) | instid1(VALU_DEP_1)
	v_rcp_f64_e32 v[218:219], v[216:217]
	s_waitcnt_depctr 0xfff
	v_fma_f64 v[222:223], -v[216:217], v[218:219], 1.0
	v_fma_f64 v[218:219], v[218:219], v[222:223], v[218:219]
	s_delay_alu instid0(VALU_DEP_1) | instskip(NEXT) | instid1(VALU_DEP_1)
	v_fma_f64 v[222:223], -v[216:217], v[218:219], 1.0
	v_fma_f64 v[218:219], v[218:219], v[222:223], v[218:219]
	v_div_scale_f64 v[222:223], vcc_lo, 1.0, v[212:213], 1.0
	s_delay_alu instid0(VALU_DEP_1) | instskip(NEXT) | instid1(VALU_DEP_1)
	v_mul_f64 v[224:225], v[222:223], v[218:219]
	v_fma_f64 v[216:217], -v[216:217], v[224:225], v[222:223]
	s_delay_alu instid0(VALU_DEP_1) | instskip(NEXT) | instid1(VALU_DEP_1)
	v_div_fmas_f64 v[216:217], v[216:217], v[218:219], v[224:225]
	v_div_fixup_f64 v[212:213], v[216:217], v[212:213], 1.0
	s_delay_alu instid0(VALU_DEP_1)
	v_mul_f64 v[222:223], v[220:221], -v[212:213]
.LBB115_502:
	s_or_b32 exec_lo, exec_lo, s3
	ds_store_2addr_b64 v209, v[212:213], v[222:223] offset1:1
.LBB115_503:
	s_or_b32 exec_lo, exec_lo, s4
	s_waitcnt lgkmcnt(0)
	s_barrier
	buffer_gl0_inv
	ds_load_2addr_b64 v[224:227], v209 offset1:1
	s_mov_b32 s3, exec_lo
	v_cmpx_lt_u32_e32 55, v208
	s_cbranch_execz .LBB115_505
; %bb.504:
	s_waitcnt lgkmcnt(0)
	v_mul_f64 v[212:213], v[224:225], v[10:11]
	v_mul_f64 v[10:11], v[226:227], v[10:11]
	ds_load_2addr_b64 v[216:219], v214 offset0:112 offset1:113
	v_fma_f64 v[212:213], v[226:227], v[8:9], v[212:213]
	v_fma_f64 v[8:9], v[224:225], v[8:9], -v[10:11]
	s_waitcnt lgkmcnt(0)
	s_delay_alu instid0(VALU_DEP_2) | instskip(NEXT) | instid1(VALU_DEP_1)
	v_mul_f64 v[10:11], v[218:219], v[212:213]
	v_fma_f64 v[10:11], v[216:217], v[8:9], -v[10:11]
	v_mul_f64 v[216:217], v[216:217], v[212:213]
	s_delay_alu instid0(VALU_DEP_2) | instskip(NEXT) | instid1(VALU_DEP_2)
	v_add_f64 v[4:5], v[4:5], -v[10:11]
	v_fma_f64 v[216:217], v[218:219], v[8:9], v[216:217]
	s_delay_alu instid0(VALU_DEP_1) | instskip(SKIP_3) | instid1(VALU_DEP_1)
	v_add_f64 v[6:7], v[6:7], -v[216:217]
	ds_load_2addr_b64 v[216:219], v214 offset0:114 offset1:115
	s_waitcnt lgkmcnt(0)
	v_mul_f64 v[10:11], v[218:219], v[212:213]
	v_fma_f64 v[10:11], v[216:217], v[8:9], -v[10:11]
	v_mul_f64 v[216:217], v[216:217], v[212:213]
	s_delay_alu instid0(VALU_DEP_2) | instskip(NEXT) | instid1(VALU_DEP_2)
	v_add_f64 v[0:1], v[0:1], -v[10:11]
	v_fma_f64 v[216:217], v[218:219], v[8:9], v[216:217]
	v_dual_mov_b32 v10, v212 :: v_dual_mov_b32 v11, v213
	s_delay_alu instid0(VALU_DEP_2)
	v_add_f64 v[2:3], v[2:3], -v[216:217]
.LBB115_505:
	s_or_b32 exec_lo, exec_lo, s3
	s_delay_alu instid0(SALU_CYCLE_1)
	s_mov_b32 s4, exec_lo
	s_waitcnt lgkmcnt(0)
	s_barrier
	buffer_gl0_inv
	v_cmpx_eq_u32_e32 56, v208
	s_cbranch_execz .LBB115_512
; %bb.506:
	ds_store_2addr_b64 v209, v[4:5], v[6:7] offset1:1
	ds_store_2addr_b64 v214, v[0:1], v[2:3] offset0:114 offset1:115
	ds_load_2addr_b64 v[216:219], v209 offset1:1
	s_waitcnt lgkmcnt(0)
	v_cmp_neq_f64_e32 vcc_lo, 0, v[216:217]
	v_cmp_neq_f64_e64 s3, 0, v[218:219]
	s_delay_alu instid0(VALU_DEP_1) | instskip(NEXT) | instid1(SALU_CYCLE_1)
	s_or_b32 s3, vcc_lo, s3
	s_and_b32 exec_lo, exec_lo, s3
	s_cbranch_execz .LBB115_512
; %bb.507:
	v_cmp_gt_f64_e32 vcc_lo, 0, v[216:217]
	v_xor_b32_e32 v212, 0x80000000, v217
	v_xor_b32_e32 v215, 0x80000000, v219
	s_delay_alu instid0(VALU_DEP_2) | instskip(SKIP_2) | instid1(VALU_DEP_4)
	v_cndmask_b32_e32 v213, v217, v212, vcc_lo
	v_cndmask_b32_e32 v212, v216, v216, vcc_lo
	v_cmp_gt_f64_e32 vcc_lo, 0, v[218:219]
	v_dual_cndmask_b32 v221, v219, v215 :: v_dual_cndmask_b32 v220, v218, v218
	s_delay_alu instid0(VALU_DEP_1) | instskip(SKIP_1) | instid1(SALU_CYCLE_1)
	v_cmp_ngt_f64_e32 vcc_lo, v[212:213], v[220:221]
                                        ; implicit-def: $vgpr212_vgpr213
	s_and_saveexec_b32 s3, vcc_lo
	s_xor_b32 s3, exec_lo, s3
                                        ; implicit-def: $vgpr220_vgpr221_vgpr222_vgpr223
	s_cbranch_execz .LBB115_509
; %bb.508:
	v_div_scale_f64 v[212:213], null, v[218:219], v[218:219], v[216:217]
	v_mov_b32_e32 v204, v209
	v_dual_mov_b32 v208, v232 :: v_dual_mov_b32 v209, v233
	v_div_scale_f64 v[232:233], vcc_lo, v[216:217], v[218:219], v[216:217]
	s_delay_alu instid0(VALU_DEP_4) | instskip(SKIP_2) | instid1(VALU_DEP_1)
	v_rcp_f64_e32 v[220:221], v[212:213]
	s_waitcnt_depctr 0xfff
	v_fma_f64 v[222:223], -v[212:213], v[220:221], 1.0
	v_fma_f64 v[220:221], v[220:221], v[222:223], v[220:221]
	s_delay_alu instid0(VALU_DEP_1) | instskip(NEXT) | instid1(VALU_DEP_1)
	v_fma_f64 v[222:223], -v[212:213], v[220:221], 1.0
	v_fma_f64 v[220:221], v[220:221], v[222:223], v[220:221]
	s_delay_alu instid0(VALU_DEP_1) | instskip(NEXT) | instid1(VALU_DEP_1)
	v_mul_f64 v[222:223], v[232:233], v[220:221]
	v_fma_f64 v[212:213], -v[212:213], v[222:223], v[232:233]
	s_delay_alu instid0(VALU_DEP_1) | instskip(NEXT) | instid1(VALU_DEP_1)
	v_div_fmas_f64 v[212:213], v[212:213], v[220:221], v[222:223]
	v_div_fixup_f64 v[212:213], v[212:213], v[218:219], v[216:217]
	s_delay_alu instid0(VALU_DEP_1) | instskip(NEXT) | instid1(VALU_DEP_1)
	v_fma_f64 v[216:217], v[216:217], v[212:213], v[218:219]
	v_div_scale_f64 v[218:219], null, v[216:217], v[216:217], 1.0
	s_delay_alu instid0(VALU_DEP_1) | instskip(SKIP_2) | instid1(VALU_DEP_1)
	v_rcp_f64_e32 v[220:221], v[218:219]
	s_waitcnt_depctr 0xfff
	v_fma_f64 v[222:223], -v[218:219], v[220:221], 1.0
	v_fma_f64 v[220:221], v[220:221], v[222:223], v[220:221]
	s_delay_alu instid0(VALU_DEP_1) | instskip(NEXT) | instid1(VALU_DEP_1)
	v_fma_f64 v[222:223], -v[218:219], v[220:221], 1.0
	v_fma_f64 v[220:221], v[220:221], v[222:223], v[220:221]
	v_div_scale_f64 v[222:223], vcc_lo, 1.0, v[216:217], 1.0
	s_delay_alu instid0(VALU_DEP_1) | instskip(NEXT) | instid1(VALU_DEP_1)
	v_mul_f64 v[232:233], v[222:223], v[220:221]
	v_fma_f64 v[218:219], -v[218:219], v[232:233], v[222:223]
	s_delay_alu instid0(VALU_DEP_1) | instskip(SKIP_4) | instid1(VALU_DEP_1)
	v_div_fmas_f64 v[218:219], v[218:219], v[220:221], v[232:233]
	v_dual_mov_b32 v233, v209 :: v_dual_mov_b32 v232, v208
	scratch_load_b32 v208, off, off offset:112 ; 4-byte Folded Reload
	v_mov_b32_e32 v209, v204
	v_div_fixup_f64 v[222:223], v[218:219], v[216:217], 1.0
                                        ; implicit-def: $vgpr216_vgpr217
	v_mul_f64 v[212:213], v[212:213], v[222:223]
	v_xor_b32_e32 v223, 0x80000000, v223
.LBB115_509:
	s_and_not1_saveexec_b32 s3, s3
	s_cbranch_execz .LBB115_511
; %bb.510:
	v_div_scale_f64 v[212:213], null, v[216:217], v[216:217], v[218:219]
	v_mov_b32_e32 v204, v209
	s_waitcnt vmcnt(0)
	v_dual_mov_b32 v208, v232 :: v_dual_mov_b32 v209, v233
	v_div_scale_f64 v[232:233], vcc_lo, v[218:219], v[216:217], v[218:219]
	s_delay_alu instid0(VALU_DEP_4) | instskip(SKIP_2) | instid1(VALU_DEP_1)
	v_rcp_f64_e32 v[220:221], v[212:213]
	s_waitcnt_depctr 0xfff
	v_fma_f64 v[222:223], -v[212:213], v[220:221], 1.0
	v_fma_f64 v[220:221], v[220:221], v[222:223], v[220:221]
	s_delay_alu instid0(VALU_DEP_1) | instskip(NEXT) | instid1(VALU_DEP_1)
	v_fma_f64 v[222:223], -v[212:213], v[220:221], 1.0
	v_fma_f64 v[220:221], v[220:221], v[222:223], v[220:221]
	s_delay_alu instid0(VALU_DEP_1) | instskip(NEXT) | instid1(VALU_DEP_1)
	v_mul_f64 v[222:223], v[232:233], v[220:221]
	v_fma_f64 v[212:213], -v[212:213], v[222:223], v[232:233]
	s_delay_alu instid0(VALU_DEP_1) | instskip(NEXT) | instid1(VALU_DEP_1)
	v_div_fmas_f64 v[212:213], v[212:213], v[220:221], v[222:223]
	v_div_fixup_f64 v[220:221], v[212:213], v[216:217], v[218:219]
	s_delay_alu instid0(VALU_DEP_1) | instskip(NEXT) | instid1(VALU_DEP_1)
	v_fma_f64 v[212:213], v[218:219], v[220:221], v[216:217]
	v_div_scale_f64 v[216:217], null, v[212:213], v[212:213], 1.0
	s_delay_alu instid0(VALU_DEP_1) | instskip(SKIP_2) | instid1(VALU_DEP_1)
	v_rcp_f64_e32 v[218:219], v[216:217]
	s_waitcnt_depctr 0xfff
	v_fma_f64 v[222:223], -v[216:217], v[218:219], 1.0
	v_fma_f64 v[218:219], v[218:219], v[222:223], v[218:219]
	s_delay_alu instid0(VALU_DEP_1) | instskip(NEXT) | instid1(VALU_DEP_1)
	v_fma_f64 v[222:223], -v[216:217], v[218:219], 1.0
	v_fma_f64 v[218:219], v[218:219], v[222:223], v[218:219]
	v_div_scale_f64 v[222:223], vcc_lo, 1.0, v[212:213], 1.0
	s_delay_alu instid0(VALU_DEP_1) | instskip(NEXT) | instid1(VALU_DEP_1)
	v_mul_f64 v[232:233], v[222:223], v[218:219]
	v_fma_f64 v[216:217], -v[216:217], v[232:233], v[222:223]
	s_delay_alu instid0(VALU_DEP_1) | instskip(SKIP_4) | instid1(VALU_DEP_1)
	v_div_fmas_f64 v[216:217], v[216:217], v[218:219], v[232:233]
	v_dual_mov_b32 v233, v209 :: v_dual_mov_b32 v232, v208
	scratch_load_b32 v208, off, off offset:112 ; 4-byte Folded Reload
	v_mov_b32_e32 v209, v204
	v_div_fixup_f64 v[212:213], v[216:217], v[212:213], 1.0
	v_mul_f64 v[222:223], v[220:221], -v[212:213]
.LBB115_511:
	s_or_b32 exec_lo, exec_lo, s3
	ds_store_2addr_b64 v209, v[212:213], v[222:223] offset1:1
.LBB115_512:
	s_or_b32 exec_lo, exec_lo, s4
	s_waitcnt vmcnt(0) lgkmcnt(0)
	s_barrier
	buffer_gl0_inv
	ds_load_2addr_b64 v[220:223], v209 offset1:1
	s_mov_b32 s3, exec_lo
	v_cmpx_lt_u32_e32 56, v208
	s_cbranch_execz .LBB115_514
; %bb.513:
	s_waitcnt lgkmcnt(0)
	v_mul_f64 v[212:213], v[220:221], v[6:7]
	v_mul_f64 v[6:7], v[222:223], v[6:7]
	ds_load_2addr_b64 v[216:219], v214 offset0:114 offset1:115
	v_fma_f64 v[212:213], v[222:223], v[4:5], v[212:213]
	v_fma_f64 v[4:5], v[220:221], v[4:5], -v[6:7]
	s_waitcnt lgkmcnt(0)
	s_delay_alu instid0(VALU_DEP_2) | instskip(NEXT) | instid1(VALU_DEP_1)
	v_mul_f64 v[6:7], v[218:219], v[212:213]
	v_fma_f64 v[6:7], v[216:217], v[4:5], -v[6:7]
	v_mul_f64 v[216:217], v[216:217], v[212:213]
	s_delay_alu instid0(VALU_DEP_2) | instskip(NEXT) | instid1(VALU_DEP_2)
	v_add_f64 v[0:1], v[0:1], -v[6:7]
	v_fma_f64 v[216:217], v[218:219], v[4:5], v[216:217]
	v_dual_mov_b32 v6, v212 :: v_dual_mov_b32 v7, v213
	s_delay_alu instid0(VALU_DEP_2)
	v_add_f64 v[2:3], v[2:3], -v[216:217]
.LBB115_514:
	s_or_b32 exec_lo, exec_lo, s3
	s_delay_alu instid0(SALU_CYCLE_1)
	s_mov_b32 s4, exec_lo
	s_waitcnt lgkmcnt(0)
	s_barrier
	buffer_gl0_inv
	v_cmpx_eq_u32_e32 57, v208
	s_cbranch_execz .LBB115_521
; %bb.515:
	v_cmp_neq_f64_e32 vcc_lo, 0, v[0:1]
	v_cmp_neq_f64_e64 s3, 0, v[2:3]
	ds_store_2addr_b64 v209, v[0:1], v[2:3] offset1:1
	s_or_b32 s3, vcc_lo, s3
	s_delay_alu instid0(SALU_CYCLE_1)
	s_and_b32 exec_lo, exec_lo, s3
	s_cbranch_execz .LBB115_521
; %bb.516:
	v_cmp_gt_f64_e32 vcc_lo, 0, v[0:1]
	v_xor_b32_e32 v212, 0x80000000, v1
	v_xor_b32_e32 v214, 0x80000000, v3
	s_delay_alu instid0(VALU_DEP_2) | instskip(SKIP_2) | instid1(VALU_DEP_4)
	v_cndmask_b32_e32 v213, v1, v212, vcc_lo
	v_cndmask_b32_e32 v212, v0, v0, vcc_lo
	v_cmp_gt_f64_e32 vcc_lo, 0, v[2:3]
	v_cndmask_b32_e32 v217, v3, v214, vcc_lo
	v_cndmask_b32_e32 v216, v2, v2, vcc_lo
	s_delay_alu instid0(VALU_DEP_1) | instskip(SKIP_1) | instid1(SALU_CYCLE_1)
	v_cmp_ngt_f64_e32 vcc_lo, v[212:213], v[216:217]
                                        ; implicit-def: $vgpr212_vgpr213
	s_and_saveexec_b32 s3, vcc_lo
	s_xor_b32 s3, exec_lo, s3
                                        ; implicit-def: $vgpr216_vgpr217_vgpr218_vgpr219
	s_cbranch_execz .LBB115_518
; %bb.517:
	v_div_scale_f64 v[212:213], null, v[2:3], v[2:3], v[0:1]
	v_dual_mov_b32 v204, v210 :: v_dual_mov_b32 v205, v211
	v_dual_mov_b32 v210, v232 :: v_dual_mov_b32 v211, v233
	v_div_scale_f64 v[232:233], vcc_lo, v[0:1], v[2:3], v[0:1]
	v_dual_mov_b32 v206, v234 :: v_dual_mov_b32 v207, v235
	scratch_load_b32 v208, off, off offset:112 ; 4-byte Folded Reload
	v_rcp_f64_e32 v[216:217], v[212:213]
	s_waitcnt_depctr 0xfff
	v_fma_f64 v[218:219], -v[212:213], v[216:217], 1.0
	s_delay_alu instid0(VALU_DEP_1) | instskip(NEXT) | instid1(VALU_DEP_1)
	v_fma_f64 v[216:217], v[216:217], v[218:219], v[216:217]
	v_fma_f64 v[218:219], -v[212:213], v[216:217], 1.0
	s_delay_alu instid0(VALU_DEP_1) | instskip(NEXT) | instid1(VALU_DEP_1)
	v_fma_f64 v[216:217], v[216:217], v[218:219], v[216:217]
	v_mul_f64 v[218:219], v[232:233], v[216:217]
	s_delay_alu instid0(VALU_DEP_1) | instskip(NEXT) | instid1(VALU_DEP_1)
	v_fma_f64 v[212:213], -v[212:213], v[218:219], v[232:233]
	v_div_fmas_f64 v[212:213], v[212:213], v[216:217], v[218:219]
	s_delay_alu instid0(VALU_DEP_1) | instskip(NEXT) | instid1(VALU_DEP_1)
	v_div_fixup_f64 v[212:213], v[212:213], v[2:3], v[0:1]
	v_fma_f64 v[216:217], v[0:1], v[212:213], v[2:3]
	s_delay_alu instid0(VALU_DEP_1) | instskip(NEXT) | instid1(VALU_DEP_1)
	v_div_scale_f64 v[218:219], null, v[216:217], v[216:217], 1.0
	v_rcp_f64_e32 v[232:233], v[218:219]
	s_waitcnt_depctr 0xfff
	v_fma_f64 v[234:235], -v[218:219], v[232:233], 1.0
	s_delay_alu instid0(VALU_DEP_1) | instskip(NEXT) | instid1(VALU_DEP_1)
	v_fma_f64 v[232:233], v[232:233], v[234:235], v[232:233]
	v_fma_f64 v[234:235], -v[218:219], v[232:233], 1.0
	s_delay_alu instid0(VALU_DEP_1) | instskip(SKIP_1) | instid1(VALU_DEP_1)
	v_fma_f64 v[232:233], v[232:233], v[234:235], v[232:233]
	v_div_scale_f64 v[234:235], vcc_lo, 1.0, v[216:217], 1.0
	v_mul_f64 v[214:215], v[234:235], v[232:233]
	s_delay_alu instid0(VALU_DEP_1) | instskip(SKIP_1) | instid1(VALU_DEP_2)
	v_fma_f64 v[218:219], -v[218:219], v[214:215], v[234:235]
	v_dual_mov_b32 v235, v207 :: v_dual_mov_b32 v234, v206
	v_div_fmas_f64 v[214:215], v[218:219], v[232:233], v[214:215]
	v_dual_mov_b32 v233, v211 :: v_dual_mov_b32 v232, v210
	v_dual_mov_b32 v211, v205 :: v_dual_mov_b32 v210, v204
	s_delay_alu instid0(VALU_DEP_3) | instskip(NEXT) | instid1(VALU_DEP_1)
	v_div_fixup_f64 v[218:219], v[214:215], v[216:217], 1.0
	v_mul_f64 v[212:213], v[212:213], v[218:219]
	v_xor_b32_e32 v219, 0x80000000, v219
.LBB115_518:
	s_and_not1_saveexec_b32 s3, s3
	s_cbranch_execz .LBB115_520
; %bb.519:
	v_div_scale_f64 v[212:213], null, v[0:1], v[0:1], v[2:3]
	v_div_scale_f64 v[218:219], vcc_lo, v[2:3], v[0:1], v[2:3]
	v_dual_mov_b32 v204, v210 :: v_dual_mov_b32 v205, v211
	v_dual_mov_b32 v210, v232 :: v_dual_mov_b32 v211, v233
	v_mov_b32_e32 v206, v209
	s_waitcnt vmcnt(0)
	v_dual_mov_b32 v208, v234 :: v_dual_mov_b32 v209, v235
	v_rcp_f64_e32 v[214:215], v[212:213]
	s_waitcnt_depctr 0xfff
	v_fma_f64 v[216:217], -v[212:213], v[214:215], 1.0
	s_delay_alu instid0(VALU_DEP_1) | instskip(NEXT) | instid1(VALU_DEP_1)
	v_fma_f64 v[214:215], v[214:215], v[216:217], v[214:215]
	v_fma_f64 v[216:217], -v[212:213], v[214:215], 1.0
	s_delay_alu instid0(VALU_DEP_1) | instskip(NEXT) | instid1(VALU_DEP_1)
	v_fma_f64 v[214:215], v[214:215], v[216:217], v[214:215]
	v_mul_f64 v[216:217], v[218:219], v[214:215]
	s_delay_alu instid0(VALU_DEP_1) | instskip(NEXT) | instid1(VALU_DEP_1)
	v_fma_f64 v[212:213], -v[212:213], v[216:217], v[218:219]
	v_div_fmas_f64 v[212:213], v[212:213], v[214:215], v[216:217]
	s_delay_alu instid0(VALU_DEP_1) | instskip(NEXT) | instid1(VALU_DEP_1)
	v_div_fixup_f64 v[214:215], v[212:213], v[0:1], v[2:3]
	v_fma_f64 v[212:213], v[2:3], v[214:215], v[0:1]
	s_delay_alu instid0(VALU_DEP_1) | instskip(NEXT) | instid1(VALU_DEP_1)
	v_div_scale_f64 v[216:217], null, v[212:213], v[212:213], 1.0
	v_rcp_f64_e32 v[218:219], v[216:217]
	s_waitcnt_depctr 0xfff
	v_fma_f64 v[232:233], -v[216:217], v[218:219], 1.0
	s_delay_alu instid0(VALU_DEP_1) | instskip(NEXT) | instid1(VALU_DEP_1)
	v_fma_f64 v[218:219], v[218:219], v[232:233], v[218:219]
	v_fma_f64 v[232:233], -v[216:217], v[218:219], 1.0
	s_delay_alu instid0(VALU_DEP_1) | instskip(SKIP_1) | instid1(VALU_DEP_1)
	v_fma_f64 v[218:219], v[218:219], v[232:233], v[218:219]
	v_div_scale_f64 v[232:233], vcc_lo, 1.0, v[212:213], 1.0
	v_mul_f64 v[234:235], v[232:233], v[218:219]
	s_delay_alu instid0(VALU_DEP_1) | instskip(SKIP_2) | instid1(VALU_DEP_3)
	v_fma_f64 v[216:217], -v[216:217], v[234:235], v[232:233]
	v_dual_mov_b32 v233, v211 :: v_dual_mov_b32 v232, v210
	v_dual_mov_b32 v211, v205 :: v_dual_mov_b32 v210, v204
	v_div_fmas_f64 v[216:217], v[216:217], v[218:219], v[234:235]
	v_dual_mov_b32 v235, v209 :: v_dual_mov_b32 v234, v208
	v_mov_b32_e32 v209, v206
	scratch_load_b32 v208, off, off offset:112 ; 4-byte Folded Reload
	v_div_fixup_f64 v[212:213], v[216:217], v[212:213], 1.0
	s_delay_alu instid0(VALU_DEP_1)
	v_mul_f64 v[218:219], v[214:215], -v[212:213]
.LBB115_520:
	s_or_b32 exec_lo, exec_lo, s3
	ds_store_2addr_b64 v209, v[212:213], v[218:219] offset1:1
.LBB115_521:
	s_or_b32 exec_lo, exec_lo, s4
	s_waitcnt vmcnt(0) lgkmcnt(0)
	s_barrier
	buffer_gl0_inv
	ds_load_2addr_b64 v[216:219], v209 offset1:1
	s_mov_b32 s3, exec_lo
	v_cmpx_lt_u32_e32 57, v208
	s_cbranch_execz .LBB115_523
; %bb.522:
	s_waitcnt lgkmcnt(0)
	v_mul_f64 v[212:213], v[218:219], v[2:3]
	v_mul_f64 v[2:3], v[216:217], v[2:3]
	s_delay_alu instid0(VALU_DEP_2) | instskip(NEXT) | instid1(VALU_DEP_2)
	v_fma_f64 v[212:213], v[216:217], v[0:1], -v[212:213]
	v_fma_f64 v[2:3], v[218:219], v[0:1], v[2:3]
	s_delay_alu instid0(VALU_DEP_2)
	v_dual_mov_b32 v0, v212 :: v_dual_mov_b32 v1, v213
.LBB115_523:
	s_or_b32 exec_lo, exec_lo, s3
	s_waitcnt lgkmcnt(0)
	s_barrier
	buffer_gl0_inv
	s_and_saveexec_b32 s14, s2
	s_cbranch_execz .LBB115_526
; %bb.524:
	scratch_load_b128 v[204:207], off, off offset:564 ; 16-byte Folded Reload
	s_load_b64 s[12:13], s[0:1], 0x28
	s_waitcnt vmcnt(0)
	v_cmp_eq_f64_e32 vcc_lo, 0, v[204:205]
	v_cmp_eq_f64_e64 s2, 0, v[206:207]
	scratch_load_b128 v[204:207], off, off offset:580 ; 16-byte Folded Reload
	s_and_b32 s2, vcc_lo, s2
	s_delay_alu instid0(SALU_CYCLE_1)
	v_cndmask_b32_e64 v212, 0, 1, s2
	s_waitcnt vmcnt(0)
	v_cmp_neq_f64_e64 s3, 0, v[204:205]
	v_cmp_neq_f64_e64 s4, 0, v[206:207]
	scratch_load_b128 v[204:207], off, off offset:596 ; 16-byte Folded Reload
	s_or_b32 s3, s3, s4
	s_delay_alu instid0(SALU_CYCLE_1) | instskip(SKIP_1) | instid1(VALU_DEP_1)
	s_or_b32 vcc_lo, s3, s2
	v_cndmask_b32_e32 v212, 2, v212, vcc_lo
	v_cmp_eq_u32_e64 s3, 0, v212
	s_waitcnt vmcnt(0)
	v_cmp_eq_f64_e64 s5, 0, v[204:205]
	v_cmp_eq_f64_e64 s6, 0, v[206:207]
	scratch_load_b128 v[204:207], off, off offset:612 ; 16-byte Folded Reload
	s_and_b32 s4, s5, s6
	s_delay_alu instid0(SALU_CYCLE_1) | instskip(NEXT) | instid1(SALU_CYCLE_1)
	s_and_b32 s3, s4, s3
	v_cndmask_b32_e64 v212, v212, 3, s3
	s_delay_alu instid0(VALU_DEP_1)
	v_cmp_eq_u32_e64 s5, 0, v212
	s_waitcnt vmcnt(0)
	v_cmp_eq_f64_e64 s7, 0, v[204:205]
	v_cmp_eq_f64_e64 s8, 0, v[206:207]
	scratch_load_b128 v[204:207], off, off offset:628 ; 16-byte Folded Reload
	s_and_b32 s6, s7, s8
	s_delay_alu instid0(SALU_CYCLE_1) | instskip(NEXT) | instid1(SALU_CYCLE_1)
	s_and_b32 s5, s6, s5
	v_cndmask_b32_e64 v212, v212, 4, s5
	s_delay_alu instid0(VALU_DEP_1)
	v_cmp_eq_u32_e64 s7, 0, v212
	s_waitcnt vmcnt(0)
	v_cmp_eq_f64_e64 s9, 0, v[204:205]
	v_cmp_eq_f64_e64 s10, 0, v[206:207]
	scratch_load_b128 v[204:207], off, off offset:644 ; 16-byte Folded Reload
	s_and_b32 s8, s9, s10
	s_delay_alu instid0(SALU_CYCLE_1) | instskip(NEXT) | instid1(SALU_CYCLE_1)
	s_and_b32 s7, s8, s7
	v_cndmask_b32_e64 v212, v212, 5, s7
	s_delay_alu instid0(VALU_DEP_1)
	v_cmp_eq_u32_e64 s9, 0, v212
	s_waitcnt vmcnt(0)
	v_cmp_eq_f64_e32 vcc_lo, 0, v[204:205]
	v_cmp_eq_f64_e64 s2, 0, v[206:207]
	scratch_load_b128 v[204:207], off, off offset:660 ; 16-byte Folded Reload
	s_and_b32 s2, vcc_lo, s2
	s_delay_alu instid0(SALU_CYCLE_1) | instskip(NEXT) | instid1(SALU_CYCLE_1)
	s_and_b32 s2, s2, s9
	v_cndmask_b32_e64 v212, v212, 6, s2
	s_delay_alu instid0(VALU_DEP_1)
	v_cmp_eq_u32_e64 s9, 0, v212
	s_waitcnt vmcnt(0)
	v_cmp_eq_f64_e64 s3, 0, v[204:205]
	v_cmp_eq_f64_e64 s4, 0, v[206:207]
	scratch_load_b128 v[204:207], off, off offset:676 ; 16-byte Folded Reload
	s_and_b32 s3, s3, s4
	s_delay_alu instid0(SALU_CYCLE_1) | instskip(NEXT) | instid1(SALU_CYCLE_1)
	s_and_b32 s3, s3, s9
	v_cndmask_b32_e64 v212, v212, 7, s3
	s_delay_alu instid0(VALU_DEP_1)
	v_cmp_eq_u32_e64 s9, 0, v212
	s_waitcnt vmcnt(0)
	v_cmp_eq_f64_e64 s5, 0, v[204:205]
	v_cmp_eq_f64_e64 s6, 0, v[206:207]
	scratch_load_b128 v[204:207], off, off offset:692 ; 16-byte Folded Reload
	s_and_b32 s5, s5, s6
	s_delay_alu instid0(SALU_CYCLE_1) | instskip(NEXT) | instid1(SALU_CYCLE_1)
	s_and_b32 s5, s5, s9
	v_cndmask_b32_e64 v212, v212, 8, s5
	s_delay_alu instid0(VALU_DEP_1)
	v_cmp_eq_u32_e64 s9, 0, v212
	s_waitcnt vmcnt(0)
	v_cmp_eq_f64_e64 s7, 0, v[204:205]
	v_cmp_eq_f64_e64 s8, 0, v[206:207]
	scratch_load_b128 v[204:207], off, off offset:708 ; 16-byte Folded Reload
	s_and_b32 s7, s7, s8
	s_delay_alu instid0(SALU_CYCLE_1) | instskip(NEXT) | instid1(SALU_CYCLE_1)
	s_and_b32 s7, s7, s9
	v_cndmask_b32_e64 v212, v212, 9, s7
	s_delay_alu instid0(VALU_DEP_1)
	v_cmp_eq_u32_e64 s9, 0, v212
	s_waitcnt vmcnt(0)
	v_cmp_eq_f64_e32 vcc_lo, 0, v[204:205]
	v_cmp_eq_f64_e64 s2, 0, v[206:207]
	scratch_load_b128 v[204:207], off, off offset:724 ; 16-byte Folded Reload
	s_and_b32 s2, vcc_lo, s2
	s_delay_alu instid0(SALU_CYCLE_1) | instskip(NEXT) | instid1(SALU_CYCLE_1)
	s_and_b32 s2, s2, s9
	v_cndmask_b32_e64 v212, v212, 10, s2
	s_delay_alu instid0(VALU_DEP_1)
	;; [unrolled: 40-line block ×6, first 2 shown]
	v_cmp_eq_u32_e64 s8, 0, v212
	s_waitcnt vmcnt(0)
	v_cmp_eq_f64_e64 s3, 0, v[204:205]
	v_cmp_eq_f64_e64 s4, 0, v[206:207]
	scratch_load_b128 v[204:207], off, off offset:996 ; 16-byte Folded Reload
	s_and_b32 s3, s3, s4
	s_delay_alu instid0(SALU_CYCLE_1) | instskip(NEXT) | instid1(SALU_CYCLE_1)
	s_and_b32 s0, s3, s8
	v_cndmask_b32_e64 v212, v212, 27, s0
	s_delay_alu instid0(VALU_DEP_1)
	v_cmp_eq_u32_e64 s3, 0, v212
	s_waitcnt vmcnt(0)
	v_cmp_eq_f64_e64 s5, 0, v[204:205]
	v_cmp_eq_f64_e64 s6, 0, v[206:207]
	scratch_load_b128 v[204:207], off, off offset:1012 ; 16-byte Folded Reload
	s_and_b32 s4, s5, s6
	s_delay_alu instid0(SALU_CYCLE_1) | instskip(NEXT) | instid1(SALU_CYCLE_1)
	s_and_b32 s3, s4, s3
	v_cndmask_b32_e64 v214, v212, 28, s3
	v_lshlrev_b64 v[212:213], 2, v[234:235]
	s_delay_alu instid0(VALU_DEP_2) | instskip(SKIP_1) | instid1(VALU_DEP_2)
	v_cmp_eq_u32_e64 s5, 0, v214
	s_waitcnt lgkmcnt(0)
	v_add_co_u32 v212, s6, s12, v212
	s_delay_alu instid0(VALU_DEP_1)
	v_add_co_ci_u32_e64 v213, s6, s13, v213, s6
	global_load_b32 v215, v[212:213], off
	s_waitcnt vmcnt(1)
	v_cmp_eq_f64_e64 s10, 0, v[204:205]
	v_cmp_eq_f64_e64 s7, 0, v[206:207]
	scratch_load_b128 v[204:207], off, off offset:1028 ; 16-byte Folded Reload
	s_and_b32 s7, s10, s7
	s_delay_alu instid0(SALU_CYCLE_1) | instskip(NEXT) | instid1(SALU_CYCLE_1)
	s_and_b32 s5, s7, s5
	v_cndmask_b32_e64 v214, v214, 29, s5
	s_delay_alu instid0(VALU_DEP_1)
	v_cmp_eq_u32_e64 s7, 0, v214
	s_waitcnt vmcnt(0)
	v_cmp_eq_f64_e32 vcc_lo, 0, v[204:205]
	v_cmp_eq_f64_e64 s2, 0, v[206:207]
	scratch_load_b128 v[204:207], off, off offset:1044 ; 16-byte Folded Reload
	s_and_b32 s2, vcc_lo, s2
	s_delay_alu instid0(SALU_CYCLE_1) | instskip(NEXT) | instid1(SALU_CYCLE_1)
	s_and_b32 s2, s2, s7
	v_cndmask_b32_e64 v214, v214, 30, s2
	s_delay_alu instid0(VALU_DEP_1)
	v_cmp_eq_u32_e64 s7, 0, v214
	s_waitcnt vmcnt(0)
	v_cmp_eq_f64_e64 s0, 0, v[204:205]
	v_cmp_eq_f64_e64 s1, 0, v[206:207]
	scratch_load_b128 v[204:207], off, off offset:1060 ; 16-byte Folded Reload
	s_and_b32 s0, s0, s1
	s_delay_alu instid0(SALU_CYCLE_1) | instskip(NEXT) | instid1(SALU_CYCLE_1)
	s_and_b32 s0, s0, s7
	v_cndmask_b32_e64 v214, v214, 31, s0
	s_delay_alu instid0(VALU_DEP_1)
	v_cmp_eq_u32_e64 s7, 0, v214
	s_waitcnt vmcnt(0)
	v_cmp_eq_f64_e64 s3, 0, v[204:205]
	v_cmp_eq_f64_e64 s4, 0, v[206:207]
	scratch_load_b128 v[204:207], off, off offset:1076 ; 16-byte Folded Reload
	s_and_b32 s3, s3, s4
	s_delay_alu instid0(SALU_CYCLE_1) | instskip(NEXT) | instid1(SALU_CYCLE_1)
	s_and_b32 s3, s3, s7
	v_cndmask_b32_e64 v214, v214, 32, s3
	s_delay_alu instid0(VALU_DEP_1)
	v_cmp_eq_u32_e64 s7, 0, v214
	s_waitcnt vmcnt(0)
	v_cmp_eq_f64_e64 s5, 0, v[204:205]
	v_cmp_eq_f64_e64 s6, 0, v[206:207]
	scratch_load_b128 v[204:207], off, off offset:1092 ; 16-byte Folded Reload
	s_and_b32 s5, s5, s6
	s_delay_alu instid0(SALU_CYCLE_1) | instskip(NEXT) | instid1(SALU_CYCLE_1)
	s_and_b32 s5, s5, s7
	v_cndmask_b32_e64 v214, v214, 33, s5
	s_delay_alu instid0(VALU_DEP_1)
	v_cmp_eq_u32_e64 s7, 0, v214
	s_waitcnt vmcnt(0)
	v_cmp_eq_f64_e32 vcc_lo, 0, v[204:205]
	v_cmp_eq_f64_e64 s2, 0, v[206:207]
	scratch_load_b128 v[204:207], off, off offset:1108 ; 16-byte Folded Reload
	s_and_b32 s2, vcc_lo, s2
	s_delay_alu instid0(SALU_CYCLE_1) | instskip(NEXT) | instid1(SALU_CYCLE_1)
	s_and_b32 s2, s2, s7
	v_cndmask_b32_e64 v214, v214, 34, s2
	s_delay_alu instid0(VALU_DEP_1)
	v_cmp_eq_u32_e64 s7, 0, v214
	s_waitcnt vmcnt(0)
	v_cmp_eq_f64_e64 s0, 0, v[204:205]
	v_cmp_eq_f64_e64 s1, 0, v[206:207]
	scratch_load_b128 v[204:207], off, off offset:1124 ; 16-byte Folded Reload
	s_and_b32 s0, s0, s1
	s_delay_alu instid0(SALU_CYCLE_1) | instskip(NEXT) | instid1(SALU_CYCLE_1)
	s_and_b32 s0, s0, s7
	v_cndmask_b32_e64 v214, v214, 35, s0
	s_delay_alu instid0(VALU_DEP_1)
	v_cmp_eq_u32_e64 s7, 0, v214
	s_waitcnt vmcnt(0)
	v_cmp_eq_f64_e64 s3, 0, v[204:205]
	v_cmp_eq_f64_e64 s4, 0, v[206:207]
	scratch_load_b128 v[204:207], off, off offset:1140 ; 16-byte Folded Reload
	s_and_b32 s3, s3, s4
	s_delay_alu instid0(SALU_CYCLE_1) | instskip(NEXT) | instid1(SALU_CYCLE_1)
	s_and_b32 s3, s3, s7
	v_cndmask_b32_e64 v214, v214, 36, s3
	s_delay_alu instid0(VALU_DEP_1)
	v_cmp_eq_u32_e64 s7, 0, v214
	;; [unrolled: 40-line block ×4, first 2 shown]
	s_waitcnt vmcnt(0)
	v_cmp_eq_f64_e64 s5, 0, v[204:205]
	v_cmp_eq_f64_e64 s6, 0, v[206:207]
	scratch_load_b128 v[204:207], off, off offset:1284 ; 16-byte Folded Reload
	s_and_b32 s5, s5, s6
	s_delay_alu instid0(SALU_CYCLE_1) | instskip(NEXT) | instid1(SALU_CYCLE_1)
	s_and_b32 s5, s5, s7
	v_cndmask_b32_e64 v214, v214, 45, s5
	s_delay_alu instid0(VALU_DEP_1)
	v_cmp_eq_u32_e64 s7, 0, v214
	s_waitcnt vmcnt(0)
	v_cmp_eq_f64_e32 vcc_lo, 0, v[204:205]
	v_cmp_eq_f64_e64 s2, 0, v[206:207]
	scratch_load_b128 v[204:207], off, off offset:1300 ; 16-byte Folded Reload
	s_and_b32 s2, vcc_lo, s2
	v_cmp_eq_f64_e32 vcc_lo, 0, v[236:237]
	s_and_b32 s2, s2, s7
	s_delay_alu instid0(SALU_CYCLE_1) | instskip(SKIP_1) | instid1(VALU_DEP_2)
	v_cndmask_b32_e64 v214, v214, 46, s2
	v_cmp_eq_f64_e64 s2, 0, v[238:239]
	v_cmp_eq_u32_e64 s7, 0, v214
	s_delay_alu instid0(VALU_DEP_2)
	s_and_b32 s2, vcc_lo, s2
	v_cmp_eq_f64_e32 vcc_lo, 0, v[252:253]
	s_waitcnt vmcnt(0)
	v_cmp_eq_f64_e64 s0, 0, v[204:205]
	v_cmp_eq_f64_e64 s1, 0, v[206:207]
	scratch_load_b128 v[204:207], off, off offset:1316 ; 16-byte Folded Reload
	s_and_b32 s0, s0, s1
	v_cmp_eq_f64_e64 s1, 0, v[242:243]
	s_and_b32 s0, s0, s7
	s_delay_alu instid0(SALU_CYCLE_1) | instskip(SKIP_1) | instid1(VALU_DEP_2)
	v_cndmask_b32_e64 v214, v214, 47, s0
	v_cmp_eq_f64_e64 s0, 0, v[240:241]
	v_cmp_eq_u32_e64 s7, 0, v214
	s_delay_alu instid0(VALU_DEP_2)
	s_and_b32 s0, s0, s1
	v_cmp_eq_f64_e64 s1, 0, v[230:231]
	s_waitcnt vmcnt(0)
	v_cmp_eq_f64_e64 s3, 0, v[204:205]
	v_cmp_eq_f64_e64 s4, 0, v[206:207]
	scratch_load_b128 v[204:207], off, off offset:1332 ; 16-byte Folded Reload
	s_and_b32 s3, s3, s4
	v_cmp_eq_f64_e64 s4, 0, v[246:247]
	s_and_b32 s3, s3, s7
	s_delay_alu instid0(SALU_CYCLE_1) | instskip(SKIP_1) | instid1(VALU_DEP_2)
	v_cndmask_b32_e64 v214, v214, 48, s3
	v_cmp_eq_f64_e64 s3, 0, v[244:245]
	v_cmp_eq_u32_e64 s7, 0, v214
	s_delay_alu instid0(VALU_DEP_2) | instskip(SKIP_4) | instid1(VALU_DEP_1)
	s_and_b32 s3, s3, s4
	v_cmp_eq_f64_e64 s4, 0, v[226:227]
	s_waitcnt vmcnt(0)
	v_cmp_eq_f64_e64 s5, 0, v[204:205]
	v_cmp_eq_f64_e64 s6, 0, v[206:207]
	s_and_b32 s5, s5, s6
	v_cmp_eq_f64_e64 s6, 0, v[250:251]
	s_and_b32 s5, s5, s7
	s_delay_alu instid0(SALU_CYCLE_1) | instskip(SKIP_1) | instid1(VALU_DEP_2)
	v_cndmask_b32_e64 v214, v214, 49, s5
	v_cmp_eq_f64_e64 s5, 0, v[248:249]
	v_cmp_eq_u32_e64 s7, 0, v214
	s_delay_alu instid0(VALU_DEP_1) | instskip(NEXT) | instid1(SALU_CYCLE_1)
	s_and_b32 s2, s2, s7
	v_cndmask_b32_e64 v214, v214, 50, s2
	v_cmp_eq_f64_e64 s2, 0, v[254:255]
	s_delay_alu instid0(VALU_DEP_2) | instskip(NEXT) | instid1(VALU_DEP_1)
	v_cmp_eq_u32_e64 s7, 0, v214
	s_and_b32 s0, s0, s7
	s_delay_alu instid0(SALU_CYCLE_1) | instskip(SKIP_1) | instid1(VALU_DEP_2)
	v_cndmask_b32_e64 v214, v214, 51, s0
	v_cmp_eq_f64_e64 s0, 0, v[228:229]
	v_cmp_eq_u32_e64 s7, 0, v214
	s_delay_alu instid0(VALU_DEP_1) | instskip(NEXT) | instid1(SALU_CYCLE_1)
	s_and_b32 s3, s3, s7
	v_cndmask_b32_e64 v214, v214, 52, s3
	v_cmp_eq_f64_e64 s3, 0, v[224:225]
	s_and_b32 s5, s5, s6
	v_cmp_eq_f64_e64 s6, 0, v[222:223]
	s_delay_alu instid0(VALU_DEP_3) | instskip(NEXT) | instid1(VALU_DEP_1)
	v_cmp_eq_u32_e64 s7, 0, v214
	s_and_b32 s5, s5, s7
	s_delay_alu instid0(SALU_CYCLE_1) | instskip(SKIP_3) | instid1(VALU_DEP_3)
	v_cndmask_b32_e64 v214, v214, 53, s5
	v_cmp_eq_f64_e64 s5, 0, v[220:221]
	s_and_b32 s2, vcc_lo, s2
	v_cmp_eq_f64_e32 vcc_lo, 0, v[216:217]
	v_cmp_eq_u32_e64 s7, 0, v214
	s_delay_alu instid0(VALU_DEP_1) | instskip(NEXT) | instid1(SALU_CYCLE_1)
	s_and_b32 s2, s2, s7
	v_cndmask_b32_e64 v214, v214, 54, s2
	v_cmp_eq_f64_e64 s2, 0, v[218:219]
	s_and_b32 s0, s0, s1
	s_delay_alu instid0(VALU_DEP_2) | instskip(NEXT) | instid1(VALU_DEP_1)
	v_cmp_eq_u32_e64 s7, 0, v214
	s_and_b32 s0, s0, s7
	s_delay_alu instid0(SALU_CYCLE_1) | instskip(SKIP_1) | instid1(VALU_DEP_1)
	v_cndmask_b32_e64 v214, v214, 55, s0
	s_and_b32 s1, s3, s4
	v_cmp_eq_u32_e64 s0, 0, v214
	s_delay_alu instid0(VALU_DEP_1) | instskip(NEXT) | instid1(SALU_CYCLE_1)
	s_and_b32 s0, s1, s0
	v_cndmask_b32_e64 v214, v214, 56, s0
	s_and_b32 s1, s5, s6
	s_delay_alu instid0(VALU_DEP_1) | instskip(NEXT) | instid1(VALU_DEP_1)
	v_cmp_eq_u32_e64 s0, 0, v214
	s_and_b32 s0, s1, s0
	s_delay_alu instid0(SALU_CYCLE_1) | instskip(SKIP_2) | instid1(VALU_DEP_2)
	v_cndmask_b32_e64 v214, v214, 57, s0
	s_and_b32 s1, vcc_lo, s2
	v_cmp_eq_u32_e32 vcc_lo, 0, v215
	v_cmp_eq_u32_e64 s0, 0, v214
	s_delay_alu instid0(VALU_DEP_1) | instskip(NEXT) | instid1(SALU_CYCLE_1)
	s_and_b32 s0, s1, s0
	v_cndmask_b32_e64 v214, v214, 58, s0
	s_delay_alu instid0(VALU_DEP_1) | instskip(NEXT) | instid1(VALU_DEP_1)
	v_cmp_ne_u32_e64 s0, 0, v214
	s_and_b32 s0, vcc_lo, s0
	s_delay_alu instid0(SALU_CYCLE_1)
	s_and_b32 exec_lo, exec_lo, s0
	s_cbranch_execz .LBB115_526
; %bb.525:
	v_add_nc_u32_e32 v214, s11, v214
	global_store_b32 v[212:213], v214, off
.LBB115_526:
	s_or_b32 exec_lo, exec_lo, s14
	s_clause 0x1
	scratch_load_b64 v[204:205], off, off offset:540
	scratch_load_b128 v[212:215], off, off offset:96
	s_waitcnt vmcnt(0)
	global_store_b128 v[204:205], v[212:215], off
	s_clause 0x1
	scratch_load_b64 v[204:205], off, off offset:548
	scratch_load_b128 v[212:215], off, off offset:80
	s_waitcnt vmcnt(0)
	global_store_b128 v[204:205], v[212:215], off
	;; [unrolled: 5-line block ×6, first 2 shown]
	s_clause 0x1
	scratch_load_b64 v[204:205], off, off offset:500
	scratch_load_b128 v[212:215], off, off
	s_waitcnt vmcnt(0)
	global_store_b128 v[204:205], v[212:215], off
	scratch_load_b64 v[204:205], off, off offset:492 ; 8-byte Folded Reload
	s_waitcnt vmcnt(0)
	global_store_b128 v[204:205], v[200:203], off
	scratch_load_b64 v[200:201], off, off offset:484 ; 8-byte Folded Reload
	;; [unrolled: 3-line block ×40, first 2 shown]
	s_waitcnt vmcnt(0)
	s_clause 0x1
	global_store_b128 v[48:49], v[44:47], off
	global_store_b128 v[232:233], v[40:43], off
	scratch_load_b64 v[40:41], off, off offset:116 ; 8-byte Folded Reload
	s_waitcnt vmcnt(0)
	s_clause 0x1
	global_store_b128 v[40:41], v[36:39], off
	global_store_b128 v[210:211], v[32:35], off
	scratch_load_b64 v[32:33], off, off offset:148 ; 8-byte Folded Reload
	s_waitcnt vmcnt(0)
	global_store_b128 v[32:33], v[28:31], off
	scratch_load_b64 v[28:29], off, off offset:132 ; 8-byte Folded Reload
	s_waitcnt vmcnt(0)
	;; [unrolled: 3-line block ×8, first 2 shown]
	global_store_b128 v[4:5], v[0:3], off
.LBB115_527:
	s_nop 0
	s_sendmsg sendmsg(MSG_DEALLOC_VGPRS)
	s_endpgm
	.section	.rodata,"a",@progbits
	.p2align	6, 0x0
	.amdhsa_kernel _ZN9rocsolver6v33100L23getf2_npvt_small_kernelILi58E19rocblas_complex_numIdEiiPKPS3_EEvT1_T3_lS7_lPT2_S7_S7_
		.amdhsa_group_segment_fixed_size 0
		.amdhsa_private_segment_fixed_size 1352
		.amdhsa_kernarg_size 312
		.amdhsa_user_sgpr_count 14
		.amdhsa_user_sgpr_dispatch_ptr 0
		.amdhsa_user_sgpr_queue_ptr 0
		.amdhsa_user_sgpr_kernarg_segment_ptr 1
		.amdhsa_user_sgpr_dispatch_id 0
		.amdhsa_user_sgpr_private_segment_size 0
		.amdhsa_wavefront_size32 1
		.amdhsa_uses_dynamic_stack 0
		.amdhsa_enable_private_segment 1
		.amdhsa_system_sgpr_workgroup_id_x 1
		.amdhsa_system_sgpr_workgroup_id_y 1
		.amdhsa_system_sgpr_workgroup_id_z 0
		.amdhsa_system_sgpr_workgroup_info 0
		.amdhsa_system_vgpr_workitem_id 1
		.amdhsa_next_free_vgpr 256
		.amdhsa_next_free_sgpr 18
		.amdhsa_reserve_vcc 1
		.amdhsa_float_round_mode_32 0
		.amdhsa_float_round_mode_16_64 0
		.amdhsa_float_denorm_mode_32 3
		.amdhsa_float_denorm_mode_16_64 3
		.amdhsa_dx10_clamp 1
		.amdhsa_ieee_mode 1
		.amdhsa_fp16_overflow 0
		.amdhsa_workgroup_processor_mode 1
		.amdhsa_memory_ordered 1
		.amdhsa_forward_progress 0
		.amdhsa_shared_vgpr_count 0
		.amdhsa_exception_fp_ieee_invalid_op 0
		.amdhsa_exception_fp_denorm_src 0
		.amdhsa_exception_fp_ieee_div_zero 0
		.amdhsa_exception_fp_ieee_overflow 0
		.amdhsa_exception_fp_ieee_underflow 0
		.amdhsa_exception_fp_ieee_inexact 0
		.amdhsa_exception_int_div_zero 0
	.end_amdhsa_kernel
	.section	.text._ZN9rocsolver6v33100L23getf2_npvt_small_kernelILi58E19rocblas_complex_numIdEiiPKPS3_EEvT1_T3_lS7_lPT2_S7_S7_,"axG",@progbits,_ZN9rocsolver6v33100L23getf2_npvt_small_kernelILi58E19rocblas_complex_numIdEiiPKPS3_EEvT1_T3_lS7_lPT2_S7_S7_,comdat
.Lfunc_end115:
	.size	_ZN9rocsolver6v33100L23getf2_npvt_small_kernelILi58E19rocblas_complex_numIdEiiPKPS3_EEvT1_T3_lS7_lPT2_S7_S7_, .Lfunc_end115-_ZN9rocsolver6v33100L23getf2_npvt_small_kernelILi58E19rocblas_complex_numIdEiiPKPS3_EEvT1_T3_lS7_lPT2_S7_S7_
                                        ; -- End function
	.section	.AMDGPU.csdata,"",@progbits
; Kernel info:
; codeLenInByte = 172656
; NumSgprs: 20
; NumVgprs: 256
; ScratchSize: 1352
; MemoryBound: 1
; FloatMode: 240
; IeeeMode: 1
; LDSByteSize: 0 bytes/workgroup (compile time only)
; SGPRBlocks: 2
; VGPRBlocks: 31
; NumSGPRsForWavesPerEU: 20
; NumVGPRsForWavesPerEU: 256
; Occupancy: 5
; WaveLimiterHint : 1
; COMPUTE_PGM_RSRC2:SCRATCH_EN: 1
; COMPUTE_PGM_RSRC2:USER_SGPR: 14
; COMPUTE_PGM_RSRC2:TRAP_HANDLER: 0
; COMPUTE_PGM_RSRC2:TGID_X_EN: 1
; COMPUTE_PGM_RSRC2:TGID_Y_EN: 1
; COMPUTE_PGM_RSRC2:TGID_Z_EN: 0
; COMPUTE_PGM_RSRC2:TIDIG_COMP_CNT: 1
	.section	.text._ZN9rocsolver6v33100L18getf2_small_kernelILi59E19rocblas_complex_numIdEiiPKPS3_EEvT1_T3_lS7_lPS7_llPT2_S7_S7_S9_l,"axG",@progbits,_ZN9rocsolver6v33100L18getf2_small_kernelILi59E19rocblas_complex_numIdEiiPKPS3_EEvT1_T3_lS7_lPS7_llPT2_S7_S7_S9_l,comdat
	.globl	_ZN9rocsolver6v33100L18getf2_small_kernelILi59E19rocblas_complex_numIdEiiPKPS3_EEvT1_T3_lS7_lPS7_llPT2_S7_S7_S9_l ; -- Begin function _ZN9rocsolver6v33100L18getf2_small_kernelILi59E19rocblas_complex_numIdEiiPKPS3_EEvT1_T3_lS7_lPS7_llPT2_S7_S7_S9_l
	.p2align	8
	.type	_ZN9rocsolver6v33100L18getf2_small_kernelILi59E19rocblas_complex_numIdEiiPKPS3_EEvT1_T3_lS7_lPS7_llPT2_S7_S7_S9_l,@function
_ZN9rocsolver6v33100L18getf2_small_kernelILi59E19rocblas_complex_numIdEiiPKPS3_EEvT1_T3_lS7_lPS7_llPT2_S7_S7_S9_l: ; @_ZN9rocsolver6v33100L18getf2_small_kernelILi59E19rocblas_complex_numIdEiiPKPS3_EEvT1_T3_lS7_lPS7_llPT2_S7_S7_S9_l
; %bb.0:
	s_clause 0x1
	s_load_b32 s2, s[0:1], 0x6c
	s_load_b64 s[12:13], s[0:1], 0x48
	v_bfe_u32 v236, v0, 10, 10
	s_waitcnt lgkmcnt(0)
	s_lshr_b32 s2, s2, 16
	s_delay_alu instid0(VALU_DEP_1) | instid1(SALU_CYCLE_1)
	v_mad_u64_u32 v[208:209], null, s15, s2, v[236:237]
	s_mov_b32 s2, exec_lo
	s_delay_alu instid0(VALU_DEP_1)
	v_cmpx_gt_i32_e64 s12, v208
	s_cbranch_execnz .LBB116_1
; %bb.1243:
	s_getpc_b64 s[16:17]
.Lpost_getpc24:
	s_add_u32 s16, s16, (.LBB116_1242-.Lpost_getpc24)&4294967295
	s_addc_u32 s17, s17, (.LBB116_1242-.Lpost_getpc24)>>32
	s_setpc_b64 s[16:17]
.LBB116_1:
	s_clause 0x1
	s_load_b128 s[4:7], s[0:1], 0x8
	s_load_b128 s[8:11], s[0:1], 0x50
	v_ashrrev_i32_e32 v209, 31, v208
	v_mov_b32_e32 v3, 0
	v_mov_b32_e32 v4, 0
	s_delay_alu instid0(VALU_DEP_3)
	v_lshlrev_b64 v[1:2], 3, v[208:209]
	scratch_store_b64 off, v[3:4], off offset:16 ; 8-byte Folded Spill
	s_waitcnt lgkmcnt(0)
	v_add_co_u32 v1, vcc_lo, s4, v1
	v_add_co_ci_u32_e32 v2, vcc_lo, s5, v2, vcc_lo
	s_cmp_eq_u64 s[8:9], 0
	s_cselect_b32 s5, -1, 0
	global_load_b64 v[1:2], v[1:2], off
	s_and_b32 vcc_lo, exec_lo, s5
	s_cbranch_vccnz .LBB116_3
; %bb.2:
	v_mul_lo_u32 v5, v209, s10
	v_mul_lo_u32 v6, v208, s11
	v_mad_u64_u32 v[3:4], null, v208, s10, 0
	s_delay_alu instid0(VALU_DEP_1) | instskip(NEXT) | instid1(VALU_DEP_1)
	v_add3_u32 v4, v4, v6, v5
	v_lshlrev_b64 v[3:4], 2, v[3:4]
	s_delay_alu instid0(VALU_DEP_1) | instskip(NEXT) | instid1(VALU_DEP_2)
	v_add_co_u32 v3, vcc_lo, s8, v3
	v_add_co_ci_u32_e32 v4, vcc_lo, s9, v4, vcc_lo
	scratch_store_b64 off, v[3:4], off offset:16 ; 8-byte Folded Spill
.LBB116_3:
	s_clause 0x1
	s_load_b32 s8, s[0:1], 0x18
	s_load_b32 s12, s[0:1], 0x0
	v_and_b32_e32 v251, 0x3ff, v0
	s_lshl_b64 s[2:3], s[6:7], 4
	scratch_store_b64 off, v[208:209], off offset:88 ; 8-byte Folded Spill
	s_waitcnt vmcnt(0)
	v_add_co_u32 v247, vcc_lo, v1, s2
	v_add_co_ci_u32_e32 v248, vcc_lo, s3, v2, vcc_lo
	v_lshlrev_b32_e32 v214, 4, v251
	s_waitcnt lgkmcnt(0)
	v_add3_u32 v3, s8, s8, v251
	s_ashr_i32 s9, s8, 31
	s_max_i32 s2, s12, 59
	s_lshl_b64 s[10:11], s[8:9], 4
	s_cmp_lt_i32 s12, 2
	v_add_nc_u32_e32 v5, s8, v3
	v_ashrrev_i32_e32 v4, 31, v3
	s_delay_alu instid0(VALU_DEP_2) | instskip(NEXT) | instid1(VALU_DEP_2)
	v_add_nc_u32_e32 v0, s8, v5
	v_lshlrev_b64 v[3:4], 4, v[3:4]
	v_ashrrev_i32_e32 v6, 31, v5
	s_delay_alu instid0(VALU_DEP_3) | instskip(SKIP_1) | instid1(VALU_DEP_4)
	v_add_nc_u32_e32 v2, s8, v0
	v_ashrrev_i32_e32 v1, 31, v0
	v_add_co_u32 v7, vcc_lo, v247, v3
	v_add_co_ci_u32_e32 v8, vcc_lo, v248, v4, vcc_lo
	s_delay_alu instid0(VALU_DEP_4) | instskip(SKIP_3) | instid1(VALU_DEP_4)
	v_add_nc_u32_e32 v4, s8, v2
	v_lshlrev_b64 v[5:6], 4, v[5:6]
	v_ashrrev_i32_e32 v3, 31, v2
	v_lshlrev_b64 v[0:1], 4, v[0:1]
	v_add_nc_u32_e32 v11, s8, v4
	s_delay_alu instid0(VALU_DEP_4) | instskip(SKIP_1) | instid1(VALU_DEP_3)
	v_add_co_u32 v9, vcc_lo, v247, v5
	v_ashrrev_i32_e32 v5, 31, v4
	v_add_nc_u32_e32 v13, s8, v11
	v_lshlrev_b64 v[2:3], 4, v[2:3]
	v_ashrrev_i32_e32 v12, 31, v11
	v_add_co_ci_u32_e32 v10, vcc_lo, v248, v6, vcc_lo
	s_delay_alu instid0(VALU_DEP_4) | instskip(SKIP_3) | instid1(VALU_DEP_4)
	v_add_nc_u32_e32 v15, s8, v13
	v_add_co_u32 v0, vcc_lo, v247, v0
	v_lshlrev_b64 v[4:5], 4, v[4:5]
	v_ashrrev_i32_e32 v14, 31, v13
	v_add_nc_u32_e32 v17, s8, v15
	v_add_co_ci_u32_e32 v1, vcc_lo, v248, v1, vcc_lo
	v_add_co_u32 v2, vcc_lo, v247, v2
	s_delay_alu instid0(VALU_DEP_3) | instskip(SKIP_3) | instid1(VALU_DEP_4)
	v_add_nc_u32_e32 v19, s8, v17
	v_lshlrev_b64 v[11:12], 4, v[11:12]
	v_ashrrev_i32_e32 v16, 31, v15
	v_add_co_ci_u32_e32 v3, vcc_lo, v248, v3, vcc_lo
	v_add_nc_u32_e32 v21, s8, v19
	v_add_co_u32 v4, vcc_lo, v247, v4
	v_lshlrev_b64 v[13:14], 4, v[13:14]
	v_ashrrev_i32_e32 v18, 31, v17
	s_delay_alu instid0(VALU_DEP_4) | instskip(SKIP_2) | instid1(VALU_DEP_3)
	v_add_nc_u32_e32 v23, s8, v21
	v_add_co_ci_u32_e32 v5, vcc_lo, v248, v5, vcc_lo
	v_add_co_u32 v11, vcc_lo, v247, v11
	v_add_nc_u32_e32 v25, s8, v23
	v_lshlrev_b64 v[15:16], 4, v[15:16]
	v_ashrrev_i32_e32 v20, 31, v19
	v_add_co_ci_u32_e32 v12, vcc_lo, v248, v12, vcc_lo
	s_delay_alu instid0(VALU_DEP_4) | instskip(SKIP_3) | instid1(VALU_DEP_4)
	v_add_nc_u32_e32 v27, s8, v25
	v_add_co_u32 v13, vcc_lo, v247, v13
	v_lshlrev_b64 v[17:18], 4, v[17:18]
	v_ashrrev_i32_e32 v22, 31, v21
	v_add_nc_u32_e32 v29, s8, v27
	v_add_co_ci_u32_e32 v14, vcc_lo, v248, v14, vcc_lo
	v_add_co_u32 v15, vcc_lo, v247, v15
	s_delay_alu instid0(VALU_DEP_3) | instskip(SKIP_3) | instid1(VALU_DEP_4)
	v_add_nc_u32_e32 v31, s8, v29
	v_lshlrev_b64 v[19:20], 4, v[19:20]
	v_ashrrev_i32_e32 v24, 31, v23
	v_add_co_ci_u32_e32 v16, vcc_lo, v248, v16, vcc_lo
	v_add_nc_u32_e32 v33, s8, v31
	v_add_co_u32 v17, vcc_lo, v247, v17
	v_lshlrev_b64 v[21:22], 4, v[21:22]
	v_ashrrev_i32_e32 v26, 31, v25
	s_delay_alu instid0(VALU_DEP_4) | instskip(SKIP_2) | instid1(VALU_DEP_3)
	v_add_nc_u32_e32 v35, s8, v33
	v_add_co_ci_u32_e32 v18, vcc_lo, v248, v18, vcc_lo
	v_add_co_u32 v19, vcc_lo, v247, v19
	;; [unrolled: 25-line block ×3, first 2 shown]
	v_add_nc_u32_e32 v49, s8, v47
	v_lshlrev_b64 v[31:32], 4, v[31:32]
	v_ashrrev_i32_e32 v36, 31, v35
	v_add_co_ci_u32_e32 v28, vcc_lo, v248, v28, vcc_lo
	s_delay_alu instid0(VALU_DEP_4) | instskip(SKIP_3) | instid1(VALU_DEP_4)
	v_add_nc_u32_e32 v51, s8, v49
	v_add_co_u32 v29, vcc_lo, v247, v29
	v_lshlrev_b64 v[33:34], 4, v[33:34]
	v_ashrrev_i32_e32 v38, 31, v37
	v_add_nc_u32_e32 v53, s8, v51
	v_add_co_ci_u32_e32 v30, vcc_lo, v248, v30, vcc_lo
	v_add_co_u32 v31, vcc_lo, v247, v31
	s_delay_alu instid0(VALU_DEP_3) | instskip(SKIP_3) | instid1(VALU_DEP_4)
	v_add_nc_u32_e32 v55, s8, v53
	v_lshlrev_b64 v[35:36], 4, v[35:36]
	v_ashrrev_i32_e32 v40, 31, v39
	v_add_co_ci_u32_e32 v32, vcc_lo, v248, v32, vcc_lo
	v_add_nc_u32_e32 v57, s8, v55
	v_add_co_u32 v33, vcc_lo, v247, v33
	v_lshlrev_b64 v[37:38], 4, v[37:38]
	v_ashrrev_i32_e32 v42, 31, v41
	v_add_co_ci_u32_e32 v34, vcc_lo, v248, v34, vcc_lo
	v_add_co_u32 v35, vcc_lo, v247, v35
	v_lshlrev_b64 v[39:40], 4, v[39:40]
	v_add_nc_u32_e32 v59, s8, v57
	v_ashrrev_i32_e32 v44, 31, v43
	v_add_co_ci_u32_e32 v36, vcc_lo, v248, v36, vcc_lo
	v_add_co_u32 v37, vcc_lo, v247, v37
	v_lshlrev_b64 v[41:42], 4, v[41:42]
	v_ashrrev_i32_e32 v46, 31, v45
	v_add_co_ci_u32_e32 v38, vcc_lo, v248, v38, vcc_lo
	v_add_nc_u32_e32 v61, s8, v59
	v_add_co_u32 v39, vcc_lo, v247, v39
	v_lshlrev_b64 v[43:44], 4, v[43:44]
	v_ashrrev_i32_e32 v48, 31, v47
	v_add_co_ci_u32_e32 v40, vcc_lo, v248, v40, vcc_lo
	v_add_co_u32 v41, vcc_lo, v247, v41
	v_lshlrev_b64 v[45:46], 4, v[45:46]
	v_ashrrev_i32_e32 v50, 31, v49
	v_add_nc_u32_e32 v63, s8, v61
	v_add_co_ci_u32_e32 v42, vcc_lo, v248, v42, vcc_lo
	v_add_co_u32 v43, vcc_lo, v247, v43
	v_lshlrev_b64 v[47:48], 4, v[47:48]
	v_ashrrev_i32_e32 v52, 31, v51
	v_add_co_ci_u32_e32 v44, vcc_lo, v248, v44, vcc_lo
	v_add_co_u32 v45, vcc_lo, v247, v45
	v_lshlrev_b64 v[49:50], 4, v[49:50]
	v_add_nc_u32_e32 v65, s8, v63
	v_ashrrev_i32_e32 v54, 31, v53
	v_add_co_ci_u32_e32 v46, vcc_lo, v248, v46, vcc_lo
	v_add_co_u32 v47, vcc_lo, v247, v47
	v_lshlrev_b64 v[51:52], 4, v[51:52]
	v_ashrrev_i32_e32 v56, 31, v55
	v_add_co_ci_u32_e32 v48, vcc_lo, v248, v48, vcc_lo
	v_add_nc_u32_e32 v67, s8, v65
	v_add_co_u32 v49, vcc_lo, v247, v49
	v_lshlrev_b64 v[53:54], 4, v[53:54]
	v_ashrrev_i32_e32 v58, 31, v57
	v_add_co_ci_u32_e32 v50, vcc_lo, v248, v50, vcc_lo
	v_add_co_u32 v51, vcc_lo, v247, v51
	v_lshlrev_b64 v[55:56], 4, v[55:56]
	v_ashrrev_i32_e32 v60, 31, v59
	v_add_nc_u32_e32 v69, s8, v67
	v_add_co_ci_u32_e32 v52, vcc_lo, v248, v52, vcc_lo
	;; [unrolled: 23-line block ×3, first 2 shown]
	v_add_co_u32 v63, vcc_lo, v247, v63
	v_lshlrev_b64 v[67:68], 4, v[67:68]
	v_ashrrev_i32_e32 v72, 31, v71
	v_add_co_ci_u32_e32 v64, vcc_lo, v248, v64, vcc_lo
	v_add_co_u32 v65, vcc_lo, v247, v65
	v_lshlrev_b64 v[69:70], 4, v[69:70]
	v_add_nc_u32_e32 v77, s8, v75
	v_ashrrev_i32_e32 v74, 31, v73
	v_add_co_ci_u32_e32 v66, vcc_lo, v248, v66, vcc_lo
	v_add_co_u32 v67, vcc_lo, v247, v67
	v_lshlrev_b64 v[71:72], 4, v[71:72]
	v_ashrrev_i32_e32 v76, 31, v75
	v_add_co_ci_u32_e32 v68, vcc_lo, v248, v68, vcc_lo
	v_add_nc_u32_e32 v79, s8, v77
	v_add_co_u32 v69, vcc_lo, v247, v69
	v_lshlrev_b64 v[73:74], 4, v[73:74]
	v_ashrrev_i32_e32 v78, 31, v77
	v_add_co_ci_u32_e32 v70, vcc_lo, v248, v70, vcc_lo
	v_add_co_u32 v71, vcc_lo, v247, v71
	v_lshlrev_b64 v[75:76], 4, v[75:76]
	v_add_nc_u32_e32 v81, s8, v79
	v_add_co_ci_u32_e32 v72, vcc_lo, v248, v72, vcc_lo
	v_add_co_u32 v73, vcc_lo, v247, v73
	v_lshlrev_b64 v[77:78], 4, v[77:78]
	v_ashrrev_i32_e32 v80, 31, v79
	v_add_co_ci_u32_e32 v74, vcc_lo, v248, v74, vcc_lo
	v_add_co_u32 v75, vcc_lo, v247, v75
	v_ashrrev_i32_e32 v82, 31, v81
	v_add_nc_u32_e32 v83, s8, v81
	v_add_co_ci_u32_e32 v76, vcc_lo, v248, v76, vcc_lo
	v_lshlrev_b64 v[79:80], 4, v[79:80]
	v_add_co_u32 v237, vcc_lo, v247, v77
	v_add_co_ci_u32_e32 v238, vcc_lo, v248, v78, vcc_lo
	v_lshlrev_b64 v[77:78], 4, v[81:82]
	v_ashrrev_i32_e32 v84, 31, v83
	v_add_nc_u32_e32 v81, s8, v83
	v_add_co_u32 v239, vcc_lo, v247, v79
	v_add_co_ci_u32_e32 v240, vcc_lo, v248, v80, vcc_lo
	s_delay_alu instid0(VALU_DEP_4) | instskip(NEXT) | instid1(VALU_DEP_4)
	v_lshlrev_b64 v[79:80], 4, v[83:84]
	v_ashrrev_i32_e32 v82, 31, v81
	v_add_nc_u32_e32 v83, s8, v81
	v_add_co_u32 v241, vcc_lo, v247, v77
	v_add_co_ci_u32_e32 v242, vcc_lo, v248, v78, vcc_lo
	s_delay_alu instid0(VALU_DEP_4) | instskip(NEXT) | instid1(VALU_DEP_4)
	;; [unrolled: 6-line block ×13, first 2 shown]
	v_lshlrev_b64 v[79:80], 4, v[83:84]
	v_add_nc_u32_e32 v83, s8, v81
	v_ashrrev_i32_e32 v82, 31, v81
	v_add_co_u32 v220, vcc_lo, v247, v77
	v_add_co_ci_u32_e32 v221, vcc_lo, v248, v78, vcc_lo
	s_delay_alu instid0(VALU_DEP_4) | instskip(NEXT) | instid1(VALU_DEP_4)
	v_ashrrev_i32_e32 v84, 31, v83
	v_lshlrev_b64 v[77:78], 4, v[81:82]
	v_add_co_u32 v222, vcc_lo, v247, v79
	v_add_co_ci_u32_e32 v223, vcc_lo, v248, v80, vcc_lo
	s_delay_alu instid0(VALU_DEP_4) | instskip(SKIP_3) | instid1(VALU_DEP_4)
	v_lshlrev_b64 v[79:80], 4, v[83:84]
	v_add_nc_u32_e32 v81, s8, v83
	v_add_co_u32 v216, vcc_lo, v247, v77
	v_add_co_ci_u32_e32 v217, vcc_lo, v248, v78, vcc_lo
	v_add_co_u32 v218, vcc_lo, v247, v79
	s_delay_alu instid0(VALU_DEP_4) | instskip(SKIP_3) | instid1(VALU_DEP_4)
	v_ashrrev_i32_e32 v82, 31, v81
	v_add_co_ci_u32_e32 v219, vcc_lo, v248, v80, vcc_lo
	v_add_co_u32 v79, vcc_lo, v247, v214
	v_add_co_ci_u32_e32 v80, vcc_lo, 0, v248, vcc_lo
	v_lshlrev_b64 v[77:78], 4, v[81:82]
	s_delay_alu instid0(VALU_DEP_3) | instskip(NEXT) | instid1(VALU_DEP_3)
	v_add_co_u32 v81, vcc_lo, v79, s10
	v_add_co_ci_u32_e32 v82, vcc_lo, s11, v80, vcc_lo
	s_delay_alu instid0(VALU_DEP_3) | instskip(NEXT) | instid1(VALU_DEP_4)
	v_add_co_u32 v212, vcc_lo, v247, v77
	v_add_co_ci_u32_e32 v213, vcc_lo, v248, v78, vcc_lo
	s_clause 0x1
	global_load_b128 v[208:211], v[79:80], off
	global_load_b128 v[77:80], v[81:82], off
	s_waitcnt vmcnt(0)
	scratch_store_b128 off, v[77:80], off offset:56 ; 16-byte Folded Spill
	s_clause 0x1
	global_load_b128 v[77:80], v[7:8], off
	global_load_b128 v[6:9], v[9:10], off
	s_waitcnt vmcnt(1)
	scratch_store_b128 off, v[77:80], off offset:40 ; 16-byte Folded Spill
	s_waitcnt vmcnt(0)
	scratch_store_b128 off, v[6:9], off offset:24 ; 16-byte Folded Spill
	global_load_b128 v[6:9], v[0:1], off
	s_waitcnt vmcnt(0)
	scratch_store_b128 off, v[6:9], off offset:96 ; 16-byte Folded Spill
	s_clause 0x1f
	global_load_b128 v[0:3], v[2:3], off
	global_load_b128 v[204:207], v[4:5], off
	;; [unrolled: 1-line block ×32, first 2 shown]
	s_clause 0x15
	global_load_b128 v[84:87], v[71:72], off
	global_load_b128 v[80:83], v[73:74], off
	;; [unrolled: 1-line block ×22, first 2 shown]
	v_mul_lo_u32 v212, s2, v236
	scratch_store_b128 off, v[208:211], off offset:72 ; 16-byte Folded Spill
	v_mov_b32_e32 v244, 0
	v_lshl_add_u32 v246, v212, 4, 0
	v_lshlrev_b32_e32 v234, 4, v212
	s_delay_alu instid0(VALU_DEP_2)
	v_add_nc_u32_e32 v213, v246, v214
	ds_store_2addr_b64 v213, v[208:209], v[210:211] offset1:1
	s_waitcnt vmcnt(0) lgkmcnt(0)
	s_waitcnt_vscnt null, 0x0
	s_barrier
	buffer_gl0_inv
	ds_load_2addr_b64 v[236:239], v246 offset1:1
	scratch_store_b128 off, v[204:207], off ; 16-byte Folded Spill
	s_cbranch_scc1 .LBB116_6
; %bb.4:
	v_add3_u32 v245, v234, 0, 16
	v_mov_b32_e32 v244, 0
	s_mov_b32 s6, 1
	s_set_inst_prefetch_distance 0x1
	.p2align	6
.LBB116_5:                              ; =>This Inner Loop Header: Depth=1
	ds_load_2addr_b64 v[252:255], v245 offset1:1
	s_waitcnt lgkmcnt(1)
	v_cmp_gt_f64_e32 vcc_lo, 0, v[236:237]
	v_cmp_gt_f64_e64 s2, 0, v[238:239]
	v_xor_b32_e32 v213, 0x80000000, v237
	v_xor_b32_e32 v215, 0x80000000, v239
	v_add_nc_u32_e32 v245, 16, v245
	s_waitcnt lgkmcnt(0)
	v_cmp_gt_f64_e64 s3, 0, v[252:253]
	v_cmp_gt_f64_e64 s4, 0, v[254:255]
	v_xor_b32_e32 v219, 0x80000000, v253
	v_xor_b32_e32 v220, 0x80000000, v255
	v_mov_b32_e32 v214, v254
	v_mov_b32_e32 v212, v252
	v_cndmask_b32_e32 v216, v237, v213, vcc_lo
	v_cndmask_b32_e64 v218, v239, v215, s2
	v_cndmask_b32_e32 v215, v236, v236, vcc_lo
	v_cndmask_b32_e64 v217, v238, v238, s2
	s_delay_alu instid0(VALU_DEP_1) | instskip(SKIP_2) | instid1(VALU_DEP_1)
	v_add_f64 v[216:217], v[215:216], v[217:218]
	v_cndmask_b32_e64 v213, v253, v219, s3
	v_cndmask_b32_e64 v215, v255, v220, s4
	v_add_f64 v[212:213], v[212:213], v[214:215]
	s_delay_alu instid0(VALU_DEP_1)
	v_cmp_lt_f64_e32 vcc_lo, v[216:217], v[212:213]
	v_cndmask_b32_e32 v239, v239, v255, vcc_lo
	v_dual_cndmask_b32 v237, v237, v253 :: v_dual_cndmask_b32 v236, v236, v252
	v_cndmask_b32_e32 v238, v238, v254, vcc_lo
	v_cndmask_b32_e64 v244, v244, s6, vcc_lo
	s_add_i32 s6, s6, 1
	s_delay_alu instid0(SALU_CYCLE_1)
	s_cmp_eq_u32 s12, s6
	s_cbranch_scc0 .LBB116_5
.LBB116_6:
	s_set_inst_prefetch_distance 0x2
	scratch_load_b64 v[228:229], off, off offset:88 ; 8-byte Folded Reload
	s_waitcnt lgkmcnt(0)
	v_cmp_neq_f64_e32 vcc_lo, 0, v[236:237]
	v_cmp_neq_f64_e64 s2, 0, v[238:239]
	v_dual_mov_b32 v207, v11 :: v_dual_mov_b32 v206, v10
	v_dual_mov_b32 v205, v9 :: v_dual_mov_b32 v204, v8
	;; [unrolled: 1-line block ×4, first 2 shown]
	v_mov_b32_e32 v249, 1
	v_mov_b32_e32 v253, 1
	s_or_b32 s2, vcc_lo, s2
	s_mov_b32 s3, exec_lo
	scratch_load_b128 v[0:3], off, off offset:96 ; 16-byte Folded Reload
	s_and_b32 s2, s3, s2
	s_delay_alu instid0(SALU_CYCLE_1)
	s_mov_b32 exec_lo, s2
	s_cbranch_execz .LBB116_12
; %bb.7:
	v_cmp_gt_f64_e32 vcc_lo, 0, v[236:237]
	v_cmp_gt_f64_e64 s2, 0, v[238:239]
	v_xor_b32_e32 v212, 0x80000000, v237
	v_xor_b32_e32 v214, 0x80000000, v239
                                        ; implicit-def: $sgpr4
                                        ; implicit-def: $sgpr6
	s_delay_alu instid0(VALU_DEP_2) | instskip(NEXT) | instid1(VALU_DEP_2)
	v_cndmask_b32_e32 v213, v237, v212, vcc_lo
	v_cndmask_b32_e64 v215, v239, v214, s2
	v_cndmask_b32_e32 v212, v236, v236, vcc_lo
	v_cndmask_b32_e64 v214, v238, v238, s2
	s_mov_b32 s2, exec_lo
	s_delay_alu instid0(VALU_DEP_1)
	v_cmpx_ngt_f64_e32 v[212:213], v[214:215]
	s_xor_b32 s2, exec_lo, s2
	s_cbranch_execz .LBB116_9
; %bb.8:
	v_div_scale_f64 v[212:213], null, v[238:239], v[238:239], v[236:237]
	v_div_scale_f64 v[218:219], vcc_lo, v[236:237], v[238:239], v[236:237]
	s_mov_b32 s6, 2
	s_mov_b32 s4, 0
	s_delay_alu instid0(VALU_DEP_2) | instskip(SKIP_2) | instid1(VALU_DEP_1)
	v_rcp_f64_e32 v[214:215], v[212:213]
	s_waitcnt_depctr 0xfff
	v_fma_f64 v[216:217], -v[212:213], v[214:215], 1.0
	v_fma_f64 v[214:215], v[214:215], v[216:217], v[214:215]
	s_delay_alu instid0(VALU_DEP_1) | instskip(NEXT) | instid1(VALU_DEP_1)
	v_fma_f64 v[216:217], -v[212:213], v[214:215], 1.0
	v_fma_f64 v[214:215], v[214:215], v[216:217], v[214:215]
	s_delay_alu instid0(VALU_DEP_1) | instskip(NEXT) | instid1(VALU_DEP_1)
	v_mul_f64 v[216:217], v[218:219], v[214:215]
	v_fma_f64 v[212:213], -v[212:213], v[216:217], v[218:219]
	s_delay_alu instid0(VALU_DEP_1) | instskip(NEXT) | instid1(VALU_DEP_1)
	v_div_fmas_f64 v[212:213], v[212:213], v[214:215], v[216:217]
	v_div_fixup_f64 v[212:213], v[212:213], v[238:239], v[236:237]
	s_delay_alu instid0(VALU_DEP_1) | instskip(NEXT) | instid1(VALU_DEP_1)
	v_fma_f64 v[214:215], v[236:237], v[212:213], v[238:239]
	v_div_scale_f64 v[216:217], null, v[214:215], v[214:215], 1.0
	s_delay_alu instid0(VALU_DEP_1) | instskip(SKIP_2) | instid1(VALU_DEP_1)
	v_rcp_f64_e32 v[218:219], v[216:217]
	s_waitcnt_depctr 0xfff
	v_fma_f64 v[220:221], -v[216:217], v[218:219], 1.0
	v_fma_f64 v[218:219], v[218:219], v[220:221], v[218:219]
	s_delay_alu instid0(VALU_DEP_1) | instskip(NEXT) | instid1(VALU_DEP_1)
	v_fma_f64 v[220:221], -v[216:217], v[218:219], 1.0
	v_fma_f64 v[218:219], v[218:219], v[220:221], v[218:219]
	v_div_scale_f64 v[220:221], vcc_lo, 1.0, v[214:215], 1.0
	s_delay_alu instid0(VALU_DEP_1) | instskip(NEXT) | instid1(VALU_DEP_1)
	v_mul_f64 v[222:223], v[220:221], v[218:219]
	v_fma_f64 v[216:217], -v[216:217], v[222:223], v[220:221]
	s_delay_alu instid0(VALU_DEP_1) | instskip(NEXT) | instid1(VALU_DEP_1)
	v_div_fmas_f64 v[216:217], v[216:217], v[218:219], v[222:223]
	v_div_fixup_f64 v[238:239], v[216:217], v[214:215], 1.0
	s_delay_alu instid0(VALU_DEP_1)
	v_mul_f64 v[236:237], v[212:213], v[238:239]
	v_xor_b32_e32 v239, 0x80000000, v239
.LBB116_9:
	s_or_saveexec_b32 s2, s2
	v_mov_b32_e32 v253, s4
	v_mov_b32_e32 v249, s6
	s_xor_b32 exec_lo, exec_lo, s2
	s_cbranch_execz .LBB116_11
; %bb.10:
	s_delay_alu instid0(VALU_DEP_4) | instskip(SKIP_3) | instid1(VALU_DEP_4)
	v_div_scale_f64 v[212:213], null, v[236:237], v[236:237], v[238:239]
	v_div_scale_f64 v[218:219], vcc_lo, v[238:239], v[236:237], v[238:239]
	v_mov_b32_e32 v253, 0
	v_mov_b32_e32 v249, 2
	v_rcp_f64_e32 v[214:215], v[212:213]
	s_waitcnt_depctr 0xfff
	v_fma_f64 v[216:217], -v[212:213], v[214:215], 1.0
	s_delay_alu instid0(VALU_DEP_1) | instskip(NEXT) | instid1(VALU_DEP_1)
	v_fma_f64 v[214:215], v[214:215], v[216:217], v[214:215]
	v_fma_f64 v[216:217], -v[212:213], v[214:215], 1.0
	s_delay_alu instid0(VALU_DEP_1) | instskip(NEXT) | instid1(VALU_DEP_1)
	v_fma_f64 v[214:215], v[214:215], v[216:217], v[214:215]
	v_mul_f64 v[216:217], v[218:219], v[214:215]
	s_delay_alu instid0(VALU_DEP_1) | instskip(NEXT) | instid1(VALU_DEP_1)
	v_fma_f64 v[212:213], -v[212:213], v[216:217], v[218:219]
	v_div_fmas_f64 v[212:213], v[212:213], v[214:215], v[216:217]
	s_delay_alu instid0(VALU_DEP_1) | instskip(NEXT) | instid1(VALU_DEP_1)
	v_div_fixup_f64 v[212:213], v[212:213], v[236:237], v[238:239]
	v_fma_f64 v[214:215], v[238:239], v[212:213], v[236:237]
	s_delay_alu instid0(VALU_DEP_1) | instskip(NEXT) | instid1(VALU_DEP_1)
	v_div_scale_f64 v[216:217], null, v[214:215], v[214:215], 1.0
	v_rcp_f64_e32 v[218:219], v[216:217]
	s_waitcnt_depctr 0xfff
	v_fma_f64 v[220:221], -v[216:217], v[218:219], 1.0
	s_delay_alu instid0(VALU_DEP_1) | instskip(NEXT) | instid1(VALU_DEP_1)
	v_fma_f64 v[218:219], v[218:219], v[220:221], v[218:219]
	v_fma_f64 v[220:221], -v[216:217], v[218:219], 1.0
	s_delay_alu instid0(VALU_DEP_1) | instskip(SKIP_1) | instid1(VALU_DEP_1)
	v_fma_f64 v[218:219], v[218:219], v[220:221], v[218:219]
	v_div_scale_f64 v[220:221], vcc_lo, 1.0, v[214:215], 1.0
	v_mul_f64 v[222:223], v[220:221], v[218:219]
	s_delay_alu instid0(VALU_DEP_1) | instskip(NEXT) | instid1(VALU_DEP_1)
	v_fma_f64 v[216:217], -v[216:217], v[222:223], v[220:221]
	v_div_fmas_f64 v[216:217], v[216:217], v[218:219], v[222:223]
	s_delay_alu instid0(VALU_DEP_1) | instskip(NEXT) | instid1(VALU_DEP_1)
	v_div_fixup_f64 v[236:237], v[216:217], v[214:215], 1.0
	v_mul_f64 v[238:239], v[212:213], -v[236:237]
.LBB116_11:
	s_or_b32 exec_lo, exec_lo, s2
.LBB116_12:
	s_delay_alu instid0(SALU_CYCLE_1) | instskip(NEXT) | instid1(SALU_CYCLE_1)
	s_or_b32 exec_lo, exec_lo, s3
	s_mov_b32 s2, exec_lo
	v_cmpx_ne_u32_e64 v251, v244
	s_xor_b32 s2, exec_lo, s2
	s_cbranch_execz .LBB116_18
; %bb.13:
	s_mov_b32 s3, exec_lo
	v_cmpx_eq_u32_e32 0, v251
	s_cbranch_execz .LBB116_17
; %bb.14:
	v_cmp_ne_u32_e32 vcc_lo, 0, v244
	s_xor_b32 s4, s5, -1
	s_delay_alu instid0(SALU_CYCLE_1) | instskip(NEXT) | instid1(SALU_CYCLE_1)
	s_and_b32 s6, s4, vcc_lo
	s_and_saveexec_b32 s4, s6
	s_cbranch_execz .LBB116_16
; %bb.15:
	scratch_load_b64 v[208:209], off, off offset:16 ; 8-byte Folded Reload
	v_ashrrev_i32_e32 v245, 31, v244
	s_delay_alu instid0(VALU_DEP_1) | instskip(SKIP_1) | instid1(VALU_DEP_1)
	v_lshlrev_b64 v[212:213], 2, v[244:245]
	s_waitcnt vmcnt(0)
	v_add_co_u32 v212, vcc_lo, v208, v212
	s_delay_alu instid0(VALU_DEP_2)
	v_add_co_ci_u32_e32 v213, vcc_lo, v209, v213, vcc_lo
	s_clause 0x1
	flat_load_b32 v214, v[212:213]
	flat_load_b32 v215, v[208:209]
	s_waitcnt vmcnt(1) lgkmcnt(1)
	flat_store_b32 v[208:209], v214
	s_waitcnt vmcnt(0) lgkmcnt(1)
	flat_store_b32 v[212:213], v215
.LBB116_16:
	s_or_b32 exec_lo, exec_lo, s4
	v_mov_b32_e32 v251, v244
.LBB116_17:
	s_or_b32 exec_lo, exec_lo, s3
.LBB116_18:
	s_or_saveexec_b32 s2, s2
	s_delay_alu instid0(VALU_DEP_1)
	v_mov_b32_e32 v252, v251
	s_xor_b32 exec_lo, exec_lo, s2
	s_cbranch_execz .LBB116_20
; %bb.19:
	scratch_load_b128 v[208:211], off, off offset:56 ; 16-byte Folded Reload
	v_mov_b32_e32 v252, 0
	s_waitcnt vmcnt(0)
	ds_store_2addr_b64 v246, v[208:209], v[210:211] offset0:2 offset1:3
	scratch_load_b128 v[208:211], off, off offset:40 ; 16-byte Folded Reload
	s_waitcnt vmcnt(0)
	ds_store_2addr_b64 v246, v[208:209], v[210:211] offset0:4 offset1:5
	scratch_load_b128 v[208:211], off, off offset:24 ; 16-byte Folded Reload
	s_waitcnt vmcnt(0)
	ds_store_2addr_b64 v246, v[208:209], v[210:211] offset0:6 offset1:7
	ds_store_2addr_b64 v246, v[0:1], v[2:3] offset0:8 offset1:9
	;; [unrolled: 1-line block ×3, first 2 shown]
	scratch_load_b128 v[208:211], off, off  ; 16-byte Folded Reload
	s_waitcnt vmcnt(0)
	ds_store_2addr_b64 v246, v[208:209], v[210:211] offset0:12 offset1:13
	ds_store_2addr_b64 v246, v[204:205], v[206:207] offset0:14 offset1:15
	;; [unrolled: 1-line block ×53, first 2 shown]
.LBB116_20:
	s_or_b32 exec_lo, exec_lo, s2
	s_delay_alu instid0(SALU_CYCLE_1)
	s_mov_b32 s2, exec_lo
	s_waitcnt vmcnt(0) lgkmcnt(0)
	s_waitcnt_vscnt null, 0x0
	s_barrier
	buffer_gl0_inv
	v_cmpx_lt_i32_e32 0, v252
	s_cbranch_execz .LBB116_22
; %bb.21:
	s_clause 0x1
	scratch_load_b128 v[214:217], off, off offset:72
	scratch_load_b128 v[208:211], off, off offset:56
	s_waitcnt vmcnt(1)
	v_mul_f64 v[212:213], v[238:239], v[216:217]
	s_delay_alu instid0(VALU_DEP_1) | instskip(SKIP_1) | instid1(VALU_DEP_1)
	v_fma_f64 v[244:245], v[236:237], v[214:215], -v[212:213]
	v_mul_f64 v[212:213], v[236:237], v[216:217]
	v_fma_f64 v[216:217], v[238:239], v[214:215], v[212:213]
	ds_load_2addr_b64 v[236:239], v246 offset0:2 offset1:3
	s_waitcnt lgkmcnt(0)
	v_mul_f64 v[212:213], v[238:239], v[216:217]
	v_mul_f64 v[214:215], v[236:237], v[216:217]
	s_delay_alu instid0(VALU_DEP_2) | instskip(NEXT) | instid1(VALU_DEP_2)
	v_fma_f64 v[212:213], v[236:237], v[244:245], -v[212:213]
	v_fma_f64 v[214:215], v[238:239], v[244:245], v[214:215]
	ds_load_2addr_b64 v[236:239], v246 offset0:4 offset1:5
	s_waitcnt vmcnt(0)
	v_add_f64 v[208:209], v[208:209], -v[212:213]
	v_add_f64 v[210:211], v[210:211], -v[214:215]
	s_waitcnt lgkmcnt(0)
	v_mul_f64 v[212:213], v[238:239], v[216:217]
	v_mul_f64 v[214:215], v[236:237], v[216:217]
	scratch_store_b128 off, v[208:211], off offset:56 ; 16-byte Folded Spill
	scratch_load_b128 v[208:211], off, off offset:40 ; 16-byte Folded Reload
	v_fma_f64 v[212:213], v[236:237], v[244:245], -v[212:213]
	v_fma_f64 v[214:215], v[238:239], v[244:245], v[214:215]
	ds_load_2addr_b64 v[236:239], v246 offset0:6 offset1:7
	s_waitcnt vmcnt(0)
	v_add_f64 v[208:209], v[208:209], -v[212:213]
	v_add_f64 v[210:211], v[210:211], -v[214:215]
	s_waitcnt lgkmcnt(0)
	v_mul_f64 v[212:213], v[238:239], v[216:217]
	v_mul_f64 v[214:215], v[236:237], v[216:217]
	scratch_store_b128 off, v[208:211], off offset:40 ; 16-byte Folded Spill
	scratch_load_b128 v[208:211], off, off offset:24 ; 16-byte Folded Reload
	v_fma_f64 v[212:213], v[236:237], v[244:245], -v[212:213]
	v_fma_f64 v[214:215], v[238:239], v[244:245], v[214:215]
	ds_load_2addr_b64 v[236:239], v246 offset0:8 offset1:9
	s_waitcnt vmcnt(0)
	v_add_f64 v[208:209], v[208:209], -v[212:213]
	v_add_f64 v[210:211], v[210:211], -v[214:215]
	s_waitcnt lgkmcnt(0)
	v_mul_f64 v[212:213], v[238:239], v[216:217]
	v_mul_f64 v[214:215], v[236:237], v[216:217]
	scratch_store_b128 off, v[208:211], off offset:24 ; 16-byte Folded Spill
	scratch_load_b128 v[208:211], off, off  ; 16-byte Folded Reload
	v_fma_f64 v[212:213], v[236:237], v[244:245], -v[212:213]
	v_fma_f64 v[214:215], v[238:239], v[244:245], v[214:215]
	ds_load_2addr_b64 v[236:239], v246 offset0:10 offset1:11
	v_add_f64 v[0:1], v[0:1], -v[212:213]
	v_add_f64 v[2:3], v[2:3], -v[214:215]
	s_waitcnt lgkmcnt(0)
	v_mul_f64 v[212:213], v[238:239], v[216:217]
	v_mul_f64 v[214:215], v[236:237], v[216:217]
	s_delay_alu instid0(VALU_DEP_2) | instskip(NEXT) | instid1(VALU_DEP_2)
	v_fma_f64 v[212:213], v[236:237], v[244:245], -v[212:213]
	v_fma_f64 v[214:215], v[238:239], v[244:245], v[214:215]
	ds_load_2addr_b64 v[236:239], v246 offset0:12 offset1:13
	v_add_f64 v[8:9], v[8:9], -v[212:213]
	v_add_f64 v[10:11], v[10:11], -v[214:215]
	s_waitcnt lgkmcnt(0)
	v_mul_f64 v[212:213], v[238:239], v[216:217]
	v_mul_f64 v[214:215], v[236:237], v[216:217]
	s_delay_alu instid0(VALU_DEP_2) | instskip(NEXT) | instid1(VALU_DEP_2)
	v_fma_f64 v[212:213], v[236:237], v[244:245], -v[212:213]
	v_fma_f64 v[214:215], v[238:239], v[244:245], v[214:215]
	ds_load_2addr_b64 v[236:239], v246 offset0:14 offset1:15
	s_waitcnt vmcnt(0)
	v_add_f64 v[208:209], v[208:209], -v[212:213]
	v_add_f64 v[210:211], v[210:211], -v[214:215]
	s_waitcnt lgkmcnt(0)
	v_mul_f64 v[212:213], v[238:239], v[216:217]
	v_mul_f64 v[214:215], v[236:237], v[216:217]
	s_delay_alu instid0(VALU_DEP_2) | instskip(NEXT) | instid1(VALU_DEP_2)
	v_fma_f64 v[212:213], v[236:237], v[244:245], -v[212:213]
	v_fma_f64 v[214:215], v[238:239], v[244:245], v[214:215]
	ds_load_2addr_b64 v[236:239], v246 offset0:16 offset1:17
	v_add_f64 v[204:205], v[204:205], -v[212:213]
	v_add_f64 v[206:207], v[206:207], -v[214:215]
	s_waitcnt lgkmcnt(0)
	v_mul_f64 v[212:213], v[238:239], v[216:217]
	v_mul_f64 v[214:215], v[236:237], v[216:217]
	s_delay_alu instid0(VALU_DEP_2) | instskip(NEXT) | instid1(VALU_DEP_2)
	v_fma_f64 v[212:213], v[236:237], v[244:245], -v[212:213]
	v_fma_f64 v[214:215], v[238:239], v[244:245], v[214:215]
	ds_load_2addr_b64 v[236:239], v246 offset0:18 offset1:19
	v_add_f64 v[200:201], v[200:201], -v[212:213]
	v_add_f64 v[202:203], v[202:203], -v[214:215]
	s_waitcnt lgkmcnt(0)
	v_mul_f64 v[212:213], v[238:239], v[216:217]
	v_mul_f64 v[214:215], v[236:237], v[216:217]
	s_delay_alu instid0(VALU_DEP_2) | instskip(NEXT) | instid1(VALU_DEP_2)
	v_fma_f64 v[212:213], v[236:237], v[244:245], -v[212:213]
	v_fma_f64 v[214:215], v[238:239], v[244:245], v[214:215]
	ds_load_2addr_b64 v[236:239], v246 offset0:20 offset1:21
	v_add_f64 v[196:197], v[196:197], -v[212:213]
	v_add_f64 v[198:199], v[198:199], -v[214:215]
	s_waitcnt lgkmcnt(0)
	v_mul_f64 v[212:213], v[238:239], v[216:217]
	v_mul_f64 v[214:215], v[236:237], v[216:217]
	s_delay_alu instid0(VALU_DEP_2) | instskip(NEXT) | instid1(VALU_DEP_2)
	v_fma_f64 v[212:213], v[236:237], v[244:245], -v[212:213]
	v_fma_f64 v[214:215], v[238:239], v[244:245], v[214:215]
	ds_load_2addr_b64 v[236:239], v246 offset0:22 offset1:23
	v_add_f64 v[192:193], v[192:193], -v[212:213]
	v_add_f64 v[194:195], v[194:195], -v[214:215]
	s_waitcnt lgkmcnt(0)
	v_mul_f64 v[212:213], v[238:239], v[216:217]
	v_mul_f64 v[214:215], v[236:237], v[216:217]
	s_delay_alu instid0(VALU_DEP_2) | instskip(NEXT) | instid1(VALU_DEP_2)
	v_fma_f64 v[212:213], v[236:237], v[244:245], -v[212:213]
	v_fma_f64 v[214:215], v[238:239], v[244:245], v[214:215]
	ds_load_2addr_b64 v[236:239], v246 offset0:24 offset1:25
	v_add_f64 v[188:189], v[188:189], -v[212:213]
	v_add_f64 v[190:191], v[190:191], -v[214:215]
	s_waitcnt lgkmcnt(0)
	v_mul_f64 v[212:213], v[238:239], v[216:217]
	v_mul_f64 v[214:215], v[236:237], v[216:217]
	s_delay_alu instid0(VALU_DEP_2) | instskip(NEXT) | instid1(VALU_DEP_2)
	v_fma_f64 v[212:213], v[236:237], v[244:245], -v[212:213]
	v_fma_f64 v[214:215], v[238:239], v[244:245], v[214:215]
	ds_load_2addr_b64 v[236:239], v246 offset0:26 offset1:27
	v_add_f64 v[184:185], v[184:185], -v[212:213]
	v_add_f64 v[186:187], v[186:187], -v[214:215]
	s_waitcnt lgkmcnt(0)
	v_mul_f64 v[212:213], v[238:239], v[216:217]
	v_mul_f64 v[214:215], v[236:237], v[216:217]
	s_delay_alu instid0(VALU_DEP_2) | instskip(NEXT) | instid1(VALU_DEP_2)
	v_fma_f64 v[212:213], v[236:237], v[244:245], -v[212:213]
	v_fma_f64 v[214:215], v[238:239], v[244:245], v[214:215]
	ds_load_2addr_b64 v[236:239], v246 offset0:28 offset1:29
	v_add_f64 v[180:181], v[180:181], -v[212:213]
	v_add_f64 v[182:183], v[182:183], -v[214:215]
	s_waitcnt lgkmcnt(0)
	v_mul_f64 v[212:213], v[238:239], v[216:217]
	v_mul_f64 v[214:215], v[236:237], v[216:217]
	s_delay_alu instid0(VALU_DEP_2) | instskip(NEXT) | instid1(VALU_DEP_2)
	v_fma_f64 v[212:213], v[236:237], v[244:245], -v[212:213]
	v_fma_f64 v[214:215], v[238:239], v[244:245], v[214:215]
	ds_load_2addr_b64 v[236:239], v246 offset0:30 offset1:31
	v_add_f64 v[176:177], v[176:177], -v[212:213]
	v_add_f64 v[178:179], v[178:179], -v[214:215]
	s_waitcnt lgkmcnt(0)
	v_mul_f64 v[212:213], v[238:239], v[216:217]
	v_mul_f64 v[214:215], v[236:237], v[216:217]
	s_delay_alu instid0(VALU_DEP_2) | instskip(NEXT) | instid1(VALU_DEP_2)
	v_fma_f64 v[212:213], v[236:237], v[244:245], -v[212:213]
	v_fma_f64 v[214:215], v[238:239], v[244:245], v[214:215]
	ds_load_2addr_b64 v[236:239], v246 offset0:32 offset1:33
	v_add_f64 v[172:173], v[172:173], -v[212:213]
	v_add_f64 v[174:175], v[174:175], -v[214:215]
	s_waitcnt lgkmcnt(0)
	v_mul_f64 v[212:213], v[238:239], v[216:217]
	v_mul_f64 v[214:215], v[236:237], v[216:217]
	s_delay_alu instid0(VALU_DEP_2) | instskip(NEXT) | instid1(VALU_DEP_2)
	v_fma_f64 v[212:213], v[236:237], v[244:245], -v[212:213]
	v_fma_f64 v[214:215], v[238:239], v[244:245], v[214:215]
	ds_load_2addr_b64 v[236:239], v246 offset0:34 offset1:35
	v_add_f64 v[168:169], v[168:169], -v[212:213]
	v_add_f64 v[170:171], v[170:171], -v[214:215]
	s_waitcnt lgkmcnt(0)
	v_mul_f64 v[212:213], v[238:239], v[216:217]
	v_mul_f64 v[214:215], v[236:237], v[216:217]
	s_delay_alu instid0(VALU_DEP_2) | instskip(NEXT) | instid1(VALU_DEP_2)
	v_fma_f64 v[212:213], v[236:237], v[244:245], -v[212:213]
	v_fma_f64 v[214:215], v[238:239], v[244:245], v[214:215]
	ds_load_2addr_b64 v[236:239], v246 offset0:36 offset1:37
	v_add_f64 v[164:165], v[164:165], -v[212:213]
	v_add_f64 v[166:167], v[166:167], -v[214:215]
	s_waitcnt lgkmcnt(0)
	v_mul_f64 v[212:213], v[238:239], v[216:217]
	v_mul_f64 v[214:215], v[236:237], v[216:217]
	s_delay_alu instid0(VALU_DEP_2) | instskip(NEXT) | instid1(VALU_DEP_2)
	v_fma_f64 v[212:213], v[236:237], v[244:245], -v[212:213]
	v_fma_f64 v[214:215], v[238:239], v[244:245], v[214:215]
	ds_load_2addr_b64 v[236:239], v246 offset0:38 offset1:39
	v_add_f64 v[160:161], v[160:161], -v[212:213]
	v_add_f64 v[162:163], v[162:163], -v[214:215]
	s_waitcnt lgkmcnt(0)
	v_mul_f64 v[212:213], v[238:239], v[216:217]
	v_mul_f64 v[214:215], v[236:237], v[216:217]
	s_delay_alu instid0(VALU_DEP_2) | instskip(NEXT) | instid1(VALU_DEP_2)
	v_fma_f64 v[212:213], v[236:237], v[244:245], -v[212:213]
	v_fma_f64 v[214:215], v[238:239], v[244:245], v[214:215]
	ds_load_2addr_b64 v[236:239], v246 offset0:40 offset1:41
	v_add_f64 v[156:157], v[156:157], -v[212:213]
	v_add_f64 v[158:159], v[158:159], -v[214:215]
	s_waitcnt lgkmcnt(0)
	v_mul_f64 v[212:213], v[238:239], v[216:217]
	v_mul_f64 v[214:215], v[236:237], v[216:217]
	s_delay_alu instid0(VALU_DEP_2) | instskip(NEXT) | instid1(VALU_DEP_2)
	v_fma_f64 v[212:213], v[236:237], v[244:245], -v[212:213]
	v_fma_f64 v[214:215], v[238:239], v[244:245], v[214:215]
	ds_load_2addr_b64 v[236:239], v246 offset0:42 offset1:43
	v_add_f64 v[152:153], v[152:153], -v[212:213]
	v_add_f64 v[154:155], v[154:155], -v[214:215]
	s_waitcnt lgkmcnt(0)
	v_mul_f64 v[212:213], v[238:239], v[216:217]
	v_mul_f64 v[214:215], v[236:237], v[216:217]
	s_delay_alu instid0(VALU_DEP_2) | instskip(NEXT) | instid1(VALU_DEP_2)
	v_fma_f64 v[212:213], v[236:237], v[244:245], -v[212:213]
	v_fma_f64 v[214:215], v[238:239], v[244:245], v[214:215]
	ds_load_2addr_b64 v[236:239], v246 offset0:44 offset1:45
	v_add_f64 v[148:149], v[148:149], -v[212:213]
	v_add_f64 v[150:151], v[150:151], -v[214:215]
	s_waitcnt lgkmcnt(0)
	v_mul_f64 v[212:213], v[238:239], v[216:217]
	v_mul_f64 v[214:215], v[236:237], v[216:217]
	s_delay_alu instid0(VALU_DEP_2) | instskip(NEXT) | instid1(VALU_DEP_2)
	v_fma_f64 v[212:213], v[236:237], v[244:245], -v[212:213]
	v_fma_f64 v[214:215], v[238:239], v[244:245], v[214:215]
	ds_load_2addr_b64 v[236:239], v246 offset0:46 offset1:47
	v_add_f64 v[144:145], v[144:145], -v[212:213]
	v_add_f64 v[146:147], v[146:147], -v[214:215]
	s_waitcnt lgkmcnt(0)
	v_mul_f64 v[212:213], v[238:239], v[216:217]
	v_mul_f64 v[214:215], v[236:237], v[216:217]
	s_delay_alu instid0(VALU_DEP_2) | instskip(NEXT) | instid1(VALU_DEP_2)
	v_fma_f64 v[212:213], v[236:237], v[244:245], -v[212:213]
	v_fma_f64 v[214:215], v[238:239], v[244:245], v[214:215]
	ds_load_2addr_b64 v[236:239], v246 offset0:48 offset1:49
	v_add_f64 v[140:141], v[140:141], -v[212:213]
	v_add_f64 v[142:143], v[142:143], -v[214:215]
	s_waitcnt lgkmcnt(0)
	v_mul_f64 v[212:213], v[238:239], v[216:217]
	v_mul_f64 v[214:215], v[236:237], v[216:217]
	s_delay_alu instid0(VALU_DEP_2) | instskip(NEXT) | instid1(VALU_DEP_2)
	v_fma_f64 v[212:213], v[236:237], v[244:245], -v[212:213]
	v_fma_f64 v[214:215], v[238:239], v[244:245], v[214:215]
	ds_load_2addr_b64 v[236:239], v246 offset0:50 offset1:51
	v_add_f64 v[136:137], v[136:137], -v[212:213]
	v_add_f64 v[138:139], v[138:139], -v[214:215]
	s_waitcnt lgkmcnt(0)
	v_mul_f64 v[212:213], v[238:239], v[216:217]
	v_mul_f64 v[214:215], v[236:237], v[216:217]
	s_delay_alu instid0(VALU_DEP_2) | instskip(NEXT) | instid1(VALU_DEP_2)
	v_fma_f64 v[212:213], v[236:237], v[244:245], -v[212:213]
	v_fma_f64 v[214:215], v[238:239], v[244:245], v[214:215]
	ds_load_2addr_b64 v[236:239], v246 offset0:52 offset1:53
	v_add_f64 v[132:133], v[132:133], -v[212:213]
	v_add_f64 v[134:135], v[134:135], -v[214:215]
	s_waitcnt lgkmcnt(0)
	v_mul_f64 v[212:213], v[238:239], v[216:217]
	v_mul_f64 v[214:215], v[236:237], v[216:217]
	s_delay_alu instid0(VALU_DEP_2) | instskip(NEXT) | instid1(VALU_DEP_2)
	v_fma_f64 v[212:213], v[236:237], v[244:245], -v[212:213]
	v_fma_f64 v[214:215], v[238:239], v[244:245], v[214:215]
	ds_load_2addr_b64 v[236:239], v246 offset0:54 offset1:55
	v_add_f64 v[128:129], v[128:129], -v[212:213]
	v_add_f64 v[130:131], v[130:131], -v[214:215]
	s_waitcnt lgkmcnt(0)
	v_mul_f64 v[212:213], v[238:239], v[216:217]
	v_mul_f64 v[214:215], v[236:237], v[216:217]
	s_delay_alu instid0(VALU_DEP_2) | instskip(NEXT) | instid1(VALU_DEP_2)
	v_fma_f64 v[212:213], v[236:237], v[244:245], -v[212:213]
	v_fma_f64 v[214:215], v[238:239], v[244:245], v[214:215]
	ds_load_2addr_b64 v[236:239], v246 offset0:56 offset1:57
	v_add_f64 v[124:125], v[124:125], -v[212:213]
	v_add_f64 v[126:127], v[126:127], -v[214:215]
	s_waitcnt lgkmcnt(0)
	v_mul_f64 v[212:213], v[238:239], v[216:217]
	v_mul_f64 v[214:215], v[236:237], v[216:217]
	s_delay_alu instid0(VALU_DEP_2) | instskip(NEXT) | instid1(VALU_DEP_2)
	v_fma_f64 v[212:213], v[236:237], v[244:245], -v[212:213]
	v_fma_f64 v[214:215], v[238:239], v[244:245], v[214:215]
	ds_load_2addr_b64 v[236:239], v246 offset0:58 offset1:59
	v_add_f64 v[120:121], v[120:121], -v[212:213]
	v_add_f64 v[122:123], v[122:123], -v[214:215]
	s_waitcnt lgkmcnt(0)
	v_mul_f64 v[212:213], v[238:239], v[216:217]
	v_mul_f64 v[214:215], v[236:237], v[216:217]
	s_delay_alu instid0(VALU_DEP_2) | instskip(NEXT) | instid1(VALU_DEP_2)
	v_fma_f64 v[212:213], v[236:237], v[244:245], -v[212:213]
	v_fma_f64 v[214:215], v[238:239], v[244:245], v[214:215]
	ds_load_2addr_b64 v[236:239], v246 offset0:60 offset1:61
	v_add_f64 v[116:117], v[116:117], -v[212:213]
	v_add_f64 v[118:119], v[118:119], -v[214:215]
	s_waitcnt lgkmcnt(0)
	v_mul_f64 v[212:213], v[238:239], v[216:217]
	v_mul_f64 v[214:215], v[236:237], v[216:217]
	s_delay_alu instid0(VALU_DEP_2) | instskip(NEXT) | instid1(VALU_DEP_2)
	v_fma_f64 v[212:213], v[236:237], v[244:245], -v[212:213]
	v_fma_f64 v[214:215], v[238:239], v[244:245], v[214:215]
	ds_load_2addr_b64 v[236:239], v246 offset0:62 offset1:63
	v_add_f64 v[112:113], v[112:113], -v[212:213]
	v_add_f64 v[114:115], v[114:115], -v[214:215]
	s_waitcnt lgkmcnt(0)
	v_mul_f64 v[212:213], v[238:239], v[216:217]
	v_mul_f64 v[214:215], v[236:237], v[216:217]
	s_delay_alu instid0(VALU_DEP_2) | instskip(NEXT) | instid1(VALU_DEP_2)
	v_fma_f64 v[212:213], v[236:237], v[244:245], -v[212:213]
	v_fma_f64 v[214:215], v[238:239], v[244:245], v[214:215]
	ds_load_2addr_b64 v[236:239], v246 offset0:64 offset1:65
	v_add_f64 v[108:109], v[108:109], -v[212:213]
	v_add_f64 v[110:111], v[110:111], -v[214:215]
	s_waitcnt lgkmcnt(0)
	v_mul_f64 v[212:213], v[238:239], v[216:217]
	v_mul_f64 v[214:215], v[236:237], v[216:217]
	s_delay_alu instid0(VALU_DEP_2) | instskip(NEXT) | instid1(VALU_DEP_2)
	v_fma_f64 v[212:213], v[236:237], v[244:245], -v[212:213]
	v_fma_f64 v[214:215], v[238:239], v[244:245], v[214:215]
	ds_load_2addr_b64 v[236:239], v246 offset0:66 offset1:67
	v_add_f64 v[104:105], v[104:105], -v[212:213]
	v_add_f64 v[106:107], v[106:107], -v[214:215]
	s_waitcnt lgkmcnt(0)
	v_mul_f64 v[212:213], v[238:239], v[216:217]
	v_mul_f64 v[214:215], v[236:237], v[216:217]
	s_delay_alu instid0(VALU_DEP_2) | instskip(NEXT) | instid1(VALU_DEP_2)
	v_fma_f64 v[212:213], v[236:237], v[244:245], -v[212:213]
	v_fma_f64 v[214:215], v[238:239], v[244:245], v[214:215]
	ds_load_2addr_b64 v[236:239], v246 offset0:68 offset1:69
	v_add_f64 v[100:101], v[100:101], -v[212:213]
	v_add_f64 v[102:103], v[102:103], -v[214:215]
	s_waitcnt lgkmcnt(0)
	v_mul_f64 v[212:213], v[238:239], v[216:217]
	v_mul_f64 v[214:215], v[236:237], v[216:217]
	s_delay_alu instid0(VALU_DEP_2) | instskip(NEXT) | instid1(VALU_DEP_2)
	v_fma_f64 v[212:213], v[236:237], v[244:245], -v[212:213]
	v_fma_f64 v[214:215], v[238:239], v[244:245], v[214:215]
	ds_load_2addr_b64 v[236:239], v246 offset0:70 offset1:71
	v_add_f64 v[96:97], v[96:97], -v[212:213]
	v_add_f64 v[98:99], v[98:99], -v[214:215]
	s_waitcnt lgkmcnt(0)
	v_mul_f64 v[212:213], v[238:239], v[216:217]
	v_mul_f64 v[214:215], v[236:237], v[216:217]
	s_delay_alu instid0(VALU_DEP_2) | instskip(NEXT) | instid1(VALU_DEP_2)
	v_fma_f64 v[212:213], v[236:237], v[244:245], -v[212:213]
	v_fma_f64 v[214:215], v[238:239], v[244:245], v[214:215]
	ds_load_2addr_b64 v[236:239], v246 offset0:72 offset1:73
	v_add_f64 v[92:93], v[92:93], -v[212:213]
	v_add_f64 v[94:95], v[94:95], -v[214:215]
	s_waitcnt lgkmcnt(0)
	v_mul_f64 v[212:213], v[238:239], v[216:217]
	v_mul_f64 v[214:215], v[236:237], v[216:217]
	s_delay_alu instid0(VALU_DEP_2) | instskip(NEXT) | instid1(VALU_DEP_2)
	v_fma_f64 v[212:213], v[236:237], v[244:245], -v[212:213]
	v_fma_f64 v[214:215], v[238:239], v[244:245], v[214:215]
	ds_load_2addr_b64 v[236:239], v246 offset0:74 offset1:75
	v_add_f64 v[88:89], v[88:89], -v[212:213]
	v_add_f64 v[90:91], v[90:91], -v[214:215]
	s_waitcnt lgkmcnt(0)
	v_mul_f64 v[212:213], v[238:239], v[216:217]
	v_mul_f64 v[214:215], v[236:237], v[216:217]
	s_delay_alu instid0(VALU_DEP_2) | instskip(NEXT) | instid1(VALU_DEP_2)
	v_fma_f64 v[212:213], v[236:237], v[244:245], -v[212:213]
	v_fma_f64 v[214:215], v[238:239], v[244:245], v[214:215]
	ds_load_2addr_b64 v[236:239], v246 offset0:76 offset1:77
	v_add_f64 v[84:85], v[84:85], -v[212:213]
	v_add_f64 v[86:87], v[86:87], -v[214:215]
	s_waitcnt lgkmcnt(0)
	v_mul_f64 v[212:213], v[238:239], v[216:217]
	v_mul_f64 v[214:215], v[236:237], v[216:217]
	s_delay_alu instid0(VALU_DEP_2) | instskip(NEXT) | instid1(VALU_DEP_2)
	v_fma_f64 v[212:213], v[236:237], v[244:245], -v[212:213]
	v_fma_f64 v[214:215], v[238:239], v[244:245], v[214:215]
	ds_load_2addr_b64 v[236:239], v246 offset0:78 offset1:79
	v_add_f64 v[80:81], v[80:81], -v[212:213]
	v_add_f64 v[82:83], v[82:83], -v[214:215]
	s_waitcnt lgkmcnt(0)
	v_mul_f64 v[212:213], v[238:239], v[216:217]
	v_mul_f64 v[214:215], v[236:237], v[216:217]
	s_delay_alu instid0(VALU_DEP_2) | instskip(NEXT) | instid1(VALU_DEP_2)
	v_fma_f64 v[212:213], v[236:237], v[244:245], -v[212:213]
	v_fma_f64 v[214:215], v[238:239], v[244:245], v[214:215]
	ds_load_2addr_b64 v[236:239], v246 offset0:80 offset1:81
	v_add_f64 v[76:77], v[76:77], -v[212:213]
	v_add_f64 v[78:79], v[78:79], -v[214:215]
	s_waitcnt lgkmcnt(0)
	v_mul_f64 v[212:213], v[238:239], v[216:217]
	v_mul_f64 v[214:215], v[236:237], v[216:217]
	s_delay_alu instid0(VALU_DEP_2) | instskip(NEXT) | instid1(VALU_DEP_2)
	v_fma_f64 v[212:213], v[236:237], v[244:245], -v[212:213]
	v_fma_f64 v[214:215], v[238:239], v[244:245], v[214:215]
	ds_load_2addr_b64 v[236:239], v246 offset0:82 offset1:83
	v_add_f64 v[72:73], v[72:73], -v[212:213]
	v_add_f64 v[74:75], v[74:75], -v[214:215]
	s_waitcnt lgkmcnt(0)
	v_mul_f64 v[212:213], v[238:239], v[216:217]
	v_mul_f64 v[214:215], v[236:237], v[216:217]
	s_delay_alu instid0(VALU_DEP_2) | instskip(NEXT) | instid1(VALU_DEP_2)
	v_fma_f64 v[212:213], v[236:237], v[244:245], -v[212:213]
	v_fma_f64 v[214:215], v[238:239], v[244:245], v[214:215]
	ds_load_2addr_b64 v[236:239], v246 offset0:84 offset1:85
	v_add_f64 v[68:69], v[68:69], -v[212:213]
	v_add_f64 v[70:71], v[70:71], -v[214:215]
	s_waitcnt lgkmcnt(0)
	v_mul_f64 v[212:213], v[238:239], v[216:217]
	v_mul_f64 v[214:215], v[236:237], v[216:217]
	s_delay_alu instid0(VALU_DEP_2) | instskip(NEXT) | instid1(VALU_DEP_2)
	v_fma_f64 v[212:213], v[236:237], v[244:245], -v[212:213]
	v_fma_f64 v[214:215], v[238:239], v[244:245], v[214:215]
	ds_load_2addr_b64 v[236:239], v246 offset0:86 offset1:87
	v_add_f64 v[64:65], v[64:65], -v[212:213]
	v_add_f64 v[66:67], v[66:67], -v[214:215]
	s_waitcnt lgkmcnt(0)
	v_mul_f64 v[212:213], v[238:239], v[216:217]
	v_mul_f64 v[214:215], v[236:237], v[216:217]
	s_delay_alu instid0(VALU_DEP_2) | instskip(NEXT) | instid1(VALU_DEP_2)
	v_fma_f64 v[212:213], v[236:237], v[244:245], -v[212:213]
	v_fma_f64 v[214:215], v[238:239], v[244:245], v[214:215]
	ds_load_2addr_b64 v[236:239], v246 offset0:88 offset1:89
	v_add_f64 v[60:61], v[60:61], -v[212:213]
	v_add_f64 v[62:63], v[62:63], -v[214:215]
	s_waitcnt lgkmcnt(0)
	v_mul_f64 v[212:213], v[238:239], v[216:217]
	v_mul_f64 v[214:215], v[236:237], v[216:217]
	s_delay_alu instid0(VALU_DEP_2) | instskip(NEXT) | instid1(VALU_DEP_2)
	v_fma_f64 v[212:213], v[236:237], v[244:245], -v[212:213]
	v_fma_f64 v[214:215], v[238:239], v[244:245], v[214:215]
	ds_load_2addr_b64 v[236:239], v246 offset0:90 offset1:91
	v_add_f64 v[56:57], v[56:57], -v[212:213]
	v_add_f64 v[58:59], v[58:59], -v[214:215]
	s_waitcnt lgkmcnt(0)
	v_mul_f64 v[212:213], v[238:239], v[216:217]
	v_mul_f64 v[214:215], v[236:237], v[216:217]
	s_delay_alu instid0(VALU_DEP_2) | instskip(NEXT) | instid1(VALU_DEP_2)
	v_fma_f64 v[212:213], v[236:237], v[244:245], -v[212:213]
	v_fma_f64 v[214:215], v[238:239], v[244:245], v[214:215]
	ds_load_2addr_b64 v[236:239], v246 offset0:92 offset1:93
	v_add_f64 v[52:53], v[52:53], -v[212:213]
	v_add_f64 v[54:55], v[54:55], -v[214:215]
	s_waitcnt lgkmcnt(0)
	v_mul_f64 v[212:213], v[238:239], v[216:217]
	v_mul_f64 v[214:215], v[236:237], v[216:217]
	s_delay_alu instid0(VALU_DEP_2) | instskip(NEXT) | instid1(VALU_DEP_2)
	v_fma_f64 v[212:213], v[236:237], v[244:245], -v[212:213]
	v_fma_f64 v[214:215], v[238:239], v[244:245], v[214:215]
	ds_load_2addr_b64 v[236:239], v246 offset0:94 offset1:95
	v_add_f64 v[48:49], v[48:49], -v[212:213]
	v_add_f64 v[50:51], v[50:51], -v[214:215]
	s_waitcnt lgkmcnt(0)
	v_mul_f64 v[212:213], v[238:239], v[216:217]
	v_mul_f64 v[214:215], v[236:237], v[216:217]
	s_delay_alu instid0(VALU_DEP_2) | instskip(NEXT) | instid1(VALU_DEP_2)
	v_fma_f64 v[212:213], v[236:237], v[244:245], -v[212:213]
	v_fma_f64 v[214:215], v[238:239], v[244:245], v[214:215]
	ds_load_2addr_b64 v[236:239], v246 offset0:96 offset1:97
	v_add_f64 v[44:45], v[44:45], -v[212:213]
	v_add_f64 v[46:47], v[46:47], -v[214:215]
	s_waitcnt lgkmcnt(0)
	v_mul_f64 v[212:213], v[238:239], v[216:217]
	v_mul_f64 v[214:215], v[236:237], v[216:217]
	s_delay_alu instid0(VALU_DEP_2) | instskip(NEXT) | instid1(VALU_DEP_2)
	v_fma_f64 v[212:213], v[236:237], v[244:245], -v[212:213]
	v_fma_f64 v[214:215], v[238:239], v[244:245], v[214:215]
	ds_load_2addr_b64 v[236:239], v246 offset0:98 offset1:99
	v_add_f64 v[40:41], v[40:41], -v[212:213]
	v_add_f64 v[42:43], v[42:43], -v[214:215]
	s_waitcnt lgkmcnt(0)
	v_mul_f64 v[212:213], v[238:239], v[216:217]
	v_mul_f64 v[214:215], v[236:237], v[216:217]
	s_delay_alu instid0(VALU_DEP_2) | instskip(NEXT) | instid1(VALU_DEP_2)
	v_fma_f64 v[212:213], v[236:237], v[244:245], -v[212:213]
	v_fma_f64 v[214:215], v[238:239], v[244:245], v[214:215]
	ds_load_2addr_b64 v[236:239], v246 offset0:100 offset1:101
	v_add_f64 v[36:37], v[36:37], -v[212:213]
	v_add_f64 v[38:39], v[38:39], -v[214:215]
	s_waitcnt lgkmcnt(0)
	v_mul_f64 v[212:213], v[238:239], v[216:217]
	v_mul_f64 v[214:215], v[236:237], v[216:217]
	s_delay_alu instid0(VALU_DEP_2) | instskip(NEXT) | instid1(VALU_DEP_2)
	v_fma_f64 v[212:213], v[236:237], v[244:245], -v[212:213]
	v_fma_f64 v[214:215], v[238:239], v[244:245], v[214:215]
	ds_load_2addr_b64 v[236:239], v246 offset0:102 offset1:103
	v_add_f64 v[32:33], v[32:33], -v[212:213]
	v_add_f64 v[34:35], v[34:35], -v[214:215]
	s_waitcnt lgkmcnt(0)
	v_mul_f64 v[212:213], v[238:239], v[216:217]
	v_mul_f64 v[214:215], v[236:237], v[216:217]
	s_delay_alu instid0(VALU_DEP_2) | instskip(NEXT) | instid1(VALU_DEP_2)
	v_fma_f64 v[212:213], v[236:237], v[244:245], -v[212:213]
	v_fma_f64 v[214:215], v[238:239], v[244:245], v[214:215]
	ds_load_2addr_b64 v[236:239], v246 offset0:104 offset1:105
	v_add_f64 v[28:29], v[28:29], -v[212:213]
	v_add_f64 v[30:31], v[30:31], -v[214:215]
	s_waitcnt lgkmcnt(0)
	v_mul_f64 v[212:213], v[238:239], v[216:217]
	v_mul_f64 v[214:215], v[236:237], v[216:217]
	s_delay_alu instid0(VALU_DEP_2) | instskip(NEXT) | instid1(VALU_DEP_2)
	v_fma_f64 v[212:213], v[236:237], v[244:245], -v[212:213]
	v_fma_f64 v[214:215], v[238:239], v[244:245], v[214:215]
	ds_load_2addr_b64 v[236:239], v246 offset0:106 offset1:107
	v_add_f64 v[24:25], v[24:25], -v[212:213]
	v_add_f64 v[26:27], v[26:27], -v[214:215]
	s_waitcnt lgkmcnt(0)
	v_mul_f64 v[212:213], v[238:239], v[216:217]
	v_mul_f64 v[214:215], v[236:237], v[216:217]
	s_delay_alu instid0(VALU_DEP_2) | instskip(NEXT) | instid1(VALU_DEP_2)
	v_fma_f64 v[212:213], v[236:237], v[244:245], -v[212:213]
	v_fma_f64 v[214:215], v[238:239], v[244:245], v[214:215]
	ds_load_2addr_b64 v[236:239], v246 offset0:108 offset1:109
	v_add_f64 v[20:21], v[20:21], -v[212:213]
	v_add_f64 v[22:23], v[22:23], -v[214:215]
	s_waitcnt lgkmcnt(0)
	v_mul_f64 v[212:213], v[238:239], v[216:217]
	v_mul_f64 v[214:215], v[236:237], v[216:217]
	s_delay_alu instid0(VALU_DEP_2) | instskip(NEXT) | instid1(VALU_DEP_2)
	v_fma_f64 v[212:213], v[236:237], v[244:245], -v[212:213]
	v_fma_f64 v[214:215], v[238:239], v[244:245], v[214:215]
	ds_load_2addr_b64 v[236:239], v246 offset0:110 offset1:111
	v_add_f64 v[16:17], v[16:17], -v[212:213]
	v_add_f64 v[18:19], v[18:19], -v[214:215]
	s_waitcnt lgkmcnt(0)
	v_mul_f64 v[212:213], v[238:239], v[216:217]
	v_mul_f64 v[214:215], v[236:237], v[216:217]
	s_delay_alu instid0(VALU_DEP_2) | instskip(NEXT) | instid1(VALU_DEP_2)
	v_fma_f64 v[212:213], v[236:237], v[244:245], -v[212:213]
	v_fma_f64 v[214:215], v[238:239], v[244:245], v[214:215]
	ds_load_2addr_b64 v[236:239], v246 offset0:112 offset1:113
	v_add_f64 v[12:13], v[12:13], -v[212:213]
	v_add_f64 v[14:15], v[14:15], -v[214:215]
	s_waitcnt lgkmcnt(0)
	v_mul_f64 v[212:213], v[238:239], v[216:217]
	v_mul_f64 v[214:215], v[236:237], v[216:217]
	s_delay_alu instid0(VALU_DEP_2) | instskip(NEXT) | instid1(VALU_DEP_2)
	v_fma_f64 v[212:213], v[236:237], v[244:245], -v[212:213]
	v_fma_f64 v[214:215], v[238:239], v[244:245], v[214:215]
	ds_load_2addr_b64 v[236:239], v246 offset0:114 offset1:115
	v_add_f64 v[230:231], v[230:231], -v[212:213]
	v_add_f64 v[232:233], v[232:233], -v[214:215]
	s_waitcnt lgkmcnt(0)
	v_mul_f64 v[212:213], v[238:239], v[216:217]
	v_mul_f64 v[214:215], v[236:237], v[216:217]
	s_delay_alu instid0(VALU_DEP_2) | instskip(NEXT) | instid1(VALU_DEP_2)
	v_fma_f64 v[212:213], v[236:237], v[244:245], -v[212:213]
	v_fma_f64 v[214:215], v[238:239], v[244:245], v[214:215]
	ds_load_2addr_b64 v[236:239], v246 offset0:116 offset1:117
	v_add_f64 v[4:5], v[4:5], -v[212:213]
	v_add_f64 v[6:7], v[6:7], -v[214:215]
	s_waitcnt lgkmcnt(0)
	v_mul_f64 v[212:213], v[238:239], v[216:217]
	v_mul_f64 v[214:215], v[236:237], v[216:217]
	s_delay_alu instid0(VALU_DEP_2) | instskip(NEXT) | instid1(VALU_DEP_2)
	v_fma_f64 v[212:213], v[236:237], v[244:245], -v[212:213]
	v_fma_f64 v[214:215], v[238:239], v[244:245], v[214:215]
	s_delay_alu instid0(VALU_DEP_2) | instskip(NEXT) | instid1(VALU_DEP_2)
	v_add_f64 v[224:225], v[224:225], -v[212:213]
	v_add_f64 v[226:227], v[226:227], -v[214:215]
	v_dual_mov_b32 v214, v244 :: v_dual_mov_b32 v215, v245
	s_clause 0x1
	scratch_store_b128 off, v[208:211], off
	scratch_store_b128 off, v[214:217], off offset:72
.LBB116_22:
	s_or_b32 exec_lo, exec_lo, s2
	s_waitcnt_vscnt null, 0x0
	s_barrier
	buffer_gl0_inv
	scratch_load_b128 v[208:211], off, off offset:56 ; 16-byte Folded Reload
	v_lshl_add_u32 v212, v252, 4, v246
	v_mov_b32_e32 v244, 1
	s_cmp_lt_i32 s12, 3
	s_waitcnt vmcnt(0)
	ds_store_2addr_b64 v212, v[208:209], v[210:211] offset1:1
	s_waitcnt lgkmcnt(0)
	s_barrier
	buffer_gl0_inv
	ds_load_2addr_b64 v[236:239], v246 offset0:2 offset1:3
	s_cbranch_scc1 .LBB116_25
; %bb.23:
	v_add3_u32 v245, v234, 0, 32
	v_mov_b32_e32 v244, 1
	s_mov_b32 s6, 2
	s_set_inst_prefetch_distance 0x1
	.p2align	6
.LBB116_24:                             ; =>This Inner Loop Header: Depth=1
	ds_load_2addr_b64 v[240:243], v245 offset1:1
	s_waitcnt lgkmcnt(1)
	v_cmp_gt_f64_e32 vcc_lo, 0, v[236:237]
	v_cmp_gt_f64_e64 s2, 0, v[238:239]
	v_xor_b32_e32 v213, 0x80000000, v237
	v_xor_b32_e32 v215, 0x80000000, v239
	v_add_nc_u32_e32 v245, 16, v245
	s_waitcnt lgkmcnt(0)
	v_cmp_gt_f64_e64 s3, 0, v[240:241]
	v_cmp_gt_f64_e64 s4, 0, v[242:243]
	v_xor_b32_e32 v219, 0x80000000, v241
	v_xor_b32_e32 v220, 0x80000000, v243
	v_mov_b32_e32 v214, v242
	v_mov_b32_e32 v212, v240
	v_cndmask_b32_e32 v216, v237, v213, vcc_lo
	v_cndmask_b32_e64 v218, v239, v215, s2
	v_cndmask_b32_e32 v215, v236, v236, vcc_lo
	v_cndmask_b32_e64 v217, v238, v238, s2
	s_delay_alu instid0(VALU_DEP_1) | instskip(SKIP_2) | instid1(VALU_DEP_1)
	v_add_f64 v[216:217], v[215:216], v[217:218]
	v_cndmask_b32_e64 v213, v241, v219, s3
	v_cndmask_b32_e64 v215, v243, v220, s4
	v_add_f64 v[212:213], v[212:213], v[214:215]
	s_delay_alu instid0(VALU_DEP_1)
	v_cmp_lt_f64_e32 vcc_lo, v[216:217], v[212:213]
	v_cndmask_b32_e32 v239, v239, v243, vcc_lo
	v_dual_cndmask_b32 v237, v237, v241 :: v_dual_cndmask_b32 v236, v236, v240
	v_cndmask_b32_e32 v238, v238, v242, vcc_lo
	v_cndmask_b32_e64 v244, v244, s6, vcc_lo
	s_add_i32 s6, s6, 1
	s_delay_alu instid0(SALU_CYCLE_1)
	s_cmp_lg_u32 s12, s6
	s_cbranch_scc1 .LBB116_24
.LBB116_25:
	s_set_inst_prefetch_distance 0x2
	s_waitcnt lgkmcnt(0)
	v_cmp_neq_f64_e32 vcc_lo, 0, v[236:237]
	v_cmp_neq_f64_e64 s2, 0, v[238:239]
	s_delay_alu instid0(VALU_DEP_1) | instskip(NEXT) | instid1(SALU_CYCLE_1)
	s_or_b32 s2, vcc_lo, s2
	s_and_saveexec_b32 s3, s2
	s_cbranch_execz .LBB116_31
; %bb.26:
	v_cmp_gt_f64_e32 vcc_lo, 0, v[236:237]
	v_cmp_gt_f64_e64 s2, 0, v[238:239]
	v_xor_b32_e32 v212, 0x80000000, v237
	v_xor_b32_e32 v214, 0x80000000, v239
	s_delay_alu instid0(VALU_DEP_2) | instskip(NEXT) | instid1(VALU_DEP_2)
	v_cndmask_b32_e32 v213, v237, v212, vcc_lo
	v_cndmask_b32_e64 v215, v239, v214, s2
	v_cndmask_b32_e32 v212, v236, v236, vcc_lo
	v_cndmask_b32_e64 v214, v238, v238, s2
	s_mov_b32 s2, exec_lo
	s_delay_alu instid0(VALU_DEP_1)
	v_cmpx_ngt_f64_e32 v[212:213], v[214:215]
	s_xor_b32 s2, exec_lo, s2
	s_cbranch_execz .LBB116_28
; %bb.27:
	v_div_scale_f64 v[212:213], null, v[238:239], v[238:239], v[236:237]
	v_div_scale_f64 v[218:219], vcc_lo, v[236:237], v[238:239], v[236:237]
	s_delay_alu instid0(VALU_DEP_2) | instskip(SKIP_2) | instid1(VALU_DEP_1)
	v_rcp_f64_e32 v[214:215], v[212:213]
	s_waitcnt_depctr 0xfff
	v_fma_f64 v[216:217], -v[212:213], v[214:215], 1.0
	v_fma_f64 v[214:215], v[214:215], v[216:217], v[214:215]
	s_delay_alu instid0(VALU_DEP_1) | instskip(NEXT) | instid1(VALU_DEP_1)
	v_fma_f64 v[216:217], -v[212:213], v[214:215], 1.0
	v_fma_f64 v[214:215], v[214:215], v[216:217], v[214:215]
	s_delay_alu instid0(VALU_DEP_1) | instskip(NEXT) | instid1(VALU_DEP_1)
	v_mul_f64 v[216:217], v[218:219], v[214:215]
	v_fma_f64 v[212:213], -v[212:213], v[216:217], v[218:219]
	s_delay_alu instid0(VALU_DEP_1) | instskip(NEXT) | instid1(VALU_DEP_1)
	v_div_fmas_f64 v[212:213], v[212:213], v[214:215], v[216:217]
	v_div_fixup_f64 v[212:213], v[212:213], v[238:239], v[236:237]
	s_delay_alu instid0(VALU_DEP_1) | instskip(NEXT) | instid1(VALU_DEP_1)
	v_fma_f64 v[214:215], v[236:237], v[212:213], v[238:239]
	v_div_scale_f64 v[216:217], null, v[214:215], v[214:215], 1.0
	s_delay_alu instid0(VALU_DEP_1) | instskip(SKIP_2) | instid1(VALU_DEP_1)
	v_rcp_f64_e32 v[218:219], v[216:217]
	s_waitcnt_depctr 0xfff
	v_fma_f64 v[220:221], -v[216:217], v[218:219], 1.0
	v_fma_f64 v[218:219], v[218:219], v[220:221], v[218:219]
	s_delay_alu instid0(VALU_DEP_1) | instskip(NEXT) | instid1(VALU_DEP_1)
	v_fma_f64 v[220:221], -v[216:217], v[218:219], 1.0
	v_fma_f64 v[218:219], v[218:219], v[220:221], v[218:219]
	v_div_scale_f64 v[220:221], vcc_lo, 1.0, v[214:215], 1.0
	s_delay_alu instid0(VALU_DEP_1) | instskip(NEXT) | instid1(VALU_DEP_1)
	v_mul_f64 v[222:223], v[220:221], v[218:219]
	v_fma_f64 v[216:217], -v[216:217], v[222:223], v[220:221]
	s_delay_alu instid0(VALU_DEP_1) | instskip(NEXT) | instid1(VALU_DEP_1)
	v_div_fmas_f64 v[216:217], v[216:217], v[218:219], v[222:223]
	v_div_fixup_f64 v[238:239], v[216:217], v[214:215], 1.0
	s_delay_alu instid0(VALU_DEP_1)
	v_mul_f64 v[236:237], v[212:213], v[238:239]
	v_xor_b32_e32 v239, 0x80000000, v239
.LBB116_28:
	s_and_not1_saveexec_b32 s2, s2
	s_cbranch_execz .LBB116_30
; %bb.29:
	s_delay_alu instid0(VALU_DEP_1) | instskip(SKIP_1) | instid1(VALU_DEP_2)
	v_div_scale_f64 v[212:213], null, v[236:237], v[236:237], v[238:239]
	v_div_scale_f64 v[218:219], vcc_lo, v[238:239], v[236:237], v[238:239]
	v_rcp_f64_e32 v[214:215], v[212:213]
	s_waitcnt_depctr 0xfff
	v_fma_f64 v[216:217], -v[212:213], v[214:215], 1.0
	s_delay_alu instid0(VALU_DEP_1) | instskip(NEXT) | instid1(VALU_DEP_1)
	v_fma_f64 v[214:215], v[214:215], v[216:217], v[214:215]
	v_fma_f64 v[216:217], -v[212:213], v[214:215], 1.0
	s_delay_alu instid0(VALU_DEP_1) | instskip(NEXT) | instid1(VALU_DEP_1)
	v_fma_f64 v[214:215], v[214:215], v[216:217], v[214:215]
	v_mul_f64 v[216:217], v[218:219], v[214:215]
	s_delay_alu instid0(VALU_DEP_1) | instskip(NEXT) | instid1(VALU_DEP_1)
	v_fma_f64 v[212:213], -v[212:213], v[216:217], v[218:219]
	v_div_fmas_f64 v[212:213], v[212:213], v[214:215], v[216:217]
	s_delay_alu instid0(VALU_DEP_1) | instskip(NEXT) | instid1(VALU_DEP_1)
	v_div_fixup_f64 v[212:213], v[212:213], v[236:237], v[238:239]
	v_fma_f64 v[214:215], v[238:239], v[212:213], v[236:237]
	s_delay_alu instid0(VALU_DEP_1) | instskip(NEXT) | instid1(VALU_DEP_1)
	v_div_scale_f64 v[216:217], null, v[214:215], v[214:215], 1.0
	v_rcp_f64_e32 v[218:219], v[216:217]
	s_waitcnt_depctr 0xfff
	v_fma_f64 v[220:221], -v[216:217], v[218:219], 1.0
	s_delay_alu instid0(VALU_DEP_1) | instskip(NEXT) | instid1(VALU_DEP_1)
	v_fma_f64 v[218:219], v[218:219], v[220:221], v[218:219]
	v_fma_f64 v[220:221], -v[216:217], v[218:219], 1.0
	s_delay_alu instid0(VALU_DEP_1) | instskip(SKIP_1) | instid1(VALU_DEP_1)
	v_fma_f64 v[218:219], v[218:219], v[220:221], v[218:219]
	v_div_scale_f64 v[220:221], vcc_lo, 1.0, v[214:215], 1.0
	v_mul_f64 v[222:223], v[220:221], v[218:219]
	s_delay_alu instid0(VALU_DEP_1) | instskip(NEXT) | instid1(VALU_DEP_1)
	v_fma_f64 v[216:217], -v[216:217], v[222:223], v[220:221]
	v_div_fmas_f64 v[216:217], v[216:217], v[218:219], v[222:223]
	s_delay_alu instid0(VALU_DEP_1) | instskip(NEXT) | instid1(VALU_DEP_1)
	v_div_fixup_f64 v[236:237], v[216:217], v[214:215], 1.0
	v_mul_f64 v[238:239], v[212:213], -v[236:237]
.LBB116_30:
	s_or_b32 exec_lo, exec_lo, s2
	v_mov_b32_e32 v249, v253
.LBB116_31:
	s_or_b32 exec_lo, exec_lo, s3
	s_delay_alu instid0(SALU_CYCLE_1)
	s_mov_b32 s2, exec_lo
	v_cmpx_ne_u32_e64 v252, v244
	s_xor_b32 s2, exec_lo, s2
	s_cbranch_execz .LBB116_37
; %bb.32:
	s_mov_b32 s3, exec_lo
	v_cmpx_eq_u32_e32 1, v252
	s_cbranch_execz .LBB116_36
; %bb.33:
	v_cmp_ne_u32_e32 vcc_lo, 1, v244
	s_xor_b32 s4, s5, -1
	s_delay_alu instid0(SALU_CYCLE_1) | instskip(NEXT) | instid1(SALU_CYCLE_1)
	s_and_b32 s6, s4, vcc_lo
	s_and_saveexec_b32 s4, s6
	s_cbranch_execz .LBB116_35
; %bb.34:
	scratch_load_b64 v[208:209], off, off offset:16 ; 8-byte Folded Reload
	v_ashrrev_i32_e32 v245, 31, v244
	s_delay_alu instid0(VALU_DEP_1) | instskip(SKIP_1) | instid1(VALU_DEP_1)
	v_lshlrev_b64 v[212:213], 2, v[244:245]
	s_waitcnt vmcnt(0)
	v_add_co_u32 v212, vcc_lo, v208, v212
	s_delay_alu instid0(VALU_DEP_2)
	v_add_co_ci_u32_e32 v213, vcc_lo, v209, v213, vcc_lo
	s_clause 0x1
	flat_load_b32 v214, v[212:213]
	flat_load_b32 v215, v[208:209] offset:4
	s_waitcnt vmcnt(1) lgkmcnt(1)
	flat_store_b32 v[208:209], v214 offset:4
	s_waitcnt vmcnt(0) lgkmcnt(1)
	flat_store_b32 v[212:213], v215
.LBB116_35:
	s_or_b32 exec_lo, exec_lo, s4
	v_mov_b32_e32 v252, v244
	v_mov_b32_e32 v251, v244
.LBB116_36:
	s_or_b32 exec_lo, exec_lo, s3
.LBB116_37:
	s_and_not1_saveexec_b32 s2, s2
	s_cbranch_execz .LBB116_39
; %bb.38:
	scratch_load_b128 v[208:211], off, off offset:40 ; 16-byte Folded Reload
	v_mov_b32_e32 v252, 1
	s_waitcnt vmcnt(0)
	ds_store_2addr_b64 v246, v[208:209], v[210:211] offset0:4 offset1:5
	scratch_load_b128 v[208:211], off, off offset:24 ; 16-byte Folded Reload
	s_waitcnt vmcnt(0)
	ds_store_2addr_b64 v246, v[208:209], v[210:211] offset0:6 offset1:7
	ds_store_2addr_b64 v246, v[0:1], v[2:3] offset0:8 offset1:9
	;; [unrolled: 1-line block ×3, first 2 shown]
	scratch_load_b128 v[208:211], off, off  ; 16-byte Folded Reload
	s_waitcnt vmcnt(0)
	ds_store_2addr_b64 v246, v[208:209], v[210:211] offset0:12 offset1:13
	ds_store_2addr_b64 v246, v[204:205], v[206:207] offset0:14 offset1:15
	;; [unrolled: 1-line block ×53, first 2 shown]
.LBB116_39:
	s_or_b32 exec_lo, exec_lo, s2
	s_delay_alu instid0(SALU_CYCLE_1)
	s_mov_b32 s2, exec_lo
	s_waitcnt lgkmcnt(0)
	s_waitcnt_vscnt null, 0x0
	s_barrier
	buffer_gl0_inv
	v_cmpx_lt_i32_e32 1, v252
	s_cbranch_execz .LBB116_41
; %bb.40:
	s_clause 0x1
	scratch_load_b128 v[214:217], off, off offset:56
	scratch_load_b128 v[208:211], off, off offset:40
	s_waitcnt vmcnt(1)
	v_mul_f64 v[212:213], v[238:239], v[216:217]
	s_delay_alu instid0(VALU_DEP_1) | instskip(SKIP_1) | instid1(VALU_DEP_1)
	v_fma_f64 v[244:245], v[236:237], v[214:215], -v[212:213]
	v_mul_f64 v[212:213], v[236:237], v[216:217]
	v_fma_f64 v[216:217], v[238:239], v[214:215], v[212:213]
	ds_load_2addr_b64 v[236:239], v246 offset0:4 offset1:5
	s_waitcnt lgkmcnt(0)
	v_mul_f64 v[212:213], v[238:239], v[216:217]
	v_mul_f64 v[214:215], v[236:237], v[216:217]
	s_delay_alu instid0(VALU_DEP_2) | instskip(NEXT) | instid1(VALU_DEP_2)
	v_fma_f64 v[212:213], v[236:237], v[244:245], -v[212:213]
	v_fma_f64 v[214:215], v[238:239], v[244:245], v[214:215]
	ds_load_2addr_b64 v[236:239], v246 offset0:6 offset1:7
	s_waitcnt vmcnt(0)
	v_add_f64 v[208:209], v[208:209], -v[212:213]
	v_add_f64 v[210:211], v[210:211], -v[214:215]
	s_waitcnt lgkmcnt(0)
	v_mul_f64 v[212:213], v[238:239], v[216:217]
	v_mul_f64 v[214:215], v[236:237], v[216:217]
	scratch_store_b128 off, v[208:211], off offset:40 ; 16-byte Folded Spill
	scratch_load_b128 v[208:211], off, off offset:24 ; 16-byte Folded Reload
	v_fma_f64 v[212:213], v[236:237], v[244:245], -v[212:213]
	v_fma_f64 v[214:215], v[238:239], v[244:245], v[214:215]
	ds_load_2addr_b64 v[236:239], v246 offset0:8 offset1:9
	s_waitcnt vmcnt(0)
	v_add_f64 v[208:209], v[208:209], -v[212:213]
	v_add_f64 v[210:211], v[210:211], -v[214:215]
	s_waitcnt lgkmcnt(0)
	v_mul_f64 v[212:213], v[238:239], v[216:217]
	v_mul_f64 v[214:215], v[236:237], v[216:217]
	scratch_store_b128 off, v[208:211], off offset:24 ; 16-byte Folded Spill
	scratch_load_b128 v[208:211], off, off  ; 16-byte Folded Reload
	v_fma_f64 v[212:213], v[236:237], v[244:245], -v[212:213]
	v_fma_f64 v[214:215], v[238:239], v[244:245], v[214:215]
	ds_load_2addr_b64 v[236:239], v246 offset0:10 offset1:11
	v_add_f64 v[0:1], v[0:1], -v[212:213]
	v_add_f64 v[2:3], v[2:3], -v[214:215]
	s_waitcnt lgkmcnt(0)
	v_mul_f64 v[212:213], v[238:239], v[216:217]
	v_mul_f64 v[214:215], v[236:237], v[216:217]
	s_delay_alu instid0(VALU_DEP_2) | instskip(NEXT) | instid1(VALU_DEP_2)
	v_fma_f64 v[212:213], v[236:237], v[244:245], -v[212:213]
	v_fma_f64 v[214:215], v[238:239], v[244:245], v[214:215]
	ds_load_2addr_b64 v[236:239], v246 offset0:12 offset1:13
	v_add_f64 v[8:9], v[8:9], -v[212:213]
	v_add_f64 v[10:11], v[10:11], -v[214:215]
	s_waitcnt lgkmcnt(0)
	v_mul_f64 v[212:213], v[238:239], v[216:217]
	v_mul_f64 v[214:215], v[236:237], v[216:217]
	s_delay_alu instid0(VALU_DEP_2) | instskip(NEXT) | instid1(VALU_DEP_2)
	v_fma_f64 v[212:213], v[236:237], v[244:245], -v[212:213]
	v_fma_f64 v[214:215], v[238:239], v[244:245], v[214:215]
	ds_load_2addr_b64 v[236:239], v246 offset0:14 offset1:15
	s_waitcnt vmcnt(0)
	v_add_f64 v[208:209], v[208:209], -v[212:213]
	v_add_f64 v[210:211], v[210:211], -v[214:215]
	s_waitcnt lgkmcnt(0)
	v_mul_f64 v[212:213], v[238:239], v[216:217]
	v_mul_f64 v[214:215], v[236:237], v[216:217]
	s_delay_alu instid0(VALU_DEP_2) | instskip(NEXT) | instid1(VALU_DEP_2)
	v_fma_f64 v[212:213], v[236:237], v[244:245], -v[212:213]
	v_fma_f64 v[214:215], v[238:239], v[244:245], v[214:215]
	ds_load_2addr_b64 v[236:239], v246 offset0:16 offset1:17
	v_add_f64 v[204:205], v[204:205], -v[212:213]
	v_add_f64 v[206:207], v[206:207], -v[214:215]
	s_waitcnt lgkmcnt(0)
	v_mul_f64 v[212:213], v[238:239], v[216:217]
	v_mul_f64 v[214:215], v[236:237], v[216:217]
	s_delay_alu instid0(VALU_DEP_2) | instskip(NEXT) | instid1(VALU_DEP_2)
	v_fma_f64 v[212:213], v[236:237], v[244:245], -v[212:213]
	v_fma_f64 v[214:215], v[238:239], v[244:245], v[214:215]
	ds_load_2addr_b64 v[236:239], v246 offset0:18 offset1:19
	;; [unrolled: 9-line block ×51, first 2 shown]
	v_add_f64 v[4:5], v[4:5], -v[212:213]
	v_add_f64 v[6:7], v[6:7], -v[214:215]
	s_waitcnt lgkmcnt(0)
	v_mul_f64 v[212:213], v[238:239], v[216:217]
	v_mul_f64 v[214:215], v[236:237], v[216:217]
	s_delay_alu instid0(VALU_DEP_2) | instskip(NEXT) | instid1(VALU_DEP_2)
	v_fma_f64 v[212:213], v[236:237], v[244:245], -v[212:213]
	v_fma_f64 v[214:215], v[238:239], v[244:245], v[214:215]
	s_delay_alu instid0(VALU_DEP_2) | instskip(NEXT) | instid1(VALU_DEP_2)
	v_add_f64 v[224:225], v[224:225], -v[212:213]
	v_add_f64 v[226:227], v[226:227], -v[214:215]
	v_dual_mov_b32 v214, v244 :: v_dual_mov_b32 v215, v245
	s_clause 0x1
	scratch_store_b128 off, v[208:211], off
	scratch_store_b128 off, v[214:217], off offset:56
.LBB116_41:
	s_or_b32 exec_lo, exec_lo, s2
	s_waitcnt_vscnt null, 0x0
	s_barrier
	buffer_gl0_inv
	scratch_load_b128 v[208:211], off, off offset:40 ; 16-byte Folded Reload
	v_lshl_add_u32 v212, v252, 4, v246
	v_mov_b32_e32 v244, 2
	s_cmp_lt_i32 s12, 4
	s_waitcnt vmcnt(0)
	ds_store_2addr_b64 v212, v[208:209], v[210:211] offset1:1
	s_waitcnt lgkmcnt(0)
	s_barrier
	buffer_gl0_inv
	ds_load_2addr_b64 v[236:239], v246 offset0:4 offset1:5
	s_cbranch_scc1 .LBB116_44
; %bb.42:
	v_add3_u32 v245, v234, 0, 48
	v_mov_b32_e32 v244, 2
	s_mov_b32 s6, 3
	s_set_inst_prefetch_distance 0x1
	.p2align	6
.LBB116_43:                             ; =>This Inner Loop Header: Depth=1
	ds_load_2addr_b64 v[240:243], v245 offset1:1
	s_waitcnt lgkmcnt(1)
	v_cmp_gt_f64_e32 vcc_lo, 0, v[236:237]
	v_cmp_gt_f64_e64 s2, 0, v[238:239]
	v_xor_b32_e32 v213, 0x80000000, v237
	v_xor_b32_e32 v215, 0x80000000, v239
	v_add_nc_u32_e32 v245, 16, v245
	s_waitcnt lgkmcnt(0)
	v_cmp_gt_f64_e64 s3, 0, v[240:241]
	v_cmp_gt_f64_e64 s4, 0, v[242:243]
	v_xor_b32_e32 v219, 0x80000000, v241
	v_xor_b32_e32 v220, 0x80000000, v243
	v_mov_b32_e32 v214, v242
	v_mov_b32_e32 v212, v240
	v_cndmask_b32_e32 v216, v237, v213, vcc_lo
	v_cndmask_b32_e64 v218, v239, v215, s2
	v_cndmask_b32_e32 v215, v236, v236, vcc_lo
	v_cndmask_b32_e64 v217, v238, v238, s2
	s_delay_alu instid0(VALU_DEP_1) | instskip(SKIP_2) | instid1(VALU_DEP_1)
	v_add_f64 v[216:217], v[215:216], v[217:218]
	v_cndmask_b32_e64 v213, v241, v219, s3
	v_cndmask_b32_e64 v215, v243, v220, s4
	v_add_f64 v[212:213], v[212:213], v[214:215]
	s_delay_alu instid0(VALU_DEP_1)
	v_cmp_lt_f64_e32 vcc_lo, v[216:217], v[212:213]
	v_cndmask_b32_e32 v239, v239, v243, vcc_lo
	v_dual_cndmask_b32 v237, v237, v241 :: v_dual_cndmask_b32 v236, v236, v240
	v_cndmask_b32_e32 v238, v238, v242, vcc_lo
	v_cndmask_b32_e64 v244, v244, s6, vcc_lo
	s_add_i32 s6, s6, 1
	s_delay_alu instid0(SALU_CYCLE_1)
	s_cmp_lg_u32 s12, s6
	s_cbranch_scc1 .LBB116_43
.LBB116_44:
	s_set_inst_prefetch_distance 0x2
	s_waitcnt lgkmcnt(0)
	v_cmp_eq_f64_e32 vcc_lo, 0, v[236:237]
	v_cmp_eq_f64_e64 s2, 0, v[238:239]
	s_delay_alu instid0(VALU_DEP_1) | instskip(NEXT) | instid1(SALU_CYCLE_1)
	s_and_b32 s2, vcc_lo, s2
	s_and_saveexec_b32 s3, s2
	s_delay_alu instid0(SALU_CYCLE_1)
	s_xor_b32 s2, exec_lo, s3
; %bb.45:
	v_cmp_ne_u32_e32 vcc_lo, 0, v249
	v_cndmask_b32_e32 v249, 3, v249, vcc_lo
; %bb.46:
	s_and_not1_saveexec_b32 s3, s2
	s_cbranch_execz .LBB116_52
; %bb.47:
	v_cmp_gt_f64_e32 vcc_lo, 0, v[236:237]
	v_cmp_gt_f64_e64 s2, 0, v[238:239]
	v_xor_b32_e32 v212, 0x80000000, v237
	v_xor_b32_e32 v214, 0x80000000, v239
	s_delay_alu instid0(VALU_DEP_2) | instskip(NEXT) | instid1(VALU_DEP_2)
	v_cndmask_b32_e32 v213, v237, v212, vcc_lo
	v_cndmask_b32_e64 v215, v239, v214, s2
	v_cndmask_b32_e32 v212, v236, v236, vcc_lo
	v_cndmask_b32_e64 v214, v238, v238, s2
	s_mov_b32 s2, exec_lo
	s_delay_alu instid0(VALU_DEP_1)
	v_cmpx_ngt_f64_e32 v[212:213], v[214:215]
	s_xor_b32 s2, exec_lo, s2
	s_cbranch_execz .LBB116_49
; %bb.48:
	v_div_scale_f64 v[212:213], null, v[238:239], v[238:239], v[236:237]
	v_div_scale_f64 v[218:219], vcc_lo, v[236:237], v[238:239], v[236:237]
	s_delay_alu instid0(VALU_DEP_2) | instskip(SKIP_2) | instid1(VALU_DEP_1)
	v_rcp_f64_e32 v[214:215], v[212:213]
	s_waitcnt_depctr 0xfff
	v_fma_f64 v[216:217], -v[212:213], v[214:215], 1.0
	v_fma_f64 v[214:215], v[214:215], v[216:217], v[214:215]
	s_delay_alu instid0(VALU_DEP_1) | instskip(NEXT) | instid1(VALU_DEP_1)
	v_fma_f64 v[216:217], -v[212:213], v[214:215], 1.0
	v_fma_f64 v[214:215], v[214:215], v[216:217], v[214:215]
	s_delay_alu instid0(VALU_DEP_1) | instskip(NEXT) | instid1(VALU_DEP_1)
	v_mul_f64 v[216:217], v[218:219], v[214:215]
	v_fma_f64 v[212:213], -v[212:213], v[216:217], v[218:219]
	s_delay_alu instid0(VALU_DEP_1) | instskip(NEXT) | instid1(VALU_DEP_1)
	v_div_fmas_f64 v[212:213], v[212:213], v[214:215], v[216:217]
	v_div_fixup_f64 v[212:213], v[212:213], v[238:239], v[236:237]
	s_delay_alu instid0(VALU_DEP_1) | instskip(NEXT) | instid1(VALU_DEP_1)
	v_fma_f64 v[214:215], v[236:237], v[212:213], v[238:239]
	v_div_scale_f64 v[216:217], null, v[214:215], v[214:215], 1.0
	s_delay_alu instid0(VALU_DEP_1) | instskip(SKIP_2) | instid1(VALU_DEP_1)
	v_rcp_f64_e32 v[218:219], v[216:217]
	s_waitcnt_depctr 0xfff
	v_fma_f64 v[220:221], -v[216:217], v[218:219], 1.0
	v_fma_f64 v[218:219], v[218:219], v[220:221], v[218:219]
	s_delay_alu instid0(VALU_DEP_1) | instskip(NEXT) | instid1(VALU_DEP_1)
	v_fma_f64 v[220:221], -v[216:217], v[218:219], 1.0
	v_fma_f64 v[218:219], v[218:219], v[220:221], v[218:219]
	v_div_scale_f64 v[220:221], vcc_lo, 1.0, v[214:215], 1.0
	s_delay_alu instid0(VALU_DEP_1) | instskip(NEXT) | instid1(VALU_DEP_1)
	v_mul_f64 v[222:223], v[220:221], v[218:219]
	v_fma_f64 v[216:217], -v[216:217], v[222:223], v[220:221]
	s_delay_alu instid0(VALU_DEP_1) | instskip(NEXT) | instid1(VALU_DEP_1)
	v_div_fmas_f64 v[216:217], v[216:217], v[218:219], v[222:223]
	v_div_fixup_f64 v[238:239], v[216:217], v[214:215], 1.0
	s_delay_alu instid0(VALU_DEP_1)
	v_mul_f64 v[236:237], v[212:213], v[238:239]
	v_xor_b32_e32 v239, 0x80000000, v239
.LBB116_49:
	s_and_not1_saveexec_b32 s2, s2
	s_cbranch_execz .LBB116_51
; %bb.50:
	s_delay_alu instid0(VALU_DEP_1) | instskip(SKIP_1) | instid1(VALU_DEP_2)
	v_div_scale_f64 v[212:213], null, v[236:237], v[236:237], v[238:239]
	v_div_scale_f64 v[218:219], vcc_lo, v[238:239], v[236:237], v[238:239]
	v_rcp_f64_e32 v[214:215], v[212:213]
	s_waitcnt_depctr 0xfff
	v_fma_f64 v[216:217], -v[212:213], v[214:215], 1.0
	s_delay_alu instid0(VALU_DEP_1) | instskip(NEXT) | instid1(VALU_DEP_1)
	v_fma_f64 v[214:215], v[214:215], v[216:217], v[214:215]
	v_fma_f64 v[216:217], -v[212:213], v[214:215], 1.0
	s_delay_alu instid0(VALU_DEP_1) | instskip(NEXT) | instid1(VALU_DEP_1)
	v_fma_f64 v[214:215], v[214:215], v[216:217], v[214:215]
	v_mul_f64 v[216:217], v[218:219], v[214:215]
	s_delay_alu instid0(VALU_DEP_1) | instskip(NEXT) | instid1(VALU_DEP_1)
	v_fma_f64 v[212:213], -v[212:213], v[216:217], v[218:219]
	v_div_fmas_f64 v[212:213], v[212:213], v[214:215], v[216:217]
	s_delay_alu instid0(VALU_DEP_1) | instskip(NEXT) | instid1(VALU_DEP_1)
	v_div_fixup_f64 v[212:213], v[212:213], v[236:237], v[238:239]
	v_fma_f64 v[214:215], v[238:239], v[212:213], v[236:237]
	s_delay_alu instid0(VALU_DEP_1) | instskip(NEXT) | instid1(VALU_DEP_1)
	v_div_scale_f64 v[216:217], null, v[214:215], v[214:215], 1.0
	v_rcp_f64_e32 v[218:219], v[216:217]
	s_waitcnt_depctr 0xfff
	v_fma_f64 v[220:221], -v[216:217], v[218:219], 1.0
	s_delay_alu instid0(VALU_DEP_1) | instskip(NEXT) | instid1(VALU_DEP_1)
	v_fma_f64 v[218:219], v[218:219], v[220:221], v[218:219]
	v_fma_f64 v[220:221], -v[216:217], v[218:219], 1.0
	s_delay_alu instid0(VALU_DEP_1) | instskip(SKIP_1) | instid1(VALU_DEP_1)
	v_fma_f64 v[218:219], v[218:219], v[220:221], v[218:219]
	v_div_scale_f64 v[220:221], vcc_lo, 1.0, v[214:215], 1.0
	v_mul_f64 v[222:223], v[220:221], v[218:219]
	s_delay_alu instid0(VALU_DEP_1) | instskip(NEXT) | instid1(VALU_DEP_1)
	v_fma_f64 v[216:217], -v[216:217], v[222:223], v[220:221]
	v_div_fmas_f64 v[216:217], v[216:217], v[218:219], v[222:223]
	s_delay_alu instid0(VALU_DEP_1) | instskip(NEXT) | instid1(VALU_DEP_1)
	v_div_fixup_f64 v[236:237], v[216:217], v[214:215], 1.0
	v_mul_f64 v[238:239], v[212:213], -v[236:237]
.LBB116_51:
	s_or_b32 exec_lo, exec_lo, s2
.LBB116_52:
	s_delay_alu instid0(SALU_CYCLE_1) | instskip(NEXT) | instid1(SALU_CYCLE_1)
	s_or_b32 exec_lo, exec_lo, s3
	s_mov_b32 s2, exec_lo
	v_cmpx_ne_u32_e64 v252, v244
	s_xor_b32 s2, exec_lo, s2
	s_cbranch_execz .LBB116_58
; %bb.53:
	s_mov_b32 s3, exec_lo
	v_cmpx_eq_u32_e32 2, v252
	s_cbranch_execz .LBB116_57
; %bb.54:
	v_cmp_ne_u32_e32 vcc_lo, 2, v244
	s_xor_b32 s4, s5, -1
	s_delay_alu instid0(SALU_CYCLE_1) | instskip(NEXT) | instid1(SALU_CYCLE_1)
	s_and_b32 s6, s4, vcc_lo
	s_and_saveexec_b32 s4, s6
	s_cbranch_execz .LBB116_56
; %bb.55:
	scratch_load_b64 v[208:209], off, off offset:16 ; 8-byte Folded Reload
	v_ashrrev_i32_e32 v245, 31, v244
	s_delay_alu instid0(VALU_DEP_1) | instskip(SKIP_1) | instid1(VALU_DEP_1)
	v_lshlrev_b64 v[212:213], 2, v[244:245]
	s_waitcnt vmcnt(0)
	v_add_co_u32 v212, vcc_lo, v208, v212
	s_delay_alu instid0(VALU_DEP_2)
	v_add_co_ci_u32_e32 v213, vcc_lo, v209, v213, vcc_lo
	s_clause 0x1
	flat_load_b32 v214, v[212:213]
	flat_load_b32 v215, v[208:209] offset:8
	s_waitcnt vmcnt(1) lgkmcnt(1)
	flat_store_b32 v[208:209], v214 offset:8
	s_waitcnt vmcnt(0) lgkmcnt(1)
	flat_store_b32 v[212:213], v215
.LBB116_56:
	s_or_b32 exec_lo, exec_lo, s4
	v_mov_b32_e32 v252, v244
	v_mov_b32_e32 v251, v244
.LBB116_57:
	s_or_b32 exec_lo, exec_lo, s3
.LBB116_58:
	s_and_not1_saveexec_b32 s2, s2
	s_cbranch_execz .LBB116_60
; %bb.59:
	scratch_load_b128 v[208:211], off, off offset:24 ; 16-byte Folded Reload
	v_mov_b32_e32 v252, 2
	s_waitcnt vmcnt(0)
	ds_store_2addr_b64 v246, v[208:209], v[210:211] offset0:6 offset1:7
	ds_store_2addr_b64 v246, v[0:1], v[2:3] offset0:8 offset1:9
	;; [unrolled: 1-line block ×3, first 2 shown]
	scratch_load_b128 v[208:211], off, off  ; 16-byte Folded Reload
	s_waitcnt vmcnt(0)
	ds_store_2addr_b64 v246, v[208:209], v[210:211] offset0:12 offset1:13
	ds_store_2addr_b64 v246, v[204:205], v[206:207] offset0:14 offset1:15
	;; [unrolled: 1-line block ×53, first 2 shown]
.LBB116_60:
	s_or_b32 exec_lo, exec_lo, s2
	s_delay_alu instid0(SALU_CYCLE_1)
	s_mov_b32 s2, exec_lo
	s_waitcnt lgkmcnt(0)
	s_waitcnt_vscnt null, 0x0
	s_barrier
	buffer_gl0_inv
	v_cmpx_lt_i32_e32 2, v252
	s_cbranch_execz .LBB116_62
; %bb.61:
	s_clause 0x1
	scratch_load_b128 v[214:217], off, off offset:40
	scratch_load_b128 v[208:211], off, off offset:24
	s_waitcnt vmcnt(1)
	v_mul_f64 v[212:213], v[238:239], v[216:217]
	s_delay_alu instid0(VALU_DEP_1) | instskip(SKIP_1) | instid1(VALU_DEP_1)
	v_fma_f64 v[244:245], v[236:237], v[214:215], -v[212:213]
	v_mul_f64 v[212:213], v[236:237], v[216:217]
	v_fma_f64 v[216:217], v[238:239], v[214:215], v[212:213]
	ds_load_2addr_b64 v[236:239], v246 offset0:6 offset1:7
	s_waitcnt lgkmcnt(0)
	v_mul_f64 v[212:213], v[238:239], v[216:217]
	v_mul_f64 v[214:215], v[236:237], v[216:217]
	s_delay_alu instid0(VALU_DEP_2) | instskip(NEXT) | instid1(VALU_DEP_2)
	v_fma_f64 v[212:213], v[236:237], v[244:245], -v[212:213]
	v_fma_f64 v[214:215], v[238:239], v[244:245], v[214:215]
	ds_load_2addr_b64 v[236:239], v246 offset0:8 offset1:9
	s_waitcnt vmcnt(0)
	v_add_f64 v[208:209], v[208:209], -v[212:213]
	v_add_f64 v[210:211], v[210:211], -v[214:215]
	s_waitcnt lgkmcnt(0)
	v_mul_f64 v[212:213], v[238:239], v[216:217]
	v_mul_f64 v[214:215], v[236:237], v[216:217]
	scratch_store_b128 off, v[208:211], off offset:24 ; 16-byte Folded Spill
	scratch_load_b128 v[208:211], off, off  ; 16-byte Folded Reload
	v_fma_f64 v[212:213], v[236:237], v[244:245], -v[212:213]
	v_fma_f64 v[214:215], v[238:239], v[244:245], v[214:215]
	ds_load_2addr_b64 v[236:239], v246 offset0:10 offset1:11
	v_add_f64 v[0:1], v[0:1], -v[212:213]
	v_add_f64 v[2:3], v[2:3], -v[214:215]
	s_waitcnt lgkmcnt(0)
	v_mul_f64 v[212:213], v[238:239], v[216:217]
	v_mul_f64 v[214:215], v[236:237], v[216:217]
	s_delay_alu instid0(VALU_DEP_2) | instskip(NEXT) | instid1(VALU_DEP_2)
	v_fma_f64 v[212:213], v[236:237], v[244:245], -v[212:213]
	v_fma_f64 v[214:215], v[238:239], v[244:245], v[214:215]
	ds_load_2addr_b64 v[236:239], v246 offset0:12 offset1:13
	v_add_f64 v[8:9], v[8:9], -v[212:213]
	v_add_f64 v[10:11], v[10:11], -v[214:215]
	s_waitcnt lgkmcnt(0)
	v_mul_f64 v[212:213], v[238:239], v[216:217]
	v_mul_f64 v[214:215], v[236:237], v[216:217]
	s_delay_alu instid0(VALU_DEP_2) | instskip(NEXT) | instid1(VALU_DEP_2)
	v_fma_f64 v[212:213], v[236:237], v[244:245], -v[212:213]
	v_fma_f64 v[214:215], v[238:239], v[244:245], v[214:215]
	ds_load_2addr_b64 v[236:239], v246 offset0:14 offset1:15
	s_waitcnt vmcnt(0)
	v_add_f64 v[208:209], v[208:209], -v[212:213]
	v_add_f64 v[210:211], v[210:211], -v[214:215]
	s_waitcnt lgkmcnt(0)
	v_mul_f64 v[212:213], v[238:239], v[216:217]
	v_mul_f64 v[214:215], v[236:237], v[216:217]
	s_delay_alu instid0(VALU_DEP_2) | instskip(NEXT) | instid1(VALU_DEP_2)
	v_fma_f64 v[212:213], v[236:237], v[244:245], -v[212:213]
	v_fma_f64 v[214:215], v[238:239], v[244:245], v[214:215]
	ds_load_2addr_b64 v[236:239], v246 offset0:16 offset1:17
	v_add_f64 v[204:205], v[204:205], -v[212:213]
	v_add_f64 v[206:207], v[206:207], -v[214:215]
	s_waitcnt lgkmcnt(0)
	v_mul_f64 v[212:213], v[238:239], v[216:217]
	v_mul_f64 v[214:215], v[236:237], v[216:217]
	s_delay_alu instid0(VALU_DEP_2) | instskip(NEXT) | instid1(VALU_DEP_2)
	v_fma_f64 v[212:213], v[236:237], v[244:245], -v[212:213]
	v_fma_f64 v[214:215], v[238:239], v[244:245], v[214:215]
	ds_load_2addr_b64 v[236:239], v246 offset0:18 offset1:19
	;; [unrolled: 9-line block ×51, first 2 shown]
	v_add_f64 v[4:5], v[4:5], -v[212:213]
	v_add_f64 v[6:7], v[6:7], -v[214:215]
	s_waitcnt lgkmcnt(0)
	v_mul_f64 v[212:213], v[238:239], v[216:217]
	v_mul_f64 v[214:215], v[236:237], v[216:217]
	s_delay_alu instid0(VALU_DEP_2) | instskip(NEXT) | instid1(VALU_DEP_2)
	v_fma_f64 v[212:213], v[236:237], v[244:245], -v[212:213]
	v_fma_f64 v[214:215], v[238:239], v[244:245], v[214:215]
	s_delay_alu instid0(VALU_DEP_2) | instskip(NEXT) | instid1(VALU_DEP_2)
	v_add_f64 v[224:225], v[224:225], -v[212:213]
	v_add_f64 v[226:227], v[226:227], -v[214:215]
	v_dual_mov_b32 v214, v244 :: v_dual_mov_b32 v215, v245
	s_clause 0x1
	scratch_store_b128 off, v[208:211], off
	scratch_store_b128 off, v[214:217], off offset:40
.LBB116_62:
	s_or_b32 exec_lo, exec_lo, s2
	s_waitcnt_vscnt null, 0x0
	s_barrier
	buffer_gl0_inv
	scratch_load_b128 v[208:211], off, off offset:24 ; 16-byte Folded Reload
	v_lshl_add_u32 v212, v252, 4, v246
	v_mov_b32_e32 v244, 3
	s_cmp_lt_i32 s12, 5
	s_mov_b32 s6, 4
	s_waitcnt vmcnt(0)
	ds_store_2addr_b64 v212, v[208:209], v[210:211] offset1:1
	s_waitcnt lgkmcnt(0)
	s_barrier
	buffer_gl0_inv
	ds_load_2addr_b64 v[236:239], v246 offset0:6 offset1:7
	s_cbranch_scc1 .LBB116_65
; %bb.63:
	v_add3_u32 v245, v234, 0, 64
	v_mov_b32_e32 v244, 3
	s_set_inst_prefetch_distance 0x1
	.p2align	6
.LBB116_64:                             ; =>This Inner Loop Header: Depth=1
	ds_load_2addr_b64 v[240:243], v245 offset1:1
	s_waitcnt lgkmcnt(1)
	v_cmp_gt_f64_e32 vcc_lo, 0, v[236:237]
	v_cmp_gt_f64_e64 s2, 0, v[238:239]
	v_xor_b32_e32 v213, 0x80000000, v237
	v_xor_b32_e32 v215, 0x80000000, v239
	v_add_nc_u32_e32 v245, 16, v245
	s_waitcnt lgkmcnt(0)
	v_cmp_gt_f64_e64 s3, 0, v[240:241]
	v_cmp_gt_f64_e64 s4, 0, v[242:243]
	v_xor_b32_e32 v219, 0x80000000, v241
	v_xor_b32_e32 v220, 0x80000000, v243
	v_mov_b32_e32 v214, v242
	v_mov_b32_e32 v212, v240
	v_cndmask_b32_e32 v216, v237, v213, vcc_lo
	v_cndmask_b32_e64 v218, v239, v215, s2
	v_cndmask_b32_e32 v215, v236, v236, vcc_lo
	v_cndmask_b32_e64 v217, v238, v238, s2
	s_delay_alu instid0(VALU_DEP_1) | instskip(SKIP_2) | instid1(VALU_DEP_1)
	v_add_f64 v[216:217], v[215:216], v[217:218]
	v_cndmask_b32_e64 v213, v241, v219, s3
	v_cndmask_b32_e64 v215, v243, v220, s4
	v_add_f64 v[212:213], v[212:213], v[214:215]
	s_delay_alu instid0(VALU_DEP_1)
	v_cmp_lt_f64_e32 vcc_lo, v[216:217], v[212:213]
	v_cndmask_b32_e32 v239, v239, v243, vcc_lo
	v_dual_cndmask_b32 v237, v237, v241 :: v_dual_cndmask_b32 v236, v236, v240
	v_cndmask_b32_e32 v238, v238, v242, vcc_lo
	v_cndmask_b32_e64 v244, v244, s6, vcc_lo
	s_add_i32 s6, s6, 1
	s_delay_alu instid0(SALU_CYCLE_1)
	s_cmp_lg_u32 s12, s6
	s_cbranch_scc1 .LBB116_64
.LBB116_65:
	s_set_inst_prefetch_distance 0x2
	s_waitcnt lgkmcnt(0)
	v_cmp_eq_f64_e32 vcc_lo, 0, v[236:237]
	v_cmp_eq_f64_e64 s2, 0, v[238:239]
	s_delay_alu instid0(VALU_DEP_1) | instskip(NEXT) | instid1(SALU_CYCLE_1)
	s_and_b32 s2, vcc_lo, s2
	s_and_saveexec_b32 s3, s2
	s_delay_alu instid0(SALU_CYCLE_1)
	s_xor_b32 s2, exec_lo, s3
; %bb.66:
	v_cmp_ne_u32_e32 vcc_lo, 0, v249
	v_cndmask_b32_e32 v249, 4, v249, vcc_lo
; %bb.67:
	s_and_not1_saveexec_b32 s3, s2
	s_cbranch_execz .LBB116_73
; %bb.68:
	v_cmp_gt_f64_e32 vcc_lo, 0, v[236:237]
	v_cmp_gt_f64_e64 s2, 0, v[238:239]
	v_xor_b32_e32 v212, 0x80000000, v237
	v_xor_b32_e32 v214, 0x80000000, v239
	s_delay_alu instid0(VALU_DEP_2) | instskip(NEXT) | instid1(VALU_DEP_2)
	v_cndmask_b32_e32 v213, v237, v212, vcc_lo
	v_cndmask_b32_e64 v215, v239, v214, s2
	v_cndmask_b32_e32 v212, v236, v236, vcc_lo
	v_cndmask_b32_e64 v214, v238, v238, s2
	s_mov_b32 s2, exec_lo
	s_delay_alu instid0(VALU_DEP_1)
	v_cmpx_ngt_f64_e32 v[212:213], v[214:215]
	s_xor_b32 s2, exec_lo, s2
	s_cbranch_execz .LBB116_70
; %bb.69:
	v_div_scale_f64 v[212:213], null, v[238:239], v[238:239], v[236:237]
	v_div_scale_f64 v[218:219], vcc_lo, v[236:237], v[238:239], v[236:237]
	s_delay_alu instid0(VALU_DEP_2) | instskip(SKIP_2) | instid1(VALU_DEP_1)
	v_rcp_f64_e32 v[214:215], v[212:213]
	s_waitcnt_depctr 0xfff
	v_fma_f64 v[216:217], -v[212:213], v[214:215], 1.0
	v_fma_f64 v[214:215], v[214:215], v[216:217], v[214:215]
	s_delay_alu instid0(VALU_DEP_1) | instskip(NEXT) | instid1(VALU_DEP_1)
	v_fma_f64 v[216:217], -v[212:213], v[214:215], 1.0
	v_fma_f64 v[214:215], v[214:215], v[216:217], v[214:215]
	s_delay_alu instid0(VALU_DEP_1) | instskip(NEXT) | instid1(VALU_DEP_1)
	v_mul_f64 v[216:217], v[218:219], v[214:215]
	v_fma_f64 v[212:213], -v[212:213], v[216:217], v[218:219]
	s_delay_alu instid0(VALU_DEP_1) | instskip(NEXT) | instid1(VALU_DEP_1)
	v_div_fmas_f64 v[212:213], v[212:213], v[214:215], v[216:217]
	v_div_fixup_f64 v[212:213], v[212:213], v[238:239], v[236:237]
	s_delay_alu instid0(VALU_DEP_1) | instskip(NEXT) | instid1(VALU_DEP_1)
	v_fma_f64 v[214:215], v[236:237], v[212:213], v[238:239]
	v_div_scale_f64 v[216:217], null, v[214:215], v[214:215], 1.0
	s_delay_alu instid0(VALU_DEP_1) | instskip(SKIP_2) | instid1(VALU_DEP_1)
	v_rcp_f64_e32 v[218:219], v[216:217]
	s_waitcnt_depctr 0xfff
	v_fma_f64 v[220:221], -v[216:217], v[218:219], 1.0
	v_fma_f64 v[218:219], v[218:219], v[220:221], v[218:219]
	s_delay_alu instid0(VALU_DEP_1) | instskip(NEXT) | instid1(VALU_DEP_1)
	v_fma_f64 v[220:221], -v[216:217], v[218:219], 1.0
	v_fma_f64 v[218:219], v[218:219], v[220:221], v[218:219]
	v_div_scale_f64 v[220:221], vcc_lo, 1.0, v[214:215], 1.0
	s_delay_alu instid0(VALU_DEP_1) | instskip(NEXT) | instid1(VALU_DEP_1)
	v_mul_f64 v[222:223], v[220:221], v[218:219]
	v_fma_f64 v[216:217], -v[216:217], v[222:223], v[220:221]
	s_delay_alu instid0(VALU_DEP_1) | instskip(NEXT) | instid1(VALU_DEP_1)
	v_div_fmas_f64 v[216:217], v[216:217], v[218:219], v[222:223]
	v_div_fixup_f64 v[238:239], v[216:217], v[214:215], 1.0
	s_delay_alu instid0(VALU_DEP_1)
	v_mul_f64 v[236:237], v[212:213], v[238:239]
	v_xor_b32_e32 v239, 0x80000000, v239
.LBB116_70:
	s_and_not1_saveexec_b32 s2, s2
	s_cbranch_execz .LBB116_72
; %bb.71:
	s_delay_alu instid0(VALU_DEP_1) | instskip(SKIP_1) | instid1(VALU_DEP_2)
	v_div_scale_f64 v[212:213], null, v[236:237], v[236:237], v[238:239]
	v_div_scale_f64 v[218:219], vcc_lo, v[238:239], v[236:237], v[238:239]
	v_rcp_f64_e32 v[214:215], v[212:213]
	s_waitcnt_depctr 0xfff
	v_fma_f64 v[216:217], -v[212:213], v[214:215], 1.0
	s_delay_alu instid0(VALU_DEP_1) | instskip(NEXT) | instid1(VALU_DEP_1)
	v_fma_f64 v[214:215], v[214:215], v[216:217], v[214:215]
	v_fma_f64 v[216:217], -v[212:213], v[214:215], 1.0
	s_delay_alu instid0(VALU_DEP_1) | instskip(NEXT) | instid1(VALU_DEP_1)
	v_fma_f64 v[214:215], v[214:215], v[216:217], v[214:215]
	v_mul_f64 v[216:217], v[218:219], v[214:215]
	s_delay_alu instid0(VALU_DEP_1) | instskip(NEXT) | instid1(VALU_DEP_1)
	v_fma_f64 v[212:213], -v[212:213], v[216:217], v[218:219]
	v_div_fmas_f64 v[212:213], v[212:213], v[214:215], v[216:217]
	s_delay_alu instid0(VALU_DEP_1) | instskip(NEXT) | instid1(VALU_DEP_1)
	v_div_fixup_f64 v[212:213], v[212:213], v[236:237], v[238:239]
	v_fma_f64 v[214:215], v[238:239], v[212:213], v[236:237]
	s_delay_alu instid0(VALU_DEP_1) | instskip(NEXT) | instid1(VALU_DEP_1)
	v_div_scale_f64 v[216:217], null, v[214:215], v[214:215], 1.0
	v_rcp_f64_e32 v[218:219], v[216:217]
	s_waitcnt_depctr 0xfff
	v_fma_f64 v[220:221], -v[216:217], v[218:219], 1.0
	s_delay_alu instid0(VALU_DEP_1) | instskip(NEXT) | instid1(VALU_DEP_1)
	v_fma_f64 v[218:219], v[218:219], v[220:221], v[218:219]
	v_fma_f64 v[220:221], -v[216:217], v[218:219], 1.0
	s_delay_alu instid0(VALU_DEP_1) | instskip(SKIP_1) | instid1(VALU_DEP_1)
	v_fma_f64 v[218:219], v[218:219], v[220:221], v[218:219]
	v_div_scale_f64 v[220:221], vcc_lo, 1.0, v[214:215], 1.0
	v_mul_f64 v[222:223], v[220:221], v[218:219]
	s_delay_alu instid0(VALU_DEP_1) | instskip(NEXT) | instid1(VALU_DEP_1)
	v_fma_f64 v[216:217], -v[216:217], v[222:223], v[220:221]
	v_div_fmas_f64 v[216:217], v[216:217], v[218:219], v[222:223]
	s_delay_alu instid0(VALU_DEP_1) | instskip(NEXT) | instid1(VALU_DEP_1)
	v_div_fixup_f64 v[236:237], v[216:217], v[214:215], 1.0
	v_mul_f64 v[238:239], v[212:213], -v[236:237]
.LBB116_72:
	s_or_b32 exec_lo, exec_lo, s2
.LBB116_73:
	s_delay_alu instid0(SALU_CYCLE_1) | instskip(NEXT) | instid1(SALU_CYCLE_1)
	s_or_b32 exec_lo, exec_lo, s3
	s_mov_b32 s2, exec_lo
	v_cmpx_ne_u32_e64 v252, v244
	s_xor_b32 s2, exec_lo, s2
	s_cbranch_execz .LBB116_79
; %bb.74:
	s_mov_b32 s3, exec_lo
	v_cmpx_eq_u32_e32 3, v252
	s_cbranch_execz .LBB116_78
; %bb.75:
	v_cmp_ne_u32_e32 vcc_lo, 3, v244
	s_xor_b32 s4, s5, -1
	s_delay_alu instid0(SALU_CYCLE_1) | instskip(NEXT) | instid1(SALU_CYCLE_1)
	s_and_b32 s6, s4, vcc_lo
	s_and_saveexec_b32 s4, s6
	s_cbranch_execz .LBB116_77
; %bb.76:
	scratch_load_b64 v[208:209], off, off offset:16 ; 8-byte Folded Reload
	v_ashrrev_i32_e32 v245, 31, v244
	s_delay_alu instid0(VALU_DEP_1) | instskip(SKIP_1) | instid1(VALU_DEP_1)
	v_lshlrev_b64 v[212:213], 2, v[244:245]
	s_waitcnt vmcnt(0)
	v_add_co_u32 v212, vcc_lo, v208, v212
	s_delay_alu instid0(VALU_DEP_2)
	v_add_co_ci_u32_e32 v213, vcc_lo, v209, v213, vcc_lo
	s_clause 0x1
	flat_load_b32 v214, v[212:213]
	flat_load_b32 v215, v[208:209] offset:12
	s_waitcnt vmcnt(1) lgkmcnt(1)
	flat_store_b32 v[208:209], v214 offset:12
	s_waitcnt vmcnt(0) lgkmcnt(1)
	flat_store_b32 v[212:213], v215
.LBB116_77:
	s_or_b32 exec_lo, exec_lo, s4
	v_mov_b32_e32 v252, v244
	v_mov_b32_e32 v251, v244
.LBB116_78:
	s_or_b32 exec_lo, exec_lo, s3
.LBB116_79:
	s_and_not1_saveexec_b32 s2, s2
	s_cbranch_execz .LBB116_81
; %bb.80:
	ds_store_2addr_b64 v246, v[0:1], v[2:3] offset0:8 offset1:9
	ds_store_2addr_b64 v246, v[8:9], v[10:11] offset0:10 offset1:11
	scratch_load_b128 v[208:211], off, off  ; 16-byte Folded Reload
	v_mov_b32_e32 v252, 3
	s_waitcnt vmcnt(0)
	ds_store_2addr_b64 v246, v[208:209], v[210:211] offset0:12 offset1:13
	ds_store_2addr_b64 v246, v[204:205], v[206:207] offset0:14 offset1:15
	ds_store_2addr_b64 v246, v[200:201], v[202:203] offset0:16 offset1:17
	ds_store_2addr_b64 v246, v[196:197], v[198:199] offset0:18 offset1:19
	ds_store_2addr_b64 v246, v[192:193], v[194:195] offset0:20 offset1:21
	ds_store_2addr_b64 v246, v[188:189], v[190:191] offset0:22 offset1:23
	ds_store_2addr_b64 v246, v[184:185], v[186:187] offset0:24 offset1:25
	ds_store_2addr_b64 v246, v[180:181], v[182:183] offset0:26 offset1:27
	ds_store_2addr_b64 v246, v[176:177], v[178:179] offset0:28 offset1:29
	ds_store_2addr_b64 v246, v[172:173], v[174:175] offset0:30 offset1:31
	ds_store_2addr_b64 v246, v[168:169], v[170:171] offset0:32 offset1:33
	ds_store_2addr_b64 v246, v[164:165], v[166:167] offset0:34 offset1:35
	ds_store_2addr_b64 v246, v[160:161], v[162:163] offset0:36 offset1:37
	ds_store_2addr_b64 v246, v[156:157], v[158:159] offset0:38 offset1:39
	ds_store_2addr_b64 v246, v[152:153], v[154:155] offset0:40 offset1:41
	ds_store_2addr_b64 v246, v[148:149], v[150:151] offset0:42 offset1:43
	ds_store_2addr_b64 v246, v[144:145], v[146:147] offset0:44 offset1:45
	ds_store_2addr_b64 v246, v[140:141], v[142:143] offset0:46 offset1:47
	ds_store_2addr_b64 v246, v[136:137], v[138:139] offset0:48 offset1:49
	ds_store_2addr_b64 v246, v[132:133], v[134:135] offset0:50 offset1:51
	ds_store_2addr_b64 v246, v[128:129], v[130:131] offset0:52 offset1:53
	ds_store_2addr_b64 v246, v[124:125], v[126:127] offset0:54 offset1:55
	ds_store_2addr_b64 v246, v[120:121], v[122:123] offset0:56 offset1:57
	ds_store_2addr_b64 v246, v[116:117], v[118:119] offset0:58 offset1:59
	ds_store_2addr_b64 v246, v[112:113], v[114:115] offset0:60 offset1:61
	ds_store_2addr_b64 v246, v[108:109], v[110:111] offset0:62 offset1:63
	ds_store_2addr_b64 v246, v[104:105], v[106:107] offset0:64 offset1:65
	ds_store_2addr_b64 v246, v[100:101], v[102:103] offset0:66 offset1:67
	ds_store_2addr_b64 v246, v[96:97], v[98:99] offset0:68 offset1:69
	ds_store_2addr_b64 v246, v[92:93], v[94:95] offset0:70 offset1:71
	ds_store_2addr_b64 v246, v[88:89], v[90:91] offset0:72 offset1:73
	ds_store_2addr_b64 v246, v[84:85], v[86:87] offset0:74 offset1:75
	ds_store_2addr_b64 v246, v[80:81], v[82:83] offset0:76 offset1:77
	ds_store_2addr_b64 v246, v[76:77], v[78:79] offset0:78 offset1:79
	ds_store_2addr_b64 v246, v[72:73], v[74:75] offset0:80 offset1:81
	ds_store_2addr_b64 v246, v[68:69], v[70:71] offset0:82 offset1:83
	ds_store_2addr_b64 v246, v[64:65], v[66:67] offset0:84 offset1:85
	ds_store_2addr_b64 v246, v[60:61], v[62:63] offset0:86 offset1:87
	ds_store_2addr_b64 v246, v[56:57], v[58:59] offset0:88 offset1:89
	ds_store_2addr_b64 v246, v[52:53], v[54:55] offset0:90 offset1:91
	ds_store_2addr_b64 v246, v[48:49], v[50:51] offset0:92 offset1:93
	ds_store_2addr_b64 v246, v[44:45], v[46:47] offset0:94 offset1:95
	ds_store_2addr_b64 v246, v[40:41], v[42:43] offset0:96 offset1:97
	ds_store_2addr_b64 v246, v[36:37], v[38:39] offset0:98 offset1:99
	ds_store_2addr_b64 v246, v[32:33], v[34:35] offset0:100 offset1:101
	ds_store_2addr_b64 v246, v[28:29], v[30:31] offset0:102 offset1:103
	ds_store_2addr_b64 v246, v[24:25], v[26:27] offset0:104 offset1:105
	ds_store_2addr_b64 v246, v[20:21], v[22:23] offset0:106 offset1:107
	ds_store_2addr_b64 v246, v[16:17], v[18:19] offset0:108 offset1:109
	ds_store_2addr_b64 v246, v[12:13], v[14:15] offset0:110 offset1:111
	ds_store_2addr_b64 v246, v[230:231], v[232:233] offset0:112 offset1:113
	ds_store_2addr_b64 v246, v[4:5], v[6:7] offset0:114 offset1:115
	ds_store_2addr_b64 v246, v[224:225], v[226:227] offset0:116 offset1:117
.LBB116_81:
	s_or_b32 exec_lo, exec_lo, s2
	s_delay_alu instid0(SALU_CYCLE_1)
	s_mov_b32 s2, exec_lo
	s_waitcnt lgkmcnt(0)
	s_waitcnt_vscnt null, 0x0
	s_barrier
	buffer_gl0_inv
	v_cmpx_lt_i32_e32 3, v252
	s_cbranch_execz .LBB116_83
; %bb.82:
	s_clause 0x1
	scratch_load_b128 v[208:211], off, off offset:24
	scratch_load_b128 v[216:219], off, off
	s_waitcnt vmcnt(1)
	v_mul_f64 v[212:213], v[238:239], v[210:211]
	s_delay_alu instid0(VALU_DEP_1) | instskip(SKIP_1) | instid1(VALU_DEP_1)
	v_fma_f64 v[244:245], v[236:237], v[208:209], -v[212:213]
	v_mul_f64 v[212:213], v[236:237], v[210:211]
	v_fma_f64 v[210:211], v[238:239], v[208:209], v[212:213]
	ds_load_2addr_b64 v[236:239], v246 offset0:8 offset1:9
	v_dual_mov_b32 v208, v244 :: v_dual_mov_b32 v209, v245
	s_waitcnt lgkmcnt(0)
	v_mul_f64 v[212:213], v[238:239], v[210:211]
	v_mul_f64 v[214:215], v[236:237], v[210:211]
	scratch_store_b128 off, v[208:211], off offset:24 ; 16-byte Folded Spill
	v_fma_f64 v[212:213], v[236:237], v[244:245], -v[212:213]
	v_fma_f64 v[214:215], v[238:239], v[244:245], v[214:215]
	ds_load_2addr_b64 v[236:239], v246 offset0:10 offset1:11
	v_add_f64 v[0:1], v[0:1], -v[212:213]
	v_add_f64 v[2:3], v[2:3], -v[214:215]
	s_waitcnt lgkmcnt(0)
	v_mul_f64 v[212:213], v[238:239], v[210:211]
	v_mul_f64 v[214:215], v[236:237], v[210:211]
	s_delay_alu instid0(VALU_DEP_2) | instskip(NEXT) | instid1(VALU_DEP_2)
	v_fma_f64 v[212:213], v[236:237], v[244:245], -v[212:213]
	v_fma_f64 v[214:215], v[238:239], v[244:245], v[214:215]
	ds_load_2addr_b64 v[236:239], v246 offset0:12 offset1:13
	v_add_f64 v[8:9], v[8:9], -v[212:213]
	v_add_f64 v[10:11], v[10:11], -v[214:215]
	s_waitcnt lgkmcnt(0)
	v_mul_f64 v[212:213], v[238:239], v[210:211]
	v_mul_f64 v[214:215], v[236:237], v[210:211]
	s_delay_alu instid0(VALU_DEP_2) | instskip(NEXT) | instid1(VALU_DEP_2)
	v_fma_f64 v[212:213], v[236:237], v[244:245], -v[212:213]
	v_fma_f64 v[214:215], v[238:239], v[244:245], v[214:215]
	ds_load_2addr_b64 v[236:239], v246 offset0:14 offset1:15
	s_waitcnt vmcnt(0)
	v_add_f64 v[216:217], v[216:217], -v[212:213]
	v_add_f64 v[218:219], v[218:219], -v[214:215]
	s_waitcnt lgkmcnt(0)
	v_mul_f64 v[212:213], v[238:239], v[210:211]
	v_mul_f64 v[214:215], v[236:237], v[210:211]
	scratch_store_b128 off, v[216:219], off ; 16-byte Folded Spill
	v_fma_f64 v[212:213], v[236:237], v[244:245], -v[212:213]
	v_fma_f64 v[214:215], v[238:239], v[244:245], v[214:215]
	ds_load_2addr_b64 v[236:239], v246 offset0:16 offset1:17
	v_add_f64 v[204:205], v[204:205], -v[212:213]
	v_add_f64 v[206:207], v[206:207], -v[214:215]
	s_waitcnt lgkmcnt(0)
	v_mul_f64 v[212:213], v[238:239], v[210:211]
	v_mul_f64 v[214:215], v[236:237], v[210:211]
	s_delay_alu instid0(VALU_DEP_2) | instskip(NEXT) | instid1(VALU_DEP_2)
	v_fma_f64 v[212:213], v[236:237], v[244:245], -v[212:213]
	v_fma_f64 v[214:215], v[238:239], v[244:245], v[214:215]
	ds_load_2addr_b64 v[236:239], v246 offset0:18 offset1:19
	v_add_f64 v[200:201], v[200:201], -v[212:213]
	v_add_f64 v[202:203], v[202:203], -v[214:215]
	s_waitcnt lgkmcnt(0)
	v_mul_f64 v[212:213], v[238:239], v[210:211]
	v_mul_f64 v[214:215], v[236:237], v[210:211]
	s_delay_alu instid0(VALU_DEP_2) | instskip(NEXT) | instid1(VALU_DEP_2)
	;; [unrolled: 9-line block ×51, first 2 shown]
	v_fma_f64 v[212:213], v[236:237], v[244:245], -v[212:213]
	v_fma_f64 v[214:215], v[238:239], v[244:245], v[214:215]
	s_delay_alu instid0(VALU_DEP_2) | instskip(NEXT) | instid1(VALU_DEP_2)
	v_add_f64 v[224:225], v[224:225], -v[212:213]
	v_add_f64 v[226:227], v[226:227], -v[214:215]
.LBB116_83:
	s_or_b32 exec_lo, exec_lo, s2
	v_lshl_add_u32 v212, v252, 4, v246
	s_waitcnt_vscnt null, 0x0
	s_barrier
	buffer_gl0_inv
	v_mov_b32_e32 v244, 4
	ds_store_2addr_b64 v212, v[0:1], v[2:3] offset1:1
	s_waitcnt lgkmcnt(0)
	s_barrier
	buffer_gl0_inv
	ds_load_2addr_b64 v[236:239], v246 offset0:8 offset1:9
	s_cmp_lt_i32 s12, 6
	s_cbranch_scc1 .LBB116_86
; %bb.84:
	v_add3_u32 v245, v234, 0, 0x50
	v_mov_b32_e32 v244, 4
	s_mov_b32 s6, 5
	s_set_inst_prefetch_distance 0x1
	.p2align	6
.LBB116_85:                             ; =>This Inner Loop Header: Depth=1
	ds_load_2addr_b64 v[240:243], v245 offset1:1
	s_waitcnt lgkmcnt(1)
	v_cmp_gt_f64_e32 vcc_lo, 0, v[236:237]
	v_cmp_gt_f64_e64 s2, 0, v[238:239]
	v_xor_b32_e32 v213, 0x80000000, v237
	v_xor_b32_e32 v215, 0x80000000, v239
	v_add_nc_u32_e32 v245, 16, v245
	s_waitcnt lgkmcnt(0)
	v_cmp_gt_f64_e64 s3, 0, v[240:241]
	v_cmp_gt_f64_e64 s4, 0, v[242:243]
	v_xor_b32_e32 v219, 0x80000000, v241
	v_xor_b32_e32 v220, 0x80000000, v243
	v_mov_b32_e32 v214, v242
	v_mov_b32_e32 v212, v240
	v_cndmask_b32_e32 v216, v237, v213, vcc_lo
	v_cndmask_b32_e64 v218, v239, v215, s2
	v_cndmask_b32_e32 v215, v236, v236, vcc_lo
	v_cndmask_b32_e64 v217, v238, v238, s2
	s_delay_alu instid0(VALU_DEP_1) | instskip(SKIP_2) | instid1(VALU_DEP_1)
	v_add_f64 v[216:217], v[215:216], v[217:218]
	v_cndmask_b32_e64 v213, v241, v219, s3
	v_cndmask_b32_e64 v215, v243, v220, s4
	v_add_f64 v[212:213], v[212:213], v[214:215]
	s_delay_alu instid0(VALU_DEP_1)
	v_cmp_lt_f64_e32 vcc_lo, v[216:217], v[212:213]
	v_cndmask_b32_e32 v239, v239, v243, vcc_lo
	v_dual_cndmask_b32 v237, v237, v241 :: v_dual_cndmask_b32 v236, v236, v240
	v_cndmask_b32_e32 v238, v238, v242, vcc_lo
	v_cndmask_b32_e64 v244, v244, s6, vcc_lo
	s_add_i32 s6, s6, 1
	s_delay_alu instid0(SALU_CYCLE_1)
	s_cmp_lg_u32 s12, s6
	s_cbranch_scc1 .LBB116_85
.LBB116_86:
	s_set_inst_prefetch_distance 0x2
	s_waitcnt lgkmcnt(0)
	v_cmp_eq_f64_e32 vcc_lo, 0, v[236:237]
	v_cmp_eq_f64_e64 s2, 0, v[238:239]
	s_delay_alu instid0(VALU_DEP_1) | instskip(NEXT) | instid1(SALU_CYCLE_1)
	s_and_b32 s2, vcc_lo, s2
	s_and_saveexec_b32 s3, s2
	s_delay_alu instid0(SALU_CYCLE_1)
	s_xor_b32 s2, exec_lo, s3
; %bb.87:
	v_cmp_ne_u32_e32 vcc_lo, 0, v249
	v_cndmask_b32_e32 v249, 5, v249, vcc_lo
; %bb.88:
	s_and_not1_saveexec_b32 s3, s2
	s_cbranch_execz .LBB116_94
; %bb.89:
	v_cmp_gt_f64_e32 vcc_lo, 0, v[236:237]
	v_cmp_gt_f64_e64 s2, 0, v[238:239]
	v_xor_b32_e32 v212, 0x80000000, v237
	v_xor_b32_e32 v214, 0x80000000, v239
	s_delay_alu instid0(VALU_DEP_2) | instskip(NEXT) | instid1(VALU_DEP_2)
	v_cndmask_b32_e32 v213, v237, v212, vcc_lo
	v_cndmask_b32_e64 v215, v239, v214, s2
	v_cndmask_b32_e32 v212, v236, v236, vcc_lo
	v_cndmask_b32_e64 v214, v238, v238, s2
	s_mov_b32 s2, exec_lo
	s_delay_alu instid0(VALU_DEP_1)
	v_cmpx_ngt_f64_e32 v[212:213], v[214:215]
	s_xor_b32 s2, exec_lo, s2
	s_cbranch_execz .LBB116_91
; %bb.90:
	v_div_scale_f64 v[212:213], null, v[238:239], v[238:239], v[236:237]
	v_div_scale_f64 v[218:219], vcc_lo, v[236:237], v[238:239], v[236:237]
	s_delay_alu instid0(VALU_DEP_2) | instskip(SKIP_2) | instid1(VALU_DEP_1)
	v_rcp_f64_e32 v[214:215], v[212:213]
	s_waitcnt_depctr 0xfff
	v_fma_f64 v[216:217], -v[212:213], v[214:215], 1.0
	v_fma_f64 v[214:215], v[214:215], v[216:217], v[214:215]
	s_delay_alu instid0(VALU_DEP_1) | instskip(NEXT) | instid1(VALU_DEP_1)
	v_fma_f64 v[216:217], -v[212:213], v[214:215], 1.0
	v_fma_f64 v[214:215], v[214:215], v[216:217], v[214:215]
	s_delay_alu instid0(VALU_DEP_1) | instskip(NEXT) | instid1(VALU_DEP_1)
	v_mul_f64 v[216:217], v[218:219], v[214:215]
	v_fma_f64 v[212:213], -v[212:213], v[216:217], v[218:219]
	s_delay_alu instid0(VALU_DEP_1) | instskip(NEXT) | instid1(VALU_DEP_1)
	v_div_fmas_f64 v[212:213], v[212:213], v[214:215], v[216:217]
	v_div_fixup_f64 v[212:213], v[212:213], v[238:239], v[236:237]
	s_delay_alu instid0(VALU_DEP_1) | instskip(NEXT) | instid1(VALU_DEP_1)
	v_fma_f64 v[214:215], v[236:237], v[212:213], v[238:239]
	v_div_scale_f64 v[216:217], null, v[214:215], v[214:215], 1.0
	s_delay_alu instid0(VALU_DEP_1) | instskip(SKIP_2) | instid1(VALU_DEP_1)
	v_rcp_f64_e32 v[218:219], v[216:217]
	s_waitcnt_depctr 0xfff
	v_fma_f64 v[220:221], -v[216:217], v[218:219], 1.0
	v_fma_f64 v[218:219], v[218:219], v[220:221], v[218:219]
	s_delay_alu instid0(VALU_DEP_1) | instskip(NEXT) | instid1(VALU_DEP_1)
	v_fma_f64 v[220:221], -v[216:217], v[218:219], 1.0
	v_fma_f64 v[218:219], v[218:219], v[220:221], v[218:219]
	v_div_scale_f64 v[220:221], vcc_lo, 1.0, v[214:215], 1.0
	s_delay_alu instid0(VALU_DEP_1) | instskip(NEXT) | instid1(VALU_DEP_1)
	v_mul_f64 v[222:223], v[220:221], v[218:219]
	v_fma_f64 v[216:217], -v[216:217], v[222:223], v[220:221]
	s_delay_alu instid0(VALU_DEP_1) | instskip(NEXT) | instid1(VALU_DEP_1)
	v_div_fmas_f64 v[216:217], v[216:217], v[218:219], v[222:223]
	v_div_fixup_f64 v[238:239], v[216:217], v[214:215], 1.0
	s_delay_alu instid0(VALU_DEP_1)
	v_mul_f64 v[236:237], v[212:213], v[238:239]
	v_xor_b32_e32 v239, 0x80000000, v239
.LBB116_91:
	s_and_not1_saveexec_b32 s2, s2
	s_cbranch_execz .LBB116_93
; %bb.92:
	s_delay_alu instid0(VALU_DEP_1) | instskip(SKIP_1) | instid1(VALU_DEP_2)
	v_div_scale_f64 v[212:213], null, v[236:237], v[236:237], v[238:239]
	v_div_scale_f64 v[218:219], vcc_lo, v[238:239], v[236:237], v[238:239]
	v_rcp_f64_e32 v[214:215], v[212:213]
	s_waitcnt_depctr 0xfff
	v_fma_f64 v[216:217], -v[212:213], v[214:215], 1.0
	s_delay_alu instid0(VALU_DEP_1) | instskip(NEXT) | instid1(VALU_DEP_1)
	v_fma_f64 v[214:215], v[214:215], v[216:217], v[214:215]
	v_fma_f64 v[216:217], -v[212:213], v[214:215], 1.0
	s_delay_alu instid0(VALU_DEP_1) | instskip(NEXT) | instid1(VALU_DEP_1)
	v_fma_f64 v[214:215], v[214:215], v[216:217], v[214:215]
	v_mul_f64 v[216:217], v[218:219], v[214:215]
	s_delay_alu instid0(VALU_DEP_1) | instskip(NEXT) | instid1(VALU_DEP_1)
	v_fma_f64 v[212:213], -v[212:213], v[216:217], v[218:219]
	v_div_fmas_f64 v[212:213], v[212:213], v[214:215], v[216:217]
	s_delay_alu instid0(VALU_DEP_1) | instskip(NEXT) | instid1(VALU_DEP_1)
	v_div_fixup_f64 v[212:213], v[212:213], v[236:237], v[238:239]
	v_fma_f64 v[214:215], v[238:239], v[212:213], v[236:237]
	s_delay_alu instid0(VALU_DEP_1) | instskip(NEXT) | instid1(VALU_DEP_1)
	v_div_scale_f64 v[216:217], null, v[214:215], v[214:215], 1.0
	v_rcp_f64_e32 v[218:219], v[216:217]
	s_waitcnt_depctr 0xfff
	v_fma_f64 v[220:221], -v[216:217], v[218:219], 1.0
	s_delay_alu instid0(VALU_DEP_1) | instskip(NEXT) | instid1(VALU_DEP_1)
	v_fma_f64 v[218:219], v[218:219], v[220:221], v[218:219]
	v_fma_f64 v[220:221], -v[216:217], v[218:219], 1.0
	s_delay_alu instid0(VALU_DEP_1) | instskip(SKIP_1) | instid1(VALU_DEP_1)
	v_fma_f64 v[218:219], v[218:219], v[220:221], v[218:219]
	v_div_scale_f64 v[220:221], vcc_lo, 1.0, v[214:215], 1.0
	v_mul_f64 v[222:223], v[220:221], v[218:219]
	s_delay_alu instid0(VALU_DEP_1) | instskip(NEXT) | instid1(VALU_DEP_1)
	v_fma_f64 v[216:217], -v[216:217], v[222:223], v[220:221]
	v_div_fmas_f64 v[216:217], v[216:217], v[218:219], v[222:223]
	s_delay_alu instid0(VALU_DEP_1) | instskip(NEXT) | instid1(VALU_DEP_1)
	v_div_fixup_f64 v[236:237], v[216:217], v[214:215], 1.0
	v_mul_f64 v[238:239], v[212:213], -v[236:237]
.LBB116_93:
	s_or_b32 exec_lo, exec_lo, s2
.LBB116_94:
	s_delay_alu instid0(SALU_CYCLE_1) | instskip(NEXT) | instid1(SALU_CYCLE_1)
	s_or_b32 exec_lo, exec_lo, s3
	s_mov_b32 s2, exec_lo
	v_cmpx_ne_u32_e64 v252, v244
	s_xor_b32 s2, exec_lo, s2
	s_cbranch_execz .LBB116_100
; %bb.95:
	s_mov_b32 s3, exec_lo
	v_cmpx_eq_u32_e32 4, v252
	s_cbranch_execz .LBB116_99
; %bb.96:
	v_cmp_ne_u32_e32 vcc_lo, 4, v244
	s_xor_b32 s4, s5, -1
	s_delay_alu instid0(SALU_CYCLE_1) | instskip(NEXT) | instid1(SALU_CYCLE_1)
	s_and_b32 s6, s4, vcc_lo
	s_and_saveexec_b32 s4, s6
	s_cbranch_execz .LBB116_98
; %bb.97:
	scratch_load_b64 v[208:209], off, off offset:16 ; 8-byte Folded Reload
	v_ashrrev_i32_e32 v245, 31, v244
	s_delay_alu instid0(VALU_DEP_1) | instskip(SKIP_1) | instid1(VALU_DEP_1)
	v_lshlrev_b64 v[212:213], 2, v[244:245]
	s_waitcnt vmcnt(0)
	v_add_co_u32 v212, vcc_lo, v208, v212
	s_delay_alu instid0(VALU_DEP_2)
	v_add_co_ci_u32_e32 v213, vcc_lo, v209, v213, vcc_lo
	s_clause 0x1
	flat_load_b32 v214, v[212:213]
	flat_load_b32 v215, v[208:209] offset:16
	s_waitcnt vmcnt(1) lgkmcnt(1)
	flat_store_b32 v[208:209], v214 offset:16
	s_waitcnt vmcnt(0) lgkmcnt(1)
	flat_store_b32 v[212:213], v215
.LBB116_98:
	s_or_b32 exec_lo, exec_lo, s4
	v_mov_b32_e32 v252, v244
	v_mov_b32_e32 v251, v244
.LBB116_99:
	s_or_b32 exec_lo, exec_lo, s3
.LBB116_100:
	s_and_not1_saveexec_b32 s2, s2
	s_cbranch_execz .LBB116_102
; %bb.101:
	scratch_load_b128 v[208:211], off, off  ; 16-byte Folded Reload
	v_mov_b32_e32 v252, 4
	ds_store_2addr_b64 v246, v[8:9], v[10:11] offset0:10 offset1:11
	s_waitcnt vmcnt(0)
	ds_store_2addr_b64 v246, v[208:209], v[210:211] offset0:12 offset1:13
	ds_store_2addr_b64 v246, v[204:205], v[206:207] offset0:14 offset1:15
	ds_store_2addr_b64 v246, v[200:201], v[202:203] offset0:16 offset1:17
	ds_store_2addr_b64 v246, v[196:197], v[198:199] offset0:18 offset1:19
	ds_store_2addr_b64 v246, v[192:193], v[194:195] offset0:20 offset1:21
	ds_store_2addr_b64 v246, v[188:189], v[190:191] offset0:22 offset1:23
	ds_store_2addr_b64 v246, v[184:185], v[186:187] offset0:24 offset1:25
	ds_store_2addr_b64 v246, v[180:181], v[182:183] offset0:26 offset1:27
	ds_store_2addr_b64 v246, v[176:177], v[178:179] offset0:28 offset1:29
	ds_store_2addr_b64 v246, v[172:173], v[174:175] offset0:30 offset1:31
	ds_store_2addr_b64 v246, v[168:169], v[170:171] offset0:32 offset1:33
	ds_store_2addr_b64 v246, v[164:165], v[166:167] offset0:34 offset1:35
	ds_store_2addr_b64 v246, v[160:161], v[162:163] offset0:36 offset1:37
	ds_store_2addr_b64 v246, v[156:157], v[158:159] offset0:38 offset1:39
	ds_store_2addr_b64 v246, v[152:153], v[154:155] offset0:40 offset1:41
	ds_store_2addr_b64 v246, v[148:149], v[150:151] offset0:42 offset1:43
	ds_store_2addr_b64 v246, v[144:145], v[146:147] offset0:44 offset1:45
	ds_store_2addr_b64 v246, v[140:141], v[142:143] offset0:46 offset1:47
	ds_store_2addr_b64 v246, v[136:137], v[138:139] offset0:48 offset1:49
	ds_store_2addr_b64 v246, v[132:133], v[134:135] offset0:50 offset1:51
	ds_store_2addr_b64 v246, v[128:129], v[130:131] offset0:52 offset1:53
	ds_store_2addr_b64 v246, v[124:125], v[126:127] offset0:54 offset1:55
	ds_store_2addr_b64 v246, v[120:121], v[122:123] offset0:56 offset1:57
	ds_store_2addr_b64 v246, v[116:117], v[118:119] offset0:58 offset1:59
	ds_store_2addr_b64 v246, v[112:113], v[114:115] offset0:60 offset1:61
	ds_store_2addr_b64 v246, v[108:109], v[110:111] offset0:62 offset1:63
	ds_store_2addr_b64 v246, v[104:105], v[106:107] offset0:64 offset1:65
	ds_store_2addr_b64 v246, v[100:101], v[102:103] offset0:66 offset1:67
	ds_store_2addr_b64 v246, v[96:97], v[98:99] offset0:68 offset1:69
	ds_store_2addr_b64 v246, v[92:93], v[94:95] offset0:70 offset1:71
	ds_store_2addr_b64 v246, v[88:89], v[90:91] offset0:72 offset1:73
	ds_store_2addr_b64 v246, v[84:85], v[86:87] offset0:74 offset1:75
	ds_store_2addr_b64 v246, v[80:81], v[82:83] offset0:76 offset1:77
	ds_store_2addr_b64 v246, v[76:77], v[78:79] offset0:78 offset1:79
	ds_store_2addr_b64 v246, v[72:73], v[74:75] offset0:80 offset1:81
	ds_store_2addr_b64 v246, v[68:69], v[70:71] offset0:82 offset1:83
	ds_store_2addr_b64 v246, v[64:65], v[66:67] offset0:84 offset1:85
	ds_store_2addr_b64 v246, v[60:61], v[62:63] offset0:86 offset1:87
	ds_store_2addr_b64 v246, v[56:57], v[58:59] offset0:88 offset1:89
	ds_store_2addr_b64 v246, v[52:53], v[54:55] offset0:90 offset1:91
	ds_store_2addr_b64 v246, v[48:49], v[50:51] offset0:92 offset1:93
	ds_store_2addr_b64 v246, v[44:45], v[46:47] offset0:94 offset1:95
	ds_store_2addr_b64 v246, v[40:41], v[42:43] offset0:96 offset1:97
	ds_store_2addr_b64 v246, v[36:37], v[38:39] offset0:98 offset1:99
	ds_store_2addr_b64 v246, v[32:33], v[34:35] offset0:100 offset1:101
	ds_store_2addr_b64 v246, v[28:29], v[30:31] offset0:102 offset1:103
	ds_store_2addr_b64 v246, v[24:25], v[26:27] offset0:104 offset1:105
	ds_store_2addr_b64 v246, v[20:21], v[22:23] offset0:106 offset1:107
	ds_store_2addr_b64 v246, v[16:17], v[18:19] offset0:108 offset1:109
	ds_store_2addr_b64 v246, v[12:13], v[14:15] offset0:110 offset1:111
	ds_store_2addr_b64 v246, v[230:231], v[232:233] offset0:112 offset1:113
	ds_store_2addr_b64 v246, v[4:5], v[6:7] offset0:114 offset1:115
	ds_store_2addr_b64 v246, v[224:225], v[226:227] offset0:116 offset1:117
.LBB116_102:
	s_or_b32 exec_lo, exec_lo, s2
	s_delay_alu instid0(SALU_CYCLE_1)
	s_mov_b32 s2, exec_lo
	s_waitcnt lgkmcnt(0)
	s_waitcnt_vscnt null, 0x0
	s_barrier
	buffer_gl0_inv
	v_cmpx_lt_i32_e32 4, v252
	s_cbranch_execz .LBB116_104
; %bb.103:
	scratch_load_b128 v[208:211], off, off  ; 16-byte Folded Reload
	v_mul_f64 v[212:213], v[238:239], v[2:3]
	s_delay_alu instid0(VALU_DEP_1) | instskip(SKIP_1) | instid1(VALU_DEP_1)
	v_fma_f64 v[244:245], v[236:237], v[0:1], -v[212:213]
	v_mul_f64 v[212:213], v[236:237], v[2:3]
	v_fma_f64 v[2:3], v[238:239], v[0:1], v[212:213]
	ds_load_2addr_b64 v[236:239], v246 offset0:10 offset1:11
	v_dual_mov_b32 v0, v244 :: v_dual_mov_b32 v1, v245
	s_waitcnt lgkmcnt(0)
	v_mul_f64 v[212:213], v[238:239], v[2:3]
	v_mul_f64 v[214:215], v[236:237], v[2:3]
	s_delay_alu instid0(VALU_DEP_2) | instskip(NEXT) | instid1(VALU_DEP_2)
	v_fma_f64 v[212:213], v[236:237], v[244:245], -v[212:213]
	v_fma_f64 v[214:215], v[238:239], v[244:245], v[214:215]
	ds_load_2addr_b64 v[236:239], v246 offset0:12 offset1:13
	v_add_f64 v[8:9], v[8:9], -v[212:213]
	v_add_f64 v[10:11], v[10:11], -v[214:215]
	s_waitcnt lgkmcnt(0)
	v_mul_f64 v[212:213], v[238:239], v[2:3]
	v_mul_f64 v[214:215], v[236:237], v[2:3]
	s_delay_alu instid0(VALU_DEP_2) | instskip(NEXT) | instid1(VALU_DEP_2)
	v_fma_f64 v[212:213], v[236:237], v[244:245], -v[212:213]
	v_fma_f64 v[214:215], v[238:239], v[244:245], v[214:215]
	ds_load_2addr_b64 v[236:239], v246 offset0:14 offset1:15
	s_waitcnt vmcnt(0)
	v_add_f64 v[208:209], v[208:209], -v[212:213]
	v_add_f64 v[210:211], v[210:211], -v[214:215]
	s_waitcnt lgkmcnt(0)
	v_mul_f64 v[212:213], v[238:239], v[2:3]
	v_mul_f64 v[214:215], v[236:237], v[2:3]
	scratch_store_b128 off, v[208:211], off ; 16-byte Folded Spill
	v_fma_f64 v[212:213], v[236:237], v[244:245], -v[212:213]
	v_fma_f64 v[214:215], v[238:239], v[244:245], v[214:215]
	ds_load_2addr_b64 v[236:239], v246 offset0:16 offset1:17
	v_add_f64 v[204:205], v[204:205], -v[212:213]
	v_add_f64 v[206:207], v[206:207], -v[214:215]
	s_waitcnt lgkmcnt(0)
	v_mul_f64 v[212:213], v[238:239], v[2:3]
	v_mul_f64 v[214:215], v[236:237], v[2:3]
	s_delay_alu instid0(VALU_DEP_2) | instskip(NEXT) | instid1(VALU_DEP_2)
	v_fma_f64 v[212:213], v[236:237], v[244:245], -v[212:213]
	v_fma_f64 v[214:215], v[238:239], v[244:245], v[214:215]
	ds_load_2addr_b64 v[236:239], v246 offset0:18 offset1:19
	v_add_f64 v[200:201], v[200:201], -v[212:213]
	v_add_f64 v[202:203], v[202:203], -v[214:215]
	s_waitcnt lgkmcnt(0)
	v_mul_f64 v[212:213], v[238:239], v[2:3]
	v_mul_f64 v[214:215], v[236:237], v[2:3]
	s_delay_alu instid0(VALU_DEP_2) | instskip(NEXT) | instid1(VALU_DEP_2)
	;; [unrolled: 9-line block ×51, first 2 shown]
	v_fma_f64 v[212:213], v[236:237], v[244:245], -v[212:213]
	v_fma_f64 v[214:215], v[238:239], v[244:245], v[214:215]
	s_delay_alu instid0(VALU_DEP_2) | instskip(NEXT) | instid1(VALU_DEP_2)
	v_add_f64 v[224:225], v[224:225], -v[212:213]
	v_add_f64 v[226:227], v[226:227], -v[214:215]
.LBB116_104:
	s_or_b32 exec_lo, exec_lo, s2
	v_lshl_add_u32 v212, v252, 4, v246
	s_waitcnt_vscnt null, 0x0
	s_barrier
	buffer_gl0_inv
	v_mov_b32_e32 v244, 5
	ds_store_2addr_b64 v212, v[8:9], v[10:11] offset1:1
	s_waitcnt lgkmcnt(0)
	s_barrier
	buffer_gl0_inv
	ds_load_2addr_b64 v[236:239], v246 offset0:10 offset1:11
	s_cmp_lt_i32 s12, 7
	s_cbranch_scc1 .LBB116_107
; %bb.105:
	v_add3_u32 v245, v234, 0, 0x60
	v_mov_b32_e32 v244, 5
	s_mov_b32 s6, 6
	s_set_inst_prefetch_distance 0x1
	.p2align	6
.LBB116_106:                            ; =>This Inner Loop Header: Depth=1
	ds_load_2addr_b64 v[240:243], v245 offset1:1
	s_waitcnt lgkmcnt(1)
	v_cmp_gt_f64_e32 vcc_lo, 0, v[236:237]
	v_cmp_gt_f64_e64 s2, 0, v[238:239]
	v_xor_b32_e32 v213, 0x80000000, v237
	v_xor_b32_e32 v215, 0x80000000, v239
	v_add_nc_u32_e32 v245, 16, v245
	s_waitcnt lgkmcnt(0)
	v_cmp_gt_f64_e64 s3, 0, v[240:241]
	v_cmp_gt_f64_e64 s4, 0, v[242:243]
	v_xor_b32_e32 v219, 0x80000000, v241
	v_xor_b32_e32 v220, 0x80000000, v243
	v_mov_b32_e32 v214, v242
	v_mov_b32_e32 v212, v240
	v_cndmask_b32_e32 v216, v237, v213, vcc_lo
	v_cndmask_b32_e64 v218, v239, v215, s2
	v_cndmask_b32_e32 v215, v236, v236, vcc_lo
	v_cndmask_b32_e64 v217, v238, v238, s2
	s_delay_alu instid0(VALU_DEP_1) | instskip(SKIP_2) | instid1(VALU_DEP_1)
	v_add_f64 v[216:217], v[215:216], v[217:218]
	v_cndmask_b32_e64 v213, v241, v219, s3
	v_cndmask_b32_e64 v215, v243, v220, s4
	v_add_f64 v[212:213], v[212:213], v[214:215]
	s_delay_alu instid0(VALU_DEP_1)
	v_cmp_lt_f64_e32 vcc_lo, v[216:217], v[212:213]
	v_cndmask_b32_e32 v239, v239, v243, vcc_lo
	v_dual_cndmask_b32 v237, v237, v241 :: v_dual_cndmask_b32 v236, v236, v240
	v_cndmask_b32_e32 v238, v238, v242, vcc_lo
	v_cndmask_b32_e64 v244, v244, s6, vcc_lo
	s_add_i32 s6, s6, 1
	s_delay_alu instid0(SALU_CYCLE_1)
	s_cmp_lg_u32 s12, s6
	s_cbranch_scc1 .LBB116_106
.LBB116_107:
	s_set_inst_prefetch_distance 0x2
	s_waitcnt lgkmcnt(0)
	v_cmp_eq_f64_e32 vcc_lo, 0, v[236:237]
	v_cmp_eq_f64_e64 s2, 0, v[238:239]
	s_delay_alu instid0(VALU_DEP_1) | instskip(NEXT) | instid1(SALU_CYCLE_1)
	s_and_b32 s2, vcc_lo, s2
	s_and_saveexec_b32 s3, s2
	s_delay_alu instid0(SALU_CYCLE_1)
	s_xor_b32 s2, exec_lo, s3
; %bb.108:
	v_cmp_ne_u32_e32 vcc_lo, 0, v249
	v_cndmask_b32_e32 v249, 6, v249, vcc_lo
; %bb.109:
	s_and_not1_saveexec_b32 s3, s2
	s_cbranch_execz .LBB116_115
; %bb.110:
	v_cmp_gt_f64_e32 vcc_lo, 0, v[236:237]
	v_cmp_gt_f64_e64 s2, 0, v[238:239]
	v_xor_b32_e32 v212, 0x80000000, v237
	v_xor_b32_e32 v214, 0x80000000, v239
	s_delay_alu instid0(VALU_DEP_2) | instskip(NEXT) | instid1(VALU_DEP_2)
	v_cndmask_b32_e32 v213, v237, v212, vcc_lo
	v_cndmask_b32_e64 v215, v239, v214, s2
	v_cndmask_b32_e32 v212, v236, v236, vcc_lo
	v_cndmask_b32_e64 v214, v238, v238, s2
	s_mov_b32 s2, exec_lo
	s_delay_alu instid0(VALU_DEP_1)
	v_cmpx_ngt_f64_e32 v[212:213], v[214:215]
	s_xor_b32 s2, exec_lo, s2
	s_cbranch_execz .LBB116_112
; %bb.111:
	v_div_scale_f64 v[212:213], null, v[238:239], v[238:239], v[236:237]
	v_div_scale_f64 v[218:219], vcc_lo, v[236:237], v[238:239], v[236:237]
	s_delay_alu instid0(VALU_DEP_2) | instskip(SKIP_2) | instid1(VALU_DEP_1)
	v_rcp_f64_e32 v[214:215], v[212:213]
	s_waitcnt_depctr 0xfff
	v_fma_f64 v[216:217], -v[212:213], v[214:215], 1.0
	v_fma_f64 v[214:215], v[214:215], v[216:217], v[214:215]
	s_delay_alu instid0(VALU_DEP_1) | instskip(NEXT) | instid1(VALU_DEP_1)
	v_fma_f64 v[216:217], -v[212:213], v[214:215], 1.0
	v_fma_f64 v[214:215], v[214:215], v[216:217], v[214:215]
	s_delay_alu instid0(VALU_DEP_1) | instskip(NEXT) | instid1(VALU_DEP_1)
	v_mul_f64 v[216:217], v[218:219], v[214:215]
	v_fma_f64 v[212:213], -v[212:213], v[216:217], v[218:219]
	s_delay_alu instid0(VALU_DEP_1) | instskip(NEXT) | instid1(VALU_DEP_1)
	v_div_fmas_f64 v[212:213], v[212:213], v[214:215], v[216:217]
	v_div_fixup_f64 v[212:213], v[212:213], v[238:239], v[236:237]
	s_delay_alu instid0(VALU_DEP_1) | instskip(NEXT) | instid1(VALU_DEP_1)
	v_fma_f64 v[214:215], v[236:237], v[212:213], v[238:239]
	v_div_scale_f64 v[216:217], null, v[214:215], v[214:215], 1.0
	s_delay_alu instid0(VALU_DEP_1) | instskip(SKIP_2) | instid1(VALU_DEP_1)
	v_rcp_f64_e32 v[218:219], v[216:217]
	s_waitcnt_depctr 0xfff
	v_fma_f64 v[220:221], -v[216:217], v[218:219], 1.0
	v_fma_f64 v[218:219], v[218:219], v[220:221], v[218:219]
	s_delay_alu instid0(VALU_DEP_1) | instskip(NEXT) | instid1(VALU_DEP_1)
	v_fma_f64 v[220:221], -v[216:217], v[218:219], 1.0
	v_fma_f64 v[218:219], v[218:219], v[220:221], v[218:219]
	v_div_scale_f64 v[220:221], vcc_lo, 1.0, v[214:215], 1.0
	s_delay_alu instid0(VALU_DEP_1) | instskip(NEXT) | instid1(VALU_DEP_1)
	v_mul_f64 v[222:223], v[220:221], v[218:219]
	v_fma_f64 v[216:217], -v[216:217], v[222:223], v[220:221]
	s_delay_alu instid0(VALU_DEP_1) | instskip(NEXT) | instid1(VALU_DEP_1)
	v_div_fmas_f64 v[216:217], v[216:217], v[218:219], v[222:223]
	v_div_fixup_f64 v[238:239], v[216:217], v[214:215], 1.0
	s_delay_alu instid0(VALU_DEP_1)
	v_mul_f64 v[236:237], v[212:213], v[238:239]
	v_xor_b32_e32 v239, 0x80000000, v239
.LBB116_112:
	s_and_not1_saveexec_b32 s2, s2
	s_cbranch_execz .LBB116_114
; %bb.113:
	s_delay_alu instid0(VALU_DEP_1) | instskip(SKIP_1) | instid1(VALU_DEP_2)
	v_div_scale_f64 v[212:213], null, v[236:237], v[236:237], v[238:239]
	v_div_scale_f64 v[218:219], vcc_lo, v[238:239], v[236:237], v[238:239]
	v_rcp_f64_e32 v[214:215], v[212:213]
	s_waitcnt_depctr 0xfff
	v_fma_f64 v[216:217], -v[212:213], v[214:215], 1.0
	s_delay_alu instid0(VALU_DEP_1) | instskip(NEXT) | instid1(VALU_DEP_1)
	v_fma_f64 v[214:215], v[214:215], v[216:217], v[214:215]
	v_fma_f64 v[216:217], -v[212:213], v[214:215], 1.0
	s_delay_alu instid0(VALU_DEP_1) | instskip(NEXT) | instid1(VALU_DEP_1)
	v_fma_f64 v[214:215], v[214:215], v[216:217], v[214:215]
	v_mul_f64 v[216:217], v[218:219], v[214:215]
	s_delay_alu instid0(VALU_DEP_1) | instskip(NEXT) | instid1(VALU_DEP_1)
	v_fma_f64 v[212:213], -v[212:213], v[216:217], v[218:219]
	v_div_fmas_f64 v[212:213], v[212:213], v[214:215], v[216:217]
	s_delay_alu instid0(VALU_DEP_1) | instskip(NEXT) | instid1(VALU_DEP_1)
	v_div_fixup_f64 v[212:213], v[212:213], v[236:237], v[238:239]
	v_fma_f64 v[214:215], v[238:239], v[212:213], v[236:237]
	s_delay_alu instid0(VALU_DEP_1) | instskip(NEXT) | instid1(VALU_DEP_1)
	v_div_scale_f64 v[216:217], null, v[214:215], v[214:215], 1.0
	v_rcp_f64_e32 v[218:219], v[216:217]
	s_waitcnt_depctr 0xfff
	v_fma_f64 v[220:221], -v[216:217], v[218:219], 1.0
	s_delay_alu instid0(VALU_DEP_1) | instskip(NEXT) | instid1(VALU_DEP_1)
	v_fma_f64 v[218:219], v[218:219], v[220:221], v[218:219]
	v_fma_f64 v[220:221], -v[216:217], v[218:219], 1.0
	s_delay_alu instid0(VALU_DEP_1) | instskip(SKIP_1) | instid1(VALU_DEP_1)
	v_fma_f64 v[218:219], v[218:219], v[220:221], v[218:219]
	v_div_scale_f64 v[220:221], vcc_lo, 1.0, v[214:215], 1.0
	v_mul_f64 v[222:223], v[220:221], v[218:219]
	s_delay_alu instid0(VALU_DEP_1) | instskip(NEXT) | instid1(VALU_DEP_1)
	v_fma_f64 v[216:217], -v[216:217], v[222:223], v[220:221]
	v_div_fmas_f64 v[216:217], v[216:217], v[218:219], v[222:223]
	s_delay_alu instid0(VALU_DEP_1) | instskip(NEXT) | instid1(VALU_DEP_1)
	v_div_fixup_f64 v[236:237], v[216:217], v[214:215], 1.0
	v_mul_f64 v[238:239], v[212:213], -v[236:237]
.LBB116_114:
	s_or_b32 exec_lo, exec_lo, s2
.LBB116_115:
	s_delay_alu instid0(SALU_CYCLE_1) | instskip(NEXT) | instid1(SALU_CYCLE_1)
	s_or_b32 exec_lo, exec_lo, s3
	s_mov_b32 s2, exec_lo
	v_cmpx_ne_u32_e64 v252, v244
	s_xor_b32 s2, exec_lo, s2
	s_cbranch_execz .LBB116_121
; %bb.116:
	s_mov_b32 s3, exec_lo
	v_cmpx_eq_u32_e32 5, v252
	s_cbranch_execz .LBB116_120
; %bb.117:
	v_cmp_ne_u32_e32 vcc_lo, 5, v244
	s_xor_b32 s4, s5, -1
	s_delay_alu instid0(SALU_CYCLE_1) | instskip(NEXT) | instid1(SALU_CYCLE_1)
	s_and_b32 s6, s4, vcc_lo
	s_and_saveexec_b32 s4, s6
	s_cbranch_execz .LBB116_119
; %bb.118:
	scratch_load_b64 v[208:209], off, off offset:16 ; 8-byte Folded Reload
	v_ashrrev_i32_e32 v245, 31, v244
	s_delay_alu instid0(VALU_DEP_1) | instskip(SKIP_1) | instid1(VALU_DEP_1)
	v_lshlrev_b64 v[212:213], 2, v[244:245]
	s_waitcnt vmcnt(0)
	v_add_co_u32 v212, vcc_lo, v208, v212
	s_delay_alu instid0(VALU_DEP_2)
	v_add_co_ci_u32_e32 v213, vcc_lo, v209, v213, vcc_lo
	s_clause 0x1
	flat_load_b32 v214, v[212:213]
	flat_load_b32 v215, v[208:209] offset:20
	s_waitcnt vmcnt(1) lgkmcnt(1)
	flat_store_b32 v[208:209], v214 offset:20
	s_waitcnt vmcnt(0) lgkmcnt(1)
	flat_store_b32 v[212:213], v215
.LBB116_119:
	s_or_b32 exec_lo, exec_lo, s4
	v_mov_b32_e32 v252, v244
	v_mov_b32_e32 v251, v244
.LBB116_120:
	s_or_b32 exec_lo, exec_lo, s3
.LBB116_121:
	s_and_not1_saveexec_b32 s2, s2
	s_cbranch_execz .LBB116_123
; %bb.122:
	scratch_load_b128 v[208:211], off, off  ; 16-byte Folded Reload
	v_mov_b32_e32 v252, 5
	s_waitcnt vmcnt(0)
	ds_store_2addr_b64 v246, v[208:209], v[210:211] offset0:12 offset1:13
	ds_store_2addr_b64 v246, v[204:205], v[206:207] offset0:14 offset1:15
	;; [unrolled: 1-line block ×53, first 2 shown]
.LBB116_123:
	s_or_b32 exec_lo, exec_lo, s2
	s_delay_alu instid0(SALU_CYCLE_1)
	s_mov_b32 s2, exec_lo
	s_waitcnt lgkmcnt(0)
	s_waitcnt_vscnt null, 0x0
	s_barrier
	buffer_gl0_inv
	v_cmpx_lt_i32_e32 5, v252
	s_cbranch_execz .LBB116_125
; %bb.124:
	scratch_load_b128 v[208:211], off, off  ; 16-byte Folded Reload
	v_mul_f64 v[212:213], v[238:239], v[10:11]
	s_delay_alu instid0(VALU_DEP_1) | instskip(SKIP_1) | instid1(VALU_DEP_1)
	v_fma_f64 v[244:245], v[236:237], v[8:9], -v[212:213]
	v_mul_f64 v[212:213], v[236:237], v[10:11]
	v_fma_f64 v[10:11], v[238:239], v[8:9], v[212:213]
	ds_load_2addr_b64 v[236:239], v246 offset0:12 offset1:13
	v_dual_mov_b32 v8, v244 :: v_dual_mov_b32 v9, v245
	s_waitcnt lgkmcnt(0)
	v_mul_f64 v[212:213], v[238:239], v[10:11]
	v_mul_f64 v[214:215], v[236:237], v[10:11]
	s_delay_alu instid0(VALU_DEP_2) | instskip(NEXT) | instid1(VALU_DEP_2)
	v_fma_f64 v[212:213], v[236:237], v[244:245], -v[212:213]
	v_fma_f64 v[214:215], v[238:239], v[244:245], v[214:215]
	ds_load_2addr_b64 v[236:239], v246 offset0:14 offset1:15
	s_waitcnt vmcnt(0)
	v_add_f64 v[208:209], v[208:209], -v[212:213]
	v_add_f64 v[210:211], v[210:211], -v[214:215]
	s_waitcnt lgkmcnt(0)
	v_mul_f64 v[212:213], v[238:239], v[10:11]
	v_mul_f64 v[214:215], v[236:237], v[10:11]
	scratch_store_b128 off, v[208:211], off ; 16-byte Folded Spill
	v_fma_f64 v[212:213], v[236:237], v[244:245], -v[212:213]
	v_fma_f64 v[214:215], v[238:239], v[244:245], v[214:215]
	ds_load_2addr_b64 v[236:239], v246 offset0:16 offset1:17
	v_add_f64 v[204:205], v[204:205], -v[212:213]
	v_add_f64 v[206:207], v[206:207], -v[214:215]
	s_waitcnt lgkmcnt(0)
	v_mul_f64 v[212:213], v[238:239], v[10:11]
	v_mul_f64 v[214:215], v[236:237], v[10:11]
	s_delay_alu instid0(VALU_DEP_2) | instskip(NEXT) | instid1(VALU_DEP_2)
	v_fma_f64 v[212:213], v[236:237], v[244:245], -v[212:213]
	v_fma_f64 v[214:215], v[238:239], v[244:245], v[214:215]
	ds_load_2addr_b64 v[236:239], v246 offset0:18 offset1:19
	v_add_f64 v[200:201], v[200:201], -v[212:213]
	v_add_f64 v[202:203], v[202:203], -v[214:215]
	s_waitcnt lgkmcnt(0)
	v_mul_f64 v[212:213], v[238:239], v[10:11]
	v_mul_f64 v[214:215], v[236:237], v[10:11]
	s_delay_alu instid0(VALU_DEP_2) | instskip(NEXT) | instid1(VALU_DEP_2)
	;; [unrolled: 9-line block ×51, first 2 shown]
	v_fma_f64 v[212:213], v[236:237], v[244:245], -v[212:213]
	v_fma_f64 v[214:215], v[238:239], v[244:245], v[214:215]
	s_delay_alu instid0(VALU_DEP_2) | instskip(NEXT) | instid1(VALU_DEP_2)
	v_add_f64 v[224:225], v[224:225], -v[212:213]
	v_add_f64 v[226:227], v[226:227], -v[214:215]
.LBB116_125:
	s_or_b32 exec_lo, exec_lo, s2
	s_waitcnt_vscnt null, 0x0
	s_barrier
	buffer_gl0_inv
	scratch_load_b128 v[208:211], off, off  ; 16-byte Folded Reload
	v_lshl_add_u32 v212, v252, 4, v246
	v_mov_b32_e32 v244, 6
	s_cmp_lt_i32 s12, 8
	s_waitcnt vmcnt(0)
	ds_store_2addr_b64 v212, v[208:209], v[210:211] offset1:1
	s_waitcnt lgkmcnt(0)
	s_barrier
	buffer_gl0_inv
	ds_load_2addr_b64 v[236:239], v246 offset0:12 offset1:13
	s_cbranch_scc1 .LBB116_128
; %bb.126:
	v_add3_u32 v245, v234, 0, 0x70
	v_mov_b32_e32 v244, 6
	s_mov_b32 s6, 7
	s_set_inst_prefetch_distance 0x1
	.p2align	6
.LBB116_127:                            ; =>This Inner Loop Header: Depth=1
	ds_load_2addr_b64 v[240:243], v245 offset1:1
	s_waitcnt lgkmcnt(1)
	v_cmp_gt_f64_e32 vcc_lo, 0, v[236:237]
	v_cmp_gt_f64_e64 s2, 0, v[238:239]
	v_xor_b32_e32 v213, 0x80000000, v237
	v_xor_b32_e32 v215, 0x80000000, v239
	v_add_nc_u32_e32 v245, 16, v245
	s_waitcnt lgkmcnt(0)
	v_cmp_gt_f64_e64 s3, 0, v[240:241]
	v_cmp_gt_f64_e64 s4, 0, v[242:243]
	v_xor_b32_e32 v219, 0x80000000, v241
	v_xor_b32_e32 v220, 0x80000000, v243
	v_mov_b32_e32 v214, v242
	v_mov_b32_e32 v212, v240
	v_cndmask_b32_e32 v216, v237, v213, vcc_lo
	v_cndmask_b32_e64 v218, v239, v215, s2
	v_cndmask_b32_e32 v215, v236, v236, vcc_lo
	v_cndmask_b32_e64 v217, v238, v238, s2
	s_delay_alu instid0(VALU_DEP_1) | instskip(SKIP_2) | instid1(VALU_DEP_1)
	v_add_f64 v[216:217], v[215:216], v[217:218]
	v_cndmask_b32_e64 v213, v241, v219, s3
	v_cndmask_b32_e64 v215, v243, v220, s4
	v_add_f64 v[212:213], v[212:213], v[214:215]
	s_delay_alu instid0(VALU_DEP_1)
	v_cmp_lt_f64_e32 vcc_lo, v[216:217], v[212:213]
	v_cndmask_b32_e32 v239, v239, v243, vcc_lo
	v_dual_cndmask_b32 v237, v237, v241 :: v_dual_cndmask_b32 v236, v236, v240
	v_cndmask_b32_e32 v238, v238, v242, vcc_lo
	v_cndmask_b32_e64 v244, v244, s6, vcc_lo
	s_add_i32 s6, s6, 1
	s_delay_alu instid0(SALU_CYCLE_1)
	s_cmp_lg_u32 s12, s6
	s_cbranch_scc1 .LBB116_127
.LBB116_128:
	s_set_inst_prefetch_distance 0x2
	s_waitcnt lgkmcnt(0)
	v_cmp_eq_f64_e32 vcc_lo, 0, v[236:237]
	v_cmp_eq_f64_e64 s2, 0, v[238:239]
	s_delay_alu instid0(VALU_DEP_1) | instskip(NEXT) | instid1(SALU_CYCLE_1)
	s_and_b32 s2, vcc_lo, s2
	s_and_saveexec_b32 s3, s2
	s_delay_alu instid0(SALU_CYCLE_1)
	s_xor_b32 s2, exec_lo, s3
; %bb.129:
	v_cmp_ne_u32_e32 vcc_lo, 0, v249
	v_cndmask_b32_e32 v249, 7, v249, vcc_lo
; %bb.130:
	s_and_not1_saveexec_b32 s3, s2
	s_cbranch_execz .LBB116_136
; %bb.131:
	v_cmp_gt_f64_e32 vcc_lo, 0, v[236:237]
	v_cmp_gt_f64_e64 s2, 0, v[238:239]
	v_xor_b32_e32 v212, 0x80000000, v237
	v_xor_b32_e32 v214, 0x80000000, v239
	s_delay_alu instid0(VALU_DEP_2) | instskip(NEXT) | instid1(VALU_DEP_2)
	v_cndmask_b32_e32 v213, v237, v212, vcc_lo
	v_cndmask_b32_e64 v215, v239, v214, s2
	v_cndmask_b32_e32 v212, v236, v236, vcc_lo
	v_cndmask_b32_e64 v214, v238, v238, s2
	s_mov_b32 s2, exec_lo
	s_delay_alu instid0(VALU_DEP_1)
	v_cmpx_ngt_f64_e32 v[212:213], v[214:215]
	s_xor_b32 s2, exec_lo, s2
	s_cbranch_execz .LBB116_133
; %bb.132:
	v_div_scale_f64 v[212:213], null, v[238:239], v[238:239], v[236:237]
	v_div_scale_f64 v[218:219], vcc_lo, v[236:237], v[238:239], v[236:237]
	s_delay_alu instid0(VALU_DEP_2) | instskip(SKIP_2) | instid1(VALU_DEP_1)
	v_rcp_f64_e32 v[214:215], v[212:213]
	s_waitcnt_depctr 0xfff
	v_fma_f64 v[216:217], -v[212:213], v[214:215], 1.0
	v_fma_f64 v[214:215], v[214:215], v[216:217], v[214:215]
	s_delay_alu instid0(VALU_DEP_1) | instskip(NEXT) | instid1(VALU_DEP_1)
	v_fma_f64 v[216:217], -v[212:213], v[214:215], 1.0
	v_fma_f64 v[214:215], v[214:215], v[216:217], v[214:215]
	s_delay_alu instid0(VALU_DEP_1) | instskip(NEXT) | instid1(VALU_DEP_1)
	v_mul_f64 v[216:217], v[218:219], v[214:215]
	v_fma_f64 v[212:213], -v[212:213], v[216:217], v[218:219]
	s_delay_alu instid0(VALU_DEP_1) | instskip(NEXT) | instid1(VALU_DEP_1)
	v_div_fmas_f64 v[212:213], v[212:213], v[214:215], v[216:217]
	v_div_fixup_f64 v[212:213], v[212:213], v[238:239], v[236:237]
	s_delay_alu instid0(VALU_DEP_1) | instskip(NEXT) | instid1(VALU_DEP_1)
	v_fma_f64 v[214:215], v[236:237], v[212:213], v[238:239]
	v_div_scale_f64 v[216:217], null, v[214:215], v[214:215], 1.0
	s_delay_alu instid0(VALU_DEP_1) | instskip(SKIP_2) | instid1(VALU_DEP_1)
	v_rcp_f64_e32 v[218:219], v[216:217]
	s_waitcnt_depctr 0xfff
	v_fma_f64 v[220:221], -v[216:217], v[218:219], 1.0
	v_fma_f64 v[218:219], v[218:219], v[220:221], v[218:219]
	s_delay_alu instid0(VALU_DEP_1) | instskip(NEXT) | instid1(VALU_DEP_1)
	v_fma_f64 v[220:221], -v[216:217], v[218:219], 1.0
	v_fma_f64 v[218:219], v[218:219], v[220:221], v[218:219]
	v_div_scale_f64 v[220:221], vcc_lo, 1.0, v[214:215], 1.0
	s_delay_alu instid0(VALU_DEP_1) | instskip(NEXT) | instid1(VALU_DEP_1)
	v_mul_f64 v[222:223], v[220:221], v[218:219]
	v_fma_f64 v[216:217], -v[216:217], v[222:223], v[220:221]
	s_delay_alu instid0(VALU_DEP_1) | instskip(NEXT) | instid1(VALU_DEP_1)
	v_div_fmas_f64 v[216:217], v[216:217], v[218:219], v[222:223]
	v_div_fixup_f64 v[238:239], v[216:217], v[214:215], 1.0
	s_delay_alu instid0(VALU_DEP_1)
	v_mul_f64 v[236:237], v[212:213], v[238:239]
	v_xor_b32_e32 v239, 0x80000000, v239
.LBB116_133:
	s_and_not1_saveexec_b32 s2, s2
	s_cbranch_execz .LBB116_135
; %bb.134:
	s_delay_alu instid0(VALU_DEP_1) | instskip(SKIP_1) | instid1(VALU_DEP_2)
	v_div_scale_f64 v[212:213], null, v[236:237], v[236:237], v[238:239]
	v_div_scale_f64 v[218:219], vcc_lo, v[238:239], v[236:237], v[238:239]
	v_rcp_f64_e32 v[214:215], v[212:213]
	s_waitcnt_depctr 0xfff
	v_fma_f64 v[216:217], -v[212:213], v[214:215], 1.0
	s_delay_alu instid0(VALU_DEP_1) | instskip(NEXT) | instid1(VALU_DEP_1)
	v_fma_f64 v[214:215], v[214:215], v[216:217], v[214:215]
	v_fma_f64 v[216:217], -v[212:213], v[214:215], 1.0
	s_delay_alu instid0(VALU_DEP_1) | instskip(NEXT) | instid1(VALU_DEP_1)
	v_fma_f64 v[214:215], v[214:215], v[216:217], v[214:215]
	v_mul_f64 v[216:217], v[218:219], v[214:215]
	s_delay_alu instid0(VALU_DEP_1) | instskip(NEXT) | instid1(VALU_DEP_1)
	v_fma_f64 v[212:213], -v[212:213], v[216:217], v[218:219]
	v_div_fmas_f64 v[212:213], v[212:213], v[214:215], v[216:217]
	s_delay_alu instid0(VALU_DEP_1) | instskip(NEXT) | instid1(VALU_DEP_1)
	v_div_fixup_f64 v[212:213], v[212:213], v[236:237], v[238:239]
	v_fma_f64 v[214:215], v[238:239], v[212:213], v[236:237]
	s_delay_alu instid0(VALU_DEP_1) | instskip(NEXT) | instid1(VALU_DEP_1)
	v_div_scale_f64 v[216:217], null, v[214:215], v[214:215], 1.0
	v_rcp_f64_e32 v[218:219], v[216:217]
	s_waitcnt_depctr 0xfff
	v_fma_f64 v[220:221], -v[216:217], v[218:219], 1.0
	s_delay_alu instid0(VALU_DEP_1) | instskip(NEXT) | instid1(VALU_DEP_1)
	v_fma_f64 v[218:219], v[218:219], v[220:221], v[218:219]
	v_fma_f64 v[220:221], -v[216:217], v[218:219], 1.0
	s_delay_alu instid0(VALU_DEP_1) | instskip(SKIP_1) | instid1(VALU_DEP_1)
	v_fma_f64 v[218:219], v[218:219], v[220:221], v[218:219]
	v_div_scale_f64 v[220:221], vcc_lo, 1.0, v[214:215], 1.0
	v_mul_f64 v[222:223], v[220:221], v[218:219]
	s_delay_alu instid0(VALU_DEP_1) | instskip(NEXT) | instid1(VALU_DEP_1)
	v_fma_f64 v[216:217], -v[216:217], v[222:223], v[220:221]
	v_div_fmas_f64 v[216:217], v[216:217], v[218:219], v[222:223]
	s_delay_alu instid0(VALU_DEP_1) | instskip(NEXT) | instid1(VALU_DEP_1)
	v_div_fixup_f64 v[236:237], v[216:217], v[214:215], 1.0
	v_mul_f64 v[238:239], v[212:213], -v[236:237]
.LBB116_135:
	s_or_b32 exec_lo, exec_lo, s2
.LBB116_136:
	s_delay_alu instid0(SALU_CYCLE_1) | instskip(NEXT) | instid1(SALU_CYCLE_1)
	s_or_b32 exec_lo, exec_lo, s3
	s_mov_b32 s2, exec_lo
	v_cmpx_ne_u32_e64 v252, v244
	s_xor_b32 s2, exec_lo, s2
	s_cbranch_execz .LBB116_142
; %bb.137:
	s_mov_b32 s3, exec_lo
	v_cmpx_eq_u32_e32 6, v252
	s_cbranch_execz .LBB116_141
; %bb.138:
	v_cmp_ne_u32_e32 vcc_lo, 6, v244
	s_xor_b32 s4, s5, -1
	s_delay_alu instid0(SALU_CYCLE_1) | instskip(NEXT) | instid1(SALU_CYCLE_1)
	s_and_b32 s6, s4, vcc_lo
	s_and_saveexec_b32 s4, s6
	s_cbranch_execz .LBB116_140
; %bb.139:
	scratch_load_b64 v[208:209], off, off offset:16 ; 8-byte Folded Reload
	v_ashrrev_i32_e32 v245, 31, v244
	s_delay_alu instid0(VALU_DEP_1) | instskip(SKIP_1) | instid1(VALU_DEP_1)
	v_lshlrev_b64 v[212:213], 2, v[244:245]
	s_waitcnt vmcnt(0)
	v_add_co_u32 v212, vcc_lo, v208, v212
	s_delay_alu instid0(VALU_DEP_2)
	v_add_co_ci_u32_e32 v213, vcc_lo, v209, v213, vcc_lo
	s_clause 0x1
	flat_load_b32 v214, v[212:213]
	flat_load_b32 v215, v[208:209] offset:24
	s_waitcnt vmcnt(1) lgkmcnt(1)
	flat_store_b32 v[208:209], v214 offset:24
	s_waitcnt vmcnt(0) lgkmcnt(1)
	flat_store_b32 v[212:213], v215
.LBB116_140:
	s_or_b32 exec_lo, exec_lo, s4
	v_mov_b32_e32 v252, v244
	v_mov_b32_e32 v251, v244
.LBB116_141:
	s_or_b32 exec_lo, exec_lo, s3
.LBB116_142:
	s_and_not1_saveexec_b32 s2, s2
	s_cbranch_execz .LBB116_144
; %bb.143:
	v_mov_b32_e32 v252, 6
	ds_store_2addr_b64 v246, v[204:205], v[206:207] offset0:14 offset1:15
	ds_store_2addr_b64 v246, v[200:201], v[202:203] offset0:16 offset1:17
	;; [unrolled: 1-line block ×52, first 2 shown]
.LBB116_144:
	s_or_b32 exec_lo, exec_lo, s2
	s_delay_alu instid0(SALU_CYCLE_1)
	s_mov_b32 s2, exec_lo
	s_waitcnt lgkmcnt(0)
	s_waitcnt_vscnt null, 0x0
	s_barrier
	buffer_gl0_inv
	v_cmpx_lt_i32_e32 6, v252
	s_cbranch_execz .LBB116_146
; %bb.145:
	scratch_load_b128 v[208:211], off, off  ; 16-byte Folded Reload
	s_waitcnt vmcnt(0)
	v_mul_f64 v[212:213], v[238:239], v[210:211]
	v_mul_f64 v[210:211], v[236:237], v[210:211]
	s_delay_alu instid0(VALU_DEP_2) | instskip(NEXT) | instid1(VALU_DEP_2)
	v_fma_f64 v[244:245], v[236:237], v[208:209], -v[212:213]
	v_fma_f64 v[210:211], v[238:239], v[208:209], v[210:211]
	ds_load_2addr_b64 v[236:239], v246 offset0:14 offset1:15
	s_waitcnt lgkmcnt(0)
	v_mul_f64 v[208:209], v[238:239], v[210:211]
	v_mul_f64 v[212:213], v[236:237], v[210:211]
	s_delay_alu instid0(VALU_DEP_2) | instskip(NEXT) | instid1(VALU_DEP_2)
	v_fma_f64 v[208:209], v[236:237], v[244:245], -v[208:209]
	v_fma_f64 v[212:213], v[238:239], v[244:245], v[212:213]
	ds_load_2addr_b64 v[236:239], v246 offset0:16 offset1:17
	v_add_f64 v[204:205], v[204:205], -v[208:209]
	v_add_f64 v[206:207], v[206:207], -v[212:213]
	s_waitcnt lgkmcnt(0)
	v_mul_f64 v[208:209], v[238:239], v[210:211]
	v_mul_f64 v[212:213], v[236:237], v[210:211]
	s_delay_alu instid0(VALU_DEP_2) | instskip(NEXT) | instid1(VALU_DEP_2)
	v_fma_f64 v[208:209], v[236:237], v[244:245], -v[208:209]
	v_fma_f64 v[212:213], v[238:239], v[244:245], v[212:213]
	ds_load_2addr_b64 v[236:239], v246 offset0:18 offset1:19
	v_add_f64 v[200:201], v[200:201], -v[208:209]
	v_add_f64 v[202:203], v[202:203], -v[212:213]
	;; [unrolled: 9-line block ×51, first 2 shown]
	s_waitcnt lgkmcnt(0)
	v_mul_f64 v[208:209], v[238:239], v[210:211]
	v_mul_f64 v[212:213], v[236:237], v[210:211]
	s_delay_alu instid0(VALU_DEP_2) | instskip(NEXT) | instid1(VALU_DEP_2)
	v_fma_f64 v[208:209], v[236:237], v[244:245], -v[208:209]
	v_fma_f64 v[212:213], v[238:239], v[244:245], v[212:213]
	s_delay_alu instid0(VALU_DEP_2) | instskip(NEXT) | instid1(VALU_DEP_2)
	v_add_f64 v[224:225], v[224:225], -v[208:209]
	v_add_f64 v[226:227], v[226:227], -v[212:213]
	v_dual_mov_b32 v208, v244 :: v_dual_mov_b32 v209, v245
	scratch_store_b128 off, v[208:211], off ; 16-byte Folded Spill
.LBB116_146:
	s_or_b32 exec_lo, exec_lo, s2
	v_lshl_add_u32 v212, v252, 4, v246
	s_waitcnt_vscnt null, 0x0
	s_barrier
	buffer_gl0_inv
	v_mov_b32_e32 v244, 7
	ds_store_2addr_b64 v212, v[204:205], v[206:207] offset1:1
	s_waitcnt lgkmcnt(0)
	s_barrier
	buffer_gl0_inv
	ds_load_2addr_b64 v[236:239], v246 offset0:14 offset1:15
	s_cmp_lt_i32 s12, 9
	s_cbranch_scc1 .LBB116_149
; %bb.147:
	v_add3_u32 v245, v234, 0, 0x80
	v_mov_b32_e32 v244, 7
	s_mov_b32 s6, 8
	s_set_inst_prefetch_distance 0x1
	.p2align	6
.LBB116_148:                            ; =>This Inner Loop Header: Depth=1
	ds_load_2addr_b64 v[240:243], v245 offset1:1
	s_waitcnt lgkmcnt(1)
	v_cmp_gt_f64_e32 vcc_lo, 0, v[236:237]
	v_cmp_gt_f64_e64 s2, 0, v[238:239]
	v_xor_b32_e32 v213, 0x80000000, v237
	v_xor_b32_e32 v215, 0x80000000, v239
	v_add_nc_u32_e32 v245, 16, v245
	s_waitcnt lgkmcnt(0)
	v_cmp_gt_f64_e64 s3, 0, v[240:241]
	v_cmp_gt_f64_e64 s4, 0, v[242:243]
	v_xor_b32_e32 v219, 0x80000000, v241
	v_xor_b32_e32 v220, 0x80000000, v243
	v_mov_b32_e32 v214, v242
	v_mov_b32_e32 v212, v240
	v_cndmask_b32_e32 v216, v237, v213, vcc_lo
	v_cndmask_b32_e64 v218, v239, v215, s2
	v_cndmask_b32_e32 v215, v236, v236, vcc_lo
	v_cndmask_b32_e64 v217, v238, v238, s2
	s_delay_alu instid0(VALU_DEP_1) | instskip(SKIP_2) | instid1(VALU_DEP_1)
	v_add_f64 v[216:217], v[215:216], v[217:218]
	v_cndmask_b32_e64 v213, v241, v219, s3
	v_cndmask_b32_e64 v215, v243, v220, s4
	v_add_f64 v[212:213], v[212:213], v[214:215]
	s_delay_alu instid0(VALU_DEP_1)
	v_cmp_lt_f64_e32 vcc_lo, v[216:217], v[212:213]
	v_cndmask_b32_e32 v239, v239, v243, vcc_lo
	v_dual_cndmask_b32 v237, v237, v241 :: v_dual_cndmask_b32 v236, v236, v240
	v_cndmask_b32_e32 v238, v238, v242, vcc_lo
	v_cndmask_b32_e64 v244, v244, s6, vcc_lo
	s_add_i32 s6, s6, 1
	s_delay_alu instid0(SALU_CYCLE_1)
	s_cmp_lg_u32 s12, s6
	s_cbranch_scc1 .LBB116_148
.LBB116_149:
	s_set_inst_prefetch_distance 0x2
	s_waitcnt lgkmcnt(0)
	v_cmp_eq_f64_e32 vcc_lo, 0, v[236:237]
	v_cmp_eq_f64_e64 s2, 0, v[238:239]
	s_delay_alu instid0(VALU_DEP_1) | instskip(NEXT) | instid1(SALU_CYCLE_1)
	s_and_b32 s2, vcc_lo, s2
	s_and_saveexec_b32 s3, s2
	s_delay_alu instid0(SALU_CYCLE_1)
	s_xor_b32 s2, exec_lo, s3
; %bb.150:
	v_cmp_ne_u32_e32 vcc_lo, 0, v249
	v_cndmask_b32_e32 v249, 8, v249, vcc_lo
; %bb.151:
	s_and_not1_saveexec_b32 s3, s2
	s_cbranch_execz .LBB116_157
; %bb.152:
	v_cmp_gt_f64_e32 vcc_lo, 0, v[236:237]
	v_cmp_gt_f64_e64 s2, 0, v[238:239]
	v_xor_b32_e32 v212, 0x80000000, v237
	v_xor_b32_e32 v214, 0x80000000, v239
	s_delay_alu instid0(VALU_DEP_2) | instskip(NEXT) | instid1(VALU_DEP_2)
	v_cndmask_b32_e32 v213, v237, v212, vcc_lo
	v_cndmask_b32_e64 v215, v239, v214, s2
	v_cndmask_b32_e32 v212, v236, v236, vcc_lo
	v_cndmask_b32_e64 v214, v238, v238, s2
	s_mov_b32 s2, exec_lo
	s_delay_alu instid0(VALU_DEP_1)
	v_cmpx_ngt_f64_e32 v[212:213], v[214:215]
	s_xor_b32 s2, exec_lo, s2
	s_cbranch_execz .LBB116_154
; %bb.153:
	v_div_scale_f64 v[212:213], null, v[238:239], v[238:239], v[236:237]
	v_div_scale_f64 v[218:219], vcc_lo, v[236:237], v[238:239], v[236:237]
	s_delay_alu instid0(VALU_DEP_2) | instskip(SKIP_2) | instid1(VALU_DEP_1)
	v_rcp_f64_e32 v[214:215], v[212:213]
	s_waitcnt_depctr 0xfff
	v_fma_f64 v[216:217], -v[212:213], v[214:215], 1.0
	v_fma_f64 v[214:215], v[214:215], v[216:217], v[214:215]
	s_delay_alu instid0(VALU_DEP_1) | instskip(NEXT) | instid1(VALU_DEP_1)
	v_fma_f64 v[216:217], -v[212:213], v[214:215], 1.0
	v_fma_f64 v[214:215], v[214:215], v[216:217], v[214:215]
	s_delay_alu instid0(VALU_DEP_1) | instskip(NEXT) | instid1(VALU_DEP_1)
	v_mul_f64 v[216:217], v[218:219], v[214:215]
	v_fma_f64 v[212:213], -v[212:213], v[216:217], v[218:219]
	s_delay_alu instid0(VALU_DEP_1) | instskip(NEXT) | instid1(VALU_DEP_1)
	v_div_fmas_f64 v[212:213], v[212:213], v[214:215], v[216:217]
	v_div_fixup_f64 v[212:213], v[212:213], v[238:239], v[236:237]
	s_delay_alu instid0(VALU_DEP_1) | instskip(NEXT) | instid1(VALU_DEP_1)
	v_fma_f64 v[214:215], v[236:237], v[212:213], v[238:239]
	v_div_scale_f64 v[216:217], null, v[214:215], v[214:215], 1.0
	s_delay_alu instid0(VALU_DEP_1) | instskip(SKIP_2) | instid1(VALU_DEP_1)
	v_rcp_f64_e32 v[218:219], v[216:217]
	s_waitcnt_depctr 0xfff
	v_fma_f64 v[220:221], -v[216:217], v[218:219], 1.0
	v_fma_f64 v[218:219], v[218:219], v[220:221], v[218:219]
	s_delay_alu instid0(VALU_DEP_1) | instskip(NEXT) | instid1(VALU_DEP_1)
	v_fma_f64 v[220:221], -v[216:217], v[218:219], 1.0
	v_fma_f64 v[218:219], v[218:219], v[220:221], v[218:219]
	v_div_scale_f64 v[220:221], vcc_lo, 1.0, v[214:215], 1.0
	s_delay_alu instid0(VALU_DEP_1) | instskip(NEXT) | instid1(VALU_DEP_1)
	v_mul_f64 v[222:223], v[220:221], v[218:219]
	v_fma_f64 v[216:217], -v[216:217], v[222:223], v[220:221]
	s_delay_alu instid0(VALU_DEP_1) | instskip(NEXT) | instid1(VALU_DEP_1)
	v_div_fmas_f64 v[216:217], v[216:217], v[218:219], v[222:223]
	v_div_fixup_f64 v[238:239], v[216:217], v[214:215], 1.0
	s_delay_alu instid0(VALU_DEP_1)
	v_mul_f64 v[236:237], v[212:213], v[238:239]
	v_xor_b32_e32 v239, 0x80000000, v239
.LBB116_154:
	s_and_not1_saveexec_b32 s2, s2
	s_cbranch_execz .LBB116_156
; %bb.155:
	s_delay_alu instid0(VALU_DEP_1) | instskip(SKIP_1) | instid1(VALU_DEP_2)
	v_div_scale_f64 v[212:213], null, v[236:237], v[236:237], v[238:239]
	v_div_scale_f64 v[218:219], vcc_lo, v[238:239], v[236:237], v[238:239]
	v_rcp_f64_e32 v[214:215], v[212:213]
	s_waitcnt_depctr 0xfff
	v_fma_f64 v[216:217], -v[212:213], v[214:215], 1.0
	s_delay_alu instid0(VALU_DEP_1) | instskip(NEXT) | instid1(VALU_DEP_1)
	v_fma_f64 v[214:215], v[214:215], v[216:217], v[214:215]
	v_fma_f64 v[216:217], -v[212:213], v[214:215], 1.0
	s_delay_alu instid0(VALU_DEP_1) | instskip(NEXT) | instid1(VALU_DEP_1)
	v_fma_f64 v[214:215], v[214:215], v[216:217], v[214:215]
	v_mul_f64 v[216:217], v[218:219], v[214:215]
	s_delay_alu instid0(VALU_DEP_1) | instskip(NEXT) | instid1(VALU_DEP_1)
	v_fma_f64 v[212:213], -v[212:213], v[216:217], v[218:219]
	v_div_fmas_f64 v[212:213], v[212:213], v[214:215], v[216:217]
	s_delay_alu instid0(VALU_DEP_1) | instskip(NEXT) | instid1(VALU_DEP_1)
	v_div_fixup_f64 v[212:213], v[212:213], v[236:237], v[238:239]
	v_fma_f64 v[214:215], v[238:239], v[212:213], v[236:237]
	s_delay_alu instid0(VALU_DEP_1) | instskip(NEXT) | instid1(VALU_DEP_1)
	v_div_scale_f64 v[216:217], null, v[214:215], v[214:215], 1.0
	v_rcp_f64_e32 v[218:219], v[216:217]
	s_waitcnt_depctr 0xfff
	v_fma_f64 v[220:221], -v[216:217], v[218:219], 1.0
	s_delay_alu instid0(VALU_DEP_1) | instskip(NEXT) | instid1(VALU_DEP_1)
	v_fma_f64 v[218:219], v[218:219], v[220:221], v[218:219]
	v_fma_f64 v[220:221], -v[216:217], v[218:219], 1.0
	s_delay_alu instid0(VALU_DEP_1) | instskip(SKIP_1) | instid1(VALU_DEP_1)
	v_fma_f64 v[218:219], v[218:219], v[220:221], v[218:219]
	v_div_scale_f64 v[220:221], vcc_lo, 1.0, v[214:215], 1.0
	v_mul_f64 v[222:223], v[220:221], v[218:219]
	s_delay_alu instid0(VALU_DEP_1) | instskip(NEXT) | instid1(VALU_DEP_1)
	v_fma_f64 v[216:217], -v[216:217], v[222:223], v[220:221]
	v_div_fmas_f64 v[216:217], v[216:217], v[218:219], v[222:223]
	s_delay_alu instid0(VALU_DEP_1) | instskip(NEXT) | instid1(VALU_DEP_1)
	v_div_fixup_f64 v[236:237], v[216:217], v[214:215], 1.0
	v_mul_f64 v[238:239], v[212:213], -v[236:237]
.LBB116_156:
	s_or_b32 exec_lo, exec_lo, s2
.LBB116_157:
	s_delay_alu instid0(SALU_CYCLE_1) | instskip(NEXT) | instid1(SALU_CYCLE_1)
	s_or_b32 exec_lo, exec_lo, s3
	s_mov_b32 s2, exec_lo
	v_cmpx_ne_u32_e64 v252, v244
	s_xor_b32 s2, exec_lo, s2
	s_cbranch_execz .LBB116_163
; %bb.158:
	s_mov_b32 s3, exec_lo
	v_cmpx_eq_u32_e32 7, v252
	s_cbranch_execz .LBB116_162
; %bb.159:
	v_cmp_ne_u32_e32 vcc_lo, 7, v244
	s_xor_b32 s4, s5, -1
	s_delay_alu instid0(SALU_CYCLE_1) | instskip(NEXT) | instid1(SALU_CYCLE_1)
	s_and_b32 s6, s4, vcc_lo
	s_and_saveexec_b32 s4, s6
	s_cbranch_execz .LBB116_161
; %bb.160:
	scratch_load_b64 v[208:209], off, off offset:16 ; 8-byte Folded Reload
	v_ashrrev_i32_e32 v245, 31, v244
	s_delay_alu instid0(VALU_DEP_1) | instskip(SKIP_1) | instid1(VALU_DEP_1)
	v_lshlrev_b64 v[212:213], 2, v[244:245]
	s_waitcnt vmcnt(0)
	v_add_co_u32 v212, vcc_lo, v208, v212
	s_delay_alu instid0(VALU_DEP_2)
	v_add_co_ci_u32_e32 v213, vcc_lo, v209, v213, vcc_lo
	s_clause 0x1
	flat_load_b32 v214, v[212:213]
	flat_load_b32 v215, v[208:209] offset:28
	s_waitcnt vmcnt(1) lgkmcnt(1)
	flat_store_b32 v[208:209], v214 offset:28
	s_waitcnt vmcnt(0) lgkmcnt(1)
	flat_store_b32 v[212:213], v215
.LBB116_161:
	s_or_b32 exec_lo, exec_lo, s4
	v_mov_b32_e32 v252, v244
	v_mov_b32_e32 v251, v244
.LBB116_162:
	s_or_b32 exec_lo, exec_lo, s3
.LBB116_163:
	s_and_not1_saveexec_b32 s2, s2
	s_cbranch_execz .LBB116_165
; %bb.164:
	v_mov_b32_e32 v252, 7
	ds_store_2addr_b64 v246, v[200:201], v[202:203] offset0:16 offset1:17
	ds_store_2addr_b64 v246, v[196:197], v[198:199] offset0:18 offset1:19
	;; [unrolled: 1-line block ×51, first 2 shown]
.LBB116_165:
	s_or_b32 exec_lo, exec_lo, s2
	s_delay_alu instid0(SALU_CYCLE_1)
	s_mov_b32 s2, exec_lo
	s_waitcnt lgkmcnt(0)
	s_waitcnt_vscnt null, 0x0
	s_barrier
	buffer_gl0_inv
	v_cmpx_lt_i32_e32 7, v252
	s_cbranch_execz .LBB116_167
; %bb.166:
	v_mul_f64 v[212:213], v[238:239], v[206:207]
	v_mul_f64 v[206:207], v[236:237], v[206:207]
	s_delay_alu instid0(VALU_DEP_2) | instskip(NEXT) | instid1(VALU_DEP_2)
	v_fma_f64 v[244:245], v[236:237], v[204:205], -v[212:213]
	v_fma_f64 v[206:207], v[238:239], v[204:205], v[206:207]
	ds_load_2addr_b64 v[236:239], v246 offset0:16 offset1:17
	s_waitcnt lgkmcnt(0)
	v_mul_f64 v[204:205], v[238:239], v[206:207]
	v_mul_f64 v[212:213], v[236:237], v[206:207]
	s_delay_alu instid0(VALU_DEP_2) | instskip(NEXT) | instid1(VALU_DEP_2)
	v_fma_f64 v[204:205], v[236:237], v[244:245], -v[204:205]
	v_fma_f64 v[212:213], v[238:239], v[244:245], v[212:213]
	ds_load_2addr_b64 v[236:239], v246 offset0:18 offset1:19
	v_add_f64 v[200:201], v[200:201], -v[204:205]
	v_add_f64 v[202:203], v[202:203], -v[212:213]
	s_waitcnt lgkmcnt(0)
	v_mul_f64 v[204:205], v[238:239], v[206:207]
	v_mul_f64 v[212:213], v[236:237], v[206:207]
	s_delay_alu instid0(VALU_DEP_2) | instskip(NEXT) | instid1(VALU_DEP_2)
	v_fma_f64 v[204:205], v[236:237], v[244:245], -v[204:205]
	v_fma_f64 v[212:213], v[238:239], v[244:245], v[212:213]
	ds_load_2addr_b64 v[236:239], v246 offset0:20 offset1:21
	v_add_f64 v[196:197], v[196:197], -v[204:205]
	v_add_f64 v[198:199], v[198:199], -v[212:213]
	;; [unrolled: 9-line block ×50, first 2 shown]
	s_waitcnt lgkmcnt(0)
	v_mul_f64 v[204:205], v[238:239], v[206:207]
	v_mul_f64 v[212:213], v[236:237], v[206:207]
	s_delay_alu instid0(VALU_DEP_2) | instskip(NEXT) | instid1(VALU_DEP_2)
	v_fma_f64 v[204:205], v[236:237], v[244:245], -v[204:205]
	v_fma_f64 v[212:213], v[238:239], v[244:245], v[212:213]
	s_delay_alu instid0(VALU_DEP_2) | instskip(NEXT) | instid1(VALU_DEP_2)
	v_add_f64 v[224:225], v[224:225], -v[204:205]
	v_add_f64 v[226:227], v[226:227], -v[212:213]
	v_dual_mov_b32 v204, v244 :: v_dual_mov_b32 v205, v245
.LBB116_167:
	s_or_b32 exec_lo, exec_lo, s2
	v_lshl_add_u32 v212, v252, 4, v246
	s_barrier
	buffer_gl0_inv
	v_mov_b32_e32 v244, 8
	ds_store_2addr_b64 v212, v[200:201], v[202:203] offset1:1
	s_waitcnt lgkmcnt(0)
	s_barrier
	buffer_gl0_inv
	ds_load_2addr_b64 v[236:239], v246 offset0:16 offset1:17
	s_cmp_lt_i32 s12, 10
	s_cbranch_scc1 .LBB116_170
; %bb.168:
	v_add3_u32 v245, v234, 0, 0x90
	v_mov_b32_e32 v244, 8
	s_mov_b32 s6, 9
	s_set_inst_prefetch_distance 0x1
	.p2align	6
.LBB116_169:                            ; =>This Inner Loop Header: Depth=1
	ds_load_2addr_b64 v[240:243], v245 offset1:1
	s_waitcnt lgkmcnt(1)
	v_cmp_gt_f64_e32 vcc_lo, 0, v[236:237]
	v_cmp_gt_f64_e64 s2, 0, v[238:239]
	v_xor_b32_e32 v213, 0x80000000, v237
	v_xor_b32_e32 v215, 0x80000000, v239
	v_add_nc_u32_e32 v245, 16, v245
	s_waitcnt lgkmcnt(0)
	v_cmp_gt_f64_e64 s3, 0, v[240:241]
	v_cmp_gt_f64_e64 s4, 0, v[242:243]
	v_xor_b32_e32 v219, 0x80000000, v241
	v_xor_b32_e32 v220, 0x80000000, v243
	v_mov_b32_e32 v214, v242
	v_mov_b32_e32 v212, v240
	v_cndmask_b32_e32 v216, v237, v213, vcc_lo
	v_cndmask_b32_e64 v218, v239, v215, s2
	v_cndmask_b32_e32 v215, v236, v236, vcc_lo
	v_cndmask_b32_e64 v217, v238, v238, s2
	s_delay_alu instid0(VALU_DEP_1) | instskip(SKIP_2) | instid1(VALU_DEP_1)
	v_add_f64 v[216:217], v[215:216], v[217:218]
	v_cndmask_b32_e64 v213, v241, v219, s3
	v_cndmask_b32_e64 v215, v243, v220, s4
	v_add_f64 v[212:213], v[212:213], v[214:215]
	s_delay_alu instid0(VALU_DEP_1)
	v_cmp_lt_f64_e32 vcc_lo, v[216:217], v[212:213]
	v_cndmask_b32_e32 v239, v239, v243, vcc_lo
	v_dual_cndmask_b32 v237, v237, v241 :: v_dual_cndmask_b32 v236, v236, v240
	v_cndmask_b32_e32 v238, v238, v242, vcc_lo
	v_cndmask_b32_e64 v244, v244, s6, vcc_lo
	s_add_i32 s6, s6, 1
	s_delay_alu instid0(SALU_CYCLE_1)
	s_cmp_lg_u32 s12, s6
	s_cbranch_scc1 .LBB116_169
.LBB116_170:
	s_set_inst_prefetch_distance 0x2
	s_waitcnt lgkmcnt(0)
	v_cmp_eq_f64_e32 vcc_lo, 0, v[236:237]
	v_cmp_eq_f64_e64 s2, 0, v[238:239]
	s_delay_alu instid0(VALU_DEP_1) | instskip(NEXT) | instid1(SALU_CYCLE_1)
	s_and_b32 s2, vcc_lo, s2
	s_and_saveexec_b32 s3, s2
	s_delay_alu instid0(SALU_CYCLE_1)
	s_xor_b32 s2, exec_lo, s3
; %bb.171:
	v_cmp_ne_u32_e32 vcc_lo, 0, v249
	v_cndmask_b32_e32 v249, 9, v249, vcc_lo
; %bb.172:
	s_and_not1_saveexec_b32 s3, s2
	s_cbranch_execz .LBB116_178
; %bb.173:
	v_cmp_gt_f64_e32 vcc_lo, 0, v[236:237]
	v_cmp_gt_f64_e64 s2, 0, v[238:239]
	v_xor_b32_e32 v212, 0x80000000, v237
	v_xor_b32_e32 v214, 0x80000000, v239
	s_delay_alu instid0(VALU_DEP_2) | instskip(NEXT) | instid1(VALU_DEP_2)
	v_cndmask_b32_e32 v213, v237, v212, vcc_lo
	v_cndmask_b32_e64 v215, v239, v214, s2
	v_cndmask_b32_e32 v212, v236, v236, vcc_lo
	v_cndmask_b32_e64 v214, v238, v238, s2
	s_mov_b32 s2, exec_lo
	s_delay_alu instid0(VALU_DEP_1)
	v_cmpx_ngt_f64_e32 v[212:213], v[214:215]
	s_xor_b32 s2, exec_lo, s2
	s_cbranch_execz .LBB116_175
; %bb.174:
	v_div_scale_f64 v[212:213], null, v[238:239], v[238:239], v[236:237]
	v_div_scale_f64 v[218:219], vcc_lo, v[236:237], v[238:239], v[236:237]
	s_delay_alu instid0(VALU_DEP_2) | instskip(SKIP_2) | instid1(VALU_DEP_1)
	v_rcp_f64_e32 v[214:215], v[212:213]
	s_waitcnt_depctr 0xfff
	v_fma_f64 v[216:217], -v[212:213], v[214:215], 1.0
	v_fma_f64 v[214:215], v[214:215], v[216:217], v[214:215]
	s_delay_alu instid0(VALU_DEP_1) | instskip(NEXT) | instid1(VALU_DEP_1)
	v_fma_f64 v[216:217], -v[212:213], v[214:215], 1.0
	v_fma_f64 v[214:215], v[214:215], v[216:217], v[214:215]
	s_delay_alu instid0(VALU_DEP_1) | instskip(NEXT) | instid1(VALU_DEP_1)
	v_mul_f64 v[216:217], v[218:219], v[214:215]
	v_fma_f64 v[212:213], -v[212:213], v[216:217], v[218:219]
	s_delay_alu instid0(VALU_DEP_1) | instskip(NEXT) | instid1(VALU_DEP_1)
	v_div_fmas_f64 v[212:213], v[212:213], v[214:215], v[216:217]
	v_div_fixup_f64 v[212:213], v[212:213], v[238:239], v[236:237]
	s_delay_alu instid0(VALU_DEP_1) | instskip(NEXT) | instid1(VALU_DEP_1)
	v_fma_f64 v[214:215], v[236:237], v[212:213], v[238:239]
	v_div_scale_f64 v[216:217], null, v[214:215], v[214:215], 1.0
	s_delay_alu instid0(VALU_DEP_1) | instskip(SKIP_2) | instid1(VALU_DEP_1)
	v_rcp_f64_e32 v[218:219], v[216:217]
	s_waitcnt_depctr 0xfff
	v_fma_f64 v[220:221], -v[216:217], v[218:219], 1.0
	v_fma_f64 v[218:219], v[218:219], v[220:221], v[218:219]
	s_delay_alu instid0(VALU_DEP_1) | instskip(NEXT) | instid1(VALU_DEP_1)
	v_fma_f64 v[220:221], -v[216:217], v[218:219], 1.0
	v_fma_f64 v[218:219], v[218:219], v[220:221], v[218:219]
	v_div_scale_f64 v[220:221], vcc_lo, 1.0, v[214:215], 1.0
	s_delay_alu instid0(VALU_DEP_1) | instskip(NEXT) | instid1(VALU_DEP_1)
	v_mul_f64 v[222:223], v[220:221], v[218:219]
	v_fma_f64 v[216:217], -v[216:217], v[222:223], v[220:221]
	s_delay_alu instid0(VALU_DEP_1) | instskip(NEXT) | instid1(VALU_DEP_1)
	v_div_fmas_f64 v[216:217], v[216:217], v[218:219], v[222:223]
	v_div_fixup_f64 v[238:239], v[216:217], v[214:215], 1.0
	s_delay_alu instid0(VALU_DEP_1)
	v_mul_f64 v[236:237], v[212:213], v[238:239]
	v_xor_b32_e32 v239, 0x80000000, v239
.LBB116_175:
	s_and_not1_saveexec_b32 s2, s2
	s_cbranch_execz .LBB116_177
; %bb.176:
	s_delay_alu instid0(VALU_DEP_1) | instskip(SKIP_1) | instid1(VALU_DEP_2)
	v_div_scale_f64 v[212:213], null, v[236:237], v[236:237], v[238:239]
	v_div_scale_f64 v[218:219], vcc_lo, v[238:239], v[236:237], v[238:239]
	v_rcp_f64_e32 v[214:215], v[212:213]
	s_waitcnt_depctr 0xfff
	v_fma_f64 v[216:217], -v[212:213], v[214:215], 1.0
	s_delay_alu instid0(VALU_DEP_1) | instskip(NEXT) | instid1(VALU_DEP_1)
	v_fma_f64 v[214:215], v[214:215], v[216:217], v[214:215]
	v_fma_f64 v[216:217], -v[212:213], v[214:215], 1.0
	s_delay_alu instid0(VALU_DEP_1) | instskip(NEXT) | instid1(VALU_DEP_1)
	v_fma_f64 v[214:215], v[214:215], v[216:217], v[214:215]
	v_mul_f64 v[216:217], v[218:219], v[214:215]
	s_delay_alu instid0(VALU_DEP_1) | instskip(NEXT) | instid1(VALU_DEP_1)
	v_fma_f64 v[212:213], -v[212:213], v[216:217], v[218:219]
	v_div_fmas_f64 v[212:213], v[212:213], v[214:215], v[216:217]
	s_delay_alu instid0(VALU_DEP_1) | instskip(NEXT) | instid1(VALU_DEP_1)
	v_div_fixup_f64 v[212:213], v[212:213], v[236:237], v[238:239]
	v_fma_f64 v[214:215], v[238:239], v[212:213], v[236:237]
	s_delay_alu instid0(VALU_DEP_1) | instskip(NEXT) | instid1(VALU_DEP_1)
	v_div_scale_f64 v[216:217], null, v[214:215], v[214:215], 1.0
	v_rcp_f64_e32 v[218:219], v[216:217]
	s_waitcnt_depctr 0xfff
	v_fma_f64 v[220:221], -v[216:217], v[218:219], 1.0
	s_delay_alu instid0(VALU_DEP_1) | instskip(NEXT) | instid1(VALU_DEP_1)
	v_fma_f64 v[218:219], v[218:219], v[220:221], v[218:219]
	v_fma_f64 v[220:221], -v[216:217], v[218:219], 1.0
	s_delay_alu instid0(VALU_DEP_1) | instskip(SKIP_1) | instid1(VALU_DEP_1)
	v_fma_f64 v[218:219], v[218:219], v[220:221], v[218:219]
	v_div_scale_f64 v[220:221], vcc_lo, 1.0, v[214:215], 1.0
	v_mul_f64 v[222:223], v[220:221], v[218:219]
	s_delay_alu instid0(VALU_DEP_1) | instskip(NEXT) | instid1(VALU_DEP_1)
	v_fma_f64 v[216:217], -v[216:217], v[222:223], v[220:221]
	v_div_fmas_f64 v[216:217], v[216:217], v[218:219], v[222:223]
	s_delay_alu instid0(VALU_DEP_1) | instskip(NEXT) | instid1(VALU_DEP_1)
	v_div_fixup_f64 v[236:237], v[216:217], v[214:215], 1.0
	v_mul_f64 v[238:239], v[212:213], -v[236:237]
.LBB116_177:
	s_or_b32 exec_lo, exec_lo, s2
.LBB116_178:
	s_delay_alu instid0(SALU_CYCLE_1) | instskip(NEXT) | instid1(SALU_CYCLE_1)
	s_or_b32 exec_lo, exec_lo, s3
	s_mov_b32 s2, exec_lo
	v_cmpx_ne_u32_e64 v252, v244
	s_xor_b32 s2, exec_lo, s2
	s_cbranch_execz .LBB116_184
; %bb.179:
	s_mov_b32 s3, exec_lo
	v_cmpx_eq_u32_e32 8, v252
	s_cbranch_execz .LBB116_183
; %bb.180:
	v_cmp_ne_u32_e32 vcc_lo, 8, v244
	s_xor_b32 s4, s5, -1
	s_delay_alu instid0(SALU_CYCLE_1) | instskip(NEXT) | instid1(SALU_CYCLE_1)
	s_and_b32 s6, s4, vcc_lo
	s_and_saveexec_b32 s4, s6
	s_cbranch_execz .LBB116_182
; %bb.181:
	scratch_load_b64 v[208:209], off, off offset:16 ; 8-byte Folded Reload
	v_ashrrev_i32_e32 v245, 31, v244
	s_delay_alu instid0(VALU_DEP_1) | instskip(SKIP_1) | instid1(VALU_DEP_1)
	v_lshlrev_b64 v[212:213], 2, v[244:245]
	s_waitcnt vmcnt(0)
	v_add_co_u32 v212, vcc_lo, v208, v212
	s_delay_alu instid0(VALU_DEP_2)
	v_add_co_ci_u32_e32 v213, vcc_lo, v209, v213, vcc_lo
	s_clause 0x1
	flat_load_b32 v214, v[212:213]
	flat_load_b32 v215, v[208:209] offset:32
	s_waitcnt vmcnt(1) lgkmcnt(1)
	flat_store_b32 v[208:209], v214 offset:32
	s_waitcnt vmcnt(0) lgkmcnt(1)
	flat_store_b32 v[212:213], v215
.LBB116_182:
	s_or_b32 exec_lo, exec_lo, s4
	v_mov_b32_e32 v252, v244
	v_mov_b32_e32 v251, v244
.LBB116_183:
	s_or_b32 exec_lo, exec_lo, s3
.LBB116_184:
	s_and_not1_saveexec_b32 s2, s2
	s_cbranch_execz .LBB116_186
; %bb.185:
	v_mov_b32_e32 v252, 8
	ds_store_2addr_b64 v246, v[196:197], v[198:199] offset0:18 offset1:19
	ds_store_2addr_b64 v246, v[192:193], v[194:195] offset0:20 offset1:21
	;; [unrolled: 1-line block ×50, first 2 shown]
.LBB116_186:
	s_or_b32 exec_lo, exec_lo, s2
	s_delay_alu instid0(SALU_CYCLE_1)
	s_mov_b32 s2, exec_lo
	s_waitcnt lgkmcnt(0)
	s_waitcnt_vscnt null, 0x0
	s_barrier
	buffer_gl0_inv
	v_cmpx_lt_i32_e32 8, v252
	s_cbranch_execz .LBB116_188
; %bb.187:
	v_mul_f64 v[212:213], v[238:239], v[202:203]
	v_mul_f64 v[202:203], v[236:237], v[202:203]
	s_delay_alu instid0(VALU_DEP_2) | instskip(NEXT) | instid1(VALU_DEP_2)
	v_fma_f64 v[244:245], v[236:237], v[200:201], -v[212:213]
	v_fma_f64 v[202:203], v[238:239], v[200:201], v[202:203]
	ds_load_2addr_b64 v[236:239], v246 offset0:18 offset1:19
	s_waitcnt lgkmcnt(0)
	v_mul_f64 v[200:201], v[238:239], v[202:203]
	v_mul_f64 v[212:213], v[236:237], v[202:203]
	s_delay_alu instid0(VALU_DEP_2) | instskip(NEXT) | instid1(VALU_DEP_2)
	v_fma_f64 v[200:201], v[236:237], v[244:245], -v[200:201]
	v_fma_f64 v[212:213], v[238:239], v[244:245], v[212:213]
	ds_load_2addr_b64 v[236:239], v246 offset0:20 offset1:21
	v_add_f64 v[196:197], v[196:197], -v[200:201]
	v_add_f64 v[198:199], v[198:199], -v[212:213]
	s_waitcnt lgkmcnt(0)
	v_mul_f64 v[200:201], v[238:239], v[202:203]
	v_mul_f64 v[212:213], v[236:237], v[202:203]
	s_delay_alu instid0(VALU_DEP_2) | instskip(NEXT) | instid1(VALU_DEP_2)
	v_fma_f64 v[200:201], v[236:237], v[244:245], -v[200:201]
	v_fma_f64 v[212:213], v[238:239], v[244:245], v[212:213]
	ds_load_2addr_b64 v[236:239], v246 offset0:22 offset1:23
	v_add_f64 v[192:193], v[192:193], -v[200:201]
	v_add_f64 v[194:195], v[194:195], -v[212:213]
	;; [unrolled: 9-line block ×49, first 2 shown]
	s_waitcnt lgkmcnt(0)
	v_mul_f64 v[200:201], v[238:239], v[202:203]
	v_mul_f64 v[212:213], v[236:237], v[202:203]
	s_delay_alu instid0(VALU_DEP_2) | instskip(NEXT) | instid1(VALU_DEP_2)
	v_fma_f64 v[200:201], v[236:237], v[244:245], -v[200:201]
	v_fma_f64 v[212:213], v[238:239], v[244:245], v[212:213]
	s_delay_alu instid0(VALU_DEP_2) | instskip(NEXT) | instid1(VALU_DEP_2)
	v_add_f64 v[224:225], v[224:225], -v[200:201]
	v_add_f64 v[226:227], v[226:227], -v[212:213]
	v_dual_mov_b32 v200, v244 :: v_dual_mov_b32 v201, v245
.LBB116_188:
	s_or_b32 exec_lo, exec_lo, s2
	v_lshl_add_u32 v212, v252, 4, v246
	s_barrier
	buffer_gl0_inv
	v_mov_b32_e32 v244, 9
	ds_store_2addr_b64 v212, v[196:197], v[198:199] offset1:1
	s_waitcnt lgkmcnt(0)
	s_barrier
	buffer_gl0_inv
	ds_load_2addr_b64 v[236:239], v246 offset0:18 offset1:19
	s_cmp_lt_i32 s12, 11
	s_cbranch_scc1 .LBB116_191
; %bb.189:
	v_add3_u32 v245, v234, 0, 0xa0
	v_mov_b32_e32 v244, 9
	s_mov_b32 s6, 10
	s_set_inst_prefetch_distance 0x1
	.p2align	6
.LBB116_190:                            ; =>This Inner Loop Header: Depth=1
	ds_load_2addr_b64 v[240:243], v245 offset1:1
	s_waitcnt lgkmcnt(1)
	v_cmp_gt_f64_e32 vcc_lo, 0, v[236:237]
	v_cmp_gt_f64_e64 s2, 0, v[238:239]
	v_xor_b32_e32 v213, 0x80000000, v237
	v_xor_b32_e32 v215, 0x80000000, v239
	v_add_nc_u32_e32 v245, 16, v245
	s_waitcnt lgkmcnt(0)
	v_cmp_gt_f64_e64 s3, 0, v[240:241]
	v_cmp_gt_f64_e64 s4, 0, v[242:243]
	v_xor_b32_e32 v219, 0x80000000, v241
	v_xor_b32_e32 v220, 0x80000000, v243
	v_mov_b32_e32 v214, v242
	v_mov_b32_e32 v212, v240
	v_cndmask_b32_e32 v216, v237, v213, vcc_lo
	v_cndmask_b32_e64 v218, v239, v215, s2
	v_cndmask_b32_e32 v215, v236, v236, vcc_lo
	v_cndmask_b32_e64 v217, v238, v238, s2
	s_delay_alu instid0(VALU_DEP_1) | instskip(SKIP_2) | instid1(VALU_DEP_1)
	v_add_f64 v[216:217], v[215:216], v[217:218]
	v_cndmask_b32_e64 v213, v241, v219, s3
	v_cndmask_b32_e64 v215, v243, v220, s4
	v_add_f64 v[212:213], v[212:213], v[214:215]
	s_delay_alu instid0(VALU_DEP_1)
	v_cmp_lt_f64_e32 vcc_lo, v[216:217], v[212:213]
	v_cndmask_b32_e32 v239, v239, v243, vcc_lo
	v_dual_cndmask_b32 v237, v237, v241 :: v_dual_cndmask_b32 v236, v236, v240
	v_cndmask_b32_e32 v238, v238, v242, vcc_lo
	v_cndmask_b32_e64 v244, v244, s6, vcc_lo
	s_add_i32 s6, s6, 1
	s_delay_alu instid0(SALU_CYCLE_1)
	s_cmp_lg_u32 s12, s6
	s_cbranch_scc1 .LBB116_190
.LBB116_191:
	s_set_inst_prefetch_distance 0x2
	s_waitcnt lgkmcnt(0)
	v_cmp_eq_f64_e32 vcc_lo, 0, v[236:237]
	v_cmp_eq_f64_e64 s2, 0, v[238:239]
	s_delay_alu instid0(VALU_DEP_1) | instskip(NEXT) | instid1(SALU_CYCLE_1)
	s_and_b32 s2, vcc_lo, s2
	s_and_saveexec_b32 s3, s2
	s_delay_alu instid0(SALU_CYCLE_1)
	s_xor_b32 s2, exec_lo, s3
; %bb.192:
	v_cmp_ne_u32_e32 vcc_lo, 0, v249
	v_cndmask_b32_e32 v249, 10, v249, vcc_lo
; %bb.193:
	s_and_not1_saveexec_b32 s3, s2
	s_cbranch_execz .LBB116_199
; %bb.194:
	v_cmp_gt_f64_e32 vcc_lo, 0, v[236:237]
	v_cmp_gt_f64_e64 s2, 0, v[238:239]
	v_xor_b32_e32 v212, 0x80000000, v237
	v_xor_b32_e32 v214, 0x80000000, v239
	s_delay_alu instid0(VALU_DEP_2) | instskip(NEXT) | instid1(VALU_DEP_2)
	v_cndmask_b32_e32 v213, v237, v212, vcc_lo
	v_cndmask_b32_e64 v215, v239, v214, s2
	v_cndmask_b32_e32 v212, v236, v236, vcc_lo
	v_cndmask_b32_e64 v214, v238, v238, s2
	s_mov_b32 s2, exec_lo
	s_delay_alu instid0(VALU_DEP_1)
	v_cmpx_ngt_f64_e32 v[212:213], v[214:215]
	s_xor_b32 s2, exec_lo, s2
	s_cbranch_execz .LBB116_196
; %bb.195:
	v_div_scale_f64 v[212:213], null, v[238:239], v[238:239], v[236:237]
	v_div_scale_f64 v[218:219], vcc_lo, v[236:237], v[238:239], v[236:237]
	s_delay_alu instid0(VALU_DEP_2) | instskip(SKIP_2) | instid1(VALU_DEP_1)
	v_rcp_f64_e32 v[214:215], v[212:213]
	s_waitcnt_depctr 0xfff
	v_fma_f64 v[216:217], -v[212:213], v[214:215], 1.0
	v_fma_f64 v[214:215], v[214:215], v[216:217], v[214:215]
	s_delay_alu instid0(VALU_DEP_1) | instskip(NEXT) | instid1(VALU_DEP_1)
	v_fma_f64 v[216:217], -v[212:213], v[214:215], 1.0
	v_fma_f64 v[214:215], v[214:215], v[216:217], v[214:215]
	s_delay_alu instid0(VALU_DEP_1) | instskip(NEXT) | instid1(VALU_DEP_1)
	v_mul_f64 v[216:217], v[218:219], v[214:215]
	v_fma_f64 v[212:213], -v[212:213], v[216:217], v[218:219]
	s_delay_alu instid0(VALU_DEP_1) | instskip(NEXT) | instid1(VALU_DEP_1)
	v_div_fmas_f64 v[212:213], v[212:213], v[214:215], v[216:217]
	v_div_fixup_f64 v[212:213], v[212:213], v[238:239], v[236:237]
	s_delay_alu instid0(VALU_DEP_1) | instskip(NEXT) | instid1(VALU_DEP_1)
	v_fma_f64 v[214:215], v[236:237], v[212:213], v[238:239]
	v_div_scale_f64 v[216:217], null, v[214:215], v[214:215], 1.0
	s_delay_alu instid0(VALU_DEP_1) | instskip(SKIP_2) | instid1(VALU_DEP_1)
	v_rcp_f64_e32 v[218:219], v[216:217]
	s_waitcnt_depctr 0xfff
	v_fma_f64 v[220:221], -v[216:217], v[218:219], 1.0
	v_fma_f64 v[218:219], v[218:219], v[220:221], v[218:219]
	s_delay_alu instid0(VALU_DEP_1) | instskip(NEXT) | instid1(VALU_DEP_1)
	v_fma_f64 v[220:221], -v[216:217], v[218:219], 1.0
	v_fma_f64 v[218:219], v[218:219], v[220:221], v[218:219]
	v_div_scale_f64 v[220:221], vcc_lo, 1.0, v[214:215], 1.0
	s_delay_alu instid0(VALU_DEP_1) | instskip(NEXT) | instid1(VALU_DEP_1)
	v_mul_f64 v[222:223], v[220:221], v[218:219]
	v_fma_f64 v[216:217], -v[216:217], v[222:223], v[220:221]
	s_delay_alu instid0(VALU_DEP_1) | instskip(NEXT) | instid1(VALU_DEP_1)
	v_div_fmas_f64 v[216:217], v[216:217], v[218:219], v[222:223]
	v_div_fixup_f64 v[238:239], v[216:217], v[214:215], 1.0
	s_delay_alu instid0(VALU_DEP_1)
	v_mul_f64 v[236:237], v[212:213], v[238:239]
	v_xor_b32_e32 v239, 0x80000000, v239
.LBB116_196:
	s_and_not1_saveexec_b32 s2, s2
	s_cbranch_execz .LBB116_198
; %bb.197:
	s_delay_alu instid0(VALU_DEP_1) | instskip(SKIP_1) | instid1(VALU_DEP_2)
	v_div_scale_f64 v[212:213], null, v[236:237], v[236:237], v[238:239]
	v_div_scale_f64 v[218:219], vcc_lo, v[238:239], v[236:237], v[238:239]
	v_rcp_f64_e32 v[214:215], v[212:213]
	s_waitcnt_depctr 0xfff
	v_fma_f64 v[216:217], -v[212:213], v[214:215], 1.0
	s_delay_alu instid0(VALU_DEP_1) | instskip(NEXT) | instid1(VALU_DEP_1)
	v_fma_f64 v[214:215], v[214:215], v[216:217], v[214:215]
	v_fma_f64 v[216:217], -v[212:213], v[214:215], 1.0
	s_delay_alu instid0(VALU_DEP_1) | instskip(NEXT) | instid1(VALU_DEP_1)
	v_fma_f64 v[214:215], v[214:215], v[216:217], v[214:215]
	v_mul_f64 v[216:217], v[218:219], v[214:215]
	s_delay_alu instid0(VALU_DEP_1) | instskip(NEXT) | instid1(VALU_DEP_1)
	v_fma_f64 v[212:213], -v[212:213], v[216:217], v[218:219]
	v_div_fmas_f64 v[212:213], v[212:213], v[214:215], v[216:217]
	s_delay_alu instid0(VALU_DEP_1) | instskip(NEXT) | instid1(VALU_DEP_1)
	v_div_fixup_f64 v[212:213], v[212:213], v[236:237], v[238:239]
	v_fma_f64 v[214:215], v[238:239], v[212:213], v[236:237]
	s_delay_alu instid0(VALU_DEP_1) | instskip(NEXT) | instid1(VALU_DEP_1)
	v_div_scale_f64 v[216:217], null, v[214:215], v[214:215], 1.0
	v_rcp_f64_e32 v[218:219], v[216:217]
	s_waitcnt_depctr 0xfff
	v_fma_f64 v[220:221], -v[216:217], v[218:219], 1.0
	s_delay_alu instid0(VALU_DEP_1) | instskip(NEXT) | instid1(VALU_DEP_1)
	v_fma_f64 v[218:219], v[218:219], v[220:221], v[218:219]
	v_fma_f64 v[220:221], -v[216:217], v[218:219], 1.0
	s_delay_alu instid0(VALU_DEP_1) | instskip(SKIP_1) | instid1(VALU_DEP_1)
	v_fma_f64 v[218:219], v[218:219], v[220:221], v[218:219]
	v_div_scale_f64 v[220:221], vcc_lo, 1.0, v[214:215], 1.0
	v_mul_f64 v[222:223], v[220:221], v[218:219]
	s_delay_alu instid0(VALU_DEP_1) | instskip(NEXT) | instid1(VALU_DEP_1)
	v_fma_f64 v[216:217], -v[216:217], v[222:223], v[220:221]
	v_div_fmas_f64 v[216:217], v[216:217], v[218:219], v[222:223]
	s_delay_alu instid0(VALU_DEP_1) | instskip(NEXT) | instid1(VALU_DEP_1)
	v_div_fixup_f64 v[236:237], v[216:217], v[214:215], 1.0
	v_mul_f64 v[238:239], v[212:213], -v[236:237]
.LBB116_198:
	s_or_b32 exec_lo, exec_lo, s2
.LBB116_199:
	s_delay_alu instid0(SALU_CYCLE_1) | instskip(NEXT) | instid1(SALU_CYCLE_1)
	s_or_b32 exec_lo, exec_lo, s3
	s_mov_b32 s2, exec_lo
	v_cmpx_ne_u32_e64 v252, v244
	s_xor_b32 s2, exec_lo, s2
	s_cbranch_execz .LBB116_205
; %bb.200:
	s_mov_b32 s3, exec_lo
	v_cmpx_eq_u32_e32 9, v252
	s_cbranch_execz .LBB116_204
; %bb.201:
	v_cmp_ne_u32_e32 vcc_lo, 9, v244
	s_xor_b32 s4, s5, -1
	s_delay_alu instid0(SALU_CYCLE_1) | instskip(NEXT) | instid1(SALU_CYCLE_1)
	s_and_b32 s6, s4, vcc_lo
	s_and_saveexec_b32 s4, s6
	s_cbranch_execz .LBB116_203
; %bb.202:
	scratch_load_b64 v[208:209], off, off offset:16 ; 8-byte Folded Reload
	v_ashrrev_i32_e32 v245, 31, v244
	s_delay_alu instid0(VALU_DEP_1) | instskip(SKIP_1) | instid1(VALU_DEP_1)
	v_lshlrev_b64 v[212:213], 2, v[244:245]
	s_waitcnt vmcnt(0)
	v_add_co_u32 v212, vcc_lo, v208, v212
	s_delay_alu instid0(VALU_DEP_2)
	v_add_co_ci_u32_e32 v213, vcc_lo, v209, v213, vcc_lo
	s_clause 0x1
	flat_load_b32 v214, v[212:213]
	flat_load_b32 v215, v[208:209] offset:36
	s_waitcnt vmcnt(1) lgkmcnt(1)
	flat_store_b32 v[208:209], v214 offset:36
	s_waitcnt vmcnt(0) lgkmcnt(1)
	flat_store_b32 v[212:213], v215
.LBB116_203:
	s_or_b32 exec_lo, exec_lo, s4
	v_mov_b32_e32 v252, v244
	v_mov_b32_e32 v251, v244
.LBB116_204:
	s_or_b32 exec_lo, exec_lo, s3
.LBB116_205:
	s_and_not1_saveexec_b32 s2, s2
	s_cbranch_execz .LBB116_207
; %bb.206:
	v_mov_b32_e32 v252, 9
	ds_store_2addr_b64 v246, v[192:193], v[194:195] offset0:20 offset1:21
	ds_store_2addr_b64 v246, v[188:189], v[190:191] offset0:22 offset1:23
	;; [unrolled: 1-line block ×49, first 2 shown]
.LBB116_207:
	s_or_b32 exec_lo, exec_lo, s2
	s_delay_alu instid0(SALU_CYCLE_1)
	s_mov_b32 s2, exec_lo
	s_waitcnt lgkmcnt(0)
	s_waitcnt_vscnt null, 0x0
	s_barrier
	buffer_gl0_inv
	v_cmpx_lt_i32_e32 9, v252
	s_cbranch_execz .LBB116_209
; %bb.208:
	v_mul_f64 v[212:213], v[238:239], v[198:199]
	v_mul_f64 v[198:199], v[236:237], v[198:199]
	s_delay_alu instid0(VALU_DEP_2) | instskip(NEXT) | instid1(VALU_DEP_2)
	v_fma_f64 v[244:245], v[236:237], v[196:197], -v[212:213]
	v_fma_f64 v[198:199], v[238:239], v[196:197], v[198:199]
	ds_load_2addr_b64 v[236:239], v246 offset0:20 offset1:21
	s_waitcnt lgkmcnt(0)
	v_mul_f64 v[196:197], v[238:239], v[198:199]
	v_mul_f64 v[212:213], v[236:237], v[198:199]
	s_delay_alu instid0(VALU_DEP_2) | instskip(NEXT) | instid1(VALU_DEP_2)
	v_fma_f64 v[196:197], v[236:237], v[244:245], -v[196:197]
	v_fma_f64 v[212:213], v[238:239], v[244:245], v[212:213]
	ds_load_2addr_b64 v[236:239], v246 offset0:22 offset1:23
	v_add_f64 v[192:193], v[192:193], -v[196:197]
	v_add_f64 v[194:195], v[194:195], -v[212:213]
	s_waitcnt lgkmcnt(0)
	v_mul_f64 v[196:197], v[238:239], v[198:199]
	v_mul_f64 v[212:213], v[236:237], v[198:199]
	s_delay_alu instid0(VALU_DEP_2) | instskip(NEXT) | instid1(VALU_DEP_2)
	v_fma_f64 v[196:197], v[236:237], v[244:245], -v[196:197]
	v_fma_f64 v[212:213], v[238:239], v[244:245], v[212:213]
	ds_load_2addr_b64 v[236:239], v246 offset0:24 offset1:25
	v_add_f64 v[188:189], v[188:189], -v[196:197]
	v_add_f64 v[190:191], v[190:191], -v[212:213]
	;; [unrolled: 9-line block ×48, first 2 shown]
	s_waitcnt lgkmcnt(0)
	v_mul_f64 v[196:197], v[238:239], v[198:199]
	v_mul_f64 v[212:213], v[236:237], v[198:199]
	s_delay_alu instid0(VALU_DEP_2) | instskip(NEXT) | instid1(VALU_DEP_2)
	v_fma_f64 v[196:197], v[236:237], v[244:245], -v[196:197]
	v_fma_f64 v[212:213], v[238:239], v[244:245], v[212:213]
	s_delay_alu instid0(VALU_DEP_2) | instskip(NEXT) | instid1(VALU_DEP_2)
	v_add_f64 v[224:225], v[224:225], -v[196:197]
	v_add_f64 v[226:227], v[226:227], -v[212:213]
	v_dual_mov_b32 v196, v244 :: v_dual_mov_b32 v197, v245
.LBB116_209:
	s_or_b32 exec_lo, exec_lo, s2
	v_lshl_add_u32 v212, v252, 4, v246
	s_barrier
	buffer_gl0_inv
	v_mov_b32_e32 v244, 10
	ds_store_2addr_b64 v212, v[192:193], v[194:195] offset1:1
	s_waitcnt lgkmcnt(0)
	s_barrier
	buffer_gl0_inv
	ds_load_2addr_b64 v[236:239], v246 offset0:20 offset1:21
	s_cmp_lt_i32 s12, 12
	s_cbranch_scc1 .LBB116_212
; %bb.210:
	v_add3_u32 v245, v234, 0, 0xb0
	v_mov_b32_e32 v244, 10
	s_mov_b32 s6, 11
	s_set_inst_prefetch_distance 0x1
	.p2align	6
.LBB116_211:                            ; =>This Inner Loop Header: Depth=1
	ds_load_2addr_b64 v[240:243], v245 offset1:1
	s_waitcnt lgkmcnt(1)
	v_cmp_gt_f64_e32 vcc_lo, 0, v[236:237]
	v_cmp_gt_f64_e64 s2, 0, v[238:239]
	v_xor_b32_e32 v213, 0x80000000, v237
	v_xor_b32_e32 v215, 0x80000000, v239
	v_add_nc_u32_e32 v245, 16, v245
	s_waitcnt lgkmcnt(0)
	v_cmp_gt_f64_e64 s3, 0, v[240:241]
	v_cmp_gt_f64_e64 s4, 0, v[242:243]
	v_xor_b32_e32 v219, 0x80000000, v241
	v_xor_b32_e32 v220, 0x80000000, v243
	v_mov_b32_e32 v214, v242
	v_mov_b32_e32 v212, v240
	v_cndmask_b32_e32 v216, v237, v213, vcc_lo
	v_cndmask_b32_e64 v218, v239, v215, s2
	v_cndmask_b32_e32 v215, v236, v236, vcc_lo
	v_cndmask_b32_e64 v217, v238, v238, s2
	s_delay_alu instid0(VALU_DEP_1) | instskip(SKIP_2) | instid1(VALU_DEP_1)
	v_add_f64 v[216:217], v[215:216], v[217:218]
	v_cndmask_b32_e64 v213, v241, v219, s3
	v_cndmask_b32_e64 v215, v243, v220, s4
	v_add_f64 v[212:213], v[212:213], v[214:215]
	s_delay_alu instid0(VALU_DEP_1)
	v_cmp_lt_f64_e32 vcc_lo, v[216:217], v[212:213]
	v_cndmask_b32_e32 v239, v239, v243, vcc_lo
	v_dual_cndmask_b32 v237, v237, v241 :: v_dual_cndmask_b32 v236, v236, v240
	v_cndmask_b32_e32 v238, v238, v242, vcc_lo
	v_cndmask_b32_e64 v244, v244, s6, vcc_lo
	s_add_i32 s6, s6, 1
	s_delay_alu instid0(SALU_CYCLE_1)
	s_cmp_lg_u32 s12, s6
	s_cbranch_scc1 .LBB116_211
.LBB116_212:
	s_set_inst_prefetch_distance 0x2
	s_waitcnt lgkmcnt(0)
	v_cmp_eq_f64_e32 vcc_lo, 0, v[236:237]
	v_cmp_eq_f64_e64 s2, 0, v[238:239]
	s_delay_alu instid0(VALU_DEP_1) | instskip(NEXT) | instid1(SALU_CYCLE_1)
	s_and_b32 s2, vcc_lo, s2
	s_and_saveexec_b32 s3, s2
	s_delay_alu instid0(SALU_CYCLE_1)
	s_xor_b32 s2, exec_lo, s3
; %bb.213:
	v_cmp_ne_u32_e32 vcc_lo, 0, v249
	v_cndmask_b32_e32 v249, 11, v249, vcc_lo
; %bb.214:
	s_and_not1_saveexec_b32 s3, s2
	s_cbranch_execz .LBB116_220
; %bb.215:
	v_cmp_gt_f64_e32 vcc_lo, 0, v[236:237]
	v_cmp_gt_f64_e64 s2, 0, v[238:239]
	v_xor_b32_e32 v212, 0x80000000, v237
	v_xor_b32_e32 v214, 0x80000000, v239
	s_delay_alu instid0(VALU_DEP_2) | instskip(NEXT) | instid1(VALU_DEP_2)
	v_cndmask_b32_e32 v213, v237, v212, vcc_lo
	v_cndmask_b32_e64 v215, v239, v214, s2
	v_cndmask_b32_e32 v212, v236, v236, vcc_lo
	v_cndmask_b32_e64 v214, v238, v238, s2
	s_mov_b32 s2, exec_lo
	s_delay_alu instid0(VALU_DEP_1)
	v_cmpx_ngt_f64_e32 v[212:213], v[214:215]
	s_xor_b32 s2, exec_lo, s2
	s_cbranch_execz .LBB116_217
; %bb.216:
	v_div_scale_f64 v[212:213], null, v[238:239], v[238:239], v[236:237]
	v_div_scale_f64 v[218:219], vcc_lo, v[236:237], v[238:239], v[236:237]
	s_delay_alu instid0(VALU_DEP_2) | instskip(SKIP_2) | instid1(VALU_DEP_1)
	v_rcp_f64_e32 v[214:215], v[212:213]
	s_waitcnt_depctr 0xfff
	v_fma_f64 v[216:217], -v[212:213], v[214:215], 1.0
	v_fma_f64 v[214:215], v[214:215], v[216:217], v[214:215]
	s_delay_alu instid0(VALU_DEP_1) | instskip(NEXT) | instid1(VALU_DEP_1)
	v_fma_f64 v[216:217], -v[212:213], v[214:215], 1.0
	v_fma_f64 v[214:215], v[214:215], v[216:217], v[214:215]
	s_delay_alu instid0(VALU_DEP_1) | instskip(NEXT) | instid1(VALU_DEP_1)
	v_mul_f64 v[216:217], v[218:219], v[214:215]
	v_fma_f64 v[212:213], -v[212:213], v[216:217], v[218:219]
	s_delay_alu instid0(VALU_DEP_1) | instskip(NEXT) | instid1(VALU_DEP_1)
	v_div_fmas_f64 v[212:213], v[212:213], v[214:215], v[216:217]
	v_div_fixup_f64 v[212:213], v[212:213], v[238:239], v[236:237]
	s_delay_alu instid0(VALU_DEP_1) | instskip(NEXT) | instid1(VALU_DEP_1)
	v_fma_f64 v[214:215], v[236:237], v[212:213], v[238:239]
	v_div_scale_f64 v[216:217], null, v[214:215], v[214:215], 1.0
	s_delay_alu instid0(VALU_DEP_1) | instskip(SKIP_2) | instid1(VALU_DEP_1)
	v_rcp_f64_e32 v[218:219], v[216:217]
	s_waitcnt_depctr 0xfff
	v_fma_f64 v[220:221], -v[216:217], v[218:219], 1.0
	v_fma_f64 v[218:219], v[218:219], v[220:221], v[218:219]
	s_delay_alu instid0(VALU_DEP_1) | instskip(NEXT) | instid1(VALU_DEP_1)
	v_fma_f64 v[220:221], -v[216:217], v[218:219], 1.0
	v_fma_f64 v[218:219], v[218:219], v[220:221], v[218:219]
	v_div_scale_f64 v[220:221], vcc_lo, 1.0, v[214:215], 1.0
	s_delay_alu instid0(VALU_DEP_1) | instskip(NEXT) | instid1(VALU_DEP_1)
	v_mul_f64 v[222:223], v[220:221], v[218:219]
	v_fma_f64 v[216:217], -v[216:217], v[222:223], v[220:221]
	s_delay_alu instid0(VALU_DEP_1) | instskip(NEXT) | instid1(VALU_DEP_1)
	v_div_fmas_f64 v[216:217], v[216:217], v[218:219], v[222:223]
	v_div_fixup_f64 v[238:239], v[216:217], v[214:215], 1.0
	s_delay_alu instid0(VALU_DEP_1)
	v_mul_f64 v[236:237], v[212:213], v[238:239]
	v_xor_b32_e32 v239, 0x80000000, v239
.LBB116_217:
	s_and_not1_saveexec_b32 s2, s2
	s_cbranch_execz .LBB116_219
; %bb.218:
	s_delay_alu instid0(VALU_DEP_1) | instskip(SKIP_1) | instid1(VALU_DEP_2)
	v_div_scale_f64 v[212:213], null, v[236:237], v[236:237], v[238:239]
	v_div_scale_f64 v[218:219], vcc_lo, v[238:239], v[236:237], v[238:239]
	v_rcp_f64_e32 v[214:215], v[212:213]
	s_waitcnt_depctr 0xfff
	v_fma_f64 v[216:217], -v[212:213], v[214:215], 1.0
	s_delay_alu instid0(VALU_DEP_1) | instskip(NEXT) | instid1(VALU_DEP_1)
	v_fma_f64 v[214:215], v[214:215], v[216:217], v[214:215]
	v_fma_f64 v[216:217], -v[212:213], v[214:215], 1.0
	s_delay_alu instid0(VALU_DEP_1) | instskip(NEXT) | instid1(VALU_DEP_1)
	v_fma_f64 v[214:215], v[214:215], v[216:217], v[214:215]
	v_mul_f64 v[216:217], v[218:219], v[214:215]
	s_delay_alu instid0(VALU_DEP_1) | instskip(NEXT) | instid1(VALU_DEP_1)
	v_fma_f64 v[212:213], -v[212:213], v[216:217], v[218:219]
	v_div_fmas_f64 v[212:213], v[212:213], v[214:215], v[216:217]
	s_delay_alu instid0(VALU_DEP_1) | instskip(NEXT) | instid1(VALU_DEP_1)
	v_div_fixup_f64 v[212:213], v[212:213], v[236:237], v[238:239]
	v_fma_f64 v[214:215], v[238:239], v[212:213], v[236:237]
	s_delay_alu instid0(VALU_DEP_1) | instskip(NEXT) | instid1(VALU_DEP_1)
	v_div_scale_f64 v[216:217], null, v[214:215], v[214:215], 1.0
	v_rcp_f64_e32 v[218:219], v[216:217]
	s_waitcnt_depctr 0xfff
	v_fma_f64 v[220:221], -v[216:217], v[218:219], 1.0
	s_delay_alu instid0(VALU_DEP_1) | instskip(NEXT) | instid1(VALU_DEP_1)
	v_fma_f64 v[218:219], v[218:219], v[220:221], v[218:219]
	v_fma_f64 v[220:221], -v[216:217], v[218:219], 1.0
	s_delay_alu instid0(VALU_DEP_1) | instskip(SKIP_1) | instid1(VALU_DEP_1)
	v_fma_f64 v[218:219], v[218:219], v[220:221], v[218:219]
	v_div_scale_f64 v[220:221], vcc_lo, 1.0, v[214:215], 1.0
	v_mul_f64 v[222:223], v[220:221], v[218:219]
	s_delay_alu instid0(VALU_DEP_1) | instskip(NEXT) | instid1(VALU_DEP_1)
	v_fma_f64 v[216:217], -v[216:217], v[222:223], v[220:221]
	v_div_fmas_f64 v[216:217], v[216:217], v[218:219], v[222:223]
	s_delay_alu instid0(VALU_DEP_1) | instskip(NEXT) | instid1(VALU_DEP_1)
	v_div_fixup_f64 v[236:237], v[216:217], v[214:215], 1.0
	v_mul_f64 v[238:239], v[212:213], -v[236:237]
.LBB116_219:
	s_or_b32 exec_lo, exec_lo, s2
.LBB116_220:
	s_delay_alu instid0(SALU_CYCLE_1) | instskip(NEXT) | instid1(SALU_CYCLE_1)
	s_or_b32 exec_lo, exec_lo, s3
	s_mov_b32 s2, exec_lo
	v_cmpx_ne_u32_e64 v252, v244
	s_xor_b32 s2, exec_lo, s2
	s_cbranch_execz .LBB116_226
; %bb.221:
	s_mov_b32 s3, exec_lo
	v_cmpx_eq_u32_e32 10, v252
	s_cbranch_execz .LBB116_225
; %bb.222:
	v_cmp_ne_u32_e32 vcc_lo, 10, v244
	s_xor_b32 s4, s5, -1
	s_delay_alu instid0(SALU_CYCLE_1) | instskip(NEXT) | instid1(SALU_CYCLE_1)
	s_and_b32 s6, s4, vcc_lo
	s_and_saveexec_b32 s4, s6
	s_cbranch_execz .LBB116_224
; %bb.223:
	scratch_load_b64 v[208:209], off, off offset:16 ; 8-byte Folded Reload
	v_ashrrev_i32_e32 v245, 31, v244
	s_delay_alu instid0(VALU_DEP_1) | instskip(SKIP_1) | instid1(VALU_DEP_1)
	v_lshlrev_b64 v[212:213], 2, v[244:245]
	s_waitcnt vmcnt(0)
	v_add_co_u32 v212, vcc_lo, v208, v212
	s_delay_alu instid0(VALU_DEP_2)
	v_add_co_ci_u32_e32 v213, vcc_lo, v209, v213, vcc_lo
	s_clause 0x1
	flat_load_b32 v214, v[212:213]
	flat_load_b32 v215, v[208:209] offset:40
	s_waitcnt vmcnt(1) lgkmcnt(1)
	flat_store_b32 v[208:209], v214 offset:40
	s_waitcnt vmcnt(0) lgkmcnt(1)
	flat_store_b32 v[212:213], v215
.LBB116_224:
	s_or_b32 exec_lo, exec_lo, s4
	v_mov_b32_e32 v252, v244
	v_mov_b32_e32 v251, v244
.LBB116_225:
	s_or_b32 exec_lo, exec_lo, s3
.LBB116_226:
	s_and_not1_saveexec_b32 s2, s2
	s_cbranch_execz .LBB116_228
; %bb.227:
	v_mov_b32_e32 v252, 10
	ds_store_2addr_b64 v246, v[188:189], v[190:191] offset0:22 offset1:23
	ds_store_2addr_b64 v246, v[184:185], v[186:187] offset0:24 offset1:25
	;; [unrolled: 1-line block ×48, first 2 shown]
.LBB116_228:
	s_or_b32 exec_lo, exec_lo, s2
	s_delay_alu instid0(SALU_CYCLE_1)
	s_mov_b32 s2, exec_lo
	s_waitcnt lgkmcnt(0)
	s_waitcnt_vscnt null, 0x0
	s_barrier
	buffer_gl0_inv
	v_cmpx_lt_i32_e32 10, v252
	s_cbranch_execz .LBB116_230
; %bb.229:
	v_mul_f64 v[212:213], v[238:239], v[194:195]
	v_mul_f64 v[194:195], v[236:237], v[194:195]
	s_delay_alu instid0(VALU_DEP_2) | instskip(NEXT) | instid1(VALU_DEP_2)
	v_fma_f64 v[244:245], v[236:237], v[192:193], -v[212:213]
	v_fma_f64 v[194:195], v[238:239], v[192:193], v[194:195]
	ds_load_2addr_b64 v[236:239], v246 offset0:22 offset1:23
	s_waitcnt lgkmcnt(0)
	v_mul_f64 v[192:193], v[238:239], v[194:195]
	v_mul_f64 v[212:213], v[236:237], v[194:195]
	s_delay_alu instid0(VALU_DEP_2) | instskip(NEXT) | instid1(VALU_DEP_2)
	v_fma_f64 v[192:193], v[236:237], v[244:245], -v[192:193]
	v_fma_f64 v[212:213], v[238:239], v[244:245], v[212:213]
	ds_load_2addr_b64 v[236:239], v246 offset0:24 offset1:25
	v_add_f64 v[188:189], v[188:189], -v[192:193]
	v_add_f64 v[190:191], v[190:191], -v[212:213]
	s_waitcnt lgkmcnt(0)
	v_mul_f64 v[192:193], v[238:239], v[194:195]
	v_mul_f64 v[212:213], v[236:237], v[194:195]
	s_delay_alu instid0(VALU_DEP_2) | instskip(NEXT) | instid1(VALU_DEP_2)
	v_fma_f64 v[192:193], v[236:237], v[244:245], -v[192:193]
	v_fma_f64 v[212:213], v[238:239], v[244:245], v[212:213]
	ds_load_2addr_b64 v[236:239], v246 offset0:26 offset1:27
	v_add_f64 v[184:185], v[184:185], -v[192:193]
	v_add_f64 v[186:187], v[186:187], -v[212:213]
	;; [unrolled: 9-line block ×47, first 2 shown]
	s_waitcnt lgkmcnt(0)
	v_mul_f64 v[192:193], v[238:239], v[194:195]
	v_mul_f64 v[212:213], v[236:237], v[194:195]
	s_delay_alu instid0(VALU_DEP_2) | instskip(NEXT) | instid1(VALU_DEP_2)
	v_fma_f64 v[192:193], v[236:237], v[244:245], -v[192:193]
	v_fma_f64 v[212:213], v[238:239], v[244:245], v[212:213]
	s_delay_alu instid0(VALU_DEP_2) | instskip(NEXT) | instid1(VALU_DEP_2)
	v_add_f64 v[224:225], v[224:225], -v[192:193]
	v_add_f64 v[226:227], v[226:227], -v[212:213]
	v_dual_mov_b32 v192, v244 :: v_dual_mov_b32 v193, v245
.LBB116_230:
	s_or_b32 exec_lo, exec_lo, s2
	v_lshl_add_u32 v212, v252, 4, v246
	s_barrier
	buffer_gl0_inv
	v_mov_b32_e32 v244, 11
	ds_store_2addr_b64 v212, v[188:189], v[190:191] offset1:1
	s_waitcnt lgkmcnt(0)
	s_barrier
	buffer_gl0_inv
	ds_load_2addr_b64 v[236:239], v246 offset0:22 offset1:23
	s_cmp_lt_i32 s12, 13
	s_cbranch_scc1 .LBB116_233
; %bb.231:
	v_add3_u32 v245, v234, 0, 0xc0
	v_mov_b32_e32 v244, 11
	s_mov_b32 s6, 12
	s_set_inst_prefetch_distance 0x1
	.p2align	6
.LBB116_232:                            ; =>This Inner Loop Header: Depth=1
	ds_load_2addr_b64 v[240:243], v245 offset1:1
	s_waitcnt lgkmcnt(1)
	v_cmp_gt_f64_e32 vcc_lo, 0, v[236:237]
	v_cmp_gt_f64_e64 s2, 0, v[238:239]
	v_xor_b32_e32 v213, 0x80000000, v237
	v_xor_b32_e32 v215, 0x80000000, v239
	v_add_nc_u32_e32 v245, 16, v245
	s_waitcnt lgkmcnt(0)
	v_cmp_gt_f64_e64 s3, 0, v[240:241]
	v_cmp_gt_f64_e64 s4, 0, v[242:243]
	v_xor_b32_e32 v219, 0x80000000, v241
	v_xor_b32_e32 v220, 0x80000000, v243
	v_mov_b32_e32 v214, v242
	v_mov_b32_e32 v212, v240
	v_cndmask_b32_e32 v216, v237, v213, vcc_lo
	v_cndmask_b32_e64 v218, v239, v215, s2
	v_cndmask_b32_e32 v215, v236, v236, vcc_lo
	v_cndmask_b32_e64 v217, v238, v238, s2
	s_delay_alu instid0(VALU_DEP_1) | instskip(SKIP_2) | instid1(VALU_DEP_1)
	v_add_f64 v[216:217], v[215:216], v[217:218]
	v_cndmask_b32_e64 v213, v241, v219, s3
	v_cndmask_b32_e64 v215, v243, v220, s4
	v_add_f64 v[212:213], v[212:213], v[214:215]
	s_delay_alu instid0(VALU_DEP_1)
	v_cmp_lt_f64_e32 vcc_lo, v[216:217], v[212:213]
	v_cndmask_b32_e32 v239, v239, v243, vcc_lo
	v_dual_cndmask_b32 v237, v237, v241 :: v_dual_cndmask_b32 v236, v236, v240
	v_cndmask_b32_e32 v238, v238, v242, vcc_lo
	v_cndmask_b32_e64 v244, v244, s6, vcc_lo
	s_add_i32 s6, s6, 1
	s_delay_alu instid0(SALU_CYCLE_1)
	s_cmp_lg_u32 s12, s6
	s_cbranch_scc1 .LBB116_232
.LBB116_233:
	s_set_inst_prefetch_distance 0x2
	s_waitcnt lgkmcnt(0)
	v_cmp_eq_f64_e32 vcc_lo, 0, v[236:237]
	v_cmp_eq_f64_e64 s2, 0, v[238:239]
	s_delay_alu instid0(VALU_DEP_1) | instskip(NEXT) | instid1(SALU_CYCLE_1)
	s_and_b32 s2, vcc_lo, s2
	s_and_saveexec_b32 s3, s2
	s_delay_alu instid0(SALU_CYCLE_1)
	s_xor_b32 s2, exec_lo, s3
; %bb.234:
	v_cmp_ne_u32_e32 vcc_lo, 0, v249
	v_cndmask_b32_e32 v249, 12, v249, vcc_lo
; %bb.235:
	s_and_not1_saveexec_b32 s3, s2
	s_cbranch_execz .LBB116_241
; %bb.236:
	v_cmp_gt_f64_e32 vcc_lo, 0, v[236:237]
	v_cmp_gt_f64_e64 s2, 0, v[238:239]
	v_xor_b32_e32 v212, 0x80000000, v237
	v_xor_b32_e32 v214, 0x80000000, v239
	s_delay_alu instid0(VALU_DEP_2) | instskip(NEXT) | instid1(VALU_DEP_2)
	v_cndmask_b32_e32 v213, v237, v212, vcc_lo
	v_cndmask_b32_e64 v215, v239, v214, s2
	v_cndmask_b32_e32 v212, v236, v236, vcc_lo
	v_cndmask_b32_e64 v214, v238, v238, s2
	s_mov_b32 s2, exec_lo
	s_delay_alu instid0(VALU_DEP_1)
	v_cmpx_ngt_f64_e32 v[212:213], v[214:215]
	s_xor_b32 s2, exec_lo, s2
	s_cbranch_execz .LBB116_238
; %bb.237:
	v_div_scale_f64 v[212:213], null, v[238:239], v[238:239], v[236:237]
	v_div_scale_f64 v[218:219], vcc_lo, v[236:237], v[238:239], v[236:237]
	s_delay_alu instid0(VALU_DEP_2) | instskip(SKIP_2) | instid1(VALU_DEP_1)
	v_rcp_f64_e32 v[214:215], v[212:213]
	s_waitcnt_depctr 0xfff
	v_fma_f64 v[216:217], -v[212:213], v[214:215], 1.0
	v_fma_f64 v[214:215], v[214:215], v[216:217], v[214:215]
	s_delay_alu instid0(VALU_DEP_1) | instskip(NEXT) | instid1(VALU_DEP_1)
	v_fma_f64 v[216:217], -v[212:213], v[214:215], 1.0
	v_fma_f64 v[214:215], v[214:215], v[216:217], v[214:215]
	s_delay_alu instid0(VALU_DEP_1) | instskip(NEXT) | instid1(VALU_DEP_1)
	v_mul_f64 v[216:217], v[218:219], v[214:215]
	v_fma_f64 v[212:213], -v[212:213], v[216:217], v[218:219]
	s_delay_alu instid0(VALU_DEP_1) | instskip(NEXT) | instid1(VALU_DEP_1)
	v_div_fmas_f64 v[212:213], v[212:213], v[214:215], v[216:217]
	v_div_fixup_f64 v[212:213], v[212:213], v[238:239], v[236:237]
	s_delay_alu instid0(VALU_DEP_1) | instskip(NEXT) | instid1(VALU_DEP_1)
	v_fma_f64 v[214:215], v[236:237], v[212:213], v[238:239]
	v_div_scale_f64 v[216:217], null, v[214:215], v[214:215], 1.0
	s_delay_alu instid0(VALU_DEP_1) | instskip(SKIP_2) | instid1(VALU_DEP_1)
	v_rcp_f64_e32 v[218:219], v[216:217]
	s_waitcnt_depctr 0xfff
	v_fma_f64 v[220:221], -v[216:217], v[218:219], 1.0
	v_fma_f64 v[218:219], v[218:219], v[220:221], v[218:219]
	s_delay_alu instid0(VALU_DEP_1) | instskip(NEXT) | instid1(VALU_DEP_1)
	v_fma_f64 v[220:221], -v[216:217], v[218:219], 1.0
	v_fma_f64 v[218:219], v[218:219], v[220:221], v[218:219]
	v_div_scale_f64 v[220:221], vcc_lo, 1.0, v[214:215], 1.0
	s_delay_alu instid0(VALU_DEP_1) | instskip(NEXT) | instid1(VALU_DEP_1)
	v_mul_f64 v[222:223], v[220:221], v[218:219]
	v_fma_f64 v[216:217], -v[216:217], v[222:223], v[220:221]
	s_delay_alu instid0(VALU_DEP_1) | instskip(NEXT) | instid1(VALU_DEP_1)
	v_div_fmas_f64 v[216:217], v[216:217], v[218:219], v[222:223]
	v_div_fixup_f64 v[238:239], v[216:217], v[214:215], 1.0
	s_delay_alu instid0(VALU_DEP_1)
	v_mul_f64 v[236:237], v[212:213], v[238:239]
	v_xor_b32_e32 v239, 0x80000000, v239
.LBB116_238:
	s_and_not1_saveexec_b32 s2, s2
	s_cbranch_execz .LBB116_240
; %bb.239:
	s_delay_alu instid0(VALU_DEP_1) | instskip(SKIP_1) | instid1(VALU_DEP_2)
	v_div_scale_f64 v[212:213], null, v[236:237], v[236:237], v[238:239]
	v_div_scale_f64 v[218:219], vcc_lo, v[238:239], v[236:237], v[238:239]
	v_rcp_f64_e32 v[214:215], v[212:213]
	s_waitcnt_depctr 0xfff
	v_fma_f64 v[216:217], -v[212:213], v[214:215], 1.0
	s_delay_alu instid0(VALU_DEP_1) | instskip(NEXT) | instid1(VALU_DEP_1)
	v_fma_f64 v[214:215], v[214:215], v[216:217], v[214:215]
	v_fma_f64 v[216:217], -v[212:213], v[214:215], 1.0
	s_delay_alu instid0(VALU_DEP_1) | instskip(NEXT) | instid1(VALU_DEP_1)
	v_fma_f64 v[214:215], v[214:215], v[216:217], v[214:215]
	v_mul_f64 v[216:217], v[218:219], v[214:215]
	s_delay_alu instid0(VALU_DEP_1) | instskip(NEXT) | instid1(VALU_DEP_1)
	v_fma_f64 v[212:213], -v[212:213], v[216:217], v[218:219]
	v_div_fmas_f64 v[212:213], v[212:213], v[214:215], v[216:217]
	s_delay_alu instid0(VALU_DEP_1) | instskip(NEXT) | instid1(VALU_DEP_1)
	v_div_fixup_f64 v[212:213], v[212:213], v[236:237], v[238:239]
	v_fma_f64 v[214:215], v[238:239], v[212:213], v[236:237]
	s_delay_alu instid0(VALU_DEP_1) | instskip(NEXT) | instid1(VALU_DEP_1)
	v_div_scale_f64 v[216:217], null, v[214:215], v[214:215], 1.0
	v_rcp_f64_e32 v[218:219], v[216:217]
	s_waitcnt_depctr 0xfff
	v_fma_f64 v[220:221], -v[216:217], v[218:219], 1.0
	s_delay_alu instid0(VALU_DEP_1) | instskip(NEXT) | instid1(VALU_DEP_1)
	v_fma_f64 v[218:219], v[218:219], v[220:221], v[218:219]
	v_fma_f64 v[220:221], -v[216:217], v[218:219], 1.0
	s_delay_alu instid0(VALU_DEP_1) | instskip(SKIP_1) | instid1(VALU_DEP_1)
	v_fma_f64 v[218:219], v[218:219], v[220:221], v[218:219]
	v_div_scale_f64 v[220:221], vcc_lo, 1.0, v[214:215], 1.0
	v_mul_f64 v[222:223], v[220:221], v[218:219]
	s_delay_alu instid0(VALU_DEP_1) | instskip(NEXT) | instid1(VALU_DEP_1)
	v_fma_f64 v[216:217], -v[216:217], v[222:223], v[220:221]
	v_div_fmas_f64 v[216:217], v[216:217], v[218:219], v[222:223]
	s_delay_alu instid0(VALU_DEP_1) | instskip(NEXT) | instid1(VALU_DEP_1)
	v_div_fixup_f64 v[236:237], v[216:217], v[214:215], 1.0
	v_mul_f64 v[238:239], v[212:213], -v[236:237]
.LBB116_240:
	s_or_b32 exec_lo, exec_lo, s2
.LBB116_241:
	s_delay_alu instid0(SALU_CYCLE_1) | instskip(NEXT) | instid1(SALU_CYCLE_1)
	s_or_b32 exec_lo, exec_lo, s3
	s_mov_b32 s2, exec_lo
	v_cmpx_ne_u32_e64 v252, v244
	s_xor_b32 s2, exec_lo, s2
	s_cbranch_execz .LBB116_247
; %bb.242:
	s_mov_b32 s3, exec_lo
	v_cmpx_eq_u32_e32 11, v252
	s_cbranch_execz .LBB116_246
; %bb.243:
	v_cmp_ne_u32_e32 vcc_lo, 11, v244
	s_xor_b32 s4, s5, -1
	s_delay_alu instid0(SALU_CYCLE_1) | instskip(NEXT) | instid1(SALU_CYCLE_1)
	s_and_b32 s6, s4, vcc_lo
	s_and_saveexec_b32 s4, s6
	s_cbranch_execz .LBB116_245
; %bb.244:
	scratch_load_b64 v[208:209], off, off offset:16 ; 8-byte Folded Reload
	v_ashrrev_i32_e32 v245, 31, v244
	s_delay_alu instid0(VALU_DEP_1) | instskip(SKIP_1) | instid1(VALU_DEP_1)
	v_lshlrev_b64 v[212:213], 2, v[244:245]
	s_waitcnt vmcnt(0)
	v_add_co_u32 v212, vcc_lo, v208, v212
	s_delay_alu instid0(VALU_DEP_2)
	v_add_co_ci_u32_e32 v213, vcc_lo, v209, v213, vcc_lo
	s_clause 0x1
	flat_load_b32 v214, v[212:213]
	flat_load_b32 v215, v[208:209] offset:44
	s_waitcnt vmcnt(1) lgkmcnt(1)
	flat_store_b32 v[208:209], v214 offset:44
	s_waitcnt vmcnt(0) lgkmcnt(1)
	flat_store_b32 v[212:213], v215
.LBB116_245:
	s_or_b32 exec_lo, exec_lo, s4
	v_mov_b32_e32 v252, v244
	v_mov_b32_e32 v251, v244
.LBB116_246:
	s_or_b32 exec_lo, exec_lo, s3
.LBB116_247:
	s_and_not1_saveexec_b32 s2, s2
	s_cbranch_execz .LBB116_249
; %bb.248:
	v_mov_b32_e32 v252, 11
	ds_store_2addr_b64 v246, v[184:185], v[186:187] offset0:24 offset1:25
	ds_store_2addr_b64 v246, v[180:181], v[182:183] offset0:26 offset1:27
	;; [unrolled: 1-line block ×47, first 2 shown]
.LBB116_249:
	s_or_b32 exec_lo, exec_lo, s2
	s_delay_alu instid0(SALU_CYCLE_1)
	s_mov_b32 s2, exec_lo
	s_waitcnt lgkmcnt(0)
	s_waitcnt_vscnt null, 0x0
	s_barrier
	buffer_gl0_inv
	v_cmpx_lt_i32_e32 11, v252
	s_cbranch_execz .LBB116_251
; %bb.250:
	v_mul_f64 v[212:213], v[238:239], v[190:191]
	v_mul_f64 v[190:191], v[236:237], v[190:191]
	s_delay_alu instid0(VALU_DEP_2) | instskip(NEXT) | instid1(VALU_DEP_2)
	v_fma_f64 v[244:245], v[236:237], v[188:189], -v[212:213]
	v_fma_f64 v[190:191], v[238:239], v[188:189], v[190:191]
	ds_load_2addr_b64 v[236:239], v246 offset0:24 offset1:25
	s_waitcnt lgkmcnt(0)
	v_mul_f64 v[188:189], v[238:239], v[190:191]
	v_mul_f64 v[212:213], v[236:237], v[190:191]
	s_delay_alu instid0(VALU_DEP_2) | instskip(NEXT) | instid1(VALU_DEP_2)
	v_fma_f64 v[188:189], v[236:237], v[244:245], -v[188:189]
	v_fma_f64 v[212:213], v[238:239], v[244:245], v[212:213]
	ds_load_2addr_b64 v[236:239], v246 offset0:26 offset1:27
	v_add_f64 v[184:185], v[184:185], -v[188:189]
	v_add_f64 v[186:187], v[186:187], -v[212:213]
	s_waitcnt lgkmcnt(0)
	v_mul_f64 v[188:189], v[238:239], v[190:191]
	v_mul_f64 v[212:213], v[236:237], v[190:191]
	s_delay_alu instid0(VALU_DEP_2) | instskip(NEXT) | instid1(VALU_DEP_2)
	v_fma_f64 v[188:189], v[236:237], v[244:245], -v[188:189]
	v_fma_f64 v[212:213], v[238:239], v[244:245], v[212:213]
	ds_load_2addr_b64 v[236:239], v246 offset0:28 offset1:29
	v_add_f64 v[180:181], v[180:181], -v[188:189]
	v_add_f64 v[182:183], v[182:183], -v[212:213]
	;; [unrolled: 9-line block ×46, first 2 shown]
	s_waitcnt lgkmcnt(0)
	v_mul_f64 v[188:189], v[238:239], v[190:191]
	v_mul_f64 v[212:213], v[236:237], v[190:191]
	s_delay_alu instid0(VALU_DEP_2) | instskip(NEXT) | instid1(VALU_DEP_2)
	v_fma_f64 v[188:189], v[236:237], v[244:245], -v[188:189]
	v_fma_f64 v[212:213], v[238:239], v[244:245], v[212:213]
	s_delay_alu instid0(VALU_DEP_2) | instskip(NEXT) | instid1(VALU_DEP_2)
	v_add_f64 v[224:225], v[224:225], -v[188:189]
	v_add_f64 v[226:227], v[226:227], -v[212:213]
	v_dual_mov_b32 v188, v244 :: v_dual_mov_b32 v189, v245
.LBB116_251:
	s_or_b32 exec_lo, exec_lo, s2
	v_lshl_add_u32 v212, v252, 4, v246
	s_barrier
	buffer_gl0_inv
	v_mov_b32_e32 v244, 12
	ds_store_2addr_b64 v212, v[184:185], v[186:187] offset1:1
	s_waitcnt lgkmcnt(0)
	s_barrier
	buffer_gl0_inv
	ds_load_2addr_b64 v[236:239], v246 offset0:24 offset1:25
	s_cmp_lt_i32 s12, 14
	s_cbranch_scc1 .LBB116_254
; %bb.252:
	v_add3_u32 v245, v234, 0, 0xd0
	v_mov_b32_e32 v244, 12
	s_mov_b32 s6, 13
	s_set_inst_prefetch_distance 0x1
	.p2align	6
.LBB116_253:                            ; =>This Inner Loop Header: Depth=1
	ds_load_2addr_b64 v[240:243], v245 offset1:1
	s_waitcnt lgkmcnt(1)
	v_cmp_gt_f64_e32 vcc_lo, 0, v[236:237]
	v_cmp_gt_f64_e64 s2, 0, v[238:239]
	v_xor_b32_e32 v213, 0x80000000, v237
	v_xor_b32_e32 v215, 0x80000000, v239
	v_add_nc_u32_e32 v245, 16, v245
	s_waitcnt lgkmcnt(0)
	v_cmp_gt_f64_e64 s3, 0, v[240:241]
	v_cmp_gt_f64_e64 s4, 0, v[242:243]
	v_xor_b32_e32 v219, 0x80000000, v241
	v_xor_b32_e32 v220, 0x80000000, v243
	v_mov_b32_e32 v214, v242
	v_mov_b32_e32 v212, v240
	v_cndmask_b32_e32 v216, v237, v213, vcc_lo
	v_cndmask_b32_e64 v218, v239, v215, s2
	v_cndmask_b32_e32 v215, v236, v236, vcc_lo
	v_cndmask_b32_e64 v217, v238, v238, s2
	s_delay_alu instid0(VALU_DEP_1) | instskip(SKIP_2) | instid1(VALU_DEP_1)
	v_add_f64 v[216:217], v[215:216], v[217:218]
	v_cndmask_b32_e64 v213, v241, v219, s3
	v_cndmask_b32_e64 v215, v243, v220, s4
	v_add_f64 v[212:213], v[212:213], v[214:215]
	s_delay_alu instid0(VALU_DEP_1)
	v_cmp_lt_f64_e32 vcc_lo, v[216:217], v[212:213]
	v_cndmask_b32_e32 v239, v239, v243, vcc_lo
	v_dual_cndmask_b32 v237, v237, v241 :: v_dual_cndmask_b32 v236, v236, v240
	v_cndmask_b32_e32 v238, v238, v242, vcc_lo
	v_cndmask_b32_e64 v244, v244, s6, vcc_lo
	s_add_i32 s6, s6, 1
	s_delay_alu instid0(SALU_CYCLE_1)
	s_cmp_lg_u32 s12, s6
	s_cbranch_scc1 .LBB116_253
.LBB116_254:
	s_set_inst_prefetch_distance 0x2
	s_waitcnt lgkmcnt(0)
	v_cmp_eq_f64_e32 vcc_lo, 0, v[236:237]
	v_cmp_eq_f64_e64 s2, 0, v[238:239]
	s_delay_alu instid0(VALU_DEP_1) | instskip(NEXT) | instid1(SALU_CYCLE_1)
	s_and_b32 s2, vcc_lo, s2
	s_and_saveexec_b32 s3, s2
	s_delay_alu instid0(SALU_CYCLE_1)
	s_xor_b32 s2, exec_lo, s3
; %bb.255:
	v_cmp_ne_u32_e32 vcc_lo, 0, v249
	v_cndmask_b32_e32 v249, 13, v249, vcc_lo
; %bb.256:
	s_and_not1_saveexec_b32 s3, s2
	s_cbranch_execz .LBB116_262
; %bb.257:
	v_cmp_gt_f64_e32 vcc_lo, 0, v[236:237]
	v_cmp_gt_f64_e64 s2, 0, v[238:239]
	v_xor_b32_e32 v212, 0x80000000, v237
	v_xor_b32_e32 v214, 0x80000000, v239
	s_delay_alu instid0(VALU_DEP_2) | instskip(NEXT) | instid1(VALU_DEP_2)
	v_cndmask_b32_e32 v213, v237, v212, vcc_lo
	v_cndmask_b32_e64 v215, v239, v214, s2
	v_cndmask_b32_e32 v212, v236, v236, vcc_lo
	v_cndmask_b32_e64 v214, v238, v238, s2
	s_mov_b32 s2, exec_lo
	s_delay_alu instid0(VALU_DEP_1)
	v_cmpx_ngt_f64_e32 v[212:213], v[214:215]
	s_xor_b32 s2, exec_lo, s2
	s_cbranch_execz .LBB116_259
; %bb.258:
	v_div_scale_f64 v[212:213], null, v[238:239], v[238:239], v[236:237]
	v_div_scale_f64 v[218:219], vcc_lo, v[236:237], v[238:239], v[236:237]
	s_delay_alu instid0(VALU_DEP_2) | instskip(SKIP_2) | instid1(VALU_DEP_1)
	v_rcp_f64_e32 v[214:215], v[212:213]
	s_waitcnt_depctr 0xfff
	v_fma_f64 v[216:217], -v[212:213], v[214:215], 1.0
	v_fma_f64 v[214:215], v[214:215], v[216:217], v[214:215]
	s_delay_alu instid0(VALU_DEP_1) | instskip(NEXT) | instid1(VALU_DEP_1)
	v_fma_f64 v[216:217], -v[212:213], v[214:215], 1.0
	v_fma_f64 v[214:215], v[214:215], v[216:217], v[214:215]
	s_delay_alu instid0(VALU_DEP_1) | instskip(NEXT) | instid1(VALU_DEP_1)
	v_mul_f64 v[216:217], v[218:219], v[214:215]
	v_fma_f64 v[212:213], -v[212:213], v[216:217], v[218:219]
	s_delay_alu instid0(VALU_DEP_1) | instskip(NEXT) | instid1(VALU_DEP_1)
	v_div_fmas_f64 v[212:213], v[212:213], v[214:215], v[216:217]
	v_div_fixup_f64 v[212:213], v[212:213], v[238:239], v[236:237]
	s_delay_alu instid0(VALU_DEP_1) | instskip(NEXT) | instid1(VALU_DEP_1)
	v_fma_f64 v[214:215], v[236:237], v[212:213], v[238:239]
	v_div_scale_f64 v[216:217], null, v[214:215], v[214:215], 1.0
	s_delay_alu instid0(VALU_DEP_1) | instskip(SKIP_2) | instid1(VALU_DEP_1)
	v_rcp_f64_e32 v[218:219], v[216:217]
	s_waitcnt_depctr 0xfff
	v_fma_f64 v[220:221], -v[216:217], v[218:219], 1.0
	v_fma_f64 v[218:219], v[218:219], v[220:221], v[218:219]
	s_delay_alu instid0(VALU_DEP_1) | instskip(NEXT) | instid1(VALU_DEP_1)
	v_fma_f64 v[220:221], -v[216:217], v[218:219], 1.0
	v_fma_f64 v[218:219], v[218:219], v[220:221], v[218:219]
	v_div_scale_f64 v[220:221], vcc_lo, 1.0, v[214:215], 1.0
	s_delay_alu instid0(VALU_DEP_1) | instskip(NEXT) | instid1(VALU_DEP_1)
	v_mul_f64 v[222:223], v[220:221], v[218:219]
	v_fma_f64 v[216:217], -v[216:217], v[222:223], v[220:221]
	s_delay_alu instid0(VALU_DEP_1) | instskip(NEXT) | instid1(VALU_DEP_1)
	v_div_fmas_f64 v[216:217], v[216:217], v[218:219], v[222:223]
	v_div_fixup_f64 v[238:239], v[216:217], v[214:215], 1.0
	s_delay_alu instid0(VALU_DEP_1)
	v_mul_f64 v[236:237], v[212:213], v[238:239]
	v_xor_b32_e32 v239, 0x80000000, v239
.LBB116_259:
	s_and_not1_saveexec_b32 s2, s2
	s_cbranch_execz .LBB116_261
; %bb.260:
	s_delay_alu instid0(VALU_DEP_1) | instskip(SKIP_1) | instid1(VALU_DEP_2)
	v_div_scale_f64 v[212:213], null, v[236:237], v[236:237], v[238:239]
	v_div_scale_f64 v[218:219], vcc_lo, v[238:239], v[236:237], v[238:239]
	v_rcp_f64_e32 v[214:215], v[212:213]
	s_waitcnt_depctr 0xfff
	v_fma_f64 v[216:217], -v[212:213], v[214:215], 1.0
	s_delay_alu instid0(VALU_DEP_1) | instskip(NEXT) | instid1(VALU_DEP_1)
	v_fma_f64 v[214:215], v[214:215], v[216:217], v[214:215]
	v_fma_f64 v[216:217], -v[212:213], v[214:215], 1.0
	s_delay_alu instid0(VALU_DEP_1) | instskip(NEXT) | instid1(VALU_DEP_1)
	v_fma_f64 v[214:215], v[214:215], v[216:217], v[214:215]
	v_mul_f64 v[216:217], v[218:219], v[214:215]
	s_delay_alu instid0(VALU_DEP_1) | instskip(NEXT) | instid1(VALU_DEP_1)
	v_fma_f64 v[212:213], -v[212:213], v[216:217], v[218:219]
	v_div_fmas_f64 v[212:213], v[212:213], v[214:215], v[216:217]
	s_delay_alu instid0(VALU_DEP_1) | instskip(NEXT) | instid1(VALU_DEP_1)
	v_div_fixup_f64 v[212:213], v[212:213], v[236:237], v[238:239]
	v_fma_f64 v[214:215], v[238:239], v[212:213], v[236:237]
	s_delay_alu instid0(VALU_DEP_1) | instskip(NEXT) | instid1(VALU_DEP_1)
	v_div_scale_f64 v[216:217], null, v[214:215], v[214:215], 1.0
	v_rcp_f64_e32 v[218:219], v[216:217]
	s_waitcnt_depctr 0xfff
	v_fma_f64 v[220:221], -v[216:217], v[218:219], 1.0
	s_delay_alu instid0(VALU_DEP_1) | instskip(NEXT) | instid1(VALU_DEP_1)
	v_fma_f64 v[218:219], v[218:219], v[220:221], v[218:219]
	v_fma_f64 v[220:221], -v[216:217], v[218:219], 1.0
	s_delay_alu instid0(VALU_DEP_1) | instskip(SKIP_1) | instid1(VALU_DEP_1)
	v_fma_f64 v[218:219], v[218:219], v[220:221], v[218:219]
	v_div_scale_f64 v[220:221], vcc_lo, 1.0, v[214:215], 1.0
	v_mul_f64 v[222:223], v[220:221], v[218:219]
	s_delay_alu instid0(VALU_DEP_1) | instskip(NEXT) | instid1(VALU_DEP_1)
	v_fma_f64 v[216:217], -v[216:217], v[222:223], v[220:221]
	v_div_fmas_f64 v[216:217], v[216:217], v[218:219], v[222:223]
	s_delay_alu instid0(VALU_DEP_1) | instskip(NEXT) | instid1(VALU_DEP_1)
	v_div_fixup_f64 v[236:237], v[216:217], v[214:215], 1.0
	v_mul_f64 v[238:239], v[212:213], -v[236:237]
.LBB116_261:
	s_or_b32 exec_lo, exec_lo, s2
.LBB116_262:
	s_delay_alu instid0(SALU_CYCLE_1) | instskip(NEXT) | instid1(SALU_CYCLE_1)
	s_or_b32 exec_lo, exec_lo, s3
	s_mov_b32 s2, exec_lo
	v_cmpx_ne_u32_e64 v252, v244
	s_xor_b32 s2, exec_lo, s2
	s_cbranch_execz .LBB116_268
; %bb.263:
	s_mov_b32 s3, exec_lo
	v_cmpx_eq_u32_e32 12, v252
	s_cbranch_execz .LBB116_267
; %bb.264:
	v_cmp_ne_u32_e32 vcc_lo, 12, v244
	s_xor_b32 s4, s5, -1
	s_delay_alu instid0(SALU_CYCLE_1) | instskip(NEXT) | instid1(SALU_CYCLE_1)
	s_and_b32 s6, s4, vcc_lo
	s_and_saveexec_b32 s4, s6
	s_cbranch_execz .LBB116_266
; %bb.265:
	scratch_load_b64 v[208:209], off, off offset:16 ; 8-byte Folded Reload
	v_ashrrev_i32_e32 v245, 31, v244
	s_delay_alu instid0(VALU_DEP_1) | instskip(SKIP_1) | instid1(VALU_DEP_1)
	v_lshlrev_b64 v[212:213], 2, v[244:245]
	s_waitcnt vmcnt(0)
	v_add_co_u32 v212, vcc_lo, v208, v212
	s_delay_alu instid0(VALU_DEP_2)
	v_add_co_ci_u32_e32 v213, vcc_lo, v209, v213, vcc_lo
	s_clause 0x1
	flat_load_b32 v214, v[212:213]
	flat_load_b32 v215, v[208:209] offset:48
	s_waitcnt vmcnt(1) lgkmcnt(1)
	flat_store_b32 v[208:209], v214 offset:48
	s_waitcnt vmcnt(0) lgkmcnt(1)
	flat_store_b32 v[212:213], v215
.LBB116_266:
	s_or_b32 exec_lo, exec_lo, s4
	v_mov_b32_e32 v252, v244
	v_mov_b32_e32 v251, v244
.LBB116_267:
	s_or_b32 exec_lo, exec_lo, s3
.LBB116_268:
	s_and_not1_saveexec_b32 s2, s2
	s_cbranch_execz .LBB116_270
; %bb.269:
	v_mov_b32_e32 v252, 12
	ds_store_2addr_b64 v246, v[180:181], v[182:183] offset0:26 offset1:27
	ds_store_2addr_b64 v246, v[176:177], v[178:179] offset0:28 offset1:29
	;; [unrolled: 1-line block ×46, first 2 shown]
.LBB116_270:
	s_or_b32 exec_lo, exec_lo, s2
	s_delay_alu instid0(SALU_CYCLE_1)
	s_mov_b32 s2, exec_lo
	s_waitcnt lgkmcnt(0)
	s_waitcnt_vscnt null, 0x0
	s_barrier
	buffer_gl0_inv
	v_cmpx_lt_i32_e32 12, v252
	s_cbranch_execz .LBB116_272
; %bb.271:
	v_mul_f64 v[212:213], v[238:239], v[186:187]
	v_mul_f64 v[186:187], v[236:237], v[186:187]
	s_delay_alu instid0(VALU_DEP_2) | instskip(NEXT) | instid1(VALU_DEP_2)
	v_fma_f64 v[244:245], v[236:237], v[184:185], -v[212:213]
	v_fma_f64 v[186:187], v[238:239], v[184:185], v[186:187]
	ds_load_2addr_b64 v[236:239], v246 offset0:26 offset1:27
	s_waitcnt lgkmcnt(0)
	v_mul_f64 v[184:185], v[238:239], v[186:187]
	v_mul_f64 v[212:213], v[236:237], v[186:187]
	s_delay_alu instid0(VALU_DEP_2) | instskip(NEXT) | instid1(VALU_DEP_2)
	v_fma_f64 v[184:185], v[236:237], v[244:245], -v[184:185]
	v_fma_f64 v[212:213], v[238:239], v[244:245], v[212:213]
	ds_load_2addr_b64 v[236:239], v246 offset0:28 offset1:29
	v_add_f64 v[180:181], v[180:181], -v[184:185]
	v_add_f64 v[182:183], v[182:183], -v[212:213]
	s_waitcnt lgkmcnt(0)
	v_mul_f64 v[184:185], v[238:239], v[186:187]
	v_mul_f64 v[212:213], v[236:237], v[186:187]
	s_delay_alu instid0(VALU_DEP_2) | instskip(NEXT) | instid1(VALU_DEP_2)
	v_fma_f64 v[184:185], v[236:237], v[244:245], -v[184:185]
	v_fma_f64 v[212:213], v[238:239], v[244:245], v[212:213]
	ds_load_2addr_b64 v[236:239], v246 offset0:30 offset1:31
	v_add_f64 v[176:177], v[176:177], -v[184:185]
	v_add_f64 v[178:179], v[178:179], -v[212:213]
	;; [unrolled: 9-line block ×45, first 2 shown]
	s_waitcnt lgkmcnt(0)
	v_mul_f64 v[184:185], v[238:239], v[186:187]
	v_mul_f64 v[212:213], v[236:237], v[186:187]
	s_delay_alu instid0(VALU_DEP_2) | instskip(NEXT) | instid1(VALU_DEP_2)
	v_fma_f64 v[184:185], v[236:237], v[244:245], -v[184:185]
	v_fma_f64 v[212:213], v[238:239], v[244:245], v[212:213]
	s_delay_alu instid0(VALU_DEP_2) | instskip(NEXT) | instid1(VALU_DEP_2)
	v_add_f64 v[224:225], v[224:225], -v[184:185]
	v_add_f64 v[226:227], v[226:227], -v[212:213]
	v_dual_mov_b32 v184, v244 :: v_dual_mov_b32 v185, v245
.LBB116_272:
	s_or_b32 exec_lo, exec_lo, s2
	v_lshl_add_u32 v212, v252, 4, v246
	s_barrier
	buffer_gl0_inv
	v_mov_b32_e32 v244, 13
	ds_store_2addr_b64 v212, v[180:181], v[182:183] offset1:1
	s_waitcnt lgkmcnt(0)
	s_barrier
	buffer_gl0_inv
	ds_load_2addr_b64 v[236:239], v246 offset0:26 offset1:27
	s_cmp_lt_i32 s12, 15
	s_cbranch_scc1 .LBB116_275
; %bb.273:
	v_add3_u32 v245, v234, 0, 0xe0
	v_mov_b32_e32 v244, 13
	s_mov_b32 s6, 14
	s_set_inst_prefetch_distance 0x1
	.p2align	6
.LBB116_274:                            ; =>This Inner Loop Header: Depth=1
	ds_load_2addr_b64 v[240:243], v245 offset1:1
	s_waitcnt lgkmcnt(1)
	v_cmp_gt_f64_e32 vcc_lo, 0, v[236:237]
	v_cmp_gt_f64_e64 s2, 0, v[238:239]
	v_xor_b32_e32 v213, 0x80000000, v237
	v_xor_b32_e32 v215, 0x80000000, v239
	v_add_nc_u32_e32 v245, 16, v245
	s_waitcnt lgkmcnt(0)
	v_cmp_gt_f64_e64 s3, 0, v[240:241]
	v_cmp_gt_f64_e64 s4, 0, v[242:243]
	v_xor_b32_e32 v219, 0x80000000, v241
	v_xor_b32_e32 v220, 0x80000000, v243
	v_mov_b32_e32 v214, v242
	v_mov_b32_e32 v212, v240
	v_cndmask_b32_e32 v216, v237, v213, vcc_lo
	v_cndmask_b32_e64 v218, v239, v215, s2
	v_cndmask_b32_e32 v215, v236, v236, vcc_lo
	v_cndmask_b32_e64 v217, v238, v238, s2
	s_delay_alu instid0(VALU_DEP_1) | instskip(SKIP_2) | instid1(VALU_DEP_1)
	v_add_f64 v[216:217], v[215:216], v[217:218]
	v_cndmask_b32_e64 v213, v241, v219, s3
	v_cndmask_b32_e64 v215, v243, v220, s4
	v_add_f64 v[212:213], v[212:213], v[214:215]
	s_delay_alu instid0(VALU_DEP_1)
	v_cmp_lt_f64_e32 vcc_lo, v[216:217], v[212:213]
	v_cndmask_b32_e32 v239, v239, v243, vcc_lo
	v_dual_cndmask_b32 v237, v237, v241 :: v_dual_cndmask_b32 v236, v236, v240
	v_cndmask_b32_e32 v238, v238, v242, vcc_lo
	v_cndmask_b32_e64 v244, v244, s6, vcc_lo
	s_add_i32 s6, s6, 1
	s_delay_alu instid0(SALU_CYCLE_1)
	s_cmp_lg_u32 s12, s6
	s_cbranch_scc1 .LBB116_274
.LBB116_275:
	s_set_inst_prefetch_distance 0x2
	s_waitcnt lgkmcnt(0)
	v_cmp_eq_f64_e32 vcc_lo, 0, v[236:237]
	v_cmp_eq_f64_e64 s2, 0, v[238:239]
	s_delay_alu instid0(VALU_DEP_1) | instskip(NEXT) | instid1(SALU_CYCLE_1)
	s_and_b32 s2, vcc_lo, s2
	s_and_saveexec_b32 s3, s2
	s_delay_alu instid0(SALU_CYCLE_1)
	s_xor_b32 s2, exec_lo, s3
; %bb.276:
	v_cmp_ne_u32_e32 vcc_lo, 0, v249
	v_cndmask_b32_e32 v249, 14, v249, vcc_lo
; %bb.277:
	s_and_not1_saveexec_b32 s3, s2
	s_cbranch_execz .LBB116_283
; %bb.278:
	v_cmp_gt_f64_e32 vcc_lo, 0, v[236:237]
	v_cmp_gt_f64_e64 s2, 0, v[238:239]
	v_xor_b32_e32 v212, 0x80000000, v237
	v_xor_b32_e32 v214, 0x80000000, v239
	s_delay_alu instid0(VALU_DEP_2) | instskip(NEXT) | instid1(VALU_DEP_2)
	v_cndmask_b32_e32 v213, v237, v212, vcc_lo
	v_cndmask_b32_e64 v215, v239, v214, s2
	v_cndmask_b32_e32 v212, v236, v236, vcc_lo
	v_cndmask_b32_e64 v214, v238, v238, s2
	s_mov_b32 s2, exec_lo
	s_delay_alu instid0(VALU_DEP_1)
	v_cmpx_ngt_f64_e32 v[212:213], v[214:215]
	s_xor_b32 s2, exec_lo, s2
	s_cbranch_execz .LBB116_280
; %bb.279:
	v_div_scale_f64 v[212:213], null, v[238:239], v[238:239], v[236:237]
	v_div_scale_f64 v[218:219], vcc_lo, v[236:237], v[238:239], v[236:237]
	s_delay_alu instid0(VALU_DEP_2) | instskip(SKIP_2) | instid1(VALU_DEP_1)
	v_rcp_f64_e32 v[214:215], v[212:213]
	s_waitcnt_depctr 0xfff
	v_fma_f64 v[216:217], -v[212:213], v[214:215], 1.0
	v_fma_f64 v[214:215], v[214:215], v[216:217], v[214:215]
	s_delay_alu instid0(VALU_DEP_1) | instskip(NEXT) | instid1(VALU_DEP_1)
	v_fma_f64 v[216:217], -v[212:213], v[214:215], 1.0
	v_fma_f64 v[214:215], v[214:215], v[216:217], v[214:215]
	s_delay_alu instid0(VALU_DEP_1) | instskip(NEXT) | instid1(VALU_DEP_1)
	v_mul_f64 v[216:217], v[218:219], v[214:215]
	v_fma_f64 v[212:213], -v[212:213], v[216:217], v[218:219]
	s_delay_alu instid0(VALU_DEP_1) | instskip(NEXT) | instid1(VALU_DEP_1)
	v_div_fmas_f64 v[212:213], v[212:213], v[214:215], v[216:217]
	v_div_fixup_f64 v[212:213], v[212:213], v[238:239], v[236:237]
	s_delay_alu instid0(VALU_DEP_1) | instskip(NEXT) | instid1(VALU_DEP_1)
	v_fma_f64 v[214:215], v[236:237], v[212:213], v[238:239]
	v_div_scale_f64 v[216:217], null, v[214:215], v[214:215], 1.0
	s_delay_alu instid0(VALU_DEP_1) | instskip(SKIP_2) | instid1(VALU_DEP_1)
	v_rcp_f64_e32 v[218:219], v[216:217]
	s_waitcnt_depctr 0xfff
	v_fma_f64 v[220:221], -v[216:217], v[218:219], 1.0
	v_fma_f64 v[218:219], v[218:219], v[220:221], v[218:219]
	s_delay_alu instid0(VALU_DEP_1) | instskip(NEXT) | instid1(VALU_DEP_1)
	v_fma_f64 v[220:221], -v[216:217], v[218:219], 1.0
	v_fma_f64 v[218:219], v[218:219], v[220:221], v[218:219]
	v_div_scale_f64 v[220:221], vcc_lo, 1.0, v[214:215], 1.0
	s_delay_alu instid0(VALU_DEP_1) | instskip(NEXT) | instid1(VALU_DEP_1)
	v_mul_f64 v[222:223], v[220:221], v[218:219]
	v_fma_f64 v[216:217], -v[216:217], v[222:223], v[220:221]
	s_delay_alu instid0(VALU_DEP_1) | instskip(NEXT) | instid1(VALU_DEP_1)
	v_div_fmas_f64 v[216:217], v[216:217], v[218:219], v[222:223]
	v_div_fixup_f64 v[238:239], v[216:217], v[214:215], 1.0
	s_delay_alu instid0(VALU_DEP_1)
	v_mul_f64 v[236:237], v[212:213], v[238:239]
	v_xor_b32_e32 v239, 0x80000000, v239
.LBB116_280:
	s_and_not1_saveexec_b32 s2, s2
	s_cbranch_execz .LBB116_282
; %bb.281:
	s_delay_alu instid0(VALU_DEP_1) | instskip(SKIP_1) | instid1(VALU_DEP_2)
	v_div_scale_f64 v[212:213], null, v[236:237], v[236:237], v[238:239]
	v_div_scale_f64 v[218:219], vcc_lo, v[238:239], v[236:237], v[238:239]
	v_rcp_f64_e32 v[214:215], v[212:213]
	s_waitcnt_depctr 0xfff
	v_fma_f64 v[216:217], -v[212:213], v[214:215], 1.0
	s_delay_alu instid0(VALU_DEP_1) | instskip(NEXT) | instid1(VALU_DEP_1)
	v_fma_f64 v[214:215], v[214:215], v[216:217], v[214:215]
	v_fma_f64 v[216:217], -v[212:213], v[214:215], 1.0
	s_delay_alu instid0(VALU_DEP_1) | instskip(NEXT) | instid1(VALU_DEP_1)
	v_fma_f64 v[214:215], v[214:215], v[216:217], v[214:215]
	v_mul_f64 v[216:217], v[218:219], v[214:215]
	s_delay_alu instid0(VALU_DEP_1) | instskip(NEXT) | instid1(VALU_DEP_1)
	v_fma_f64 v[212:213], -v[212:213], v[216:217], v[218:219]
	v_div_fmas_f64 v[212:213], v[212:213], v[214:215], v[216:217]
	s_delay_alu instid0(VALU_DEP_1) | instskip(NEXT) | instid1(VALU_DEP_1)
	v_div_fixup_f64 v[212:213], v[212:213], v[236:237], v[238:239]
	v_fma_f64 v[214:215], v[238:239], v[212:213], v[236:237]
	s_delay_alu instid0(VALU_DEP_1) | instskip(NEXT) | instid1(VALU_DEP_1)
	v_div_scale_f64 v[216:217], null, v[214:215], v[214:215], 1.0
	v_rcp_f64_e32 v[218:219], v[216:217]
	s_waitcnt_depctr 0xfff
	v_fma_f64 v[220:221], -v[216:217], v[218:219], 1.0
	s_delay_alu instid0(VALU_DEP_1) | instskip(NEXT) | instid1(VALU_DEP_1)
	v_fma_f64 v[218:219], v[218:219], v[220:221], v[218:219]
	v_fma_f64 v[220:221], -v[216:217], v[218:219], 1.0
	s_delay_alu instid0(VALU_DEP_1) | instskip(SKIP_1) | instid1(VALU_DEP_1)
	v_fma_f64 v[218:219], v[218:219], v[220:221], v[218:219]
	v_div_scale_f64 v[220:221], vcc_lo, 1.0, v[214:215], 1.0
	v_mul_f64 v[222:223], v[220:221], v[218:219]
	s_delay_alu instid0(VALU_DEP_1) | instskip(NEXT) | instid1(VALU_DEP_1)
	v_fma_f64 v[216:217], -v[216:217], v[222:223], v[220:221]
	v_div_fmas_f64 v[216:217], v[216:217], v[218:219], v[222:223]
	s_delay_alu instid0(VALU_DEP_1) | instskip(NEXT) | instid1(VALU_DEP_1)
	v_div_fixup_f64 v[236:237], v[216:217], v[214:215], 1.0
	v_mul_f64 v[238:239], v[212:213], -v[236:237]
.LBB116_282:
	s_or_b32 exec_lo, exec_lo, s2
.LBB116_283:
	s_delay_alu instid0(SALU_CYCLE_1) | instskip(NEXT) | instid1(SALU_CYCLE_1)
	s_or_b32 exec_lo, exec_lo, s3
	s_mov_b32 s2, exec_lo
	v_cmpx_ne_u32_e64 v252, v244
	s_xor_b32 s2, exec_lo, s2
	s_cbranch_execz .LBB116_289
; %bb.284:
	s_mov_b32 s3, exec_lo
	v_cmpx_eq_u32_e32 13, v252
	s_cbranch_execz .LBB116_288
; %bb.285:
	v_cmp_ne_u32_e32 vcc_lo, 13, v244
	s_xor_b32 s4, s5, -1
	s_delay_alu instid0(SALU_CYCLE_1) | instskip(NEXT) | instid1(SALU_CYCLE_1)
	s_and_b32 s6, s4, vcc_lo
	s_and_saveexec_b32 s4, s6
	s_cbranch_execz .LBB116_287
; %bb.286:
	scratch_load_b64 v[208:209], off, off offset:16 ; 8-byte Folded Reload
	v_ashrrev_i32_e32 v245, 31, v244
	s_delay_alu instid0(VALU_DEP_1) | instskip(SKIP_1) | instid1(VALU_DEP_1)
	v_lshlrev_b64 v[212:213], 2, v[244:245]
	s_waitcnt vmcnt(0)
	v_add_co_u32 v212, vcc_lo, v208, v212
	s_delay_alu instid0(VALU_DEP_2)
	v_add_co_ci_u32_e32 v213, vcc_lo, v209, v213, vcc_lo
	s_clause 0x1
	flat_load_b32 v214, v[212:213]
	flat_load_b32 v215, v[208:209] offset:52
	s_waitcnt vmcnt(1) lgkmcnt(1)
	flat_store_b32 v[208:209], v214 offset:52
	s_waitcnt vmcnt(0) lgkmcnt(1)
	flat_store_b32 v[212:213], v215
.LBB116_287:
	s_or_b32 exec_lo, exec_lo, s4
	v_mov_b32_e32 v252, v244
	v_mov_b32_e32 v251, v244
.LBB116_288:
	s_or_b32 exec_lo, exec_lo, s3
.LBB116_289:
	s_and_not1_saveexec_b32 s2, s2
	s_cbranch_execz .LBB116_291
; %bb.290:
	v_mov_b32_e32 v252, 13
	ds_store_2addr_b64 v246, v[176:177], v[178:179] offset0:28 offset1:29
	ds_store_2addr_b64 v246, v[172:173], v[174:175] offset0:30 offset1:31
	;; [unrolled: 1-line block ×45, first 2 shown]
.LBB116_291:
	s_or_b32 exec_lo, exec_lo, s2
	s_delay_alu instid0(SALU_CYCLE_1)
	s_mov_b32 s2, exec_lo
	s_waitcnt lgkmcnt(0)
	s_waitcnt_vscnt null, 0x0
	s_barrier
	buffer_gl0_inv
	v_cmpx_lt_i32_e32 13, v252
	s_cbranch_execz .LBB116_293
; %bb.292:
	v_mul_f64 v[212:213], v[238:239], v[182:183]
	v_mul_f64 v[182:183], v[236:237], v[182:183]
	s_delay_alu instid0(VALU_DEP_2) | instskip(NEXT) | instid1(VALU_DEP_2)
	v_fma_f64 v[244:245], v[236:237], v[180:181], -v[212:213]
	v_fma_f64 v[182:183], v[238:239], v[180:181], v[182:183]
	ds_load_2addr_b64 v[236:239], v246 offset0:28 offset1:29
	s_waitcnt lgkmcnt(0)
	v_mul_f64 v[180:181], v[238:239], v[182:183]
	v_mul_f64 v[212:213], v[236:237], v[182:183]
	s_delay_alu instid0(VALU_DEP_2) | instskip(NEXT) | instid1(VALU_DEP_2)
	v_fma_f64 v[180:181], v[236:237], v[244:245], -v[180:181]
	v_fma_f64 v[212:213], v[238:239], v[244:245], v[212:213]
	ds_load_2addr_b64 v[236:239], v246 offset0:30 offset1:31
	v_add_f64 v[176:177], v[176:177], -v[180:181]
	v_add_f64 v[178:179], v[178:179], -v[212:213]
	s_waitcnt lgkmcnt(0)
	v_mul_f64 v[180:181], v[238:239], v[182:183]
	v_mul_f64 v[212:213], v[236:237], v[182:183]
	s_delay_alu instid0(VALU_DEP_2) | instskip(NEXT) | instid1(VALU_DEP_2)
	v_fma_f64 v[180:181], v[236:237], v[244:245], -v[180:181]
	v_fma_f64 v[212:213], v[238:239], v[244:245], v[212:213]
	ds_load_2addr_b64 v[236:239], v246 offset0:32 offset1:33
	v_add_f64 v[172:173], v[172:173], -v[180:181]
	v_add_f64 v[174:175], v[174:175], -v[212:213]
	s_waitcnt lgkmcnt(0)
	v_mul_f64 v[180:181], v[238:239], v[182:183]
	v_mul_f64 v[212:213], v[236:237], v[182:183]
	s_delay_alu instid0(VALU_DEP_2) | instskip(NEXT) | instid1(VALU_DEP_2)
	v_fma_f64 v[180:181], v[236:237], v[244:245], -v[180:181]
	v_fma_f64 v[212:213], v[238:239], v[244:245], v[212:213]
	ds_load_2addr_b64 v[236:239], v246 offset0:34 offset1:35
	v_add_f64 v[168:169], v[168:169], -v[180:181]
	v_add_f64 v[170:171], v[170:171], -v[212:213]
	s_waitcnt lgkmcnt(0)
	v_mul_f64 v[180:181], v[238:239], v[182:183]
	v_mul_f64 v[212:213], v[236:237], v[182:183]
	s_delay_alu instid0(VALU_DEP_2) | instskip(NEXT) | instid1(VALU_DEP_2)
	v_fma_f64 v[180:181], v[236:237], v[244:245], -v[180:181]
	v_fma_f64 v[212:213], v[238:239], v[244:245], v[212:213]
	ds_load_2addr_b64 v[236:239], v246 offset0:36 offset1:37
	v_add_f64 v[164:165], v[164:165], -v[180:181]
	v_add_f64 v[166:167], v[166:167], -v[212:213]
	s_waitcnt lgkmcnt(0)
	v_mul_f64 v[180:181], v[238:239], v[182:183]
	v_mul_f64 v[212:213], v[236:237], v[182:183]
	s_delay_alu instid0(VALU_DEP_2) | instskip(NEXT) | instid1(VALU_DEP_2)
	v_fma_f64 v[180:181], v[236:237], v[244:245], -v[180:181]
	v_fma_f64 v[212:213], v[238:239], v[244:245], v[212:213]
	ds_load_2addr_b64 v[236:239], v246 offset0:38 offset1:39
	v_add_f64 v[160:161], v[160:161], -v[180:181]
	v_add_f64 v[162:163], v[162:163], -v[212:213]
	s_waitcnt lgkmcnt(0)
	v_mul_f64 v[180:181], v[238:239], v[182:183]
	v_mul_f64 v[212:213], v[236:237], v[182:183]
	s_delay_alu instid0(VALU_DEP_2) | instskip(NEXT) | instid1(VALU_DEP_2)
	v_fma_f64 v[180:181], v[236:237], v[244:245], -v[180:181]
	v_fma_f64 v[212:213], v[238:239], v[244:245], v[212:213]
	ds_load_2addr_b64 v[236:239], v246 offset0:40 offset1:41
	v_add_f64 v[156:157], v[156:157], -v[180:181]
	v_add_f64 v[158:159], v[158:159], -v[212:213]
	s_waitcnt lgkmcnt(0)
	v_mul_f64 v[180:181], v[238:239], v[182:183]
	v_mul_f64 v[212:213], v[236:237], v[182:183]
	s_delay_alu instid0(VALU_DEP_2) | instskip(NEXT) | instid1(VALU_DEP_2)
	v_fma_f64 v[180:181], v[236:237], v[244:245], -v[180:181]
	v_fma_f64 v[212:213], v[238:239], v[244:245], v[212:213]
	ds_load_2addr_b64 v[236:239], v246 offset0:42 offset1:43
	v_add_f64 v[152:153], v[152:153], -v[180:181]
	v_add_f64 v[154:155], v[154:155], -v[212:213]
	s_waitcnt lgkmcnt(0)
	v_mul_f64 v[180:181], v[238:239], v[182:183]
	v_mul_f64 v[212:213], v[236:237], v[182:183]
	s_delay_alu instid0(VALU_DEP_2) | instskip(NEXT) | instid1(VALU_DEP_2)
	v_fma_f64 v[180:181], v[236:237], v[244:245], -v[180:181]
	v_fma_f64 v[212:213], v[238:239], v[244:245], v[212:213]
	ds_load_2addr_b64 v[236:239], v246 offset0:44 offset1:45
	v_add_f64 v[148:149], v[148:149], -v[180:181]
	v_add_f64 v[150:151], v[150:151], -v[212:213]
	s_waitcnt lgkmcnt(0)
	v_mul_f64 v[180:181], v[238:239], v[182:183]
	v_mul_f64 v[212:213], v[236:237], v[182:183]
	s_delay_alu instid0(VALU_DEP_2) | instskip(NEXT) | instid1(VALU_DEP_2)
	v_fma_f64 v[180:181], v[236:237], v[244:245], -v[180:181]
	v_fma_f64 v[212:213], v[238:239], v[244:245], v[212:213]
	ds_load_2addr_b64 v[236:239], v246 offset0:46 offset1:47
	v_add_f64 v[144:145], v[144:145], -v[180:181]
	v_add_f64 v[146:147], v[146:147], -v[212:213]
	s_waitcnt lgkmcnt(0)
	v_mul_f64 v[180:181], v[238:239], v[182:183]
	v_mul_f64 v[212:213], v[236:237], v[182:183]
	s_delay_alu instid0(VALU_DEP_2) | instskip(NEXT) | instid1(VALU_DEP_2)
	v_fma_f64 v[180:181], v[236:237], v[244:245], -v[180:181]
	v_fma_f64 v[212:213], v[238:239], v[244:245], v[212:213]
	ds_load_2addr_b64 v[236:239], v246 offset0:48 offset1:49
	v_add_f64 v[140:141], v[140:141], -v[180:181]
	v_add_f64 v[142:143], v[142:143], -v[212:213]
	s_waitcnt lgkmcnt(0)
	v_mul_f64 v[180:181], v[238:239], v[182:183]
	v_mul_f64 v[212:213], v[236:237], v[182:183]
	s_delay_alu instid0(VALU_DEP_2) | instskip(NEXT) | instid1(VALU_DEP_2)
	v_fma_f64 v[180:181], v[236:237], v[244:245], -v[180:181]
	v_fma_f64 v[212:213], v[238:239], v[244:245], v[212:213]
	ds_load_2addr_b64 v[236:239], v246 offset0:50 offset1:51
	v_add_f64 v[136:137], v[136:137], -v[180:181]
	v_add_f64 v[138:139], v[138:139], -v[212:213]
	s_waitcnt lgkmcnt(0)
	v_mul_f64 v[180:181], v[238:239], v[182:183]
	v_mul_f64 v[212:213], v[236:237], v[182:183]
	s_delay_alu instid0(VALU_DEP_2) | instskip(NEXT) | instid1(VALU_DEP_2)
	v_fma_f64 v[180:181], v[236:237], v[244:245], -v[180:181]
	v_fma_f64 v[212:213], v[238:239], v[244:245], v[212:213]
	ds_load_2addr_b64 v[236:239], v246 offset0:52 offset1:53
	v_add_f64 v[132:133], v[132:133], -v[180:181]
	v_add_f64 v[134:135], v[134:135], -v[212:213]
	s_waitcnt lgkmcnt(0)
	v_mul_f64 v[180:181], v[238:239], v[182:183]
	v_mul_f64 v[212:213], v[236:237], v[182:183]
	s_delay_alu instid0(VALU_DEP_2) | instskip(NEXT) | instid1(VALU_DEP_2)
	v_fma_f64 v[180:181], v[236:237], v[244:245], -v[180:181]
	v_fma_f64 v[212:213], v[238:239], v[244:245], v[212:213]
	ds_load_2addr_b64 v[236:239], v246 offset0:54 offset1:55
	v_add_f64 v[128:129], v[128:129], -v[180:181]
	v_add_f64 v[130:131], v[130:131], -v[212:213]
	s_waitcnt lgkmcnt(0)
	v_mul_f64 v[180:181], v[238:239], v[182:183]
	v_mul_f64 v[212:213], v[236:237], v[182:183]
	s_delay_alu instid0(VALU_DEP_2) | instskip(NEXT) | instid1(VALU_DEP_2)
	v_fma_f64 v[180:181], v[236:237], v[244:245], -v[180:181]
	v_fma_f64 v[212:213], v[238:239], v[244:245], v[212:213]
	ds_load_2addr_b64 v[236:239], v246 offset0:56 offset1:57
	v_add_f64 v[124:125], v[124:125], -v[180:181]
	v_add_f64 v[126:127], v[126:127], -v[212:213]
	s_waitcnt lgkmcnt(0)
	v_mul_f64 v[180:181], v[238:239], v[182:183]
	v_mul_f64 v[212:213], v[236:237], v[182:183]
	s_delay_alu instid0(VALU_DEP_2) | instskip(NEXT) | instid1(VALU_DEP_2)
	v_fma_f64 v[180:181], v[236:237], v[244:245], -v[180:181]
	v_fma_f64 v[212:213], v[238:239], v[244:245], v[212:213]
	ds_load_2addr_b64 v[236:239], v246 offset0:58 offset1:59
	v_add_f64 v[120:121], v[120:121], -v[180:181]
	v_add_f64 v[122:123], v[122:123], -v[212:213]
	s_waitcnt lgkmcnt(0)
	v_mul_f64 v[180:181], v[238:239], v[182:183]
	v_mul_f64 v[212:213], v[236:237], v[182:183]
	s_delay_alu instid0(VALU_DEP_2) | instskip(NEXT) | instid1(VALU_DEP_2)
	v_fma_f64 v[180:181], v[236:237], v[244:245], -v[180:181]
	v_fma_f64 v[212:213], v[238:239], v[244:245], v[212:213]
	ds_load_2addr_b64 v[236:239], v246 offset0:60 offset1:61
	v_add_f64 v[116:117], v[116:117], -v[180:181]
	v_add_f64 v[118:119], v[118:119], -v[212:213]
	s_waitcnt lgkmcnt(0)
	v_mul_f64 v[180:181], v[238:239], v[182:183]
	v_mul_f64 v[212:213], v[236:237], v[182:183]
	s_delay_alu instid0(VALU_DEP_2) | instskip(NEXT) | instid1(VALU_DEP_2)
	v_fma_f64 v[180:181], v[236:237], v[244:245], -v[180:181]
	v_fma_f64 v[212:213], v[238:239], v[244:245], v[212:213]
	ds_load_2addr_b64 v[236:239], v246 offset0:62 offset1:63
	v_add_f64 v[112:113], v[112:113], -v[180:181]
	v_add_f64 v[114:115], v[114:115], -v[212:213]
	s_waitcnt lgkmcnt(0)
	v_mul_f64 v[180:181], v[238:239], v[182:183]
	v_mul_f64 v[212:213], v[236:237], v[182:183]
	s_delay_alu instid0(VALU_DEP_2) | instskip(NEXT) | instid1(VALU_DEP_2)
	v_fma_f64 v[180:181], v[236:237], v[244:245], -v[180:181]
	v_fma_f64 v[212:213], v[238:239], v[244:245], v[212:213]
	ds_load_2addr_b64 v[236:239], v246 offset0:64 offset1:65
	v_add_f64 v[108:109], v[108:109], -v[180:181]
	v_add_f64 v[110:111], v[110:111], -v[212:213]
	s_waitcnt lgkmcnt(0)
	v_mul_f64 v[180:181], v[238:239], v[182:183]
	v_mul_f64 v[212:213], v[236:237], v[182:183]
	s_delay_alu instid0(VALU_DEP_2) | instskip(NEXT) | instid1(VALU_DEP_2)
	v_fma_f64 v[180:181], v[236:237], v[244:245], -v[180:181]
	v_fma_f64 v[212:213], v[238:239], v[244:245], v[212:213]
	ds_load_2addr_b64 v[236:239], v246 offset0:66 offset1:67
	v_add_f64 v[104:105], v[104:105], -v[180:181]
	v_add_f64 v[106:107], v[106:107], -v[212:213]
	s_waitcnt lgkmcnt(0)
	v_mul_f64 v[180:181], v[238:239], v[182:183]
	v_mul_f64 v[212:213], v[236:237], v[182:183]
	s_delay_alu instid0(VALU_DEP_2) | instskip(NEXT) | instid1(VALU_DEP_2)
	v_fma_f64 v[180:181], v[236:237], v[244:245], -v[180:181]
	v_fma_f64 v[212:213], v[238:239], v[244:245], v[212:213]
	ds_load_2addr_b64 v[236:239], v246 offset0:68 offset1:69
	v_add_f64 v[100:101], v[100:101], -v[180:181]
	v_add_f64 v[102:103], v[102:103], -v[212:213]
	s_waitcnt lgkmcnt(0)
	v_mul_f64 v[180:181], v[238:239], v[182:183]
	v_mul_f64 v[212:213], v[236:237], v[182:183]
	s_delay_alu instid0(VALU_DEP_2) | instskip(NEXT) | instid1(VALU_DEP_2)
	v_fma_f64 v[180:181], v[236:237], v[244:245], -v[180:181]
	v_fma_f64 v[212:213], v[238:239], v[244:245], v[212:213]
	ds_load_2addr_b64 v[236:239], v246 offset0:70 offset1:71
	v_add_f64 v[96:97], v[96:97], -v[180:181]
	v_add_f64 v[98:99], v[98:99], -v[212:213]
	s_waitcnt lgkmcnt(0)
	v_mul_f64 v[180:181], v[238:239], v[182:183]
	v_mul_f64 v[212:213], v[236:237], v[182:183]
	s_delay_alu instid0(VALU_DEP_2) | instskip(NEXT) | instid1(VALU_DEP_2)
	v_fma_f64 v[180:181], v[236:237], v[244:245], -v[180:181]
	v_fma_f64 v[212:213], v[238:239], v[244:245], v[212:213]
	ds_load_2addr_b64 v[236:239], v246 offset0:72 offset1:73
	v_add_f64 v[92:93], v[92:93], -v[180:181]
	v_add_f64 v[94:95], v[94:95], -v[212:213]
	s_waitcnt lgkmcnt(0)
	v_mul_f64 v[180:181], v[238:239], v[182:183]
	v_mul_f64 v[212:213], v[236:237], v[182:183]
	s_delay_alu instid0(VALU_DEP_2) | instskip(NEXT) | instid1(VALU_DEP_2)
	v_fma_f64 v[180:181], v[236:237], v[244:245], -v[180:181]
	v_fma_f64 v[212:213], v[238:239], v[244:245], v[212:213]
	ds_load_2addr_b64 v[236:239], v246 offset0:74 offset1:75
	v_add_f64 v[88:89], v[88:89], -v[180:181]
	v_add_f64 v[90:91], v[90:91], -v[212:213]
	s_waitcnt lgkmcnt(0)
	v_mul_f64 v[180:181], v[238:239], v[182:183]
	v_mul_f64 v[212:213], v[236:237], v[182:183]
	s_delay_alu instid0(VALU_DEP_2) | instskip(NEXT) | instid1(VALU_DEP_2)
	v_fma_f64 v[180:181], v[236:237], v[244:245], -v[180:181]
	v_fma_f64 v[212:213], v[238:239], v[244:245], v[212:213]
	ds_load_2addr_b64 v[236:239], v246 offset0:76 offset1:77
	v_add_f64 v[84:85], v[84:85], -v[180:181]
	v_add_f64 v[86:87], v[86:87], -v[212:213]
	s_waitcnt lgkmcnt(0)
	v_mul_f64 v[180:181], v[238:239], v[182:183]
	v_mul_f64 v[212:213], v[236:237], v[182:183]
	s_delay_alu instid0(VALU_DEP_2) | instskip(NEXT) | instid1(VALU_DEP_2)
	v_fma_f64 v[180:181], v[236:237], v[244:245], -v[180:181]
	v_fma_f64 v[212:213], v[238:239], v[244:245], v[212:213]
	ds_load_2addr_b64 v[236:239], v246 offset0:78 offset1:79
	v_add_f64 v[80:81], v[80:81], -v[180:181]
	v_add_f64 v[82:83], v[82:83], -v[212:213]
	s_waitcnt lgkmcnt(0)
	v_mul_f64 v[180:181], v[238:239], v[182:183]
	v_mul_f64 v[212:213], v[236:237], v[182:183]
	s_delay_alu instid0(VALU_DEP_2) | instskip(NEXT) | instid1(VALU_DEP_2)
	v_fma_f64 v[180:181], v[236:237], v[244:245], -v[180:181]
	v_fma_f64 v[212:213], v[238:239], v[244:245], v[212:213]
	ds_load_2addr_b64 v[236:239], v246 offset0:80 offset1:81
	v_add_f64 v[76:77], v[76:77], -v[180:181]
	v_add_f64 v[78:79], v[78:79], -v[212:213]
	s_waitcnt lgkmcnt(0)
	v_mul_f64 v[180:181], v[238:239], v[182:183]
	v_mul_f64 v[212:213], v[236:237], v[182:183]
	s_delay_alu instid0(VALU_DEP_2) | instskip(NEXT) | instid1(VALU_DEP_2)
	v_fma_f64 v[180:181], v[236:237], v[244:245], -v[180:181]
	v_fma_f64 v[212:213], v[238:239], v[244:245], v[212:213]
	ds_load_2addr_b64 v[236:239], v246 offset0:82 offset1:83
	v_add_f64 v[72:73], v[72:73], -v[180:181]
	v_add_f64 v[74:75], v[74:75], -v[212:213]
	s_waitcnt lgkmcnt(0)
	v_mul_f64 v[180:181], v[238:239], v[182:183]
	v_mul_f64 v[212:213], v[236:237], v[182:183]
	s_delay_alu instid0(VALU_DEP_2) | instskip(NEXT) | instid1(VALU_DEP_2)
	v_fma_f64 v[180:181], v[236:237], v[244:245], -v[180:181]
	v_fma_f64 v[212:213], v[238:239], v[244:245], v[212:213]
	ds_load_2addr_b64 v[236:239], v246 offset0:84 offset1:85
	v_add_f64 v[68:69], v[68:69], -v[180:181]
	v_add_f64 v[70:71], v[70:71], -v[212:213]
	s_waitcnt lgkmcnt(0)
	v_mul_f64 v[180:181], v[238:239], v[182:183]
	v_mul_f64 v[212:213], v[236:237], v[182:183]
	s_delay_alu instid0(VALU_DEP_2) | instskip(NEXT) | instid1(VALU_DEP_2)
	v_fma_f64 v[180:181], v[236:237], v[244:245], -v[180:181]
	v_fma_f64 v[212:213], v[238:239], v[244:245], v[212:213]
	ds_load_2addr_b64 v[236:239], v246 offset0:86 offset1:87
	v_add_f64 v[64:65], v[64:65], -v[180:181]
	v_add_f64 v[66:67], v[66:67], -v[212:213]
	s_waitcnt lgkmcnt(0)
	v_mul_f64 v[180:181], v[238:239], v[182:183]
	v_mul_f64 v[212:213], v[236:237], v[182:183]
	s_delay_alu instid0(VALU_DEP_2) | instskip(NEXT) | instid1(VALU_DEP_2)
	v_fma_f64 v[180:181], v[236:237], v[244:245], -v[180:181]
	v_fma_f64 v[212:213], v[238:239], v[244:245], v[212:213]
	ds_load_2addr_b64 v[236:239], v246 offset0:88 offset1:89
	v_add_f64 v[60:61], v[60:61], -v[180:181]
	v_add_f64 v[62:63], v[62:63], -v[212:213]
	s_waitcnt lgkmcnt(0)
	v_mul_f64 v[180:181], v[238:239], v[182:183]
	v_mul_f64 v[212:213], v[236:237], v[182:183]
	s_delay_alu instid0(VALU_DEP_2) | instskip(NEXT) | instid1(VALU_DEP_2)
	v_fma_f64 v[180:181], v[236:237], v[244:245], -v[180:181]
	v_fma_f64 v[212:213], v[238:239], v[244:245], v[212:213]
	ds_load_2addr_b64 v[236:239], v246 offset0:90 offset1:91
	v_add_f64 v[56:57], v[56:57], -v[180:181]
	v_add_f64 v[58:59], v[58:59], -v[212:213]
	s_waitcnt lgkmcnt(0)
	v_mul_f64 v[180:181], v[238:239], v[182:183]
	v_mul_f64 v[212:213], v[236:237], v[182:183]
	s_delay_alu instid0(VALU_DEP_2) | instskip(NEXT) | instid1(VALU_DEP_2)
	v_fma_f64 v[180:181], v[236:237], v[244:245], -v[180:181]
	v_fma_f64 v[212:213], v[238:239], v[244:245], v[212:213]
	ds_load_2addr_b64 v[236:239], v246 offset0:92 offset1:93
	v_add_f64 v[52:53], v[52:53], -v[180:181]
	v_add_f64 v[54:55], v[54:55], -v[212:213]
	s_waitcnt lgkmcnt(0)
	v_mul_f64 v[180:181], v[238:239], v[182:183]
	v_mul_f64 v[212:213], v[236:237], v[182:183]
	s_delay_alu instid0(VALU_DEP_2) | instskip(NEXT) | instid1(VALU_DEP_2)
	v_fma_f64 v[180:181], v[236:237], v[244:245], -v[180:181]
	v_fma_f64 v[212:213], v[238:239], v[244:245], v[212:213]
	ds_load_2addr_b64 v[236:239], v246 offset0:94 offset1:95
	v_add_f64 v[48:49], v[48:49], -v[180:181]
	v_add_f64 v[50:51], v[50:51], -v[212:213]
	s_waitcnt lgkmcnt(0)
	v_mul_f64 v[180:181], v[238:239], v[182:183]
	v_mul_f64 v[212:213], v[236:237], v[182:183]
	s_delay_alu instid0(VALU_DEP_2) | instskip(NEXT) | instid1(VALU_DEP_2)
	v_fma_f64 v[180:181], v[236:237], v[244:245], -v[180:181]
	v_fma_f64 v[212:213], v[238:239], v[244:245], v[212:213]
	ds_load_2addr_b64 v[236:239], v246 offset0:96 offset1:97
	v_add_f64 v[44:45], v[44:45], -v[180:181]
	v_add_f64 v[46:47], v[46:47], -v[212:213]
	s_waitcnt lgkmcnt(0)
	v_mul_f64 v[180:181], v[238:239], v[182:183]
	v_mul_f64 v[212:213], v[236:237], v[182:183]
	s_delay_alu instid0(VALU_DEP_2) | instskip(NEXT) | instid1(VALU_DEP_2)
	v_fma_f64 v[180:181], v[236:237], v[244:245], -v[180:181]
	v_fma_f64 v[212:213], v[238:239], v[244:245], v[212:213]
	ds_load_2addr_b64 v[236:239], v246 offset0:98 offset1:99
	v_add_f64 v[40:41], v[40:41], -v[180:181]
	v_add_f64 v[42:43], v[42:43], -v[212:213]
	s_waitcnt lgkmcnt(0)
	v_mul_f64 v[180:181], v[238:239], v[182:183]
	v_mul_f64 v[212:213], v[236:237], v[182:183]
	s_delay_alu instid0(VALU_DEP_2) | instskip(NEXT) | instid1(VALU_DEP_2)
	v_fma_f64 v[180:181], v[236:237], v[244:245], -v[180:181]
	v_fma_f64 v[212:213], v[238:239], v[244:245], v[212:213]
	ds_load_2addr_b64 v[236:239], v246 offset0:100 offset1:101
	v_add_f64 v[36:37], v[36:37], -v[180:181]
	v_add_f64 v[38:39], v[38:39], -v[212:213]
	s_waitcnt lgkmcnt(0)
	v_mul_f64 v[180:181], v[238:239], v[182:183]
	v_mul_f64 v[212:213], v[236:237], v[182:183]
	s_delay_alu instid0(VALU_DEP_2) | instskip(NEXT) | instid1(VALU_DEP_2)
	v_fma_f64 v[180:181], v[236:237], v[244:245], -v[180:181]
	v_fma_f64 v[212:213], v[238:239], v[244:245], v[212:213]
	ds_load_2addr_b64 v[236:239], v246 offset0:102 offset1:103
	v_add_f64 v[32:33], v[32:33], -v[180:181]
	v_add_f64 v[34:35], v[34:35], -v[212:213]
	s_waitcnt lgkmcnt(0)
	v_mul_f64 v[180:181], v[238:239], v[182:183]
	v_mul_f64 v[212:213], v[236:237], v[182:183]
	s_delay_alu instid0(VALU_DEP_2) | instskip(NEXT) | instid1(VALU_DEP_2)
	v_fma_f64 v[180:181], v[236:237], v[244:245], -v[180:181]
	v_fma_f64 v[212:213], v[238:239], v[244:245], v[212:213]
	ds_load_2addr_b64 v[236:239], v246 offset0:104 offset1:105
	v_add_f64 v[28:29], v[28:29], -v[180:181]
	v_add_f64 v[30:31], v[30:31], -v[212:213]
	s_waitcnt lgkmcnt(0)
	v_mul_f64 v[180:181], v[238:239], v[182:183]
	v_mul_f64 v[212:213], v[236:237], v[182:183]
	s_delay_alu instid0(VALU_DEP_2) | instskip(NEXT) | instid1(VALU_DEP_2)
	v_fma_f64 v[180:181], v[236:237], v[244:245], -v[180:181]
	v_fma_f64 v[212:213], v[238:239], v[244:245], v[212:213]
	ds_load_2addr_b64 v[236:239], v246 offset0:106 offset1:107
	v_add_f64 v[24:25], v[24:25], -v[180:181]
	v_add_f64 v[26:27], v[26:27], -v[212:213]
	s_waitcnt lgkmcnt(0)
	v_mul_f64 v[180:181], v[238:239], v[182:183]
	v_mul_f64 v[212:213], v[236:237], v[182:183]
	s_delay_alu instid0(VALU_DEP_2) | instskip(NEXT) | instid1(VALU_DEP_2)
	v_fma_f64 v[180:181], v[236:237], v[244:245], -v[180:181]
	v_fma_f64 v[212:213], v[238:239], v[244:245], v[212:213]
	ds_load_2addr_b64 v[236:239], v246 offset0:108 offset1:109
	v_add_f64 v[20:21], v[20:21], -v[180:181]
	v_add_f64 v[22:23], v[22:23], -v[212:213]
	s_waitcnt lgkmcnt(0)
	v_mul_f64 v[180:181], v[238:239], v[182:183]
	v_mul_f64 v[212:213], v[236:237], v[182:183]
	s_delay_alu instid0(VALU_DEP_2) | instskip(NEXT) | instid1(VALU_DEP_2)
	v_fma_f64 v[180:181], v[236:237], v[244:245], -v[180:181]
	v_fma_f64 v[212:213], v[238:239], v[244:245], v[212:213]
	ds_load_2addr_b64 v[236:239], v246 offset0:110 offset1:111
	v_add_f64 v[16:17], v[16:17], -v[180:181]
	v_add_f64 v[18:19], v[18:19], -v[212:213]
	s_waitcnt lgkmcnt(0)
	v_mul_f64 v[180:181], v[238:239], v[182:183]
	v_mul_f64 v[212:213], v[236:237], v[182:183]
	s_delay_alu instid0(VALU_DEP_2) | instskip(NEXT) | instid1(VALU_DEP_2)
	v_fma_f64 v[180:181], v[236:237], v[244:245], -v[180:181]
	v_fma_f64 v[212:213], v[238:239], v[244:245], v[212:213]
	ds_load_2addr_b64 v[236:239], v246 offset0:112 offset1:113
	v_add_f64 v[12:13], v[12:13], -v[180:181]
	v_add_f64 v[14:15], v[14:15], -v[212:213]
	s_waitcnt lgkmcnt(0)
	v_mul_f64 v[180:181], v[238:239], v[182:183]
	v_mul_f64 v[212:213], v[236:237], v[182:183]
	s_delay_alu instid0(VALU_DEP_2) | instskip(NEXT) | instid1(VALU_DEP_2)
	v_fma_f64 v[180:181], v[236:237], v[244:245], -v[180:181]
	v_fma_f64 v[212:213], v[238:239], v[244:245], v[212:213]
	ds_load_2addr_b64 v[236:239], v246 offset0:114 offset1:115
	v_add_f64 v[230:231], v[230:231], -v[180:181]
	v_add_f64 v[232:233], v[232:233], -v[212:213]
	s_waitcnt lgkmcnt(0)
	v_mul_f64 v[180:181], v[238:239], v[182:183]
	v_mul_f64 v[212:213], v[236:237], v[182:183]
	s_delay_alu instid0(VALU_DEP_2) | instskip(NEXT) | instid1(VALU_DEP_2)
	v_fma_f64 v[180:181], v[236:237], v[244:245], -v[180:181]
	v_fma_f64 v[212:213], v[238:239], v[244:245], v[212:213]
	ds_load_2addr_b64 v[236:239], v246 offset0:116 offset1:117
	v_add_f64 v[4:5], v[4:5], -v[180:181]
	v_add_f64 v[6:7], v[6:7], -v[212:213]
	s_waitcnt lgkmcnt(0)
	v_mul_f64 v[180:181], v[238:239], v[182:183]
	v_mul_f64 v[212:213], v[236:237], v[182:183]
	s_delay_alu instid0(VALU_DEP_2) | instskip(NEXT) | instid1(VALU_DEP_2)
	v_fma_f64 v[180:181], v[236:237], v[244:245], -v[180:181]
	v_fma_f64 v[212:213], v[238:239], v[244:245], v[212:213]
	s_delay_alu instid0(VALU_DEP_2) | instskip(NEXT) | instid1(VALU_DEP_2)
	v_add_f64 v[224:225], v[224:225], -v[180:181]
	v_add_f64 v[226:227], v[226:227], -v[212:213]
	v_dual_mov_b32 v180, v244 :: v_dual_mov_b32 v181, v245
.LBB116_293:
	s_or_b32 exec_lo, exec_lo, s2
	v_lshl_add_u32 v212, v252, 4, v246
	s_barrier
	buffer_gl0_inv
	v_mov_b32_e32 v244, 14
	ds_store_2addr_b64 v212, v[176:177], v[178:179] offset1:1
	s_waitcnt lgkmcnt(0)
	s_barrier
	buffer_gl0_inv
	ds_load_2addr_b64 v[236:239], v246 offset0:28 offset1:29
	s_cmp_lt_i32 s12, 16
	s_cbranch_scc1 .LBB116_296
; %bb.294:
	v_add3_u32 v245, v234, 0, 0xf0
	v_mov_b32_e32 v244, 14
	s_mov_b32 s6, 15
	s_set_inst_prefetch_distance 0x1
	.p2align	6
.LBB116_295:                            ; =>This Inner Loop Header: Depth=1
	ds_load_2addr_b64 v[240:243], v245 offset1:1
	s_waitcnt lgkmcnt(1)
	v_cmp_gt_f64_e32 vcc_lo, 0, v[236:237]
	v_cmp_gt_f64_e64 s2, 0, v[238:239]
	v_xor_b32_e32 v213, 0x80000000, v237
	v_xor_b32_e32 v215, 0x80000000, v239
	v_add_nc_u32_e32 v245, 16, v245
	s_waitcnt lgkmcnt(0)
	v_cmp_gt_f64_e64 s3, 0, v[240:241]
	v_cmp_gt_f64_e64 s4, 0, v[242:243]
	v_xor_b32_e32 v219, 0x80000000, v241
	v_xor_b32_e32 v220, 0x80000000, v243
	v_mov_b32_e32 v214, v242
	v_mov_b32_e32 v212, v240
	v_cndmask_b32_e32 v216, v237, v213, vcc_lo
	v_cndmask_b32_e64 v218, v239, v215, s2
	v_cndmask_b32_e32 v215, v236, v236, vcc_lo
	v_cndmask_b32_e64 v217, v238, v238, s2
	s_delay_alu instid0(VALU_DEP_1) | instskip(SKIP_2) | instid1(VALU_DEP_1)
	v_add_f64 v[216:217], v[215:216], v[217:218]
	v_cndmask_b32_e64 v213, v241, v219, s3
	v_cndmask_b32_e64 v215, v243, v220, s4
	v_add_f64 v[212:213], v[212:213], v[214:215]
	s_delay_alu instid0(VALU_DEP_1)
	v_cmp_lt_f64_e32 vcc_lo, v[216:217], v[212:213]
	v_cndmask_b32_e32 v239, v239, v243, vcc_lo
	v_dual_cndmask_b32 v237, v237, v241 :: v_dual_cndmask_b32 v236, v236, v240
	v_cndmask_b32_e32 v238, v238, v242, vcc_lo
	v_cndmask_b32_e64 v244, v244, s6, vcc_lo
	s_add_i32 s6, s6, 1
	s_delay_alu instid0(SALU_CYCLE_1)
	s_cmp_lg_u32 s12, s6
	s_cbranch_scc1 .LBB116_295
.LBB116_296:
	s_set_inst_prefetch_distance 0x2
	s_waitcnt lgkmcnt(0)
	v_cmp_eq_f64_e32 vcc_lo, 0, v[236:237]
	v_cmp_eq_f64_e64 s2, 0, v[238:239]
	s_delay_alu instid0(VALU_DEP_1) | instskip(NEXT) | instid1(SALU_CYCLE_1)
	s_and_b32 s2, vcc_lo, s2
	s_and_saveexec_b32 s3, s2
	s_delay_alu instid0(SALU_CYCLE_1)
	s_xor_b32 s2, exec_lo, s3
; %bb.297:
	v_cmp_ne_u32_e32 vcc_lo, 0, v249
	v_cndmask_b32_e32 v249, 15, v249, vcc_lo
; %bb.298:
	s_and_not1_saveexec_b32 s3, s2
	s_cbranch_execz .LBB116_304
; %bb.299:
	v_cmp_gt_f64_e32 vcc_lo, 0, v[236:237]
	v_cmp_gt_f64_e64 s2, 0, v[238:239]
	v_xor_b32_e32 v212, 0x80000000, v237
	v_xor_b32_e32 v214, 0x80000000, v239
	s_delay_alu instid0(VALU_DEP_2) | instskip(NEXT) | instid1(VALU_DEP_2)
	v_cndmask_b32_e32 v213, v237, v212, vcc_lo
	v_cndmask_b32_e64 v215, v239, v214, s2
	v_cndmask_b32_e32 v212, v236, v236, vcc_lo
	v_cndmask_b32_e64 v214, v238, v238, s2
	s_mov_b32 s2, exec_lo
	s_delay_alu instid0(VALU_DEP_1)
	v_cmpx_ngt_f64_e32 v[212:213], v[214:215]
	s_xor_b32 s2, exec_lo, s2
	s_cbranch_execz .LBB116_301
; %bb.300:
	v_div_scale_f64 v[212:213], null, v[238:239], v[238:239], v[236:237]
	v_div_scale_f64 v[218:219], vcc_lo, v[236:237], v[238:239], v[236:237]
	s_delay_alu instid0(VALU_DEP_2) | instskip(SKIP_2) | instid1(VALU_DEP_1)
	v_rcp_f64_e32 v[214:215], v[212:213]
	s_waitcnt_depctr 0xfff
	v_fma_f64 v[216:217], -v[212:213], v[214:215], 1.0
	v_fma_f64 v[214:215], v[214:215], v[216:217], v[214:215]
	s_delay_alu instid0(VALU_DEP_1) | instskip(NEXT) | instid1(VALU_DEP_1)
	v_fma_f64 v[216:217], -v[212:213], v[214:215], 1.0
	v_fma_f64 v[214:215], v[214:215], v[216:217], v[214:215]
	s_delay_alu instid0(VALU_DEP_1) | instskip(NEXT) | instid1(VALU_DEP_1)
	v_mul_f64 v[216:217], v[218:219], v[214:215]
	v_fma_f64 v[212:213], -v[212:213], v[216:217], v[218:219]
	s_delay_alu instid0(VALU_DEP_1) | instskip(NEXT) | instid1(VALU_DEP_1)
	v_div_fmas_f64 v[212:213], v[212:213], v[214:215], v[216:217]
	v_div_fixup_f64 v[212:213], v[212:213], v[238:239], v[236:237]
	s_delay_alu instid0(VALU_DEP_1) | instskip(NEXT) | instid1(VALU_DEP_1)
	v_fma_f64 v[214:215], v[236:237], v[212:213], v[238:239]
	v_div_scale_f64 v[216:217], null, v[214:215], v[214:215], 1.0
	s_delay_alu instid0(VALU_DEP_1) | instskip(SKIP_2) | instid1(VALU_DEP_1)
	v_rcp_f64_e32 v[218:219], v[216:217]
	s_waitcnt_depctr 0xfff
	v_fma_f64 v[220:221], -v[216:217], v[218:219], 1.0
	v_fma_f64 v[218:219], v[218:219], v[220:221], v[218:219]
	s_delay_alu instid0(VALU_DEP_1) | instskip(NEXT) | instid1(VALU_DEP_1)
	v_fma_f64 v[220:221], -v[216:217], v[218:219], 1.0
	v_fma_f64 v[218:219], v[218:219], v[220:221], v[218:219]
	v_div_scale_f64 v[220:221], vcc_lo, 1.0, v[214:215], 1.0
	s_delay_alu instid0(VALU_DEP_1) | instskip(NEXT) | instid1(VALU_DEP_1)
	v_mul_f64 v[222:223], v[220:221], v[218:219]
	v_fma_f64 v[216:217], -v[216:217], v[222:223], v[220:221]
	s_delay_alu instid0(VALU_DEP_1) | instskip(NEXT) | instid1(VALU_DEP_1)
	v_div_fmas_f64 v[216:217], v[216:217], v[218:219], v[222:223]
	v_div_fixup_f64 v[238:239], v[216:217], v[214:215], 1.0
	s_delay_alu instid0(VALU_DEP_1)
	v_mul_f64 v[236:237], v[212:213], v[238:239]
	v_xor_b32_e32 v239, 0x80000000, v239
.LBB116_301:
	s_and_not1_saveexec_b32 s2, s2
	s_cbranch_execz .LBB116_303
; %bb.302:
	s_delay_alu instid0(VALU_DEP_1) | instskip(SKIP_1) | instid1(VALU_DEP_2)
	v_div_scale_f64 v[212:213], null, v[236:237], v[236:237], v[238:239]
	v_div_scale_f64 v[218:219], vcc_lo, v[238:239], v[236:237], v[238:239]
	v_rcp_f64_e32 v[214:215], v[212:213]
	s_waitcnt_depctr 0xfff
	v_fma_f64 v[216:217], -v[212:213], v[214:215], 1.0
	s_delay_alu instid0(VALU_DEP_1) | instskip(NEXT) | instid1(VALU_DEP_1)
	v_fma_f64 v[214:215], v[214:215], v[216:217], v[214:215]
	v_fma_f64 v[216:217], -v[212:213], v[214:215], 1.0
	s_delay_alu instid0(VALU_DEP_1) | instskip(NEXT) | instid1(VALU_DEP_1)
	v_fma_f64 v[214:215], v[214:215], v[216:217], v[214:215]
	v_mul_f64 v[216:217], v[218:219], v[214:215]
	s_delay_alu instid0(VALU_DEP_1) | instskip(NEXT) | instid1(VALU_DEP_1)
	v_fma_f64 v[212:213], -v[212:213], v[216:217], v[218:219]
	v_div_fmas_f64 v[212:213], v[212:213], v[214:215], v[216:217]
	s_delay_alu instid0(VALU_DEP_1) | instskip(NEXT) | instid1(VALU_DEP_1)
	v_div_fixup_f64 v[212:213], v[212:213], v[236:237], v[238:239]
	v_fma_f64 v[214:215], v[238:239], v[212:213], v[236:237]
	s_delay_alu instid0(VALU_DEP_1) | instskip(NEXT) | instid1(VALU_DEP_1)
	v_div_scale_f64 v[216:217], null, v[214:215], v[214:215], 1.0
	v_rcp_f64_e32 v[218:219], v[216:217]
	s_waitcnt_depctr 0xfff
	v_fma_f64 v[220:221], -v[216:217], v[218:219], 1.0
	s_delay_alu instid0(VALU_DEP_1) | instskip(NEXT) | instid1(VALU_DEP_1)
	v_fma_f64 v[218:219], v[218:219], v[220:221], v[218:219]
	v_fma_f64 v[220:221], -v[216:217], v[218:219], 1.0
	s_delay_alu instid0(VALU_DEP_1) | instskip(SKIP_1) | instid1(VALU_DEP_1)
	v_fma_f64 v[218:219], v[218:219], v[220:221], v[218:219]
	v_div_scale_f64 v[220:221], vcc_lo, 1.0, v[214:215], 1.0
	v_mul_f64 v[222:223], v[220:221], v[218:219]
	s_delay_alu instid0(VALU_DEP_1) | instskip(NEXT) | instid1(VALU_DEP_1)
	v_fma_f64 v[216:217], -v[216:217], v[222:223], v[220:221]
	v_div_fmas_f64 v[216:217], v[216:217], v[218:219], v[222:223]
	s_delay_alu instid0(VALU_DEP_1) | instskip(NEXT) | instid1(VALU_DEP_1)
	v_div_fixup_f64 v[236:237], v[216:217], v[214:215], 1.0
	v_mul_f64 v[238:239], v[212:213], -v[236:237]
.LBB116_303:
	s_or_b32 exec_lo, exec_lo, s2
.LBB116_304:
	s_delay_alu instid0(SALU_CYCLE_1) | instskip(NEXT) | instid1(SALU_CYCLE_1)
	s_or_b32 exec_lo, exec_lo, s3
	s_mov_b32 s2, exec_lo
	v_cmpx_ne_u32_e64 v252, v244
	s_xor_b32 s2, exec_lo, s2
	s_cbranch_execz .LBB116_310
; %bb.305:
	s_mov_b32 s3, exec_lo
	v_cmpx_eq_u32_e32 14, v252
	s_cbranch_execz .LBB116_309
; %bb.306:
	v_cmp_ne_u32_e32 vcc_lo, 14, v244
	s_xor_b32 s4, s5, -1
	s_delay_alu instid0(SALU_CYCLE_1) | instskip(NEXT) | instid1(SALU_CYCLE_1)
	s_and_b32 s6, s4, vcc_lo
	s_and_saveexec_b32 s4, s6
	s_cbranch_execz .LBB116_308
; %bb.307:
	scratch_load_b64 v[208:209], off, off offset:16 ; 8-byte Folded Reload
	v_ashrrev_i32_e32 v245, 31, v244
	s_delay_alu instid0(VALU_DEP_1) | instskip(SKIP_1) | instid1(VALU_DEP_1)
	v_lshlrev_b64 v[212:213], 2, v[244:245]
	s_waitcnt vmcnt(0)
	v_add_co_u32 v212, vcc_lo, v208, v212
	s_delay_alu instid0(VALU_DEP_2)
	v_add_co_ci_u32_e32 v213, vcc_lo, v209, v213, vcc_lo
	s_clause 0x1
	flat_load_b32 v214, v[212:213]
	flat_load_b32 v215, v[208:209] offset:56
	s_waitcnt vmcnt(1) lgkmcnt(1)
	flat_store_b32 v[208:209], v214 offset:56
	s_waitcnt vmcnt(0) lgkmcnt(1)
	flat_store_b32 v[212:213], v215
.LBB116_308:
	s_or_b32 exec_lo, exec_lo, s4
	v_mov_b32_e32 v252, v244
	v_mov_b32_e32 v251, v244
.LBB116_309:
	s_or_b32 exec_lo, exec_lo, s3
.LBB116_310:
	s_and_not1_saveexec_b32 s2, s2
	s_cbranch_execz .LBB116_312
; %bb.311:
	v_mov_b32_e32 v252, 14
	ds_store_2addr_b64 v246, v[172:173], v[174:175] offset0:30 offset1:31
	ds_store_2addr_b64 v246, v[168:169], v[170:171] offset0:32 offset1:33
	ds_store_2addr_b64 v246, v[164:165], v[166:167] offset0:34 offset1:35
	ds_store_2addr_b64 v246, v[160:161], v[162:163] offset0:36 offset1:37
	ds_store_2addr_b64 v246, v[156:157], v[158:159] offset0:38 offset1:39
	ds_store_2addr_b64 v246, v[152:153], v[154:155] offset0:40 offset1:41
	ds_store_2addr_b64 v246, v[148:149], v[150:151] offset0:42 offset1:43
	ds_store_2addr_b64 v246, v[144:145], v[146:147] offset0:44 offset1:45
	ds_store_2addr_b64 v246, v[140:141], v[142:143] offset0:46 offset1:47
	ds_store_2addr_b64 v246, v[136:137], v[138:139] offset0:48 offset1:49
	ds_store_2addr_b64 v246, v[132:133], v[134:135] offset0:50 offset1:51
	ds_store_2addr_b64 v246, v[128:129], v[130:131] offset0:52 offset1:53
	ds_store_2addr_b64 v246, v[124:125], v[126:127] offset0:54 offset1:55
	ds_store_2addr_b64 v246, v[120:121], v[122:123] offset0:56 offset1:57
	ds_store_2addr_b64 v246, v[116:117], v[118:119] offset0:58 offset1:59
	ds_store_2addr_b64 v246, v[112:113], v[114:115] offset0:60 offset1:61
	ds_store_2addr_b64 v246, v[108:109], v[110:111] offset0:62 offset1:63
	ds_store_2addr_b64 v246, v[104:105], v[106:107] offset0:64 offset1:65
	ds_store_2addr_b64 v246, v[100:101], v[102:103] offset0:66 offset1:67
	ds_store_2addr_b64 v246, v[96:97], v[98:99] offset0:68 offset1:69
	ds_store_2addr_b64 v246, v[92:93], v[94:95] offset0:70 offset1:71
	ds_store_2addr_b64 v246, v[88:89], v[90:91] offset0:72 offset1:73
	ds_store_2addr_b64 v246, v[84:85], v[86:87] offset0:74 offset1:75
	ds_store_2addr_b64 v246, v[80:81], v[82:83] offset0:76 offset1:77
	ds_store_2addr_b64 v246, v[76:77], v[78:79] offset0:78 offset1:79
	ds_store_2addr_b64 v246, v[72:73], v[74:75] offset0:80 offset1:81
	ds_store_2addr_b64 v246, v[68:69], v[70:71] offset0:82 offset1:83
	ds_store_2addr_b64 v246, v[64:65], v[66:67] offset0:84 offset1:85
	ds_store_2addr_b64 v246, v[60:61], v[62:63] offset0:86 offset1:87
	ds_store_2addr_b64 v246, v[56:57], v[58:59] offset0:88 offset1:89
	ds_store_2addr_b64 v246, v[52:53], v[54:55] offset0:90 offset1:91
	ds_store_2addr_b64 v246, v[48:49], v[50:51] offset0:92 offset1:93
	ds_store_2addr_b64 v246, v[44:45], v[46:47] offset0:94 offset1:95
	ds_store_2addr_b64 v246, v[40:41], v[42:43] offset0:96 offset1:97
	ds_store_2addr_b64 v246, v[36:37], v[38:39] offset0:98 offset1:99
	ds_store_2addr_b64 v246, v[32:33], v[34:35] offset0:100 offset1:101
	ds_store_2addr_b64 v246, v[28:29], v[30:31] offset0:102 offset1:103
	ds_store_2addr_b64 v246, v[24:25], v[26:27] offset0:104 offset1:105
	ds_store_2addr_b64 v246, v[20:21], v[22:23] offset0:106 offset1:107
	ds_store_2addr_b64 v246, v[16:17], v[18:19] offset0:108 offset1:109
	ds_store_2addr_b64 v246, v[12:13], v[14:15] offset0:110 offset1:111
	ds_store_2addr_b64 v246, v[230:231], v[232:233] offset0:112 offset1:113
	ds_store_2addr_b64 v246, v[4:5], v[6:7] offset0:114 offset1:115
	ds_store_2addr_b64 v246, v[224:225], v[226:227] offset0:116 offset1:117
.LBB116_312:
	s_or_b32 exec_lo, exec_lo, s2
	s_delay_alu instid0(SALU_CYCLE_1)
	s_mov_b32 s2, exec_lo
	s_waitcnt lgkmcnt(0)
	s_waitcnt_vscnt null, 0x0
	s_barrier
	buffer_gl0_inv
	v_cmpx_lt_i32_e32 14, v252
	s_cbranch_execz .LBB116_314
; %bb.313:
	v_mul_f64 v[212:213], v[238:239], v[178:179]
	v_mul_f64 v[178:179], v[236:237], v[178:179]
	s_delay_alu instid0(VALU_DEP_2) | instskip(NEXT) | instid1(VALU_DEP_2)
	v_fma_f64 v[244:245], v[236:237], v[176:177], -v[212:213]
	v_fma_f64 v[178:179], v[238:239], v[176:177], v[178:179]
	ds_load_2addr_b64 v[236:239], v246 offset0:30 offset1:31
	s_waitcnt lgkmcnt(0)
	v_mul_f64 v[176:177], v[238:239], v[178:179]
	v_mul_f64 v[212:213], v[236:237], v[178:179]
	s_delay_alu instid0(VALU_DEP_2) | instskip(NEXT) | instid1(VALU_DEP_2)
	v_fma_f64 v[176:177], v[236:237], v[244:245], -v[176:177]
	v_fma_f64 v[212:213], v[238:239], v[244:245], v[212:213]
	ds_load_2addr_b64 v[236:239], v246 offset0:32 offset1:33
	v_add_f64 v[172:173], v[172:173], -v[176:177]
	v_add_f64 v[174:175], v[174:175], -v[212:213]
	s_waitcnt lgkmcnt(0)
	v_mul_f64 v[176:177], v[238:239], v[178:179]
	v_mul_f64 v[212:213], v[236:237], v[178:179]
	s_delay_alu instid0(VALU_DEP_2) | instskip(NEXT) | instid1(VALU_DEP_2)
	v_fma_f64 v[176:177], v[236:237], v[244:245], -v[176:177]
	v_fma_f64 v[212:213], v[238:239], v[244:245], v[212:213]
	ds_load_2addr_b64 v[236:239], v246 offset0:34 offset1:35
	v_add_f64 v[168:169], v[168:169], -v[176:177]
	v_add_f64 v[170:171], v[170:171], -v[212:213]
	;; [unrolled: 9-line block ×43, first 2 shown]
	s_waitcnt lgkmcnt(0)
	v_mul_f64 v[176:177], v[238:239], v[178:179]
	v_mul_f64 v[212:213], v[236:237], v[178:179]
	s_delay_alu instid0(VALU_DEP_2) | instskip(NEXT) | instid1(VALU_DEP_2)
	v_fma_f64 v[176:177], v[236:237], v[244:245], -v[176:177]
	v_fma_f64 v[212:213], v[238:239], v[244:245], v[212:213]
	s_delay_alu instid0(VALU_DEP_2) | instskip(NEXT) | instid1(VALU_DEP_2)
	v_add_f64 v[224:225], v[224:225], -v[176:177]
	v_add_f64 v[226:227], v[226:227], -v[212:213]
	v_dual_mov_b32 v176, v244 :: v_dual_mov_b32 v177, v245
.LBB116_314:
	s_or_b32 exec_lo, exec_lo, s2
	v_lshl_add_u32 v212, v252, 4, v246
	s_barrier
	buffer_gl0_inv
	v_mov_b32_e32 v244, 15
	ds_store_2addr_b64 v212, v[172:173], v[174:175] offset1:1
	s_waitcnt lgkmcnt(0)
	s_barrier
	buffer_gl0_inv
	ds_load_2addr_b64 v[236:239], v246 offset0:30 offset1:31
	s_cmp_lt_i32 s12, 17
	s_cbranch_scc1 .LBB116_317
; %bb.315:
	v_add3_u32 v245, v234, 0, 0x100
	v_mov_b32_e32 v244, 15
	s_mov_b32 s6, 16
	s_set_inst_prefetch_distance 0x1
	.p2align	6
.LBB116_316:                            ; =>This Inner Loop Header: Depth=1
	ds_load_2addr_b64 v[240:243], v245 offset1:1
	s_waitcnt lgkmcnt(1)
	v_cmp_gt_f64_e32 vcc_lo, 0, v[236:237]
	v_cmp_gt_f64_e64 s2, 0, v[238:239]
	v_xor_b32_e32 v213, 0x80000000, v237
	v_xor_b32_e32 v215, 0x80000000, v239
	v_add_nc_u32_e32 v245, 16, v245
	s_waitcnt lgkmcnt(0)
	v_cmp_gt_f64_e64 s3, 0, v[240:241]
	v_cmp_gt_f64_e64 s4, 0, v[242:243]
	v_xor_b32_e32 v219, 0x80000000, v241
	v_xor_b32_e32 v220, 0x80000000, v243
	v_mov_b32_e32 v214, v242
	v_mov_b32_e32 v212, v240
	v_cndmask_b32_e32 v216, v237, v213, vcc_lo
	v_cndmask_b32_e64 v218, v239, v215, s2
	v_cndmask_b32_e32 v215, v236, v236, vcc_lo
	v_cndmask_b32_e64 v217, v238, v238, s2
	s_delay_alu instid0(VALU_DEP_1) | instskip(SKIP_2) | instid1(VALU_DEP_1)
	v_add_f64 v[216:217], v[215:216], v[217:218]
	v_cndmask_b32_e64 v213, v241, v219, s3
	v_cndmask_b32_e64 v215, v243, v220, s4
	v_add_f64 v[212:213], v[212:213], v[214:215]
	s_delay_alu instid0(VALU_DEP_1)
	v_cmp_lt_f64_e32 vcc_lo, v[216:217], v[212:213]
	v_cndmask_b32_e32 v239, v239, v243, vcc_lo
	v_dual_cndmask_b32 v237, v237, v241 :: v_dual_cndmask_b32 v236, v236, v240
	v_cndmask_b32_e32 v238, v238, v242, vcc_lo
	v_cndmask_b32_e64 v244, v244, s6, vcc_lo
	s_add_i32 s6, s6, 1
	s_delay_alu instid0(SALU_CYCLE_1)
	s_cmp_lg_u32 s12, s6
	s_cbranch_scc1 .LBB116_316
.LBB116_317:
	s_set_inst_prefetch_distance 0x2
	s_waitcnt lgkmcnt(0)
	v_cmp_eq_f64_e32 vcc_lo, 0, v[236:237]
	v_cmp_eq_f64_e64 s2, 0, v[238:239]
	s_delay_alu instid0(VALU_DEP_1) | instskip(NEXT) | instid1(SALU_CYCLE_1)
	s_and_b32 s2, vcc_lo, s2
	s_and_saveexec_b32 s3, s2
	s_delay_alu instid0(SALU_CYCLE_1)
	s_xor_b32 s2, exec_lo, s3
; %bb.318:
	v_cmp_ne_u32_e32 vcc_lo, 0, v249
	v_cndmask_b32_e32 v249, 16, v249, vcc_lo
; %bb.319:
	s_and_not1_saveexec_b32 s3, s2
	s_cbranch_execz .LBB116_325
; %bb.320:
	v_cmp_gt_f64_e32 vcc_lo, 0, v[236:237]
	v_cmp_gt_f64_e64 s2, 0, v[238:239]
	v_xor_b32_e32 v212, 0x80000000, v237
	v_xor_b32_e32 v214, 0x80000000, v239
	s_delay_alu instid0(VALU_DEP_2) | instskip(NEXT) | instid1(VALU_DEP_2)
	v_cndmask_b32_e32 v213, v237, v212, vcc_lo
	v_cndmask_b32_e64 v215, v239, v214, s2
	v_cndmask_b32_e32 v212, v236, v236, vcc_lo
	v_cndmask_b32_e64 v214, v238, v238, s2
	s_mov_b32 s2, exec_lo
	s_delay_alu instid0(VALU_DEP_1)
	v_cmpx_ngt_f64_e32 v[212:213], v[214:215]
	s_xor_b32 s2, exec_lo, s2
	s_cbranch_execz .LBB116_322
; %bb.321:
	v_div_scale_f64 v[212:213], null, v[238:239], v[238:239], v[236:237]
	v_div_scale_f64 v[218:219], vcc_lo, v[236:237], v[238:239], v[236:237]
	s_delay_alu instid0(VALU_DEP_2) | instskip(SKIP_2) | instid1(VALU_DEP_1)
	v_rcp_f64_e32 v[214:215], v[212:213]
	s_waitcnt_depctr 0xfff
	v_fma_f64 v[216:217], -v[212:213], v[214:215], 1.0
	v_fma_f64 v[214:215], v[214:215], v[216:217], v[214:215]
	s_delay_alu instid0(VALU_DEP_1) | instskip(NEXT) | instid1(VALU_DEP_1)
	v_fma_f64 v[216:217], -v[212:213], v[214:215], 1.0
	v_fma_f64 v[214:215], v[214:215], v[216:217], v[214:215]
	s_delay_alu instid0(VALU_DEP_1) | instskip(NEXT) | instid1(VALU_DEP_1)
	v_mul_f64 v[216:217], v[218:219], v[214:215]
	v_fma_f64 v[212:213], -v[212:213], v[216:217], v[218:219]
	s_delay_alu instid0(VALU_DEP_1) | instskip(NEXT) | instid1(VALU_DEP_1)
	v_div_fmas_f64 v[212:213], v[212:213], v[214:215], v[216:217]
	v_div_fixup_f64 v[212:213], v[212:213], v[238:239], v[236:237]
	s_delay_alu instid0(VALU_DEP_1) | instskip(NEXT) | instid1(VALU_DEP_1)
	v_fma_f64 v[214:215], v[236:237], v[212:213], v[238:239]
	v_div_scale_f64 v[216:217], null, v[214:215], v[214:215], 1.0
	s_delay_alu instid0(VALU_DEP_1) | instskip(SKIP_2) | instid1(VALU_DEP_1)
	v_rcp_f64_e32 v[218:219], v[216:217]
	s_waitcnt_depctr 0xfff
	v_fma_f64 v[220:221], -v[216:217], v[218:219], 1.0
	v_fma_f64 v[218:219], v[218:219], v[220:221], v[218:219]
	s_delay_alu instid0(VALU_DEP_1) | instskip(NEXT) | instid1(VALU_DEP_1)
	v_fma_f64 v[220:221], -v[216:217], v[218:219], 1.0
	v_fma_f64 v[218:219], v[218:219], v[220:221], v[218:219]
	v_div_scale_f64 v[220:221], vcc_lo, 1.0, v[214:215], 1.0
	s_delay_alu instid0(VALU_DEP_1) | instskip(NEXT) | instid1(VALU_DEP_1)
	v_mul_f64 v[222:223], v[220:221], v[218:219]
	v_fma_f64 v[216:217], -v[216:217], v[222:223], v[220:221]
	s_delay_alu instid0(VALU_DEP_1) | instskip(NEXT) | instid1(VALU_DEP_1)
	v_div_fmas_f64 v[216:217], v[216:217], v[218:219], v[222:223]
	v_div_fixup_f64 v[238:239], v[216:217], v[214:215], 1.0
	s_delay_alu instid0(VALU_DEP_1)
	v_mul_f64 v[236:237], v[212:213], v[238:239]
	v_xor_b32_e32 v239, 0x80000000, v239
.LBB116_322:
	s_and_not1_saveexec_b32 s2, s2
	s_cbranch_execz .LBB116_324
; %bb.323:
	s_delay_alu instid0(VALU_DEP_1) | instskip(SKIP_1) | instid1(VALU_DEP_2)
	v_div_scale_f64 v[212:213], null, v[236:237], v[236:237], v[238:239]
	v_div_scale_f64 v[218:219], vcc_lo, v[238:239], v[236:237], v[238:239]
	v_rcp_f64_e32 v[214:215], v[212:213]
	s_waitcnt_depctr 0xfff
	v_fma_f64 v[216:217], -v[212:213], v[214:215], 1.0
	s_delay_alu instid0(VALU_DEP_1) | instskip(NEXT) | instid1(VALU_DEP_1)
	v_fma_f64 v[214:215], v[214:215], v[216:217], v[214:215]
	v_fma_f64 v[216:217], -v[212:213], v[214:215], 1.0
	s_delay_alu instid0(VALU_DEP_1) | instskip(NEXT) | instid1(VALU_DEP_1)
	v_fma_f64 v[214:215], v[214:215], v[216:217], v[214:215]
	v_mul_f64 v[216:217], v[218:219], v[214:215]
	s_delay_alu instid0(VALU_DEP_1) | instskip(NEXT) | instid1(VALU_DEP_1)
	v_fma_f64 v[212:213], -v[212:213], v[216:217], v[218:219]
	v_div_fmas_f64 v[212:213], v[212:213], v[214:215], v[216:217]
	s_delay_alu instid0(VALU_DEP_1) | instskip(NEXT) | instid1(VALU_DEP_1)
	v_div_fixup_f64 v[212:213], v[212:213], v[236:237], v[238:239]
	v_fma_f64 v[214:215], v[238:239], v[212:213], v[236:237]
	s_delay_alu instid0(VALU_DEP_1) | instskip(NEXT) | instid1(VALU_DEP_1)
	v_div_scale_f64 v[216:217], null, v[214:215], v[214:215], 1.0
	v_rcp_f64_e32 v[218:219], v[216:217]
	s_waitcnt_depctr 0xfff
	v_fma_f64 v[220:221], -v[216:217], v[218:219], 1.0
	s_delay_alu instid0(VALU_DEP_1) | instskip(NEXT) | instid1(VALU_DEP_1)
	v_fma_f64 v[218:219], v[218:219], v[220:221], v[218:219]
	v_fma_f64 v[220:221], -v[216:217], v[218:219], 1.0
	s_delay_alu instid0(VALU_DEP_1) | instskip(SKIP_1) | instid1(VALU_DEP_1)
	v_fma_f64 v[218:219], v[218:219], v[220:221], v[218:219]
	v_div_scale_f64 v[220:221], vcc_lo, 1.0, v[214:215], 1.0
	v_mul_f64 v[222:223], v[220:221], v[218:219]
	s_delay_alu instid0(VALU_DEP_1) | instskip(NEXT) | instid1(VALU_DEP_1)
	v_fma_f64 v[216:217], -v[216:217], v[222:223], v[220:221]
	v_div_fmas_f64 v[216:217], v[216:217], v[218:219], v[222:223]
	s_delay_alu instid0(VALU_DEP_1) | instskip(NEXT) | instid1(VALU_DEP_1)
	v_div_fixup_f64 v[236:237], v[216:217], v[214:215], 1.0
	v_mul_f64 v[238:239], v[212:213], -v[236:237]
.LBB116_324:
	s_or_b32 exec_lo, exec_lo, s2
.LBB116_325:
	s_delay_alu instid0(SALU_CYCLE_1) | instskip(NEXT) | instid1(SALU_CYCLE_1)
	s_or_b32 exec_lo, exec_lo, s3
	s_mov_b32 s2, exec_lo
	v_cmpx_ne_u32_e64 v252, v244
	s_xor_b32 s2, exec_lo, s2
	s_cbranch_execz .LBB116_331
; %bb.326:
	s_mov_b32 s3, exec_lo
	v_cmpx_eq_u32_e32 15, v252
	s_cbranch_execz .LBB116_330
; %bb.327:
	v_cmp_ne_u32_e32 vcc_lo, 15, v244
	s_xor_b32 s4, s5, -1
	s_delay_alu instid0(SALU_CYCLE_1) | instskip(NEXT) | instid1(SALU_CYCLE_1)
	s_and_b32 s6, s4, vcc_lo
	s_and_saveexec_b32 s4, s6
	s_cbranch_execz .LBB116_329
; %bb.328:
	scratch_load_b64 v[208:209], off, off offset:16 ; 8-byte Folded Reload
	v_ashrrev_i32_e32 v245, 31, v244
	s_delay_alu instid0(VALU_DEP_1) | instskip(SKIP_1) | instid1(VALU_DEP_1)
	v_lshlrev_b64 v[212:213], 2, v[244:245]
	s_waitcnt vmcnt(0)
	v_add_co_u32 v212, vcc_lo, v208, v212
	s_delay_alu instid0(VALU_DEP_2)
	v_add_co_ci_u32_e32 v213, vcc_lo, v209, v213, vcc_lo
	s_clause 0x1
	flat_load_b32 v214, v[212:213]
	flat_load_b32 v215, v[208:209] offset:60
	s_waitcnt vmcnt(1) lgkmcnt(1)
	flat_store_b32 v[208:209], v214 offset:60
	s_waitcnt vmcnt(0) lgkmcnt(1)
	flat_store_b32 v[212:213], v215
.LBB116_329:
	s_or_b32 exec_lo, exec_lo, s4
	v_mov_b32_e32 v252, v244
	v_mov_b32_e32 v251, v244
.LBB116_330:
	s_or_b32 exec_lo, exec_lo, s3
.LBB116_331:
	s_and_not1_saveexec_b32 s2, s2
	s_cbranch_execz .LBB116_333
; %bb.332:
	v_mov_b32_e32 v252, 15
	ds_store_2addr_b64 v246, v[168:169], v[170:171] offset0:32 offset1:33
	ds_store_2addr_b64 v246, v[164:165], v[166:167] offset0:34 offset1:35
	ds_store_2addr_b64 v246, v[160:161], v[162:163] offset0:36 offset1:37
	ds_store_2addr_b64 v246, v[156:157], v[158:159] offset0:38 offset1:39
	ds_store_2addr_b64 v246, v[152:153], v[154:155] offset0:40 offset1:41
	ds_store_2addr_b64 v246, v[148:149], v[150:151] offset0:42 offset1:43
	ds_store_2addr_b64 v246, v[144:145], v[146:147] offset0:44 offset1:45
	ds_store_2addr_b64 v246, v[140:141], v[142:143] offset0:46 offset1:47
	ds_store_2addr_b64 v246, v[136:137], v[138:139] offset0:48 offset1:49
	ds_store_2addr_b64 v246, v[132:133], v[134:135] offset0:50 offset1:51
	ds_store_2addr_b64 v246, v[128:129], v[130:131] offset0:52 offset1:53
	ds_store_2addr_b64 v246, v[124:125], v[126:127] offset0:54 offset1:55
	ds_store_2addr_b64 v246, v[120:121], v[122:123] offset0:56 offset1:57
	ds_store_2addr_b64 v246, v[116:117], v[118:119] offset0:58 offset1:59
	ds_store_2addr_b64 v246, v[112:113], v[114:115] offset0:60 offset1:61
	ds_store_2addr_b64 v246, v[108:109], v[110:111] offset0:62 offset1:63
	ds_store_2addr_b64 v246, v[104:105], v[106:107] offset0:64 offset1:65
	ds_store_2addr_b64 v246, v[100:101], v[102:103] offset0:66 offset1:67
	ds_store_2addr_b64 v246, v[96:97], v[98:99] offset0:68 offset1:69
	ds_store_2addr_b64 v246, v[92:93], v[94:95] offset0:70 offset1:71
	ds_store_2addr_b64 v246, v[88:89], v[90:91] offset0:72 offset1:73
	ds_store_2addr_b64 v246, v[84:85], v[86:87] offset0:74 offset1:75
	ds_store_2addr_b64 v246, v[80:81], v[82:83] offset0:76 offset1:77
	ds_store_2addr_b64 v246, v[76:77], v[78:79] offset0:78 offset1:79
	ds_store_2addr_b64 v246, v[72:73], v[74:75] offset0:80 offset1:81
	ds_store_2addr_b64 v246, v[68:69], v[70:71] offset0:82 offset1:83
	ds_store_2addr_b64 v246, v[64:65], v[66:67] offset0:84 offset1:85
	ds_store_2addr_b64 v246, v[60:61], v[62:63] offset0:86 offset1:87
	ds_store_2addr_b64 v246, v[56:57], v[58:59] offset0:88 offset1:89
	ds_store_2addr_b64 v246, v[52:53], v[54:55] offset0:90 offset1:91
	ds_store_2addr_b64 v246, v[48:49], v[50:51] offset0:92 offset1:93
	ds_store_2addr_b64 v246, v[44:45], v[46:47] offset0:94 offset1:95
	ds_store_2addr_b64 v246, v[40:41], v[42:43] offset0:96 offset1:97
	ds_store_2addr_b64 v246, v[36:37], v[38:39] offset0:98 offset1:99
	ds_store_2addr_b64 v246, v[32:33], v[34:35] offset0:100 offset1:101
	ds_store_2addr_b64 v246, v[28:29], v[30:31] offset0:102 offset1:103
	ds_store_2addr_b64 v246, v[24:25], v[26:27] offset0:104 offset1:105
	ds_store_2addr_b64 v246, v[20:21], v[22:23] offset0:106 offset1:107
	ds_store_2addr_b64 v246, v[16:17], v[18:19] offset0:108 offset1:109
	ds_store_2addr_b64 v246, v[12:13], v[14:15] offset0:110 offset1:111
	ds_store_2addr_b64 v246, v[230:231], v[232:233] offset0:112 offset1:113
	ds_store_2addr_b64 v246, v[4:5], v[6:7] offset0:114 offset1:115
	ds_store_2addr_b64 v246, v[224:225], v[226:227] offset0:116 offset1:117
.LBB116_333:
	s_or_b32 exec_lo, exec_lo, s2
	s_delay_alu instid0(SALU_CYCLE_1)
	s_mov_b32 s2, exec_lo
	s_waitcnt lgkmcnt(0)
	s_waitcnt_vscnt null, 0x0
	s_barrier
	buffer_gl0_inv
	v_cmpx_lt_i32_e32 15, v252
	s_cbranch_execz .LBB116_335
; %bb.334:
	v_mul_f64 v[212:213], v[238:239], v[174:175]
	v_mul_f64 v[174:175], v[236:237], v[174:175]
	s_delay_alu instid0(VALU_DEP_2) | instskip(NEXT) | instid1(VALU_DEP_2)
	v_fma_f64 v[244:245], v[236:237], v[172:173], -v[212:213]
	v_fma_f64 v[174:175], v[238:239], v[172:173], v[174:175]
	ds_load_2addr_b64 v[236:239], v246 offset0:32 offset1:33
	s_waitcnt lgkmcnt(0)
	v_mul_f64 v[172:173], v[238:239], v[174:175]
	v_mul_f64 v[212:213], v[236:237], v[174:175]
	s_delay_alu instid0(VALU_DEP_2) | instskip(NEXT) | instid1(VALU_DEP_2)
	v_fma_f64 v[172:173], v[236:237], v[244:245], -v[172:173]
	v_fma_f64 v[212:213], v[238:239], v[244:245], v[212:213]
	ds_load_2addr_b64 v[236:239], v246 offset0:34 offset1:35
	v_add_f64 v[168:169], v[168:169], -v[172:173]
	v_add_f64 v[170:171], v[170:171], -v[212:213]
	s_waitcnt lgkmcnt(0)
	v_mul_f64 v[172:173], v[238:239], v[174:175]
	v_mul_f64 v[212:213], v[236:237], v[174:175]
	s_delay_alu instid0(VALU_DEP_2) | instskip(NEXT) | instid1(VALU_DEP_2)
	v_fma_f64 v[172:173], v[236:237], v[244:245], -v[172:173]
	v_fma_f64 v[212:213], v[238:239], v[244:245], v[212:213]
	ds_load_2addr_b64 v[236:239], v246 offset0:36 offset1:37
	v_add_f64 v[164:165], v[164:165], -v[172:173]
	v_add_f64 v[166:167], v[166:167], -v[212:213]
	;; [unrolled: 9-line block ×42, first 2 shown]
	s_waitcnt lgkmcnt(0)
	v_mul_f64 v[172:173], v[238:239], v[174:175]
	v_mul_f64 v[212:213], v[236:237], v[174:175]
	s_delay_alu instid0(VALU_DEP_2) | instskip(NEXT) | instid1(VALU_DEP_2)
	v_fma_f64 v[172:173], v[236:237], v[244:245], -v[172:173]
	v_fma_f64 v[212:213], v[238:239], v[244:245], v[212:213]
	s_delay_alu instid0(VALU_DEP_2) | instskip(NEXT) | instid1(VALU_DEP_2)
	v_add_f64 v[224:225], v[224:225], -v[172:173]
	v_add_f64 v[226:227], v[226:227], -v[212:213]
	v_dual_mov_b32 v172, v244 :: v_dual_mov_b32 v173, v245
.LBB116_335:
	s_or_b32 exec_lo, exec_lo, s2
	v_lshl_add_u32 v212, v252, 4, v246
	s_barrier
	buffer_gl0_inv
	v_mov_b32_e32 v244, 16
	ds_store_2addr_b64 v212, v[168:169], v[170:171] offset1:1
	s_waitcnt lgkmcnt(0)
	s_barrier
	buffer_gl0_inv
	ds_load_2addr_b64 v[236:239], v246 offset0:32 offset1:33
	s_cmp_lt_i32 s12, 18
	s_cbranch_scc1 .LBB116_338
; %bb.336:
	v_add3_u32 v245, v234, 0, 0x110
	v_mov_b32_e32 v244, 16
	s_mov_b32 s6, 17
	s_set_inst_prefetch_distance 0x1
	.p2align	6
.LBB116_337:                            ; =>This Inner Loop Header: Depth=1
	ds_load_2addr_b64 v[240:243], v245 offset1:1
	s_waitcnt lgkmcnt(1)
	v_cmp_gt_f64_e32 vcc_lo, 0, v[236:237]
	v_cmp_gt_f64_e64 s2, 0, v[238:239]
	v_xor_b32_e32 v213, 0x80000000, v237
	v_xor_b32_e32 v215, 0x80000000, v239
	v_add_nc_u32_e32 v245, 16, v245
	s_waitcnt lgkmcnt(0)
	v_cmp_gt_f64_e64 s3, 0, v[240:241]
	v_cmp_gt_f64_e64 s4, 0, v[242:243]
	v_xor_b32_e32 v219, 0x80000000, v241
	v_xor_b32_e32 v220, 0x80000000, v243
	v_mov_b32_e32 v214, v242
	v_mov_b32_e32 v212, v240
	v_cndmask_b32_e32 v216, v237, v213, vcc_lo
	v_cndmask_b32_e64 v218, v239, v215, s2
	v_cndmask_b32_e32 v215, v236, v236, vcc_lo
	v_cndmask_b32_e64 v217, v238, v238, s2
	s_delay_alu instid0(VALU_DEP_1) | instskip(SKIP_2) | instid1(VALU_DEP_1)
	v_add_f64 v[216:217], v[215:216], v[217:218]
	v_cndmask_b32_e64 v213, v241, v219, s3
	v_cndmask_b32_e64 v215, v243, v220, s4
	v_add_f64 v[212:213], v[212:213], v[214:215]
	s_delay_alu instid0(VALU_DEP_1)
	v_cmp_lt_f64_e32 vcc_lo, v[216:217], v[212:213]
	v_cndmask_b32_e32 v239, v239, v243, vcc_lo
	v_dual_cndmask_b32 v237, v237, v241 :: v_dual_cndmask_b32 v236, v236, v240
	v_cndmask_b32_e32 v238, v238, v242, vcc_lo
	v_cndmask_b32_e64 v244, v244, s6, vcc_lo
	s_add_i32 s6, s6, 1
	s_delay_alu instid0(SALU_CYCLE_1)
	s_cmp_lg_u32 s12, s6
	s_cbranch_scc1 .LBB116_337
.LBB116_338:
	s_set_inst_prefetch_distance 0x2
	s_waitcnt lgkmcnt(0)
	v_cmp_eq_f64_e32 vcc_lo, 0, v[236:237]
	v_cmp_eq_f64_e64 s2, 0, v[238:239]
	s_delay_alu instid0(VALU_DEP_1) | instskip(NEXT) | instid1(SALU_CYCLE_1)
	s_and_b32 s2, vcc_lo, s2
	s_and_saveexec_b32 s3, s2
	s_delay_alu instid0(SALU_CYCLE_1)
	s_xor_b32 s2, exec_lo, s3
; %bb.339:
	v_cmp_ne_u32_e32 vcc_lo, 0, v249
	v_cndmask_b32_e32 v249, 17, v249, vcc_lo
; %bb.340:
	s_and_not1_saveexec_b32 s3, s2
	s_cbranch_execz .LBB116_346
; %bb.341:
	v_cmp_gt_f64_e32 vcc_lo, 0, v[236:237]
	v_cmp_gt_f64_e64 s2, 0, v[238:239]
	v_xor_b32_e32 v212, 0x80000000, v237
	v_xor_b32_e32 v214, 0x80000000, v239
	s_delay_alu instid0(VALU_DEP_2) | instskip(NEXT) | instid1(VALU_DEP_2)
	v_cndmask_b32_e32 v213, v237, v212, vcc_lo
	v_cndmask_b32_e64 v215, v239, v214, s2
	v_cndmask_b32_e32 v212, v236, v236, vcc_lo
	v_cndmask_b32_e64 v214, v238, v238, s2
	s_mov_b32 s2, exec_lo
	s_delay_alu instid0(VALU_DEP_1)
	v_cmpx_ngt_f64_e32 v[212:213], v[214:215]
	s_xor_b32 s2, exec_lo, s2
	s_cbranch_execz .LBB116_343
; %bb.342:
	v_div_scale_f64 v[212:213], null, v[238:239], v[238:239], v[236:237]
	v_div_scale_f64 v[218:219], vcc_lo, v[236:237], v[238:239], v[236:237]
	s_delay_alu instid0(VALU_DEP_2) | instskip(SKIP_2) | instid1(VALU_DEP_1)
	v_rcp_f64_e32 v[214:215], v[212:213]
	s_waitcnt_depctr 0xfff
	v_fma_f64 v[216:217], -v[212:213], v[214:215], 1.0
	v_fma_f64 v[214:215], v[214:215], v[216:217], v[214:215]
	s_delay_alu instid0(VALU_DEP_1) | instskip(NEXT) | instid1(VALU_DEP_1)
	v_fma_f64 v[216:217], -v[212:213], v[214:215], 1.0
	v_fma_f64 v[214:215], v[214:215], v[216:217], v[214:215]
	s_delay_alu instid0(VALU_DEP_1) | instskip(NEXT) | instid1(VALU_DEP_1)
	v_mul_f64 v[216:217], v[218:219], v[214:215]
	v_fma_f64 v[212:213], -v[212:213], v[216:217], v[218:219]
	s_delay_alu instid0(VALU_DEP_1) | instskip(NEXT) | instid1(VALU_DEP_1)
	v_div_fmas_f64 v[212:213], v[212:213], v[214:215], v[216:217]
	v_div_fixup_f64 v[212:213], v[212:213], v[238:239], v[236:237]
	s_delay_alu instid0(VALU_DEP_1) | instskip(NEXT) | instid1(VALU_DEP_1)
	v_fma_f64 v[214:215], v[236:237], v[212:213], v[238:239]
	v_div_scale_f64 v[216:217], null, v[214:215], v[214:215], 1.0
	s_delay_alu instid0(VALU_DEP_1) | instskip(SKIP_2) | instid1(VALU_DEP_1)
	v_rcp_f64_e32 v[218:219], v[216:217]
	s_waitcnt_depctr 0xfff
	v_fma_f64 v[220:221], -v[216:217], v[218:219], 1.0
	v_fma_f64 v[218:219], v[218:219], v[220:221], v[218:219]
	s_delay_alu instid0(VALU_DEP_1) | instskip(NEXT) | instid1(VALU_DEP_1)
	v_fma_f64 v[220:221], -v[216:217], v[218:219], 1.0
	v_fma_f64 v[218:219], v[218:219], v[220:221], v[218:219]
	v_div_scale_f64 v[220:221], vcc_lo, 1.0, v[214:215], 1.0
	s_delay_alu instid0(VALU_DEP_1) | instskip(NEXT) | instid1(VALU_DEP_1)
	v_mul_f64 v[222:223], v[220:221], v[218:219]
	v_fma_f64 v[216:217], -v[216:217], v[222:223], v[220:221]
	s_delay_alu instid0(VALU_DEP_1) | instskip(NEXT) | instid1(VALU_DEP_1)
	v_div_fmas_f64 v[216:217], v[216:217], v[218:219], v[222:223]
	v_div_fixup_f64 v[238:239], v[216:217], v[214:215], 1.0
	s_delay_alu instid0(VALU_DEP_1)
	v_mul_f64 v[236:237], v[212:213], v[238:239]
	v_xor_b32_e32 v239, 0x80000000, v239
.LBB116_343:
	s_and_not1_saveexec_b32 s2, s2
	s_cbranch_execz .LBB116_345
; %bb.344:
	s_delay_alu instid0(VALU_DEP_1) | instskip(SKIP_1) | instid1(VALU_DEP_2)
	v_div_scale_f64 v[212:213], null, v[236:237], v[236:237], v[238:239]
	v_div_scale_f64 v[218:219], vcc_lo, v[238:239], v[236:237], v[238:239]
	v_rcp_f64_e32 v[214:215], v[212:213]
	s_waitcnt_depctr 0xfff
	v_fma_f64 v[216:217], -v[212:213], v[214:215], 1.0
	s_delay_alu instid0(VALU_DEP_1) | instskip(NEXT) | instid1(VALU_DEP_1)
	v_fma_f64 v[214:215], v[214:215], v[216:217], v[214:215]
	v_fma_f64 v[216:217], -v[212:213], v[214:215], 1.0
	s_delay_alu instid0(VALU_DEP_1) | instskip(NEXT) | instid1(VALU_DEP_1)
	v_fma_f64 v[214:215], v[214:215], v[216:217], v[214:215]
	v_mul_f64 v[216:217], v[218:219], v[214:215]
	s_delay_alu instid0(VALU_DEP_1) | instskip(NEXT) | instid1(VALU_DEP_1)
	v_fma_f64 v[212:213], -v[212:213], v[216:217], v[218:219]
	v_div_fmas_f64 v[212:213], v[212:213], v[214:215], v[216:217]
	s_delay_alu instid0(VALU_DEP_1) | instskip(NEXT) | instid1(VALU_DEP_1)
	v_div_fixup_f64 v[212:213], v[212:213], v[236:237], v[238:239]
	v_fma_f64 v[214:215], v[238:239], v[212:213], v[236:237]
	s_delay_alu instid0(VALU_DEP_1) | instskip(NEXT) | instid1(VALU_DEP_1)
	v_div_scale_f64 v[216:217], null, v[214:215], v[214:215], 1.0
	v_rcp_f64_e32 v[218:219], v[216:217]
	s_waitcnt_depctr 0xfff
	v_fma_f64 v[220:221], -v[216:217], v[218:219], 1.0
	s_delay_alu instid0(VALU_DEP_1) | instskip(NEXT) | instid1(VALU_DEP_1)
	v_fma_f64 v[218:219], v[218:219], v[220:221], v[218:219]
	v_fma_f64 v[220:221], -v[216:217], v[218:219], 1.0
	s_delay_alu instid0(VALU_DEP_1) | instskip(SKIP_1) | instid1(VALU_DEP_1)
	v_fma_f64 v[218:219], v[218:219], v[220:221], v[218:219]
	v_div_scale_f64 v[220:221], vcc_lo, 1.0, v[214:215], 1.0
	v_mul_f64 v[222:223], v[220:221], v[218:219]
	s_delay_alu instid0(VALU_DEP_1) | instskip(NEXT) | instid1(VALU_DEP_1)
	v_fma_f64 v[216:217], -v[216:217], v[222:223], v[220:221]
	v_div_fmas_f64 v[216:217], v[216:217], v[218:219], v[222:223]
	s_delay_alu instid0(VALU_DEP_1) | instskip(NEXT) | instid1(VALU_DEP_1)
	v_div_fixup_f64 v[236:237], v[216:217], v[214:215], 1.0
	v_mul_f64 v[238:239], v[212:213], -v[236:237]
.LBB116_345:
	s_or_b32 exec_lo, exec_lo, s2
.LBB116_346:
	s_delay_alu instid0(SALU_CYCLE_1) | instskip(NEXT) | instid1(SALU_CYCLE_1)
	s_or_b32 exec_lo, exec_lo, s3
	s_mov_b32 s2, exec_lo
	v_cmpx_ne_u32_e64 v252, v244
	s_xor_b32 s2, exec_lo, s2
	s_cbranch_execz .LBB116_352
; %bb.347:
	s_mov_b32 s3, exec_lo
	v_cmpx_eq_u32_e32 16, v252
	s_cbranch_execz .LBB116_351
; %bb.348:
	v_cmp_ne_u32_e32 vcc_lo, 16, v244
	s_xor_b32 s4, s5, -1
	s_delay_alu instid0(SALU_CYCLE_1) | instskip(NEXT) | instid1(SALU_CYCLE_1)
	s_and_b32 s6, s4, vcc_lo
	s_and_saveexec_b32 s4, s6
	s_cbranch_execz .LBB116_350
; %bb.349:
	scratch_load_b64 v[208:209], off, off offset:16 ; 8-byte Folded Reload
	v_ashrrev_i32_e32 v245, 31, v244
	s_delay_alu instid0(VALU_DEP_1) | instskip(SKIP_1) | instid1(VALU_DEP_1)
	v_lshlrev_b64 v[212:213], 2, v[244:245]
	s_waitcnt vmcnt(0)
	v_add_co_u32 v212, vcc_lo, v208, v212
	s_delay_alu instid0(VALU_DEP_2)
	v_add_co_ci_u32_e32 v213, vcc_lo, v209, v213, vcc_lo
	s_clause 0x1
	flat_load_b32 v214, v[212:213]
	flat_load_b32 v215, v[208:209] offset:64
	s_waitcnt vmcnt(1) lgkmcnt(1)
	flat_store_b32 v[208:209], v214 offset:64
	s_waitcnt vmcnt(0) lgkmcnt(1)
	flat_store_b32 v[212:213], v215
.LBB116_350:
	s_or_b32 exec_lo, exec_lo, s4
	v_mov_b32_e32 v252, v244
	v_mov_b32_e32 v251, v244
.LBB116_351:
	s_or_b32 exec_lo, exec_lo, s3
.LBB116_352:
	s_and_not1_saveexec_b32 s2, s2
	s_cbranch_execz .LBB116_354
; %bb.353:
	v_mov_b32_e32 v252, 16
	ds_store_2addr_b64 v246, v[164:165], v[166:167] offset0:34 offset1:35
	ds_store_2addr_b64 v246, v[160:161], v[162:163] offset0:36 offset1:37
	;; [unrolled: 1-line block ×42, first 2 shown]
.LBB116_354:
	s_or_b32 exec_lo, exec_lo, s2
	s_delay_alu instid0(SALU_CYCLE_1)
	s_mov_b32 s2, exec_lo
	s_waitcnt lgkmcnt(0)
	s_waitcnt_vscnt null, 0x0
	s_barrier
	buffer_gl0_inv
	v_cmpx_lt_i32_e32 16, v252
	s_cbranch_execz .LBB116_356
; %bb.355:
	v_mul_f64 v[212:213], v[238:239], v[170:171]
	v_mul_f64 v[170:171], v[236:237], v[170:171]
	s_delay_alu instid0(VALU_DEP_2) | instskip(NEXT) | instid1(VALU_DEP_2)
	v_fma_f64 v[244:245], v[236:237], v[168:169], -v[212:213]
	v_fma_f64 v[170:171], v[238:239], v[168:169], v[170:171]
	ds_load_2addr_b64 v[236:239], v246 offset0:34 offset1:35
	s_waitcnt lgkmcnt(0)
	v_mul_f64 v[168:169], v[238:239], v[170:171]
	v_mul_f64 v[212:213], v[236:237], v[170:171]
	s_delay_alu instid0(VALU_DEP_2) | instskip(NEXT) | instid1(VALU_DEP_2)
	v_fma_f64 v[168:169], v[236:237], v[244:245], -v[168:169]
	v_fma_f64 v[212:213], v[238:239], v[244:245], v[212:213]
	ds_load_2addr_b64 v[236:239], v246 offset0:36 offset1:37
	v_add_f64 v[164:165], v[164:165], -v[168:169]
	v_add_f64 v[166:167], v[166:167], -v[212:213]
	s_waitcnt lgkmcnt(0)
	v_mul_f64 v[168:169], v[238:239], v[170:171]
	v_mul_f64 v[212:213], v[236:237], v[170:171]
	s_delay_alu instid0(VALU_DEP_2) | instskip(NEXT) | instid1(VALU_DEP_2)
	v_fma_f64 v[168:169], v[236:237], v[244:245], -v[168:169]
	v_fma_f64 v[212:213], v[238:239], v[244:245], v[212:213]
	ds_load_2addr_b64 v[236:239], v246 offset0:38 offset1:39
	v_add_f64 v[160:161], v[160:161], -v[168:169]
	v_add_f64 v[162:163], v[162:163], -v[212:213]
	;; [unrolled: 9-line block ×41, first 2 shown]
	s_waitcnt lgkmcnt(0)
	v_mul_f64 v[168:169], v[238:239], v[170:171]
	v_mul_f64 v[212:213], v[236:237], v[170:171]
	s_delay_alu instid0(VALU_DEP_2) | instskip(NEXT) | instid1(VALU_DEP_2)
	v_fma_f64 v[168:169], v[236:237], v[244:245], -v[168:169]
	v_fma_f64 v[212:213], v[238:239], v[244:245], v[212:213]
	s_delay_alu instid0(VALU_DEP_2) | instskip(NEXT) | instid1(VALU_DEP_2)
	v_add_f64 v[224:225], v[224:225], -v[168:169]
	v_add_f64 v[226:227], v[226:227], -v[212:213]
	v_dual_mov_b32 v168, v244 :: v_dual_mov_b32 v169, v245
.LBB116_356:
	s_or_b32 exec_lo, exec_lo, s2
	v_lshl_add_u32 v212, v252, 4, v246
	s_barrier
	buffer_gl0_inv
	v_mov_b32_e32 v244, 17
	ds_store_2addr_b64 v212, v[164:165], v[166:167] offset1:1
	s_waitcnt lgkmcnt(0)
	s_barrier
	buffer_gl0_inv
	ds_load_2addr_b64 v[236:239], v246 offset0:34 offset1:35
	s_cmp_lt_i32 s12, 19
	s_cbranch_scc1 .LBB116_359
; %bb.357:
	v_add3_u32 v245, v234, 0, 0x120
	v_mov_b32_e32 v244, 17
	s_mov_b32 s6, 18
	s_set_inst_prefetch_distance 0x1
	.p2align	6
.LBB116_358:                            ; =>This Inner Loop Header: Depth=1
	ds_load_2addr_b64 v[240:243], v245 offset1:1
	s_waitcnt lgkmcnt(1)
	v_cmp_gt_f64_e32 vcc_lo, 0, v[236:237]
	v_cmp_gt_f64_e64 s2, 0, v[238:239]
	v_xor_b32_e32 v213, 0x80000000, v237
	v_xor_b32_e32 v215, 0x80000000, v239
	v_add_nc_u32_e32 v245, 16, v245
	s_waitcnt lgkmcnt(0)
	v_cmp_gt_f64_e64 s3, 0, v[240:241]
	v_cmp_gt_f64_e64 s4, 0, v[242:243]
	v_xor_b32_e32 v219, 0x80000000, v241
	v_xor_b32_e32 v220, 0x80000000, v243
	v_mov_b32_e32 v214, v242
	v_mov_b32_e32 v212, v240
	v_cndmask_b32_e32 v216, v237, v213, vcc_lo
	v_cndmask_b32_e64 v218, v239, v215, s2
	v_cndmask_b32_e32 v215, v236, v236, vcc_lo
	v_cndmask_b32_e64 v217, v238, v238, s2
	s_delay_alu instid0(VALU_DEP_1) | instskip(SKIP_2) | instid1(VALU_DEP_1)
	v_add_f64 v[216:217], v[215:216], v[217:218]
	v_cndmask_b32_e64 v213, v241, v219, s3
	v_cndmask_b32_e64 v215, v243, v220, s4
	v_add_f64 v[212:213], v[212:213], v[214:215]
	s_delay_alu instid0(VALU_DEP_1)
	v_cmp_lt_f64_e32 vcc_lo, v[216:217], v[212:213]
	v_cndmask_b32_e32 v239, v239, v243, vcc_lo
	v_dual_cndmask_b32 v237, v237, v241 :: v_dual_cndmask_b32 v236, v236, v240
	v_cndmask_b32_e32 v238, v238, v242, vcc_lo
	v_cndmask_b32_e64 v244, v244, s6, vcc_lo
	s_add_i32 s6, s6, 1
	s_delay_alu instid0(SALU_CYCLE_1)
	s_cmp_lg_u32 s12, s6
	s_cbranch_scc1 .LBB116_358
.LBB116_359:
	s_set_inst_prefetch_distance 0x2
	s_waitcnt lgkmcnt(0)
	v_cmp_eq_f64_e32 vcc_lo, 0, v[236:237]
	v_cmp_eq_f64_e64 s2, 0, v[238:239]
	s_delay_alu instid0(VALU_DEP_1) | instskip(NEXT) | instid1(SALU_CYCLE_1)
	s_and_b32 s2, vcc_lo, s2
	s_and_saveexec_b32 s3, s2
	s_delay_alu instid0(SALU_CYCLE_1)
	s_xor_b32 s2, exec_lo, s3
; %bb.360:
	v_cmp_ne_u32_e32 vcc_lo, 0, v249
	v_cndmask_b32_e32 v249, 18, v249, vcc_lo
; %bb.361:
	s_and_not1_saveexec_b32 s3, s2
	s_cbranch_execz .LBB116_367
; %bb.362:
	v_cmp_gt_f64_e32 vcc_lo, 0, v[236:237]
	v_cmp_gt_f64_e64 s2, 0, v[238:239]
	v_xor_b32_e32 v212, 0x80000000, v237
	v_xor_b32_e32 v214, 0x80000000, v239
	s_delay_alu instid0(VALU_DEP_2) | instskip(NEXT) | instid1(VALU_DEP_2)
	v_cndmask_b32_e32 v213, v237, v212, vcc_lo
	v_cndmask_b32_e64 v215, v239, v214, s2
	v_cndmask_b32_e32 v212, v236, v236, vcc_lo
	v_cndmask_b32_e64 v214, v238, v238, s2
	s_mov_b32 s2, exec_lo
	s_delay_alu instid0(VALU_DEP_1)
	v_cmpx_ngt_f64_e32 v[212:213], v[214:215]
	s_xor_b32 s2, exec_lo, s2
	s_cbranch_execz .LBB116_364
; %bb.363:
	v_div_scale_f64 v[212:213], null, v[238:239], v[238:239], v[236:237]
	v_div_scale_f64 v[218:219], vcc_lo, v[236:237], v[238:239], v[236:237]
	s_delay_alu instid0(VALU_DEP_2) | instskip(SKIP_2) | instid1(VALU_DEP_1)
	v_rcp_f64_e32 v[214:215], v[212:213]
	s_waitcnt_depctr 0xfff
	v_fma_f64 v[216:217], -v[212:213], v[214:215], 1.0
	v_fma_f64 v[214:215], v[214:215], v[216:217], v[214:215]
	s_delay_alu instid0(VALU_DEP_1) | instskip(NEXT) | instid1(VALU_DEP_1)
	v_fma_f64 v[216:217], -v[212:213], v[214:215], 1.0
	v_fma_f64 v[214:215], v[214:215], v[216:217], v[214:215]
	s_delay_alu instid0(VALU_DEP_1) | instskip(NEXT) | instid1(VALU_DEP_1)
	v_mul_f64 v[216:217], v[218:219], v[214:215]
	v_fma_f64 v[212:213], -v[212:213], v[216:217], v[218:219]
	s_delay_alu instid0(VALU_DEP_1) | instskip(NEXT) | instid1(VALU_DEP_1)
	v_div_fmas_f64 v[212:213], v[212:213], v[214:215], v[216:217]
	v_div_fixup_f64 v[212:213], v[212:213], v[238:239], v[236:237]
	s_delay_alu instid0(VALU_DEP_1) | instskip(NEXT) | instid1(VALU_DEP_1)
	v_fma_f64 v[214:215], v[236:237], v[212:213], v[238:239]
	v_div_scale_f64 v[216:217], null, v[214:215], v[214:215], 1.0
	s_delay_alu instid0(VALU_DEP_1) | instskip(SKIP_2) | instid1(VALU_DEP_1)
	v_rcp_f64_e32 v[218:219], v[216:217]
	s_waitcnt_depctr 0xfff
	v_fma_f64 v[220:221], -v[216:217], v[218:219], 1.0
	v_fma_f64 v[218:219], v[218:219], v[220:221], v[218:219]
	s_delay_alu instid0(VALU_DEP_1) | instskip(NEXT) | instid1(VALU_DEP_1)
	v_fma_f64 v[220:221], -v[216:217], v[218:219], 1.0
	v_fma_f64 v[218:219], v[218:219], v[220:221], v[218:219]
	v_div_scale_f64 v[220:221], vcc_lo, 1.0, v[214:215], 1.0
	s_delay_alu instid0(VALU_DEP_1) | instskip(NEXT) | instid1(VALU_DEP_1)
	v_mul_f64 v[222:223], v[220:221], v[218:219]
	v_fma_f64 v[216:217], -v[216:217], v[222:223], v[220:221]
	s_delay_alu instid0(VALU_DEP_1) | instskip(NEXT) | instid1(VALU_DEP_1)
	v_div_fmas_f64 v[216:217], v[216:217], v[218:219], v[222:223]
	v_div_fixup_f64 v[238:239], v[216:217], v[214:215], 1.0
	s_delay_alu instid0(VALU_DEP_1)
	v_mul_f64 v[236:237], v[212:213], v[238:239]
	v_xor_b32_e32 v239, 0x80000000, v239
.LBB116_364:
	s_and_not1_saveexec_b32 s2, s2
	s_cbranch_execz .LBB116_366
; %bb.365:
	s_delay_alu instid0(VALU_DEP_1) | instskip(SKIP_1) | instid1(VALU_DEP_2)
	v_div_scale_f64 v[212:213], null, v[236:237], v[236:237], v[238:239]
	v_div_scale_f64 v[218:219], vcc_lo, v[238:239], v[236:237], v[238:239]
	v_rcp_f64_e32 v[214:215], v[212:213]
	s_waitcnt_depctr 0xfff
	v_fma_f64 v[216:217], -v[212:213], v[214:215], 1.0
	s_delay_alu instid0(VALU_DEP_1) | instskip(NEXT) | instid1(VALU_DEP_1)
	v_fma_f64 v[214:215], v[214:215], v[216:217], v[214:215]
	v_fma_f64 v[216:217], -v[212:213], v[214:215], 1.0
	s_delay_alu instid0(VALU_DEP_1) | instskip(NEXT) | instid1(VALU_DEP_1)
	v_fma_f64 v[214:215], v[214:215], v[216:217], v[214:215]
	v_mul_f64 v[216:217], v[218:219], v[214:215]
	s_delay_alu instid0(VALU_DEP_1) | instskip(NEXT) | instid1(VALU_DEP_1)
	v_fma_f64 v[212:213], -v[212:213], v[216:217], v[218:219]
	v_div_fmas_f64 v[212:213], v[212:213], v[214:215], v[216:217]
	s_delay_alu instid0(VALU_DEP_1) | instskip(NEXT) | instid1(VALU_DEP_1)
	v_div_fixup_f64 v[212:213], v[212:213], v[236:237], v[238:239]
	v_fma_f64 v[214:215], v[238:239], v[212:213], v[236:237]
	s_delay_alu instid0(VALU_DEP_1) | instskip(NEXT) | instid1(VALU_DEP_1)
	v_div_scale_f64 v[216:217], null, v[214:215], v[214:215], 1.0
	v_rcp_f64_e32 v[218:219], v[216:217]
	s_waitcnt_depctr 0xfff
	v_fma_f64 v[220:221], -v[216:217], v[218:219], 1.0
	s_delay_alu instid0(VALU_DEP_1) | instskip(NEXT) | instid1(VALU_DEP_1)
	v_fma_f64 v[218:219], v[218:219], v[220:221], v[218:219]
	v_fma_f64 v[220:221], -v[216:217], v[218:219], 1.0
	s_delay_alu instid0(VALU_DEP_1) | instskip(SKIP_1) | instid1(VALU_DEP_1)
	v_fma_f64 v[218:219], v[218:219], v[220:221], v[218:219]
	v_div_scale_f64 v[220:221], vcc_lo, 1.0, v[214:215], 1.0
	v_mul_f64 v[222:223], v[220:221], v[218:219]
	s_delay_alu instid0(VALU_DEP_1) | instskip(NEXT) | instid1(VALU_DEP_1)
	v_fma_f64 v[216:217], -v[216:217], v[222:223], v[220:221]
	v_div_fmas_f64 v[216:217], v[216:217], v[218:219], v[222:223]
	s_delay_alu instid0(VALU_DEP_1) | instskip(NEXT) | instid1(VALU_DEP_1)
	v_div_fixup_f64 v[236:237], v[216:217], v[214:215], 1.0
	v_mul_f64 v[238:239], v[212:213], -v[236:237]
.LBB116_366:
	s_or_b32 exec_lo, exec_lo, s2
.LBB116_367:
	s_delay_alu instid0(SALU_CYCLE_1) | instskip(NEXT) | instid1(SALU_CYCLE_1)
	s_or_b32 exec_lo, exec_lo, s3
	s_mov_b32 s2, exec_lo
	v_cmpx_ne_u32_e64 v252, v244
	s_xor_b32 s2, exec_lo, s2
	s_cbranch_execz .LBB116_373
; %bb.368:
	s_mov_b32 s3, exec_lo
	v_cmpx_eq_u32_e32 17, v252
	s_cbranch_execz .LBB116_372
; %bb.369:
	v_cmp_ne_u32_e32 vcc_lo, 17, v244
	s_xor_b32 s4, s5, -1
	s_delay_alu instid0(SALU_CYCLE_1) | instskip(NEXT) | instid1(SALU_CYCLE_1)
	s_and_b32 s6, s4, vcc_lo
	s_and_saveexec_b32 s4, s6
	s_cbranch_execz .LBB116_371
; %bb.370:
	scratch_load_b64 v[208:209], off, off offset:16 ; 8-byte Folded Reload
	v_ashrrev_i32_e32 v245, 31, v244
	s_delay_alu instid0(VALU_DEP_1) | instskip(SKIP_1) | instid1(VALU_DEP_1)
	v_lshlrev_b64 v[212:213], 2, v[244:245]
	s_waitcnt vmcnt(0)
	v_add_co_u32 v212, vcc_lo, v208, v212
	s_delay_alu instid0(VALU_DEP_2)
	v_add_co_ci_u32_e32 v213, vcc_lo, v209, v213, vcc_lo
	s_clause 0x1
	flat_load_b32 v214, v[212:213]
	flat_load_b32 v215, v[208:209] offset:68
	s_waitcnt vmcnt(1) lgkmcnt(1)
	flat_store_b32 v[208:209], v214 offset:68
	s_waitcnt vmcnt(0) lgkmcnt(1)
	flat_store_b32 v[212:213], v215
.LBB116_371:
	s_or_b32 exec_lo, exec_lo, s4
	v_mov_b32_e32 v252, v244
	v_mov_b32_e32 v251, v244
.LBB116_372:
	s_or_b32 exec_lo, exec_lo, s3
.LBB116_373:
	s_and_not1_saveexec_b32 s2, s2
	s_cbranch_execz .LBB116_375
; %bb.374:
	v_mov_b32_e32 v252, 17
	ds_store_2addr_b64 v246, v[160:161], v[162:163] offset0:36 offset1:37
	ds_store_2addr_b64 v246, v[156:157], v[158:159] offset0:38 offset1:39
	;; [unrolled: 1-line block ×41, first 2 shown]
.LBB116_375:
	s_or_b32 exec_lo, exec_lo, s2
	s_delay_alu instid0(SALU_CYCLE_1)
	s_mov_b32 s2, exec_lo
	s_waitcnt lgkmcnt(0)
	s_waitcnt_vscnt null, 0x0
	s_barrier
	buffer_gl0_inv
	v_cmpx_lt_i32_e32 17, v252
	s_cbranch_execz .LBB116_377
; %bb.376:
	v_mul_f64 v[212:213], v[238:239], v[166:167]
	v_mul_f64 v[166:167], v[236:237], v[166:167]
	s_delay_alu instid0(VALU_DEP_2) | instskip(NEXT) | instid1(VALU_DEP_2)
	v_fma_f64 v[244:245], v[236:237], v[164:165], -v[212:213]
	v_fma_f64 v[166:167], v[238:239], v[164:165], v[166:167]
	ds_load_2addr_b64 v[236:239], v246 offset0:36 offset1:37
	s_waitcnt lgkmcnt(0)
	v_mul_f64 v[164:165], v[238:239], v[166:167]
	v_mul_f64 v[212:213], v[236:237], v[166:167]
	s_delay_alu instid0(VALU_DEP_2) | instskip(NEXT) | instid1(VALU_DEP_2)
	v_fma_f64 v[164:165], v[236:237], v[244:245], -v[164:165]
	v_fma_f64 v[212:213], v[238:239], v[244:245], v[212:213]
	ds_load_2addr_b64 v[236:239], v246 offset0:38 offset1:39
	v_add_f64 v[160:161], v[160:161], -v[164:165]
	v_add_f64 v[162:163], v[162:163], -v[212:213]
	s_waitcnt lgkmcnt(0)
	v_mul_f64 v[164:165], v[238:239], v[166:167]
	v_mul_f64 v[212:213], v[236:237], v[166:167]
	s_delay_alu instid0(VALU_DEP_2) | instskip(NEXT) | instid1(VALU_DEP_2)
	v_fma_f64 v[164:165], v[236:237], v[244:245], -v[164:165]
	v_fma_f64 v[212:213], v[238:239], v[244:245], v[212:213]
	ds_load_2addr_b64 v[236:239], v246 offset0:40 offset1:41
	v_add_f64 v[156:157], v[156:157], -v[164:165]
	v_add_f64 v[158:159], v[158:159], -v[212:213]
	;; [unrolled: 9-line block ×40, first 2 shown]
	s_waitcnt lgkmcnt(0)
	v_mul_f64 v[164:165], v[238:239], v[166:167]
	v_mul_f64 v[212:213], v[236:237], v[166:167]
	s_delay_alu instid0(VALU_DEP_2) | instskip(NEXT) | instid1(VALU_DEP_2)
	v_fma_f64 v[164:165], v[236:237], v[244:245], -v[164:165]
	v_fma_f64 v[212:213], v[238:239], v[244:245], v[212:213]
	s_delay_alu instid0(VALU_DEP_2) | instskip(NEXT) | instid1(VALU_DEP_2)
	v_add_f64 v[224:225], v[224:225], -v[164:165]
	v_add_f64 v[226:227], v[226:227], -v[212:213]
	v_dual_mov_b32 v164, v244 :: v_dual_mov_b32 v165, v245
.LBB116_377:
	s_or_b32 exec_lo, exec_lo, s2
	v_lshl_add_u32 v212, v252, 4, v246
	s_barrier
	buffer_gl0_inv
	v_mov_b32_e32 v244, 18
	ds_store_2addr_b64 v212, v[160:161], v[162:163] offset1:1
	s_waitcnt lgkmcnt(0)
	s_barrier
	buffer_gl0_inv
	ds_load_2addr_b64 v[236:239], v246 offset0:36 offset1:37
	s_cmp_lt_i32 s12, 20
	s_cbranch_scc1 .LBB116_380
; %bb.378:
	v_add3_u32 v245, v234, 0, 0x130
	v_mov_b32_e32 v244, 18
	s_mov_b32 s6, 19
	s_set_inst_prefetch_distance 0x1
	.p2align	6
.LBB116_379:                            ; =>This Inner Loop Header: Depth=1
	ds_load_2addr_b64 v[240:243], v245 offset1:1
	s_waitcnt lgkmcnt(1)
	v_cmp_gt_f64_e32 vcc_lo, 0, v[236:237]
	v_cmp_gt_f64_e64 s2, 0, v[238:239]
	v_xor_b32_e32 v213, 0x80000000, v237
	v_xor_b32_e32 v217, 0x80000000, v239
	v_add_nc_u32_e32 v245, 16, v245
	s_waitcnt lgkmcnt(0)
	v_cmp_gt_f64_e64 s3, 0, v[240:241]
	v_cmp_gt_f64_e64 s4, 0, v[242:243]
	v_xor_b32_e32 v219, 0x80000000, v241
	v_xor_b32_e32 v220, 0x80000000, v243
	v_mov_b32_e32 v214, v242
	v_mov_b32_e32 v212, v240
	v_dual_cndmask_b32 v216, v237, v213 :: v_dual_cndmask_b32 v215, v236, v236
	v_cndmask_b32_e64 v218, v239, v217, s2
	v_cndmask_b32_e64 v217, v238, v238, s2
	s_delay_alu instid0(VALU_DEP_1) | instskip(SKIP_2) | instid1(VALU_DEP_1)
	v_add_f64 v[216:217], v[215:216], v[217:218]
	v_cndmask_b32_e64 v213, v241, v219, s3
	v_cndmask_b32_e64 v215, v243, v220, s4
	v_add_f64 v[212:213], v[212:213], v[214:215]
	s_delay_alu instid0(VALU_DEP_1)
	v_cmp_lt_f64_e32 vcc_lo, v[216:217], v[212:213]
	v_cndmask_b32_e32 v239, v239, v243, vcc_lo
	v_dual_cndmask_b32 v237, v237, v241 :: v_dual_cndmask_b32 v236, v236, v240
	v_cndmask_b32_e32 v238, v238, v242, vcc_lo
	v_cndmask_b32_e64 v244, v244, s6, vcc_lo
	s_add_i32 s6, s6, 1
	s_delay_alu instid0(SALU_CYCLE_1)
	s_cmp_lg_u32 s12, s6
	s_cbranch_scc1 .LBB116_379
.LBB116_380:
	s_set_inst_prefetch_distance 0x2
	s_waitcnt lgkmcnt(0)
	v_cmp_eq_f64_e32 vcc_lo, 0, v[236:237]
	v_cmp_eq_f64_e64 s2, 0, v[238:239]
	s_delay_alu instid0(VALU_DEP_1) | instskip(NEXT) | instid1(SALU_CYCLE_1)
	s_and_b32 s2, vcc_lo, s2
	s_and_saveexec_b32 s3, s2
	s_delay_alu instid0(SALU_CYCLE_1)
	s_xor_b32 s2, exec_lo, s3
; %bb.381:
	v_cmp_ne_u32_e32 vcc_lo, 0, v249
	v_cndmask_b32_e32 v249, 19, v249, vcc_lo
; %bb.382:
	s_and_not1_saveexec_b32 s3, s2
	s_cbranch_execz .LBB116_388
; %bb.383:
	v_cmp_gt_f64_e32 vcc_lo, 0, v[236:237]
	v_cmp_gt_f64_e64 s2, 0, v[238:239]
	v_xor_b32_e32 v212, 0x80000000, v237
	v_xor_b32_e32 v214, 0x80000000, v239
	s_delay_alu instid0(VALU_DEP_2) | instskip(NEXT) | instid1(VALU_DEP_2)
	v_cndmask_b32_e32 v213, v237, v212, vcc_lo
	v_cndmask_b32_e64 v215, v239, v214, s2
	v_cndmask_b32_e32 v212, v236, v236, vcc_lo
	v_cndmask_b32_e64 v214, v238, v238, s2
	s_mov_b32 s2, exec_lo
	s_delay_alu instid0(VALU_DEP_1)
	v_cmpx_ngt_f64_e32 v[212:213], v[214:215]
	s_xor_b32 s2, exec_lo, s2
	s_cbranch_execz .LBB116_385
; %bb.384:
	v_div_scale_f64 v[212:213], null, v[238:239], v[238:239], v[236:237]
	v_div_scale_f64 v[218:219], vcc_lo, v[236:237], v[238:239], v[236:237]
	s_delay_alu instid0(VALU_DEP_2) | instskip(SKIP_2) | instid1(VALU_DEP_1)
	v_rcp_f64_e32 v[214:215], v[212:213]
	s_waitcnt_depctr 0xfff
	v_fma_f64 v[216:217], -v[212:213], v[214:215], 1.0
	v_fma_f64 v[214:215], v[214:215], v[216:217], v[214:215]
	s_delay_alu instid0(VALU_DEP_1) | instskip(NEXT) | instid1(VALU_DEP_1)
	v_fma_f64 v[216:217], -v[212:213], v[214:215], 1.0
	v_fma_f64 v[214:215], v[214:215], v[216:217], v[214:215]
	s_delay_alu instid0(VALU_DEP_1) | instskip(NEXT) | instid1(VALU_DEP_1)
	v_mul_f64 v[216:217], v[218:219], v[214:215]
	v_fma_f64 v[212:213], -v[212:213], v[216:217], v[218:219]
	s_delay_alu instid0(VALU_DEP_1) | instskip(NEXT) | instid1(VALU_DEP_1)
	v_div_fmas_f64 v[212:213], v[212:213], v[214:215], v[216:217]
	v_div_fixup_f64 v[212:213], v[212:213], v[238:239], v[236:237]
	s_delay_alu instid0(VALU_DEP_1) | instskip(NEXT) | instid1(VALU_DEP_1)
	v_fma_f64 v[214:215], v[236:237], v[212:213], v[238:239]
	v_div_scale_f64 v[216:217], null, v[214:215], v[214:215], 1.0
	s_delay_alu instid0(VALU_DEP_1) | instskip(SKIP_2) | instid1(VALU_DEP_1)
	v_rcp_f64_e32 v[218:219], v[216:217]
	s_waitcnt_depctr 0xfff
	v_fma_f64 v[220:221], -v[216:217], v[218:219], 1.0
	v_fma_f64 v[218:219], v[218:219], v[220:221], v[218:219]
	s_delay_alu instid0(VALU_DEP_1) | instskip(NEXT) | instid1(VALU_DEP_1)
	v_fma_f64 v[220:221], -v[216:217], v[218:219], 1.0
	v_fma_f64 v[218:219], v[218:219], v[220:221], v[218:219]
	v_div_scale_f64 v[220:221], vcc_lo, 1.0, v[214:215], 1.0
	s_delay_alu instid0(VALU_DEP_1) | instskip(NEXT) | instid1(VALU_DEP_1)
	v_mul_f64 v[222:223], v[220:221], v[218:219]
	v_fma_f64 v[216:217], -v[216:217], v[222:223], v[220:221]
	s_delay_alu instid0(VALU_DEP_1) | instskip(NEXT) | instid1(VALU_DEP_1)
	v_div_fmas_f64 v[216:217], v[216:217], v[218:219], v[222:223]
	v_div_fixup_f64 v[238:239], v[216:217], v[214:215], 1.0
	s_delay_alu instid0(VALU_DEP_1)
	v_mul_f64 v[236:237], v[212:213], v[238:239]
	v_xor_b32_e32 v239, 0x80000000, v239
.LBB116_385:
	s_and_not1_saveexec_b32 s2, s2
	s_cbranch_execz .LBB116_387
; %bb.386:
	s_delay_alu instid0(VALU_DEP_1) | instskip(SKIP_1) | instid1(VALU_DEP_2)
	v_div_scale_f64 v[212:213], null, v[236:237], v[236:237], v[238:239]
	v_div_scale_f64 v[218:219], vcc_lo, v[238:239], v[236:237], v[238:239]
	v_rcp_f64_e32 v[214:215], v[212:213]
	s_waitcnt_depctr 0xfff
	v_fma_f64 v[216:217], -v[212:213], v[214:215], 1.0
	s_delay_alu instid0(VALU_DEP_1) | instskip(NEXT) | instid1(VALU_DEP_1)
	v_fma_f64 v[214:215], v[214:215], v[216:217], v[214:215]
	v_fma_f64 v[216:217], -v[212:213], v[214:215], 1.0
	s_delay_alu instid0(VALU_DEP_1) | instskip(NEXT) | instid1(VALU_DEP_1)
	v_fma_f64 v[214:215], v[214:215], v[216:217], v[214:215]
	v_mul_f64 v[216:217], v[218:219], v[214:215]
	s_delay_alu instid0(VALU_DEP_1) | instskip(NEXT) | instid1(VALU_DEP_1)
	v_fma_f64 v[212:213], -v[212:213], v[216:217], v[218:219]
	v_div_fmas_f64 v[212:213], v[212:213], v[214:215], v[216:217]
	s_delay_alu instid0(VALU_DEP_1) | instskip(NEXT) | instid1(VALU_DEP_1)
	v_div_fixup_f64 v[212:213], v[212:213], v[236:237], v[238:239]
	v_fma_f64 v[214:215], v[238:239], v[212:213], v[236:237]
	s_delay_alu instid0(VALU_DEP_1) | instskip(NEXT) | instid1(VALU_DEP_1)
	v_div_scale_f64 v[216:217], null, v[214:215], v[214:215], 1.0
	v_rcp_f64_e32 v[218:219], v[216:217]
	s_waitcnt_depctr 0xfff
	v_fma_f64 v[220:221], -v[216:217], v[218:219], 1.0
	s_delay_alu instid0(VALU_DEP_1) | instskip(NEXT) | instid1(VALU_DEP_1)
	v_fma_f64 v[218:219], v[218:219], v[220:221], v[218:219]
	v_fma_f64 v[220:221], -v[216:217], v[218:219], 1.0
	s_delay_alu instid0(VALU_DEP_1) | instskip(SKIP_1) | instid1(VALU_DEP_1)
	v_fma_f64 v[218:219], v[218:219], v[220:221], v[218:219]
	v_div_scale_f64 v[220:221], vcc_lo, 1.0, v[214:215], 1.0
	v_mul_f64 v[222:223], v[220:221], v[218:219]
	s_delay_alu instid0(VALU_DEP_1) | instskip(NEXT) | instid1(VALU_DEP_1)
	v_fma_f64 v[216:217], -v[216:217], v[222:223], v[220:221]
	v_div_fmas_f64 v[216:217], v[216:217], v[218:219], v[222:223]
	s_delay_alu instid0(VALU_DEP_1) | instskip(NEXT) | instid1(VALU_DEP_1)
	v_div_fixup_f64 v[236:237], v[216:217], v[214:215], 1.0
	v_mul_f64 v[238:239], v[212:213], -v[236:237]
.LBB116_387:
	s_or_b32 exec_lo, exec_lo, s2
.LBB116_388:
	s_delay_alu instid0(SALU_CYCLE_1) | instskip(NEXT) | instid1(SALU_CYCLE_1)
	s_or_b32 exec_lo, exec_lo, s3
	s_mov_b32 s2, exec_lo
	v_cmpx_ne_u32_e64 v252, v244
	s_xor_b32 s2, exec_lo, s2
	s_cbranch_execz .LBB116_394
; %bb.389:
	s_mov_b32 s3, exec_lo
	v_cmpx_eq_u32_e32 18, v252
	s_cbranch_execz .LBB116_393
; %bb.390:
	v_cmp_ne_u32_e32 vcc_lo, 18, v244
	s_xor_b32 s4, s5, -1
	s_delay_alu instid0(SALU_CYCLE_1) | instskip(NEXT) | instid1(SALU_CYCLE_1)
	s_and_b32 s6, s4, vcc_lo
	s_and_saveexec_b32 s4, s6
	s_cbranch_execz .LBB116_392
; %bb.391:
	scratch_load_b64 v[208:209], off, off offset:16 ; 8-byte Folded Reload
	v_ashrrev_i32_e32 v245, 31, v244
	s_delay_alu instid0(VALU_DEP_1) | instskip(SKIP_1) | instid1(VALU_DEP_1)
	v_lshlrev_b64 v[212:213], 2, v[244:245]
	s_waitcnt vmcnt(0)
	v_add_co_u32 v212, vcc_lo, v208, v212
	s_delay_alu instid0(VALU_DEP_2)
	v_add_co_ci_u32_e32 v213, vcc_lo, v209, v213, vcc_lo
	s_clause 0x1
	flat_load_b32 v214, v[212:213]
	flat_load_b32 v215, v[208:209] offset:72
	s_waitcnt vmcnt(1) lgkmcnt(1)
	flat_store_b32 v[208:209], v214 offset:72
	s_waitcnt vmcnt(0) lgkmcnt(1)
	flat_store_b32 v[212:213], v215
.LBB116_392:
	s_or_b32 exec_lo, exec_lo, s4
	v_mov_b32_e32 v252, v244
	v_mov_b32_e32 v251, v244
.LBB116_393:
	s_or_b32 exec_lo, exec_lo, s3
.LBB116_394:
	s_and_not1_saveexec_b32 s2, s2
	s_cbranch_execz .LBB116_396
; %bb.395:
	v_mov_b32_e32 v252, 18
	ds_store_2addr_b64 v246, v[156:157], v[158:159] offset0:38 offset1:39
	ds_store_2addr_b64 v246, v[152:153], v[154:155] offset0:40 offset1:41
	;; [unrolled: 1-line block ×40, first 2 shown]
.LBB116_396:
	s_or_b32 exec_lo, exec_lo, s2
	s_delay_alu instid0(SALU_CYCLE_1)
	s_mov_b32 s2, exec_lo
	s_waitcnt lgkmcnt(0)
	s_waitcnt_vscnt null, 0x0
	s_barrier
	buffer_gl0_inv
	v_cmpx_lt_i32_e32 18, v252
	s_cbranch_execz .LBB116_398
; %bb.397:
	v_mul_f64 v[212:213], v[238:239], v[162:163]
	v_mul_f64 v[162:163], v[236:237], v[162:163]
	s_delay_alu instid0(VALU_DEP_2) | instskip(NEXT) | instid1(VALU_DEP_2)
	v_fma_f64 v[244:245], v[236:237], v[160:161], -v[212:213]
	v_fma_f64 v[162:163], v[238:239], v[160:161], v[162:163]
	ds_load_2addr_b64 v[236:239], v246 offset0:38 offset1:39
	s_waitcnt lgkmcnt(0)
	v_mul_f64 v[160:161], v[238:239], v[162:163]
	v_mul_f64 v[212:213], v[236:237], v[162:163]
	s_delay_alu instid0(VALU_DEP_2) | instskip(NEXT) | instid1(VALU_DEP_2)
	v_fma_f64 v[160:161], v[236:237], v[244:245], -v[160:161]
	v_fma_f64 v[212:213], v[238:239], v[244:245], v[212:213]
	ds_load_2addr_b64 v[236:239], v246 offset0:40 offset1:41
	v_add_f64 v[156:157], v[156:157], -v[160:161]
	v_add_f64 v[158:159], v[158:159], -v[212:213]
	s_waitcnt lgkmcnt(0)
	v_mul_f64 v[160:161], v[238:239], v[162:163]
	v_mul_f64 v[212:213], v[236:237], v[162:163]
	s_delay_alu instid0(VALU_DEP_2) | instskip(NEXT) | instid1(VALU_DEP_2)
	v_fma_f64 v[160:161], v[236:237], v[244:245], -v[160:161]
	v_fma_f64 v[212:213], v[238:239], v[244:245], v[212:213]
	ds_load_2addr_b64 v[236:239], v246 offset0:42 offset1:43
	v_add_f64 v[152:153], v[152:153], -v[160:161]
	v_add_f64 v[154:155], v[154:155], -v[212:213]
	;; [unrolled: 9-line block ×39, first 2 shown]
	s_waitcnt lgkmcnt(0)
	v_mul_f64 v[160:161], v[238:239], v[162:163]
	v_mul_f64 v[212:213], v[236:237], v[162:163]
	s_delay_alu instid0(VALU_DEP_2) | instskip(NEXT) | instid1(VALU_DEP_2)
	v_fma_f64 v[160:161], v[236:237], v[244:245], -v[160:161]
	v_fma_f64 v[212:213], v[238:239], v[244:245], v[212:213]
	s_delay_alu instid0(VALU_DEP_2) | instskip(NEXT) | instid1(VALU_DEP_2)
	v_add_f64 v[224:225], v[224:225], -v[160:161]
	v_add_f64 v[226:227], v[226:227], -v[212:213]
	v_dual_mov_b32 v160, v244 :: v_dual_mov_b32 v161, v245
.LBB116_398:
	s_or_b32 exec_lo, exec_lo, s2
	v_lshl_add_u32 v212, v252, 4, v246
	s_barrier
	buffer_gl0_inv
	v_mov_b32_e32 v244, 19
	ds_store_2addr_b64 v212, v[156:157], v[158:159] offset1:1
	s_waitcnt lgkmcnt(0)
	s_barrier
	buffer_gl0_inv
	ds_load_2addr_b64 v[236:239], v246 offset0:38 offset1:39
	s_cmp_lt_i32 s12, 21
	s_cbranch_scc1 .LBB116_401
; %bb.399:
	v_add3_u32 v245, v234, 0, 0x140
	v_mov_b32_e32 v244, 19
	s_mov_b32 s6, 20
	s_set_inst_prefetch_distance 0x1
	.p2align	6
.LBB116_400:                            ; =>This Inner Loop Header: Depth=1
	ds_load_2addr_b64 v[240:243], v245 offset1:1
	s_waitcnt lgkmcnt(1)
	v_cmp_gt_f64_e32 vcc_lo, 0, v[236:237]
	v_cmp_gt_f64_e64 s2, 0, v[238:239]
	v_xor_b32_e32 v213, 0x80000000, v237
	v_xor_b32_e32 v217, 0x80000000, v239
	v_add_nc_u32_e32 v245, 16, v245
	s_waitcnt lgkmcnt(0)
	v_cmp_gt_f64_e64 s3, 0, v[240:241]
	v_cmp_gt_f64_e64 s4, 0, v[242:243]
	v_xor_b32_e32 v219, 0x80000000, v241
	v_xor_b32_e32 v220, 0x80000000, v243
	v_mov_b32_e32 v214, v242
	v_mov_b32_e32 v212, v240
	v_dual_cndmask_b32 v216, v237, v213 :: v_dual_cndmask_b32 v215, v236, v236
	v_cndmask_b32_e64 v218, v239, v217, s2
	v_cndmask_b32_e64 v217, v238, v238, s2
	s_delay_alu instid0(VALU_DEP_1) | instskip(SKIP_2) | instid1(VALU_DEP_1)
	v_add_f64 v[216:217], v[215:216], v[217:218]
	v_cndmask_b32_e64 v213, v241, v219, s3
	v_cndmask_b32_e64 v215, v243, v220, s4
	v_add_f64 v[212:213], v[212:213], v[214:215]
	s_delay_alu instid0(VALU_DEP_1)
	v_cmp_lt_f64_e32 vcc_lo, v[216:217], v[212:213]
	v_cndmask_b32_e32 v239, v239, v243, vcc_lo
	v_dual_cndmask_b32 v237, v237, v241 :: v_dual_cndmask_b32 v236, v236, v240
	v_cndmask_b32_e32 v238, v238, v242, vcc_lo
	v_cndmask_b32_e64 v244, v244, s6, vcc_lo
	s_add_i32 s6, s6, 1
	s_delay_alu instid0(SALU_CYCLE_1)
	s_cmp_lg_u32 s12, s6
	s_cbranch_scc1 .LBB116_400
.LBB116_401:
	s_set_inst_prefetch_distance 0x2
	s_waitcnt lgkmcnt(0)
	v_cmp_eq_f64_e32 vcc_lo, 0, v[236:237]
	v_cmp_eq_f64_e64 s2, 0, v[238:239]
	s_delay_alu instid0(VALU_DEP_1) | instskip(NEXT) | instid1(SALU_CYCLE_1)
	s_and_b32 s2, vcc_lo, s2
	s_and_saveexec_b32 s3, s2
	s_delay_alu instid0(SALU_CYCLE_1)
	s_xor_b32 s2, exec_lo, s3
; %bb.402:
	v_cmp_ne_u32_e32 vcc_lo, 0, v249
	v_cndmask_b32_e32 v249, 20, v249, vcc_lo
; %bb.403:
	s_and_not1_saveexec_b32 s3, s2
	s_cbranch_execz .LBB116_409
; %bb.404:
	v_cmp_gt_f64_e32 vcc_lo, 0, v[236:237]
	v_cmp_gt_f64_e64 s2, 0, v[238:239]
	v_xor_b32_e32 v212, 0x80000000, v237
	v_xor_b32_e32 v214, 0x80000000, v239
	s_delay_alu instid0(VALU_DEP_2) | instskip(NEXT) | instid1(VALU_DEP_2)
	v_cndmask_b32_e32 v213, v237, v212, vcc_lo
	v_cndmask_b32_e64 v215, v239, v214, s2
	v_cndmask_b32_e32 v212, v236, v236, vcc_lo
	v_cndmask_b32_e64 v214, v238, v238, s2
	s_mov_b32 s2, exec_lo
	s_delay_alu instid0(VALU_DEP_1)
	v_cmpx_ngt_f64_e32 v[212:213], v[214:215]
	s_xor_b32 s2, exec_lo, s2
	s_cbranch_execz .LBB116_406
; %bb.405:
	v_div_scale_f64 v[212:213], null, v[238:239], v[238:239], v[236:237]
	v_div_scale_f64 v[218:219], vcc_lo, v[236:237], v[238:239], v[236:237]
	s_delay_alu instid0(VALU_DEP_2) | instskip(SKIP_2) | instid1(VALU_DEP_1)
	v_rcp_f64_e32 v[214:215], v[212:213]
	s_waitcnt_depctr 0xfff
	v_fma_f64 v[216:217], -v[212:213], v[214:215], 1.0
	v_fma_f64 v[214:215], v[214:215], v[216:217], v[214:215]
	s_delay_alu instid0(VALU_DEP_1) | instskip(NEXT) | instid1(VALU_DEP_1)
	v_fma_f64 v[216:217], -v[212:213], v[214:215], 1.0
	v_fma_f64 v[214:215], v[214:215], v[216:217], v[214:215]
	s_delay_alu instid0(VALU_DEP_1) | instskip(NEXT) | instid1(VALU_DEP_1)
	v_mul_f64 v[216:217], v[218:219], v[214:215]
	v_fma_f64 v[212:213], -v[212:213], v[216:217], v[218:219]
	s_delay_alu instid0(VALU_DEP_1) | instskip(NEXT) | instid1(VALU_DEP_1)
	v_div_fmas_f64 v[212:213], v[212:213], v[214:215], v[216:217]
	v_div_fixup_f64 v[212:213], v[212:213], v[238:239], v[236:237]
	s_delay_alu instid0(VALU_DEP_1) | instskip(NEXT) | instid1(VALU_DEP_1)
	v_fma_f64 v[214:215], v[236:237], v[212:213], v[238:239]
	v_div_scale_f64 v[216:217], null, v[214:215], v[214:215], 1.0
	s_delay_alu instid0(VALU_DEP_1) | instskip(SKIP_2) | instid1(VALU_DEP_1)
	v_rcp_f64_e32 v[218:219], v[216:217]
	s_waitcnt_depctr 0xfff
	v_fma_f64 v[220:221], -v[216:217], v[218:219], 1.0
	v_fma_f64 v[218:219], v[218:219], v[220:221], v[218:219]
	s_delay_alu instid0(VALU_DEP_1) | instskip(NEXT) | instid1(VALU_DEP_1)
	v_fma_f64 v[220:221], -v[216:217], v[218:219], 1.0
	v_fma_f64 v[218:219], v[218:219], v[220:221], v[218:219]
	v_div_scale_f64 v[220:221], vcc_lo, 1.0, v[214:215], 1.0
	s_delay_alu instid0(VALU_DEP_1) | instskip(NEXT) | instid1(VALU_DEP_1)
	v_mul_f64 v[222:223], v[220:221], v[218:219]
	v_fma_f64 v[216:217], -v[216:217], v[222:223], v[220:221]
	s_delay_alu instid0(VALU_DEP_1) | instskip(NEXT) | instid1(VALU_DEP_1)
	v_div_fmas_f64 v[216:217], v[216:217], v[218:219], v[222:223]
	v_div_fixup_f64 v[238:239], v[216:217], v[214:215], 1.0
	s_delay_alu instid0(VALU_DEP_1)
	v_mul_f64 v[236:237], v[212:213], v[238:239]
	v_xor_b32_e32 v239, 0x80000000, v239
.LBB116_406:
	s_and_not1_saveexec_b32 s2, s2
	s_cbranch_execz .LBB116_408
; %bb.407:
	s_delay_alu instid0(VALU_DEP_1) | instskip(SKIP_1) | instid1(VALU_DEP_2)
	v_div_scale_f64 v[212:213], null, v[236:237], v[236:237], v[238:239]
	v_div_scale_f64 v[218:219], vcc_lo, v[238:239], v[236:237], v[238:239]
	v_rcp_f64_e32 v[214:215], v[212:213]
	s_waitcnt_depctr 0xfff
	v_fma_f64 v[216:217], -v[212:213], v[214:215], 1.0
	s_delay_alu instid0(VALU_DEP_1) | instskip(NEXT) | instid1(VALU_DEP_1)
	v_fma_f64 v[214:215], v[214:215], v[216:217], v[214:215]
	v_fma_f64 v[216:217], -v[212:213], v[214:215], 1.0
	s_delay_alu instid0(VALU_DEP_1) | instskip(NEXT) | instid1(VALU_DEP_1)
	v_fma_f64 v[214:215], v[214:215], v[216:217], v[214:215]
	v_mul_f64 v[216:217], v[218:219], v[214:215]
	s_delay_alu instid0(VALU_DEP_1) | instskip(NEXT) | instid1(VALU_DEP_1)
	v_fma_f64 v[212:213], -v[212:213], v[216:217], v[218:219]
	v_div_fmas_f64 v[212:213], v[212:213], v[214:215], v[216:217]
	s_delay_alu instid0(VALU_DEP_1) | instskip(NEXT) | instid1(VALU_DEP_1)
	v_div_fixup_f64 v[212:213], v[212:213], v[236:237], v[238:239]
	v_fma_f64 v[214:215], v[238:239], v[212:213], v[236:237]
	s_delay_alu instid0(VALU_DEP_1) | instskip(NEXT) | instid1(VALU_DEP_1)
	v_div_scale_f64 v[216:217], null, v[214:215], v[214:215], 1.0
	v_rcp_f64_e32 v[218:219], v[216:217]
	s_waitcnt_depctr 0xfff
	v_fma_f64 v[220:221], -v[216:217], v[218:219], 1.0
	s_delay_alu instid0(VALU_DEP_1) | instskip(NEXT) | instid1(VALU_DEP_1)
	v_fma_f64 v[218:219], v[218:219], v[220:221], v[218:219]
	v_fma_f64 v[220:221], -v[216:217], v[218:219], 1.0
	s_delay_alu instid0(VALU_DEP_1) | instskip(SKIP_1) | instid1(VALU_DEP_1)
	v_fma_f64 v[218:219], v[218:219], v[220:221], v[218:219]
	v_div_scale_f64 v[220:221], vcc_lo, 1.0, v[214:215], 1.0
	v_mul_f64 v[222:223], v[220:221], v[218:219]
	s_delay_alu instid0(VALU_DEP_1) | instskip(NEXT) | instid1(VALU_DEP_1)
	v_fma_f64 v[216:217], -v[216:217], v[222:223], v[220:221]
	v_div_fmas_f64 v[216:217], v[216:217], v[218:219], v[222:223]
	s_delay_alu instid0(VALU_DEP_1) | instskip(NEXT) | instid1(VALU_DEP_1)
	v_div_fixup_f64 v[236:237], v[216:217], v[214:215], 1.0
	v_mul_f64 v[238:239], v[212:213], -v[236:237]
.LBB116_408:
	s_or_b32 exec_lo, exec_lo, s2
.LBB116_409:
	s_delay_alu instid0(SALU_CYCLE_1) | instskip(NEXT) | instid1(SALU_CYCLE_1)
	s_or_b32 exec_lo, exec_lo, s3
	s_mov_b32 s2, exec_lo
	v_cmpx_ne_u32_e64 v252, v244
	s_xor_b32 s2, exec_lo, s2
	s_cbranch_execz .LBB116_415
; %bb.410:
	s_mov_b32 s3, exec_lo
	v_cmpx_eq_u32_e32 19, v252
	s_cbranch_execz .LBB116_414
; %bb.411:
	v_cmp_ne_u32_e32 vcc_lo, 19, v244
	s_xor_b32 s4, s5, -1
	s_delay_alu instid0(SALU_CYCLE_1) | instskip(NEXT) | instid1(SALU_CYCLE_1)
	s_and_b32 s6, s4, vcc_lo
	s_and_saveexec_b32 s4, s6
	s_cbranch_execz .LBB116_413
; %bb.412:
	scratch_load_b64 v[208:209], off, off offset:16 ; 8-byte Folded Reload
	v_ashrrev_i32_e32 v245, 31, v244
	s_delay_alu instid0(VALU_DEP_1) | instskip(SKIP_1) | instid1(VALU_DEP_1)
	v_lshlrev_b64 v[212:213], 2, v[244:245]
	s_waitcnt vmcnt(0)
	v_add_co_u32 v212, vcc_lo, v208, v212
	s_delay_alu instid0(VALU_DEP_2)
	v_add_co_ci_u32_e32 v213, vcc_lo, v209, v213, vcc_lo
	s_clause 0x1
	flat_load_b32 v214, v[212:213]
	flat_load_b32 v215, v[208:209] offset:76
	s_waitcnt vmcnt(1) lgkmcnt(1)
	flat_store_b32 v[208:209], v214 offset:76
	s_waitcnt vmcnt(0) lgkmcnt(1)
	flat_store_b32 v[212:213], v215
.LBB116_413:
	s_or_b32 exec_lo, exec_lo, s4
	v_mov_b32_e32 v252, v244
	v_mov_b32_e32 v251, v244
.LBB116_414:
	s_or_b32 exec_lo, exec_lo, s3
.LBB116_415:
	s_and_not1_saveexec_b32 s2, s2
	s_cbranch_execz .LBB116_417
; %bb.416:
	v_mov_b32_e32 v252, 19
	ds_store_2addr_b64 v246, v[152:153], v[154:155] offset0:40 offset1:41
	ds_store_2addr_b64 v246, v[148:149], v[150:151] offset0:42 offset1:43
	;; [unrolled: 1-line block ×39, first 2 shown]
.LBB116_417:
	s_or_b32 exec_lo, exec_lo, s2
	s_delay_alu instid0(SALU_CYCLE_1)
	s_mov_b32 s2, exec_lo
	s_waitcnt lgkmcnt(0)
	s_waitcnt_vscnt null, 0x0
	s_barrier
	buffer_gl0_inv
	v_cmpx_lt_i32_e32 19, v252
	s_cbranch_execz .LBB116_419
; %bb.418:
	v_mul_f64 v[212:213], v[238:239], v[158:159]
	v_mul_f64 v[158:159], v[236:237], v[158:159]
	s_delay_alu instid0(VALU_DEP_2) | instskip(NEXT) | instid1(VALU_DEP_2)
	v_fma_f64 v[244:245], v[236:237], v[156:157], -v[212:213]
	v_fma_f64 v[158:159], v[238:239], v[156:157], v[158:159]
	ds_load_2addr_b64 v[236:239], v246 offset0:40 offset1:41
	s_waitcnt lgkmcnt(0)
	v_mul_f64 v[156:157], v[238:239], v[158:159]
	v_mul_f64 v[212:213], v[236:237], v[158:159]
	s_delay_alu instid0(VALU_DEP_2) | instskip(NEXT) | instid1(VALU_DEP_2)
	v_fma_f64 v[156:157], v[236:237], v[244:245], -v[156:157]
	v_fma_f64 v[212:213], v[238:239], v[244:245], v[212:213]
	ds_load_2addr_b64 v[236:239], v246 offset0:42 offset1:43
	v_add_f64 v[152:153], v[152:153], -v[156:157]
	v_add_f64 v[154:155], v[154:155], -v[212:213]
	s_waitcnt lgkmcnt(0)
	v_mul_f64 v[156:157], v[238:239], v[158:159]
	v_mul_f64 v[212:213], v[236:237], v[158:159]
	s_delay_alu instid0(VALU_DEP_2) | instskip(NEXT) | instid1(VALU_DEP_2)
	v_fma_f64 v[156:157], v[236:237], v[244:245], -v[156:157]
	v_fma_f64 v[212:213], v[238:239], v[244:245], v[212:213]
	ds_load_2addr_b64 v[236:239], v246 offset0:44 offset1:45
	v_add_f64 v[148:149], v[148:149], -v[156:157]
	v_add_f64 v[150:151], v[150:151], -v[212:213]
	;; [unrolled: 9-line block ×38, first 2 shown]
	s_waitcnt lgkmcnt(0)
	v_mul_f64 v[156:157], v[238:239], v[158:159]
	v_mul_f64 v[212:213], v[236:237], v[158:159]
	s_delay_alu instid0(VALU_DEP_2) | instskip(NEXT) | instid1(VALU_DEP_2)
	v_fma_f64 v[156:157], v[236:237], v[244:245], -v[156:157]
	v_fma_f64 v[212:213], v[238:239], v[244:245], v[212:213]
	s_delay_alu instid0(VALU_DEP_2) | instskip(NEXT) | instid1(VALU_DEP_2)
	v_add_f64 v[224:225], v[224:225], -v[156:157]
	v_add_f64 v[226:227], v[226:227], -v[212:213]
	v_dual_mov_b32 v156, v244 :: v_dual_mov_b32 v157, v245
.LBB116_419:
	s_or_b32 exec_lo, exec_lo, s2
	v_lshl_add_u32 v212, v252, 4, v246
	s_barrier
	buffer_gl0_inv
	v_mov_b32_e32 v244, 20
	ds_store_2addr_b64 v212, v[152:153], v[154:155] offset1:1
	s_waitcnt lgkmcnt(0)
	s_barrier
	buffer_gl0_inv
	ds_load_2addr_b64 v[236:239], v246 offset0:40 offset1:41
	s_cmp_lt_i32 s12, 22
	s_cbranch_scc1 .LBB116_422
; %bb.420:
	v_add3_u32 v245, v234, 0, 0x150
	v_mov_b32_e32 v244, 20
	s_mov_b32 s6, 21
	s_set_inst_prefetch_distance 0x1
	.p2align	6
.LBB116_421:                            ; =>This Inner Loop Header: Depth=1
	ds_load_2addr_b64 v[240:243], v245 offset1:1
	s_waitcnt lgkmcnt(1)
	v_cmp_gt_f64_e32 vcc_lo, 0, v[236:237]
	v_cmp_gt_f64_e64 s2, 0, v[238:239]
	v_xor_b32_e32 v213, 0x80000000, v237
	v_xor_b32_e32 v217, 0x80000000, v239
	v_add_nc_u32_e32 v245, 16, v245
	s_waitcnt lgkmcnt(0)
	v_cmp_gt_f64_e64 s3, 0, v[240:241]
	v_cmp_gt_f64_e64 s4, 0, v[242:243]
	v_xor_b32_e32 v219, 0x80000000, v241
	v_xor_b32_e32 v220, 0x80000000, v243
	v_mov_b32_e32 v214, v242
	v_mov_b32_e32 v212, v240
	v_dual_cndmask_b32 v216, v237, v213 :: v_dual_cndmask_b32 v215, v236, v236
	v_cndmask_b32_e64 v218, v239, v217, s2
	v_cndmask_b32_e64 v217, v238, v238, s2
	s_delay_alu instid0(VALU_DEP_1) | instskip(SKIP_2) | instid1(VALU_DEP_1)
	v_add_f64 v[216:217], v[215:216], v[217:218]
	v_cndmask_b32_e64 v213, v241, v219, s3
	v_cndmask_b32_e64 v215, v243, v220, s4
	v_add_f64 v[212:213], v[212:213], v[214:215]
	s_delay_alu instid0(VALU_DEP_1)
	v_cmp_lt_f64_e32 vcc_lo, v[216:217], v[212:213]
	v_cndmask_b32_e32 v239, v239, v243, vcc_lo
	v_dual_cndmask_b32 v237, v237, v241 :: v_dual_cndmask_b32 v236, v236, v240
	v_cndmask_b32_e32 v238, v238, v242, vcc_lo
	v_cndmask_b32_e64 v244, v244, s6, vcc_lo
	s_add_i32 s6, s6, 1
	s_delay_alu instid0(SALU_CYCLE_1)
	s_cmp_lg_u32 s12, s6
	s_cbranch_scc1 .LBB116_421
.LBB116_422:
	s_set_inst_prefetch_distance 0x2
	s_waitcnt lgkmcnt(0)
	v_cmp_eq_f64_e32 vcc_lo, 0, v[236:237]
	v_cmp_eq_f64_e64 s2, 0, v[238:239]
	s_delay_alu instid0(VALU_DEP_1) | instskip(NEXT) | instid1(SALU_CYCLE_1)
	s_and_b32 s2, vcc_lo, s2
	s_and_saveexec_b32 s3, s2
	s_delay_alu instid0(SALU_CYCLE_1)
	s_xor_b32 s2, exec_lo, s3
; %bb.423:
	v_cmp_ne_u32_e32 vcc_lo, 0, v249
	v_cndmask_b32_e32 v249, 21, v249, vcc_lo
; %bb.424:
	s_and_not1_saveexec_b32 s3, s2
	s_cbranch_execz .LBB116_430
; %bb.425:
	v_cmp_gt_f64_e32 vcc_lo, 0, v[236:237]
	v_cmp_gt_f64_e64 s2, 0, v[238:239]
	v_xor_b32_e32 v212, 0x80000000, v237
	v_xor_b32_e32 v214, 0x80000000, v239
	s_delay_alu instid0(VALU_DEP_2) | instskip(NEXT) | instid1(VALU_DEP_2)
	v_cndmask_b32_e32 v213, v237, v212, vcc_lo
	v_cndmask_b32_e64 v215, v239, v214, s2
	v_cndmask_b32_e32 v212, v236, v236, vcc_lo
	v_cndmask_b32_e64 v214, v238, v238, s2
	s_mov_b32 s2, exec_lo
	s_delay_alu instid0(VALU_DEP_1)
	v_cmpx_ngt_f64_e32 v[212:213], v[214:215]
	s_xor_b32 s2, exec_lo, s2
	s_cbranch_execz .LBB116_427
; %bb.426:
	v_div_scale_f64 v[212:213], null, v[238:239], v[238:239], v[236:237]
	v_div_scale_f64 v[218:219], vcc_lo, v[236:237], v[238:239], v[236:237]
	s_delay_alu instid0(VALU_DEP_2) | instskip(SKIP_2) | instid1(VALU_DEP_1)
	v_rcp_f64_e32 v[214:215], v[212:213]
	s_waitcnt_depctr 0xfff
	v_fma_f64 v[216:217], -v[212:213], v[214:215], 1.0
	v_fma_f64 v[214:215], v[214:215], v[216:217], v[214:215]
	s_delay_alu instid0(VALU_DEP_1) | instskip(NEXT) | instid1(VALU_DEP_1)
	v_fma_f64 v[216:217], -v[212:213], v[214:215], 1.0
	v_fma_f64 v[214:215], v[214:215], v[216:217], v[214:215]
	s_delay_alu instid0(VALU_DEP_1) | instskip(NEXT) | instid1(VALU_DEP_1)
	v_mul_f64 v[216:217], v[218:219], v[214:215]
	v_fma_f64 v[212:213], -v[212:213], v[216:217], v[218:219]
	s_delay_alu instid0(VALU_DEP_1) | instskip(NEXT) | instid1(VALU_DEP_1)
	v_div_fmas_f64 v[212:213], v[212:213], v[214:215], v[216:217]
	v_div_fixup_f64 v[212:213], v[212:213], v[238:239], v[236:237]
	s_delay_alu instid0(VALU_DEP_1) | instskip(NEXT) | instid1(VALU_DEP_1)
	v_fma_f64 v[214:215], v[236:237], v[212:213], v[238:239]
	v_div_scale_f64 v[216:217], null, v[214:215], v[214:215], 1.0
	s_delay_alu instid0(VALU_DEP_1) | instskip(SKIP_2) | instid1(VALU_DEP_1)
	v_rcp_f64_e32 v[218:219], v[216:217]
	s_waitcnt_depctr 0xfff
	v_fma_f64 v[220:221], -v[216:217], v[218:219], 1.0
	v_fma_f64 v[218:219], v[218:219], v[220:221], v[218:219]
	s_delay_alu instid0(VALU_DEP_1) | instskip(NEXT) | instid1(VALU_DEP_1)
	v_fma_f64 v[220:221], -v[216:217], v[218:219], 1.0
	v_fma_f64 v[218:219], v[218:219], v[220:221], v[218:219]
	v_div_scale_f64 v[220:221], vcc_lo, 1.0, v[214:215], 1.0
	s_delay_alu instid0(VALU_DEP_1) | instskip(NEXT) | instid1(VALU_DEP_1)
	v_mul_f64 v[222:223], v[220:221], v[218:219]
	v_fma_f64 v[216:217], -v[216:217], v[222:223], v[220:221]
	s_delay_alu instid0(VALU_DEP_1) | instskip(NEXT) | instid1(VALU_DEP_1)
	v_div_fmas_f64 v[216:217], v[216:217], v[218:219], v[222:223]
	v_div_fixup_f64 v[238:239], v[216:217], v[214:215], 1.0
	s_delay_alu instid0(VALU_DEP_1)
	v_mul_f64 v[236:237], v[212:213], v[238:239]
	v_xor_b32_e32 v239, 0x80000000, v239
.LBB116_427:
	s_and_not1_saveexec_b32 s2, s2
	s_cbranch_execz .LBB116_429
; %bb.428:
	s_delay_alu instid0(VALU_DEP_1) | instskip(SKIP_1) | instid1(VALU_DEP_2)
	v_div_scale_f64 v[212:213], null, v[236:237], v[236:237], v[238:239]
	v_div_scale_f64 v[218:219], vcc_lo, v[238:239], v[236:237], v[238:239]
	v_rcp_f64_e32 v[214:215], v[212:213]
	s_waitcnt_depctr 0xfff
	v_fma_f64 v[216:217], -v[212:213], v[214:215], 1.0
	s_delay_alu instid0(VALU_DEP_1) | instskip(NEXT) | instid1(VALU_DEP_1)
	v_fma_f64 v[214:215], v[214:215], v[216:217], v[214:215]
	v_fma_f64 v[216:217], -v[212:213], v[214:215], 1.0
	s_delay_alu instid0(VALU_DEP_1) | instskip(NEXT) | instid1(VALU_DEP_1)
	v_fma_f64 v[214:215], v[214:215], v[216:217], v[214:215]
	v_mul_f64 v[216:217], v[218:219], v[214:215]
	s_delay_alu instid0(VALU_DEP_1) | instskip(NEXT) | instid1(VALU_DEP_1)
	v_fma_f64 v[212:213], -v[212:213], v[216:217], v[218:219]
	v_div_fmas_f64 v[212:213], v[212:213], v[214:215], v[216:217]
	s_delay_alu instid0(VALU_DEP_1) | instskip(NEXT) | instid1(VALU_DEP_1)
	v_div_fixup_f64 v[212:213], v[212:213], v[236:237], v[238:239]
	v_fma_f64 v[214:215], v[238:239], v[212:213], v[236:237]
	s_delay_alu instid0(VALU_DEP_1) | instskip(NEXT) | instid1(VALU_DEP_1)
	v_div_scale_f64 v[216:217], null, v[214:215], v[214:215], 1.0
	v_rcp_f64_e32 v[218:219], v[216:217]
	s_waitcnt_depctr 0xfff
	v_fma_f64 v[220:221], -v[216:217], v[218:219], 1.0
	s_delay_alu instid0(VALU_DEP_1) | instskip(NEXT) | instid1(VALU_DEP_1)
	v_fma_f64 v[218:219], v[218:219], v[220:221], v[218:219]
	v_fma_f64 v[220:221], -v[216:217], v[218:219], 1.0
	s_delay_alu instid0(VALU_DEP_1) | instskip(SKIP_1) | instid1(VALU_DEP_1)
	v_fma_f64 v[218:219], v[218:219], v[220:221], v[218:219]
	v_div_scale_f64 v[220:221], vcc_lo, 1.0, v[214:215], 1.0
	v_mul_f64 v[222:223], v[220:221], v[218:219]
	s_delay_alu instid0(VALU_DEP_1) | instskip(NEXT) | instid1(VALU_DEP_1)
	v_fma_f64 v[216:217], -v[216:217], v[222:223], v[220:221]
	v_div_fmas_f64 v[216:217], v[216:217], v[218:219], v[222:223]
	s_delay_alu instid0(VALU_DEP_1) | instskip(NEXT) | instid1(VALU_DEP_1)
	v_div_fixup_f64 v[236:237], v[216:217], v[214:215], 1.0
	v_mul_f64 v[238:239], v[212:213], -v[236:237]
.LBB116_429:
	s_or_b32 exec_lo, exec_lo, s2
.LBB116_430:
	s_delay_alu instid0(SALU_CYCLE_1) | instskip(NEXT) | instid1(SALU_CYCLE_1)
	s_or_b32 exec_lo, exec_lo, s3
	s_mov_b32 s2, exec_lo
	v_cmpx_ne_u32_e64 v252, v244
	s_xor_b32 s2, exec_lo, s2
	s_cbranch_execz .LBB116_436
; %bb.431:
	s_mov_b32 s3, exec_lo
	v_cmpx_eq_u32_e32 20, v252
	s_cbranch_execz .LBB116_435
; %bb.432:
	v_cmp_ne_u32_e32 vcc_lo, 20, v244
	s_xor_b32 s4, s5, -1
	s_delay_alu instid0(SALU_CYCLE_1) | instskip(NEXT) | instid1(SALU_CYCLE_1)
	s_and_b32 s6, s4, vcc_lo
	s_and_saveexec_b32 s4, s6
	s_cbranch_execz .LBB116_434
; %bb.433:
	scratch_load_b64 v[208:209], off, off offset:16 ; 8-byte Folded Reload
	v_ashrrev_i32_e32 v245, 31, v244
	s_delay_alu instid0(VALU_DEP_1) | instskip(SKIP_1) | instid1(VALU_DEP_1)
	v_lshlrev_b64 v[212:213], 2, v[244:245]
	s_waitcnt vmcnt(0)
	v_add_co_u32 v212, vcc_lo, v208, v212
	s_delay_alu instid0(VALU_DEP_2)
	v_add_co_ci_u32_e32 v213, vcc_lo, v209, v213, vcc_lo
	s_clause 0x1
	flat_load_b32 v214, v[212:213]
	flat_load_b32 v215, v[208:209] offset:80
	s_waitcnt vmcnt(1) lgkmcnt(1)
	flat_store_b32 v[208:209], v214 offset:80
	s_waitcnt vmcnt(0) lgkmcnt(1)
	flat_store_b32 v[212:213], v215
.LBB116_434:
	s_or_b32 exec_lo, exec_lo, s4
	v_mov_b32_e32 v252, v244
	v_mov_b32_e32 v251, v244
.LBB116_435:
	s_or_b32 exec_lo, exec_lo, s3
.LBB116_436:
	s_and_not1_saveexec_b32 s2, s2
	s_cbranch_execz .LBB116_438
; %bb.437:
	v_mov_b32_e32 v252, 20
	ds_store_2addr_b64 v246, v[148:149], v[150:151] offset0:42 offset1:43
	ds_store_2addr_b64 v246, v[144:145], v[146:147] offset0:44 offset1:45
	;; [unrolled: 1-line block ×38, first 2 shown]
.LBB116_438:
	s_or_b32 exec_lo, exec_lo, s2
	s_delay_alu instid0(SALU_CYCLE_1)
	s_mov_b32 s2, exec_lo
	s_waitcnt lgkmcnt(0)
	s_waitcnt_vscnt null, 0x0
	s_barrier
	buffer_gl0_inv
	v_cmpx_lt_i32_e32 20, v252
	s_cbranch_execz .LBB116_440
; %bb.439:
	v_mul_f64 v[212:213], v[238:239], v[154:155]
	v_mul_f64 v[154:155], v[236:237], v[154:155]
	s_delay_alu instid0(VALU_DEP_2) | instskip(NEXT) | instid1(VALU_DEP_2)
	v_fma_f64 v[244:245], v[236:237], v[152:153], -v[212:213]
	v_fma_f64 v[154:155], v[238:239], v[152:153], v[154:155]
	ds_load_2addr_b64 v[236:239], v246 offset0:42 offset1:43
	s_waitcnt lgkmcnt(0)
	v_mul_f64 v[152:153], v[238:239], v[154:155]
	v_mul_f64 v[212:213], v[236:237], v[154:155]
	s_delay_alu instid0(VALU_DEP_2) | instskip(NEXT) | instid1(VALU_DEP_2)
	v_fma_f64 v[152:153], v[236:237], v[244:245], -v[152:153]
	v_fma_f64 v[212:213], v[238:239], v[244:245], v[212:213]
	ds_load_2addr_b64 v[236:239], v246 offset0:44 offset1:45
	v_add_f64 v[148:149], v[148:149], -v[152:153]
	v_add_f64 v[150:151], v[150:151], -v[212:213]
	s_waitcnt lgkmcnt(0)
	v_mul_f64 v[152:153], v[238:239], v[154:155]
	v_mul_f64 v[212:213], v[236:237], v[154:155]
	s_delay_alu instid0(VALU_DEP_2) | instskip(NEXT) | instid1(VALU_DEP_2)
	v_fma_f64 v[152:153], v[236:237], v[244:245], -v[152:153]
	v_fma_f64 v[212:213], v[238:239], v[244:245], v[212:213]
	ds_load_2addr_b64 v[236:239], v246 offset0:46 offset1:47
	v_add_f64 v[144:145], v[144:145], -v[152:153]
	v_add_f64 v[146:147], v[146:147], -v[212:213]
	;; [unrolled: 9-line block ×37, first 2 shown]
	s_waitcnt lgkmcnt(0)
	v_mul_f64 v[152:153], v[238:239], v[154:155]
	v_mul_f64 v[212:213], v[236:237], v[154:155]
	s_delay_alu instid0(VALU_DEP_2) | instskip(NEXT) | instid1(VALU_DEP_2)
	v_fma_f64 v[152:153], v[236:237], v[244:245], -v[152:153]
	v_fma_f64 v[212:213], v[238:239], v[244:245], v[212:213]
	s_delay_alu instid0(VALU_DEP_2) | instskip(NEXT) | instid1(VALU_DEP_2)
	v_add_f64 v[224:225], v[224:225], -v[152:153]
	v_add_f64 v[226:227], v[226:227], -v[212:213]
	v_dual_mov_b32 v152, v244 :: v_dual_mov_b32 v153, v245
.LBB116_440:
	s_or_b32 exec_lo, exec_lo, s2
	v_lshl_add_u32 v212, v252, 4, v246
	s_barrier
	buffer_gl0_inv
	v_mov_b32_e32 v244, 21
	ds_store_2addr_b64 v212, v[148:149], v[150:151] offset1:1
	s_waitcnt lgkmcnt(0)
	s_barrier
	buffer_gl0_inv
	ds_load_2addr_b64 v[236:239], v246 offset0:42 offset1:43
	s_cmp_lt_i32 s12, 23
	s_cbranch_scc1 .LBB116_443
; %bb.441:
	v_add3_u32 v245, v234, 0, 0x160
	v_mov_b32_e32 v244, 21
	s_mov_b32 s6, 22
	s_set_inst_prefetch_distance 0x1
	.p2align	6
.LBB116_442:                            ; =>This Inner Loop Header: Depth=1
	ds_load_2addr_b64 v[240:243], v245 offset1:1
	s_waitcnt lgkmcnt(1)
	v_cmp_gt_f64_e32 vcc_lo, 0, v[236:237]
	v_cmp_gt_f64_e64 s2, 0, v[238:239]
	v_xor_b32_e32 v213, 0x80000000, v237
	v_xor_b32_e32 v217, 0x80000000, v239
	v_add_nc_u32_e32 v245, 16, v245
	s_waitcnt lgkmcnt(0)
	v_cmp_gt_f64_e64 s3, 0, v[240:241]
	v_cmp_gt_f64_e64 s4, 0, v[242:243]
	v_xor_b32_e32 v219, 0x80000000, v241
	v_xor_b32_e32 v220, 0x80000000, v243
	v_mov_b32_e32 v214, v242
	v_mov_b32_e32 v212, v240
	v_dual_cndmask_b32 v216, v237, v213 :: v_dual_cndmask_b32 v215, v236, v236
	v_cndmask_b32_e64 v218, v239, v217, s2
	v_cndmask_b32_e64 v217, v238, v238, s2
	s_delay_alu instid0(VALU_DEP_1) | instskip(SKIP_2) | instid1(VALU_DEP_1)
	v_add_f64 v[216:217], v[215:216], v[217:218]
	v_cndmask_b32_e64 v213, v241, v219, s3
	v_cndmask_b32_e64 v215, v243, v220, s4
	v_add_f64 v[212:213], v[212:213], v[214:215]
	s_delay_alu instid0(VALU_DEP_1)
	v_cmp_lt_f64_e32 vcc_lo, v[216:217], v[212:213]
	v_cndmask_b32_e32 v239, v239, v243, vcc_lo
	v_dual_cndmask_b32 v237, v237, v241 :: v_dual_cndmask_b32 v236, v236, v240
	v_cndmask_b32_e32 v238, v238, v242, vcc_lo
	v_cndmask_b32_e64 v244, v244, s6, vcc_lo
	s_add_i32 s6, s6, 1
	s_delay_alu instid0(SALU_CYCLE_1)
	s_cmp_lg_u32 s12, s6
	s_cbranch_scc1 .LBB116_442
.LBB116_443:
	s_set_inst_prefetch_distance 0x2
	s_waitcnt lgkmcnt(0)
	v_cmp_eq_f64_e32 vcc_lo, 0, v[236:237]
	v_cmp_eq_f64_e64 s2, 0, v[238:239]
	s_delay_alu instid0(VALU_DEP_1) | instskip(NEXT) | instid1(SALU_CYCLE_1)
	s_and_b32 s2, vcc_lo, s2
	s_and_saveexec_b32 s3, s2
	s_delay_alu instid0(SALU_CYCLE_1)
	s_xor_b32 s2, exec_lo, s3
; %bb.444:
	v_cmp_ne_u32_e32 vcc_lo, 0, v249
	v_cndmask_b32_e32 v249, 22, v249, vcc_lo
; %bb.445:
	s_and_not1_saveexec_b32 s3, s2
	s_cbranch_execz .LBB116_451
; %bb.446:
	v_cmp_gt_f64_e32 vcc_lo, 0, v[236:237]
	v_cmp_gt_f64_e64 s2, 0, v[238:239]
	v_xor_b32_e32 v212, 0x80000000, v237
	v_xor_b32_e32 v214, 0x80000000, v239
	s_delay_alu instid0(VALU_DEP_2) | instskip(NEXT) | instid1(VALU_DEP_2)
	v_cndmask_b32_e32 v213, v237, v212, vcc_lo
	v_cndmask_b32_e64 v215, v239, v214, s2
	v_cndmask_b32_e32 v212, v236, v236, vcc_lo
	v_cndmask_b32_e64 v214, v238, v238, s2
	s_mov_b32 s2, exec_lo
	s_delay_alu instid0(VALU_DEP_1)
	v_cmpx_ngt_f64_e32 v[212:213], v[214:215]
	s_xor_b32 s2, exec_lo, s2
	s_cbranch_execz .LBB116_448
; %bb.447:
	v_div_scale_f64 v[212:213], null, v[238:239], v[238:239], v[236:237]
	v_div_scale_f64 v[218:219], vcc_lo, v[236:237], v[238:239], v[236:237]
	s_delay_alu instid0(VALU_DEP_2) | instskip(SKIP_2) | instid1(VALU_DEP_1)
	v_rcp_f64_e32 v[214:215], v[212:213]
	s_waitcnt_depctr 0xfff
	v_fma_f64 v[216:217], -v[212:213], v[214:215], 1.0
	v_fma_f64 v[214:215], v[214:215], v[216:217], v[214:215]
	s_delay_alu instid0(VALU_DEP_1) | instskip(NEXT) | instid1(VALU_DEP_1)
	v_fma_f64 v[216:217], -v[212:213], v[214:215], 1.0
	v_fma_f64 v[214:215], v[214:215], v[216:217], v[214:215]
	s_delay_alu instid0(VALU_DEP_1) | instskip(NEXT) | instid1(VALU_DEP_1)
	v_mul_f64 v[216:217], v[218:219], v[214:215]
	v_fma_f64 v[212:213], -v[212:213], v[216:217], v[218:219]
	s_delay_alu instid0(VALU_DEP_1) | instskip(NEXT) | instid1(VALU_DEP_1)
	v_div_fmas_f64 v[212:213], v[212:213], v[214:215], v[216:217]
	v_div_fixup_f64 v[212:213], v[212:213], v[238:239], v[236:237]
	s_delay_alu instid0(VALU_DEP_1) | instskip(NEXT) | instid1(VALU_DEP_1)
	v_fma_f64 v[214:215], v[236:237], v[212:213], v[238:239]
	v_div_scale_f64 v[216:217], null, v[214:215], v[214:215], 1.0
	s_delay_alu instid0(VALU_DEP_1) | instskip(SKIP_2) | instid1(VALU_DEP_1)
	v_rcp_f64_e32 v[218:219], v[216:217]
	s_waitcnt_depctr 0xfff
	v_fma_f64 v[220:221], -v[216:217], v[218:219], 1.0
	v_fma_f64 v[218:219], v[218:219], v[220:221], v[218:219]
	s_delay_alu instid0(VALU_DEP_1) | instskip(NEXT) | instid1(VALU_DEP_1)
	v_fma_f64 v[220:221], -v[216:217], v[218:219], 1.0
	v_fma_f64 v[218:219], v[218:219], v[220:221], v[218:219]
	v_div_scale_f64 v[220:221], vcc_lo, 1.0, v[214:215], 1.0
	s_delay_alu instid0(VALU_DEP_1) | instskip(NEXT) | instid1(VALU_DEP_1)
	v_mul_f64 v[222:223], v[220:221], v[218:219]
	v_fma_f64 v[216:217], -v[216:217], v[222:223], v[220:221]
	s_delay_alu instid0(VALU_DEP_1) | instskip(NEXT) | instid1(VALU_DEP_1)
	v_div_fmas_f64 v[216:217], v[216:217], v[218:219], v[222:223]
	v_div_fixup_f64 v[238:239], v[216:217], v[214:215], 1.0
	s_delay_alu instid0(VALU_DEP_1)
	v_mul_f64 v[236:237], v[212:213], v[238:239]
	v_xor_b32_e32 v239, 0x80000000, v239
.LBB116_448:
	s_and_not1_saveexec_b32 s2, s2
	s_cbranch_execz .LBB116_450
; %bb.449:
	s_delay_alu instid0(VALU_DEP_1) | instskip(SKIP_1) | instid1(VALU_DEP_2)
	v_div_scale_f64 v[212:213], null, v[236:237], v[236:237], v[238:239]
	v_div_scale_f64 v[218:219], vcc_lo, v[238:239], v[236:237], v[238:239]
	v_rcp_f64_e32 v[214:215], v[212:213]
	s_waitcnt_depctr 0xfff
	v_fma_f64 v[216:217], -v[212:213], v[214:215], 1.0
	s_delay_alu instid0(VALU_DEP_1) | instskip(NEXT) | instid1(VALU_DEP_1)
	v_fma_f64 v[214:215], v[214:215], v[216:217], v[214:215]
	v_fma_f64 v[216:217], -v[212:213], v[214:215], 1.0
	s_delay_alu instid0(VALU_DEP_1) | instskip(NEXT) | instid1(VALU_DEP_1)
	v_fma_f64 v[214:215], v[214:215], v[216:217], v[214:215]
	v_mul_f64 v[216:217], v[218:219], v[214:215]
	s_delay_alu instid0(VALU_DEP_1) | instskip(NEXT) | instid1(VALU_DEP_1)
	v_fma_f64 v[212:213], -v[212:213], v[216:217], v[218:219]
	v_div_fmas_f64 v[212:213], v[212:213], v[214:215], v[216:217]
	s_delay_alu instid0(VALU_DEP_1) | instskip(NEXT) | instid1(VALU_DEP_1)
	v_div_fixup_f64 v[212:213], v[212:213], v[236:237], v[238:239]
	v_fma_f64 v[214:215], v[238:239], v[212:213], v[236:237]
	s_delay_alu instid0(VALU_DEP_1) | instskip(NEXT) | instid1(VALU_DEP_1)
	v_div_scale_f64 v[216:217], null, v[214:215], v[214:215], 1.0
	v_rcp_f64_e32 v[218:219], v[216:217]
	s_waitcnt_depctr 0xfff
	v_fma_f64 v[220:221], -v[216:217], v[218:219], 1.0
	s_delay_alu instid0(VALU_DEP_1) | instskip(NEXT) | instid1(VALU_DEP_1)
	v_fma_f64 v[218:219], v[218:219], v[220:221], v[218:219]
	v_fma_f64 v[220:221], -v[216:217], v[218:219], 1.0
	s_delay_alu instid0(VALU_DEP_1) | instskip(SKIP_1) | instid1(VALU_DEP_1)
	v_fma_f64 v[218:219], v[218:219], v[220:221], v[218:219]
	v_div_scale_f64 v[220:221], vcc_lo, 1.0, v[214:215], 1.0
	v_mul_f64 v[222:223], v[220:221], v[218:219]
	s_delay_alu instid0(VALU_DEP_1) | instskip(NEXT) | instid1(VALU_DEP_1)
	v_fma_f64 v[216:217], -v[216:217], v[222:223], v[220:221]
	v_div_fmas_f64 v[216:217], v[216:217], v[218:219], v[222:223]
	s_delay_alu instid0(VALU_DEP_1) | instskip(NEXT) | instid1(VALU_DEP_1)
	v_div_fixup_f64 v[236:237], v[216:217], v[214:215], 1.0
	v_mul_f64 v[238:239], v[212:213], -v[236:237]
.LBB116_450:
	s_or_b32 exec_lo, exec_lo, s2
.LBB116_451:
	s_delay_alu instid0(SALU_CYCLE_1) | instskip(NEXT) | instid1(SALU_CYCLE_1)
	s_or_b32 exec_lo, exec_lo, s3
	s_mov_b32 s2, exec_lo
	v_cmpx_ne_u32_e64 v252, v244
	s_xor_b32 s2, exec_lo, s2
	s_cbranch_execz .LBB116_457
; %bb.452:
	s_mov_b32 s3, exec_lo
	v_cmpx_eq_u32_e32 21, v252
	s_cbranch_execz .LBB116_456
; %bb.453:
	v_cmp_ne_u32_e32 vcc_lo, 21, v244
	s_xor_b32 s4, s5, -1
	s_delay_alu instid0(SALU_CYCLE_1) | instskip(NEXT) | instid1(SALU_CYCLE_1)
	s_and_b32 s6, s4, vcc_lo
	s_and_saveexec_b32 s4, s6
	s_cbranch_execz .LBB116_455
; %bb.454:
	scratch_load_b64 v[208:209], off, off offset:16 ; 8-byte Folded Reload
	v_ashrrev_i32_e32 v245, 31, v244
	s_delay_alu instid0(VALU_DEP_1) | instskip(SKIP_1) | instid1(VALU_DEP_1)
	v_lshlrev_b64 v[212:213], 2, v[244:245]
	s_waitcnt vmcnt(0)
	v_add_co_u32 v212, vcc_lo, v208, v212
	s_delay_alu instid0(VALU_DEP_2)
	v_add_co_ci_u32_e32 v213, vcc_lo, v209, v213, vcc_lo
	s_clause 0x1
	flat_load_b32 v214, v[212:213]
	flat_load_b32 v215, v[208:209] offset:84
	s_waitcnt vmcnt(1) lgkmcnt(1)
	flat_store_b32 v[208:209], v214 offset:84
	s_waitcnt vmcnt(0) lgkmcnt(1)
	flat_store_b32 v[212:213], v215
.LBB116_455:
	s_or_b32 exec_lo, exec_lo, s4
	v_mov_b32_e32 v252, v244
	v_mov_b32_e32 v251, v244
.LBB116_456:
	s_or_b32 exec_lo, exec_lo, s3
.LBB116_457:
	s_and_not1_saveexec_b32 s2, s2
	s_cbranch_execz .LBB116_459
; %bb.458:
	v_mov_b32_e32 v252, 21
	ds_store_2addr_b64 v246, v[144:145], v[146:147] offset0:44 offset1:45
	ds_store_2addr_b64 v246, v[140:141], v[142:143] offset0:46 offset1:47
	;; [unrolled: 1-line block ×37, first 2 shown]
.LBB116_459:
	s_or_b32 exec_lo, exec_lo, s2
	s_delay_alu instid0(SALU_CYCLE_1)
	s_mov_b32 s2, exec_lo
	s_waitcnt lgkmcnt(0)
	s_waitcnt_vscnt null, 0x0
	s_barrier
	buffer_gl0_inv
	v_cmpx_lt_i32_e32 21, v252
	s_cbranch_execz .LBB116_461
; %bb.460:
	v_mul_f64 v[212:213], v[238:239], v[150:151]
	v_mul_f64 v[150:151], v[236:237], v[150:151]
	s_delay_alu instid0(VALU_DEP_2) | instskip(NEXT) | instid1(VALU_DEP_2)
	v_fma_f64 v[244:245], v[236:237], v[148:149], -v[212:213]
	v_fma_f64 v[150:151], v[238:239], v[148:149], v[150:151]
	ds_load_2addr_b64 v[236:239], v246 offset0:44 offset1:45
	s_waitcnt lgkmcnt(0)
	v_mul_f64 v[148:149], v[238:239], v[150:151]
	v_mul_f64 v[212:213], v[236:237], v[150:151]
	s_delay_alu instid0(VALU_DEP_2) | instskip(NEXT) | instid1(VALU_DEP_2)
	v_fma_f64 v[148:149], v[236:237], v[244:245], -v[148:149]
	v_fma_f64 v[212:213], v[238:239], v[244:245], v[212:213]
	ds_load_2addr_b64 v[236:239], v246 offset0:46 offset1:47
	v_add_f64 v[144:145], v[144:145], -v[148:149]
	v_add_f64 v[146:147], v[146:147], -v[212:213]
	s_waitcnt lgkmcnt(0)
	v_mul_f64 v[148:149], v[238:239], v[150:151]
	v_mul_f64 v[212:213], v[236:237], v[150:151]
	s_delay_alu instid0(VALU_DEP_2) | instskip(NEXT) | instid1(VALU_DEP_2)
	v_fma_f64 v[148:149], v[236:237], v[244:245], -v[148:149]
	v_fma_f64 v[212:213], v[238:239], v[244:245], v[212:213]
	ds_load_2addr_b64 v[236:239], v246 offset0:48 offset1:49
	v_add_f64 v[140:141], v[140:141], -v[148:149]
	v_add_f64 v[142:143], v[142:143], -v[212:213]
	;; [unrolled: 9-line block ×36, first 2 shown]
	s_waitcnt lgkmcnt(0)
	v_mul_f64 v[148:149], v[238:239], v[150:151]
	v_mul_f64 v[212:213], v[236:237], v[150:151]
	s_delay_alu instid0(VALU_DEP_2) | instskip(NEXT) | instid1(VALU_DEP_2)
	v_fma_f64 v[148:149], v[236:237], v[244:245], -v[148:149]
	v_fma_f64 v[212:213], v[238:239], v[244:245], v[212:213]
	s_delay_alu instid0(VALU_DEP_2) | instskip(NEXT) | instid1(VALU_DEP_2)
	v_add_f64 v[224:225], v[224:225], -v[148:149]
	v_add_f64 v[226:227], v[226:227], -v[212:213]
	v_dual_mov_b32 v148, v244 :: v_dual_mov_b32 v149, v245
.LBB116_461:
	s_or_b32 exec_lo, exec_lo, s2
	v_lshl_add_u32 v212, v252, 4, v246
	s_barrier
	buffer_gl0_inv
	v_mov_b32_e32 v244, 22
	ds_store_2addr_b64 v212, v[144:145], v[146:147] offset1:1
	s_waitcnt lgkmcnt(0)
	s_barrier
	buffer_gl0_inv
	ds_load_2addr_b64 v[236:239], v246 offset0:44 offset1:45
	s_cmp_lt_i32 s12, 24
	s_cbranch_scc1 .LBB116_464
; %bb.462:
	v_add3_u32 v245, v234, 0, 0x170
	v_mov_b32_e32 v244, 22
	s_mov_b32 s6, 23
	s_set_inst_prefetch_distance 0x1
	.p2align	6
.LBB116_463:                            ; =>This Inner Loop Header: Depth=1
	ds_load_2addr_b64 v[240:243], v245 offset1:1
	s_waitcnt lgkmcnt(1)
	v_cmp_gt_f64_e32 vcc_lo, 0, v[236:237]
	v_cmp_gt_f64_e64 s2, 0, v[238:239]
	v_xor_b32_e32 v213, 0x80000000, v237
	v_xor_b32_e32 v217, 0x80000000, v239
	v_add_nc_u32_e32 v245, 16, v245
	s_waitcnt lgkmcnt(0)
	v_cmp_gt_f64_e64 s3, 0, v[240:241]
	v_cmp_gt_f64_e64 s4, 0, v[242:243]
	v_xor_b32_e32 v219, 0x80000000, v241
	v_xor_b32_e32 v220, 0x80000000, v243
	v_mov_b32_e32 v214, v242
	v_mov_b32_e32 v212, v240
	v_dual_cndmask_b32 v216, v237, v213 :: v_dual_cndmask_b32 v215, v236, v236
	v_cndmask_b32_e64 v218, v239, v217, s2
	v_cndmask_b32_e64 v217, v238, v238, s2
	s_delay_alu instid0(VALU_DEP_1) | instskip(SKIP_2) | instid1(VALU_DEP_1)
	v_add_f64 v[216:217], v[215:216], v[217:218]
	v_cndmask_b32_e64 v213, v241, v219, s3
	v_cndmask_b32_e64 v215, v243, v220, s4
	v_add_f64 v[212:213], v[212:213], v[214:215]
	s_delay_alu instid0(VALU_DEP_1)
	v_cmp_lt_f64_e32 vcc_lo, v[216:217], v[212:213]
	v_cndmask_b32_e32 v239, v239, v243, vcc_lo
	v_dual_cndmask_b32 v237, v237, v241 :: v_dual_cndmask_b32 v236, v236, v240
	v_cndmask_b32_e32 v238, v238, v242, vcc_lo
	v_cndmask_b32_e64 v244, v244, s6, vcc_lo
	s_add_i32 s6, s6, 1
	s_delay_alu instid0(SALU_CYCLE_1)
	s_cmp_lg_u32 s12, s6
	s_cbranch_scc1 .LBB116_463
.LBB116_464:
	s_set_inst_prefetch_distance 0x2
	s_waitcnt lgkmcnt(0)
	v_cmp_eq_f64_e32 vcc_lo, 0, v[236:237]
	v_cmp_eq_f64_e64 s2, 0, v[238:239]
	s_delay_alu instid0(VALU_DEP_1) | instskip(NEXT) | instid1(SALU_CYCLE_1)
	s_and_b32 s2, vcc_lo, s2
	s_and_saveexec_b32 s3, s2
	s_delay_alu instid0(SALU_CYCLE_1)
	s_xor_b32 s2, exec_lo, s3
; %bb.465:
	v_cmp_ne_u32_e32 vcc_lo, 0, v249
	v_cndmask_b32_e32 v249, 23, v249, vcc_lo
; %bb.466:
	s_and_not1_saveexec_b32 s3, s2
	s_cbranch_execz .LBB116_472
; %bb.467:
	v_cmp_gt_f64_e32 vcc_lo, 0, v[236:237]
	v_cmp_gt_f64_e64 s2, 0, v[238:239]
	v_xor_b32_e32 v212, 0x80000000, v237
	v_xor_b32_e32 v214, 0x80000000, v239
	s_delay_alu instid0(VALU_DEP_2) | instskip(NEXT) | instid1(VALU_DEP_2)
	v_cndmask_b32_e32 v213, v237, v212, vcc_lo
	v_cndmask_b32_e64 v215, v239, v214, s2
	v_cndmask_b32_e32 v212, v236, v236, vcc_lo
	v_cndmask_b32_e64 v214, v238, v238, s2
	s_mov_b32 s2, exec_lo
	s_delay_alu instid0(VALU_DEP_1)
	v_cmpx_ngt_f64_e32 v[212:213], v[214:215]
	s_xor_b32 s2, exec_lo, s2
	s_cbranch_execz .LBB116_469
; %bb.468:
	v_div_scale_f64 v[212:213], null, v[238:239], v[238:239], v[236:237]
	v_div_scale_f64 v[218:219], vcc_lo, v[236:237], v[238:239], v[236:237]
	s_delay_alu instid0(VALU_DEP_2) | instskip(SKIP_2) | instid1(VALU_DEP_1)
	v_rcp_f64_e32 v[214:215], v[212:213]
	s_waitcnt_depctr 0xfff
	v_fma_f64 v[216:217], -v[212:213], v[214:215], 1.0
	v_fma_f64 v[214:215], v[214:215], v[216:217], v[214:215]
	s_delay_alu instid0(VALU_DEP_1) | instskip(NEXT) | instid1(VALU_DEP_1)
	v_fma_f64 v[216:217], -v[212:213], v[214:215], 1.0
	v_fma_f64 v[214:215], v[214:215], v[216:217], v[214:215]
	s_delay_alu instid0(VALU_DEP_1) | instskip(NEXT) | instid1(VALU_DEP_1)
	v_mul_f64 v[216:217], v[218:219], v[214:215]
	v_fma_f64 v[212:213], -v[212:213], v[216:217], v[218:219]
	s_delay_alu instid0(VALU_DEP_1) | instskip(NEXT) | instid1(VALU_DEP_1)
	v_div_fmas_f64 v[212:213], v[212:213], v[214:215], v[216:217]
	v_div_fixup_f64 v[212:213], v[212:213], v[238:239], v[236:237]
	s_delay_alu instid0(VALU_DEP_1) | instskip(NEXT) | instid1(VALU_DEP_1)
	v_fma_f64 v[214:215], v[236:237], v[212:213], v[238:239]
	v_div_scale_f64 v[216:217], null, v[214:215], v[214:215], 1.0
	s_delay_alu instid0(VALU_DEP_1) | instskip(SKIP_2) | instid1(VALU_DEP_1)
	v_rcp_f64_e32 v[218:219], v[216:217]
	s_waitcnt_depctr 0xfff
	v_fma_f64 v[220:221], -v[216:217], v[218:219], 1.0
	v_fma_f64 v[218:219], v[218:219], v[220:221], v[218:219]
	s_delay_alu instid0(VALU_DEP_1) | instskip(NEXT) | instid1(VALU_DEP_1)
	v_fma_f64 v[220:221], -v[216:217], v[218:219], 1.0
	v_fma_f64 v[218:219], v[218:219], v[220:221], v[218:219]
	v_div_scale_f64 v[220:221], vcc_lo, 1.0, v[214:215], 1.0
	s_delay_alu instid0(VALU_DEP_1) | instskip(NEXT) | instid1(VALU_DEP_1)
	v_mul_f64 v[222:223], v[220:221], v[218:219]
	v_fma_f64 v[216:217], -v[216:217], v[222:223], v[220:221]
	s_delay_alu instid0(VALU_DEP_1) | instskip(NEXT) | instid1(VALU_DEP_1)
	v_div_fmas_f64 v[216:217], v[216:217], v[218:219], v[222:223]
	v_div_fixup_f64 v[238:239], v[216:217], v[214:215], 1.0
	s_delay_alu instid0(VALU_DEP_1)
	v_mul_f64 v[236:237], v[212:213], v[238:239]
	v_xor_b32_e32 v239, 0x80000000, v239
.LBB116_469:
	s_and_not1_saveexec_b32 s2, s2
	s_cbranch_execz .LBB116_471
; %bb.470:
	s_delay_alu instid0(VALU_DEP_1) | instskip(SKIP_1) | instid1(VALU_DEP_2)
	v_div_scale_f64 v[212:213], null, v[236:237], v[236:237], v[238:239]
	v_div_scale_f64 v[218:219], vcc_lo, v[238:239], v[236:237], v[238:239]
	v_rcp_f64_e32 v[214:215], v[212:213]
	s_waitcnt_depctr 0xfff
	v_fma_f64 v[216:217], -v[212:213], v[214:215], 1.0
	s_delay_alu instid0(VALU_DEP_1) | instskip(NEXT) | instid1(VALU_DEP_1)
	v_fma_f64 v[214:215], v[214:215], v[216:217], v[214:215]
	v_fma_f64 v[216:217], -v[212:213], v[214:215], 1.0
	s_delay_alu instid0(VALU_DEP_1) | instskip(NEXT) | instid1(VALU_DEP_1)
	v_fma_f64 v[214:215], v[214:215], v[216:217], v[214:215]
	v_mul_f64 v[216:217], v[218:219], v[214:215]
	s_delay_alu instid0(VALU_DEP_1) | instskip(NEXT) | instid1(VALU_DEP_1)
	v_fma_f64 v[212:213], -v[212:213], v[216:217], v[218:219]
	v_div_fmas_f64 v[212:213], v[212:213], v[214:215], v[216:217]
	s_delay_alu instid0(VALU_DEP_1) | instskip(NEXT) | instid1(VALU_DEP_1)
	v_div_fixup_f64 v[212:213], v[212:213], v[236:237], v[238:239]
	v_fma_f64 v[214:215], v[238:239], v[212:213], v[236:237]
	s_delay_alu instid0(VALU_DEP_1) | instskip(NEXT) | instid1(VALU_DEP_1)
	v_div_scale_f64 v[216:217], null, v[214:215], v[214:215], 1.0
	v_rcp_f64_e32 v[218:219], v[216:217]
	s_waitcnt_depctr 0xfff
	v_fma_f64 v[220:221], -v[216:217], v[218:219], 1.0
	s_delay_alu instid0(VALU_DEP_1) | instskip(NEXT) | instid1(VALU_DEP_1)
	v_fma_f64 v[218:219], v[218:219], v[220:221], v[218:219]
	v_fma_f64 v[220:221], -v[216:217], v[218:219], 1.0
	s_delay_alu instid0(VALU_DEP_1) | instskip(SKIP_1) | instid1(VALU_DEP_1)
	v_fma_f64 v[218:219], v[218:219], v[220:221], v[218:219]
	v_div_scale_f64 v[220:221], vcc_lo, 1.0, v[214:215], 1.0
	v_mul_f64 v[222:223], v[220:221], v[218:219]
	s_delay_alu instid0(VALU_DEP_1) | instskip(NEXT) | instid1(VALU_DEP_1)
	v_fma_f64 v[216:217], -v[216:217], v[222:223], v[220:221]
	v_div_fmas_f64 v[216:217], v[216:217], v[218:219], v[222:223]
	s_delay_alu instid0(VALU_DEP_1) | instskip(NEXT) | instid1(VALU_DEP_1)
	v_div_fixup_f64 v[236:237], v[216:217], v[214:215], 1.0
	v_mul_f64 v[238:239], v[212:213], -v[236:237]
.LBB116_471:
	s_or_b32 exec_lo, exec_lo, s2
.LBB116_472:
	s_delay_alu instid0(SALU_CYCLE_1) | instskip(NEXT) | instid1(SALU_CYCLE_1)
	s_or_b32 exec_lo, exec_lo, s3
	s_mov_b32 s2, exec_lo
	v_cmpx_ne_u32_e64 v252, v244
	s_xor_b32 s2, exec_lo, s2
	s_cbranch_execz .LBB116_478
; %bb.473:
	s_mov_b32 s3, exec_lo
	v_cmpx_eq_u32_e32 22, v252
	s_cbranch_execz .LBB116_477
; %bb.474:
	v_cmp_ne_u32_e32 vcc_lo, 22, v244
	s_xor_b32 s4, s5, -1
	s_delay_alu instid0(SALU_CYCLE_1) | instskip(NEXT) | instid1(SALU_CYCLE_1)
	s_and_b32 s6, s4, vcc_lo
	s_and_saveexec_b32 s4, s6
	s_cbranch_execz .LBB116_476
; %bb.475:
	scratch_load_b64 v[208:209], off, off offset:16 ; 8-byte Folded Reload
	v_ashrrev_i32_e32 v245, 31, v244
	s_delay_alu instid0(VALU_DEP_1) | instskip(SKIP_1) | instid1(VALU_DEP_1)
	v_lshlrev_b64 v[212:213], 2, v[244:245]
	s_waitcnt vmcnt(0)
	v_add_co_u32 v212, vcc_lo, v208, v212
	s_delay_alu instid0(VALU_DEP_2)
	v_add_co_ci_u32_e32 v213, vcc_lo, v209, v213, vcc_lo
	s_clause 0x1
	flat_load_b32 v214, v[212:213]
	flat_load_b32 v215, v[208:209] offset:88
	s_waitcnt vmcnt(1) lgkmcnt(1)
	flat_store_b32 v[208:209], v214 offset:88
	s_waitcnt vmcnt(0) lgkmcnt(1)
	flat_store_b32 v[212:213], v215
.LBB116_476:
	s_or_b32 exec_lo, exec_lo, s4
	v_mov_b32_e32 v252, v244
	v_mov_b32_e32 v251, v244
.LBB116_477:
	s_or_b32 exec_lo, exec_lo, s3
.LBB116_478:
	s_and_not1_saveexec_b32 s2, s2
	s_cbranch_execz .LBB116_480
; %bb.479:
	v_mov_b32_e32 v252, 22
	ds_store_2addr_b64 v246, v[140:141], v[142:143] offset0:46 offset1:47
	ds_store_2addr_b64 v246, v[136:137], v[138:139] offset0:48 offset1:49
	;; [unrolled: 1-line block ×36, first 2 shown]
.LBB116_480:
	s_or_b32 exec_lo, exec_lo, s2
	s_delay_alu instid0(SALU_CYCLE_1)
	s_mov_b32 s2, exec_lo
	s_waitcnt lgkmcnt(0)
	s_waitcnt_vscnt null, 0x0
	s_barrier
	buffer_gl0_inv
	v_cmpx_lt_i32_e32 22, v252
	s_cbranch_execz .LBB116_482
; %bb.481:
	v_mul_f64 v[212:213], v[238:239], v[146:147]
	v_mul_f64 v[146:147], v[236:237], v[146:147]
	s_delay_alu instid0(VALU_DEP_2) | instskip(NEXT) | instid1(VALU_DEP_2)
	v_fma_f64 v[244:245], v[236:237], v[144:145], -v[212:213]
	v_fma_f64 v[146:147], v[238:239], v[144:145], v[146:147]
	ds_load_2addr_b64 v[236:239], v246 offset0:46 offset1:47
	s_waitcnt lgkmcnt(0)
	v_mul_f64 v[144:145], v[238:239], v[146:147]
	v_mul_f64 v[212:213], v[236:237], v[146:147]
	s_delay_alu instid0(VALU_DEP_2) | instskip(NEXT) | instid1(VALU_DEP_2)
	v_fma_f64 v[144:145], v[236:237], v[244:245], -v[144:145]
	v_fma_f64 v[212:213], v[238:239], v[244:245], v[212:213]
	ds_load_2addr_b64 v[236:239], v246 offset0:48 offset1:49
	v_add_f64 v[140:141], v[140:141], -v[144:145]
	v_add_f64 v[142:143], v[142:143], -v[212:213]
	s_waitcnt lgkmcnt(0)
	v_mul_f64 v[144:145], v[238:239], v[146:147]
	v_mul_f64 v[212:213], v[236:237], v[146:147]
	s_delay_alu instid0(VALU_DEP_2) | instskip(NEXT) | instid1(VALU_DEP_2)
	v_fma_f64 v[144:145], v[236:237], v[244:245], -v[144:145]
	v_fma_f64 v[212:213], v[238:239], v[244:245], v[212:213]
	ds_load_2addr_b64 v[236:239], v246 offset0:50 offset1:51
	v_add_f64 v[136:137], v[136:137], -v[144:145]
	v_add_f64 v[138:139], v[138:139], -v[212:213]
	;; [unrolled: 9-line block ×35, first 2 shown]
	s_waitcnt lgkmcnt(0)
	v_mul_f64 v[144:145], v[238:239], v[146:147]
	v_mul_f64 v[212:213], v[236:237], v[146:147]
	s_delay_alu instid0(VALU_DEP_2) | instskip(NEXT) | instid1(VALU_DEP_2)
	v_fma_f64 v[144:145], v[236:237], v[244:245], -v[144:145]
	v_fma_f64 v[212:213], v[238:239], v[244:245], v[212:213]
	s_delay_alu instid0(VALU_DEP_2) | instskip(NEXT) | instid1(VALU_DEP_2)
	v_add_f64 v[224:225], v[224:225], -v[144:145]
	v_add_f64 v[226:227], v[226:227], -v[212:213]
	v_dual_mov_b32 v144, v244 :: v_dual_mov_b32 v145, v245
.LBB116_482:
	s_or_b32 exec_lo, exec_lo, s2
	v_lshl_add_u32 v212, v252, 4, v246
	s_barrier
	buffer_gl0_inv
	v_mov_b32_e32 v244, 23
	ds_store_2addr_b64 v212, v[140:141], v[142:143] offset1:1
	s_waitcnt lgkmcnt(0)
	s_barrier
	buffer_gl0_inv
	ds_load_2addr_b64 v[236:239], v246 offset0:46 offset1:47
	s_cmp_lt_i32 s12, 25
	s_cbranch_scc1 .LBB116_485
; %bb.483:
	v_add3_u32 v245, v234, 0, 0x180
	v_mov_b32_e32 v244, 23
	s_mov_b32 s6, 24
	s_set_inst_prefetch_distance 0x1
	.p2align	6
.LBB116_484:                            ; =>This Inner Loop Header: Depth=1
	ds_load_2addr_b64 v[240:243], v245 offset1:1
	s_waitcnt lgkmcnt(1)
	v_cmp_gt_f64_e32 vcc_lo, 0, v[236:237]
	v_cmp_gt_f64_e64 s2, 0, v[238:239]
	v_xor_b32_e32 v213, 0x80000000, v237
	v_xor_b32_e32 v217, 0x80000000, v239
	v_add_nc_u32_e32 v245, 16, v245
	s_waitcnt lgkmcnt(0)
	v_cmp_gt_f64_e64 s3, 0, v[240:241]
	v_cmp_gt_f64_e64 s4, 0, v[242:243]
	v_xor_b32_e32 v219, 0x80000000, v241
	v_xor_b32_e32 v220, 0x80000000, v243
	v_mov_b32_e32 v214, v242
	v_mov_b32_e32 v212, v240
	v_dual_cndmask_b32 v216, v237, v213 :: v_dual_cndmask_b32 v215, v236, v236
	v_cndmask_b32_e64 v218, v239, v217, s2
	v_cndmask_b32_e64 v217, v238, v238, s2
	s_delay_alu instid0(VALU_DEP_1) | instskip(SKIP_2) | instid1(VALU_DEP_1)
	v_add_f64 v[216:217], v[215:216], v[217:218]
	v_cndmask_b32_e64 v213, v241, v219, s3
	v_cndmask_b32_e64 v215, v243, v220, s4
	v_add_f64 v[212:213], v[212:213], v[214:215]
	s_delay_alu instid0(VALU_DEP_1)
	v_cmp_lt_f64_e32 vcc_lo, v[216:217], v[212:213]
	v_cndmask_b32_e32 v239, v239, v243, vcc_lo
	v_dual_cndmask_b32 v237, v237, v241 :: v_dual_cndmask_b32 v236, v236, v240
	v_cndmask_b32_e32 v238, v238, v242, vcc_lo
	v_cndmask_b32_e64 v244, v244, s6, vcc_lo
	s_add_i32 s6, s6, 1
	s_delay_alu instid0(SALU_CYCLE_1)
	s_cmp_lg_u32 s12, s6
	s_cbranch_scc1 .LBB116_484
.LBB116_485:
	s_set_inst_prefetch_distance 0x2
	s_waitcnt lgkmcnt(0)
	v_cmp_eq_f64_e32 vcc_lo, 0, v[236:237]
	v_cmp_eq_f64_e64 s2, 0, v[238:239]
	s_delay_alu instid0(VALU_DEP_1) | instskip(NEXT) | instid1(SALU_CYCLE_1)
	s_and_b32 s2, vcc_lo, s2
	s_and_saveexec_b32 s3, s2
	s_delay_alu instid0(SALU_CYCLE_1)
	s_xor_b32 s2, exec_lo, s3
; %bb.486:
	v_cmp_ne_u32_e32 vcc_lo, 0, v249
	v_cndmask_b32_e32 v249, 24, v249, vcc_lo
; %bb.487:
	s_and_not1_saveexec_b32 s3, s2
	s_cbranch_execz .LBB116_493
; %bb.488:
	v_cmp_gt_f64_e32 vcc_lo, 0, v[236:237]
	v_cmp_gt_f64_e64 s2, 0, v[238:239]
	v_xor_b32_e32 v212, 0x80000000, v237
	v_xor_b32_e32 v214, 0x80000000, v239
	s_delay_alu instid0(VALU_DEP_2) | instskip(NEXT) | instid1(VALU_DEP_2)
	v_cndmask_b32_e32 v213, v237, v212, vcc_lo
	v_cndmask_b32_e64 v215, v239, v214, s2
	v_cndmask_b32_e32 v212, v236, v236, vcc_lo
	v_cndmask_b32_e64 v214, v238, v238, s2
	s_mov_b32 s2, exec_lo
	s_delay_alu instid0(VALU_DEP_1)
	v_cmpx_ngt_f64_e32 v[212:213], v[214:215]
	s_xor_b32 s2, exec_lo, s2
	s_cbranch_execz .LBB116_490
; %bb.489:
	v_div_scale_f64 v[212:213], null, v[238:239], v[238:239], v[236:237]
	v_div_scale_f64 v[218:219], vcc_lo, v[236:237], v[238:239], v[236:237]
	s_delay_alu instid0(VALU_DEP_2) | instskip(SKIP_2) | instid1(VALU_DEP_1)
	v_rcp_f64_e32 v[214:215], v[212:213]
	s_waitcnt_depctr 0xfff
	v_fma_f64 v[216:217], -v[212:213], v[214:215], 1.0
	v_fma_f64 v[214:215], v[214:215], v[216:217], v[214:215]
	s_delay_alu instid0(VALU_DEP_1) | instskip(NEXT) | instid1(VALU_DEP_1)
	v_fma_f64 v[216:217], -v[212:213], v[214:215], 1.0
	v_fma_f64 v[214:215], v[214:215], v[216:217], v[214:215]
	s_delay_alu instid0(VALU_DEP_1) | instskip(NEXT) | instid1(VALU_DEP_1)
	v_mul_f64 v[216:217], v[218:219], v[214:215]
	v_fma_f64 v[212:213], -v[212:213], v[216:217], v[218:219]
	s_delay_alu instid0(VALU_DEP_1) | instskip(NEXT) | instid1(VALU_DEP_1)
	v_div_fmas_f64 v[212:213], v[212:213], v[214:215], v[216:217]
	v_div_fixup_f64 v[212:213], v[212:213], v[238:239], v[236:237]
	s_delay_alu instid0(VALU_DEP_1) | instskip(NEXT) | instid1(VALU_DEP_1)
	v_fma_f64 v[214:215], v[236:237], v[212:213], v[238:239]
	v_div_scale_f64 v[216:217], null, v[214:215], v[214:215], 1.0
	s_delay_alu instid0(VALU_DEP_1) | instskip(SKIP_2) | instid1(VALU_DEP_1)
	v_rcp_f64_e32 v[218:219], v[216:217]
	s_waitcnt_depctr 0xfff
	v_fma_f64 v[220:221], -v[216:217], v[218:219], 1.0
	v_fma_f64 v[218:219], v[218:219], v[220:221], v[218:219]
	s_delay_alu instid0(VALU_DEP_1) | instskip(NEXT) | instid1(VALU_DEP_1)
	v_fma_f64 v[220:221], -v[216:217], v[218:219], 1.0
	v_fma_f64 v[218:219], v[218:219], v[220:221], v[218:219]
	v_div_scale_f64 v[220:221], vcc_lo, 1.0, v[214:215], 1.0
	s_delay_alu instid0(VALU_DEP_1) | instskip(NEXT) | instid1(VALU_DEP_1)
	v_mul_f64 v[222:223], v[220:221], v[218:219]
	v_fma_f64 v[216:217], -v[216:217], v[222:223], v[220:221]
	s_delay_alu instid0(VALU_DEP_1) | instskip(NEXT) | instid1(VALU_DEP_1)
	v_div_fmas_f64 v[216:217], v[216:217], v[218:219], v[222:223]
	v_div_fixup_f64 v[238:239], v[216:217], v[214:215], 1.0
	s_delay_alu instid0(VALU_DEP_1)
	v_mul_f64 v[236:237], v[212:213], v[238:239]
	v_xor_b32_e32 v239, 0x80000000, v239
.LBB116_490:
	s_and_not1_saveexec_b32 s2, s2
	s_cbranch_execz .LBB116_492
; %bb.491:
	s_delay_alu instid0(VALU_DEP_1) | instskip(SKIP_1) | instid1(VALU_DEP_2)
	v_div_scale_f64 v[212:213], null, v[236:237], v[236:237], v[238:239]
	v_div_scale_f64 v[218:219], vcc_lo, v[238:239], v[236:237], v[238:239]
	v_rcp_f64_e32 v[214:215], v[212:213]
	s_waitcnt_depctr 0xfff
	v_fma_f64 v[216:217], -v[212:213], v[214:215], 1.0
	s_delay_alu instid0(VALU_DEP_1) | instskip(NEXT) | instid1(VALU_DEP_1)
	v_fma_f64 v[214:215], v[214:215], v[216:217], v[214:215]
	v_fma_f64 v[216:217], -v[212:213], v[214:215], 1.0
	s_delay_alu instid0(VALU_DEP_1) | instskip(NEXT) | instid1(VALU_DEP_1)
	v_fma_f64 v[214:215], v[214:215], v[216:217], v[214:215]
	v_mul_f64 v[216:217], v[218:219], v[214:215]
	s_delay_alu instid0(VALU_DEP_1) | instskip(NEXT) | instid1(VALU_DEP_1)
	v_fma_f64 v[212:213], -v[212:213], v[216:217], v[218:219]
	v_div_fmas_f64 v[212:213], v[212:213], v[214:215], v[216:217]
	s_delay_alu instid0(VALU_DEP_1) | instskip(NEXT) | instid1(VALU_DEP_1)
	v_div_fixup_f64 v[212:213], v[212:213], v[236:237], v[238:239]
	v_fma_f64 v[214:215], v[238:239], v[212:213], v[236:237]
	s_delay_alu instid0(VALU_DEP_1) | instskip(NEXT) | instid1(VALU_DEP_1)
	v_div_scale_f64 v[216:217], null, v[214:215], v[214:215], 1.0
	v_rcp_f64_e32 v[218:219], v[216:217]
	s_waitcnt_depctr 0xfff
	v_fma_f64 v[220:221], -v[216:217], v[218:219], 1.0
	s_delay_alu instid0(VALU_DEP_1) | instskip(NEXT) | instid1(VALU_DEP_1)
	v_fma_f64 v[218:219], v[218:219], v[220:221], v[218:219]
	v_fma_f64 v[220:221], -v[216:217], v[218:219], 1.0
	s_delay_alu instid0(VALU_DEP_1) | instskip(SKIP_1) | instid1(VALU_DEP_1)
	v_fma_f64 v[218:219], v[218:219], v[220:221], v[218:219]
	v_div_scale_f64 v[220:221], vcc_lo, 1.0, v[214:215], 1.0
	v_mul_f64 v[222:223], v[220:221], v[218:219]
	s_delay_alu instid0(VALU_DEP_1) | instskip(NEXT) | instid1(VALU_DEP_1)
	v_fma_f64 v[216:217], -v[216:217], v[222:223], v[220:221]
	v_div_fmas_f64 v[216:217], v[216:217], v[218:219], v[222:223]
	s_delay_alu instid0(VALU_DEP_1) | instskip(NEXT) | instid1(VALU_DEP_1)
	v_div_fixup_f64 v[236:237], v[216:217], v[214:215], 1.0
	v_mul_f64 v[238:239], v[212:213], -v[236:237]
.LBB116_492:
	s_or_b32 exec_lo, exec_lo, s2
.LBB116_493:
	s_delay_alu instid0(SALU_CYCLE_1) | instskip(NEXT) | instid1(SALU_CYCLE_1)
	s_or_b32 exec_lo, exec_lo, s3
	s_mov_b32 s2, exec_lo
	v_cmpx_ne_u32_e64 v252, v244
	s_xor_b32 s2, exec_lo, s2
	s_cbranch_execz .LBB116_499
; %bb.494:
	s_mov_b32 s3, exec_lo
	v_cmpx_eq_u32_e32 23, v252
	s_cbranch_execz .LBB116_498
; %bb.495:
	v_cmp_ne_u32_e32 vcc_lo, 23, v244
	s_xor_b32 s4, s5, -1
	s_delay_alu instid0(SALU_CYCLE_1) | instskip(NEXT) | instid1(SALU_CYCLE_1)
	s_and_b32 s6, s4, vcc_lo
	s_and_saveexec_b32 s4, s6
	s_cbranch_execz .LBB116_497
; %bb.496:
	scratch_load_b64 v[208:209], off, off offset:16 ; 8-byte Folded Reload
	v_ashrrev_i32_e32 v245, 31, v244
	s_delay_alu instid0(VALU_DEP_1) | instskip(SKIP_1) | instid1(VALU_DEP_1)
	v_lshlrev_b64 v[212:213], 2, v[244:245]
	s_waitcnt vmcnt(0)
	v_add_co_u32 v212, vcc_lo, v208, v212
	s_delay_alu instid0(VALU_DEP_2)
	v_add_co_ci_u32_e32 v213, vcc_lo, v209, v213, vcc_lo
	s_clause 0x1
	flat_load_b32 v214, v[212:213]
	flat_load_b32 v215, v[208:209] offset:92
	s_waitcnt vmcnt(1) lgkmcnt(1)
	flat_store_b32 v[208:209], v214 offset:92
	s_waitcnt vmcnt(0) lgkmcnt(1)
	flat_store_b32 v[212:213], v215
.LBB116_497:
	s_or_b32 exec_lo, exec_lo, s4
	v_mov_b32_e32 v252, v244
	v_mov_b32_e32 v251, v244
.LBB116_498:
	s_or_b32 exec_lo, exec_lo, s3
.LBB116_499:
	s_and_not1_saveexec_b32 s2, s2
	s_cbranch_execz .LBB116_501
; %bb.500:
	v_mov_b32_e32 v252, 23
	ds_store_2addr_b64 v246, v[136:137], v[138:139] offset0:48 offset1:49
	ds_store_2addr_b64 v246, v[132:133], v[134:135] offset0:50 offset1:51
	;; [unrolled: 1-line block ×35, first 2 shown]
.LBB116_501:
	s_or_b32 exec_lo, exec_lo, s2
	s_delay_alu instid0(SALU_CYCLE_1)
	s_mov_b32 s2, exec_lo
	s_waitcnt lgkmcnt(0)
	s_waitcnt_vscnt null, 0x0
	s_barrier
	buffer_gl0_inv
	v_cmpx_lt_i32_e32 23, v252
	s_cbranch_execz .LBB116_503
; %bb.502:
	v_mul_f64 v[212:213], v[238:239], v[142:143]
	v_mul_f64 v[142:143], v[236:237], v[142:143]
	s_delay_alu instid0(VALU_DEP_2) | instskip(NEXT) | instid1(VALU_DEP_2)
	v_fma_f64 v[244:245], v[236:237], v[140:141], -v[212:213]
	v_fma_f64 v[142:143], v[238:239], v[140:141], v[142:143]
	ds_load_2addr_b64 v[236:239], v246 offset0:48 offset1:49
	s_waitcnt lgkmcnt(0)
	v_mul_f64 v[140:141], v[238:239], v[142:143]
	v_mul_f64 v[212:213], v[236:237], v[142:143]
	s_delay_alu instid0(VALU_DEP_2) | instskip(NEXT) | instid1(VALU_DEP_2)
	v_fma_f64 v[140:141], v[236:237], v[244:245], -v[140:141]
	v_fma_f64 v[212:213], v[238:239], v[244:245], v[212:213]
	ds_load_2addr_b64 v[236:239], v246 offset0:50 offset1:51
	v_add_f64 v[136:137], v[136:137], -v[140:141]
	v_add_f64 v[138:139], v[138:139], -v[212:213]
	s_waitcnt lgkmcnt(0)
	v_mul_f64 v[140:141], v[238:239], v[142:143]
	v_mul_f64 v[212:213], v[236:237], v[142:143]
	s_delay_alu instid0(VALU_DEP_2) | instskip(NEXT) | instid1(VALU_DEP_2)
	v_fma_f64 v[140:141], v[236:237], v[244:245], -v[140:141]
	v_fma_f64 v[212:213], v[238:239], v[244:245], v[212:213]
	ds_load_2addr_b64 v[236:239], v246 offset0:52 offset1:53
	v_add_f64 v[132:133], v[132:133], -v[140:141]
	v_add_f64 v[134:135], v[134:135], -v[212:213]
	;; [unrolled: 9-line block ×34, first 2 shown]
	s_waitcnt lgkmcnt(0)
	v_mul_f64 v[140:141], v[238:239], v[142:143]
	v_mul_f64 v[212:213], v[236:237], v[142:143]
	s_delay_alu instid0(VALU_DEP_2) | instskip(NEXT) | instid1(VALU_DEP_2)
	v_fma_f64 v[140:141], v[236:237], v[244:245], -v[140:141]
	v_fma_f64 v[212:213], v[238:239], v[244:245], v[212:213]
	s_delay_alu instid0(VALU_DEP_2) | instskip(NEXT) | instid1(VALU_DEP_2)
	v_add_f64 v[224:225], v[224:225], -v[140:141]
	v_add_f64 v[226:227], v[226:227], -v[212:213]
	v_dual_mov_b32 v140, v244 :: v_dual_mov_b32 v141, v245
.LBB116_503:
	s_or_b32 exec_lo, exec_lo, s2
	v_lshl_add_u32 v212, v252, 4, v246
	s_barrier
	buffer_gl0_inv
	v_mov_b32_e32 v244, 24
	ds_store_2addr_b64 v212, v[136:137], v[138:139] offset1:1
	s_waitcnt lgkmcnt(0)
	s_barrier
	buffer_gl0_inv
	ds_load_2addr_b64 v[236:239], v246 offset0:48 offset1:49
	s_cmp_lt_i32 s12, 26
	s_cbranch_scc1 .LBB116_506
; %bb.504:
	v_add3_u32 v245, v234, 0, 0x190
	v_mov_b32_e32 v244, 24
	s_mov_b32 s6, 25
	s_set_inst_prefetch_distance 0x1
	.p2align	6
.LBB116_505:                            ; =>This Inner Loop Header: Depth=1
	ds_load_2addr_b64 v[240:243], v245 offset1:1
	s_waitcnt lgkmcnt(1)
	v_cmp_gt_f64_e32 vcc_lo, 0, v[236:237]
	v_cmp_gt_f64_e64 s2, 0, v[238:239]
	v_xor_b32_e32 v213, 0x80000000, v237
	v_xor_b32_e32 v217, 0x80000000, v239
	v_add_nc_u32_e32 v245, 16, v245
	s_waitcnt lgkmcnt(0)
	v_cmp_gt_f64_e64 s3, 0, v[240:241]
	v_cmp_gt_f64_e64 s4, 0, v[242:243]
	v_xor_b32_e32 v219, 0x80000000, v241
	v_xor_b32_e32 v220, 0x80000000, v243
	v_mov_b32_e32 v214, v242
	v_mov_b32_e32 v212, v240
	v_dual_cndmask_b32 v216, v237, v213 :: v_dual_cndmask_b32 v215, v236, v236
	v_cndmask_b32_e64 v218, v239, v217, s2
	v_cndmask_b32_e64 v217, v238, v238, s2
	s_delay_alu instid0(VALU_DEP_1) | instskip(SKIP_2) | instid1(VALU_DEP_1)
	v_add_f64 v[216:217], v[215:216], v[217:218]
	v_cndmask_b32_e64 v213, v241, v219, s3
	v_cndmask_b32_e64 v215, v243, v220, s4
	v_add_f64 v[212:213], v[212:213], v[214:215]
	s_delay_alu instid0(VALU_DEP_1)
	v_cmp_lt_f64_e32 vcc_lo, v[216:217], v[212:213]
	v_cndmask_b32_e32 v239, v239, v243, vcc_lo
	v_dual_cndmask_b32 v237, v237, v241 :: v_dual_cndmask_b32 v236, v236, v240
	v_cndmask_b32_e32 v238, v238, v242, vcc_lo
	v_cndmask_b32_e64 v244, v244, s6, vcc_lo
	s_add_i32 s6, s6, 1
	s_delay_alu instid0(SALU_CYCLE_1)
	s_cmp_lg_u32 s12, s6
	s_cbranch_scc1 .LBB116_505
.LBB116_506:
	s_set_inst_prefetch_distance 0x2
	s_waitcnt lgkmcnt(0)
	v_cmp_eq_f64_e32 vcc_lo, 0, v[236:237]
	v_cmp_eq_f64_e64 s2, 0, v[238:239]
	s_delay_alu instid0(VALU_DEP_1) | instskip(NEXT) | instid1(SALU_CYCLE_1)
	s_and_b32 s2, vcc_lo, s2
	s_and_saveexec_b32 s3, s2
	s_delay_alu instid0(SALU_CYCLE_1)
	s_xor_b32 s2, exec_lo, s3
; %bb.507:
	v_cmp_ne_u32_e32 vcc_lo, 0, v249
	v_cndmask_b32_e32 v249, 25, v249, vcc_lo
; %bb.508:
	s_and_not1_saveexec_b32 s3, s2
	s_cbranch_execz .LBB116_514
; %bb.509:
	v_cmp_gt_f64_e32 vcc_lo, 0, v[236:237]
	v_cmp_gt_f64_e64 s2, 0, v[238:239]
	v_xor_b32_e32 v212, 0x80000000, v237
	v_xor_b32_e32 v214, 0x80000000, v239
	s_delay_alu instid0(VALU_DEP_2) | instskip(NEXT) | instid1(VALU_DEP_2)
	v_cndmask_b32_e32 v213, v237, v212, vcc_lo
	v_cndmask_b32_e64 v215, v239, v214, s2
	v_cndmask_b32_e32 v212, v236, v236, vcc_lo
	v_cndmask_b32_e64 v214, v238, v238, s2
	s_mov_b32 s2, exec_lo
	s_delay_alu instid0(VALU_DEP_1)
	v_cmpx_ngt_f64_e32 v[212:213], v[214:215]
	s_xor_b32 s2, exec_lo, s2
	s_cbranch_execz .LBB116_511
; %bb.510:
	v_div_scale_f64 v[212:213], null, v[238:239], v[238:239], v[236:237]
	v_div_scale_f64 v[218:219], vcc_lo, v[236:237], v[238:239], v[236:237]
	s_delay_alu instid0(VALU_DEP_2) | instskip(SKIP_2) | instid1(VALU_DEP_1)
	v_rcp_f64_e32 v[214:215], v[212:213]
	s_waitcnt_depctr 0xfff
	v_fma_f64 v[216:217], -v[212:213], v[214:215], 1.0
	v_fma_f64 v[214:215], v[214:215], v[216:217], v[214:215]
	s_delay_alu instid0(VALU_DEP_1) | instskip(NEXT) | instid1(VALU_DEP_1)
	v_fma_f64 v[216:217], -v[212:213], v[214:215], 1.0
	v_fma_f64 v[214:215], v[214:215], v[216:217], v[214:215]
	s_delay_alu instid0(VALU_DEP_1) | instskip(NEXT) | instid1(VALU_DEP_1)
	v_mul_f64 v[216:217], v[218:219], v[214:215]
	v_fma_f64 v[212:213], -v[212:213], v[216:217], v[218:219]
	s_delay_alu instid0(VALU_DEP_1) | instskip(NEXT) | instid1(VALU_DEP_1)
	v_div_fmas_f64 v[212:213], v[212:213], v[214:215], v[216:217]
	v_div_fixup_f64 v[212:213], v[212:213], v[238:239], v[236:237]
	s_delay_alu instid0(VALU_DEP_1) | instskip(NEXT) | instid1(VALU_DEP_1)
	v_fma_f64 v[214:215], v[236:237], v[212:213], v[238:239]
	v_div_scale_f64 v[216:217], null, v[214:215], v[214:215], 1.0
	s_delay_alu instid0(VALU_DEP_1) | instskip(SKIP_2) | instid1(VALU_DEP_1)
	v_rcp_f64_e32 v[218:219], v[216:217]
	s_waitcnt_depctr 0xfff
	v_fma_f64 v[220:221], -v[216:217], v[218:219], 1.0
	v_fma_f64 v[218:219], v[218:219], v[220:221], v[218:219]
	s_delay_alu instid0(VALU_DEP_1) | instskip(NEXT) | instid1(VALU_DEP_1)
	v_fma_f64 v[220:221], -v[216:217], v[218:219], 1.0
	v_fma_f64 v[218:219], v[218:219], v[220:221], v[218:219]
	v_div_scale_f64 v[220:221], vcc_lo, 1.0, v[214:215], 1.0
	s_delay_alu instid0(VALU_DEP_1) | instskip(NEXT) | instid1(VALU_DEP_1)
	v_mul_f64 v[222:223], v[220:221], v[218:219]
	v_fma_f64 v[216:217], -v[216:217], v[222:223], v[220:221]
	s_delay_alu instid0(VALU_DEP_1) | instskip(NEXT) | instid1(VALU_DEP_1)
	v_div_fmas_f64 v[216:217], v[216:217], v[218:219], v[222:223]
	v_div_fixup_f64 v[238:239], v[216:217], v[214:215], 1.0
	s_delay_alu instid0(VALU_DEP_1)
	v_mul_f64 v[236:237], v[212:213], v[238:239]
	v_xor_b32_e32 v239, 0x80000000, v239
.LBB116_511:
	s_and_not1_saveexec_b32 s2, s2
	s_cbranch_execz .LBB116_513
; %bb.512:
	s_delay_alu instid0(VALU_DEP_1) | instskip(SKIP_1) | instid1(VALU_DEP_2)
	v_div_scale_f64 v[212:213], null, v[236:237], v[236:237], v[238:239]
	v_div_scale_f64 v[218:219], vcc_lo, v[238:239], v[236:237], v[238:239]
	v_rcp_f64_e32 v[214:215], v[212:213]
	s_waitcnt_depctr 0xfff
	v_fma_f64 v[216:217], -v[212:213], v[214:215], 1.0
	s_delay_alu instid0(VALU_DEP_1) | instskip(NEXT) | instid1(VALU_DEP_1)
	v_fma_f64 v[214:215], v[214:215], v[216:217], v[214:215]
	v_fma_f64 v[216:217], -v[212:213], v[214:215], 1.0
	s_delay_alu instid0(VALU_DEP_1) | instskip(NEXT) | instid1(VALU_DEP_1)
	v_fma_f64 v[214:215], v[214:215], v[216:217], v[214:215]
	v_mul_f64 v[216:217], v[218:219], v[214:215]
	s_delay_alu instid0(VALU_DEP_1) | instskip(NEXT) | instid1(VALU_DEP_1)
	v_fma_f64 v[212:213], -v[212:213], v[216:217], v[218:219]
	v_div_fmas_f64 v[212:213], v[212:213], v[214:215], v[216:217]
	s_delay_alu instid0(VALU_DEP_1) | instskip(NEXT) | instid1(VALU_DEP_1)
	v_div_fixup_f64 v[212:213], v[212:213], v[236:237], v[238:239]
	v_fma_f64 v[214:215], v[238:239], v[212:213], v[236:237]
	s_delay_alu instid0(VALU_DEP_1) | instskip(NEXT) | instid1(VALU_DEP_1)
	v_div_scale_f64 v[216:217], null, v[214:215], v[214:215], 1.0
	v_rcp_f64_e32 v[218:219], v[216:217]
	s_waitcnt_depctr 0xfff
	v_fma_f64 v[220:221], -v[216:217], v[218:219], 1.0
	s_delay_alu instid0(VALU_DEP_1) | instskip(NEXT) | instid1(VALU_DEP_1)
	v_fma_f64 v[218:219], v[218:219], v[220:221], v[218:219]
	v_fma_f64 v[220:221], -v[216:217], v[218:219], 1.0
	s_delay_alu instid0(VALU_DEP_1) | instskip(SKIP_1) | instid1(VALU_DEP_1)
	v_fma_f64 v[218:219], v[218:219], v[220:221], v[218:219]
	v_div_scale_f64 v[220:221], vcc_lo, 1.0, v[214:215], 1.0
	v_mul_f64 v[222:223], v[220:221], v[218:219]
	s_delay_alu instid0(VALU_DEP_1) | instskip(NEXT) | instid1(VALU_DEP_1)
	v_fma_f64 v[216:217], -v[216:217], v[222:223], v[220:221]
	v_div_fmas_f64 v[216:217], v[216:217], v[218:219], v[222:223]
	s_delay_alu instid0(VALU_DEP_1) | instskip(NEXT) | instid1(VALU_DEP_1)
	v_div_fixup_f64 v[236:237], v[216:217], v[214:215], 1.0
	v_mul_f64 v[238:239], v[212:213], -v[236:237]
.LBB116_513:
	s_or_b32 exec_lo, exec_lo, s2
.LBB116_514:
	s_delay_alu instid0(SALU_CYCLE_1) | instskip(NEXT) | instid1(SALU_CYCLE_1)
	s_or_b32 exec_lo, exec_lo, s3
	s_mov_b32 s2, exec_lo
	v_cmpx_ne_u32_e64 v252, v244
	s_xor_b32 s2, exec_lo, s2
	s_cbranch_execz .LBB116_520
; %bb.515:
	s_mov_b32 s3, exec_lo
	v_cmpx_eq_u32_e32 24, v252
	s_cbranch_execz .LBB116_519
; %bb.516:
	v_cmp_ne_u32_e32 vcc_lo, 24, v244
	s_xor_b32 s4, s5, -1
	s_delay_alu instid0(SALU_CYCLE_1) | instskip(NEXT) | instid1(SALU_CYCLE_1)
	s_and_b32 s6, s4, vcc_lo
	s_and_saveexec_b32 s4, s6
	s_cbranch_execz .LBB116_518
; %bb.517:
	scratch_load_b64 v[208:209], off, off offset:16 ; 8-byte Folded Reload
	v_ashrrev_i32_e32 v245, 31, v244
	s_delay_alu instid0(VALU_DEP_1) | instskip(SKIP_1) | instid1(VALU_DEP_1)
	v_lshlrev_b64 v[212:213], 2, v[244:245]
	s_waitcnt vmcnt(0)
	v_add_co_u32 v212, vcc_lo, v208, v212
	s_delay_alu instid0(VALU_DEP_2)
	v_add_co_ci_u32_e32 v213, vcc_lo, v209, v213, vcc_lo
	s_clause 0x1
	flat_load_b32 v214, v[212:213]
	flat_load_b32 v215, v[208:209] offset:96
	s_waitcnt vmcnt(1) lgkmcnt(1)
	flat_store_b32 v[208:209], v214 offset:96
	s_waitcnt vmcnt(0) lgkmcnt(1)
	flat_store_b32 v[212:213], v215
.LBB116_518:
	s_or_b32 exec_lo, exec_lo, s4
	v_mov_b32_e32 v252, v244
	v_mov_b32_e32 v251, v244
.LBB116_519:
	s_or_b32 exec_lo, exec_lo, s3
.LBB116_520:
	s_and_not1_saveexec_b32 s2, s2
	s_cbranch_execz .LBB116_522
; %bb.521:
	v_mov_b32_e32 v252, 24
	ds_store_2addr_b64 v246, v[132:133], v[134:135] offset0:50 offset1:51
	ds_store_2addr_b64 v246, v[128:129], v[130:131] offset0:52 offset1:53
	;; [unrolled: 1-line block ×34, first 2 shown]
.LBB116_522:
	s_or_b32 exec_lo, exec_lo, s2
	s_delay_alu instid0(SALU_CYCLE_1)
	s_mov_b32 s2, exec_lo
	s_waitcnt lgkmcnt(0)
	s_waitcnt_vscnt null, 0x0
	s_barrier
	buffer_gl0_inv
	v_cmpx_lt_i32_e32 24, v252
	s_cbranch_execz .LBB116_524
; %bb.523:
	v_mul_f64 v[212:213], v[238:239], v[138:139]
	v_mul_f64 v[138:139], v[236:237], v[138:139]
	s_delay_alu instid0(VALU_DEP_2) | instskip(NEXT) | instid1(VALU_DEP_2)
	v_fma_f64 v[244:245], v[236:237], v[136:137], -v[212:213]
	v_fma_f64 v[138:139], v[238:239], v[136:137], v[138:139]
	ds_load_2addr_b64 v[236:239], v246 offset0:50 offset1:51
	s_waitcnt lgkmcnt(0)
	v_mul_f64 v[136:137], v[238:239], v[138:139]
	v_mul_f64 v[212:213], v[236:237], v[138:139]
	s_delay_alu instid0(VALU_DEP_2) | instskip(NEXT) | instid1(VALU_DEP_2)
	v_fma_f64 v[136:137], v[236:237], v[244:245], -v[136:137]
	v_fma_f64 v[212:213], v[238:239], v[244:245], v[212:213]
	ds_load_2addr_b64 v[236:239], v246 offset0:52 offset1:53
	v_add_f64 v[132:133], v[132:133], -v[136:137]
	v_add_f64 v[134:135], v[134:135], -v[212:213]
	s_waitcnt lgkmcnt(0)
	v_mul_f64 v[136:137], v[238:239], v[138:139]
	v_mul_f64 v[212:213], v[236:237], v[138:139]
	s_delay_alu instid0(VALU_DEP_2) | instskip(NEXT) | instid1(VALU_DEP_2)
	v_fma_f64 v[136:137], v[236:237], v[244:245], -v[136:137]
	v_fma_f64 v[212:213], v[238:239], v[244:245], v[212:213]
	ds_load_2addr_b64 v[236:239], v246 offset0:54 offset1:55
	v_add_f64 v[128:129], v[128:129], -v[136:137]
	v_add_f64 v[130:131], v[130:131], -v[212:213]
	;; [unrolled: 9-line block ×33, first 2 shown]
	s_waitcnt lgkmcnt(0)
	v_mul_f64 v[136:137], v[238:239], v[138:139]
	v_mul_f64 v[212:213], v[236:237], v[138:139]
	s_delay_alu instid0(VALU_DEP_2) | instskip(NEXT) | instid1(VALU_DEP_2)
	v_fma_f64 v[136:137], v[236:237], v[244:245], -v[136:137]
	v_fma_f64 v[212:213], v[238:239], v[244:245], v[212:213]
	s_delay_alu instid0(VALU_DEP_2) | instskip(NEXT) | instid1(VALU_DEP_2)
	v_add_f64 v[224:225], v[224:225], -v[136:137]
	v_add_f64 v[226:227], v[226:227], -v[212:213]
	v_dual_mov_b32 v136, v244 :: v_dual_mov_b32 v137, v245
.LBB116_524:
	s_or_b32 exec_lo, exec_lo, s2
	v_lshl_add_u32 v212, v252, 4, v246
	s_barrier
	buffer_gl0_inv
	v_mov_b32_e32 v244, 25
	ds_store_2addr_b64 v212, v[132:133], v[134:135] offset1:1
	s_waitcnt lgkmcnt(0)
	s_barrier
	buffer_gl0_inv
	ds_load_2addr_b64 v[236:239], v246 offset0:50 offset1:51
	s_cmp_lt_i32 s12, 27
	s_cbranch_scc1 .LBB116_527
; %bb.525:
	v_add3_u32 v245, v234, 0, 0x1a0
	v_mov_b32_e32 v244, 25
	s_mov_b32 s6, 26
	s_set_inst_prefetch_distance 0x1
	.p2align	6
.LBB116_526:                            ; =>This Inner Loop Header: Depth=1
	ds_load_2addr_b64 v[240:243], v245 offset1:1
	s_waitcnt lgkmcnt(1)
	v_cmp_gt_f64_e32 vcc_lo, 0, v[236:237]
	v_cmp_gt_f64_e64 s2, 0, v[238:239]
	v_xor_b32_e32 v213, 0x80000000, v237
	v_xor_b32_e32 v217, 0x80000000, v239
	v_add_nc_u32_e32 v245, 16, v245
	s_waitcnt lgkmcnt(0)
	v_cmp_gt_f64_e64 s3, 0, v[240:241]
	v_cmp_gt_f64_e64 s4, 0, v[242:243]
	v_xor_b32_e32 v219, 0x80000000, v241
	v_xor_b32_e32 v220, 0x80000000, v243
	v_mov_b32_e32 v214, v242
	v_mov_b32_e32 v212, v240
	v_dual_cndmask_b32 v216, v237, v213 :: v_dual_cndmask_b32 v215, v236, v236
	v_cndmask_b32_e64 v218, v239, v217, s2
	v_cndmask_b32_e64 v217, v238, v238, s2
	s_delay_alu instid0(VALU_DEP_1) | instskip(SKIP_2) | instid1(VALU_DEP_1)
	v_add_f64 v[216:217], v[215:216], v[217:218]
	v_cndmask_b32_e64 v213, v241, v219, s3
	v_cndmask_b32_e64 v215, v243, v220, s4
	v_add_f64 v[212:213], v[212:213], v[214:215]
	s_delay_alu instid0(VALU_DEP_1)
	v_cmp_lt_f64_e32 vcc_lo, v[216:217], v[212:213]
	v_cndmask_b32_e32 v239, v239, v243, vcc_lo
	v_dual_cndmask_b32 v237, v237, v241 :: v_dual_cndmask_b32 v236, v236, v240
	v_cndmask_b32_e32 v238, v238, v242, vcc_lo
	v_cndmask_b32_e64 v244, v244, s6, vcc_lo
	s_add_i32 s6, s6, 1
	s_delay_alu instid0(SALU_CYCLE_1)
	s_cmp_lg_u32 s12, s6
	s_cbranch_scc1 .LBB116_526
.LBB116_527:
	s_set_inst_prefetch_distance 0x2
	s_waitcnt lgkmcnt(0)
	v_cmp_eq_f64_e32 vcc_lo, 0, v[236:237]
	v_cmp_eq_f64_e64 s2, 0, v[238:239]
	s_delay_alu instid0(VALU_DEP_1) | instskip(NEXT) | instid1(SALU_CYCLE_1)
	s_and_b32 s2, vcc_lo, s2
	s_and_saveexec_b32 s3, s2
	s_delay_alu instid0(SALU_CYCLE_1)
	s_xor_b32 s2, exec_lo, s3
; %bb.528:
	v_cmp_ne_u32_e32 vcc_lo, 0, v249
	v_cndmask_b32_e32 v249, 26, v249, vcc_lo
; %bb.529:
	s_and_not1_saveexec_b32 s3, s2
	s_cbranch_execz .LBB116_535
; %bb.530:
	v_cmp_gt_f64_e32 vcc_lo, 0, v[236:237]
	v_cmp_gt_f64_e64 s2, 0, v[238:239]
	v_xor_b32_e32 v212, 0x80000000, v237
	v_xor_b32_e32 v214, 0x80000000, v239
	s_delay_alu instid0(VALU_DEP_2) | instskip(NEXT) | instid1(VALU_DEP_2)
	v_cndmask_b32_e32 v213, v237, v212, vcc_lo
	v_cndmask_b32_e64 v215, v239, v214, s2
	v_cndmask_b32_e32 v212, v236, v236, vcc_lo
	v_cndmask_b32_e64 v214, v238, v238, s2
	s_mov_b32 s2, exec_lo
	s_delay_alu instid0(VALU_DEP_1)
	v_cmpx_ngt_f64_e32 v[212:213], v[214:215]
	s_xor_b32 s2, exec_lo, s2
	s_cbranch_execz .LBB116_532
; %bb.531:
	v_div_scale_f64 v[212:213], null, v[238:239], v[238:239], v[236:237]
	v_div_scale_f64 v[218:219], vcc_lo, v[236:237], v[238:239], v[236:237]
	s_delay_alu instid0(VALU_DEP_2) | instskip(SKIP_2) | instid1(VALU_DEP_1)
	v_rcp_f64_e32 v[214:215], v[212:213]
	s_waitcnt_depctr 0xfff
	v_fma_f64 v[216:217], -v[212:213], v[214:215], 1.0
	v_fma_f64 v[214:215], v[214:215], v[216:217], v[214:215]
	s_delay_alu instid0(VALU_DEP_1) | instskip(NEXT) | instid1(VALU_DEP_1)
	v_fma_f64 v[216:217], -v[212:213], v[214:215], 1.0
	v_fma_f64 v[214:215], v[214:215], v[216:217], v[214:215]
	s_delay_alu instid0(VALU_DEP_1) | instskip(NEXT) | instid1(VALU_DEP_1)
	v_mul_f64 v[216:217], v[218:219], v[214:215]
	v_fma_f64 v[212:213], -v[212:213], v[216:217], v[218:219]
	s_delay_alu instid0(VALU_DEP_1) | instskip(NEXT) | instid1(VALU_DEP_1)
	v_div_fmas_f64 v[212:213], v[212:213], v[214:215], v[216:217]
	v_div_fixup_f64 v[212:213], v[212:213], v[238:239], v[236:237]
	s_delay_alu instid0(VALU_DEP_1) | instskip(NEXT) | instid1(VALU_DEP_1)
	v_fma_f64 v[214:215], v[236:237], v[212:213], v[238:239]
	v_div_scale_f64 v[216:217], null, v[214:215], v[214:215], 1.0
	s_delay_alu instid0(VALU_DEP_1) | instskip(SKIP_2) | instid1(VALU_DEP_1)
	v_rcp_f64_e32 v[218:219], v[216:217]
	s_waitcnt_depctr 0xfff
	v_fma_f64 v[220:221], -v[216:217], v[218:219], 1.0
	v_fma_f64 v[218:219], v[218:219], v[220:221], v[218:219]
	s_delay_alu instid0(VALU_DEP_1) | instskip(NEXT) | instid1(VALU_DEP_1)
	v_fma_f64 v[220:221], -v[216:217], v[218:219], 1.0
	v_fma_f64 v[218:219], v[218:219], v[220:221], v[218:219]
	v_div_scale_f64 v[220:221], vcc_lo, 1.0, v[214:215], 1.0
	s_delay_alu instid0(VALU_DEP_1) | instskip(NEXT) | instid1(VALU_DEP_1)
	v_mul_f64 v[222:223], v[220:221], v[218:219]
	v_fma_f64 v[216:217], -v[216:217], v[222:223], v[220:221]
	s_delay_alu instid0(VALU_DEP_1) | instskip(NEXT) | instid1(VALU_DEP_1)
	v_div_fmas_f64 v[216:217], v[216:217], v[218:219], v[222:223]
	v_div_fixup_f64 v[238:239], v[216:217], v[214:215], 1.0
	s_delay_alu instid0(VALU_DEP_1)
	v_mul_f64 v[236:237], v[212:213], v[238:239]
	v_xor_b32_e32 v239, 0x80000000, v239
.LBB116_532:
	s_and_not1_saveexec_b32 s2, s2
	s_cbranch_execz .LBB116_534
; %bb.533:
	s_delay_alu instid0(VALU_DEP_1) | instskip(SKIP_1) | instid1(VALU_DEP_2)
	v_div_scale_f64 v[212:213], null, v[236:237], v[236:237], v[238:239]
	v_div_scale_f64 v[218:219], vcc_lo, v[238:239], v[236:237], v[238:239]
	v_rcp_f64_e32 v[214:215], v[212:213]
	s_waitcnt_depctr 0xfff
	v_fma_f64 v[216:217], -v[212:213], v[214:215], 1.0
	s_delay_alu instid0(VALU_DEP_1) | instskip(NEXT) | instid1(VALU_DEP_1)
	v_fma_f64 v[214:215], v[214:215], v[216:217], v[214:215]
	v_fma_f64 v[216:217], -v[212:213], v[214:215], 1.0
	s_delay_alu instid0(VALU_DEP_1) | instskip(NEXT) | instid1(VALU_DEP_1)
	v_fma_f64 v[214:215], v[214:215], v[216:217], v[214:215]
	v_mul_f64 v[216:217], v[218:219], v[214:215]
	s_delay_alu instid0(VALU_DEP_1) | instskip(NEXT) | instid1(VALU_DEP_1)
	v_fma_f64 v[212:213], -v[212:213], v[216:217], v[218:219]
	v_div_fmas_f64 v[212:213], v[212:213], v[214:215], v[216:217]
	s_delay_alu instid0(VALU_DEP_1) | instskip(NEXT) | instid1(VALU_DEP_1)
	v_div_fixup_f64 v[212:213], v[212:213], v[236:237], v[238:239]
	v_fma_f64 v[214:215], v[238:239], v[212:213], v[236:237]
	s_delay_alu instid0(VALU_DEP_1) | instskip(NEXT) | instid1(VALU_DEP_1)
	v_div_scale_f64 v[216:217], null, v[214:215], v[214:215], 1.0
	v_rcp_f64_e32 v[218:219], v[216:217]
	s_waitcnt_depctr 0xfff
	v_fma_f64 v[220:221], -v[216:217], v[218:219], 1.0
	s_delay_alu instid0(VALU_DEP_1) | instskip(NEXT) | instid1(VALU_DEP_1)
	v_fma_f64 v[218:219], v[218:219], v[220:221], v[218:219]
	v_fma_f64 v[220:221], -v[216:217], v[218:219], 1.0
	s_delay_alu instid0(VALU_DEP_1) | instskip(SKIP_1) | instid1(VALU_DEP_1)
	v_fma_f64 v[218:219], v[218:219], v[220:221], v[218:219]
	v_div_scale_f64 v[220:221], vcc_lo, 1.0, v[214:215], 1.0
	v_mul_f64 v[222:223], v[220:221], v[218:219]
	s_delay_alu instid0(VALU_DEP_1) | instskip(NEXT) | instid1(VALU_DEP_1)
	v_fma_f64 v[216:217], -v[216:217], v[222:223], v[220:221]
	v_div_fmas_f64 v[216:217], v[216:217], v[218:219], v[222:223]
	s_delay_alu instid0(VALU_DEP_1) | instskip(NEXT) | instid1(VALU_DEP_1)
	v_div_fixup_f64 v[236:237], v[216:217], v[214:215], 1.0
	v_mul_f64 v[238:239], v[212:213], -v[236:237]
.LBB116_534:
	s_or_b32 exec_lo, exec_lo, s2
.LBB116_535:
	s_delay_alu instid0(SALU_CYCLE_1) | instskip(NEXT) | instid1(SALU_CYCLE_1)
	s_or_b32 exec_lo, exec_lo, s3
	s_mov_b32 s2, exec_lo
	v_cmpx_ne_u32_e64 v252, v244
	s_xor_b32 s2, exec_lo, s2
	s_cbranch_execz .LBB116_541
; %bb.536:
	s_mov_b32 s3, exec_lo
	v_cmpx_eq_u32_e32 25, v252
	s_cbranch_execz .LBB116_540
; %bb.537:
	v_cmp_ne_u32_e32 vcc_lo, 25, v244
	s_xor_b32 s4, s5, -1
	s_delay_alu instid0(SALU_CYCLE_1) | instskip(NEXT) | instid1(SALU_CYCLE_1)
	s_and_b32 s6, s4, vcc_lo
	s_and_saveexec_b32 s4, s6
	s_cbranch_execz .LBB116_539
; %bb.538:
	scratch_load_b64 v[208:209], off, off offset:16 ; 8-byte Folded Reload
	v_ashrrev_i32_e32 v245, 31, v244
	s_delay_alu instid0(VALU_DEP_1) | instskip(SKIP_1) | instid1(VALU_DEP_1)
	v_lshlrev_b64 v[212:213], 2, v[244:245]
	s_waitcnt vmcnt(0)
	v_add_co_u32 v212, vcc_lo, v208, v212
	s_delay_alu instid0(VALU_DEP_2)
	v_add_co_ci_u32_e32 v213, vcc_lo, v209, v213, vcc_lo
	s_clause 0x1
	flat_load_b32 v214, v[212:213]
	flat_load_b32 v215, v[208:209] offset:100
	s_waitcnt vmcnt(1) lgkmcnt(1)
	flat_store_b32 v[208:209], v214 offset:100
	s_waitcnt vmcnt(0) lgkmcnt(1)
	flat_store_b32 v[212:213], v215
.LBB116_539:
	s_or_b32 exec_lo, exec_lo, s4
	v_mov_b32_e32 v252, v244
	v_mov_b32_e32 v251, v244
.LBB116_540:
	s_or_b32 exec_lo, exec_lo, s3
.LBB116_541:
	s_and_not1_saveexec_b32 s2, s2
	s_cbranch_execz .LBB116_543
; %bb.542:
	v_mov_b32_e32 v252, 25
	ds_store_2addr_b64 v246, v[128:129], v[130:131] offset0:52 offset1:53
	ds_store_2addr_b64 v246, v[124:125], v[126:127] offset0:54 offset1:55
	;; [unrolled: 1-line block ×33, first 2 shown]
.LBB116_543:
	s_or_b32 exec_lo, exec_lo, s2
	s_delay_alu instid0(SALU_CYCLE_1)
	s_mov_b32 s2, exec_lo
	s_waitcnt lgkmcnt(0)
	s_waitcnt_vscnt null, 0x0
	s_barrier
	buffer_gl0_inv
	v_cmpx_lt_i32_e32 25, v252
	s_cbranch_execz .LBB116_545
; %bb.544:
	v_mul_f64 v[212:213], v[238:239], v[134:135]
	v_mul_f64 v[134:135], v[236:237], v[134:135]
	s_delay_alu instid0(VALU_DEP_2) | instskip(NEXT) | instid1(VALU_DEP_2)
	v_fma_f64 v[244:245], v[236:237], v[132:133], -v[212:213]
	v_fma_f64 v[134:135], v[238:239], v[132:133], v[134:135]
	ds_load_2addr_b64 v[236:239], v246 offset0:52 offset1:53
	s_waitcnt lgkmcnt(0)
	v_mul_f64 v[132:133], v[238:239], v[134:135]
	v_mul_f64 v[212:213], v[236:237], v[134:135]
	s_delay_alu instid0(VALU_DEP_2) | instskip(NEXT) | instid1(VALU_DEP_2)
	v_fma_f64 v[132:133], v[236:237], v[244:245], -v[132:133]
	v_fma_f64 v[212:213], v[238:239], v[244:245], v[212:213]
	ds_load_2addr_b64 v[236:239], v246 offset0:54 offset1:55
	v_add_f64 v[128:129], v[128:129], -v[132:133]
	v_add_f64 v[130:131], v[130:131], -v[212:213]
	s_waitcnt lgkmcnt(0)
	v_mul_f64 v[132:133], v[238:239], v[134:135]
	v_mul_f64 v[212:213], v[236:237], v[134:135]
	s_delay_alu instid0(VALU_DEP_2) | instskip(NEXT) | instid1(VALU_DEP_2)
	v_fma_f64 v[132:133], v[236:237], v[244:245], -v[132:133]
	v_fma_f64 v[212:213], v[238:239], v[244:245], v[212:213]
	ds_load_2addr_b64 v[236:239], v246 offset0:56 offset1:57
	v_add_f64 v[124:125], v[124:125], -v[132:133]
	v_add_f64 v[126:127], v[126:127], -v[212:213]
	;; [unrolled: 9-line block ×32, first 2 shown]
	s_waitcnt lgkmcnt(0)
	v_mul_f64 v[132:133], v[238:239], v[134:135]
	v_mul_f64 v[212:213], v[236:237], v[134:135]
	s_delay_alu instid0(VALU_DEP_2) | instskip(NEXT) | instid1(VALU_DEP_2)
	v_fma_f64 v[132:133], v[236:237], v[244:245], -v[132:133]
	v_fma_f64 v[212:213], v[238:239], v[244:245], v[212:213]
	s_delay_alu instid0(VALU_DEP_2) | instskip(NEXT) | instid1(VALU_DEP_2)
	v_add_f64 v[224:225], v[224:225], -v[132:133]
	v_add_f64 v[226:227], v[226:227], -v[212:213]
	v_dual_mov_b32 v132, v244 :: v_dual_mov_b32 v133, v245
.LBB116_545:
	s_or_b32 exec_lo, exec_lo, s2
	v_lshl_add_u32 v212, v252, 4, v246
	s_barrier
	buffer_gl0_inv
	v_mov_b32_e32 v244, 26
	ds_store_2addr_b64 v212, v[128:129], v[130:131] offset1:1
	s_waitcnt lgkmcnt(0)
	s_barrier
	buffer_gl0_inv
	ds_load_2addr_b64 v[236:239], v246 offset0:52 offset1:53
	s_cmp_lt_i32 s12, 28
	s_cbranch_scc1 .LBB116_548
; %bb.546:
	v_add3_u32 v245, v234, 0, 0x1b0
	v_mov_b32_e32 v244, 26
	s_mov_b32 s2, 27
	s_set_inst_prefetch_distance 0x1
	.p2align	6
.LBB116_547:                            ; =>This Inner Loop Header: Depth=1
	s_waitcnt lgkmcnt(0)
	v_cmp_gt_f64_e32 vcc_lo, 0, v[236:237]
	v_xor_b32_e32 v212, 0x80000000, v237
	v_xor_b32_e32 v214, 0x80000000, v239
	ds_load_2addr_b64 v[240:243], v245 offset1:1
	v_add_nc_u32_e32 v245, 16, v245
	s_waitcnt lgkmcnt(0)
	v_xor_b32_e32 v216, 0x80000000, v243
	v_cndmask_b32_e32 v213, v237, v212, vcc_lo
	v_cndmask_b32_e32 v212, v236, v236, vcc_lo
	v_cmp_gt_f64_e32 vcc_lo, 0, v[238:239]
	v_cndmask_b32_e32 v215, v239, v214, vcc_lo
	v_cndmask_b32_e32 v214, v238, v238, vcc_lo
	v_cmp_gt_f64_e32 vcc_lo, 0, v[240:241]
	s_delay_alu instid0(VALU_DEP_2) | instskip(SKIP_1) | instid1(VALU_DEP_1)
	v_add_f64 v[212:213], v[212:213], v[214:215]
	v_xor_b32_e32 v214, 0x80000000, v241
	v_dual_cndmask_b32 v215, v241, v214 :: v_dual_mov_b32 v214, v240
	v_cmp_gt_f64_e32 vcc_lo, 0, v[242:243]
	v_dual_cndmask_b32 v217, v243, v216 :: v_dual_mov_b32 v216, v242
	s_delay_alu instid0(VALU_DEP_1) | instskip(NEXT) | instid1(VALU_DEP_1)
	v_add_f64 v[214:215], v[214:215], v[216:217]
	v_cmp_lt_f64_e32 vcc_lo, v[212:213], v[214:215]
	v_dual_cndmask_b32 v237, v237, v241 :: v_dual_cndmask_b32 v236, v236, v240
	v_dual_cndmask_b32 v239, v239, v243 :: v_dual_cndmask_b32 v238, v238, v242
	v_cndmask_b32_e64 v244, v244, s2, vcc_lo
	s_add_i32 s2, s2, 1
	s_delay_alu instid0(SALU_CYCLE_1)
	s_cmp_lg_u32 s12, s2
	s_cbranch_scc1 .LBB116_547
.LBB116_548:
	s_set_inst_prefetch_distance 0x2
	s_waitcnt lgkmcnt(0)
	v_cmp_eq_f64_e32 vcc_lo, 0, v[236:237]
	v_cmp_eq_f64_e64 s2, 0, v[238:239]
	s_delay_alu instid0(VALU_DEP_1) | instskip(NEXT) | instid1(SALU_CYCLE_1)
	s_and_b32 s2, vcc_lo, s2
	s_and_saveexec_b32 s3, s2
	s_delay_alu instid0(SALU_CYCLE_1)
	s_xor_b32 s2, exec_lo, s3
; %bb.549:
	v_cmp_ne_u32_e32 vcc_lo, 0, v249
	v_cndmask_b32_e32 v249, 27, v249, vcc_lo
; %bb.550:
	s_and_not1_saveexec_b32 s3, s2
	s_cbranch_execz .LBB116_556
; %bb.551:
	v_cmp_gt_f64_e32 vcc_lo, 0, v[236:237]
	v_cmp_gt_f64_e64 s2, 0, v[238:239]
	v_xor_b32_e32 v212, 0x80000000, v237
	v_xor_b32_e32 v214, 0x80000000, v239
	s_delay_alu instid0(VALU_DEP_2) | instskip(NEXT) | instid1(VALU_DEP_2)
	v_cndmask_b32_e32 v213, v237, v212, vcc_lo
	v_cndmask_b32_e64 v215, v239, v214, s2
	v_cndmask_b32_e32 v212, v236, v236, vcc_lo
	v_cndmask_b32_e64 v214, v238, v238, s2
	s_mov_b32 s2, exec_lo
	s_delay_alu instid0(VALU_DEP_1)
	v_cmpx_ngt_f64_e32 v[212:213], v[214:215]
	s_xor_b32 s2, exec_lo, s2
	s_cbranch_execz .LBB116_553
; %bb.552:
	v_div_scale_f64 v[212:213], null, v[238:239], v[238:239], v[236:237]
	v_div_scale_f64 v[218:219], vcc_lo, v[236:237], v[238:239], v[236:237]
	s_delay_alu instid0(VALU_DEP_2) | instskip(SKIP_2) | instid1(VALU_DEP_1)
	v_rcp_f64_e32 v[214:215], v[212:213]
	s_waitcnt_depctr 0xfff
	v_fma_f64 v[216:217], -v[212:213], v[214:215], 1.0
	v_fma_f64 v[214:215], v[214:215], v[216:217], v[214:215]
	s_delay_alu instid0(VALU_DEP_1) | instskip(NEXT) | instid1(VALU_DEP_1)
	v_fma_f64 v[216:217], -v[212:213], v[214:215], 1.0
	v_fma_f64 v[214:215], v[214:215], v[216:217], v[214:215]
	s_delay_alu instid0(VALU_DEP_1) | instskip(NEXT) | instid1(VALU_DEP_1)
	v_mul_f64 v[216:217], v[218:219], v[214:215]
	v_fma_f64 v[212:213], -v[212:213], v[216:217], v[218:219]
	s_delay_alu instid0(VALU_DEP_1) | instskip(NEXT) | instid1(VALU_DEP_1)
	v_div_fmas_f64 v[212:213], v[212:213], v[214:215], v[216:217]
	v_div_fixup_f64 v[212:213], v[212:213], v[238:239], v[236:237]
	s_delay_alu instid0(VALU_DEP_1) | instskip(NEXT) | instid1(VALU_DEP_1)
	v_fma_f64 v[214:215], v[236:237], v[212:213], v[238:239]
	v_div_scale_f64 v[216:217], null, v[214:215], v[214:215], 1.0
	s_delay_alu instid0(VALU_DEP_1) | instskip(SKIP_2) | instid1(VALU_DEP_1)
	v_rcp_f64_e32 v[218:219], v[216:217]
	s_waitcnt_depctr 0xfff
	v_fma_f64 v[220:221], -v[216:217], v[218:219], 1.0
	v_fma_f64 v[218:219], v[218:219], v[220:221], v[218:219]
	s_delay_alu instid0(VALU_DEP_1) | instskip(NEXT) | instid1(VALU_DEP_1)
	v_fma_f64 v[220:221], -v[216:217], v[218:219], 1.0
	v_fma_f64 v[218:219], v[218:219], v[220:221], v[218:219]
	v_div_scale_f64 v[220:221], vcc_lo, 1.0, v[214:215], 1.0
	s_delay_alu instid0(VALU_DEP_1) | instskip(NEXT) | instid1(VALU_DEP_1)
	v_mul_f64 v[222:223], v[220:221], v[218:219]
	v_fma_f64 v[216:217], -v[216:217], v[222:223], v[220:221]
	s_delay_alu instid0(VALU_DEP_1) | instskip(NEXT) | instid1(VALU_DEP_1)
	v_div_fmas_f64 v[216:217], v[216:217], v[218:219], v[222:223]
	v_div_fixup_f64 v[238:239], v[216:217], v[214:215], 1.0
	s_delay_alu instid0(VALU_DEP_1)
	v_mul_f64 v[236:237], v[212:213], v[238:239]
	v_xor_b32_e32 v239, 0x80000000, v239
.LBB116_553:
	s_and_not1_saveexec_b32 s2, s2
	s_cbranch_execz .LBB116_555
; %bb.554:
	s_delay_alu instid0(VALU_DEP_1) | instskip(SKIP_1) | instid1(VALU_DEP_2)
	v_div_scale_f64 v[212:213], null, v[236:237], v[236:237], v[238:239]
	v_div_scale_f64 v[218:219], vcc_lo, v[238:239], v[236:237], v[238:239]
	v_rcp_f64_e32 v[214:215], v[212:213]
	s_waitcnt_depctr 0xfff
	v_fma_f64 v[216:217], -v[212:213], v[214:215], 1.0
	s_delay_alu instid0(VALU_DEP_1) | instskip(NEXT) | instid1(VALU_DEP_1)
	v_fma_f64 v[214:215], v[214:215], v[216:217], v[214:215]
	v_fma_f64 v[216:217], -v[212:213], v[214:215], 1.0
	s_delay_alu instid0(VALU_DEP_1) | instskip(NEXT) | instid1(VALU_DEP_1)
	v_fma_f64 v[214:215], v[214:215], v[216:217], v[214:215]
	v_mul_f64 v[216:217], v[218:219], v[214:215]
	s_delay_alu instid0(VALU_DEP_1) | instskip(NEXT) | instid1(VALU_DEP_1)
	v_fma_f64 v[212:213], -v[212:213], v[216:217], v[218:219]
	v_div_fmas_f64 v[212:213], v[212:213], v[214:215], v[216:217]
	s_delay_alu instid0(VALU_DEP_1) | instskip(NEXT) | instid1(VALU_DEP_1)
	v_div_fixup_f64 v[212:213], v[212:213], v[236:237], v[238:239]
	v_fma_f64 v[214:215], v[238:239], v[212:213], v[236:237]
	s_delay_alu instid0(VALU_DEP_1) | instskip(NEXT) | instid1(VALU_DEP_1)
	v_div_scale_f64 v[216:217], null, v[214:215], v[214:215], 1.0
	v_rcp_f64_e32 v[218:219], v[216:217]
	s_waitcnt_depctr 0xfff
	v_fma_f64 v[220:221], -v[216:217], v[218:219], 1.0
	s_delay_alu instid0(VALU_DEP_1) | instskip(NEXT) | instid1(VALU_DEP_1)
	v_fma_f64 v[218:219], v[218:219], v[220:221], v[218:219]
	v_fma_f64 v[220:221], -v[216:217], v[218:219], 1.0
	s_delay_alu instid0(VALU_DEP_1) | instskip(SKIP_1) | instid1(VALU_DEP_1)
	v_fma_f64 v[218:219], v[218:219], v[220:221], v[218:219]
	v_div_scale_f64 v[220:221], vcc_lo, 1.0, v[214:215], 1.0
	v_mul_f64 v[222:223], v[220:221], v[218:219]
	s_delay_alu instid0(VALU_DEP_1) | instskip(NEXT) | instid1(VALU_DEP_1)
	v_fma_f64 v[216:217], -v[216:217], v[222:223], v[220:221]
	v_div_fmas_f64 v[216:217], v[216:217], v[218:219], v[222:223]
	s_delay_alu instid0(VALU_DEP_1) | instskip(NEXT) | instid1(VALU_DEP_1)
	v_div_fixup_f64 v[236:237], v[216:217], v[214:215], 1.0
	v_mul_f64 v[238:239], v[212:213], -v[236:237]
.LBB116_555:
	s_or_b32 exec_lo, exec_lo, s2
.LBB116_556:
	s_delay_alu instid0(SALU_CYCLE_1) | instskip(NEXT) | instid1(SALU_CYCLE_1)
	s_or_b32 exec_lo, exec_lo, s3
	s_mov_b32 s2, exec_lo
	v_cmpx_ne_u32_e64 v252, v244
	s_xor_b32 s2, exec_lo, s2
	s_cbranch_execz .LBB116_562
; %bb.557:
	s_mov_b32 s3, exec_lo
	v_cmpx_eq_u32_e32 26, v252
	s_cbranch_execz .LBB116_561
; %bb.558:
	v_cmp_ne_u32_e32 vcc_lo, 26, v244
	s_xor_b32 s4, s5, -1
	s_delay_alu instid0(SALU_CYCLE_1) | instskip(NEXT) | instid1(SALU_CYCLE_1)
	s_and_b32 s6, s4, vcc_lo
	s_and_saveexec_b32 s4, s6
	s_cbranch_execz .LBB116_560
; %bb.559:
	scratch_load_b64 v[208:209], off, off offset:16 ; 8-byte Folded Reload
	v_ashrrev_i32_e32 v245, 31, v244
	s_delay_alu instid0(VALU_DEP_1) | instskip(SKIP_1) | instid1(VALU_DEP_1)
	v_lshlrev_b64 v[212:213], 2, v[244:245]
	s_waitcnt vmcnt(0)
	v_add_co_u32 v212, vcc_lo, v208, v212
	s_delay_alu instid0(VALU_DEP_2)
	v_add_co_ci_u32_e32 v213, vcc_lo, v209, v213, vcc_lo
	s_clause 0x1
	flat_load_b32 v214, v[212:213]
	flat_load_b32 v215, v[208:209] offset:104
	s_waitcnt vmcnt(1) lgkmcnt(1)
	flat_store_b32 v[208:209], v214 offset:104
	s_waitcnt vmcnt(0) lgkmcnt(1)
	flat_store_b32 v[212:213], v215
.LBB116_560:
	s_or_b32 exec_lo, exec_lo, s4
	v_mov_b32_e32 v252, v244
	v_mov_b32_e32 v251, v244
.LBB116_561:
	s_or_b32 exec_lo, exec_lo, s3
.LBB116_562:
	s_and_not1_saveexec_b32 s2, s2
	s_cbranch_execz .LBB116_564
; %bb.563:
	v_mov_b32_e32 v252, 26
	ds_store_2addr_b64 v246, v[124:125], v[126:127] offset0:54 offset1:55
	ds_store_2addr_b64 v246, v[120:121], v[122:123] offset0:56 offset1:57
	;; [unrolled: 1-line block ×32, first 2 shown]
.LBB116_564:
	s_or_b32 exec_lo, exec_lo, s2
	s_delay_alu instid0(SALU_CYCLE_1)
	s_mov_b32 s2, exec_lo
	s_waitcnt lgkmcnt(0)
	s_waitcnt_vscnt null, 0x0
	s_barrier
	buffer_gl0_inv
	v_cmpx_lt_i32_e32 26, v252
	s_cbranch_execz .LBB116_566
; %bb.565:
	v_mul_f64 v[212:213], v[238:239], v[130:131]
	v_mul_f64 v[130:131], v[236:237], v[130:131]
	s_delay_alu instid0(VALU_DEP_2) | instskip(NEXT) | instid1(VALU_DEP_2)
	v_fma_f64 v[244:245], v[236:237], v[128:129], -v[212:213]
	v_fma_f64 v[130:131], v[238:239], v[128:129], v[130:131]
	ds_load_2addr_b64 v[236:239], v246 offset0:54 offset1:55
	s_waitcnt lgkmcnt(0)
	v_mul_f64 v[128:129], v[238:239], v[130:131]
	v_mul_f64 v[212:213], v[236:237], v[130:131]
	s_delay_alu instid0(VALU_DEP_2) | instskip(NEXT) | instid1(VALU_DEP_2)
	v_fma_f64 v[128:129], v[236:237], v[244:245], -v[128:129]
	v_fma_f64 v[212:213], v[238:239], v[244:245], v[212:213]
	ds_load_2addr_b64 v[236:239], v246 offset0:56 offset1:57
	v_add_f64 v[124:125], v[124:125], -v[128:129]
	v_add_f64 v[126:127], v[126:127], -v[212:213]
	s_waitcnt lgkmcnt(0)
	v_mul_f64 v[128:129], v[238:239], v[130:131]
	v_mul_f64 v[212:213], v[236:237], v[130:131]
	s_delay_alu instid0(VALU_DEP_2) | instskip(NEXT) | instid1(VALU_DEP_2)
	v_fma_f64 v[128:129], v[236:237], v[244:245], -v[128:129]
	v_fma_f64 v[212:213], v[238:239], v[244:245], v[212:213]
	ds_load_2addr_b64 v[236:239], v246 offset0:58 offset1:59
	v_add_f64 v[120:121], v[120:121], -v[128:129]
	v_add_f64 v[122:123], v[122:123], -v[212:213]
	s_waitcnt lgkmcnt(0)
	v_mul_f64 v[128:129], v[238:239], v[130:131]
	v_mul_f64 v[212:213], v[236:237], v[130:131]
	s_delay_alu instid0(VALU_DEP_2) | instskip(NEXT) | instid1(VALU_DEP_2)
	v_fma_f64 v[128:129], v[236:237], v[244:245], -v[128:129]
	v_fma_f64 v[212:213], v[238:239], v[244:245], v[212:213]
	ds_load_2addr_b64 v[236:239], v246 offset0:60 offset1:61
	v_add_f64 v[116:117], v[116:117], -v[128:129]
	v_add_f64 v[118:119], v[118:119], -v[212:213]
	s_waitcnt lgkmcnt(0)
	v_mul_f64 v[128:129], v[238:239], v[130:131]
	v_mul_f64 v[212:213], v[236:237], v[130:131]
	s_delay_alu instid0(VALU_DEP_2) | instskip(NEXT) | instid1(VALU_DEP_2)
	v_fma_f64 v[128:129], v[236:237], v[244:245], -v[128:129]
	v_fma_f64 v[212:213], v[238:239], v[244:245], v[212:213]
	ds_load_2addr_b64 v[236:239], v246 offset0:62 offset1:63
	v_add_f64 v[112:113], v[112:113], -v[128:129]
	v_add_f64 v[114:115], v[114:115], -v[212:213]
	s_waitcnt lgkmcnt(0)
	v_mul_f64 v[128:129], v[238:239], v[130:131]
	v_mul_f64 v[212:213], v[236:237], v[130:131]
	s_delay_alu instid0(VALU_DEP_2) | instskip(NEXT) | instid1(VALU_DEP_2)
	v_fma_f64 v[128:129], v[236:237], v[244:245], -v[128:129]
	v_fma_f64 v[212:213], v[238:239], v[244:245], v[212:213]
	ds_load_2addr_b64 v[236:239], v246 offset0:64 offset1:65
	v_add_f64 v[108:109], v[108:109], -v[128:129]
	v_add_f64 v[110:111], v[110:111], -v[212:213]
	s_waitcnt lgkmcnt(0)
	v_mul_f64 v[128:129], v[238:239], v[130:131]
	v_mul_f64 v[212:213], v[236:237], v[130:131]
	s_delay_alu instid0(VALU_DEP_2) | instskip(NEXT) | instid1(VALU_DEP_2)
	v_fma_f64 v[128:129], v[236:237], v[244:245], -v[128:129]
	v_fma_f64 v[212:213], v[238:239], v[244:245], v[212:213]
	ds_load_2addr_b64 v[236:239], v246 offset0:66 offset1:67
	v_add_f64 v[104:105], v[104:105], -v[128:129]
	v_add_f64 v[106:107], v[106:107], -v[212:213]
	s_waitcnt lgkmcnt(0)
	v_mul_f64 v[128:129], v[238:239], v[130:131]
	v_mul_f64 v[212:213], v[236:237], v[130:131]
	s_delay_alu instid0(VALU_DEP_2) | instskip(NEXT) | instid1(VALU_DEP_2)
	v_fma_f64 v[128:129], v[236:237], v[244:245], -v[128:129]
	v_fma_f64 v[212:213], v[238:239], v[244:245], v[212:213]
	ds_load_2addr_b64 v[236:239], v246 offset0:68 offset1:69
	v_add_f64 v[100:101], v[100:101], -v[128:129]
	v_add_f64 v[102:103], v[102:103], -v[212:213]
	s_waitcnt lgkmcnt(0)
	v_mul_f64 v[128:129], v[238:239], v[130:131]
	v_mul_f64 v[212:213], v[236:237], v[130:131]
	s_delay_alu instid0(VALU_DEP_2) | instskip(NEXT) | instid1(VALU_DEP_2)
	v_fma_f64 v[128:129], v[236:237], v[244:245], -v[128:129]
	v_fma_f64 v[212:213], v[238:239], v[244:245], v[212:213]
	ds_load_2addr_b64 v[236:239], v246 offset0:70 offset1:71
	v_add_f64 v[96:97], v[96:97], -v[128:129]
	v_add_f64 v[98:99], v[98:99], -v[212:213]
	s_waitcnt lgkmcnt(0)
	v_mul_f64 v[128:129], v[238:239], v[130:131]
	v_mul_f64 v[212:213], v[236:237], v[130:131]
	s_delay_alu instid0(VALU_DEP_2) | instskip(NEXT) | instid1(VALU_DEP_2)
	v_fma_f64 v[128:129], v[236:237], v[244:245], -v[128:129]
	v_fma_f64 v[212:213], v[238:239], v[244:245], v[212:213]
	ds_load_2addr_b64 v[236:239], v246 offset0:72 offset1:73
	v_add_f64 v[92:93], v[92:93], -v[128:129]
	v_add_f64 v[94:95], v[94:95], -v[212:213]
	s_waitcnt lgkmcnt(0)
	v_mul_f64 v[128:129], v[238:239], v[130:131]
	v_mul_f64 v[212:213], v[236:237], v[130:131]
	s_delay_alu instid0(VALU_DEP_2) | instskip(NEXT) | instid1(VALU_DEP_2)
	v_fma_f64 v[128:129], v[236:237], v[244:245], -v[128:129]
	v_fma_f64 v[212:213], v[238:239], v[244:245], v[212:213]
	ds_load_2addr_b64 v[236:239], v246 offset0:74 offset1:75
	v_add_f64 v[88:89], v[88:89], -v[128:129]
	v_add_f64 v[90:91], v[90:91], -v[212:213]
	s_waitcnt lgkmcnt(0)
	v_mul_f64 v[128:129], v[238:239], v[130:131]
	v_mul_f64 v[212:213], v[236:237], v[130:131]
	s_delay_alu instid0(VALU_DEP_2) | instskip(NEXT) | instid1(VALU_DEP_2)
	v_fma_f64 v[128:129], v[236:237], v[244:245], -v[128:129]
	v_fma_f64 v[212:213], v[238:239], v[244:245], v[212:213]
	ds_load_2addr_b64 v[236:239], v246 offset0:76 offset1:77
	v_add_f64 v[84:85], v[84:85], -v[128:129]
	v_add_f64 v[86:87], v[86:87], -v[212:213]
	s_waitcnt lgkmcnt(0)
	v_mul_f64 v[128:129], v[238:239], v[130:131]
	v_mul_f64 v[212:213], v[236:237], v[130:131]
	s_delay_alu instid0(VALU_DEP_2) | instskip(NEXT) | instid1(VALU_DEP_2)
	v_fma_f64 v[128:129], v[236:237], v[244:245], -v[128:129]
	v_fma_f64 v[212:213], v[238:239], v[244:245], v[212:213]
	ds_load_2addr_b64 v[236:239], v246 offset0:78 offset1:79
	v_add_f64 v[80:81], v[80:81], -v[128:129]
	v_add_f64 v[82:83], v[82:83], -v[212:213]
	s_waitcnt lgkmcnt(0)
	v_mul_f64 v[128:129], v[238:239], v[130:131]
	v_mul_f64 v[212:213], v[236:237], v[130:131]
	s_delay_alu instid0(VALU_DEP_2) | instskip(NEXT) | instid1(VALU_DEP_2)
	v_fma_f64 v[128:129], v[236:237], v[244:245], -v[128:129]
	v_fma_f64 v[212:213], v[238:239], v[244:245], v[212:213]
	ds_load_2addr_b64 v[236:239], v246 offset0:80 offset1:81
	v_add_f64 v[76:77], v[76:77], -v[128:129]
	v_add_f64 v[78:79], v[78:79], -v[212:213]
	s_waitcnt lgkmcnt(0)
	v_mul_f64 v[128:129], v[238:239], v[130:131]
	v_mul_f64 v[212:213], v[236:237], v[130:131]
	s_delay_alu instid0(VALU_DEP_2) | instskip(NEXT) | instid1(VALU_DEP_2)
	v_fma_f64 v[128:129], v[236:237], v[244:245], -v[128:129]
	v_fma_f64 v[212:213], v[238:239], v[244:245], v[212:213]
	ds_load_2addr_b64 v[236:239], v246 offset0:82 offset1:83
	v_add_f64 v[72:73], v[72:73], -v[128:129]
	v_add_f64 v[74:75], v[74:75], -v[212:213]
	s_waitcnt lgkmcnt(0)
	v_mul_f64 v[128:129], v[238:239], v[130:131]
	v_mul_f64 v[212:213], v[236:237], v[130:131]
	s_delay_alu instid0(VALU_DEP_2) | instskip(NEXT) | instid1(VALU_DEP_2)
	v_fma_f64 v[128:129], v[236:237], v[244:245], -v[128:129]
	v_fma_f64 v[212:213], v[238:239], v[244:245], v[212:213]
	ds_load_2addr_b64 v[236:239], v246 offset0:84 offset1:85
	v_add_f64 v[68:69], v[68:69], -v[128:129]
	v_add_f64 v[70:71], v[70:71], -v[212:213]
	s_waitcnt lgkmcnt(0)
	v_mul_f64 v[128:129], v[238:239], v[130:131]
	v_mul_f64 v[212:213], v[236:237], v[130:131]
	s_delay_alu instid0(VALU_DEP_2) | instskip(NEXT) | instid1(VALU_DEP_2)
	v_fma_f64 v[128:129], v[236:237], v[244:245], -v[128:129]
	v_fma_f64 v[212:213], v[238:239], v[244:245], v[212:213]
	ds_load_2addr_b64 v[236:239], v246 offset0:86 offset1:87
	v_add_f64 v[64:65], v[64:65], -v[128:129]
	v_add_f64 v[66:67], v[66:67], -v[212:213]
	s_waitcnt lgkmcnt(0)
	v_mul_f64 v[128:129], v[238:239], v[130:131]
	v_mul_f64 v[212:213], v[236:237], v[130:131]
	s_delay_alu instid0(VALU_DEP_2) | instskip(NEXT) | instid1(VALU_DEP_2)
	v_fma_f64 v[128:129], v[236:237], v[244:245], -v[128:129]
	v_fma_f64 v[212:213], v[238:239], v[244:245], v[212:213]
	ds_load_2addr_b64 v[236:239], v246 offset0:88 offset1:89
	v_add_f64 v[60:61], v[60:61], -v[128:129]
	v_add_f64 v[62:63], v[62:63], -v[212:213]
	s_waitcnt lgkmcnt(0)
	v_mul_f64 v[128:129], v[238:239], v[130:131]
	v_mul_f64 v[212:213], v[236:237], v[130:131]
	s_delay_alu instid0(VALU_DEP_2) | instskip(NEXT) | instid1(VALU_DEP_2)
	v_fma_f64 v[128:129], v[236:237], v[244:245], -v[128:129]
	v_fma_f64 v[212:213], v[238:239], v[244:245], v[212:213]
	ds_load_2addr_b64 v[236:239], v246 offset0:90 offset1:91
	v_add_f64 v[56:57], v[56:57], -v[128:129]
	v_add_f64 v[58:59], v[58:59], -v[212:213]
	s_waitcnt lgkmcnt(0)
	v_mul_f64 v[128:129], v[238:239], v[130:131]
	v_mul_f64 v[212:213], v[236:237], v[130:131]
	s_delay_alu instid0(VALU_DEP_2) | instskip(NEXT) | instid1(VALU_DEP_2)
	v_fma_f64 v[128:129], v[236:237], v[244:245], -v[128:129]
	v_fma_f64 v[212:213], v[238:239], v[244:245], v[212:213]
	ds_load_2addr_b64 v[236:239], v246 offset0:92 offset1:93
	v_add_f64 v[52:53], v[52:53], -v[128:129]
	v_add_f64 v[54:55], v[54:55], -v[212:213]
	s_waitcnt lgkmcnt(0)
	v_mul_f64 v[128:129], v[238:239], v[130:131]
	v_mul_f64 v[212:213], v[236:237], v[130:131]
	s_delay_alu instid0(VALU_DEP_2) | instskip(NEXT) | instid1(VALU_DEP_2)
	v_fma_f64 v[128:129], v[236:237], v[244:245], -v[128:129]
	v_fma_f64 v[212:213], v[238:239], v[244:245], v[212:213]
	ds_load_2addr_b64 v[236:239], v246 offset0:94 offset1:95
	v_add_f64 v[48:49], v[48:49], -v[128:129]
	v_add_f64 v[50:51], v[50:51], -v[212:213]
	s_waitcnt lgkmcnt(0)
	v_mul_f64 v[128:129], v[238:239], v[130:131]
	v_mul_f64 v[212:213], v[236:237], v[130:131]
	s_delay_alu instid0(VALU_DEP_2) | instskip(NEXT) | instid1(VALU_DEP_2)
	v_fma_f64 v[128:129], v[236:237], v[244:245], -v[128:129]
	v_fma_f64 v[212:213], v[238:239], v[244:245], v[212:213]
	ds_load_2addr_b64 v[236:239], v246 offset0:96 offset1:97
	v_add_f64 v[44:45], v[44:45], -v[128:129]
	v_add_f64 v[46:47], v[46:47], -v[212:213]
	s_waitcnt lgkmcnt(0)
	v_mul_f64 v[128:129], v[238:239], v[130:131]
	v_mul_f64 v[212:213], v[236:237], v[130:131]
	s_delay_alu instid0(VALU_DEP_2) | instskip(NEXT) | instid1(VALU_DEP_2)
	v_fma_f64 v[128:129], v[236:237], v[244:245], -v[128:129]
	v_fma_f64 v[212:213], v[238:239], v[244:245], v[212:213]
	ds_load_2addr_b64 v[236:239], v246 offset0:98 offset1:99
	v_add_f64 v[40:41], v[40:41], -v[128:129]
	v_add_f64 v[42:43], v[42:43], -v[212:213]
	s_waitcnt lgkmcnt(0)
	v_mul_f64 v[128:129], v[238:239], v[130:131]
	v_mul_f64 v[212:213], v[236:237], v[130:131]
	s_delay_alu instid0(VALU_DEP_2) | instskip(NEXT) | instid1(VALU_DEP_2)
	v_fma_f64 v[128:129], v[236:237], v[244:245], -v[128:129]
	v_fma_f64 v[212:213], v[238:239], v[244:245], v[212:213]
	ds_load_2addr_b64 v[236:239], v246 offset0:100 offset1:101
	v_add_f64 v[36:37], v[36:37], -v[128:129]
	v_add_f64 v[38:39], v[38:39], -v[212:213]
	s_waitcnt lgkmcnt(0)
	v_mul_f64 v[128:129], v[238:239], v[130:131]
	v_mul_f64 v[212:213], v[236:237], v[130:131]
	s_delay_alu instid0(VALU_DEP_2) | instskip(NEXT) | instid1(VALU_DEP_2)
	v_fma_f64 v[128:129], v[236:237], v[244:245], -v[128:129]
	v_fma_f64 v[212:213], v[238:239], v[244:245], v[212:213]
	ds_load_2addr_b64 v[236:239], v246 offset0:102 offset1:103
	v_add_f64 v[32:33], v[32:33], -v[128:129]
	v_add_f64 v[34:35], v[34:35], -v[212:213]
	s_waitcnt lgkmcnt(0)
	v_mul_f64 v[128:129], v[238:239], v[130:131]
	v_mul_f64 v[212:213], v[236:237], v[130:131]
	s_delay_alu instid0(VALU_DEP_2) | instskip(NEXT) | instid1(VALU_DEP_2)
	v_fma_f64 v[128:129], v[236:237], v[244:245], -v[128:129]
	v_fma_f64 v[212:213], v[238:239], v[244:245], v[212:213]
	ds_load_2addr_b64 v[236:239], v246 offset0:104 offset1:105
	v_add_f64 v[28:29], v[28:29], -v[128:129]
	v_add_f64 v[30:31], v[30:31], -v[212:213]
	s_waitcnt lgkmcnt(0)
	v_mul_f64 v[128:129], v[238:239], v[130:131]
	v_mul_f64 v[212:213], v[236:237], v[130:131]
	s_delay_alu instid0(VALU_DEP_2) | instskip(NEXT) | instid1(VALU_DEP_2)
	v_fma_f64 v[128:129], v[236:237], v[244:245], -v[128:129]
	v_fma_f64 v[212:213], v[238:239], v[244:245], v[212:213]
	ds_load_2addr_b64 v[236:239], v246 offset0:106 offset1:107
	v_add_f64 v[24:25], v[24:25], -v[128:129]
	v_add_f64 v[26:27], v[26:27], -v[212:213]
	s_waitcnt lgkmcnt(0)
	v_mul_f64 v[128:129], v[238:239], v[130:131]
	v_mul_f64 v[212:213], v[236:237], v[130:131]
	s_delay_alu instid0(VALU_DEP_2) | instskip(NEXT) | instid1(VALU_DEP_2)
	v_fma_f64 v[128:129], v[236:237], v[244:245], -v[128:129]
	v_fma_f64 v[212:213], v[238:239], v[244:245], v[212:213]
	ds_load_2addr_b64 v[236:239], v246 offset0:108 offset1:109
	v_add_f64 v[20:21], v[20:21], -v[128:129]
	v_add_f64 v[22:23], v[22:23], -v[212:213]
	s_waitcnt lgkmcnt(0)
	v_mul_f64 v[128:129], v[238:239], v[130:131]
	v_mul_f64 v[212:213], v[236:237], v[130:131]
	s_delay_alu instid0(VALU_DEP_2) | instskip(NEXT) | instid1(VALU_DEP_2)
	v_fma_f64 v[128:129], v[236:237], v[244:245], -v[128:129]
	v_fma_f64 v[212:213], v[238:239], v[244:245], v[212:213]
	ds_load_2addr_b64 v[236:239], v246 offset0:110 offset1:111
	v_add_f64 v[16:17], v[16:17], -v[128:129]
	v_add_f64 v[18:19], v[18:19], -v[212:213]
	s_waitcnt lgkmcnt(0)
	v_mul_f64 v[128:129], v[238:239], v[130:131]
	v_mul_f64 v[212:213], v[236:237], v[130:131]
	s_delay_alu instid0(VALU_DEP_2) | instskip(NEXT) | instid1(VALU_DEP_2)
	v_fma_f64 v[128:129], v[236:237], v[244:245], -v[128:129]
	v_fma_f64 v[212:213], v[238:239], v[244:245], v[212:213]
	ds_load_2addr_b64 v[236:239], v246 offset0:112 offset1:113
	v_add_f64 v[12:13], v[12:13], -v[128:129]
	v_add_f64 v[14:15], v[14:15], -v[212:213]
	s_waitcnt lgkmcnt(0)
	v_mul_f64 v[128:129], v[238:239], v[130:131]
	v_mul_f64 v[212:213], v[236:237], v[130:131]
	s_delay_alu instid0(VALU_DEP_2) | instskip(NEXT) | instid1(VALU_DEP_2)
	v_fma_f64 v[128:129], v[236:237], v[244:245], -v[128:129]
	v_fma_f64 v[212:213], v[238:239], v[244:245], v[212:213]
	ds_load_2addr_b64 v[236:239], v246 offset0:114 offset1:115
	v_add_f64 v[230:231], v[230:231], -v[128:129]
	v_add_f64 v[232:233], v[232:233], -v[212:213]
	s_waitcnt lgkmcnt(0)
	v_mul_f64 v[128:129], v[238:239], v[130:131]
	v_mul_f64 v[212:213], v[236:237], v[130:131]
	s_delay_alu instid0(VALU_DEP_2) | instskip(NEXT) | instid1(VALU_DEP_2)
	v_fma_f64 v[128:129], v[236:237], v[244:245], -v[128:129]
	v_fma_f64 v[212:213], v[238:239], v[244:245], v[212:213]
	ds_load_2addr_b64 v[236:239], v246 offset0:116 offset1:117
	v_add_f64 v[4:5], v[4:5], -v[128:129]
	v_add_f64 v[6:7], v[6:7], -v[212:213]
	s_waitcnt lgkmcnt(0)
	v_mul_f64 v[128:129], v[238:239], v[130:131]
	v_mul_f64 v[212:213], v[236:237], v[130:131]
	s_delay_alu instid0(VALU_DEP_2) | instskip(NEXT) | instid1(VALU_DEP_2)
	v_fma_f64 v[128:129], v[236:237], v[244:245], -v[128:129]
	v_fma_f64 v[212:213], v[238:239], v[244:245], v[212:213]
	s_delay_alu instid0(VALU_DEP_2) | instskip(NEXT) | instid1(VALU_DEP_2)
	v_add_f64 v[224:225], v[224:225], -v[128:129]
	v_add_f64 v[226:227], v[226:227], -v[212:213]
	v_dual_mov_b32 v128, v244 :: v_dual_mov_b32 v129, v245
.LBB116_566:
	s_or_b32 exec_lo, exec_lo, s2
	v_lshl_add_u32 v212, v252, 4, v246
	s_barrier
	buffer_gl0_inv
	v_mov_b32_e32 v244, 27
	ds_store_2addr_b64 v212, v[124:125], v[126:127] offset1:1
	s_waitcnt lgkmcnt(0)
	s_barrier
	buffer_gl0_inv
	ds_load_2addr_b64 v[236:239], v246 offset0:54 offset1:55
	s_cmp_lt_i32 s12, 29
	s_cbranch_scc1 .LBB116_569
; %bb.567:
	v_add3_u32 v245, v234, 0, 0x1c0
	v_mov_b32_e32 v244, 27
	s_mov_b32 s2, 28
	s_set_inst_prefetch_distance 0x1
	.p2align	6
.LBB116_568:                            ; =>This Inner Loop Header: Depth=1
	s_waitcnt lgkmcnt(0)
	v_cmp_gt_f64_e32 vcc_lo, 0, v[236:237]
	v_xor_b32_e32 v212, 0x80000000, v237
	v_xor_b32_e32 v214, 0x80000000, v239
	ds_load_2addr_b64 v[240:243], v245 offset1:1
	v_add_nc_u32_e32 v245, 16, v245
	s_waitcnt lgkmcnt(0)
	v_xor_b32_e32 v216, 0x80000000, v243
	v_cndmask_b32_e32 v213, v237, v212, vcc_lo
	v_cndmask_b32_e32 v212, v236, v236, vcc_lo
	v_cmp_gt_f64_e32 vcc_lo, 0, v[238:239]
	v_cndmask_b32_e32 v215, v239, v214, vcc_lo
	v_cndmask_b32_e32 v214, v238, v238, vcc_lo
	v_cmp_gt_f64_e32 vcc_lo, 0, v[240:241]
	s_delay_alu instid0(VALU_DEP_2) | instskip(SKIP_1) | instid1(VALU_DEP_1)
	v_add_f64 v[212:213], v[212:213], v[214:215]
	v_xor_b32_e32 v214, 0x80000000, v241
	v_dual_cndmask_b32 v215, v241, v214 :: v_dual_mov_b32 v214, v240
	v_cmp_gt_f64_e32 vcc_lo, 0, v[242:243]
	v_dual_cndmask_b32 v217, v243, v216 :: v_dual_mov_b32 v216, v242
	s_delay_alu instid0(VALU_DEP_1) | instskip(NEXT) | instid1(VALU_DEP_1)
	v_add_f64 v[214:215], v[214:215], v[216:217]
	v_cmp_lt_f64_e32 vcc_lo, v[212:213], v[214:215]
	v_dual_cndmask_b32 v237, v237, v241 :: v_dual_cndmask_b32 v236, v236, v240
	v_dual_cndmask_b32 v239, v239, v243 :: v_dual_cndmask_b32 v238, v238, v242
	v_cndmask_b32_e64 v244, v244, s2, vcc_lo
	s_add_i32 s2, s2, 1
	s_delay_alu instid0(SALU_CYCLE_1)
	s_cmp_lg_u32 s12, s2
	s_cbranch_scc1 .LBB116_568
.LBB116_569:
	s_set_inst_prefetch_distance 0x2
	s_waitcnt lgkmcnt(0)
	v_cmp_eq_f64_e32 vcc_lo, 0, v[236:237]
	v_cmp_eq_f64_e64 s2, 0, v[238:239]
	s_delay_alu instid0(VALU_DEP_1) | instskip(NEXT) | instid1(SALU_CYCLE_1)
	s_and_b32 s2, vcc_lo, s2
	s_and_saveexec_b32 s3, s2
	s_delay_alu instid0(SALU_CYCLE_1)
	s_xor_b32 s2, exec_lo, s3
; %bb.570:
	v_cmp_ne_u32_e32 vcc_lo, 0, v249
	v_cndmask_b32_e32 v249, 28, v249, vcc_lo
; %bb.571:
	s_and_not1_saveexec_b32 s3, s2
	s_cbranch_execz .LBB116_577
; %bb.572:
	v_cmp_gt_f64_e32 vcc_lo, 0, v[236:237]
	v_cmp_gt_f64_e64 s2, 0, v[238:239]
	v_xor_b32_e32 v212, 0x80000000, v237
	v_xor_b32_e32 v214, 0x80000000, v239
	s_delay_alu instid0(VALU_DEP_2) | instskip(NEXT) | instid1(VALU_DEP_2)
	v_cndmask_b32_e32 v213, v237, v212, vcc_lo
	v_cndmask_b32_e64 v215, v239, v214, s2
	v_cndmask_b32_e32 v212, v236, v236, vcc_lo
	v_cndmask_b32_e64 v214, v238, v238, s2
	s_mov_b32 s2, exec_lo
	s_delay_alu instid0(VALU_DEP_1)
	v_cmpx_ngt_f64_e32 v[212:213], v[214:215]
	s_xor_b32 s2, exec_lo, s2
	s_cbranch_execz .LBB116_574
; %bb.573:
	v_div_scale_f64 v[212:213], null, v[238:239], v[238:239], v[236:237]
	v_div_scale_f64 v[218:219], vcc_lo, v[236:237], v[238:239], v[236:237]
	s_delay_alu instid0(VALU_DEP_2) | instskip(SKIP_2) | instid1(VALU_DEP_1)
	v_rcp_f64_e32 v[214:215], v[212:213]
	s_waitcnt_depctr 0xfff
	v_fma_f64 v[216:217], -v[212:213], v[214:215], 1.0
	v_fma_f64 v[214:215], v[214:215], v[216:217], v[214:215]
	s_delay_alu instid0(VALU_DEP_1) | instskip(NEXT) | instid1(VALU_DEP_1)
	v_fma_f64 v[216:217], -v[212:213], v[214:215], 1.0
	v_fma_f64 v[214:215], v[214:215], v[216:217], v[214:215]
	s_delay_alu instid0(VALU_DEP_1) | instskip(NEXT) | instid1(VALU_DEP_1)
	v_mul_f64 v[216:217], v[218:219], v[214:215]
	v_fma_f64 v[212:213], -v[212:213], v[216:217], v[218:219]
	s_delay_alu instid0(VALU_DEP_1) | instskip(NEXT) | instid1(VALU_DEP_1)
	v_div_fmas_f64 v[212:213], v[212:213], v[214:215], v[216:217]
	v_div_fixup_f64 v[212:213], v[212:213], v[238:239], v[236:237]
	s_delay_alu instid0(VALU_DEP_1) | instskip(NEXT) | instid1(VALU_DEP_1)
	v_fma_f64 v[214:215], v[236:237], v[212:213], v[238:239]
	v_div_scale_f64 v[216:217], null, v[214:215], v[214:215], 1.0
	s_delay_alu instid0(VALU_DEP_1) | instskip(SKIP_2) | instid1(VALU_DEP_1)
	v_rcp_f64_e32 v[218:219], v[216:217]
	s_waitcnt_depctr 0xfff
	v_fma_f64 v[220:221], -v[216:217], v[218:219], 1.0
	v_fma_f64 v[218:219], v[218:219], v[220:221], v[218:219]
	s_delay_alu instid0(VALU_DEP_1) | instskip(NEXT) | instid1(VALU_DEP_1)
	v_fma_f64 v[220:221], -v[216:217], v[218:219], 1.0
	v_fma_f64 v[218:219], v[218:219], v[220:221], v[218:219]
	v_div_scale_f64 v[220:221], vcc_lo, 1.0, v[214:215], 1.0
	s_delay_alu instid0(VALU_DEP_1) | instskip(NEXT) | instid1(VALU_DEP_1)
	v_mul_f64 v[222:223], v[220:221], v[218:219]
	v_fma_f64 v[216:217], -v[216:217], v[222:223], v[220:221]
	s_delay_alu instid0(VALU_DEP_1) | instskip(NEXT) | instid1(VALU_DEP_1)
	v_div_fmas_f64 v[216:217], v[216:217], v[218:219], v[222:223]
	v_div_fixup_f64 v[238:239], v[216:217], v[214:215], 1.0
	s_delay_alu instid0(VALU_DEP_1)
	v_mul_f64 v[236:237], v[212:213], v[238:239]
	v_xor_b32_e32 v239, 0x80000000, v239
.LBB116_574:
	s_and_not1_saveexec_b32 s2, s2
	s_cbranch_execz .LBB116_576
; %bb.575:
	s_delay_alu instid0(VALU_DEP_1) | instskip(SKIP_1) | instid1(VALU_DEP_2)
	v_div_scale_f64 v[212:213], null, v[236:237], v[236:237], v[238:239]
	v_div_scale_f64 v[218:219], vcc_lo, v[238:239], v[236:237], v[238:239]
	v_rcp_f64_e32 v[214:215], v[212:213]
	s_waitcnt_depctr 0xfff
	v_fma_f64 v[216:217], -v[212:213], v[214:215], 1.0
	s_delay_alu instid0(VALU_DEP_1) | instskip(NEXT) | instid1(VALU_DEP_1)
	v_fma_f64 v[214:215], v[214:215], v[216:217], v[214:215]
	v_fma_f64 v[216:217], -v[212:213], v[214:215], 1.0
	s_delay_alu instid0(VALU_DEP_1) | instskip(NEXT) | instid1(VALU_DEP_1)
	v_fma_f64 v[214:215], v[214:215], v[216:217], v[214:215]
	v_mul_f64 v[216:217], v[218:219], v[214:215]
	s_delay_alu instid0(VALU_DEP_1) | instskip(NEXT) | instid1(VALU_DEP_1)
	v_fma_f64 v[212:213], -v[212:213], v[216:217], v[218:219]
	v_div_fmas_f64 v[212:213], v[212:213], v[214:215], v[216:217]
	s_delay_alu instid0(VALU_DEP_1) | instskip(NEXT) | instid1(VALU_DEP_1)
	v_div_fixup_f64 v[212:213], v[212:213], v[236:237], v[238:239]
	v_fma_f64 v[214:215], v[238:239], v[212:213], v[236:237]
	s_delay_alu instid0(VALU_DEP_1) | instskip(NEXT) | instid1(VALU_DEP_1)
	v_div_scale_f64 v[216:217], null, v[214:215], v[214:215], 1.0
	v_rcp_f64_e32 v[218:219], v[216:217]
	s_waitcnt_depctr 0xfff
	v_fma_f64 v[220:221], -v[216:217], v[218:219], 1.0
	s_delay_alu instid0(VALU_DEP_1) | instskip(NEXT) | instid1(VALU_DEP_1)
	v_fma_f64 v[218:219], v[218:219], v[220:221], v[218:219]
	v_fma_f64 v[220:221], -v[216:217], v[218:219], 1.0
	s_delay_alu instid0(VALU_DEP_1) | instskip(SKIP_1) | instid1(VALU_DEP_1)
	v_fma_f64 v[218:219], v[218:219], v[220:221], v[218:219]
	v_div_scale_f64 v[220:221], vcc_lo, 1.0, v[214:215], 1.0
	v_mul_f64 v[222:223], v[220:221], v[218:219]
	s_delay_alu instid0(VALU_DEP_1) | instskip(NEXT) | instid1(VALU_DEP_1)
	v_fma_f64 v[216:217], -v[216:217], v[222:223], v[220:221]
	v_div_fmas_f64 v[216:217], v[216:217], v[218:219], v[222:223]
	s_delay_alu instid0(VALU_DEP_1) | instskip(NEXT) | instid1(VALU_DEP_1)
	v_div_fixup_f64 v[236:237], v[216:217], v[214:215], 1.0
	v_mul_f64 v[238:239], v[212:213], -v[236:237]
.LBB116_576:
	s_or_b32 exec_lo, exec_lo, s2
.LBB116_577:
	s_delay_alu instid0(SALU_CYCLE_1) | instskip(NEXT) | instid1(SALU_CYCLE_1)
	s_or_b32 exec_lo, exec_lo, s3
	s_mov_b32 s2, exec_lo
	v_cmpx_ne_u32_e64 v252, v244
	s_xor_b32 s2, exec_lo, s2
	s_cbranch_execz .LBB116_583
; %bb.578:
	s_mov_b32 s3, exec_lo
	v_cmpx_eq_u32_e32 27, v252
	s_cbranch_execz .LBB116_582
; %bb.579:
	v_cmp_ne_u32_e32 vcc_lo, 27, v244
	s_xor_b32 s4, s5, -1
	s_delay_alu instid0(SALU_CYCLE_1) | instskip(NEXT) | instid1(SALU_CYCLE_1)
	s_and_b32 s6, s4, vcc_lo
	s_and_saveexec_b32 s4, s6
	s_cbranch_execz .LBB116_581
; %bb.580:
	scratch_load_b64 v[208:209], off, off offset:16 ; 8-byte Folded Reload
	v_ashrrev_i32_e32 v245, 31, v244
	s_delay_alu instid0(VALU_DEP_1) | instskip(SKIP_1) | instid1(VALU_DEP_1)
	v_lshlrev_b64 v[212:213], 2, v[244:245]
	s_waitcnt vmcnt(0)
	v_add_co_u32 v212, vcc_lo, v208, v212
	s_delay_alu instid0(VALU_DEP_2)
	v_add_co_ci_u32_e32 v213, vcc_lo, v209, v213, vcc_lo
	s_clause 0x1
	flat_load_b32 v214, v[212:213]
	flat_load_b32 v215, v[208:209] offset:108
	s_waitcnt vmcnt(1) lgkmcnt(1)
	flat_store_b32 v[208:209], v214 offset:108
	s_waitcnt vmcnt(0) lgkmcnt(1)
	flat_store_b32 v[212:213], v215
.LBB116_581:
	s_or_b32 exec_lo, exec_lo, s4
	v_mov_b32_e32 v252, v244
	v_mov_b32_e32 v251, v244
.LBB116_582:
	s_or_b32 exec_lo, exec_lo, s3
.LBB116_583:
	s_and_not1_saveexec_b32 s2, s2
	s_cbranch_execz .LBB116_585
; %bb.584:
	v_mov_b32_e32 v252, 27
	ds_store_2addr_b64 v246, v[120:121], v[122:123] offset0:56 offset1:57
	ds_store_2addr_b64 v246, v[116:117], v[118:119] offset0:58 offset1:59
	;; [unrolled: 1-line block ×31, first 2 shown]
.LBB116_585:
	s_or_b32 exec_lo, exec_lo, s2
	s_delay_alu instid0(SALU_CYCLE_1)
	s_mov_b32 s2, exec_lo
	s_waitcnt lgkmcnt(0)
	s_waitcnt_vscnt null, 0x0
	s_barrier
	buffer_gl0_inv
	v_cmpx_lt_i32_e32 27, v252
	s_cbranch_execz .LBB116_587
; %bb.586:
	v_mul_f64 v[212:213], v[238:239], v[126:127]
	v_mul_f64 v[126:127], v[236:237], v[126:127]
	s_delay_alu instid0(VALU_DEP_2) | instskip(NEXT) | instid1(VALU_DEP_2)
	v_fma_f64 v[244:245], v[236:237], v[124:125], -v[212:213]
	v_fma_f64 v[126:127], v[238:239], v[124:125], v[126:127]
	ds_load_2addr_b64 v[236:239], v246 offset0:56 offset1:57
	s_waitcnt lgkmcnt(0)
	v_mul_f64 v[124:125], v[238:239], v[126:127]
	v_mul_f64 v[212:213], v[236:237], v[126:127]
	s_delay_alu instid0(VALU_DEP_2) | instskip(NEXT) | instid1(VALU_DEP_2)
	v_fma_f64 v[124:125], v[236:237], v[244:245], -v[124:125]
	v_fma_f64 v[212:213], v[238:239], v[244:245], v[212:213]
	ds_load_2addr_b64 v[236:239], v246 offset0:58 offset1:59
	v_add_f64 v[120:121], v[120:121], -v[124:125]
	v_add_f64 v[122:123], v[122:123], -v[212:213]
	s_waitcnt lgkmcnt(0)
	v_mul_f64 v[124:125], v[238:239], v[126:127]
	v_mul_f64 v[212:213], v[236:237], v[126:127]
	s_delay_alu instid0(VALU_DEP_2) | instskip(NEXT) | instid1(VALU_DEP_2)
	v_fma_f64 v[124:125], v[236:237], v[244:245], -v[124:125]
	v_fma_f64 v[212:213], v[238:239], v[244:245], v[212:213]
	ds_load_2addr_b64 v[236:239], v246 offset0:60 offset1:61
	v_add_f64 v[116:117], v[116:117], -v[124:125]
	v_add_f64 v[118:119], v[118:119], -v[212:213]
	;; [unrolled: 9-line block ×30, first 2 shown]
	s_waitcnt lgkmcnt(0)
	v_mul_f64 v[124:125], v[238:239], v[126:127]
	v_mul_f64 v[212:213], v[236:237], v[126:127]
	s_delay_alu instid0(VALU_DEP_2) | instskip(NEXT) | instid1(VALU_DEP_2)
	v_fma_f64 v[124:125], v[236:237], v[244:245], -v[124:125]
	v_fma_f64 v[212:213], v[238:239], v[244:245], v[212:213]
	s_delay_alu instid0(VALU_DEP_2) | instskip(NEXT) | instid1(VALU_DEP_2)
	v_add_f64 v[224:225], v[224:225], -v[124:125]
	v_add_f64 v[226:227], v[226:227], -v[212:213]
	v_dual_mov_b32 v124, v244 :: v_dual_mov_b32 v125, v245
.LBB116_587:
	s_or_b32 exec_lo, exec_lo, s2
	v_lshl_add_u32 v212, v252, 4, v246
	s_barrier
	buffer_gl0_inv
	v_mov_b32_e32 v244, 28
	ds_store_2addr_b64 v212, v[120:121], v[122:123] offset1:1
	s_waitcnt lgkmcnt(0)
	s_barrier
	buffer_gl0_inv
	ds_load_2addr_b64 v[236:239], v246 offset0:56 offset1:57
	s_cmp_lt_i32 s12, 30
	s_cbranch_scc1 .LBB116_590
; %bb.588:
	v_add3_u32 v245, v234, 0, 0x1d0
	v_mov_b32_e32 v244, 28
	s_mov_b32 s2, 29
	s_set_inst_prefetch_distance 0x1
	.p2align	6
.LBB116_589:                            ; =>This Inner Loop Header: Depth=1
	s_waitcnt lgkmcnt(0)
	v_cmp_gt_f64_e32 vcc_lo, 0, v[236:237]
	v_xor_b32_e32 v212, 0x80000000, v237
	v_xor_b32_e32 v214, 0x80000000, v239
	ds_load_2addr_b64 v[240:243], v245 offset1:1
	v_add_nc_u32_e32 v245, 16, v245
	s_waitcnt lgkmcnt(0)
	v_xor_b32_e32 v216, 0x80000000, v243
	v_cndmask_b32_e32 v213, v237, v212, vcc_lo
	v_cndmask_b32_e32 v212, v236, v236, vcc_lo
	v_cmp_gt_f64_e32 vcc_lo, 0, v[238:239]
	v_cndmask_b32_e32 v215, v239, v214, vcc_lo
	v_cndmask_b32_e32 v214, v238, v238, vcc_lo
	v_cmp_gt_f64_e32 vcc_lo, 0, v[240:241]
	s_delay_alu instid0(VALU_DEP_2) | instskip(SKIP_1) | instid1(VALU_DEP_1)
	v_add_f64 v[212:213], v[212:213], v[214:215]
	v_xor_b32_e32 v214, 0x80000000, v241
	v_dual_cndmask_b32 v215, v241, v214 :: v_dual_mov_b32 v214, v240
	v_cmp_gt_f64_e32 vcc_lo, 0, v[242:243]
	v_dual_cndmask_b32 v217, v243, v216 :: v_dual_mov_b32 v216, v242
	s_delay_alu instid0(VALU_DEP_1) | instskip(NEXT) | instid1(VALU_DEP_1)
	v_add_f64 v[214:215], v[214:215], v[216:217]
	v_cmp_lt_f64_e32 vcc_lo, v[212:213], v[214:215]
	v_dual_cndmask_b32 v237, v237, v241 :: v_dual_cndmask_b32 v236, v236, v240
	v_dual_cndmask_b32 v239, v239, v243 :: v_dual_cndmask_b32 v238, v238, v242
	v_cndmask_b32_e64 v244, v244, s2, vcc_lo
	s_add_i32 s2, s2, 1
	s_delay_alu instid0(SALU_CYCLE_1)
	s_cmp_lg_u32 s12, s2
	s_cbranch_scc1 .LBB116_589
.LBB116_590:
	s_set_inst_prefetch_distance 0x2
	s_waitcnt lgkmcnt(0)
	v_cmp_eq_f64_e32 vcc_lo, 0, v[236:237]
	v_cmp_eq_f64_e64 s2, 0, v[238:239]
	s_delay_alu instid0(VALU_DEP_1) | instskip(NEXT) | instid1(SALU_CYCLE_1)
	s_and_b32 s2, vcc_lo, s2
	s_and_saveexec_b32 s3, s2
	s_delay_alu instid0(SALU_CYCLE_1)
	s_xor_b32 s2, exec_lo, s3
; %bb.591:
	v_cmp_ne_u32_e32 vcc_lo, 0, v249
	v_cndmask_b32_e32 v249, 29, v249, vcc_lo
; %bb.592:
	s_and_not1_saveexec_b32 s3, s2
	s_cbranch_execz .LBB116_598
; %bb.593:
	v_cmp_gt_f64_e32 vcc_lo, 0, v[236:237]
	v_cmp_gt_f64_e64 s2, 0, v[238:239]
	v_xor_b32_e32 v212, 0x80000000, v237
	v_xor_b32_e32 v214, 0x80000000, v239
	s_delay_alu instid0(VALU_DEP_2) | instskip(NEXT) | instid1(VALU_DEP_2)
	v_cndmask_b32_e32 v213, v237, v212, vcc_lo
	v_cndmask_b32_e64 v215, v239, v214, s2
	v_cndmask_b32_e32 v212, v236, v236, vcc_lo
	v_cndmask_b32_e64 v214, v238, v238, s2
	s_mov_b32 s2, exec_lo
	s_delay_alu instid0(VALU_DEP_1)
	v_cmpx_ngt_f64_e32 v[212:213], v[214:215]
	s_xor_b32 s2, exec_lo, s2
	s_cbranch_execz .LBB116_595
; %bb.594:
	v_div_scale_f64 v[212:213], null, v[238:239], v[238:239], v[236:237]
	v_div_scale_f64 v[218:219], vcc_lo, v[236:237], v[238:239], v[236:237]
	s_delay_alu instid0(VALU_DEP_2) | instskip(SKIP_2) | instid1(VALU_DEP_1)
	v_rcp_f64_e32 v[214:215], v[212:213]
	s_waitcnt_depctr 0xfff
	v_fma_f64 v[216:217], -v[212:213], v[214:215], 1.0
	v_fma_f64 v[214:215], v[214:215], v[216:217], v[214:215]
	s_delay_alu instid0(VALU_DEP_1) | instskip(NEXT) | instid1(VALU_DEP_1)
	v_fma_f64 v[216:217], -v[212:213], v[214:215], 1.0
	v_fma_f64 v[214:215], v[214:215], v[216:217], v[214:215]
	s_delay_alu instid0(VALU_DEP_1) | instskip(NEXT) | instid1(VALU_DEP_1)
	v_mul_f64 v[216:217], v[218:219], v[214:215]
	v_fma_f64 v[212:213], -v[212:213], v[216:217], v[218:219]
	s_delay_alu instid0(VALU_DEP_1) | instskip(NEXT) | instid1(VALU_DEP_1)
	v_div_fmas_f64 v[212:213], v[212:213], v[214:215], v[216:217]
	v_div_fixup_f64 v[212:213], v[212:213], v[238:239], v[236:237]
	s_delay_alu instid0(VALU_DEP_1) | instskip(NEXT) | instid1(VALU_DEP_1)
	v_fma_f64 v[214:215], v[236:237], v[212:213], v[238:239]
	v_div_scale_f64 v[216:217], null, v[214:215], v[214:215], 1.0
	s_delay_alu instid0(VALU_DEP_1) | instskip(SKIP_2) | instid1(VALU_DEP_1)
	v_rcp_f64_e32 v[218:219], v[216:217]
	s_waitcnt_depctr 0xfff
	v_fma_f64 v[220:221], -v[216:217], v[218:219], 1.0
	v_fma_f64 v[218:219], v[218:219], v[220:221], v[218:219]
	s_delay_alu instid0(VALU_DEP_1) | instskip(NEXT) | instid1(VALU_DEP_1)
	v_fma_f64 v[220:221], -v[216:217], v[218:219], 1.0
	v_fma_f64 v[218:219], v[218:219], v[220:221], v[218:219]
	v_div_scale_f64 v[220:221], vcc_lo, 1.0, v[214:215], 1.0
	s_delay_alu instid0(VALU_DEP_1) | instskip(NEXT) | instid1(VALU_DEP_1)
	v_mul_f64 v[222:223], v[220:221], v[218:219]
	v_fma_f64 v[216:217], -v[216:217], v[222:223], v[220:221]
	s_delay_alu instid0(VALU_DEP_1) | instskip(NEXT) | instid1(VALU_DEP_1)
	v_div_fmas_f64 v[216:217], v[216:217], v[218:219], v[222:223]
	v_div_fixup_f64 v[238:239], v[216:217], v[214:215], 1.0
	s_delay_alu instid0(VALU_DEP_1)
	v_mul_f64 v[236:237], v[212:213], v[238:239]
	v_xor_b32_e32 v239, 0x80000000, v239
.LBB116_595:
	s_and_not1_saveexec_b32 s2, s2
	s_cbranch_execz .LBB116_597
; %bb.596:
	s_delay_alu instid0(VALU_DEP_1) | instskip(SKIP_1) | instid1(VALU_DEP_2)
	v_div_scale_f64 v[212:213], null, v[236:237], v[236:237], v[238:239]
	v_div_scale_f64 v[218:219], vcc_lo, v[238:239], v[236:237], v[238:239]
	v_rcp_f64_e32 v[214:215], v[212:213]
	s_waitcnt_depctr 0xfff
	v_fma_f64 v[216:217], -v[212:213], v[214:215], 1.0
	s_delay_alu instid0(VALU_DEP_1) | instskip(NEXT) | instid1(VALU_DEP_1)
	v_fma_f64 v[214:215], v[214:215], v[216:217], v[214:215]
	v_fma_f64 v[216:217], -v[212:213], v[214:215], 1.0
	s_delay_alu instid0(VALU_DEP_1) | instskip(NEXT) | instid1(VALU_DEP_1)
	v_fma_f64 v[214:215], v[214:215], v[216:217], v[214:215]
	v_mul_f64 v[216:217], v[218:219], v[214:215]
	s_delay_alu instid0(VALU_DEP_1) | instskip(NEXT) | instid1(VALU_DEP_1)
	v_fma_f64 v[212:213], -v[212:213], v[216:217], v[218:219]
	v_div_fmas_f64 v[212:213], v[212:213], v[214:215], v[216:217]
	s_delay_alu instid0(VALU_DEP_1) | instskip(NEXT) | instid1(VALU_DEP_1)
	v_div_fixup_f64 v[212:213], v[212:213], v[236:237], v[238:239]
	v_fma_f64 v[214:215], v[238:239], v[212:213], v[236:237]
	s_delay_alu instid0(VALU_DEP_1) | instskip(NEXT) | instid1(VALU_DEP_1)
	v_div_scale_f64 v[216:217], null, v[214:215], v[214:215], 1.0
	v_rcp_f64_e32 v[218:219], v[216:217]
	s_waitcnt_depctr 0xfff
	v_fma_f64 v[220:221], -v[216:217], v[218:219], 1.0
	s_delay_alu instid0(VALU_DEP_1) | instskip(NEXT) | instid1(VALU_DEP_1)
	v_fma_f64 v[218:219], v[218:219], v[220:221], v[218:219]
	v_fma_f64 v[220:221], -v[216:217], v[218:219], 1.0
	s_delay_alu instid0(VALU_DEP_1) | instskip(SKIP_1) | instid1(VALU_DEP_1)
	v_fma_f64 v[218:219], v[218:219], v[220:221], v[218:219]
	v_div_scale_f64 v[220:221], vcc_lo, 1.0, v[214:215], 1.0
	v_mul_f64 v[222:223], v[220:221], v[218:219]
	s_delay_alu instid0(VALU_DEP_1) | instskip(NEXT) | instid1(VALU_DEP_1)
	v_fma_f64 v[216:217], -v[216:217], v[222:223], v[220:221]
	v_div_fmas_f64 v[216:217], v[216:217], v[218:219], v[222:223]
	s_delay_alu instid0(VALU_DEP_1) | instskip(NEXT) | instid1(VALU_DEP_1)
	v_div_fixup_f64 v[236:237], v[216:217], v[214:215], 1.0
	v_mul_f64 v[238:239], v[212:213], -v[236:237]
.LBB116_597:
	s_or_b32 exec_lo, exec_lo, s2
.LBB116_598:
	s_delay_alu instid0(SALU_CYCLE_1) | instskip(NEXT) | instid1(SALU_CYCLE_1)
	s_or_b32 exec_lo, exec_lo, s3
	s_mov_b32 s2, exec_lo
	v_cmpx_ne_u32_e64 v252, v244
	s_xor_b32 s2, exec_lo, s2
	s_cbranch_execz .LBB116_604
; %bb.599:
	s_mov_b32 s3, exec_lo
	v_cmpx_eq_u32_e32 28, v252
	s_cbranch_execz .LBB116_603
; %bb.600:
	v_cmp_ne_u32_e32 vcc_lo, 28, v244
	s_xor_b32 s4, s5, -1
	s_delay_alu instid0(SALU_CYCLE_1) | instskip(NEXT) | instid1(SALU_CYCLE_1)
	s_and_b32 s6, s4, vcc_lo
	s_and_saveexec_b32 s4, s6
	s_cbranch_execz .LBB116_602
; %bb.601:
	scratch_load_b64 v[208:209], off, off offset:16 ; 8-byte Folded Reload
	v_ashrrev_i32_e32 v245, 31, v244
	s_delay_alu instid0(VALU_DEP_1) | instskip(SKIP_1) | instid1(VALU_DEP_1)
	v_lshlrev_b64 v[212:213], 2, v[244:245]
	s_waitcnt vmcnt(0)
	v_add_co_u32 v212, vcc_lo, v208, v212
	s_delay_alu instid0(VALU_DEP_2)
	v_add_co_ci_u32_e32 v213, vcc_lo, v209, v213, vcc_lo
	s_clause 0x1
	flat_load_b32 v214, v[212:213]
	flat_load_b32 v215, v[208:209] offset:112
	s_waitcnt vmcnt(1) lgkmcnt(1)
	flat_store_b32 v[208:209], v214 offset:112
	s_waitcnt vmcnt(0) lgkmcnt(1)
	flat_store_b32 v[212:213], v215
.LBB116_602:
	s_or_b32 exec_lo, exec_lo, s4
	v_mov_b32_e32 v252, v244
	v_mov_b32_e32 v251, v244
.LBB116_603:
	s_or_b32 exec_lo, exec_lo, s3
.LBB116_604:
	s_and_not1_saveexec_b32 s2, s2
	s_cbranch_execz .LBB116_606
; %bb.605:
	v_mov_b32_e32 v252, 28
	ds_store_2addr_b64 v246, v[116:117], v[118:119] offset0:58 offset1:59
	ds_store_2addr_b64 v246, v[112:113], v[114:115] offset0:60 offset1:61
	;; [unrolled: 1-line block ×30, first 2 shown]
.LBB116_606:
	s_or_b32 exec_lo, exec_lo, s2
	s_delay_alu instid0(SALU_CYCLE_1)
	s_mov_b32 s2, exec_lo
	s_waitcnt lgkmcnt(0)
	s_waitcnt_vscnt null, 0x0
	s_barrier
	buffer_gl0_inv
	v_cmpx_lt_i32_e32 28, v252
	s_cbranch_execz .LBB116_608
; %bb.607:
	v_mul_f64 v[212:213], v[238:239], v[122:123]
	v_mul_f64 v[122:123], v[236:237], v[122:123]
	s_delay_alu instid0(VALU_DEP_2) | instskip(NEXT) | instid1(VALU_DEP_2)
	v_fma_f64 v[244:245], v[236:237], v[120:121], -v[212:213]
	v_fma_f64 v[122:123], v[238:239], v[120:121], v[122:123]
	ds_load_2addr_b64 v[236:239], v246 offset0:58 offset1:59
	s_waitcnt lgkmcnt(0)
	v_mul_f64 v[120:121], v[238:239], v[122:123]
	v_mul_f64 v[212:213], v[236:237], v[122:123]
	s_delay_alu instid0(VALU_DEP_2) | instskip(NEXT) | instid1(VALU_DEP_2)
	v_fma_f64 v[120:121], v[236:237], v[244:245], -v[120:121]
	v_fma_f64 v[212:213], v[238:239], v[244:245], v[212:213]
	ds_load_2addr_b64 v[236:239], v246 offset0:60 offset1:61
	v_add_f64 v[116:117], v[116:117], -v[120:121]
	v_add_f64 v[118:119], v[118:119], -v[212:213]
	s_waitcnt lgkmcnt(0)
	v_mul_f64 v[120:121], v[238:239], v[122:123]
	v_mul_f64 v[212:213], v[236:237], v[122:123]
	s_delay_alu instid0(VALU_DEP_2) | instskip(NEXT) | instid1(VALU_DEP_2)
	v_fma_f64 v[120:121], v[236:237], v[244:245], -v[120:121]
	v_fma_f64 v[212:213], v[238:239], v[244:245], v[212:213]
	ds_load_2addr_b64 v[236:239], v246 offset0:62 offset1:63
	v_add_f64 v[112:113], v[112:113], -v[120:121]
	v_add_f64 v[114:115], v[114:115], -v[212:213]
	;; [unrolled: 9-line block ×29, first 2 shown]
	s_waitcnt lgkmcnt(0)
	v_mul_f64 v[120:121], v[238:239], v[122:123]
	v_mul_f64 v[212:213], v[236:237], v[122:123]
	s_delay_alu instid0(VALU_DEP_2) | instskip(NEXT) | instid1(VALU_DEP_2)
	v_fma_f64 v[120:121], v[236:237], v[244:245], -v[120:121]
	v_fma_f64 v[212:213], v[238:239], v[244:245], v[212:213]
	s_delay_alu instid0(VALU_DEP_2) | instskip(NEXT) | instid1(VALU_DEP_2)
	v_add_f64 v[224:225], v[224:225], -v[120:121]
	v_add_f64 v[226:227], v[226:227], -v[212:213]
	v_dual_mov_b32 v120, v244 :: v_dual_mov_b32 v121, v245
.LBB116_608:
	s_or_b32 exec_lo, exec_lo, s2
	v_lshl_add_u32 v212, v252, 4, v246
	s_barrier
	buffer_gl0_inv
	v_mov_b32_e32 v244, 29
	ds_store_2addr_b64 v212, v[116:117], v[118:119] offset1:1
	s_waitcnt lgkmcnt(0)
	s_barrier
	buffer_gl0_inv
	ds_load_2addr_b64 v[236:239], v246 offset0:58 offset1:59
	s_cmp_lt_i32 s12, 31
	s_cbranch_scc1 .LBB116_611
; %bb.609:
	v_add3_u32 v245, v234, 0, 0x1e0
	v_mov_b32_e32 v244, 29
	s_mov_b32 s2, 30
	s_set_inst_prefetch_distance 0x1
	.p2align	6
.LBB116_610:                            ; =>This Inner Loop Header: Depth=1
	s_waitcnt lgkmcnt(0)
	v_cmp_gt_f64_e32 vcc_lo, 0, v[236:237]
	v_xor_b32_e32 v212, 0x80000000, v237
	v_xor_b32_e32 v214, 0x80000000, v239
	ds_load_2addr_b64 v[240:243], v245 offset1:1
	v_add_nc_u32_e32 v245, 16, v245
	s_waitcnt lgkmcnt(0)
	v_xor_b32_e32 v216, 0x80000000, v243
	v_cndmask_b32_e32 v213, v237, v212, vcc_lo
	v_cndmask_b32_e32 v212, v236, v236, vcc_lo
	v_cmp_gt_f64_e32 vcc_lo, 0, v[238:239]
	v_cndmask_b32_e32 v215, v239, v214, vcc_lo
	v_cndmask_b32_e32 v214, v238, v238, vcc_lo
	v_cmp_gt_f64_e32 vcc_lo, 0, v[240:241]
	s_delay_alu instid0(VALU_DEP_2) | instskip(SKIP_1) | instid1(VALU_DEP_1)
	v_add_f64 v[212:213], v[212:213], v[214:215]
	v_xor_b32_e32 v214, 0x80000000, v241
	v_dual_cndmask_b32 v215, v241, v214 :: v_dual_mov_b32 v214, v240
	v_cmp_gt_f64_e32 vcc_lo, 0, v[242:243]
	v_dual_cndmask_b32 v217, v243, v216 :: v_dual_mov_b32 v216, v242
	s_delay_alu instid0(VALU_DEP_1) | instskip(NEXT) | instid1(VALU_DEP_1)
	v_add_f64 v[214:215], v[214:215], v[216:217]
	v_cmp_lt_f64_e32 vcc_lo, v[212:213], v[214:215]
	v_dual_cndmask_b32 v237, v237, v241 :: v_dual_cndmask_b32 v236, v236, v240
	v_dual_cndmask_b32 v239, v239, v243 :: v_dual_cndmask_b32 v238, v238, v242
	v_cndmask_b32_e64 v244, v244, s2, vcc_lo
	s_add_i32 s2, s2, 1
	s_delay_alu instid0(SALU_CYCLE_1)
	s_cmp_lg_u32 s12, s2
	s_cbranch_scc1 .LBB116_610
.LBB116_611:
	s_set_inst_prefetch_distance 0x2
	s_waitcnt lgkmcnt(0)
	v_cmp_eq_f64_e32 vcc_lo, 0, v[236:237]
	v_cmp_eq_f64_e64 s2, 0, v[238:239]
	s_delay_alu instid0(VALU_DEP_1) | instskip(NEXT) | instid1(SALU_CYCLE_1)
	s_and_b32 s2, vcc_lo, s2
	s_and_saveexec_b32 s3, s2
	s_delay_alu instid0(SALU_CYCLE_1)
	s_xor_b32 s2, exec_lo, s3
; %bb.612:
	v_cmp_ne_u32_e32 vcc_lo, 0, v249
	v_cndmask_b32_e32 v249, 30, v249, vcc_lo
; %bb.613:
	s_and_not1_saveexec_b32 s3, s2
	s_cbranch_execz .LBB116_619
; %bb.614:
	v_cmp_gt_f64_e32 vcc_lo, 0, v[236:237]
	v_cmp_gt_f64_e64 s2, 0, v[238:239]
	v_xor_b32_e32 v212, 0x80000000, v237
	v_xor_b32_e32 v214, 0x80000000, v239
	s_delay_alu instid0(VALU_DEP_2) | instskip(NEXT) | instid1(VALU_DEP_2)
	v_cndmask_b32_e32 v213, v237, v212, vcc_lo
	v_cndmask_b32_e64 v215, v239, v214, s2
	v_cndmask_b32_e32 v212, v236, v236, vcc_lo
	v_cndmask_b32_e64 v214, v238, v238, s2
	s_mov_b32 s2, exec_lo
	s_delay_alu instid0(VALU_DEP_1)
	v_cmpx_ngt_f64_e32 v[212:213], v[214:215]
	s_xor_b32 s2, exec_lo, s2
	s_cbranch_execz .LBB116_616
; %bb.615:
	v_div_scale_f64 v[212:213], null, v[238:239], v[238:239], v[236:237]
	v_div_scale_f64 v[218:219], vcc_lo, v[236:237], v[238:239], v[236:237]
	s_delay_alu instid0(VALU_DEP_2) | instskip(SKIP_2) | instid1(VALU_DEP_1)
	v_rcp_f64_e32 v[214:215], v[212:213]
	s_waitcnt_depctr 0xfff
	v_fma_f64 v[216:217], -v[212:213], v[214:215], 1.0
	v_fma_f64 v[214:215], v[214:215], v[216:217], v[214:215]
	s_delay_alu instid0(VALU_DEP_1) | instskip(NEXT) | instid1(VALU_DEP_1)
	v_fma_f64 v[216:217], -v[212:213], v[214:215], 1.0
	v_fma_f64 v[214:215], v[214:215], v[216:217], v[214:215]
	s_delay_alu instid0(VALU_DEP_1) | instskip(NEXT) | instid1(VALU_DEP_1)
	v_mul_f64 v[216:217], v[218:219], v[214:215]
	v_fma_f64 v[212:213], -v[212:213], v[216:217], v[218:219]
	s_delay_alu instid0(VALU_DEP_1) | instskip(NEXT) | instid1(VALU_DEP_1)
	v_div_fmas_f64 v[212:213], v[212:213], v[214:215], v[216:217]
	v_div_fixup_f64 v[212:213], v[212:213], v[238:239], v[236:237]
	s_delay_alu instid0(VALU_DEP_1) | instskip(NEXT) | instid1(VALU_DEP_1)
	v_fma_f64 v[214:215], v[236:237], v[212:213], v[238:239]
	v_div_scale_f64 v[216:217], null, v[214:215], v[214:215], 1.0
	s_delay_alu instid0(VALU_DEP_1) | instskip(SKIP_2) | instid1(VALU_DEP_1)
	v_rcp_f64_e32 v[218:219], v[216:217]
	s_waitcnt_depctr 0xfff
	v_fma_f64 v[220:221], -v[216:217], v[218:219], 1.0
	v_fma_f64 v[218:219], v[218:219], v[220:221], v[218:219]
	s_delay_alu instid0(VALU_DEP_1) | instskip(NEXT) | instid1(VALU_DEP_1)
	v_fma_f64 v[220:221], -v[216:217], v[218:219], 1.0
	v_fma_f64 v[218:219], v[218:219], v[220:221], v[218:219]
	v_div_scale_f64 v[220:221], vcc_lo, 1.0, v[214:215], 1.0
	s_delay_alu instid0(VALU_DEP_1) | instskip(NEXT) | instid1(VALU_DEP_1)
	v_mul_f64 v[222:223], v[220:221], v[218:219]
	v_fma_f64 v[216:217], -v[216:217], v[222:223], v[220:221]
	s_delay_alu instid0(VALU_DEP_1) | instskip(NEXT) | instid1(VALU_DEP_1)
	v_div_fmas_f64 v[216:217], v[216:217], v[218:219], v[222:223]
	v_div_fixup_f64 v[238:239], v[216:217], v[214:215], 1.0
	s_delay_alu instid0(VALU_DEP_1)
	v_mul_f64 v[236:237], v[212:213], v[238:239]
	v_xor_b32_e32 v239, 0x80000000, v239
.LBB116_616:
	s_and_not1_saveexec_b32 s2, s2
	s_cbranch_execz .LBB116_618
; %bb.617:
	s_delay_alu instid0(VALU_DEP_1) | instskip(SKIP_1) | instid1(VALU_DEP_2)
	v_div_scale_f64 v[212:213], null, v[236:237], v[236:237], v[238:239]
	v_div_scale_f64 v[218:219], vcc_lo, v[238:239], v[236:237], v[238:239]
	v_rcp_f64_e32 v[214:215], v[212:213]
	s_waitcnt_depctr 0xfff
	v_fma_f64 v[216:217], -v[212:213], v[214:215], 1.0
	s_delay_alu instid0(VALU_DEP_1) | instskip(NEXT) | instid1(VALU_DEP_1)
	v_fma_f64 v[214:215], v[214:215], v[216:217], v[214:215]
	v_fma_f64 v[216:217], -v[212:213], v[214:215], 1.0
	s_delay_alu instid0(VALU_DEP_1) | instskip(NEXT) | instid1(VALU_DEP_1)
	v_fma_f64 v[214:215], v[214:215], v[216:217], v[214:215]
	v_mul_f64 v[216:217], v[218:219], v[214:215]
	s_delay_alu instid0(VALU_DEP_1) | instskip(NEXT) | instid1(VALU_DEP_1)
	v_fma_f64 v[212:213], -v[212:213], v[216:217], v[218:219]
	v_div_fmas_f64 v[212:213], v[212:213], v[214:215], v[216:217]
	s_delay_alu instid0(VALU_DEP_1) | instskip(NEXT) | instid1(VALU_DEP_1)
	v_div_fixup_f64 v[212:213], v[212:213], v[236:237], v[238:239]
	v_fma_f64 v[214:215], v[238:239], v[212:213], v[236:237]
	s_delay_alu instid0(VALU_DEP_1) | instskip(NEXT) | instid1(VALU_DEP_1)
	v_div_scale_f64 v[216:217], null, v[214:215], v[214:215], 1.0
	v_rcp_f64_e32 v[218:219], v[216:217]
	s_waitcnt_depctr 0xfff
	v_fma_f64 v[220:221], -v[216:217], v[218:219], 1.0
	s_delay_alu instid0(VALU_DEP_1) | instskip(NEXT) | instid1(VALU_DEP_1)
	v_fma_f64 v[218:219], v[218:219], v[220:221], v[218:219]
	v_fma_f64 v[220:221], -v[216:217], v[218:219], 1.0
	s_delay_alu instid0(VALU_DEP_1) | instskip(SKIP_1) | instid1(VALU_DEP_1)
	v_fma_f64 v[218:219], v[218:219], v[220:221], v[218:219]
	v_div_scale_f64 v[220:221], vcc_lo, 1.0, v[214:215], 1.0
	v_mul_f64 v[222:223], v[220:221], v[218:219]
	s_delay_alu instid0(VALU_DEP_1) | instskip(NEXT) | instid1(VALU_DEP_1)
	v_fma_f64 v[216:217], -v[216:217], v[222:223], v[220:221]
	v_div_fmas_f64 v[216:217], v[216:217], v[218:219], v[222:223]
	s_delay_alu instid0(VALU_DEP_1) | instskip(NEXT) | instid1(VALU_DEP_1)
	v_div_fixup_f64 v[236:237], v[216:217], v[214:215], 1.0
	v_mul_f64 v[238:239], v[212:213], -v[236:237]
.LBB116_618:
	s_or_b32 exec_lo, exec_lo, s2
.LBB116_619:
	s_delay_alu instid0(SALU_CYCLE_1) | instskip(NEXT) | instid1(SALU_CYCLE_1)
	s_or_b32 exec_lo, exec_lo, s3
	s_mov_b32 s2, exec_lo
	v_cmpx_ne_u32_e64 v252, v244
	s_xor_b32 s2, exec_lo, s2
	s_cbranch_execz .LBB116_625
; %bb.620:
	s_mov_b32 s3, exec_lo
	v_cmpx_eq_u32_e32 29, v252
	s_cbranch_execz .LBB116_624
; %bb.621:
	v_cmp_ne_u32_e32 vcc_lo, 29, v244
	s_xor_b32 s4, s5, -1
	s_delay_alu instid0(SALU_CYCLE_1) | instskip(NEXT) | instid1(SALU_CYCLE_1)
	s_and_b32 s6, s4, vcc_lo
	s_and_saveexec_b32 s4, s6
	s_cbranch_execz .LBB116_623
; %bb.622:
	scratch_load_b64 v[208:209], off, off offset:16 ; 8-byte Folded Reload
	v_ashrrev_i32_e32 v245, 31, v244
	s_delay_alu instid0(VALU_DEP_1) | instskip(SKIP_1) | instid1(VALU_DEP_1)
	v_lshlrev_b64 v[212:213], 2, v[244:245]
	s_waitcnt vmcnt(0)
	v_add_co_u32 v212, vcc_lo, v208, v212
	s_delay_alu instid0(VALU_DEP_2)
	v_add_co_ci_u32_e32 v213, vcc_lo, v209, v213, vcc_lo
	s_clause 0x1
	flat_load_b32 v214, v[212:213]
	flat_load_b32 v215, v[208:209] offset:116
	s_waitcnt vmcnt(1) lgkmcnt(1)
	flat_store_b32 v[208:209], v214 offset:116
	s_waitcnt vmcnt(0) lgkmcnt(1)
	flat_store_b32 v[212:213], v215
.LBB116_623:
	s_or_b32 exec_lo, exec_lo, s4
	v_mov_b32_e32 v252, v244
	v_mov_b32_e32 v251, v244
.LBB116_624:
	s_or_b32 exec_lo, exec_lo, s3
.LBB116_625:
	s_and_not1_saveexec_b32 s2, s2
	s_cbranch_execz .LBB116_627
; %bb.626:
	v_mov_b32_e32 v252, 29
	ds_store_2addr_b64 v246, v[112:113], v[114:115] offset0:60 offset1:61
	ds_store_2addr_b64 v246, v[108:109], v[110:111] offset0:62 offset1:63
	;; [unrolled: 1-line block ×29, first 2 shown]
.LBB116_627:
	s_or_b32 exec_lo, exec_lo, s2
	s_delay_alu instid0(SALU_CYCLE_1)
	s_mov_b32 s2, exec_lo
	s_waitcnt lgkmcnt(0)
	s_waitcnt_vscnt null, 0x0
	s_barrier
	buffer_gl0_inv
	v_cmpx_lt_i32_e32 29, v252
	s_cbranch_execz .LBB116_629
; %bb.628:
	v_mul_f64 v[212:213], v[238:239], v[118:119]
	v_mul_f64 v[118:119], v[236:237], v[118:119]
	s_delay_alu instid0(VALU_DEP_2) | instskip(NEXT) | instid1(VALU_DEP_2)
	v_fma_f64 v[244:245], v[236:237], v[116:117], -v[212:213]
	v_fma_f64 v[118:119], v[238:239], v[116:117], v[118:119]
	ds_load_2addr_b64 v[236:239], v246 offset0:60 offset1:61
	s_waitcnt lgkmcnt(0)
	v_mul_f64 v[116:117], v[238:239], v[118:119]
	v_mul_f64 v[212:213], v[236:237], v[118:119]
	s_delay_alu instid0(VALU_DEP_2) | instskip(NEXT) | instid1(VALU_DEP_2)
	v_fma_f64 v[116:117], v[236:237], v[244:245], -v[116:117]
	v_fma_f64 v[212:213], v[238:239], v[244:245], v[212:213]
	ds_load_2addr_b64 v[236:239], v246 offset0:62 offset1:63
	v_add_f64 v[112:113], v[112:113], -v[116:117]
	v_add_f64 v[114:115], v[114:115], -v[212:213]
	s_waitcnt lgkmcnt(0)
	v_mul_f64 v[116:117], v[238:239], v[118:119]
	v_mul_f64 v[212:213], v[236:237], v[118:119]
	s_delay_alu instid0(VALU_DEP_2) | instskip(NEXT) | instid1(VALU_DEP_2)
	v_fma_f64 v[116:117], v[236:237], v[244:245], -v[116:117]
	v_fma_f64 v[212:213], v[238:239], v[244:245], v[212:213]
	ds_load_2addr_b64 v[236:239], v246 offset0:64 offset1:65
	v_add_f64 v[108:109], v[108:109], -v[116:117]
	v_add_f64 v[110:111], v[110:111], -v[212:213]
	;; [unrolled: 9-line block ×28, first 2 shown]
	s_waitcnt lgkmcnt(0)
	v_mul_f64 v[116:117], v[238:239], v[118:119]
	v_mul_f64 v[212:213], v[236:237], v[118:119]
	s_delay_alu instid0(VALU_DEP_2) | instskip(NEXT) | instid1(VALU_DEP_2)
	v_fma_f64 v[116:117], v[236:237], v[244:245], -v[116:117]
	v_fma_f64 v[212:213], v[238:239], v[244:245], v[212:213]
	s_delay_alu instid0(VALU_DEP_2) | instskip(NEXT) | instid1(VALU_DEP_2)
	v_add_f64 v[224:225], v[224:225], -v[116:117]
	v_add_f64 v[226:227], v[226:227], -v[212:213]
	v_dual_mov_b32 v116, v244 :: v_dual_mov_b32 v117, v245
.LBB116_629:
	s_or_b32 exec_lo, exec_lo, s2
	v_lshl_add_u32 v212, v252, 4, v246
	s_barrier
	buffer_gl0_inv
	v_mov_b32_e32 v244, 30
	ds_store_2addr_b64 v212, v[112:113], v[114:115] offset1:1
	s_waitcnt lgkmcnt(0)
	s_barrier
	buffer_gl0_inv
	ds_load_2addr_b64 v[236:239], v246 offset0:60 offset1:61
	s_cmp_lt_i32 s12, 32
	s_cbranch_scc1 .LBB116_632
; %bb.630:
	v_add3_u32 v245, v234, 0, 0x1f0
	v_mov_b32_e32 v244, 30
	s_mov_b32 s2, 31
	s_set_inst_prefetch_distance 0x1
	.p2align	6
.LBB116_631:                            ; =>This Inner Loop Header: Depth=1
	s_waitcnt lgkmcnt(0)
	v_cmp_gt_f64_e32 vcc_lo, 0, v[236:237]
	v_xor_b32_e32 v212, 0x80000000, v237
	v_xor_b32_e32 v214, 0x80000000, v239
	ds_load_2addr_b64 v[240:243], v245 offset1:1
	v_add_nc_u32_e32 v245, 16, v245
	s_waitcnt lgkmcnt(0)
	v_xor_b32_e32 v216, 0x80000000, v243
	v_cndmask_b32_e32 v213, v237, v212, vcc_lo
	v_cndmask_b32_e32 v212, v236, v236, vcc_lo
	v_cmp_gt_f64_e32 vcc_lo, 0, v[238:239]
	v_cndmask_b32_e32 v215, v239, v214, vcc_lo
	v_cndmask_b32_e32 v214, v238, v238, vcc_lo
	v_cmp_gt_f64_e32 vcc_lo, 0, v[240:241]
	s_delay_alu instid0(VALU_DEP_2) | instskip(SKIP_1) | instid1(VALU_DEP_1)
	v_add_f64 v[212:213], v[212:213], v[214:215]
	v_xor_b32_e32 v214, 0x80000000, v241
	v_dual_cndmask_b32 v215, v241, v214 :: v_dual_mov_b32 v214, v240
	v_cmp_gt_f64_e32 vcc_lo, 0, v[242:243]
	v_dual_cndmask_b32 v217, v243, v216 :: v_dual_mov_b32 v216, v242
	s_delay_alu instid0(VALU_DEP_1) | instskip(NEXT) | instid1(VALU_DEP_1)
	v_add_f64 v[214:215], v[214:215], v[216:217]
	v_cmp_lt_f64_e32 vcc_lo, v[212:213], v[214:215]
	v_dual_cndmask_b32 v237, v237, v241 :: v_dual_cndmask_b32 v236, v236, v240
	v_dual_cndmask_b32 v239, v239, v243 :: v_dual_cndmask_b32 v238, v238, v242
	v_cndmask_b32_e64 v244, v244, s2, vcc_lo
	s_add_i32 s2, s2, 1
	s_delay_alu instid0(SALU_CYCLE_1)
	s_cmp_lg_u32 s12, s2
	s_cbranch_scc1 .LBB116_631
.LBB116_632:
	s_set_inst_prefetch_distance 0x2
	s_waitcnt lgkmcnt(0)
	v_cmp_eq_f64_e32 vcc_lo, 0, v[236:237]
	v_cmp_eq_f64_e64 s2, 0, v[238:239]
	s_delay_alu instid0(VALU_DEP_1) | instskip(NEXT) | instid1(SALU_CYCLE_1)
	s_and_b32 s2, vcc_lo, s2
	s_and_saveexec_b32 s3, s2
	s_delay_alu instid0(SALU_CYCLE_1)
	s_xor_b32 s2, exec_lo, s3
; %bb.633:
	v_cmp_ne_u32_e32 vcc_lo, 0, v249
	v_cndmask_b32_e32 v249, 31, v249, vcc_lo
; %bb.634:
	s_and_not1_saveexec_b32 s3, s2
	s_cbranch_execz .LBB116_640
; %bb.635:
	v_cmp_gt_f64_e32 vcc_lo, 0, v[236:237]
	v_cmp_gt_f64_e64 s2, 0, v[238:239]
	v_xor_b32_e32 v212, 0x80000000, v237
	v_xor_b32_e32 v214, 0x80000000, v239
	s_delay_alu instid0(VALU_DEP_2) | instskip(NEXT) | instid1(VALU_DEP_2)
	v_cndmask_b32_e32 v213, v237, v212, vcc_lo
	v_cndmask_b32_e64 v215, v239, v214, s2
	v_cndmask_b32_e32 v212, v236, v236, vcc_lo
	v_cndmask_b32_e64 v214, v238, v238, s2
	s_mov_b32 s2, exec_lo
	s_delay_alu instid0(VALU_DEP_1)
	v_cmpx_ngt_f64_e32 v[212:213], v[214:215]
	s_xor_b32 s2, exec_lo, s2
	s_cbranch_execz .LBB116_637
; %bb.636:
	v_div_scale_f64 v[212:213], null, v[238:239], v[238:239], v[236:237]
	v_div_scale_f64 v[218:219], vcc_lo, v[236:237], v[238:239], v[236:237]
	s_delay_alu instid0(VALU_DEP_2) | instskip(SKIP_2) | instid1(VALU_DEP_1)
	v_rcp_f64_e32 v[214:215], v[212:213]
	s_waitcnt_depctr 0xfff
	v_fma_f64 v[216:217], -v[212:213], v[214:215], 1.0
	v_fma_f64 v[214:215], v[214:215], v[216:217], v[214:215]
	s_delay_alu instid0(VALU_DEP_1) | instskip(NEXT) | instid1(VALU_DEP_1)
	v_fma_f64 v[216:217], -v[212:213], v[214:215], 1.0
	v_fma_f64 v[214:215], v[214:215], v[216:217], v[214:215]
	s_delay_alu instid0(VALU_DEP_1) | instskip(NEXT) | instid1(VALU_DEP_1)
	v_mul_f64 v[216:217], v[218:219], v[214:215]
	v_fma_f64 v[212:213], -v[212:213], v[216:217], v[218:219]
	s_delay_alu instid0(VALU_DEP_1) | instskip(NEXT) | instid1(VALU_DEP_1)
	v_div_fmas_f64 v[212:213], v[212:213], v[214:215], v[216:217]
	v_div_fixup_f64 v[212:213], v[212:213], v[238:239], v[236:237]
	s_delay_alu instid0(VALU_DEP_1) | instskip(NEXT) | instid1(VALU_DEP_1)
	v_fma_f64 v[214:215], v[236:237], v[212:213], v[238:239]
	v_div_scale_f64 v[216:217], null, v[214:215], v[214:215], 1.0
	s_delay_alu instid0(VALU_DEP_1) | instskip(SKIP_2) | instid1(VALU_DEP_1)
	v_rcp_f64_e32 v[218:219], v[216:217]
	s_waitcnt_depctr 0xfff
	v_fma_f64 v[220:221], -v[216:217], v[218:219], 1.0
	v_fma_f64 v[218:219], v[218:219], v[220:221], v[218:219]
	s_delay_alu instid0(VALU_DEP_1) | instskip(NEXT) | instid1(VALU_DEP_1)
	v_fma_f64 v[220:221], -v[216:217], v[218:219], 1.0
	v_fma_f64 v[218:219], v[218:219], v[220:221], v[218:219]
	v_div_scale_f64 v[220:221], vcc_lo, 1.0, v[214:215], 1.0
	s_delay_alu instid0(VALU_DEP_1) | instskip(NEXT) | instid1(VALU_DEP_1)
	v_mul_f64 v[222:223], v[220:221], v[218:219]
	v_fma_f64 v[216:217], -v[216:217], v[222:223], v[220:221]
	s_delay_alu instid0(VALU_DEP_1) | instskip(NEXT) | instid1(VALU_DEP_1)
	v_div_fmas_f64 v[216:217], v[216:217], v[218:219], v[222:223]
	v_div_fixup_f64 v[238:239], v[216:217], v[214:215], 1.0
	s_delay_alu instid0(VALU_DEP_1)
	v_mul_f64 v[236:237], v[212:213], v[238:239]
	v_xor_b32_e32 v239, 0x80000000, v239
.LBB116_637:
	s_and_not1_saveexec_b32 s2, s2
	s_cbranch_execz .LBB116_639
; %bb.638:
	s_delay_alu instid0(VALU_DEP_1) | instskip(SKIP_1) | instid1(VALU_DEP_2)
	v_div_scale_f64 v[212:213], null, v[236:237], v[236:237], v[238:239]
	v_div_scale_f64 v[218:219], vcc_lo, v[238:239], v[236:237], v[238:239]
	v_rcp_f64_e32 v[214:215], v[212:213]
	s_waitcnt_depctr 0xfff
	v_fma_f64 v[216:217], -v[212:213], v[214:215], 1.0
	s_delay_alu instid0(VALU_DEP_1) | instskip(NEXT) | instid1(VALU_DEP_1)
	v_fma_f64 v[214:215], v[214:215], v[216:217], v[214:215]
	v_fma_f64 v[216:217], -v[212:213], v[214:215], 1.0
	s_delay_alu instid0(VALU_DEP_1) | instskip(NEXT) | instid1(VALU_DEP_1)
	v_fma_f64 v[214:215], v[214:215], v[216:217], v[214:215]
	v_mul_f64 v[216:217], v[218:219], v[214:215]
	s_delay_alu instid0(VALU_DEP_1) | instskip(NEXT) | instid1(VALU_DEP_1)
	v_fma_f64 v[212:213], -v[212:213], v[216:217], v[218:219]
	v_div_fmas_f64 v[212:213], v[212:213], v[214:215], v[216:217]
	s_delay_alu instid0(VALU_DEP_1) | instskip(NEXT) | instid1(VALU_DEP_1)
	v_div_fixup_f64 v[212:213], v[212:213], v[236:237], v[238:239]
	v_fma_f64 v[214:215], v[238:239], v[212:213], v[236:237]
	s_delay_alu instid0(VALU_DEP_1) | instskip(NEXT) | instid1(VALU_DEP_1)
	v_div_scale_f64 v[216:217], null, v[214:215], v[214:215], 1.0
	v_rcp_f64_e32 v[218:219], v[216:217]
	s_waitcnt_depctr 0xfff
	v_fma_f64 v[220:221], -v[216:217], v[218:219], 1.0
	s_delay_alu instid0(VALU_DEP_1) | instskip(NEXT) | instid1(VALU_DEP_1)
	v_fma_f64 v[218:219], v[218:219], v[220:221], v[218:219]
	v_fma_f64 v[220:221], -v[216:217], v[218:219], 1.0
	s_delay_alu instid0(VALU_DEP_1) | instskip(SKIP_1) | instid1(VALU_DEP_1)
	v_fma_f64 v[218:219], v[218:219], v[220:221], v[218:219]
	v_div_scale_f64 v[220:221], vcc_lo, 1.0, v[214:215], 1.0
	v_mul_f64 v[222:223], v[220:221], v[218:219]
	s_delay_alu instid0(VALU_DEP_1) | instskip(NEXT) | instid1(VALU_DEP_1)
	v_fma_f64 v[216:217], -v[216:217], v[222:223], v[220:221]
	v_div_fmas_f64 v[216:217], v[216:217], v[218:219], v[222:223]
	s_delay_alu instid0(VALU_DEP_1) | instskip(NEXT) | instid1(VALU_DEP_1)
	v_div_fixup_f64 v[236:237], v[216:217], v[214:215], 1.0
	v_mul_f64 v[238:239], v[212:213], -v[236:237]
.LBB116_639:
	s_or_b32 exec_lo, exec_lo, s2
.LBB116_640:
	s_delay_alu instid0(SALU_CYCLE_1) | instskip(NEXT) | instid1(SALU_CYCLE_1)
	s_or_b32 exec_lo, exec_lo, s3
	s_mov_b32 s2, exec_lo
	v_cmpx_ne_u32_e64 v252, v244
	s_xor_b32 s2, exec_lo, s2
	s_cbranch_execz .LBB116_646
; %bb.641:
	s_mov_b32 s3, exec_lo
	v_cmpx_eq_u32_e32 30, v252
	s_cbranch_execz .LBB116_645
; %bb.642:
	v_cmp_ne_u32_e32 vcc_lo, 30, v244
	s_xor_b32 s4, s5, -1
	s_delay_alu instid0(SALU_CYCLE_1) | instskip(NEXT) | instid1(SALU_CYCLE_1)
	s_and_b32 s6, s4, vcc_lo
	s_and_saveexec_b32 s4, s6
	s_cbranch_execz .LBB116_644
; %bb.643:
	scratch_load_b64 v[208:209], off, off offset:16 ; 8-byte Folded Reload
	v_ashrrev_i32_e32 v245, 31, v244
	s_delay_alu instid0(VALU_DEP_1) | instskip(SKIP_1) | instid1(VALU_DEP_1)
	v_lshlrev_b64 v[212:213], 2, v[244:245]
	s_waitcnt vmcnt(0)
	v_add_co_u32 v212, vcc_lo, v208, v212
	s_delay_alu instid0(VALU_DEP_2)
	v_add_co_ci_u32_e32 v213, vcc_lo, v209, v213, vcc_lo
	s_clause 0x1
	flat_load_b32 v214, v[212:213]
	flat_load_b32 v215, v[208:209] offset:120
	s_waitcnt vmcnt(1) lgkmcnt(1)
	flat_store_b32 v[208:209], v214 offset:120
	s_waitcnt vmcnt(0) lgkmcnt(1)
	flat_store_b32 v[212:213], v215
.LBB116_644:
	s_or_b32 exec_lo, exec_lo, s4
	v_mov_b32_e32 v252, v244
	v_mov_b32_e32 v251, v244
.LBB116_645:
	s_or_b32 exec_lo, exec_lo, s3
.LBB116_646:
	s_and_not1_saveexec_b32 s2, s2
	s_cbranch_execz .LBB116_648
; %bb.647:
	v_mov_b32_e32 v252, 30
	ds_store_2addr_b64 v246, v[108:109], v[110:111] offset0:62 offset1:63
	ds_store_2addr_b64 v246, v[104:105], v[106:107] offset0:64 offset1:65
	;; [unrolled: 1-line block ×28, first 2 shown]
.LBB116_648:
	s_or_b32 exec_lo, exec_lo, s2
	s_delay_alu instid0(SALU_CYCLE_1)
	s_mov_b32 s2, exec_lo
	s_waitcnt lgkmcnt(0)
	s_waitcnt_vscnt null, 0x0
	s_barrier
	buffer_gl0_inv
	v_cmpx_lt_i32_e32 30, v252
	s_cbranch_execz .LBB116_650
; %bb.649:
	v_mul_f64 v[212:213], v[238:239], v[114:115]
	v_mul_f64 v[114:115], v[236:237], v[114:115]
	s_delay_alu instid0(VALU_DEP_2) | instskip(NEXT) | instid1(VALU_DEP_2)
	v_fma_f64 v[244:245], v[236:237], v[112:113], -v[212:213]
	v_fma_f64 v[114:115], v[238:239], v[112:113], v[114:115]
	ds_load_2addr_b64 v[236:239], v246 offset0:62 offset1:63
	s_waitcnt lgkmcnt(0)
	v_mul_f64 v[112:113], v[238:239], v[114:115]
	v_mul_f64 v[212:213], v[236:237], v[114:115]
	s_delay_alu instid0(VALU_DEP_2) | instskip(NEXT) | instid1(VALU_DEP_2)
	v_fma_f64 v[112:113], v[236:237], v[244:245], -v[112:113]
	v_fma_f64 v[212:213], v[238:239], v[244:245], v[212:213]
	ds_load_2addr_b64 v[236:239], v246 offset0:64 offset1:65
	v_add_f64 v[108:109], v[108:109], -v[112:113]
	v_add_f64 v[110:111], v[110:111], -v[212:213]
	s_waitcnt lgkmcnt(0)
	v_mul_f64 v[112:113], v[238:239], v[114:115]
	v_mul_f64 v[212:213], v[236:237], v[114:115]
	s_delay_alu instid0(VALU_DEP_2) | instskip(NEXT) | instid1(VALU_DEP_2)
	v_fma_f64 v[112:113], v[236:237], v[244:245], -v[112:113]
	v_fma_f64 v[212:213], v[238:239], v[244:245], v[212:213]
	ds_load_2addr_b64 v[236:239], v246 offset0:66 offset1:67
	v_add_f64 v[104:105], v[104:105], -v[112:113]
	v_add_f64 v[106:107], v[106:107], -v[212:213]
	;; [unrolled: 9-line block ×27, first 2 shown]
	s_waitcnt lgkmcnt(0)
	v_mul_f64 v[112:113], v[238:239], v[114:115]
	v_mul_f64 v[212:213], v[236:237], v[114:115]
	s_delay_alu instid0(VALU_DEP_2) | instskip(NEXT) | instid1(VALU_DEP_2)
	v_fma_f64 v[112:113], v[236:237], v[244:245], -v[112:113]
	v_fma_f64 v[212:213], v[238:239], v[244:245], v[212:213]
	s_delay_alu instid0(VALU_DEP_2) | instskip(NEXT) | instid1(VALU_DEP_2)
	v_add_f64 v[224:225], v[224:225], -v[112:113]
	v_add_f64 v[226:227], v[226:227], -v[212:213]
	v_dual_mov_b32 v112, v244 :: v_dual_mov_b32 v113, v245
.LBB116_650:
	s_or_b32 exec_lo, exec_lo, s2
	v_lshl_add_u32 v212, v252, 4, v246
	s_barrier
	buffer_gl0_inv
	v_mov_b32_e32 v244, 31
	ds_store_2addr_b64 v212, v[108:109], v[110:111] offset1:1
	s_waitcnt lgkmcnt(0)
	s_barrier
	buffer_gl0_inv
	ds_load_2addr_b64 v[236:239], v246 offset0:62 offset1:63
	s_cmp_lt_i32 s12, 33
	s_cbranch_scc1 .LBB116_653
; %bb.651:
	v_add3_u32 v245, v234, 0, 0x200
	v_mov_b32_e32 v244, 31
	s_mov_b32 s2, 32
	s_set_inst_prefetch_distance 0x1
	.p2align	6
.LBB116_652:                            ; =>This Inner Loop Header: Depth=1
	s_waitcnt lgkmcnt(0)
	v_cmp_gt_f64_e32 vcc_lo, 0, v[236:237]
	v_xor_b32_e32 v212, 0x80000000, v237
	v_xor_b32_e32 v214, 0x80000000, v239
	ds_load_2addr_b64 v[240:243], v245 offset1:1
	v_add_nc_u32_e32 v245, 16, v245
	s_waitcnt lgkmcnt(0)
	v_xor_b32_e32 v216, 0x80000000, v243
	v_cndmask_b32_e32 v213, v237, v212, vcc_lo
	v_cndmask_b32_e32 v212, v236, v236, vcc_lo
	v_cmp_gt_f64_e32 vcc_lo, 0, v[238:239]
	v_cndmask_b32_e32 v215, v239, v214, vcc_lo
	v_cndmask_b32_e32 v214, v238, v238, vcc_lo
	v_cmp_gt_f64_e32 vcc_lo, 0, v[240:241]
	s_delay_alu instid0(VALU_DEP_2) | instskip(SKIP_1) | instid1(VALU_DEP_1)
	v_add_f64 v[212:213], v[212:213], v[214:215]
	v_xor_b32_e32 v214, 0x80000000, v241
	v_dual_cndmask_b32 v215, v241, v214 :: v_dual_mov_b32 v214, v240
	v_cmp_gt_f64_e32 vcc_lo, 0, v[242:243]
	v_dual_cndmask_b32 v217, v243, v216 :: v_dual_mov_b32 v216, v242
	s_delay_alu instid0(VALU_DEP_1) | instskip(NEXT) | instid1(VALU_DEP_1)
	v_add_f64 v[214:215], v[214:215], v[216:217]
	v_cmp_lt_f64_e32 vcc_lo, v[212:213], v[214:215]
	v_dual_cndmask_b32 v237, v237, v241 :: v_dual_cndmask_b32 v236, v236, v240
	v_dual_cndmask_b32 v239, v239, v243 :: v_dual_cndmask_b32 v238, v238, v242
	v_cndmask_b32_e64 v244, v244, s2, vcc_lo
	s_add_i32 s2, s2, 1
	s_delay_alu instid0(SALU_CYCLE_1)
	s_cmp_lg_u32 s12, s2
	s_cbranch_scc1 .LBB116_652
.LBB116_653:
	s_set_inst_prefetch_distance 0x2
	s_waitcnt lgkmcnt(0)
	v_cmp_eq_f64_e32 vcc_lo, 0, v[236:237]
	v_cmp_eq_f64_e64 s2, 0, v[238:239]
	s_delay_alu instid0(VALU_DEP_1) | instskip(NEXT) | instid1(SALU_CYCLE_1)
	s_and_b32 s2, vcc_lo, s2
	s_and_saveexec_b32 s3, s2
	s_delay_alu instid0(SALU_CYCLE_1)
	s_xor_b32 s2, exec_lo, s3
; %bb.654:
	v_cmp_ne_u32_e32 vcc_lo, 0, v249
	v_cndmask_b32_e32 v249, 32, v249, vcc_lo
; %bb.655:
	s_and_not1_saveexec_b32 s3, s2
	s_cbranch_execz .LBB116_661
; %bb.656:
	v_cmp_gt_f64_e32 vcc_lo, 0, v[236:237]
	v_cmp_gt_f64_e64 s2, 0, v[238:239]
	v_xor_b32_e32 v212, 0x80000000, v237
	v_xor_b32_e32 v214, 0x80000000, v239
	s_delay_alu instid0(VALU_DEP_2) | instskip(NEXT) | instid1(VALU_DEP_2)
	v_cndmask_b32_e32 v213, v237, v212, vcc_lo
	v_cndmask_b32_e64 v215, v239, v214, s2
	v_cndmask_b32_e32 v212, v236, v236, vcc_lo
	v_cndmask_b32_e64 v214, v238, v238, s2
	s_mov_b32 s2, exec_lo
	s_delay_alu instid0(VALU_DEP_1)
	v_cmpx_ngt_f64_e32 v[212:213], v[214:215]
	s_xor_b32 s2, exec_lo, s2
	s_cbranch_execz .LBB116_658
; %bb.657:
	v_div_scale_f64 v[212:213], null, v[238:239], v[238:239], v[236:237]
	v_div_scale_f64 v[218:219], vcc_lo, v[236:237], v[238:239], v[236:237]
	s_delay_alu instid0(VALU_DEP_2) | instskip(SKIP_2) | instid1(VALU_DEP_1)
	v_rcp_f64_e32 v[214:215], v[212:213]
	s_waitcnt_depctr 0xfff
	v_fma_f64 v[216:217], -v[212:213], v[214:215], 1.0
	v_fma_f64 v[214:215], v[214:215], v[216:217], v[214:215]
	s_delay_alu instid0(VALU_DEP_1) | instskip(NEXT) | instid1(VALU_DEP_1)
	v_fma_f64 v[216:217], -v[212:213], v[214:215], 1.0
	v_fma_f64 v[214:215], v[214:215], v[216:217], v[214:215]
	s_delay_alu instid0(VALU_DEP_1) | instskip(NEXT) | instid1(VALU_DEP_1)
	v_mul_f64 v[216:217], v[218:219], v[214:215]
	v_fma_f64 v[212:213], -v[212:213], v[216:217], v[218:219]
	s_delay_alu instid0(VALU_DEP_1) | instskip(NEXT) | instid1(VALU_DEP_1)
	v_div_fmas_f64 v[212:213], v[212:213], v[214:215], v[216:217]
	v_div_fixup_f64 v[212:213], v[212:213], v[238:239], v[236:237]
	s_delay_alu instid0(VALU_DEP_1) | instskip(NEXT) | instid1(VALU_DEP_1)
	v_fma_f64 v[214:215], v[236:237], v[212:213], v[238:239]
	v_div_scale_f64 v[216:217], null, v[214:215], v[214:215], 1.0
	s_delay_alu instid0(VALU_DEP_1) | instskip(SKIP_2) | instid1(VALU_DEP_1)
	v_rcp_f64_e32 v[218:219], v[216:217]
	s_waitcnt_depctr 0xfff
	v_fma_f64 v[220:221], -v[216:217], v[218:219], 1.0
	v_fma_f64 v[218:219], v[218:219], v[220:221], v[218:219]
	s_delay_alu instid0(VALU_DEP_1) | instskip(NEXT) | instid1(VALU_DEP_1)
	v_fma_f64 v[220:221], -v[216:217], v[218:219], 1.0
	v_fma_f64 v[218:219], v[218:219], v[220:221], v[218:219]
	v_div_scale_f64 v[220:221], vcc_lo, 1.0, v[214:215], 1.0
	s_delay_alu instid0(VALU_DEP_1) | instskip(NEXT) | instid1(VALU_DEP_1)
	v_mul_f64 v[222:223], v[220:221], v[218:219]
	v_fma_f64 v[216:217], -v[216:217], v[222:223], v[220:221]
	s_delay_alu instid0(VALU_DEP_1) | instskip(NEXT) | instid1(VALU_DEP_1)
	v_div_fmas_f64 v[216:217], v[216:217], v[218:219], v[222:223]
	v_div_fixup_f64 v[238:239], v[216:217], v[214:215], 1.0
	s_delay_alu instid0(VALU_DEP_1)
	v_mul_f64 v[236:237], v[212:213], v[238:239]
	v_xor_b32_e32 v239, 0x80000000, v239
.LBB116_658:
	s_and_not1_saveexec_b32 s2, s2
	s_cbranch_execz .LBB116_660
; %bb.659:
	s_delay_alu instid0(VALU_DEP_1) | instskip(SKIP_1) | instid1(VALU_DEP_2)
	v_div_scale_f64 v[212:213], null, v[236:237], v[236:237], v[238:239]
	v_div_scale_f64 v[218:219], vcc_lo, v[238:239], v[236:237], v[238:239]
	v_rcp_f64_e32 v[214:215], v[212:213]
	s_waitcnt_depctr 0xfff
	v_fma_f64 v[216:217], -v[212:213], v[214:215], 1.0
	s_delay_alu instid0(VALU_DEP_1) | instskip(NEXT) | instid1(VALU_DEP_1)
	v_fma_f64 v[214:215], v[214:215], v[216:217], v[214:215]
	v_fma_f64 v[216:217], -v[212:213], v[214:215], 1.0
	s_delay_alu instid0(VALU_DEP_1) | instskip(NEXT) | instid1(VALU_DEP_1)
	v_fma_f64 v[214:215], v[214:215], v[216:217], v[214:215]
	v_mul_f64 v[216:217], v[218:219], v[214:215]
	s_delay_alu instid0(VALU_DEP_1) | instskip(NEXT) | instid1(VALU_DEP_1)
	v_fma_f64 v[212:213], -v[212:213], v[216:217], v[218:219]
	v_div_fmas_f64 v[212:213], v[212:213], v[214:215], v[216:217]
	s_delay_alu instid0(VALU_DEP_1) | instskip(NEXT) | instid1(VALU_DEP_1)
	v_div_fixup_f64 v[212:213], v[212:213], v[236:237], v[238:239]
	v_fma_f64 v[214:215], v[238:239], v[212:213], v[236:237]
	s_delay_alu instid0(VALU_DEP_1) | instskip(NEXT) | instid1(VALU_DEP_1)
	v_div_scale_f64 v[216:217], null, v[214:215], v[214:215], 1.0
	v_rcp_f64_e32 v[218:219], v[216:217]
	s_waitcnt_depctr 0xfff
	v_fma_f64 v[220:221], -v[216:217], v[218:219], 1.0
	s_delay_alu instid0(VALU_DEP_1) | instskip(NEXT) | instid1(VALU_DEP_1)
	v_fma_f64 v[218:219], v[218:219], v[220:221], v[218:219]
	v_fma_f64 v[220:221], -v[216:217], v[218:219], 1.0
	s_delay_alu instid0(VALU_DEP_1) | instskip(SKIP_1) | instid1(VALU_DEP_1)
	v_fma_f64 v[218:219], v[218:219], v[220:221], v[218:219]
	v_div_scale_f64 v[220:221], vcc_lo, 1.0, v[214:215], 1.0
	v_mul_f64 v[222:223], v[220:221], v[218:219]
	s_delay_alu instid0(VALU_DEP_1) | instskip(NEXT) | instid1(VALU_DEP_1)
	v_fma_f64 v[216:217], -v[216:217], v[222:223], v[220:221]
	v_div_fmas_f64 v[216:217], v[216:217], v[218:219], v[222:223]
	s_delay_alu instid0(VALU_DEP_1) | instskip(NEXT) | instid1(VALU_DEP_1)
	v_div_fixup_f64 v[236:237], v[216:217], v[214:215], 1.0
	v_mul_f64 v[238:239], v[212:213], -v[236:237]
.LBB116_660:
	s_or_b32 exec_lo, exec_lo, s2
.LBB116_661:
	s_delay_alu instid0(SALU_CYCLE_1) | instskip(NEXT) | instid1(SALU_CYCLE_1)
	s_or_b32 exec_lo, exec_lo, s3
	s_mov_b32 s2, exec_lo
	v_cmpx_ne_u32_e64 v252, v244
	s_xor_b32 s2, exec_lo, s2
	s_cbranch_execz .LBB116_667
; %bb.662:
	s_mov_b32 s3, exec_lo
	v_cmpx_eq_u32_e32 31, v252
	s_cbranch_execz .LBB116_666
; %bb.663:
	v_cmp_ne_u32_e32 vcc_lo, 31, v244
	s_xor_b32 s4, s5, -1
	s_delay_alu instid0(SALU_CYCLE_1) | instskip(NEXT) | instid1(SALU_CYCLE_1)
	s_and_b32 s6, s4, vcc_lo
	s_and_saveexec_b32 s4, s6
	s_cbranch_execz .LBB116_665
; %bb.664:
	scratch_load_b64 v[208:209], off, off offset:16 ; 8-byte Folded Reload
	v_ashrrev_i32_e32 v245, 31, v244
	s_delay_alu instid0(VALU_DEP_1) | instskip(SKIP_1) | instid1(VALU_DEP_1)
	v_lshlrev_b64 v[212:213], 2, v[244:245]
	s_waitcnt vmcnt(0)
	v_add_co_u32 v212, vcc_lo, v208, v212
	s_delay_alu instid0(VALU_DEP_2)
	v_add_co_ci_u32_e32 v213, vcc_lo, v209, v213, vcc_lo
	s_clause 0x1
	flat_load_b32 v214, v[212:213]
	flat_load_b32 v215, v[208:209] offset:124
	s_waitcnt vmcnt(1) lgkmcnt(1)
	flat_store_b32 v[208:209], v214 offset:124
	s_waitcnt vmcnt(0) lgkmcnt(1)
	flat_store_b32 v[212:213], v215
.LBB116_665:
	s_or_b32 exec_lo, exec_lo, s4
	v_mov_b32_e32 v252, v244
	v_mov_b32_e32 v251, v244
.LBB116_666:
	s_or_b32 exec_lo, exec_lo, s3
.LBB116_667:
	s_and_not1_saveexec_b32 s2, s2
	s_cbranch_execz .LBB116_669
; %bb.668:
	v_mov_b32_e32 v252, 31
	ds_store_2addr_b64 v246, v[104:105], v[106:107] offset0:64 offset1:65
	ds_store_2addr_b64 v246, v[100:101], v[102:103] offset0:66 offset1:67
	ds_store_2addr_b64 v246, v[96:97], v[98:99] offset0:68 offset1:69
	ds_store_2addr_b64 v246, v[92:93], v[94:95] offset0:70 offset1:71
	ds_store_2addr_b64 v246, v[88:89], v[90:91] offset0:72 offset1:73
	ds_store_2addr_b64 v246, v[84:85], v[86:87] offset0:74 offset1:75
	ds_store_2addr_b64 v246, v[80:81], v[82:83] offset0:76 offset1:77
	ds_store_2addr_b64 v246, v[76:77], v[78:79] offset0:78 offset1:79
	ds_store_2addr_b64 v246, v[72:73], v[74:75] offset0:80 offset1:81
	ds_store_2addr_b64 v246, v[68:69], v[70:71] offset0:82 offset1:83
	ds_store_2addr_b64 v246, v[64:65], v[66:67] offset0:84 offset1:85
	ds_store_2addr_b64 v246, v[60:61], v[62:63] offset0:86 offset1:87
	ds_store_2addr_b64 v246, v[56:57], v[58:59] offset0:88 offset1:89
	ds_store_2addr_b64 v246, v[52:53], v[54:55] offset0:90 offset1:91
	ds_store_2addr_b64 v246, v[48:49], v[50:51] offset0:92 offset1:93
	ds_store_2addr_b64 v246, v[44:45], v[46:47] offset0:94 offset1:95
	ds_store_2addr_b64 v246, v[40:41], v[42:43] offset0:96 offset1:97
	ds_store_2addr_b64 v246, v[36:37], v[38:39] offset0:98 offset1:99
	ds_store_2addr_b64 v246, v[32:33], v[34:35] offset0:100 offset1:101
	ds_store_2addr_b64 v246, v[28:29], v[30:31] offset0:102 offset1:103
	ds_store_2addr_b64 v246, v[24:25], v[26:27] offset0:104 offset1:105
	ds_store_2addr_b64 v246, v[20:21], v[22:23] offset0:106 offset1:107
	ds_store_2addr_b64 v246, v[16:17], v[18:19] offset0:108 offset1:109
	ds_store_2addr_b64 v246, v[12:13], v[14:15] offset0:110 offset1:111
	ds_store_2addr_b64 v246, v[230:231], v[232:233] offset0:112 offset1:113
	ds_store_2addr_b64 v246, v[4:5], v[6:7] offset0:114 offset1:115
	ds_store_2addr_b64 v246, v[224:225], v[226:227] offset0:116 offset1:117
.LBB116_669:
	s_or_b32 exec_lo, exec_lo, s2
	s_delay_alu instid0(SALU_CYCLE_1)
	s_mov_b32 s2, exec_lo
	s_waitcnt lgkmcnt(0)
	s_waitcnt_vscnt null, 0x0
	s_barrier
	buffer_gl0_inv
	v_cmpx_lt_i32_e32 31, v252
	s_cbranch_execz .LBB116_671
; %bb.670:
	v_mul_f64 v[212:213], v[238:239], v[110:111]
	v_mul_f64 v[110:111], v[236:237], v[110:111]
	s_delay_alu instid0(VALU_DEP_2) | instskip(NEXT) | instid1(VALU_DEP_2)
	v_fma_f64 v[244:245], v[236:237], v[108:109], -v[212:213]
	v_fma_f64 v[110:111], v[238:239], v[108:109], v[110:111]
	ds_load_2addr_b64 v[236:239], v246 offset0:64 offset1:65
	s_waitcnt lgkmcnt(0)
	v_mul_f64 v[108:109], v[238:239], v[110:111]
	v_mul_f64 v[212:213], v[236:237], v[110:111]
	s_delay_alu instid0(VALU_DEP_2) | instskip(NEXT) | instid1(VALU_DEP_2)
	v_fma_f64 v[108:109], v[236:237], v[244:245], -v[108:109]
	v_fma_f64 v[212:213], v[238:239], v[244:245], v[212:213]
	ds_load_2addr_b64 v[236:239], v246 offset0:66 offset1:67
	v_add_f64 v[104:105], v[104:105], -v[108:109]
	v_add_f64 v[106:107], v[106:107], -v[212:213]
	s_waitcnt lgkmcnt(0)
	v_mul_f64 v[108:109], v[238:239], v[110:111]
	v_mul_f64 v[212:213], v[236:237], v[110:111]
	s_delay_alu instid0(VALU_DEP_2) | instskip(NEXT) | instid1(VALU_DEP_2)
	v_fma_f64 v[108:109], v[236:237], v[244:245], -v[108:109]
	v_fma_f64 v[212:213], v[238:239], v[244:245], v[212:213]
	ds_load_2addr_b64 v[236:239], v246 offset0:68 offset1:69
	v_add_f64 v[100:101], v[100:101], -v[108:109]
	v_add_f64 v[102:103], v[102:103], -v[212:213]
	;; [unrolled: 9-line block ×26, first 2 shown]
	s_waitcnt lgkmcnt(0)
	v_mul_f64 v[108:109], v[238:239], v[110:111]
	v_mul_f64 v[212:213], v[236:237], v[110:111]
	s_delay_alu instid0(VALU_DEP_2) | instskip(NEXT) | instid1(VALU_DEP_2)
	v_fma_f64 v[108:109], v[236:237], v[244:245], -v[108:109]
	v_fma_f64 v[212:213], v[238:239], v[244:245], v[212:213]
	s_delay_alu instid0(VALU_DEP_2) | instskip(NEXT) | instid1(VALU_DEP_2)
	v_add_f64 v[224:225], v[224:225], -v[108:109]
	v_add_f64 v[226:227], v[226:227], -v[212:213]
	v_dual_mov_b32 v108, v244 :: v_dual_mov_b32 v109, v245
.LBB116_671:
	s_or_b32 exec_lo, exec_lo, s2
	v_lshl_add_u32 v212, v252, 4, v246
	s_barrier
	buffer_gl0_inv
	v_mov_b32_e32 v244, 32
	ds_store_2addr_b64 v212, v[104:105], v[106:107] offset1:1
	s_waitcnt lgkmcnt(0)
	s_barrier
	buffer_gl0_inv
	ds_load_2addr_b64 v[236:239], v246 offset0:64 offset1:65
	s_cmp_lt_i32 s12, 34
	s_cbranch_scc1 .LBB116_674
; %bb.672:
	v_add3_u32 v245, v234, 0, 0x210
	v_mov_b32_e32 v244, 32
	s_mov_b32 s2, 33
	s_set_inst_prefetch_distance 0x1
	.p2align	6
.LBB116_673:                            ; =>This Inner Loop Header: Depth=1
	s_waitcnt lgkmcnt(0)
	v_cmp_gt_f64_e32 vcc_lo, 0, v[236:237]
	v_xor_b32_e32 v212, 0x80000000, v237
	v_xor_b32_e32 v214, 0x80000000, v239
	ds_load_2addr_b64 v[240:243], v245 offset1:1
	v_add_nc_u32_e32 v245, 16, v245
	s_waitcnt lgkmcnt(0)
	v_xor_b32_e32 v216, 0x80000000, v243
	v_cndmask_b32_e32 v213, v237, v212, vcc_lo
	v_cndmask_b32_e32 v212, v236, v236, vcc_lo
	v_cmp_gt_f64_e32 vcc_lo, 0, v[238:239]
	v_cndmask_b32_e32 v215, v239, v214, vcc_lo
	v_cndmask_b32_e32 v214, v238, v238, vcc_lo
	v_cmp_gt_f64_e32 vcc_lo, 0, v[240:241]
	s_delay_alu instid0(VALU_DEP_2) | instskip(SKIP_1) | instid1(VALU_DEP_1)
	v_add_f64 v[212:213], v[212:213], v[214:215]
	v_xor_b32_e32 v214, 0x80000000, v241
	v_dual_cndmask_b32 v215, v241, v214 :: v_dual_mov_b32 v214, v240
	v_cmp_gt_f64_e32 vcc_lo, 0, v[242:243]
	v_dual_cndmask_b32 v217, v243, v216 :: v_dual_mov_b32 v216, v242
	s_delay_alu instid0(VALU_DEP_1) | instskip(NEXT) | instid1(VALU_DEP_1)
	v_add_f64 v[214:215], v[214:215], v[216:217]
	v_cmp_lt_f64_e32 vcc_lo, v[212:213], v[214:215]
	v_dual_cndmask_b32 v237, v237, v241 :: v_dual_cndmask_b32 v236, v236, v240
	v_dual_cndmask_b32 v239, v239, v243 :: v_dual_cndmask_b32 v238, v238, v242
	v_cndmask_b32_e64 v244, v244, s2, vcc_lo
	s_add_i32 s2, s2, 1
	s_delay_alu instid0(SALU_CYCLE_1)
	s_cmp_lg_u32 s12, s2
	s_cbranch_scc1 .LBB116_673
.LBB116_674:
	s_set_inst_prefetch_distance 0x2
	s_waitcnt lgkmcnt(0)
	v_cmp_eq_f64_e32 vcc_lo, 0, v[236:237]
	v_cmp_eq_f64_e64 s2, 0, v[238:239]
	s_delay_alu instid0(VALU_DEP_1) | instskip(NEXT) | instid1(SALU_CYCLE_1)
	s_and_b32 s2, vcc_lo, s2
	s_and_saveexec_b32 s3, s2
	s_delay_alu instid0(SALU_CYCLE_1)
	s_xor_b32 s2, exec_lo, s3
; %bb.675:
	v_cmp_ne_u32_e32 vcc_lo, 0, v249
	v_cndmask_b32_e32 v249, 33, v249, vcc_lo
; %bb.676:
	s_and_not1_saveexec_b32 s3, s2
	s_cbranch_execz .LBB116_682
; %bb.677:
	v_cmp_gt_f64_e32 vcc_lo, 0, v[236:237]
	v_cmp_gt_f64_e64 s2, 0, v[238:239]
	v_xor_b32_e32 v212, 0x80000000, v237
	v_xor_b32_e32 v214, 0x80000000, v239
	s_delay_alu instid0(VALU_DEP_2) | instskip(NEXT) | instid1(VALU_DEP_2)
	v_cndmask_b32_e32 v213, v237, v212, vcc_lo
	v_cndmask_b32_e64 v215, v239, v214, s2
	v_cndmask_b32_e32 v212, v236, v236, vcc_lo
	v_cndmask_b32_e64 v214, v238, v238, s2
	s_mov_b32 s2, exec_lo
	s_delay_alu instid0(VALU_DEP_1)
	v_cmpx_ngt_f64_e32 v[212:213], v[214:215]
	s_xor_b32 s2, exec_lo, s2
	s_cbranch_execz .LBB116_679
; %bb.678:
	v_div_scale_f64 v[212:213], null, v[238:239], v[238:239], v[236:237]
	v_div_scale_f64 v[218:219], vcc_lo, v[236:237], v[238:239], v[236:237]
	s_delay_alu instid0(VALU_DEP_2) | instskip(SKIP_2) | instid1(VALU_DEP_1)
	v_rcp_f64_e32 v[214:215], v[212:213]
	s_waitcnt_depctr 0xfff
	v_fma_f64 v[216:217], -v[212:213], v[214:215], 1.0
	v_fma_f64 v[214:215], v[214:215], v[216:217], v[214:215]
	s_delay_alu instid0(VALU_DEP_1) | instskip(NEXT) | instid1(VALU_DEP_1)
	v_fma_f64 v[216:217], -v[212:213], v[214:215], 1.0
	v_fma_f64 v[214:215], v[214:215], v[216:217], v[214:215]
	s_delay_alu instid0(VALU_DEP_1) | instskip(NEXT) | instid1(VALU_DEP_1)
	v_mul_f64 v[216:217], v[218:219], v[214:215]
	v_fma_f64 v[212:213], -v[212:213], v[216:217], v[218:219]
	s_delay_alu instid0(VALU_DEP_1) | instskip(NEXT) | instid1(VALU_DEP_1)
	v_div_fmas_f64 v[212:213], v[212:213], v[214:215], v[216:217]
	v_div_fixup_f64 v[212:213], v[212:213], v[238:239], v[236:237]
	s_delay_alu instid0(VALU_DEP_1) | instskip(NEXT) | instid1(VALU_DEP_1)
	v_fma_f64 v[214:215], v[236:237], v[212:213], v[238:239]
	v_div_scale_f64 v[216:217], null, v[214:215], v[214:215], 1.0
	s_delay_alu instid0(VALU_DEP_1) | instskip(SKIP_2) | instid1(VALU_DEP_1)
	v_rcp_f64_e32 v[218:219], v[216:217]
	s_waitcnt_depctr 0xfff
	v_fma_f64 v[220:221], -v[216:217], v[218:219], 1.0
	v_fma_f64 v[218:219], v[218:219], v[220:221], v[218:219]
	s_delay_alu instid0(VALU_DEP_1) | instskip(NEXT) | instid1(VALU_DEP_1)
	v_fma_f64 v[220:221], -v[216:217], v[218:219], 1.0
	v_fma_f64 v[218:219], v[218:219], v[220:221], v[218:219]
	v_div_scale_f64 v[220:221], vcc_lo, 1.0, v[214:215], 1.0
	s_delay_alu instid0(VALU_DEP_1) | instskip(NEXT) | instid1(VALU_DEP_1)
	v_mul_f64 v[222:223], v[220:221], v[218:219]
	v_fma_f64 v[216:217], -v[216:217], v[222:223], v[220:221]
	s_delay_alu instid0(VALU_DEP_1) | instskip(NEXT) | instid1(VALU_DEP_1)
	v_div_fmas_f64 v[216:217], v[216:217], v[218:219], v[222:223]
	v_div_fixup_f64 v[238:239], v[216:217], v[214:215], 1.0
	s_delay_alu instid0(VALU_DEP_1)
	v_mul_f64 v[236:237], v[212:213], v[238:239]
	v_xor_b32_e32 v239, 0x80000000, v239
.LBB116_679:
	s_and_not1_saveexec_b32 s2, s2
	s_cbranch_execz .LBB116_681
; %bb.680:
	s_delay_alu instid0(VALU_DEP_1) | instskip(SKIP_1) | instid1(VALU_DEP_2)
	v_div_scale_f64 v[212:213], null, v[236:237], v[236:237], v[238:239]
	v_div_scale_f64 v[218:219], vcc_lo, v[238:239], v[236:237], v[238:239]
	v_rcp_f64_e32 v[214:215], v[212:213]
	s_waitcnt_depctr 0xfff
	v_fma_f64 v[216:217], -v[212:213], v[214:215], 1.0
	s_delay_alu instid0(VALU_DEP_1) | instskip(NEXT) | instid1(VALU_DEP_1)
	v_fma_f64 v[214:215], v[214:215], v[216:217], v[214:215]
	v_fma_f64 v[216:217], -v[212:213], v[214:215], 1.0
	s_delay_alu instid0(VALU_DEP_1) | instskip(NEXT) | instid1(VALU_DEP_1)
	v_fma_f64 v[214:215], v[214:215], v[216:217], v[214:215]
	v_mul_f64 v[216:217], v[218:219], v[214:215]
	s_delay_alu instid0(VALU_DEP_1) | instskip(NEXT) | instid1(VALU_DEP_1)
	v_fma_f64 v[212:213], -v[212:213], v[216:217], v[218:219]
	v_div_fmas_f64 v[212:213], v[212:213], v[214:215], v[216:217]
	s_delay_alu instid0(VALU_DEP_1) | instskip(NEXT) | instid1(VALU_DEP_1)
	v_div_fixup_f64 v[212:213], v[212:213], v[236:237], v[238:239]
	v_fma_f64 v[214:215], v[238:239], v[212:213], v[236:237]
	s_delay_alu instid0(VALU_DEP_1) | instskip(NEXT) | instid1(VALU_DEP_1)
	v_div_scale_f64 v[216:217], null, v[214:215], v[214:215], 1.0
	v_rcp_f64_e32 v[218:219], v[216:217]
	s_waitcnt_depctr 0xfff
	v_fma_f64 v[220:221], -v[216:217], v[218:219], 1.0
	s_delay_alu instid0(VALU_DEP_1) | instskip(NEXT) | instid1(VALU_DEP_1)
	v_fma_f64 v[218:219], v[218:219], v[220:221], v[218:219]
	v_fma_f64 v[220:221], -v[216:217], v[218:219], 1.0
	s_delay_alu instid0(VALU_DEP_1) | instskip(SKIP_1) | instid1(VALU_DEP_1)
	v_fma_f64 v[218:219], v[218:219], v[220:221], v[218:219]
	v_div_scale_f64 v[220:221], vcc_lo, 1.0, v[214:215], 1.0
	v_mul_f64 v[222:223], v[220:221], v[218:219]
	s_delay_alu instid0(VALU_DEP_1) | instskip(NEXT) | instid1(VALU_DEP_1)
	v_fma_f64 v[216:217], -v[216:217], v[222:223], v[220:221]
	v_div_fmas_f64 v[216:217], v[216:217], v[218:219], v[222:223]
	s_delay_alu instid0(VALU_DEP_1) | instskip(NEXT) | instid1(VALU_DEP_1)
	v_div_fixup_f64 v[236:237], v[216:217], v[214:215], 1.0
	v_mul_f64 v[238:239], v[212:213], -v[236:237]
.LBB116_681:
	s_or_b32 exec_lo, exec_lo, s2
.LBB116_682:
	s_delay_alu instid0(SALU_CYCLE_1) | instskip(NEXT) | instid1(SALU_CYCLE_1)
	s_or_b32 exec_lo, exec_lo, s3
	s_mov_b32 s2, exec_lo
	v_cmpx_ne_u32_e64 v252, v244
	s_xor_b32 s2, exec_lo, s2
	s_cbranch_execz .LBB116_688
; %bb.683:
	s_mov_b32 s3, exec_lo
	v_cmpx_eq_u32_e32 32, v252
	s_cbranch_execz .LBB116_687
; %bb.684:
	v_cmp_ne_u32_e32 vcc_lo, 32, v244
	s_xor_b32 s4, s5, -1
	s_delay_alu instid0(SALU_CYCLE_1) | instskip(NEXT) | instid1(SALU_CYCLE_1)
	s_and_b32 s6, s4, vcc_lo
	s_and_saveexec_b32 s4, s6
	s_cbranch_execz .LBB116_686
; %bb.685:
	scratch_load_b64 v[208:209], off, off offset:16 ; 8-byte Folded Reload
	v_ashrrev_i32_e32 v245, 31, v244
	s_delay_alu instid0(VALU_DEP_1) | instskip(SKIP_1) | instid1(VALU_DEP_1)
	v_lshlrev_b64 v[212:213], 2, v[244:245]
	s_waitcnt vmcnt(0)
	v_add_co_u32 v212, vcc_lo, v208, v212
	s_delay_alu instid0(VALU_DEP_2)
	v_add_co_ci_u32_e32 v213, vcc_lo, v209, v213, vcc_lo
	s_clause 0x1
	flat_load_b32 v214, v[212:213]
	flat_load_b32 v215, v[208:209] offset:128
	s_waitcnt vmcnt(1) lgkmcnt(1)
	flat_store_b32 v[208:209], v214 offset:128
	s_waitcnt vmcnt(0) lgkmcnt(1)
	flat_store_b32 v[212:213], v215
.LBB116_686:
	s_or_b32 exec_lo, exec_lo, s4
	v_mov_b32_e32 v252, v244
	v_mov_b32_e32 v251, v244
.LBB116_687:
	s_or_b32 exec_lo, exec_lo, s3
.LBB116_688:
	s_and_not1_saveexec_b32 s2, s2
	s_cbranch_execz .LBB116_690
; %bb.689:
	v_mov_b32_e32 v252, 32
	ds_store_2addr_b64 v246, v[100:101], v[102:103] offset0:66 offset1:67
	ds_store_2addr_b64 v246, v[96:97], v[98:99] offset0:68 offset1:69
	;; [unrolled: 1-line block ×26, first 2 shown]
.LBB116_690:
	s_or_b32 exec_lo, exec_lo, s2
	s_delay_alu instid0(SALU_CYCLE_1)
	s_mov_b32 s2, exec_lo
	s_waitcnt lgkmcnt(0)
	s_waitcnt_vscnt null, 0x0
	s_barrier
	buffer_gl0_inv
	v_cmpx_lt_i32_e32 32, v252
	s_cbranch_execz .LBB116_692
; %bb.691:
	v_mul_f64 v[212:213], v[238:239], v[106:107]
	v_mul_f64 v[106:107], v[236:237], v[106:107]
	s_delay_alu instid0(VALU_DEP_2) | instskip(NEXT) | instid1(VALU_DEP_2)
	v_fma_f64 v[244:245], v[236:237], v[104:105], -v[212:213]
	v_fma_f64 v[106:107], v[238:239], v[104:105], v[106:107]
	ds_load_2addr_b64 v[236:239], v246 offset0:66 offset1:67
	s_waitcnt lgkmcnt(0)
	v_mul_f64 v[104:105], v[238:239], v[106:107]
	v_mul_f64 v[212:213], v[236:237], v[106:107]
	s_delay_alu instid0(VALU_DEP_2) | instskip(NEXT) | instid1(VALU_DEP_2)
	v_fma_f64 v[104:105], v[236:237], v[244:245], -v[104:105]
	v_fma_f64 v[212:213], v[238:239], v[244:245], v[212:213]
	ds_load_2addr_b64 v[236:239], v246 offset0:68 offset1:69
	v_add_f64 v[100:101], v[100:101], -v[104:105]
	v_add_f64 v[102:103], v[102:103], -v[212:213]
	s_waitcnt lgkmcnt(0)
	v_mul_f64 v[104:105], v[238:239], v[106:107]
	v_mul_f64 v[212:213], v[236:237], v[106:107]
	s_delay_alu instid0(VALU_DEP_2) | instskip(NEXT) | instid1(VALU_DEP_2)
	v_fma_f64 v[104:105], v[236:237], v[244:245], -v[104:105]
	v_fma_f64 v[212:213], v[238:239], v[244:245], v[212:213]
	ds_load_2addr_b64 v[236:239], v246 offset0:70 offset1:71
	v_add_f64 v[96:97], v[96:97], -v[104:105]
	v_add_f64 v[98:99], v[98:99], -v[212:213]
	;; [unrolled: 9-line block ×25, first 2 shown]
	s_waitcnt lgkmcnt(0)
	v_mul_f64 v[104:105], v[238:239], v[106:107]
	v_mul_f64 v[212:213], v[236:237], v[106:107]
	s_delay_alu instid0(VALU_DEP_2) | instskip(NEXT) | instid1(VALU_DEP_2)
	v_fma_f64 v[104:105], v[236:237], v[244:245], -v[104:105]
	v_fma_f64 v[212:213], v[238:239], v[244:245], v[212:213]
	s_delay_alu instid0(VALU_DEP_2) | instskip(NEXT) | instid1(VALU_DEP_2)
	v_add_f64 v[224:225], v[224:225], -v[104:105]
	v_add_f64 v[226:227], v[226:227], -v[212:213]
	v_dual_mov_b32 v104, v244 :: v_dual_mov_b32 v105, v245
.LBB116_692:
	s_or_b32 exec_lo, exec_lo, s2
	v_lshl_add_u32 v212, v252, 4, v246
	s_barrier
	buffer_gl0_inv
	v_mov_b32_e32 v244, 33
	ds_store_2addr_b64 v212, v[100:101], v[102:103] offset1:1
	s_waitcnt lgkmcnt(0)
	s_barrier
	buffer_gl0_inv
	ds_load_2addr_b64 v[236:239], v246 offset0:66 offset1:67
	s_cmp_lt_i32 s12, 35
	s_cbranch_scc1 .LBB116_695
; %bb.693:
	v_add3_u32 v245, v234, 0, 0x220
	v_mov_b32_e32 v244, 33
	s_mov_b32 s2, 34
	s_set_inst_prefetch_distance 0x1
	.p2align	6
.LBB116_694:                            ; =>This Inner Loop Header: Depth=1
	s_waitcnt lgkmcnt(0)
	v_cmp_gt_f64_e32 vcc_lo, 0, v[236:237]
	v_xor_b32_e32 v212, 0x80000000, v237
	v_xor_b32_e32 v214, 0x80000000, v239
	ds_load_2addr_b64 v[240:243], v245 offset1:1
	v_add_nc_u32_e32 v245, 16, v245
	s_waitcnt lgkmcnt(0)
	v_xor_b32_e32 v216, 0x80000000, v243
	v_cndmask_b32_e32 v213, v237, v212, vcc_lo
	v_cndmask_b32_e32 v212, v236, v236, vcc_lo
	v_cmp_gt_f64_e32 vcc_lo, 0, v[238:239]
	v_cndmask_b32_e32 v215, v239, v214, vcc_lo
	v_cndmask_b32_e32 v214, v238, v238, vcc_lo
	v_cmp_gt_f64_e32 vcc_lo, 0, v[240:241]
	s_delay_alu instid0(VALU_DEP_2) | instskip(SKIP_1) | instid1(VALU_DEP_1)
	v_add_f64 v[212:213], v[212:213], v[214:215]
	v_xor_b32_e32 v214, 0x80000000, v241
	v_dual_cndmask_b32 v215, v241, v214 :: v_dual_mov_b32 v214, v240
	v_cmp_gt_f64_e32 vcc_lo, 0, v[242:243]
	v_dual_cndmask_b32 v217, v243, v216 :: v_dual_mov_b32 v216, v242
	s_delay_alu instid0(VALU_DEP_1) | instskip(NEXT) | instid1(VALU_DEP_1)
	v_add_f64 v[214:215], v[214:215], v[216:217]
	v_cmp_lt_f64_e32 vcc_lo, v[212:213], v[214:215]
	v_dual_cndmask_b32 v237, v237, v241 :: v_dual_cndmask_b32 v236, v236, v240
	v_dual_cndmask_b32 v239, v239, v243 :: v_dual_cndmask_b32 v238, v238, v242
	v_cndmask_b32_e64 v244, v244, s2, vcc_lo
	s_add_i32 s2, s2, 1
	s_delay_alu instid0(SALU_CYCLE_1)
	s_cmp_lg_u32 s12, s2
	s_cbranch_scc1 .LBB116_694
.LBB116_695:
	s_set_inst_prefetch_distance 0x2
	s_waitcnt lgkmcnt(0)
	v_cmp_eq_f64_e32 vcc_lo, 0, v[236:237]
	v_cmp_eq_f64_e64 s2, 0, v[238:239]
	s_delay_alu instid0(VALU_DEP_1) | instskip(NEXT) | instid1(SALU_CYCLE_1)
	s_and_b32 s2, vcc_lo, s2
	s_and_saveexec_b32 s3, s2
	s_delay_alu instid0(SALU_CYCLE_1)
	s_xor_b32 s2, exec_lo, s3
; %bb.696:
	v_cmp_ne_u32_e32 vcc_lo, 0, v249
	v_cndmask_b32_e32 v249, 34, v249, vcc_lo
; %bb.697:
	s_and_not1_saveexec_b32 s3, s2
	s_cbranch_execz .LBB116_703
; %bb.698:
	v_cmp_gt_f64_e32 vcc_lo, 0, v[236:237]
	v_cmp_gt_f64_e64 s2, 0, v[238:239]
	v_xor_b32_e32 v212, 0x80000000, v237
	v_xor_b32_e32 v214, 0x80000000, v239
	s_delay_alu instid0(VALU_DEP_2) | instskip(NEXT) | instid1(VALU_DEP_2)
	v_cndmask_b32_e32 v213, v237, v212, vcc_lo
	v_cndmask_b32_e64 v215, v239, v214, s2
	v_cndmask_b32_e32 v212, v236, v236, vcc_lo
	v_cndmask_b32_e64 v214, v238, v238, s2
	s_mov_b32 s2, exec_lo
	s_delay_alu instid0(VALU_DEP_1)
	v_cmpx_ngt_f64_e32 v[212:213], v[214:215]
	s_xor_b32 s2, exec_lo, s2
	s_cbranch_execz .LBB116_700
; %bb.699:
	v_div_scale_f64 v[212:213], null, v[238:239], v[238:239], v[236:237]
	v_div_scale_f64 v[218:219], vcc_lo, v[236:237], v[238:239], v[236:237]
	s_delay_alu instid0(VALU_DEP_2) | instskip(SKIP_2) | instid1(VALU_DEP_1)
	v_rcp_f64_e32 v[214:215], v[212:213]
	s_waitcnt_depctr 0xfff
	v_fma_f64 v[216:217], -v[212:213], v[214:215], 1.0
	v_fma_f64 v[214:215], v[214:215], v[216:217], v[214:215]
	s_delay_alu instid0(VALU_DEP_1) | instskip(NEXT) | instid1(VALU_DEP_1)
	v_fma_f64 v[216:217], -v[212:213], v[214:215], 1.0
	v_fma_f64 v[214:215], v[214:215], v[216:217], v[214:215]
	s_delay_alu instid0(VALU_DEP_1) | instskip(NEXT) | instid1(VALU_DEP_1)
	v_mul_f64 v[216:217], v[218:219], v[214:215]
	v_fma_f64 v[212:213], -v[212:213], v[216:217], v[218:219]
	s_delay_alu instid0(VALU_DEP_1) | instskip(NEXT) | instid1(VALU_DEP_1)
	v_div_fmas_f64 v[212:213], v[212:213], v[214:215], v[216:217]
	v_div_fixup_f64 v[212:213], v[212:213], v[238:239], v[236:237]
	s_delay_alu instid0(VALU_DEP_1) | instskip(NEXT) | instid1(VALU_DEP_1)
	v_fma_f64 v[214:215], v[236:237], v[212:213], v[238:239]
	v_div_scale_f64 v[216:217], null, v[214:215], v[214:215], 1.0
	s_delay_alu instid0(VALU_DEP_1) | instskip(SKIP_2) | instid1(VALU_DEP_1)
	v_rcp_f64_e32 v[218:219], v[216:217]
	s_waitcnt_depctr 0xfff
	v_fma_f64 v[220:221], -v[216:217], v[218:219], 1.0
	v_fma_f64 v[218:219], v[218:219], v[220:221], v[218:219]
	s_delay_alu instid0(VALU_DEP_1) | instskip(NEXT) | instid1(VALU_DEP_1)
	v_fma_f64 v[220:221], -v[216:217], v[218:219], 1.0
	v_fma_f64 v[218:219], v[218:219], v[220:221], v[218:219]
	v_div_scale_f64 v[220:221], vcc_lo, 1.0, v[214:215], 1.0
	s_delay_alu instid0(VALU_DEP_1) | instskip(NEXT) | instid1(VALU_DEP_1)
	v_mul_f64 v[222:223], v[220:221], v[218:219]
	v_fma_f64 v[216:217], -v[216:217], v[222:223], v[220:221]
	s_delay_alu instid0(VALU_DEP_1) | instskip(NEXT) | instid1(VALU_DEP_1)
	v_div_fmas_f64 v[216:217], v[216:217], v[218:219], v[222:223]
	v_div_fixup_f64 v[238:239], v[216:217], v[214:215], 1.0
	s_delay_alu instid0(VALU_DEP_1)
	v_mul_f64 v[236:237], v[212:213], v[238:239]
	v_xor_b32_e32 v239, 0x80000000, v239
.LBB116_700:
	s_and_not1_saveexec_b32 s2, s2
	s_cbranch_execz .LBB116_702
; %bb.701:
	s_delay_alu instid0(VALU_DEP_1) | instskip(SKIP_1) | instid1(VALU_DEP_2)
	v_div_scale_f64 v[212:213], null, v[236:237], v[236:237], v[238:239]
	v_div_scale_f64 v[218:219], vcc_lo, v[238:239], v[236:237], v[238:239]
	v_rcp_f64_e32 v[214:215], v[212:213]
	s_waitcnt_depctr 0xfff
	v_fma_f64 v[216:217], -v[212:213], v[214:215], 1.0
	s_delay_alu instid0(VALU_DEP_1) | instskip(NEXT) | instid1(VALU_DEP_1)
	v_fma_f64 v[214:215], v[214:215], v[216:217], v[214:215]
	v_fma_f64 v[216:217], -v[212:213], v[214:215], 1.0
	s_delay_alu instid0(VALU_DEP_1) | instskip(NEXT) | instid1(VALU_DEP_1)
	v_fma_f64 v[214:215], v[214:215], v[216:217], v[214:215]
	v_mul_f64 v[216:217], v[218:219], v[214:215]
	s_delay_alu instid0(VALU_DEP_1) | instskip(NEXT) | instid1(VALU_DEP_1)
	v_fma_f64 v[212:213], -v[212:213], v[216:217], v[218:219]
	v_div_fmas_f64 v[212:213], v[212:213], v[214:215], v[216:217]
	s_delay_alu instid0(VALU_DEP_1) | instskip(NEXT) | instid1(VALU_DEP_1)
	v_div_fixup_f64 v[212:213], v[212:213], v[236:237], v[238:239]
	v_fma_f64 v[214:215], v[238:239], v[212:213], v[236:237]
	s_delay_alu instid0(VALU_DEP_1) | instskip(NEXT) | instid1(VALU_DEP_1)
	v_div_scale_f64 v[216:217], null, v[214:215], v[214:215], 1.0
	v_rcp_f64_e32 v[218:219], v[216:217]
	s_waitcnt_depctr 0xfff
	v_fma_f64 v[220:221], -v[216:217], v[218:219], 1.0
	s_delay_alu instid0(VALU_DEP_1) | instskip(NEXT) | instid1(VALU_DEP_1)
	v_fma_f64 v[218:219], v[218:219], v[220:221], v[218:219]
	v_fma_f64 v[220:221], -v[216:217], v[218:219], 1.0
	s_delay_alu instid0(VALU_DEP_1) | instskip(SKIP_1) | instid1(VALU_DEP_1)
	v_fma_f64 v[218:219], v[218:219], v[220:221], v[218:219]
	v_div_scale_f64 v[220:221], vcc_lo, 1.0, v[214:215], 1.0
	v_mul_f64 v[222:223], v[220:221], v[218:219]
	s_delay_alu instid0(VALU_DEP_1) | instskip(NEXT) | instid1(VALU_DEP_1)
	v_fma_f64 v[216:217], -v[216:217], v[222:223], v[220:221]
	v_div_fmas_f64 v[216:217], v[216:217], v[218:219], v[222:223]
	s_delay_alu instid0(VALU_DEP_1) | instskip(NEXT) | instid1(VALU_DEP_1)
	v_div_fixup_f64 v[236:237], v[216:217], v[214:215], 1.0
	v_mul_f64 v[238:239], v[212:213], -v[236:237]
.LBB116_702:
	s_or_b32 exec_lo, exec_lo, s2
.LBB116_703:
	s_delay_alu instid0(SALU_CYCLE_1) | instskip(NEXT) | instid1(SALU_CYCLE_1)
	s_or_b32 exec_lo, exec_lo, s3
	s_mov_b32 s2, exec_lo
	v_cmpx_ne_u32_e64 v252, v244
	s_xor_b32 s2, exec_lo, s2
	s_cbranch_execz .LBB116_709
; %bb.704:
	s_mov_b32 s3, exec_lo
	v_cmpx_eq_u32_e32 33, v252
	s_cbranch_execz .LBB116_708
; %bb.705:
	v_cmp_ne_u32_e32 vcc_lo, 33, v244
	s_xor_b32 s4, s5, -1
	s_delay_alu instid0(SALU_CYCLE_1) | instskip(NEXT) | instid1(SALU_CYCLE_1)
	s_and_b32 s6, s4, vcc_lo
	s_and_saveexec_b32 s4, s6
	s_cbranch_execz .LBB116_707
; %bb.706:
	scratch_load_b64 v[208:209], off, off offset:16 ; 8-byte Folded Reload
	v_ashrrev_i32_e32 v245, 31, v244
	s_delay_alu instid0(VALU_DEP_1) | instskip(SKIP_1) | instid1(VALU_DEP_1)
	v_lshlrev_b64 v[212:213], 2, v[244:245]
	s_waitcnt vmcnt(0)
	v_add_co_u32 v212, vcc_lo, v208, v212
	s_delay_alu instid0(VALU_DEP_2)
	v_add_co_ci_u32_e32 v213, vcc_lo, v209, v213, vcc_lo
	s_clause 0x1
	flat_load_b32 v214, v[212:213]
	flat_load_b32 v215, v[208:209] offset:132
	s_waitcnt vmcnt(1) lgkmcnt(1)
	flat_store_b32 v[208:209], v214 offset:132
	s_waitcnt vmcnt(0) lgkmcnt(1)
	flat_store_b32 v[212:213], v215
.LBB116_707:
	s_or_b32 exec_lo, exec_lo, s4
	v_mov_b32_e32 v252, v244
	v_mov_b32_e32 v251, v244
.LBB116_708:
	s_or_b32 exec_lo, exec_lo, s3
.LBB116_709:
	s_and_not1_saveexec_b32 s2, s2
	s_cbranch_execz .LBB116_711
; %bb.710:
	v_mov_b32_e32 v252, 33
	ds_store_2addr_b64 v246, v[96:97], v[98:99] offset0:68 offset1:69
	ds_store_2addr_b64 v246, v[92:93], v[94:95] offset0:70 offset1:71
	;; [unrolled: 1-line block ×25, first 2 shown]
.LBB116_711:
	s_or_b32 exec_lo, exec_lo, s2
	s_delay_alu instid0(SALU_CYCLE_1)
	s_mov_b32 s2, exec_lo
	s_waitcnt lgkmcnt(0)
	s_waitcnt_vscnt null, 0x0
	s_barrier
	buffer_gl0_inv
	v_cmpx_lt_i32_e32 33, v252
	s_cbranch_execz .LBB116_713
; %bb.712:
	v_mul_f64 v[212:213], v[238:239], v[102:103]
	v_mul_f64 v[102:103], v[236:237], v[102:103]
	s_delay_alu instid0(VALU_DEP_2) | instskip(NEXT) | instid1(VALU_DEP_2)
	v_fma_f64 v[244:245], v[236:237], v[100:101], -v[212:213]
	v_fma_f64 v[102:103], v[238:239], v[100:101], v[102:103]
	ds_load_2addr_b64 v[236:239], v246 offset0:68 offset1:69
	s_waitcnt lgkmcnt(0)
	v_mul_f64 v[100:101], v[238:239], v[102:103]
	v_mul_f64 v[212:213], v[236:237], v[102:103]
	s_delay_alu instid0(VALU_DEP_2) | instskip(NEXT) | instid1(VALU_DEP_2)
	v_fma_f64 v[100:101], v[236:237], v[244:245], -v[100:101]
	v_fma_f64 v[212:213], v[238:239], v[244:245], v[212:213]
	ds_load_2addr_b64 v[236:239], v246 offset0:70 offset1:71
	v_add_f64 v[96:97], v[96:97], -v[100:101]
	v_add_f64 v[98:99], v[98:99], -v[212:213]
	s_waitcnt lgkmcnt(0)
	v_mul_f64 v[100:101], v[238:239], v[102:103]
	v_mul_f64 v[212:213], v[236:237], v[102:103]
	s_delay_alu instid0(VALU_DEP_2) | instskip(NEXT) | instid1(VALU_DEP_2)
	v_fma_f64 v[100:101], v[236:237], v[244:245], -v[100:101]
	v_fma_f64 v[212:213], v[238:239], v[244:245], v[212:213]
	ds_load_2addr_b64 v[236:239], v246 offset0:72 offset1:73
	v_add_f64 v[92:93], v[92:93], -v[100:101]
	v_add_f64 v[94:95], v[94:95], -v[212:213]
	;; [unrolled: 9-line block ×24, first 2 shown]
	s_waitcnt lgkmcnt(0)
	v_mul_f64 v[100:101], v[238:239], v[102:103]
	v_mul_f64 v[212:213], v[236:237], v[102:103]
	s_delay_alu instid0(VALU_DEP_2) | instskip(NEXT) | instid1(VALU_DEP_2)
	v_fma_f64 v[100:101], v[236:237], v[244:245], -v[100:101]
	v_fma_f64 v[212:213], v[238:239], v[244:245], v[212:213]
	s_delay_alu instid0(VALU_DEP_2) | instskip(NEXT) | instid1(VALU_DEP_2)
	v_add_f64 v[224:225], v[224:225], -v[100:101]
	v_add_f64 v[226:227], v[226:227], -v[212:213]
	v_dual_mov_b32 v100, v244 :: v_dual_mov_b32 v101, v245
.LBB116_713:
	s_or_b32 exec_lo, exec_lo, s2
	v_lshl_add_u32 v212, v252, 4, v246
	s_barrier
	buffer_gl0_inv
	v_mov_b32_e32 v244, 34
	ds_store_2addr_b64 v212, v[96:97], v[98:99] offset1:1
	s_waitcnt lgkmcnt(0)
	s_barrier
	buffer_gl0_inv
	ds_load_2addr_b64 v[236:239], v246 offset0:68 offset1:69
	s_cmp_lt_i32 s12, 36
	s_cbranch_scc1 .LBB116_716
; %bb.714:
	v_add3_u32 v245, v234, 0, 0x230
	v_mov_b32_e32 v244, 34
	s_mov_b32 s2, 35
	s_set_inst_prefetch_distance 0x1
	.p2align	6
.LBB116_715:                            ; =>This Inner Loop Header: Depth=1
	s_waitcnt lgkmcnt(0)
	v_cmp_gt_f64_e32 vcc_lo, 0, v[236:237]
	v_xor_b32_e32 v212, 0x80000000, v237
	v_xor_b32_e32 v214, 0x80000000, v239
	ds_load_2addr_b64 v[240:243], v245 offset1:1
	v_add_nc_u32_e32 v245, 16, v245
	s_waitcnt lgkmcnt(0)
	v_xor_b32_e32 v216, 0x80000000, v243
	v_cndmask_b32_e32 v213, v237, v212, vcc_lo
	v_cndmask_b32_e32 v212, v236, v236, vcc_lo
	v_cmp_gt_f64_e32 vcc_lo, 0, v[238:239]
	v_cndmask_b32_e32 v215, v239, v214, vcc_lo
	v_cndmask_b32_e32 v214, v238, v238, vcc_lo
	v_cmp_gt_f64_e32 vcc_lo, 0, v[240:241]
	s_delay_alu instid0(VALU_DEP_2) | instskip(SKIP_1) | instid1(VALU_DEP_1)
	v_add_f64 v[212:213], v[212:213], v[214:215]
	v_xor_b32_e32 v214, 0x80000000, v241
	v_dual_cndmask_b32 v215, v241, v214 :: v_dual_mov_b32 v214, v240
	v_cmp_gt_f64_e32 vcc_lo, 0, v[242:243]
	v_dual_cndmask_b32 v217, v243, v216 :: v_dual_mov_b32 v216, v242
	s_delay_alu instid0(VALU_DEP_1) | instskip(NEXT) | instid1(VALU_DEP_1)
	v_add_f64 v[214:215], v[214:215], v[216:217]
	v_cmp_lt_f64_e32 vcc_lo, v[212:213], v[214:215]
	v_dual_cndmask_b32 v237, v237, v241 :: v_dual_cndmask_b32 v236, v236, v240
	v_dual_cndmask_b32 v239, v239, v243 :: v_dual_cndmask_b32 v238, v238, v242
	v_cndmask_b32_e64 v244, v244, s2, vcc_lo
	s_add_i32 s2, s2, 1
	s_delay_alu instid0(SALU_CYCLE_1)
	s_cmp_lg_u32 s12, s2
	s_cbranch_scc1 .LBB116_715
.LBB116_716:
	s_set_inst_prefetch_distance 0x2
	s_waitcnt lgkmcnt(0)
	v_cmp_eq_f64_e32 vcc_lo, 0, v[236:237]
	v_cmp_eq_f64_e64 s2, 0, v[238:239]
	s_delay_alu instid0(VALU_DEP_1) | instskip(NEXT) | instid1(SALU_CYCLE_1)
	s_and_b32 s2, vcc_lo, s2
	s_and_saveexec_b32 s3, s2
	s_delay_alu instid0(SALU_CYCLE_1)
	s_xor_b32 s2, exec_lo, s3
; %bb.717:
	v_cmp_ne_u32_e32 vcc_lo, 0, v249
	v_cndmask_b32_e32 v249, 35, v249, vcc_lo
; %bb.718:
	s_and_not1_saveexec_b32 s3, s2
	s_cbranch_execz .LBB116_724
; %bb.719:
	v_cmp_gt_f64_e32 vcc_lo, 0, v[236:237]
	v_cmp_gt_f64_e64 s2, 0, v[238:239]
	v_xor_b32_e32 v212, 0x80000000, v237
	v_xor_b32_e32 v214, 0x80000000, v239
	s_delay_alu instid0(VALU_DEP_2) | instskip(NEXT) | instid1(VALU_DEP_2)
	v_cndmask_b32_e32 v213, v237, v212, vcc_lo
	v_cndmask_b32_e64 v215, v239, v214, s2
	v_cndmask_b32_e32 v212, v236, v236, vcc_lo
	v_cndmask_b32_e64 v214, v238, v238, s2
	s_mov_b32 s2, exec_lo
	s_delay_alu instid0(VALU_DEP_1)
	v_cmpx_ngt_f64_e32 v[212:213], v[214:215]
	s_xor_b32 s2, exec_lo, s2
	s_cbranch_execz .LBB116_721
; %bb.720:
	v_div_scale_f64 v[212:213], null, v[238:239], v[238:239], v[236:237]
	v_div_scale_f64 v[218:219], vcc_lo, v[236:237], v[238:239], v[236:237]
	s_delay_alu instid0(VALU_DEP_2) | instskip(SKIP_2) | instid1(VALU_DEP_1)
	v_rcp_f64_e32 v[214:215], v[212:213]
	s_waitcnt_depctr 0xfff
	v_fma_f64 v[216:217], -v[212:213], v[214:215], 1.0
	v_fma_f64 v[214:215], v[214:215], v[216:217], v[214:215]
	s_delay_alu instid0(VALU_DEP_1) | instskip(NEXT) | instid1(VALU_DEP_1)
	v_fma_f64 v[216:217], -v[212:213], v[214:215], 1.0
	v_fma_f64 v[214:215], v[214:215], v[216:217], v[214:215]
	s_delay_alu instid0(VALU_DEP_1) | instskip(NEXT) | instid1(VALU_DEP_1)
	v_mul_f64 v[216:217], v[218:219], v[214:215]
	v_fma_f64 v[212:213], -v[212:213], v[216:217], v[218:219]
	s_delay_alu instid0(VALU_DEP_1) | instskip(NEXT) | instid1(VALU_DEP_1)
	v_div_fmas_f64 v[212:213], v[212:213], v[214:215], v[216:217]
	v_div_fixup_f64 v[212:213], v[212:213], v[238:239], v[236:237]
	s_delay_alu instid0(VALU_DEP_1) | instskip(NEXT) | instid1(VALU_DEP_1)
	v_fma_f64 v[214:215], v[236:237], v[212:213], v[238:239]
	v_div_scale_f64 v[216:217], null, v[214:215], v[214:215], 1.0
	s_delay_alu instid0(VALU_DEP_1) | instskip(SKIP_2) | instid1(VALU_DEP_1)
	v_rcp_f64_e32 v[218:219], v[216:217]
	s_waitcnt_depctr 0xfff
	v_fma_f64 v[220:221], -v[216:217], v[218:219], 1.0
	v_fma_f64 v[218:219], v[218:219], v[220:221], v[218:219]
	s_delay_alu instid0(VALU_DEP_1) | instskip(NEXT) | instid1(VALU_DEP_1)
	v_fma_f64 v[220:221], -v[216:217], v[218:219], 1.0
	v_fma_f64 v[218:219], v[218:219], v[220:221], v[218:219]
	v_div_scale_f64 v[220:221], vcc_lo, 1.0, v[214:215], 1.0
	s_delay_alu instid0(VALU_DEP_1) | instskip(NEXT) | instid1(VALU_DEP_1)
	v_mul_f64 v[222:223], v[220:221], v[218:219]
	v_fma_f64 v[216:217], -v[216:217], v[222:223], v[220:221]
	s_delay_alu instid0(VALU_DEP_1) | instskip(NEXT) | instid1(VALU_DEP_1)
	v_div_fmas_f64 v[216:217], v[216:217], v[218:219], v[222:223]
	v_div_fixup_f64 v[238:239], v[216:217], v[214:215], 1.0
	s_delay_alu instid0(VALU_DEP_1)
	v_mul_f64 v[236:237], v[212:213], v[238:239]
	v_xor_b32_e32 v239, 0x80000000, v239
.LBB116_721:
	s_and_not1_saveexec_b32 s2, s2
	s_cbranch_execz .LBB116_723
; %bb.722:
	s_delay_alu instid0(VALU_DEP_1) | instskip(SKIP_1) | instid1(VALU_DEP_2)
	v_div_scale_f64 v[212:213], null, v[236:237], v[236:237], v[238:239]
	v_div_scale_f64 v[218:219], vcc_lo, v[238:239], v[236:237], v[238:239]
	v_rcp_f64_e32 v[214:215], v[212:213]
	s_waitcnt_depctr 0xfff
	v_fma_f64 v[216:217], -v[212:213], v[214:215], 1.0
	s_delay_alu instid0(VALU_DEP_1) | instskip(NEXT) | instid1(VALU_DEP_1)
	v_fma_f64 v[214:215], v[214:215], v[216:217], v[214:215]
	v_fma_f64 v[216:217], -v[212:213], v[214:215], 1.0
	s_delay_alu instid0(VALU_DEP_1) | instskip(NEXT) | instid1(VALU_DEP_1)
	v_fma_f64 v[214:215], v[214:215], v[216:217], v[214:215]
	v_mul_f64 v[216:217], v[218:219], v[214:215]
	s_delay_alu instid0(VALU_DEP_1) | instskip(NEXT) | instid1(VALU_DEP_1)
	v_fma_f64 v[212:213], -v[212:213], v[216:217], v[218:219]
	v_div_fmas_f64 v[212:213], v[212:213], v[214:215], v[216:217]
	s_delay_alu instid0(VALU_DEP_1) | instskip(NEXT) | instid1(VALU_DEP_1)
	v_div_fixup_f64 v[212:213], v[212:213], v[236:237], v[238:239]
	v_fma_f64 v[214:215], v[238:239], v[212:213], v[236:237]
	s_delay_alu instid0(VALU_DEP_1) | instskip(NEXT) | instid1(VALU_DEP_1)
	v_div_scale_f64 v[216:217], null, v[214:215], v[214:215], 1.0
	v_rcp_f64_e32 v[218:219], v[216:217]
	s_waitcnt_depctr 0xfff
	v_fma_f64 v[220:221], -v[216:217], v[218:219], 1.0
	s_delay_alu instid0(VALU_DEP_1) | instskip(NEXT) | instid1(VALU_DEP_1)
	v_fma_f64 v[218:219], v[218:219], v[220:221], v[218:219]
	v_fma_f64 v[220:221], -v[216:217], v[218:219], 1.0
	s_delay_alu instid0(VALU_DEP_1) | instskip(SKIP_1) | instid1(VALU_DEP_1)
	v_fma_f64 v[218:219], v[218:219], v[220:221], v[218:219]
	v_div_scale_f64 v[220:221], vcc_lo, 1.0, v[214:215], 1.0
	v_mul_f64 v[222:223], v[220:221], v[218:219]
	s_delay_alu instid0(VALU_DEP_1) | instskip(NEXT) | instid1(VALU_DEP_1)
	v_fma_f64 v[216:217], -v[216:217], v[222:223], v[220:221]
	v_div_fmas_f64 v[216:217], v[216:217], v[218:219], v[222:223]
	s_delay_alu instid0(VALU_DEP_1) | instskip(NEXT) | instid1(VALU_DEP_1)
	v_div_fixup_f64 v[236:237], v[216:217], v[214:215], 1.0
	v_mul_f64 v[238:239], v[212:213], -v[236:237]
.LBB116_723:
	s_or_b32 exec_lo, exec_lo, s2
.LBB116_724:
	s_delay_alu instid0(SALU_CYCLE_1) | instskip(NEXT) | instid1(SALU_CYCLE_1)
	s_or_b32 exec_lo, exec_lo, s3
	s_mov_b32 s2, exec_lo
	v_cmpx_ne_u32_e64 v252, v244
	s_xor_b32 s2, exec_lo, s2
	s_cbranch_execz .LBB116_730
; %bb.725:
	s_mov_b32 s3, exec_lo
	v_cmpx_eq_u32_e32 34, v252
	s_cbranch_execz .LBB116_729
; %bb.726:
	v_cmp_ne_u32_e32 vcc_lo, 34, v244
	s_xor_b32 s4, s5, -1
	s_delay_alu instid0(SALU_CYCLE_1) | instskip(NEXT) | instid1(SALU_CYCLE_1)
	s_and_b32 s6, s4, vcc_lo
	s_and_saveexec_b32 s4, s6
	s_cbranch_execz .LBB116_728
; %bb.727:
	scratch_load_b64 v[208:209], off, off offset:16 ; 8-byte Folded Reload
	v_ashrrev_i32_e32 v245, 31, v244
	s_delay_alu instid0(VALU_DEP_1) | instskip(SKIP_1) | instid1(VALU_DEP_1)
	v_lshlrev_b64 v[212:213], 2, v[244:245]
	s_waitcnt vmcnt(0)
	v_add_co_u32 v212, vcc_lo, v208, v212
	s_delay_alu instid0(VALU_DEP_2)
	v_add_co_ci_u32_e32 v213, vcc_lo, v209, v213, vcc_lo
	s_clause 0x1
	flat_load_b32 v214, v[212:213]
	flat_load_b32 v215, v[208:209] offset:136
	s_waitcnt vmcnt(1) lgkmcnt(1)
	flat_store_b32 v[208:209], v214 offset:136
	s_waitcnt vmcnt(0) lgkmcnt(1)
	flat_store_b32 v[212:213], v215
.LBB116_728:
	s_or_b32 exec_lo, exec_lo, s4
	v_mov_b32_e32 v252, v244
	v_mov_b32_e32 v251, v244
.LBB116_729:
	s_or_b32 exec_lo, exec_lo, s3
.LBB116_730:
	s_and_not1_saveexec_b32 s2, s2
	s_cbranch_execz .LBB116_732
; %bb.731:
	v_mov_b32_e32 v252, 34
	ds_store_2addr_b64 v246, v[92:93], v[94:95] offset0:70 offset1:71
	ds_store_2addr_b64 v246, v[88:89], v[90:91] offset0:72 offset1:73
	;; [unrolled: 1-line block ×24, first 2 shown]
.LBB116_732:
	s_or_b32 exec_lo, exec_lo, s2
	s_delay_alu instid0(SALU_CYCLE_1)
	s_mov_b32 s2, exec_lo
	s_waitcnt lgkmcnt(0)
	s_waitcnt_vscnt null, 0x0
	s_barrier
	buffer_gl0_inv
	v_cmpx_lt_i32_e32 34, v252
	s_cbranch_execz .LBB116_734
; %bb.733:
	v_mul_f64 v[212:213], v[238:239], v[98:99]
	v_mul_f64 v[98:99], v[236:237], v[98:99]
	s_delay_alu instid0(VALU_DEP_2) | instskip(NEXT) | instid1(VALU_DEP_2)
	v_fma_f64 v[244:245], v[236:237], v[96:97], -v[212:213]
	v_fma_f64 v[98:99], v[238:239], v[96:97], v[98:99]
	ds_load_2addr_b64 v[236:239], v246 offset0:70 offset1:71
	s_waitcnt lgkmcnt(0)
	v_mul_f64 v[96:97], v[238:239], v[98:99]
	v_mul_f64 v[212:213], v[236:237], v[98:99]
	s_delay_alu instid0(VALU_DEP_2) | instskip(NEXT) | instid1(VALU_DEP_2)
	v_fma_f64 v[96:97], v[236:237], v[244:245], -v[96:97]
	v_fma_f64 v[212:213], v[238:239], v[244:245], v[212:213]
	ds_load_2addr_b64 v[236:239], v246 offset0:72 offset1:73
	v_add_f64 v[92:93], v[92:93], -v[96:97]
	v_add_f64 v[94:95], v[94:95], -v[212:213]
	s_waitcnt lgkmcnt(0)
	v_mul_f64 v[96:97], v[238:239], v[98:99]
	v_mul_f64 v[212:213], v[236:237], v[98:99]
	s_delay_alu instid0(VALU_DEP_2) | instskip(NEXT) | instid1(VALU_DEP_2)
	v_fma_f64 v[96:97], v[236:237], v[244:245], -v[96:97]
	v_fma_f64 v[212:213], v[238:239], v[244:245], v[212:213]
	ds_load_2addr_b64 v[236:239], v246 offset0:74 offset1:75
	v_add_f64 v[88:89], v[88:89], -v[96:97]
	v_add_f64 v[90:91], v[90:91], -v[212:213]
	;; [unrolled: 9-line block ×23, first 2 shown]
	s_waitcnt lgkmcnt(0)
	v_mul_f64 v[96:97], v[238:239], v[98:99]
	v_mul_f64 v[212:213], v[236:237], v[98:99]
	s_delay_alu instid0(VALU_DEP_2) | instskip(NEXT) | instid1(VALU_DEP_2)
	v_fma_f64 v[96:97], v[236:237], v[244:245], -v[96:97]
	v_fma_f64 v[212:213], v[238:239], v[244:245], v[212:213]
	s_delay_alu instid0(VALU_DEP_2) | instskip(NEXT) | instid1(VALU_DEP_2)
	v_add_f64 v[224:225], v[224:225], -v[96:97]
	v_add_f64 v[226:227], v[226:227], -v[212:213]
	v_dual_mov_b32 v96, v244 :: v_dual_mov_b32 v97, v245
.LBB116_734:
	s_or_b32 exec_lo, exec_lo, s2
	v_lshl_add_u32 v212, v252, 4, v246
	s_barrier
	buffer_gl0_inv
	v_mov_b32_e32 v244, 35
	ds_store_2addr_b64 v212, v[92:93], v[94:95] offset1:1
	s_waitcnt lgkmcnt(0)
	s_barrier
	buffer_gl0_inv
	ds_load_2addr_b64 v[236:239], v246 offset0:70 offset1:71
	s_cmp_lt_i32 s12, 37
	s_cbranch_scc1 .LBB116_737
; %bb.735:
	v_add3_u32 v245, v234, 0, 0x240
	v_mov_b32_e32 v244, 35
	s_mov_b32 s2, 36
	s_set_inst_prefetch_distance 0x1
	.p2align	6
.LBB116_736:                            ; =>This Inner Loop Header: Depth=1
	s_waitcnt lgkmcnt(0)
	v_cmp_gt_f64_e32 vcc_lo, 0, v[236:237]
	v_xor_b32_e32 v212, 0x80000000, v237
	v_xor_b32_e32 v214, 0x80000000, v239
	ds_load_2addr_b64 v[240:243], v245 offset1:1
	v_add_nc_u32_e32 v245, 16, v245
	s_waitcnt lgkmcnt(0)
	v_xor_b32_e32 v216, 0x80000000, v243
	v_cndmask_b32_e32 v213, v237, v212, vcc_lo
	v_cndmask_b32_e32 v212, v236, v236, vcc_lo
	v_cmp_gt_f64_e32 vcc_lo, 0, v[238:239]
	v_cndmask_b32_e32 v215, v239, v214, vcc_lo
	v_cndmask_b32_e32 v214, v238, v238, vcc_lo
	v_cmp_gt_f64_e32 vcc_lo, 0, v[240:241]
	s_delay_alu instid0(VALU_DEP_2) | instskip(SKIP_1) | instid1(VALU_DEP_1)
	v_add_f64 v[212:213], v[212:213], v[214:215]
	v_xor_b32_e32 v214, 0x80000000, v241
	v_dual_cndmask_b32 v215, v241, v214 :: v_dual_mov_b32 v214, v240
	v_cmp_gt_f64_e32 vcc_lo, 0, v[242:243]
	v_dual_cndmask_b32 v217, v243, v216 :: v_dual_mov_b32 v216, v242
	s_delay_alu instid0(VALU_DEP_1) | instskip(NEXT) | instid1(VALU_DEP_1)
	v_add_f64 v[214:215], v[214:215], v[216:217]
	v_cmp_lt_f64_e32 vcc_lo, v[212:213], v[214:215]
	v_dual_cndmask_b32 v237, v237, v241 :: v_dual_cndmask_b32 v236, v236, v240
	v_dual_cndmask_b32 v239, v239, v243 :: v_dual_cndmask_b32 v238, v238, v242
	v_cndmask_b32_e64 v244, v244, s2, vcc_lo
	s_add_i32 s2, s2, 1
	s_delay_alu instid0(SALU_CYCLE_1)
	s_cmp_lg_u32 s12, s2
	s_cbranch_scc1 .LBB116_736
.LBB116_737:
	s_set_inst_prefetch_distance 0x2
	s_waitcnt lgkmcnt(0)
	v_cmp_eq_f64_e32 vcc_lo, 0, v[236:237]
	v_cmp_eq_f64_e64 s2, 0, v[238:239]
	s_delay_alu instid0(VALU_DEP_1) | instskip(NEXT) | instid1(SALU_CYCLE_1)
	s_and_b32 s2, vcc_lo, s2
	s_and_saveexec_b32 s3, s2
	s_delay_alu instid0(SALU_CYCLE_1)
	s_xor_b32 s2, exec_lo, s3
; %bb.738:
	v_cmp_ne_u32_e32 vcc_lo, 0, v249
	v_cndmask_b32_e32 v249, 36, v249, vcc_lo
; %bb.739:
	s_and_not1_saveexec_b32 s3, s2
	s_cbranch_execz .LBB116_745
; %bb.740:
	v_cmp_gt_f64_e32 vcc_lo, 0, v[236:237]
	v_cmp_gt_f64_e64 s2, 0, v[238:239]
	v_xor_b32_e32 v212, 0x80000000, v237
	v_xor_b32_e32 v214, 0x80000000, v239
	s_delay_alu instid0(VALU_DEP_2) | instskip(NEXT) | instid1(VALU_DEP_2)
	v_cndmask_b32_e32 v213, v237, v212, vcc_lo
	v_cndmask_b32_e64 v215, v239, v214, s2
	v_cndmask_b32_e32 v212, v236, v236, vcc_lo
	v_cndmask_b32_e64 v214, v238, v238, s2
	s_mov_b32 s2, exec_lo
	s_delay_alu instid0(VALU_DEP_1)
	v_cmpx_ngt_f64_e32 v[212:213], v[214:215]
	s_xor_b32 s2, exec_lo, s2
	s_cbranch_execz .LBB116_742
; %bb.741:
	v_div_scale_f64 v[212:213], null, v[238:239], v[238:239], v[236:237]
	v_div_scale_f64 v[218:219], vcc_lo, v[236:237], v[238:239], v[236:237]
	s_delay_alu instid0(VALU_DEP_2) | instskip(SKIP_2) | instid1(VALU_DEP_1)
	v_rcp_f64_e32 v[214:215], v[212:213]
	s_waitcnt_depctr 0xfff
	v_fma_f64 v[216:217], -v[212:213], v[214:215], 1.0
	v_fma_f64 v[214:215], v[214:215], v[216:217], v[214:215]
	s_delay_alu instid0(VALU_DEP_1) | instskip(NEXT) | instid1(VALU_DEP_1)
	v_fma_f64 v[216:217], -v[212:213], v[214:215], 1.0
	v_fma_f64 v[214:215], v[214:215], v[216:217], v[214:215]
	s_delay_alu instid0(VALU_DEP_1) | instskip(NEXT) | instid1(VALU_DEP_1)
	v_mul_f64 v[216:217], v[218:219], v[214:215]
	v_fma_f64 v[212:213], -v[212:213], v[216:217], v[218:219]
	s_delay_alu instid0(VALU_DEP_1) | instskip(NEXT) | instid1(VALU_DEP_1)
	v_div_fmas_f64 v[212:213], v[212:213], v[214:215], v[216:217]
	v_div_fixup_f64 v[212:213], v[212:213], v[238:239], v[236:237]
	s_delay_alu instid0(VALU_DEP_1) | instskip(NEXT) | instid1(VALU_DEP_1)
	v_fma_f64 v[214:215], v[236:237], v[212:213], v[238:239]
	v_div_scale_f64 v[216:217], null, v[214:215], v[214:215], 1.0
	s_delay_alu instid0(VALU_DEP_1) | instskip(SKIP_2) | instid1(VALU_DEP_1)
	v_rcp_f64_e32 v[218:219], v[216:217]
	s_waitcnt_depctr 0xfff
	v_fma_f64 v[220:221], -v[216:217], v[218:219], 1.0
	v_fma_f64 v[218:219], v[218:219], v[220:221], v[218:219]
	s_delay_alu instid0(VALU_DEP_1) | instskip(NEXT) | instid1(VALU_DEP_1)
	v_fma_f64 v[220:221], -v[216:217], v[218:219], 1.0
	v_fma_f64 v[218:219], v[218:219], v[220:221], v[218:219]
	v_div_scale_f64 v[220:221], vcc_lo, 1.0, v[214:215], 1.0
	s_delay_alu instid0(VALU_DEP_1) | instskip(NEXT) | instid1(VALU_DEP_1)
	v_mul_f64 v[222:223], v[220:221], v[218:219]
	v_fma_f64 v[216:217], -v[216:217], v[222:223], v[220:221]
	s_delay_alu instid0(VALU_DEP_1) | instskip(NEXT) | instid1(VALU_DEP_1)
	v_div_fmas_f64 v[216:217], v[216:217], v[218:219], v[222:223]
	v_div_fixup_f64 v[238:239], v[216:217], v[214:215], 1.0
	s_delay_alu instid0(VALU_DEP_1)
	v_mul_f64 v[236:237], v[212:213], v[238:239]
	v_xor_b32_e32 v239, 0x80000000, v239
.LBB116_742:
	s_and_not1_saveexec_b32 s2, s2
	s_cbranch_execz .LBB116_744
; %bb.743:
	s_delay_alu instid0(VALU_DEP_1) | instskip(SKIP_1) | instid1(VALU_DEP_2)
	v_div_scale_f64 v[212:213], null, v[236:237], v[236:237], v[238:239]
	v_div_scale_f64 v[218:219], vcc_lo, v[238:239], v[236:237], v[238:239]
	v_rcp_f64_e32 v[214:215], v[212:213]
	s_waitcnt_depctr 0xfff
	v_fma_f64 v[216:217], -v[212:213], v[214:215], 1.0
	s_delay_alu instid0(VALU_DEP_1) | instskip(NEXT) | instid1(VALU_DEP_1)
	v_fma_f64 v[214:215], v[214:215], v[216:217], v[214:215]
	v_fma_f64 v[216:217], -v[212:213], v[214:215], 1.0
	s_delay_alu instid0(VALU_DEP_1) | instskip(NEXT) | instid1(VALU_DEP_1)
	v_fma_f64 v[214:215], v[214:215], v[216:217], v[214:215]
	v_mul_f64 v[216:217], v[218:219], v[214:215]
	s_delay_alu instid0(VALU_DEP_1) | instskip(NEXT) | instid1(VALU_DEP_1)
	v_fma_f64 v[212:213], -v[212:213], v[216:217], v[218:219]
	v_div_fmas_f64 v[212:213], v[212:213], v[214:215], v[216:217]
	s_delay_alu instid0(VALU_DEP_1) | instskip(NEXT) | instid1(VALU_DEP_1)
	v_div_fixup_f64 v[212:213], v[212:213], v[236:237], v[238:239]
	v_fma_f64 v[214:215], v[238:239], v[212:213], v[236:237]
	s_delay_alu instid0(VALU_DEP_1) | instskip(NEXT) | instid1(VALU_DEP_1)
	v_div_scale_f64 v[216:217], null, v[214:215], v[214:215], 1.0
	v_rcp_f64_e32 v[218:219], v[216:217]
	s_waitcnt_depctr 0xfff
	v_fma_f64 v[220:221], -v[216:217], v[218:219], 1.0
	s_delay_alu instid0(VALU_DEP_1) | instskip(NEXT) | instid1(VALU_DEP_1)
	v_fma_f64 v[218:219], v[218:219], v[220:221], v[218:219]
	v_fma_f64 v[220:221], -v[216:217], v[218:219], 1.0
	s_delay_alu instid0(VALU_DEP_1) | instskip(SKIP_1) | instid1(VALU_DEP_1)
	v_fma_f64 v[218:219], v[218:219], v[220:221], v[218:219]
	v_div_scale_f64 v[220:221], vcc_lo, 1.0, v[214:215], 1.0
	v_mul_f64 v[222:223], v[220:221], v[218:219]
	s_delay_alu instid0(VALU_DEP_1) | instskip(NEXT) | instid1(VALU_DEP_1)
	v_fma_f64 v[216:217], -v[216:217], v[222:223], v[220:221]
	v_div_fmas_f64 v[216:217], v[216:217], v[218:219], v[222:223]
	s_delay_alu instid0(VALU_DEP_1) | instskip(NEXT) | instid1(VALU_DEP_1)
	v_div_fixup_f64 v[236:237], v[216:217], v[214:215], 1.0
	v_mul_f64 v[238:239], v[212:213], -v[236:237]
.LBB116_744:
	s_or_b32 exec_lo, exec_lo, s2
.LBB116_745:
	s_delay_alu instid0(SALU_CYCLE_1) | instskip(NEXT) | instid1(SALU_CYCLE_1)
	s_or_b32 exec_lo, exec_lo, s3
	s_mov_b32 s2, exec_lo
	v_cmpx_ne_u32_e64 v252, v244
	s_xor_b32 s2, exec_lo, s2
	s_cbranch_execz .LBB116_751
; %bb.746:
	s_mov_b32 s3, exec_lo
	v_cmpx_eq_u32_e32 35, v252
	s_cbranch_execz .LBB116_750
; %bb.747:
	v_cmp_ne_u32_e32 vcc_lo, 35, v244
	s_xor_b32 s4, s5, -1
	s_delay_alu instid0(SALU_CYCLE_1) | instskip(NEXT) | instid1(SALU_CYCLE_1)
	s_and_b32 s6, s4, vcc_lo
	s_and_saveexec_b32 s4, s6
	s_cbranch_execz .LBB116_749
; %bb.748:
	scratch_load_b64 v[208:209], off, off offset:16 ; 8-byte Folded Reload
	v_ashrrev_i32_e32 v245, 31, v244
	s_delay_alu instid0(VALU_DEP_1) | instskip(SKIP_1) | instid1(VALU_DEP_1)
	v_lshlrev_b64 v[212:213], 2, v[244:245]
	s_waitcnt vmcnt(0)
	v_add_co_u32 v212, vcc_lo, v208, v212
	s_delay_alu instid0(VALU_DEP_2)
	v_add_co_ci_u32_e32 v213, vcc_lo, v209, v213, vcc_lo
	s_clause 0x1
	flat_load_b32 v214, v[212:213]
	flat_load_b32 v215, v[208:209] offset:140
	s_waitcnt vmcnt(1) lgkmcnt(1)
	flat_store_b32 v[208:209], v214 offset:140
	s_waitcnt vmcnt(0) lgkmcnt(1)
	flat_store_b32 v[212:213], v215
.LBB116_749:
	s_or_b32 exec_lo, exec_lo, s4
	v_mov_b32_e32 v252, v244
	v_mov_b32_e32 v251, v244
.LBB116_750:
	s_or_b32 exec_lo, exec_lo, s3
.LBB116_751:
	s_and_not1_saveexec_b32 s2, s2
	s_cbranch_execz .LBB116_753
; %bb.752:
	v_mov_b32_e32 v252, 35
	ds_store_2addr_b64 v246, v[88:89], v[90:91] offset0:72 offset1:73
	ds_store_2addr_b64 v246, v[84:85], v[86:87] offset0:74 offset1:75
	;; [unrolled: 1-line block ×23, first 2 shown]
.LBB116_753:
	s_or_b32 exec_lo, exec_lo, s2
	s_delay_alu instid0(SALU_CYCLE_1)
	s_mov_b32 s2, exec_lo
	s_waitcnt lgkmcnt(0)
	s_waitcnt_vscnt null, 0x0
	s_barrier
	buffer_gl0_inv
	v_cmpx_lt_i32_e32 35, v252
	s_cbranch_execz .LBB116_755
; %bb.754:
	v_mul_f64 v[212:213], v[238:239], v[94:95]
	v_mul_f64 v[94:95], v[236:237], v[94:95]
	s_delay_alu instid0(VALU_DEP_2) | instskip(NEXT) | instid1(VALU_DEP_2)
	v_fma_f64 v[244:245], v[236:237], v[92:93], -v[212:213]
	v_fma_f64 v[94:95], v[238:239], v[92:93], v[94:95]
	ds_load_2addr_b64 v[236:239], v246 offset0:72 offset1:73
	s_waitcnt lgkmcnt(0)
	v_mul_f64 v[92:93], v[238:239], v[94:95]
	v_mul_f64 v[212:213], v[236:237], v[94:95]
	s_delay_alu instid0(VALU_DEP_2) | instskip(NEXT) | instid1(VALU_DEP_2)
	v_fma_f64 v[92:93], v[236:237], v[244:245], -v[92:93]
	v_fma_f64 v[212:213], v[238:239], v[244:245], v[212:213]
	ds_load_2addr_b64 v[236:239], v246 offset0:74 offset1:75
	v_add_f64 v[88:89], v[88:89], -v[92:93]
	v_add_f64 v[90:91], v[90:91], -v[212:213]
	s_waitcnt lgkmcnt(0)
	v_mul_f64 v[92:93], v[238:239], v[94:95]
	v_mul_f64 v[212:213], v[236:237], v[94:95]
	s_delay_alu instid0(VALU_DEP_2) | instskip(NEXT) | instid1(VALU_DEP_2)
	v_fma_f64 v[92:93], v[236:237], v[244:245], -v[92:93]
	v_fma_f64 v[212:213], v[238:239], v[244:245], v[212:213]
	ds_load_2addr_b64 v[236:239], v246 offset0:76 offset1:77
	v_add_f64 v[84:85], v[84:85], -v[92:93]
	v_add_f64 v[86:87], v[86:87], -v[212:213]
	;; [unrolled: 9-line block ×22, first 2 shown]
	s_waitcnt lgkmcnt(0)
	v_mul_f64 v[92:93], v[238:239], v[94:95]
	v_mul_f64 v[212:213], v[236:237], v[94:95]
	s_delay_alu instid0(VALU_DEP_2) | instskip(NEXT) | instid1(VALU_DEP_2)
	v_fma_f64 v[92:93], v[236:237], v[244:245], -v[92:93]
	v_fma_f64 v[212:213], v[238:239], v[244:245], v[212:213]
	s_delay_alu instid0(VALU_DEP_2) | instskip(NEXT) | instid1(VALU_DEP_2)
	v_add_f64 v[224:225], v[224:225], -v[92:93]
	v_add_f64 v[226:227], v[226:227], -v[212:213]
	v_dual_mov_b32 v92, v244 :: v_dual_mov_b32 v93, v245
.LBB116_755:
	s_or_b32 exec_lo, exec_lo, s2
	v_lshl_add_u32 v212, v252, 4, v246
	s_barrier
	buffer_gl0_inv
	v_mov_b32_e32 v244, 36
	ds_store_2addr_b64 v212, v[88:89], v[90:91] offset1:1
	s_waitcnt lgkmcnt(0)
	s_barrier
	buffer_gl0_inv
	ds_load_2addr_b64 v[236:239], v246 offset0:72 offset1:73
	s_cmp_lt_i32 s12, 38
	s_cbranch_scc1 .LBB116_758
; %bb.756:
	v_add3_u32 v245, v234, 0, 0x250
	v_mov_b32_e32 v244, 36
	s_mov_b32 s2, 37
	s_set_inst_prefetch_distance 0x1
	.p2align	6
.LBB116_757:                            ; =>This Inner Loop Header: Depth=1
	s_waitcnt lgkmcnt(0)
	v_cmp_gt_f64_e32 vcc_lo, 0, v[236:237]
	v_xor_b32_e32 v212, 0x80000000, v237
	v_xor_b32_e32 v214, 0x80000000, v239
	ds_load_2addr_b64 v[240:243], v245 offset1:1
	v_add_nc_u32_e32 v245, 16, v245
	s_waitcnt lgkmcnt(0)
	v_xor_b32_e32 v216, 0x80000000, v243
	v_cndmask_b32_e32 v213, v237, v212, vcc_lo
	v_cndmask_b32_e32 v212, v236, v236, vcc_lo
	v_cmp_gt_f64_e32 vcc_lo, 0, v[238:239]
	v_cndmask_b32_e32 v215, v239, v214, vcc_lo
	v_cndmask_b32_e32 v214, v238, v238, vcc_lo
	v_cmp_gt_f64_e32 vcc_lo, 0, v[240:241]
	s_delay_alu instid0(VALU_DEP_2) | instskip(SKIP_1) | instid1(VALU_DEP_1)
	v_add_f64 v[212:213], v[212:213], v[214:215]
	v_xor_b32_e32 v214, 0x80000000, v241
	v_dual_cndmask_b32 v215, v241, v214 :: v_dual_mov_b32 v214, v240
	v_cmp_gt_f64_e32 vcc_lo, 0, v[242:243]
	v_dual_cndmask_b32 v217, v243, v216 :: v_dual_mov_b32 v216, v242
	s_delay_alu instid0(VALU_DEP_1) | instskip(NEXT) | instid1(VALU_DEP_1)
	v_add_f64 v[214:215], v[214:215], v[216:217]
	v_cmp_lt_f64_e32 vcc_lo, v[212:213], v[214:215]
	v_dual_cndmask_b32 v237, v237, v241 :: v_dual_cndmask_b32 v236, v236, v240
	v_dual_cndmask_b32 v239, v239, v243 :: v_dual_cndmask_b32 v238, v238, v242
	v_cndmask_b32_e64 v244, v244, s2, vcc_lo
	s_add_i32 s2, s2, 1
	s_delay_alu instid0(SALU_CYCLE_1)
	s_cmp_lg_u32 s12, s2
	s_cbranch_scc1 .LBB116_757
.LBB116_758:
	s_set_inst_prefetch_distance 0x2
	s_waitcnt lgkmcnt(0)
	v_cmp_eq_f64_e32 vcc_lo, 0, v[236:237]
	v_cmp_eq_f64_e64 s2, 0, v[238:239]
	s_delay_alu instid0(VALU_DEP_1) | instskip(NEXT) | instid1(SALU_CYCLE_1)
	s_and_b32 s2, vcc_lo, s2
	s_and_saveexec_b32 s3, s2
	s_delay_alu instid0(SALU_CYCLE_1)
	s_xor_b32 s2, exec_lo, s3
; %bb.759:
	v_cmp_ne_u32_e32 vcc_lo, 0, v249
	v_cndmask_b32_e32 v249, 37, v249, vcc_lo
; %bb.760:
	s_and_not1_saveexec_b32 s3, s2
	s_cbranch_execz .LBB116_766
; %bb.761:
	v_cmp_gt_f64_e32 vcc_lo, 0, v[236:237]
	v_cmp_gt_f64_e64 s2, 0, v[238:239]
	v_xor_b32_e32 v212, 0x80000000, v237
	v_xor_b32_e32 v214, 0x80000000, v239
	s_delay_alu instid0(VALU_DEP_2) | instskip(NEXT) | instid1(VALU_DEP_2)
	v_cndmask_b32_e32 v213, v237, v212, vcc_lo
	v_cndmask_b32_e64 v215, v239, v214, s2
	v_cndmask_b32_e32 v212, v236, v236, vcc_lo
	v_cndmask_b32_e64 v214, v238, v238, s2
	s_mov_b32 s2, exec_lo
	s_delay_alu instid0(VALU_DEP_1)
	v_cmpx_ngt_f64_e32 v[212:213], v[214:215]
	s_xor_b32 s2, exec_lo, s2
	s_cbranch_execz .LBB116_763
; %bb.762:
	v_div_scale_f64 v[212:213], null, v[238:239], v[238:239], v[236:237]
	v_div_scale_f64 v[218:219], vcc_lo, v[236:237], v[238:239], v[236:237]
	s_delay_alu instid0(VALU_DEP_2) | instskip(SKIP_2) | instid1(VALU_DEP_1)
	v_rcp_f64_e32 v[214:215], v[212:213]
	s_waitcnt_depctr 0xfff
	v_fma_f64 v[216:217], -v[212:213], v[214:215], 1.0
	v_fma_f64 v[214:215], v[214:215], v[216:217], v[214:215]
	s_delay_alu instid0(VALU_DEP_1) | instskip(NEXT) | instid1(VALU_DEP_1)
	v_fma_f64 v[216:217], -v[212:213], v[214:215], 1.0
	v_fma_f64 v[214:215], v[214:215], v[216:217], v[214:215]
	s_delay_alu instid0(VALU_DEP_1) | instskip(NEXT) | instid1(VALU_DEP_1)
	v_mul_f64 v[216:217], v[218:219], v[214:215]
	v_fma_f64 v[212:213], -v[212:213], v[216:217], v[218:219]
	s_delay_alu instid0(VALU_DEP_1) | instskip(NEXT) | instid1(VALU_DEP_1)
	v_div_fmas_f64 v[212:213], v[212:213], v[214:215], v[216:217]
	v_div_fixup_f64 v[212:213], v[212:213], v[238:239], v[236:237]
	s_delay_alu instid0(VALU_DEP_1) | instskip(NEXT) | instid1(VALU_DEP_1)
	v_fma_f64 v[214:215], v[236:237], v[212:213], v[238:239]
	v_div_scale_f64 v[216:217], null, v[214:215], v[214:215], 1.0
	s_delay_alu instid0(VALU_DEP_1) | instskip(SKIP_2) | instid1(VALU_DEP_1)
	v_rcp_f64_e32 v[218:219], v[216:217]
	s_waitcnt_depctr 0xfff
	v_fma_f64 v[220:221], -v[216:217], v[218:219], 1.0
	v_fma_f64 v[218:219], v[218:219], v[220:221], v[218:219]
	s_delay_alu instid0(VALU_DEP_1) | instskip(NEXT) | instid1(VALU_DEP_1)
	v_fma_f64 v[220:221], -v[216:217], v[218:219], 1.0
	v_fma_f64 v[218:219], v[218:219], v[220:221], v[218:219]
	v_div_scale_f64 v[220:221], vcc_lo, 1.0, v[214:215], 1.0
	s_delay_alu instid0(VALU_DEP_1) | instskip(NEXT) | instid1(VALU_DEP_1)
	v_mul_f64 v[222:223], v[220:221], v[218:219]
	v_fma_f64 v[216:217], -v[216:217], v[222:223], v[220:221]
	s_delay_alu instid0(VALU_DEP_1) | instskip(NEXT) | instid1(VALU_DEP_1)
	v_div_fmas_f64 v[216:217], v[216:217], v[218:219], v[222:223]
	v_div_fixup_f64 v[238:239], v[216:217], v[214:215], 1.0
	s_delay_alu instid0(VALU_DEP_1)
	v_mul_f64 v[236:237], v[212:213], v[238:239]
	v_xor_b32_e32 v239, 0x80000000, v239
.LBB116_763:
	s_and_not1_saveexec_b32 s2, s2
	s_cbranch_execz .LBB116_765
; %bb.764:
	s_delay_alu instid0(VALU_DEP_1) | instskip(SKIP_1) | instid1(VALU_DEP_2)
	v_div_scale_f64 v[212:213], null, v[236:237], v[236:237], v[238:239]
	v_div_scale_f64 v[218:219], vcc_lo, v[238:239], v[236:237], v[238:239]
	v_rcp_f64_e32 v[214:215], v[212:213]
	s_waitcnt_depctr 0xfff
	v_fma_f64 v[216:217], -v[212:213], v[214:215], 1.0
	s_delay_alu instid0(VALU_DEP_1) | instskip(NEXT) | instid1(VALU_DEP_1)
	v_fma_f64 v[214:215], v[214:215], v[216:217], v[214:215]
	v_fma_f64 v[216:217], -v[212:213], v[214:215], 1.0
	s_delay_alu instid0(VALU_DEP_1) | instskip(NEXT) | instid1(VALU_DEP_1)
	v_fma_f64 v[214:215], v[214:215], v[216:217], v[214:215]
	v_mul_f64 v[216:217], v[218:219], v[214:215]
	s_delay_alu instid0(VALU_DEP_1) | instskip(NEXT) | instid1(VALU_DEP_1)
	v_fma_f64 v[212:213], -v[212:213], v[216:217], v[218:219]
	v_div_fmas_f64 v[212:213], v[212:213], v[214:215], v[216:217]
	s_delay_alu instid0(VALU_DEP_1) | instskip(NEXT) | instid1(VALU_DEP_1)
	v_div_fixup_f64 v[212:213], v[212:213], v[236:237], v[238:239]
	v_fma_f64 v[214:215], v[238:239], v[212:213], v[236:237]
	s_delay_alu instid0(VALU_DEP_1) | instskip(NEXT) | instid1(VALU_DEP_1)
	v_div_scale_f64 v[216:217], null, v[214:215], v[214:215], 1.0
	v_rcp_f64_e32 v[218:219], v[216:217]
	s_waitcnt_depctr 0xfff
	v_fma_f64 v[220:221], -v[216:217], v[218:219], 1.0
	s_delay_alu instid0(VALU_DEP_1) | instskip(NEXT) | instid1(VALU_DEP_1)
	v_fma_f64 v[218:219], v[218:219], v[220:221], v[218:219]
	v_fma_f64 v[220:221], -v[216:217], v[218:219], 1.0
	s_delay_alu instid0(VALU_DEP_1) | instskip(SKIP_1) | instid1(VALU_DEP_1)
	v_fma_f64 v[218:219], v[218:219], v[220:221], v[218:219]
	v_div_scale_f64 v[220:221], vcc_lo, 1.0, v[214:215], 1.0
	v_mul_f64 v[222:223], v[220:221], v[218:219]
	s_delay_alu instid0(VALU_DEP_1) | instskip(NEXT) | instid1(VALU_DEP_1)
	v_fma_f64 v[216:217], -v[216:217], v[222:223], v[220:221]
	v_div_fmas_f64 v[216:217], v[216:217], v[218:219], v[222:223]
	s_delay_alu instid0(VALU_DEP_1) | instskip(NEXT) | instid1(VALU_DEP_1)
	v_div_fixup_f64 v[236:237], v[216:217], v[214:215], 1.0
	v_mul_f64 v[238:239], v[212:213], -v[236:237]
.LBB116_765:
	s_or_b32 exec_lo, exec_lo, s2
.LBB116_766:
	s_delay_alu instid0(SALU_CYCLE_1) | instskip(NEXT) | instid1(SALU_CYCLE_1)
	s_or_b32 exec_lo, exec_lo, s3
	s_mov_b32 s2, exec_lo
	v_cmpx_ne_u32_e64 v252, v244
	s_xor_b32 s2, exec_lo, s2
	s_cbranch_execz .LBB116_772
; %bb.767:
	s_mov_b32 s3, exec_lo
	v_cmpx_eq_u32_e32 36, v252
	s_cbranch_execz .LBB116_771
; %bb.768:
	v_cmp_ne_u32_e32 vcc_lo, 36, v244
	s_xor_b32 s4, s5, -1
	s_delay_alu instid0(SALU_CYCLE_1) | instskip(NEXT) | instid1(SALU_CYCLE_1)
	s_and_b32 s6, s4, vcc_lo
	s_and_saveexec_b32 s4, s6
	s_cbranch_execz .LBB116_770
; %bb.769:
	scratch_load_b64 v[208:209], off, off offset:16 ; 8-byte Folded Reload
	v_ashrrev_i32_e32 v245, 31, v244
	s_delay_alu instid0(VALU_DEP_1) | instskip(SKIP_1) | instid1(VALU_DEP_1)
	v_lshlrev_b64 v[212:213], 2, v[244:245]
	s_waitcnt vmcnt(0)
	v_add_co_u32 v212, vcc_lo, v208, v212
	s_delay_alu instid0(VALU_DEP_2)
	v_add_co_ci_u32_e32 v213, vcc_lo, v209, v213, vcc_lo
	s_clause 0x1
	flat_load_b32 v214, v[212:213]
	flat_load_b32 v215, v[208:209] offset:144
	s_waitcnt vmcnt(1) lgkmcnt(1)
	flat_store_b32 v[208:209], v214 offset:144
	s_waitcnt vmcnt(0) lgkmcnt(1)
	flat_store_b32 v[212:213], v215
.LBB116_770:
	s_or_b32 exec_lo, exec_lo, s4
	v_mov_b32_e32 v252, v244
	v_mov_b32_e32 v251, v244
.LBB116_771:
	s_or_b32 exec_lo, exec_lo, s3
.LBB116_772:
	s_and_not1_saveexec_b32 s2, s2
	s_cbranch_execz .LBB116_774
; %bb.773:
	v_mov_b32_e32 v252, 36
	ds_store_2addr_b64 v246, v[84:85], v[86:87] offset0:74 offset1:75
	ds_store_2addr_b64 v246, v[80:81], v[82:83] offset0:76 offset1:77
	ds_store_2addr_b64 v246, v[76:77], v[78:79] offset0:78 offset1:79
	ds_store_2addr_b64 v246, v[72:73], v[74:75] offset0:80 offset1:81
	ds_store_2addr_b64 v246, v[68:69], v[70:71] offset0:82 offset1:83
	ds_store_2addr_b64 v246, v[64:65], v[66:67] offset0:84 offset1:85
	ds_store_2addr_b64 v246, v[60:61], v[62:63] offset0:86 offset1:87
	ds_store_2addr_b64 v246, v[56:57], v[58:59] offset0:88 offset1:89
	ds_store_2addr_b64 v246, v[52:53], v[54:55] offset0:90 offset1:91
	ds_store_2addr_b64 v246, v[48:49], v[50:51] offset0:92 offset1:93
	ds_store_2addr_b64 v246, v[44:45], v[46:47] offset0:94 offset1:95
	ds_store_2addr_b64 v246, v[40:41], v[42:43] offset0:96 offset1:97
	ds_store_2addr_b64 v246, v[36:37], v[38:39] offset0:98 offset1:99
	ds_store_2addr_b64 v246, v[32:33], v[34:35] offset0:100 offset1:101
	ds_store_2addr_b64 v246, v[28:29], v[30:31] offset0:102 offset1:103
	ds_store_2addr_b64 v246, v[24:25], v[26:27] offset0:104 offset1:105
	ds_store_2addr_b64 v246, v[20:21], v[22:23] offset0:106 offset1:107
	ds_store_2addr_b64 v246, v[16:17], v[18:19] offset0:108 offset1:109
	ds_store_2addr_b64 v246, v[12:13], v[14:15] offset0:110 offset1:111
	ds_store_2addr_b64 v246, v[230:231], v[232:233] offset0:112 offset1:113
	ds_store_2addr_b64 v246, v[4:5], v[6:7] offset0:114 offset1:115
	ds_store_2addr_b64 v246, v[224:225], v[226:227] offset0:116 offset1:117
.LBB116_774:
	s_or_b32 exec_lo, exec_lo, s2
	s_delay_alu instid0(SALU_CYCLE_1)
	s_mov_b32 s2, exec_lo
	s_waitcnt lgkmcnt(0)
	s_waitcnt_vscnt null, 0x0
	s_barrier
	buffer_gl0_inv
	v_cmpx_lt_i32_e32 36, v252
	s_cbranch_execz .LBB116_776
; %bb.775:
	v_mul_f64 v[212:213], v[238:239], v[90:91]
	v_mul_f64 v[90:91], v[236:237], v[90:91]
	s_delay_alu instid0(VALU_DEP_2) | instskip(NEXT) | instid1(VALU_DEP_2)
	v_fma_f64 v[244:245], v[236:237], v[88:89], -v[212:213]
	v_fma_f64 v[90:91], v[238:239], v[88:89], v[90:91]
	ds_load_2addr_b64 v[236:239], v246 offset0:74 offset1:75
	s_waitcnt lgkmcnt(0)
	v_mul_f64 v[88:89], v[238:239], v[90:91]
	v_mul_f64 v[212:213], v[236:237], v[90:91]
	s_delay_alu instid0(VALU_DEP_2) | instskip(NEXT) | instid1(VALU_DEP_2)
	v_fma_f64 v[88:89], v[236:237], v[244:245], -v[88:89]
	v_fma_f64 v[212:213], v[238:239], v[244:245], v[212:213]
	ds_load_2addr_b64 v[236:239], v246 offset0:76 offset1:77
	v_add_f64 v[84:85], v[84:85], -v[88:89]
	v_add_f64 v[86:87], v[86:87], -v[212:213]
	s_waitcnt lgkmcnt(0)
	v_mul_f64 v[88:89], v[238:239], v[90:91]
	v_mul_f64 v[212:213], v[236:237], v[90:91]
	s_delay_alu instid0(VALU_DEP_2) | instskip(NEXT) | instid1(VALU_DEP_2)
	v_fma_f64 v[88:89], v[236:237], v[244:245], -v[88:89]
	v_fma_f64 v[212:213], v[238:239], v[244:245], v[212:213]
	ds_load_2addr_b64 v[236:239], v246 offset0:78 offset1:79
	v_add_f64 v[80:81], v[80:81], -v[88:89]
	v_add_f64 v[82:83], v[82:83], -v[212:213]
	s_waitcnt lgkmcnt(0)
	v_mul_f64 v[88:89], v[238:239], v[90:91]
	v_mul_f64 v[212:213], v[236:237], v[90:91]
	s_delay_alu instid0(VALU_DEP_2) | instskip(NEXT) | instid1(VALU_DEP_2)
	v_fma_f64 v[88:89], v[236:237], v[244:245], -v[88:89]
	v_fma_f64 v[212:213], v[238:239], v[244:245], v[212:213]
	ds_load_2addr_b64 v[236:239], v246 offset0:80 offset1:81
	v_add_f64 v[76:77], v[76:77], -v[88:89]
	v_add_f64 v[78:79], v[78:79], -v[212:213]
	s_waitcnt lgkmcnt(0)
	v_mul_f64 v[88:89], v[238:239], v[90:91]
	v_mul_f64 v[212:213], v[236:237], v[90:91]
	s_delay_alu instid0(VALU_DEP_2) | instskip(NEXT) | instid1(VALU_DEP_2)
	v_fma_f64 v[88:89], v[236:237], v[244:245], -v[88:89]
	v_fma_f64 v[212:213], v[238:239], v[244:245], v[212:213]
	ds_load_2addr_b64 v[236:239], v246 offset0:82 offset1:83
	v_add_f64 v[72:73], v[72:73], -v[88:89]
	v_add_f64 v[74:75], v[74:75], -v[212:213]
	s_waitcnt lgkmcnt(0)
	v_mul_f64 v[88:89], v[238:239], v[90:91]
	v_mul_f64 v[212:213], v[236:237], v[90:91]
	s_delay_alu instid0(VALU_DEP_2) | instskip(NEXT) | instid1(VALU_DEP_2)
	v_fma_f64 v[88:89], v[236:237], v[244:245], -v[88:89]
	v_fma_f64 v[212:213], v[238:239], v[244:245], v[212:213]
	ds_load_2addr_b64 v[236:239], v246 offset0:84 offset1:85
	v_add_f64 v[68:69], v[68:69], -v[88:89]
	v_add_f64 v[70:71], v[70:71], -v[212:213]
	s_waitcnt lgkmcnt(0)
	v_mul_f64 v[88:89], v[238:239], v[90:91]
	v_mul_f64 v[212:213], v[236:237], v[90:91]
	s_delay_alu instid0(VALU_DEP_2) | instskip(NEXT) | instid1(VALU_DEP_2)
	v_fma_f64 v[88:89], v[236:237], v[244:245], -v[88:89]
	v_fma_f64 v[212:213], v[238:239], v[244:245], v[212:213]
	ds_load_2addr_b64 v[236:239], v246 offset0:86 offset1:87
	v_add_f64 v[64:65], v[64:65], -v[88:89]
	v_add_f64 v[66:67], v[66:67], -v[212:213]
	s_waitcnt lgkmcnt(0)
	v_mul_f64 v[88:89], v[238:239], v[90:91]
	v_mul_f64 v[212:213], v[236:237], v[90:91]
	s_delay_alu instid0(VALU_DEP_2) | instskip(NEXT) | instid1(VALU_DEP_2)
	v_fma_f64 v[88:89], v[236:237], v[244:245], -v[88:89]
	v_fma_f64 v[212:213], v[238:239], v[244:245], v[212:213]
	ds_load_2addr_b64 v[236:239], v246 offset0:88 offset1:89
	v_add_f64 v[60:61], v[60:61], -v[88:89]
	v_add_f64 v[62:63], v[62:63], -v[212:213]
	s_waitcnt lgkmcnt(0)
	v_mul_f64 v[88:89], v[238:239], v[90:91]
	v_mul_f64 v[212:213], v[236:237], v[90:91]
	s_delay_alu instid0(VALU_DEP_2) | instskip(NEXT) | instid1(VALU_DEP_2)
	v_fma_f64 v[88:89], v[236:237], v[244:245], -v[88:89]
	v_fma_f64 v[212:213], v[238:239], v[244:245], v[212:213]
	ds_load_2addr_b64 v[236:239], v246 offset0:90 offset1:91
	v_add_f64 v[56:57], v[56:57], -v[88:89]
	v_add_f64 v[58:59], v[58:59], -v[212:213]
	s_waitcnt lgkmcnt(0)
	v_mul_f64 v[88:89], v[238:239], v[90:91]
	v_mul_f64 v[212:213], v[236:237], v[90:91]
	s_delay_alu instid0(VALU_DEP_2) | instskip(NEXT) | instid1(VALU_DEP_2)
	v_fma_f64 v[88:89], v[236:237], v[244:245], -v[88:89]
	v_fma_f64 v[212:213], v[238:239], v[244:245], v[212:213]
	ds_load_2addr_b64 v[236:239], v246 offset0:92 offset1:93
	v_add_f64 v[52:53], v[52:53], -v[88:89]
	v_add_f64 v[54:55], v[54:55], -v[212:213]
	s_waitcnt lgkmcnt(0)
	v_mul_f64 v[88:89], v[238:239], v[90:91]
	v_mul_f64 v[212:213], v[236:237], v[90:91]
	s_delay_alu instid0(VALU_DEP_2) | instskip(NEXT) | instid1(VALU_DEP_2)
	v_fma_f64 v[88:89], v[236:237], v[244:245], -v[88:89]
	v_fma_f64 v[212:213], v[238:239], v[244:245], v[212:213]
	ds_load_2addr_b64 v[236:239], v246 offset0:94 offset1:95
	v_add_f64 v[48:49], v[48:49], -v[88:89]
	v_add_f64 v[50:51], v[50:51], -v[212:213]
	s_waitcnt lgkmcnt(0)
	v_mul_f64 v[88:89], v[238:239], v[90:91]
	v_mul_f64 v[212:213], v[236:237], v[90:91]
	s_delay_alu instid0(VALU_DEP_2) | instskip(NEXT) | instid1(VALU_DEP_2)
	v_fma_f64 v[88:89], v[236:237], v[244:245], -v[88:89]
	v_fma_f64 v[212:213], v[238:239], v[244:245], v[212:213]
	ds_load_2addr_b64 v[236:239], v246 offset0:96 offset1:97
	v_add_f64 v[44:45], v[44:45], -v[88:89]
	v_add_f64 v[46:47], v[46:47], -v[212:213]
	s_waitcnt lgkmcnt(0)
	v_mul_f64 v[88:89], v[238:239], v[90:91]
	v_mul_f64 v[212:213], v[236:237], v[90:91]
	s_delay_alu instid0(VALU_DEP_2) | instskip(NEXT) | instid1(VALU_DEP_2)
	v_fma_f64 v[88:89], v[236:237], v[244:245], -v[88:89]
	v_fma_f64 v[212:213], v[238:239], v[244:245], v[212:213]
	ds_load_2addr_b64 v[236:239], v246 offset0:98 offset1:99
	v_add_f64 v[40:41], v[40:41], -v[88:89]
	v_add_f64 v[42:43], v[42:43], -v[212:213]
	s_waitcnt lgkmcnt(0)
	v_mul_f64 v[88:89], v[238:239], v[90:91]
	v_mul_f64 v[212:213], v[236:237], v[90:91]
	s_delay_alu instid0(VALU_DEP_2) | instskip(NEXT) | instid1(VALU_DEP_2)
	v_fma_f64 v[88:89], v[236:237], v[244:245], -v[88:89]
	v_fma_f64 v[212:213], v[238:239], v[244:245], v[212:213]
	ds_load_2addr_b64 v[236:239], v246 offset0:100 offset1:101
	v_add_f64 v[36:37], v[36:37], -v[88:89]
	v_add_f64 v[38:39], v[38:39], -v[212:213]
	s_waitcnt lgkmcnt(0)
	v_mul_f64 v[88:89], v[238:239], v[90:91]
	v_mul_f64 v[212:213], v[236:237], v[90:91]
	s_delay_alu instid0(VALU_DEP_2) | instskip(NEXT) | instid1(VALU_DEP_2)
	v_fma_f64 v[88:89], v[236:237], v[244:245], -v[88:89]
	v_fma_f64 v[212:213], v[238:239], v[244:245], v[212:213]
	ds_load_2addr_b64 v[236:239], v246 offset0:102 offset1:103
	v_add_f64 v[32:33], v[32:33], -v[88:89]
	v_add_f64 v[34:35], v[34:35], -v[212:213]
	s_waitcnt lgkmcnt(0)
	v_mul_f64 v[88:89], v[238:239], v[90:91]
	v_mul_f64 v[212:213], v[236:237], v[90:91]
	s_delay_alu instid0(VALU_DEP_2) | instskip(NEXT) | instid1(VALU_DEP_2)
	v_fma_f64 v[88:89], v[236:237], v[244:245], -v[88:89]
	v_fma_f64 v[212:213], v[238:239], v[244:245], v[212:213]
	ds_load_2addr_b64 v[236:239], v246 offset0:104 offset1:105
	v_add_f64 v[28:29], v[28:29], -v[88:89]
	v_add_f64 v[30:31], v[30:31], -v[212:213]
	s_waitcnt lgkmcnt(0)
	v_mul_f64 v[88:89], v[238:239], v[90:91]
	v_mul_f64 v[212:213], v[236:237], v[90:91]
	s_delay_alu instid0(VALU_DEP_2) | instskip(NEXT) | instid1(VALU_DEP_2)
	v_fma_f64 v[88:89], v[236:237], v[244:245], -v[88:89]
	v_fma_f64 v[212:213], v[238:239], v[244:245], v[212:213]
	ds_load_2addr_b64 v[236:239], v246 offset0:106 offset1:107
	v_add_f64 v[24:25], v[24:25], -v[88:89]
	v_add_f64 v[26:27], v[26:27], -v[212:213]
	s_waitcnt lgkmcnt(0)
	v_mul_f64 v[88:89], v[238:239], v[90:91]
	v_mul_f64 v[212:213], v[236:237], v[90:91]
	s_delay_alu instid0(VALU_DEP_2) | instskip(NEXT) | instid1(VALU_DEP_2)
	v_fma_f64 v[88:89], v[236:237], v[244:245], -v[88:89]
	v_fma_f64 v[212:213], v[238:239], v[244:245], v[212:213]
	ds_load_2addr_b64 v[236:239], v246 offset0:108 offset1:109
	v_add_f64 v[20:21], v[20:21], -v[88:89]
	v_add_f64 v[22:23], v[22:23], -v[212:213]
	s_waitcnt lgkmcnt(0)
	v_mul_f64 v[88:89], v[238:239], v[90:91]
	v_mul_f64 v[212:213], v[236:237], v[90:91]
	s_delay_alu instid0(VALU_DEP_2) | instskip(NEXT) | instid1(VALU_DEP_2)
	v_fma_f64 v[88:89], v[236:237], v[244:245], -v[88:89]
	v_fma_f64 v[212:213], v[238:239], v[244:245], v[212:213]
	ds_load_2addr_b64 v[236:239], v246 offset0:110 offset1:111
	v_add_f64 v[16:17], v[16:17], -v[88:89]
	v_add_f64 v[18:19], v[18:19], -v[212:213]
	s_waitcnt lgkmcnt(0)
	v_mul_f64 v[88:89], v[238:239], v[90:91]
	v_mul_f64 v[212:213], v[236:237], v[90:91]
	s_delay_alu instid0(VALU_DEP_2) | instskip(NEXT) | instid1(VALU_DEP_2)
	v_fma_f64 v[88:89], v[236:237], v[244:245], -v[88:89]
	v_fma_f64 v[212:213], v[238:239], v[244:245], v[212:213]
	ds_load_2addr_b64 v[236:239], v246 offset0:112 offset1:113
	v_add_f64 v[12:13], v[12:13], -v[88:89]
	v_add_f64 v[14:15], v[14:15], -v[212:213]
	s_waitcnt lgkmcnt(0)
	v_mul_f64 v[88:89], v[238:239], v[90:91]
	v_mul_f64 v[212:213], v[236:237], v[90:91]
	s_delay_alu instid0(VALU_DEP_2) | instskip(NEXT) | instid1(VALU_DEP_2)
	v_fma_f64 v[88:89], v[236:237], v[244:245], -v[88:89]
	v_fma_f64 v[212:213], v[238:239], v[244:245], v[212:213]
	ds_load_2addr_b64 v[236:239], v246 offset0:114 offset1:115
	v_add_f64 v[230:231], v[230:231], -v[88:89]
	v_add_f64 v[232:233], v[232:233], -v[212:213]
	s_waitcnt lgkmcnt(0)
	v_mul_f64 v[88:89], v[238:239], v[90:91]
	v_mul_f64 v[212:213], v[236:237], v[90:91]
	s_delay_alu instid0(VALU_DEP_2) | instskip(NEXT) | instid1(VALU_DEP_2)
	v_fma_f64 v[88:89], v[236:237], v[244:245], -v[88:89]
	v_fma_f64 v[212:213], v[238:239], v[244:245], v[212:213]
	ds_load_2addr_b64 v[236:239], v246 offset0:116 offset1:117
	v_add_f64 v[4:5], v[4:5], -v[88:89]
	v_add_f64 v[6:7], v[6:7], -v[212:213]
	s_waitcnt lgkmcnt(0)
	v_mul_f64 v[88:89], v[238:239], v[90:91]
	v_mul_f64 v[212:213], v[236:237], v[90:91]
	s_delay_alu instid0(VALU_DEP_2) | instskip(NEXT) | instid1(VALU_DEP_2)
	v_fma_f64 v[88:89], v[236:237], v[244:245], -v[88:89]
	v_fma_f64 v[212:213], v[238:239], v[244:245], v[212:213]
	s_delay_alu instid0(VALU_DEP_2) | instskip(NEXT) | instid1(VALU_DEP_2)
	v_add_f64 v[224:225], v[224:225], -v[88:89]
	v_add_f64 v[226:227], v[226:227], -v[212:213]
	v_dual_mov_b32 v88, v244 :: v_dual_mov_b32 v89, v245
.LBB116_776:
	s_or_b32 exec_lo, exec_lo, s2
	v_lshl_add_u32 v212, v252, 4, v246
	s_barrier
	buffer_gl0_inv
	v_mov_b32_e32 v244, 37
	ds_store_2addr_b64 v212, v[84:85], v[86:87] offset1:1
	s_waitcnt lgkmcnt(0)
	s_barrier
	buffer_gl0_inv
	ds_load_2addr_b64 v[236:239], v246 offset0:74 offset1:75
	s_cmp_lt_i32 s12, 39
	s_cbranch_scc1 .LBB116_779
; %bb.777:
	v_add3_u32 v245, v234, 0, 0x260
	v_mov_b32_e32 v244, 37
	s_mov_b32 s2, 38
	s_set_inst_prefetch_distance 0x1
	.p2align	6
.LBB116_778:                            ; =>This Inner Loop Header: Depth=1
	s_waitcnt lgkmcnt(0)
	v_cmp_gt_f64_e32 vcc_lo, 0, v[236:237]
	v_xor_b32_e32 v212, 0x80000000, v237
	v_xor_b32_e32 v214, 0x80000000, v239
	ds_load_2addr_b64 v[240:243], v245 offset1:1
	v_add_nc_u32_e32 v245, 16, v245
	s_waitcnt lgkmcnt(0)
	v_xor_b32_e32 v216, 0x80000000, v243
	v_cndmask_b32_e32 v213, v237, v212, vcc_lo
	v_cndmask_b32_e32 v212, v236, v236, vcc_lo
	v_cmp_gt_f64_e32 vcc_lo, 0, v[238:239]
	v_cndmask_b32_e32 v215, v239, v214, vcc_lo
	v_cndmask_b32_e32 v214, v238, v238, vcc_lo
	v_cmp_gt_f64_e32 vcc_lo, 0, v[240:241]
	s_delay_alu instid0(VALU_DEP_2) | instskip(SKIP_1) | instid1(VALU_DEP_1)
	v_add_f64 v[212:213], v[212:213], v[214:215]
	v_xor_b32_e32 v214, 0x80000000, v241
	v_dual_cndmask_b32 v215, v241, v214 :: v_dual_mov_b32 v214, v240
	v_cmp_gt_f64_e32 vcc_lo, 0, v[242:243]
	v_dual_cndmask_b32 v217, v243, v216 :: v_dual_mov_b32 v216, v242
	s_delay_alu instid0(VALU_DEP_1) | instskip(NEXT) | instid1(VALU_DEP_1)
	v_add_f64 v[214:215], v[214:215], v[216:217]
	v_cmp_lt_f64_e32 vcc_lo, v[212:213], v[214:215]
	v_dual_cndmask_b32 v237, v237, v241 :: v_dual_cndmask_b32 v236, v236, v240
	v_dual_cndmask_b32 v239, v239, v243 :: v_dual_cndmask_b32 v238, v238, v242
	v_cndmask_b32_e64 v244, v244, s2, vcc_lo
	s_add_i32 s2, s2, 1
	s_delay_alu instid0(SALU_CYCLE_1)
	s_cmp_lg_u32 s12, s2
	s_cbranch_scc1 .LBB116_778
.LBB116_779:
	s_set_inst_prefetch_distance 0x2
	s_waitcnt lgkmcnt(0)
	v_cmp_eq_f64_e32 vcc_lo, 0, v[236:237]
	v_cmp_eq_f64_e64 s2, 0, v[238:239]
	s_delay_alu instid0(VALU_DEP_1) | instskip(NEXT) | instid1(SALU_CYCLE_1)
	s_and_b32 s2, vcc_lo, s2
	s_and_saveexec_b32 s3, s2
	s_delay_alu instid0(SALU_CYCLE_1)
	s_xor_b32 s2, exec_lo, s3
; %bb.780:
	v_cmp_ne_u32_e32 vcc_lo, 0, v249
	v_cndmask_b32_e32 v249, 38, v249, vcc_lo
; %bb.781:
	s_and_not1_saveexec_b32 s3, s2
	s_cbranch_execz .LBB116_787
; %bb.782:
	v_cmp_gt_f64_e32 vcc_lo, 0, v[236:237]
	v_cmp_gt_f64_e64 s2, 0, v[238:239]
	v_xor_b32_e32 v212, 0x80000000, v237
	v_xor_b32_e32 v214, 0x80000000, v239
	s_delay_alu instid0(VALU_DEP_2) | instskip(NEXT) | instid1(VALU_DEP_2)
	v_cndmask_b32_e32 v213, v237, v212, vcc_lo
	v_cndmask_b32_e64 v215, v239, v214, s2
	v_cndmask_b32_e32 v212, v236, v236, vcc_lo
	v_cndmask_b32_e64 v214, v238, v238, s2
	s_mov_b32 s2, exec_lo
	s_delay_alu instid0(VALU_DEP_1)
	v_cmpx_ngt_f64_e32 v[212:213], v[214:215]
	s_xor_b32 s2, exec_lo, s2
	s_cbranch_execz .LBB116_784
; %bb.783:
	v_div_scale_f64 v[212:213], null, v[238:239], v[238:239], v[236:237]
	v_div_scale_f64 v[218:219], vcc_lo, v[236:237], v[238:239], v[236:237]
	s_delay_alu instid0(VALU_DEP_2) | instskip(SKIP_2) | instid1(VALU_DEP_1)
	v_rcp_f64_e32 v[214:215], v[212:213]
	s_waitcnt_depctr 0xfff
	v_fma_f64 v[216:217], -v[212:213], v[214:215], 1.0
	v_fma_f64 v[214:215], v[214:215], v[216:217], v[214:215]
	s_delay_alu instid0(VALU_DEP_1) | instskip(NEXT) | instid1(VALU_DEP_1)
	v_fma_f64 v[216:217], -v[212:213], v[214:215], 1.0
	v_fma_f64 v[214:215], v[214:215], v[216:217], v[214:215]
	s_delay_alu instid0(VALU_DEP_1) | instskip(NEXT) | instid1(VALU_DEP_1)
	v_mul_f64 v[216:217], v[218:219], v[214:215]
	v_fma_f64 v[212:213], -v[212:213], v[216:217], v[218:219]
	s_delay_alu instid0(VALU_DEP_1) | instskip(NEXT) | instid1(VALU_DEP_1)
	v_div_fmas_f64 v[212:213], v[212:213], v[214:215], v[216:217]
	v_div_fixup_f64 v[212:213], v[212:213], v[238:239], v[236:237]
	s_delay_alu instid0(VALU_DEP_1) | instskip(NEXT) | instid1(VALU_DEP_1)
	v_fma_f64 v[214:215], v[236:237], v[212:213], v[238:239]
	v_div_scale_f64 v[216:217], null, v[214:215], v[214:215], 1.0
	s_delay_alu instid0(VALU_DEP_1) | instskip(SKIP_2) | instid1(VALU_DEP_1)
	v_rcp_f64_e32 v[218:219], v[216:217]
	s_waitcnt_depctr 0xfff
	v_fma_f64 v[220:221], -v[216:217], v[218:219], 1.0
	v_fma_f64 v[218:219], v[218:219], v[220:221], v[218:219]
	s_delay_alu instid0(VALU_DEP_1) | instskip(NEXT) | instid1(VALU_DEP_1)
	v_fma_f64 v[220:221], -v[216:217], v[218:219], 1.0
	v_fma_f64 v[218:219], v[218:219], v[220:221], v[218:219]
	v_div_scale_f64 v[220:221], vcc_lo, 1.0, v[214:215], 1.0
	s_delay_alu instid0(VALU_DEP_1) | instskip(NEXT) | instid1(VALU_DEP_1)
	v_mul_f64 v[222:223], v[220:221], v[218:219]
	v_fma_f64 v[216:217], -v[216:217], v[222:223], v[220:221]
	s_delay_alu instid0(VALU_DEP_1) | instskip(NEXT) | instid1(VALU_DEP_1)
	v_div_fmas_f64 v[216:217], v[216:217], v[218:219], v[222:223]
	v_div_fixup_f64 v[238:239], v[216:217], v[214:215], 1.0
	s_delay_alu instid0(VALU_DEP_1)
	v_mul_f64 v[236:237], v[212:213], v[238:239]
	v_xor_b32_e32 v239, 0x80000000, v239
.LBB116_784:
	s_and_not1_saveexec_b32 s2, s2
	s_cbranch_execz .LBB116_786
; %bb.785:
	s_delay_alu instid0(VALU_DEP_1) | instskip(SKIP_1) | instid1(VALU_DEP_2)
	v_div_scale_f64 v[212:213], null, v[236:237], v[236:237], v[238:239]
	v_div_scale_f64 v[218:219], vcc_lo, v[238:239], v[236:237], v[238:239]
	v_rcp_f64_e32 v[214:215], v[212:213]
	s_waitcnt_depctr 0xfff
	v_fma_f64 v[216:217], -v[212:213], v[214:215], 1.0
	s_delay_alu instid0(VALU_DEP_1) | instskip(NEXT) | instid1(VALU_DEP_1)
	v_fma_f64 v[214:215], v[214:215], v[216:217], v[214:215]
	v_fma_f64 v[216:217], -v[212:213], v[214:215], 1.0
	s_delay_alu instid0(VALU_DEP_1) | instskip(NEXT) | instid1(VALU_DEP_1)
	v_fma_f64 v[214:215], v[214:215], v[216:217], v[214:215]
	v_mul_f64 v[216:217], v[218:219], v[214:215]
	s_delay_alu instid0(VALU_DEP_1) | instskip(NEXT) | instid1(VALU_DEP_1)
	v_fma_f64 v[212:213], -v[212:213], v[216:217], v[218:219]
	v_div_fmas_f64 v[212:213], v[212:213], v[214:215], v[216:217]
	s_delay_alu instid0(VALU_DEP_1) | instskip(NEXT) | instid1(VALU_DEP_1)
	v_div_fixup_f64 v[212:213], v[212:213], v[236:237], v[238:239]
	v_fma_f64 v[214:215], v[238:239], v[212:213], v[236:237]
	s_delay_alu instid0(VALU_DEP_1) | instskip(NEXT) | instid1(VALU_DEP_1)
	v_div_scale_f64 v[216:217], null, v[214:215], v[214:215], 1.0
	v_rcp_f64_e32 v[218:219], v[216:217]
	s_waitcnt_depctr 0xfff
	v_fma_f64 v[220:221], -v[216:217], v[218:219], 1.0
	s_delay_alu instid0(VALU_DEP_1) | instskip(NEXT) | instid1(VALU_DEP_1)
	v_fma_f64 v[218:219], v[218:219], v[220:221], v[218:219]
	v_fma_f64 v[220:221], -v[216:217], v[218:219], 1.0
	s_delay_alu instid0(VALU_DEP_1) | instskip(SKIP_1) | instid1(VALU_DEP_1)
	v_fma_f64 v[218:219], v[218:219], v[220:221], v[218:219]
	v_div_scale_f64 v[220:221], vcc_lo, 1.0, v[214:215], 1.0
	v_mul_f64 v[222:223], v[220:221], v[218:219]
	s_delay_alu instid0(VALU_DEP_1) | instskip(NEXT) | instid1(VALU_DEP_1)
	v_fma_f64 v[216:217], -v[216:217], v[222:223], v[220:221]
	v_div_fmas_f64 v[216:217], v[216:217], v[218:219], v[222:223]
	s_delay_alu instid0(VALU_DEP_1) | instskip(NEXT) | instid1(VALU_DEP_1)
	v_div_fixup_f64 v[236:237], v[216:217], v[214:215], 1.0
	v_mul_f64 v[238:239], v[212:213], -v[236:237]
.LBB116_786:
	s_or_b32 exec_lo, exec_lo, s2
.LBB116_787:
	s_delay_alu instid0(SALU_CYCLE_1) | instskip(NEXT) | instid1(SALU_CYCLE_1)
	s_or_b32 exec_lo, exec_lo, s3
	s_mov_b32 s2, exec_lo
	v_cmpx_ne_u32_e64 v252, v244
	s_xor_b32 s2, exec_lo, s2
	s_cbranch_execz .LBB116_793
; %bb.788:
	s_mov_b32 s3, exec_lo
	v_cmpx_eq_u32_e32 37, v252
	s_cbranch_execz .LBB116_792
; %bb.789:
	v_cmp_ne_u32_e32 vcc_lo, 37, v244
	s_xor_b32 s4, s5, -1
	s_delay_alu instid0(SALU_CYCLE_1) | instskip(NEXT) | instid1(SALU_CYCLE_1)
	s_and_b32 s6, s4, vcc_lo
	s_and_saveexec_b32 s4, s6
	s_cbranch_execz .LBB116_791
; %bb.790:
	scratch_load_b64 v[208:209], off, off offset:16 ; 8-byte Folded Reload
	v_ashrrev_i32_e32 v245, 31, v244
	s_delay_alu instid0(VALU_DEP_1) | instskip(SKIP_1) | instid1(VALU_DEP_1)
	v_lshlrev_b64 v[212:213], 2, v[244:245]
	s_waitcnt vmcnt(0)
	v_add_co_u32 v212, vcc_lo, v208, v212
	s_delay_alu instid0(VALU_DEP_2)
	v_add_co_ci_u32_e32 v213, vcc_lo, v209, v213, vcc_lo
	s_clause 0x1
	flat_load_b32 v214, v[212:213]
	flat_load_b32 v215, v[208:209] offset:148
	s_waitcnt vmcnt(1) lgkmcnt(1)
	flat_store_b32 v[208:209], v214 offset:148
	s_waitcnt vmcnt(0) lgkmcnt(1)
	flat_store_b32 v[212:213], v215
.LBB116_791:
	s_or_b32 exec_lo, exec_lo, s4
	v_mov_b32_e32 v252, v244
	v_mov_b32_e32 v251, v244
.LBB116_792:
	s_or_b32 exec_lo, exec_lo, s3
.LBB116_793:
	s_and_not1_saveexec_b32 s2, s2
	s_cbranch_execz .LBB116_795
; %bb.794:
	v_mov_b32_e32 v252, 37
	ds_store_2addr_b64 v246, v[80:81], v[82:83] offset0:76 offset1:77
	ds_store_2addr_b64 v246, v[76:77], v[78:79] offset0:78 offset1:79
	;; [unrolled: 1-line block ×21, first 2 shown]
.LBB116_795:
	s_or_b32 exec_lo, exec_lo, s2
	s_delay_alu instid0(SALU_CYCLE_1)
	s_mov_b32 s2, exec_lo
	s_waitcnt lgkmcnt(0)
	s_waitcnt_vscnt null, 0x0
	s_barrier
	buffer_gl0_inv
	v_cmpx_lt_i32_e32 37, v252
	s_cbranch_execz .LBB116_797
; %bb.796:
	v_mul_f64 v[212:213], v[238:239], v[86:87]
	v_mul_f64 v[86:87], v[236:237], v[86:87]
	s_delay_alu instid0(VALU_DEP_2) | instskip(NEXT) | instid1(VALU_DEP_2)
	v_fma_f64 v[244:245], v[236:237], v[84:85], -v[212:213]
	v_fma_f64 v[86:87], v[238:239], v[84:85], v[86:87]
	ds_load_2addr_b64 v[236:239], v246 offset0:76 offset1:77
	s_waitcnt lgkmcnt(0)
	v_mul_f64 v[84:85], v[238:239], v[86:87]
	v_mul_f64 v[212:213], v[236:237], v[86:87]
	s_delay_alu instid0(VALU_DEP_2) | instskip(NEXT) | instid1(VALU_DEP_2)
	v_fma_f64 v[84:85], v[236:237], v[244:245], -v[84:85]
	v_fma_f64 v[212:213], v[238:239], v[244:245], v[212:213]
	ds_load_2addr_b64 v[236:239], v246 offset0:78 offset1:79
	v_add_f64 v[80:81], v[80:81], -v[84:85]
	v_add_f64 v[82:83], v[82:83], -v[212:213]
	s_waitcnt lgkmcnt(0)
	v_mul_f64 v[84:85], v[238:239], v[86:87]
	v_mul_f64 v[212:213], v[236:237], v[86:87]
	s_delay_alu instid0(VALU_DEP_2) | instskip(NEXT) | instid1(VALU_DEP_2)
	v_fma_f64 v[84:85], v[236:237], v[244:245], -v[84:85]
	v_fma_f64 v[212:213], v[238:239], v[244:245], v[212:213]
	ds_load_2addr_b64 v[236:239], v246 offset0:80 offset1:81
	v_add_f64 v[76:77], v[76:77], -v[84:85]
	v_add_f64 v[78:79], v[78:79], -v[212:213]
	;; [unrolled: 9-line block ×20, first 2 shown]
	s_waitcnt lgkmcnt(0)
	v_mul_f64 v[84:85], v[238:239], v[86:87]
	v_mul_f64 v[212:213], v[236:237], v[86:87]
	s_delay_alu instid0(VALU_DEP_2) | instskip(NEXT) | instid1(VALU_DEP_2)
	v_fma_f64 v[84:85], v[236:237], v[244:245], -v[84:85]
	v_fma_f64 v[212:213], v[238:239], v[244:245], v[212:213]
	s_delay_alu instid0(VALU_DEP_2) | instskip(NEXT) | instid1(VALU_DEP_2)
	v_add_f64 v[224:225], v[224:225], -v[84:85]
	v_add_f64 v[226:227], v[226:227], -v[212:213]
	v_dual_mov_b32 v84, v244 :: v_dual_mov_b32 v85, v245
.LBB116_797:
	s_or_b32 exec_lo, exec_lo, s2
	v_lshl_add_u32 v212, v252, 4, v246
	s_barrier
	buffer_gl0_inv
	v_mov_b32_e32 v244, 38
	ds_store_2addr_b64 v212, v[80:81], v[82:83] offset1:1
	s_waitcnt lgkmcnt(0)
	s_barrier
	buffer_gl0_inv
	ds_load_2addr_b64 v[236:239], v246 offset0:76 offset1:77
	s_cmp_lt_i32 s12, 40
	s_cbranch_scc1 .LBB116_800
; %bb.798:
	v_add3_u32 v245, v234, 0, 0x270
	v_mov_b32_e32 v244, 38
	s_mov_b32 s2, 39
	s_set_inst_prefetch_distance 0x1
	.p2align	6
.LBB116_799:                            ; =>This Inner Loop Header: Depth=1
	s_waitcnt lgkmcnt(0)
	v_cmp_gt_f64_e32 vcc_lo, 0, v[236:237]
	v_xor_b32_e32 v212, 0x80000000, v237
	v_xor_b32_e32 v214, 0x80000000, v239
	ds_load_2addr_b64 v[240:243], v245 offset1:1
	v_add_nc_u32_e32 v245, 16, v245
	s_waitcnt lgkmcnt(0)
	v_xor_b32_e32 v216, 0x80000000, v243
	v_cndmask_b32_e32 v213, v237, v212, vcc_lo
	v_cndmask_b32_e32 v212, v236, v236, vcc_lo
	v_cmp_gt_f64_e32 vcc_lo, 0, v[238:239]
	v_cndmask_b32_e32 v215, v239, v214, vcc_lo
	v_cndmask_b32_e32 v214, v238, v238, vcc_lo
	v_cmp_gt_f64_e32 vcc_lo, 0, v[240:241]
	s_delay_alu instid0(VALU_DEP_2) | instskip(SKIP_1) | instid1(VALU_DEP_1)
	v_add_f64 v[212:213], v[212:213], v[214:215]
	v_xor_b32_e32 v214, 0x80000000, v241
	v_dual_cndmask_b32 v215, v241, v214 :: v_dual_mov_b32 v214, v240
	v_cmp_gt_f64_e32 vcc_lo, 0, v[242:243]
	v_dual_cndmask_b32 v217, v243, v216 :: v_dual_mov_b32 v216, v242
	s_delay_alu instid0(VALU_DEP_1) | instskip(NEXT) | instid1(VALU_DEP_1)
	v_add_f64 v[214:215], v[214:215], v[216:217]
	v_cmp_lt_f64_e32 vcc_lo, v[212:213], v[214:215]
	v_dual_cndmask_b32 v237, v237, v241 :: v_dual_cndmask_b32 v236, v236, v240
	v_dual_cndmask_b32 v239, v239, v243 :: v_dual_cndmask_b32 v238, v238, v242
	v_cndmask_b32_e64 v244, v244, s2, vcc_lo
	s_add_i32 s2, s2, 1
	s_delay_alu instid0(SALU_CYCLE_1)
	s_cmp_lg_u32 s12, s2
	s_cbranch_scc1 .LBB116_799
.LBB116_800:
	s_set_inst_prefetch_distance 0x2
	s_waitcnt lgkmcnt(0)
	v_cmp_eq_f64_e32 vcc_lo, 0, v[236:237]
	v_cmp_eq_f64_e64 s2, 0, v[238:239]
	s_delay_alu instid0(VALU_DEP_1) | instskip(NEXT) | instid1(SALU_CYCLE_1)
	s_and_b32 s2, vcc_lo, s2
	s_and_saveexec_b32 s3, s2
	s_delay_alu instid0(SALU_CYCLE_1)
	s_xor_b32 s2, exec_lo, s3
; %bb.801:
	v_cmp_ne_u32_e32 vcc_lo, 0, v249
	v_cndmask_b32_e32 v249, 39, v249, vcc_lo
; %bb.802:
	s_and_not1_saveexec_b32 s3, s2
	s_cbranch_execz .LBB116_808
; %bb.803:
	v_cmp_gt_f64_e32 vcc_lo, 0, v[236:237]
	v_cmp_gt_f64_e64 s2, 0, v[238:239]
	v_xor_b32_e32 v212, 0x80000000, v237
	v_xor_b32_e32 v214, 0x80000000, v239
	s_delay_alu instid0(VALU_DEP_2) | instskip(NEXT) | instid1(VALU_DEP_2)
	v_cndmask_b32_e32 v213, v237, v212, vcc_lo
	v_cndmask_b32_e64 v215, v239, v214, s2
	v_cndmask_b32_e32 v212, v236, v236, vcc_lo
	v_cndmask_b32_e64 v214, v238, v238, s2
	s_mov_b32 s2, exec_lo
	s_delay_alu instid0(VALU_DEP_1)
	v_cmpx_ngt_f64_e32 v[212:213], v[214:215]
	s_xor_b32 s2, exec_lo, s2
	s_cbranch_execz .LBB116_805
; %bb.804:
	v_div_scale_f64 v[212:213], null, v[238:239], v[238:239], v[236:237]
	v_div_scale_f64 v[218:219], vcc_lo, v[236:237], v[238:239], v[236:237]
	s_delay_alu instid0(VALU_DEP_2) | instskip(SKIP_2) | instid1(VALU_DEP_1)
	v_rcp_f64_e32 v[214:215], v[212:213]
	s_waitcnt_depctr 0xfff
	v_fma_f64 v[216:217], -v[212:213], v[214:215], 1.0
	v_fma_f64 v[214:215], v[214:215], v[216:217], v[214:215]
	s_delay_alu instid0(VALU_DEP_1) | instskip(NEXT) | instid1(VALU_DEP_1)
	v_fma_f64 v[216:217], -v[212:213], v[214:215], 1.0
	v_fma_f64 v[214:215], v[214:215], v[216:217], v[214:215]
	s_delay_alu instid0(VALU_DEP_1) | instskip(NEXT) | instid1(VALU_DEP_1)
	v_mul_f64 v[216:217], v[218:219], v[214:215]
	v_fma_f64 v[212:213], -v[212:213], v[216:217], v[218:219]
	s_delay_alu instid0(VALU_DEP_1) | instskip(NEXT) | instid1(VALU_DEP_1)
	v_div_fmas_f64 v[212:213], v[212:213], v[214:215], v[216:217]
	v_div_fixup_f64 v[212:213], v[212:213], v[238:239], v[236:237]
	s_delay_alu instid0(VALU_DEP_1) | instskip(NEXT) | instid1(VALU_DEP_1)
	v_fma_f64 v[214:215], v[236:237], v[212:213], v[238:239]
	v_div_scale_f64 v[216:217], null, v[214:215], v[214:215], 1.0
	s_delay_alu instid0(VALU_DEP_1) | instskip(SKIP_2) | instid1(VALU_DEP_1)
	v_rcp_f64_e32 v[218:219], v[216:217]
	s_waitcnt_depctr 0xfff
	v_fma_f64 v[220:221], -v[216:217], v[218:219], 1.0
	v_fma_f64 v[218:219], v[218:219], v[220:221], v[218:219]
	s_delay_alu instid0(VALU_DEP_1) | instskip(NEXT) | instid1(VALU_DEP_1)
	v_fma_f64 v[220:221], -v[216:217], v[218:219], 1.0
	v_fma_f64 v[218:219], v[218:219], v[220:221], v[218:219]
	v_div_scale_f64 v[220:221], vcc_lo, 1.0, v[214:215], 1.0
	s_delay_alu instid0(VALU_DEP_1) | instskip(NEXT) | instid1(VALU_DEP_1)
	v_mul_f64 v[222:223], v[220:221], v[218:219]
	v_fma_f64 v[216:217], -v[216:217], v[222:223], v[220:221]
	s_delay_alu instid0(VALU_DEP_1) | instskip(NEXT) | instid1(VALU_DEP_1)
	v_div_fmas_f64 v[216:217], v[216:217], v[218:219], v[222:223]
	v_div_fixup_f64 v[238:239], v[216:217], v[214:215], 1.0
	s_delay_alu instid0(VALU_DEP_1)
	v_mul_f64 v[236:237], v[212:213], v[238:239]
	v_xor_b32_e32 v239, 0x80000000, v239
.LBB116_805:
	s_and_not1_saveexec_b32 s2, s2
	s_cbranch_execz .LBB116_807
; %bb.806:
	s_delay_alu instid0(VALU_DEP_1) | instskip(SKIP_1) | instid1(VALU_DEP_2)
	v_div_scale_f64 v[212:213], null, v[236:237], v[236:237], v[238:239]
	v_div_scale_f64 v[218:219], vcc_lo, v[238:239], v[236:237], v[238:239]
	v_rcp_f64_e32 v[214:215], v[212:213]
	s_waitcnt_depctr 0xfff
	v_fma_f64 v[216:217], -v[212:213], v[214:215], 1.0
	s_delay_alu instid0(VALU_DEP_1) | instskip(NEXT) | instid1(VALU_DEP_1)
	v_fma_f64 v[214:215], v[214:215], v[216:217], v[214:215]
	v_fma_f64 v[216:217], -v[212:213], v[214:215], 1.0
	s_delay_alu instid0(VALU_DEP_1) | instskip(NEXT) | instid1(VALU_DEP_1)
	v_fma_f64 v[214:215], v[214:215], v[216:217], v[214:215]
	v_mul_f64 v[216:217], v[218:219], v[214:215]
	s_delay_alu instid0(VALU_DEP_1) | instskip(NEXT) | instid1(VALU_DEP_1)
	v_fma_f64 v[212:213], -v[212:213], v[216:217], v[218:219]
	v_div_fmas_f64 v[212:213], v[212:213], v[214:215], v[216:217]
	s_delay_alu instid0(VALU_DEP_1) | instskip(NEXT) | instid1(VALU_DEP_1)
	v_div_fixup_f64 v[212:213], v[212:213], v[236:237], v[238:239]
	v_fma_f64 v[214:215], v[238:239], v[212:213], v[236:237]
	s_delay_alu instid0(VALU_DEP_1) | instskip(NEXT) | instid1(VALU_DEP_1)
	v_div_scale_f64 v[216:217], null, v[214:215], v[214:215], 1.0
	v_rcp_f64_e32 v[218:219], v[216:217]
	s_waitcnt_depctr 0xfff
	v_fma_f64 v[220:221], -v[216:217], v[218:219], 1.0
	s_delay_alu instid0(VALU_DEP_1) | instskip(NEXT) | instid1(VALU_DEP_1)
	v_fma_f64 v[218:219], v[218:219], v[220:221], v[218:219]
	v_fma_f64 v[220:221], -v[216:217], v[218:219], 1.0
	s_delay_alu instid0(VALU_DEP_1) | instskip(SKIP_1) | instid1(VALU_DEP_1)
	v_fma_f64 v[218:219], v[218:219], v[220:221], v[218:219]
	v_div_scale_f64 v[220:221], vcc_lo, 1.0, v[214:215], 1.0
	v_mul_f64 v[222:223], v[220:221], v[218:219]
	s_delay_alu instid0(VALU_DEP_1) | instskip(NEXT) | instid1(VALU_DEP_1)
	v_fma_f64 v[216:217], -v[216:217], v[222:223], v[220:221]
	v_div_fmas_f64 v[216:217], v[216:217], v[218:219], v[222:223]
	s_delay_alu instid0(VALU_DEP_1) | instskip(NEXT) | instid1(VALU_DEP_1)
	v_div_fixup_f64 v[236:237], v[216:217], v[214:215], 1.0
	v_mul_f64 v[238:239], v[212:213], -v[236:237]
.LBB116_807:
	s_or_b32 exec_lo, exec_lo, s2
.LBB116_808:
	s_delay_alu instid0(SALU_CYCLE_1) | instskip(NEXT) | instid1(SALU_CYCLE_1)
	s_or_b32 exec_lo, exec_lo, s3
	s_mov_b32 s2, exec_lo
	v_cmpx_ne_u32_e64 v252, v244
	s_xor_b32 s2, exec_lo, s2
	s_cbranch_execz .LBB116_814
; %bb.809:
	s_mov_b32 s3, exec_lo
	v_cmpx_eq_u32_e32 38, v252
	s_cbranch_execz .LBB116_813
; %bb.810:
	v_cmp_ne_u32_e32 vcc_lo, 38, v244
	s_xor_b32 s4, s5, -1
	s_delay_alu instid0(SALU_CYCLE_1) | instskip(NEXT) | instid1(SALU_CYCLE_1)
	s_and_b32 s6, s4, vcc_lo
	s_and_saveexec_b32 s4, s6
	s_cbranch_execz .LBB116_812
; %bb.811:
	scratch_load_b64 v[208:209], off, off offset:16 ; 8-byte Folded Reload
	v_ashrrev_i32_e32 v245, 31, v244
	s_delay_alu instid0(VALU_DEP_1) | instskip(SKIP_1) | instid1(VALU_DEP_1)
	v_lshlrev_b64 v[212:213], 2, v[244:245]
	s_waitcnt vmcnt(0)
	v_add_co_u32 v212, vcc_lo, v208, v212
	s_delay_alu instid0(VALU_DEP_2)
	v_add_co_ci_u32_e32 v213, vcc_lo, v209, v213, vcc_lo
	s_clause 0x1
	flat_load_b32 v214, v[212:213]
	flat_load_b32 v215, v[208:209] offset:152
	s_waitcnt vmcnt(1) lgkmcnt(1)
	flat_store_b32 v[208:209], v214 offset:152
	s_waitcnt vmcnt(0) lgkmcnt(1)
	flat_store_b32 v[212:213], v215
.LBB116_812:
	s_or_b32 exec_lo, exec_lo, s4
	v_mov_b32_e32 v252, v244
	v_mov_b32_e32 v251, v244
.LBB116_813:
	s_or_b32 exec_lo, exec_lo, s3
.LBB116_814:
	s_and_not1_saveexec_b32 s2, s2
	s_cbranch_execz .LBB116_816
; %bb.815:
	v_mov_b32_e32 v252, 38
	ds_store_2addr_b64 v246, v[76:77], v[78:79] offset0:78 offset1:79
	ds_store_2addr_b64 v246, v[72:73], v[74:75] offset0:80 offset1:81
	;; [unrolled: 1-line block ×20, first 2 shown]
.LBB116_816:
	s_or_b32 exec_lo, exec_lo, s2
	s_delay_alu instid0(SALU_CYCLE_1)
	s_mov_b32 s2, exec_lo
	s_waitcnt lgkmcnt(0)
	s_waitcnt_vscnt null, 0x0
	s_barrier
	buffer_gl0_inv
	v_cmpx_lt_i32_e32 38, v252
	s_cbranch_execz .LBB116_818
; %bb.817:
	v_mul_f64 v[212:213], v[238:239], v[82:83]
	v_mul_f64 v[82:83], v[236:237], v[82:83]
	s_delay_alu instid0(VALU_DEP_2) | instskip(NEXT) | instid1(VALU_DEP_2)
	v_fma_f64 v[244:245], v[236:237], v[80:81], -v[212:213]
	v_fma_f64 v[82:83], v[238:239], v[80:81], v[82:83]
	ds_load_2addr_b64 v[236:239], v246 offset0:78 offset1:79
	s_waitcnt lgkmcnt(0)
	v_mul_f64 v[80:81], v[238:239], v[82:83]
	v_mul_f64 v[212:213], v[236:237], v[82:83]
	s_delay_alu instid0(VALU_DEP_2) | instskip(NEXT) | instid1(VALU_DEP_2)
	v_fma_f64 v[80:81], v[236:237], v[244:245], -v[80:81]
	v_fma_f64 v[212:213], v[238:239], v[244:245], v[212:213]
	ds_load_2addr_b64 v[236:239], v246 offset0:80 offset1:81
	v_add_f64 v[76:77], v[76:77], -v[80:81]
	v_add_f64 v[78:79], v[78:79], -v[212:213]
	s_waitcnt lgkmcnt(0)
	v_mul_f64 v[80:81], v[238:239], v[82:83]
	v_mul_f64 v[212:213], v[236:237], v[82:83]
	s_delay_alu instid0(VALU_DEP_2) | instskip(NEXT) | instid1(VALU_DEP_2)
	v_fma_f64 v[80:81], v[236:237], v[244:245], -v[80:81]
	v_fma_f64 v[212:213], v[238:239], v[244:245], v[212:213]
	ds_load_2addr_b64 v[236:239], v246 offset0:82 offset1:83
	v_add_f64 v[72:73], v[72:73], -v[80:81]
	v_add_f64 v[74:75], v[74:75], -v[212:213]
	;; [unrolled: 9-line block ×19, first 2 shown]
	s_waitcnt lgkmcnt(0)
	v_mul_f64 v[80:81], v[238:239], v[82:83]
	v_mul_f64 v[212:213], v[236:237], v[82:83]
	s_delay_alu instid0(VALU_DEP_2) | instskip(NEXT) | instid1(VALU_DEP_2)
	v_fma_f64 v[80:81], v[236:237], v[244:245], -v[80:81]
	v_fma_f64 v[212:213], v[238:239], v[244:245], v[212:213]
	s_delay_alu instid0(VALU_DEP_2) | instskip(NEXT) | instid1(VALU_DEP_2)
	v_add_f64 v[224:225], v[224:225], -v[80:81]
	v_add_f64 v[226:227], v[226:227], -v[212:213]
	v_dual_mov_b32 v80, v244 :: v_dual_mov_b32 v81, v245
.LBB116_818:
	s_or_b32 exec_lo, exec_lo, s2
	v_lshl_add_u32 v212, v252, 4, v246
	s_barrier
	buffer_gl0_inv
	v_mov_b32_e32 v244, 39
	ds_store_2addr_b64 v212, v[76:77], v[78:79] offset1:1
	s_waitcnt lgkmcnt(0)
	s_barrier
	buffer_gl0_inv
	ds_load_2addr_b64 v[236:239], v246 offset0:78 offset1:79
	s_cmp_lt_i32 s12, 41
	s_cbranch_scc1 .LBB116_821
; %bb.819:
	v_add3_u32 v245, v234, 0, 0x280
	v_mov_b32_e32 v244, 39
	s_mov_b32 s2, 40
	s_set_inst_prefetch_distance 0x1
	.p2align	6
.LBB116_820:                            ; =>This Inner Loop Header: Depth=1
	s_waitcnt lgkmcnt(0)
	v_cmp_gt_f64_e32 vcc_lo, 0, v[236:237]
	v_xor_b32_e32 v212, 0x80000000, v237
	v_xor_b32_e32 v214, 0x80000000, v239
	ds_load_2addr_b64 v[240:243], v245 offset1:1
	v_add_nc_u32_e32 v245, 16, v245
	s_waitcnt lgkmcnt(0)
	v_xor_b32_e32 v216, 0x80000000, v243
	v_cndmask_b32_e32 v213, v237, v212, vcc_lo
	v_cndmask_b32_e32 v212, v236, v236, vcc_lo
	v_cmp_gt_f64_e32 vcc_lo, 0, v[238:239]
	v_cndmask_b32_e32 v215, v239, v214, vcc_lo
	v_cndmask_b32_e32 v214, v238, v238, vcc_lo
	v_cmp_gt_f64_e32 vcc_lo, 0, v[240:241]
	s_delay_alu instid0(VALU_DEP_2) | instskip(SKIP_1) | instid1(VALU_DEP_1)
	v_add_f64 v[212:213], v[212:213], v[214:215]
	v_xor_b32_e32 v214, 0x80000000, v241
	v_dual_cndmask_b32 v215, v241, v214 :: v_dual_mov_b32 v214, v240
	v_cmp_gt_f64_e32 vcc_lo, 0, v[242:243]
	v_dual_cndmask_b32 v217, v243, v216 :: v_dual_mov_b32 v216, v242
	s_delay_alu instid0(VALU_DEP_1) | instskip(NEXT) | instid1(VALU_DEP_1)
	v_add_f64 v[214:215], v[214:215], v[216:217]
	v_cmp_lt_f64_e32 vcc_lo, v[212:213], v[214:215]
	v_dual_cndmask_b32 v237, v237, v241 :: v_dual_cndmask_b32 v236, v236, v240
	v_dual_cndmask_b32 v239, v239, v243 :: v_dual_cndmask_b32 v238, v238, v242
	v_cndmask_b32_e64 v244, v244, s2, vcc_lo
	s_add_i32 s2, s2, 1
	s_delay_alu instid0(SALU_CYCLE_1)
	s_cmp_lg_u32 s12, s2
	s_cbranch_scc1 .LBB116_820
.LBB116_821:
	s_set_inst_prefetch_distance 0x2
	s_waitcnt lgkmcnt(0)
	v_cmp_eq_f64_e32 vcc_lo, 0, v[236:237]
	v_cmp_eq_f64_e64 s2, 0, v[238:239]
	s_delay_alu instid0(VALU_DEP_1) | instskip(NEXT) | instid1(SALU_CYCLE_1)
	s_and_b32 s2, vcc_lo, s2
	s_and_saveexec_b32 s3, s2
	s_delay_alu instid0(SALU_CYCLE_1)
	s_xor_b32 s2, exec_lo, s3
; %bb.822:
	v_cmp_ne_u32_e32 vcc_lo, 0, v249
	v_cndmask_b32_e32 v249, 40, v249, vcc_lo
; %bb.823:
	s_and_not1_saveexec_b32 s3, s2
	s_cbranch_execz .LBB116_829
; %bb.824:
	v_cmp_gt_f64_e32 vcc_lo, 0, v[236:237]
	v_cmp_gt_f64_e64 s2, 0, v[238:239]
	v_xor_b32_e32 v212, 0x80000000, v237
	v_xor_b32_e32 v214, 0x80000000, v239
	s_delay_alu instid0(VALU_DEP_2) | instskip(NEXT) | instid1(VALU_DEP_2)
	v_cndmask_b32_e32 v213, v237, v212, vcc_lo
	v_cndmask_b32_e64 v215, v239, v214, s2
	v_cndmask_b32_e32 v212, v236, v236, vcc_lo
	v_cndmask_b32_e64 v214, v238, v238, s2
	s_mov_b32 s2, exec_lo
	s_delay_alu instid0(VALU_DEP_1)
	v_cmpx_ngt_f64_e32 v[212:213], v[214:215]
	s_xor_b32 s2, exec_lo, s2
	s_cbranch_execz .LBB116_826
; %bb.825:
	v_div_scale_f64 v[212:213], null, v[238:239], v[238:239], v[236:237]
	v_div_scale_f64 v[218:219], vcc_lo, v[236:237], v[238:239], v[236:237]
	s_delay_alu instid0(VALU_DEP_2) | instskip(SKIP_2) | instid1(VALU_DEP_1)
	v_rcp_f64_e32 v[214:215], v[212:213]
	s_waitcnt_depctr 0xfff
	v_fma_f64 v[216:217], -v[212:213], v[214:215], 1.0
	v_fma_f64 v[214:215], v[214:215], v[216:217], v[214:215]
	s_delay_alu instid0(VALU_DEP_1) | instskip(NEXT) | instid1(VALU_DEP_1)
	v_fma_f64 v[216:217], -v[212:213], v[214:215], 1.0
	v_fma_f64 v[214:215], v[214:215], v[216:217], v[214:215]
	s_delay_alu instid0(VALU_DEP_1) | instskip(NEXT) | instid1(VALU_DEP_1)
	v_mul_f64 v[216:217], v[218:219], v[214:215]
	v_fma_f64 v[212:213], -v[212:213], v[216:217], v[218:219]
	s_delay_alu instid0(VALU_DEP_1) | instskip(NEXT) | instid1(VALU_DEP_1)
	v_div_fmas_f64 v[212:213], v[212:213], v[214:215], v[216:217]
	v_div_fixup_f64 v[212:213], v[212:213], v[238:239], v[236:237]
	s_delay_alu instid0(VALU_DEP_1) | instskip(NEXT) | instid1(VALU_DEP_1)
	v_fma_f64 v[214:215], v[236:237], v[212:213], v[238:239]
	v_div_scale_f64 v[216:217], null, v[214:215], v[214:215], 1.0
	s_delay_alu instid0(VALU_DEP_1) | instskip(SKIP_2) | instid1(VALU_DEP_1)
	v_rcp_f64_e32 v[218:219], v[216:217]
	s_waitcnt_depctr 0xfff
	v_fma_f64 v[220:221], -v[216:217], v[218:219], 1.0
	v_fma_f64 v[218:219], v[218:219], v[220:221], v[218:219]
	s_delay_alu instid0(VALU_DEP_1) | instskip(NEXT) | instid1(VALU_DEP_1)
	v_fma_f64 v[220:221], -v[216:217], v[218:219], 1.0
	v_fma_f64 v[218:219], v[218:219], v[220:221], v[218:219]
	v_div_scale_f64 v[220:221], vcc_lo, 1.0, v[214:215], 1.0
	s_delay_alu instid0(VALU_DEP_1) | instskip(NEXT) | instid1(VALU_DEP_1)
	v_mul_f64 v[222:223], v[220:221], v[218:219]
	v_fma_f64 v[216:217], -v[216:217], v[222:223], v[220:221]
	s_delay_alu instid0(VALU_DEP_1) | instskip(NEXT) | instid1(VALU_DEP_1)
	v_div_fmas_f64 v[216:217], v[216:217], v[218:219], v[222:223]
	v_div_fixup_f64 v[238:239], v[216:217], v[214:215], 1.0
	s_delay_alu instid0(VALU_DEP_1)
	v_mul_f64 v[236:237], v[212:213], v[238:239]
	v_xor_b32_e32 v239, 0x80000000, v239
.LBB116_826:
	s_and_not1_saveexec_b32 s2, s2
	s_cbranch_execz .LBB116_828
; %bb.827:
	s_delay_alu instid0(VALU_DEP_1) | instskip(SKIP_1) | instid1(VALU_DEP_2)
	v_div_scale_f64 v[212:213], null, v[236:237], v[236:237], v[238:239]
	v_div_scale_f64 v[218:219], vcc_lo, v[238:239], v[236:237], v[238:239]
	v_rcp_f64_e32 v[214:215], v[212:213]
	s_waitcnt_depctr 0xfff
	v_fma_f64 v[216:217], -v[212:213], v[214:215], 1.0
	s_delay_alu instid0(VALU_DEP_1) | instskip(NEXT) | instid1(VALU_DEP_1)
	v_fma_f64 v[214:215], v[214:215], v[216:217], v[214:215]
	v_fma_f64 v[216:217], -v[212:213], v[214:215], 1.0
	s_delay_alu instid0(VALU_DEP_1) | instskip(NEXT) | instid1(VALU_DEP_1)
	v_fma_f64 v[214:215], v[214:215], v[216:217], v[214:215]
	v_mul_f64 v[216:217], v[218:219], v[214:215]
	s_delay_alu instid0(VALU_DEP_1) | instskip(NEXT) | instid1(VALU_DEP_1)
	v_fma_f64 v[212:213], -v[212:213], v[216:217], v[218:219]
	v_div_fmas_f64 v[212:213], v[212:213], v[214:215], v[216:217]
	s_delay_alu instid0(VALU_DEP_1) | instskip(NEXT) | instid1(VALU_DEP_1)
	v_div_fixup_f64 v[212:213], v[212:213], v[236:237], v[238:239]
	v_fma_f64 v[214:215], v[238:239], v[212:213], v[236:237]
	s_delay_alu instid0(VALU_DEP_1) | instskip(NEXT) | instid1(VALU_DEP_1)
	v_div_scale_f64 v[216:217], null, v[214:215], v[214:215], 1.0
	v_rcp_f64_e32 v[218:219], v[216:217]
	s_waitcnt_depctr 0xfff
	v_fma_f64 v[220:221], -v[216:217], v[218:219], 1.0
	s_delay_alu instid0(VALU_DEP_1) | instskip(NEXT) | instid1(VALU_DEP_1)
	v_fma_f64 v[218:219], v[218:219], v[220:221], v[218:219]
	v_fma_f64 v[220:221], -v[216:217], v[218:219], 1.0
	s_delay_alu instid0(VALU_DEP_1) | instskip(SKIP_1) | instid1(VALU_DEP_1)
	v_fma_f64 v[218:219], v[218:219], v[220:221], v[218:219]
	v_div_scale_f64 v[220:221], vcc_lo, 1.0, v[214:215], 1.0
	v_mul_f64 v[222:223], v[220:221], v[218:219]
	s_delay_alu instid0(VALU_DEP_1) | instskip(NEXT) | instid1(VALU_DEP_1)
	v_fma_f64 v[216:217], -v[216:217], v[222:223], v[220:221]
	v_div_fmas_f64 v[216:217], v[216:217], v[218:219], v[222:223]
	s_delay_alu instid0(VALU_DEP_1) | instskip(NEXT) | instid1(VALU_DEP_1)
	v_div_fixup_f64 v[236:237], v[216:217], v[214:215], 1.0
	v_mul_f64 v[238:239], v[212:213], -v[236:237]
.LBB116_828:
	s_or_b32 exec_lo, exec_lo, s2
.LBB116_829:
	s_delay_alu instid0(SALU_CYCLE_1) | instskip(NEXT) | instid1(SALU_CYCLE_1)
	s_or_b32 exec_lo, exec_lo, s3
	s_mov_b32 s2, exec_lo
	v_cmpx_ne_u32_e64 v252, v244
	s_xor_b32 s2, exec_lo, s2
	s_cbranch_execz .LBB116_835
; %bb.830:
	s_mov_b32 s3, exec_lo
	v_cmpx_eq_u32_e32 39, v252
	s_cbranch_execz .LBB116_834
; %bb.831:
	v_cmp_ne_u32_e32 vcc_lo, 39, v244
	s_xor_b32 s4, s5, -1
	s_delay_alu instid0(SALU_CYCLE_1) | instskip(NEXT) | instid1(SALU_CYCLE_1)
	s_and_b32 s6, s4, vcc_lo
	s_and_saveexec_b32 s4, s6
	s_cbranch_execz .LBB116_833
; %bb.832:
	scratch_load_b64 v[208:209], off, off offset:16 ; 8-byte Folded Reload
	v_ashrrev_i32_e32 v245, 31, v244
	s_delay_alu instid0(VALU_DEP_1) | instskip(SKIP_1) | instid1(VALU_DEP_1)
	v_lshlrev_b64 v[212:213], 2, v[244:245]
	s_waitcnt vmcnt(0)
	v_add_co_u32 v212, vcc_lo, v208, v212
	s_delay_alu instid0(VALU_DEP_2)
	v_add_co_ci_u32_e32 v213, vcc_lo, v209, v213, vcc_lo
	s_clause 0x1
	flat_load_b32 v214, v[212:213]
	flat_load_b32 v215, v[208:209] offset:156
	s_waitcnt vmcnt(1) lgkmcnt(1)
	flat_store_b32 v[208:209], v214 offset:156
	s_waitcnt vmcnt(0) lgkmcnt(1)
	flat_store_b32 v[212:213], v215
.LBB116_833:
	s_or_b32 exec_lo, exec_lo, s4
	v_mov_b32_e32 v252, v244
	v_mov_b32_e32 v251, v244
.LBB116_834:
	s_or_b32 exec_lo, exec_lo, s3
.LBB116_835:
	s_and_not1_saveexec_b32 s2, s2
	s_cbranch_execz .LBB116_837
; %bb.836:
	v_mov_b32_e32 v252, 39
	ds_store_2addr_b64 v246, v[72:73], v[74:75] offset0:80 offset1:81
	ds_store_2addr_b64 v246, v[68:69], v[70:71] offset0:82 offset1:83
	;; [unrolled: 1-line block ×19, first 2 shown]
.LBB116_837:
	s_or_b32 exec_lo, exec_lo, s2
	s_delay_alu instid0(SALU_CYCLE_1)
	s_mov_b32 s2, exec_lo
	s_waitcnt lgkmcnt(0)
	s_waitcnt_vscnt null, 0x0
	s_barrier
	buffer_gl0_inv
	v_cmpx_lt_i32_e32 39, v252
	s_cbranch_execz .LBB116_839
; %bb.838:
	v_mul_f64 v[212:213], v[238:239], v[78:79]
	v_mul_f64 v[78:79], v[236:237], v[78:79]
	s_delay_alu instid0(VALU_DEP_2) | instskip(NEXT) | instid1(VALU_DEP_2)
	v_fma_f64 v[244:245], v[236:237], v[76:77], -v[212:213]
	v_fma_f64 v[78:79], v[238:239], v[76:77], v[78:79]
	ds_load_2addr_b64 v[236:239], v246 offset0:80 offset1:81
	s_waitcnt lgkmcnt(0)
	v_mul_f64 v[76:77], v[238:239], v[78:79]
	v_mul_f64 v[212:213], v[236:237], v[78:79]
	s_delay_alu instid0(VALU_DEP_2) | instskip(NEXT) | instid1(VALU_DEP_2)
	v_fma_f64 v[76:77], v[236:237], v[244:245], -v[76:77]
	v_fma_f64 v[212:213], v[238:239], v[244:245], v[212:213]
	ds_load_2addr_b64 v[236:239], v246 offset0:82 offset1:83
	v_add_f64 v[72:73], v[72:73], -v[76:77]
	v_add_f64 v[74:75], v[74:75], -v[212:213]
	s_waitcnt lgkmcnt(0)
	v_mul_f64 v[76:77], v[238:239], v[78:79]
	v_mul_f64 v[212:213], v[236:237], v[78:79]
	s_delay_alu instid0(VALU_DEP_2) | instskip(NEXT) | instid1(VALU_DEP_2)
	v_fma_f64 v[76:77], v[236:237], v[244:245], -v[76:77]
	v_fma_f64 v[212:213], v[238:239], v[244:245], v[212:213]
	ds_load_2addr_b64 v[236:239], v246 offset0:84 offset1:85
	v_add_f64 v[68:69], v[68:69], -v[76:77]
	v_add_f64 v[70:71], v[70:71], -v[212:213]
	;; [unrolled: 9-line block ×18, first 2 shown]
	s_waitcnt lgkmcnt(0)
	v_mul_f64 v[76:77], v[238:239], v[78:79]
	v_mul_f64 v[212:213], v[236:237], v[78:79]
	s_delay_alu instid0(VALU_DEP_2) | instskip(NEXT) | instid1(VALU_DEP_2)
	v_fma_f64 v[76:77], v[236:237], v[244:245], -v[76:77]
	v_fma_f64 v[212:213], v[238:239], v[244:245], v[212:213]
	s_delay_alu instid0(VALU_DEP_2) | instskip(NEXT) | instid1(VALU_DEP_2)
	v_add_f64 v[224:225], v[224:225], -v[76:77]
	v_add_f64 v[226:227], v[226:227], -v[212:213]
	v_dual_mov_b32 v76, v244 :: v_dual_mov_b32 v77, v245
.LBB116_839:
	s_or_b32 exec_lo, exec_lo, s2
	v_lshl_add_u32 v212, v252, 4, v246
	s_barrier
	buffer_gl0_inv
	v_mov_b32_e32 v244, 40
	ds_store_2addr_b64 v212, v[72:73], v[74:75] offset1:1
	s_waitcnt lgkmcnt(0)
	s_barrier
	buffer_gl0_inv
	ds_load_2addr_b64 v[236:239], v246 offset0:80 offset1:81
	s_cmp_lt_i32 s12, 42
	s_cbranch_scc1 .LBB116_842
; %bb.840:
	v_add3_u32 v245, v234, 0, 0x290
	v_mov_b32_e32 v244, 40
	s_mov_b32 s2, 41
	s_set_inst_prefetch_distance 0x1
	.p2align	6
.LBB116_841:                            ; =>This Inner Loop Header: Depth=1
	s_waitcnt lgkmcnt(0)
	v_cmp_gt_f64_e32 vcc_lo, 0, v[236:237]
	v_xor_b32_e32 v212, 0x80000000, v237
	v_xor_b32_e32 v214, 0x80000000, v239
	ds_load_2addr_b64 v[240:243], v245 offset1:1
	v_add_nc_u32_e32 v245, 16, v245
	s_waitcnt lgkmcnt(0)
	v_xor_b32_e32 v216, 0x80000000, v243
	v_cndmask_b32_e32 v213, v237, v212, vcc_lo
	v_cndmask_b32_e32 v212, v236, v236, vcc_lo
	v_cmp_gt_f64_e32 vcc_lo, 0, v[238:239]
	v_cndmask_b32_e32 v215, v239, v214, vcc_lo
	v_cndmask_b32_e32 v214, v238, v238, vcc_lo
	v_cmp_gt_f64_e32 vcc_lo, 0, v[240:241]
	s_delay_alu instid0(VALU_DEP_2) | instskip(SKIP_1) | instid1(VALU_DEP_1)
	v_add_f64 v[212:213], v[212:213], v[214:215]
	v_xor_b32_e32 v214, 0x80000000, v241
	v_dual_cndmask_b32 v215, v241, v214 :: v_dual_mov_b32 v214, v240
	v_cmp_gt_f64_e32 vcc_lo, 0, v[242:243]
	v_dual_cndmask_b32 v217, v243, v216 :: v_dual_mov_b32 v216, v242
	s_delay_alu instid0(VALU_DEP_1) | instskip(NEXT) | instid1(VALU_DEP_1)
	v_add_f64 v[214:215], v[214:215], v[216:217]
	v_cmp_lt_f64_e32 vcc_lo, v[212:213], v[214:215]
	v_dual_cndmask_b32 v237, v237, v241 :: v_dual_cndmask_b32 v236, v236, v240
	v_dual_cndmask_b32 v239, v239, v243 :: v_dual_cndmask_b32 v238, v238, v242
	v_cndmask_b32_e64 v244, v244, s2, vcc_lo
	s_add_i32 s2, s2, 1
	s_delay_alu instid0(SALU_CYCLE_1)
	s_cmp_lg_u32 s12, s2
	s_cbranch_scc1 .LBB116_841
.LBB116_842:
	s_set_inst_prefetch_distance 0x2
	s_waitcnt lgkmcnt(0)
	v_cmp_eq_f64_e32 vcc_lo, 0, v[236:237]
	v_cmp_eq_f64_e64 s2, 0, v[238:239]
	s_delay_alu instid0(VALU_DEP_1) | instskip(NEXT) | instid1(SALU_CYCLE_1)
	s_and_b32 s2, vcc_lo, s2
	s_and_saveexec_b32 s3, s2
	s_delay_alu instid0(SALU_CYCLE_1)
	s_xor_b32 s2, exec_lo, s3
; %bb.843:
	v_cmp_ne_u32_e32 vcc_lo, 0, v249
	v_cndmask_b32_e32 v249, 41, v249, vcc_lo
; %bb.844:
	s_and_not1_saveexec_b32 s3, s2
	s_cbranch_execz .LBB116_850
; %bb.845:
	v_cmp_gt_f64_e32 vcc_lo, 0, v[236:237]
	v_cmp_gt_f64_e64 s2, 0, v[238:239]
	v_xor_b32_e32 v212, 0x80000000, v237
	v_xor_b32_e32 v214, 0x80000000, v239
	s_delay_alu instid0(VALU_DEP_2) | instskip(NEXT) | instid1(VALU_DEP_2)
	v_cndmask_b32_e32 v213, v237, v212, vcc_lo
	v_cndmask_b32_e64 v215, v239, v214, s2
	v_cndmask_b32_e32 v212, v236, v236, vcc_lo
	v_cndmask_b32_e64 v214, v238, v238, s2
	s_mov_b32 s2, exec_lo
	s_delay_alu instid0(VALU_DEP_1)
	v_cmpx_ngt_f64_e32 v[212:213], v[214:215]
	s_xor_b32 s2, exec_lo, s2
	s_cbranch_execz .LBB116_847
; %bb.846:
	v_div_scale_f64 v[212:213], null, v[238:239], v[238:239], v[236:237]
	v_div_scale_f64 v[218:219], vcc_lo, v[236:237], v[238:239], v[236:237]
	s_delay_alu instid0(VALU_DEP_2) | instskip(SKIP_2) | instid1(VALU_DEP_1)
	v_rcp_f64_e32 v[214:215], v[212:213]
	s_waitcnt_depctr 0xfff
	v_fma_f64 v[216:217], -v[212:213], v[214:215], 1.0
	v_fma_f64 v[214:215], v[214:215], v[216:217], v[214:215]
	s_delay_alu instid0(VALU_DEP_1) | instskip(NEXT) | instid1(VALU_DEP_1)
	v_fma_f64 v[216:217], -v[212:213], v[214:215], 1.0
	v_fma_f64 v[214:215], v[214:215], v[216:217], v[214:215]
	s_delay_alu instid0(VALU_DEP_1) | instskip(NEXT) | instid1(VALU_DEP_1)
	v_mul_f64 v[216:217], v[218:219], v[214:215]
	v_fma_f64 v[212:213], -v[212:213], v[216:217], v[218:219]
	s_delay_alu instid0(VALU_DEP_1) | instskip(NEXT) | instid1(VALU_DEP_1)
	v_div_fmas_f64 v[212:213], v[212:213], v[214:215], v[216:217]
	v_div_fixup_f64 v[212:213], v[212:213], v[238:239], v[236:237]
	s_delay_alu instid0(VALU_DEP_1) | instskip(NEXT) | instid1(VALU_DEP_1)
	v_fma_f64 v[214:215], v[236:237], v[212:213], v[238:239]
	v_div_scale_f64 v[216:217], null, v[214:215], v[214:215], 1.0
	s_delay_alu instid0(VALU_DEP_1) | instskip(SKIP_2) | instid1(VALU_DEP_1)
	v_rcp_f64_e32 v[218:219], v[216:217]
	s_waitcnt_depctr 0xfff
	v_fma_f64 v[220:221], -v[216:217], v[218:219], 1.0
	v_fma_f64 v[218:219], v[218:219], v[220:221], v[218:219]
	s_delay_alu instid0(VALU_DEP_1) | instskip(NEXT) | instid1(VALU_DEP_1)
	v_fma_f64 v[220:221], -v[216:217], v[218:219], 1.0
	v_fma_f64 v[218:219], v[218:219], v[220:221], v[218:219]
	v_div_scale_f64 v[220:221], vcc_lo, 1.0, v[214:215], 1.0
	s_delay_alu instid0(VALU_DEP_1) | instskip(NEXT) | instid1(VALU_DEP_1)
	v_mul_f64 v[222:223], v[220:221], v[218:219]
	v_fma_f64 v[216:217], -v[216:217], v[222:223], v[220:221]
	s_delay_alu instid0(VALU_DEP_1) | instskip(NEXT) | instid1(VALU_DEP_1)
	v_div_fmas_f64 v[216:217], v[216:217], v[218:219], v[222:223]
	v_div_fixup_f64 v[238:239], v[216:217], v[214:215], 1.0
	s_delay_alu instid0(VALU_DEP_1)
	v_mul_f64 v[236:237], v[212:213], v[238:239]
	v_xor_b32_e32 v239, 0x80000000, v239
.LBB116_847:
	s_and_not1_saveexec_b32 s2, s2
	s_cbranch_execz .LBB116_849
; %bb.848:
	s_delay_alu instid0(VALU_DEP_1) | instskip(SKIP_1) | instid1(VALU_DEP_2)
	v_div_scale_f64 v[212:213], null, v[236:237], v[236:237], v[238:239]
	v_div_scale_f64 v[218:219], vcc_lo, v[238:239], v[236:237], v[238:239]
	v_rcp_f64_e32 v[214:215], v[212:213]
	s_waitcnt_depctr 0xfff
	v_fma_f64 v[216:217], -v[212:213], v[214:215], 1.0
	s_delay_alu instid0(VALU_DEP_1) | instskip(NEXT) | instid1(VALU_DEP_1)
	v_fma_f64 v[214:215], v[214:215], v[216:217], v[214:215]
	v_fma_f64 v[216:217], -v[212:213], v[214:215], 1.0
	s_delay_alu instid0(VALU_DEP_1) | instskip(NEXT) | instid1(VALU_DEP_1)
	v_fma_f64 v[214:215], v[214:215], v[216:217], v[214:215]
	v_mul_f64 v[216:217], v[218:219], v[214:215]
	s_delay_alu instid0(VALU_DEP_1) | instskip(NEXT) | instid1(VALU_DEP_1)
	v_fma_f64 v[212:213], -v[212:213], v[216:217], v[218:219]
	v_div_fmas_f64 v[212:213], v[212:213], v[214:215], v[216:217]
	s_delay_alu instid0(VALU_DEP_1) | instskip(NEXT) | instid1(VALU_DEP_1)
	v_div_fixup_f64 v[212:213], v[212:213], v[236:237], v[238:239]
	v_fma_f64 v[214:215], v[238:239], v[212:213], v[236:237]
	s_delay_alu instid0(VALU_DEP_1) | instskip(NEXT) | instid1(VALU_DEP_1)
	v_div_scale_f64 v[216:217], null, v[214:215], v[214:215], 1.0
	v_rcp_f64_e32 v[218:219], v[216:217]
	s_waitcnt_depctr 0xfff
	v_fma_f64 v[220:221], -v[216:217], v[218:219], 1.0
	s_delay_alu instid0(VALU_DEP_1) | instskip(NEXT) | instid1(VALU_DEP_1)
	v_fma_f64 v[218:219], v[218:219], v[220:221], v[218:219]
	v_fma_f64 v[220:221], -v[216:217], v[218:219], 1.0
	s_delay_alu instid0(VALU_DEP_1) | instskip(SKIP_1) | instid1(VALU_DEP_1)
	v_fma_f64 v[218:219], v[218:219], v[220:221], v[218:219]
	v_div_scale_f64 v[220:221], vcc_lo, 1.0, v[214:215], 1.0
	v_mul_f64 v[222:223], v[220:221], v[218:219]
	s_delay_alu instid0(VALU_DEP_1) | instskip(NEXT) | instid1(VALU_DEP_1)
	v_fma_f64 v[216:217], -v[216:217], v[222:223], v[220:221]
	v_div_fmas_f64 v[216:217], v[216:217], v[218:219], v[222:223]
	s_delay_alu instid0(VALU_DEP_1) | instskip(NEXT) | instid1(VALU_DEP_1)
	v_div_fixup_f64 v[236:237], v[216:217], v[214:215], 1.0
	v_mul_f64 v[238:239], v[212:213], -v[236:237]
.LBB116_849:
	s_or_b32 exec_lo, exec_lo, s2
.LBB116_850:
	s_delay_alu instid0(SALU_CYCLE_1) | instskip(NEXT) | instid1(SALU_CYCLE_1)
	s_or_b32 exec_lo, exec_lo, s3
	s_mov_b32 s2, exec_lo
	v_cmpx_ne_u32_e64 v252, v244
	s_xor_b32 s2, exec_lo, s2
	s_cbranch_execz .LBB116_856
; %bb.851:
	s_mov_b32 s3, exec_lo
	v_cmpx_eq_u32_e32 40, v252
	s_cbranch_execz .LBB116_855
; %bb.852:
	v_cmp_ne_u32_e32 vcc_lo, 40, v244
	s_xor_b32 s4, s5, -1
	s_delay_alu instid0(SALU_CYCLE_1) | instskip(NEXT) | instid1(SALU_CYCLE_1)
	s_and_b32 s6, s4, vcc_lo
	s_and_saveexec_b32 s4, s6
	s_cbranch_execz .LBB116_854
; %bb.853:
	scratch_load_b64 v[208:209], off, off offset:16 ; 8-byte Folded Reload
	v_ashrrev_i32_e32 v245, 31, v244
	s_delay_alu instid0(VALU_DEP_1) | instskip(SKIP_1) | instid1(VALU_DEP_1)
	v_lshlrev_b64 v[212:213], 2, v[244:245]
	s_waitcnt vmcnt(0)
	v_add_co_u32 v212, vcc_lo, v208, v212
	s_delay_alu instid0(VALU_DEP_2)
	v_add_co_ci_u32_e32 v213, vcc_lo, v209, v213, vcc_lo
	s_clause 0x1
	flat_load_b32 v214, v[212:213]
	flat_load_b32 v215, v[208:209] offset:160
	s_waitcnt vmcnt(1) lgkmcnt(1)
	flat_store_b32 v[208:209], v214 offset:160
	s_waitcnt vmcnt(0) lgkmcnt(1)
	flat_store_b32 v[212:213], v215
.LBB116_854:
	s_or_b32 exec_lo, exec_lo, s4
	v_mov_b32_e32 v252, v244
	v_mov_b32_e32 v251, v244
.LBB116_855:
	s_or_b32 exec_lo, exec_lo, s3
.LBB116_856:
	s_and_not1_saveexec_b32 s2, s2
	s_cbranch_execz .LBB116_858
; %bb.857:
	v_mov_b32_e32 v252, 40
	ds_store_2addr_b64 v246, v[68:69], v[70:71] offset0:82 offset1:83
	ds_store_2addr_b64 v246, v[64:65], v[66:67] offset0:84 offset1:85
	;; [unrolled: 1-line block ×18, first 2 shown]
.LBB116_858:
	s_or_b32 exec_lo, exec_lo, s2
	s_delay_alu instid0(SALU_CYCLE_1)
	s_mov_b32 s2, exec_lo
	s_waitcnt lgkmcnt(0)
	s_waitcnt_vscnt null, 0x0
	s_barrier
	buffer_gl0_inv
	v_cmpx_lt_i32_e32 40, v252
	s_cbranch_execz .LBB116_860
; %bb.859:
	v_mul_f64 v[212:213], v[238:239], v[74:75]
	v_mul_f64 v[74:75], v[236:237], v[74:75]
	s_delay_alu instid0(VALU_DEP_2) | instskip(NEXT) | instid1(VALU_DEP_2)
	v_fma_f64 v[244:245], v[236:237], v[72:73], -v[212:213]
	v_fma_f64 v[74:75], v[238:239], v[72:73], v[74:75]
	ds_load_2addr_b64 v[236:239], v246 offset0:82 offset1:83
	s_waitcnt lgkmcnt(0)
	v_mul_f64 v[72:73], v[238:239], v[74:75]
	v_mul_f64 v[212:213], v[236:237], v[74:75]
	s_delay_alu instid0(VALU_DEP_2) | instskip(NEXT) | instid1(VALU_DEP_2)
	v_fma_f64 v[72:73], v[236:237], v[244:245], -v[72:73]
	v_fma_f64 v[212:213], v[238:239], v[244:245], v[212:213]
	ds_load_2addr_b64 v[236:239], v246 offset0:84 offset1:85
	v_add_f64 v[68:69], v[68:69], -v[72:73]
	v_add_f64 v[70:71], v[70:71], -v[212:213]
	s_waitcnt lgkmcnt(0)
	v_mul_f64 v[72:73], v[238:239], v[74:75]
	v_mul_f64 v[212:213], v[236:237], v[74:75]
	s_delay_alu instid0(VALU_DEP_2) | instskip(NEXT) | instid1(VALU_DEP_2)
	v_fma_f64 v[72:73], v[236:237], v[244:245], -v[72:73]
	v_fma_f64 v[212:213], v[238:239], v[244:245], v[212:213]
	ds_load_2addr_b64 v[236:239], v246 offset0:86 offset1:87
	v_add_f64 v[64:65], v[64:65], -v[72:73]
	v_add_f64 v[66:67], v[66:67], -v[212:213]
	s_waitcnt lgkmcnt(0)
	v_mul_f64 v[72:73], v[238:239], v[74:75]
	v_mul_f64 v[212:213], v[236:237], v[74:75]
	s_delay_alu instid0(VALU_DEP_2) | instskip(NEXT) | instid1(VALU_DEP_2)
	v_fma_f64 v[72:73], v[236:237], v[244:245], -v[72:73]
	v_fma_f64 v[212:213], v[238:239], v[244:245], v[212:213]
	ds_load_2addr_b64 v[236:239], v246 offset0:88 offset1:89
	v_add_f64 v[60:61], v[60:61], -v[72:73]
	v_add_f64 v[62:63], v[62:63], -v[212:213]
	s_waitcnt lgkmcnt(0)
	v_mul_f64 v[72:73], v[238:239], v[74:75]
	v_mul_f64 v[212:213], v[236:237], v[74:75]
	s_delay_alu instid0(VALU_DEP_2) | instskip(NEXT) | instid1(VALU_DEP_2)
	v_fma_f64 v[72:73], v[236:237], v[244:245], -v[72:73]
	v_fma_f64 v[212:213], v[238:239], v[244:245], v[212:213]
	ds_load_2addr_b64 v[236:239], v246 offset0:90 offset1:91
	v_add_f64 v[56:57], v[56:57], -v[72:73]
	v_add_f64 v[58:59], v[58:59], -v[212:213]
	s_waitcnt lgkmcnt(0)
	v_mul_f64 v[72:73], v[238:239], v[74:75]
	v_mul_f64 v[212:213], v[236:237], v[74:75]
	s_delay_alu instid0(VALU_DEP_2) | instskip(NEXT) | instid1(VALU_DEP_2)
	v_fma_f64 v[72:73], v[236:237], v[244:245], -v[72:73]
	v_fma_f64 v[212:213], v[238:239], v[244:245], v[212:213]
	ds_load_2addr_b64 v[236:239], v246 offset0:92 offset1:93
	v_add_f64 v[52:53], v[52:53], -v[72:73]
	v_add_f64 v[54:55], v[54:55], -v[212:213]
	s_waitcnt lgkmcnt(0)
	v_mul_f64 v[72:73], v[238:239], v[74:75]
	v_mul_f64 v[212:213], v[236:237], v[74:75]
	s_delay_alu instid0(VALU_DEP_2) | instskip(NEXT) | instid1(VALU_DEP_2)
	v_fma_f64 v[72:73], v[236:237], v[244:245], -v[72:73]
	v_fma_f64 v[212:213], v[238:239], v[244:245], v[212:213]
	ds_load_2addr_b64 v[236:239], v246 offset0:94 offset1:95
	v_add_f64 v[48:49], v[48:49], -v[72:73]
	v_add_f64 v[50:51], v[50:51], -v[212:213]
	s_waitcnt lgkmcnt(0)
	v_mul_f64 v[72:73], v[238:239], v[74:75]
	v_mul_f64 v[212:213], v[236:237], v[74:75]
	s_delay_alu instid0(VALU_DEP_2) | instskip(NEXT) | instid1(VALU_DEP_2)
	v_fma_f64 v[72:73], v[236:237], v[244:245], -v[72:73]
	v_fma_f64 v[212:213], v[238:239], v[244:245], v[212:213]
	ds_load_2addr_b64 v[236:239], v246 offset0:96 offset1:97
	v_add_f64 v[44:45], v[44:45], -v[72:73]
	v_add_f64 v[46:47], v[46:47], -v[212:213]
	s_waitcnt lgkmcnt(0)
	v_mul_f64 v[72:73], v[238:239], v[74:75]
	v_mul_f64 v[212:213], v[236:237], v[74:75]
	s_delay_alu instid0(VALU_DEP_2) | instskip(NEXT) | instid1(VALU_DEP_2)
	v_fma_f64 v[72:73], v[236:237], v[244:245], -v[72:73]
	v_fma_f64 v[212:213], v[238:239], v[244:245], v[212:213]
	ds_load_2addr_b64 v[236:239], v246 offset0:98 offset1:99
	v_add_f64 v[40:41], v[40:41], -v[72:73]
	v_add_f64 v[42:43], v[42:43], -v[212:213]
	s_waitcnt lgkmcnt(0)
	v_mul_f64 v[72:73], v[238:239], v[74:75]
	v_mul_f64 v[212:213], v[236:237], v[74:75]
	s_delay_alu instid0(VALU_DEP_2) | instskip(NEXT) | instid1(VALU_DEP_2)
	v_fma_f64 v[72:73], v[236:237], v[244:245], -v[72:73]
	v_fma_f64 v[212:213], v[238:239], v[244:245], v[212:213]
	ds_load_2addr_b64 v[236:239], v246 offset0:100 offset1:101
	v_add_f64 v[36:37], v[36:37], -v[72:73]
	v_add_f64 v[38:39], v[38:39], -v[212:213]
	s_waitcnt lgkmcnt(0)
	v_mul_f64 v[72:73], v[238:239], v[74:75]
	v_mul_f64 v[212:213], v[236:237], v[74:75]
	s_delay_alu instid0(VALU_DEP_2) | instskip(NEXT) | instid1(VALU_DEP_2)
	v_fma_f64 v[72:73], v[236:237], v[244:245], -v[72:73]
	v_fma_f64 v[212:213], v[238:239], v[244:245], v[212:213]
	ds_load_2addr_b64 v[236:239], v246 offset0:102 offset1:103
	v_add_f64 v[32:33], v[32:33], -v[72:73]
	v_add_f64 v[34:35], v[34:35], -v[212:213]
	s_waitcnt lgkmcnt(0)
	v_mul_f64 v[72:73], v[238:239], v[74:75]
	v_mul_f64 v[212:213], v[236:237], v[74:75]
	s_delay_alu instid0(VALU_DEP_2) | instskip(NEXT) | instid1(VALU_DEP_2)
	v_fma_f64 v[72:73], v[236:237], v[244:245], -v[72:73]
	v_fma_f64 v[212:213], v[238:239], v[244:245], v[212:213]
	ds_load_2addr_b64 v[236:239], v246 offset0:104 offset1:105
	v_add_f64 v[28:29], v[28:29], -v[72:73]
	v_add_f64 v[30:31], v[30:31], -v[212:213]
	s_waitcnt lgkmcnt(0)
	v_mul_f64 v[72:73], v[238:239], v[74:75]
	v_mul_f64 v[212:213], v[236:237], v[74:75]
	s_delay_alu instid0(VALU_DEP_2) | instskip(NEXT) | instid1(VALU_DEP_2)
	v_fma_f64 v[72:73], v[236:237], v[244:245], -v[72:73]
	v_fma_f64 v[212:213], v[238:239], v[244:245], v[212:213]
	ds_load_2addr_b64 v[236:239], v246 offset0:106 offset1:107
	v_add_f64 v[24:25], v[24:25], -v[72:73]
	v_add_f64 v[26:27], v[26:27], -v[212:213]
	s_waitcnt lgkmcnt(0)
	v_mul_f64 v[72:73], v[238:239], v[74:75]
	v_mul_f64 v[212:213], v[236:237], v[74:75]
	s_delay_alu instid0(VALU_DEP_2) | instskip(NEXT) | instid1(VALU_DEP_2)
	v_fma_f64 v[72:73], v[236:237], v[244:245], -v[72:73]
	v_fma_f64 v[212:213], v[238:239], v[244:245], v[212:213]
	ds_load_2addr_b64 v[236:239], v246 offset0:108 offset1:109
	v_add_f64 v[20:21], v[20:21], -v[72:73]
	v_add_f64 v[22:23], v[22:23], -v[212:213]
	s_waitcnt lgkmcnt(0)
	v_mul_f64 v[72:73], v[238:239], v[74:75]
	v_mul_f64 v[212:213], v[236:237], v[74:75]
	s_delay_alu instid0(VALU_DEP_2) | instskip(NEXT) | instid1(VALU_DEP_2)
	v_fma_f64 v[72:73], v[236:237], v[244:245], -v[72:73]
	v_fma_f64 v[212:213], v[238:239], v[244:245], v[212:213]
	ds_load_2addr_b64 v[236:239], v246 offset0:110 offset1:111
	v_add_f64 v[16:17], v[16:17], -v[72:73]
	v_add_f64 v[18:19], v[18:19], -v[212:213]
	s_waitcnt lgkmcnt(0)
	v_mul_f64 v[72:73], v[238:239], v[74:75]
	v_mul_f64 v[212:213], v[236:237], v[74:75]
	s_delay_alu instid0(VALU_DEP_2) | instskip(NEXT) | instid1(VALU_DEP_2)
	v_fma_f64 v[72:73], v[236:237], v[244:245], -v[72:73]
	v_fma_f64 v[212:213], v[238:239], v[244:245], v[212:213]
	ds_load_2addr_b64 v[236:239], v246 offset0:112 offset1:113
	v_add_f64 v[12:13], v[12:13], -v[72:73]
	v_add_f64 v[14:15], v[14:15], -v[212:213]
	s_waitcnt lgkmcnt(0)
	v_mul_f64 v[72:73], v[238:239], v[74:75]
	v_mul_f64 v[212:213], v[236:237], v[74:75]
	s_delay_alu instid0(VALU_DEP_2) | instskip(NEXT) | instid1(VALU_DEP_2)
	v_fma_f64 v[72:73], v[236:237], v[244:245], -v[72:73]
	v_fma_f64 v[212:213], v[238:239], v[244:245], v[212:213]
	ds_load_2addr_b64 v[236:239], v246 offset0:114 offset1:115
	v_add_f64 v[230:231], v[230:231], -v[72:73]
	v_add_f64 v[232:233], v[232:233], -v[212:213]
	s_waitcnt lgkmcnt(0)
	v_mul_f64 v[72:73], v[238:239], v[74:75]
	v_mul_f64 v[212:213], v[236:237], v[74:75]
	s_delay_alu instid0(VALU_DEP_2) | instskip(NEXT) | instid1(VALU_DEP_2)
	v_fma_f64 v[72:73], v[236:237], v[244:245], -v[72:73]
	v_fma_f64 v[212:213], v[238:239], v[244:245], v[212:213]
	ds_load_2addr_b64 v[236:239], v246 offset0:116 offset1:117
	v_add_f64 v[4:5], v[4:5], -v[72:73]
	v_add_f64 v[6:7], v[6:7], -v[212:213]
	s_waitcnt lgkmcnt(0)
	v_mul_f64 v[72:73], v[238:239], v[74:75]
	v_mul_f64 v[212:213], v[236:237], v[74:75]
	s_delay_alu instid0(VALU_DEP_2) | instskip(NEXT) | instid1(VALU_DEP_2)
	v_fma_f64 v[72:73], v[236:237], v[244:245], -v[72:73]
	v_fma_f64 v[212:213], v[238:239], v[244:245], v[212:213]
	s_delay_alu instid0(VALU_DEP_2) | instskip(NEXT) | instid1(VALU_DEP_2)
	v_add_f64 v[224:225], v[224:225], -v[72:73]
	v_add_f64 v[226:227], v[226:227], -v[212:213]
	v_dual_mov_b32 v72, v244 :: v_dual_mov_b32 v73, v245
.LBB116_860:
	s_or_b32 exec_lo, exec_lo, s2
	v_lshl_add_u32 v212, v252, 4, v246
	s_barrier
	buffer_gl0_inv
	v_mov_b32_e32 v244, 41
	ds_store_2addr_b64 v212, v[68:69], v[70:71] offset1:1
	s_waitcnt lgkmcnt(0)
	s_barrier
	buffer_gl0_inv
	ds_load_2addr_b64 v[236:239], v246 offset0:82 offset1:83
	s_cmp_lt_i32 s12, 43
	s_cbranch_scc1 .LBB116_863
; %bb.861:
	v_add3_u32 v245, v234, 0, 0x2a0
	v_mov_b32_e32 v244, 41
	s_mov_b32 s2, 42
	s_set_inst_prefetch_distance 0x1
	.p2align	6
.LBB116_862:                            ; =>This Inner Loop Header: Depth=1
	s_waitcnt lgkmcnt(0)
	v_cmp_gt_f64_e32 vcc_lo, 0, v[236:237]
	v_xor_b32_e32 v212, 0x80000000, v237
	v_xor_b32_e32 v214, 0x80000000, v239
	ds_load_2addr_b64 v[240:243], v245 offset1:1
	v_add_nc_u32_e32 v245, 16, v245
	s_waitcnt lgkmcnt(0)
	v_xor_b32_e32 v216, 0x80000000, v243
	v_cndmask_b32_e32 v213, v237, v212, vcc_lo
	v_cndmask_b32_e32 v212, v236, v236, vcc_lo
	v_cmp_gt_f64_e32 vcc_lo, 0, v[238:239]
	v_cndmask_b32_e32 v215, v239, v214, vcc_lo
	v_cndmask_b32_e32 v214, v238, v238, vcc_lo
	v_cmp_gt_f64_e32 vcc_lo, 0, v[240:241]
	s_delay_alu instid0(VALU_DEP_2) | instskip(SKIP_1) | instid1(VALU_DEP_1)
	v_add_f64 v[212:213], v[212:213], v[214:215]
	v_xor_b32_e32 v214, 0x80000000, v241
	v_dual_cndmask_b32 v215, v241, v214 :: v_dual_mov_b32 v214, v240
	v_cmp_gt_f64_e32 vcc_lo, 0, v[242:243]
	v_dual_cndmask_b32 v217, v243, v216 :: v_dual_mov_b32 v216, v242
	s_delay_alu instid0(VALU_DEP_1) | instskip(NEXT) | instid1(VALU_DEP_1)
	v_add_f64 v[214:215], v[214:215], v[216:217]
	v_cmp_lt_f64_e32 vcc_lo, v[212:213], v[214:215]
	v_dual_cndmask_b32 v237, v237, v241 :: v_dual_cndmask_b32 v236, v236, v240
	v_dual_cndmask_b32 v239, v239, v243 :: v_dual_cndmask_b32 v238, v238, v242
	v_cndmask_b32_e64 v244, v244, s2, vcc_lo
	s_add_i32 s2, s2, 1
	s_delay_alu instid0(SALU_CYCLE_1)
	s_cmp_lg_u32 s12, s2
	s_cbranch_scc1 .LBB116_862
.LBB116_863:
	s_set_inst_prefetch_distance 0x2
	s_waitcnt lgkmcnt(0)
	v_cmp_eq_f64_e32 vcc_lo, 0, v[236:237]
	v_cmp_eq_f64_e64 s2, 0, v[238:239]
	s_delay_alu instid0(VALU_DEP_1) | instskip(NEXT) | instid1(SALU_CYCLE_1)
	s_and_b32 s2, vcc_lo, s2
	s_and_saveexec_b32 s3, s2
	s_delay_alu instid0(SALU_CYCLE_1)
	s_xor_b32 s2, exec_lo, s3
; %bb.864:
	v_cmp_ne_u32_e32 vcc_lo, 0, v249
	v_cndmask_b32_e32 v249, 42, v249, vcc_lo
; %bb.865:
	s_and_not1_saveexec_b32 s3, s2
	s_cbranch_execz .LBB116_871
; %bb.866:
	v_cmp_gt_f64_e32 vcc_lo, 0, v[236:237]
	v_cmp_gt_f64_e64 s2, 0, v[238:239]
	v_xor_b32_e32 v212, 0x80000000, v237
	v_xor_b32_e32 v214, 0x80000000, v239
	s_delay_alu instid0(VALU_DEP_2) | instskip(NEXT) | instid1(VALU_DEP_2)
	v_cndmask_b32_e32 v213, v237, v212, vcc_lo
	v_cndmask_b32_e64 v215, v239, v214, s2
	v_cndmask_b32_e32 v212, v236, v236, vcc_lo
	v_cndmask_b32_e64 v214, v238, v238, s2
	s_mov_b32 s2, exec_lo
	s_delay_alu instid0(VALU_DEP_1)
	v_cmpx_ngt_f64_e32 v[212:213], v[214:215]
	s_xor_b32 s2, exec_lo, s2
	s_cbranch_execz .LBB116_868
; %bb.867:
	v_div_scale_f64 v[212:213], null, v[238:239], v[238:239], v[236:237]
	v_div_scale_f64 v[218:219], vcc_lo, v[236:237], v[238:239], v[236:237]
	s_delay_alu instid0(VALU_DEP_2) | instskip(SKIP_2) | instid1(VALU_DEP_1)
	v_rcp_f64_e32 v[214:215], v[212:213]
	s_waitcnt_depctr 0xfff
	v_fma_f64 v[216:217], -v[212:213], v[214:215], 1.0
	v_fma_f64 v[214:215], v[214:215], v[216:217], v[214:215]
	s_delay_alu instid0(VALU_DEP_1) | instskip(NEXT) | instid1(VALU_DEP_1)
	v_fma_f64 v[216:217], -v[212:213], v[214:215], 1.0
	v_fma_f64 v[214:215], v[214:215], v[216:217], v[214:215]
	s_delay_alu instid0(VALU_DEP_1) | instskip(NEXT) | instid1(VALU_DEP_1)
	v_mul_f64 v[216:217], v[218:219], v[214:215]
	v_fma_f64 v[212:213], -v[212:213], v[216:217], v[218:219]
	s_delay_alu instid0(VALU_DEP_1) | instskip(NEXT) | instid1(VALU_DEP_1)
	v_div_fmas_f64 v[212:213], v[212:213], v[214:215], v[216:217]
	v_div_fixup_f64 v[212:213], v[212:213], v[238:239], v[236:237]
	s_delay_alu instid0(VALU_DEP_1) | instskip(NEXT) | instid1(VALU_DEP_1)
	v_fma_f64 v[214:215], v[236:237], v[212:213], v[238:239]
	v_div_scale_f64 v[216:217], null, v[214:215], v[214:215], 1.0
	s_delay_alu instid0(VALU_DEP_1) | instskip(SKIP_2) | instid1(VALU_DEP_1)
	v_rcp_f64_e32 v[218:219], v[216:217]
	s_waitcnt_depctr 0xfff
	v_fma_f64 v[220:221], -v[216:217], v[218:219], 1.0
	v_fma_f64 v[218:219], v[218:219], v[220:221], v[218:219]
	s_delay_alu instid0(VALU_DEP_1) | instskip(NEXT) | instid1(VALU_DEP_1)
	v_fma_f64 v[220:221], -v[216:217], v[218:219], 1.0
	v_fma_f64 v[218:219], v[218:219], v[220:221], v[218:219]
	v_div_scale_f64 v[220:221], vcc_lo, 1.0, v[214:215], 1.0
	s_delay_alu instid0(VALU_DEP_1) | instskip(NEXT) | instid1(VALU_DEP_1)
	v_mul_f64 v[222:223], v[220:221], v[218:219]
	v_fma_f64 v[216:217], -v[216:217], v[222:223], v[220:221]
	s_delay_alu instid0(VALU_DEP_1) | instskip(NEXT) | instid1(VALU_DEP_1)
	v_div_fmas_f64 v[216:217], v[216:217], v[218:219], v[222:223]
	v_div_fixup_f64 v[238:239], v[216:217], v[214:215], 1.0
	s_delay_alu instid0(VALU_DEP_1)
	v_mul_f64 v[236:237], v[212:213], v[238:239]
	v_xor_b32_e32 v239, 0x80000000, v239
.LBB116_868:
	s_and_not1_saveexec_b32 s2, s2
	s_cbranch_execz .LBB116_870
; %bb.869:
	s_delay_alu instid0(VALU_DEP_1) | instskip(SKIP_1) | instid1(VALU_DEP_2)
	v_div_scale_f64 v[212:213], null, v[236:237], v[236:237], v[238:239]
	v_div_scale_f64 v[218:219], vcc_lo, v[238:239], v[236:237], v[238:239]
	v_rcp_f64_e32 v[214:215], v[212:213]
	s_waitcnt_depctr 0xfff
	v_fma_f64 v[216:217], -v[212:213], v[214:215], 1.0
	s_delay_alu instid0(VALU_DEP_1) | instskip(NEXT) | instid1(VALU_DEP_1)
	v_fma_f64 v[214:215], v[214:215], v[216:217], v[214:215]
	v_fma_f64 v[216:217], -v[212:213], v[214:215], 1.0
	s_delay_alu instid0(VALU_DEP_1) | instskip(NEXT) | instid1(VALU_DEP_1)
	v_fma_f64 v[214:215], v[214:215], v[216:217], v[214:215]
	v_mul_f64 v[216:217], v[218:219], v[214:215]
	s_delay_alu instid0(VALU_DEP_1) | instskip(NEXT) | instid1(VALU_DEP_1)
	v_fma_f64 v[212:213], -v[212:213], v[216:217], v[218:219]
	v_div_fmas_f64 v[212:213], v[212:213], v[214:215], v[216:217]
	s_delay_alu instid0(VALU_DEP_1) | instskip(NEXT) | instid1(VALU_DEP_1)
	v_div_fixup_f64 v[212:213], v[212:213], v[236:237], v[238:239]
	v_fma_f64 v[214:215], v[238:239], v[212:213], v[236:237]
	s_delay_alu instid0(VALU_DEP_1) | instskip(NEXT) | instid1(VALU_DEP_1)
	v_div_scale_f64 v[216:217], null, v[214:215], v[214:215], 1.0
	v_rcp_f64_e32 v[218:219], v[216:217]
	s_waitcnt_depctr 0xfff
	v_fma_f64 v[220:221], -v[216:217], v[218:219], 1.0
	s_delay_alu instid0(VALU_DEP_1) | instskip(NEXT) | instid1(VALU_DEP_1)
	v_fma_f64 v[218:219], v[218:219], v[220:221], v[218:219]
	v_fma_f64 v[220:221], -v[216:217], v[218:219], 1.0
	s_delay_alu instid0(VALU_DEP_1) | instskip(SKIP_1) | instid1(VALU_DEP_1)
	v_fma_f64 v[218:219], v[218:219], v[220:221], v[218:219]
	v_div_scale_f64 v[220:221], vcc_lo, 1.0, v[214:215], 1.0
	v_mul_f64 v[222:223], v[220:221], v[218:219]
	s_delay_alu instid0(VALU_DEP_1) | instskip(NEXT) | instid1(VALU_DEP_1)
	v_fma_f64 v[216:217], -v[216:217], v[222:223], v[220:221]
	v_div_fmas_f64 v[216:217], v[216:217], v[218:219], v[222:223]
	s_delay_alu instid0(VALU_DEP_1) | instskip(NEXT) | instid1(VALU_DEP_1)
	v_div_fixup_f64 v[236:237], v[216:217], v[214:215], 1.0
	v_mul_f64 v[238:239], v[212:213], -v[236:237]
.LBB116_870:
	s_or_b32 exec_lo, exec_lo, s2
.LBB116_871:
	s_delay_alu instid0(SALU_CYCLE_1) | instskip(NEXT) | instid1(SALU_CYCLE_1)
	s_or_b32 exec_lo, exec_lo, s3
	s_mov_b32 s2, exec_lo
	v_cmpx_ne_u32_e64 v252, v244
	s_xor_b32 s2, exec_lo, s2
	s_cbranch_execz .LBB116_877
; %bb.872:
	s_mov_b32 s3, exec_lo
	v_cmpx_eq_u32_e32 41, v252
	s_cbranch_execz .LBB116_876
; %bb.873:
	v_cmp_ne_u32_e32 vcc_lo, 41, v244
	s_xor_b32 s4, s5, -1
	s_delay_alu instid0(SALU_CYCLE_1) | instskip(NEXT) | instid1(SALU_CYCLE_1)
	s_and_b32 s6, s4, vcc_lo
	s_and_saveexec_b32 s4, s6
	s_cbranch_execz .LBB116_875
; %bb.874:
	scratch_load_b64 v[208:209], off, off offset:16 ; 8-byte Folded Reload
	v_ashrrev_i32_e32 v245, 31, v244
	s_delay_alu instid0(VALU_DEP_1) | instskip(SKIP_1) | instid1(VALU_DEP_1)
	v_lshlrev_b64 v[212:213], 2, v[244:245]
	s_waitcnt vmcnt(0)
	v_add_co_u32 v212, vcc_lo, v208, v212
	s_delay_alu instid0(VALU_DEP_2)
	v_add_co_ci_u32_e32 v213, vcc_lo, v209, v213, vcc_lo
	s_clause 0x1
	flat_load_b32 v214, v[212:213]
	flat_load_b32 v215, v[208:209] offset:164
	s_waitcnt vmcnt(1) lgkmcnt(1)
	flat_store_b32 v[208:209], v214 offset:164
	s_waitcnt vmcnt(0) lgkmcnt(1)
	flat_store_b32 v[212:213], v215
.LBB116_875:
	s_or_b32 exec_lo, exec_lo, s4
	v_mov_b32_e32 v252, v244
	v_mov_b32_e32 v251, v244
.LBB116_876:
	s_or_b32 exec_lo, exec_lo, s3
.LBB116_877:
	s_and_not1_saveexec_b32 s2, s2
	s_cbranch_execz .LBB116_879
; %bb.878:
	v_mov_b32_e32 v252, 41
	ds_store_2addr_b64 v246, v[64:65], v[66:67] offset0:84 offset1:85
	ds_store_2addr_b64 v246, v[60:61], v[62:63] offset0:86 offset1:87
	;; [unrolled: 1-line block ×17, first 2 shown]
.LBB116_879:
	s_or_b32 exec_lo, exec_lo, s2
	s_delay_alu instid0(SALU_CYCLE_1)
	s_mov_b32 s2, exec_lo
	s_waitcnt lgkmcnt(0)
	s_waitcnt_vscnt null, 0x0
	s_barrier
	buffer_gl0_inv
	v_cmpx_lt_i32_e32 41, v252
	s_cbranch_execz .LBB116_881
; %bb.880:
	v_mul_f64 v[212:213], v[238:239], v[70:71]
	v_mul_f64 v[70:71], v[236:237], v[70:71]
	s_delay_alu instid0(VALU_DEP_2) | instskip(NEXT) | instid1(VALU_DEP_2)
	v_fma_f64 v[244:245], v[236:237], v[68:69], -v[212:213]
	v_fma_f64 v[70:71], v[238:239], v[68:69], v[70:71]
	ds_load_2addr_b64 v[236:239], v246 offset0:84 offset1:85
	s_waitcnt lgkmcnt(0)
	v_mul_f64 v[68:69], v[238:239], v[70:71]
	v_mul_f64 v[212:213], v[236:237], v[70:71]
	s_delay_alu instid0(VALU_DEP_2) | instskip(NEXT) | instid1(VALU_DEP_2)
	v_fma_f64 v[68:69], v[236:237], v[244:245], -v[68:69]
	v_fma_f64 v[212:213], v[238:239], v[244:245], v[212:213]
	ds_load_2addr_b64 v[236:239], v246 offset0:86 offset1:87
	v_add_f64 v[64:65], v[64:65], -v[68:69]
	v_add_f64 v[66:67], v[66:67], -v[212:213]
	s_waitcnt lgkmcnt(0)
	v_mul_f64 v[68:69], v[238:239], v[70:71]
	v_mul_f64 v[212:213], v[236:237], v[70:71]
	s_delay_alu instid0(VALU_DEP_2) | instskip(NEXT) | instid1(VALU_DEP_2)
	v_fma_f64 v[68:69], v[236:237], v[244:245], -v[68:69]
	v_fma_f64 v[212:213], v[238:239], v[244:245], v[212:213]
	ds_load_2addr_b64 v[236:239], v246 offset0:88 offset1:89
	v_add_f64 v[60:61], v[60:61], -v[68:69]
	v_add_f64 v[62:63], v[62:63], -v[212:213]
	;; [unrolled: 9-line block ×16, first 2 shown]
	s_waitcnt lgkmcnt(0)
	v_mul_f64 v[68:69], v[238:239], v[70:71]
	v_mul_f64 v[212:213], v[236:237], v[70:71]
	s_delay_alu instid0(VALU_DEP_2) | instskip(NEXT) | instid1(VALU_DEP_2)
	v_fma_f64 v[68:69], v[236:237], v[244:245], -v[68:69]
	v_fma_f64 v[212:213], v[238:239], v[244:245], v[212:213]
	s_delay_alu instid0(VALU_DEP_2) | instskip(NEXT) | instid1(VALU_DEP_2)
	v_add_f64 v[224:225], v[224:225], -v[68:69]
	v_add_f64 v[226:227], v[226:227], -v[212:213]
	v_dual_mov_b32 v68, v244 :: v_dual_mov_b32 v69, v245
.LBB116_881:
	s_or_b32 exec_lo, exec_lo, s2
	v_lshl_add_u32 v212, v252, 4, v246
	s_barrier
	buffer_gl0_inv
	v_mov_b32_e32 v244, 42
	ds_store_2addr_b64 v212, v[64:65], v[66:67] offset1:1
	s_waitcnt lgkmcnt(0)
	s_barrier
	buffer_gl0_inv
	ds_load_2addr_b64 v[236:239], v246 offset0:84 offset1:85
	s_cmp_lt_i32 s12, 44
	s_cbranch_scc1 .LBB116_884
; %bb.882:
	v_add3_u32 v245, v234, 0, 0x2b0
	v_mov_b32_e32 v244, 42
	s_mov_b32 s2, 43
	s_set_inst_prefetch_distance 0x1
	.p2align	6
.LBB116_883:                            ; =>This Inner Loop Header: Depth=1
	s_waitcnt lgkmcnt(0)
	v_cmp_gt_f64_e32 vcc_lo, 0, v[236:237]
	v_xor_b32_e32 v212, 0x80000000, v237
	v_xor_b32_e32 v214, 0x80000000, v239
	ds_load_2addr_b64 v[240:243], v245 offset1:1
	v_add_nc_u32_e32 v245, 16, v245
	s_waitcnt lgkmcnt(0)
	v_xor_b32_e32 v216, 0x80000000, v243
	v_cndmask_b32_e32 v213, v237, v212, vcc_lo
	v_cndmask_b32_e32 v212, v236, v236, vcc_lo
	v_cmp_gt_f64_e32 vcc_lo, 0, v[238:239]
	v_cndmask_b32_e32 v215, v239, v214, vcc_lo
	v_cndmask_b32_e32 v214, v238, v238, vcc_lo
	v_cmp_gt_f64_e32 vcc_lo, 0, v[240:241]
	s_delay_alu instid0(VALU_DEP_2) | instskip(SKIP_1) | instid1(VALU_DEP_1)
	v_add_f64 v[212:213], v[212:213], v[214:215]
	v_xor_b32_e32 v214, 0x80000000, v241
	v_dual_cndmask_b32 v215, v241, v214 :: v_dual_mov_b32 v214, v240
	v_cmp_gt_f64_e32 vcc_lo, 0, v[242:243]
	v_dual_cndmask_b32 v217, v243, v216 :: v_dual_mov_b32 v216, v242
	s_delay_alu instid0(VALU_DEP_1) | instskip(NEXT) | instid1(VALU_DEP_1)
	v_add_f64 v[214:215], v[214:215], v[216:217]
	v_cmp_lt_f64_e32 vcc_lo, v[212:213], v[214:215]
	v_dual_cndmask_b32 v237, v237, v241 :: v_dual_cndmask_b32 v236, v236, v240
	v_dual_cndmask_b32 v239, v239, v243 :: v_dual_cndmask_b32 v238, v238, v242
	v_cndmask_b32_e64 v244, v244, s2, vcc_lo
	s_add_i32 s2, s2, 1
	s_delay_alu instid0(SALU_CYCLE_1)
	s_cmp_lg_u32 s12, s2
	s_cbranch_scc1 .LBB116_883
.LBB116_884:
	s_set_inst_prefetch_distance 0x2
	s_waitcnt lgkmcnt(0)
	v_cmp_eq_f64_e32 vcc_lo, 0, v[236:237]
	v_cmp_eq_f64_e64 s2, 0, v[238:239]
	s_delay_alu instid0(VALU_DEP_1) | instskip(NEXT) | instid1(SALU_CYCLE_1)
	s_and_b32 s2, vcc_lo, s2
	s_and_saveexec_b32 s3, s2
	s_delay_alu instid0(SALU_CYCLE_1)
	s_xor_b32 s2, exec_lo, s3
; %bb.885:
	v_cmp_ne_u32_e32 vcc_lo, 0, v249
	v_cndmask_b32_e32 v249, 43, v249, vcc_lo
; %bb.886:
	s_and_not1_saveexec_b32 s3, s2
	s_cbranch_execz .LBB116_892
; %bb.887:
	v_cmp_gt_f64_e32 vcc_lo, 0, v[236:237]
	v_cmp_gt_f64_e64 s2, 0, v[238:239]
	v_xor_b32_e32 v212, 0x80000000, v237
	v_xor_b32_e32 v214, 0x80000000, v239
	s_delay_alu instid0(VALU_DEP_2) | instskip(NEXT) | instid1(VALU_DEP_2)
	v_cndmask_b32_e32 v213, v237, v212, vcc_lo
	v_cndmask_b32_e64 v215, v239, v214, s2
	v_cndmask_b32_e32 v212, v236, v236, vcc_lo
	v_cndmask_b32_e64 v214, v238, v238, s2
	s_mov_b32 s2, exec_lo
	s_delay_alu instid0(VALU_DEP_1)
	v_cmpx_ngt_f64_e32 v[212:213], v[214:215]
	s_xor_b32 s2, exec_lo, s2
	s_cbranch_execz .LBB116_889
; %bb.888:
	v_div_scale_f64 v[212:213], null, v[238:239], v[238:239], v[236:237]
	v_div_scale_f64 v[218:219], vcc_lo, v[236:237], v[238:239], v[236:237]
	s_delay_alu instid0(VALU_DEP_2) | instskip(SKIP_2) | instid1(VALU_DEP_1)
	v_rcp_f64_e32 v[214:215], v[212:213]
	s_waitcnt_depctr 0xfff
	v_fma_f64 v[216:217], -v[212:213], v[214:215], 1.0
	v_fma_f64 v[214:215], v[214:215], v[216:217], v[214:215]
	s_delay_alu instid0(VALU_DEP_1) | instskip(NEXT) | instid1(VALU_DEP_1)
	v_fma_f64 v[216:217], -v[212:213], v[214:215], 1.0
	v_fma_f64 v[214:215], v[214:215], v[216:217], v[214:215]
	s_delay_alu instid0(VALU_DEP_1) | instskip(NEXT) | instid1(VALU_DEP_1)
	v_mul_f64 v[216:217], v[218:219], v[214:215]
	v_fma_f64 v[212:213], -v[212:213], v[216:217], v[218:219]
	s_delay_alu instid0(VALU_DEP_1) | instskip(NEXT) | instid1(VALU_DEP_1)
	v_div_fmas_f64 v[212:213], v[212:213], v[214:215], v[216:217]
	v_div_fixup_f64 v[212:213], v[212:213], v[238:239], v[236:237]
	s_delay_alu instid0(VALU_DEP_1) | instskip(NEXT) | instid1(VALU_DEP_1)
	v_fma_f64 v[214:215], v[236:237], v[212:213], v[238:239]
	v_div_scale_f64 v[216:217], null, v[214:215], v[214:215], 1.0
	s_delay_alu instid0(VALU_DEP_1) | instskip(SKIP_2) | instid1(VALU_DEP_1)
	v_rcp_f64_e32 v[218:219], v[216:217]
	s_waitcnt_depctr 0xfff
	v_fma_f64 v[220:221], -v[216:217], v[218:219], 1.0
	v_fma_f64 v[218:219], v[218:219], v[220:221], v[218:219]
	s_delay_alu instid0(VALU_DEP_1) | instskip(NEXT) | instid1(VALU_DEP_1)
	v_fma_f64 v[220:221], -v[216:217], v[218:219], 1.0
	v_fma_f64 v[218:219], v[218:219], v[220:221], v[218:219]
	v_div_scale_f64 v[220:221], vcc_lo, 1.0, v[214:215], 1.0
	s_delay_alu instid0(VALU_DEP_1) | instskip(NEXT) | instid1(VALU_DEP_1)
	v_mul_f64 v[222:223], v[220:221], v[218:219]
	v_fma_f64 v[216:217], -v[216:217], v[222:223], v[220:221]
	s_delay_alu instid0(VALU_DEP_1) | instskip(NEXT) | instid1(VALU_DEP_1)
	v_div_fmas_f64 v[216:217], v[216:217], v[218:219], v[222:223]
	v_div_fixup_f64 v[238:239], v[216:217], v[214:215], 1.0
	s_delay_alu instid0(VALU_DEP_1)
	v_mul_f64 v[236:237], v[212:213], v[238:239]
	v_xor_b32_e32 v239, 0x80000000, v239
.LBB116_889:
	s_and_not1_saveexec_b32 s2, s2
	s_cbranch_execz .LBB116_891
; %bb.890:
	s_delay_alu instid0(VALU_DEP_1) | instskip(SKIP_1) | instid1(VALU_DEP_2)
	v_div_scale_f64 v[212:213], null, v[236:237], v[236:237], v[238:239]
	v_div_scale_f64 v[218:219], vcc_lo, v[238:239], v[236:237], v[238:239]
	v_rcp_f64_e32 v[214:215], v[212:213]
	s_waitcnt_depctr 0xfff
	v_fma_f64 v[216:217], -v[212:213], v[214:215], 1.0
	s_delay_alu instid0(VALU_DEP_1) | instskip(NEXT) | instid1(VALU_DEP_1)
	v_fma_f64 v[214:215], v[214:215], v[216:217], v[214:215]
	v_fma_f64 v[216:217], -v[212:213], v[214:215], 1.0
	s_delay_alu instid0(VALU_DEP_1) | instskip(NEXT) | instid1(VALU_DEP_1)
	v_fma_f64 v[214:215], v[214:215], v[216:217], v[214:215]
	v_mul_f64 v[216:217], v[218:219], v[214:215]
	s_delay_alu instid0(VALU_DEP_1) | instskip(NEXT) | instid1(VALU_DEP_1)
	v_fma_f64 v[212:213], -v[212:213], v[216:217], v[218:219]
	v_div_fmas_f64 v[212:213], v[212:213], v[214:215], v[216:217]
	s_delay_alu instid0(VALU_DEP_1) | instskip(NEXT) | instid1(VALU_DEP_1)
	v_div_fixup_f64 v[212:213], v[212:213], v[236:237], v[238:239]
	v_fma_f64 v[214:215], v[238:239], v[212:213], v[236:237]
	s_delay_alu instid0(VALU_DEP_1) | instskip(NEXT) | instid1(VALU_DEP_1)
	v_div_scale_f64 v[216:217], null, v[214:215], v[214:215], 1.0
	v_rcp_f64_e32 v[218:219], v[216:217]
	s_waitcnt_depctr 0xfff
	v_fma_f64 v[220:221], -v[216:217], v[218:219], 1.0
	s_delay_alu instid0(VALU_DEP_1) | instskip(NEXT) | instid1(VALU_DEP_1)
	v_fma_f64 v[218:219], v[218:219], v[220:221], v[218:219]
	v_fma_f64 v[220:221], -v[216:217], v[218:219], 1.0
	s_delay_alu instid0(VALU_DEP_1) | instskip(SKIP_1) | instid1(VALU_DEP_1)
	v_fma_f64 v[218:219], v[218:219], v[220:221], v[218:219]
	v_div_scale_f64 v[220:221], vcc_lo, 1.0, v[214:215], 1.0
	v_mul_f64 v[222:223], v[220:221], v[218:219]
	s_delay_alu instid0(VALU_DEP_1) | instskip(NEXT) | instid1(VALU_DEP_1)
	v_fma_f64 v[216:217], -v[216:217], v[222:223], v[220:221]
	v_div_fmas_f64 v[216:217], v[216:217], v[218:219], v[222:223]
	s_delay_alu instid0(VALU_DEP_1) | instskip(NEXT) | instid1(VALU_DEP_1)
	v_div_fixup_f64 v[236:237], v[216:217], v[214:215], 1.0
	v_mul_f64 v[238:239], v[212:213], -v[236:237]
.LBB116_891:
	s_or_b32 exec_lo, exec_lo, s2
.LBB116_892:
	s_delay_alu instid0(SALU_CYCLE_1) | instskip(NEXT) | instid1(SALU_CYCLE_1)
	s_or_b32 exec_lo, exec_lo, s3
	s_mov_b32 s2, exec_lo
	v_cmpx_ne_u32_e64 v252, v244
	s_xor_b32 s2, exec_lo, s2
	s_cbranch_execz .LBB116_898
; %bb.893:
	s_mov_b32 s3, exec_lo
	v_cmpx_eq_u32_e32 42, v252
	s_cbranch_execz .LBB116_897
; %bb.894:
	v_cmp_ne_u32_e32 vcc_lo, 42, v244
	s_xor_b32 s4, s5, -1
	s_delay_alu instid0(SALU_CYCLE_1) | instskip(NEXT) | instid1(SALU_CYCLE_1)
	s_and_b32 s6, s4, vcc_lo
	s_and_saveexec_b32 s4, s6
	s_cbranch_execz .LBB116_896
; %bb.895:
	scratch_load_b64 v[208:209], off, off offset:16 ; 8-byte Folded Reload
	v_ashrrev_i32_e32 v245, 31, v244
	s_delay_alu instid0(VALU_DEP_1) | instskip(SKIP_1) | instid1(VALU_DEP_1)
	v_lshlrev_b64 v[212:213], 2, v[244:245]
	s_waitcnt vmcnt(0)
	v_add_co_u32 v212, vcc_lo, v208, v212
	s_delay_alu instid0(VALU_DEP_2)
	v_add_co_ci_u32_e32 v213, vcc_lo, v209, v213, vcc_lo
	s_clause 0x1
	flat_load_b32 v214, v[212:213]
	flat_load_b32 v215, v[208:209] offset:168
	s_waitcnt vmcnt(1) lgkmcnt(1)
	flat_store_b32 v[208:209], v214 offset:168
	s_waitcnt vmcnt(0) lgkmcnt(1)
	flat_store_b32 v[212:213], v215
.LBB116_896:
	s_or_b32 exec_lo, exec_lo, s4
	v_mov_b32_e32 v252, v244
	v_mov_b32_e32 v251, v244
.LBB116_897:
	s_or_b32 exec_lo, exec_lo, s3
.LBB116_898:
	s_and_not1_saveexec_b32 s2, s2
	s_cbranch_execz .LBB116_900
; %bb.899:
	v_mov_b32_e32 v252, 42
	ds_store_2addr_b64 v246, v[60:61], v[62:63] offset0:86 offset1:87
	ds_store_2addr_b64 v246, v[56:57], v[58:59] offset0:88 offset1:89
	;; [unrolled: 1-line block ×16, first 2 shown]
.LBB116_900:
	s_or_b32 exec_lo, exec_lo, s2
	s_delay_alu instid0(SALU_CYCLE_1)
	s_mov_b32 s2, exec_lo
	s_waitcnt lgkmcnt(0)
	s_waitcnt_vscnt null, 0x0
	s_barrier
	buffer_gl0_inv
	v_cmpx_lt_i32_e32 42, v252
	s_cbranch_execz .LBB116_902
; %bb.901:
	v_mul_f64 v[212:213], v[236:237], v[66:67]
	v_mul_f64 v[66:67], v[238:239], v[66:67]
	s_delay_alu instid0(VALU_DEP_2) | instskip(NEXT) | instid1(VALU_DEP_2)
	v_fma_f64 v[244:245], v[238:239], v[64:65], v[212:213]
	v_fma_f64 v[64:65], v[236:237], v[64:65], -v[66:67]
	ds_load_2addr_b64 v[236:239], v246 offset0:86 offset1:87
	s_waitcnt lgkmcnt(0)
	v_mul_f64 v[66:67], v[238:239], v[244:245]
	v_mul_f64 v[212:213], v[236:237], v[244:245]
	s_delay_alu instid0(VALU_DEP_2) | instskip(NEXT) | instid1(VALU_DEP_2)
	v_fma_f64 v[66:67], v[236:237], v[64:65], -v[66:67]
	v_fma_f64 v[212:213], v[238:239], v[64:65], v[212:213]
	ds_load_2addr_b64 v[236:239], v246 offset0:88 offset1:89
	v_add_f64 v[60:61], v[60:61], -v[66:67]
	v_add_f64 v[62:63], v[62:63], -v[212:213]
	s_waitcnt lgkmcnt(0)
	v_mul_f64 v[66:67], v[238:239], v[244:245]
	v_mul_f64 v[212:213], v[236:237], v[244:245]
	s_delay_alu instid0(VALU_DEP_2) | instskip(NEXT) | instid1(VALU_DEP_2)
	v_fma_f64 v[66:67], v[236:237], v[64:65], -v[66:67]
	v_fma_f64 v[212:213], v[238:239], v[64:65], v[212:213]
	ds_load_2addr_b64 v[236:239], v246 offset0:90 offset1:91
	v_add_f64 v[56:57], v[56:57], -v[66:67]
	v_add_f64 v[58:59], v[58:59], -v[212:213]
	s_waitcnt lgkmcnt(0)
	v_mul_f64 v[66:67], v[238:239], v[244:245]
	v_mul_f64 v[212:213], v[236:237], v[244:245]
	s_delay_alu instid0(VALU_DEP_2) | instskip(NEXT) | instid1(VALU_DEP_2)
	v_fma_f64 v[66:67], v[236:237], v[64:65], -v[66:67]
	v_fma_f64 v[212:213], v[238:239], v[64:65], v[212:213]
	ds_load_2addr_b64 v[236:239], v246 offset0:92 offset1:93
	v_add_f64 v[52:53], v[52:53], -v[66:67]
	v_add_f64 v[54:55], v[54:55], -v[212:213]
	s_waitcnt lgkmcnt(0)
	v_mul_f64 v[66:67], v[238:239], v[244:245]
	v_mul_f64 v[212:213], v[236:237], v[244:245]
	s_delay_alu instid0(VALU_DEP_2) | instskip(NEXT) | instid1(VALU_DEP_2)
	v_fma_f64 v[66:67], v[236:237], v[64:65], -v[66:67]
	v_fma_f64 v[212:213], v[238:239], v[64:65], v[212:213]
	ds_load_2addr_b64 v[236:239], v246 offset0:94 offset1:95
	v_add_f64 v[48:49], v[48:49], -v[66:67]
	v_add_f64 v[50:51], v[50:51], -v[212:213]
	s_waitcnt lgkmcnt(0)
	v_mul_f64 v[66:67], v[238:239], v[244:245]
	v_mul_f64 v[212:213], v[236:237], v[244:245]
	s_delay_alu instid0(VALU_DEP_2) | instskip(NEXT) | instid1(VALU_DEP_2)
	v_fma_f64 v[66:67], v[236:237], v[64:65], -v[66:67]
	v_fma_f64 v[212:213], v[238:239], v[64:65], v[212:213]
	ds_load_2addr_b64 v[236:239], v246 offset0:96 offset1:97
	v_add_f64 v[44:45], v[44:45], -v[66:67]
	v_add_f64 v[46:47], v[46:47], -v[212:213]
	s_waitcnt lgkmcnt(0)
	v_mul_f64 v[66:67], v[238:239], v[244:245]
	v_mul_f64 v[212:213], v[236:237], v[244:245]
	s_delay_alu instid0(VALU_DEP_2) | instskip(NEXT) | instid1(VALU_DEP_2)
	v_fma_f64 v[66:67], v[236:237], v[64:65], -v[66:67]
	v_fma_f64 v[212:213], v[238:239], v[64:65], v[212:213]
	ds_load_2addr_b64 v[236:239], v246 offset0:98 offset1:99
	v_add_f64 v[40:41], v[40:41], -v[66:67]
	v_add_f64 v[42:43], v[42:43], -v[212:213]
	s_waitcnt lgkmcnt(0)
	v_mul_f64 v[66:67], v[238:239], v[244:245]
	v_mul_f64 v[212:213], v[236:237], v[244:245]
	s_delay_alu instid0(VALU_DEP_2) | instskip(NEXT) | instid1(VALU_DEP_2)
	v_fma_f64 v[66:67], v[236:237], v[64:65], -v[66:67]
	v_fma_f64 v[212:213], v[238:239], v[64:65], v[212:213]
	ds_load_2addr_b64 v[236:239], v246 offset0:100 offset1:101
	v_add_f64 v[36:37], v[36:37], -v[66:67]
	v_add_f64 v[38:39], v[38:39], -v[212:213]
	s_waitcnt lgkmcnt(0)
	v_mul_f64 v[66:67], v[238:239], v[244:245]
	v_mul_f64 v[212:213], v[236:237], v[244:245]
	s_delay_alu instid0(VALU_DEP_2) | instskip(NEXT) | instid1(VALU_DEP_2)
	v_fma_f64 v[66:67], v[236:237], v[64:65], -v[66:67]
	v_fma_f64 v[212:213], v[238:239], v[64:65], v[212:213]
	ds_load_2addr_b64 v[236:239], v246 offset0:102 offset1:103
	v_add_f64 v[32:33], v[32:33], -v[66:67]
	v_add_f64 v[34:35], v[34:35], -v[212:213]
	s_waitcnt lgkmcnt(0)
	v_mul_f64 v[66:67], v[238:239], v[244:245]
	v_mul_f64 v[212:213], v[236:237], v[244:245]
	s_delay_alu instid0(VALU_DEP_2) | instskip(NEXT) | instid1(VALU_DEP_2)
	v_fma_f64 v[66:67], v[236:237], v[64:65], -v[66:67]
	v_fma_f64 v[212:213], v[238:239], v[64:65], v[212:213]
	ds_load_2addr_b64 v[236:239], v246 offset0:104 offset1:105
	v_add_f64 v[28:29], v[28:29], -v[66:67]
	v_add_f64 v[30:31], v[30:31], -v[212:213]
	s_waitcnt lgkmcnt(0)
	v_mul_f64 v[66:67], v[238:239], v[244:245]
	v_mul_f64 v[212:213], v[236:237], v[244:245]
	s_delay_alu instid0(VALU_DEP_2) | instskip(NEXT) | instid1(VALU_DEP_2)
	v_fma_f64 v[66:67], v[236:237], v[64:65], -v[66:67]
	v_fma_f64 v[212:213], v[238:239], v[64:65], v[212:213]
	ds_load_2addr_b64 v[236:239], v246 offset0:106 offset1:107
	v_add_f64 v[24:25], v[24:25], -v[66:67]
	v_add_f64 v[26:27], v[26:27], -v[212:213]
	s_waitcnt lgkmcnt(0)
	v_mul_f64 v[66:67], v[238:239], v[244:245]
	v_mul_f64 v[212:213], v[236:237], v[244:245]
	s_delay_alu instid0(VALU_DEP_2) | instskip(NEXT) | instid1(VALU_DEP_2)
	v_fma_f64 v[66:67], v[236:237], v[64:65], -v[66:67]
	v_fma_f64 v[212:213], v[238:239], v[64:65], v[212:213]
	ds_load_2addr_b64 v[236:239], v246 offset0:108 offset1:109
	v_add_f64 v[20:21], v[20:21], -v[66:67]
	v_add_f64 v[22:23], v[22:23], -v[212:213]
	s_waitcnt lgkmcnt(0)
	v_mul_f64 v[66:67], v[238:239], v[244:245]
	v_mul_f64 v[212:213], v[236:237], v[244:245]
	s_delay_alu instid0(VALU_DEP_2) | instskip(NEXT) | instid1(VALU_DEP_2)
	v_fma_f64 v[66:67], v[236:237], v[64:65], -v[66:67]
	v_fma_f64 v[212:213], v[238:239], v[64:65], v[212:213]
	ds_load_2addr_b64 v[236:239], v246 offset0:110 offset1:111
	v_add_f64 v[16:17], v[16:17], -v[66:67]
	v_add_f64 v[18:19], v[18:19], -v[212:213]
	s_waitcnt lgkmcnt(0)
	v_mul_f64 v[66:67], v[238:239], v[244:245]
	v_mul_f64 v[212:213], v[236:237], v[244:245]
	s_delay_alu instid0(VALU_DEP_2) | instskip(NEXT) | instid1(VALU_DEP_2)
	v_fma_f64 v[66:67], v[236:237], v[64:65], -v[66:67]
	v_fma_f64 v[212:213], v[238:239], v[64:65], v[212:213]
	ds_load_2addr_b64 v[236:239], v246 offset0:112 offset1:113
	v_add_f64 v[12:13], v[12:13], -v[66:67]
	v_add_f64 v[14:15], v[14:15], -v[212:213]
	s_waitcnt lgkmcnt(0)
	v_mul_f64 v[66:67], v[238:239], v[244:245]
	v_mul_f64 v[212:213], v[236:237], v[244:245]
	s_delay_alu instid0(VALU_DEP_2) | instskip(NEXT) | instid1(VALU_DEP_2)
	v_fma_f64 v[66:67], v[236:237], v[64:65], -v[66:67]
	v_fma_f64 v[212:213], v[238:239], v[64:65], v[212:213]
	ds_load_2addr_b64 v[236:239], v246 offset0:114 offset1:115
	v_add_f64 v[230:231], v[230:231], -v[66:67]
	v_add_f64 v[232:233], v[232:233], -v[212:213]
	s_waitcnt lgkmcnt(0)
	v_mul_f64 v[66:67], v[238:239], v[244:245]
	v_mul_f64 v[212:213], v[236:237], v[244:245]
	s_delay_alu instid0(VALU_DEP_2) | instskip(NEXT) | instid1(VALU_DEP_2)
	v_fma_f64 v[66:67], v[236:237], v[64:65], -v[66:67]
	v_fma_f64 v[212:213], v[238:239], v[64:65], v[212:213]
	ds_load_2addr_b64 v[236:239], v246 offset0:116 offset1:117
	v_add_f64 v[4:5], v[4:5], -v[66:67]
	v_add_f64 v[6:7], v[6:7], -v[212:213]
	s_waitcnt lgkmcnt(0)
	v_mul_f64 v[66:67], v[238:239], v[244:245]
	v_mul_f64 v[212:213], v[236:237], v[244:245]
	s_delay_alu instid0(VALU_DEP_2) | instskip(NEXT) | instid1(VALU_DEP_2)
	v_fma_f64 v[66:67], v[236:237], v[64:65], -v[66:67]
	v_fma_f64 v[212:213], v[238:239], v[64:65], v[212:213]
	s_delay_alu instid0(VALU_DEP_2) | instskip(NEXT) | instid1(VALU_DEP_2)
	v_add_f64 v[224:225], v[224:225], -v[66:67]
	v_add_f64 v[226:227], v[226:227], -v[212:213]
	v_dual_mov_b32 v66, v244 :: v_dual_mov_b32 v67, v245
.LBB116_902:
	s_or_b32 exec_lo, exec_lo, s2
	v_lshl_add_u32 v212, v252, 4, v246
	s_barrier
	buffer_gl0_inv
	v_mov_b32_e32 v244, 43
	ds_store_2addr_b64 v212, v[60:61], v[62:63] offset1:1
	s_waitcnt lgkmcnt(0)
	s_barrier
	buffer_gl0_inv
	ds_load_2addr_b64 v[236:239], v246 offset0:86 offset1:87
	s_cmp_lt_i32 s12, 45
	s_cbranch_scc1 .LBB116_905
; %bb.903:
	v_add3_u32 v245, v234, 0, 0x2c0
	v_mov_b32_e32 v244, 43
	s_mov_b32 s2, 44
	s_set_inst_prefetch_distance 0x1
	.p2align	6
.LBB116_904:                            ; =>This Inner Loop Header: Depth=1
	s_waitcnt lgkmcnt(0)
	v_cmp_gt_f64_e32 vcc_lo, 0, v[236:237]
	v_xor_b32_e32 v212, 0x80000000, v237
	v_xor_b32_e32 v214, 0x80000000, v239
	ds_load_2addr_b64 v[240:243], v245 offset1:1
	v_add_nc_u32_e32 v245, 16, v245
	s_waitcnt lgkmcnt(0)
	v_xor_b32_e32 v216, 0x80000000, v243
	v_cndmask_b32_e32 v213, v237, v212, vcc_lo
	v_cndmask_b32_e32 v212, v236, v236, vcc_lo
	v_cmp_gt_f64_e32 vcc_lo, 0, v[238:239]
	v_cndmask_b32_e32 v215, v239, v214, vcc_lo
	v_cndmask_b32_e32 v214, v238, v238, vcc_lo
	v_cmp_gt_f64_e32 vcc_lo, 0, v[240:241]
	s_delay_alu instid0(VALU_DEP_2) | instskip(SKIP_1) | instid1(VALU_DEP_1)
	v_add_f64 v[212:213], v[212:213], v[214:215]
	v_xor_b32_e32 v214, 0x80000000, v241
	v_dual_cndmask_b32 v215, v241, v214 :: v_dual_mov_b32 v214, v240
	v_cmp_gt_f64_e32 vcc_lo, 0, v[242:243]
	v_dual_cndmask_b32 v217, v243, v216 :: v_dual_mov_b32 v216, v242
	s_delay_alu instid0(VALU_DEP_1) | instskip(NEXT) | instid1(VALU_DEP_1)
	v_add_f64 v[214:215], v[214:215], v[216:217]
	v_cmp_lt_f64_e32 vcc_lo, v[212:213], v[214:215]
	v_dual_cndmask_b32 v237, v237, v241 :: v_dual_cndmask_b32 v236, v236, v240
	v_dual_cndmask_b32 v239, v239, v243 :: v_dual_cndmask_b32 v238, v238, v242
	v_cndmask_b32_e64 v244, v244, s2, vcc_lo
	s_add_i32 s2, s2, 1
	s_delay_alu instid0(SALU_CYCLE_1)
	s_cmp_lg_u32 s12, s2
	s_cbranch_scc1 .LBB116_904
.LBB116_905:
	s_set_inst_prefetch_distance 0x2
	s_waitcnt lgkmcnt(0)
	v_cmp_eq_f64_e32 vcc_lo, 0, v[236:237]
	v_cmp_eq_f64_e64 s2, 0, v[238:239]
	s_delay_alu instid0(VALU_DEP_1) | instskip(NEXT) | instid1(SALU_CYCLE_1)
	s_and_b32 s2, vcc_lo, s2
	s_and_saveexec_b32 s3, s2
	s_delay_alu instid0(SALU_CYCLE_1)
	s_xor_b32 s2, exec_lo, s3
; %bb.906:
	v_cmp_ne_u32_e32 vcc_lo, 0, v249
	v_cndmask_b32_e32 v249, 44, v249, vcc_lo
; %bb.907:
	s_and_not1_saveexec_b32 s3, s2
	s_cbranch_execz .LBB116_913
; %bb.908:
	v_cmp_gt_f64_e32 vcc_lo, 0, v[236:237]
	v_cmp_gt_f64_e64 s2, 0, v[238:239]
	v_xor_b32_e32 v212, 0x80000000, v237
	v_xor_b32_e32 v214, 0x80000000, v239
	s_delay_alu instid0(VALU_DEP_2) | instskip(NEXT) | instid1(VALU_DEP_2)
	v_cndmask_b32_e32 v213, v237, v212, vcc_lo
	v_cndmask_b32_e64 v215, v239, v214, s2
	v_cndmask_b32_e32 v212, v236, v236, vcc_lo
	v_cndmask_b32_e64 v214, v238, v238, s2
	s_mov_b32 s2, exec_lo
	s_delay_alu instid0(VALU_DEP_1)
	v_cmpx_ngt_f64_e32 v[212:213], v[214:215]
	s_xor_b32 s2, exec_lo, s2
	s_cbranch_execz .LBB116_910
; %bb.909:
	v_div_scale_f64 v[212:213], null, v[238:239], v[238:239], v[236:237]
	v_div_scale_f64 v[218:219], vcc_lo, v[236:237], v[238:239], v[236:237]
	s_delay_alu instid0(VALU_DEP_2) | instskip(SKIP_2) | instid1(VALU_DEP_1)
	v_rcp_f64_e32 v[214:215], v[212:213]
	s_waitcnt_depctr 0xfff
	v_fma_f64 v[216:217], -v[212:213], v[214:215], 1.0
	v_fma_f64 v[214:215], v[214:215], v[216:217], v[214:215]
	s_delay_alu instid0(VALU_DEP_1) | instskip(NEXT) | instid1(VALU_DEP_1)
	v_fma_f64 v[216:217], -v[212:213], v[214:215], 1.0
	v_fma_f64 v[214:215], v[214:215], v[216:217], v[214:215]
	s_delay_alu instid0(VALU_DEP_1) | instskip(NEXT) | instid1(VALU_DEP_1)
	v_mul_f64 v[216:217], v[218:219], v[214:215]
	v_fma_f64 v[212:213], -v[212:213], v[216:217], v[218:219]
	s_delay_alu instid0(VALU_DEP_1) | instskip(NEXT) | instid1(VALU_DEP_1)
	v_div_fmas_f64 v[212:213], v[212:213], v[214:215], v[216:217]
	v_div_fixup_f64 v[212:213], v[212:213], v[238:239], v[236:237]
	s_delay_alu instid0(VALU_DEP_1) | instskip(NEXT) | instid1(VALU_DEP_1)
	v_fma_f64 v[214:215], v[236:237], v[212:213], v[238:239]
	v_div_scale_f64 v[216:217], null, v[214:215], v[214:215], 1.0
	s_delay_alu instid0(VALU_DEP_1) | instskip(SKIP_2) | instid1(VALU_DEP_1)
	v_rcp_f64_e32 v[218:219], v[216:217]
	s_waitcnt_depctr 0xfff
	v_fma_f64 v[220:221], -v[216:217], v[218:219], 1.0
	v_fma_f64 v[218:219], v[218:219], v[220:221], v[218:219]
	s_delay_alu instid0(VALU_DEP_1) | instskip(NEXT) | instid1(VALU_DEP_1)
	v_fma_f64 v[220:221], -v[216:217], v[218:219], 1.0
	v_fma_f64 v[218:219], v[218:219], v[220:221], v[218:219]
	v_div_scale_f64 v[220:221], vcc_lo, 1.0, v[214:215], 1.0
	s_delay_alu instid0(VALU_DEP_1) | instskip(NEXT) | instid1(VALU_DEP_1)
	v_mul_f64 v[222:223], v[220:221], v[218:219]
	v_fma_f64 v[216:217], -v[216:217], v[222:223], v[220:221]
	s_delay_alu instid0(VALU_DEP_1) | instskip(NEXT) | instid1(VALU_DEP_1)
	v_div_fmas_f64 v[216:217], v[216:217], v[218:219], v[222:223]
	v_div_fixup_f64 v[238:239], v[216:217], v[214:215], 1.0
	s_delay_alu instid0(VALU_DEP_1)
	v_mul_f64 v[236:237], v[212:213], v[238:239]
	v_xor_b32_e32 v239, 0x80000000, v239
.LBB116_910:
	s_and_not1_saveexec_b32 s2, s2
	s_cbranch_execz .LBB116_912
; %bb.911:
	s_delay_alu instid0(VALU_DEP_1) | instskip(SKIP_1) | instid1(VALU_DEP_2)
	v_div_scale_f64 v[212:213], null, v[236:237], v[236:237], v[238:239]
	v_div_scale_f64 v[218:219], vcc_lo, v[238:239], v[236:237], v[238:239]
	v_rcp_f64_e32 v[214:215], v[212:213]
	s_waitcnt_depctr 0xfff
	v_fma_f64 v[216:217], -v[212:213], v[214:215], 1.0
	s_delay_alu instid0(VALU_DEP_1) | instskip(NEXT) | instid1(VALU_DEP_1)
	v_fma_f64 v[214:215], v[214:215], v[216:217], v[214:215]
	v_fma_f64 v[216:217], -v[212:213], v[214:215], 1.0
	s_delay_alu instid0(VALU_DEP_1) | instskip(NEXT) | instid1(VALU_DEP_1)
	v_fma_f64 v[214:215], v[214:215], v[216:217], v[214:215]
	v_mul_f64 v[216:217], v[218:219], v[214:215]
	s_delay_alu instid0(VALU_DEP_1) | instskip(NEXT) | instid1(VALU_DEP_1)
	v_fma_f64 v[212:213], -v[212:213], v[216:217], v[218:219]
	v_div_fmas_f64 v[212:213], v[212:213], v[214:215], v[216:217]
	s_delay_alu instid0(VALU_DEP_1) | instskip(NEXT) | instid1(VALU_DEP_1)
	v_div_fixup_f64 v[212:213], v[212:213], v[236:237], v[238:239]
	v_fma_f64 v[214:215], v[238:239], v[212:213], v[236:237]
	s_delay_alu instid0(VALU_DEP_1) | instskip(NEXT) | instid1(VALU_DEP_1)
	v_div_scale_f64 v[216:217], null, v[214:215], v[214:215], 1.0
	v_rcp_f64_e32 v[218:219], v[216:217]
	s_waitcnt_depctr 0xfff
	v_fma_f64 v[220:221], -v[216:217], v[218:219], 1.0
	s_delay_alu instid0(VALU_DEP_1) | instskip(NEXT) | instid1(VALU_DEP_1)
	v_fma_f64 v[218:219], v[218:219], v[220:221], v[218:219]
	v_fma_f64 v[220:221], -v[216:217], v[218:219], 1.0
	s_delay_alu instid0(VALU_DEP_1) | instskip(SKIP_1) | instid1(VALU_DEP_1)
	v_fma_f64 v[218:219], v[218:219], v[220:221], v[218:219]
	v_div_scale_f64 v[220:221], vcc_lo, 1.0, v[214:215], 1.0
	v_mul_f64 v[222:223], v[220:221], v[218:219]
	s_delay_alu instid0(VALU_DEP_1) | instskip(NEXT) | instid1(VALU_DEP_1)
	v_fma_f64 v[216:217], -v[216:217], v[222:223], v[220:221]
	v_div_fmas_f64 v[216:217], v[216:217], v[218:219], v[222:223]
	s_delay_alu instid0(VALU_DEP_1) | instskip(NEXT) | instid1(VALU_DEP_1)
	v_div_fixup_f64 v[236:237], v[216:217], v[214:215], 1.0
	v_mul_f64 v[238:239], v[212:213], -v[236:237]
.LBB116_912:
	s_or_b32 exec_lo, exec_lo, s2
.LBB116_913:
	s_delay_alu instid0(SALU_CYCLE_1) | instskip(NEXT) | instid1(SALU_CYCLE_1)
	s_or_b32 exec_lo, exec_lo, s3
	s_mov_b32 s2, exec_lo
	v_cmpx_ne_u32_e64 v252, v244
	s_xor_b32 s2, exec_lo, s2
	s_cbranch_execz .LBB116_919
; %bb.914:
	s_mov_b32 s3, exec_lo
	v_cmpx_eq_u32_e32 43, v252
	s_cbranch_execz .LBB116_918
; %bb.915:
	v_cmp_ne_u32_e32 vcc_lo, 43, v244
	s_xor_b32 s4, s5, -1
	s_delay_alu instid0(SALU_CYCLE_1) | instskip(NEXT) | instid1(SALU_CYCLE_1)
	s_and_b32 s6, s4, vcc_lo
	s_and_saveexec_b32 s4, s6
	s_cbranch_execz .LBB116_917
; %bb.916:
	scratch_load_b64 v[208:209], off, off offset:16 ; 8-byte Folded Reload
	v_ashrrev_i32_e32 v245, 31, v244
	s_delay_alu instid0(VALU_DEP_1) | instskip(SKIP_1) | instid1(VALU_DEP_1)
	v_lshlrev_b64 v[212:213], 2, v[244:245]
	s_waitcnt vmcnt(0)
	v_add_co_u32 v212, vcc_lo, v208, v212
	s_delay_alu instid0(VALU_DEP_2)
	v_add_co_ci_u32_e32 v213, vcc_lo, v209, v213, vcc_lo
	s_clause 0x1
	flat_load_b32 v214, v[212:213]
	flat_load_b32 v215, v[208:209] offset:172
	s_waitcnt vmcnt(1) lgkmcnt(1)
	flat_store_b32 v[208:209], v214 offset:172
	s_waitcnt vmcnt(0) lgkmcnt(1)
	flat_store_b32 v[212:213], v215
.LBB116_917:
	s_or_b32 exec_lo, exec_lo, s4
	v_mov_b32_e32 v252, v244
	v_mov_b32_e32 v251, v244
.LBB116_918:
	s_or_b32 exec_lo, exec_lo, s3
.LBB116_919:
	s_and_not1_saveexec_b32 s2, s2
	s_cbranch_execz .LBB116_921
; %bb.920:
	v_mov_b32_e32 v252, 43
	ds_store_2addr_b64 v246, v[56:57], v[58:59] offset0:88 offset1:89
	ds_store_2addr_b64 v246, v[52:53], v[54:55] offset0:90 offset1:91
	ds_store_2addr_b64 v246, v[48:49], v[50:51] offset0:92 offset1:93
	ds_store_2addr_b64 v246, v[44:45], v[46:47] offset0:94 offset1:95
	ds_store_2addr_b64 v246, v[40:41], v[42:43] offset0:96 offset1:97
	ds_store_2addr_b64 v246, v[36:37], v[38:39] offset0:98 offset1:99
	ds_store_2addr_b64 v246, v[32:33], v[34:35] offset0:100 offset1:101
	ds_store_2addr_b64 v246, v[28:29], v[30:31] offset0:102 offset1:103
	ds_store_2addr_b64 v246, v[24:25], v[26:27] offset0:104 offset1:105
	ds_store_2addr_b64 v246, v[20:21], v[22:23] offset0:106 offset1:107
	ds_store_2addr_b64 v246, v[16:17], v[18:19] offset0:108 offset1:109
	ds_store_2addr_b64 v246, v[12:13], v[14:15] offset0:110 offset1:111
	ds_store_2addr_b64 v246, v[230:231], v[232:233] offset0:112 offset1:113
	ds_store_2addr_b64 v246, v[4:5], v[6:7] offset0:114 offset1:115
	ds_store_2addr_b64 v246, v[224:225], v[226:227] offset0:116 offset1:117
.LBB116_921:
	s_or_b32 exec_lo, exec_lo, s2
	s_delay_alu instid0(SALU_CYCLE_1)
	s_mov_b32 s2, exec_lo
	s_waitcnt lgkmcnt(0)
	s_waitcnt_vscnt null, 0x0
	s_barrier
	buffer_gl0_inv
	v_cmpx_lt_i32_e32 43, v252
	s_cbranch_execz .LBB116_923
; %bb.922:
	v_mul_f64 v[212:213], v[236:237], v[62:63]
	v_mul_f64 v[62:63], v[238:239], v[62:63]
	s_delay_alu instid0(VALU_DEP_2) | instskip(NEXT) | instid1(VALU_DEP_2)
	v_fma_f64 v[244:245], v[238:239], v[60:61], v[212:213]
	v_fma_f64 v[60:61], v[236:237], v[60:61], -v[62:63]
	ds_load_2addr_b64 v[236:239], v246 offset0:88 offset1:89
	s_waitcnt lgkmcnt(0)
	v_mul_f64 v[62:63], v[238:239], v[244:245]
	v_mul_f64 v[212:213], v[236:237], v[244:245]
	s_delay_alu instid0(VALU_DEP_2) | instskip(NEXT) | instid1(VALU_DEP_2)
	v_fma_f64 v[62:63], v[236:237], v[60:61], -v[62:63]
	v_fma_f64 v[212:213], v[238:239], v[60:61], v[212:213]
	ds_load_2addr_b64 v[236:239], v246 offset0:90 offset1:91
	v_add_f64 v[56:57], v[56:57], -v[62:63]
	v_add_f64 v[58:59], v[58:59], -v[212:213]
	s_waitcnt lgkmcnt(0)
	v_mul_f64 v[62:63], v[238:239], v[244:245]
	v_mul_f64 v[212:213], v[236:237], v[244:245]
	s_delay_alu instid0(VALU_DEP_2) | instskip(NEXT) | instid1(VALU_DEP_2)
	v_fma_f64 v[62:63], v[236:237], v[60:61], -v[62:63]
	v_fma_f64 v[212:213], v[238:239], v[60:61], v[212:213]
	ds_load_2addr_b64 v[236:239], v246 offset0:92 offset1:93
	v_add_f64 v[52:53], v[52:53], -v[62:63]
	v_add_f64 v[54:55], v[54:55], -v[212:213]
	;; [unrolled: 9-line block ×14, first 2 shown]
	s_waitcnt lgkmcnt(0)
	v_mul_f64 v[62:63], v[238:239], v[244:245]
	v_mul_f64 v[212:213], v[236:237], v[244:245]
	s_delay_alu instid0(VALU_DEP_2) | instskip(NEXT) | instid1(VALU_DEP_2)
	v_fma_f64 v[62:63], v[236:237], v[60:61], -v[62:63]
	v_fma_f64 v[212:213], v[238:239], v[60:61], v[212:213]
	s_delay_alu instid0(VALU_DEP_2) | instskip(NEXT) | instid1(VALU_DEP_2)
	v_add_f64 v[224:225], v[224:225], -v[62:63]
	v_add_f64 v[226:227], v[226:227], -v[212:213]
	v_dual_mov_b32 v62, v244 :: v_dual_mov_b32 v63, v245
.LBB116_923:
	s_or_b32 exec_lo, exec_lo, s2
	v_lshl_add_u32 v212, v252, 4, v246
	s_barrier
	buffer_gl0_inv
	v_mov_b32_e32 v244, 44
	ds_store_2addr_b64 v212, v[56:57], v[58:59] offset1:1
	s_waitcnt lgkmcnt(0)
	s_barrier
	buffer_gl0_inv
	ds_load_2addr_b64 v[236:239], v246 offset0:88 offset1:89
	s_cmp_lt_i32 s12, 46
	s_cbranch_scc1 .LBB116_926
; %bb.924:
	v_add3_u32 v245, v234, 0, 0x2d0
	v_mov_b32_e32 v244, 44
	s_mov_b32 s2, 45
	s_set_inst_prefetch_distance 0x1
	.p2align	6
.LBB116_925:                            ; =>This Inner Loop Header: Depth=1
	s_waitcnt lgkmcnt(0)
	v_cmp_gt_f64_e32 vcc_lo, 0, v[236:237]
	v_xor_b32_e32 v212, 0x80000000, v237
	v_xor_b32_e32 v214, 0x80000000, v239
	ds_load_2addr_b64 v[240:243], v245 offset1:1
	v_add_nc_u32_e32 v245, 16, v245
	s_waitcnt lgkmcnt(0)
	v_xor_b32_e32 v216, 0x80000000, v243
	v_cndmask_b32_e32 v213, v237, v212, vcc_lo
	v_cndmask_b32_e32 v212, v236, v236, vcc_lo
	v_cmp_gt_f64_e32 vcc_lo, 0, v[238:239]
	v_cndmask_b32_e32 v215, v239, v214, vcc_lo
	v_cndmask_b32_e32 v214, v238, v238, vcc_lo
	v_cmp_gt_f64_e32 vcc_lo, 0, v[240:241]
	s_delay_alu instid0(VALU_DEP_2) | instskip(SKIP_1) | instid1(VALU_DEP_1)
	v_add_f64 v[212:213], v[212:213], v[214:215]
	v_xor_b32_e32 v214, 0x80000000, v241
	v_dual_cndmask_b32 v215, v241, v214 :: v_dual_mov_b32 v214, v240
	v_cmp_gt_f64_e32 vcc_lo, 0, v[242:243]
	v_dual_cndmask_b32 v217, v243, v216 :: v_dual_mov_b32 v216, v242
	s_delay_alu instid0(VALU_DEP_1) | instskip(NEXT) | instid1(VALU_DEP_1)
	v_add_f64 v[214:215], v[214:215], v[216:217]
	v_cmp_lt_f64_e32 vcc_lo, v[212:213], v[214:215]
	v_dual_cndmask_b32 v237, v237, v241 :: v_dual_cndmask_b32 v236, v236, v240
	v_dual_cndmask_b32 v239, v239, v243 :: v_dual_cndmask_b32 v238, v238, v242
	v_cndmask_b32_e64 v244, v244, s2, vcc_lo
	s_add_i32 s2, s2, 1
	s_delay_alu instid0(SALU_CYCLE_1)
	s_cmp_lg_u32 s12, s2
	s_cbranch_scc1 .LBB116_925
.LBB116_926:
	s_set_inst_prefetch_distance 0x2
	s_waitcnt lgkmcnt(0)
	v_cmp_eq_f64_e32 vcc_lo, 0, v[236:237]
	v_cmp_eq_f64_e64 s2, 0, v[238:239]
	s_delay_alu instid0(VALU_DEP_1) | instskip(NEXT) | instid1(SALU_CYCLE_1)
	s_and_b32 s2, vcc_lo, s2
	s_and_saveexec_b32 s3, s2
	s_delay_alu instid0(SALU_CYCLE_1)
	s_xor_b32 s2, exec_lo, s3
; %bb.927:
	v_cmp_ne_u32_e32 vcc_lo, 0, v249
	v_cndmask_b32_e32 v249, 45, v249, vcc_lo
; %bb.928:
	s_and_not1_saveexec_b32 s3, s2
	s_cbranch_execz .LBB116_934
; %bb.929:
	v_cmp_gt_f64_e32 vcc_lo, 0, v[236:237]
	v_cmp_gt_f64_e64 s2, 0, v[238:239]
	v_xor_b32_e32 v212, 0x80000000, v237
	v_xor_b32_e32 v214, 0x80000000, v239
	s_delay_alu instid0(VALU_DEP_2) | instskip(NEXT) | instid1(VALU_DEP_2)
	v_cndmask_b32_e32 v213, v237, v212, vcc_lo
	v_cndmask_b32_e64 v215, v239, v214, s2
	v_cndmask_b32_e32 v212, v236, v236, vcc_lo
	v_cndmask_b32_e64 v214, v238, v238, s2
	s_mov_b32 s2, exec_lo
	s_delay_alu instid0(VALU_DEP_1)
	v_cmpx_ngt_f64_e32 v[212:213], v[214:215]
	s_xor_b32 s2, exec_lo, s2
	s_cbranch_execz .LBB116_931
; %bb.930:
	v_div_scale_f64 v[212:213], null, v[238:239], v[238:239], v[236:237]
	v_div_scale_f64 v[218:219], vcc_lo, v[236:237], v[238:239], v[236:237]
	s_delay_alu instid0(VALU_DEP_2) | instskip(SKIP_2) | instid1(VALU_DEP_1)
	v_rcp_f64_e32 v[214:215], v[212:213]
	s_waitcnt_depctr 0xfff
	v_fma_f64 v[216:217], -v[212:213], v[214:215], 1.0
	v_fma_f64 v[214:215], v[214:215], v[216:217], v[214:215]
	s_delay_alu instid0(VALU_DEP_1) | instskip(NEXT) | instid1(VALU_DEP_1)
	v_fma_f64 v[216:217], -v[212:213], v[214:215], 1.0
	v_fma_f64 v[214:215], v[214:215], v[216:217], v[214:215]
	s_delay_alu instid0(VALU_DEP_1) | instskip(NEXT) | instid1(VALU_DEP_1)
	v_mul_f64 v[216:217], v[218:219], v[214:215]
	v_fma_f64 v[212:213], -v[212:213], v[216:217], v[218:219]
	s_delay_alu instid0(VALU_DEP_1) | instskip(NEXT) | instid1(VALU_DEP_1)
	v_div_fmas_f64 v[212:213], v[212:213], v[214:215], v[216:217]
	v_div_fixup_f64 v[212:213], v[212:213], v[238:239], v[236:237]
	s_delay_alu instid0(VALU_DEP_1) | instskip(NEXT) | instid1(VALU_DEP_1)
	v_fma_f64 v[214:215], v[236:237], v[212:213], v[238:239]
	v_div_scale_f64 v[216:217], null, v[214:215], v[214:215], 1.0
	s_delay_alu instid0(VALU_DEP_1) | instskip(SKIP_2) | instid1(VALU_DEP_1)
	v_rcp_f64_e32 v[218:219], v[216:217]
	s_waitcnt_depctr 0xfff
	v_fma_f64 v[220:221], -v[216:217], v[218:219], 1.0
	v_fma_f64 v[218:219], v[218:219], v[220:221], v[218:219]
	s_delay_alu instid0(VALU_DEP_1) | instskip(NEXT) | instid1(VALU_DEP_1)
	v_fma_f64 v[220:221], -v[216:217], v[218:219], 1.0
	v_fma_f64 v[218:219], v[218:219], v[220:221], v[218:219]
	v_div_scale_f64 v[220:221], vcc_lo, 1.0, v[214:215], 1.0
	s_delay_alu instid0(VALU_DEP_1) | instskip(NEXT) | instid1(VALU_DEP_1)
	v_mul_f64 v[222:223], v[220:221], v[218:219]
	v_fma_f64 v[216:217], -v[216:217], v[222:223], v[220:221]
	s_delay_alu instid0(VALU_DEP_1) | instskip(NEXT) | instid1(VALU_DEP_1)
	v_div_fmas_f64 v[216:217], v[216:217], v[218:219], v[222:223]
	v_div_fixup_f64 v[238:239], v[216:217], v[214:215], 1.0
	s_delay_alu instid0(VALU_DEP_1)
	v_mul_f64 v[236:237], v[212:213], v[238:239]
	v_xor_b32_e32 v239, 0x80000000, v239
.LBB116_931:
	s_and_not1_saveexec_b32 s2, s2
	s_cbranch_execz .LBB116_933
; %bb.932:
	s_delay_alu instid0(VALU_DEP_1) | instskip(SKIP_1) | instid1(VALU_DEP_2)
	v_div_scale_f64 v[212:213], null, v[236:237], v[236:237], v[238:239]
	v_div_scale_f64 v[218:219], vcc_lo, v[238:239], v[236:237], v[238:239]
	v_rcp_f64_e32 v[214:215], v[212:213]
	s_waitcnt_depctr 0xfff
	v_fma_f64 v[216:217], -v[212:213], v[214:215], 1.0
	s_delay_alu instid0(VALU_DEP_1) | instskip(NEXT) | instid1(VALU_DEP_1)
	v_fma_f64 v[214:215], v[214:215], v[216:217], v[214:215]
	v_fma_f64 v[216:217], -v[212:213], v[214:215], 1.0
	s_delay_alu instid0(VALU_DEP_1) | instskip(NEXT) | instid1(VALU_DEP_1)
	v_fma_f64 v[214:215], v[214:215], v[216:217], v[214:215]
	v_mul_f64 v[216:217], v[218:219], v[214:215]
	s_delay_alu instid0(VALU_DEP_1) | instskip(NEXT) | instid1(VALU_DEP_1)
	v_fma_f64 v[212:213], -v[212:213], v[216:217], v[218:219]
	v_div_fmas_f64 v[212:213], v[212:213], v[214:215], v[216:217]
	s_delay_alu instid0(VALU_DEP_1) | instskip(NEXT) | instid1(VALU_DEP_1)
	v_div_fixup_f64 v[212:213], v[212:213], v[236:237], v[238:239]
	v_fma_f64 v[214:215], v[238:239], v[212:213], v[236:237]
	s_delay_alu instid0(VALU_DEP_1) | instskip(NEXT) | instid1(VALU_DEP_1)
	v_div_scale_f64 v[216:217], null, v[214:215], v[214:215], 1.0
	v_rcp_f64_e32 v[218:219], v[216:217]
	s_waitcnt_depctr 0xfff
	v_fma_f64 v[220:221], -v[216:217], v[218:219], 1.0
	s_delay_alu instid0(VALU_DEP_1) | instskip(NEXT) | instid1(VALU_DEP_1)
	v_fma_f64 v[218:219], v[218:219], v[220:221], v[218:219]
	v_fma_f64 v[220:221], -v[216:217], v[218:219], 1.0
	s_delay_alu instid0(VALU_DEP_1) | instskip(SKIP_1) | instid1(VALU_DEP_1)
	v_fma_f64 v[218:219], v[218:219], v[220:221], v[218:219]
	v_div_scale_f64 v[220:221], vcc_lo, 1.0, v[214:215], 1.0
	v_mul_f64 v[222:223], v[220:221], v[218:219]
	s_delay_alu instid0(VALU_DEP_1) | instskip(NEXT) | instid1(VALU_DEP_1)
	v_fma_f64 v[216:217], -v[216:217], v[222:223], v[220:221]
	v_div_fmas_f64 v[216:217], v[216:217], v[218:219], v[222:223]
	s_delay_alu instid0(VALU_DEP_1) | instskip(NEXT) | instid1(VALU_DEP_1)
	v_div_fixup_f64 v[236:237], v[216:217], v[214:215], 1.0
	v_mul_f64 v[238:239], v[212:213], -v[236:237]
.LBB116_933:
	s_or_b32 exec_lo, exec_lo, s2
.LBB116_934:
	s_delay_alu instid0(SALU_CYCLE_1) | instskip(NEXT) | instid1(SALU_CYCLE_1)
	s_or_b32 exec_lo, exec_lo, s3
	s_mov_b32 s2, exec_lo
	v_cmpx_ne_u32_e64 v252, v244
	s_xor_b32 s2, exec_lo, s2
	s_cbranch_execz .LBB116_940
; %bb.935:
	s_mov_b32 s3, exec_lo
	v_cmpx_eq_u32_e32 44, v252
	s_cbranch_execz .LBB116_939
; %bb.936:
	v_cmp_ne_u32_e32 vcc_lo, 44, v244
	s_xor_b32 s4, s5, -1
	s_delay_alu instid0(SALU_CYCLE_1) | instskip(NEXT) | instid1(SALU_CYCLE_1)
	s_and_b32 s6, s4, vcc_lo
	s_and_saveexec_b32 s4, s6
	s_cbranch_execz .LBB116_938
; %bb.937:
	scratch_load_b64 v[208:209], off, off offset:16 ; 8-byte Folded Reload
	v_ashrrev_i32_e32 v245, 31, v244
	s_delay_alu instid0(VALU_DEP_1) | instskip(SKIP_1) | instid1(VALU_DEP_1)
	v_lshlrev_b64 v[212:213], 2, v[244:245]
	s_waitcnt vmcnt(0)
	v_add_co_u32 v212, vcc_lo, v208, v212
	s_delay_alu instid0(VALU_DEP_2)
	v_add_co_ci_u32_e32 v213, vcc_lo, v209, v213, vcc_lo
	s_clause 0x1
	flat_load_b32 v214, v[212:213]
	flat_load_b32 v215, v[208:209] offset:176
	s_waitcnt vmcnt(1) lgkmcnt(1)
	flat_store_b32 v[208:209], v214 offset:176
	s_waitcnt vmcnt(0) lgkmcnt(1)
	flat_store_b32 v[212:213], v215
.LBB116_938:
	s_or_b32 exec_lo, exec_lo, s4
	v_mov_b32_e32 v252, v244
	v_mov_b32_e32 v251, v244
.LBB116_939:
	s_or_b32 exec_lo, exec_lo, s3
.LBB116_940:
	s_and_not1_saveexec_b32 s2, s2
	s_cbranch_execz .LBB116_942
; %bb.941:
	v_mov_b32_e32 v252, 44
	ds_store_2addr_b64 v246, v[52:53], v[54:55] offset0:90 offset1:91
	ds_store_2addr_b64 v246, v[48:49], v[50:51] offset0:92 offset1:93
	;; [unrolled: 1-line block ×14, first 2 shown]
.LBB116_942:
	s_or_b32 exec_lo, exec_lo, s2
	s_delay_alu instid0(SALU_CYCLE_1)
	s_mov_b32 s2, exec_lo
	s_waitcnt lgkmcnt(0)
	s_waitcnt_vscnt null, 0x0
	s_barrier
	buffer_gl0_inv
	v_cmpx_lt_i32_e32 44, v252
	s_cbranch_execz .LBB116_944
; %bb.943:
	v_mul_f64 v[212:213], v[236:237], v[58:59]
	v_mul_f64 v[58:59], v[238:239], v[58:59]
	s_delay_alu instid0(VALU_DEP_2) | instskip(NEXT) | instid1(VALU_DEP_2)
	v_fma_f64 v[244:245], v[238:239], v[56:57], v[212:213]
	v_fma_f64 v[56:57], v[236:237], v[56:57], -v[58:59]
	ds_load_2addr_b64 v[236:239], v246 offset0:90 offset1:91
	s_waitcnt lgkmcnt(0)
	v_mul_f64 v[58:59], v[238:239], v[244:245]
	v_mul_f64 v[212:213], v[236:237], v[244:245]
	s_delay_alu instid0(VALU_DEP_2) | instskip(NEXT) | instid1(VALU_DEP_2)
	v_fma_f64 v[58:59], v[236:237], v[56:57], -v[58:59]
	v_fma_f64 v[212:213], v[238:239], v[56:57], v[212:213]
	ds_load_2addr_b64 v[236:239], v246 offset0:92 offset1:93
	v_add_f64 v[52:53], v[52:53], -v[58:59]
	v_add_f64 v[54:55], v[54:55], -v[212:213]
	s_waitcnt lgkmcnt(0)
	v_mul_f64 v[58:59], v[238:239], v[244:245]
	v_mul_f64 v[212:213], v[236:237], v[244:245]
	s_delay_alu instid0(VALU_DEP_2) | instskip(NEXT) | instid1(VALU_DEP_2)
	v_fma_f64 v[58:59], v[236:237], v[56:57], -v[58:59]
	v_fma_f64 v[212:213], v[238:239], v[56:57], v[212:213]
	ds_load_2addr_b64 v[236:239], v246 offset0:94 offset1:95
	v_add_f64 v[48:49], v[48:49], -v[58:59]
	v_add_f64 v[50:51], v[50:51], -v[212:213]
	;; [unrolled: 9-line block ×13, first 2 shown]
	s_waitcnt lgkmcnt(0)
	v_mul_f64 v[58:59], v[238:239], v[244:245]
	v_mul_f64 v[212:213], v[236:237], v[244:245]
	s_delay_alu instid0(VALU_DEP_2) | instskip(NEXT) | instid1(VALU_DEP_2)
	v_fma_f64 v[58:59], v[236:237], v[56:57], -v[58:59]
	v_fma_f64 v[212:213], v[238:239], v[56:57], v[212:213]
	s_delay_alu instid0(VALU_DEP_2) | instskip(NEXT) | instid1(VALU_DEP_2)
	v_add_f64 v[224:225], v[224:225], -v[58:59]
	v_add_f64 v[226:227], v[226:227], -v[212:213]
	v_dual_mov_b32 v58, v244 :: v_dual_mov_b32 v59, v245
.LBB116_944:
	s_or_b32 exec_lo, exec_lo, s2
	v_lshl_add_u32 v212, v252, 4, v246
	s_barrier
	buffer_gl0_inv
	v_mov_b32_e32 v244, 45
	ds_store_2addr_b64 v212, v[52:53], v[54:55] offset1:1
	s_waitcnt lgkmcnt(0)
	s_barrier
	buffer_gl0_inv
	ds_load_2addr_b64 v[236:239], v246 offset0:90 offset1:91
	s_cmp_lt_i32 s12, 47
	s_cbranch_scc1 .LBB116_947
; %bb.945:
	v_add3_u32 v245, v234, 0, 0x2e0
	v_mov_b32_e32 v244, 45
	s_mov_b32 s2, 46
	s_set_inst_prefetch_distance 0x1
	.p2align	6
.LBB116_946:                            ; =>This Inner Loop Header: Depth=1
	s_waitcnt lgkmcnt(0)
	v_cmp_gt_f64_e32 vcc_lo, 0, v[236:237]
	v_xor_b32_e32 v212, 0x80000000, v237
	v_xor_b32_e32 v214, 0x80000000, v239
	ds_load_2addr_b64 v[240:243], v245 offset1:1
	v_add_nc_u32_e32 v245, 16, v245
	s_waitcnt lgkmcnt(0)
	v_xor_b32_e32 v216, 0x80000000, v243
	v_cndmask_b32_e32 v213, v237, v212, vcc_lo
	v_cndmask_b32_e32 v212, v236, v236, vcc_lo
	v_cmp_gt_f64_e32 vcc_lo, 0, v[238:239]
	v_cndmask_b32_e32 v215, v239, v214, vcc_lo
	v_cndmask_b32_e32 v214, v238, v238, vcc_lo
	v_cmp_gt_f64_e32 vcc_lo, 0, v[240:241]
	s_delay_alu instid0(VALU_DEP_2) | instskip(SKIP_1) | instid1(VALU_DEP_1)
	v_add_f64 v[212:213], v[212:213], v[214:215]
	v_xor_b32_e32 v214, 0x80000000, v241
	v_dual_cndmask_b32 v215, v241, v214 :: v_dual_mov_b32 v214, v240
	v_cmp_gt_f64_e32 vcc_lo, 0, v[242:243]
	v_dual_cndmask_b32 v217, v243, v216 :: v_dual_mov_b32 v216, v242
	s_delay_alu instid0(VALU_DEP_1) | instskip(NEXT) | instid1(VALU_DEP_1)
	v_add_f64 v[214:215], v[214:215], v[216:217]
	v_cmp_lt_f64_e32 vcc_lo, v[212:213], v[214:215]
	v_dual_cndmask_b32 v237, v237, v241 :: v_dual_cndmask_b32 v236, v236, v240
	v_dual_cndmask_b32 v239, v239, v243 :: v_dual_cndmask_b32 v238, v238, v242
	v_cndmask_b32_e64 v244, v244, s2, vcc_lo
	s_add_i32 s2, s2, 1
	s_delay_alu instid0(SALU_CYCLE_1)
	s_cmp_lg_u32 s12, s2
	s_cbranch_scc1 .LBB116_946
.LBB116_947:
	s_set_inst_prefetch_distance 0x2
	s_waitcnt lgkmcnt(0)
	v_cmp_eq_f64_e32 vcc_lo, 0, v[236:237]
	v_cmp_eq_f64_e64 s2, 0, v[238:239]
	s_delay_alu instid0(VALU_DEP_1) | instskip(NEXT) | instid1(SALU_CYCLE_1)
	s_and_b32 s2, vcc_lo, s2
	s_and_saveexec_b32 s3, s2
	s_delay_alu instid0(SALU_CYCLE_1)
	s_xor_b32 s2, exec_lo, s3
; %bb.948:
	v_cmp_ne_u32_e32 vcc_lo, 0, v249
	v_cndmask_b32_e32 v249, 46, v249, vcc_lo
; %bb.949:
	s_and_not1_saveexec_b32 s3, s2
	s_cbranch_execz .LBB116_955
; %bb.950:
	v_cmp_gt_f64_e32 vcc_lo, 0, v[236:237]
	v_cmp_gt_f64_e64 s2, 0, v[238:239]
	v_xor_b32_e32 v212, 0x80000000, v237
	v_xor_b32_e32 v214, 0x80000000, v239
	s_delay_alu instid0(VALU_DEP_2) | instskip(NEXT) | instid1(VALU_DEP_2)
	v_cndmask_b32_e32 v213, v237, v212, vcc_lo
	v_cndmask_b32_e64 v215, v239, v214, s2
	v_cndmask_b32_e32 v212, v236, v236, vcc_lo
	v_cndmask_b32_e64 v214, v238, v238, s2
	s_mov_b32 s2, exec_lo
	s_delay_alu instid0(VALU_DEP_1)
	v_cmpx_ngt_f64_e32 v[212:213], v[214:215]
	s_xor_b32 s2, exec_lo, s2
	s_cbranch_execz .LBB116_952
; %bb.951:
	v_div_scale_f64 v[212:213], null, v[238:239], v[238:239], v[236:237]
	v_div_scale_f64 v[218:219], vcc_lo, v[236:237], v[238:239], v[236:237]
	s_delay_alu instid0(VALU_DEP_2) | instskip(SKIP_2) | instid1(VALU_DEP_1)
	v_rcp_f64_e32 v[214:215], v[212:213]
	s_waitcnt_depctr 0xfff
	v_fma_f64 v[216:217], -v[212:213], v[214:215], 1.0
	v_fma_f64 v[214:215], v[214:215], v[216:217], v[214:215]
	s_delay_alu instid0(VALU_DEP_1) | instskip(NEXT) | instid1(VALU_DEP_1)
	v_fma_f64 v[216:217], -v[212:213], v[214:215], 1.0
	v_fma_f64 v[214:215], v[214:215], v[216:217], v[214:215]
	s_delay_alu instid0(VALU_DEP_1) | instskip(NEXT) | instid1(VALU_DEP_1)
	v_mul_f64 v[216:217], v[218:219], v[214:215]
	v_fma_f64 v[212:213], -v[212:213], v[216:217], v[218:219]
	s_delay_alu instid0(VALU_DEP_1) | instskip(NEXT) | instid1(VALU_DEP_1)
	v_div_fmas_f64 v[212:213], v[212:213], v[214:215], v[216:217]
	v_div_fixup_f64 v[212:213], v[212:213], v[238:239], v[236:237]
	s_delay_alu instid0(VALU_DEP_1) | instskip(NEXT) | instid1(VALU_DEP_1)
	v_fma_f64 v[214:215], v[236:237], v[212:213], v[238:239]
	v_div_scale_f64 v[216:217], null, v[214:215], v[214:215], 1.0
	s_delay_alu instid0(VALU_DEP_1) | instskip(SKIP_2) | instid1(VALU_DEP_1)
	v_rcp_f64_e32 v[218:219], v[216:217]
	s_waitcnt_depctr 0xfff
	v_fma_f64 v[220:221], -v[216:217], v[218:219], 1.0
	v_fma_f64 v[218:219], v[218:219], v[220:221], v[218:219]
	s_delay_alu instid0(VALU_DEP_1) | instskip(NEXT) | instid1(VALU_DEP_1)
	v_fma_f64 v[220:221], -v[216:217], v[218:219], 1.0
	v_fma_f64 v[218:219], v[218:219], v[220:221], v[218:219]
	v_div_scale_f64 v[220:221], vcc_lo, 1.0, v[214:215], 1.0
	s_delay_alu instid0(VALU_DEP_1) | instskip(NEXT) | instid1(VALU_DEP_1)
	v_mul_f64 v[222:223], v[220:221], v[218:219]
	v_fma_f64 v[216:217], -v[216:217], v[222:223], v[220:221]
	s_delay_alu instid0(VALU_DEP_1) | instskip(NEXT) | instid1(VALU_DEP_1)
	v_div_fmas_f64 v[216:217], v[216:217], v[218:219], v[222:223]
	v_div_fixup_f64 v[238:239], v[216:217], v[214:215], 1.0
	s_delay_alu instid0(VALU_DEP_1)
	v_mul_f64 v[236:237], v[212:213], v[238:239]
	v_xor_b32_e32 v239, 0x80000000, v239
.LBB116_952:
	s_and_not1_saveexec_b32 s2, s2
	s_cbranch_execz .LBB116_954
; %bb.953:
	s_delay_alu instid0(VALU_DEP_1) | instskip(SKIP_1) | instid1(VALU_DEP_2)
	v_div_scale_f64 v[212:213], null, v[236:237], v[236:237], v[238:239]
	v_div_scale_f64 v[218:219], vcc_lo, v[238:239], v[236:237], v[238:239]
	v_rcp_f64_e32 v[214:215], v[212:213]
	s_waitcnt_depctr 0xfff
	v_fma_f64 v[216:217], -v[212:213], v[214:215], 1.0
	s_delay_alu instid0(VALU_DEP_1) | instskip(NEXT) | instid1(VALU_DEP_1)
	v_fma_f64 v[214:215], v[214:215], v[216:217], v[214:215]
	v_fma_f64 v[216:217], -v[212:213], v[214:215], 1.0
	s_delay_alu instid0(VALU_DEP_1) | instskip(NEXT) | instid1(VALU_DEP_1)
	v_fma_f64 v[214:215], v[214:215], v[216:217], v[214:215]
	v_mul_f64 v[216:217], v[218:219], v[214:215]
	s_delay_alu instid0(VALU_DEP_1) | instskip(NEXT) | instid1(VALU_DEP_1)
	v_fma_f64 v[212:213], -v[212:213], v[216:217], v[218:219]
	v_div_fmas_f64 v[212:213], v[212:213], v[214:215], v[216:217]
	s_delay_alu instid0(VALU_DEP_1) | instskip(NEXT) | instid1(VALU_DEP_1)
	v_div_fixup_f64 v[212:213], v[212:213], v[236:237], v[238:239]
	v_fma_f64 v[214:215], v[238:239], v[212:213], v[236:237]
	s_delay_alu instid0(VALU_DEP_1) | instskip(NEXT) | instid1(VALU_DEP_1)
	v_div_scale_f64 v[216:217], null, v[214:215], v[214:215], 1.0
	v_rcp_f64_e32 v[218:219], v[216:217]
	s_waitcnt_depctr 0xfff
	v_fma_f64 v[220:221], -v[216:217], v[218:219], 1.0
	s_delay_alu instid0(VALU_DEP_1) | instskip(NEXT) | instid1(VALU_DEP_1)
	v_fma_f64 v[218:219], v[218:219], v[220:221], v[218:219]
	v_fma_f64 v[220:221], -v[216:217], v[218:219], 1.0
	s_delay_alu instid0(VALU_DEP_1) | instskip(SKIP_1) | instid1(VALU_DEP_1)
	v_fma_f64 v[218:219], v[218:219], v[220:221], v[218:219]
	v_div_scale_f64 v[220:221], vcc_lo, 1.0, v[214:215], 1.0
	v_mul_f64 v[222:223], v[220:221], v[218:219]
	s_delay_alu instid0(VALU_DEP_1) | instskip(NEXT) | instid1(VALU_DEP_1)
	v_fma_f64 v[216:217], -v[216:217], v[222:223], v[220:221]
	v_div_fmas_f64 v[216:217], v[216:217], v[218:219], v[222:223]
	s_delay_alu instid0(VALU_DEP_1) | instskip(NEXT) | instid1(VALU_DEP_1)
	v_div_fixup_f64 v[236:237], v[216:217], v[214:215], 1.0
	v_mul_f64 v[238:239], v[212:213], -v[236:237]
.LBB116_954:
	s_or_b32 exec_lo, exec_lo, s2
.LBB116_955:
	s_delay_alu instid0(SALU_CYCLE_1) | instskip(NEXT) | instid1(SALU_CYCLE_1)
	s_or_b32 exec_lo, exec_lo, s3
	s_mov_b32 s2, exec_lo
	v_cmpx_ne_u32_e64 v252, v244
	s_xor_b32 s2, exec_lo, s2
	s_cbranch_execz .LBB116_961
; %bb.956:
	s_mov_b32 s3, exec_lo
	v_cmpx_eq_u32_e32 45, v252
	s_cbranch_execz .LBB116_960
; %bb.957:
	v_cmp_ne_u32_e32 vcc_lo, 45, v244
	s_xor_b32 s4, s5, -1
	s_delay_alu instid0(SALU_CYCLE_1) | instskip(NEXT) | instid1(SALU_CYCLE_1)
	s_and_b32 s6, s4, vcc_lo
	s_and_saveexec_b32 s4, s6
	s_cbranch_execz .LBB116_959
; %bb.958:
	scratch_load_b64 v[208:209], off, off offset:16 ; 8-byte Folded Reload
	v_ashrrev_i32_e32 v245, 31, v244
	s_delay_alu instid0(VALU_DEP_1) | instskip(SKIP_1) | instid1(VALU_DEP_1)
	v_lshlrev_b64 v[212:213], 2, v[244:245]
	s_waitcnt vmcnt(0)
	v_add_co_u32 v212, vcc_lo, v208, v212
	s_delay_alu instid0(VALU_DEP_2)
	v_add_co_ci_u32_e32 v213, vcc_lo, v209, v213, vcc_lo
	s_clause 0x1
	flat_load_b32 v214, v[212:213]
	flat_load_b32 v215, v[208:209] offset:180
	s_waitcnt vmcnt(1) lgkmcnt(1)
	flat_store_b32 v[208:209], v214 offset:180
	s_waitcnt vmcnt(0) lgkmcnt(1)
	flat_store_b32 v[212:213], v215
.LBB116_959:
	s_or_b32 exec_lo, exec_lo, s4
	v_mov_b32_e32 v252, v244
	v_mov_b32_e32 v251, v244
.LBB116_960:
	s_or_b32 exec_lo, exec_lo, s3
.LBB116_961:
	s_and_not1_saveexec_b32 s2, s2
	s_cbranch_execz .LBB116_963
; %bb.962:
	v_mov_b32_e32 v252, 45
	ds_store_2addr_b64 v246, v[48:49], v[50:51] offset0:92 offset1:93
	ds_store_2addr_b64 v246, v[44:45], v[46:47] offset0:94 offset1:95
	;; [unrolled: 1-line block ×13, first 2 shown]
.LBB116_963:
	s_or_b32 exec_lo, exec_lo, s2
	s_delay_alu instid0(SALU_CYCLE_1)
	s_mov_b32 s2, exec_lo
	s_waitcnt lgkmcnt(0)
	s_waitcnt_vscnt null, 0x0
	s_barrier
	buffer_gl0_inv
	v_cmpx_lt_i32_e32 45, v252
	s_cbranch_execz .LBB116_965
; %bb.964:
	v_mul_f64 v[212:213], v[236:237], v[54:55]
	v_mul_f64 v[54:55], v[238:239], v[54:55]
	s_delay_alu instid0(VALU_DEP_2) | instskip(NEXT) | instid1(VALU_DEP_2)
	v_fma_f64 v[244:245], v[238:239], v[52:53], v[212:213]
	v_fma_f64 v[52:53], v[236:237], v[52:53], -v[54:55]
	ds_load_2addr_b64 v[236:239], v246 offset0:92 offset1:93
	s_waitcnt lgkmcnt(0)
	v_mul_f64 v[54:55], v[238:239], v[244:245]
	v_mul_f64 v[212:213], v[236:237], v[244:245]
	s_delay_alu instid0(VALU_DEP_2) | instskip(NEXT) | instid1(VALU_DEP_2)
	v_fma_f64 v[54:55], v[236:237], v[52:53], -v[54:55]
	v_fma_f64 v[212:213], v[238:239], v[52:53], v[212:213]
	ds_load_2addr_b64 v[236:239], v246 offset0:94 offset1:95
	v_add_f64 v[48:49], v[48:49], -v[54:55]
	v_add_f64 v[50:51], v[50:51], -v[212:213]
	s_waitcnt lgkmcnt(0)
	v_mul_f64 v[54:55], v[238:239], v[244:245]
	v_mul_f64 v[212:213], v[236:237], v[244:245]
	s_delay_alu instid0(VALU_DEP_2) | instskip(NEXT) | instid1(VALU_DEP_2)
	v_fma_f64 v[54:55], v[236:237], v[52:53], -v[54:55]
	v_fma_f64 v[212:213], v[238:239], v[52:53], v[212:213]
	ds_load_2addr_b64 v[236:239], v246 offset0:96 offset1:97
	v_add_f64 v[44:45], v[44:45], -v[54:55]
	v_add_f64 v[46:47], v[46:47], -v[212:213]
	;; [unrolled: 9-line block ×12, first 2 shown]
	s_waitcnt lgkmcnt(0)
	v_mul_f64 v[54:55], v[238:239], v[244:245]
	v_mul_f64 v[212:213], v[236:237], v[244:245]
	s_delay_alu instid0(VALU_DEP_2) | instskip(NEXT) | instid1(VALU_DEP_2)
	v_fma_f64 v[54:55], v[236:237], v[52:53], -v[54:55]
	v_fma_f64 v[212:213], v[238:239], v[52:53], v[212:213]
	s_delay_alu instid0(VALU_DEP_2) | instskip(NEXT) | instid1(VALU_DEP_2)
	v_add_f64 v[224:225], v[224:225], -v[54:55]
	v_add_f64 v[226:227], v[226:227], -v[212:213]
	v_dual_mov_b32 v54, v244 :: v_dual_mov_b32 v55, v245
.LBB116_965:
	s_or_b32 exec_lo, exec_lo, s2
	v_lshl_add_u32 v212, v252, 4, v246
	s_barrier
	buffer_gl0_inv
	v_mov_b32_e32 v244, 46
	ds_store_2addr_b64 v212, v[48:49], v[50:51] offset1:1
	s_waitcnt lgkmcnt(0)
	s_barrier
	buffer_gl0_inv
	ds_load_2addr_b64 v[236:239], v246 offset0:92 offset1:93
	s_cmp_lt_i32 s12, 48
	s_cbranch_scc1 .LBB116_968
; %bb.966:
	v_add3_u32 v245, v234, 0, 0x2f0
	v_mov_b32_e32 v244, 46
	s_mov_b32 s2, 47
	s_set_inst_prefetch_distance 0x1
	.p2align	6
.LBB116_967:                            ; =>This Inner Loop Header: Depth=1
	s_waitcnt lgkmcnt(0)
	v_cmp_gt_f64_e32 vcc_lo, 0, v[236:237]
	v_xor_b32_e32 v212, 0x80000000, v237
	v_xor_b32_e32 v214, 0x80000000, v239
	ds_load_2addr_b64 v[240:243], v245 offset1:1
	v_add_nc_u32_e32 v245, 16, v245
	s_waitcnt lgkmcnt(0)
	v_xor_b32_e32 v216, 0x80000000, v243
	v_cndmask_b32_e32 v213, v237, v212, vcc_lo
	v_cndmask_b32_e32 v212, v236, v236, vcc_lo
	v_cmp_gt_f64_e32 vcc_lo, 0, v[238:239]
	v_cndmask_b32_e32 v215, v239, v214, vcc_lo
	v_cndmask_b32_e32 v214, v238, v238, vcc_lo
	v_cmp_gt_f64_e32 vcc_lo, 0, v[240:241]
	s_delay_alu instid0(VALU_DEP_2) | instskip(SKIP_1) | instid1(VALU_DEP_1)
	v_add_f64 v[212:213], v[212:213], v[214:215]
	v_xor_b32_e32 v214, 0x80000000, v241
	v_dual_cndmask_b32 v215, v241, v214 :: v_dual_mov_b32 v214, v240
	v_cmp_gt_f64_e32 vcc_lo, 0, v[242:243]
	v_dual_cndmask_b32 v217, v243, v216 :: v_dual_mov_b32 v216, v242
	s_delay_alu instid0(VALU_DEP_1) | instskip(NEXT) | instid1(VALU_DEP_1)
	v_add_f64 v[214:215], v[214:215], v[216:217]
	v_cmp_lt_f64_e32 vcc_lo, v[212:213], v[214:215]
	v_dual_cndmask_b32 v237, v237, v241 :: v_dual_cndmask_b32 v236, v236, v240
	v_dual_cndmask_b32 v239, v239, v243 :: v_dual_cndmask_b32 v238, v238, v242
	v_cndmask_b32_e64 v244, v244, s2, vcc_lo
	s_add_i32 s2, s2, 1
	s_delay_alu instid0(SALU_CYCLE_1)
	s_cmp_lg_u32 s12, s2
	s_cbranch_scc1 .LBB116_967
.LBB116_968:
	s_set_inst_prefetch_distance 0x2
	s_waitcnt lgkmcnt(0)
	v_cmp_eq_f64_e32 vcc_lo, 0, v[236:237]
	v_cmp_eq_f64_e64 s2, 0, v[238:239]
	s_delay_alu instid0(VALU_DEP_1) | instskip(NEXT) | instid1(SALU_CYCLE_1)
	s_and_b32 s2, vcc_lo, s2
	s_and_saveexec_b32 s3, s2
	s_delay_alu instid0(SALU_CYCLE_1)
	s_xor_b32 s2, exec_lo, s3
; %bb.969:
	v_cmp_ne_u32_e32 vcc_lo, 0, v249
	v_cndmask_b32_e32 v249, 47, v249, vcc_lo
; %bb.970:
	s_and_not1_saveexec_b32 s3, s2
	s_cbranch_execz .LBB116_976
; %bb.971:
	v_cmp_gt_f64_e32 vcc_lo, 0, v[236:237]
	v_cmp_gt_f64_e64 s2, 0, v[238:239]
	v_xor_b32_e32 v212, 0x80000000, v237
	v_xor_b32_e32 v214, 0x80000000, v239
	s_delay_alu instid0(VALU_DEP_2) | instskip(NEXT) | instid1(VALU_DEP_2)
	v_cndmask_b32_e32 v213, v237, v212, vcc_lo
	v_cndmask_b32_e64 v215, v239, v214, s2
	v_cndmask_b32_e32 v212, v236, v236, vcc_lo
	v_cndmask_b32_e64 v214, v238, v238, s2
	s_mov_b32 s2, exec_lo
	s_delay_alu instid0(VALU_DEP_1)
	v_cmpx_ngt_f64_e32 v[212:213], v[214:215]
	s_xor_b32 s2, exec_lo, s2
	s_cbranch_execz .LBB116_973
; %bb.972:
	v_div_scale_f64 v[212:213], null, v[238:239], v[238:239], v[236:237]
	v_div_scale_f64 v[218:219], vcc_lo, v[236:237], v[238:239], v[236:237]
	s_delay_alu instid0(VALU_DEP_2) | instskip(SKIP_2) | instid1(VALU_DEP_1)
	v_rcp_f64_e32 v[214:215], v[212:213]
	s_waitcnt_depctr 0xfff
	v_fma_f64 v[216:217], -v[212:213], v[214:215], 1.0
	v_fma_f64 v[214:215], v[214:215], v[216:217], v[214:215]
	s_delay_alu instid0(VALU_DEP_1) | instskip(NEXT) | instid1(VALU_DEP_1)
	v_fma_f64 v[216:217], -v[212:213], v[214:215], 1.0
	v_fma_f64 v[214:215], v[214:215], v[216:217], v[214:215]
	s_delay_alu instid0(VALU_DEP_1) | instskip(NEXT) | instid1(VALU_DEP_1)
	v_mul_f64 v[216:217], v[218:219], v[214:215]
	v_fma_f64 v[212:213], -v[212:213], v[216:217], v[218:219]
	s_delay_alu instid0(VALU_DEP_1) | instskip(NEXT) | instid1(VALU_DEP_1)
	v_div_fmas_f64 v[212:213], v[212:213], v[214:215], v[216:217]
	v_div_fixup_f64 v[212:213], v[212:213], v[238:239], v[236:237]
	s_delay_alu instid0(VALU_DEP_1) | instskip(NEXT) | instid1(VALU_DEP_1)
	v_fma_f64 v[214:215], v[236:237], v[212:213], v[238:239]
	v_div_scale_f64 v[216:217], null, v[214:215], v[214:215], 1.0
	s_delay_alu instid0(VALU_DEP_1) | instskip(SKIP_2) | instid1(VALU_DEP_1)
	v_rcp_f64_e32 v[218:219], v[216:217]
	s_waitcnt_depctr 0xfff
	v_fma_f64 v[220:221], -v[216:217], v[218:219], 1.0
	v_fma_f64 v[218:219], v[218:219], v[220:221], v[218:219]
	s_delay_alu instid0(VALU_DEP_1) | instskip(NEXT) | instid1(VALU_DEP_1)
	v_fma_f64 v[220:221], -v[216:217], v[218:219], 1.0
	v_fma_f64 v[218:219], v[218:219], v[220:221], v[218:219]
	v_div_scale_f64 v[220:221], vcc_lo, 1.0, v[214:215], 1.0
	s_delay_alu instid0(VALU_DEP_1) | instskip(NEXT) | instid1(VALU_DEP_1)
	v_mul_f64 v[222:223], v[220:221], v[218:219]
	v_fma_f64 v[216:217], -v[216:217], v[222:223], v[220:221]
	s_delay_alu instid0(VALU_DEP_1) | instskip(NEXT) | instid1(VALU_DEP_1)
	v_div_fmas_f64 v[216:217], v[216:217], v[218:219], v[222:223]
	v_div_fixup_f64 v[238:239], v[216:217], v[214:215], 1.0
	s_delay_alu instid0(VALU_DEP_1)
	v_mul_f64 v[236:237], v[212:213], v[238:239]
	v_xor_b32_e32 v239, 0x80000000, v239
.LBB116_973:
	s_and_not1_saveexec_b32 s2, s2
	s_cbranch_execz .LBB116_975
; %bb.974:
	s_delay_alu instid0(VALU_DEP_1) | instskip(SKIP_1) | instid1(VALU_DEP_2)
	v_div_scale_f64 v[212:213], null, v[236:237], v[236:237], v[238:239]
	v_div_scale_f64 v[218:219], vcc_lo, v[238:239], v[236:237], v[238:239]
	v_rcp_f64_e32 v[214:215], v[212:213]
	s_waitcnt_depctr 0xfff
	v_fma_f64 v[216:217], -v[212:213], v[214:215], 1.0
	s_delay_alu instid0(VALU_DEP_1) | instskip(NEXT) | instid1(VALU_DEP_1)
	v_fma_f64 v[214:215], v[214:215], v[216:217], v[214:215]
	v_fma_f64 v[216:217], -v[212:213], v[214:215], 1.0
	s_delay_alu instid0(VALU_DEP_1) | instskip(NEXT) | instid1(VALU_DEP_1)
	v_fma_f64 v[214:215], v[214:215], v[216:217], v[214:215]
	v_mul_f64 v[216:217], v[218:219], v[214:215]
	s_delay_alu instid0(VALU_DEP_1) | instskip(NEXT) | instid1(VALU_DEP_1)
	v_fma_f64 v[212:213], -v[212:213], v[216:217], v[218:219]
	v_div_fmas_f64 v[212:213], v[212:213], v[214:215], v[216:217]
	s_delay_alu instid0(VALU_DEP_1) | instskip(NEXT) | instid1(VALU_DEP_1)
	v_div_fixup_f64 v[212:213], v[212:213], v[236:237], v[238:239]
	v_fma_f64 v[214:215], v[238:239], v[212:213], v[236:237]
	s_delay_alu instid0(VALU_DEP_1) | instskip(NEXT) | instid1(VALU_DEP_1)
	v_div_scale_f64 v[216:217], null, v[214:215], v[214:215], 1.0
	v_rcp_f64_e32 v[218:219], v[216:217]
	s_waitcnt_depctr 0xfff
	v_fma_f64 v[220:221], -v[216:217], v[218:219], 1.0
	s_delay_alu instid0(VALU_DEP_1) | instskip(NEXT) | instid1(VALU_DEP_1)
	v_fma_f64 v[218:219], v[218:219], v[220:221], v[218:219]
	v_fma_f64 v[220:221], -v[216:217], v[218:219], 1.0
	s_delay_alu instid0(VALU_DEP_1) | instskip(SKIP_1) | instid1(VALU_DEP_1)
	v_fma_f64 v[218:219], v[218:219], v[220:221], v[218:219]
	v_div_scale_f64 v[220:221], vcc_lo, 1.0, v[214:215], 1.0
	v_mul_f64 v[222:223], v[220:221], v[218:219]
	s_delay_alu instid0(VALU_DEP_1) | instskip(NEXT) | instid1(VALU_DEP_1)
	v_fma_f64 v[216:217], -v[216:217], v[222:223], v[220:221]
	v_div_fmas_f64 v[216:217], v[216:217], v[218:219], v[222:223]
	s_delay_alu instid0(VALU_DEP_1) | instskip(NEXT) | instid1(VALU_DEP_1)
	v_div_fixup_f64 v[236:237], v[216:217], v[214:215], 1.0
	v_mul_f64 v[238:239], v[212:213], -v[236:237]
.LBB116_975:
	s_or_b32 exec_lo, exec_lo, s2
.LBB116_976:
	s_delay_alu instid0(SALU_CYCLE_1) | instskip(NEXT) | instid1(SALU_CYCLE_1)
	s_or_b32 exec_lo, exec_lo, s3
	s_mov_b32 s2, exec_lo
	v_cmpx_ne_u32_e64 v252, v244
	s_xor_b32 s2, exec_lo, s2
	s_cbranch_execz .LBB116_982
; %bb.977:
	s_mov_b32 s3, exec_lo
	v_cmpx_eq_u32_e32 46, v252
	s_cbranch_execz .LBB116_981
; %bb.978:
	v_cmp_ne_u32_e32 vcc_lo, 46, v244
	s_xor_b32 s4, s5, -1
	s_delay_alu instid0(SALU_CYCLE_1) | instskip(NEXT) | instid1(SALU_CYCLE_1)
	s_and_b32 s6, s4, vcc_lo
	s_and_saveexec_b32 s4, s6
	s_cbranch_execz .LBB116_980
; %bb.979:
	scratch_load_b64 v[208:209], off, off offset:16 ; 8-byte Folded Reload
	v_ashrrev_i32_e32 v245, 31, v244
	s_delay_alu instid0(VALU_DEP_1) | instskip(SKIP_1) | instid1(VALU_DEP_1)
	v_lshlrev_b64 v[212:213], 2, v[244:245]
	s_waitcnt vmcnt(0)
	v_add_co_u32 v212, vcc_lo, v208, v212
	s_delay_alu instid0(VALU_DEP_2)
	v_add_co_ci_u32_e32 v213, vcc_lo, v209, v213, vcc_lo
	s_clause 0x1
	flat_load_b32 v214, v[212:213]
	flat_load_b32 v215, v[208:209] offset:184
	s_waitcnt vmcnt(1) lgkmcnt(1)
	flat_store_b32 v[208:209], v214 offset:184
	s_waitcnt vmcnt(0) lgkmcnt(1)
	flat_store_b32 v[212:213], v215
.LBB116_980:
	s_or_b32 exec_lo, exec_lo, s4
	v_mov_b32_e32 v252, v244
	v_mov_b32_e32 v251, v244
.LBB116_981:
	s_or_b32 exec_lo, exec_lo, s3
.LBB116_982:
	s_and_not1_saveexec_b32 s2, s2
	s_cbranch_execz .LBB116_984
; %bb.983:
	v_mov_b32_e32 v252, 46
	ds_store_2addr_b64 v246, v[44:45], v[46:47] offset0:94 offset1:95
	ds_store_2addr_b64 v246, v[40:41], v[42:43] offset0:96 offset1:97
	ds_store_2addr_b64 v246, v[36:37], v[38:39] offset0:98 offset1:99
	ds_store_2addr_b64 v246, v[32:33], v[34:35] offset0:100 offset1:101
	ds_store_2addr_b64 v246, v[28:29], v[30:31] offset0:102 offset1:103
	ds_store_2addr_b64 v246, v[24:25], v[26:27] offset0:104 offset1:105
	ds_store_2addr_b64 v246, v[20:21], v[22:23] offset0:106 offset1:107
	ds_store_2addr_b64 v246, v[16:17], v[18:19] offset0:108 offset1:109
	ds_store_2addr_b64 v246, v[12:13], v[14:15] offset0:110 offset1:111
	ds_store_2addr_b64 v246, v[230:231], v[232:233] offset0:112 offset1:113
	ds_store_2addr_b64 v246, v[4:5], v[6:7] offset0:114 offset1:115
	ds_store_2addr_b64 v246, v[224:225], v[226:227] offset0:116 offset1:117
.LBB116_984:
	s_or_b32 exec_lo, exec_lo, s2
	s_delay_alu instid0(SALU_CYCLE_1)
	s_mov_b32 s2, exec_lo
	s_waitcnt lgkmcnt(0)
	s_waitcnt_vscnt null, 0x0
	s_barrier
	buffer_gl0_inv
	v_cmpx_lt_i32_e32 46, v252
	s_cbranch_execz .LBB116_986
; %bb.985:
	v_mul_f64 v[212:213], v[236:237], v[50:51]
	v_mul_f64 v[50:51], v[238:239], v[50:51]
	s_delay_alu instid0(VALU_DEP_2) | instskip(NEXT) | instid1(VALU_DEP_2)
	v_fma_f64 v[212:213], v[238:239], v[48:49], v[212:213]
	v_fma_f64 v[48:49], v[236:237], v[48:49], -v[50:51]
	ds_load_2addr_b64 v[236:239], v246 offset0:94 offset1:95
	s_waitcnt lgkmcnt(0)
	v_mul_f64 v[50:51], v[238:239], v[212:213]
	v_mul_f64 v[214:215], v[236:237], v[212:213]
	s_delay_alu instid0(VALU_DEP_2) | instskip(NEXT) | instid1(VALU_DEP_2)
	v_fma_f64 v[50:51], v[236:237], v[48:49], -v[50:51]
	v_fma_f64 v[214:215], v[238:239], v[48:49], v[214:215]
	ds_load_2addr_b64 v[236:239], v246 offset0:96 offset1:97
	v_add_f64 v[44:45], v[44:45], -v[50:51]
	v_add_f64 v[46:47], v[46:47], -v[214:215]
	s_waitcnt lgkmcnt(0)
	v_mul_f64 v[50:51], v[238:239], v[212:213]
	v_mul_f64 v[214:215], v[236:237], v[212:213]
	s_delay_alu instid0(VALU_DEP_2) | instskip(NEXT) | instid1(VALU_DEP_2)
	v_fma_f64 v[50:51], v[236:237], v[48:49], -v[50:51]
	v_fma_f64 v[214:215], v[238:239], v[48:49], v[214:215]
	ds_load_2addr_b64 v[236:239], v246 offset0:98 offset1:99
	v_add_f64 v[40:41], v[40:41], -v[50:51]
	v_add_f64 v[42:43], v[42:43], -v[214:215]
	;; [unrolled: 9-line block ×11, first 2 shown]
	s_waitcnt lgkmcnt(0)
	v_mul_f64 v[50:51], v[238:239], v[212:213]
	v_mul_f64 v[214:215], v[236:237], v[212:213]
	s_delay_alu instid0(VALU_DEP_2) | instskip(NEXT) | instid1(VALU_DEP_2)
	v_fma_f64 v[50:51], v[236:237], v[48:49], -v[50:51]
	v_fma_f64 v[214:215], v[238:239], v[48:49], v[214:215]
	s_delay_alu instid0(VALU_DEP_2) | instskip(NEXT) | instid1(VALU_DEP_2)
	v_add_f64 v[224:225], v[224:225], -v[50:51]
	v_add_f64 v[226:227], v[226:227], -v[214:215]
	v_dual_mov_b32 v50, v212 :: v_dual_mov_b32 v51, v213
.LBB116_986:
	s_or_b32 exec_lo, exec_lo, s2
	v_lshl_add_u32 v212, v252, 4, v246
	s_barrier
	buffer_gl0_inv
	v_mov_b32_e32 v244, 47
	ds_store_2addr_b64 v212, v[44:45], v[46:47] offset1:1
	s_waitcnt lgkmcnt(0)
	s_barrier
	buffer_gl0_inv
	ds_load_2addr_b64 v[236:239], v246 offset0:94 offset1:95
	s_cmp_lt_i32 s12, 49
	s_cbranch_scc1 .LBB116_989
; %bb.987:
	v_add3_u32 v245, v234, 0, 0x300
	v_mov_b32_e32 v244, 47
	s_mov_b32 s2, 48
	s_set_inst_prefetch_distance 0x1
	.p2align	6
.LBB116_988:                            ; =>This Inner Loop Header: Depth=1
	s_waitcnt lgkmcnt(0)
	v_cmp_gt_f64_e32 vcc_lo, 0, v[236:237]
	v_xor_b32_e32 v212, 0x80000000, v237
	v_xor_b32_e32 v214, 0x80000000, v239
	ds_load_2addr_b64 v[240:243], v245 offset1:1
	v_add_nc_u32_e32 v245, 16, v245
	s_waitcnt lgkmcnt(0)
	v_xor_b32_e32 v216, 0x80000000, v243
	v_cndmask_b32_e32 v213, v237, v212, vcc_lo
	v_cndmask_b32_e32 v212, v236, v236, vcc_lo
	v_cmp_gt_f64_e32 vcc_lo, 0, v[238:239]
	v_cndmask_b32_e32 v215, v239, v214, vcc_lo
	v_cndmask_b32_e32 v214, v238, v238, vcc_lo
	v_cmp_gt_f64_e32 vcc_lo, 0, v[240:241]
	s_delay_alu instid0(VALU_DEP_2) | instskip(SKIP_1) | instid1(VALU_DEP_1)
	v_add_f64 v[212:213], v[212:213], v[214:215]
	v_xor_b32_e32 v214, 0x80000000, v241
	v_dual_cndmask_b32 v215, v241, v214 :: v_dual_mov_b32 v214, v240
	v_cmp_gt_f64_e32 vcc_lo, 0, v[242:243]
	v_dual_cndmask_b32 v217, v243, v216 :: v_dual_mov_b32 v216, v242
	s_delay_alu instid0(VALU_DEP_1) | instskip(NEXT) | instid1(VALU_DEP_1)
	v_add_f64 v[214:215], v[214:215], v[216:217]
	v_cmp_lt_f64_e32 vcc_lo, v[212:213], v[214:215]
	v_dual_cndmask_b32 v237, v237, v241 :: v_dual_cndmask_b32 v236, v236, v240
	v_dual_cndmask_b32 v239, v239, v243 :: v_dual_cndmask_b32 v238, v238, v242
	v_cndmask_b32_e64 v244, v244, s2, vcc_lo
	s_add_i32 s2, s2, 1
	s_delay_alu instid0(SALU_CYCLE_1)
	s_cmp_lg_u32 s12, s2
	s_cbranch_scc1 .LBB116_988
.LBB116_989:
	s_set_inst_prefetch_distance 0x2
	s_waitcnt lgkmcnt(0)
	v_cmp_eq_f64_e32 vcc_lo, 0, v[236:237]
	v_cmp_eq_f64_e64 s2, 0, v[238:239]
	s_delay_alu instid0(VALU_DEP_1) | instskip(NEXT) | instid1(SALU_CYCLE_1)
	s_and_b32 s2, vcc_lo, s2
	s_and_saveexec_b32 s3, s2
	s_delay_alu instid0(SALU_CYCLE_1)
	s_xor_b32 s2, exec_lo, s3
; %bb.990:
	v_cmp_ne_u32_e32 vcc_lo, 0, v249
	v_cndmask_b32_e32 v249, 48, v249, vcc_lo
; %bb.991:
	s_and_not1_saveexec_b32 s3, s2
	s_cbranch_execz .LBB116_997
; %bb.992:
	v_cmp_gt_f64_e32 vcc_lo, 0, v[236:237]
	v_cmp_gt_f64_e64 s2, 0, v[238:239]
	v_xor_b32_e32 v212, 0x80000000, v237
	v_xor_b32_e32 v214, 0x80000000, v239
	s_delay_alu instid0(VALU_DEP_2) | instskip(NEXT) | instid1(VALU_DEP_2)
	v_cndmask_b32_e32 v213, v237, v212, vcc_lo
	v_cndmask_b32_e64 v215, v239, v214, s2
	v_cndmask_b32_e32 v212, v236, v236, vcc_lo
	v_cndmask_b32_e64 v214, v238, v238, s2
	s_mov_b32 s2, exec_lo
	s_delay_alu instid0(VALU_DEP_1)
	v_cmpx_ngt_f64_e32 v[212:213], v[214:215]
	s_xor_b32 s2, exec_lo, s2
	s_cbranch_execz .LBB116_994
; %bb.993:
	v_div_scale_f64 v[212:213], null, v[238:239], v[238:239], v[236:237]
	v_div_scale_f64 v[218:219], vcc_lo, v[236:237], v[238:239], v[236:237]
	s_delay_alu instid0(VALU_DEP_2) | instskip(SKIP_2) | instid1(VALU_DEP_1)
	v_rcp_f64_e32 v[214:215], v[212:213]
	s_waitcnt_depctr 0xfff
	v_fma_f64 v[216:217], -v[212:213], v[214:215], 1.0
	v_fma_f64 v[214:215], v[214:215], v[216:217], v[214:215]
	s_delay_alu instid0(VALU_DEP_1) | instskip(NEXT) | instid1(VALU_DEP_1)
	v_fma_f64 v[216:217], -v[212:213], v[214:215], 1.0
	v_fma_f64 v[214:215], v[214:215], v[216:217], v[214:215]
	s_delay_alu instid0(VALU_DEP_1) | instskip(NEXT) | instid1(VALU_DEP_1)
	v_mul_f64 v[216:217], v[218:219], v[214:215]
	v_fma_f64 v[212:213], -v[212:213], v[216:217], v[218:219]
	s_delay_alu instid0(VALU_DEP_1) | instskip(NEXT) | instid1(VALU_DEP_1)
	v_div_fmas_f64 v[212:213], v[212:213], v[214:215], v[216:217]
	v_div_fixup_f64 v[212:213], v[212:213], v[238:239], v[236:237]
	s_delay_alu instid0(VALU_DEP_1) | instskip(NEXT) | instid1(VALU_DEP_1)
	v_fma_f64 v[214:215], v[236:237], v[212:213], v[238:239]
	v_div_scale_f64 v[216:217], null, v[214:215], v[214:215], 1.0
	s_delay_alu instid0(VALU_DEP_1) | instskip(SKIP_2) | instid1(VALU_DEP_1)
	v_rcp_f64_e32 v[218:219], v[216:217]
	s_waitcnt_depctr 0xfff
	v_fma_f64 v[220:221], -v[216:217], v[218:219], 1.0
	v_fma_f64 v[218:219], v[218:219], v[220:221], v[218:219]
	s_delay_alu instid0(VALU_DEP_1) | instskip(NEXT) | instid1(VALU_DEP_1)
	v_fma_f64 v[220:221], -v[216:217], v[218:219], 1.0
	v_fma_f64 v[218:219], v[218:219], v[220:221], v[218:219]
	v_div_scale_f64 v[220:221], vcc_lo, 1.0, v[214:215], 1.0
	s_delay_alu instid0(VALU_DEP_1) | instskip(NEXT) | instid1(VALU_DEP_1)
	v_mul_f64 v[222:223], v[220:221], v[218:219]
	v_fma_f64 v[216:217], -v[216:217], v[222:223], v[220:221]
	s_delay_alu instid0(VALU_DEP_1) | instskip(NEXT) | instid1(VALU_DEP_1)
	v_div_fmas_f64 v[216:217], v[216:217], v[218:219], v[222:223]
	v_div_fixup_f64 v[238:239], v[216:217], v[214:215], 1.0
	s_delay_alu instid0(VALU_DEP_1)
	v_mul_f64 v[236:237], v[212:213], v[238:239]
	v_xor_b32_e32 v239, 0x80000000, v239
.LBB116_994:
	s_and_not1_saveexec_b32 s2, s2
	s_cbranch_execz .LBB116_996
; %bb.995:
	s_delay_alu instid0(VALU_DEP_1) | instskip(SKIP_1) | instid1(VALU_DEP_2)
	v_div_scale_f64 v[212:213], null, v[236:237], v[236:237], v[238:239]
	v_div_scale_f64 v[218:219], vcc_lo, v[238:239], v[236:237], v[238:239]
	v_rcp_f64_e32 v[214:215], v[212:213]
	s_waitcnt_depctr 0xfff
	v_fma_f64 v[216:217], -v[212:213], v[214:215], 1.0
	s_delay_alu instid0(VALU_DEP_1) | instskip(NEXT) | instid1(VALU_DEP_1)
	v_fma_f64 v[214:215], v[214:215], v[216:217], v[214:215]
	v_fma_f64 v[216:217], -v[212:213], v[214:215], 1.0
	s_delay_alu instid0(VALU_DEP_1) | instskip(NEXT) | instid1(VALU_DEP_1)
	v_fma_f64 v[214:215], v[214:215], v[216:217], v[214:215]
	v_mul_f64 v[216:217], v[218:219], v[214:215]
	s_delay_alu instid0(VALU_DEP_1) | instskip(NEXT) | instid1(VALU_DEP_1)
	v_fma_f64 v[212:213], -v[212:213], v[216:217], v[218:219]
	v_div_fmas_f64 v[212:213], v[212:213], v[214:215], v[216:217]
	s_delay_alu instid0(VALU_DEP_1) | instskip(NEXT) | instid1(VALU_DEP_1)
	v_div_fixup_f64 v[212:213], v[212:213], v[236:237], v[238:239]
	v_fma_f64 v[214:215], v[238:239], v[212:213], v[236:237]
	s_delay_alu instid0(VALU_DEP_1) | instskip(NEXT) | instid1(VALU_DEP_1)
	v_div_scale_f64 v[216:217], null, v[214:215], v[214:215], 1.0
	v_rcp_f64_e32 v[218:219], v[216:217]
	s_waitcnt_depctr 0xfff
	v_fma_f64 v[220:221], -v[216:217], v[218:219], 1.0
	s_delay_alu instid0(VALU_DEP_1) | instskip(NEXT) | instid1(VALU_DEP_1)
	v_fma_f64 v[218:219], v[218:219], v[220:221], v[218:219]
	v_fma_f64 v[220:221], -v[216:217], v[218:219], 1.0
	s_delay_alu instid0(VALU_DEP_1) | instskip(SKIP_1) | instid1(VALU_DEP_1)
	v_fma_f64 v[218:219], v[218:219], v[220:221], v[218:219]
	v_div_scale_f64 v[220:221], vcc_lo, 1.0, v[214:215], 1.0
	v_mul_f64 v[222:223], v[220:221], v[218:219]
	s_delay_alu instid0(VALU_DEP_1) | instskip(NEXT) | instid1(VALU_DEP_1)
	v_fma_f64 v[216:217], -v[216:217], v[222:223], v[220:221]
	v_div_fmas_f64 v[216:217], v[216:217], v[218:219], v[222:223]
	s_delay_alu instid0(VALU_DEP_1) | instskip(NEXT) | instid1(VALU_DEP_1)
	v_div_fixup_f64 v[236:237], v[216:217], v[214:215], 1.0
	v_mul_f64 v[238:239], v[212:213], -v[236:237]
.LBB116_996:
	s_or_b32 exec_lo, exec_lo, s2
.LBB116_997:
	s_delay_alu instid0(SALU_CYCLE_1) | instskip(NEXT) | instid1(SALU_CYCLE_1)
	s_or_b32 exec_lo, exec_lo, s3
	s_mov_b32 s2, exec_lo
	v_cmpx_ne_u32_e64 v252, v244
	s_xor_b32 s2, exec_lo, s2
	s_cbranch_execz .LBB116_1003
; %bb.998:
	s_mov_b32 s3, exec_lo
	v_cmpx_eq_u32_e32 47, v252
	s_cbranch_execz .LBB116_1002
; %bb.999:
	v_cmp_ne_u32_e32 vcc_lo, 47, v244
	s_xor_b32 s4, s5, -1
	s_delay_alu instid0(SALU_CYCLE_1) | instskip(NEXT) | instid1(SALU_CYCLE_1)
	s_and_b32 s6, s4, vcc_lo
	s_and_saveexec_b32 s4, s6
	s_cbranch_execz .LBB116_1001
; %bb.1000:
	scratch_load_b64 v[208:209], off, off offset:16 ; 8-byte Folded Reload
	v_ashrrev_i32_e32 v245, 31, v244
	s_delay_alu instid0(VALU_DEP_1) | instskip(SKIP_1) | instid1(VALU_DEP_1)
	v_lshlrev_b64 v[212:213], 2, v[244:245]
	s_waitcnt vmcnt(0)
	v_add_co_u32 v212, vcc_lo, v208, v212
	s_delay_alu instid0(VALU_DEP_2)
	v_add_co_ci_u32_e32 v213, vcc_lo, v209, v213, vcc_lo
	s_clause 0x1
	flat_load_b32 v214, v[212:213]
	flat_load_b32 v215, v[208:209] offset:188
	s_waitcnt vmcnt(1) lgkmcnt(1)
	flat_store_b32 v[208:209], v214 offset:188
	s_waitcnt vmcnt(0) lgkmcnt(1)
	flat_store_b32 v[212:213], v215
.LBB116_1001:
	s_or_b32 exec_lo, exec_lo, s4
	v_mov_b32_e32 v252, v244
	v_mov_b32_e32 v251, v244
.LBB116_1002:
	s_or_b32 exec_lo, exec_lo, s3
.LBB116_1003:
	s_and_not1_saveexec_b32 s2, s2
	s_cbranch_execz .LBB116_1005
; %bb.1004:
	v_mov_b32_e32 v252, 47
	ds_store_2addr_b64 v246, v[40:41], v[42:43] offset0:96 offset1:97
	ds_store_2addr_b64 v246, v[36:37], v[38:39] offset0:98 offset1:99
	;; [unrolled: 1-line block ×11, first 2 shown]
.LBB116_1005:
	s_or_b32 exec_lo, exec_lo, s2
	s_delay_alu instid0(SALU_CYCLE_1)
	s_mov_b32 s2, exec_lo
	s_waitcnt lgkmcnt(0)
	s_waitcnt_vscnt null, 0x0
	s_barrier
	buffer_gl0_inv
	v_cmpx_lt_i32_e32 47, v252
	s_cbranch_execz .LBB116_1007
; %bb.1006:
	v_mul_f64 v[212:213], v[236:237], v[46:47]
	v_mul_f64 v[46:47], v[238:239], v[46:47]
	s_delay_alu instid0(VALU_DEP_2) | instskip(NEXT) | instid1(VALU_DEP_2)
	v_fma_f64 v[212:213], v[238:239], v[44:45], v[212:213]
	v_fma_f64 v[44:45], v[236:237], v[44:45], -v[46:47]
	ds_load_2addr_b64 v[236:239], v246 offset0:96 offset1:97
	s_waitcnt lgkmcnt(0)
	v_mul_f64 v[46:47], v[238:239], v[212:213]
	v_mul_f64 v[214:215], v[236:237], v[212:213]
	s_delay_alu instid0(VALU_DEP_2) | instskip(NEXT) | instid1(VALU_DEP_2)
	v_fma_f64 v[46:47], v[236:237], v[44:45], -v[46:47]
	v_fma_f64 v[214:215], v[238:239], v[44:45], v[214:215]
	ds_load_2addr_b64 v[236:239], v246 offset0:98 offset1:99
	v_add_f64 v[40:41], v[40:41], -v[46:47]
	v_add_f64 v[42:43], v[42:43], -v[214:215]
	s_waitcnt lgkmcnt(0)
	v_mul_f64 v[46:47], v[238:239], v[212:213]
	v_mul_f64 v[214:215], v[236:237], v[212:213]
	s_delay_alu instid0(VALU_DEP_2) | instskip(NEXT) | instid1(VALU_DEP_2)
	v_fma_f64 v[46:47], v[236:237], v[44:45], -v[46:47]
	v_fma_f64 v[214:215], v[238:239], v[44:45], v[214:215]
	ds_load_2addr_b64 v[236:239], v246 offset0:100 offset1:101
	v_add_f64 v[36:37], v[36:37], -v[46:47]
	v_add_f64 v[38:39], v[38:39], -v[214:215]
	;; [unrolled: 9-line block ×10, first 2 shown]
	s_waitcnt lgkmcnt(0)
	v_mul_f64 v[46:47], v[238:239], v[212:213]
	v_mul_f64 v[214:215], v[236:237], v[212:213]
	s_delay_alu instid0(VALU_DEP_2) | instskip(NEXT) | instid1(VALU_DEP_2)
	v_fma_f64 v[46:47], v[236:237], v[44:45], -v[46:47]
	v_fma_f64 v[214:215], v[238:239], v[44:45], v[214:215]
	s_delay_alu instid0(VALU_DEP_2) | instskip(NEXT) | instid1(VALU_DEP_2)
	v_add_f64 v[224:225], v[224:225], -v[46:47]
	v_add_f64 v[226:227], v[226:227], -v[214:215]
	v_dual_mov_b32 v46, v212 :: v_dual_mov_b32 v47, v213
.LBB116_1007:
	s_or_b32 exec_lo, exec_lo, s2
	v_lshl_add_u32 v212, v252, 4, v246
	s_barrier
	buffer_gl0_inv
	v_mov_b32_e32 v244, 48
	ds_store_2addr_b64 v212, v[40:41], v[42:43] offset1:1
	s_waitcnt lgkmcnt(0)
	s_barrier
	buffer_gl0_inv
	ds_load_2addr_b64 v[236:239], v246 offset0:96 offset1:97
	s_cmp_lt_i32 s12, 50
	s_cbranch_scc1 .LBB116_1010
; %bb.1008:
	v_add3_u32 v245, v234, 0, 0x310
	v_mov_b32_e32 v244, 48
	s_mov_b32 s2, 49
	s_set_inst_prefetch_distance 0x1
	.p2align	6
.LBB116_1009:                           ; =>This Inner Loop Header: Depth=1
	s_waitcnt lgkmcnt(0)
	v_cmp_gt_f64_e32 vcc_lo, 0, v[236:237]
	v_xor_b32_e32 v212, 0x80000000, v237
	v_xor_b32_e32 v214, 0x80000000, v239
	ds_load_2addr_b64 v[240:243], v245 offset1:1
	v_add_nc_u32_e32 v245, 16, v245
	s_waitcnt lgkmcnt(0)
	v_xor_b32_e32 v216, 0x80000000, v243
	v_cndmask_b32_e32 v213, v237, v212, vcc_lo
	v_cndmask_b32_e32 v212, v236, v236, vcc_lo
	v_cmp_gt_f64_e32 vcc_lo, 0, v[238:239]
	v_cndmask_b32_e32 v215, v239, v214, vcc_lo
	v_cndmask_b32_e32 v214, v238, v238, vcc_lo
	v_cmp_gt_f64_e32 vcc_lo, 0, v[240:241]
	s_delay_alu instid0(VALU_DEP_2) | instskip(SKIP_1) | instid1(VALU_DEP_1)
	v_add_f64 v[212:213], v[212:213], v[214:215]
	v_xor_b32_e32 v214, 0x80000000, v241
	v_dual_cndmask_b32 v215, v241, v214 :: v_dual_mov_b32 v214, v240
	v_cmp_gt_f64_e32 vcc_lo, 0, v[242:243]
	v_dual_cndmask_b32 v217, v243, v216 :: v_dual_mov_b32 v216, v242
	s_delay_alu instid0(VALU_DEP_1) | instskip(NEXT) | instid1(VALU_DEP_1)
	v_add_f64 v[214:215], v[214:215], v[216:217]
	v_cmp_lt_f64_e32 vcc_lo, v[212:213], v[214:215]
	v_dual_cndmask_b32 v237, v237, v241 :: v_dual_cndmask_b32 v236, v236, v240
	v_dual_cndmask_b32 v239, v239, v243 :: v_dual_cndmask_b32 v238, v238, v242
	v_cndmask_b32_e64 v244, v244, s2, vcc_lo
	s_add_i32 s2, s2, 1
	s_delay_alu instid0(SALU_CYCLE_1)
	s_cmp_lg_u32 s12, s2
	s_cbranch_scc1 .LBB116_1009
.LBB116_1010:
	s_set_inst_prefetch_distance 0x2
	s_waitcnt lgkmcnt(0)
	v_cmp_eq_f64_e32 vcc_lo, 0, v[236:237]
	v_cmp_eq_f64_e64 s2, 0, v[238:239]
	s_delay_alu instid0(VALU_DEP_1) | instskip(NEXT) | instid1(SALU_CYCLE_1)
	s_and_b32 s2, vcc_lo, s2
	s_and_saveexec_b32 s3, s2
	s_delay_alu instid0(SALU_CYCLE_1)
	s_xor_b32 s2, exec_lo, s3
; %bb.1011:
	v_cmp_ne_u32_e32 vcc_lo, 0, v249
	v_cndmask_b32_e32 v249, 49, v249, vcc_lo
; %bb.1012:
	s_and_not1_saveexec_b32 s3, s2
	s_cbranch_execz .LBB116_1018
; %bb.1013:
	v_cmp_gt_f64_e32 vcc_lo, 0, v[236:237]
	v_cmp_gt_f64_e64 s2, 0, v[238:239]
	v_xor_b32_e32 v212, 0x80000000, v237
	v_xor_b32_e32 v214, 0x80000000, v239
	s_delay_alu instid0(VALU_DEP_2) | instskip(NEXT) | instid1(VALU_DEP_2)
	v_cndmask_b32_e32 v213, v237, v212, vcc_lo
	v_cndmask_b32_e64 v215, v239, v214, s2
	v_cndmask_b32_e32 v212, v236, v236, vcc_lo
	v_cndmask_b32_e64 v214, v238, v238, s2
	s_mov_b32 s2, exec_lo
	s_delay_alu instid0(VALU_DEP_1)
	v_cmpx_ngt_f64_e32 v[212:213], v[214:215]
	s_xor_b32 s2, exec_lo, s2
	s_cbranch_execz .LBB116_1015
; %bb.1014:
	v_div_scale_f64 v[212:213], null, v[238:239], v[238:239], v[236:237]
	v_div_scale_f64 v[218:219], vcc_lo, v[236:237], v[238:239], v[236:237]
	s_delay_alu instid0(VALU_DEP_2) | instskip(SKIP_2) | instid1(VALU_DEP_1)
	v_rcp_f64_e32 v[214:215], v[212:213]
	s_waitcnt_depctr 0xfff
	v_fma_f64 v[216:217], -v[212:213], v[214:215], 1.0
	v_fma_f64 v[214:215], v[214:215], v[216:217], v[214:215]
	s_delay_alu instid0(VALU_DEP_1) | instskip(NEXT) | instid1(VALU_DEP_1)
	v_fma_f64 v[216:217], -v[212:213], v[214:215], 1.0
	v_fma_f64 v[214:215], v[214:215], v[216:217], v[214:215]
	s_delay_alu instid0(VALU_DEP_1) | instskip(NEXT) | instid1(VALU_DEP_1)
	v_mul_f64 v[216:217], v[218:219], v[214:215]
	v_fma_f64 v[212:213], -v[212:213], v[216:217], v[218:219]
	s_delay_alu instid0(VALU_DEP_1) | instskip(NEXT) | instid1(VALU_DEP_1)
	v_div_fmas_f64 v[212:213], v[212:213], v[214:215], v[216:217]
	v_div_fixup_f64 v[212:213], v[212:213], v[238:239], v[236:237]
	s_delay_alu instid0(VALU_DEP_1) | instskip(NEXT) | instid1(VALU_DEP_1)
	v_fma_f64 v[214:215], v[236:237], v[212:213], v[238:239]
	v_div_scale_f64 v[216:217], null, v[214:215], v[214:215], 1.0
	s_delay_alu instid0(VALU_DEP_1) | instskip(SKIP_2) | instid1(VALU_DEP_1)
	v_rcp_f64_e32 v[218:219], v[216:217]
	s_waitcnt_depctr 0xfff
	v_fma_f64 v[220:221], -v[216:217], v[218:219], 1.0
	v_fma_f64 v[218:219], v[218:219], v[220:221], v[218:219]
	s_delay_alu instid0(VALU_DEP_1) | instskip(NEXT) | instid1(VALU_DEP_1)
	v_fma_f64 v[220:221], -v[216:217], v[218:219], 1.0
	v_fma_f64 v[218:219], v[218:219], v[220:221], v[218:219]
	v_div_scale_f64 v[220:221], vcc_lo, 1.0, v[214:215], 1.0
	s_delay_alu instid0(VALU_DEP_1) | instskip(NEXT) | instid1(VALU_DEP_1)
	v_mul_f64 v[222:223], v[220:221], v[218:219]
	v_fma_f64 v[216:217], -v[216:217], v[222:223], v[220:221]
	s_delay_alu instid0(VALU_DEP_1) | instskip(NEXT) | instid1(VALU_DEP_1)
	v_div_fmas_f64 v[216:217], v[216:217], v[218:219], v[222:223]
	v_div_fixup_f64 v[238:239], v[216:217], v[214:215], 1.0
	s_delay_alu instid0(VALU_DEP_1)
	v_mul_f64 v[236:237], v[212:213], v[238:239]
	v_xor_b32_e32 v239, 0x80000000, v239
.LBB116_1015:
	s_and_not1_saveexec_b32 s2, s2
	s_cbranch_execz .LBB116_1017
; %bb.1016:
	s_delay_alu instid0(VALU_DEP_1) | instskip(SKIP_1) | instid1(VALU_DEP_2)
	v_div_scale_f64 v[212:213], null, v[236:237], v[236:237], v[238:239]
	v_div_scale_f64 v[218:219], vcc_lo, v[238:239], v[236:237], v[238:239]
	v_rcp_f64_e32 v[214:215], v[212:213]
	s_waitcnt_depctr 0xfff
	v_fma_f64 v[216:217], -v[212:213], v[214:215], 1.0
	s_delay_alu instid0(VALU_DEP_1) | instskip(NEXT) | instid1(VALU_DEP_1)
	v_fma_f64 v[214:215], v[214:215], v[216:217], v[214:215]
	v_fma_f64 v[216:217], -v[212:213], v[214:215], 1.0
	s_delay_alu instid0(VALU_DEP_1) | instskip(NEXT) | instid1(VALU_DEP_1)
	v_fma_f64 v[214:215], v[214:215], v[216:217], v[214:215]
	v_mul_f64 v[216:217], v[218:219], v[214:215]
	s_delay_alu instid0(VALU_DEP_1) | instskip(NEXT) | instid1(VALU_DEP_1)
	v_fma_f64 v[212:213], -v[212:213], v[216:217], v[218:219]
	v_div_fmas_f64 v[212:213], v[212:213], v[214:215], v[216:217]
	s_delay_alu instid0(VALU_DEP_1) | instskip(NEXT) | instid1(VALU_DEP_1)
	v_div_fixup_f64 v[212:213], v[212:213], v[236:237], v[238:239]
	v_fma_f64 v[214:215], v[238:239], v[212:213], v[236:237]
	s_delay_alu instid0(VALU_DEP_1) | instskip(NEXT) | instid1(VALU_DEP_1)
	v_div_scale_f64 v[216:217], null, v[214:215], v[214:215], 1.0
	v_rcp_f64_e32 v[218:219], v[216:217]
	s_waitcnt_depctr 0xfff
	v_fma_f64 v[220:221], -v[216:217], v[218:219], 1.0
	s_delay_alu instid0(VALU_DEP_1) | instskip(NEXT) | instid1(VALU_DEP_1)
	v_fma_f64 v[218:219], v[218:219], v[220:221], v[218:219]
	v_fma_f64 v[220:221], -v[216:217], v[218:219], 1.0
	s_delay_alu instid0(VALU_DEP_1) | instskip(SKIP_1) | instid1(VALU_DEP_1)
	v_fma_f64 v[218:219], v[218:219], v[220:221], v[218:219]
	v_div_scale_f64 v[220:221], vcc_lo, 1.0, v[214:215], 1.0
	v_mul_f64 v[222:223], v[220:221], v[218:219]
	s_delay_alu instid0(VALU_DEP_1) | instskip(NEXT) | instid1(VALU_DEP_1)
	v_fma_f64 v[216:217], -v[216:217], v[222:223], v[220:221]
	v_div_fmas_f64 v[216:217], v[216:217], v[218:219], v[222:223]
	s_delay_alu instid0(VALU_DEP_1) | instskip(NEXT) | instid1(VALU_DEP_1)
	v_div_fixup_f64 v[236:237], v[216:217], v[214:215], 1.0
	v_mul_f64 v[238:239], v[212:213], -v[236:237]
.LBB116_1017:
	s_or_b32 exec_lo, exec_lo, s2
.LBB116_1018:
	s_delay_alu instid0(SALU_CYCLE_1) | instskip(NEXT) | instid1(SALU_CYCLE_1)
	s_or_b32 exec_lo, exec_lo, s3
	s_mov_b32 s2, exec_lo
	v_cmpx_ne_u32_e64 v252, v244
	s_xor_b32 s2, exec_lo, s2
	s_cbranch_execz .LBB116_1024
; %bb.1019:
	s_mov_b32 s3, exec_lo
	v_cmpx_eq_u32_e32 48, v252
	s_cbranch_execz .LBB116_1023
; %bb.1020:
	v_cmp_ne_u32_e32 vcc_lo, 48, v244
	s_xor_b32 s4, s5, -1
	s_delay_alu instid0(SALU_CYCLE_1) | instskip(NEXT) | instid1(SALU_CYCLE_1)
	s_and_b32 s6, s4, vcc_lo
	s_and_saveexec_b32 s4, s6
	s_cbranch_execz .LBB116_1022
; %bb.1021:
	scratch_load_b64 v[208:209], off, off offset:16 ; 8-byte Folded Reload
	v_ashrrev_i32_e32 v245, 31, v244
	s_delay_alu instid0(VALU_DEP_1) | instskip(SKIP_1) | instid1(VALU_DEP_1)
	v_lshlrev_b64 v[212:213], 2, v[244:245]
	s_waitcnt vmcnt(0)
	v_add_co_u32 v212, vcc_lo, v208, v212
	s_delay_alu instid0(VALU_DEP_2)
	v_add_co_ci_u32_e32 v213, vcc_lo, v209, v213, vcc_lo
	s_clause 0x1
	flat_load_b32 v214, v[212:213]
	flat_load_b32 v215, v[208:209] offset:192
	s_waitcnt vmcnt(1) lgkmcnt(1)
	flat_store_b32 v[208:209], v214 offset:192
	s_waitcnt vmcnt(0) lgkmcnt(1)
	flat_store_b32 v[212:213], v215
.LBB116_1022:
	s_or_b32 exec_lo, exec_lo, s4
	v_mov_b32_e32 v252, v244
	v_mov_b32_e32 v251, v244
.LBB116_1023:
	s_or_b32 exec_lo, exec_lo, s3
.LBB116_1024:
	s_and_not1_saveexec_b32 s2, s2
	s_cbranch_execz .LBB116_1026
; %bb.1025:
	v_mov_b32_e32 v252, 48
	ds_store_2addr_b64 v246, v[36:37], v[38:39] offset0:98 offset1:99
	ds_store_2addr_b64 v246, v[32:33], v[34:35] offset0:100 offset1:101
	;; [unrolled: 1-line block ×10, first 2 shown]
.LBB116_1026:
	s_or_b32 exec_lo, exec_lo, s2
	s_delay_alu instid0(SALU_CYCLE_1)
	s_mov_b32 s2, exec_lo
	s_waitcnt lgkmcnt(0)
	s_waitcnt_vscnt null, 0x0
	s_barrier
	buffer_gl0_inv
	v_cmpx_lt_i32_e32 48, v252
	s_cbranch_execz .LBB116_1028
; %bb.1027:
	v_mul_f64 v[212:213], v[236:237], v[42:43]
	v_mul_f64 v[42:43], v[238:239], v[42:43]
	s_delay_alu instid0(VALU_DEP_2) | instskip(NEXT) | instid1(VALU_DEP_2)
	v_fma_f64 v[212:213], v[238:239], v[40:41], v[212:213]
	v_fma_f64 v[40:41], v[236:237], v[40:41], -v[42:43]
	ds_load_2addr_b64 v[236:239], v246 offset0:98 offset1:99
	s_waitcnt lgkmcnt(0)
	v_mul_f64 v[42:43], v[238:239], v[212:213]
	v_mul_f64 v[214:215], v[236:237], v[212:213]
	s_delay_alu instid0(VALU_DEP_2) | instskip(NEXT) | instid1(VALU_DEP_2)
	v_fma_f64 v[42:43], v[236:237], v[40:41], -v[42:43]
	v_fma_f64 v[214:215], v[238:239], v[40:41], v[214:215]
	ds_load_2addr_b64 v[236:239], v246 offset0:100 offset1:101
	v_add_f64 v[36:37], v[36:37], -v[42:43]
	v_add_f64 v[38:39], v[38:39], -v[214:215]
	s_waitcnt lgkmcnt(0)
	v_mul_f64 v[42:43], v[238:239], v[212:213]
	v_mul_f64 v[214:215], v[236:237], v[212:213]
	s_delay_alu instid0(VALU_DEP_2) | instskip(NEXT) | instid1(VALU_DEP_2)
	v_fma_f64 v[42:43], v[236:237], v[40:41], -v[42:43]
	v_fma_f64 v[214:215], v[238:239], v[40:41], v[214:215]
	ds_load_2addr_b64 v[236:239], v246 offset0:102 offset1:103
	v_add_f64 v[32:33], v[32:33], -v[42:43]
	v_add_f64 v[34:35], v[34:35], -v[214:215]
	;; [unrolled: 9-line block ×9, first 2 shown]
	s_waitcnt lgkmcnt(0)
	v_mul_f64 v[42:43], v[238:239], v[212:213]
	v_mul_f64 v[214:215], v[236:237], v[212:213]
	s_delay_alu instid0(VALU_DEP_2) | instskip(NEXT) | instid1(VALU_DEP_2)
	v_fma_f64 v[42:43], v[236:237], v[40:41], -v[42:43]
	v_fma_f64 v[214:215], v[238:239], v[40:41], v[214:215]
	s_delay_alu instid0(VALU_DEP_2) | instskip(NEXT) | instid1(VALU_DEP_2)
	v_add_f64 v[224:225], v[224:225], -v[42:43]
	v_add_f64 v[226:227], v[226:227], -v[214:215]
	v_dual_mov_b32 v42, v212 :: v_dual_mov_b32 v43, v213
.LBB116_1028:
	s_or_b32 exec_lo, exec_lo, s2
	v_lshl_add_u32 v212, v252, 4, v246
	s_barrier
	buffer_gl0_inv
	v_mov_b32_e32 v244, 49
	ds_store_2addr_b64 v212, v[36:37], v[38:39] offset1:1
	s_waitcnt lgkmcnt(0)
	s_barrier
	buffer_gl0_inv
	ds_load_2addr_b64 v[236:239], v246 offset0:98 offset1:99
	s_cmp_lt_i32 s12, 51
	s_cbranch_scc1 .LBB116_1031
; %bb.1029:
	v_add3_u32 v245, v234, 0, 0x320
	v_mov_b32_e32 v244, 49
	s_mov_b32 s2, 50
	s_set_inst_prefetch_distance 0x1
	.p2align	6
.LBB116_1030:                           ; =>This Inner Loop Header: Depth=1
	s_waitcnt lgkmcnt(0)
	v_cmp_gt_f64_e32 vcc_lo, 0, v[236:237]
	v_xor_b32_e32 v212, 0x80000000, v237
	v_xor_b32_e32 v214, 0x80000000, v239
	ds_load_2addr_b64 v[240:243], v245 offset1:1
	v_add_nc_u32_e32 v245, 16, v245
	s_waitcnt lgkmcnt(0)
	v_xor_b32_e32 v216, 0x80000000, v243
	v_cndmask_b32_e32 v213, v237, v212, vcc_lo
	v_cndmask_b32_e32 v212, v236, v236, vcc_lo
	v_cmp_gt_f64_e32 vcc_lo, 0, v[238:239]
	v_cndmask_b32_e32 v215, v239, v214, vcc_lo
	v_cndmask_b32_e32 v214, v238, v238, vcc_lo
	v_cmp_gt_f64_e32 vcc_lo, 0, v[240:241]
	s_delay_alu instid0(VALU_DEP_2) | instskip(SKIP_1) | instid1(VALU_DEP_1)
	v_add_f64 v[212:213], v[212:213], v[214:215]
	v_xor_b32_e32 v214, 0x80000000, v241
	v_dual_cndmask_b32 v215, v241, v214 :: v_dual_mov_b32 v214, v240
	v_cmp_gt_f64_e32 vcc_lo, 0, v[242:243]
	v_dual_cndmask_b32 v217, v243, v216 :: v_dual_mov_b32 v216, v242
	s_delay_alu instid0(VALU_DEP_1) | instskip(NEXT) | instid1(VALU_DEP_1)
	v_add_f64 v[214:215], v[214:215], v[216:217]
	v_cmp_lt_f64_e32 vcc_lo, v[212:213], v[214:215]
	v_dual_cndmask_b32 v237, v237, v241 :: v_dual_cndmask_b32 v236, v236, v240
	v_dual_cndmask_b32 v239, v239, v243 :: v_dual_cndmask_b32 v238, v238, v242
	v_cndmask_b32_e64 v244, v244, s2, vcc_lo
	s_add_i32 s2, s2, 1
	s_delay_alu instid0(SALU_CYCLE_1)
	s_cmp_lg_u32 s12, s2
	s_cbranch_scc1 .LBB116_1030
.LBB116_1031:
	s_set_inst_prefetch_distance 0x2
	s_waitcnt lgkmcnt(0)
	v_cmp_eq_f64_e32 vcc_lo, 0, v[236:237]
	v_cmp_eq_f64_e64 s2, 0, v[238:239]
	s_delay_alu instid0(VALU_DEP_1) | instskip(NEXT) | instid1(SALU_CYCLE_1)
	s_and_b32 s2, vcc_lo, s2
	s_and_saveexec_b32 s3, s2
	s_delay_alu instid0(SALU_CYCLE_1)
	s_xor_b32 s2, exec_lo, s3
; %bb.1032:
	v_cmp_ne_u32_e32 vcc_lo, 0, v249
	v_cndmask_b32_e32 v249, 50, v249, vcc_lo
; %bb.1033:
	s_and_not1_saveexec_b32 s3, s2
	s_cbranch_execz .LBB116_1039
; %bb.1034:
	v_cmp_gt_f64_e32 vcc_lo, 0, v[236:237]
	v_cmp_gt_f64_e64 s2, 0, v[238:239]
	v_xor_b32_e32 v212, 0x80000000, v237
	v_xor_b32_e32 v214, 0x80000000, v239
	s_delay_alu instid0(VALU_DEP_2) | instskip(NEXT) | instid1(VALU_DEP_2)
	v_cndmask_b32_e32 v213, v237, v212, vcc_lo
	v_cndmask_b32_e64 v215, v239, v214, s2
	v_cndmask_b32_e32 v212, v236, v236, vcc_lo
	v_cndmask_b32_e64 v214, v238, v238, s2
	s_mov_b32 s2, exec_lo
	s_delay_alu instid0(VALU_DEP_1)
	v_cmpx_ngt_f64_e32 v[212:213], v[214:215]
	s_xor_b32 s2, exec_lo, s2
	s_cbranch_execz .LBB116_1036
; %bb.1035:
	v_div_scale_f64 v[212:213], null, v[238:239], v[238:239], v[236:237]
	v_div_scale_f64 v[218:219], vcc_lo, v[236:237], v[238:239], v[236:237]
	s_delay_alu instid0(VALU_DEP_2) | instskip(SKIP_2) | instid1(VALU_DEP_1)
	v_rcp_f64_e32 v[214:215], v[212:213]
	s_waitcnt_depctr 0xfff
	v_fma_f64 v[216:217], -v[212:213], v[214:215], 1.0
	v_fma_f64 v[214:215], v[214:215], v[216:217], v[214:215]
	s_delay_alu instid0(VALU_DEP_1) | instskip(NEXT) | instid1(VALU_DEP_1)
	v_fma_f64 v[216:217], -v[212:213], v[214:215], 1.0
	v_fma_f64 v[214:215], v[214:215], v[216:217], v[214:215]
	s_delay_alu instid0(VALU_DEP_1) | instskip(NEXT) | instid1(VALU_DEP_1)
	v_mul_f64 v[216:217], v[218:219], v[214:215]
	v_fma_f64 v[212:213], -v[212:213], v[216:217], v[218:219]
	s_delay_alu instid0(VALU_DEP_1) | instskip(NEXT) | instid1(VALU_DEP_1)
	v_div_fmas_f64 v[212:213], v[212:213], v[214:215], v[216:217]
	v_div_fixup_f64 v[212:213], v[212:213], v[238:239], v[236:237]
	s_delay_alu instid0(VALU_DEP_1) | instskip(NEXT) | instid1(VALU_DEP_1)
	v_fma_f64 v[214:215], v[236:237], v[212:213], v[238:239]
	v_div_scale_f64 v[216:217], null, v[214:215], v[214:215], 1.0
	s_delay_alu instid0(VALU_DEP_1) | instskip(SKIP_2) | instid1(VALU_DEP_1)
	v_rcp_f64_e32 v[218:219], v[216:217]
	s_waitcnt_depctr 0xfff
	v_fma_f64 v[220:221], -v[216:217], v[218:219], 1.0
	v_fma_f64 v[218:219], v[218:219], v[220:221], v[218:219]
	s_delay_alu instid0(VALU_DEP_1) | instskip(NEXT) | instid1(VALU_DEP_1)
	v_fma_f64 v[220:221], -v[216:217], v[218:219], 1.0
	v_fma_f64 v[218:219], v[218:219], v[220:221], v[218:219]
	v_div_scale_f64 v[220:221], vcc_lo, 1.0, v[214:215], 1.0
	s_delay_alu instid0(VALU_DEP_1) | instskip(NEXT) | instid1(VALU_DEP_1)
	v_mul_f64 v[222:223], v[220:221], v[218:219]
	v_fma_f64 v[216:217], -v[216:217], v[222:223], v[220:221]
	s_delay_alu instid0(VALU_DEP_1) | instskip(NEXT) | instid1(VALU_DEP_1)
	v_div_fmas_f64 v[216:217], v[216:217], v[218:219], v[222:223]
	v_div_fixup_f64 v[238:239], v[216:217], v[214:215], 1.0
	s_delay_alu instid0(VALU_DEP_1)
	v_mul_f64 v[236:237], v[212:213], v[238:239]
	v_xor_b32_e32 v239, 0x80000000, v239
.LBB116_1036:
	s_and_not1_saveexec_b32 s2, s2
	s_cbranch_execz .LBB116_1038
; %bb.1037:
	s_delay_alu instid0(VALU_DEP_1) | instskip(SKIP_1) | instid1(VALU_DEP_2)
	v_div_scale_f64 v[212:213], null, v[236:237], v[236:237], v[238:239]
	v_div_scale_f64 v[218:219], vcc_lo, v[238:239], v[236:237], v[238:239]
	v_rcp_f64_e32 v[214:215], v[212:213]
	s_waitcnt_depctr 0xfff
	v_fma_f64 v[216:217], -v[212:213], v[214:215], 1.0
	s_delay_alu instid0(VALU_DEP_1) | instskip(NEXT) | instid1(VALU_DEP_1)
	v_fma_f64 v[214:215], v[214:215], v[216:217], v[214:215]
	v_fma_f64 v[216:217], -v[212:213], v[214:215], 1.0
	s_delay_alu instid0(VALU_DEP_1) | instskip(NEXT) | instid1(VALU_DEP_1)
	v_fma_f64 v[214:215], v[214:215], v[216:217], v[214:215]
	v_mul_f64 v[216:217], v[218:219], v[214:215]
	s_delay_alu instid0(VALU_DEP_1) | instskip(NEXT) | instid1(VALU_DEP_1)
	v_fma_f64 v[212:213], -v[212:213], v[216:217], v[218:219]
	v_div_fmas_f64 v[212:213], v[212:213], v[214:215], v[216:217]
	s_delay_alu instid0(VALU_DEP_1) | instskip(NEXT) | instid1(VALU_DEP_1)
	v_div_fixup_f64 v[212:213], v[212:213], v[236:237], v[238:239]
	v_fma_f64 v[214:215], v[238:239], v[212:213], v[236:237]
	s_delay_alu instid0(VALU_DEP_1) | instskip(NEXT) | instid1(VALU_DEP_1)
	v_div_scale_f64 v[216:217], null, v[214:215], v[214:215], 1.0
	v_rcp_f64_e32 v[218:219], v[216:217]
	s_waitcnt_depctr 0xfff
	v_fma_f64 v[220:221], -v[216:217], v[218:219], 1.0
	s_delay_alu instid0(VALU_DEP_1) | instskip(NEXT) | instid1(VALU_DEP_1)
	v_fma_f64 v[218:219], v[218:219], v[220:221], v[218:219]
	v_fma_f64 v[220:221], -v[216:217], v[218:219], 1.0
	s_delay_alu instid0(VALU_DEP_1) | instskip(SKIP_1) | instid1(VALU_DEP_1)
	v_fma_f64 v[218:219], v[218:219], v[220:221], v[218:219]
	v_div_scale_f64 v[220:221], vcc_lo, 1.0, v[214:215], 1.0
	v_mul_f64 v[222:223], v[220:221], v[218:219]
	s_delay_alu instid0(VALU_DEP_1) | instskip(NEXT) | instid1(VALU_DEP_1)
	v_fma_f64 v[216:217], -v[216:217], v[222:223], v[220:221]
	v_div_fmas_f64 v[216:217], v[216:217], v[218:219], v[222:223]
	s_delay_alu instid0(VALU_DEP_1) | instskip(NEXT) | instid1(VALU_DEP_1)
	v_div_fixup_f64 v[236:237], v[216:217], v[214:215], 1.0
	v_mul_f64 v[238:239], v[212:213], -v[236:237]
.LBB116_1038:
	s_or_b32 exec_lo, exec_lo, s2
.LBB116_1039:
	s_delay_alu instid0(SALU_CYCLE_1) | instskip(NEXT) | instid1(SALU_CYCLE_1)
	s_or_b32 exec_lo, exec_lo, s3
	s_mov_b32 s2, exec_lo
	v_cmpx_ne_u32_e64 v252, v244
	s_xor_b32 s2, exec_lo, s2
	s_cbranch_execz .LBB116_1045
; %bb.1040:
	s_mov_b32 s3, exec_lo
	v_cmpx_eq_u32_e32 49, v252
	s_cbranch_execz .LBB116_1044
; %bb.1041:
	v_cmp_ne_u32_e32 vcc_lo, 49, v244
	s_xor_b32 s4, s5, -1
	s_delay_alu instid0(SALU_CYCLE_1) | instskip(NEXT) | instid1(SALU_CYCLE_1)
	s_and_b32 s6, s4, vcc_lo
	s_and_saveexec_b32 s4, s6
	s_cbranch_execz .LBB116_1043
; %bb.1042:
	scratch_load_b64 v[208:209], off, off offset:16 ; 8-byte Folded Reload
	v_ashrrev_i32_e32 v245, 31, v244
	s_delay_alu instid0(VALU_DEP_1) | instskip(SKIP_1) | instid1(VALU_DEP_1)
	v_lshlrev_b64 v[212:213], 2, v[244:245]
	s_waitcnt vmcnt(0)
	v_add_co_u32 v212, vcc_lo, v208, v212
	s_delay_alu instid0(VALU_DEP_2)
	v_add_co_ci_u32_e32 v213, vcc_lo, v209, v213, vcc_lo
	s_clause 0x1
	flat_load_b32 v214, v[212:213]
	flat_load_b32 v215, v[208:209] offset:196
	s_waitcnt vmcnt(1) lgkmcnt(1)
	flat_store_b32 v[208:209], v214 offset:196
	s_waitcnt vmcnt(0) lgkmcnt(1)
	flat_store_b32 v[212:213], v215
.LBB116_1043:
	s_or_b32 exec_lo, exec_lo, s4
	v_mov_b32_e32 v252, v244
	v_mov_b32_e32 v251, v244
.LBB116_1044:
	s_or_b32 exec_lo, exec_lo, s3
.LBB116_1045:
	s_and_not1_saveexec_b32 s2, s2
	s_cbranch_execz .LBB116_1047
; %bb.1046:
	v_mov_b32_e32 v252, 49
	ds_store_2addr_b64 v246, v[32:33], v[34:35] offset0:100 offset1:101
	ds_store_2addr_b64 v246, v[28:29], v[30:31] offset0:102 offset1:103
	;; [unrolled: 1-line block ×9, first 2 shown]
.LBB116_1047:
	s_or_b32 exec_lo, exec_lo, s2
	s_delay_alu instid0(SALU_CYCLE_1)
	s_mov_b32 s2, exec_lo
	s_waitcnt lgkmcnt(0)
	s_waitcnt_vscnt null, 0x0
	s_barrier
	buffer_gl0_inv
	v_cmpx_lt_i32_e32 49, v252
	s_cbranch_execz .LBB116_1049
; %bb.1048:
	v_mul_f64 v[212:213], v[236:237], v[38:39]
	v_mul_f64 v[38:39], v[238:239], v[38:39]
	s_delay_alu instid0(VALU_DEP_2) | instskip(NEXT) | instid1(VALU_DEP_2)
	v_fma_f64 v[212:213], v[238:239], v[36:37], v[212:213]
	v_fma_f64 v[36:37], v[236:237], v[36:37], -v[38:39]
	ds_load_2addr_b64 v[236:239], v246 offset0:100 offset1:101
	s_waitcnt lgkmcnt(0)
	v_mul_f64 v[38:39], v[238:239], v[212:213]
	v_mul_f64 v[214:215], v[236:237], v[212:213]
	s_delay_alu instid0(VALU_DEP_2) | instskip(NEXT) | instid1(VALU_DEP_2)
	v_fma_f64 v[38:39], v[236:237], v[36:37], -v[38:39]
	v_fma_f64 v[214:215], v[238:239], v[36:37], v[214:215]
	ds_load_2addr_b64 v[236:239], v246 offset0:102 offset1:103
	v_add_f64 v[32:33], v[32:33], -v[38:39]
	v_add_f64 v[34:35], v[34:35], -v[214:215]
	s_waitcnt lgkmcnt(0)
	v_mul_f64 v[38:39], v[238:239], v[212:213]
	v_mul_f64 v[214:215], v[236:237], v[212:213]
	s_delay_alu instid0(VALU_DEP_2) | instskip(NEXT) | instid1(VALU_DEP_2)
	v_fma_f64 v[38:39], v[236:237], v[36:37], -v[38:39]
	v_fma_f64 v[214:215], v[238:239], v[36:37], v[214:215]
	ds_load_2addr_b64 v[236:239], v246 offset0:104 offset1:105
	v_add_f64 v[28:29], v[28:29], -v[38:39]
	v_add_f64 v[30:31], v[30:31], -v[214:215]
	s_waitcnt lgkmcnt(0)
	v_mul_f64 v[38:39], v[238:239], v[212:213]
	v_mul_f64 v[214:215], v[236:237], v[212:213]
	s_delay_alu instid0(VALU_DEP_2) | instskip(NEXT) | instid1(VALU_DEP_2)
	v_fma_f64 v[38:39], v[236:237], v[36:37], -v[38:39]
	v_fma_f64 v[214:215], v[238:239], v[36:37], v[214:215]
	ds_load_2addr_b64 v[236:239], v246 offset0:106 offset1:107
	v_add_f64 v[24:25], v[24:25], -v[38:39]
	v_add_f64 v[26:27], v[26:27], -v[214:215]
	s_waitcnt lgkmcnt(0)
	v_mul_f64 v[38:39], v[238:239], v[212:213]
	v_mul_f64 v[214:215], v[236:237], v[212:213]
	s_delay_alu instid0(VALU_DEP_2) | instskip(NEXT) | instid1(VALU_DEP_2)
	v_fma_f64 v[38:39], v[236:237], v[36:37], -v[38:39]
	v_fma_f64 v[214:215], v[238:239], v[36:37], v[214:215]
	ds_load_2addr_b64 v[236:239], v246 offset0:108 offset1:109
	v_add_f64 v[20:21], v[20:21], -v[38:39]
	v_add_f64 v[22:23], v[22:23], -v[214:215]
	s_waitcnt lgkmcnt(0)
	v_mul_f64 v[38:39], v[238:239], v[212:213]
	v_mul_f64 v[214:215], v[236:237], v[212:213]
	s_delay_alu instid0(VALU_DEP_2) | instskip(NEXT) | instid1(VALU_DEP_2)
	v_fma_f64 v[38:39], v[236:237], v[36:37], -v[38:39]
	v_fma_f64 v[214:215], v[238:239], v[36:37], v[214:215]
	ds_load_2addr_b64 v[236:239], v246 offset0:110 offset1:111
	v_add_f64 v[16:17], v[16:17], -v[38:39]
	v_add_f64 v[18:19], v[18:19], -v[214:215]
	s_waitcnt lgkmcnt(0)
	v_mul_f64 v[38:39], v[238:239], v[212:213]
	v_mul_f64 v[214:215], v[236:237], v[212:213]
	s_delay_alu instid0(VALU_DEP_2) | instskip(NEXT) | instid1(VALU_DEP_2)
	v_fma_f64 v[38:39], v[236:237], v[36:37], -v[38:39]
	v_fma_f64 v[214:215], v[238:239], v[36:37], v[214:215]
	ds_load_2addr_b64 v[236:239], v246 offset0:112 offset1:113
	v_add_f64 v[12:13], v[12:13], -v[38:39]
	v_add_f64 v[14:15], v[14:15], -v[214:215]
	s_waitcnt lgkmcnt(0)
	v_mul_f64 v[38:39], v[238:239], v[212:213]
	v_mul_f64 v[214:215], v[236:237], v[212:213]
	s_delay_alu instid0(VALU_DEP_2) | instskip(NEXT) | instid1(VALU_DEP_2)
	v_fma_f64 v[38:39], v[236:237], v[36:37], -v[38:39]
	v_fma_f64 v[214:215], v[238:239], v[36:37], v[214:215]
	ds_load_2addr_b64 v[236:239], v246 offset0:114 offset1:115
	v_add_f64 v[230:231], v[230:231], -v[38:39]
	v_add_f64 v[232:233], v[232:233], -v[214:215]
	s_waitcnt lgkmcnt(0)
	v_mul_f64 v[38:39], v[238:239], v[212:213]
	v_mul_f64 v[214:215], v[236:237], v[212:213]
	s_delay_alu instid0(VALU_DEP_2) | instskip(NEXT) | instid1(VALU_DEP_2)
	v_fma_f64 v[38:39], v[236:237], v[36:37], -v[38:39]
	v_fma_f64 v[214:215], v[238:239], v[36:37], v[214:215]
	ds_load_2addr_b64 v[236:239], v246 offset0:116 offset1:117
	v_add_f64 v[4:5], v[4:5], -v[38:39]
	v_add_f64 v[6:7], v[6:7], -v[214:215]
	s_waitcnt lgkmcnt(0)
	v_mul_f64 v[38:39], v[238:239], v[212:213]
	v_mul_f64 v[214:215], v[236:237], v[212:213]
	s_delay_alu instid0(VALU_DEP_2) | instskip(NEXT) | instid1(VALU_DEP_2)
	v_fma_f64 v[38:39], v[236:237], v[36:37], -v[38:39]
	v_fma_f64 v[214:215], v[238:239], v[36:37], v[214:215]
	s_delay_alu instid0(VALU_DEP_2) | instskip(NEXT) | instid1(VALU_DEP_2)
	v_add_f64 v[224:225], v[224:225], -v[38:39]
	v_add_f64 v[226:227], v[226:227], -v[214:215]
	v_dual_mov_b32 v38, v212 :: v_dual_mov_b32 v39, v213
.LBB116_1049:
	s_or_b32 exec_lo, exec_lo, s2
	v_lshl_add_u32 v212, v252, 4, v246
	s_barrier
	buffer_gl0_inv
	v_mov_b32_e32 v244, 50
	ds_store_2addr_b64 v212, v[32:33], v[34:35] offset1:1
	s_waitcnt lgkmcnt(0)
	s_barrier
	buffer_gl0_inv
	ds_load_2addr_b64 v[236:239], v246 offset0:100 offset1:101
	s_cmp_lt_i32 s12, 52
	s_cbranch_scc1 .LBB116_1052
; %bb.1050:
	v_add3_u32 v245, v234, 0, 0x330
	v_mov_b32_e32 v244, 50
	s_mov_b32 s2, 51
	s_set_inst_prefetch_distance 0x1
	.p2align	6
.LBB116_1051:                           ; =>This Inner Loop Header: Depth=1
	s_waitcnt lgkmcnt(0)
	v_cmp_gt_f64_e32 vcc_lo, 0, v[236:237]
	v_xor_b32_e32 v212, 0x80000000, v237
	v_xor_b32_e32 v214, 0x80000000, v239
	ds_load_2addr_b64 v[240:243], v245 offset1:1
	v_add_nc_u32_e32 v245, 16, v245
	s_waitcnt lgkmcnt(0)
	v_xor_b32_e32 v216, 0x80000000, v243
	v_cndmask_b32_e32 v213, v237, v212, vcc_lo
	v_cndmask_b32_e32 v212, v236, v236, vcc_lo
	v_cmp_gt_f64_e32 vcc_lo, 0, v[238:239]
	v_cndmask_b32_e32 v215, v239, v214, vcc_lo
	v_cndmask_b32_e32 v214, v238, v238, vcc_lo
	v_cmp_gt_f64_e32 vcc_lo, 0, v[240:241]
	s_delay_alu instid0(VALU_DEP_2) | instskip(SKIP_1) | instid1(VALU_DEP_1)
	v_add_f64 v[212:213], v[212:213], v[214:215]
	v_xor_b32_e32 v214, 0x80000000, v241
	v_dual_cndmask_b32 v215, v241, v214 :: v_dual_mov_b32 v214, v240
	v_cmp_gt_f64_e32 vcc_lo, 0, v[242:243]
	v_dual_cndmask_b32 v217, v243, v216 :: v_dual_mov_b32 v216, v242
	s_delay_alu instid0(VALU_DEP_1) | instskip(NEXT) | instid1(VALU_DEP_1)
	v_add_f64 v[214:215], v[214:215], v[216:217]
	v_cmp_lt_f64_e32 vcc_lo, v[212:213], v[214:215]
	v_dual_cndmask_b32 v237, v237, v241 :: v_dual_cndmask_b32 v236, v236, v240
	v_dual_cndmask_b32 v239, v239, v243 :: v_dual_cndmask_b32 v238, v238, v242
	v_cndmask_b32_e64 v244, v244, s2, vcc_lo
	s_add_i32 s2, s2, 1
	s_delay_alu instid0(SALU_CYCLE_1)
	s_cmp_lg_u32 s12, s2
	s_cbranch_scc1 .LBB116_1051
.LBB116_1052:
	s_set_inst_prefetch_distance 0x2
	s_waitcnt lgkmcnt(0)
	v_cmp_eq_f64_e32 vcc_lo, 0, v[236:237]
	v_cmp_eq_f64_e64 s2, 0, v[238:239]
	s_delay_alu instid0(VALU_DEP_1) | instskip(NEXT) | instid1(SALU_CYCLE_1)
	s_and_b32 s2, vcc_lo, s2
	s_and_saveexec_b32 s3, s2
	s_delay_alu instid0(SALU_CYCLE_1)
	s_xor_b32 s2, exec_lo, s3
; %bb.1053:
	v_cmp_ne_u32_e32 vcc_lo, 0, v249
	v_cndmask_b32_e32 v249, 51, v249, vcc_lo
; %bb.1054:
	s_and_not1_saveexec_b32 s3, s2
	s_cbranch_execz .LBB116_1060
; %bb.1055:
	v_cmp_gt_f64_e32 vcc_lo, 0, v[236:237]
	v_cmp_gt_f64_e64 s2, 0, v[238:239]
	v_xor_b32_e32 v212, 0x80000000, v237
	v_xor_b32_e32 v214, 0x80000000, v239
	s_delay_alu instid0(VALU_DEP_2) | instskip(NEXT) | instid1(VALU_DEP_2)
	v_cndmask_b32_e32 v213, v237, v212, vcc_lo
	v_cndmask_b32_e64 v215, v239, v214, s2
	v_cndmask_b32_e32 v212, v236, v236, vcc_lo
	v_cndmask_b32_e64 v214, v238, v238, s2
	s_mov_b32 s2, exec_lo
	s_delay_alu instid0(VALU_DEP_1)
	v_cmpx_ngt_f64_e32 v[212:213], v[214:215]
	s_xor_b32 s2, exec_lo, s2
	s_cbranch_execz .LBB116_1057
; %bb.1056:
	v_div_scale_f64 v[212:213], null, v[238:239], v[238:239], v[236:237]
	v_div_scale_f64 v[218:219], vcc_lo, v[236:237], v[238:239], v[236:237]
	s_delay_alu instid0(VALU_DEP_2) | instskip(SKIP_2) | instid1(VALU_DEP_1)
	v_rcp_f64_e32 v[214:215], v[212:213]
	s_waitcnt_depctr 0xfff
	v_fma_f64 v[216:217], -v[212:213], v[214:215], 1.0
	v_fma_f64 v[214:215], v[214:215], v[216:217], v[214:215]
	s_delay_alu instid0(VALU_DEP_1) | instskip(NEXT) | instid1(VALU_DEP_1)
	v_fma_f64 v[216:217], -v[212:213], v[214:215], 1.0
	v_fma_f64 v[214:215], v[214:215], v[216:217], v[214:215]
	s_delay_alu instid0(VALU_DEP_1) | instskip(NEXT) | instid1(VALU_DEP_1)
	v_mul_f64 v[216:217], v[218:219], v[214:215]
	v_fma_f64 v[212:213], -v[212:213], v[216:217], v[218:219]
	s_delay_alu instid0(VALU_DEP_1) | instskip(NEXT) | instid1(VALU_DEP_1)
	v_div_fmas_f64 v[212:213], v[212:213], v[214:215], v[216:217]
	v_div_fixup_f64 v[212:213], v[212:213], v[238:239], v[236:237]
	s_delay_alu instid0(VALU_DEP_1) | instskip(NEXT) | instid1(VALU_DEP_1)
	v_fma_f64 v[214:215], v[236:237], v[212:213], v[238:239]
	v_div_scale_f64 v[216:217], null, v[214:215], v[214:215], 1.0
	s_delay_alu instid0(VALU_DEP_1) | instskip(SKIP_2) | instid1(VALU_DEP_1)
	v_rcp_f64_e32 v[218:219], v[216:217]
	s_waitcnt_depctr 0xfff
	v_fma_f64 v[220:221], -v[216:217], v[218:219], 1.0
	v_fma_f64 v[218:219], v[218:219], v[220:221], v[218:219]
	s_delay_alu instid0(VALU_DEP_1) | instskip(NEXT) | instid1(VALU_DEP_1)
	v_fma_f64 v[220:221], -v[216:217], v[218:219], 1.0
	v_fma_f64 v[218:219], v[218:219], v[220:221], v[218:219]
	v_div_scale_f64 v[220:221], vcc_lo, 1.0, v[214:215], 1.0
	s_delay_alu instid0(VALU_DEP_1) | instskip(NEXT) | instid1(VALU_DEP_1)
	v_mul_f64 v[222:223], v[220:221], v[218:219]
	v_fma_f64 v[216:217], -v[216:217], v[222:223], v[220:221]
	s_delay_alu instid0(VALU_DEP_1) | instskip(NEXT) | instid1(VALU_DEP_1)
	v_div_fmas_f64 v[216:217], v[216:217], v[218:219], v[222:223]
	v_div_fixup_f64 v[238:239], v[216:217], v[214:215], 1.0
	s_delay_alu instid0(VALU_DEP_1)
	v_mul_f64 v[236:237], v[212:213], v[238:239]
	v_xor_b32_e32 v239, 0x80000000, v239
.LBB116_1057:
	s_and_not1_saveexec_b32 s2, s2
	s_cbranch_execz .LBB116_1059
; %bb.1058:
	s_delay_alu instid0(VALU_DEP_1) | instskip(SKIP_1) | instid1(VALU_DEP_2)
	v_div_scale_f64 v[212:213], null, v[236:237], v[236:237], v[238:239]
	v_div_scale_f64 v[218:219], vcc_lo, v[238:239], v[236:237], v[238:239]
	v_rcp_f64_e32 v[214:215], v[212:213]
	s_waitcnt_depctr 0xfff
	v_fma_f64 v[216:217], -v[212:213], v[214:215], 1.0
	s_delay_alu instid0(VALU_DEP_1) | instskip(NEXT) | instid1(VALU_DEP_1)
	v_fma_f64 v[214:215], v[214:215], v[216:217], v[214:215]
	v_fma_f64 v[216:217], -v[212:213], v[214:215], 1.0
	s_delay_alu instid0(VALU_DEP_1) | instskip(NEXT) | instid1(VALU_DEP_1)
	v_fma_f64 v[214:215], v[214:215], v[216:217], v[214:215]
	v_mul_f64 v[216:217], v[218:219], v[214:215]
	s_delay_alu instid0(VALU_DEP_1) | instskip(NEXT) | instid1(VALU_DEP_1)
	v_fma_f64 v[212:213], -v[212:213], v[216:217], v[218:219]
	v_div_fmas_f64 v[212:213], v[212:213], v[214:215], v[216:217]
	s_delay_alu instid0(VALU_DEP_1) | instskip(NEXT) | instid1(VALU_DEP_1)
	v_div_fixup_f64 v[212:213], v[212:213], v[236:237], v[238:239]
	v_fma_f64 v[214:215], v[238:239], v[212:213], v[236:237]
	s_delay_alu instid0(VALU_DEP_1) | instskip(NEXT) | instid1(VALU_DEP_1)
	v_div_scale_f64 v[216:217], null, v[214:215], v[214:215], 1.0
	v_rcp_f64_e32 v[218:219], v[216:217]
	s_waitcnt_depctr 0xfff
	v_fma_f64 v[220:221], -v[216:217], v[218:219], 1.0
	s_delay_alu instid0(VALU_DEP_1) | instskip(NEXT) | instid1(VALU_DEP_1)
	v_fma_f64 v[218:219], v[218:219], v[220:221], v[218:219]
	v_fma_f64 v[220:221], -v[216:217], v[218:219], 1.0
	s_delay_alu instid0(VALU_DEP_1) | instskip(SKIP_1) | instid1(VALU_DEP_1)
	v_fma_f64 v[218:219], v[218:219], v[220:221], v[218:219]
	v_div_scale_f64 v[220:221], vcc_lo, 1.0, v[214:215], 1.0
	v_mul_f64 v[222:223], v[220:221], v[218:219]
	s_delay_alu instid0(VALU_DEP_1) | instskip(NEXT) | instid1(VALU_DEP_1)
	v_fma_f64 v[216:217], -v[216:217], v[222:223], v[220:221]
	v_div_fmas_f64 v[216:217], v[216:217], v[218:219], v[222:223]
	s_delay_alu instid0(VALU_DEP_1) | instskip(NEXT) | instid1(VALU_DEP_1)
	v_div_fixup_f64 v[236:237], v[216:217], v[214:215], 1.0
	v_mul_f64 v[238:239], v[212:213], -v[236:237]
.LBB116_1059:
	s_or_b32 exec_lo, exec_lo, s2
.LBB116_1060:
	s_delay_alu instid0(SALU_CYCLE_1) | instskip(NEXT) | instid1(SALU_CYCLE_1)
	s_or_b32 exec_lo, exec_lo, s3
	s_mov_b32 s2, exec_lo
	v_cmpx_ne_u32_e64 v252, v244
	s_xor_b32 s2, exec_lo, s2
	s_cbranch_execz .LBB116_1066
; %bb.1061:
	s_mov_b32 s3, exec_lo
	v_cmpx_eq_u32_e32 50, v252
	s_cbranch_execz .LBB116_1065
; %bb.1062:
	v_cmp_ne_u32_e32 vcc_lo, 50, v244
	s_xor_b32 s4, s5, -1
	s_delay_alu instid0(SALU_CYCLE_1) | instskip(NEXT) | instid1(SALU_CYCLE_1)
	s_and_b32 s6, s4, vcc_lo
	s_and_saveexec_b32 s4, s6
	s_cbranch_execz .LBB116_1064
; %bb.1063:
	scratch_load_b64 v[208:209], off, off offset:16 ; 8-byte Folded Reload
	v_ashrrev_i32_e32 v245, 31, v244
	s_delay_alu instid0(VALU_DEP_1) | instskip(SKIP_1) | instid1(VALU_DEP_1)
	v_lshlrev_b64 v[212:213], 2, v[244:245]
	s_waitcnt vmcnt(0)
	v_add_co_u32 v212, vcc_lo, v208, v212
	s_delay_alu instid0(VALU_DEP_2)
	v_add_co_ci_u32_e32 v213, vcc_lo, v209, v213, vcc_lo
	s_clause 0x1
	flat_load_b32 v214, v[212:213]
	flat_load_b32 v215, v[208:209] offset:200
	s_waitcnt vmcnt(1) lgkmcnt(1)
	flat_store_b32 v[208:209], v214 offset:200
	s_waitcnt vmcnt(0) lgkmcnt(1)
	flat_store_b32 v[212:213], v215
.LBB116_1064:
	s_or_b32 exec_lo, exec_lo, s4
	v_mov_b32_e32 v252, v244
	v_mov_b32_e32 v251, v244
.LBB116_1065:
	s_or_b32 exec_lo, exec_lo, s3
.LBB116_1066:
	s_and_not1_saveexec_b32 s2, s2
	s_cbranch_execz .LBB116_1068
; %bb.1067:
	v_mov_b32_e32 v252, 50
	ds_store_2addr_b64 v246, v[28:29], v[30:31] offset0:102 offset1:103
	ds_store_2addr_b64 v246, v[24:25], v[26:27] offset0:104 offset1:105
	;; [unrolled: 1-line block ×8, first 2 shown]
.LBB116_1068:
	s_or_b32 exec_lo, exec_lo, s2
	s_delay_alu instid0(SALU_CYCLE_1)
	s_mov_b32 s2, exec_lo
	s_waitcnt lgkmcnt(0)
	s_waitcnt_vscnt null, 0x0
	s_barrier
	buffer_gl0_inv
	v_cmpx_lt_i32_e32 50, v252
	s_cbranch_execz .LBB116_1070
; %bb.1069:
	v_mul_f64 v[212:213], v[236:237], v[34:35]
	v_mul_f64 v[34:35], v[238:239], v[34:35]
	s_delay_alu instid0(VALU_DEP_2) | instskip(NEXT) | instid1(VALU_DEP_2)
	v_fma_f64 v[212:213], v[238:239], v[32:33], v[212:213]
	v_fma_f64 v[32:33], v[236:237], v[32:33], -v[34:35]
	ds_load_2addr_b64 v[236:239], v246 offset0:102 offset1:103
	s_waitcnt lgkmcnt(0)
	v_mul_f64 v[34:35], v[238:239], v[212:213]
	v_mul_f64 v[214:215], v[236:237], v[212:213]
	s_delay_alu instid0(VALU_DEP_2) | instskip(NEXT) | instid1(VALU_DEP_2)
	v_fma_f64 v[34:35], v[236:237], v[32:33], -v[34:35]
	v_fma_f64 v[214:215], v[238:239], v[32:33], v[214:215]
	ds_load_2addr_b64 v[236:239], v246 offset0:104 offset1:105
	v_add_f64 v[28:29], v[28:29], -v[34:35]
	v_add_f64 v[30:31], v[30:31], -v[214:215]
	s_waitcnt lgkmcnt(0)
	v_mul_f64 v[34:35], v[238:239], v[212:213]
	v_mul_f64 v[214:215], v[236:237], v[212:213]
	s_delay_alu instid0(VALU_DEP_2) | instskip(NEXT) | instid1(VALU_DEP_2)
	v_fma_f64 v[34:35], v[236:237], v[32:33], -v[34:35]
	v_fma_f64 v[214:215], v[238:239], v[32:33], v[214:215]
	ds_load_2addr_b64 v[236:239], v246 offset0:106 offset1:107
	v_add_f64 v[24:25], v[24:25], -v[34:35]
	v_add_f64 v[26:27], v[26:27], -v[214:215]
	;; [unrolled: 9-line block ×7, first 2 shown]
	s_waitcnt lgkmcnt(0)
	v_mul_f64 v[34:35], v[238:239], v[212:213]
	v_mul_f64 v[214:215], v[236:237], v[212:213]
	s_delay_alu instid0(VALU_DEP_2) | instskip(NEXT) | instid1(VALU_DEP_2)
	v_fma_f64 v[34:35], v[236:237], v[32:33], -v[34:35]
	v_fma_f64 v[214:215], v[238:239], v[32:33], v[214:215]
	s_delay_alu instid0(VALU_DEP_2) | instskip(NEXT) | instid1(VALU_DEP_2)
	v_add_f64 v[224:225], v[224:225], -v[34:35]
	v_add_f64 v[226:227], v[226:227], -v[214:215]
	v_dual_mov_b32 v34, v212 :: v_dual_mov_b32 v35, v213
.LBB116_1070:
	s_or_b32 exec_lo, exec_lo, s2
	v_lshl_add_u32 v212, v252, 4, v246
	s_barrier
	buffer_gl0_inv
	v_mov_b32_e32 v244, 51
	ds_store_2addr_b64 v212, v[28:29], v[30:31] offset1:1
	s_waitcnt lgkmcnt(0)
	s_barrier
	buffer_gl0_inv
	ds_load_2addr_b64 v[236:239], v246 offset0:102 offset1:103
	s_cmp_lt_i32 s12, 53
	s_cbranch_scc1 .LBB116_1073
; %bb.1071:
	v_add3_u32 v245, v234, 0, 0x340
	v_mov_b32_e32 v244, 51
	s_mov_b32 s2, 52
	s_set_inst_prefetch_distance 0x1
	.p2align	6
.LBB116_1072:                           ; =>This Inner Loop Header: Depth=1
	s_waitcnt lgkmcnt(0)
	v_cmp_gt_f64_e32 vcc_lo, 0, v[236:237]
	v_xor_b32_e32 v212, 0x80000000, v237
	v_xor_b32_e32 v214, 0x80000000, v239
	ds_load_2addr_b64 v[240:243], v245 offset1:1
	v_add_nc_u32_e32 v245, 16, v245
	s_waitcnt lgkmcnt(0)
	v_xor_b32_e32 v216, 0x80000000, v243
	v_cndmask_b32_e32 v213, v237, v212, vcc_lo
	v_cndmask_b32_e32 v212, v236, v236, vcc_lo
	v_cmp_gt_f64_e32 vcc_lo, 0, v[238:239]
	v_cndmask_b32_e32 v215, v239, v214, vcc_lo
	v_cndmask_b32_e32 v214, v238, v238, vcc_lo
	v_cmp_gt_f64_e32 vcc_lo, 0, v[240:241]
	s_delay_alu instid0(VALU_DEP_2) | instskip(SKIP_1) | instid1(VALU_DEP_1)
	v_add_f64 v[212:213], v[212:213], v[214:215]
	v_xor_b32_e32 v214, 0x80000000, v241
	v_dual_cndmask_b32 v215, v241, v214 :: v_dual_mov_b32 v214, v240
	v_cmp_gt_f64_e32 vcc_lo, 0, v[242:243]
	v_dual_cndmask_b32 v217, v243, v216 :: v_dual_mov_b32 v216, v242
	s_delay_alu instid0(VALU_DEP_1) | instskip(NEXT) | instid1(VALU_DEP_1)
	v_add_f64 v[214:215], v[214:215], v[216:217]
	v_cmp_lt_f64_e32 vcc_lo, v[212:213], v[214:215]
	v_dual_cndmask_b32 v237, v237, v241 :: v_dual_cndmask_b32 v236, v236, v240
	v_dual_cndmask_b32 v239, v239, v243 :: v_dual_cndmask_b32 v238, v238, v242
	v_cndmask_b32_e64 v244, v244, s2, vcc_lo
	s_add_i32 s2, s2, 1
	s_delay_alu instid0(SALU_CYCLE_1)
	s_cmp_lg_u32 s12, s2
	s_cbranch_scc1 .LBB116_1072
.LBB116_1073:
	s_set_inst_prefetch_distance 0x2
	s_waitcnt lgkmcnt(0)
	v_cmp_eq_f64_e32 vcc_lo, 0, v[236:237]
	v_cmp_eq_f64_e64 s2, 0, v[238:239]
	s_delay_alu instid0(VALU_DEP_1) | instskip(NEXT) | instid1(SALU_CYCLE_1)
	s_and_b32 s2, vcc_lo, s2
	s_and_saveexec_b32 s3, s2
	s_delay_alu instid0(SALU_CYCLE_1)
	s_xor_b32 s2, exec_lo, s3
; %bb.1074:
	v_cmp_ne_u32_e32 vcc_lo, 0, v249
	v_cndmask_b32_e32 v249, 52, v249, vcc_lo
; %bb.1075:
	s_and_not1_saveexec_b32 s3, s2
	s_cbranch_execz .LBB116_1081
; %bb.1076:
	v_cmp_gt_f64_e32 vcc_lo, 0, v[236:237]
	v_cmp_gt_f64_e64 s2, 0, v[238:239]
	v_xor_b32_e32 v212, 0x80000000, v237
	v_xor_b32_e32 v214, 0x80000000, v239
	s_delay_alu instid0(VALU_DEP_2) | instskip(NEXT) | instid1(VALU_DEP_2)
	v_cndmask_b32_e32 v213, v237, v212, vcc_lo
	v_cndmask_b32_e64 v215, v239, v214, s2
	v_cndmask_b32_e32 v212, v236, v236, vcc_lo
	v_cndmask_b32_e64 v214, v238, v238, s2
	s_mov_b32 s2, exec_lo
	s_delay_alu instid0(VALU_DEP_1)
	v_cmpx_ngt_f64_e32 v[212:213], v[214:215]
	s_xor_b32 s2, exec_lo, s2
	s_cbranch_execz .LBB116_1078
; %bb.1077:
	v_div_scale_f64 v[212:213], null, v[238:239], v[238:239], v[236:237]
	v_div_scale_f64 v[218:219], vcc_lo, v[236:237], v[238:239], v[236:237]
	s_delay_alu instid0(VALU_DEP_2) | instskip(SKIP_2) | instid1(VALU_DEP_1)
	v_rcp_f64_e32 v[214:215], v[212:213]
	s_waitcnt_depctr 0xfff
	v_fma_f64 v[216:217], -v[212:213], v[214:215], 1.0
	v_fma_f64 v[214:215], v[214:215], v[216:217], v[214:215]
	s_delay_alu instid0(VALU_DEP_1) | instskip(NEXT) | instid1(VALU_DEP_1)
	v_fma_f64 v[216:217], -v[212:213], v[214:215], 1.0
	v_fma_f64 v[214:215], v[214:215], v[216:217], v[214:215]
	s_delay_alu instid0(VALU_DEP_1) | instskip(NEXT) | instid1(VALU_DEP_1)
	v_mul_f64 v[216:217], v[218:219], v[214:215]
	v_fma_f64 v[212:213], -v[212:213], v[216:217], v[218:219]
	s_delay_alu instid0(VALU_DEP_1) | instskip(NEXT) | instid1(VALU_DEP_1)
	v_div_fmas_f64 v[212:213], v[212:213], v[214:215], v[216:217]
	v_div_fixup_f64 v[212:213], v[212:213], v[238:239], v[236:237]
	s_delay_alu instid0(VALU_DEP_1) | instskip(NEXT) | instid1(VALU_DEP_1)
	v_fma_f64 v[214:215], v[236:237], v[212:213], v[238:239]
	v_div_scale_f64 v[216:217], null, v[214:215], v[214:215], 1.0
	s_delay_alu instid0(VALU_DEP_1) | instskip(SKIP_2) | instid1(VALU_DEP_1)
	v_rcp_f64_e32 v[218:219], v[216:217]
	s_waitcnt_depctr 0xfff
	v_fma_f64 v[220:221], -v[216:217], v[218:219], 1.0
	v_fma_f64 v[218:219], v[218:219], v[220:221], v[218:219]
	s_delay_alu instid0(VALU_DEP_1) | instskip(NEXT) | instid1(VALU_DEP_1)
	v_fma_f64 v[220:221], -v[216:217], v[218:219], 1.0
	v_fma_f64 v[218:219], v[218:219], v[220:221], v[218:219]
	v_div_scale_f64 v[220:221], vcc_lo, 1.0, v[214:215], 1.0
	s_delay_alu instid0(VALU_DEP_1) | instskip(NEXT) | instid1(VALU_DEP_1)
	v_mul_f64 v[222:223], v[220:221], v[218:219]
	v_fma_f64 v[216:217], -v[216:217], v[222:223], v[220:221]
	s_delay_alu instid0(VALU_DEP_1) | instskip(NEXT) | instid1(VALU_DEP_1)
	v_div_fmas_f64 v[216:217], v[216:217], v[218:219], v[222:223]
	v_div_fixup_f64 v[238:239], v[216:217], v[214:215], 1.0
	s_delay_alu instid0(VALU_DEP_1)
	v_mul_f64 v[236:237], v[212:213], v[238:239]
	v_xor_b32_e32 v239, 0x80000000, v239
.LBB116_1078:
	s_and_not1_saveexec_b32 s2, s2
	s_cbranch_execz .LBB116_1080
; %bb.1079:
	s_delay_alu instid0(VALU_DEP_1) | instskip(SKIP_1) | instid1(VALU_DEP_2)
	v_div_scale_f64 v[212:213], null, v[236:237], v[236:237], v[238:239]
	v_div_scale_f64 v[218:219], vcc_lo, v[238:239], v[236:237], v[238:239]
	v_rcp_f64_e32 v[214:215], v[212:213]
	s_waitcnt_depctr 0xfff
	v_fma_f64 v[216:217], -v[212:213], v[214:215], 1.0
	s_delay_alu instid0(VALU_DEP_1) | instskip(NEXT) | instid1(VALU_DEP_1)
	v_fma_f64 v[214:215], v[214:215], v[216:217], v[214:215]
	v_fma_f64 v[216:217], -v[212:213], v[214:215], 1.0
	s_delay_alu instid0(VALU_DEP_1) | instskip(NEXT) | instid1(VALU_DEP_1)
	v_fma_f64 v[214:215], v[214:215], v[216:217], v[214:215]
	v_mul_f64 v[216:217], v[218:219], v[214:215]
	s_delay_alu instid0(VALU_DEP_1) | instskip(NEXT) | instid1(VALU_DEP_1)
	v_fma_f64 v[212:213], -v[212:213], v[216:217], v[218:219]
	v_div_fmas_f64 v[212:213], v[212:213], v[214:215], v[216:217]
	s_delay_alu instid0(VALU_DEP_1) | instskip(NEXT) | instid1(VALU_DEP_1)
	v_div_fixup_f64 v[212:213], v[212:213], v[236:237], v[238:239]
	v_fma_f64 v[214:215], v[238:239], v[212:213], v[236:237]
	s_delay_alu instid0(VALU_DEP_1) | instskip(NEXT) | instid1(VALU_DEP_1)
	v_div_scale_f64 v[216:217], null, v[214:215], v[214:215], 1.0
	v_rcp_f64_e32 v[218:219], v[216:217]
	s_waitcnt_depctr 0xfff
	v_fma_f64 v[220:221], -v[216:217], v[218:219], 1.0
	s_delay_alu instid0(VALU_DEP_1) | instskip(NEXT) | instid1(VALU_DEP_1)
	v_fma_f64 v[218:219], v[218:219], v[220:221], v[218:219]
	v_fma_f64 v[220:221], -v[216:217], v[218:219], 1.0
	s_delay_alu instid0(VALU_DEP_1) | instskip(SKIP_1) | instid1(VALU_DEP_1)
	v_fma_f64 v[218:219], v[218:219], v[220:221], v[218:219]
	v_div_scale_f64 v[220:221], vcc_lo, 1.0, v[214:215], 1.0
	v_mul_f64 v[222:223], v[220:221], v[218:219]
	s_delay_alu instid0(VALU_DEP_1) | instskip(NEXT) | instid1(VALU_DEP_1)
	v_fma_f64 v[216:217], -v[216:217], v[222:223], v[220:221]
	v_div_fmas_f64 v[216:217], v[216:217], v[218:219], v[222:223]
	s_delay_alu instid0(VALU_DEP_1) | instskip(NEXT) | instid1(VALU_DEP_1)
	v_div_fixup_f64 v[236:237], v[216:217], v[214:215], 1.0
	v_mul_f64 v[238:239], v[212:213], -v[236:237]
.LBB116_1080:
	s_or_b32 exec_lo, exec_lo, s2
.LBB116_1081:
	s_delay_alu instid0(SALU_CYCLE_1) | instskip(NEXT) | instid1(SALU_CYCLE_1)
	s_or_b32 exec_lo, exec_lo, s3
	s_mov_b32 s2, exec_lo
	v_cmpx_ne_u32_e64 v252, v244
	s_xor_b32 s2, exec_lo, s2
	s_cbranch_execz .LBB116_1087
; %bb.1082:
	s_mov_b32 s3, exec_lo
	v_cmpx_eq_u32_e32 51, v252
	s_cbranch_execz .LBB116_1086
; %bb.1083:
	v_cmp_ne_u32_e32 vcc_lo, 51, v244
	s_xor_b32 s4, s5, -1
	s_delay_alu instid0(SALU_CYCLE_1) | instskip(NEXT) | instid1(SALU_CYCLE_1)
	s_and_b32 s6, s4, vcc_lo
	s_and_saveexec_b32 s4, s6
	s_cbranch_execz .LBB116_1085
; %bb.1084:
	scratch_load_b64 v[208:209], off, off offset:16 ; 8-byte Folded Reload
	v_ashrrev_i32_e32 v245, 31, v244
	s_delay_alu instid0(VALU_DEP_1) | instskip(SKIP_1) | instid1(VALU_DEP_1)
	v_lshlrev_b64 v[212:213], 2, v[244:245]
	s_waitcnt vmcnt(0)
	v_add_co_u32 v212, vcc_lo, v208, v212
	s_delay_alu instid0(VALU_DEP_2)
	v_add_co_ci_u32_e32 v213, vcc_lo, v209, v213, vcc_lo
	s_clause 0x1
	flat_load_b32 v214, v[212:213]
	flat_load_b32 v215, v[208:209] offset:204
	s_waitcnt vmcnt(1) lgkmcnt(1)
	flat_store_b32 v[208:209], v214 offset:204
	s_waitcnt vmcnt(0) lgkmcnt(1)
	flat_store_b32 v[212:213], v215
.LBB116_1085:
	s_or_b32 exec_lo, exec_lo, s4
	v_mov_b32_e32 v252, v244
	v_mov_b32_e32 v251, v244
.LBB116_1086:
	s_or_b32 exec_lo, exec_lo, s3
.LBB116_1087:
	s_and_not1_saveexec_b32 s2, s2
	s_cbranch_execz .LBB116_1089
; %bb.1088:
	v_mov_b32_e32 v252, 51
	ds_store_2addr_b64 v246, v[24:25], v[26:27] offset0:104 offset1:105
	ds_store_2addr_b64 v246, v[20:21], v[22:23] offset0:106 offset1:107
	;; [unrolled: 1-line block ×7, first 2 shown]
.LBB116_1089:
	s_or_b32 exec_lo, exec_lo, s2
	s_delay_alu instid0(SALU_CYCLE_1)
	s_mov_b32 s2, exec_lo
	s_waitcnt lgkmcnt(0)
	s_waitcnt_vscnt null, 0x0
	s_barrier
	buffer_gl0_inv
	v_cmpx_lt_i32_e32 51, v252
	s_cbranch_execz .LBB116_1091
; %bb.1090:
	v_mul_f64 v[212:213], v[236:237], v[30:31]
	v_mul_f64 v[30:31], v[238:239], v[30:31]
	s_delay_alu instid0(VALU_DEP_2) | instskip(NEXT) | instid1(VALU_DEP_2)
	v_fma_f64 v[212:213], v[238:239], v[28:29], v[212:213]
	v_fma_f64 v[28:29], v[236:237], v[28:29], -v[30:31]
	ds_load_2addr_b64 v[236:239], v246 offset0:104 offset1:105
	s_waitcnt lgkmcnt(0)
	v_mul_f64 v[30:31], v[238:239], v[212:213]
	v_mul_f64 v[214:215], v[236:237], v[212:213]
	s_delay_alu instid0(VALU_DEP_2) | instskip(NEXT) | instid1(VALU_DEP_2)
	v_fma_f64 v[30:31], v[236:237], v[28:29], -v[30:31]
	v_fma_f64 v[214:215], v[238:239], v[28:29], v[214:215]
	ds_load_2addr_b64 v[236:239], v246 offset0:106 offset1:107
	v_add_f64 v[24:25], v[24:25], -v[30:31]
	v_add_f64 v[26:27], v[26:27], -v[214:215]
	s_waitcnt lgkmcnt(0)
	v_mul_f64 v[30:31], v[238:239], v[212:213]
	v_mul_f64 v[214:215], v[236:237], v[212:213]
	s_delay_alu instid0(VALU_DEP_2) | instskip(NEXT) | instid1(VALU_DEP_2)
	v_fma_f64 v[30:31], v[236:237], v[28:29], -v[30:31]
	v_fma_f64 v[214:215], v[238:239], v[28:29], v[214:215]
	ds_load_2addr_b64 v[236:239], v246 offset0:108 offset1:109
	v_add_f64 v[20:21], v[20:21], -v[30:31]
	v_add_f64 v[22:23], v[22:23], -v[214:215]
	;; [unrolled: 9-line block ×6, first 2 shown]
	s_waitcnt lgkmcnt(0)
	v_mul_f64 v[30:31], v[238:239], v[212:213]
	v_mul_f64 v[214:215], v[236:237], v[212:213]
	s_delay_alu instid0(VALU_DEP_2) | instskip(NEXT) | instid1(VALU_DEP_2)
	v_fma_f64 v[30:31], v[236:237], v[28:29], -v[30:31]
	v_fma_f64 v[214:215], v[238:239], v[28:29], v[214:215]
	s_delay_alu instid0(VALU_DEP_2) | instskip(NEXT) | instid1(VALU_DEP_2)
	v_add_f64 v[224:225], v[224:225], -v[30:31]
	v_add_f64 v[226:227], v[226:227], -v[214:215]
	v_dual_mov_b32 v30, v212 :: v_dual_mov_b32 v31, v213
.LBB116_1091:
	s_or_b32 exec_lo, exec_lo, s2
	v_lshl_add_u32 v212, v252, 4, v246
	s_barrier
	buffer_gl0_inv
	v_mov_b32_e32 v244, 52
	ds_store_2addr_b64 v212, v[24:25], v[26:27] offset1:1
	s_waitcnt lgkmcnt(0)
	s_barrier
	buffer_gl0_inv
	ds_load_2addr_b64 v[236:239], v246 offset0:104 offset1:105
	s_cmp_lt_i32 s12, 54
	s_cbranch_scc1 .LBB116_1094
; %bb.1092:
	v_add3_u32 v245, v234, 0, 0x350
	v_mov_b32_e32 v244, 52
	s_mov_b32 s2, 53
	s_set_inst_prefetch_distance 0x1
	.p2align	6
.LBB116_1093:                           ; =>This Inner Loop Header: Depth=1
	s_waitcnt lgkmcnt(0)
	v_cmp_gt_f64_e32 vcc_lo, 0, v[236:237]
	v_xor_b32_e32 v212, 0x80000000, v237
	v_xor_b32_e32 v214, 0x80000000, v239
	ds_load_2addr_b64 v[240:243], v245 offset1:1
	v_add_nc_u32_e32 v245, 16, v245
	s_waitcnt lgkmcnt(0)
	v_xor_b32_e32 v216, 0x80000000, v243
	v_cndmask_b32_e32 v213, v237, v212, vcc_lo
	v_cndmask_b32_e32 v212, v236, v236, vcc_lo
	v_cmp_gt_f64_e32 vcc_lo, 0, v[238:239]
	v_cndmask_b32_e32 v215, v239, v214, vcc_lo
	v_cndmask_b32_e32 v214, v238, v238, vcc_lo
	v_cmp_gt_f64_e32 vcc_lo, 0, v[240:241]
	s_delay_alu instid0(VALU_DEP_2) | instskip(SKIP_1) | instid1(VALU_DEP_1)
	v_add_f64 v[212:213], v[212:213], v[214:215]
	v_xor_b32_e32 v214, 0x80000000, v241
	v_dual_cndmask_b32 v215, v241, v214 :: v_dual_mov_b32 v214, v240
	v_cmp_gt_f64_e32 vcc_lo, 0, v[242:243]
	v_dual_cndmask_b32 v217, v243, v216 :: v_dual_mov_b32 v216, v242
	s_delay_alu instid0(VALU_DEP_1) | instskip(NEXT) | instid1(VALU_DEP_1)
	v_add_f64 v[214:215], v[214:215], v[216:217]
	v_cmp_lt_f64_e32 vcc_lo, v[212:213], v[214:215]
	v_dual_cndmask_b32 v237, v237, v241 :: v_dual_cndmask_b32 v236, v236, v240
	v_dual_cndmask_b32 v239, v239, v243 :: v_dual_cndmask_b32 v238, v238, v242
	v_cndmask_b32_e64 v244, v244, s2, vcc_lo
	s_add_i32 s2, s2, 1
	s_delay_alu instid0(SALU_CYCLE_1)
	s_cmp_lg_u32 s12, s2
	s_cbranch_scc1 .LBB116_1093
.LBB116_1094:
	s_set_inst_prefetch_distance 0x2
	s_waitcnt lgkmcnt(0)
	v_cmp_eq_f64_e32 vcc_lo, 0, v[236:237]
	v_cmp_eq_f64_e64 s2, 0, v[238:239]
	s_delay_alu instid0(VALU_DEP_1) | instskip(NEXT) | instid1(SALU_CYCLE_1)
	s_and_b32 s2, vcc_lo, s2
	s_and_saveexec_b32 s3, s2
	s_delay_alu instid0(SALU_CYCLE_1)
	s_xor_b32 s2, exec_lo, s3
; %bb.1095:
	v_cmp_ne_u32_e32 vcc_lo, 0, v249
	v_cndmask_b32_e32 v249, 53, v249, vcc_lo
; %bb.1096:
	s_and_not1_saveexec_b32 s3, s2
	s_cbranch_execz .LBB116_1102
; %bb.1097:
	v_cmp_gt_f64_e32 vcc_lo, 0, v[236:237]
	v_cmp_gt_f64_e64 s2, 0, v[238:239]
	v_xor_b32_e32 v212, 0x80000000, v237
	v_xor_b32_e32 v214, 0x80000000, v239
	s_delay_alu instid0(VALU_DEP_2) | instskip(NEXT) | instid1(VALU_DEP_2)
	v_cndmask_b32_e32 v213, v237, v212, vcc_lo
	v_cndmask_b32_e64 v215, v239, v214, s2
	v_cndmask_b32_e32 v212, v236, v236, vcc_lo
	v_cndmask_b32_e64 v214, v238, v238, s2
	s_mov_b32 s2, exec_lo
	s_delay_alu instid0(VALU_DEP_1)
	v_cmpx_ngt_f64_e32 v[212:213], v[214:215]
	s_xor_b32 s2, exec_lo, s2
	s_cbranch_execz .LBB116_1099
; %bb.1098:
	v_div_scale_f64 v[212:213], null, v[238:239], v[238:239], v[236:237]
	v_div_scale_f64 v[218:219], vcc_lo, v[236:237], v[238:239], v[236:237]
	s_delay_alu instid0(VALU_DEP_2) | instskip(SKIP_2) | instid1(VALU_DEP_1)
	v_rcp_f64_e32 v[214:215], v[212:213]
	s_waitcnt_depctr 0xfff
	v_fma_f64 v[216:217], -v[212:213], v[214:215], 1.0
	v_fma_f64 v[214:215], v[214:215], v[216:217], v[214:215]
	s_delay_alu instid0(VALU_DEP_1) | instskip(NEXT) | instid1(VALU_DEP_1)
	v_fma_f64 v[216:217], -v[212:213], v[214:215], 1.0
	v_fma_f64 v[214:215], v[214:215], v[216:217], v[214:215]
	s_delay_alu instid0(VALU_DEP_1) | instskip(NEXT) | instid1(VALU_DEP_1)
	v_mul_f64 v[216:217], v[218:219], v[214:215]
	v_fma_f64 v[212:213], -v[212:213], v[216:217], v[218:219]
	s_delay_alu instid0(VALU_DEP_1) | instskip(NEXT) | instid1(VALU_DEP_1)
	v_div_fmas_f64 v[212:213], v[212:213], v[214:215], v[216:217]
	v_div_fixup_f64 v[212:213], v[212:213], v[238:239], v[236:237]
	s_delay_alu instid0(VALU_DEP_1) | instskip(NEXT) | instid1(VALU_DEP_1)
	v_fma_f64 v[214:215], v[236:237], v[212:213], v[238:239]
	v_div_scale_f64 v[216:217], null, v[214:215], v[214:215], 1.0
	s_delay_alu instid0(VALU_DEP_1) | instskip(SKIP_2) | instid1(VALU_DEP_1)
	v_rcp_f64_e32 v[218:219], v[216:217]
	s_waitcnt_depctr 0xfff
	v_fma_f64 v[220:221], -v[216:217], v[218:219], 1.0
	v_fma_f64 v[218:219], v[218:219], v[220:221], v[218:219]
	s_delay_alu instid0(VALU_DEP_1) | instskip(NEXT) | instid1(VALU_DEP_1)
	v_fma_f64 v[220:221], -v[216:217], v[218:219], 1.0
	v_fma_f64 v[218:219], v[218:219], v[220:221], v[218:219]
	v_div_scale_f64 v[220:221], vcc_lo, 1.0, v[214:215], 1.0
	s_delay_alu instid0(VALU_DEP_1) | instskip(NEXT) | instid1(VALU_DEP_1)
	v_mul_f64 v[222:223], v[220:221], v[218:219]
	v_fma_f64 v[216:217], -v[216:217], v[222:223], v[220:221]
	s_delay_alu instid0(VALU_DEP_1) | instskip(NEXT) | instid1(VALU_DEP_1)
	v_div_fmas_f64 v[216:217], v[216:217], v[218:219], v[222:223]
	v_div_fixup_f64 v[238:239], v[216:217], v[214:215], 1.0
	s_delay_alu instid0(VALU_DEP_1)
	v_mul_f64 v[236:237], v[212:213], v[238:239]
	v_xor_b32_e32 v239, 0x80000000, v239
.LBB116_1099:
	s_and_not1_saveexec_b32 s2, s2
	s_cbranch_execz .LBB116_1101
; %bb.1100:
	s_delay_alu instid0(VALU_DEP_1) | instskip(SKIP_1) | instid1(VALU_DEP_2)
	v_div_scale_f64 v[212:213], null, v[236:237], v[236:237], v[238:239]
	v_div_scale_f64 v[218:219], vcc_lo, v[238:239], v[236:237], v[238:239]
	v_rcp_f64_e32 v[214:215], v[212:213]
	s_waitcnt_depctr 0xfff
	v_fma_f64 v[216:217], -v[212:213], v[214:215], 1.0
	s_delay_alu instid0(VALU_DEP_1) | instskip(NEXT) | instid1(VALU_DEP_1)
	v_fma_f64 v[214:215], v[214:215], v[216:217], v[214:215]
	v_fma_f64 v[216:217], -v[212:213], v[214:215], 1.0
	s_delay_alu instid0(VALU_DEP_1) | instskip(NEXT) | instid1(VALU_DEP_1)
	v_fma_f64 v[214:215], v[214:215], v[216:217], v[214:215]
	v_mul_f64 v[216:217], v[218:219], v[214:215]
	s_delay_alu instid0(VALU_DEP_1) | instskip(NEXT) | instid1(VALU_DEP_1)
	v_fma_f64 v[212:213], -v[212:213], v[216:217], v[218:219]
	v_div_fmas_f64 v[212:213], v[212:213], v[214:215], v[216:217]
	s_delay_alu instid0(VALU_DEP_1) | instskip(NEXT) | instid1(VALU_DEP_1)
	v_div_fixup_f64 v[212:213], v[212:213], v[236:237], v[238:239]
	v_fma_f64 v[214:215], v[238:239], v[212:213], v[236:237]
	s_delay_alu instid0(VALU_DEP_1) | instskip(NEXT) | instid1(VALU_DEP_1)
	v_div_scale_f64 v[216:217], null, v[214:215], v[214:215], 1.0
	v_rcp_f64_e32 v[218:219], v[216:217]
	s_waitcnt_depctr 0xfff
	v_fma_f64 v[220:221], -v[216:217], v[218:219], 1.0
	s_delay_alu instid0(VALU_DEP_1) | instskip(NEXT) | instid1(VALU_DEP_1)
	v_fma_f64 v[218:219], v[218:219], v[220:221], v[218:219]
	v_fma_f64 v[220:221], -v[216:217], v[218:219], 1.0
	s_delay_alu instid0(VALU_DEP_1) | instskip(SKIP_1) | instid1(VALU_DEP_1)
	v_fma_f64 v[218:219], v[218:219], v[220:221], v[218:219]
	v_div_scale_f64 v[220:221], vcc_lo, 1.0, v[214:215], 1.0
	v_mul_f64 v[222:223], v[220:221], v[218:219]
	s_delay_alu instid0(VALU_DEP_1) | instskip(NEXT) | instid1(VALU_DEP_1)
	v_fma_f64 v[216:217], -v[216:217], v[222:223], v[220:221]
	v_div_fmas_f64 v[216:217], v[216:217], v[218:219], v[222:223]
	s_delay_alu instid0(VALU_DEP_1) | instskip(NEXT) | instid1(VALU_DEP_1)
	v_div_fixup_f64 v[236:237], v[216:217], v[214:215], 1.0
	v_mul_f64 v[238:239], v[212:213], -v[236:237]
.LBB116_1101:
	s_or_b32 exec_lo, exec_lo, s2
.LBB116_1102:
	s_delay_alu instid0(SALU_CYCLE_1) | instskip(NEXT) | instid1(SALU_CYCLE_1)
	s_or_b32 exec_lo, exec_lo, s3
	s_mov_b32 s2, exec_lo
	v_cmpx_ne_u32_e64 v252, v244
	s_xor_b32 s2, exec_lo, s2
	s_cbranch_execz .LBB116_1108
; %bb.1103:
	s_mov_b32 s3, exec_lo
	v_cmpx_eq_u32_e32 52, v252
	s_cbranch_execz .LBB116_1107
; %bb.1104:
	v_cmp_ne_u32_e32 vcc_lo, 52, v244
	s_xor_b32 s4, s5, -1
	s_delay_alu instid0(SALU_CYCLE_1) | instskip(NEXT) | instid1(SALU_CYCLE_1)
	s_and_b32 s6, s4, vcc_lo
	s_and_saveexec_b32 s4, s6
	s_cbranch_execz .LBB116_1106
; %bb.1105:
	scratch_load_b64 v[208:209], off, off offset:16 ; 8-byte Folded Reload
	v_ashrrev_i32_e32 v245, 31, v244
	s_delay_alu instid0(VALU_DEP_1) | instskip(SKIP_1) | instid1(VALU_DEP_1)
	v_lshlrev_b64 v[212:213], 2, v[244:245]
	s_waitcnt vmcnt(0)
	v_add_co_u32 v212, vcc_lo, v208, v212
	s_delay_alu instid0(VALU_DEP_2)
	v_add_co_ci_u32_e32 v213, vcc_lo, v209, v213, vcc_lo
	s_clause 0x1
	flat_load_b32 v214, v[212:213]
	flat_load_b32 v215, v[208:209] offset:208
	s_waitcnt vmcnt(1) lgkmcnt(1)
	flat_store_b32 v[208:209], v214 offset:208
	s_waitcnt vmcnt(0) lgkmcnt(1)
	flat_store_b32 v[212:213], v215
.LBB116_1106:
	s_or_b32 exec_lo, exec_lo, s4
	v_mov_b32_e32 v252, v244
	v_mov_b32_e32 v251, v244
.LBB116_1107:
	s_or_b32 exec_lo, exec_lo, s3
.LBB116_1108:
	s_and_not1_saveexec_b32 s2, s2
	s_cbranch_execz .LBB116_1110
; %bb.1109:
	v_mov_b32_e32 v252, 52
	ds_store_2addr_b64 v246, v[20:21], v[22:23] offset0:106 offset1:107
	ds_store_2addr_b64 v246, v[16:17], v[18:19] offset0:108 offset1:109
	ds_store_2addr_b64 v246, v[12:13], v[14:15] offset0:110 offset1:111
	ds_store_2addr_b64 v246, v[230:231], v[232:233] offset0:112 offset1:113
	ds_store_2addr_b64 v246, v[4:5], v[6:7] offset0:114 offset1:115
	ds_store_2addr_b64 v246, v[224:225], v[226:227] offset0:116 offset1:117
.LBB116_1110:
	s_or_b32 exec_lo, exec_lo, s2
	s_delay_alu instid0(SALU_CYCLE_1)
	s_mov_b32 s2, exec_lo
	s_waitcnt lgkmcnt(0)
	s_waitcnt_vscnt null, 0x0
	s_barrier
	buffer_gl0_inv
	v_cmpx_lt_i32_e32 52, v252
	s_cbranch_execz .LBB116_1112
; %bb.1111:
	v_mul_f64 v[212:213], v[236:237], v[26:27]
	v_mul_f64 v[26:27], v[238:239], v[26:27]
	s_delay_alu instid0(VALU_DEP_2) | instskip(NEXT) | instid1(VALU_DEP_2)
	v_fma_f64 v[212:213], v[238:239], v[24:25], v[212:213]
	v_fma_f64 v[24:25], v[236:237], v[24:25], -v[26:27]
	ds_load_2addr_b64 v[236:239], v246 offset0:106 offset1:107
	s_waitcnt lgkmcnt(0)
	v_mul_f64 v[26:27], v[238:239], v[212:213]
	v_mul_f64 v[214:215], v[236:237], v[212:213]
	s_delay_alu instid0(VALU_DEP_2) | instskip(NEXT) | instid1(VALU_DEP_2)
	v_fma_f64 v[26:27], v[236:237], v[24:25], -v[26:27]
	v_fma_f64 v[214:215], v[238:239], v[24:25], v[214:215]
	ds_load_2addr_b64 v[236:239], v246 offset0:108 offset1:109
	v_add_f64 v[20:21], v[20:21], -v[26:27]
	v_add_f64 v[22:23], v[22:23], -v[214:215]
	s_waitcnt lgkmcnt(0)
	v_mul_f64 v[26:27], v[238:239], v[212:213]
	v_mul_f64 v[214:215], v[236:237], v[212:213]
	s_delay_alu instid0(VALU_DEP_2) | instskip(NEXT) | instid1(VALU_DEP_2)
	v_fma_f64 v[26:27], v[236:237], v[24:25], -v[26:27]
	v_fma_f64 v[214:215], v[238:239], v[24:25], v[214:215]
	ds_load_2addr_b64 v[236:239], v246 offset0:110 offset1:111
	v_add_f64 v[16:17], v[16:17], -v[26:27]
	v_add_f64 v[18:19], v[18:19], -v[214:215]
	;; [unrolled: 9-line block ×5, first 2 shown]
	s_waitcnt lgkmcnt(0)
	v_mul_f64 v[26:27], v[238:239], v[212:213]
	v_mul_f64 v[214:215], v[236:237], v[212:213]
	s_delay_alu instid0(VALU_DEP_2) | instskip(NEXT) | instid1(VALU_DEP_2)
	v_fma_f64 v[26:27], v[236:237], v[24:25], -v[26:27]
	v_fma_f64 v[214:215], v[238:239], v[24:25], v[214:215]
	s_delay_alu instid0(VALU_DEP_2) | instskip(NEXT) | instid1(VALU_DEP_2)
	v_add_f64 v[224:225], v[224:225], -v[26:27]
	v_add_f64 v[226:227], v[226:227], -v[214:215]
	v_dual_mov_b32 v26, v212 :: v_dual_mov_b32 v27, v213
.LBB116_1112:
	s_or_b32 exec_lo, exec_lo, s2
	v_lshl_add_u32 v212, v252, 4, v246
	s_barrier
	buffer_gl0_inv
	v_mov_b32_e32 v244, 53
	ds_store_2addr_b64 v212, v[20:21], v[22:23] offset1:1
	s_waitcnt lgkmcnt(0)
	s_barrier
	buffer_gl0_inv
	ds_load_2addr_b64 v[236:239], v246 offset0:106 offset1:107
	s_cmp_lt_i32 s12, 55
	s_cbranch_scc1 .LBB116_1115
; %bb.1113:
	v_add3_u32 v245, v234, 0, 0x360
	v_mov_b32_e32 v244, 53
	s_mov_b32 s2, 54
	s_set_inst_prefetch_distance 0x1
	.p2align	6
.LBB116_1114:                           ; =>This Inner Loop Header: Depth=1
	s_waitcnt lgkmcnt(0)
	v_cmp_gt_f64_e32 vcc_lo, 0, v[236:237]
	v_xor_b32_e32 v212, 0x80000000, v237
	v_xor_b32_e32 v214, 0x80000000, v239
	ds_load_2addr_b64 v[240:243], v245 offset1:1
	v_add_nc_u32_e32 v245, 16, v245
	s_waitcnt lgkmcnt(0)
	v_xor_b32_e32 v216, 0x80000000, v243
	v_cndmask_b32_e32 v213, v237, v212, vcc_lo
	v_cndmask_b32_e32 v212, v236, v236, vcc_lo
	v_cmp_gt_f64_e32 vcc_lo, 0, v[238:239]
	v_cndmask_b32_e32 v215, v239, v214, vcc_lo
	v_cndmask_b32_e32 v214, v238, v238, vcc_lo
	v_cmp_gt_f64_e32 vcc_lo, 0, v[240:241]
	s_delay_alu instid0(VALU_DEP_2) | instskip(SKIP_1) | instid1(VALU_DEP_1)
	v_add_f64 v[212:213], v[212:213], v[214:215]
	v_xor_b32_e32 v214, 0x80000000, v241
	v_dual_cndmask_b32 v215, v241, v214 :: v_dual_mov_b32 v214, v240
	v_cmp_gt_f64_e32 vcc_lo, 0, v[242:243]
	v_dual_cndmask_b32 v217, v243, v216 :: v_dual_mov_b32 v216, v242
	s_delay_alu instid0(VALU_DEP_1) | instskip(NEXT) | instid1(VALU_DEP_1)
	v_add_f64 v[214:215], v[214:215], v[216:217]
	v_cmp_lt_f64_e32 vcc_lo, v[212:213], v[214:215]
	v_dual_cndmask_b32 v237, v237, v241 :: v_dual_cndmask_b32 v236, v236, v240
	v_dual_cndmask_b32 v239, v239, v243 :: v_dual_cndmask_b32 v238, v238, v242
	v_cndmask_b32_e64 v244, v244, s2, vcc_lo
	s_add_i32 s2, s2, 1
	s_delay_alu instid0(SALU_CYCLE_1)
	s_cmp_lg_u32 s12, s2
	s_cbranch_scc1 .LBB116_1114
.LBB116_1115:
	s_set_inst_prefetch_distance 0x2
	s_waitcnt lgkmcnt(0)
	v_cmp_eq_f64_e32 vcc_lo, 0, v[236:237]
	v_cmp_eq_f64_e64 s2, 0, v[238:239]
	s_delay_alu instid0(VALU_DEP_1) | instskip(NEXT) | instid1(SALU_CYCLE_1)
	s_and_b32 s2, vcc_lo, s2
	s_and_saveexec_b32 s3, s2
	s_delay_alu instid0(SALU_CYCLE_1)
	s_xor_b32 s2, exec_lo, s3
; %bb.1116:
	v_cmp_ne_u32_e32 vcc_lo, 0, v249
	v_cndmask_b32_e32 v249, 54, v249, vcc_lo
; %bb.1117:
	s_and_not1_saveexec_b32 s3, s2
	s_cbranch_execz .LBB116_1123
; %bb.1118:
	v_cmp_gt_f64_e32 vcc_lo, 0, v[236:237]
	v_cmp_gt_f64_e64 s2, 0, v[238:239]
	v_xor_b32_e32 v212, 0x80000000, v237
	v_xor_b32_e32 v214, 0x80000000, v239
	s_delay_alu instid0(VALU_DEP_2) | instskip(NEXT) | instid1(VALU_DEP_2)
	v_cndmask_b32_e32 v213, v237, v212, vcc_lo
	v_cndmask_b32_e64 v215, v239, v214, s2
	v_cndmask_b32_e32 v212, v236, v236, vcc_lo
	v_cndmask_b32_e64 v214, v238, v238, s2
	s_mov_b32 s2, exec_lo
	s_delay_alu instid0(VALU_DEP_1)
	v_cmpx_ngt_f64_e32 v[212:213], v[214:215]
	s_xor_b32 s2, exec_lo, s2
	s_cbranch_execz .LBB116_1120
; %bb.1119:
	v_div_scale_f64 v[212:213], null, v[238:239], v[238:239], v[236:237]
	v_div_scale_f64 v[218:219], vcc_lo, v[236:237], v[238:239], v[236:237]
	s_delay_alu instid0(VALU_DEP_2) | instskip(SKIP_2) | instid1(VALU_DEP_1)
	v_rcp_f64_e32 v[214:215], v[212:213]
	s_waitcnt_depctr 0xfff
	v_fma_f64 v[216:217], -v[212:213], v[214:215], 1.0
	v_fma_f64 v[214:215], v[214:215], v[216:217], v[214:215]
	s_delay_alu instid0(VALU_DEP_1) | instskip(NEXT) | instid1(VALU_DEP_1)
	v_fma_f64 v[216:217], -v[212:213], v[214:215], 1.0
	v_fma_f64 v[214:215], v[214:215], v[216:217], v[214:215]
	s_delay_alu instid0(VALU_DEP_1) | instskip(NEXT) | instid1(VALU_DEP_1)
	v_mul_f64 v[216:217], v[218:219], v[214:215]
	v_fma_f64 v[212:213], -v[212:213], v[216:217], v[218:219]
	s_delay_alu instid0(VALU_DEP_1) | instskip(NEXT) | instid1(VALU_DEP_1)
	v_div_fmas_f64 v[212:213], v[212:213], v[214:215], v[216:217]
	v_div_fixup_f64 v[212:213], v[212:213], v[238:239], v[236:237]
	s_delay_alu instid0(VALU_DEP_1) | instskip(NEXT) | instid1(VALU_DEP_1)
	v_fma_f64 v[214:215], v[236:237], v[212:213], v[238:239]
	v_div_scale_f64 v[216:217], null, v[214:215], v[214:215], 1.0
	s_delay_alu instid0(VALU_DEP_1) | instskip(SKIP_2) | instid1(VALU_DEP_1)
	v_rcp_f64_e32 v[218:219], v[216:217]
	s_waitcnt_depctr 0xfff
	v_fma_f64 v[220:221], -v[216:217], v[218:219], 1.0
	v_fma_f64 v[218:219], v[218:219], v[220:221], v[218:219]
	s_delay_alu instid0(VALU_DEP_1) | instskip(NEXT) | instid1(VALU_DEP_1)
	v_fma_f64 v[220:221], -v[216:217], v[218:219], 1.0
	v_fma_f64 v[218:219], v[218:219], v[220:221], v[218:219]
	v_div_scale_f64 v[220:221], vcc_lo, 1.0, v[214:215], 1.0
	s_delay_alu instid0(VALU_DEP_1) | instskip(NEXT) | instid1(VALU_DEP_1)
	v_mul_f64 v[222:223], v[220:221], v[218:219]
	v_fma_f64 v[216:217], -v[216:217], v[222:223], v[220:221]
	s_delay_alu instid0(VALU_DEP_1) | instskip(NEXT) | instid1(VALU_DEP_1)
	v_div_fmas_f64 v[216:217], v[216:217], v[218:219], v[222:223]
	v_div_fixup_f64 v[238:239], v[216:217], v[214:215], 1.0
	s_delay_alu instid0(VALU_DEP_1)
	v_mul_f64 v[236:237], v[212:213], v[238:239]
	v_xor_b32_e32 v239, 0x80000000, v239
.LBB116_1120:
	s_and_not1_saveexec_b32 s2, s2
	s_cbranch_execz .LBB116_1122
; %bb.1121:
	s_delay_alu instid0(VALU_DEP_1) | instskip(SKIP_1) | instid1(VALU_DEP_2)
	v_div_scale_f64 v[212:213], null, v[236:237], v[236:237], v[238:239]
	v_div_scale_f64 v[218:219], vcc_lo, v[238:239], v[236:237], v[238:239]
	v_rcp_f64_e32 v[214:215], v[212:213]
	s_waitcnt_depctr 0xfff
	v_fma_f64 v[216:217], -v[212:213], v[214:215], 1.0
	s_delay_alu instid0(VALU_DEP_1) | instskip(NEXT) | instid1(VALU_DEP_1)
	v_fma_f64 v[214:215], v[214:215], v[216:217], v[214:215]
	v_fma_f64 v[216:217], -v[212:213], v[214:215], 1.0
	s_delay_alu instid0(VALU_DEP_1) | instskip(NEXT) | instid1(VALU_DEP_1)
	v_fma_f64 v[214:215], v[214:215], v[216:217], v[214:215]
	v_mul_f64 v[216:217], v[218:219], v[214:215]
	s_delay_alu instid0(VALU_DEP_1) | instskip(NEXT) | instid1(VALU_DEP_1)
	v_fma_f64 v[212:213], -v[212:213], v[216:217], v[218:219]
	v_div_fmas_f64 v[212:213], v[212:213], v[214:215], v[216:217]
	s_delay_alu instid0(VALU_DEP_1) | instskip(NEXT) | instid1(VALU_DEP_1)
	v_div_fixup_f64 v[212:213], v[212:213], v[236:237], v[238:239]
	v_fma_f64 v[214:215], v[238:239], v[212:213], v[236:237]
	s_delay_alu instid0(VALU_DEP_1) | instskip(NEXT) | instid1(VALU_DEP_1)
	v_div_scale_f64 v[216:217], null, v[214:215], v[214:215], 1.0
	v_rcp_f64_e32 v[218:219], v[216:217]
	s_waitcnt_depctr 0xfff
	v_fma_f64 v[220:221], -v[216:217], v[218:219], 1.0
	s_delay_alu instid0(VALU_DEP_1) | instskip(NEXT) | instid1(VALU_DEP_1)
	v_fma_f64 v[218:219], v[218:219], v[220:221], v[218:219]
	v_fma_f64 v[220:221], -v[216:217], v[218:219], 1.0
	s_delay_alu instid0(VALU_DEP_1) | instskip(SKIP_1) | instid1(VALU_DEP_1)
	v_fma_f64 v[218:219], v[218:219], v[220:221], v[218:219]
	v_div_scale_f64 v[220:221], vcc_lo, 1.0, v[214:215], 1.0
	v_mul_f64 v[222:223], v[220:221], v[218:219]
	s_delay_alu instid0(VALU_DEP_1) | instskip(NEXT) | instid1(VALU_DEP_1)
	v_fma_f64 v[216:217], -v[216:217], v[222:223], v[220:221]
	v_div_fmas_f64 v[216:217], v[216:217], v[218:219], v[222:223]
	s_delay_alu instid0(VALU_DEP_1) | instskip(NEXT) | instid1(VALU_DEP_1)
	v_div_fixup_f64 v[236:237], v[216:217], v[214:215], 1.0
	v_mul_f64 v[238:239], v[212:213], -v[236:237]
.LBB116_1122:
	s_or_b32 exec_lo, exec_lo, s2
.LBB116_1123:
	s_delay_alu instid0(SALU_CYCLE_1) | instskip(NEXT) | instid1(SALU_CYCLE_1)
	s_or_b32 exec_lo, exec_lo, s3
	s_mov_b32 s2, exec_lo
	v_cmpx_ne_u32_e64 v252, v244
	s_xor_b32 s2, exec_lo, s2
	s_cbranch_execz .LBB116_1129
; %bb.1124:
	s_mov_b32 s3, exec_lo
	v_cmpx_eq_u32_e32 53, v252
	s_cbranch_execz .LBB116_1128
; %bb.1125:
	v_cmp_ne_u32_e32 vcc_lo, 53, v244
	s_xor_b32 s4, s5, -1
	s_delay_alu instid0(SALU_CYCLE_1) | instskip(NEXT) | instid1(SALU_CYCLE_1)
	s_and_b32 s6, s4, vcc_lo
	s_and_saveexec_b32 s4, s6
	s_cbranch_execz .LBB116_1127
; %bb.1126:
	scratch_load_b64 v[208:209], off, off offset:16 ; 8-byte Folded Reload
	v_ashrrev_i32_e32 v245, 31, v244
	s_delay_alu instid0(VALU_DEP_1) | instskip(SKIP_1) | instid1(VALU_DEP_1)
	v_lshlrev_b64 v[212:213], 2, v[244:245]
	s_waitcnt vmcnt(0)
	v_add_co_u32 v212, vcc_lo, v208, v212
	s_delay_alu instid0(VALU_DEP_2)
	v_add_co_ci_u32_e32 v213, vcc_lo, v209, v213, vcc_lo
	s_clause 0x1
	flat_load_b32 v214, v[212:213]
	flat_load_b32 v215, v[208:209] offset:212
	s_waitcnt vmcnt(1) lgkmcnt(1)
	flat_store_b32 v[208:209], v214 offset:212
	s_waitcnt vmcnt(0) lgkmcnt(1)
	flat_store_b32 v[212:213], v215
.LBB116_1127:
	s_or_b32 exec_lo, exec_lo, s4
	v_mov_b32_e32 v252, v244
	v_mov_b32_e32 v251, v244
.LBB116_1128:
	s_or_b32 exec_lo, exec_lo, s3
.LBB116_1129:
	s_and_not1_saveexec_b32 s2, s2
	s_cbranch_execz .LBB116_1131
; %bb.1130:
	v_mov_b32_e32 v252, 53
	ds_store_2addr_b64 v246, v[16:17], v[18:19] offset0:108 offset1:109
	ds_store_2addr_b64 v246, v[12:13], v[14:15] offset0:110 offset1:111
	;; [unrolled: 1-line block ×5, first 2 shown]
.LBB116_1131:
	s_or_b32 exec_lo, exec_lo, s2
	s_delay_alu instid0(SALU_CYCLE_1)
	s_mov_b32 s2, exec_lo
	s_waitcnt lgkmcnt(0)
	s_waitcnt_vscnt null, 0x0
	s_barrier
	buffer_gl0_inv
	v_cmpx_lt_i32_e32 53, v252
	s_cbranch_execz .LBB116_1133
; %bb.1132:
	v_mul_f64 v[212:213], v[236:237], v[22:23]
	v_mul_f64 v[22:23], v[238:239], v[22:23]
	s_delay_alu instid0(VALU_DEP_2) | instskip(NEXT) | instid1(VALU_DEP_2)
	v_fma_f64 v[212:213], v[238:239], v[20:21], v[212:213]
	v_fma_f64 v[20:21], v[236:237], v[20:21], -v[22:23]
	ds_load_2addr_b64 v[236:239], v246 offset0:108 offset1:109
	s_waitcnt lgkmcnt(0)
	v_mul_f64 v[22:23], v[238:239], v[212:213]
	v_mul_f64 v[214:215], v[236:237], v[212:213]
	s_delay_alu instid0(VALU_DEP_2) | instskip(NEXT) | instid1(VALU_DEP_2)
	v_fma_f64 v[22:23], v[236:237], v[20:21], -v[22:23]
	v_fma_f64 v[214:215], v[238:239], v[20:21], v[214:215]
	ds_load_2addr_b64 v[236:239], v246 offset0:110 offset1:111
	v_add_f64 v[16:17], v[16:17], -v[22:23]
	v_add_f64 v[18:19], v[18:19], -v[214:215]
	s_waitcnt lgkmcnt(0)
	v_mul_f64 v[22:23], v[238:239], v[212:213]
	v_mul_f64 v[214:215], v[236:237], v[212:213]
	s_delay_alu instid0(VALU_DEP_2) | instskip(NEXT) | instid1(VALU_DEP_2)
	v_fma_f64 v[22:23], v[236:237], v[20:21], -v[22:23]
	v_fma_f64 v[214:215], v[238:239], v[20:21], v[214:215]
	ds_load_2addr_b64 v[236:239], v246 offset0:112 offset1:113
	v_add_f64 v[12:13], v[12:13], -v[22:23]
	v_add_f64 v[14:15], v[14:15], -v[214:215]
	;; [unrolled: 9-line block ×4, first 2 shown]
	s_waitcnt lgkmcnt(0)
	v_mul_f64 v[22:23], v[238:239], v[212:213]
	v_mul_f64 v[214:215], v[236:237], v[212:213]
	s_delay_alu instid0(VALU_DEP_2) | instskip(NEXT) | instid1(VALU_DEP_2)
	v_fma_f64 v[22:23], v[236:237], v[20:21], -v[22:23]
	v_fma_f64 v[214:215], v[238:239], v[20:21], v[214:215]
	s_delay_alu instid0(VALU_DEP_2) | instskip(NEXT) | instid1(VALU_DEP_2)
	v_add_f64 v[224:225], v[224:225], -v[22:23]
	v_add_f64 v[226:227], v[226:227], -v[214:215]
	v_dual_mov_b32 v22, v212 :: v_dual_mov_b32 v23, v213
.LBB116_1133:
	s_or_b32 exec_lo, exec_lo, s2
	v_lshl_add_u32 v212, v252, 4, v246
	s_barrier
	buffer_gl0_inv
	v_mov_b32_e32 v244, 54
	ds_store_2addr_b64 v212, v[16:17], v[18:19] offset1:1
	s_waitcnt lgkmcnt(0)
	s_barrier
	buffer_gl0_inv
	ds_load_2addr_b64 v[236:239], v246 offset0:108 offset1:109
	s_cmp_lt_i32 s12, 56
	s_cbranch_scc1 .LBB116_1136
; %bb.1134:
	v_add3_u32 v245, v234, 0, 0x370
	v_mov_b32_e32 v244, 54
	s_mov_b32 s2, 55
	s_set_inst_prefetch_distance 0x1
	.p2align	6
.LBB116_1135:                           ; =>This Inner Loop Header: Depth=1
	s_waitcnt lgkmcnt(0)
	v_cmp_gt_f64_e32 vcc_lo, 0, v[236:237]
	v_xor_b32_e32 v212, 0x80000000, v237
	v_xor_b32_e32 v214, 0x80000000, v239
	ds_load_2addr_b64 v[240:243], v245 offset1:1
	v_add_nc_u32_e32 v245, 16, v245
	s_waitcnt lgkmcnt(0)
	v_xor_b32_e32 v216, 0x80000000, v243
	v_cndmask_b32_e32 v213, v237, v212, vcc_lo
	v_cndmask_b32_e32 v212, v236, v236, vcc_lo
	v_cmp_gt_f64_e32 vcc_lo, 0, v[238:239]
	v_cndmask_b32_e32 v215, v239, v214, vcc_lo
	v_cndmask_b32_e32 v214, v238, v238, vcc_lo
	v_cmp_gt_f64_e32 vcc_lo, 0, v[240:241]
	s_delay_alu instid0(VALU_DEP_2) | instskip(SKIP_1) | instid1(VALU_DEP_1)
	v_add_f64 v[212:213], v[212:213], v[214:215]
	v_xor_b32_e32 v214, 0x80000000, v241
	v_dual_cndmask_b32 v215, v241, v214 :: v_dual_mov_b32 v214, v240
	v_cmp_gt_f64_e32 vcc_lo, 0, v[242:243]
	v_dual_cndmask_b32 v217, v243, v216 :: v_dual_mov_b32 v216, v242
	s_delay_alu instid0(VALU_DEP_1) | instskip(NEXT) | instid1(VALU_DEP_1)
	v_add_f64 v[214:215], v[214:215], v[216:217]
	v_cmp_lt_f64_e32 vcc_lo, v[212:213], v[214:215]
	v_dual_cndmask_b32 v237, v237, v241 :: v_dual_cndmask_b32 v236, v236, v240
	v_dual_cndmask_b32 v239, v239, v243 :: v_dual_cndmask_b32 v238, v238, v242
	v_cndmask_b32_e64 v244, v244, s2, vcc_lo
	s_add_i32 s2, s2, 1
	s_delay_alu instid0(SALU_CYCLE_1)
	s_cmp_lg_u32 s12, s2
	s_cbranch_scc1 .LBB116_1135
.LBB116_1136:
	s_set_inst_prefetch_distance 0x2
	s_waitcnt lgkmcnt(0)
	v_cmp_eq_f64_e32 vcc_lo, 0, v[236:237]
	v_cmp_eq_f64_e64 s2, 0, v[238:239]
	s_delay_alu instid0(VALU_DEP_1) | instskip(NEXT) | instid1(SALU_CYCLE_1)
	s_and_b32 s2, vcc_lo, s2
	s_and_saveexec_b32 s3, s2
	s_delay_alu instid0(SALU_CYCLE_1)
	s_xor_b32 s2, exec_lo, s3
; %bb.1137:
	v_cmp_ne_u32_e32 vcc_lo, 0, v249
	v_cndmask_b32_e32 v249, 55, v249, vcc_lo
; %bb.1138:
	s_and_not1_saveexec_b32 s3, s2
	s_cbranch_execz .LBB116_1144
; %bb.1139:
	v_cmp_gt_f64_e32 vcc_lo, 0, v[236:237]
	v_cmp_gt_f64_e64 s2, 0, v[238:239]
	v_xor_b32_e32 v212, 0x80000000, v237
	v_xor_b32_e32 v214, 0x80000000, v239
	s_delay_alu instid0(VALU_DEP_2) | instskip(NEXT) | instid1(VALU_DEP_2)
	v_cndmask_b32_e32 v213, v237, v212, vcc_lo
	v_cndmask_b32_e64 v215, v239, v214, s2
	v_cndmask_b32_e32 v212, v236, v236, vcc_lo
	v_cndmask_b32_e64 v214, v238, v238, s2
	s_mov_b32 s2, exec_lo
	s_delay_alu instid0(VALU_DEP_1)
	v_cmpx_ngt_f64_e32 v[212:213], v[214:215]
	s_xor_b32 s2, exec_lo, s2
	s_cbranch_execz .LBB116_1141
; %bb.1140:
	v_div_scale_f64 v[212:213], null, v[238:239], v[238:239], v[236:237]
	v_div_scale_f64 v[218:219], vcc_lo, v[236:237], v[238:239], v[236:237]
	s_delay_alu instid0(VALU_DEP_2) | instskip(SKIP_2) | instid1(VALU_DEP_1)
	v_rcp_f64_e32 v[214:215], v[212:213]
	s_waitcnt_depctr 0xfff
	v_fma_f64 v[216:217], -v[212:213], v[214:215], 1.0
	v_fma_f64 v[214:215], v[214:215], v[216:217], v[214:215]
	s_delay_alu instid0(VALU_DEP_1) | instskip(NEXT) | instid1(VALU_DEP_1)
	v_fma_f64 v[216:217], -v[212:213], v[214:215], 1.0
	v_fma_f64 v[214:215], v[214:215], v[216:217], v[214:215]
	s_delay_alu instid0(VALU_DEP_1) | instskip(NEXT) | instid1(VALU_DEP_1)
	v_mul_f64 v[216:217], v[218:219], v[214:215]
	v_fma_f64 v[212:213], -v[212:213], v[216:217], v[218:219]
	s_delay_alu instid0(VALU_DEP_1) | instskip(NEXT) | instid1(VALU_DEP_1)
	v_div_fmas_f64 v[212:213], v[212:213], v[214:215], v[216:217]
	v_div_fixup_f64 v[212:213], v[212:213], v[238:239], v[236:237]
	s_delay_alu instid0(VALU_DEP_1) | instskip(NEXT) | instid1(VALU_DEP_1)
	v_fma_f64 v[214:215], v[236:237], v[212:213], v[238:239]
	v_div_scale_f64 v[216:217], null, v[214:215], v[214:215], 1.0
	s_delay_alu instid0(VALU_DEP_1) | instskip(SKIP_2) | instid1(VALU_DEP_1)
	v_rcp_f64_e32 v[218:219], v[216:217]
	s_waitcnt_depctr 0xfff
	v_fma_f64 v[220:221], -v[216:217], v[218:219], 1.0
	v_fma_f64 v[218:219], v[218:219], v[220:221], v[218:219]
	s_delay_alu instid0(VALU_DEP_1) | instskip(NEXT) | instid1(VALU_DEP_1)
	v_fma_f64 v[220:221], -v[216:217], v[218:219], 1.0
	v_fma_f64 v[218:219], v[218:219], v[220:221], v[218:219]
	v_div_scale_f64 v[220:221], vcc_lo, 1.0, v[214:215], 1.0
	s_delay_alu instid0(VALU_DEP_1) | instskip(NEXT) | instid1(VALU_DEP_1)
	v_mul_f64 v[222:223], v[220:221], v[218:219]
	v_fma_f64 v[216:217], -v[216:217], v[222:223], v[220:221]
	s_delay_alu instid0(VALU_DEP_1) | instskip(NEXT) | instid1(VALU_DEP_1)
	v_div_fmas_f64 v[216:217], v[216:217], v[218:219], v[222:223]
	v_div_fixup_f64 v[238:239], v[216:217], v[214:215], 1.0
	s_delay_alu instid0(VALU_DEP_1)
	v_mul_f64 v[236:237], v[212:213], v[238:239]
	v_xor_b32_e32 v239, 0x80000000, v239
.LBB116_1141:
	s_and_not1_saveexec_b32 s2, s2
	s_cbranch_execz .LBB116_1143
; %bb.1142:
	s_delay_alu instid0(VALU_DEP_1) | instskip(SKIP_1) | instid1(VALU_DEP_2)
	v_div_scale_f64 v[212:213], null, v[236:237], v[236:237], v[238:239]
	v_div_scale_f64 v[218:219], vcc_lo, v[238:239], v[236:237], v[238:239]
	v_rcp_f64_e32 v[214:215], v[212:213]
	s_waitcnt_depctr 0xfff
	v_fma_f64 v[216:217], -v[212:213], v[214:215], 1.0
	s_delay_alu instid0(VALU_DEP_1) | instskip(NEXT) | instid1(VALU_DEP_1)
	v_fma_f64 v[214:215], v[214:215], v[216:217], v[214:215]
	v_fma_f64 v[216:217], -v[212:213], v[214:215], 1.0
	s_delay_alu instid0(VALU_DEP_1) | instskip(NEXT) | instid1(VALU_DEP_1)
	v_fma_f64 v[214:215], v[214:215], v[216:217], v[214:215]
	v_mul_f64 v[216:217], v[218:219], v[214:215]
	s_delay_alu instid0(VALU_DEP_1) | instskip(NEXT) | instid1(VALU_DEP_1)
	v_fma_f64 v[212:213], -v[212:213], v[216:217], v[218:219]
	v_div_fmas_f64 v[212:213], v[212:213], v[214:215], v[216:217]
	s_delay_alu instid0(VALU_DEP_1) | instskip(NEXT) | instid1(VALU_DEP_1)
	v_div_fixup_f64 v[212:213], v[212:213], v[236:237], v[238:239]
	v_fma_f64 v[214:215], v[238:239], v[212:213], v[236:237]
	s_delay_alu instid0(VALU_DEP_1) | instskip(NEXT) | instid1(VALU_DEP_1)
	v_div_scale_f64 v[216:217], null, v[214:215], v[214:215], 1.0
	v_rcp_f64_e32 v[218:219], v[216:217]
	s_waitcnt_depctr 0xfff
	v_fma_f64 v[220:221], -v[216:217], v[218:219], 1.0
	s_delay_alu instid0(VALU_DEP_1) | instskip(NEXT) | instid1(VALU_DEP_1)
	v_fma_f64 v[218:219], v[218:219], v[220:221], v[218:219]
	v_fma_f64 v[220:221], -v[216:217], v[218:219], 1.0
	s_delay_alu instid0(VALU_DEP_1) | instskip(SKIP_1) | instid1(VALU_DEP_1)
	v_fma_f64 v[218:219], v[218:219], v[220:221], v[218:219]
	v_div_scale_f64 v[220:221], vcc_lo, 1.0, v[214:215], 1.0
	v_mul_f64 v[222:223], v[220:221], v[218:219]
	s_delay_alu instid0(VALU_DEP_1) | instskip(NEXT) | instid1(VALU_DEP_1)
	v_fma_f64 v[216:217], -v[216:217], v[222:223], v[220:221]
	v_div_fmas_f64 v[216:217], v[216:217], v[218:219], v[222:223]
	s_delay_alu instid0(VALU_DEP_1) | instskip(NEXT) | instid1(VALU_DEP_1)
	v_div_fixup_f64 v[236:237], v[216:217], v[214:215], 1.0
	v_mul_f64 v[238:239], v[212:213], -v[236:237]
.LBB116_1143:
	s_or_b32 exec_lo, exec_lo, s2
.LBB116_1144:
	s_delay_alu instid0(SALU_CYCLE_1) | instskip(NEXT) | instid1(SALU_CYCLE_1)
	s_or_b32 exec_lo, exec_lo, s3
	s_mov_b32 s2, exec_lo
	v_cmpx_ne_u32_e64 v252, v244
	s_xor_b32 s2, exec_lo, s2
	s_cbranch_execz .LBB116_1150
; %bb.1145:
	s_mov_b32 s3, exec_lo
	v_cmpx_eq_u32_e32 54, v252
	s_cbranch_execz .LBB116_1149
; %bb.1146:
	v_cmp_ne_u32_e32 vcc_lo, 54, v244
	s_xor_b32 s4, s5, -1
	s_delay_alu instid0(SALU_CYCLE_1) | instskip(NEXT) | instid1(SALU_CYCLE_1)
	s_and_b32 s6, s4, vcc_lo
	s_and_saveexec_b32 s4, s6
	s_cbranch_execz .LBB116_1148
; %bb.1147:
	scratch_load_b64 v[208:209], off, off offset:16 ; 8-byte Folded Reload
	v_ashrrev_i32_e32 v245, 31, v244
	s_delay_alu instid0(VALU_DEP_1) | instskip(SKIP_1) | instid1(VALU_DEP_1)
	v_lshlrev_b64 v[212:213], 2, v[244:245]
	s_waitcnt vmcnt(0)
	v_add_co_u32 v212, vcc_lo, v208, v212
	s_delay_alu instid0(VALU_DEP_2)
	v_add_co_ci_u32_e32 v213, vcc_lo, v209, v213, vcc_lo
	s_clause 0x1
	flat_load_b32 v214, v[212:213]
	flat_load_b32 v215, v[208:209] offset:216
	s_waitcnt vmcnt(1) lgkmcnt(1)
	flat_store_b32 v[208:209], v214 offset:216
	s_waitcnt vmcnt(0) lgkmcnt(1)
	flat_store_b32 v[212:213], v215
.LBB116_1148:
	s_or_b32 exec_lo, exec_lo, s4
	v_mov_b32_e32 v252, v244
	v_mov_b32_e32 v251, v244
.LBB116_1149:
	s_or_b32 exec_lo, exec_lo, s3
.LBB116_1150:
	s_and_not1_saveexec_b32 s2, s2
	s_cbranch_execz .LBB116_1152
; %bb.1151:
	v_mov_b32_e32 v252, 54
	ds_store_2addr_b64 v246, v[12:13], v[14:15] offset0:110 offset1:111
	ds_store_2addr_b64 v246, v[230:231], v[232:233] offset0:112 offset1:113
	;; [unrolled: 1-line block ×4, first 2 shown]
.LBB116_1152:
	s_or_b32 exec_lo, exec_lo, s2
	s_delay_alu instid0(SALU_CYCLE_1)
	s_mov_b32 s2, exec_lo
	s_waitcnt lgkmcnt(0)
	s_waitcnt_vscnt null, 0x0
	s_barrier
	buffer_gl0_inv
	v_cmpx_lt_i32_e32 54, v252
	s_cbranch_execz .LBB116_1154
; %bb.1153:
	v_mul_f64 v[212:213], v[236:237], v[18:19]
	v_mul_f64 v[18:19], v[238:239], v[18:19]
	s_delay_alu instid0(VALU_DEP_2) | instskip(NEXT) | instid1(VALU_DEP_2)
	v_fma_f64 v[212:213], v[238:239], v[16:17], v[212:213]
	v_fma_f64 v[16:17], v[236:237], v[16:17], -v[18:19]
	ds_load_2addr_b64 v[236:239], v246 offset0:110 offset1:111
	s_waitcnt lgkmcnt(0)
	v_mul_f64 v[18:19], v[238:239], v[212:213]
	v_mul_f64 v[214:215], v[236:237], v[212:213]
	s_delay_alu instid0(VALU_DEP_2) | instskip(NEXT) | instid1(VALU_DEP_2)
	v_fma_f64 v[18:19], v[236:237], v[16:17], -v[18:19]
	v_fma_f64 v[214:215], v[238:239], v[16:17], v[214:215]
	ds_load_2addr_b64 v[236:239], v246 offset0:112 offset1:113
	v_add_f64 v[12:13], v[12:13], -v[18:19]
	v_add_f64 v[14:15], v[14:15], -v[214:215]
	s_waitcnt lgkmcnt(0)
	v_mul_f64 v[18:19], v[238:239], v[212:213]
	v_mul_f64 v[214:215], v[236:237], v[212:213]
	s_delay_alu instid0(VALU_DEP_2) | instskip(NEXT) | instid1(VALU_DEP_2)
	v_fma_f64 v[18:19], v[236:237], v[16:17], -v[18:19]
	v_fma_f64 v[214:215], v[238:239], v[16:17], v[214:215]
	ds_load_2addr_b64 v[236:239], v246 offset0:114 offset1:115
	v_add_f64 v[230:231], v[230:231], -v[18:19]
	v_add_f64 v[232:233], v[232:233], -v[214:215]
	;; [unrolled: 9-line block ×3, first 2 shown]
	s_waitcnt lgkmcnt(0)
	v_mul_f64 v[18:19], v[238:239], v[212:213]
	v_mul_f64 v[214:215], v[236:237], v[212:213]
	s_delay_alu instid0(VALU_DEP_2) | instskip(NEXT) | instid1(VALU_DEP_2)
	v_fma_f64 v[18:19], v[236:237], v[16:17], -v[18:19]
	v_fma_f64 v[214:215], v[238:239], v[16:17], v[214:215]
	s_delay_alu instid0(VALU_DEP_2) | instskip(NEXT) | instid1(VALU_DEP_2)
	v_add_f64 v[224:225], v[224:225], -v[18:19]
	v_add_f64 v[226:227], v[226:227], -v[214:215]
	v_dual_mov_b32 v18, v212 :: v_dual_mov_b32 v19, v213
.LBB116_1154:
	s_or_b32 exec_lo, exec_lo, s2
	v_lshl_add_u32 v212, v252, 4, v246
	s_barrier
	buffer_gl0_inv
	v_mov_b32_e32 v244, 55
	ds_store_2addr_b64 v212, v[12:13], v[14:15] offset1:1
	s_waitcnt lgkmcnt(0)
	s_barrier
	buffer_gl0_inv
	ds_load_2addr_b64 v[236:239], v246 offset0:110 offset1:111
	s_cmp_lt_i32 s12, 57
	s_cbranch_scc1 .LBB116_1157
; %bb.1155:
	v_add3_u32 v245, v234, 0, 0x380
	v_mov_b32_e32 v244, 55
	s_mov_b32 s2, 56
	s_set_inst_prefetch_distance 0x1
	.p2align	6
.LBB116_1156:                           ; =>This Inner Loop Header: Depth=1
	s_waitcnt lgkmcnt(0)
	v_cmp_gt_f64_e32 vcc_lo, 0, v[236:237]
	v_xor_b32_e32 v212, 0x80000000, v237
	v_xor_b32_e32 v214, 0x80000000, v239
	ds_load_2addr_b64 v[240:243], v245 offset1:1
	v_add_nc_u32_e32 v245, 16, v245
	s_waitcnt lgkmcnt(0)
	v_xor_b32_e32 v216, 0x80000000, v243
	v_cndmask_b32_e32 v213, v237, v212, vcc_lo
	v_cndmask_b32_e32 v212, v236, v236, vcc_lo
	v_cmp_gt_f64_e32 vcc_lo, 0, v[238:239]
	v_cndmask_b32_e32 v215, v239, v214, vcc_lo
	v_cndmask_b32_e32 v214, v238, v238, vcc_lo
	v_cmp_gt_f64_e32 vcc_lo, 0, v[240:241]
	s_delay_alu instid0(VALU_DEP_2) | instskip(SKIP_1) | instid1(VALU_DEP_1)
	v_add_f64 v[212:213], v[212:213], v[214:215]
	v_xor_b32_e32 v214, 0x80000000, v241
	v_dual_cndmask_b32 v215, v241, v214 :: v_dual_mov_b32 v214, v240
	v_cmp_gt_f64_e32 vcc_lo, 0, v[242:243]
	v_dual_cndmask_b32 v217, v243, v216 :: v_dual_mov_b32 v216, v242
	s_delay_alu instid0(VALU_DEP_1) | instskip(NEXT) | instid1(VALU_DEP_1)
	v_add_f64 v[214:215], v[214:215], v[216:217]
	v_cmp_lt_f64_e32 vcc_lo, v[212:213], v[214:215]
	v_dual_cndmask_b32 v237, v237, v241 :: v_dual_cndmask_b32 v236, v236, v240
	v_dual_cndmask_b32 v239, v239, v243 :: v_dual_cndmask_b32 v238, v238, v242
	v_cndmask_b32_e64 v244, v244, s2, vcc_lo
	s_add_i32 s2, s2, 1
	s_delay_alu instid0(SALU_CYCLE_1)
	s_cmp_lg_u32 s12, s2
	s_cbranch_scc1 .LBB116_1156
.LBB116_1157:
	s_set_inst_prefetch_distance 0x2
	s_waitcnt lgkmcnt(0)
	v_cmp_eq_f64_e32 vcc_lo, 0, v[236:237]
	v_cmp_eq_f64_e64 s2, 0, v[238:239]
	s_delay_alu instid0(VALU_DEP_1) | instskip(NEXT) | instid1(SALU_CYCLE_1)
	s_and_b32 s2, vcc_lo, s2
	s_and_saveexec_b32 s3, s2
	s_delay_alu instid0(SALU_CYCLE_1)
	s_xor_b32 s2, exec_lo, s3
; %bb.1158:
	v_cmp_ne_u32_e32 vcc_lo, 0, v249
	v_cndmask_b32_e32 v249, 56, v249, vcc_lo
; %bb.1159:
	s_and_not1_saveexec_b32 s3, s2
	s_cbranch_execz .LBB116_1165
; %bb.1160:
	v_cmp_gt_f64_e32 vcc_lo, 0, v[236:237]
	v_cmp_gt_f64_e64 s2, 0, v[238:239]
	v_xor_b32_e32 v212, 0x80000000, v237
	v_xor_b32_e32 v214, 0x80000000, v239
	s_delay_alu instid0(VALU_DEP_2) | instskip(NEXT) | instid1(VALU_DEP_2)
	v_cndmask_b32_e32 v213, v237, v212, vcc_lo
	v_cndmask_b32_e64 v215, v239, v214, s2
	v_cndmask_b32_e32 v212, v236, v236, vcc_lo
	v_cndmask_b32_e64 v214, v238, v238, s2
	s_mov_b32 s2, exec_lo
	s_delay_alu instid0(VALU_DEP_1)
	v_cmpx_ngt_f64_e32 v[212:213], v[214:215]
	s_xor_b32 s2, exec_lo, s2
	s_cbranch_execz .LBB116_1162
; %bb.1161:
	v_div_scale_f64 v[212:213], null, v[238:239], v[238:239], v[236:237]
	v_div_scale_f64 v[218:219], vcc_lo, v[236:237], v[238:239], v[236:237]
	s_delay_alu instid0(VALU_DEP_2) | instskip(SKIP_2) | instid1(VALU_DEP_1)
	v_rcp_f64_e32 v[214:215], v[212:213]
	s_waitcnt_depctr 0xfff
	v_fma_f64 v[216:217], -v[212:213], v[214:215], 1.0
	v_fma_f64 v[214:215], v[214:215], v[216:217], v[214:215]
	s_delay_alu instid0(VALU_DEP_1) | instskip(NEXT) | instid1(VALU_DEP_1)
	v_fma_f64 v[216:217], -v[212:213], v[214:215], 1.0
	v_fma_f64 v[214:215], v[214:215], v[216:217], v[214:215]
	s_delay_alu instid0(VALU_DEP_1) | instskip(NEXT) | instid1(VALU_DEP_1)
	v_mul_f64 v[216:217], v[218:219], v[214:215]
	v_fma_f64 v[212:213], -v[212:213], v[216:217], v[218:219]
	s_delay_alu instid0(VALU_DEP_1) | instskip(NEXT) | instid1(VALU_DEP_1)
	v_div_fmas_f64 v[212:213], v[212:213], v[214:215], v[216:217]
	v_div_fixup_f64 v[212:213], v[212:213], v[238:239], v[236:237]
	s_delay_alu instid0(VALU_DEP_1) | instskip(NEXT) | instid1(VALU_DEP_1)
	v_fma_f64 v[214:215], v[236:237], v[212:213], v[238:239]
	v_div_scale_f64 v[216:217], null, v[214:215], v[214:215], 1.0
	s_delay_alu instid0(VALU_DEP_1) | instskip(SKIP_2) | instid1(VALU_DEP_1)
	v_rcp_f64_e32 v[218:219], v[216:217]
	s_waitcnt_depctr 0xfff
	v_fma_f64 v[220:221], -v[216:217], v[218:219], 1.0
	v_fma_f64 v[218:219], v[218:219], v[220:221], v[218:219]
	s_delay_alu instid0(VALU_DEP_1) | instskip(NEXT) | instid1(VALU_DEP_1)
	v_fma_f64 v[220:221], -v[216:217], v[218:219], 1.0
	v_fma_f64 v[218:219], v[218:219], v[220:221], v[218:219]
	v_div_scale_f64 v[220:221], vcc_lo, 1.0, v[214:215], 1.0
	s_delay_alu instid0(VALU_DEP_1) | instskip(NEXT) | instid1(VALU_DEP_1)
	v_mul_f64 v[222:223], v[220:221], v[218:219]
	v_fma_f64 v[216:217], -v[216:217], v[222:223], v[220:221]
	s_delay_alu instid0(VALU_DEP_1) | instskip(NEXT) | instid1(VALU_DEP_1)
	v_div_fmas_f64 v[216:217], v[216:217], v[218:219], v[222:223]
	v_div_fixup_f64 v[238:239], v[216:217], v[214:215], 1.0
	s_delay_alu instid0(VALU_DEP_1)
	v_mul_f64 v[236:237], v[212:213], v[238:239]
	v_xor_b32_e32 v239, 0x80000000, v239
.LBB116_1162:
	s_and_not1_saveexec_b32 s2, s2
	s_cbranch_execz .LBB116_1164
; %bb.1163:
	s_delay_alu instid0(VALU_DEP_1) | instskip(SKIP_1) | instid1(VALU_DEP_2)
	v_div_scale_f64 v[212:213], null, v[236:237], v[236:237], v[238:239]
	v_div_scale_f64 v[218:219], vcc_lo, v[238:239], v[236:237], v[238:239]
	v_rcp_f64_e32 v[214:215], v[212:213]
	s_waitcnt_depctr 0xfff
	v_fma_f64 v[216:217], -v[212:213], v[214:215], 1.0
	s_delay_alu instid0(VALU_DEP_1) | instskip(NEXT) | instid1(VALU_DEP_1)
	v_fma_f64 v[214:215], v[214:215], v[216:217], v[214:215]
	v_fma_f64 v[216:217], -v[212:213], v[214:215], 1.0
	s_delay_alu instid0(VALU_DEP_1) | instskip(NEXT) | instid1(VALU_DEP_1)
	v_fma_f64 v[214:215], v[214:215], v[216:217], v[214:215]
	v_mul_f64 v[216:217], v[218:219], v[214:215]
	s_delay_alu instid0(VALU_DEP_1) | instskip(NEXT) | instid1(VALU_DEP_1)
	v_fma_f64 v[212:213], -v[212:213], v[216:217], v[218:219]
	v_div_fmas_f64 v[212:213], v[212:213], v[214:215], v[216:217]
	s_delay_alu instid0(VALU_DEP_1) | instskip(NEXT) | instid1(VALU_DEP_1)
	v_div_fixup_f64 v[212:213], v[212:213], v[236:237], v[238:239]
	v_fma_f64 v[214:215], v[238:239], v[212:213], v[236:237]
	s_delay_alu instid0(VALU_DEP_1) | instskip(NEXT) | instid1(VALU_DEP_1)
	v_div_scale_f64 v[216:217], null, v[214:215], v[214:215], 1.0
	v_rcp_f64_e32 v[218:219], v[216:217]
	s_waitcnt_depctr 0xfff
	v_fma_f64 v[220:221], -v[216:217], v[218:219], 1.0
	s_delay_alu instid0(VALU_DEP_1) | instskip(NEXT) | instid1(VALU_DEP_1)
	v_fma_f64 v[218:219], v[218:219], v[220:221], v[218:219]
	v_fma_f64 v[220:221], -v[216:217], v[218:219], 1.0
	s_delay_alu instid0(VALU_DEP_1) | instskip(SKIP_1) | instid1(VALU_DEP_1)
	v_fma_f64 v[218:219], v[218:219], v[220:221], v[218:219]
	v_div_scale_f64 v[220:221], vcc_lo, 1.0, v[214:215], 1.0
	v_mul_f64 v[222:223], v[220:221], v[218:219]
	s_delay_alu instid0(VALU_DEP_1) | instskip(NEXT) | instid1(VALU_DEP_1)
	v_fma_f64 v[216:217], -v[216:217], v[222:223], v[220:221]
	v_div_fmas_f64 v[216:217], v[216:217], v[218:219], v[222:223]
	s_delay_alu instid0(VALU_DEP_1) | instskip(NEXT) | instid1(VALU_DEP_1)
	v_div_fixup_f64 v[236:237], v[216:217], v[214:215], 1.0
	v_mul_f64 v[238:239], v[212:213], -v[236:237]
.LBB116_1164:
	s_or_b32 exec_lo, exec_lo, s2
.LBB116_1165:
	s_delay_alu instid0(SALU_CYCLE_1) | instskip(NEXT) | instid1(SALU_CYCLE_1)
	s_or_b32 exec_lo, exec_lo, s3
	s_mov_b32 s2, exec_lo
	v_cmpx_ne_u32_e64 v252, v244
	s_xor_b32 s2, exec_lo, s2
	s_cbranch_execz .LBB116_1171
; %bb.1166:
	s_mov_b32 s3, exec_lo
	v_cmpx_eq_u32_e32 55, v252
	s_cbranch_execz .LBB116_1170
; %bb.1167:
	v_cmp_ne_u32_e32 vcc_lo, 55, v244
	s_xor_b32 s4, s5, -1
	s_delay_alu instid0(SALU_CYCLE_1) | instskip(NEXT) | instid1(SALU_CYCLE_1)
	s_and_b32 s6, s4, vcc_lo
	s_and_saveexec_b32 s4, s6
	s_cbranch_execz .LBB116_1169
; %bb.1168:
	scratch_load_b64 v[208:209], off, off offset:16 ; 8-byte Folded Reload
	v_ashrrev_i32_e32 v245, 31, v244
	s_delay_alu instid0(VALU_DEP_1) | instskip(SKIP_1) | instid1(VALU_DEP_1)
	v_lshlrev_b64 v[212:213], 2, v[244:245]
	s_waitcnt vmcnt(0)
	v_add_co_u32 v212, vcc_lo, v208, v212
	s_delay_alu instid0(VALU_DEP_2)
	v_add_co_ci_u32_e32 v213, vcc_lo, v209, v213, vcc_lo
	s_clause 0x1
	flat_load_b32 v214, v[212:213]
	flat_load_b32 v215, v[208:209] offset:220
	s_waitcnt vmcnt(1) lgkmcnt(1)
	flat_store_b32 v[208:209], v214 offset:220
	s_waitcnt vmcnt(0) lgkmcnt(1)
	flat_store_b32 v[212:213], v215
.LBB116_1169:
	s_or_b32 exec_lo, exec_lo, s4
	v_mov_b32_e32 v252, v244
	v_mov_b32_e32 v251, v244
.LBB116_1170:
	s_or_b32 exec_lo, exec_lo, s3
.LBB116_1171:
	s_and_not1_saveexec_b32 s2, s2
	s_cbranch_execz .LBB116_1173
; %bb.1172:
	v_mov_b32_e32 v252, 55
	ds_store_2addr_b64 v246, v[230:231], v[232:233] offset0:112 offset1:113
	ds_store_2addr_b64 v246, v[4:5], v[6:7] offset0:114 offset1:115
	;; [unrolled: 1-line block ×3, first 2 shown]
.LBB116_1173:
	s_or_b32 exec_lo, exec_lo, s2
	s_delay_alu instid0(SALU_CYCLE_1)
	s_mov_b32 s2, exec_lo
	s_waitcnt lgkmcnt(0)
	s_waitcnt_vscnt null, 0x0
	s_barrier
	buffer_gl0_inv
	v_cmpx_lt_i32_e32 55, v252
	s_cbranch_execz .LBB116_1175
; %bb.1174:
	v_mul_f64 v[212:213], v[236:237], v[14:15]
	v_mul_f64 v[14:15], v[238:239], v[14:15]
	s_delay_alu instid0(VALU_DEP_2) | instskip(NEXT) | instid1(VALU_DEP_2)
	v_fma_f64 v[212:213], v[238:239], v[12:13], v[212:213]
	v_fma_f64 v[12:13], v[236:237], v[12:13], -v[14:15]
	ds_load_2addr_b64 v[236:239], v246 offset0:112 offset1:113
	s_waitcnt lgkmcnt(0)
	v_mul_f64 v[14:15], v[238:239], v[212:213]
	v_mul_f64 v[214:215], v[236:237], v[212:213]
	s_delay_alu instid0(VALU_DEP_2) | instskip(NEXT) | instid1(VALU_DEP_2)
	v_fma_f64 v[14:15], v[236:237], v[12:13], -v[14:15]
	v_fma_f64 v[214:215], v[238:239], v[12:13], v[214:215]
	ds_load_2addr_b64 v[236:239], v246 offset0:114 offset1:115
	v_add_f64 v[230:231], v[230:231], -v[14:15]
	v_add_f64 v[232:233], v[232:233], -v[214:215]
	s_waitcnt lgkmcnt(0)
	v_mul_f64 v[14:15], v[238:239], v[212:213]
	v_mul_f64 v[214:215], v[236:237], v[212:213]
	s_delay_alu instid0(VALU_DEP_2) | instskip(NEXT) | instid1(VALU_DEP_2)
	v_fma_f64 v[14:15], v[236:237], v[12:13], -v[14:15]
	v_fma_f64 v[214:215], v[238:239], v[12:13], v[214:215]
	ds_load_2addr_b64 v[236:239], v246 offset0:116 offset1:117
	v_add_f64 v[4:5], v[4:5], -v[14:15]
	v_add_f64 v[6:7], v[6:7], -v[214:215]
	s_waitcnt lgkmcnt(0)
	v_mul_f64 v[14:15], v[238:239], v[212:213]
	v_mul_f64 v[214:215], v[236:237], v[212:213]
	s_delay_alu instid0(VALU_DEP_2) | instskip(NEXT) | instid1(VALU_DEP_2)
	v_fma_f64 v[14:15], v[236:237], v[12:13], -v[14:15]
	v_fma_f64 v[214:215], v[238:239], v[12:13], v[214:215]
	s_delay_alu instid0(VALU_DEP_2) | instskip(NEXT) | instid1(VALU_DEP_2)
	v_add_f64 v[224:225], v[224:225], -v[14:15]
	v_add_f64 v[226:227], v[226:227], -v[214:215]
	v_dual_mov_b32 v14, v212 :: v_dual_mov_b32 v15, v213
.LBB116_1175:
	s_or_b32 exec_lo, exec_lo, s2
	v_lshl_add_u32 v212, v252, 4, v246
	s_barrier
	buffer_gl0_inv
	v_mov_b32_e32 v244, 56
	ds_store_2addr_b64 v212, v[230:231], v[232:233] offset1:1
	s_waitcnt lgkmcnt(0)
	s_barrier
	buffer_gl0_inv
	ds_load_2addr_b64 v[236:239], v246 offset0:112 offset1:113
	s_cmp_lt_i32 s12, 58
	s_cbranch_scc1 .LBB116_1178
; %bb.1176:
	v_add3_u32 v245, v234, 0, 0x390
	v_mov_b32_e32 v244, 56
	s_mov_b32 s2, 57
	s_set_inst_prefetch_distance 0x1
	.p2align	6
.LBB116_1177:                           ; =>This Inner Loop Header: Depth=1
	s_waitcnt lgkmcnt(0)
	v_cmp_gt_f64_e32 vcc_lo, 0, v[236:237]
	v_xor_b32_e32 v212, 0x80000000, v237
	v_xor_b32_e32 v214, 0x80000000, v239
	ds_load_2addr_b64 v[240:243], v245 offset1:1
	v_add_nc_u32_e32 v245, 16, v245
	s_waitcnt lgkmcnt(0)
	v_xor_b32_e32 v216, 0x80000000, v243
	v_cndmask_b32_e32 v213, v237, v212, vcc_lo
	v_cndmask_b32_e32 v212, v236, v236, vcc_lo
	v_cmp_gt_f64_e32 vcc_lo, 0, v[238:239]
	v_cndmask_b32_e32 v215, v239, v214, vcc_lo
	v_cndmask_b32_e32 v214, v238, v238, vcc_lo
	v_cmp_gt_f64_e32 vcc_lo, 0, v[240:241]
	s_delay_alu instid0(VALU_DEP_2) | instskip(SKIP_1) | instid1(VALU_DEP_1)
	v_add_f64 v[212:213], v[212:213], v[214:215]
	v_xor_b32_e32 v214, 0x80000000, v241
	v_dual_cndmask_b32 v215, v241, v214 :: v_dual_mov_b32 v214, v240
	v_cmp_gt_f64_e32 vcc_lo, 0, v[242:243]
	v_dual_cndmask_b32 v217, v243, v216 :: v_dual_mov_b32 v216, v242
	s_delay_alu instid0(VALU_DEP_1) | instskip(NEXT) | instid1(VALU_DEP_1)
	v_add_f64 v[214:215], v[214:215], v[216:217]
	v_cmp_lt_f64_e32 vcc_lo, v[212:213], v[214:215]
	v_dual_cndmask_b32 v237, v237, v241 :: v_dual_cndmask_b32 v236, v236, v240
	v_dual_cndmask_b32 v239, v239, v243 :: v_dual_cndmask_b32 v238, v238, v242
	v_cndmask_b32_e64 v244, v244, s2, vcc_lo
	s_add_i32 s2, s2, 1
	s_delay_alu instid0(SALU_CYCLE_1)
	s_cmp_lg_u32 s12, s2
	s_cbranch_scc1 .LBB116_1177
.LBB116_1178:
	s_set_inst_prefetch_distance 0x2
	s_waitcnt lgkmcnt(0)
	v_cmp_eq_f64_e32 vcc_lo, 0, v[236:237]
	v_cmp_eq_f64_e64 s2, 0, v[238:239]
	s_delay_alu instid0(VALU_DEP_1) | instskip(NEXT) | instid1(SALU_CYCLE_1)
	s_and_b32 s2, vcc_lo, s2
	s_and_saveexec_b32 s3, s2
	s_delay_alu instid0(SALU_CYCLE_1)
	s_xor_b32 s2, exec_lo, s3
; %bb.1179:
	v_cmp_ne_u32_e32 vcc_lo, 0, v249
	v_cndmask_b32_e32 v249, 57, v249, vcc_lo
; %bb.1180:
	s_and_not1_saveexec_b32 s3, s2
	s_cbranch_execz .LBB116_1186
; %bb.1181:
	v_cmp_gt_f64_e32 vcc_lo, 0, v[236:237]
	v_cmp_gt_f64_e64 s2, 0, v[238:239]
	v_xor_b32_e32 v212, 0x80000000, v237
	v_xor_b32_e32 v214, 0x80000000, v239
	s_delay_alu instid0(VALU_DEP_2) | instskip(NEXT) | instid1(VALU_DEP_2)
	v_cndmask_b32_e32 v213, v237, v212, vcc_lo
	v_cndmask_b32_e64 v215, v239, v214, s2
	v_cndmask_b32_e32 v212, v236, v236, vcc_lo
	v_cndmask_b32_e64 v214, v238, v238, s2
	s_mov_b32 s2, exec_lo
	s_delay_alu instid0(VALU_DEP_1)
	v_cmpx_ngt_f64_e32 v[212:213], v[214:215]
	s_xor_b32 s2, exec_lo, s2
	s_cbranch_execz .LBB116_1183
; %bb.1182:
	v_div_scale_f64 v[212:213], null, v[238:239], v[238:239], v[236:237]
	v_div_scale_f64 v[218:219], vcc_lo, v[236:237], v[238:239], v[236:237]
	s_delay_alu instid0(VALU_DEP_2) | instskip(SKIP_2) | instid1(VALU_DEP_1)
	v_rcp_f64_e32 v[214:215], v[212:213]
	s_waitcnt_depctr 0xfff
	v_fma_f64 v[216:217], -v[212:213], v[214:215], 1.0
	v_fma_f64 v[214:215], v[214:215], v[216:217], v[214:215]
	s_delay_alu instid0(VALU_DEP_1) | instskip(NEXT) | instid1(VALU_DEP_1)
	v_fma_f64 v[216:217], -v[212:213], v[214:215], 1.0
	v_fma_f64 v[214:215], v[214:215], v[216:217], v[214:215]
	s_delay_alu instid0(VALU_DEP_1) | instskip(NEXT) | instid1(VALU_DEP_1)
	v_mul_f64 v[216:217], v[218:219], v[214:215]
	v_fma_f64 v[212:213], -v[212:213], v[216:217], v[218:219]
	s_delay_alu instid0(VALU_DEP_1) | instskip(NEXT) | instid1(VALU_DEP_1)
	v_div_fmas_f64 v[212:213], v[212:213], v[214:215], v[216:217]
	v_div_fixup_f64 v[212:213], v[212:213], v[238:239], v[236:237]
	s_delay_alu instid0(VALU_DEP_1) | instskip(NEXT) | instid1(VALU_DEP_1)
	v_fma_f64 v[214:215], v[236:237], v[212:213], v[238:239]
	v_div_scale_f64 v[216:217], null, v[214:215], v[214:215], 1.0
	s_delay_alu instid0(VALU_DEP_1) | instskip(SKIP_2) | instid1(VALU_DEP_1)
	v_rcp_f64_e32 v[218:219], v[216:217]
	s_waitcnt_depctr 0xfff
	v_fma_f64 v[220:221], -v[216:217], v[218:219], 1.0
	v_fma_f64 v[218:219], v[218:219], v[220:221], v[218:219]
	s_delay_alu instid0(VALU_DEP_1) | instskip(NEXT) | instid1(VALU_DEP_1)
	v_fma_f64 v[220:221], -v[216:217], v[218:219], 1.0
	v_fma_f64 v[218:219], v[218:219], v[220:221], v[218:219]
	v_div_scale_f64 v[220:221], vcc_lo, 1.0, v[214:215], 1.0
	s_delay_alu instid0(VALU_DEP_1) | instskip(NEXT) | instid1(VALU_DEP_1)
	v_mul_f64 v[222:223], v[220:221], v[218:219]
	v_fma_f64 v[216:217], -v[216:217], v[222:223], v[220:221]
	s_delay_alu instid0(VALU_DEP_1) | instskip(NEXT) | instid1(VALU_DEP_1)
	v_div_fmas_f64 v[216:217], v[216:217], v[218:219], v[222:223]
	v_div_fixup_f64 v[238:239], v[216:217], v[214:215], 1.0
	s_delay_alu instid0(VALU_DEP_1)
	v_mul_f64 v[236:237], v[212:213], v[238:239]
	v_xor_b32_e32 v239, 0x80000000, v239
.LBB116_1183:
	s_and_not1_saveexec_b32 s2, s2
	s_cbranch_execz .LBB116_1185
; %bb.1184:
	s_delay_alu instid0(VALU_DEP_1) | instskip(SKIP_1) | instid1(VALU_DEP_2)
	v_div_scale_f64 v[212:213], null, v[236:237], v[236:237], v[238:239]
	v_div_scale_f64 v[218:219], vcc_lo, v[238:239], v[236:237], v[238:239]
	v_rcp_f64_e32 v[214:215], v[212:213]
	s_waitcnt_depctr 0xfff
	v_fma_f64 v[216:217], -v[212:213], v[214:215], 1.0
	s_delay_alu instid0(VALU_DEP_1) | instskip(NEXT) | instid1(VALU_DEP_1)
	v_fma_f64 v[214:215], v[214:215], v[216:217], v[214:215]
	v_fma_f64 v[216:217], -v[212:213], v[214:215], 1.0
	s_delay_alu instid0(VALU_DEP_1) | instskip(NEXT) | instid1(VALU_DEP_1)
	v_fma_f64 v[214:215], v[214:215], v[216:217], v[214:215]
	v_mul_f64 v[216:217], v[218:219], v[214:215]
	s_delay_alu instid0(VALU_DEP_1) | instskip(NEXT) | instid1(VALU_DEP_1)
	v_fma_f64 v[212:213], -v[212:213], v[216:217], v[218:219]
	v_div_fmas_f64 v[212:213], v[212:213], v[214:215], v[216:217]
	s_delay_alu instid0(VALU_DEP_1) | instskip(NEXT) | instid1(VALU_DEP_1)
	v_div_fixup_f64 v[212:213], v[212:213], v[236:237], v[238:239]
	v_fma_f64 v[214:215], v[238:239], v[212:213], v[236:237]
	s_delay_alu instid0(VALU_DEP_1) | instskip(NEXT) | instid1(VALU_DEP_1)
	v_div_scale_f64 v[216:217], null, v[214:215], v[214:215], 1.0
	v_rcp_f64_e32 v[218:219], v[216:217]
	s_waitcnt_depctr 0xfff
	v_fma_f64 v[220:221], -v[216:217], v[218:219], 1.0
	s_delay_alu instid0(VALU_DEP_1) | instskip(NEXT) | instid1(VALU_DEP_1)
	v_fma_f64 v[218:219], v[218:219], v[220:221], v[218:219]
	v_fma_f64 v[220:221], -v[216:217], v[218:219], 1.0
	s_delay_alu instid0(VALU_DEP_1) | instskip(SKIP_1) | instid1(VALU_DEP_1)
	v_fma_f64 v[218:219], v[218:219], v[220:221], v[218:219]
	v_div_scale_f64 v[220:221], vcc_lo, 1.0, v[214:215], 1.0
	v_mul_f64 v[222:223], v[220:221], v[218:219]
	s_delay_alu instid0(VALU_DEP_1) | instskip(NEXT) | instid1(VALU_DEP_1)
	v_fma_f64 v[216:217], -v[216:217], v[222:223], v[220:221]
	v_div_fmas_f64 v[216:217], v[216:217], v[218:219], v[222:223]
	s_delay_alu instid0(VALU_DEP_1) | instskip(NEXT) | instid1(VALU_DEP_1)
	v_div_fixup_f64 v[236:237], v[216:217], v[214:215], 1.0
	v_mul_f64 v[238:239], v[212:213], -v[236:237]
.LBB116_1185:
	s_or_b32 exec_lo, exec_lo, s2
.LBB116_1186:
	s_delay_alu instid0(SALU_CYCLE_1) | instskip(NEXT) | instid1(SALU_CYCLE_1)
	s_or_b32 exec_lo, exec_lo, s3
	s_mov_b32 s2, exec_lo
	v_cmpx_ne_u32_e64 v252, v244
	s_xor_b32 s2, exec_lo, s2
	s_cbranch_execz .LBB116_1192
; %bb.1187:
	s_mov_b32 s3, exec_lo
	v_cmpx_eq_u32_e32 56, v252
	s_cbranch_execz .LBB116_1191
; %bb.1188:
	v_cmp_ne_u32_e32 vcc_lo, 56, v244
	s_xor_b32 s4, s5, -1
	s_delay_alu instid0(SALU_CYCLE_1) | instskip(NEXT) | instid1(SALU_CYCLE_1)
	s_and_b32 s6, s4, vcc_lo
	s_and_saveexec_b32 s4, s6
	s_cbranch_execz .LBB116_1190
; %bb.1189:
	scratch_load_b64 v[208:209], off, off offset:16 ; 8-byte Folded Reload
	v_ashrrev_i32_e32 v245, 31, v244
	s_delay_alu instid0(VALU_DEP_1) | instskip(SKIP_1) | instid1(VALU_DEP_1)
	v_lshlrev_b64 v[212:213], 2, v[244:245]
	s_waitcnt vmcnt(0)
	v_add_co_u32 v212, vcc_lo, v208, v212
	s_delay_alu instid0(VALU_DEP_2)
	v_add_co_ci_u32_e32 v213, vcc_lo, v209, v213, vcc_lo
	s_clause 0x1
	flat_load_b32 v214, v[212:213]
	flat_load_b32 v215, v[208:209] offset:224
	s_waitcnt vmcnt(1) lgkmcnt(1)
	flat_store_b32 v[208:209], v214 offset:224
	s_waitcnt vmcnt(0) lgkmcnt(1)
	flat_store_b32 v[212:213], v215
.LBB116_1190:
	s_or_b32 exec_lo, exec_lo, s4
	v_mov_b32_e32 v252, v244
	v_mov_b32_e32 v251, v244
.LBB116_1191:
	s_or_b32 exec_lo, exec_lo, s3
.LBB116_1192:
	s_and_not1_saveexec_b32 s2, s2
	s_cbranch_execz .LBB116_1194
; %bb.1193:
	v_mov_b32_e32 v252, 56
	ds_store_2addr_b64 v246, v[4:5], v[6:7] offset0:114 offset1:115
	ds_store_2addr_b64 v246, v[224:225], v[226:227] offset0:116 offset1:117
.LBB116_1194:
	s_or_b32 exec_lo, exec_lo, s2
	s_delay_alu instid0(SALU_CYCLE_1)
	s_mov_b32 s2, exec_lo
	s_waitcnt lgkmcnt(0)
	s_waitcnt_vscnt null, 0x0
	s_barrier
	buffer_gl0_inv
	v_cmpx_lt_i32_e32 56, v252
	s_cbranch_execz .LBB116_1196
; %bb.1195:
	v_mul_f64 v[212:213], v[236:237], v[232:233]
	v_dual_mov_b32 v211, v3 :: v_dual_mov_b32 v210, v2
	v_dual_mov_b32 v209, v1 :: v_dual_mov_b32 v208, v0
	;; [unrolled: 1-line block ×4, first 2 shown]
	v_mul_f64 v[10:11], v[238:239], v[232:233]
	v_fma_f64 v[212:213], v[238:239], v[230:231], v[212:213]
	s_delay_alu instid0(VALU_DEP_2)
	v_fma_f64 v[230:231], v[236:237], v[230:231], -v[10:11]
	ds_load_2addr_b64 v[236:239], v246 offset0:114 offset1:115
	s_waitcnt lgkmcnt(0)
	v_mul_f64 v[10:11], v[238:239], v[212:213]
	v_mul_f64 v[214:215], v[236:237], v[212:213]
	v_dual_mov_b32 v233, v213 :: v_dual_mov_b32 v232, v212
	s_delay_alu instid0(VALU_DEP_3) | instskip(NEXT) | instid1(VALU_DEP_3)
	v_fma_f64 v[10:11], v[236:237], v[230:231], -v[10:11]
	v_fma_f64 v[214:215], v[238:239], v[230:231], v[214:215]
	ds_load_2addr_b64 v[236:239], v246 offset0:116 offset1:117
	v_add_f64 v[4:5], v[4:5], -v[10:11]
	v_add_f64 v[6:7], v[6:7], -v[214:215]
	s_waitcnt lgkmcnt(0)
	v_mul_f64 v[10:11], v[238:239], v[212:213]
	v_mul_f64 v[214:215], v[236:237], v[212:213]
	s_delay_alu instid0(VALU_DEP_2) | instskip(NEXT) | instid1(VALU_DEP_2)
	v_fma_f64 v[10:11], v[236:237], v[230:231], -v[10:11]
	v_fma_f64 v[214:215], v[238:239], v[230:231], v[214:215]
	s_delay_alu instid0(VALU_DEP_2) | instskip(NEXT) | instid1(VALU_DEP_2)
	v_add_f64 v[224:225], v[224:225], -v[10:11]
	v_add_f64 v[226:227], v[226:227], -v[214:215]
	v_dual_mov_b32 v11, v3 :: v_dual_mov_b32 v10, v2
	v_dual_mov_b32 v9, v1 :: v_dual_mov_b32 v8, v0
	;; [unrolled: 1-line block ×4, first 2 shown]
.LBB116_1196:
	s_or_b32 exec_lo, exec_lo, s2
	v_lshl_add_u32 v212, v252, 4, v246
	s_barrier
	buffer_gl0_inv
	v_mov_b32_e32 v244, 57
	ds_store_2addr_b64 v212, v[4:5], v[6:7] offset1:1
	s_waitcnt lgkmcnt(0)
	s_barrier
	buffer_gl0_inv
	ds_load_2addr_b64 v[236:239], v246 offset0:114 offset1:115
	s_cmp_lt_i32 s12, 59
	s_cbranch_scc1 .LBB116_1199
; %bb.1197:
	v_add3_u32 v245, v234, 0, 0x3a0
	v_mov_b32_e32 v244, 57
	s_mov_b32 s2, 58
	s_set_inst_prefetch_distance 0x1
	.p2align	6
.LBB116_1198:                           ; =>This Inner Loop Header: Depth=1
	s_waitcnt lgkmcnt(0)
	v_cmp_gt_f64_e32 vcc_lo, 0, v[236:237]
	v_xor_b32_e32 v212, 0x80000000, v237
	v_xor_b32_e32 v214, 0x80000000, v239
	ds_load_2addr_b64 v[240:243], v245 offset1:1
	v_add_nc_u32_e32 v245, 16, v245
	s_waitcnt lgkmcnt(0)
	v_xor_b32_e32 v216, 0x80000000, v243
	v_cndmask_b32_e32 v213, v237, v212, vcc_lo
	v_cndmask_b32_e32 v212, v236, v236, vcc_lo
	v_cmp_gt_f64_e32 vcc_lo, 0, v[238:239]
	v_cndmask_b32_e32 v215, v239, v214, vcc_lo
	v_cndmask_b32_e32 v214, v238, v238, vcc_lo
	v_cmp_gt_f64_e32 vcc_lo, 0, v[240:241]
	s_delay_alu instid0(VALU_DEP_2) | instskip(SKIP_1) | instid1(VALU_DEP_1)
	v_add_f64 v[212:213], v[212:213], v[214:215]
	v_xor_b32_e32 v214, 0x80000000, v241
	v_dual_cndmask_b32 v215, v241, v214 :: v_dual_mov_b32 v214, v240
	v_cmp_gt_f64_e32 vcc_lo, 0, v[242:243]
	v_dual_cndmask_b32 v217, v243, v216 :: v_dual_mov_b32 v216, v242
	s_delay_alu instid0(VALU_DEP_1) | instskip(NEXT) | instid1(VALU_DEP_1)
	v_add_f64 v[214:215], v[214:215], v[216:217]
	v_cmp_lt_f64_e32 vcc_lo, v[212:213], v[214:215]
	v_dual_cndmask_b32 v237, v237, v241 :: v_dual_cndmask_b32 v236, v236, v240
	v_dual_cndmask_b32 v239, v239, v243 :: v_dual_cndmask_b32 v238, v238, v242
	v_cndmask_b32_e64 v244, v244, s2, vcc_lo
	s_add_i32 s2, s2, 1
	s_delay_alu instid0(SALU_CYCLE_1)
	s_cmp_lg_u32 s12, s2
	s_cbranch_scc1 .LBB116_1198
.LBB116_1199:
	s_set_inst_prefetch_distance 0x2
	s_waitcnt lgkmcnt(0)
	v_cmp_eq_f64_e32 vcc_lo, 0, v[236:237]
	v_cmp_eq_f64_e64 s2, 0, v[238:239]
	s_delay_alu instid0(VALU_DEP_1) | instskip(NEXT) | instid1(SALU_CYCLE_1)
	s_and_b32 s2, vcc_lo, s2
	s_and_saveexec_b32 s3, s2
	s_delay_alu instid0(SALU_CYCLE_1)
	s_xor_b32 s2, exec_lo, s3
; %bb.1200:
	v_cmp_ne_u32_e32 vcc_lo, 0, v249
	v_cndmask_b32_e32 v249, 58, v249, vcc_lo
; %bb.1201:
	s_and_not1_saveexec_b32 s3, s2
	s_cbranch_execz .LBB116_1207
; %bb.1202:
	v_cmp_gt_f64_e32 vcc_lo, 0, v[236:237]
	v_cmp_gt_f64_e64 s2, 0, v[238:239]
	v_xor_b32_e32 v212, 0x80000000, v237
	v_xor_b32_e32 v214, 0x80000000, v239
	s_delay_alu instid0(VALU_DEP_2) | instskip(NEXT) | instid1(VALU_DEP_2)
	v_cndmask_b32_e32 v213, v237, v212, vcc_lo
	v_cndmask_b32_e64 v215, v239, v214, s2
	v_cndmask_b32_e32 v212, v236, v236, vcc_lo
	v_cndmask_b32_e64 v214, v238, v238, s2
	s_mov_b32 s2, exec_lo
	s_delay_alu instid0(VALU_DEP_1)
	v_cmpx_ngt_f64_e32 v[212:213], v[214:215]
	s_xor_b32 s2, exec_lo, s2
	s_cbranch_execz .LBB116_1204
; %bb.1203:
	v_div_scale_f64 v[212:213], null, v[238:239], v[238:239], v[236:237]
	v_div_scale_f64 v[218:219], vcc_lo, v[236:237], v[238:239], v[236:237]
	s_delay_alu instid0(VALU_DEP_2) | instskip(SKIP_2) | instid1(VALU_DEP_1)
	v_rcp_f64_e32 v[214:215], v[212:213]
	s_waitcnt_depctr 0xfff
	v_fma_f64 v[216:217], -v[212:213], v[214:215], 1.0
	v_fma_f64 v[214:215], v[214:215], v[216:217], v[214:215]
	s_delay_alu instid0(VALU_DEP_1) | instskip(NEXT) | instid1(VALU_DEP_1)
	v_fma_f64 v[216:217], -v[212:213], v[214:215], 1.0
	v_fma_f64 v[214:215], v[214:215], v[216:217], v[214:215]
	s_delay_alu instid0(VALU_DEP_1) | instskip(NEXT) | instid1(VALU_DEP_1)
	v_mul_f64 v[216:217], v[218:219], v[214:215]
	v_fma_f64 v[212:213], -v[212:213], v[216:217], v[218:219]
	s_delay_alu instid0(VALU_DEP_1) | instskip(NEXT) | instid1(VALU_DEP_1)
	v_div_fmas_f64 v[212:213], v[212:213], v[214:215], v[216:217]
	v_div_fixup_f64 v[212:213], v[212:213], v[238:239], v[236:237]
	s_delay_alu instid0(VALU_DEP_1) | instskip(NEXT) | instid1(VALU_DEP_1)
	v_fma_f64 v[214:215], v[236:237], v[212:213], v[238:239]
	v_div_scale_f64 v[216:217], null, v[214:215], v[214:215], 1.0
	s_delay_alu instid0(VALU_DEP_1) | instskip(SKIP_2) | instid1(VALU_DEP_1)
	v_rcp_f64_e32 v[218:219], v[216:217]
	s_waitcnt_depctr 0xfff
	v_fma_f64 v[220:221], -v[216:217], v[218:219], 1.0
	v_fma_f64 v[218:219], v[218:219], v[220:221], v[218:219]
	s_delay_alu instid0(VALU_DEP_1) | instskip(NEXT) | instid1(VALU_DEP_1)
	v_fma_f64 v[220:221], -v[216:217], v[218:219], 1.0
	v_fma_f64 v[218:219], v[218:219], v[220:221], v[218:219]
	v_div_scale_f64 v[220:221], vcc_lo, 1.0, v[214:215], 1.0
	s_delay_alu instid0(VALU_DEP_1) | instskip(NEXT) | instid1(VALU_DEP_1)
	v_mul_f64 v[222:223], v[220:221], v[218:219]
	v_fma_f64 v[216:217], -v[216:217], v[222:223], v[220:221]
	s_delay_alu instid0(VALU_DEP_1) | instskip(NEXT) | instid1(VALU_DEP_1)
	v_div_fmas_f64 v[216:217], v[216:217], v[218:219], v[222:223]
	v_div_fixup_f64 v[238:239], v[216:217], v[214:215], 1.0
	s_delay_alu instid0(VALU_DEP_1)
	v_mul_f64 v[236:237], v[212:213], v[238:239]
	v_xor_b32_e32 v239, 0x80000000, v239
.LBB116_1204:
	s_and_not1_saveexec_b32 s2, s2
	s_cbranch_execz .LBB116_1206
; %bb.1205:
	s_delay_alu instid0(VALU_DEP_1) | instskip(SKIP_1) | instid1(VALU_DEP_2)
	v_div_scale_f64 v[212:213], null, v[236:237], v[236:237], v[238:239]
	v_div_scale_f64 v[218:219], vcc_lo, v[238:239], v[236:237], v[238:239]
	v_rcp_f64_e32 v[214:215], v[212:213]
	s_waitcnt_depctr 0xfff
	v_fma_f64 v[216:217], -v[212:213], v[214:215], 1.0
	s_delay_alu instid0(VALU_DEP_1) | instskip(NEXT) | instid1(VALU_DEP_1)
	v_fma_f64 v[214:215], v[214:215], v[216:217], v[214:215]
	v_fma_f64 v[216:217], -v[212:213], v[214:215], 1.0
	s_delay_alu instid0(VALU_DEP_1) | instskip(NEXT) | instid1(VALU_DEP_1)
	v_fma_f64 v[214:215], v[214:215], v[216:217], v[214:215]
	v_mul_f64 v[216:217], v[218:219], v[214:215]
	s_delay_alu instid0(VALU_DEP_1) | instskip(NEXT) | instid1(VALU_DEP_1)
	v_fma_f64 v[212:213], -v[212:213], v[216:217], v[218:219]
	v_div_fmas_f64 v[212:213], v[212:213], v[214:215], v[216:217]
	s_delay_alu instid0(VALU_DEP_1) | instskip(NEXT) | instid1(VALU_DEP_1)
	v_div_fixup_f64 v[212:213], v[212:213], v[236:237], v[238:239]
	v_fma_f64 v[214:215], v[238:239], v[212:213], v[236:237]
	s_delay_alu instid0(VALU_DEP_1) | instskip(NEXT) | instid1(VALU_DEP_1)
	v_div_scale_f64 v[216:217], null, v[214:215], v[214:215], 1.0
	v_rcp_f64_e32 v[218:219], v[216:217]
	s_waitcnt_depctr 0xfff
	v_fma_f64 v[220:221], -v[216:217], v[218:219], 1.0
	s_delay_alu instid0(VALU_DEP_1) | instskip(NEXT) | instid1(VALU_DEP_1)
	v_fma_f64 v[218:219], v[218:219], v[220:221], v[218:219]
	v_fma_f64 v[220:221], -v[216:217], v[218:219], 1.0
	s_delay_alu instid0(VALU_DEP_1) | instskip(SKIP_1) | instid1(VALU_DEP_1)
	v_fma_f64 v[218:219], v[218:219], v[220:221], v[218:219]
	v_div_scale_f64 v[220:221], vcc_lo, 1.0, v[214:215], 1.0
	v_mul_f64 v[222:223], v[220:221], v[218:219]
	s_delay_alu instid0(VALU_DEP_1) | instskip(NEXT) | instid1(VALU_DEP_1)
	v_fma_f64 v[216:217], -v[216:217], v[222:223], v[220:221]
	v_div_fmas_f64 v[216:217], v[216:217], v[218:219], v[222:223]
	s_delay_alu instid0(VALU_DEP_1) | instskip(NEXT) | instid1(VALU_DEP_1)
	v_div_fixup_f64 v[236:237], v[216:217], v[214:215], 1.0
	v_mul_f64 v[238:239], v[212:213], -v[236:237]
.LBB116_1206:
	s_or_b32 exec_lo, exec_lo, s2
.LBB116_1207:
	s_delay_alu instid0(SALU_CYCLE_1) | instskip(NEXT) | instid1(SALU_CYCLE_1)
	s_or_b32 exec_lo, exec_lo, s3
	s_mov_b32 s2, exec_lo
	v_cmpx_ne_u32_e64 v252, v244
	s_xor_b32 s2, exec_lo, s2
	s_cbranch_execz .LBB116_1213
; %bb.1208:
	s_mov_b32 s3, exec_lo
	v_cmpx_eq_u32_e32 57, v252
	s_cbranch_execz .LBB116_1212
; %bb.1209:
	v_cmp_ne_u32_e32 vcc_lo, 57, v244
	s_xor_b32 s4, s5, -1
	s_delay_alu instid0(SALU_CYCLE_1) | instskip(NEXT) | instid1(SALU_CYCLE_1)
	s_and_b32 s6, s4, vcc_lo
	s_and_saveexec_b32 s4, s6
	s_cbranch_execz .LBB116_1211
; %bb.1210:
	scratch_load_b64 v[208:209], off, off offset:16 ; 8-byte Folded Reload
	v_ashrrev_i32_e32 v245, 31, v244
	s_delay_alu instid0(VALU_DEP_1) | instskip(SKIP_1) | instid1(VALU_DEP_1)
	v_lshlrev_b64 v[212:213], 2, v[244:245]
	s_waitcnt vmcnt(0)
	v_add_co_u32 v212, vcc_lo, v208, v212
	s_delay_alu instid0(VALU_DEP_2)
	v_add_co_ci_u32_e32 v213, vcc_lo, v209, v213, vcc_lo
	s_clause 0x1
	flat_load_b32 v214, v[212:213]
	flat_load_b32 v215, v[208:209] offset:228
	s_waitcnt vmcnt(1) lgkmcnt(1)
	flat_store_b32 v[208:209], v214 offset:228
	s_waitcnt vmcnt(0) lgkmcnt(1)
	flat_store_b32 v[212:213], v215
.LBB116_1211:
	s_or_b32 exec_lo, exec_lo, s4
	v_mov_b32_e32 v252, v244
	v_mov_b32_e32 v251, v244
.LBB116_1212:
	s_or_b32 exec_lo, exec_lo, s3
.LBB116_1213:
	s_and_not1_saveexec_b32 s2, s2
	s_cbranch_execz .LBB116_1215
; %bb.1214:
	v_mov_b32_e32 v252, 57
	ds_store_2addr_b64 v246, v[224:225], v[226:227] offset0:116 offset1:117
.LBB116_1215:
	s_or_b32 exec_lo, exec_lo, s2
	s_delay_alu instid0(SALU_CYCLE_1)
	s_mov_b32 s2, exec_lo
	s_waitcnt lgkmcnt(0)
	s_waitcnt_vscnt null, 0x0
	s_barrier
	buffer_gl0_inv
	v_cmpx_lt_i32_e32 57, v252
	s_cbranch_execz .LBB116_1217
; %bb.1216:
	v_mul_f64 v[212:213], v[236:237], v[6:7]
	v_mul_f64 v[6:7], v[238:239], v[6:7]
	s_delay_alu instid0(VALU_DEP_2) | instskip(NEXT) | instid1(VALU_DEP_2)
	v_fma_f64 v[212:213], v[238:239], v[4:5], v[212:213]
	v_fma_f64 v[4:5], v[236:237], v[4:5], -v[6:7]
	ds_load_2addr_b64 v[236:239], v246 offset0:116 offset1:117
	s_waitcnt lgkmcnt(0)
	v_mul_f64 v[6:7], v[238:239], v[212:213]
	v_mul_f64 v[214:215], v[236:237], v[212:213]
	s_delay_alu instid0(VALU_DEP_2) | instskip(NEXT) | instid1(VALU_DEP_2)
	v_fma_f64 v[6:7], v[236:237], v[4:5], -v[6:7]
	v_fma_f64 v[214:215], v[238:239], v[4:5], v[214:215]
	s_delay_alu instid0(VALU_DEP_2) | instskip(NEXT) | instid1(VALU_DEP_2)
	v_add_f64 v[224:225], v[224:225], -v[6:7]
	v_add_f64 v[226:227], v[226:227], -v[214:215]
	v_dual_mov_b32 v6, v212 :: v_dual_mov_b32 v7, v213
.LBB116_1217:
	s_or_b32 exec_lo, exec_lo, s2
	v_lshl_add_u32 v212, v252, 4, v246
	s_barrier
	buffer_gl0_inv
	v_mov_b32_e32 v244, 58
	ds_store_2addr_b64 v212, v[224:225], v[226:227] offset1:1
	s_waitcnt lgkmcnt(0)
	s_barrier
	buffer_gl0_inv
	ds_load_2addr_b64 v[236:239], v246 offset0:116 offset1:117
	s_cmp_lt_i32 s12, 60
	s_cbranch_scc1 .LBB116_1220
; %bb.1218:
	v_add3_u32 v245, v234, 0, 0x3b0
	v_mov_b32_e32 v244, 58
	s_mov_b32 s2, 59
	s_set_inst_prefetch_distance 0x1
	.p2align	6
.LBB116_1219:                           ; =>This Inner Loop Header: Depth=1
	s_waitcnt lgkmcnt(0)
	v_cmp_gt_f64_e32 vcc_lo, 0, v[236:237]
	v_xor_b32_e32 v212, 0x80000000, v237
	v_xor_b32_e32 v214, 0x80000000, v239
	ds_load_2addr_b64 v[240:243], v245 offset1:1
	v_add_nc_u32_e32 v245, 16, v245
	s_waitcnt lgkmcnt(0)
	v_xor_b32_e32 v216, 0x80000000, v243
	v_cndmask_b32_e32 v213, v237, v212, vcc_lo
	v_cndmask_b32_e32 v212, v236, v236, vcc_lo
	v_cmp_gt_f64_e32 vcc_lo, 0, v[238:239]
	v_cndmask_b32_e32 v215, v239, v214, vcc_lo
	v_cndmask_b32_e32 v214, v238, v238, vcc_lo
	v_cmp_gt_f64_e32 vcc_lo, 0, v[240:241]
	s_delay_alu instid0(VALU_DEP_2) | instskip(SKIP_1) | instid1(VALU_DEP_1)
	v_add_f64 v[212:213], v[212:213], v[214:215]
	v_xor_b32_e32 v214, 0x80000000, v241
	v_dual_cndmask_b32 v215, v241, v214 :: v_dual_mov_b32 v214, v240
	v_cmp_gt_f64_e32 vcc_lo, 0, v[242:243]
	v_dual_cndmask_b32 v217, v243, v216 :: v_dual_mov_b32 v216, v242
	s_delay_alu instid0(VALU_DEP_1) | instskip(NEXT) | instid1(VALU_DEP_1)
	v_add_f64 v[214:215], v[214:215], v[216:217]
	v_cmp_lt_f64_e32 vcc_lo, v[212:213], v[214:215]
	v_dual_cndmask_b32 v237, v237, v241 :: v_dual_cndmask_b32 v236, v236, v240
	v_dual_cndmask_b32 v239, v239, v243 :: v_dual_cndmask_b32 v238, v238, v242
	v_cndmask_b32_e64 v244, v244, s2, vcc_lo
	s_add_i32 s2, s2, 1
	s_delay_alu instid0(SALU_CYCLE_1)
	s_cmp_lg_u32 s12, s2
	s_cbranch_scc1 .LBB116_1219
.LBB116_1220:
	s_set_inst_prefetch_distance 0x2
	s_waitcnt lgkmcnt(0)
	v_cmp_eq_f64_e32 vcc_lo, 0, v[236:237]
	v_cmp_eq_f64_e64 s2, 0, v[238:239]
	s_delay_alu instid0(VALU_DEP_1) | instskip(NEXT) | instid1(SALU_CYCLE_1)
	s_and_b32 s2, vcc_lo, s2
	s_and_saveexec_b32 s3, s2
	s_delay_alu instid0(SALU_CYCLE_1)
	s_xor_b32 s2, exec_lo, s3
; %bb.1221:
	v_cmp_ne_u32_e32 vcc_lo, 0, v249
	v_cndmask_b32_e32 v249, 59, v249, vcc_lo
; %bb.1222:
	s_and_not1_saveexec_b32 s3, s2
	s_cbranch_execz .LBB116_1228
; %bb.1223:
	v_cmp_gt_f64_e32 vcc_lo, 0, v[236:237]
	v_cmp_gt_f64_e64 s2, 0, v[238:239]
	v_xor_b32_e32 v212, 0x80000000, v237
	v_xor_b32_e32 v214, 0x80000000, v239
	s_delay_alu instid0(VALU_DEP_2) | instskip(NEXT) | instid1(VALU_DEP_2)
	v_cndmask_b32_e32 v213, v237, v212, vcc_lo
	v_cndmask_b32_e64 v215, v239, v214, s2
	v_cndmask_b32_e32 v212, v236, v236, vcc_lo
	v_cndmask_b32_e64 v214, v238, v238, s2
	s_mov_b32 s2, exec_lo
	s_delay_alu instid0(VALU_DEP_1)
	v_cmpx_ngt_f64_e32 v[212:213], v[214:215]
	s_xor_b32 s2, exec_lo, s2
	s_cbranch_execz .LBB116_1225
; %bb.1224:
	v_div_scale_f64 v[212:213], null, v[238:239], v[238:239], v[236:237]
	v_div_scale_f64 v[218:219], vcc_lo, v[236:237], v[238:239], v[236:237]
	s_delay_alu instid0(VALU_DEP_2) | instskip(SKIP_2) | instid1(VALU_DEP_1)
	v_rcp_f64_e32 v[214:215], v[212:213]
	s_waitcnt_depctr 0xfff
	v_fma_f64 v[216:217], -v[212:213], v[214:215], 1.0
	v_fma_f64 v[214:215], v[214:215], v[216:217], v[214:215]
	s_delay_alu instid0(VALU_DEP_1) | instskip(NEXT) | instid1(VALU_DEP_1)
	v_fma_f64 v[216:217], -v[212:213], v[214:215], 1.0
	v_fma_f64 v[214:215], v[214:215], v[216:217], v[214:215]
	s_delay_alu instid0(VALU_DEP_1) | instskip(NEXT) | instid1(VALU_DEP_1)
	v_mul_f64 v[216:217], v[218:219], v[214:215]
	v_fma_f64 v[212:213], -v[212:213], v[216:217], v[218:219]
	s_delay_alu instid0(VALU_DEP_1) | instskip(NEXT) | instid1(VALU_DEP_1)
	v_div_fmas_f64 v[212:213], v[212:213], v[214:215], v[216:217]
	v_div_fixup_f64 v[212:213], v[212:213], v[238:239], v[236:237]
	s_delay_alu instid0(VALU_DEP_1) | instskip(NEXT) | instid1(VALU_DEP_1)
	v_fma_f64 v[214:215], v[236:237], v[212:213], v[238:239]
	v_div_scale_f64 v[216:217], null, v[214:215], v[214:215], 1.0
	s_delay_alu instid0(VALU_DEP_1) | instskip(SKIP_2) | instid1(VALU_DEP_1)
	v_rcp_f64_e32 v[218:219], v[216:217]
	s_waitcnt_depctr 0xfff
	v_fma_f64 v[220:221], -v[216:217], v[218:219], 1.0
	v_fma_f64 v[218:219], v[218:219], v[220:221], v[218:219]
	s_delay_alu instid0(VALU_DEP_1) | instskip(NEXT) | instid1(VALU_DEP_1)
	v_fma_f64 v[220:221], -v[216:217], v[218:219], 1.0
	v_fma_f64 v[218:219], v[218:219], v[220:221], v[218:219]
	v_div_scale_f64 v[220:221], vcc_lo, 1.0, v[214:215], 1.0
	s_delay_alu instid0(VALU_DEP_1) | instskip(NEXT) | instid1(VALU_DEP_1)
	v_mul_f64 v[222:223], v[220:221], v[218:219]
	v_fma_f64 v[216:217], -v[216:217], v[222:223], v[220:221]
	s_delay_alu instid0(VALU_DEP_1) | instskip(NEXT) | instid1(VALU_DEP_1)
	v_div_fmas_f64 v[216:217], v[216:217], v[218:219], v[222:223]
	v_div_fixup_f64 v[238:239], v[216:217], v[214:215], 1.0
	s_delay_alu instid0(VALU_DEP_1)
	v_mul_f64 v[236:237], v[212:213], v[238:239]
	v_xor_b32_e32 v239, 0x80000000, v239
.LBB116_1225:
	s_and_not1_saveexec_b32 s2, s2
	s_cbranch_execz .LBB116_1227
; %bb.1226:
	s_delay_alu instid0(VALU_DEP_1) | instskip(SKIP_1) | instid1(VALU_DEP_2)
	v_div_scale_f64 v[212:213], null, v[236:237], v[236:237], v[238:239]
	v_div_scale_f64 v[218:219], vcc_lo, v[238:239], v[236:237], v[238:239]
	v_rcp_f64_e32 v[214:215], v[212:213]
	s_waitcnt_depctr 0xfff
	v_fma_f64 v[216:217], -v[212:213], v[214:215], 1.0
	s_delay_alu instid0(VALU_DEP_1) | instskip(NEXT) | instid1(VALU_DEP_1)
	v_fma_f64 v[214:215], v[214:215], v[216:217], v[214:215]
	v_fma_f64 v[216:217], -v[212:213], v[214:215], 1.0
	s_delay_alu instid0(VALU_DEP_1) | instskip(NEXT) | instid1(VALU_DEP_1)
	v_fma_f64 v[214:215], v[214:215], v[216:217], v[214:215]
	v_mul_f64 v[216:217], v[218:219], v[214:215]
	s_delay_alu instid0(VALU_DEP_1) | instskip(NEXT) | instid1(VALU_DEP_1)
	v_fma_f64 v[212:213], -v[212:213], v[216:217], v[218:219]
	v_div_fmas_f64 v[212:213], v[212:213], v[214:215], v[216:217]
	s_delay_alu instid0(VALU_DEP_1) | instskip(NEXT) | instid1(VALU_DEP_1)
	v_div_fixup_f64 v[212:213], v[212:213], v[236:237], v[238:239]
	v_fma_f64 v[214:215], v[238:239], v[212:213], v[236:237]
	s_delay_alu instid0(VALU_DEP_1) | instskip(NEXT) | instid1(VALU_DEP_1)
	v_div_scale_f64 v[216:217], null, v[214:215], v[214:215], 1.0
	v_rcp_f64_e32 v[218:219], v[216:217]
	s_waitcnt_depctr 0xfff
	v_fma_f64 v[220:221], -v[216:217], v[218:219], 1.0
	s_delay_alu instid0(VALU_DEP_1) | instskip(NEXT) | instid1(VALU_DEP_1)
	v_fma_f64 v[218:219], v[218:219], v[220:221], v[218:219]
	v_fma_f64 v[220:221], -v[216:217], v[218:219], 1.0
	s_delay_alu instid0(VALU_DEP_1) | instskip(SKIP_1) | instid1(VALU_DEP_1)
	v_fma_f64 v[218:219], v[218:219], v[220:221], v[218:219]
	v_div_scale_f64 v[220:221], vcc_lo, 1.0, v[214:215], 1.0
	v_mul_f64 v[222:223], v[220:221], v[218:219]
	s_delay_alu instid0(VALU_DEP_1) | instskip(NEXT) | instid1(VALU_DEP_1)
	v_fma_f64 v[216:217], -v[216:217], v[222:223], v[220:221]
	v_div_fmas_f64 v[216:217], v[216:217], v[218:219], v[222:223]
	s_delay_alu instid0(VALU_DEP_1) | instskip(NEXT) | instid1(VALU_DEP_1)
	v_div_fixup_f64 v[236:237], v[216:217], v[214:215], 1.0
	v_mul_f64 v[238:239], v[212:213], -v[236:237]
.LBB116_1227:
	s_or_b32 exec_lo, exec_lo, s2
.LBB116_1228:
	s_delay_alu instid0(SALU_CYCLE_1)
	s_or_b32 exec_lo, exec_lo, s3
	v_mov_b32_e32 v245, 58
	s_mov_b32 s2, exec_lo
	v_cmpx_ne_u32_e64 v252, v244
	s_cbranch_execz .LBB116_1234
; %bb.1229:
	s_mov_b32 s3, exec_lo
	v_cmpx_eq_u32_e32 58, v252
	s_cbranch_execz .LBB116_1233
; %bb.1230:
	v_cmp_ne_u32_e32 vcc_lo, 58, v244
	s_xor_b32 s4, s5, -1
	s_delay_alu instid0(SALU_CYCLE_1) | instskip(NEXT) | instid1(SALU_CYCLE_1)
	s_and_b32 s5, s4, vcc_lo
	s_and_saveexec_b32 s4, s5
	s_cbranch_execz .LBB116_1232
; %bb.1231:
	scratch_load_b64 v[208:209], off, off offset:16 ; 8-byte Folded Reload
	v_ashrrev_i32_e32 v245, 31, v244
	s_delay_alu instid0(VALU_DEP_1) | instskip(SKIP_1) | instid1(VALU_DEP_1)
	v_lshlrev_b64 v[212:213], 2, v[244:245]
	s_waitcnt vmcnt(0)
	v_add_co_u32 v212, vcc_lo, v208, v212
	s_delay_alu instid0(VALU_DEP_2)
	v_add_co_ci_u32_e32 v213, vcc_lo, v209, v213, vcc_lo
	s_clause 0x1
	flat_load_b32 v214, v[212:213]
	flat_load_b32 v215, v[208:209] offset:232
	s_waitcnt vmcnt(1) lgkmcnt(1)
	flat_store_b32 v[208:209], v214 offset:232
	s_waitcnt vmcnt(0) lgkmcnt(1)
	flat_store_b32 v[212:213], v215
.LBB116_1232:
	s_or_b32 exec_lo, exec_lo, s4
	v_mov_b32_e32 v252, v244
	v_mov_b32_e32 v251, v244
.LBB116_1233:
	s_or_b32 exec_lo, exec_lo, s3
	s_delay_alu instid0(VALU_DEP_2)
	v_mov_b32_e32 v245, v252
.LBB116_1234:
	s_or_b32 exec_lo, exec_lo, s2
	s_delay_alu instid0(SALU_CYCLE_1)
	s_mov_b32 s2, exec_lo
	s_waitcnt lgkmcnt(0)
	s_waitcnt_vscnt null, 0x0
	s_barrier
	buffer_gl0_inv
	v_cmpx_lt_i32_e32 58, v245
; %bb.1235:
	v_mul_f64 v[212:213], v[238:239], v[226:227]
	v_dual_mov_b32 v211, v3 :: v_dual_mov_b32 v210, v2
	v_dual_mov_b32 v209, v1 :: v_dual_mov_b32 v208, v0
	v_mul_f64 v[2:3], v[236:237], v[226:227]
	s_delay_alu instid0(VALU_DEP_4) | instskip(NEXT) | instid1(VALU_DEP_2)
	v_fma_f64 v[212:213], v[236:237], v[224:225], -v[212:213]
	v_fma_f64 v[226:227], v[238:239], v[224:225], v[2:3]
	s_delay_alu instid0(VALU_DEP_4) | instskip(SKIP_1) | instid1(VALU_DEP_4)
	v_dual_mov_b32 v0, v208 :: v_dual_mov_b32 v1, v209
	v_dual_mov_b32 v2, v210 :: v_dual_mov_b32 v3, v211
	v_dual_mov_b32 v225, v213 :: v_dual_mov_b32 v224, v212
; %bb.1236:
	s_or_b32 exec_lo, exec_lo, s2
	s_load_b256 s[0:7], s[0:1], 0x28
	v_ashrrev_i32_e32 v246, 31, v245
	s_mov_b32 s9, exec_lo
	s_waitcnt lgkmcnt(0)
	s_barrier
	buffer_gl0_inv
	v_cmpx_gt_i32_e32 59, v245
	s_cbranch_execz .LBB116_1238
; %bb.1237:
	v_mul_lo_u32 v214, v229, s4
	v_mul_lo_u32 v215, v228, s5
	v_mad_u64_u32 v[212:213], null, v228, s4, 0
	s_lshl_b64 s[2:3], s[2:3], 2
	s_delay_alu instid0(SALU_CYCLE_1) | instskip(SKIP_1) | instid1(VALU_DEP_1)
	s_add_u32 s0, s2, s0
	s_addc_u32 s1, s3, s1
	v_add3_u32 v213, v213, v215, v214
	v_lshlrev_b64 v[214:215], 2, v[245:246]
	s_delay_alu instid0(VALU_DEP_2) | instskip(NEXT) | instid1(VALU_DEP_1)
	v_lshlrev_b64 v[212:213], 2, v[212:213]
	v_add_co_u32 v212, vcc_lo, s0, v212
	s_delay_alu instid0(VALU_DEP_2) | instskip(NEXT) | instid1(VALU_DEP_2)
	v_add_co_ci_u32_e32 v213, vcc_lo, s1, v213, vcc_lo
	v_add_co_u32 v212, vcc_lo, v212, v214
	s_delay_alu instid0(VALU_DEP_2)
	v_add_co_ci_u32_e32 v213, vcc_lo, v213, v215, vcc_lo
	v_add3_u32 v214, v251, s13, 1
	global_store_b32 v[212:213], v214, off
.LBB116_1238:
	s_or_b32 exec_lo, exec_lo, s9
	s_delay_alu instid0(SALU_CYCLE_1)
	s_mov_b32 s1, exec_lo
	v_cmpx_eq_u32_e32 0, v245
	s_cbranch_execz .LBB116_1241
; %bb.1239:
	v_lshlrev_b64 v[212:213], 2, v[228:229]
	v_cmp_lt_i32_e64 s0, 0, v249
	s_delay_alu instid0(VALU_DEP_2) | instskip(NEXT) | instid1(VALU_DEP_3)
	v_add_co_u32 v236, vcc_lo, s6, v212
	v_add_co_ci_u32_e32 v237, vcc_lo, s7, v213, vcc_lo
	global_load_b32 v212, v[236:237], off
	s_waitcnt vmcnt(0)
	v_cmp_eq_u32_e32 vcc_lo, 0, v212
	s_and_b32 s0, vcc_lo, s0
	s_delay_alu instid0(SALU_CYCLE_1)
	s_and_b32 exec_lo, exec_lo, s0
	s_cbranch_execz .LBB116_1241
; %bb.1240:
	v_add_nc_u32_e32 v212, s13, v249
	global_store_b32 v[236:237], v212, off
.LBB116_1241:
	s_or_b32 exec_lo, exec_lo, s1
	scratch_load_b128 v[208:211], off, off offset:72 ; 16-byte Folded Reload
	v_lshlrev_b64 v[214:215], 4, v[245:246]
	v_add3_u32 v212, s8, s8, v245
	s_delay_alu instid0(VALU_DEP_1) | instskip(NEXT) | instid1(VALU_DEP_3)
	v_ashrrev_i32_e32 v213, 31, v212
	v_add_co_u32 v214, vcc_lo, v247, v214
	s_delay_alu instid0(VALU_DEP_4) | instskip(SKIP_1) | instid1(VALU_DEP_3)
	v_add_co_ci_u32_e32 v215, vcc_lo, v248, v215, vcc_lo
	v_add_nc_u32_e32 v216, s8, v212
	v_add_co_u32 v218, vcc_lo, v214, s10
	s_delay_alu instid0(VALU_DEP_3) | instskip(SKIP_1) | instid1(VALU_DEP_4)
	v_add_co_ci_u32_e32 v219, vcc_lo, s11, v215, vcc_lo
	v_lshlrev_b64 v[212:213], 4, v[212:213]
	v_ashrrev_i32_e32 v217, 31, v216
	s_delay_alu instid0(VALU_DEP_2) | instskip(NEXT) | instid1(VALU_DEP_3)
	v_add_co_u32 v212, vcc_lo, v247, v212
	v_add_co_ci_u32_e32 v213, vcc_lo, v248, v213, vcc_lo
	s_waitcnt vmcnt(0)
	global_store_b128 v[214:215], v[208:211], off
	scratch_load_b128 v[208:211], off, off offset:56 ; 16-byte Folded Reload
	v_lshlrev_b64 v[214:215], 4, v[216:217]
	v_add_nc_u32_e32 v216, s8, v216
	s_delay_alu instid0(VALU_DEP_1) | instskip(NEXT) | instid1(VALU_DEP_3)
	v_ashrrev_i32_e32 v217, 31, v216
	v_add_co_u32 v214, vcc_lo, v247, v214
	s_delay_alu instid0(VALU_DEP_4)
	v_add_co_ci_u32_e32 v215, vcc_lo, v248, v215, vcc_lo
	s_waitcnt vmcnt(0)
	global_store_b128 v[218:219], v[208:211], off
	scratch_load_b128 v[208:211], off, off offset:40 ; 16-byte Folded Reload
	v_add_nc_u32_e32 v218, s8, v216
	v_lshlrev_b64 v[216:217], 4, v[216:217]
	s_delay_alu instid0(VALU_DEP_2) | instskip(SKIP_1) | instid1(VALU_DEP_1)
	v_ashrrev_i32_e32 v219, 31, v218
	v_add_nc_u32_e32 v220, s8, v218
	v_ashrrev_i32_e32 v221, 31, v220
	s_waitcnt vmcnt(0)
	global_store_b128 v[212:213], v[208:211], off
	scratch_load_b128 v[208:211], off, off offset:24 ; 16-byte Folded Reload
	v_lshlrev_b64 v[212:213], 4, v[218:219]
	v_add_nc_u32_e32 v218, s8, v220
	s_delay_alu instid0(VALU_DEP_1)
	v_ashrrev_i32_e32 v219, 31, v218
	s_waitcnt vmcnt(0)
	global_store_b128 v[214:215], v[208:211], off
	v_add_co_u32 v214, vcc_lo, v247, v216
	v_add_co_ci_u32_e32 v215, vcc_lo, v248, v217, vcc_lo
	v_lshlrev_b64 v[216:217], 4, v[220:221]
	v_add_nc_u32_e32 v220, s8, v218
	v_add_co_u32 v212, vcc_lo, v247, v212
	global_store_b128 v[214:215], v[0:3], off
	scratch_load_b128 v[0:3], off, off      ; 16-byte Folded Reload
	v_lshlrev_b64 v[214:215], 4, v[218:219]
	v_add_co_ci_u32_e32 v213, vcc_lo, v248, v213, vcc_lo
	v_ashrrev_i32_e32 v221, 31, v220
	v_add_nc_u32_e32 v210, s8, v220
	v_add_co_u32 v216, vcc_lo, v247, v216
	v_add_co_ci_u32_e32 v217, vcc_lo, v248, v217, vcc_lo
	global_store_b128 v[212:213], v[8:11], off
	v_lshlrev_b64 v[208:209], 4, v[220:221]
	v_add_co_u32 v212, vcc_lo, v247, v214
	v_add_nc_u32_e32 v214, s8, v210
	v_ashrrev_i32_e32 v211, 31, v210
	v_add_co_ci_u32_e32 v213, vcc_lo, v248, v215, vcc_lo
	v_add_co_u32 v208, vcc_lo, v247, v208
	s_delay_alu instid0(VALU_DEP_4)
	v_ashrrev_i32_e32 v215, 31, v214
	v_add_co_ci_u32_e32 v209, vcc_lo, v248, v209, vcc_lo
	v_lshlrev_b64 v[210:211], 4, v[210:211]
	s_waitcnt vmcnt(0)
	global_store_b128 v[216:217], v[0:3], off
	v_add_nc_u32_e32 v216, s8, v214
	s_clause 0x1
	global_store_b128 v[212:213], v[204:207], off
	global_store_b128 v[208:209], v[200:203], off
	v_lshlrev_b64 v[200:201], 4, v[214:215]
	v_add_co_u32 v202, vcc_lo, v247, v210
	v_ashrrev_i32_e32 v217, 31, v216
	v_add_co_ci_u32_e32 v203, vcc_lo, v248, v211, vcc_lo
	v_add_nc_u32_e32 v206, s8, v216
	v_add_co_u32 v200, vcc_lo, v247, v200
	s_delay_alu instid0(VALU_DEP_4) | instskip(SKIP_1) | instid1(VALU_DEP_4)
	v_lshlrev_b64 v[204:205], 4, v[216:217]
	v_add_co_ci_u32_e32 v201, vcc_lo, v248, v201, vcc_lo
	v_add_nc_u32_e32 v208, s8, v206
	v_ashrrev_i32_e32 v207, 31, v206
	global_store_b128 v[202:203], v[196:199], off
	v_add_co_u32 v204, vcc_lo, v247, v204
	v_add_co_ci_u32_e32 v205, vcc_lo, v248, v205, vcc_lo
	v_ashrrev_i32_e32 v209, 31, v208
	s_clause 0x1
	global_store_b128 v[200:201], v[192:195], off
	global_store_b128 v[204:205], v[188:191], off
	v_add_nc_u32_e32 v190, s8, v208
	v_lshlrev_b64 v[196:197], 4, v[206:207]
	v_lshlrev_b64 v[188:189], 4, v[208:209]
	s_delay_alu instid0(VALU_DEP_3) | instskip(SKIP_1) | instid1(VALU_DEP_4)
	v_add_nc_u32_e32 v194, s8, v190
	v_ashrrev_i32_e32 v191, 31, v190
	v_add_co_u32 v192, vcc_lo, v247, v196
	v_add_co_ci_u32_e32 v193, vcc_lo, v248, v197, vcc_lo
	s_delay_alu instid0(VALU_DEP_4)
	v_add_nc_u32_e32 v196, s8, v194
	v_add_co_u32 v188, vcc_lo, v247, v188
	v_ashrrev_i32_e32 v195, 31, v194
	v_add_co_ci_u32_e32 v189, vcc_lo, v248, v189, vcc_lo
	v_lshlrev_b64 v[190:191], 4, v[190:191]
	v_ashrrev_i32_e32 v197, 31, v196
	s_clause 0x1
	global_store_b128 v[192:193], v[184:187], off
	global_store_b128 v[188:189], v[180:183], off
	v_lshlrev_b64 v[180:181], 4, v[194:195]
	v_add_nc_u32_e32 v186, s8, v196
	v_add_co_u32 v182, vcc_lo, v247, v190
	v_lshlrev_b64 v[184:185], 4, v[196:197]
	v_add_co_ci_u32_e32 v183, vcc_lo, v248, v191, vcc_lo
	v_add_co_u32 v180, vcc_lo, v247, v180
	v_add_co_ci_u32_e32 v181, vcc_lo, v248, v181, vcc_lo
	s_delay_alu instid0(VALU_DEP_4)
	v_add_co_u32 v184, vcc_lo, v247, v184
	v_add_nc_u32_e32 v188, s8, v186
	v_add_co_ci_u32_e32 v185, vcc_lo, v248, v185, vcc_lo
	v_ashrrev_i32_e32 v187, 31, v186
	global_store_b128 v[182:183], v[176:179], off
	v_ashrrev_i32_e32 v189, 31, v188
	s_clause 0x1
	global_store_b128 v[180:181], v[172:175], off
	global_store_b128 v[184:185], v[168:171], off
	v_add_nc_u32_e32 v170, s8, v188
	v_lshlrev_b64 v[176:177], 4, v[186:187]
	v_lshlrev_b64 v[168:169], 4, v[188:189]
	s_delay_alu instid0(VALU_DEP_3) | instskip(SKIP_1) | instid1(VALU_DEP_4)
	v_add_nc_u32_e32 v174, s8, v170
	v_ashrrev_i32_e32 v171, 31, v170
	v_add_co_u32 v172, vcc_lo, v247, v176
	v_add_co_ci_u32_e32 v173, vcc_lo, v248, v177, vcc_lo
	s_delay_alu instid0(VALU_DEP_4)
	v_add_nc_u32_e32 v176, s8, v174
	v_add_co_u32 v168, vcc_lo, v247, v168
	v_ashrrev_i32_e32 v175, 31, v174
	v_add_co_ci_u32_e32 v169, vcc_lo, v248, v169, vcc_lo
	v_lshlrev_b64 v[170:171], 4, v[170:171]
	v_ashrrev_i32_e32 v177, 31, v176
	s_clause 0x1
	global_store_b128 v[172:173], v[164:167], off
	global_store_b128 v[168:169], v[160:163], off
	v_lshlrev_b64 v[160:161], 4, v[174:175]
	v_add_nc_u32_e32 v166, s8, v176
	v_add_co_u32 v162, vcc_lo, v247, v170
	v_lshlrev_b64 v[164:165], 4, v[176:177]
	v_add_co_ci_u32_e32 v163, vcc_lo, v248, v171, vcc_lo
	v_add_co_u32 v160, vcc_lo, v247, v160
	v_add_co_ci_u32_e32 v161, vcc_lo, v248, v161, vcc_lo
	s_delay_alu instid0(VALU_DEP_4)
	v_add_co_u32 v164, vcc_lo, v247, v164
	v_add_nc_u32_e32 v168, s8, v166
	v_add_co_ci_u32_e32 v165, vcc_lo, v248, v165, vcc_lo
	v_ashrrev_i32_e32 v167, 31, v166
	global_store_b128 v[162:163], v[156:159], off
	;; [unrolled: 35-line block ×7, first 2 shown]
	v_ashrrev_i32_e32 v69, 31, v68
	s_clause 0x1
	global_store_b128 v[60:61], v[52:55], off
	global_store_b128 v[64:65], v[48:51], off
	v_add_nc_u32_e32 v50, s8, v68
	v_lshlrev_b64 v[56:57], 4, v[66:67]
	v_lshlrev_b64 v[48:49], 4, v[68:69]
	s_delay_alu instid0(VALU_DEP_3) | instskip(SKIP_1) | instid1(VALU_DEP_4)
	v_add_nc_u32_e32 v54, s8, v50
	v_ashrrev_i32_e32 v51, 31, v50
	v_add_co_u32 v52, vcc_lo, v247, v56
	v_add_co_ci_u32_e32 v53, vcc_lo, v248, v57, vcc_lo
	s_delay_alu instid0(VALU_DEP_4)
	v_add_nc_u32_e32 v56, s8, v54
	v_add_co_u32 v48, vcc_lo, v247, v48
	v_ashrrev_i32_e32 v55, 31, v54
	v_add_co_ci_u32_e32 v49, vcc_lo, v248, v49, vcc_lo
	v_lshlrev_b64 v[50:51], 4, v[50:51]
	v_ashrrev_i32_e32 v57, 31, v56
	s_clause 0x1
	global_store_b128 v[52:53], v[44:47], off
	global_store_b128 v[48:49], v[40:43], off
	v_lshlrev_b64 v[40:41], 4, v[54:55]
	v_add_nc_u32_e32 v46, s8, v56
	v_add_co_u32 v42, vcc_lo, v247, v50
	v_lshlrev_b64 v[44:45], 4, v[56:57]
	v_add_co_ci_u32_e32 v43, vcc_lo, v248, v51, vcc_lo
	v_add_co_u32 v40, vcc_lo, v247, v40
	v_add_nc_u32_e32 v48, s8, v46
	v_add_co_ci_u32_e32 v41, vcc_lo, v248, v41, vcc_lo
	v_ashrrev_i32_e32 v47, 31, v46
	v_add_co_u32 v44, vcc_lo, v247, v44
	v_add_co_ci_u32_e32 v45, vcc_lo, v248, v45, vcc_lo
	v_ashrrev_i32_e32 v49, 31, v48
	global_store_b128 v[42:43], v[36:39], off
	v_lshlrev_b64 v[36:37], 4, v[46:47]
	s_clause 0x1
	global_store_b128 v[40:41], v[32:35], off
	global_store_b128 v[44:45], v[28:31], off
	v_add_nc_u32_e32 v30, s8, v48
	v_lshlrev_b64 v[28:29], 4, v[48:49]
	v_add_co_u32 v32, vcc_lo, v247, v36
	s_delay_alu instid0(VALU_DEP_3) | instskip(SKIP_1) | instid1(VALU_DEP_4)
	v_add_nc_u32_e32 v34, s8, v30
	v_add_co_ci_u32_e32 v33, vcc_lo, v248, v37, vcc_lo
	v_add_co_u32 v28, vcc_lo, v247, v28
	v_add_co_ci_u32_e32 v29, vcc_lo, v248, v29, vcc_lo
	s_delay_alu instid0(VALU_DEP_4)
	v_add_nc_u32_e32 v36, s8, v34
	v_ashrrev_i32_e32 v31, 31, v30
	s_clause 0x1
	global_store_b128 v[32:33], v[24:27], off
	global_store_b128 v[28:29], v[20:23], off
	v_ashrrev_i32_e32 v35, 31, v34
	v_add_nc_u32_e32 v22, s8, v36
	v_lshlrev_b64 v[24:25], 4, v[30:31]
	v_ashrrev_i32_e32 v37, 31, v36
	s_delay_alu instid0(VALU_DEP_4) | instskip(NEXT) | instid1(VALU_DEP_4)
	v_lshlrev_b64 v[20:21], 4, v[34:35]
	v_add_nc_u32_e32 v28, s8, v22
	v_ashrrev_i32_e32 v23, 31, v22
	v_add_co_u32 v24, vcc_lo, v247, v24
	v_lshlrev_b64 v[26:27], 4, v[36:37]
	s_delay_alu instid0(VALU_DEP_4)
	v_ashrrev_i32_e32 v29, 31, v28
	v_add_co_ci_u32_e32 v25, vcc_lo, v248, v25, vcc_lo
	v_add_co_u32 v20, vcc_lo, v247, v20
	v_lshlrev_b64 v[22:23], 4, v[22:23]
	v_add_co_ci_u32_e32 v21, vcc_lo, v248, v21, vcc_lo
	v_add_co_u32 v26, vcc_lo, v247, v26
	v_lshlrev_b64 v[28:29], 4, v[28:29]
	v_add_co_ci_u32_e32 v27, vcc_lo, v248, v27, vcc_lo
	v_add_co_u32 v22, vcc_lo, v247, v22
	v_add_co_ci_u32_e32 v23, vcc_lo, v248, v23, vcc_lo
	s_delay_alu instid0(VALU_DEP_4)
	v_add_co_u32 v28, vcc_lo, v247, v28
	v_add_co_ci_u32_e32 v29, vcc_lo, v248, v29, vcc_lo
	s_clause 0x4
	global_store_b128 v[24:25], v[16:19], off
	global_store_b128 v[20:21], v[12:15], off
	;; [unrolled: 1-line block ×5, first 2 shown]
.LBB116_1242:
	s_nop 0
	s_sendmsg sendmsg(MSG_DEALLOC_VGPRS)
	s_endpgm
	.section	.rodata,"a",@progbits
	.p2align	6, 0x0
	.amdhsa_kernel _ZN9rocsolver6v33100L18getf2_small_kernelILi59E19rocblas_complex_numIdEiiPKPS3_EEvT1_T3_lS7_lPS7_llPT2_S7_S7_S9_l
		.amdhsa_group_segment_fixed_size 0
		.amdhsa_private_segment_fixed_size 116
		.amdhsa_kernarg_size 352
		.amdhsa_user_sgpr_count 14
		.amdhsa_user_sgpr_dispatch_ptr 0
		.amdhsa_user_sgpr_queue_ptr 0
		.amdhsa_user_sgpr_kernarg_segment_ptr 1
		.amdhsa_user_sgpr_dispatch_id 0
		.amdhsa_user_sgpr_private_segment_size 0
		.amdhsa_wavefront_size32 1
		.amdhsa_uses_dynamic_stack 0
		.amdhsa_enable_private_segment 1
		.amdhsa_system_sgpr_workgroup_id_x 1
		.amdhsa_system_sgpr_workgroup_id_y 1
		.amdhsa_system_sgpr_workgroup_id_z 0
		.amdhsa_system_sgpr_workgroup_info 0
		.amdhsa_system_vgpr_workitem_id 1
		.amdhsa_next_free_vgpr 256
		.amdhsa_next_free_sgpr 18
		.amdhsa_reserve_vcc 1
		.amdhsa_float_round_mode_32 0
		.amdhsa_float_round_mode_16_64 0
		.amdhsa_float_denorm_mode_32 3
		.amdhsa_float_denorm_mode_16_64 3
		.amdhsa_dx10_clamp 1
		.amdhsa_ieee_mode 1
		.amdhsa_fp16_overflow 0
		.amdhsa_workgroup_processor_mode 1
		.amdhsa_memory_ordered 1
		.amdhsa_forward_progress 0
		.amdhsa_shared_vgpr_count 0
		.amdhsa_exception_fp_ieee_invalid_op 0
		.amdhsa_exception_fp_denorm_src 0
		.amdhsa_exception_fp_ieee_div_zero 0
		.amdhsa_exception_fp_ieee_overflow 0
		.amdhsa_exception_fp_ieee_underflow 0
		.amdhsa_exception_fp_ieee_inexact 0
		.amdhsa_exception_int_div_zero 0
	.end_amdhsa_kernel
	.section	.text._ZN9rocsolver6v33100L18getf2_small_kernelILi59E19rocblas_complex_numIdEiiPKPS3_EEvT1_T3_lS7_lPS7_llPT2_S7_S7_S9_l,"axG",@progbits,_ZN9rocsolver6v33100L18getf2_small_kernelILi59E19rocblas_complex_numIdEiiPKPS3_EEvT1_T3_lS7_lPS7_llPT2_S7_S7_S9_l,comdat
.Lfunc_end116:
	.size	_ZN9rocsolver6v33100L18getf2_small_kernelILi59E19rocblas_complex_numIdEiiPKPS3_EEvT1_T3_lS7_lPS7_llPT2_S7_S7_S9_l, .Lfunc_end116-_ZN9rocsolver6v33100L18getf2_small_kernelILi59E19rocblas_complex_numIdEiiPKPS3_EEvT1_T3_lS7_lPS7_llPT2_S7_S7_S9_l
                                        ; -- End function
	.section	.AMDGPU.csdata,"",@progbits
; Kernel info:
; codeLenInByte = 197412
; NumSgprs: 20
; NumVgprs: 256
; ScratchSize: 116
; MemoryBound: 0
; FloatMode: 240
; IeeeMode: 1
; LDSByteSize: 0 bytes/workgroup (compile time only)
; SGPRBlocks: 2
; VGPRBlocks: 31
; NumSGPRsForWavesPerEU: 20
; NumVGPRsForWavesPerEU: 256
; Occupancy: 5
; WaveLimiterHint : 1
; COMPUTE_PGM_RSRC2:SCRATCH_EN: 1
; COMPUTE_PGM_RSRC2:USER_SGPR: 14
; COMPUTE_PGM_RSRC2:TRAP_HANDLER: 0
; COMPUTE_PGM_RSRC2:TGID_X_EN: 1
; COMPUTE_PGM_RSRC2:TGID_Y_EN: 1
; COMPUTE_PGM_RSRC2:TGID_Z_EN: 0
; COMPUTE_PGM_RSRC2:TIDIG_COMP_CNT: 1
	.section	.text._ZN9rocsolver6v33100L23getf2_npvt_small_kernelILi59E19rocblas_complex_numIdEiiPKPS3_EEvT1_T3_lS7_lPT2_S7_S7_,"axG",@progbits,_ZN9rocsolver6v33100L23getf2_npvt_small_kernelILi59E19rocblas_complex_numIdEiiPKPS3_EEvT1_T3_lS7_lPT2_S7_S7_,comdat
	.globl	_ZN9rocsolver6v33100L23getf2_npvt_small_kernelILi59E19rocblas_complex_numIdEiiPKPS3_EEvT1_T3_lS7_lPT2_S7_S7_ ; -- Begin function _ZN9rocsolver6v33100L23getf2_npvt_small_kernelILi59E19rocblas_complex_numIdEiiPKPS3_EEvT1_T3_lS7_lPT2_S7_S7_
	.p2align	8
	.type	_ZN9rocsolver6v33100L23getf2_npvt_small_kernelILi59E19rocblas_complex_numIdEiiPKPS3_EEvT1_T3_lS7_lPT2_S7_S7_,@function
_ZN9rocsolver6v33100L23getf2_npvt_small_kernelILi59E19rocblas_complex_numIdEiiPKPS3_EEvT1_T3_lS7_lPT2_S7_S7_: ; @_ZN9rocsolver6v33100L23getf2_npvt_small_kernelILi59E19rocblas_complex_numIdEiiPKPS3_EEvT1_T3_lS7_lPT2_S7_S7_
; %bb.0:
	s_clause 0x1
	s_load_b32 s2, s[0:1], 0x44
	s_load_b64 s[12:13], s[0:1], 0x30
	v_bfe_u32 v1, v0, 10, 10
	s_waitcnt lgkmcnt(0)
	s_lshr_b32 s8, s2, 16
	s_mov_b32 s2, exec_lo
	s_delay_alu instid0(VALU_DEP_1) | instskip(NEXT) | instid1(VALU_DEP_1)
	v_mad_u64_u32 v[254:255], null, s15, s8, v[1:2]
	v_cmpx_gt_i32_e64 s12, v254
	s_cbranch_execnz .LBB117_1
; %bb.537:
	s_getpc_b64 s[16:17]
.Lpost_getpc25:
	s_add_u32 s16, s16, (.LBB117_536-.Lpost_getpc25)&4294967295
	s_addc_u32 s17, s17, (.LBB117_536-.Lpost_getpc25)>>32
	s_setpc_b64 s[16:17]
.LBB117_1:
	s_clause 0x1
	s_load_b128 s[4:7], s[0:1], 0x8
	s_load_b32 s2, s[0:1], 0x18
	v_ashrrev_i32_e32 v255, 31, v254
	v_and_b32_e32 v105, 0x3ff, v0
	s_mulk_i32 s8, 0x3b0
	v_mad_u32_u24 v214, 0x3b0, v1, 0
	s_delay_alu instid0(VALU_DEP_3) | instskip(SKIP_1) | instid1(VALU_DEP_1)
	v_lshlrev_b64 v[2:3], 3, v[254:255]
	s_waitcnt lgkmcnt(0)
	v_add_co_u32 v2, vcc_lo, s4, v2
	s_delay_alu instid0(VALU_DEP_2)
	v_add_co_ci_u32_e32 v3, vcc_lo, s5, v3, vcc_lo
	v_add3_u32 v4, s2, s2, v105
	s_lshl_b64 s[4:5], s[6:7], 4
	s_ashr_i32 s3, s2, 31
	global_load_b64 v[2:3], v[2:3], off
	v_add_nc_u32_e32 v8, s2, v4
	v_ashrrev_i32_e32 v5, 31, v4
	s_delay_alu instid0(VALU_DEP_2) | instskip(SKIP_1) | instid1(VALU_DEP_3)
	v_add_nc_u32_e32 v13, s2, v8
	v_ashrrev_i32_e32 v9, 31, v8
	v_lshlrev_b64 v[6:7], 4, v[4:5]
	s_delay_alu instid0(VALU_DEP_3) | instskip(SKIP_1) | instid1(VALU_DEP_4)
	v_add_nc_u32_e32 v10, s2, v13
	v_ashrrev_i32_e32 v14, 31, v13
	v_lshlrev_b64 v[8:9], 4, v[8:9]
	s_delay_alu instid0(VALU_DEP_3) | instskip(SKIP_1) | instid1(VALU_DEP_4)
	;; [unrolled: 4-line block ×11, first 2 shown]
	v_add_nc_u32_e32 v32, s2, v28
	v_ashrrev_i32_e32 v29, 31, v28
	v_lshlrev_b64 v[26:27], 4, v[26:27]
	s_delay_alu instid0(VALU_DEP_3) | instskip(NEXT) | instid1(VALU_DEP_3)
	v_add_nc_u32_e32 v39, s2, v32
	v_lshlrev_b64 v[30:31], 4, v[28:29]
	v_ashrrev_i32_e32 v33, 31, v32
	s_delay_alu instid0(VALU_DEP_3) | instskip(SKIP_1) | instid1(VALU_DEP_3)
	v_add_nc_u32_e32 v34, s2, v39
	v_ashrrev_i32_e32 v40, 31, v39
	v_lshlrev_b64 v[32:33], 4, v[32:33]
	s_delay_alu instid0(VALU_DEP_3) | instskip(NEXT) | instid1(VALU_DEP_3)
	v_add_nc_u32_e32 v38, s2, v34
	v_lshlrev_b64 v[28:29], 4, v[39:40]
	v_ashrrev_i32_e32 v35, 31, v34
	s_delay_alu instid0(VALU_DEP_3) | instskip(SKIP_1) | instid1(VALU_DEP_3)
	v_add_nc_u32_e32 v36, s2, v38
	v_ashrrev_i32_e32 v39, 31, v38
	v_lshlrev_b64 v[34:35], 4, v[34:35]
	s_delay_alu instid0(VALU_DEP_3) | instskip(SKIP_1) | instid1(VALU_DEP_4)
	v_add_nc_u32_e32 v47, s2, v36
	v_ashrrev_i32_e32 v37, 31, v36
	v_lshlrev_b64 v[38:39], 4, v[38:39]
	s_delay_alu instid0(VALU_DEP_3) | instskip(SKIP_1) | instid1(VALU_DEP_4)
	v_add_nc_u32_e32 v42, s2, v47
	v_ashrrev_i32_e32 v48, 31, v47
	v_lshlrev_b64 v[40:41], 4, v[36:37]
	s_delay_alu instid0(VALU_DEP_3) | instskip(NEXT) | instid1(VALU_DEP_3)
	v_add_nc_u32_e32 v46, s2, v42
	v_lshlrev_b64 v[36:37], 4, v[47:48]
	v_ashrrev_i32_e32 v43, 31, v42
	s_delay_alu instid0(VALU_DEP_3) | instskip(SKIP_1) | instid1(VALU_DEP_3)
	v_add_nc_u32_e32 v44, s2, v46
	v_ashrrev_i32_e32 v47, 31, v46
	v_lshlrev_b64 v[42:43], 4, v[42:43]
	s_delay_alu instid0(VALU_DEP_3) | instskip(SKIP_1) | instid1(VALU_DEP_4)
	v_add_nc_u32_e32 v50, s2, v44
	v_ashrrev_i32_e32 v45, 31, v44
	v_lshlrev_b64 v[46:47], 4, v[46:47]
	s_delay_alu instid0(VALU_DEP_3) | instskip(SKIP_1) | instid1(VALU_DEP_4)
	v_add_nc_u32_e32 v52, s2, v50
	v_ashrrev_i32_e32 v51, 31, v50
	v_lshlrev_b64 v[48:49], 4, v[44:45]
	s_delay_alu instid0(VALU_DEP_3) | instskip(SKIP_1) | instid1(VALU_DEP_4)
	v_add_nc_u32_e32 v54, s2, v52
	v_ashrrev_i32_e32 v53, 31, v52
	v_lshlrev_b64 v[44:45], 4, v[50:51]
	s_delay_alu instid0(VALU_DEP_3) | instskip(NEXT) | instid1(VALU_DEP_3)
	v_add_nc_u32_e32 v56, s2, v54
	v_lshlrev_b64 v[50:51], 4, v[52:53]
	v_ashrrev_i32_e32 v55, 31, v54
	s_delay_alu instid0(VALU_DEP_3) | instskip(SKIP_1) | instid1(VALU_DEP_3)
	v_add_nc_u32_e32 v58, s2, v56
	v_ashrrev_i32_e32 v57, 31, v56
	v_lshlrev_b64 v[54:55], 4, v[54:55]
	s_delay_alu instid0(VALU_DEP_3) | instskip(SKIP_1) | instid1(VALU_DEP_4)
	v_add_nc_u32_e32 v60, s2, v58
	v_ashrrev_i32_e32 v59, 31, v58
	v_lshlrev_b64 v[56:57], 4, v[56:57]
	s_delay_alu instid0(VALU_DEP_3) | instskip(SKIP_1) | instid1(VALU_DEP_4)
	v_add_nc_u32_e32 v62, s2, v60
	v_ashrrev_i32_e32 v61, 31, v60
	v_lshlrev_b64 v[52:53], 4, v[58:59]
	s_delay_alu instid0(VALU_DEP_3) | instskip(NEXT) | instid1(VALU_DEP_3)
	v_add_nc_u32_e32 v64, s2, v62
	v_lshlrev_b64 v[58:59], 4, v[60:61]
	v_ashrrev_i32_e32 v63, 31, v62
	s_delay_alu instid0(VALU_DEP_3) | instskip(SKIP_1) | instid1(VALU_DEP_3)
	v_add_nc_u32_e32 v66, s2, v64
	v_ashrrev_i32_e32 v65, 31, v64
	v_lshlrev_b64 v[62:63], 4, v[62:63]
	s_delay_alu instid0(VALU_DEP_3) | instskip(SKIP_1) | instid1(VALU_DEP_4)
	v_add_nc_u32_e32 v68, s2, v66
	v_ashrrev_i32_e32 v67, 31, v66
	v_lshlrev_b64 v[64:65], 4, v[64:65]
	s_delay_alu instid0(VALU_DEP_3) | instskip(NEXT) | instid1(VALU_DEP_3)
	v_add_nc_u32_e32 v70, s2, v68
	v_lshlrev_b64 v[60:61], 4, v[66:67]
	v_ashrrev_i32_e32 v69, 31, v68
	s_delay_alu instid0(VALU_DEP_3) | instskip(SKIP_1) | instid1(VALU_DEP_3)
	v_add_nc_u32_e32 v72, s2, v70
	v_ashrrev_i32_e32 v71, 31, v70
	v_lshlrev_b64 v[68:69], 4, v[68:69]
	s_delay_alu instid0(VALU_DEP_3) | instskip(SKIP_1) | instid1(VALU_DEP_4)
	v_add_nc_u32_e32 v74, s2, v72
	v_ashrrev_i32_e32 v73, 31, v72
	v_lshlrev_b64 v[70:71], 4, v[70:71]
	s_delay_alu instid0(VALU_DEP_3) | instskip(SKIP_1) | instid1(VALU_DEP_4)
	;; [unrolled: 4-line block ×16, first 2 shown]
	v_ashrrev_i32_e32 v101, 31, v100
	v_add_nc_u32_e32 v102, s2, v100
	v_lshlrev_b64 v[98:99], 4, v[98:99]
	s_delay_alu instid0(VALU_DEP_2) | instskip(SKIP_4) | instid1(VALU_DEP_3)
	v_ashrrev_i32_e32 v103, 31, v102
	s_waitcnt vmcnt(0)
	v_add_co_u32 v0, vcc_lo, v2, s4
	v_add_co_ci_u32_e32 v104, vcc_lo, s5, v3, vcc_lo
	v_lshlrev_b64 v[2:3], 4, v[100:101]
	v_add_co_u32 v152, vcc_lo, v0, v6
	s_delay_alu instid0(VALU_DEP_3)
	v_add_co_ci_u32_e32 v153, vcc_lo, v104, v7, vcc_lo
	v_add_co_u32 v150, vcc_lo, v0, v8
	v_add_co_ci_u32_e32 v151, vcc_lo, v104, v9, vcc_lo
	v_add_co_u32 v148, vcc_lo, v0, v4
	v_add_co_ci_u32_e32 v149, vcc_lo, v104, v5, vcc_lo
	v_add_co_u32 v146, vcc_lo, v0, v10
	v_add_co_ci_u32_e32 v147, vcc_lo, v104, v11, vcc_lo
	v_add_co_u32 v144, vcc_lo, v0, v14
	v_add_co_ci_u32_e32 v145, vcc_lo, v104, v15, vcc_lo
	v_add_co_u32 v142, vcc_lo, v0, v16
	v_add_co_ci_u32_e32 v143, vcc_lo, v104, v17, vcc_lo
	v_add_co_u32 v140, vcc_lo, v0, v12
	v_add_co_ci_u32_e32 v141, vcc_lo, v104, v13, vcc_lo
	v_add_co_u32 v138, vcc_lo, v0, v18
	v_add_co_ci_u32_e32 v139, vcc_lo, v104, v19, vcc_lo
	v_add_co_u32 v136, vcc_lo, v0, v22
	v_add_co_ci_u32_e32 v137, vcc_lo, v104, v23, vcc_lo
	v_add_co_u32 v134, vcc_lo, v0, v24
	v_add_co_ci_u32_e32 v135, vcc_lo, v104, v25, vcc_lo
	v_add_co_u32 v132, vcc_lo, v0, v20
	v_add_co_ci_u32_e32 v133, vcc_lo, v104, v21, vcc_lo
	v_add_co_u32 v130, vcc_lo, v0, v26
	v_add_co_ci_u32_e32 v131, vcc_lo, v104, v27, vcc_lo
	v_add_co_u32 v128, vcc_lo, v0, v30
	v_add_co_ci_u32_e32 v129, vcc_lo, v104, v31, vcc_lo
	v_add_co_u32 v126, vcc_lo, v0, v32
	v_add_co_ci_u32_e32 v127, vcc_lo, v104, v33, vcc_lo
	v_add_co_u32 v124, vcc_lo, v0, v28
	v_add_co_ci_u32_e32 v125, vcc_lo, v104, v29, vcc_lo
	v_add_co_u32 v122, vcc_lo, v0, v34
	v_add_co_ci_u32_e32 v123, vcc_lo, v104, v35, vcc_lo
	v_add_co_u32 v120, vcc_lo, v0, v38
	v_add_co_ci_u32_e32 v121, vcc_lo, v104, v39, vcc_lo
	v_add_co_u32 v118, vcc_lo, v0, v40
	v_add_co_ci_u32_e32 v119, vcc_lo, v104, v41, vcc_lo
	v_add_co_u32 v116, vcc_lo, v0, v36
	v_add_co_ci_u32_e32 v117, vcc_lo, v104, v37, vcc_lo
	v_add_co_u32 v114, vcc_lo, v0, v42
	v_add_co_ci_u32_e32 v115, vcc_lo, v104, v43, vcc_lo
	v_add_co_u32 v112, vcc_lo, v0, v46
	v_add_co_ci_u32_e32 v113, vcc_lo, v104, v47, vcc_lo
	v_add_co_u32 v110, vcc_lo, v0, v48
	v_add_co_ci_u32_e32 v111, vcc_lo, v104, v49, vcc_lo
	v_add_co_u32 v108, vcc_lo, v0, v44
	v_add_co_ci_u32_e32 v109, vcc_lo, v104, v45, vcc_lo
	v_add_co_u32 v106, vcc_lo, v0, v50
	v_add_co_ci_u32_e32 v107, vcc_lo, v104, v51, vcc_lo
	v_add_co_u32 v100, vcc_lo, v0, v54
	v_add_co_ci_u32_e32 v101, vcc_lo, v104, v55, vcc_lo
	v_add_co_u32 v56, vcc_lo, v0, v56
	v_add_co_ci_u32_e32 v57, vcc_lo, v104, v57, vcc_lo
	v_add_co_u32 v54, vcc_lo, v0, v52
	v_add_co_ci_u32_e32 v55, vcc_lo, v104, v53, vcc_lo
	v_add_co_u32 v52, vcc_lo, v0, v58
	v_add_co_ci_u32_e32 v53, vcc_lo, v104, v59, vcc_lo
	v_add_co_u32 v50, vcc_lo, v0, v62
	v_add_co_ci_u32_e32 v51, vcc_lo, v104, v63, vcc_lo
	v_add_co_u32 v48, vcc_lo, v0, v64
	v_add_co_ci_u32_e32 v49, vcc_lo, v104, v65, vcc_lo
	v_add_co_u32 v46, vcc_lo, v0, v60
	v_add_co_ci_u32_e32 v47, vcc_lo, v104, v61, vcc_lo
	v_add_co_u32 v44, vcc_lo, v0, v68
	v_add_co_ci_u32_e32 v45, vcc_lo, v104, v69, vcc_lo
	v_add_co_u32 v42, vcc_lo, v0, v70
	v_add_co_ci_u32_e32 v43, vcc_lo, v104, v71, vcc_lo
	v_add_co_u32 v40, vcc_lo, v0, v72
	v_add_co_ci_u32_e32 v41, vcc_lo, v104, v73, vcc_lo
	v_add_co_u32 v38, vcc_lo, v0, v74
	v_add_co_ci_u32_e32 v39, vcc_lo, v104, v75, vcc_lo
	v_add_co_u32 v36, vcc_lo, v0, v76
	v_add_co_ci_u32_e32 v37, vcc_lo, v104, v77, vcc_lo
	v_add_co_u32 v34, vcc_lo, v0, v78
	v_add_co_ci_u32_e32 v35, vcc_lo, v104, v79, vcc_lo
	v_add_co_u32 v32, vcc_lo, v0, v80
	v_add_co_ci_u32_e32 v33, vcc_lo, v104, v81, vcc_lo
	v_add_co_u32 v30, vcc_lo, v0, v82
	v_add_co_ci_u32_e32 v31, vcc_lo, v104, v83, vcc_lo
	v_add_co_u32 v28, vcc_lo, v0, v84
	v_add_co_ci_u32_e32 v29, vcc_lo, v104, v85, vcc_lo
	v_add_co_u32 v26, vcc_lo, v0, v86
	v_add_co_ci_u32_e32 v27, vcc_lo, v104, v87, vcc_lo
	v_add_co_u32 v24, vcc_lo, v0, v66
	v_add_co_ci_u32_e32 v25, vcc_lo, v104, v67, vcc_lo
	v_add_co_u32 v18, vcc_lo, v0, v88
	v_add_co_ci_u32_e32 v19, vcc_lo, v104, v89, vcc_lo
	v_add_co_u32 v12, vcc_lo, v0, v90
	v_add_co_ci_u32_e32 v13, vcc_lo, v104, v91, vcc_lo
	v_add_co_u32 v206, vcc_lo, v0, v92
	v_add_co_ci_u32_e32 v207, vcc_lo, v104, v93, vcc_lo
	v_add_co_u32 v252, vcc_lo, v0, v94
	v_add_co_ci_u32_e32 v253, vcc_lo, v104, v95, vcc_lo
	v_add_nc_u32_e32 v4, s2, v102
	v_add_co_u32 v10, vcc_lo, v0, v96
	v_add_co_ci_u32_e32 v11, vcc_lo, v104, v97, vcc_lo
	v_add_co_u32 v210, vcc_lo, v0, v98
	v_lshlrev_b64 v[6:7], 4, v[102:103]
	v_add_nc_u32_e32 v8, s2, v4
	v_add_co_ci_u32_e32 v211, vcc_lo, v104, v99, vcc_lo
	v_ashrrev_i32_e32 v5, 31, v4
	v_add_co_u32 v16, vcc_lo, v0, v2
	v_add_co_ci_u32_e32 v17, vcc_lo, v104, v3, vcc_lo
	v_add_co_u32 v14, vcc_lo, v0, v6
	v_add_nc_u32_e32 v6, s2, v8
	v_lshlrev_b64 v[2:3], 4, v[4:5]
	v_ashrrev_i32_e32 v9, 31, v8
	v_add_co_ci_u32_e32 v15, vcc_lo, v104, v7, vcc_lo
	s_delay_alu instid0(VALU_DEP_4) | instskip(NEXT) | instid1(VALU_DEP_3)
	v_ashrrev_i32_e32 v7, 31, v6
	v_lshlrev_b64 v[4:5], 4, v[8:9]
	v_add_co_u32 v22, vcc_lo, v0, v2
	v_add_co_ci_u32_e32 v23, vcc_lo, v104, v3, vcc_lo
	s_delay_alu instid0(VALU_DEP_4) | instskip(NEXT) | instid1(VALU_DEP_4)
	v_lshlrev_b64 v[2:3], 4, v[6:7]
	v_add_co_u32 v20, vcc_lo, v0, v4
	v_add_co_ci_u32_e32 v21, vcc_lo, v104, v5, vcc_lo
	s_delay_alu instid0(VALU_DEP_3) | instskip(SKIP_2) | instid1(VALU_DEP_2)
	v_add_co_u32 v7, vcc_lo, v0, v2
	v_add_nc_u32_e32 v2, s2, v6
	v_add_co_ci_u32_e32 v8, vcc_lo, v104, v3, vcc_lo
	v_ashrrev_i32_e32 v3, 31, v2
	s_delay_alu instid0(VALU_DEP_1) | instskip(SKIP_1) | instid1(VALU_DEP_2)
	v_lshlrev_b64 v[3:4], 4, v[2:3]
	v_add_nc_u32_e32 v2, s2, v2
	v_add_co_u32 v5, vcc_lo, v0, v3
	s_delay_alu instid0(VALU_DEP_2) | instskip(NEXT) | instid1(VALU_DEP_4)
	v_ashrrev_i32_e32 v3, 31, v2
	v_add_co_ci_u32_e32 v6, vcc_lo, v104, v4, vcc_lo
	s_delay_alu instid0(VALU_DEP_2) | instskip(SKIP_1) | instid1(VALU_DEP_2)
	v_lshlrev_b64 v[3:4], 4, v[2:3]
	v_add_nc_u32_e32 v2, s2, v2
	v_add_co_u32 v204, vcc_lo, v0, v3
	s_delay_alu instid0(VALU_DEP_2) | instskip(NEXT) | instid1(VALU_DEP_4)
	v_ashrrev_i32_e32 v3, 31, v2
	v_add_co_ci_u32_e32 v205, vcc_lo, v104, v4, vcc_lo
	s_delay_alu instid0(VALU_DEP_2) | instskip(SKIP_2) | instid1(VALU_DEP_2)
	v_lshlrev_b64 v[3:4], 4, v[2:3]
	v_add_nc_u32_e32 v2, s2, v2
	s_lshl_b64 s[2:3], s[2:3], 4
	v_add_co_u32 v208, vcc_lo, v0, v3
	s_delay_alu instid0(VALU_DEP_2) | instskip(NEXT) | instid1(VALU_DEP_4)
	v_ashrrev_i32_e32 v3, 31, v2
	v_add_co_ci_u32_e32 v209, vcc_lo, v104, v4, vcc_lo
	s_delay_alu instid0(VALU_DEP_2) | instskip(NEXT) | instid1(VALU_DEP_1)
	v_lshlrev_b64 v[2:3], 4, v[2:3]
	v_add_co_u32 v212, vcc_lo, v0, v2
	v_lshlrev_b32_e32 v2, 4, v105
	s_delay_alu instid0(VALU_DEP_3) | instskip(NEXT) | instid1(VALU_DEP_2)
	v_add_co_ci_u32_e32 v213, vcc_lo, v104, v3, vcc_lo
	v_add_co_u32 v2, vcc_lo, v0, v2
	v_add_co_ci_u32_e32 v3, vcc_lo, 0, v104, vcc_lo
	v_lshlrev_b32_e32 v0, 4, v1
	s_delay_alu instid0(VALU_DEP_3) | instskip(NEXT) | instid1(VALU_DEP_3)
	v_add_co_u32 v58, vcc_lo, v2, s2
	v_add_co_ci_u32_e32 v59, vcc_lo, s3, v3, vcc_lo
	s_delay_alu instid0(VALU_DEP_3)
	v_add3_u32 v215, 0, s8, v0
	s_clause 0x1
	scratch_store_b32 off, v105, off offset:128
	scratch_store_b64 off, v[2:3], off offset:564
	global_load_b128 v[0:3], v[2:3], off
	v_cmp_ne_u32_e64 s3, 0, v105
	v_cmp_eq_u32_e64 s2, 0, v105
	s_waitcnt vmcnt(0)
	s_clause 0x1
	scratch_store_b128 off, v[0:3], off offset:112
	scratch_store_b64 off, v[58:59], off offset:572
	global_load_b128 v[0:3], v[58:59], off
	s_waitcnt vmcnt(0)
	s_clause 0x1
	scratch_store_b128 off, v[0:3], off offset:96
	scratch_store_b64 off, v[152:153], off offset:556
	global_load_b128 v[0:3], v[152:153], off
	s_waitcnt vmcnt(0)
	s_clause 0x1
	scratch_store_b128 off, v[0:3], off offset:80
	scratch_store_b64 off, v[150:151], off offset:548
	global_load_b128 v[0:3], v[150:151], off
	s_waitcnt vmcnt(0)
	s_clause 0x1
	scratch_store_b128 off, v[0:3], off offset:64
	scratch_store_b64 off, v[148:149], off offset:540
	global_load_b128 v[0:3], v[148:149], off
	s_waitcnt vmcnt(0)
	s_clause 0x1
	scratch_store_b128 off, v[0:3], off offset:48
	scratch_store_b64 off, v[146:147], off offset:532
	global_load_b128 v[0:3], v[146:147], off
	s_waitcnt vmcnt(0)
	s_clause 0x1
	scratch_store_b128 off, v[0:3], off offset:32
	scratch_store_b64 off, v[144:145], off offset:524
	global_load_b128 v[0:3], v[144:145], off
	s_waitcnt vmcnt(0)
	s_clause 0x1
	scratch_store_b128 off, v[0:3], off offset:16
	scratch_store_b64 off, v[142:143], off offset:516
	global_load_b128 v[0:3], v[142:143], off
	s_waitcnt vmcnt(0)
	s_clause 0x1f
	scratch_store_b128 off, v[0:3], off
	scratch_store_b64 off, v[140:141], off offset:508
	scratch_store_b64 off, v[138:139], off offset:500
	;; [unrolled: 1-line block ×31, first 2 shown]
	s_clause 0x7
	scratch_store_b64 off, v[34:35], off offset:268
	scratch_store_b64 off, v[32:33], off offset:252
	;; [unrolled: 1-line block ×8, first 2 shown]
	s_clause 0x1f
	global_load_b128 v[200:203], v[140:141], off
	global_load_b128 v[196:199], v[138:139], off
	;; [unrolled: 1-line block ×32, first 2 shown]
	s_clause 0x7
	global_load_b128 v[72:75], v[30:31], off
	global_load_b128 v[68:71], v[28:29], off
	;; [unrolled: 1-line block ×8, first 2 shown]
	scratch_store_b64 off, v[10:11], off offset:132 ; 8-byte Folded Spill
	s_clause 0x3
	global_load_b128 v[40:43], v[10:11], off
	global_load_b128 v[36:39], v[210:211], off
	;; [unrolled: 1-line block ×4, first 2 shown]
	s_clause 0x7
	scratch_store_b64 off, v[14:15], off offset:148
	scratch_store_b64 off, v[7:8], off offset:156
	scratch_store_b64 off, v[16:17], off offset:164
	scratch_store_b64 off, v[20:21], off offset:180
	scratch_store_b64 off, v[22:23], off offset:188
	scratch_store_b64 off, v[5:6], off offset:204
	scratch_store_b64 off, v[204:205], off offset:220
	scratch_store_b64 off, v[208:209], off offset:244
	s_clause 0x6
	global_load_b128 v[24:27], v[22:23], off
	global_load_b128 v[16:19], v[7:8], off
	;; [unrolled: 1-line block ×7, first 2 shown]
	v_mov_b32_e32 v209, v215
	scratch_store_b64 off, v[212:213], off offset:260 ; 8-byte Folded Spill
	s_and_saveexec_b32 s5, s2
	s_cbranch_execz .LBB117_8
; %bb.2:
	scratch_load_b128 v[215:218], off, off offset:112 ; 16-byte Folded Reload
	s_waitcnt vmcnt(0)
	ds_store_2addr_b64 v209, v[215:216], v[217:218] offset1:1
	scratch_load_b128 v[215:218], off, off offset:96 ; 16-byte Folded Reload
	s_waitcnt vmcnt(0)
	ds_store_2addr_b64 v214, v[215:216], v[217:218] offset0:2 offset1:3
	scratch_load_b128 v[215:218], off, off offset:80 ; 16-byte Folded Reload
	s_waitcnt vmcnt(0)
	ds_store_2addr_b64 v214, v[215:216], v[217:218] offset0:4 offset1:5
	scratch_load_b128 v[215:218], off, off offset:64 ; 16-byte Folded Reload
	s_waitcnt vmcnt(0)
	ds_store_2addr_b64 v214, v[215:216], v[217:218] offset0:6 offset1:7
	scratch_load_b128 v[215:218], off, off offset:48 ; 16-byte Folded Reload
	s_waitcnt vmcnt(0)
	ds_store_2addr_b64 v214, v[215:216], v[217:218] offset0:8 offset1:9
	scratch_load_b128 v[215:218], off, off offset:32 ; 16-byte Folded Reload
	s_waitcnt vmcnt(0)
	ds_store_2addr_b64 v214, v[215:216], v[217:218] offset0:10 offset1:11
	scratch_load_b128 v[215:218], off, off offset:16 ; 16-byte Folded Reload
	s_waitcnt vmcnt(0)
	ds_store_2addr_b64 v214, v[215:216], v[217:218] offset0:12 offset1:13
	scratch_load_b128 v[215:218], off, off  ; 16-byte Folded Reload
	s_waitcnt vmcnt(0)
	ds_store_2addr_b64 v214, v[215:216], v[217:218] offset0:14 offset1:15
	ds_store_2addr_b64 v214, v[200:201], v[202:203] offset0:16 offset1:17
	;; [unrolled: 1-line block ×52, first 2 shown]
	ds_load_2addr_b64 v[216:219], v209 offset1:1
	s_waitcnt lgkmcnt(0)
	v_cmp_neq_f64_e32 vcc_lo, 0, v[216:217]
	v_cmp_neq_f64_e64 s4, 0, v[218:219]
	s_delay_alu instid0(VALU_DEP_1) | instskip(NEXT) | instid1(SALU_CYCLE_1)
	s_or_b32 s4, vcc_lo, s4
	s_and_b32 exec_lo, exec_lo, s4
	s_cbranch_execz .LBB117_8
; %bb.3:
	v_cmp_gt_f64_e32 vcc_lo, 0, v[216:217]
	v_xor_b32_e32 v212, 0x80000000, v217
	v_xor_b32_e32 v215, 0x80000000, v219
	s_delay_alu instid0(VALU_DEP_2) | instskip(SKIP_2) | instid1(VALU_DEP_4)
	v_cndmask_b32_e32 v213, v217, v212, vcc_lo
	v_cndmask_b32_e32 v212, v216, v216, vcc_lo
	v_cmp_gt_f64_e32 vcc_lo, 0, v[218:219]
	v_dual_cndmask_b32 v221, v219, v215 :: v_dual_cndmask_b32 v220, v218, v218
	s_delay_alu instid0(VALU_DEP_1) | instskip(SKIP_1) | instid1(SALU_CYCLE_1)
	v_cmp_ngt_f64_e32 vcc_lo, v[212:213], v[220:221]
                                        ; implicit-def: $vgpr212_vgpr213
	s_and_saveexec_b32 s4, vcc_lo
	s_xor_b32 s4, exec_lo, s4
                                        ; implicit-def: $vgpr220_vgpr221_vgpr222_vgpr223
	s_cbranch_execz .LBB117_5
; %bb.4:
	v_div_scale_f64 v[212:213], null, v[218:219], v[218:219], v[216:217]
	v_div_scale_f64 v[224:225], vcc_lo, v[216:217], v[218:219], v[216:217]
	s_delay_alu instid0(VALU_DEP_2) | instskip(SKIP_2) | instid1(VALU_DEP_1)
	v_rcp_f64_e32 v[220:221], v[212:213]
	s_waitcnt_depctr 0xfff
	v_fma_f64 v[222:223], -v[212:213], v[220:221], 1.0
	v_fma_f64 v[220:221], v[220:221], v[222:223], v[220:221]
	s_delay_alu instid0(VALU_DEP_1) | instskip(NEXT) | instid1(VALU_DEP_1)
	v_fma_f64 v[222:223], -v[212:213], v[220:221], 1.0
	v_fma_f64 v[220:221], v[220:221], v[222:223], v[220:221]
	s_delay_alu instid0(VALU_DEP_1) | instskip(NEXT) | instid1(VALU_DEP_1)
	v_mul_f64 v[222:223], v[224:225], v[220:221]
	v_fma_f64 v[212:213], -v[212:213], v[222:223], v[224:225]
	s_delay_alu instid0(VALU_DEP_1) | instskip(NEXT) | instid1(VALU_DEP_1)
	v_div_fmas_f64 v[212:213], v[212:213], v[220:221], v[222:223]
	v_div_fixup_f64 v[212:213], v[212:213], v[218:219], v[216:217]
	s_delay_alu instid0(VALU_DEP_1) | instskip(NEXT) | instid1(VALU_DEP_1)
	v_fma_f64 v[216:217], v[216:217], v[212:213], v[218:219]
	v_div_scale_f64 v[218:219], null, v[216:217], v[216:217], 1.0
	s_delay_alu instid0(VALU_DEP_1) | instskip(SKIP_2) | instid1(VALU_DEP_1)
	v_rcp_f64_e32 v[220:221], v[218:219]
	s_waitcnt_depctr 0xfff
	v_fma_f64 v[222:223], -v[218:219], v[220:221], 1.0
	v_fma_f64 v[220:221], v[220:221], v[222:223], v[220:221]
	s_delay_alu instid0(VALU_DEP_1) | instskip(NEXT) | instid1(VALU_DEP_1)
	v_fma_f64 v[222:223], -v[218:219], v[220:221], 1.0
	v_fma_f64 v[220:221], v[220:221], v[222:223], v[220:221]
	v_div_scale_f64 v[222:223], vcc_lo, 1.0, v[216:217], 1.0
	s_delay_alu instid0(VALU_DEP_1) | instskip(NEXT) | instid1(VALU_DEP_1)
	v_mul_f64 v[224:225], v[222:223], v[220:221]
	v_fma_f64 v[218:219], -v[218:219], v[224:225], v[222:223]
	s_delay_alu instid0(VALU_DEP_1) | instskip(NEXT) | instid1(VALU_DEP_1)
	v_div_fmas_f64 v[218:219], v[218:219], v[220:221], v[224:225]
	v_div_fixup_f64 v[222:223], v[218:219], v[216:217], 1.0
                                        ; implicit-def: $vgpr216_vgpr217
	s_delay_alu instid0(VALU_DEP_1)
	v_mul_f64 v[212:213], v[212:213], v[222:223]
	v_xor_b32_e32 v223, 0x80000000, v223
.LBB117_5:
	s_and_not1_saveexec_b32 s4, s4
	s_cbranch_execz .LBB117_7
; %bb.6:
	v_div_scale_f64 v[212:213], null, v[216:217], v[216:217], v[218:219]
	v_div_scale_f64 v[224:225], vcc_lo, v[218:219], v[216:217], v[218:219]
	s_delay_alu instid0(VALU_DEP_2) | instskip(SKIP_2) | instid1(VALU_DEP_1)
	v_rcp_f64_e32 v[220:221], v[212:213]
	s_waitcnt_depctr 0xfff
	v_fma_f64 v[222:223], -v[212:213], v[220:221], 1.0
	v_fma_f64 v[220:221], v[220:221], v[222:223], v[220:221]
	s_delay_alu instid0(VALU_DEP_1) | instskip(NEXT) | instid1(VALU_DEP_1)
	v_fma_f64 v[222:223], -v[212:213], v[220:221], 1.0
	v_fma_f64 v[220:221], v[220:221], v[222:223], v[220:221]
	s_delay_alu instid0(VALU_DEP_1) | instskip(NEXT) | instid1(VALU_DEP_1)
	v_mul_f64 v[222:223], v[224:225], v[220:221]
	v_fma_f64 v[212:213], -v[212:213], v[222:223], v[224:225]
	s_delay_alu instid0(VALU_DEP_1) | instskip(NEXT) | instid1(VALU_DEP_1)
	v_div_fmas_f64 v[212:213], v[212:213], v[220:221], v[222:223]
	v_div_fixup_f64 v[220:221], v[212:213], v[216:217], v[218:219]
	s_delay_alu instid0(VALU_DEP_1) | instskip(NEXT) | instid1(VALU_DEP_1)
	v_fma_f64 v[212:213], v[218:219], v[220:221], v[216:217]
	v_div_scale_f64 v[216:217], null, v[212:213], v[212:213], 1.0
	s_delay_alu instid0(VALU_DEP_1) | instskip(SKIP_2) | instid1(VALU_DEP_1)
	v_rcp_f64_e32 v[218:219], v[216:217]
	s_waitcnt_depctr 0xfff
	v_fma_f64 v[222:223], -v[216:217], v[218:219], 1.0
	v_fma_f64 v[218:219], v[218:219], v[222:223], v[218:219]
	s_delay_alu instid0(VALU_DEP_1) | instskip(NEXT) | instid1(VALU_DEP_1)
	v_fma_f64 v[222:223], -v[216:217], v[218:219], 1.0
	v_fma_f64 v[218:219], v[218:219], v[222:223], v[218:219]
	v_div_scale_f64 v[222:223], vcc_lo, 1.0, v[212:213], 1.0
	s_delay_alu instid0(VALU_DEP_1) | instskip(NEXT) | instid1(VALU_DEP_1)
	v_mul_f64 v[224:225], v[222:223], v[218:219]
	v_fma_f64 v[216:217], -v[216:217], v[224:225], v[222:223]
	s_delay_alu instid0(VALU_DEP_1) | instskip(NEXT) | instid1(VALU_DEP_1)
	v_div_fmas_f64 v[216:217], v[216:217], v[218:219], v[224:225]
	v_div_fixup_f64 v[212:213], v[216:217], v[212:213], 1.0
	s_delay_alu instid0(VALU_DEP_1)
	v_mul_f64 v[222:223], v[220:221], -v[212:213]
.LBB117_7:
	s_or_b32 exec_lo, exec_lo, s4
	ds_store_2addr_b64 v209, v[212:213], v[222:223] offset1:1
.LBB117_8:
	s_or_b32 exec_lo, exec_lo, s5
	s_waitcnt vmcnt(0) lgkmcnt(0)
	s_waitcnt_vscnt null, 0x0
	s_barrier
	buffer_gl0_inv
	ds_load_2addr_b64 v[204:207], v209 offset1:1
	s_waitcnt lgkmcnt(0)
	scratch_store_b128 off, v[204:207], off offset:588 ; 16-byte Folded Spill
	s_and_saveexec_b32 s4, s3
	s_cbranch_execz .LBB117_10
; %bb.9:
	s_clause 0x1
	scratch_load_b128 v[222:225], off, off offset:112
	scratch_load_b128 v[204:207], off, off offset:588
	ds_load_2addr_b64 v[218:221], v214 offset0:2 offset1:3
	s_waitcnt vmcnt(0)
	v_mul_f64 v[212:213], v[206:207], v[224:225]
	s_delay_alu instid0(VALU_DEP_1) | instskip(SKIP_1) | instid1(VALU_DEP_1)
	v_fma_f64 v[216:217], v[204:205], v[222:223], -v[212:213]
	v_mul_f64 v[212:213], v[204:205], v[224:225]
	v_fma_f64 v[224:225], v[206:207], v[222:223], v[212:213]
	s_waitcnt lgkmcnt(0)
	s_delay_alu instid0(VALU_DEP_1) | instskip(NEXT) | instid1(VALU_DEP_1)
	v_mul_f64 v[212:213], v[220:221], v[224:225]
	v_fma_f64 v[212:213], v[218:219], v[216:217], -v[212:213]
	v_mul_f64 v[218:219], v[218:219], v[224:225]
	s_delay_alu instid0(VALU_DEP_1)
	v_fma_f64 v[218:219], v[220:221], v[216:217], v[218:219]
	scratch_load_b128 v[220:223], off, off offset:96 ; 16-byte Folded Reload
	s_waitcnt vmcnt(0)
	v_add_f64 v[220:221], v[220:221], -v[212:213]
	v_add_f64 v[222:223], v[222:223], -v[218:219]
	scratch_store_b128 off, v[220:223], off offset:96 ; 16-byte Folded Spill
	ds_load_2addr_b64 v[218:221], v214 offset0:4 offset1:5
	s_waitcnt lgkmcnt(0)
	v_mul_f64 v[212:213], v[220:221], v[224:225]
	s_delay_alu instid0(VALU_DEP_1) | instskip(SKIP_1) | instid1(VALU_DEP_1)
	v_fma_f64 v[212:213], v[218:219], v[216:217], -v[212:213]
	v_mul_f64 v[218:219], v[218:219], v[224:225]
	v_fma_f64 v[218:219], v[220:221], v[216:217], v[218:219]
	scratch_load_b128 v[220:223], off, off offset:80 ; 16-byte Folded Reload
	s_waitcnt vmcnt(0)
	v_add_f64 v[220:221], v[220:221], -v[212:213]
	v_add_f64 v[222:223], v[222:223], -v[218:219]
	scratch_store_b128 off, v[220:223], off offset:80 ; 16-byte Folded Spill
	ds_load_2addr_b64 v[218:221], v214 offset0:6 offset1:7
	s_waitcnt lgkmcnt(0)
	v_mul_f64 v[212:213], v[220:221], v[224:225]
	s_delay_alu instid0(VALU_DEP_1) | instskip(SKIP_1) | instid1(VALU_DEP_1)
	v_fma_f64 v[212:213], v[218:219], v[216:217], -v[212:213]
	v_mul_f64 v[218:219], v[218:219], v[224:225]
	;; [unrolled: 12-line block ×6, first 2 shown]
	v_fma_f64 v[218:219], v[220:221], v[216:217], v[218:219]
	scratch_load_b128 v[220:223], off, off  ; 16-byte Folded Reload
	s_waitcnt vmcnt(0)
	v_add_f64 v[220:221], v[220:221], -v[212:213]
	v_add_f64 v[222:223], v[222:223], -v[218:219]
	scratch_store_b128 off, v[220:223], off ; 16-byte Folded Spill
	ds_load_2addr_b64 v[218:221], v214 offset0:16 offset1:17
	v_dual_mov_b32 v223, v217 :: v_dual_mov_b32 v222, v216
	scratch_store_b128 off, v[222:225], off offset:112 ; 16-byte Folded Spill
	s_waitcnt lgkmcnt(0)
	v_mul_f64 v[212:213], v[220:221], v[224:225]
	s_delay_alu instid0(VALU_DEP_1) | instskip(SKIP_1) | instid1(VALU_DEP_2)
	v_fma_f64 v[212:213], v[218:219], v[216:217], -v[212:213]
	v_mul_f64 v[218:219], v[218:219], v[224:225]
	v_add_f64 v[200:201], v[200:201], -v[212:213]
	s_delay_alu instid0(VALU_DEP_2) | instskip(NEXT) | instid1(VALU_DEP_1)
	v_fma_f64 v[218:219], v[220:221], v[216:217], v[218:219]
	v_add_f64 v[202:203], v[202:203], -v[218:219]
	ds_load_2addr_b64 v[218:221], v214 offset0:18 offset1:19
	s_waitcnt lgkmcnt(0)
	v_mul_f64 v[212:213], v[220:221], v[224:225]
	s_delay_alu instid0(VALU_DEP_1) | instskip(SKIP_1) | instid1(VALU_DEP_2)
	v_fma_f64 v[212:213], v[218:219], v[216:217], -v[212:213]
	v_mul_f64 v[218:219], v[218:219], v[224:225]
	v_add_f64 v[196:197], v[196:197], -v[212:213]
	s_delay_alu instid0(VALU_DEP_2) | instskip(NEXT) | instid1(VALU_DEP_1)
	v_fma_f64 v[218:219], v[220:221], v[216:217], v[218:219]
	v_add_f64 v[198:199], v[198:199], -v[218:219]
	ds_load_2addr_b64 v[218:221], v214 offset0:20 offset1:21
	;; [unrolled: 10-line block ×50, first 2 shown]
	s_waitcnt lgkmcnt(0)
	v_mul_f64 v[212:213], v[220:221], v[224:225]
	s_delay_alu instid0(VALU_DEP_1) | instskip(SKIP_1) | instid1(VALU_DEP_2)
	v_fma_f64 v[212:213], v[218:219], v[216:217], -v[212:213]
	v_mul_f64 v[218:219], v[218:219], v[224:225]
	v_add_f64 v[0:1], v[0:1], -v[212:213]
	s_delay_alu instid0(VALU_DEP_2) | instskip(NEXT) | instid1(VALU_DEP_1)
	v_fma_f64 v[218:219], v[220:221], v[216:217], v[218:219]
	v_add_f64 v[2:3], v[2:3], -v[218:219]
.LBB117_10:
	s_or_b32 exec_lo, exec_lo, s4
	scratch_load_b32 v208, off, off offset:128 ; 4-byte Folded Reload
	s_mov_b32 s4, exec_lo
	s_waitcnt vmcnt(0)
	s_waitcnt_vscnt null, 0x0
	s_barrier
	buffer_gl0_inv
	v_cmpx_eq_u32_e32 1, v208
	s_cbranch_execz .LBB117_17
; %bb.11:
	scratch_load_b128 v[215:218], off, off offset:96 ; 16-byte Folded Reload
	s_waitcnt vmcnt(0)
	ds_store_2addr_b64 v209, v[215:216], v[217:218] offset1:1
	scratch_load_b128 v[215:218], off, off offset:80 ; 16-byte Folded Reload
	s_waitcnt vmcnt(0)
	ds_store_2addr_b64 v214, v[215:216], v[217:218] offset0:4 offset1:5
	scratch_load_b128 v[215:218], off, off offset:64 ; 16-byte Folded Reload
	s_waitcnt vmcnt(0)
	ds_store_2addr_b64 v214, v[215:216], v[217:218] offset0:6 offset1:7
	;; [unrolled: 3-line block ×5, first 2 shown]
	scratch_load_b128 v[215:218], off, off  ; 16-byte Folded Reload
	s_waitcnt vmcnt(0)
	ds_store_2addr_b64 v214, v[215:216], v[217:218] offset0:14 offset1:15
	ds_store_2addr_b64 v214, v[200:201], v[202:203] offset0:16 offset1:17
	;; [unrolled: 1-line block ×52, first 2 shown]
	ds_load_2addr_b64 v[216:219], v209 offset1:1
	s_waitcnt lgkmcnt(0)
	v_cmp_neq_f64_e32 vcc_lo, 0, v[216:217]
	v_cmp_neq_f64_e64 s3, 0, v[218:219]
	s_delay_alu instid0(VALU_DEP_1) | instskip(NEXT) | instid1(SALU_CYCLE_1)
	s_or_b32 s3, vcc_lo, s3
	s_and_b32 exec_lo, exec_lo, s3
	s_cbranch_execz .LBB117_17
; %bb.12:
	v_cmp_gt_f64_e32 vcc_lo, 0, v[216:217]
	v_xor_b32_e32 v212, 0x80000000, v217
	v_xor_b32_e32 v215, 0x80000000, v219
	s_delay_alu instid0(VALU_DEP_2) | instskip(SKIP_2) | instid1(VALU_DEP_4)
	v_cndmask_b32_e32 v213, v217, v212, vcc_lo
	v_cndmask_b32_e32 v212, v216, v216, vcc_lo
	v_cmp_gt_f64_e32 vcc_lo, 0, v[218:219]
	v_dual_cndmask_b32 v221, v219, v215 :: v_dual_cndmask_b32 v220, v218, v218
	s_delay_alu instid0(VALU_DEP_1) | instskip(SKIP_1) | instid1(SALU_CYCLE_1)
	v_cmp_ngt_f64_e32 vcc_lo, v[212:213], v[220:221]
                                        ; implicit-def: $vgpr212_vgpr213
	s_and_saveexec_b32 s3, vcc_lo
	s_xor_b32 s3, exec_lo, s3
                                        ; implicit-def: $vgpr220_vgpr221_vgpr222_vgpr223
	s_cbranch_execz .LBB117_14
; %bb.13:
	v_div_scale_f64 v[212:213], null, v[218:219], v[218:219], v[216:217]
	v_div_scale_f64 v[224:225], vcc_lo, v[216:217], v[218:219], v[216:217]
	s_delay_alu instid0(VALU_DEP_2) | instskip(SKIP_2) | instid1(VALU_DEP_1)
	v_rcp_f64_e32 v[220:221], v[212:213]
	s_waitcnt_depctr 0xfff
	v_fma_f64 v[222:223], -v[212:213], v[220:221], 1.0
	v_fma_f64 v[220:221], v[220:221], v[222:223], v[220:221]
	s_delay_alu instid0(VALU_DEP_1) | instskip(NEXT) | instid1(VALU_DEP_1)
	v_fma_f64 v[222:223], -v[212:213], v[220:221], 1.0
	v_fma_f64 v[220:221], v[220:221], v[222:223], v[220:221]
	s_delay_alu instid0(VALU_DEP_1) | instskip(NEXT) | instid1(VALU_DEP_1)
	v_mul_f64 v[222:223], v[224:225], v[220:221]
	v_fma_f64 v[212:213], -v[212:213], v[222:223], v[224:225]
	s_delay_alu instid0(VALU_DEP_1) | instskip(NEXT) | instid1(VALU_DEP_1)
	v_div_fmas_f64 v[212:213], v[212:213], v[220:221], v[222:223]
	v_div_fixup_f64 v[212:213], v[212:213], v[218:219], v[216:217]
	s_delay_alu instid0(VALU_DEP_1) | instskip(NEXT) | instid1(VALU_DEP_1)
	v_fma_f64 v[216:217], v[216:217], v[212:213], v[218:219]
	v_div_scale_f64 v[218:219], null, v[216:217], v[216:217], 1.0
	s_delay_alu instid0(VALU_DEP_1) | instskip(SKIP_2) | instid1(VALU_DEP_1)
	v_rcp_f64_e32 v[220:221], v[218:219]
	s_waitcnt_depctr 0xfff
	v_fma_f64 v[222:223], -v[218:219], v[220:221], 1.0
	v_fma_f64 v[220:221], v[220:221], v[222:223], v[220:221]
	s_delay_alu instid0(VALU_DEP_1) | instskip(NEXT) | instid1(VALU_DEP_1)
	v_fma_f64 v[222:223], -v[218:219], v[220:221], 1.0
	v_fma_f64 v[220:221], v[220:221], v[222:223], v[220:221]
	v_div_scale_f64 v[222:223], vcc_lo, 1.0, v[216:217], 1.0
	s_delay_alu instid0(VALU_DEP_1) | instskip(NEXT) | instid1(VALU_DEP_1)
	v_mul_f64 v[224:225], v[222:223], v[220:221]
	v_fma_f64 v[218:219], -v[218:219], v[224:225], v[222:223]
	s_delay_alu instid0(VALU_DEP_1) | instskip(NEXT) | instid1(VALU_DEP_1)
	v_div_fmas_f64 v[218:219], v[218:219], v[220:221], v[224:225]
	v_div_fixup_f64 v[222:223], v[218:219], v[216:217], 1.0
                                        ; implicit-def: $vgpr216_vgpr217
	s_delay_alu instid0(VALU_DEP_1)
	v_mul_f64 v[212:213], v[212:213], v[222:223]
	v_xor_b32_e32 v223, 0x80000000, v223
.LBB117_14:
	s_and_not1_saveexec_b32 s3, s3
	s_cbranch_execz .LBB117_16
; %bb.15:
	v_div_scale_f64 v[212:213], null, v[216:217], v[216:217], v[218:219]
	v_div_scale_f64 v[224:225], vcc_lo, v[218:219], v[216:217], v[218:219]
	s_delay_alu instid0(VALU_DEP_2) | instskip(SKIP_2) | instid1(VALU_DEP_1)
	v_rcp_f64_e32 v[220:221], v[212:213]
	s_waitcnt_depctr 0xfff
	v_fma_f64 v[222:223], -v[212:213], v[220:221], 1.0
	v_fma_f64 v[220:221], v[220:221], v[222:223], v[220:221]
	s_delay_alu instid0(VALU_DEP_1) | instskip(NEXT) | instid1(VALU_DEP_1)
	v_fma_f64 v[222:223], -v[212:213], v[220:221], 1.0
	v_fma_f64 v[220:221], v[220:221], v[222:223], v[220:221]
	s_delay_alu instid0(VALU_DEP_1) | instskip(NEXT) | instid1(VALU_DEP_1)
	v_mul_f64 v[222:223], v[224:225], v[220:221]
	v_fma_f64 v[212:213], -v[212:213], v[222:223], v[224:225]
	s_delay_alu instid0(VALU_DEP_1) | instskip(NEXT) | instid1(VALU_DEP_1)
	v_div_fmas_f64 v[212:213], v[212:213], v[220:221], v[222:223]
	v_div_fixup_f64 v[220:221], v[212:213], v[216:217], v[218:219]
	s_delay_alu instid0(VALU_DEP_1) | instskip(NEXT) | instid1(VALU_DEP_1)
	v_fma_f64 v[212:213], v[218:219], v[220:221], v[216:217]
	v_div_scale_f64 v[216:217], null, v[212:213], v[212:213], 1.0
	s_delay_alu instid0(VALU_DEP_1) | instskip(SKIP_2) | instid1(VALU_DEP_1)
	v_rcp_f64_e32 v[218:219], v[216:217]
	s_waitcnt_depctr 0xfff
	v_fma_f64 v[222:223], -v[216:217], v[218:219], 1.0
	v_fma_f64 v[218:219], v[218:219], v[222:223], v[218:219]
	s_delay_alu instid0(VALU_DEP_1) | instskip(NEXT) | instid1(VALU_DEP_1)
	v_fma_f64 v[222:223], -v[216:217], v[218:219], 1.0
	v_fma_f64 v[218:219], v[218:219], v[222:223], v[218:219]
	v_div_scale_f64 v[222:223], vcc_lo, 1.0, v[212:213], 1.0
	s_delay_alu instid0(VALU_DEP_1) | instskip(NEXT) | instid1(VALU_DEP_1)
	v_mul_f64 v[224:225], v[222:223], v[218:219]
	v_fma_f64 v[216:217], -v[216:217], v[224:225], v[222:223]
	s_delay_alu instid0(VALU_DEP_1) | instskip(NEXT) | instid1(VALU_DEP_1)
	v_div_fmas_f64 v[216:217], v[216:217], v[218:219], v[224:225]
	v_div_fixup_f64 v[212:213], v[216:217], v[212:213], 1.0
	s_delay_alu instid0(VALU_DEP_1)
	v_mul_f64 v[222:223], v[220:221], -v[212:213]
.LBB117_16:
	s_or_b32 exec_lo, exec_lo, s3
	ds_store_2addr_b64 v209, v[212:213], v[222:223] offset1:1
.LBB117_17:
	s_or_b32 exec_lo, exec_lo, s4
	s_waitcnt lgkmcnt(0)
	s_barrier
	buffer_gl0_inv
	ds_load_2addr_b64 v[204:207], v209 offset1:1
	s_mov_b32 s3, exec_lo
	s_waitcnt lgkmcnt(0)
	scratch_store_b128 off, v[204:207], off offset:604 ; 16-byte Folded Spill
	v_cmpx_lt_u32_e32 1, v208
	s_cbranch_execz .LBB117_19
; %bb.18:
	s_clause 0x1
	scratch_load_b128 v[222:225], off, off offset:96
	scratch_load_b128 v[204:207], off, off offset:604
	ds_load_2addr_b64 v[218:221], v214 offset0:4 offset1:5
	s_waitcnt vmcnt(0)
	v_mul_f64 v[212:213], v[206:207], v[224:225]
	s_delay_alu instid0(VALU_DEP_1) | instskip(SKIP_1) | instid1(VALU_DEP_1)
	v_fma_f64 v[216:217], v[204:205], v[222:223], -v[212:213]
	v_mul_f64 v[212:213], v[204:205], v[224:225]
	v_fma_f64 v[224:225], v[206:207], v[222:223], v[212:213]
	s_waitcnt lgkmcnt(0)
	s_delay_alu instid0(VALU_DEP_1) | instskip(NEXT) | instid1(VALU_DEP_1)
	v_mul_f64 v[212:213], v[220:221], v[224:225]
	v_fma_f64 v[212:213], v[218:219], v[216:217], -v[212:213]
	v_mul_f64 v[218:219], v[218:219], v[224:225]
	s_delay_alu instid0(VALU_DEP_1)
	v_fma_f64 v[218:219], v[220:221], v[216:217], v[218:219]
	scratch_load_b128 v[220:223], off, off offset:80 ; 16-byte Folded Reload
	s_waitcnt vmcnt(0)
	v_add_f64 v[220:221], v[220:221], -v[212:213]
	v_add_f64 v[222:223], v[222:223], -v[218:219]
	scratch_store_b128 off, v[220:223], off offset:80 ; 16-byte Folded Spill
	ds_load_2addr_b64 v[218:221], v214 offset0:6 offset1:7
	s_waitcnt lgkmcnt(0)
	v_mul_f64 v[212:213], v[220:221], v[224:225]
	s_delay_alu instid0(VALU_DEP_1) | instskip(SKIP_1) | instid1(VALU_DEP_1)
	v_fma_f64 v[212:213], v[218:219], v[216:217], -v[212:213]
	v_mul_f64 v[218:219], v[218:219], v[224:225]
	v_fma_f64 v[218:219], v[220:221], v[216:217], v[218:219]
	scratch_load_b128 v[220:223], off, off offset:64 ; 16-byte Folded Reload
	s_waitcnt vmcnt(0)
	v_add_f64 v[220:221], v[220:221], -v[212:213]
	v_add_f64 v[222:223], v[222:223], -v[218:219]
	scratch_store_b128 off, v[220:223], off offset:64 ; 16-byte Folded Spill
	ds_load_2addr_b64 v[218:221], v214 offset0:8 offset1:9
	s_waitcnt lgkmcnt(0)
	v_mul_f64 v[212:213], v[220:221], v[224:225]
	s_delay_alu instid0(VALU_DEP_1) | instskip(SKIP_1) | instid1(VALU_DEP_1)
	v_fma_f64 v[212:213], v[218:219], v[216:217], -v[212:213]
	v_mul_f64 v[218:219], v[218:219], v[224:225]
	;; [unrolled: 12-line block ×5, first 2 shown]
	v_fma_f64 v[218:219], v[220:221], v[216:217], v[218:219]
	scratch_load_b128 v[220:223], off, off  ; 16-byte Folded Reload
	s_waitcnt vmcnt(0)
	v_add_f64 v[220:221], v[220:221], -v[212:213]
	v_add_f64 v[222:223], v[222:223], -v[218:219]
	scratch_store_b128 off, v[220:223], off ; 16-byte Folded Spill
	ds_load_2addr_b64 v[218:221], v214 offset0:16 offset1:17
	v_dual_mov_b32 v223, v217 :: v_dual_mov_b32 v222, v216
	scratch_store_b128 off, v[222:225], off offset:96 ; 16-byte Folded Spill
	s_waitcnt lgkmcnt(0)
	v_mul_f64 v[212:213], v[220:221], v[224:225]
	s_delay_alu instid0(VALU_DEP_1) | instskip(SKIP_1) | instid1(VALU_DEP_2)
	v_fma_f64 v[212:213], v[218:219], v[216:217], -v[212:213]
	v_mul_f64 v[218:219], v[218:219], v[224:225]
	v_add_f64 v[200:201], v[200:201], -v[212:213]
	s_delay_alu instid0(VALU_DEP_2) | instskip(NEXT) | instid1(VALU_DEP_1)
	v_fma_f64 v[218:219], v[220:221], v[216:217], v[218:219]
	v_add_f64 v[202:203], v[202:203], -v[218:219]
	ds_load_2addr_b64 v[218:221], v214 offset0:18 offset1:19
	s_waitcnt lgkmcnt(0)
	v_mul_f64 v[212:213], v[220:221], v[224:225]
	s_delay_alu instid0(VALU_DEP_1) | instskip(SKIP_1) | instid1(VALU_DEP_2)
	v_fma_f64 v[212:213], v[218:219], v[216:217], -v[212:213]
	v_mul_f64 v[218:219], v[218:219], v[224:225]
	v_add_f64 v[196:197], v[196:197], -v[212:213]
	s_delay_alu instid0(VALU_DEP_2) | instskip(NEXT) | instid1(VALU_DEP_1)
	v_fma_f64 v[218:219], v[220:221], v[216:217], v[218:219]
	v_add_f64 v[198:199], v[198:199], -v[218:219]
	ds_load_2addr_b64 v[218:221], v214 offset0:20 offset1:21
	;; [unrolled: 10-line block ×50, first 2 shown]
	s_waitcnt lgkmcnt(0)
	v_mul_f64 v[212:213], v[220:221], v[224:225]
	s_delay_alu instid0(VALU_DEP_1) | instskip(SKIP_1) | instid1(VALU_DEP_2)
	v_fma_f64 v[212:213], v[218:219], v[216:217], -v[212:213]
	v_mul_f64 v[218:219], v[218:219], v[224:225]
	v_add_f64 v[0:1], v[0:1], -v[212:213]
	s_delay_alu instid0(VALU_DEP_2) | instskip(NEXT) | instid1(VALU_DEP_1)
	v_fma_f64 v[218:219], v[220:221], v[216:217], v[218:219]
	v_add_f64 v[2:3], v[2:3], -v[218:219]
.LBB117_19:
	s_or_b32 exec_lo, exec_lo, s3
	s_delay_alu instid0(SALU_CYCLE_1)
	s_mov_b32 s4, exec_lo
	s_waitcnt_vscnt null, 0x0
	s_barrier
	buffer_gl0_inv
	v_cmpx_eq_u32_e32 2, v208
	s_cbranch_execz .LBB117_26
; %bb.20:
	scratch_load_b128 v[215:218], off, off offset:80 ; 16-byte Folded Reload
	s_waitcnt vmcnt(0)
	ds_store_2addr_b64 v209, v[215:216], v[217:218] offset1:1
	scratch_load_b128 v[215:218], off, off offset:64 ; 16-byte Folded Reload
	s_waitcnt vmcnt(0)
	ds_store_2addr_b64 v214, v[215:216], v[217:218] offset0:6 offset1:7
	scratch_load_b128 v[215:218], off, off offset:48 ; 16-byte Folded Reload
	s_waitcnt vmcnt(0)
	ds_store_2addr_b64 v214, v[215:216], v[217:218] offset0:8 offset1:9
	;; [unrolled: 3-line block ×4, first 2 shown]
	scratch_load_b128 v[215:218], off, off  ; 16-byte Folded Reload
	s_waitcnt vmcnt(0)
	ds_store_2addr_b64 v214, v[215:216], v[217:218] offset0:14 offset1:15
	ds_store_2addr_b64 v214, v[200:201], v[202:203] offset0:16 offset1:17
	;; [unrolled: 1-line block ×52, first 2 shown]
	ds_load_2addr_b64 v[216:219], v209 offset1:1
	s_waitcnt lgkmcnt(0)
	v_cmp_neq_f64_e32 vcc_lo, 0, v[216:217]
	v_cmp_neq_f64_e64 s3, 0, v[218:219]
	s_delay_alu instid0(VALU_DEP_1) | instskip(NEXT) | instid1(SALU_CYCLE_1)
	s_or_b32 s3, vcc_lo, s3
	s_and_b32 exec_lo, exec_lo, s3
	s_cbranch_execz .LBB117_26
; %bb.21:
	v_cmp_gt_f64_e32 vcc_lo, 0, v[216:217]
	v_xor_b32_e32 v212, 0x80000000, v217
	v_xor_b32_e32 v215, 0x80000000, v219
	s_delay_alu instid0(VALU_DEP_2) | instskip(SKIP_2) | instid1(VALU_DEP_4)
	v_cndmask_b32_e32 v213, v217, v212, vcc_lo
	v_cndmask_b32_e32 v212, v216, v216, vcc_lo
	v_cmp_gt_f64_e32 vcc_lo, 0, v[218:219]
	v_dual_cndmask_b32 v221, v219, v215 :: v_dual_cndmask_b32 v220, v218, v218
	s_delay_alu instid0(VALU_DEP_1) | instskip(SKIP_1) | instid1(SALU_CYCLE_1)
	v_cmp_ngt_f64_e32 vcc_lo, v[212:213], v[220:221]
                                        ; implicit-def: $vgpr212_vgpr213
	s_and_saveexec_b32 s3, vcc_lo
	s_xor_b32 s3, exec_lo, s3
                                        ; implicit-def: $vgpr220_vgpr221_vgpr222_vgpr223
	s_cbranch_execz .LBB117_23
; %bb.22:
	v_div_scale_f64 v[212:213], null, v[218:219], v[218:219], v[216:217]
	v_div_scale_f64 v[224:225], vcc_lo, v[216:217], v[218:219], v[216:217]
	s_delay_alu instid0(VALU_DEP_2) | instskip(SKIP_2) | instid1(VALU_DEP_1)
	v_rcp_f64_e32 v[220:221], v[212:213]
	s_waitcnt_depctr 0xfff
	v_fma_f64 v[222:223], -v[212:213], v[220:221], 1.0
	v_fma_f64 v[220:221], v[220:221], v[222:223], v[220:221]
	s_delay_alu instid0(VALU_DEP_1) | instskip(NEXT) | instid1(VALU_DEP_1)
	v_fma_f64 v[222:223], -v[212:213], v[220:221], 1.0
	v_fma_f64 v[220:221], v[220:221], v[222:223], v[220:221]
	s_delay_alu instid0(VALU_DEP_1) | instskip(NEXT) | instid1(VALU_DEP_1)
	v_mul_f64 v[222:223], v[224:225], v[220:221]
	v_fma_f64 v[212:213], -v[212:213], v[222:223], v[224:225]
	s_delay_alu instid0(VALU_DEP_1) | instskip(NEXT) | instid1(VALU_DEP_1)
	v_div_fmas_f64 v[212:213], v[212:213], v[220:221], v[222:223]
	v_div_fixup_f64 v[212:213], v[212:213], v[218:219], v[216:217]
	s_delay_alu instid0(VALU_DEP_1) | instskip(NEXT) | instid1(VALU_DEP_1)
	v_fma_f64 v[216:217], v[216:217], v[212:213], v[218:219]
	v_div_scale_f64 v[218:219], null, v[216:217], v[216:217], 1.0
	s_delay_alu instid0(VALU_DEP_1) | instskip(SKIP_2) | instid1(VALU_DEP_1)
	v_rcp_f64_e32 v[220:221], v[218:219]
	s_waitcnt_depctr 0xfff
	v_fma_f64 v[222:223], -v[218:219], v[220:221], 1.0
	v_fma_f64 v[220:221], v[220:221], v[222:223], v[220:221]
	s_delay_alu instid0(VALU_DEP_1) | instskip(NEXT) | instid1(VALU_DEP_1)
	v_fma_f64 v[222:223], -v[218:219], v[220:221], 1.0
	v_fma_f64 v[220:221], v[220:221], v[222:223], v[220:221]
	v_div_scale_f64 v[222:223], vcc_lo, 1.0, v[216:217], 1.0
	s_delay_alu instid0(VALU_DEP_1) | instskip(NEXT) | instid1(VALU_DEP_1)
	v_mul_f64 v[224:225], v[222:223], v[220:221]
	v_fma_f64 v[218:219], -v[218:219], v[224:225], v[222:223]
	s_delay_alu instid0(VALU_DEP_1) | instskip(NEXT) | instid1(VALU_DEP_1)
	v_div_fmas_f64 v[218:219], v[218:219], v[220:221], v[224:225]
	v_div_fixup_f64 v[222:223], v[218:219], v[216:217], 1.0
                                        ; implicit-def: $vgpr216_vgpr217
	s_delay_alu instid0(VALU_DEP_1)
	v_mul_f64 v[212:213], v[212:213], v[222:223]
	v_xor_b32_e32 v223, 0x80000000, v223
.LBB117_23:
	s_and_not1_saveexec_b32 s3, s3
	s_cbranch_execz .LBB117_25
; %bb.24:
	v_div_scale_f64 v[212:213], null, v[216:217], v[216:217], v[218:219]
	v_div_scale_f64 v[224:225], vcc_lo, v[218:219], v[216:217], v[218:219]
	s_delay_alu instid0(VALU_DEP_2) | instskip(SKIP_2) | instid1(VALU_DEP_1)
	v_rcp_f64_e32 v[220:221], v[212:213]
	s_waitcnt_depctr 0xfff
	v_fma_f64 v[222:223], -v[212:213], v[220:221], 1.0
	v_fma_f64 v[220:221], v[220:221], v[222:223], v[220:221]
	s_delay_alu instid0(VALU_DEP_1) | instskip(NEXT) | instid1(VALU_DEP_1)
	v_fma_f64 v[222:223], -v[212:213], v[220:221], 1.0
	v_fma_f64 v[220:221], v[220:221], v[222:223], v[220:221]
	s_delay_alu instid0(VALU_DEP_1) | instskip(NEXT) | instid1(VALU_DEP_1)
	v_mul_f64 v[222:223], v[224:225], v[220:221]
	v_fma_f64 v[212:213], -v[212:213], v[222:223], v[224:225]
	s_delay_alu instid0(VALU_DEP_1) | instskip(NEXT) | instid1(VALU_DEP_1)
	v_div_fmas_f64 v[212:213], v[212:213], v[220:221], v[222:223]
	v_div_fixup_f64 v[220:221], v[212:213], v[216:217], v[218:219]
	s_delay_alu instid0(VALU_DEP_1) | instskip(NEXT) | instid1(VALU_DEP_1)
	v_fma_f64 v[212:213], v[218:219], v[220:221], v[216:217]
	v_div_scale_f64 v[216:217], null, v[212:213], v[212:213], 1.0
	s_delay_alu instid0(VALU_DEP_1) | instskip(SKIP_2) | instid1(VALU_DEP_1)
	v_rcp_f64_e32 v[218:219], v[216:217]
	s_waitcnt_depctr 0xfff
	v_fma_f64 v[222:223], -v[216:217], v[218:219], 1.0
	v_fma_f64 v[218:219], v[218:219], v[222:223], v[218:219]
	s_delay_alu instid0(VALU_DEP_1) | instskip(NEXT) | instid1(VALU_DEP_1)
	v_fma_f64 v[222:223], -v[216:217], v[218:219], 1.0
	v_fma_f64 v[218:219], v[218:219], v[222:223], v[218:219]
	v_div_scale_f64 v[222:223], vcc_lo, 1.0, v[212:213], 1.0
	s_delay_alu instid0(VALU_DEP_1) | instskip(NEXT) | instid1(VALU_DEP_1)
	v_mul_f64 v[224:225], v[222:223], v[218:219]
	v_fma_f64 v[216:217], -v[216:217], v[224:225], v[222:223]
	s_delay_alu instid0(VALU_DEP_1) | instskip(NEXT) | instid1(VALU_DEP_1)
	v_div_fmas_f64 v[216:217], v[216:217], v[218:219], v[224:225]
	v_div_fixup_f64 v[212:213], v[216:217], v[212:213], 1.0
	s_delay_alu instid0(VALU_DEP_1)
	v_mul_f64 v[222:223], v[220:221], -v[212:213]
.LBB117_25:
	s_or_b32 exec_lo, exec_lo, s3
	ds_store_2addr_b64 v209, v[212:213], v[222:223] offset1:1
.LBB117_26:
	s_or_b32 exec_lo, exec_lo, s4
	s_waitcnt lgkmcnt(0)
	s_barrier
	buffer_gl0_inv
	ds_load_2addr_b64 v[204:207], v209 offset1:1
	s_mov_b32 s3, exec_lo
	s_waitcnt lgkmcnt(0)
	scratch_store_b128 off, v[204:207], off offset:620 ; 16-byte Folded Spill
	v_cmpx_lt_u32_e32 2, v208
	s_cbranch_execz .LBB117_28
; %bb.27:
	s_clause 0x1
	scratch_load_b128 v[222:225], off, off offset:80
	scratch_load_b128 v[204:207], off, off offset:620
	ds_load_2addr_b64 v[218:221], v214 offset0:6 offset1:7
	s_waitcnt vmcnt(0)
	v_mul_f64 v[212:213], v[206:207], v[224:225]
	s_delay_alu instid0(VALU_DEP_1) | instskip(SKIP_1) | instid1(VALU_DEP_1)
	v_fma_f64 v[216:217], v[204:205], v[222:223], -v[212:213]
	v_mul_f64 v[212:213], v[204:205], v[224:225]
	v_fma_f64 v[224:225], v[206:207], v[222:223], v[212:213]
	s_waitcnt lgkmcnt(0)
	s_delay_alu instid0(VALU_DEP_1) | instskip(NEXT) | instid1(VALU_DEP_1)
	v_mul_f64 v[212:213], v[220:221], v[224:225]
	v_fma_f64 v[212:213], v[218:219], v[216:217], -v[212:213]
	v_mul_f64 v[218:219], v[218:219], v[224:225]
	s_delay_alu instid0(VALU_DEP_1)
	v_fma_f64 v[218:219], v[220:221], v[216:217], v[218:219]
	scratch_load_b128 v[220:223], off, off offset:64 ; 16-byte Folded Reload
	s_waitcnt vmcnt(0)
	v_add_f64 v[220:221], v[220:221], -v[212:213]
	v_add_f64 v[222:223], v[222:223], -v[218:219]
	scratch_store_b128 off, v[220:223], off offset:64 ; 16-byte Folded Spill
	ds_load_2addr_b64 v[218:221], v214 offset0:8 offset1:9
	s_waitcnt lgkmcnt(0)
	v_mul_f64 v[212:213], v[220:221], v[224:225]
	s_delay_alu instid0(VALU_DEP_1) | instskip(SKIP_1) | instid1(VALU_DEP_1)
	v_fma_f64 v[212:213], v[218:219], v[216:217], -v[212:213]
	v_mul_f64 v[218:219], v[218:219], v[224:225]
	v_fma_f64 v[218:219], v[220:221], v[216:217], v[218:219]
	scratch_load_b128 v[220:223], off, off offset:48 ; 16-byte Folded Reload
	s_waitcnt vmcnt(0)
	v_add_f64 v[220:221], v[220:221], -v[212:213]
	v_add_f64 v[222:223], v[222:223], -v[218:219]
	scratch_store_b128 off, v[220:223], off offset:48 ; 16-byte Folded Spill
	ds_load_2addr_b64 v[218:221], v214 offset0:10 offset1:11
	s_waitcnt lgkmcnt(0)
	v_mul_f64 v[212:213], v[220:221], v[224:225]
	s_delay_alu instid0(VALU_DEP_1) | instskip(SKIP_1) | instid1(VALU_DEP_1)
	v_fma_f64 v[212:213], v[218:219], v[216:217], -v[212:213]
	v_mul_f64 v[218:219], v[218:219], v[224:225]
	;; [unrolled: 12-line block ×4, first 2 shown]
	v_fma_f64 v[218:219], v[220:221], v[216:217], v[218:219]
	scratch_load_b128 v[220:223], off, off  ; 16-byte Folded Reload
	s_waitcnt vmcnt(0)
	v_add_f64 v[220:221], v[220:221], -v[212:213]
	v_add_f64 v[222:223], v[222:223], -v[218:219]
	scratch_store_b128 off, v[220:223], off ; 16-byte Folded Spill
	ds_load_2addr_b64 v[218:221], v214 offset0:16 offset1:17
	v_dual_mov_b32 v223, v217 :: v_dual_mov_b32 v222, v216
	scratch_store_b128 off, v[222:225], off offset:80 ; 16-byte Folded Spill
	s_waitcnt lgkmcnt(0)
	v_mul_f64 v[212:213], v[220:221], v[224:225]
	s_delay_alu instid0(VALU_DEP_1) | instskip(SKIP_1) | instid1(VALU_DEP_2)
	v_fma_f64 v[212:213], v[218:219], v[216:217], -v[212:213]
	v_mul_f64 v[218:219], v[218:219], v[224:225]
	v_add_f64 v[200:201], v[200:201], -v[212:213]
	s_delay_alu instid0(VALU_DEP_2) | instskip(NEXT) | instid1(VALU_DEP_1)
	v_fma_f64 v[218:219], v[220:221], v[216:217], v[218:219]
	v_add_f64 v[202:203], v[202:203], -v[218:219]
	ds_load_2addr_b64 v[218:221], v214 offset0:18 offset1:19
	s_waitcnt lgkmcnt(0)
	v_mul_f64 v[212:213], v[220:221], v[224:225]
	s_delay_alu instid0(VALU_DEP_1) | instskip(SKIP_1) | instid1(VALU_DEP_2)
	v_fma_f64 v[212:213], v[218:219], v[216:217], -v[212:213]
	v_mul_f64 v[218:219], v[218:219], v[224:225]
	v_add_f64 v[196:197], v[196:197], -v[212:213]
	s_delay_alu instid0(VALU_DEP_2) | instskip(NEXT) | instid1(VALU_DEP_1)
	v_fma_f64 v[218:219], v[220:221], v[216:217], v[218:219]
	v_add_f64 v[198:199], v[198:199], -v[218:219]
	ds_load_2addr_b64 v[218:221], v214 offset0:20 offset1:21
	;; [unrolled: 10-line block ×50, first 2 shown]
	s_waitcnt lgkmcnt(0)
	v_mul_f64 v[212:213], v[220:221], v[224:225]
	s_delay_alu instid0(VALU_DEP_1) | instskip(SKIP_1) | instid1(VALU_DEP_2)
	v_fma_f64 v[212:213], v[218:219], v[216:217], -v[212:213]
	v_mul_f64 v[218:219], v[218:219], v[224:225]
	v_add_f64 v[0:1], v[0:1], -v[212:213]
	s_delay_alu instid0(VALU_DEP_2) | instskip(NEXT) | instid1(VALU_DEP_1)
	v_fma_f64 v[218:219], v[220:221], v[216:217], v[218:219]
	v_add_f64 v[2:3], v[2:3], -v[218:219]
.LBB117_28:
	s_or_b32 exec_lo, exec_lo, s3
	s_delay_alu instid0(SALU_CYCLE_1)
	s_mov_b32 s4, exec_lo
	s_waitcnt_vscnt null, 0x0
	s_barrier
	buffer_gl0_inv
	v_cmpx_eq_u32_e32 3, v208
	s_cbranch_execz .LBB117_35
; %bb.29:
	scratch_load_b128 v[215:218], off, off offset:64 ; 16-byte Folded Reload
	s_waitcnt vmcnt(0)
	ds_store_2addr_b64 v209, v[215:216], v[217:218] offset1:1
	scratch_load_b128 v[215:218], off, off offset:48 ; 16-byte Folded Reload
	s_waitcnt vmcnt(0)
	ds_store_2addr_b64 v214, v[215:216], v[217:218] offset0:8 offset1:9
	scratch_load_b128 v[215:218], off, off offset:32 ; 16-byte Folded Reload
	s_waitcnt vmcnt(0)
	ds_store_2addr_b64 v214, v[215:216], v[217:218] offset0:10 offset1:11
	;; [unrolled: 3-line block ×3, first 2 shown]
	scratch_load_b128 v[215:218], off, off  ; 16-byte Folded Reload
	s_waitcnt vmcnt(0)
	ds_store_2addr_b64 v214, v[215:216], v[217:218] offset0:14 offset1:15
	ds_store_2addr_b64 v214, v[200:201], v[202:203] offset0:16 offset1:17
	;; [unrolled: 1-line block ×52, first 2 shown]
	ds_load_2addr_b64 v[216:219], v209 offset1:1
	s_waitcnt lgkmcnt(0)
	v_cmp_neq_f64_e32 vcc_lo, 0, v[216:217]
	v_cmp_neq_f64_e64 s3, 0, v[218:219]
	s_delay_alu instid0(VALU_DEP_1) | instskip(NEXT) | instid1(SALU_CYCLE_1)
	s_or_b32 s3, vcc_lo, s3
	s_and_b32 exec_lo, exec_lo, s3
	s_cbranch_execz .LBB117_35
; %bb.30:
	v_cmp_gt_f64_e32 vcc_lo, 0, v[216:217]
	v_xor_b32_e32 v212, 0x80000000, v217
	v_xor_b32_e32 v215, 0x80000000, v219
	s_delay_alu instid0(VALU_DEP_2) | instskip(SKIP_2) | instid1(VALU_DEP_4)
	v_cndmask_b32_e32 v213, v217, v212, vcc_lo
	v_cndmask_b32_e32 v212, v216, v216, vcc_lo
	v_cmp_gt_f64_e32 vcc_lo, 0, v[218:219]
	v_dual_cndmask_b32 v221, v219, v215 :: v_dual_cndmask_b32 v220, v218, v218
	s_delay_alu instid0(VALU_DEP_1) | instskip(SKIP_1) | instid1(SALU_CYCLE_1)
	v_cmp_ngt_f64_e32 vcc_lo, v[212:213], v[220:221]
                                        ; implicit-def: $vgpr212_vgpr213
	s_and_saveexec_b32 s3, vcc_lo
	s_xor_b32 s3, exec_lo, s3
                                        ; implicit-def: $vgpr220_vgpr221_vgpr222_vgpr223
	s_cbranch_execz .LBB117_32
; %bb.31:
	v_div_scale_f64 v[212:213], null, v[218:219], v[218:219], v[216:217]
	v_div_scale_f64 v[224:225], vcc_lo, v[216:217], v[218:219], v[216:217]
	s_delay_alu instid0(VALU_DEP_2) | instskip(SKIP_2) | instid1(VALU_DEP_1)
	v_rcp_f64_e32 v[220:221], v[212:213]
	s_waitcnt_depctr 0xfff
	v_fma_f64 v[222:223], -v[212:213], v[220:221], 1.0
	v_fma_f64 v[220:221], v[220:221], v[222:223], v[220:221]
	s_delay_alu instid0(VALU_DEP_1) | instskip(NEXT) | instid1(VALU_DEP_1)
	v_fma_f64 v[222:223], -v[212:213], v[220:221], 1.0
	v_fma_f64 v[220:221], v[220:221], v[222:223], v[220:221]
	s_delay_alu instid0(VALU_DEP_1) | instskip(NEXT) | instid1(VALU_DEP_1)
	v_mul_f64 v[222:223], v[224:225], v[220:221]
	v_fma_f64 v[212:213], -v[212:213], v[222:223], v[224:225]
	s_delay_alu instid0(VALU_DEP_1) | instskip(NEXT) | instid1(VALU_DEP_1)
	v_div_fmas_f64 v[212:213], v[212:213], v[220:221], v[222:223]
	v_div_fixup_f64 v[212:213], v[212:213], v[218:219], v[216:217]
	s_delay_alu instid0(VALU_DEP_1) | instskip(NEXT) | instid1(VALU_DEP_1)
	v_fma_f64 v[216:217], v[216:217], v[212:213], v[218:219]
	v_div_scale_f64 v[218:219], null, v[216:217], v[216:217], 1.0
	s_delay_alu instid0(VALU_DEP_1) | instskip(SKIP_2) | instid1(VALU_DEP_1)
	v_rcp_f64_e32 v[220:221], v[218:219]
	s_waitcnt_depctr 0xfff
	v_fma_f64 v[222:223], -v[218:219], v[220:221], 1.0
	v_fma_f64 v[220:221], v[220:221], v[222:223], v[220:221]
	s_delay_alu instid0(VALU_DEP_1) | instskip(NEXT) | instid1(VALU_DEP_1)
	v_fma_f64 v[222:223], -v[218:219], v[220:221], 1.0
	v_fma_f64 v[220:221], v[220:221], v[222:223], v[220:221]
	v_div_scale_f64 v[222:223], vcc_lo, 1.0, v[216:217], 1.0
	s_delay_alu instid0(VALU_DEP_1) | instskip(NEXT) | instid1(VALU_DEP_1)
	v_mul_f64 v[224:225], v[222:223], v[220:221]
	v_fma_f64 v[218:219], -v[218:219], v[224:225], v[222:223]
	s_delay_alu instid0(VALU_DEP_1) | instskip(NEXT) | instid1(VALU_DEP_1)
	v_div_fmas_f64 v[218:219], v[218:219], v[220:221], v[224:225]
	v_div_fixup_f64 v[222:223], v[218:219], v[216:217], 1.0
                                        ; implicit-def: $vgpr216_vgpr217
	s_delay_alu instid0(VALU_DEP_1)
	v_mul_f64 v[212:213], v[212:213], v[222:223]
	v_xor_b32_e32 v223, 0x80000000, v223
.LBB117_32:
	s_and_not1_saveexec_b32 s3, s3
	s_cbranch_execz .LBB117_34
; %bb.33:
	v_div_scale_f64 v[212:213], null, v[216:217], v[216:217], v[218:219]
	v_div_scale_f64 v[224:225], vcc_lo, v[218:219], v[216:217], v[218:219]
	s_delay_alu instid0(VALU_DEP_2) | instskip(SKIP_2) | instid1(VALU_DEP_1)
	v_rcp_f64_e32 v[220:221], v[212:213]
	s_waitcnt_depctr 0xfff
	v_fma_f64 v[222:223], -v[212:213], v[220:221], 1.0
	v_fma_f64 v[220:221], v[220:221], v[222:223], v[220:221]
	s_delay_alu instid0(VALU_DEP_1) | instskip(NEXT) | instid1(VALU_DEP_1)
	v_fma_f64 v[222:223], -v[212:213], v[220:221], 1.0
	v_fma_f64 v[220:221], v[220:221], v[222:223], v[220:221]
	s_delay_alu instid0(VALU_DEP_1) | instskip(NEXT) | instid1(VALU_DEP_1)
	v_mul_f64 v[222:223], v[224:225], v[220:221]
	v_fma_f64 v[212:213], -v[212:213], v[222:223], v[224:225]
	s_delay_alu instid0(VALU_DEP_1) | instskip(NEXT) | instid1(VALU_DEP_1)
	v_div_fmas_f64 v[212:213], v[212:213], v[220:221], v[222:223]
	v_div_fixup_f64 v[220:221], v[212:213], v[216:217], v[218:219]
	s_delay_alu instid0(VALU_DEP_1) | instskip(NEXT) | instid1(VALU_DEP_1)
	v_fma_f64 v[212:213], v[218:219], v[220:221], v[216:217]
	v_div_scale_f64 v[216:217], null, v[212:213], v[212:213], 1.0
	s_delay_alu instid0(VALU_DEP_1) | instskip(SKIP_2) | instid1(VALU_DEP_1)
	v_rcp_f64_e32 v[218:219], v[216:217]
	s_waitcnt_depctr 0xfff
	v_fma_f64 v[222:223], -v[216:217], v[218:219], 1.0
	v_fma_f64 v[218:219], v[218:219], v[222:223], v[218:219]
	s_delay_alu instid0(VALU_DEP_1) | instskip(NEXT) | instid1(VALU_DEP_1)
	v_fma_f64 v[222:223], -v[216:217], v[218:219], 1.0
	v_fma_f64 v[218:219], v[218:219], v[222:223], v[218:219]
	v_div_scale_f64 v[222:223], vcc_lo, 1.0, v[212:213], 1.0
	s_delay_alu instid0(VALU_DEP_1) | instskip(NEXT) | instid1(VALU_DEP_1)
	v_mul_f64 v[224:225], v[222:223], v[218:219]
	v_fma_f64 v[216:217], -v[216:217], v[224:225], v[222:223]
	s_delay_alu instid0(VALU_DEP_1) | instskip(NEXT) | instid1(VALU_DEP_1)
	v_div_fmas_f64 v[216:217], v[216:217], v[218:219], v[224:225]
	v_div_fixup_f64 v[212:213], v[216:217], v[212:213], 1.0
	s_delay_alu instid0(VALU_DEP_1)
	v_mul_f64 v[222:223], v[220:221], -v[212:213]
.LBB117_34:
	s_or_b32 exec_lo, exec_lo, s3
	ds_store_2addr_b64 v209, v[212:213], v[222:223] offset1:1
.LBB117_35:
	s_or_b32 exec_lo, exec_lo, s4
	s_waitcnt lgkmcnt(0)
	s_barrier
	buffer_gl0_inv
	ds_load_2addr_b64 v[204:207], v209 offset1:1
	s_mov_b32 s3, exec_lo
	s_waitcnt lgkmcnt(0)
	scratch_store_b128 off, v[204:207], off offset:636 ; 16-byte Folded Spill
	v_cmpx_lt_u32_e32 3, v208
	s_cbranch_execz .LBB117_37
; %bb.36:
	s_clause 0x1
	scratch_load_b128 v[222:225], off, off offset:64
	scratch_load_b128 v[204:207], off, off offset:636
	ds_load_2addr_b64 v[218:221], v214 offset0:8 offset1:9
	s_waitcnt vmcnt(0)
	v_mul_f64 v[212:213], v[206:207], v[224:225]
	s_delay_alu instid0(VALU_DEP_1) | instskip(SKIP_1) | instid1(VALU_DEP_1)
	v_fma_f64 v[216:217], v[204:205], v[222:223], -v[212:213]
	v_mul_f64 v[212:213], v[204:205], v[224:225]
	v_fma_f64 v[224:225], v[206:207], v[222:223], v[212:213]
	s_waitcnt lgkmcnt(0)
	s_delay_alu instid0(VALU_DEP_1) | instskip(NEXT) | instid1(VALU_DEP_1)
	v_mul_f64 v[212:213], v[220:221], v[224:225]
	v_fma_f64 v[212:213], v[218:219], v[216:217], -v[212:213]
	v_mul_f64 v[218:219], v[218:219], v[224:225]
	s_delay_alu instid0(VALU_DEP_1)
	v_fma_f64 v[218:219], v[220:221], v[216:217], v[218:219]
	scratch_load_b128 v[220:223], off, off offset:48 ; 16-byte Folded Reload
	s_waitcnt vmcnt(0)
	v_add_f64 v[220:221], v[220:221], -v[212:213]
	v_add_f64 v[222:223], v[222:223], -v[218:219]
	scratch_store_b128 off, v[220:223], off offset:48 ; 16-byte Folded Spill
	ds_load_2addr_b64 v[218:221], v214 offset0:10 offset1:11
	s_waitcnt lgkmcnt(0)
	v_mul_f64 v[212:213], v[220:221], v[224:225]
	s_delay_alu instid0(VALU_DEP_1) | instskip(SKIP_1) | instid1(VALU_DEP_1)
	v_fma_f64 v[212:213], v[218:219], v[216:217], -v[212:213]
	v_mul_f64 v[218:219], v[218:219], v[224:225]
	v_fma_f64 v[218:219], v[220:221], v[216:217], v[218:219]
	scratch_load_b128 v[220:223], off, off offset:32 ; 16-byte Folded Reload
	s_waitcnt vmcnt(0)
	v_add_f64 v[220:221], v[220:221], -v[212:213]
	v_add_f64 v[222:223], v[222:223], -v[218:219]
	scratch_store_b128 off, v[220:223], off offset:32 ; 16-byte Folded Spill
	ds_load_2addr_b64 v[218:221], v214 offset0:12 offset1:13
	s_waitcnt lgkmcnt(0)
	v_mul_f64 v[212:213], v[220:221], v[224:225]
	s_delay_alu instid0(VALU_DEP_1) | instskip(SKIP_1) | instid1(VALU_DEP_1)
	v_fma_f64 v[212:213], v[218:219], v[216:217], -v[212:213]
	v_mul_f64 v[218:219], v[218:219], v[224:225]
	;; [unrolled: 12-line block ×3, first 2 shown]
	v_fma_f64 v[218:219], v[220:221], v[216:217], v[218:219]
	scratch_load_b128 v[220:223], off, off  ; 16-byte Folded Reload
	s_waitcnt vmcnt(0)
	v_add_f64 v[220:221], v[220:221], -v[212:213]
	v_add_f64 v[222:223], v[222:223], -v[218:219]
	scratch_store_b128 off, v[220:223], off ; 16-byte Folded Spill
	ds_load_2addr_b64 v[218:221], v214 offset0:16 offset1:17
	v_dual_mov_b32 v223, v217 :: v_dual_mov_b32 v222, v216
	scratch_store_b128 off, v[222:225], off offset:64 ; 16-byte Folded Spill
	s_waitcnt lgkmcnt(0)
	v_mul_f64 v[212:213], v[220:221], v[224:225]
	s_delay_alu instid0(VALU_DEP_1) | instskip(SKIP_1) | instid1(VALU_DEP_2)
	v_fma_f64 v[212:213], v[218:219], v[216:217], -v[212:213]
	v_mul_f64 v[218:219], v[218:219], v[224:225]
	v_add_f64 v[200:201], v[200:201], -v[212:213]
	s_delay_alu instid0(VALU_DEP_2) | instskip(NEXT) | instid1(VALU_DEP_1)
	v_fma_f64 v[218:219], v[220:221], v[216:217], v[218:219]
	v_add_f64 v[202:203], v[202:203], -v[218:219]
	ds_load_2addr_b64 v[218:221], v214 offset0:18 offset1:19
	s_waitcnt lgkmcnt(0)
	v_mul_f64 v[212:213], v[220:221], v[224:225]
	s_delay_alu instid0(VALU_DEP_1) | instskip(SKIP_1) | instid1(VALU_DEP_2)
	v_fma_f64 v[212:213], v[218:219], v[216:217], -v[212:213]
	v_mul_f64 v[218:219], v[218:219], v[224:225]
	v_add_f64 v[196:197], v[196:197], -v[212:213]
	s_delay_alu instid0(VALU_DEP_2) | instskip(NEXT) | instid1(VALU_DEP_1)
	v_fma_f64 v[218:219], v[220:221], v[216:217], v[218:219]
	v_add_f64 v[198:199], v[198:199], -v[218:219]
	ds_load_2addr_b64 v[218:221], v214 offset0:20 offset1:21
	;; [unrolled: 10-line block ×50, first 2 shown]
	s_waitcnt lgkmcnt(0)
	v_mul_f64 v[212:213], v[220:221], v[224:225]
	s_delay_alu instid0(VALU_DEP_1) | instskip(SKIP_1) | instid1(VALU_DEP_2)
	v_fma_f64 v[212:213], v[218:219], v[216:217], -v[212:213]
	v_mul_f64 v[218:219], v[218:219], v[224:225]
	v_add_f64 v[0:1], v[0:1], -v[212:213]
	s_delay_alu instid0(VALU_DEP_2) | instskip(NEXT) | instid1(VALU_DEP_1)
	v_fma_f64 v[218:219], v[220:221], v[216:217], v[218:219]
	v_add_f64 v[2:3], v[2:3], -v[218:219]
.LBB117_37:
	s_or_b32 exec_lo, exec_lo, s3
	s_delay_alu instid0(SALU_CYCLE_1)
	s_mov_b32 s4, exec_lo
	s_waitcnt_vscnt null, 0x0
	s_barrier
	buffer_gl0_inv
	v_cmpx_eq_u32_e32 4, v208
	s_cbranch_execz .LBB117_44
; %bb.38:
	scratch_load_b128 v[215:218], off, off offset:48 ; 16-byte Folded Reload
	s_waitcnt vmcnt(0)
	ds_store_2addr_b64 v209, v[215:216], v[217:218] offset1:1
	scratch_load_b128 v[215:218], off, off offset:32 ; 16-byte Folded Reload
	s_waitcnt vmcnt(0)
	ds_store_2addr_b64 v214, v[215:216], v[217:218] offset0:10 offset1:11
	scratch_load_b128 v[215:218], off, off offset:16 ; 16-byte Folded Reload
	s_waitcnt vmcnt(0)
	ds_store_2addr_b64 v214, v[215:216], v[217:218] offset0:12 offset1:13
	scratch_load_b128 v[215:218], off, off  ; 16-byte Folded Reload
	s_waitcnt vmcnt(0)
	ds_store_2addr_b64 v214, v[215:216], v[217:218] offset0:14 offset1:15
	ds_store_2addr_b64 v214, v[200:201], v[202:203] offset0:16 offset1:17
	;; [unrolled: 1-line block ×52, first 2 shown]
	ds_load_2addr_b64 v[216:219], v209 offset1:1
	s_waitcnt lgkmcnt(0)
	v_cmp_neq_f64_e32 vcc_lo, 0, v[216:217]
	v_cmp_neq_f64_e64 s3, 0, v[218:219]
	s_delay_alu instid0(VALU_DEP_1) | instskip(NEXT) | instid1(SALU_CYCLE_1)
	s_or_b32 s3, vcc_lo, s3
	s_and_b32 exec_lo, exec_lo, s3
	s_cbranch_execz .LBB117_44
; %bb.39:
	v_cmp_gt_f64_e32 vcc_lo, 0, v[216:217]
	v_xor_b32_e32 v212, 0x80000000, v217
	v_xor_b32_e32 v215, 0x80000000, v219
	s_delay_alu instid0(VALU_DEP_2) | instskip(SKIP_2) | instid1(VALU_DEP_4)
	v_cndmask_b32_e32 v213, v217, v212, vcc_lo
	v_cndmask_b32_e32 v212, v216, v216, vcc_lo
	v_cmp_gt_f64_e32 vcc_lo, 0, v[218:219]
	v_dual_cndmask_b32 v221, v219, v215 :: v_dual_cndmask_b32 v220, v218, v218
	s_delay_alu instid0(VALU_DEP_1) | instskip(SKIP_1) | instid1(SALU_CYCLE_1)
	v_cmp_ngt_f64_e32 vcc_lo, v[212:213], v[220:221]
                                        ; implicit-def: $vgpr212_vgpr213
	s_and_saveexec_b32 s3, vcc_lo
	s_xor_b32 s3, exec_lo, s3
                                        ; implicit-def: $vgpr220_vgpr221_vgpr222_vgpr223
	s_cbranch_execz .LBB117_41
; %bb.40:
	v_div_scale_f64 v[212:213], null, v[218:219], v[218:219], v[216:217]
	v_div_scale_f64 v[224:225], vcc_lo, v[216:217], v[218:219], v[216:217]
	s_delay_alu instid0(VALU_DEP_2) | instskip(SKIP_2) | instid1(VALU_DEP_1)
	v_rcp_f64_e32 v[220:221], v[212:213]
	s_waitcnt_depctr 0xfff
	v_fma_f64 v[222:223], -v[212:213], v[220:221], 1.0
	v_fma_f64 v[220:221], v[220:221], v[222:223], v[220:221]
	s_delay_alu instid0(VALU_DEP_1) | instskip(NEXT) | instid1(VALU_DEP_1)
	v_fma_f64 v[222:223], -v[212:213], v[220:221], 1.0
	v_fma_f64 v[220:221], v[220:221], v[222:223], v[220:221]
	s_delay_alu instid0(VALU_DEP_1) | instskip(NEXT) | instid1(VALU_DEP_1)
	v_mul_f64 v[222:223], v[224:225], v[220:221]
	v_fma_f64 v[212:213], -v[212:213], v[222:223], v[224:225]
	s_delay_alu instid0(VALU_DEP_1) | instskip(NEXT) | instid1(VALU_DEP_1)
	v_div_fmas_f64 v[212:213], v[212:213], v[220:221], v[222:223]
	v_div_fixup_f64 v[212:213], v[212:213], v[218:219], v[216:217]
	s_delay_alu instid0(VALU_DEP_1) | instskip(NEXT) | instid1(VALU_DEP_1)
	v_fma_f64 v[216:217], v[216:217], v[212:213], v[218:219]
	v_div_scale_f64 v[218:219], null, v[216:217], v[216:217], 1.0
	s_delay_alu instid0(VALU_DEP_1) | instskip(SKIP_2) | instid1(VALU_DEP_1)
	v_rcp_f64_e32 v[220:221], v[218:219]
	s_waitcnt_depctr 0xfff
	v_fma_f64 v[222:223], -v[218:219], v[220:221], 1.0
	v_fma_f64 v[220:221], v[220:221], v[222:223], v[220:221]
	s_delay_alu instid0(VALU_DEP_1) | instskip(NEXT) | instid1(VALU_DEP_1)
	v_fma_f64 v[222:223], -v[218:219], v[220:221], 1.0
	v_fma_f64 v[220:221], v[220:221], v[222:223], v[220:221]
	v_div_scale_f64 v[222:223], vcc_lo, 1.0, v[216:217], 1.0
	s_delay_alu instid0(VALU_DEP_1) | instskip(NEXT) | instid1(VALU_DEP_1)
	v_mul_f64 v[224:225], v[222:223], v[220:221]
	v_fma_f64 v[218:219], -v[218:219], v[224:225], v[222:223]
	s_delay_alu instid0(VALU_DEP_1) | instskip(NEXT) | instid1(VALU_DEP_1)
	v_div_fmas_f64 v[218:219], v[218:219], v[220:221], v[224:225]
	v_div_fixup_f64 v[222:223], v[218:219], v[216:217], 1.0
                                        ; implicit-def: $vgpr216_vgpr217
	s_delay_alu instid0(VALU_DEP_1)
	v_mul_f64 v[212:213], v[212:213], v[222:223]
	v_xor_b32_e32 v223, 0x80000000, v223
.LBB117_41:
	s_and_not1_saveexec_b32 s3, s3
	s_cbranch_execz .LBB117_43
; %bb.42:
	v_div_scale_f64 v[212:213], null, v[216:217], v[216:217], v[218:219]
	v_div_scale_f64 v[224:225], vcc_lo, v[218:219], v[216:217], v[218:219]
	s_delay_alu instid0(VALU_DEP_2) | instskip(SKIP_2) | instid1(VALU_DEP_1)
	v_rcp_f64_e32 v[220:221], v[212:213]
	s_waitcnt_depctr 0xfff
	v_fma_f64 v[222:223], -v[212:213], v[220:221], 1.0
	v_fma_f64 v[220:221], v[220:221], v[222:223], v[220:221]
	s_delay_alu instid0(VALU_DEP_1) | instskip(NEXT) | instid1(VALU_DEP_1)
	v_fma_f64 v[222:223], -v[212:213], v[220:221], 1.0
	v_fma_f64 v[220:221], v[220:221], v[222:223], v[220:221]
	s_delay_alu instid0(VALU_DEP_1) | instskip(NEXT) | instid1(VALU_DEP_1)
	v_mul_f64 v[222:223], v[224:225], v[220:221]
	v_fma_f64 v[212:213], -v[212:213], v[222:223], v[224:225]
	s_delay_alu instid0(VALU_DEP_1) | instskip(NEXT) | instid1(VALU_DEP_1)
	v_div_fmas_f64 v[212:213], v[212:213], v[220:221], v[222:223]
	v_div_fixup_f64 v[220:221], v[212:213], v[216:217], v[218:219]
	s_delay_alu instid0(VALU_DEP_1) | instskip(NEXT) | instid1(VALU_DEP_1)
	v_fma_f64 v[212:213], v[218:219], v[220:221], v[216:217]
	v_div_scale_f64 v[216:217], null, v[212:213], v[212:213], 1.0
	s_delay_alu instid0(VALU_DEP_1) | instskip(SKIP_2) | instid1(VALU_DEP_1)
	v_rcp_f64_e32 v[218:219], v[216:217]
	s_waitcnt_depctr 0xfff
	v_fma_f64 v[222:223], -v[216:217], v[218:219], 1.0
	v_fma_f64 v[218:219], v[218:219], v[222:223], v[218:219]
	s_delay_alu instid0(VALU_DEP_1) | instskip(NEXT) | instid1(VALU_DEP_1)
	v_fma_f64 v[222:223], -v[216:217], v[218:219], 1.0
	v_fma_f64 v[218:219], v[218:219], v[222:223], v[218:219]
	v_div_scale_f64 v[222:223], vcc_lo, 1.0, v[212:213], 1.0
	s_delay_alu instid0(VALU_DEP_1) | instskip(NEXT) | instid1(VALU_DEP_1)
	v_mul_f64 v[224:225], v[222:223], v[218:219]
	v_fma_f64 v[216:217], -v[216:217], v[224:225], v[222:223]
	s_delay_alu instid0(VALU_DEP_1) | instskip(NEXT) | instid1(VALU_DEP_1)
	v_div_fmas_f64 v[216:217], v[216:217], v[218:219], v[224:225]
	v_div_fixup_f64 v[212:213], v[216:217], v[212:213], 1.0
	s_delay_alu instid0(VALU_DEP_1)
	v_mul_f64 v[222:223], v[220:221], -v[212:213]
.LBB117_43:
	s_or_b32 exec_lo, exec_lo, s3
	ds_store_2addr_b64 v209, v[212:213], v[222:223] offset1:1
.LBB117_44:
	s_or_b32 exec_lo, exec_lo, s4
	s_waitcnt lgkmcnt(0)
	s_barrier
	buffer_gl0_inv
	ds_load_2addr_b64 v[204:207], v209 offset1:1
	s_mov_b32 s3, exec_lo
	s_waitcnt lgkmcnt(0)
	scratch_store_b128 off, v[204:207], off offset:652 ; 16-byte Folded Spill
	v_cmpx_lt_u32_e32 4, v208
	s_cbranch_execz .LBB117_46
; %bb.45:
	s_clause 0x1
	scratch_load_b128 v[222:225], off, off offset:48
	scratch_load_b128 v[204:207], off, off offset:652
	ds_load_2addr_b64 v[218:221], v214 offset0:10 offset1:11
	s_waitcnt vmcnt(0)
	v_mul_f64 v[212:213], v[206:207], v[224:225]
	s_delay_alu instid0(VALU_DEP_1) | instskip(SKIP_1) | instid1(VALU_DEP_1)
	v_fma_f64 v[216:217], v[204:205], v[222:223], -v[212:213]
	v_mul_f64 v[212:213], v[204:205], v[224:225]
	v_fma_f64 v[224:225], v[206:207], v[222:223], v[212:213]
	s_waitcnt lgkmcnt(0)
	s_delay_alu instid0(VALU_DEP_1) | instskip(NEXT) | instid1(VALU_DEP_1)
	v_mul_f64 v[212:213], v[220:221], v[224:225]
	v_fma_f64 v[212:213], v[218:219], v[216:217], -v[212:213]
	v_mul_f64 v[218:219], v[218:219], v[224:225]
	s_delay_alu instid0(VALU_DEP_1)
	v_fma_f64 v[218:219], v[220:221], v[216:217], v[218:219]
	scratch_load_b128 v[220:223], off, off offset:32 ; 16-byte Folded Reload
	s_waitcnt vmcnt(0)
	v_add_f64 v[220:221], v[220:221], -v[212:213]
	v_add_f64 v[222:223], v[222:223], -v[218:219]
	scratch_store_b128 off, v[220:223], off offset:32 ; 16-byte Folded Spill
	ds_load_2addr_b64 v[218:221], v214 offset0:12 offset1:13
	s_waitcnt lgkmcnt(0)
	v_mul_f64 v[212:213], v[220:221], v[224:225]
	s_delay_alu instid0(VALU_DEP_1) | instskip(SKIP_1) | instid1(VALU_DEP_1)
	v_fma_f64 v[212:213], v[218:219], v[216:217], -v[212:213]
	v_mul_f64 v[218:219], v[218:219], v[224:225]
	v_fma_f64 v[218:219], v[220:221], v[216:217], v[218:219]
	scratch_load_b128 v[220:223], off, off offset:16 ; 16-byte Folded Reload
	s_waitcnt vmcnt(0)
	v_add_f64 v[220:221], v[220:221], -v[212:213]
	v_add_f64 v[222:223], v[222:223], -v[218:219]
	scratch_store_b128 off, v[220:223], off offset:16 ; 16-byte Folded Spill
	ds_load_2addr_b64 v[218:221], v214 offset0:14 offset1:15
	s_waitcnt lgkmcnt(0)
	v_mul_f64 v[212:213], v[220:221], v[224:225]
	s_delay_alu instid0(VALU_DEP_1) | instskip(SKIP_1) | instid1(VALU_DEP_1)
	v_fma_f64 v[212:213], v[218:219], v[216:217], -v[212:213]
	v_mul_f64 v[218:219], v[218:219], v[224:225]
	v_fma_f64 v[218:219], v[220:221], v[216:217], v[218:219]
	scratch_load_b128 v[220:223], off, off  ; 16-byte Folded Reload
	s_waitcnt vmcnt(0)
	v_add_f64 v[220:221], v[220:221], -v[212:213]
	v_add_f64 v[222:223], v[222:223], -v[218:219]
	scratch_store_b128 off, v[220:223], off ; 16-byte Folded Spill
	ds_load_2addr_b64 v[218:221], v214 offset0:16 offset1:17
	v_dual_mov_b32 v223, v217 :: v_dual_mov_b32 v222, v216
	scratch_store_b128 off, v[222:225], off offset:48 ; 16-byte Folded Spill
	s_waitcnt lgkmcnt(0)
	v_mul_f64 v[212:213], v[220:221], v[224:225]
	s_delay_alu instid0(VALU_DEP_1) | instskip(SKIP_1) | instid1(VALU_DEP_2)
	v_fma_f64 v[212:213], v[218:219], v[216:217], -v[212:213]
	v_mul_f64 v[218:219], v[218:219], v[224:225]
	v_add_f64 v[200:201], v[200:201], -v[212:213]
	s_delay_alu instid0(VALU_DEP_2) | instskip(NEXT) | instid1(VALU_DEP_1)
	v_fma_f64 v[218:219], v[220:221], v[216:217], v[218:219]
	v_add_f64 v[202:203], v[202:203], -v[218:219]
	ds_load_2addr_b64 v[218:221], v214 offset0:18 offset1:19
	s_waitcnt lgkmcnt(0)
	v_mul_f64 v[212:213], v[220:221], v[224:225]
	s_delay_alu instid0(VALU_DEP_1) | instskip(SKIP_1) | instid1(VALU_DEP_2)
	v_fma_f64 v[212:213], v[218:219], v[216:217], -v[212:213]
	v_mul_f64 v[218:219], v[218:219], v[224:225]
	v_add_f64 v[196:197], v[196:197], -v[212:213]
	s_delay_alu instid0(VALU_DEP_2) | instskip(NEXT) | instid1(VALU_DEP_1)
	v_fma_f64 v[218:219], v[220:221], v[216:217], v[218:219]
	v_add_f64 v[198:199], v[198:199], -v[218:219]
	ds_load_2addr_b64 v[218:221], v214 offset0:20 offset1:21
	;; [unrolled: 10-line block ×50, first 2 shown]
	s_waitcnt lgkmcnt(0)
	v_mul_f64 v[212:213], v[220:221], v[224:225]
	s_delay_alu instid0(VALU_DEP_1) | instskip(SKIP_1) | instid1(VALU_DEP_2)
	v_fma_f64 v[212:213], v[218:219], v[216:217], -v[212:213]
	v_mul_f64 v[218:219], v[218:219], v[224:225]
	v_add_f64 v[0:1], v[0:1], -v[212:213]
	s_delay_alu instid0(VALU_DEP_2) | instskip(NEXT) | instid1(VALU_DEP_1)
	v_fma_f64 v[218:219], v[220:221], v[216:217], v[218:219]
	v_add_f64 v[2:3], v[2:3], -v[218:219]
.LBB117_46:
	s_or_b32 exec_lo, exec_lo, s3
	s_delay_alu instid0(SALU_CYCLE_1)
	s_mov_b32 s4, exec_lo
	s_waitcnt_vscnt null, 0x0
	s_barrier
	buffer_gl0_inv
	v_cmpx_eq_u32_e32 5, v208
	s_cbranch_execz .LBB117_53
; %bb.47:
	scratch_load_b128 v[215:218], off, off offset:32 ; 16-byte Folded Reload
	s_waitcnt vmcnt(0)
	ds_store_2addr_b64 v209, v[215:216], v[217:218] offset1:1
	scratch_load_b128 v[215:218], off, off offset:16 ; 16-byte Folded Reload
	s_waitcnt vmcnt(0)
	ds_store_2addr_b64 v214, v[215:216], v[217:218] offset0:12 offset1:13
	scratch_load_b128 v[215:218], off, off  ; 16-byte Folded Reload
	s_waitcnt vmcnt(0)
	ds_store_2addr_b64 v214, v[215:216], v[217:218] offset0:14 offset1:15
	ds_store_2addr_b64 v214, v[200:201], v[202:203] offset0:16 offset1:17
	;; [unrolled: 1-line block ×52, first 2 shown]
	ds_load_2addr_b64 v[216:219], v209 offset1:1
	s_waitcnt lgkmcnt(0)
	v_cmp_neq_f64_e32 vcc_lo, 0, v[216:217]
	v_cmp_neq_f64_e64 s3, 0, v[218:219]
	s_delay_alu instid0(VALU_DEP_1) | instskip(NEXT) | instid1(SALU_CYCLE_1)
	s_or_b32 s3, vcc_lo, s3
	s_and_b32 exec_lo, exec_lo, s3
	s_cbranch_execz .LBB117_53
; %bb.48:
	v_cmp_gt_f64_e32 vcc_lo, 0, v[216:217]
	v_xor_b32_e32 v212, 0x80000000, v217
	v_xor_b32_e32 v215, 0x80000000, v219
	s_delay_alu instid0(VALU_DEP_2) | instskip(SKIP_2) | instid1(VALU_DEP_4)
	v_cndmask_b32_e32 v213, v217, v212, vcc_lo
	v_cndmask_b32_e32 v212, v216, v216, vcc_lo
	v_cmp_gt_f64_e32 vcc_lo, 0, v[218:219]
	v_dual_cndmask_b32 v221, v219, v215 :: v_dual_cndmask_b32 v220, v218, v218
	s_delay_alu instid0(VALU_DEP_1) | instskip(SKIP_1) | instid1(SALU_CYCLE_1)
	v_cmp_ngt_f64_e32 vcc_lo, v[212:213], v[220:221]
                                        ; implicit-def: $vgpr212_vgpr213
	s_and_saveexec_b32 s3, vcc_lo
	s_xor_b32 s3, exec_lo, s3
                                        ; implicit-def: $vgpr220_vgpr221_vgpr222_vgpr223
	s_cbranch_execz .LBB117_50
; %bb.49:
	v_div_scale_f64 v[212:213], null, v[218:219], v[218:219], v[216:217]
	v_div_scale_f64 v[224:225], vcc_lo, v[216:217], v[218:219], v[216:217]
	s_delay_alu instid0(VALU_DEP_2) | instskip(SKIP_2) | instid1(VALU_DEP_1)
	v_rcp_f64_e32 v[220:221], v[212:213]
	s_waitcnt_depctr 0xfff
	v_fma_f64 v[222:223], -v[212:213], v[220:221], 1.0
	v_fma_f64 v[220:221], v[220:221], v[222:223], v[220:221]
	s_delay_alu instid0(VALU_DEP_1) | instskip(NEXT) | instid1(VALU_DEP_1)
	v_fma_f64 v[222:223], -v[212:213], v[220:221], 1.0
	v_fma_f64 v[220:221], v[220:221], v[222:223], v[220:221]
	s_delay_alu instid0(VALU_DEP_1) | instskip(NEXT) | instid1(VALU_DEP_1)
	v_mul_f64 v[222:223], v[224:225], v[220:221]
	v_fma_f64 v[212:213], -v[212:213], v[222:223], v[224:225]
	s_delay_alu instid0(VALU_DEP_1) | instskip(NEXT) | instid1(VALU_DEP_1)
	v_div_fmas_f64 v[212:213], v[212:213], v[220:221], v[222:223]
	v_div_fixup_f64 v[212:213], v[212:213], v[218:219], v[216:217]
	s_delay_alu instid0(VALU_DEP_1) | instskip(NEXT) | instid1(VALU_DEP_1)
	v_fma_f64 v[216:217], v[216:217], v[212:213], v[218:219]
	v_div_scale_f64 v[218:219], null, v[216:217], v[216:217], 1.0
	s_delay_alu instid0(VALU_DEP_1) | instskip(SKIP_2) | instid1(VALU_DEP_1)
	v_rcp_f64_e32 v[220:221], v[218:219]
	s_waitcnt_depctr 0xfff
	v_fma_f64 v[222:223], -v[218:219], v[220:221], 1.0
	v_fma_f64 v[220:221], v[220:221], v[222:223], v[220:221]
	s_delay_alu instid0(VALU_DEP_1) | instskip(NEXT) | instid1(VALU_DEP_1)
	v_fma_f64 v[222:223], -v[218:219], v[220:221], 1.0
	v_fma_f64 v[220:221], v[220:221], v[222:223], v[220:221]
	v_div_scale_f64 v[222:223], vcc_lo, 1.0, v[216:217], 1.0
	s_delay_alu instid0(VALU_DEP_1) | instskip(NEXT) | instid1(VALU_DEP_1)
	v_mul_f64 v[224:225], v[222:223], v[220:221]
	v_fma_f64 v[218:219], -v[218:219], v[224:225], v[222:223]
	s_delay_alu instid0(VALU_DEP_1) | instskip(NEXT) | instid1(VALU_DEP_1)
	v_div_fmas_f64 v[218:219], v[218:219], v[220:221], v[224:225]
	v_div_fixup_f64 v[222:223], v[218:219], v[216:217], 1.0
                                        ; implicit-def: $vgpr216_vgpr217
	s_delay_alu instid0(VALU_DEP_1)
	v_mul_f64 v[212:213], v[212:213], v[222:223]
	v_xor_b32_e32 v223, 0x80000000, v223
.LBB117_50:
	s_and_not1_saveexec_b32 s3, s3
	s_cbranch_execz .LBB117_52
; %bb.51:
	v_div_scale_f64 v[212:213], null, v[216:217], v[216:217], v[218:219]
	v_div_scale_f64 v[224:225], vcc_lo, v[218:219], v[216:217], v[218:219]
	s_delay_alu instid0(VALU_DEP_2) | instskip(SKIP_2) | instid1(VALU_DEP_1)
	v_rcp_f64_e32 v[220:221], v[212:213]
	s_waitcnt_depctr 0xfff
	v_fma_f64 v[222:223], -v[212:213], v[220:221], 1.0
	v_fma_f64 v[220:221], v[220:221], v[222:223], v[220:221]
	s_delay_alu instid0(VALU_DEP_1) | instskip(NEXT) | instid1(VALU_DEP_1)
	v_fma_f64 v[222:223], -v[212:213], v[220:221], 1.0
	v_fma_f64 v[220:221], v[220:221], v[222:223], v[220:221]
	s_delay_alu instid0(VALU_DEP_1) | instskip(NEXT) | instid1(VALU_DEP_1)
	v_mul_f64 v[222:223], v[224:225], v[220:221]
	v_fma_f64 v[212:213], -v[212:213], v[222:223], v[224:225]
	s_delay_alu instid0(VALU_DEP_1) | instskip(NEXT) | instid1(VALU_DEP_1)
	v_div_fmas_f64 v[212:213], v[212:213], v[220:221], v[222:223]
	v_div_fixup_f64 v[220:221], v[212:213], v[216:217], v[218:219]
	s_delay_alu instid0(VALU_DEP_1) | instskip(NEXT) | instid1(VALU_DEP_1)
	v_fma_f64 v[212:213], v[218:219], v[220:221], v[216:217]
	v_div_scale_f64 v[216:217], null, v[212:213], v[212:213], 1.0
	s_delay_alu instid0(VALU_DEP_1) | instskip(SKIP_2) | instid1(VALU_DEP_1)
	v_rcp_f64_e32 v[218:219], v[216:217]
	s_waitcnt_depctr 0xfff
	v_fma_f64 v[222:223], -v[216:217], v[218:219], 1.0
	v_fma_f64 v[218:219], v[218:219], v[222:223], v[218:219]
	s_delay_alu instid0(VALU_DEP_1) | instskip(NEXT) | instid1(VALU_DEP_1)
	v_fma_f64 v[222:223], -v[216:217], v[218:219], 1.0
	v_fma_f64 v[218:219], v[218:219], v[222:223], v[218:219]
	v_div_scale_f64 v[222:223], vcc_lo, 1.0, v[212:213], 1.0
	s_delay_alu instid0(VALU_DEP_1) | instskip(NEXT) | instid1(VALU_DEP_1)
	v_mul_f64 v[224:225], v[222:223], v[218:219]
	v_fma_f64 v[216:217], -v[216:217], v[224:225], v[222:223]
	s_delay_alu instid0(VALU_DEP_1) | instskip(NEXT) | instid1(VALU_DEP_1)
	v_div_fmas_f64 v[216:217], v[216:217], v[218:219], v[224:225]
	v_div_fixup_f64 v[212:213], v[216:217], v[212:213], 1.0
	s_delay_alu instid0(VALU_DEP_1)
	v_mul_f64 v[222:223], v[220:221], -v[212:213]
.LBB117_52:
	s_or_b32 exec_lo, exec_lo, s3
	ds_store_2addr_b64 v209, v[212:213], v[222:223] offset1:1
.LBB117_53:
	s_or_b32 exec_lo, exec_lo, s4
	s_waitcnt lgkmcnt(0)
	s_barrier
	buffer_gl0_inv
	ds_load_2addr_b64 v[204:207], v209 offset1:1
	s_mov_b32 s3, exec_lo
	s_waitcnt lgkmcnt(0)
	scratch_store_b128 off, v[204:207], off offset:668 ; 16-byte Folded Spill
	v_cmpx_lt_u32_e32 5, v208
	s_cbranch_execz .LBB117_55
; %bb.54:
	s_clause 0x1
	scratch_load_b128 v[222:225], off, off offset:32
	scratch_load_b128 v[204:207], off, off offset:668
	ds_load_2addr_b64 v[218:221], v214 offset0:12 offset1:13
	s_waitcnt vmcnt(0)
	v_mul_f64 v[212:213], v[206:207], v[224:225]
	s_delay_alu instid0(VALU_DEP_1) | instskip(SKIP_1) | instid1(VALU_DEP_1)
	v_fma_f64 v[216:217], v[204:205], v[222:223], -v[212:213]
	v_mul_f64 v[212:213], v[204:205], v[224:225]
	v_fma_f64 v[224:225], v[206:207], v[222:223], v[212:213]
	s_waitcnt lgkmcnt(0)
	s_delay_alu instid0(VALU_DEP_1) | instskip(NEXT) | instid1(VALU_DEP_1)
	v_mul_f64 v[212:213], v[220:221], v[224:225]
	v_fma_f64 v[212:213], v[218:219], v[216:217], -v[212:213]
	v_mul_f64 v[218:219], v[218:219], v[224:225]
	s_delay_alu instid0(VALU_DEP_1)
	v_fma_f64 v[218:219], v[220:221], v[216:217], v[218:219]
	scratch_load_b128 v[220:223], off, off offset:16 ; 16-byte Folded Reload
	s_waitcnt vmcnt(0)
	v_add_f64 v[220:221], v[220:221], -v[212:213]
	v_add_f64 v[222:223], v[222:223], -v[218:219]
	scratch_store_b128 off, v[220:223], off offset:16 ; 16-byte Folded Spill
	ds_load_2addr_b64 v[218:221], v214 offset0:14 offset1:15
	s_waitcnt lgkmcnt(0)
	v_mul_f64 v[212:213], v[220:221], v[224:225]
	s_delay_alu instid0(VALU_DEP_1) | instskip(SKIP_1) | instid1(VALU_DEP_1)
	v_fma_f64 v[212:213], v[218:219], v[216:217], -v[212:213]
	v_mul_f64 v[218:219], v[218:219], v[224:225]
	v_fma_f64 v[218:219], v[220:221], v[216:217], v[218:219]
	scratch_load_b128 v[220:223], off, off  ; 16-byte Folded Reload
	s_waitcnt vmcnt(0)
	v_add_f64 v[220:221], v[220:221], -v[212:213]
	v_add_f64 v[222:223], v[222:223], -v[218:219]
	scratch_store_b128 off, v[220:223], off ; 16-byte Folded Spill
	ds_load_2addr_b64 v[218:221], v214 offset0:16 offset1:17
	v_dual_mov_b32 v223, v217 :: v_dual_mov_b32 v222, v216
	scratch_store_b128 off, v[222:225], off offset:32 ; 16-byte Folded Spill
	s_waitcnt lgkmcnt(0)
	v_mul_f64 v[212:213], v[220:221], v[224:225]
	s_delay_alu instid0(VALU_DEP_1) | instskip(SKIP_1) | instid1(VALU_DEP_2)
	v_fma_f64 v[212:213], v[218:219], v[216:217], -v[212:213]
	v_mul_f64 v[218:219], v[218:219], v[224:225]
	v_add_f64 v[200:201], v[200:201], -v[212:213]
	s_delay_alu instid0(VALU_DEP_2) | instskip(NEXT) | instid1(VALU_DEP_1)
	v_fma_f64 v[218:219], v[220:221], v[216:217], v[218:219]
	v_add_f64 v[202:203], v[202:203], -v[218:219]
	ds_load_2addr_b64 v[218:221], v214 offset0:18 offset1:19
	s_waitcnt lgkmcnt(0)
	v_mul_f64 v[212:213], v[220:221], v[224:225]
	s_delay_alu instid0(VALU_DEP_1) | instskip(SKIP_1) | instid1(VALU_DEP_2)
	v_fma_f64 v[212:213], v[218:219], v[216:217], -v[212:213]
	v_mul_f64 v[218:219], v[218:219], v[224:225]
	v_add_f64 v[196:197], v[196:197], -v[212:213]
	s_delay_alu instid0(VALU_DEP_2) | instskip(NEXT) | instid1(VALU_DEP_1)
	v_fma_f64 v[218:219], v[220:221], v[216:217], v[218:219]
	v_add_f64 v[198:199], v[198:199], -v[218:219]
	ds_load_2addr_b64 v[218:221], v214 offset0:20 offset1:21
	;; [unrolled: 10-line block ×50, first 2 shown]
	s_waitcnt lgkmcnt(0)
	v_mul_f64 v[212:213], v[220:221], v[224:225]
	s_delay_alu instid0(VALU_DEP_1) | instskip(SKIP_1) | instid1(VALU_DEP_2)
	v_fma_f64 v[212:213], v[218:219], v[216:217], -v[212:213]
	v_mul_f64 v[218:219], v[218:219], v[224:225]
	v_add_f64 v[0:1], v[0:1], -v[212:213]
	s_delay_alu instid0(VALU_DEP_2) | instskip(NEXT) | instid1(VALU_DEP_1)
	v_fma_f64 v[218:219], v[220:221], v[216:217], v[218:219]
	v_add_f64 v[2:3], v[2:3], -v[218:219]
.LBB117_55:
	s_or_b32 exec_lo, exec_lo, s3
	s_delay_alu instid0(SALU_CYCLE_1)
	s_mov_b32 s4, exec_lo
	s_waitcnt_vscnt null, 0x0
	s_barrier
	buffer_gl0_inv
	v_cmpx_eq_u32_e32 6, v208
	s_cbranch_execz .LBB117_62
; %bb.56:
	scratch_load_b128 v[215:218], off, off offset:16 ; 16-byte Folded Reload
	s_waitcnt vmcnt(0)
	ds_store_2addr_b64 v209, v[215:216], v[217:218] offset1:1
	scratch_load_b128 v[215:218], off, off  ; 16-byte Folded Reload
	s_waitcnt vmcnt(0)
	ds_store_2addr_b64 v214, v[215:216], v[217:218] offset0:14 offset1:15
	ds_store_2addr_b64 v214, v[200:201], v[202:203] offset0:16 offset1:17
	;; [unrolled: 1-line block ×52, first 2 shown]
	ds_load_2addr_b64 v[216:219], v209 offset1:1
	s_waitcnt lgkmcnt(0)
	v_cmp_neq_f64_e32 vcc_lo, 0, v[216:217]
	v_cmp_neq_f64_e64 s3, 0, v[218:219]
	s_delay_alu instid0(VALU_DEP_1) | instskip(NEXT) | instid1(SALU_CYCLE_1)
	s_or_b32 s3, vcc_lo, s3
	s_and_b32 exec_lo, exec_lo, s3
	s_cbranch_execz .LBB117_62
; %bb.57:
	v_cmp_gt_f64_e32 vcc_lo, 0, v[216:217]
	v_xor_b32_e32 v212, 0x80000000, v217
	v_xor_b32_e32 v215, 0x80000000, v219
	s_delay_alu instid0(VALU_DEP_2) | instskip(SKIP_2) | instid1(VALU_DEP_4)
	v_cndmask_b32_e32 v213, v217, v212, vcc_lo
	v_cndmask_b32_e32 v212, v216, v216, vcc_lo
	v_cmp_gt_f64_e32 vcc_lo, 0, v[218:219]
	v_dual_cndmask_b32 v221, v219, v215 :: v_dual_cndmask_b32 v220, v218, v218
	s_delay_alu instid0(VALU_DEP_1) | instskip(SKIP_1) | instid1(SALU_CYCLE_1)
	v_cmp_ngt_f64_e32 vcc_lo, v[212:213], v[220:221]
                                        ; implicit-def: $vgpr212_vgpr213
	s_and_saveexec_b32 s3, vcc_lo
	s_xor_b32 s3, exec_lo, s3
                                        ; implicit-def: $vgpr220_vgpr221_vgpr222_vgpr223
	s_cbranch_execz .LBB117_59
; %bb.58:
	v_div_scale_f64 v[212:213], null, v[218:219], v[218:219], v[216:217]
	v_div_scale_f64 v[224:225], vcc_lo, v[216:217], v[218:219], v[216:217]
	s_delay_alu instid0(VALU_DEP_2) | instskip(SKIP_2) | instid1(VALU_DEP_1)
	v_rcp_f64_e32 v[220:221], v[212:213]
	s_waitcnt_depctr 0xfff
	v_fma_f64 v[222:223], -v[212:213], v[220:221], 1.0
	v_fma_f64 v[220:221], v[220:221], v[222:223], v[220:221]
	s_delay_alu instid0(VALU_DEP_1) | instskip(NEXT) | instid1(VALU_DEP_1)
	v_fma_f64 v[222:223], -v[212:213], v[220:221], 1.0
	v_fma_f64 v[220:221], v[220:221], v[222:223], v[220:221]
	s_delay_alu instid0(VALU_DEP_1) | instskip(NEXT) | instid1(VALU_DEP_1)
	v_mul_f64 v[222:223], v[224:225], v[220:221]
	v_fma_f64 v[212:213], -v[212:213], v[222:223], v[224:225]
	s_delay_alu instid0(VALU_DEP_1) | instskip(NEXT) | instid1(VALU_DEP_1)
	v_div_fmas_f64 v[212:213], v[212:213], v[220:221], v[222:223]
	v_div_fixup_f64 v[212:213], v[212:213], v[218:219], v[216:217]
	s_delay_alu instid0(VALU_DEP_1) | instskip(NEXT) | instid1(VALU_DEP_1)
	v_fma_f64 v[216:217], v[216:217], v[212:213], v[218:219]
	v_div_scale_f64 v[218:219], null, v[216:217], v[216:217], 1.0
	s_delay_alu instid0(VALU_DEP_1) | instskip(SKIP_2) | instid1(VALU_DEP_1)
	v_rcp_f64_e32 v[220:221], v[218:219]
	s_waitcnt_depctr 0xfff
	v_fma_f64 v[222:223], -v[218:219], v[220:221], 1.0
	v_fma_f64 v[220:221], v[220:221], v[222:223], v[220:221]
	s_delay_alu instid0(VALU_DEP_1) | instskip(NEXT) | instid1(VALU_DEP_1)
	v_fma_f64 v[222:223], -v[218:219], v[220:221], 1.0
	v_fma_f64 v[220:221], v[220:221], v[222:223], v[220:221]
	v_div_scale_f64 v[222:223], vcc_lo, 1.0, v[216:217], 1.0
	s_delay_alu instid0(VALU_DEP_1) | instskip(NEXT) | instid1(VALU_DEP_1)
	v_mul_f64 v[224:225], v[222:223], v[220:221]
	v_fma_f64 v[218:219], -v[218:219], v[224:225], v[222:223]
	s_delay_alu instid0(VALU_DEP_1) | instskip(NEXT) | instid1(VALU_DEP_1)
	v_div_fmas_f64 v[218:219], v[218:219], v[220:221], v[224:225]
	v_div_fixup_f64 v[222:223], v[218:219], v[216:217], 1.0
                                        ; implicit-def: $vgpr216_vgpr217
	s_delay_alu instid0(VALU_DEP_1)
	v_mul_f64 v[212:213], v[212:213], v[222:223]
	v_xor_b32_e32 v223, 0x80000000, v223
.LBB117_59:
	s_and_not1_saveexec_b32 s3, s3
	s_cbranch_execz .LBB117_61
; %bb.60:
	v_div_scale_f64 v[212:213], null, v[216:217], v[216:217], v[218:219]
	v_div_scale_f64 v[224:225], vcc_lo, v[218:219], v[216:217], v[218:219]
	s_delay_alu instid0(VALU_DEP_2) | instskip(SKIP_2) | instid1(VALU_DEP_1)
	v_rcp_f64_e32 v[220:221], v[212:213]
	s_waitcnt_depctr 0xfff
	v_fma_f64 v[222:223], -v[212:213], v[220:221], 1.0
	v_fma_f64 v[220:221], v[220:221], v[222:223], v[220:221]
	s_delay_alu instid0(VALU_DEP_1) | instskip(NEXT) | instid1(VALU_DEP_1)
	v_fma_f64 v[222:223], -v[212:213], v[220:221], 1.0
	v_fma_f64 v[220:221], v[220:221], v[222:223], v[220:221]
	s_delay_alu instid0(VALU_DEP_1) | instskip(NEXT) | instid1(VALU_DEP_1)
	v_mul_f64 v[222:223], v[224:225], v[220:221]
	v_fma_f64 v[212:213], -v[212:213], v[222:223], v[224:225]
	s_delay_alu instid0(VALU_DEP_1) | instskip(NEXT) | instid1(VALU_DEP_1)
	v_div_fmas_f64 v[212:213], v[212:213], v[220:221], v[222:223]
	v_div_fixup_f64 v[220:221], v[212:213], v[216:217], v[218:219]
	s_delay_alu instid0(VALU_DEP_1) | instskip(NEXT) | instid1(VALU_DEP_1)
	v_fma_f64 v[212:213], v[218:219], v[220:221], v[216:217]
	v_div_scale_f64 v[216:217], null, v[212:213], v[212:213], 1.0
	s_delay_alu instid0(VALU_DEP_1) | instskip(SKIP_2) | instid1(VALU_DEP_1)
	v_rcp_f64_e32 v[218:219], v[216:217]
	s_waitcnt_depctr 0xfff
	v_fma_f64 v[222:223], -v[216:217], v[218:219], 1.0
	v_fma_f64 v[218:219], v[218:219], v[222:223], v[218:219]
	s_delay_alu instid0(VALU_DEP_1) | instskip(NEXT) | instid1(VALU_DEP_1)
	v_fma_f64 v[222:223], -v[216:217], v[218:219], 1.0
	v_fma_f64 v[218:219], v[218:219], v[222:223], v[218:219]
	v_div_scale_f64 v[222:223], vcc_lo, 1.0, v[212:213], 1.0
	s_delay_alu instid0(VALU_DEP_1) | instskip(NEXT) | instid1(VALU_DEP_1)
	v_mul_f64 v[224:225], v[222:223], v[218:219]
	v_fma_f64 v[216:217], -v[216:217], v[224:225], v[222:223]
	s_delay_alu instid0(VALU_DEP_1) | instskip(NEXT) | instid1(VALU_DEP_1)
	v_div_fmas_f64 v[216:217], v[216:217], v[218:219], v[224:225]
	v_div_fixup_f64 v[212:213], v[216:217], v[212:213], 1.0
	s_delay_alu instid0(VALU_DEP_1)
	v_mul_f64 v[222:223], v[220:221], -v[212:213]
.LBB117_61:
	s_or_b32 exec_lo, exec_lo, s3
	ds_store_2addr_b64 v209, v[212:213], v[222:223] offset1:1
.LBB117_62:
	s_or_b32 exec_lo, exec_lo, s4
	s_waitcnt lgkmcnt(0)
	s_barrier
	buffer_gl0_inv
	ds_load_2addr_b64 v[204:207], v209 offset1:1
	s_mov_b32 s3, exec_lo
	s_waitcnt lgkmcnt(0)
	scratch_store_b128 off, v[204:207], off offset:684 ; 16-byte Folded Spill
	v_cmpx_lt_u32_e32 6, v208
	s_cbranch_execz .LBB117_64
; %bb.63:
	s_clause 0x1
	scratch_load_b128 v[220:223], off, off offset:16
	scratch_load_b128 v[224:227], off, off offset:684
	v_dual_mov_b32 v204, v210 :: v_dual_mov_b32 v205, v211
	s_waitcnt vmcnt(0)
	v_mul_f64 v[210:211], v[224:225], v[222:223]
	v_mul_f64 v[212:213], v[226:227], v[222:223]
	s_delay_alu instid0(VALU_DEP_2) | instskip(NEXT) | instid1(VALU_DEP_2)
	v_fma_f64 v[222:223], v[226:227], v[220:221], v[210:211]
	v_fma_f64 v[216:217], v[224:225], v[220:221], -v[212:213]
	ds_load_2addr_b64 v[218:221], v214 offset0:14 offset1:15
	v_dual_mov_b32 v211, v205 :: v_dual_mov_b32 v210, v204
	v_mov_b32_e32 v204, v209
	s_waitcnt lgkmcnt(0)
	v_mul_f64 v[208:209], v[220:221], v[222:223]
	v_mul_f64 v[212:213], v[218:219], v[222:223]
	s_delay_alu instid0(VALU_DEP_2) | instskip(NEXT) | instid1(VALU_DEP_2)
	v_fma_f64 v[208:209], v[218:219], v[216:217], -v[208:209]
	v_fma_f64 v[212:213], v[220:221], v[216:217], v[212:213]
	scratch_load_b128 v[218:221], off, off  ; 16-byte Folded Reload
	s_waitcnt vmcnt(0)
	v_add_f64 v[218:219], v[218:219], -v[208:209]
	v_add_f64 v[220:221], v[220:221], -v[212:213]
	scratch_store_b128 off, v[218:221], off ; 16-byte Folded Spill
	ds_load_2addr_b64 v[218:221], v214 offset0:16 offset1:17
	s_waitcnt lgkmcnt(0)
	v_mul_f64 v[208:209], v[220:221], v[222:223]
	v_mul_f64 v[212:213], v[218:219], v[222:223]
	s_delay_alu instid0(VALU_DEP_2) | instskip(NEXT) | instid1(VALU_DEP_2)
	v_fma_f64 v[208:209], v[218:219], v[216:217], -v[208:209]
	v_fma_f64 v[212:213], v[220:221], v[216:217], v[212:213]
	ds_load_2addr_b64 v[218:221], v214 offset0:18 offset1:19
	v_add_f64 v[200:201], v[200:201], -v[208:209]
	s_waitcnt lgkmcnt(0)
	v_mul_f64 v[208:209], v[220:221], v[222:223]
	v_add_f64 v[202:203], v[202:203], -v[212:213]
	v_mul_f64 v[212:213], v[218:219], v[222:223]
	s_delay_alu instid0(VALU_DEP_3) | instskip(NEXT) | instid1(VALU_DEP_2)
	v_fma_f64 v[208:209], v[218:219], v[216:217], -v[208:209]
	v_fma_f64 v[212:213], v[220:221], v[216:217], v[212:213]
	ds_load_2addr_b64 v[218:221], v214 offset0:20 offset1:21
	v_add_f64 v[196:197], v[196:197], -v[208:209]
	s_waitcnt lgkmcnt(0)
	v_mul_f64 v[208:209], v[220:221], v[222:223]
	v_add_f64 v[198:199], v[198:199], -v[212:213]
	v_mul_f64 v[212:213], v[218:219], v[222:223]
	s_delay_alu instid0(VALU_DEP_3) | instskip(NEXT) | instid1(VALU_DEP_2)
	;; [unrolled: 9-line block ×50, first 2 shown]
	v_fma_f64 v[208:209], v[218:219], v[216:217], -v[208:209]
	v_fma_f64 v[212:213], v[220:221], v[216:217], v[212:213]
	v_dual_mov_b32 v221, v217 :: v_dual_mov_b32 v220, v216
	scratch_store_b128 off, v[220:223], off offset:16 ; 16-byte Folded Spill
	v_add_f64 v[0:1], v[0:1], -v[208:209]
	scratch_load_b32 v208, off, off offset:128 ; 4-byte Folded Reload
	v_add_f64 v[2:3], v[2:3], -v[212:213]
	v_mov_b32_e32 v209, v204
.LBB117_64:
	s_or_b32 exec_lo, exec_lo, s3
	s_delay_alu instid0(SALU_CYCLE_1)
	s_mov_b32 s4, exec_lo
	s_waitcnt vmcnt(0)
	s_waitcnt_vscnt null, 0x0
	s_barrier
	buffer_gl0_inv
	v_cmpx_eq_u32_e32 7, v208
	s_cbranch_execz .LBB117_71
; %bb.65:
	scratch_load_b128 v[215:218], off, off  ; 16-byte Folded Reload
	s_waitcnt vmcnt(0)
	ds_store_2addr_b64 v209, v[215:216], v[217:218] offset1:1
	ds_store_2addr_b64 v214, v[200:201], v[202:203] offset0:16 offset1:17
	ds_store_2addr_b64 v214, v[196:197], v[198:199] offset0:18 offset1:19
	ds_store_2addr_b64 v214, v[192:193], v[194:195] offset0:20 offset1:21
	ds_store_2addr_b64 v214, v[188:189], v[190:191] offset0:22 offset1:23
	ds_store_2addr_b64 v214, v[184:185], v[186:187] offset0:24 offset1:25
	ds_store_2addr_b64 v214, v[180:181], v[182:183] offset0:26 offset1:27
	ds_store_2addr_b64 v214, v[176:177], v[178:179] offset0:28 offset1:29
	ds_store_2addr_b64 v214, v[172:173], v[174:175] offset0:30 offset1:31
	ds_store_2addr_b64 v214, v[168:169], v[170:171] offset0:32 offset1:33
	ds_store_2addr_b64 v214, v[164:165], v[166:167] offset0:34 offset1:35
	ds_store_2addr_b64 v214, v[160:161], v[162:163] offset0:36 offset1:37
	ds_store_2addr_b64 v214, v[156:157], v[158:159] offset0:38 offset1:39
	ds_store_2addr_b64 v214, v[152:153], v[154:155] offset0:40 offset1:41
	ds_store_2addr_b64 v214, v[148:149], v[150:151] offset0:42 offset1:43
	ds_store_2addr_b64 v214, v[144:145], v[146:147] offset0:44 offset1:45
	ds_store_2addr_b64 v214, v[140:141], v[142:143] offset0:46 offset1:47
	ds_store_2addr_b64 v214, v[136:137], v[138:139] offset0:48 offset1:49
	ds_store_2addr_b64 v214, v[132:133], v[134:135] offset0:50 offset1:51
	ds_store_2addr_b64 v214, v[128:129], v[130:131] offset0:52 offset1:53
	ds_store_2addr_b64 v214, v[124:125], v[126:127] offset0:54 offset1:55
	ds_store_2addr_b64 v214, v[120:121], v[122:123] offset0:56 offset1:57
	ds_store_2addr_b64 v214, v[116:117], v[118:119] offset0:58 offset1:59
	ds_store_2addr_b64 v214, v[112:113], v[114:115] offset0:60 offset1:61
	ds_store_2addr_b64 v214, v[108:109], v[110:111] offset0:62 offset1:63
	ds_store_2addr_b64 v214, v[104:105], v[106:107] offset0:64 offset1:65
	ds_store_2addr_b64 v214, v[100:101], v[102:103] offset0:66 offset1:67
	ds_store_2addr_b64 v214, v[96:97], v[98:99] offset0:68 offset1:69
	ds_store_2addr_b64 v214, v[92:93], v[94:95] offset0:70 offset1:71
	ds_store_2addr_b64 v214, v[88:89], v[90:91] offset0:72 offset1:73
	ds_store_2addr_b64 v214, v[84:85], v[86:87] offset0:74 offset1:75
	ds_store_2addr_b64 v214, v[80:81], v[82:83] offset0:76 offset1:77
	ds_store_2addr_b64 v214, v[76:77], v[78:79] offset0:78 offset1:79
	ds_store_2addr_b64 v214, v[72:73], v[74:75] offset0:80 offset1:81
	ds_store_2addr_b64 v214, v[68:69], v[70:71] offset0:82 offset1:83
	ds_store_2addr_b64 v214, v[64:65], v[66:67] offset0:84 offset1:85
	ds_store_2addr_b64 v214, v[60:61], v[62:63] offset0:86 offset1:87
	ds_store_2addr_b64 v214, v[56:57], v[58:59] offset0:88 offset1:89
	ds_store_2addr_b64 v214, v[52:53], v[54:55] offset0:90 offset1:91
	ds_store_2addr_b64 v214, v[48:49], v[50:51] offset0:92 offset1:93
	ds_store_2addr_b64 v214, v[44:45], v[46:47] offset0:94 offset1:95
	ds_store_2addr_b64 v214, v[40:41], v[42:43] offset0:96 offset1:97
	ds_store_2addr_b64 v214, v[36:37], v[38:39] offset0:98 offset1:99
	ds_store_2addr_b64 v214, v[32:33], v[34:35] offset0:100 offset1:101
	ds_store_2addr_b64 v214, v[28:29], v[30:31] offset0:102 offset1:103
	ds_store_2addr_b64 v214, v[24:25], v[26:27] offset0:104 offset1:105
	ds_store_2addr_b64 v214, v[20:21], v[22:23] offset0:106 offset1:107
	ds_store_2addr_b64 v214, v[16:17], v[18:19] offset0:108 offset1:109
	ds_store_2addr_b64 v214, v[12:13], v[14:15] offset0:110 offset1:111
	ds_store_2addr_b64 v214, v[8:9], v[10:11] offset0:112 offset1:113
	ds_store_2addr_b64 v214, v[4:5], v[6:7] offset0:114 offset1:115
	ds_store_2addr_b64 v214, v[0:1], v[2:3] offset0:116 offset1:117
	ds_load_2addr_b64 v[216:219], v209 offset1:1
	s_waitcnt lgkmcnt(0)
	v_cmp_neq_f64_e32 vcc_lo, 0, v[216:217]
	v_cmp_neq_f64_e64 s3, 0, v[218:219]
	s_delay_alu instid0(VALU_DEP_1) | instskip(NEXT) | instid1(SALU_CYCLE_1)
	s_or_b32 s3, vcc_lo, s3
	s_and_b32 exec_lo, exec_lo, s3
	s_cbranch_execz .LBB117_71
; %bb.66:
	v_cmp_gt_f64_e32 vcc_lo, 0, v[216:217]
	v_xor_b32_e32 v212, 0x80000000, v217
	v_xor_b32_e32 v215, 0x80000000, v219
	s_delay_alu instid0(VALU_DEP_2) | instskip(SKIP_2) | instid1(VALU_DEP_4)
	v_cndmask_b32_e32 v213, v217, v212, vcc_lo
	v_cndmask_b32_e32 v212, v216, v216, vcc_lo
	v_cmp_gt_f64_e32 vcc_lo, 0, v[218:219]
	v_dual_cndmask_b32 v221, v219, v215 :: v_dual_cndmask_b32 v220, v218, v218
	s_delay_alu instid0(VALU_DEP_1) | instskip(SKIP_1) | instid1(SALU_CYCLE_1)
	v_cmp_ngt_f64_e32 vcc_lo, v[212:213], v[220:221]
                                        ; implicit-def: $vgpr212_vgpr213
	s_and_saveexec_b32 s3, vcc_lo
	s_xor_b32 s3, exec_lo, s3
                                        ; implicit-def: $vgpr220_vgpr221_vgpr222_vgpr223
	s_cbranch_execz .LBB117_68
; %bb.67:
	v_div_scale_f64 v[212:213], null, v[218:219], v[218:219], v[216:217]
	v_div_scale_f64 v[224:225], vcc_lo, v[216:217], v[218:219], v[216:217]
	s_delay_alu instid0(VALU_DEP_2) | instskip(SKIP_2) | instid1(VALU_DEP_1)
	v_rcp_f64_e32 v[220:221], v[212:213]
	s_waitcnt_depctr 0xfff
	v_fma_f64 v[222:223], -v[212:213], v[220:221], 1.0
	v_fma_f64 v[220:221], v[220:221], v[222:223], v[220:221]
	s_delay_alu instid0(VALU_DEP_1) | instskip(NEXT) | instid1(VALU_DEP_1)
	v_fma_f64 v[222:223], -v[212:213], v[220:221], 1.0
	v_fma_f64 v[220:221], v[220:221], v[222:223], v[220:221]
	s_delay_alu instid0(VALU_DEP_1) | instskip(NEXT) | instid1(VALU_DEP_1)
	v_mul_f64 v[222:223], v[224:225], v[220:221]
	v_fma_f64 v[212:213], -v[212:213], v[222:223], v[224:225]
	s_delay_alu instid0(VALU_DEP_1) | instskip(NEXT) | instid1(VALU_DEP_1)
	v_div_fmas_f64 v[212:213], v[212:213], v[220:221], v[222:223]
	v_div_fixup_f64 v[212:213], v[212:213], v[218:219], v[216:217]
	s_delay_alu instid0(VALU_DEP_1) | instskip(NEXT) | instid1(VALU_DEP_1)
	v_fma_f64 v[216:217], v[216:217], v[212:213], v[218:219]
	v_div_scale_f64 v[218:219], null, v[216:217], v[216:217], 1.0
	s_delay_alu instid0(VALU_DEP_1) | instskip(SKIP_2) | instid1(VALU_DEP_1)
	v_rcp_f64_e32 v[220:221], v[218:219]
	s_waitcnt_depctr 0xfff
	v_fma_f64 v[222:223], -v[218:219], v[220:221], 1.0
	v_fma_f64 v[220:221], v[220:221], v[222:223], v[220:221]
	s_delay_alu instid0(VALU_DEP_1) | instskip(NEXT) | instid1(VALU_DEP_1)
	v_fma_f64 v[222:223], -v[218:219], v[220:221], 1.0
	v_fma_f64 v[220:221], v[220:221], v[222:223], v[220:221]
	v_div_scale_f64 v[222:223], vcc_lo, 1.0, v[216:217], 1.0
	s_delay_alu instid0(VALU_DEP_1) | instskip(NEXT) | instid1(VALU_DEP_1)
	v_mul_f64 v[224:225], v[222:223], v[220:221]
	v_fma_f64 v[218:219], -v[218:219], v[224:225], v[222:223]
	s_delay_alu instid0(VALU_DEP_1) | instskip(NEXT) | instid1(VALU_DEP_1)
	v_div_fmas_f64 v[218:219], v[218:219], v[220:221], v[224:225]
	v_div_fixup_f64 v[222:223], v[218:219], v[216:217], 1.0
                                        ; implicit-def: $vgpr216_vgpr217
	s_delay_alu instid0(VALU_DEP_1)
	v_mul_f64 v[212:213], v[212:213], v[222:223]
	v_xor_b32_e32 v223, 0x80000000, v223
.LBB117_68:
	s_and_not1_saveexec_b32 s3, s3
	s_cbranch_execz .LBB117_70
; %bb.69:
	v_div_scale_f64 v[212:213], null, v[216:217], v[216:217], v[218:219]
	v_div_scale_f64 v[224:225], vcc_lo, v[218:219], v[216:217], v[218:219]
	s_delay_alu instid0(VALU_DEP_2) | instskip(SKIP_2) | instid1(VALU_DEP_1)
	v_rcp_f64_e32 v[220:221], v[212:213]
	s_waitcnt_depctr 0xfff
	v_fma_f64 v[222:223], -v[212:213], v[220:221], 1.0
	v_fma_f64 v[220:221], v[220:221], v[222:223], v[220:221]
	s_delay_alu instid0(VALU_DEP_1) | instskip(NEXT) | instid1(VALU_DEP_1)
	v_fma_f64 v[222:223], -v[212:213], v[220:221], 1.0
	v_fma_f64 v[220:221], v[220:221], v[222:223], v[220:221]
	s_delay_alu instid0(VALU_DEP_1) | instskip(NEXT) | instid1(VALU_DEP_1)
	v_mul_f64 v[222:223], v[224:225], v[220:221]
	v_fma_f64 v[212:213], -v[212:213], v[222:223], v[224:225]
	s_delay_alu instid0(VALU_DEP_1) | instskip(NEXT) | instid1(VALU_DEP_1)
	v_div_fmas_f64 v[212:213], v[212:213], v[220:221], v[222:223]
	v_div_fixup_f64 v[220:221], v[212:213], v[216:217], v[218:219]
	s_delay_alu instid0(VALU_DEP_1) | instskip(NEXT) | instid1(VALU_DEP_1)
	v_fma_f64 v[212:213], v[218:219], v[220:221], v[216:217]
	v_div_scale_f64 v[216:217], null, v[212:213], v[212:213], 1.0
	s_delay_alu instid0(VALU_DEP_1) | instskip(SKIP_2) | instid1(VALU_DEP_1)
	v_rcp_f64_e32 v[218:219], v[216:217]
	s_waitcnt_depctr 0xfff
	v_fma_f64 v[222:223], -v[216:217], v[218:219], 1.0
	v_fma_f64 v[218:219], v[218:219], v[222:223], v[218:219]
	s_delay_alu instid0(VALU_DEP_1) | instskip(NEXT) | instid1(VALU_DEP_1)
	v_fma_f64 v[222:223], -v[216:217], v[218:219], 1.0
	v_fma_f64 v[218:219], v[218:219], v[222:223], v[218:219]
	v_div_scale_f64 v[222:223], vcc_lo, 1.0, v[212:213], 1.0
	s_delay_alu instid0(VALU_DEP_1) | instskip(NEXT) | instid1(VALU_DEP_1)
	v_mul_f64 v[224:225], v[222:223], v[218:219]
	v_fma_f64 v[216:217], -v[216:217], v[224:225], v[222:223]
	s_delay_alu instid0(VALU_DEP_1) | instskip(NEXT) | instid1(VALU_DEP_1)
	v_div_fmas_f64 v[216:217], v[216:217], v[218:219], v[224:225]
	v_div_fixup_f64 v[212:213], v[216:217], v[212:213], 1.0
	s_delay_alu instid0(VALU_DEP_1)
	v_mul_f64 v[222:223], v[220:221], -v[212:213]
.LBB117_70:
	s_or_b32 exec_lo, exec_lo, s3
	ds_store_2addr_b64 v209, v[212:213], v[222:223] offset1:1
.LBB117_71:
	s_or_b32 exec_lo, exec_lo, s4
	s_waitcnt lgkmcnt(0)
	s_barrier
	buffer_gl0_inv
	ds_load_2addr_b64 v[204:207], v209 offset1:1
	s_mov_b32 s3, exec_lo
	s_waitcnt lgkmcnt(0)
	scratch_store_b128 off, v[204:207], off offset:700 ; 16-byte Folded Spill
	v_cmpx_lt_u32_e32 7, v208
	s_cbranch_execz .LBB117_73
; %bb.72:
	s_clause 0x1
	scratch_load_b128 v[220:223], off, off
	scratch_load_b128 v[224:227], off, off offset:700
	s_waitcnt vmcnt(0)
	v_mul_f64 v[206:207], v[224:225], v[222:223]
	v_mul_f64 v[212:213], v[226:227], v[222:223]
	s_delay_alu instid0(VALU_DEP_2) | instskip(NEXT) | instid1(VALU_DEP_2)
	v_fma_f64 v[222:223], v[226:227], v[220:221], v[206:207]
	v_fma_f64 v[216:217], v[224:225], v[220:221], -v[212:213]
	ds_load_2addr_b64 v[218:221], v214 offset0:16 offset1:17
	s_waitcnt lgkmcnt(0)
	v_mul_f64 v[204:205], v[220:221], v[222:223]
	v_mul_f64 v[212:213], v[218:219], v[222:223]
	s_delay_alu instid0(VALU_DEP_2) | instskip(NEXT) | instid1(VALU_DEP_2)
	v_fma_f64 v[204:205], v[218:219], v[216:217], -v[204:205]
	v_fma_f64 v[212:213], v[220:221], v[216:217], v[212:213]
	ds_load_2addr_b64 v[218:221], v214 offset0:18 offset1:19
	v_add_f64 v[200:201], v[200:201], -v[204:205]
	v_add_f64 v[202:203], v[202:203], -v[212:213]
	s_waitcnt lgkmcnt(0)
	v_mul_f64 v[204:205], v[220:221], v[222:223]
	v_mul_f64 v[212:213], v[218:219], v[222:223]
	s_delay_alu instid0(VALU_DEP_2) | instskip(NEXT) | instid1(VALU_DEP_2)
	v_fma_f64 v[204:205], v[218:219], v[216:217], -v[204:205]
	v_fma_f64 v[212:213], v[220:221], v[216:217], v[212:213]
	ds_load_2addr_b64 v[218:221], v214 offset0:20 offset1:21
	v_add_f64 v[196:197], v[196:197], -v[204:205]
	v_add_f64 v[198:199], v[198:199], -v[212:213]
	;; [unrolled: 9-line block ×50, first 2 shown]
	s_waitcnt lgkmcnt(0)
	v_mul_f64 v[204:205], v[220:221], v[222:223]
	v_mul_f64 v[212:213], v[218:219], v[222:223]
	s_delay_alu instid0(VALU_DEP_2) | instskip(NEXT) | instid1(VALU_DEP_2)
	v_fma_f64 v[204:205], v[218:219], v[216:217], -v[204:205]
	v_fma_f64 v[212:213], v[220:221], v[216:217], v[212:213]
	v_dual_mov_b32 v221, v217 :: v_dual_mov_b32 v220, v216
	scratch_store_b128 off, v[220:223], off ; 16-byte Folded Spill
	v_add_f64 v[0:1], v[0:1], -v[204:205]
	v_add_f64 v[2:3], v[2:3], -v[212:213]
.LBB117_73:
	s_or_b32 exec_lo, exec_lo, s3
	s_delay_alu instid0(SALU_CYCLE_1)
	s_mov_b32 s4, exec_lo
	s_waitcnt_vscnt null, 0x0
	s_barrier
	buffer_gl0_inv
	v_cmpx_eq_u32_e32 8, v208
	s_cbranch_execz .LBB117_80
; %bb.74:
	ds_store_2addr_b64 v209, v[200:201], v[202:203] offset1:1
	ds_store_2addr_b64 v214, v[196:197], v[198:199] offset0:18 offset1:19
	ds_store_2addr_b64 v214, v[192:193], v[194:195] offset0:20 offset1:21
	;; [unrolled: 1-line block ×50, first 2 shown]
	ds_load_2addr_b64 v[216:219], v209 offset1:1
	s_waitcnt lgkmcnt(0)
	v_cmp_neq_f64_e32 vcc_lo, 0, v[216:217]
	v_cmp_neq_f64_e64 s3, 0, v[218:219]
	s_delay_alu instid0(VALU_DEP_1) | instskip(NEXT) | instid1(SALU_CYCLE_1)
	s_or_b32 s3, vcc_lo, s3
	s_and_b32 exec_lo, exec_lo, s3
	s_cbranch_execz .LBB117_80
; %bb.75:
	v_cmp_gt_f64_e32 vcc_lo, 0, v[216:217]
	v_xor_b32_e32 v212, 0x80000000, v217
	v_xor_b32_e32 v215, 0x80000000, v219
	s_delay_alu instid0(VALU_DEP_2) | instskip(SKIP_2) | instid1(VALU_DEP_4)
	v_cndmask_b32_e32 v213, v217, v212, vcc_lo
	v_cndmask_b32_e32 v212, v216, v216, vcc_lo
	v_cmp_gt_f64_e32 vcc_lo, 0, v[218:219]
	v_dual_cndmask_b32 v221, v219, v215 :: v_dual_cndmask_b32 v220, v218, v218
	s_delay_alu instid0(VALU_DEP_1) | instskip(SKIP_1) | instid1(SALU_CYCLE_1)
	v_cmp_ngt_f64_e32 vcc_lo, v[212:213], v[220:221]
                                        ; implicit-def: $vgpr212_vgpr213
	s_and_saveexec_b32 s3, vcc_lo
	s_xor_b32 s3, exec_lo, s3
                                        ; implicit-def: $vgpr220_vgpr221_vgpr222_vgpr223
	s_cbranch_execz .LBB117_77
; %bb.76:
	v_div_scale_f64 v[212:213], null, v[218:219], v[218:219], v[216:217]
	v_div_scale_f64 v[224:225], vcc_lo, v[216:217], v[218:219], v[216:217]
	s_delay_alu instid0(VALU_DEP_2) | instskip(SKIP_2) | instid1(VALU_DEP_1)
	v_rcp_f64_e32 v[220:221], v[212:213]
	s_waitcnt_depctr 0xfff
	v_fma_f64 v[222:223], -v[212:213], v[220:221], 1.0
	v_fma_f64 v[220:221], v[220:221], v[222:223], v[220:221]
	s_delay_alu instid0(VALU_DEP_1) | instskip(NEXT) | instid1(VALU_DEP_1)
	v_fma_f64 v[222:223], -v[212:213], v[220:221], 1.0
	v_fma_f64 v[220:221], v[220:221], v[222:223], v[220:221]
	s_delay_alu instid0(VALU_DEP_1) | instskip(NEXT) | instid1(VALU_DEP_1)
	v_mul_f64 v[222:223], v[224:225], v[220:221]
	v_fma_f64 v[212:213], -v[212:213], v[222:223], v[224:225]
	s_delay_alu instid0(VALU_DEP_1) | instskip(NEXT) | instid1(VALU_DEP_1)
	v_div_fmas_f64 v[212:213], v[212:213], v[220:221], v[222:223]
	v_div_fixup_f64 v[212:213], v[212:213], v[218:219], v[216:217]
	s_delay_alu instid0(VALU_DEP_1) | instskip(NEXT) | instid1(VALU_DEP_1)
	v_fma_f64 v[216:217], v[216:217], v[212:213], v[218:219]
	v_div_scale_f64 v[218:219], null, v[216:217], v[216:217], 1.0
	s_delay_alu instid0(VALU_DEP_1) | instskip(SKIP_2) | instid1(VALU_DEP_1)
	v_rcp_f64_e32 v[220:221], v[218:219]
	s_waitcnt_depctr 0xfff
	v_fma_f64 v[222:223], -v[218:219], v[220:221], 1.0
	v_fma_f64 v[220:221], v[220:221], v[222:223], v[220:221]
	s_delay_alu instid0(VALU_DEP_1) | instskip(NEXT) | instid1(VALU_DEP_1)
	v_fma_f64 v[222:223], -v[218:219], v[220:221], 1.0
	v_fma_f64 v[220:221], v[220:221], v[222:223], v[220:221]
	v_div_scale_f64 v[222:223], vcc_lo, 1.0, v[216:217], 1.0
	s_delay_alu instid0(VALU_DEP_1) | instskip(NEXT) | instid1(VALU_DEP_1)
	v_mul_f64 v[224:225], v[222:223], v[220:221]
	v_fma_f64 v[218:219], -v[218:219], v[224:225], v[222:223]
	s_delay_alu instid0(VALU_DEP_1) | instskip(NEXT) | instid1(VALU_DEP_1)
	v_div_fmas_f64 v[218:219], v[218:219], v[220:221], v[224:225]
	v_div_fixup_f64 v[222:223], v[218:219], v[216:217], 1.0
                                        ; implicit-def: $vgpr216_vgpr217
	s_delay_alu instid0(VALU_DEP_1)
	v_mul_f64 v[212:213], v[212:213], v[222:223]
	v_xor_b32_e32 v223, 0x80000000, v223
.LBB117_77:
	s_and_not1_saveexec_b32 s3, s3
	s_cbranch_execz .LBB117_79
; %bb.78:
	v_div_scale_f64 v[212:213], null, v[216:217], v[216:217], v[218:219]
	v_div_scale_f64 v[224:225], vcc_lo, v[218:219], v[216:217], v[218:219]
	s_delay_alu instid0(VALU_DEP_2) | instskip(SKIP_2) | instid1(VALU_DEP_1)
	v_rcp_f64_e32 v[220:221], v[212:213]
	s_waitcnt_depctr 0xfff
	v_fma_f64 v[222:223], -v[212:213], v[220:221], 1.0
	v_fma_f64 v[220:221], v[220:221], v[222:223], v[220:221]
	s_delay_alu instid0(VALU_DEP_1) | instskip(NEXT) | instid1(VALU_DEP_1)
	v_fma_f64 v[222:223], -v[212:213], v[220:221], 1.0
	v_fma_f64 v[220:221], v[220:221], v[222:223], v[220:221]
	s_delay_alu instid0(VALU_DEP_1) | instskip(NEXT) | instid1(VALU_DEP_1)
	v_mul_f64 v[222:223], v[224:225], v[220:221]
	v_fma_f64 v[212:213], -v[212:213], v[222:223], v[224:225]
	s_delay_alu instid0(VALU_DEP_1) | instskip(NEXT) | instid1(VALU_DEP_1)
	v_div_fmas_f64 v[212:213], v[212:213], v[220:221], v[222:223]
	v_div_fixup_f64 v[220:221], v[212:213], v[216:217], v[218:219]
	s_delay_alu instid0(VALU_DEP_1) | instskip(NEXT) | instid1(VALU_DEP_1)
	v_fma_f64 v[212:213], v[218:219], v[220:221], v[216:217]
	v_div_scale_f64 v[216:217], null, v[212:213], v[212:213], 1.0
	s_delay_alu instid0(VALU_DEP_1) | instskip(SKIP_2) | instid1(VALU_DEP_1)
	v_rcp_f64_e32 v[218:219], v[216:217]
	s_waitcnt_depctr 0xfff
	v_fma_f64 v[222:223], -v[216:217], v[218:219], 1.0
	v_fma_f64 v[218:219], v[218:219], v[222:223], v[218:219]
	s_delay_alu instid0(VALU_DEP_1) | instskip(NEXT) | instid1(VALU_DEP_1)
	v_fma_f64 v[222:223], -v[216:217], v[218:219], 1.0
	v_fma_f64 v[218:219], v[218:219], v[222:223], v[218:219]
	v_div_scale_f64 v[222:223], vcc_lo, 1.0, v[212:213], 1.0
	s_delay_alu instid0(VALU_DEP_1) | instskip(NEXT) | instid1(VALU_DEP_1)
	v_mul_f64 v[224:225], v[222:223], v[218:219]
	v_fma_f64 v[216:217], -v[216:217], v[224:225], v[222:223]
	s_delay_alu instid0(VALU_DEP_1) | instskip(NEXT) | instid1(VALU_DEP_1)
	v_div_fmas_f64 v[216:217], v[216:217], v[218:219], v[224:225]
	v_div_fixup_f64 v[212:213], v[216:217], v[212:213], 1.0
	s_delay_alu instid0(VALU_DEP_1)
	v_mul_f64 v[222:223], v[220:221], -v[212:213]
.LBB117_79:
	s_or_b32 exec_lo, exec_lo, s3
	ds_store_2addr_b64 v209, v[212:213], v[222:223] offset1:1
.LBB117_80:
	s_or_b32 exec_lo, exec_lo, s4
	s_waitcnt lgkmcnt(0)
	s_barrier
	buffer_gl0_inv
	ds_load_2addr_b64 v[204:207], v209 offset1:1
	s_mov_b32 s3, exec_lo
	s_waitcnt lgkmcnt(0)
	scratch_store_b128 off, v[204:207], off offset:716 ; 16-byte Folded Spill
	v_cmpx_lt_u32_e32 8, v208
	s_cbranch_execz .LBB117_82
; %bb.81:
	scratch_load_b128 v[204:207], off, off offset:716 ; 16-byte Folded Reload
	ds_load_2addr_b64 v[218:221], v214 offset0:18 offset1:19
	s_waitcnt vmcnt(0)
	v_mul_f64 v[212:213], v[206:207], v[202:203]
	v_mul_f64 v[202:203], v[204:205], v[202:203]
	s_delay_alu instid0(VALU_DEP_2) | instskip(NEXT) | instid1(VALU_DEP_2)
	v_fma_f64 v[216:217], v[204:205], v[200:201], -v[212:213]
	v_fma_f64 v[202:203], v[206:207], v[200:201], v[202:203]
	s_waitcnt lgkmcnt(0)
	s_delay_alu instid0(VALU_DEP_1) | instskip(SKIP_1) | instid1(VALU_DEP_2)
	v_mul_f64 v[200:201], v[220:221], v[202:203]
	v_mul_f64 v[212:213], v[218:219], v[202:203]
	v_fma_f64 v[200:201], v[218:219], v[216:217], -v[200:201]
	s_delay_alu instid0(VALU_DEP_2)
	v_fma_f64 v[212:213], v[220:221], v[216:217], v[212:213]
	ds_load_2addr_b64 v[218:221], v214 offset0:20 offset1:21
	v_add_f64 v[196:197], v[196:197], -v[200:201]
	v_add_f64 v[198:199], v[198:199], -v[212:213]
	s_waitcnt lgkmcnt(0)
	v_mul_f64 v[200:201], v[220:221], v[202:203]
	v_mul_f64 v[212:213], v[218:219], v[202:203]
	s_delay_alu instid0(VALU_DEP_2) | instskip(NEXT) | instid1(VALU_DEP_2)
	v_fma_f64 v[200:201], v[218:219], v[216:217], -v[200:201]
	v_fma_f64 v[212:213], v[220:221], v[216:217], v[212:213]
	ds_load_2addr_b64 v[218:221], v214 offset0:22 offset1:23
	v_add_f64 v[192:193], v[192:193], -v[200:201]
	v_add_f64 v[194:195], v[194:195], -v[212:213]
	s_waitcnt lgkmcnt(0)
	v_mul_f64 v[200:201], v[220:221], v[202:203]
	v_mul_f64 v[212:213], v[218:219], v[202:203]
	s_delay_alu instid0(VALU_DEP_2) | instskip(NEXT) | instid1(VALU_DEP_2)
	v_fma_f64 v[200:201], v[218:219], v[216:217], -v[200:201]
	;; [unrolled: 9-line block ×49, first 2 shown]
	v_fma_f64 v[212:213], v[220:221], v[216:217], v[212:213]
	s_delay_alu instid0(VALU_DEP_2) | instskip(NEXT) | instid1(VALU_DEP_2)
	v_add_f64 v[0:1], v[0:1], -v[200:201]
	v_add_f64 v[2:3], v[2:3], -v[212:213]
	v_dual_mov_b32 v200, v216 :: v_dual_mov_b32 v201, v217
.LBB117_82:
	s_or_b32 exec_lo, exec_lo, s3
	s_delay_alu instid0(SALU_CYCLE_1)
	s_mov_b32 s4, exec_lo
	s_waitcnt_vscnt null, 0x0
	s_barrier
	buffer_gl0_inv
	v_cmpx_eq_u32_e32 9, v208
	s_cbranch_execz .LBB117_89
; %bb.83:
	ds_store_2addr_b64 v209, v[196:197], v[198:199] offset1:1
	ds_store_2addr_b64 v214, v[192:193], v[194:195] offset0:20 offset1:21
	ds_store_2addr_b64 v214, v[188:189], v[190:191] offset0:22 offset1:23
	;; [unrolled: 1-line block ×49, first 2 shown]
	ds_load_2addr_b64 v[216:219], v209 offset1:1
	s_waitcnt lgkmcnt(0)
	v_cmp_neq_f64_e32 vcc_lo, 0, v[216:217]
	v_cmp_neq_f64_e64 s3, 0, v[218:219]
	s_delay_alu instid0(VALU_DEP_1) | instskip(NEXT) | instid1(SALU_CYCLE_1)
	s_or_b32 s3, vcc_lo, s3
	s_and_b32 exec_lo, exec_lo, s3
	s_cbranch_execz .LBB117_89
; %bb.84:
	v_cmp_gt_f64_e32 vcc_lo, 0, v[216:217]
	v_xor_b32_e32 v212, 0x80000000, v217
	v_xor_b32_e32 v215, 0x80000000, v219
	s_delay_alu instid0(VALU_DEP_2) | instskip(SKIP_2) | instid1(VALU_DEP_4)
	v_cndmask_b32_e32 v213, v217, v212, vcc_lo
	v_cndmask_b32_e32 v212, v216, v216, vcc_lo
	v_cmp_gt_f64_e32 vcc_lo, 0, v[218:219]
	v_dual_cndmask_b32 v221, v219, v215 :: v_dual_cndmask_b32 v220, v218, v218
	s_delay_alu instid0(VALU_DEP_1) | instskip(SKIP_1) | instid1(SALU_CYCLE_1)
	v_cmp_ngt_f64_e32 vcc_lo, v[212:213], v[220:221]
                                        ; implicit-def: $vgpr212_vgpr213
	s_and_saveexec_b32 s3, vcc_lo
	s_xor_b32 s3, exec_lo, s3
                                        ; implicit-def: $vgpr220_vgpr221_vgpr222_vgpr223
	s_cbranch_execz .LBB117_86
; %bb.85:
	v_div_scale_f64 v[212:213], null, v[218:219], v[218:219], v[216:217]
	v_div_scale_f64 v[224:225], vcc_lo, v[216:217], v[218:219], v[216:217]
	s_delay_alu instid0(VALU_DEP_2) | instskip(SKIP_2) | instid1(VALU_DEP_1)
	v_rcp_f64_e32 v[220:221], v[212:213]
	s_waitcnt_depctr 0xfff
	v_fma_f64 v[222:223], -v[212:213], v[220:221], 1.0
	v_fma_f64 v[220:221], v[220:221], v[222:223], v[220:221]
	s_delay_alu instid0(VALU_DEP_1) | instskip(NEXT) | instid1(VALU_DEP_1)
	v_fma_f64 v[222:223], -v[212:213], v[220:221], 1.0
	v_fma_f64 v[220:221], v[220:221], v[222:223], v[220:221]
	s_delay_alu instid0(VALU_DEP_1) | instskip(NEXT) | instid1(VALU_DEP_1)
	v_mul_f64 v[222:223], v[224:225], v[220:221]
	v_fma_f64 v[212:213], -v[212:213], v[222:223], v[224:225]
	s_delay_alu instid0(VALU_DEP_1) | instskip(NEXT) | instid1(VALU_DEP_1)
	v_div_fmas_f64 v[212:213], v[212:213], v[220:221], v[222:223]
	v_div_fixup_f64 v[212:213], v[212:213], v[218:219], v[216:217]
	s_delay_alu instid0(VALU_DEP_1) | instskip(NEXT) | instid1(VALU_DEP_1)
	v_fma_f64 v[216:217], v[216:217], v[212:213], v[218:219]
	v_div_scale_f64 v[218:219], null, v[216:217], v[216:217], 1.0
	s_delay_alu instid0(VALU_DEP_1) | instskip(SKIP_2) | instid1(VALU_DEP_1)
	v_rcp_f64_e32 v[220:221], v[218:219]
	s_waitcnt_depctr 0xfff
	v_fma_f64 v[222:223], -v[218:219], v[220:221], 1.0
	v_fma_f64 v[220:221], v[220:221], v[222:223], v[220:221]
	s_delay_alu instid0(VALU_DEP_1) | instskip(NEXT) | instid1(VALU_DEP_1)
	v_fma_f64 v[222:223], -v[218:219], v[220:221], 1.0
	v_fma_f64 v[220:221], v[220:221], v[222:223], v[220:221]
	v_div_scale_f64 v[222:223], vcc_lo, 1.0, v[216:217], 1.0
	s_delay_alu instid0(VALU_DEP_1) | instskip(NEXT) | instid1(VALU_DEP_1)
	v_mul_f64 v[224:225], v[222:223], v[220:221]
	v_fma_f64 v[218:219], -v[218:219], v[224:225], v[222:223]
	s_delay_alu instid0(VALU_DEP_1) | instskip(NEXT) | instid1(VALU_DEP_1)
	v_div_fmas_f64 v[218:219], v[218:219], v[220:221], v[224:225]
	v_div_fixup_f64 v[222:223], v[218:219], v[216:217], 1.0
                                        ; implicit-def: $vgpr216_vgpr217
	s_delay_alu instid0(VALU_DEP_1)
	v_mul_f64 v[212:213], v[212:213], v[222:223]
	v_xor_b32_e32 v223, 0x80000000, v223
.LBB117_86:
	s_and_not1_saveexec_b32 s3, s3
	s_cbranch_execz .LBB117_88
; %bb.87:
	v_div_scale_f64 v[212:213], null, v[216:217], v[216:217], v[218:219]
	v_div_scale_f64 v[224:225], vcc_lo, v[218:219], v[216:217], v[218:219]
	s_delay_alu instid0(VALU_DEP_2) | instskip(SKIP_2) | instid1(VALU_DEP_1)
	v_rcp_f64_e32 v[220:221], v[212:213]
	s_waitcnt_depctr 0xfff
	v_fma_f64 v[222:223], -v[212:213], v[220:221], 1.0
	v_fma_f64 v[220:221], v[220:221], v[222:223], v[220:221]
	s_delay_alu instid0(VALU_DEP_1) | instskip(NEXT) | instid1(VALU_DEP_1)
	v_fma_f64 v[222:223], -v[212:213], v[220:221], 1.0
	v_fma_f64 v[220:221], v[220:221], v[222:223], v[220:221]
	s_delay_alu instid0(VALU_DEP_1) | instskip(NEXT) | instid1(VALU_DEP_1)
	v_mul_f64 v[222:223], v[224:225], v[220:221]
	v_fma_f64 v[212:213], -v[212:213], v[222:223], v[224:225]
	s_delay_alu instid0(VALU_DEP_1) | instskip(NEXT) | instid1(VALU_DEP_1)
	v_div_fmas_f64 v[212:213], v[212:213], v[220:221], v[222:223]
	v_div_fixup_f64 v[220:221], v[212:213], v[216:217], v[218:219]
	s_delay_alu instid0(VALU_DEP_1) | instskip(NEXT) | instid1(VALU_DEP_1)
	v_fma_f64 v[212:213], v[218:219], v[220:221], v[216:217]
	v_div_scale_f64 v[216:217], null, v[212:213], v[212:213], 1.0
	s_delay_alu instid0(VALU_DEP_1) | instskip(SKIP_2) | instid1(VALU_DEP_1)
	v_rcp_f64_e32 v[218:219], v[216:217]
	s_waitcnt_depctr 0xfff
	v_fma_f64 v[222:223], -v[216:217], v[218:219], 1.0
	v_fma_f64 v[218:219], v[218:219], v[222:223], v[218:219]
	s_delay_alu instid0(VALU_DEP_1) | instskip(NEXT) | instid1(VALU_DEP_1)
	v_fma_f64 v[222:223], -v[216:217], v[218:219], 1.0
	v_fma_f64 v[218:219], v[218:219], v[222:223], v[218:219]
	v_div_scale_f64 v[222:223], vcc_lo, 1.0, v[212:213], 1.0
	s_delay_alu instid0(VALU_DEP_1) | instskip(NEXT) | instid1(VALU_DEP_1)
	v_mul_f64 v[224:225], v[222:223], v[218:219]
	v_fma_f64 v[216:217], -v[216:217], v[224:225], v[222:223]
	s_delay_alu instid0(VALU_DEP_1) | instskip(NEXT) | instid1(VALU_DEP_1)
	v_div_fmas_f64 v[216:217], v[216:217], v[218:219], v[224:225]
	v_div_fixup_f64 v[212:213], v[216:217], v[212:213], 1.0
	s_delay_alu instid0(VALU_DEP_1)
	v_mul_f64 v[222:223], v[220:221], -v[212:213]
.LBB117_88:
	s_or_b32 exec_lo, exec_lo, s3
	ds_store_2addr_b64 v209, v[212:213], v[222:223] offset1:1
.LBB117_89:
	s_or_b32 exec_lo, exec_lo, s4
	s_waitcnt lgkmcnt(0)
	s_barrier
	buffer_gl0_inv
	ds_load_2addr_b64 v[204:207], v209 offset1:1
	s_mov_b32 s3, exec_lo
	s_waitcnt lgkmcnt(0)
	scratch_store_b128 off, v[204:207], off offset:732 ; 16-byte Folded Spill
	v_cmpx_lt_u32_e32 9, v208
	s_cbranch_execz .LBB117_91
; %bb.90:
	scratch_load_b128 v[204:207], off, off offset:732 ; 16-byte Folded Reload
	ds_load_2addr_b64 v[218:221], v214 offset0:20 offset1:21
	s_waitcnt vmcnt(0)
	v_mul_f64 v[212:213], v[206:207], v[198:199]
	v_mul_f64 v[198:199], v[204:205], v[198:199]
	s_delay_alu instid0(VALU_DEP_2) | instskip(NEXT) | instid1(VALU_DEP_2)
	v_fma_f64 v[216:217], v[204:205], v[196:197], -v[212:213]
	v_fma_f64 v[198:199], v[206:207], v[196:197], v[198:199]
	s_waitcnt lgkmcnt(0)
	s_delay_alu instid0(VALU_DEP_1) | instskip(SKIP_1) | instid1(VALU_DEP_2)
	v_mul_f64 v[196:197], v[220:221], v[198:199]
	v_mul_f64 v[212:213], v[218:219], v[198:199]
	v_fma_f64 v[196:197], v[218:219], v[216:217], -v[196:197]
	s_delay_alu instid0(VALU_DEP_2)
	v_fma_f64 v[212:213], v[220:221], v[216:217], v[212:213]
	ds_load_2addr_b64 v[218:221], v214 offset0:22 offset1:23
	v_add_f64 v[192:193], v[192:193], -v[196:197]
	v_add_f64 v[194:195], v[194:195], -v[212:213]
	s_waitcnt lgkmcnt(0)
	v_mul_f64 v[196:197], v[220:221], v[198:199]
	v_mul_f64 v[212:213], v[218:219], v[198:199]
	s_delay_alu instid0(VALU_DEP_2) | instskip(NEXT) | instid1(VALU_DEP_2)
	v_fma_f64 v[196:197], v[218:219], v[216:217], -v[196:197]
	v_fma_f64 v[212:213], v[220:221], v[216:217], v[212:213]
	ds_load_2addr_b64 v[218:221], v214 offset0:24 offset1:25
	v_add_f64 v[188:189], v[188:189], -v[196:197]
	v_add_f64 v[190:191], v[190:191], -v[212:213]
	s_waitcnt lgkmcnt(0)
	v_mul_f64 v[196:197], v[220:221], v[198:199]
	v_mul_f64 v[212:213], v[218:219], v[198:199]
	s_delay_alu instid0(VALU_DEP_2) | instskip(NEXT) | instid1(VALU_DEP_2)
	v_fma_f64 v[196:197], v[218:219], v[216:217], -v[196:197]
	;; [unrolled: 9-line block ×48, first 2 shown]
	v_fma_f64 v[212:213], v[220:221], v[216:217], v[212:213]
	s_delay_alu instid0(VALU_DEP_2) | instskip(NEXT) | instid1(VALU_DEP_2)
	v_add_f64 v[0:1], v[0:1], -v[196:197]
	v_add_f64 v[2:3], v[2:3], -v[212:213]
	v_dual_mov_b32 v196, v216 :: v_dual_mov_b32 v197, v217
.LBB117_91:
	s_or_b32 exec_lo, exec_lo, s3
	s_delay_alu instid0(SALU_CYCLE_1)
	s_mov_b32 s4, exec_lo
	s_waitcnt_vscnt null, 0x0
	s_barrier
	buffer_gl0_inv
	v_cmpx_eq_u32_e32 10, v208
	s_cbranch_execz .LBB117_98
; %bb.92:
	ds_store_2addr_b64 v209, v[192:193], v[194:195] offset1:1
	ds_store_2addr_b64 v214, v[188:189], v[190:191] offset0:22 offset1:23
	ds_store_2addr_b64 v214, v[184:185], v[186:187] offset0:24 offset1:25
	ds_store_2addr_b64 v214, v[180:181], v[182:183] offset0:26 offset1:27
	ds_store_2addr_b64 v214, v[176:177], v[178:179] offset0:28 offset1:29
	ds_store_2addr_b64 v214, v[172:173], v[174:175] offset0:30 offset1:31
	ds_store_2addr_b64 v214, v[168:169], v[170:171] offset0:32 offset1:33
	ds_store_2addr_b64 v214, v[164:165], v[166:167] offset0:34 offset1:35
	ds_store_2addr_b64 v214, v[160:161], v[162:163] offset0:36 offset1:37
	ds_store_2addr_b64 v214, v[156:157], v[158:159] offset0:38 offset1:39
	ds_store_2addr_b64 v214, v[152:153], v[154:155] offset0:40 offset1:41
	ds_store_2addr_b64 v214, v[148:149], v[150:151] offset0:42 offset1:43
	ds_store_2addr_b64 v214, v[144:145], v[146:147] offset0:44 offset1:45
	ds_store_2addr_b64 v214, v[140:141], v[142:143] offset0:46 offset1:47
	ds_store_2addr_b64 v214, v[136:137], v[138:139] offset0:48 offset1:49
	ds_store_2addr_b64 v214, v[132:133], v[134:135] offset0:50 offset1:51
	ds_store_2addr_b64 v214, v[128:129], v[130:131] offset0:52 offset1:53
	ds_store_2addr_b64 v214, v[124:125], v[126:127] offset0:54 offset1:55
	ds_store_2addr_b64 v214, v[120:121], v[122:123] offset0:56 offset1:57
	ds_store_2addr_b64 v214, v[116:117], v[118:119] offset0:58 offset1:59
	ds_store_2addr_b64 v214, v[112:113], v[114:115] offset0:60 offset1:61
	ds_store_2addr_b64 v214, v[108:109], v[110:111] offset0:62 offset1:63
	ds_store_2addr_b64 v214, v[104:105], v[106:107] offset0:64 offset1:65
	ds_store_2addr_b64 v214, v[100:101], v[102:103] offset0:66 offset1:67
	ds_store_2addr_b64 v214, v[96:97], v[98:99] offset0:68 offset1:69
	ds_store_2addr_b64 v214, v[92:93], v[94:95] offset0:70 offset1:71
	ds_store_2addr_b64 v214, v[88:89], v[90:91] offset0:72 offset1:73
	ds_store_2addr_b64 v214, v[84:85], v[86:87] offset0:74 offset1:75
	ds_store_2addr_b64 v214, v[80:81], v[82:83] offset0:76 offset1:77
	ds_store_2addr_b64 v214, v[76:77], v[78:79] offset0:78 offset1:79
	ds_store_2addr_b64 v214, v[72:73], v[74:75] offset0:80 offset1:81
	ds_store_2addr_b64 v214, v[68:69], v[70:71] offset0:82 offset1:83
	ds_store_2addr_b64 v214, v[64:65], v[66:67] offset0:84 offset1:85
	ds_store_2addr_b64 v214, v[60:61], v[62:63] offset0:86 offset1:87
	ds_store_2addr_b64 v214, v[56:57], v[58:59] offset0:88 offset1:89
	ds_store_2addr_b64 v214, v[52:53], v[54:55] offset0:90 offset1:91
	ds_store_2addr_b64 v214, v[48:49], v[50:51] offset0:92 offset1:93
	ds_store_2addr_b64 v214, v[44:45], v[46:47] offset0:94 offset1:95
	ds_store_2addr_b64 v214, v[40:41], v[42:43] offset0:96 offset1:97
	ds_store_2addr_b64 v214, v[36:37], v[38:39] offset0:98 offset1:99
	ds_store_2addr_b64 v214, v[32:33], v[34:35] offset0:100 offset1:101
	ds_store_2addr_b64 v214, v[28:29], v[30:31] offset0:102 offset1:103
	ds_store_2addr_b64 v214, v[24:25], v[26:27] offset0:104 offset1:105
	ds_store_2addr_b64 v214, v[20:21], v[22:23] offset0:106 offset1:107
	ds_store_2addr_b64 v214, v[16:17], v[18:19] offset0:108 offset1:109
	ds_store_2addr_b64 v214, v[12:13], v[14:15] offset0:110 offset1:111
	ds_store_2addr_b64 v214, v[8:9], v[10:11] offset0:112 offset1:113
	ds_store_2addr_b64 v214, v[4:5], v[6:7] offset0:114 offset1:115
	ds_store_2addr_b64 v214, v[0:1], v[2:3] offset0:116 offset1:117
	ds_load_2addr_b64 v[216:219], v209 offset1:1
	s_waitcnt lgkmcnt(0)
	v_cmp_neq_f64_e32 vcc_lo, 0, v[216:217]
	v_cmp_neq_f64_e64 s3, 0, v[218:219]
	s_delay_alu instid0(VALU_DEP_1) | instskip(NEXT) | instid1(SALU_CYCLE_1)
	s_or_b32 s3, vcc_lo, s3
	s_and_b32 exec_lo, exec_lo, s3
	s_cbranch_execz .LBB117_98
; %bb.93:
	v_cmp_gt_f64_e32 vcc_lo, 0, v[216:217]
	v_xor_b32_e32 v212, 0x80000000, v217
	v_xor_b32_e32 v215, 0x80000000, v219
	s_delay_alu instid0(VALU_DEP_2) | instskip(SKIP_2) | instid1(VALU_DEP_4)
	v_cndmask_b32_e32 v213, v217, v212, vcc_lo
	v_cndmask_b32_e32 v212, v216, v216, vcc_lo
	v_cmp_gt_f64_e32 vcc_lo, 0, v[218:219]
	v_dual_cndmask_b32 v221, v219, v215 :: v_dual_cndmask_b32 v220, v218, v218
	s_delay_alu instid0(VALU_DEP_1) | instskip(SKIP_1) | instid1(SALU_CYCLE_1)
	v_cmp_ngt_f64_e32 vcc_lo, v[212:213], v[220:221]
                                        ; implicit-def: $vgpr212_vgpr213
	s_and_saveexec_b32 s3, vcc_lo
	s_xor_b32 s3, exec_lo, s3
                                        ; implicit-def: $vgpr220_vgpr221_vgpr222_vgpr223
	s_cbranch_execz .LBB117_95
; %bb.94:
	v_div_scale_f64 v[212:213], null, v[218:219], v[218:219], v[216:217]
	v_div_scale_f64 v[224:225], vcc_lo, v[216:217], v[218:219], v[216:217]
	s_delay_alu instid0(VALU_DEP_2) | instskip(SKIP_2) | instid1(VALU_DEP_1)
	v_rcp_f64_e32 v[220:221], v[212:213]
	s_waitcnt_depctr 0xfff
	v_fma_f64 v[222:223], -v[212:213], v[220:221], 1.0
	v_fma_f64 v[220:221], v[220:221], v[222:223], v[220:221]
	s_delay_alu instid0(VALU_DEP_1) | instskip(NEXT) | instid1(VALU_DEP_1)
	v_fma_f64 v[222:223], -v[212:213], v[220:221], 1.0
	v_fma_f64 v[220:221], v[220:221], v[222:223], v[220:221]
	s_delay_alu instid0(VALU_DEP_1) | instskip(NEXT) | instid1(VALU_DEP_1)
	v_mul_f64 v[222:223], v[224:225], v[220:221]
	v_fma_f64 v[212:213], -v[212:213], v[222:223], v[224:225]
	s_delay_alu instid0(VALU_DEP_1) | instskip(NEXT) | instid1(VALU_DEP_1)
	v_div_fmas_f64 v[212:213], v[212:213], v[220:221], v[222:223]
	v_div_fixup_f64 v[212:213], v[212:213], v[218:219], v[216:217]
	s_delay_alu instid0(VALU_DEP_1) | instskip(NEXT) | instid1(VALU_DEP_1)
	v_fma_f64 v[216:217], v[216:217], v[212:213], v[218:219]
	v_div_scale_f64 v[218:219], null, v[216:217], v[216:217], 1.0
	s_delay_alu instid0(VALU_DEP_1) | instskip(SKIP_2) | instid1(VALU_DEP_1)
	v_rcp_f64_e32 v[220:221], v[218:219]
	s_waitcnt_depctr 0xfff
	v_fma_f64 v[222:223], -v[218:219], v[220:221], 1.0
	v_fma_f64 v[220:221], v[220:221], v[222:223], v[220:221]
	s_delay_alu instid0(VALU_DEP_1) | instskip(NEXT) | instid1(VALU_DEP_1)
	v_fma_f64 v[222:223], -v[218:219], v[220:221], 1.0
	v_fma_f64 v[220:221], v[220:221], v[222:223], v[220:221]
	v_div_scale_f64 v[222:223], vcc_lo, 1.0, v[216:217], 1.0
	s_delay_alu instid0(VALU_DEP_1) | instskip(NEXT) | instid1(VALU_DEP_1)
	v_mul_f64 v[224:225], v[222:223], v[220:221]
	v_fma_f64 v[218:219], -v[218:219], v[224:225], v[222:223]
	s_delay_alu instid0(VALU_DEP_1) | instskip(NEXT) | instid1(VALU_DEP_1)
	v_div_fmas_f64 v[218:219], v[218:219], v[220:221], v[224:225]
	v_div_fixup_f64 v[222:223], v[218:219], v[216:217], 1.0
                                        ; implicit-def: $vgpr216_vgpr217
	s_delay_alu instid0(VALU_DEP_1)
	v_mul_f64 v[212:213], v[212:213], v[222:223]
	v_xor_b32_e32 v223, 0x80000000, v223
.LBB117_95:
	s_and_not1_saveexec_b32 s3, s3
	s_cbranch_execz .LBB117_97
; %bb.96:
	v_div_scale_f64 v[212:213], null, v[216:217], v[216:217], v[218:219]
	v_div_scale_f64 v[224:225], vcc_lo, v[218:219], v[216:217], v[218:219]
	s_delay_alu instid0(VALU_DEP_2) | instskip(SKIP_2) | instid1(VALU_DEP_1)
	v_rcp_f64_e32 v[220:221], v[212:213]
	s_waitcnt_depctr 0xfff
	v_fma_f64 v[222:223], -v[212:213], v[220:221], 1.0
	v_fma_f64 v[220:221], v[220:221], v[222:223], v[220:221]
	s_delay_alu instid0(VALU_DEP_1) | instskip(NEXT) | instid1(VALU_DEP_1)
	v_fma_f64 v[222:223], -v[212:213], v[220:221], 1.0
	v_fma_f64 v[220:221], v[220:221], v[222:223], v[220:221]
	s_delay_alu instid0(VALU_DEP_1) | instskip(NEXT) | instid1(VALU_DEP_1)
	v_mul_f64 v[222:223], v[224:225], v[220:221]
	v_fma_f64 v[212:213], -v[212:213], v[222:223], v[224:225]
	s_delay_alu instid0(VALU_DEP_1) | instskip(NEXT) | instid1(VALU_DEP_1)
	v_div_fmas_f64 v[212:213], v[212:213], v[220:221], v[222:223]
	v_div_fixup_f64 v[220:221], v[212:213], v[216:217], v[218:219]
	s_delay_alu instid0(VALU_DEP_1) | instskip(NEXT) | instid1(VALU_DEP_1)
	v_fma_f64 v[212:213], v[218:219], v[220:221], v[216:217]
	v_div_scale_f64 v[216:217], null, v[212:213], v[212:213], 1.0
	s_delay_alu instid0(VALU_DEP_1) | instskip(SKIP_2) | instid1(VALU_DEP_1)
	v_rcp_f64_e32 v[218:219], v[216:217]
	s_waitcnt_depctr 0xfff
	v_fma_f64 v[222:223], -v[216:217], v[218:219], 1.0
	v_fma_f64 v[218:219], v[218:219], v[222:223], v[218:219]
	s_delay_alu instid0(VALU_DEP_1) | instskip(NEXT) | instid1(VALU_DEP_1)
	v_fma_f64 v[222:223], -v[216:217], v[218:219], 1.0
	v_fma_f64 v[218:219], v[218:219], v[222:223], v[218:219]
	v_div_scale_f64 v[222:223], vcc_lo, 1.0, v[212:213], 1.0
	s_delay_alu instid0(VALU_DEP_1) | instskip(NEXT) | instid1(VALU_DEP_1)
	v_mul_f64 v[224:225], v[222:223], v[218:219]
	v_fma_f64 v[216:217], -v[216:217], v[224:225], v[222:223]
	s_delay_alu instid0(VALU_DEP_1) | instskip(NEXT) | instid1(VALU_DEP_1)
	v_div_fmas_f64 v[216:217], v[216:217], v[218:219], v[224:225]
	v_div_fixup_f64 v[212:213], v[216:217], v[212:213], 1.0
	s_delay_alu instid0(VALU_DEP_1)
	v_mul_f64 v[222:223], v[220:221], -v[212:213]
.LBB117_97:
	s_or_b32 exec_lo, exec_lo, s3
	ds_store_2addr_b64 v209, v[212:213], v[222:223] offset1:1
.LBB117_98:
	s_or_b32 exec_lo, exec_lo, s4
	s_waitcnt lgkmcnt(0)
	s_barrier
	buffer_gl0_inv
	ds_load_2addr_b64 v[204:207], v209 offset1:1
	s_mov_b32 s3, exec_lo
	s_waitcnt lgkmcnt(0)
	scratch_store_b128 off, v[204:207], off offset:748 ; 16-byte Folded Spill
	v_cmpx_lt_u32_e32 10, v208
	s_cbranch_execz .LBB117_100
; %bb.99:
	scratch_load_b128 v[204:207], off, off offset:748 ; 16-byte Folded Reload
	ds_load_2addr_b64 v[218:221], v214 offset0:22 offset1:23
	s_waitcnt vmcnt(0)
	v_mul_f64 v[212:213], v[206:207], v[194:195]
	v_mul_f64 v[194:195], v[204:205], v[194:195]
	s_delay_alu instid0(VALU_DEP_2) | instskip(NEXT) | instid1(VALU_DEP_2)
	v_fma_f64 v[216:217], v[204:205], v[192:193], -v[212:213]
	v_fma_f64 v[194:195], v[206:207], v[192:193], v[194:195]
	s_waitcnt lgkmcnt(0)
	s_delay_alu instid0(VALU_DEP_1) | instskip(SKIP_1) | instid1(VALU_DEP_2)
	v_mul_f64 v[192:193], v[220:221], v[194:195]
	v_mul_f64 v[212:213], v[218:219], v[194:195]
	v_fma_f64 v[192:193], v[218:219], v[216:217], -v[192:193]
	s_delay_alu instid0(VALU_DEP_2)
	v_fma_f64 v[212:213], v[220:221], v[216:217], v[212:213]
	ds_load_2addr_b64 v[218:221], v214 offset0:24 offset1:25
	v_add_f64 v[188:189], v[188:189], -v[192:193]
	v_add_f64 v[190:191], v[190:191], -v[212:213]
	s_waitcnt lgkmcnt(0)
	v_mul_f64 v[192:193], v[220:221], v[194:195]
	v_mul_f64 v[212:213], v[218:219], v[194:195]
	s_delay_alu instid0(VALU_DEP_2) | instskip(NEXT) | instid1(VALU_DEP_2)
	v_fma_f64 v[192:193], v[218:219], v[216:217], -v[192:193]
	v_fma_f64 v[212:213], v[220:221], v[216:217], v[212:213]
	ds_load_2addr_b64 v[218:221], v214 offset0:26 offset1:27
	v_add_f64 v[184:185], v[184:185], -v[192:193]
	v_add_f64 v[186:187], v[186:187], -v[212:213]
	s_waitcnt lgkmcnt(0)
	v_mul_f64 v[192:193], v[220:221], v[194:195]
	v_mul_f64 v[212:213], v[218:219], v[194:195]
	s_delay_alu instid0(VALU_DEP_2) | instskip(NEXT) | instid1(VALU_DEP_2)
	v_fma_f64 v[192:193], v[218:219], v[216:217], -v[192:193]
	;; [unrolled: 9-line block ×47, first 2 shown]
	v_fma_f64 v[212:213], v[220:221], v[216:217], v[212:213]
	s_delay_alu instid0(VALU_DEP_2) | instskip(NEXT) | instid1(VALU_DEP_2)
	v_add_f64 v[0:1], v[0:1], -v[192:193]
	v_add_f64 v[2:3], v[2:3], -v[212:213]
	v_dual_mov_b32 v192, v216 :: v_dual_mov_b32 v193, v217
.LBB117_100:
	s_or_b32 exec_lo, exec_lo, s3
	s_delay_alu instid0(SALU_CYCLE_1)
	s_mov_b32 s4, exec_lo
	s_waitcnt_vscnt null, 0x0
	s_barrier
	buffer_gl0_inv
	v_cmpx_eq_u32_e32 11, v208
	s_cbranch_execz .LBB117_107
; %bb.101:
	ds_store_2addr_b64 v209, v[188:189], v[190:191] offset1:1
	ds_store_2addr_b64 v214, v[184:185], v[186:187] offset0:24 offset1:25
	ds_store_2addr_b64 v214, v[180:181], v[182:183] offset0:26 offset1:27
	;; [unrolled: 1-line block ×47, first 2 shown]
	ds_load_2addr_b64 v[216:219], v209 offset1:1
	s_waitcnt lgkmcnt(0)
	v_cmp_neq_f64_e32 vcc_lo, 0, v[216:217]
	v_cmp_neq_f64_e64 s3, 0, v[218:219]
	s_delay_alu instid0(VALU_DEP_1) | instskip(NEXT) | instid1(SALU_CYCLE_1)
	s_or_b32 s3, vcc_lo, s3
	s_and_b32 exec_lo, exec_lo, s3
	s_cbranch_execz .LBB117_107
; %bb.102:
	v_cmp_gt_f64_e32 vcc_lo, 0, v[216:217]
	v_xor_b32_e32 v212, 0x80000000, v217
	v_xor_b32_e32 v215, 0x80000000, v219
	s_delay_alu instid0(VALU_DEP_2) | instskip(SKIP_2) | instid1(VALU_DEP_4)
	v_cndmask_b32_e32 v213, v217, v212, vcc_lo
	v_cndmask_b32_e32 v212, v216, v216, vcc_lo
	v_cmp_gt_f64_e32 vcc_lo, 0, v[218:219]
	v_dual_cndmask_b32 v221, v219, v215 :: v_dual_cndmask_b32 v220, v218, v218
	s_delay_alu instid0(VALU_DEP_1) | instskip(SKIP_1) | instid1(SALU_CYCLE_1)
	v_cmp_ngt_f64_e32 vcc_lo, v[212:213], v[220:221]
                                        ; implicit-def: $vgpr212_vgpr213
	s_and_saveexec_b32 s3, vcc_lo
	s_xor_b32 s3, exec_lo, s3
                                        ; implicit-def: $vgpr220_vgpr221_vgpr222_vgpr223
	s_cbranch_execz .LBB117_104
; %bb.103:
	v_div_scale_f64 v[212:213], null, v[218:219], v[218:219], v[216:217]
	v_div_scale_f64 v[224:225], vcc_lo, v[216:217], v[218:219], v[216:217]
	s_delay_alu instid0(VALU_DEP_2) | instskip(SKIP_2) | instid1(VALU_DEP_1)
	v_rcp_f64_e32 v[220:221], v[212:213]
	s_waitcnt_depctr 0xfff
	v_fma_f64 v[222:223], -v[212:213], v[220:221], 1.0
	v_fma_f64 v[220:221], v[220:221], v[222:223], v[220:221]
	s_delay_alu instid0(VALU_DEP_1) | instskip(NEXT) | instid1(VALU_DEP_1)
	v_fma_f64 v[222:223], -v[212:213], v[220:221], 1.0
	v_fma_f64 v[220:221], v[220:221], v[222:223], v[220:221]
	s_delay_alu instid0(VALU_DEP_1) | instskip(NEXT) | instid1(VALU_DEP_1)
	v_mul_f64 v[222:223], v[224:225], v[220:221]
	v_fma_f64 v[212:213], -v[212:213], v[222:223], v[224:225]
	s_delay_alu instid0(VALU_DEP_1) | instskip(NEXT) | instid1(VALU_DEP_1)
	v_div_fmas_f64 v[212:213], v[212:213], v[220:221], v[222:223]
	v_div_fixup_f64 v[212:213], v[212:213], v[218:219], v[216:217]
	s_delay_alu instid0(VALU_DEP_1) | instskip(NEXT) | instid1(VALU_DEP_1)
	v_fma_f64 v[216:217], v[216:217], v[212:213], v[218:219]
	v_div_scale_f64 v[218:219], null, v[216:217], v[216:217], 1.0
	s_delay_alu instid0(VALU_DEP_1) | instskip(SKIP_2) | instid1(VALU_DEP_1)
	v_rcp_f64_e32 v[220:221], v[218:219]
	s_waitcnt_depctr 0xfff
	v_fma_f64 v[222:223], -v[218:219], v[220:221], 1.0
	v_fma_f64 v[220:221], v[220:221], v[222:223], v[220:221]
	s_delay_alu instid0(VALU_DEP_1) | instskip(NEXT) | instid1(VALU_DEP_1)
	v_fma_f64 v[222:223], -v[218:219], v[220:221], 1.0
	v_fma_f64 v[220:221], v[220:221], v[222:223], v[220:221]
	v_div_scale_f64 v[222:223], vcc_lo, 1.0, v[216:217], 1.0
	s_delay_alu instid0(VALU_DEP_1) | instskip(NEXT) | instid1(VALU_DEP_1)
	v_mul_f64 v[224:225], v[222:223], v[220:221]
	v_fma_f64 v[218:219], -v[218:219], v[224:225], v[222:223]
	s_delay_alu instid0(VALU_DEP_1) | instskip(NEXT) | instid1(VALU_DEP_1)
	v_div_fmas_f64 v[218:219], v[218:219], v[220:221], v[224:225]
	v_div_fixup_f64 v[222:223], v[218:219], v[216:217], 1.0
                                        ; implicit-def: $vgpr216_vgpr217
	s_delay_alu instid0(VALU_DEP_1)
	v_mul_f64 v[212:213], v[212:213], v[222:223]
	v_xor_b32_e32 v223, 0x80000000, v223
.LBB117_104:
	s_and_not1_saveexec_b32 s3, s3
	s_cbranch_execz .LBB117_106
; %bb.105:
	v_div_scale_f64 v[212:213], null, v[216:217], v[216:217], v[218:219]
	v_div_scale_f64 v[224:225], vcc_lo, v[218:219], v[216:217], v[218:219]
	s_delay_alu instid0(VALU_DEP_2) | instskip(SKIP_2) | instid1(VALU_DEP_1)
	v_rcp_f64_e32 v[220:221], v[212:213]
	s_waitcnt_depctr 0xfff
	v_fma_f64 v[222:223], -v[212:213], v[220:221], 1.0
	v_fma_f64 v[220:221], v[220:221], v[222:223], v[220:221]
	s_delay_alu instid0(VALU_DEP_1) | instskip(NEXT) | instid1(VALU_DEP_1)
	v_fma_f64 v[222:223], -v[212:213], v[220:221], 1.0
	v_fma_f64 v[220:221], v[220:221], v[222:223], v[220:221]
	s_delay_alu instid0(VALU_DEP_1) | instskip(NEXT) | instid1(VALU_DEP_1)
	v_mul_f64 v[222:223], v[224:225], v[220:221]
	v_fma_f64 v[212:213], -v[212:213], v[222:223], v[224:225]
	s_delay_alu instid0(VALU_DEP_1) | instskip(NEXT) | instid1(VALU_DEP_1)
	v_div_fmas_f64 v[212:213], v[212:213], v[220:221], v[222:223]
	v_div_fixup_f64 v[220:221], v[212:213], v[216:217], v[218:219]
	s_delay_alu instid0(VALU_DEP_1) | instskip(NEXT) | instid1(VALU_DEP_1)
	v_fma_f64 v[212:213], v[218:219], v[220:221], v[216:217]
	v_div_scale_f64 v[216:217], null, v[212:213], v[212:213], 1.0
	s_delay_alu instid0(VALU_DEP_1) | instskip(SKIP_2) | instid1(VALU_DEP_1)
	v_rcp_f64_e32 v[218:219], v[216:217]
	s_waitcnt_depctr 0xfff
	v_fma_f64 v[222:223], -v[216:217], v[218:219], 1.0
	v_fma_f64 v[218:219], v[218:219], v[222:223], v[218:219]
	s_delay_alu instid0(VALU_DEP_1) | instskip(NEXT) | instid1(VALU_DEP_1)
	v_fma_f64 v[222:223], -v[216:217], v[218:219], 1.0
	v_fma_f64 v[218:219], v[218:219], v[222:223], v[218:219]
	v_div_scale_f64 v[222:223], vcc_lo, 1.0, v[212:213], 1.0
	s_delay_alu instid0(VALU_DEP_1) | instskip(NEXT) | instid1(VALU_DEP_1)
	v_mul_f64 v[224:225], v[222:223], v[218:219]
	v_fma_f64 v[216:217], -v[216:217], v[224:225], v[222:223]
	s_delay_alu instid0(VALU_DEP_1) | instskip(NEXT) | instid1(VALU_DEP_1)
	v_div_fmas_f64 v[216:217], v[216:217], v[218:219], v[224:225]
	v_div_fixup_f64 v[212:213], v[216:217], v[212:213], 1.0
	s_delay_alu instid0(VALU_DEP_1)
	v_mul_f64 v[222:223], v[220:221], -v[212:213]
.LBB117_106:
	s_or_b32 exec_lo, exec_lo, s3
	ds_store_2addr_b64 v209, v[212:213], v[222:223] offset1:1
.LBB117_107:
	s_or_b32 exec_lo, exec_lo, s4
	s_waitcnt lgkmcnt(0)
	s_barrier
	buffer_gl0_inv
	ds_load_2addr_b64 v[204:207], v209 offset1:1
	s_mov_b32 s3, exec_lo
	s_waitcnt lgkmcnt(0)
	scratch_store_b128 off, v[204:207], off offset:764 ; 16-byte Folded Spill
	v_cmpx_lt_u32_e32 11, v208
	s_cbranch_execz .LBB117_109
; %bb.108:
	scratch_load_b128 v[204:207], off, off offset:764 ; 16-byte Folded Reload
	ds_load_2addr_b64 v[218:221], v214 offset0:24 offset1:25
	s_waitcnt vmcnt(0)
	v_mul_f64 v[212:213], v[206:207], v[190:191]
	v_mul_f64 v[190:191], v[204:205], v[190:191]
	s_delay_alu instid0(VALU_DEP_2) | instskip(NEXT) | instid1(VALU_DEP_2)
	v_fma_f64 v[216:217], v[204:205], v[188:189], -v[212:213]
	v_fma_f64 v[190:191], v[206:207], v[188:189], v[190:191]
	s_waitcnt lgkmcnt(0)
	s_delay_alu instid0(VALU_DEP_1) | instskip(SKIP_1) | instid1(VALU_DEP_2)
	v_mul_f64 v[188:189], v[220:221], v[190:191]
	v_mul_f64 v[212:213], v[218:219], v[190:191]
	v_fma_f64 v[188:189], v[218:219], v[216:217], -v[188:189]
	s_delay_alu instid0(VALU_DEP_2)
	v_fma_f64 v[212:213], v[220:221], v[216:217], v[212:213]
	ds_load_2addr_b64 v[218:221], v214 offset0:26 offset1:27
	v_add_f64 v[184:185], v[184:185], -v[188:189]
	v_add_f64 v[186:187], v[186:187], -v[212:213]
	s_waitcnt lgkmcnt(0)
	v_mul_f64 v[188:189], v[220:221], v[190:191]
	v_mul_f64 v[212:213], v[218:219], v[190:191]
	s_delay_alu instid0(VALU_DEP_2) | instskip(NEXT) | instid1(VALU_DEP_2)
	v_fma_f64 v[188:189], v[218:219], v[216:217], -v[188:189]
	v_fma_f64 v[212:213], v[220:221], v[216:217], v[212:213]
	ds_load_2addr_b64 v[218:221], v214 offset0:28 offset1:29
	v_add_f64 v[180:181], v[180:181], -v[188:189]
	v_add_f64 v[182:183], v[182:183], -v[212:213]
	s_waitcnt lgkmcnt(0)
	v_mul_f64 v[188:189], v[220:221], v[190:191]
	v_mul_f64 v[212:213], v[218:219], v[190:191]
	s_delay_alu instid0(VALU_DEP_2) | instskip(NEXT) | instid1(VALU_DEP_2)
	v_fma_f64 v[188:189], v[218:219], v[216:217], -v[188:189]
	;; [unrolled: 9-line block ×46, first 2 shown]
	v_fma_f64 v[212:213], v[220:221], v[216:217], v[212:213]
	s_delay_alu instid0(VALU_DEP_2) | instskip(NEXT) | instid1(VALU_DEP_2)
	v_add_f64 v[0:1], v[0:1], -v[188:189]
	v_add_f64 v[2:3], v[2:3], -v[212:213]
	v_dual_mov_b32 v188, v216 :: v_dual_mov_b32 v189, v217
.LBB117_109:
	s_or_b32 exec_lo, exec_lo, s3
	s_delay_alu instid0(SALU_CYCLE_1)
	s_mov_b32 s4, exec_lo
	s_waitcnt_vscnt null, 0x0
	s_barrier
	buffer_gl0_inv
	v_cmpx_eq_u32_e32 12, v208
	s_cbranch_execz .LBB117_116
; %bb.110:
	ds_store_2addr_b64 v209, v[184:185], v[186:187] offset1:1
	ds_store_2addr_b64 v214, v[180:181], v[182:183] offset0:26 offset1:27
	ds_store_2addr_b64 v214, v[176:177], v[178:179] offset0:28 offset1:29
	ds_store_2addr_b64 v214, v[172:173], v[174:175] offset0:30 offset1:31
	ds_store_2addr_b64 v214, v[168:169], v[170:171] offset0:32 offset1:33
	ds_store_2addr_b64 v214, v[164:165], v[166:167] offset0:34 offset1:35
	ds_store_2addr_b64 v214, v[160:161], v[162:163] offset0:36 offset1:37
	ds_store_2addr_b64 v214, v[156:157], v[158:159] offset0:38 offset1:39
	ds_store_2addr_b64 v214, v[152:153], v[154:155] offset0:40 offset1:41
	ds_store_2addr_b64 v214, v[148:149], v[150:151] offset0:42 offset1:43
	ds_store_2addr_b64 v214, v[144:145], v[146:147] offset0:44 offset1:45
	ds_store_2addr_b64 v214, v[140:141], v[142:143] offset0:46 offset1:47
	ds_store_2addr_b64 v214, v[136:137], v[138:139] offset0:48 offset1:49
	ds_store_2addr_b64 v214, v[132:133], v[134:135] offset0:50 offset1:51
	ds_store_2addr_b64 v214, v[128:129], v[130:131] offset0:52 offset1:53
	ds_store_2addr_b64 v214, v[124:125], v[126:127] offset0:54 offset1:55
	ds_store_2addr_b64 v214, v[120:121], v[122:123] offset0:56 offset1:57
	ds_store_2addr_b64 v214, v[116:117], v[118:119] offset0:58 offset1:59
	ds_store_2addr_b64 v214, v[112:113], v[114:115] offset0:60 offset1:61
	ds_store_2addr_b64 v214, v[108:109], v[110:111] offset0:62 offset1:63
	ds_store_2addr_b64 v214, v[104:105], v[106:107] offset0:64 offset1:65
	ds_store_2addr_b64 v214, v[100:101], v[102:103] offset0:66 offset1:67
	ds_store_2addr_b64 v214, v[96:97], v[98:99] offset0:68 offset1:69
	ds_store_2addr_b64 v214, v[92:93], v[94:95] offset0:70 offset1:71
	ds_store_2addr_b64 v214, v[88:89], v[90:91] offset0:72 offset1:73
	ds_store_2addr_b64 v214, v[84:85], v[86:87] offset0:74 offset1:75
	ds_store_2addr_b64 v214, v[80:81], v[82:83] offset0:76 offset1:77
	ds_store_2addr_b64 v214, v[76:77], v[78:79] offset0:78 offset1:79
	ds_store_2addr_b64 v214, v[72:73], v[74:75] offset0:80 offset1:81
	ds_store_2addr_b64 v214, v[68:69], v[70:71] offset0:82 offset1:83
	ds_store_2addr_b64 v214, v[64:65], v[66:67] offset0:84 offset1:85
	ds_store_2addr_b64 v214, v[60:61], v[62:63] offset0:86 offset1:87
	ds_store_2addr_b64 v214, v[56:57], v[58:59] offset0:88 offset1:89
	ds_store_2addr_b64 v214, v[52:53], v[54:55] offset0:90 offset1:91
	ds_store_2addr_b64 v214, v[48:49], v[50:51] offset0:92 offset1:93
	ds_store_2addr_b64 v214, v[44:45], v[46:47] offset0:94 offset1:95
	ds_store_2addr_b64 v214, v[40:41], v[42:43] offset0:96 offset1:97
	ds_store_2addr_b64 v214, v[36:37], v[38:39] offset0:98 offset1:99
	ds_store_2addr_b64 v214, v[32:33], v[34:35] offset0:100 offset1:101
	ds_store_2addr_b64 v214, v[28:29], v[30:31] offset0:102 offset1:103
	ds_store_2addr_b64 v214, v[24:25], v[26:27] offset0:104 offset1:105
	ds_store_2addr_b64 v214, v[20:21], v[22:23] offset0:106 offset1:107
	ds_store_2addr_b64 v214, v[16:17], v[18:19] offset0:108 offset1:109
	ds_store_2addr_b64 v214, v[12:13], v[14:15] offset0:110 offset1:111
	ds_store_2addr_b64 v214, v[8:9], v[10:11] offset0:112 offset1:113
	ds_store_2addr_b64 v214, v[4:5], v[6:7] offset0:114 offset1:115
	ds_store_2addr_b64 v214, v[0:1], v[2:3] offset0:116 offset1:117
	ds_load_2addr_b64 v[216:219], v209 offset1:1
	s_waitcnt lgkmcnt(0)
	v_cmp_neq_f64_e32 vcc_lo, 0, v[216:217]
	v_cmp_neq_f64_e64 s3, 0, v[218:219]
	s_delay_alu instid0(VALU_DEP_1) | instskip(NEXT) | instid1(SALU_CYCLE_1)
	s_or_b32 s3, vcc_lo, s3
	s_and_b32 exec_lo, exec_lo, s3
	s_cbranch_execz .LBB117_116
; %bb.111:
	v_cmp_gt_f64_e32 vcc_lo, 0, v[216:217]
	v_xor_b32_e32 v212, 0x80000000, v217
	v_xor_b32_e32 v215, 0x80000000, v219
	s_delay_alu instid0(VALU_DEP_2) | instskip(SKIP_2) | instid1(VALU_DEP_4)
	v_cndmask_b32_e32 v213, v217, v212, vcc_lo
	v_cndmask_b32_e32 v212, v216, v216, vcc_lo
	v_cmp_gt_f64_e32 vcc_lo, 0, v[218:219]
	v_dual_cndmask_b32 v221, v219, v215 :: v_dual_cndmask_b32 v220, v218, v218
	s_delay_alu instid0(VALU_DEP_1) | instskip(SKIP_1) | instid1(SALU_CYCLE_1)
	v_cmp_ngt_f64_e32 vcc_lo, v[212:213], v[220:221]
                                        ; implicit-def: $vgpr212_vgpr213
	s_and_saveexec_b32 s3, vcc_lo
	s_xor_b32 s3, exec_lo, s3
                                        ; implicit-def: $vgpr220_vgpr221_vgpr222_vgpr223
	s_cbranch_execz .LBB117_113
; %bb.112:
	v_div_scale_f64 v[212:213], null, v[218:219], v[218:219], v[216:217]
	v_div_scale_f64 v[224:225], vcc_lo, v[216:217], v[218:219], v[216:217]
	s_delay_alu instid0(VALU_DEP_2) | instskip(SKIP_2) | instid1(VALU_DEP_1)
	v_rcp_f64_e32 v[220:221], v[212:213]
	s_waitcnt_depctr 0xfff
	v_fma_f64 v[222:223], -v[212:213], v[220:221], 1.0
	v_fma_f64 v[220:221], v[220:221], v[222:223], v[220:221]
	s_delay_alu instid0(VALU_DEP_1) | instskip(NEXT) | instid1(VALU_DEP_1)
	v_fma_f64 v[222:223], -v[212:213], v[220:221], 1.0
	v_fma_f64 v[220:221], v[220:221], v[222:223], v[220:221]
	s_delay_alu instid0(VALU_DEP_1) | instskip(NEXT) | instid1(VALU_DEP_1)
	v_mul_f64 v[222:223], v[224:225], v[220:221]
	v_fma_f64 v[212:213], -v[212:213], v[222:223], v[224:225]
	s_delay_alu instid0(VALU_DEP_1) | instskip(NEXT) | instid1(VALU_DEP_1)
	v_div_fmas_f64 v[212:213], v[212:213], v[220:221], v[222:223]
	v_div_fixup_f64 v[212:213], v[212:213], v[218:219], v[216:217]
	s_delay_alu instid0(VALU_DEP_1) | instskip(NEXT) | instid1(VALU_DEP_1)
	v_fma_f64 v[216:217], v[216:217], v[212:213], v[218:219]
	v_div_scale_f64 v[218:219], null, v[216:217], v[216:217], 1.0
	s_delay_alu instid0(VALU_DEP_1) | instskip(SKIP_2) | instid1(VALU_DEP_1)
	v_rcp_f64_e32 v[220:221], v[218:219]
	s_waitcnt_depctr 0xfff
	v_fma_f64 v[222:223], -v[218:219], v[220:221], 1.0
	v_fma_f64 v[220:221], v[220:221], v[222:223], v[220:221]
	s_delay_alu instid0(VALU_DEP_1) | instskip(NEXT) | instid1(VALU_DEP_1)
	v_fma_f64 v[222:223], -v[218:219], v[220:221], 1.0
	v_fma_f64 v[220:221], v[220:221], v[222:223], v[220:221]
	v_div_scale_f64 v[222:223], vcc_lo, 1.0, v[216:217], 1.0
	s_delay_alu instid0(VALU_DEP_1) | instskip(NEXT) | instid1(VALU_DEP_1)
	v_mul_f64 v[224:225], v[222:223], v[220:221]
	v_fma_f64 v[218:219], -v[218:219], v[224:225], v[222:223]
	s_delay_alu instid0(VALU_DEP_1) | instskip(NEXT) | instid1(VALU_DEP_1)
	v_div_fmas_f64 v[218:219], v[218:219], v[220:221], v[224:225]
	v_div_fixup_f64 v[222:223], v[218:219], v[216:217], 1.0
                                        ; implicit-def: $vgpr216_vgpr217
	s_delay_alu instid0(VALU_DEP_1)
	v_mul_f64 v[212:213], v[212:213], v[222:223]
	v_xor_b32_e32 v223, 0x80000000, v223
.LBB117_113:
	s_and_not1_saveexec_b32 s3, s3
	s_cbranch_execz .LBB117_115
; %bb.114:
	v_div_scale_f64 v[212:213], null, v[216:217], v[216:217], v[218:219]
	v_div_scale_f64 v[224:225], vcc_lo, v[218:219], v[216:217], v[218:219]
	s_delay_alu instid0(VALU_DEP_2) | instskip(SKIP_2) | instid1(VALU_DEP_1)
	v_rcp_f64_e32 v[220:221], v[212:213]
	s_waitcnt_depctr 0xfff
	v_fma_f64 v[222:223], -v[212:213], v[220:221], 1.0
	v_fma_f64 v[220:221], v[220:221], v[222:223], v[220:221]
	s_delay_alu instid0(VALU_DEP_1) | instskip(NEXT) | instid1(VALU_DEP_1)
	v_fma_f64 v[222:223], -v[212:213], v[220:221], 1.0
	v_fma_f64 v[220:221], v[220:221], v[222:223], v[220:221]
	s_delay_alu instid0(VALU_DEP_1) | instskip(NEXT) | instid1(VALU_DEP_1)
	v_mul_f64 v[222:223], v[224:225], v[220:221]
	v_fma_f64 v[212:213], -v[212:213], v[222:223], v[224:225]
	s_delay_alu instid0(VALU_DEP_1) | instskip(NEXT) | instid1(VALU_DEP_1)
	v_div_fmas_f64 v[212:213], v[212:213], v[220:221], v[222:223]
	v_div_fixup_f64 v[220:221], v[212:213], v[216:217], v[218:219]
	s_delay_alu instid0(VALU_DEP_1) | instskip(NEXT) | instid1(VALU_DEP_1)
	v_fma_f64 v[212:213], v[218:219], v[220:221], v[216:217]
	v_div_scale_f64 v[216:217], null, v[212:213], v[212:213], 1.0
	s_delay_alu instid0(VALU_DEP_1) | instskip(SKIP_2) | instid1(VALU_DEP_1)
	v_rcp_f64_e32 v[218:219], v[216:217]
	s_waitcnt_depctr 0xfff
	v_fma_f64 v[222:223], -v[216:217], v[218:219], 1.0
	v_fma_f64 v[218:219], v[218:219], v[222:223], v[218:219]
	s_delay_alu instid0(VALU_DEP_1) | instskip(NEXT) | instid1(VALU_DEP_1)
	v_fma_f64 v[222:223], -v[216:217], v[218:219], 1.0
	v_fma_f64 v[218:219], v[218:219], v[222:223], v[218:219]
	v_div_scale_f64 v[222:223], vcc_lo, 1.0, v[212:213], 1.0
	s_delay_alu instid0(VALU_DEP_1) | instskip(NEXT) | instid1(VALU_DEP_1)
	v_mul_f64 v[224:225], v[222:223], v[218:219]
	v_fma_f64 v[216:217], -v[216:217], v[224:225], v[222:223]
	s_delay_alu instid0(VALU_DEP_1) | instskip(NEXT) | instid1(VALU_DEP_1)
	v_div_fmas_f64 v[216:217], v[216:217], v[218:219], v[224:225]
	v_div_fixup_f64 v[212:213], v[216:217], v[212:213], 1.0
	s_delay_alu instid0(VALU_DEP_1)
	v_mul_f64 v[222:223], v[220:221], -v[212:213]
.LBB117_115:
	s_or_b32 exec_lo, exec_lo, s3
	ds_store_2addr_b64 v209, v[212:213], v[222:223] offset1:1
.LBB117_116:
	s_or_b32 exec_lo, exec_lo, s4
	s_waitcnt lgkmcnt(0)
	s_barrier
	buffer_gl0_inv
	ds_load_2addr_b64 v[204:207], v209 offset1:1
	s_mov_b32 s3, exec_lo
	s_waitcnt lgkmcnt(0)
	scratch_store_b128 off, v[204:207], off offset:780 ; 16-byte Folded Spill
	v_cmpx_lt_u32_e32 12, v208
	s_cbranch_execz .LBB117_118
; %bb.117:
	scratch_load_b128 v[204:207], off, off offset:780 ; 16-byte Folded Reload
	ds_load_2addr_b64 v[218:221], v214 offset0:26 offset1:27
	s_waitcnt vmcnt(0)
	v_mul_f64 v[212:213], v[206:207], v[186:187]
	v_mul_f64 v[186:187], v[204:205], v[186:187]
	s_delay_alu instid0(VALU_DEP_2) | instskip(NEXT) | instid1(VALU_DEP_2)
	v_fma_f64 v[216:217], v[204:205], v[184:185], -v[212:213]
	v_fma_f64 v[186:187], v[206:207], v[184:185], v[186:187]
	s_waitcnt lgkmcnt(0)
	s_delay_alu instid0(VALU_DEP_1) | instskip(SKIP_1) | instid1(VALU_DEP_2)
	v_mul_f64 v[184:185], v[220:221], v[186:187]
	v_mul_f64 v[212:213], v[218:219], v[186:187]
	v_fma_f64 v[184:185], v[218:219], v[216:217], -v[184:185]
	s_delay_alu instid0(VALU_DEP_2)
	v_fma_f64 v[212:213], v[220:221], v[216:217], v[212:213]
	ds_load_2addr_b64 v[218:221], v214 offset0:28 offset1:29
	v_add_f64 v[180:181], v[180:181], -v[184:185]
	v_add_f64 v[182:183], v[182:183], -v[212:213]
	s_waitcnt lgkmcnt(0)
	v_mul_f64 v[184:185], v[220:221], v[186:187]
	v_mul_f64 v[212:213], v[218:219], v[186:187]
	s_delay_alu instid0(VALU_DEP_2) | instskip(NEXT) | instid1(VALU_DEP_2)
	v_fma_f64 v[184:185], v[218:219], v[216:217], -v[184:185]
	v_fma_f64 v[212:213], v[220:221], v[216:217], v[212:213]
	ds_load_2addr_b64 v[218:221], v214 offset0:30 offset1:31
	v_add_f64 v[176:177], v[176:177], -v[184:185]
	v_add_f64 v[178:179], v[178:179], -v[212:213]
	s_waitcnt lgkmcnt(0)
	v_mul_f64 v[184:185], v[220:221], v[186:187]
	v_mul_f64 v[212:213], v[218:219], v[186:187]
	s_delay_alu instid0(VALU_DEP_2) | instskip(NEXT) | instid1(VALU_DEP_2)
	v_fma_f64 v[184:185], v[218:219], v[216:217], -v[184:185]
	;; [unrolled: 9-line block ×45, first 2 shown]
	v_fma_f64 v[212:213], v[220:221], v[216:217], v[212:213]
	s_delay_alu instid0(VALU_DEP_2) | instskip(NEXT) | instid1(VALU_DEP_2)
	v_add_f64 v[0:1], v[0:1], -v[184:185]
	v_add_f64 v[2:3], v[2:3], -v[212:213]
	v_dual_mov_b32 v184, v216 :: v_dual_mov_b32 v185, v217
.LBB117_118:
	s_or_b32 exec_lo, exec_lo, s3
	s_delay_alu instid0(SALU_CYCLE_1)
	s_mov_b32 s4, exec_lo
	s_waitcnt_vscnt null, 0x0
	s_barrier
	buffer_gl0_inv
	v_cmpx_eq_u32_e32 13, v208
	s_cbranch_execz .LBB117_125
; %bb.119:
	ds_store_2addr_b64 v209, v[180:181], v[182:183] offset1:1
	ds_store_2addr_b64 v214, v[176:177], v[178:179] offset0:28 offset1:29
	ds_store_2addr_b64 v214, v[172:173], v[174:175] offset0:30 offset1:31
	;; [unrolled: 1-line block ×45, first 2 shown]
	ds_load_2addr_b64 v[216:219], v209 offset1:1
	s_waitcnt lgkmcnt(0)
	v_cmp_neq_f64_e32 vcc_lo, 0, v[216:217]
	v_cmp_neq_f64_e64 s3, 0, v[218:219]
	s_delay_alu instid0(VALU_DEP_1) | instskip(NEXT) | instid1(SALU_CYCLE_1)
	s_or_b32 s3, vcc_lo, s3
	s_and_b32 exec_lo, exec_lo, s3
	s_cbranch_execz .LBB117_125
; %bb.120:
	v_cmp_gt_f64_e32 vcc_lo, 0, v[216:217]
	v_xor_b32_e32 v212, 0x80000000, v217
	v_xor_b32_e32 v215, 0x80000000, v219
	s_delay_alu instid0(VALU_DEP_2) | instskip(SKIP_2) | instid1(VALU_DEP_4)
	v_cndmask_b32_e32 v213, v217, v212, vcc_lo
	v_cndmask_b32_e32 v212, v216, v216, vcc_lo
	v_cmp_gt_f64_e32 vcc_lo, 0, v[218:219]
	v_dual_cndmask_b32 v221, v219, v215 :: v_dual_cndmask_b32 v220, v218, v218
	s_delay_alu instid0(VALU_DEP_1) | instskip(SKIP_1) | instid1(SALU_CYCLE_1)
	v_cmp_ngt_f64_e32 vcc_lo, v[212:213], v[220:221]
                                        ; implicit-def: $vgpr212_vgpr213
	s_and_saveexec_b32 s3, vcc_lo
	s_xor_b32 s3, exec_lo, s3
                                        ; implicit-def: $vgpr220_vgpr221_vgpr222_vgpr223
	s_cbranch_execz .LBB117_122
; %bb.121:
	v_div_scale_f64 v[212:213], null, v[218:219], v[218:219], v[216:217]
	v_div_scale_f64 v[224:225], vcc_lo, v[216:217], v[218:219], v[216:217]
	s_delay_alu instid0(VALU_DEP_2) | instskip(SKIP_2) | instid1(VALU_DEP_1)
	v_rcp_f64_e32 v[220:221], v[212:213]
	s_waitcnt_depctr 0xfff
	v_fma_f64 v[222:223], -v[212:213], v[220:221], 1.0
	v_fma_f64 v[220:221], v[220:221], v[222:223], v[220:221]
	s_delay_alu instid0(VALU_DEP_1) | instskip(NEXT) | instid1(VALU_DEP_1)
	v_fma_f64 v[222:223], -v[212:213], v[220:221], 1.0
	v_fma_f64 v[220:221], v[220:221], v[222:223], v[220:221]
	s_delay_alu instid0(VALU_DEP_1) | instskip(NEXT) | instid1(VALU_DEP_1)
	v_mul_f64 v[222:223], v[224:225], v[220:221]
	v_fma_f64 v[212:213], -v[212:213], v[222:223], v[224:225]
	s_delay_alu instid0(VALU_DEP_1) | instskip(NEXT) | instid1(VALU_DEP_1)
	v_div_fmas_f64 v[212:213], v[212:213], v[220:221], v[222:223]
	v_div_fixup_f64 v[212:213], v[212:213], v[218:219], v[216:217]
	s_delay_alu instid0(VALU_DEP_1) | instskip(NEXT) | instid1(VALU_DEP_1)
	v_fma_f64 v[216:217], v[216:217], v[212:213], v[218:219]
	v_div_scale_f64 v[218:219], null, v[216:217], v[216:217], 1.0
	s_delay_alu instid0(VALU_DEP_1) | instskip(SKIP_2) | instid1(VALU_DEP_1)
	v_rcp_f64_e32 v[220:221], v[218:219]
	s_waitcnt_depctr 0xfff
	v_fma_f64 v[222:223], -v[218:219], v[220:221], 1.0
	v_fma_f64 v[220:221], v[220:221], v[222:223], v[220:221]
	s_delay_alu instid0(VALU_DEP_1) | instskip(NEXT) | instid1(VALU_DEP_1)
	v_fma_f64 v[222:223], -v[218:219], v[220:221], 1.0
	v_fma_f64 v[220:221], v[220:221], v[222:223], v[220:221]
	v_div_scale_f64 v[222:223], vcc_lo, 1.0, v[216:217], 1.0
	s_delay_alu instid0(VALU_DEP_1) | instskip(NEXT) | instid1(VALU_DEP_1)
	v_mul_f64 v[224:225], v[222:223], v[220:221]
	v_fma_f64 v[218:219], -v[218:219], v[224:225], v[222:223]
	s_delay_alu instid0(VALU_DEP_1) | instskip(NEXT) | instid1(VALU_DEP_1)
	v_div_fmas_f64 v[218:219], v[218:219], v[220:221], v[224:225]
	v_div_fixup_f64 v[222:223], v[218:219], v[216:217], 1.0
                                        ; implicit-def: $vgpr216_vgpr217
	s_delay_alu instid0(VALU_DEP_1)
	v_mul_f64 v[212:213], v[212:213], v[222:223]
	v_xor_b32_e32 v223, 0x80000000, v223
.LBB117_122:
	s_and_not1_saveexec_b32 s3, s3
	s_cbranch_execz .LBB117_124
; %bb.123:
	v_div_scale_f64 v[212:213], null, v[216:217], v[216:217], v[218:219]
	v_div_scale_f64 v[224:225], vcc_lo, v[218:219], v[216:217], v[218:219]
	s_delay_alu instid0(VALU_DEP_2) | instskip(SKIP_2) | instid1(VALU_DEP_1)
	v_rcp_f64_e32 v[220:221], v[212:213]
	s_waitcnt_depctr 0xfff
	v_fma_f64 v[222:223], -v[212:213], v[220:221], 1.0
	v_fma_f64 v[220:221], v[220:221], v[222:223], v[220:221]
	s_delay_alu instid0(VALU_DEP_1) | instskip(NEXT) | instid1(VALU_DEP_1)
	v_fma_f64 v[222:223], -v[212:213], v[220:221], 1.0
	v_fma_f64 v[220:221], v[220:221], v[222:223], v[220:221]
	s_delay_alu instid0(VALU_DEP_1) | instskip(NEXT) | instid1(VALU_DEP_1)
	v_mul_f64 v[222:223], v[224:225], v[220:221]
	v_fma_f64 v[212:213], -v[212:213], v[222:223], v[224:225]
	s_delay_alu instid0(VALU_DEP_1) | instskip(NEXT) | instid1(VALU_DEP_1)
	v_div_fmas_f64 v[212:213], v[212:213], v[220:221], v[222:223]
	v_div_fixup_f64 v[220:221], v[212:213], v[216:217], v[218:219]
	s_delay_alu instid0(VALU_DEP_1) | instskip(NEXT) | instid1(VALU_DEP_1)
	v_fma_f64 v[212:213], v[218:219], v[220:221], v[216:217]
	v_div_scale_f64 v[216:217], null, v[212:213], v[212:213], 1.0
	s_delay_alu instid0(VALU_DEP_1) | instskip(SKIP_2) | instid1(VALU_DEP_1)
	v_rcp_f64_e32 v[218:219], v[216:217]
	s_waitcnt_depctr 0xfff
	v_fma_f64 v[222:223], -v[216:217], v[218:219], 1.0
	v_fma_f64 v[218:219], v[218:219], v[222:223], v[218:219]
	s_delay_alu instid0(VALU_DEP_1) | instskip(NEXT) | instid1(VALU_DEP_1)
	v_fma_f64 v[222:223], -v[216:217], v[218:219], 1.0
	v_fma_f64 v[218:219], v[218:219], v[222:223], v[218:219]
	v_div_scale_f64 v[222:223], vcc_lo, 1.0, v[212:213], 1.0
	s_delay_alu instid0(VALU_DEP_1) | instskip(NEXT) | instid1(VALU_DEP_1)
	v_mul_f64 v[224:225], v[222:223], v[218:219]
	v_fma_f64 v[216:217], -v[216:217], v[224:225], v[222:223]
	s_delay_alu instid0(VALU_DEP_1) | instskip(NEXT) | instid1(VALU_DEP_1)
	v_div_fmas_f64 v[216:217], v[216:217], v[218:219], v[224:225]
	v_div_fixup_f64 v[212:213], v[216:217], v[212:213], 1.0
	s_delay_alu instid0(VALU_DEP_1)
	v_mul_f64 v[222:223], v[220:221], -v[212:213]
.LBB117_124:
	s_or_b32 exec_lo, exec_lo, s3
	ds_store_2addr_b64 v209, v[212:213], v[222:223] offset1:1
.LBB117_125:
	s_or_b32 exec_lo, exec_lo, s4
	s_waitcnt lgkmcnt(0)
	s_barrier
	buffer_gl0_inv
	ds_load_2addr_b64 v[204:207], v209 offset1:1
	s_mov_b32 s3, exec_lo
	s_waitcnt lgkmcnt(0)
	scratch_store_b128 off, v[204:207], off offset:796 ; 16-byte Folded Spill
	v_cmpx_lt_u32_e32 13, v208
	s_cbranch_execz .LBB117_127
; %bb.126:
	scratch_load_b128 v[204:207], off, off offset:796 ; 16-byte Folded Reload
	ds_load_2addr_b64 v[218:221], v214 offset0:28 offset1:29
	s_waitcnt vmcnt(0)
	v_mul_f64 v[212:213], v[206:207], v[182:183]
	v_mul_f64 v[182:183], v[204:205], v[182:183]
	s_delay_alu instid0(VALU_DEP_2) | instskip(NEXT) | instid1(VALU_DEP_2)
	v_fma_f64 v[216:217], v[204:205], v[180:181], -v[212:213]
	v_fma_f64 v[182:183], v[206:207], v[180:181], v[182:183]
	s_waitcnt lgkmcnt(0)
	s_delay_alu instid0(VALU_DEP_1) | instskip(SKIP_1) | instid1(VALU_DEP_2)
	v_mul_f64 v[180:181], v[220:221], v[182:183]
	v_mul_f64 v[212:213], v[218:219], v[182:183]
	v_fma_f64 v[180:181], v[218:219], v[216:217], -v[180:181]
	s_delay_alu instid0(VALU_DEP_2)
	v_fma_f64 v[212:213], v[220:221], v[216:217], v[212:213]
	ds_load_2addr_b64 v[218:221], v214 offset0:30 offset1:31
	v_add_f64 v[176:177], v[176:177], -v[180:181]
	v_add_f64 v[178:179], v[178:179], -v[212:213]
	s_waitcnt lgkmcnt(0)
	v_mul_f64 v[180:181], v[220:221], v[182:183]
	v_mul_f64 v[212:213], v[218:219], v[182:183]
	s_delay_alu instid0(VALU_DEP_2) | instskip(NEXT) | instid1(VALU_DEP_2)
	v_fma_f64 v[180:181], v[218:219], v[216:217], -v[180:181]
	v_fma_f64 v[212:213], v[220:221], v[216:217], v[212:213]
	ds_load_2addr_b64 v[218:221], v214 offset0:32 offset1:33
	v_add_f64 v[172:173], v[172:173], -v[180:181]
	v_add_f64 v[174:175], v[174:175], -v[212:213]
	s_waitcnt lgkmcnt(0)
	v_mul_f64 v[180:181], v[220:221], v[182:183]
	v_mul_f64 v[212:213], v[218:219], v[182:183]
	s_delay_alu instid0(VALU_DEP_2) | instskip(NEXT) | instid1(VALU_DEP_2)
	v_fma_f64 v[180:181], v[218:219], v[216:217], -v[180:181]
	;; [unrolled: 9-line block ×44, first 2 shown]
	v_fma_f64 v[212:213], v[220:221], v[216:217], v[212:213]
	s_delay_alu instid0(VALU_DEP_2) | instskip(NEXT) | instid1(VALU_DEP_2)
	v_add_f64 v[0:1], v[0:1], -v[180:181]
	v_add_f64 v[2:3], v[2:3], -v[212:213]
	v_dual_mov_b32 v180, v216 :: v_dual_mov_b32 v181, v217
.LBB117_127:
	s_or_b32 exec_lo, exec_lo, s3
	s_delay_alu instid0(SALU_CYCLE_1)
	s_mov_b32 s4, exec_lo
	s_waitcnt_vscnt null, 0x0
	s_barrier
	buffer_gl0_inv
	v_cmpx_eq_u32_e32 14, v208
	s_cbranch_execz .LBB117_134
; %bb.128:
	ds_store_2addr_b64 v209, v[176:177], v[178:179] offset1:1
	ds_store_2addr_b64 v214, v[172:173], v[174:175] offset0:30 offset1:31
	ds_store_2addr_b64 v214, v[168:169], v[170:171] offset0:32 offset1:33
	;; [unrolled: 1-line block ×44, first 2 shown]
	ds_load_2addr_b64 v[216:219], v209 offset1:1
	s_waitcnt lgkmcnt(0)
	v_cmp_neq_f64_e32 vcc_lo, 0, v[216:217]
	v_cmp_neq_f64_e64 s3, 0, v[218:219]
	s_delay_alu instid0(VALU_DEP_1) | instskip(NEXT) | instid1(SALU_CYCLE_1)
	s_or_b32 s3, vcc_lo, s3
	s_and_b32 exec_lo, exec_lo, s3
	s_cbranch_execz .LBB117_134
; %bb.129:
	v_cmp_gt_f64_e32 vcc_lo, 0, v[216:217]
	v_xor_b32_e32 v212, 0x80000000, v217
	v_xor_b32_e32 v215, 0x80000000, v219
	s_delay_alu instid0(VALU_DEP_2) | instskip(SKIP_2) | instid1(VALU_DEP_4)
	v_cndmask_b32_e32 v213, v217, v212, vcc_lo
	v_cndmask_b32_e32 v212, v216, v216, vcc_lo
	v_cmp_gt_f64_e32 vcc_lo, 0, v[218:219]
	v_dual_cndmask_b32 v221, v219, v215 :: v_dual_cndmask_b32 v220, v218, v218
	s_delay_alu instid0(VALU_DEP_1) | instskip(SKIP_1) | instid1(SALU_CYCLE_1)
	v_cmp_ngt_f64_e32 vcc_lo, v[212:213], v[220:221]
                                        ; implicit-def: $vgpr212_vgpr213
	s_and_saveexec_b32 s3, vcc_lo
	s_xor_b32 s3, exec_lo, s3
                                        ; implicit-def: $vgpr220_vgpr221_vgpr222_vgpr223
	s_cbranch_execz .LBB117_131
; %bb.130:
	v_div_scale_f64 v[212:213], null, v[218:219], v[218:219], v[216:217]
	v_div_scale_f64 v[224:225], vcc_lo, v[216:217], v[218:219], v[216:217]
	s_delay_alu instid0(VALU_DEP_2) | instskip(SKIP_2) | instid1(VALU_DEP_1)
	v_rcp_f64_e32 v[220:221], v[212:213]
	s_waitcnt_depctr 0xfff
	v_fma_f64 v[222:223], -v[212:213], v[220:221], 1.0
	v_fma_f64 v[220:221], v[220:221], v[222:223], v[220:221]
	s_delay_alu instid0(VALU_DEP_1) | instskip(NEXT) | instid1(VALU_DEP_1)
	v_fma_f64 v[222:223], -v[212:213], v[220:221], 1.0
	v_fma_f64 v[220:221], v[220:221], v[222:223], v[220:221]
	s_delay_alu instid0(VALU_DEP_1) | instskip(NEXT) | instid1(VALU_DEP_1)
	v_mul_f64 v[222:223], v[224:225], v[220:221]
	v_fma_f64 v[212:213], -v[212:213], v[222:223], v[224:225]
	s_delay_alu instid0(VALU_DEP_1) | instskip(NEXT) | instid1(VALU_DEP_1)
	v_div_fmas_f64 v[212:213], v[212:213], v[220:221], v[222:223]
	v_div_fixup_f64 v[212:213], v[212:213], v[218:219], v[216:217]
	s_delay_alu instid0(VALU_DEP_1) | instskip(NEXT) | instid1(VALU_DEP_1)
	v_fma_f64 v[216:217], v[216:217], v[212:213], v[218:219]
	v_div_scale_f64 v[218:219], null, v[216:217], v[216:217], 1.0
	s_delay_alu instid0(VALU_DEP_1) | instskip(SKIP_2) | instid1(VALU_DEP_1)
	v_rcp_f64_e32 v[220:221], v[218:219]
	s_waitcnt_depctr 0xfff
	v_fma_f64 v[222:223], -v[218:219], v[220:221], 1.0
	v_fma_f64 v[220:221], v[220:221], v[222:223], v[220:221]
	s_delay_alu instid0(VALU_DEP_1) | instskip(NEXT) | instid1(VALU_DEP_1)
	v_fma_f64 v[222:223], -v[218:219], v[220:221], 1.0
	v_fma_f64 v[220:221], v[220:221], v[222:223], v[220:221]
	v_div_scale_f64 v[222:223], vcc_lo, 1.0, v[216:217], 1.0
	s_delay_alu instid0(VALU_DEP_1) | instskip(NEXT) | instid1(VALU_DEP_1)
	v_mul_f64 v[224:225], v[222:223], v[220:221]
	v_fma_f64 v[218:219], -v[218:219], v[224:225], v[222:223]
	s_delay_alu instid0(VALU_DEP_1) | instskip(NEXT) | instid1(VALU_DEP_1)
	v_div_fmas_f64 v[218:219], v[218:219], v[220:221], v[224:225]
	v_div_fixup_f64 v[222:223], v[218:219], v[216:217], 1.0
                                        ; implicit-def: $vgpr216_vgpr217
	s_delay_alu instid0(VALU_DEP_1)
	v_mul_f64 v[212:213], v[212:213], v[222:223]
	v_xor_b32_e32 v223, 0x80000000, v223
.LBB117_131:
	s_and_not1_saveexec_b32 s3, s3
	s_cbranch_execz .LBB117_133
; %bb.132:
	v_div_scale_f64 v[212:213], null, v[216:217], v[216:217], v[218:219]
	v_div_scale_f64 v[224:225], vcc_lo, v[218:219], v[216:217], v[218:219]
	s_delay_alu instid0(VALU_DEP_2) | instskip(SKIP_2) | instid1(VALU_DEP_1)
	v_rcp_f64_e32 v[220:221], v[212:213]
	s_waitcnt_depctr 0xfff
	v_fma_f64 v[222:223], -v[212:213], v[220:221], 1.0
	v_fma_f64 v[220:221], v[220:221], v[222:223], v[220:221]
	s_delay_alu instid0(VALU_DEP_1) | instskip(NEXT) | instid1(VALU_DEP_1)
	v_fma_f64 v[222:223], -v[212:213], v[220:221], 1.0
	v_fma_f64 v[220:221], v[220:221], v[222:223], v[220:221]
	s_delay_alu instid0(VALU_DEP_1) | instskip(NEXT) | instid1(VALU_DEP_1)
	v_mul_f64 v[222:223], v[224:225], v[220:221]
	v_fma_f64 v[212:213], -v[212:213], v[222:223], v[224:225]
	s_delay_alu instid0(VALU_DEP_1) | instskip(NEXT) | instid1(VALU_DEP_1)
	v_div_fmas_f64 v[212:213], v[212:213], v[220:221], v[222:223]
	v_div_fixup_f64 v[220:221], v[212:213], v[216:217], v[218:219]
	s_delay_alu instid0(VALU_DEP_1) | instskip(NEXT) | instid1(VALU_DEP_1)
	v_fma_f64 v[212:213], v[218:219], v[220:221], v[216:217]
	v_div_scale_f64 v[216:217], null, v[212:213], v[212:213], 1.0
	s_delay_alu instid0(VALU_DEP_1) | instskip(SKIP_2) | instid1(VALU_DEP_1)
	v_rcp_f64_e32 v[218:219], v[216:217]
	s_waitcnt_depctr 0xfff
	v_fma_f64 v[222:223], -v[216:217], v[218:219], 1.0
	v_fma_f64 v[218:219], v[218:219], v[222:223], v[218:219]
	s_delay_alu instid0(VALU_DEP_1) | instskip(NEXT) | instid1(VALU_DEP_1)
	v_fma_f64 v[222:223], -v[216:217], v[218:219], 1.0
	v_fma_f64 v[218:219], v[218:219], v[222:223], v[218:219]
	v_div_scale_f64 v[222:223], vcc_lo, 1.0, v[212:213], 1.0
	s_delay_alu instid0(VALU_DEP_1) | instskip(NEXT) | instid1(VALU_DEP_1)
	v_mul_f64 v[224:225], v[222:223], v[218:219]
	v_fma_f64 v[216:217], -v[216:217], v[224:225], v[222:223]
	s_delay_alu instid0(VALU_DEP_1) | instskip(NEXT) | instid1(VALU_DEP_1)
	v_div_fmas_f64 v[216:217], v[216:217], v[218:219], v[224:225]
	v_div_fixup_f64 v[212:213], v[216:217], v[212:213], 1.0
	s_delay_alu instid0(VALU_DEP_1)
	v_mul_f64 v[222:223], v[220:221], -v[212:213]
.LBB117_133:
	s_or_b32 exec_lo, exec_lo, s3
	ds_store_2addr_b64 v209, v[212:213], v[222:223] offset1:1
.LBB117_134:
	s_or_b32 exec_lo, exec_lo, s4
	s_waitcnt lgkmcnt(0)
	s_barrier
	buffer_gl0_inv
	ds_load_2addr_b64 v[204:207], v209 offset1:1
	s_mov_b32 s3, exec_lo
	s_waitcnt lgkmcnt(0)
	scratch_store_b128 off, v[204:207], off offset:812 ; 16-byte Folded Spill
	v_cmpx_lt_u32_e32 14, v208
	s_cbranch_execz .LBB117_136
; %bb.135:
	scratch_load_b128 v[204:207], off, off offset:812 ; 16-byte Folded Reload
	ds_load_2addr_b64 v[218:221], v214 offset0:30 offset1:31
	s_waitcnt vmcnt(0)
	v_mul_f64 v[212:213], v[206:207], v[178:179]
	v_mul_f64 v[178:179], v[204:205], v[178:179]
	s_delay_alu instid0(VALU_DEP_2) | instskip(NEXT) | instid1(VALU_DEP_2)
	v_fma_f64 v[216:217], v[204:205], v[176:177], -v[212:213]
	v_fma_f64 v[178:179], v[206:207], v[176:177], v[178:179]
	s_waitcnt lgkmcnt(0)
	s_delay_alu instid0(VALU_DEP_1) | instskip(SKIP_1) | instid1(VALU_DEP_2)
	v_mul_f64 v[176:177], v[220:221], v[178:179]
	v_mul_f64 v[212:213], v[218:219], v[178:179]
	v_fma_f64 v[176:177], v[218:219], v[216:217], -v[176:177]
	s_delay_alu instid0(VALU_DEP_2)
	v_fma_f64 v[212:213], v[220:221], v[216:217], v[212:213]
	ds_load_2addr_b64 v[218:221], v214 offset0:32 offset1:33
	v_add_f64 v[172:173], v[172:173], -v[176:177]
	v_add_f64 v[174:175], v[174:175], -v[212:213]
	s_waitcnt lgkmcnt(0)
	v_mul_f64 v[176:177], v[220:221], v[178:179]
	v_mul_f64 v[212:213], v[218:219], v[178:179]
	s_delay_alu instid0(VALU_DEP_2) | instskip(NEXT) | instid1(VALU_DEP_2)
	v_fma_f64 v[176:177], v[218:219], v[216:217], -v[176:177]
	v_fma_f64 v[212:213], v[220:221], v[216:217], v[212:213]
	ds_load_2addr_b64 v[218:221], v214 offset0:34 offset1:35
	v_add_f64 v[168:169], v[168:169], -v[176:177]
	v_add_f64 v[170:171], v[170:171], -v[212:213]
	s_waitcnt lgkmcnt(0)
	v_mul_f64 v[176:177], v[220:221], v[178:179]
	v_mul_f64 v[212:213], v[218:219], v[178:179]
	s_delay_alu instid0(VALU_DEP_2) | instskip(NEXT) | instid1(VALU_DEP_2)
	v_fma_f64 v[176:177], v[218:219], v[216:217], -v[176:177]
	;; [unrolled: 9-line block ×43, first 2 shown]
	v_fma_f64 v[212:213], v[220:221], v[216:217], v[212:213]
	s_delay_alu instid0(VALU_DEP_2) | instskip(NEXT) | instid1(VALU_DEP_2)
	v_add_f64 v[0:1], v[0:1], -v[176:177]
	v_add_f64 v[2:3], v[2:3], -v[212:213]
	v_dual_mov_b32 v176, v216 :: v_dual_mov_b32 v177, v217
.LBB117_136:
	s_or_b32 exec_lo, exec_lo, s3
	s_delay_alu instid0(SALU_CYCLE_1)
	s_mov_b32 s4, exec_lo
	s_waitcnt_vscnt null, 0x0
	s_barrier
	buffer_gl0_inv
	v_cmpx_eq_u32_e32 15, v208
	s_cbranch_execz .LBB117_143
; %bb.137:
	ds_store_2addr_b64 v209, v[172:173], v[174:175] offset1:1
	ds_store_2addr_b64 v214, v[168:169], v[170:171] offset0:32 offset1:33
	ds_store_2addr_b64 v214, v[164:165], v[166:167] offset0:34 offset1:35
	;; [unrolled: 1-line block ×43, first 2 shown]
	ds_load_2addr_b64 v[216:219], v209 offset1:1
	s_waitcnt lgkmcnt(0)
	v_cmp_neq_f64_e32 vcc_lo, 0, v[216:217]
	v_cmp_neq_f64_e64 s3, 0, v[218:219]
	s_delay_alu instid0(VALU_DEP_1) | instskip(NEXT) | instid1(SALU_CYCLE_1)
	s_or_b32 s3, vcc_lo, s3
	s_and_b32 exec_lo, exec_lo, s3
	s_cbranch_execz .LBB117_143
; %bb.138:
	v_cmp_gt_f64_e32 vcc_lo, 0, v[216:217]
	v_xor_b32_e32 v212, 0x80000000, v217
	v_xor_b32_e32 v215, 0x80000000, v219
	s_delay_alu instid0(VALU_DEP_2) | instskip(SKIP_2) | instid1(VALU_DEP_4)
	v_cndmask_b32_e32 v213, v217, v212, vcc_lo
	v_cndmask_b32_e32 v212, v216, v216, vcc_lo
	v_cmp_gt_f64_e32 vcc_lo, 0, v[218:219]
	v_dual_cndmask_b32 v221, v219, v215 :: v_dual_cndmask_b32 v220, v218, v218
	s_delay_alu instid0(VALU_DEP_1) | instskip(SKIP_1) | instid1(SALU_CYCLE_1)
	v_cmp_ngt_f64_e32 vcc_lo, v[212:213], v[220:221]
                                        ; implicit-def: $vgpr212_vgpr213
	s_and_saveexec_b32 s3, vcc_lo
	s_xor_b32 s3, exec_lo, s3
                                        ; implicit-def: $vgpr220_vgpr221_vgpr222_vgpr223
	s_cbranch_execz .LBB117_140
; %bb.139:
	v_div_scale_f64 v[212:213], null, v[218:219], v[218:219], v[216:217]
	v_div_scale_f64 v[224:225], vcc_lo, v[216:217], v[218:219], v[216:217]
	s_delay_alu instid0(VALU_DEP_2) | instskip(SKIP_2) | instid1(VALU_DEP_1)
	v_rcp_f64_e32 v[220:221], v[212:213]
	s_waitcnt_depctr 0xfff
	v_fma_f64 v[222:223], -v[212:213], v[220:221], 1.0
	v_fma_f64 v[220:221], v[220:221], v[222:223], v[220:221]
	s_delay_alu instid0(VALU_DEP_1) | instskip(NEXT) | instid1(VALU_DEP_1)
	v_fma_f64 v[222:223], -v[212:213], v[220:221], 1.0
	v_fma_f64 v[220:221], v[220:221], v[222:223], v[220:221]
	s_delay_alu instid0(VALU_DEP_1) | instskip(NEXT) | instid1(VALU_DEP_1)
	v_mul_f64 v[222:223], v[224:225], v[220:221]
	v_fma_f64 v[212:213], -v[212:213], v[222:223], v[224:225]
	s_delay_alu instid0(VALU_DEP_1) | instskip(NEXT) | instid1(VALU_DEP_1)
	v_div_fmas_f64 v[212:213], v[212:213], v[220:221], v[222:223]
	v_div_fixup_f64 v[212:213], v[212:213], v[218:219], v[216:217]
	s_delay_alu instid0(VALU_DEP_1) | instskip(NEXT) | instid1(VALU_DEP_1)
	v_fma_f64 v[216:217], v[216:217], v[212:213], v[218:219]
	v_div_scale_f64 v[218:219], null, v[216:217], v[216:217], 1.0
	s_delay_alu instid0(VALU_DEP_1) | instskip(SKIP_2) | instid1(VALU_DEP_1)
	v_rcp_f64_e32 v[220:221], v[218:219]
	s_waitcnt_depctr 0xfff
	v_fma_f64 v[222:223], -v[218:219], v[220:221], 1.0
	v_fma_f64 v[220:221], v[220:221], v[222:223], v[220:221]
	s_delay_alu instid0(VALU_DEP_1) | instskip(NEXT) | instid1(VALU_DEP_1)
	v_fma_f64 v[222:223], -v[218:219], v[220:221], 1.0
	v_fma_f64 v[220:221], v[220:221], v[222:223], v[220:221]
	v_div_scale_f64 v[222:223], vcc_lo, 1.0, v[216:217], 1.0
	s_delay_alu instid0(VALU_DEP_1) | instskip(NEXT) | instid1(VALU_DEP_1)
	v_mul_f64 v[224:225], v[222:223], v[220:221]
	v_fma_f64 v[218:219], -v[218:219], v[224:225], v[222:223]
	s_delay_alu instid0(VALU_DEP_1) | instskip(NEXT) | instid1(VALU_DEP_1)
	v_div_fmas_f64 v[218:219], v[218:219], v[220:221], v[224:225]
	v_div_fixup_f64 v[222:223], v[218:219], v[216:217], 1.0
                                        ; implicit-def: $vgpr216_vgpr217
	s_delay_alu instid0(VALU_DEP_1)
	v_mul_f64 v[212:213], v[212:213], v[222:223]
	v_xor_b32_e32 v223, 0x80000000, v223
.LBB117_140:
	s_and_not1_saveexec_b32 s3, s3
	s_cbranch_execz .LBB117_142
; %bb.141:
	v_div_scale_f64 v[212:213], null, v[216:217], v[216:217], v[218:219]
	v_div_scale_f64 v[224:225], vcc_lo, v[218:219], v[216:217], v[218:219]
	s_delay_alu instid0(VALU_DEP_2) | instskip(SKIP_2) | instid1(VALU_DEP_1)
	v_rcp_f64_e32 v[220:221], v[212:213]
	s_waitcnt_depctr 0xfff
	v_fma_f64 v[222:223], -v[212:213], v[220:221], 1.0
	v_fma_f64 v[220:221], v[220:221], v[222:223], v[220:221]
	s_delay_alu instid0(VALU_DEP_1) | instskip(NEXT) | instid1(VALU_DEP_1)
	v_fma_f64 v[222:223], -v[212:213], v[220:221], 1.0
	v_fma_f64 v[220:221], v[220:221], v[222:223], v[220:221]
	s_delay_alu instid0(VALU_DEP_1) | instskip(NEXT) | instid1(VALU_DEP_1)
	v_mul_f64 v[222:223], v[224:225], v[220:221]
	v_fma_f64 v[212:213], -v[212:213], v[222:223], v[224:225]
	s_delay_alu instid0(VALU_DEP_1) | instskip(NEXT) | instid1(VALU_DEP_1)
	v_div_fmas_f64 v[212:213], v[212:213], v[220:221], v[222:223]
	v_div_fixup_f64 v[220:221], v[212:213], v[216:217], v[218:219]
	s_delay_alu instid0(VALU_DEP_1) | instskip(NEXT) | instid1(VALU_DEP_1)
	v_fma_f64 v[212:213], v[218:219], v[220:221], v[216:217]
	v_div_scale_f64 v[216:217], null, v[212:213], v[212:213], 1.0
	s_delay_alu instid0(VALU_DEP_1) | instskip(SKIP_2) | instid1(VALU_DEP_1)
	v_rcp_f64_e32 v[218:219], v[216:217]
	s_waitcnt_depctr 0xfff
	v_fma_f64 v[222:223], -v[216:217], v[218:219], 1.0
	v_fma_f64 v[218:219], v[218:219], v[222:223], v[218:219]
	s_delay_alu instid0(VALU_DEP_1) | instskip(NEXT) | instid1(VALU_DEP_1)
	v_fma_f64 v[222:223], -v[216:217], v[218:219], 1.0
	v_fma_f64 v[218:219], v[218:219], v[222:223], v[218:219]
	v_div_scale_f64 v[222:223], vcc_lo, 1.0, v[212:213], 1.0
	s_delay_alu instid0(VALU_DEP_1) | instskip(NEXT) | instid1(VALU_DEP_1)
	v_mul_f64 v[224:225], v[222:223], v[218:219]
	v_fma_f64 v[216:217], -v[216:217], v[224:225], v[222:223]
	s_delay_alu instid0(VALU_DEP_1) | instskip(NEXT) | instid1(VALU_DEP_1)
	v_div_fmas_f64 v[216:217], v[216:217], v[218:219], v[224:225]
	v_div_fixup_f64 v[212:213], v[216:217], v[212:213], 1.0
	s_delay_alu instid0(VALU_DEP_1)
	v_mul_f64 v[222:223], v[220:221], -v[212:213]
.LBB117_142:
	s_or_b32 exec_lo, exec_lo, s3
	ds_store_2addr_b64 v209, v[212:213], v[222:223] offset1:1
.LBB117_143:
	s_or_b32 exec_lo, exec_lo, s4
	s_waitcnt lgkmcnt(0)
	s_barrier
	buffer_gl0_inv
	ds_load_2addr_b64 v[204:207], v209 offset1:1
	s_mov_b32 s3, exec_lo
	s_waitcnt lgkmcnt(0)
	scratch_store_b128 off, v[204:207], off offset:828 ; 16-byte Folded Spill
	v_cmpx_lt_u32_e32 15, v208
	s_cbranch_execz .LBB117_145
; %bb.144:
	scratch_load_b128 v[204:207], off, off offset:828 ; 16-byte Folded Reload
	ds_load_2addr_b64 v[218:221], v214 offset0:32 offset1:33
	s_waitcnt vmcnt(0)
	v_mul_f64 v[212:213], v[206:207], v[174:175]
	v_mul_f64 v[174:175], v[204:205], v[174:175]
	s_delay_alu instid0(VALU_DEP_2) | instskip(NEXT) | instid1(VALU_DEP_2)
	v_fma_f64 v[216:217], v[204:205], v[172:173], -v[212:213]
	v_fma_f64 v[174:175], v[206:207], v[172:173], v[174:175]
	s_waitcnt lgkmcnt(0)
	s_delay_alu instid0(VALU_DEP_1) | instskip(SKIP_1) | instid1(VALU_DEP_2)
	v_mul_f64 v[172:173], v[220:221], v[174:175]
	v_mul_f64 v[212:213], v[218:219], v[174:175]
	v_fma_f64 v[172:173], v[218:219], v[216:217], -v[172:173]
	s_delay_alu instid0(VALU_DEP_2)
	v_fma_f64 v[212:213], v[220:221], v[216:217], v[212:213]
	ds_load_2addr_b64 v[218:221], v214 offset0:34 offset1:35
	v_add_f64 v[168:169], v[168:169], -v[172:173]
	v_add_f64 v[170:171], v[170:171], -v[212:213]
	s_waitcnt lgkmcnt(0)
	v_mul_f64 v[172:173], v[220:221], v[174:175]
	v_mul_f64 v[212:213], v[218:219], v[174:175]
	s_delay_alu instid0(VALU_DEP_2) | instskip(NEXT) | instid1(VALU_DEP_2)
	v_fma_f64 v[172:173], v[218:219], v[216:217], -v[172:173]
	v_fma_f64 v[212:213], v[220:221], v[216:217], v[212:213]
	ds_load_2addr_b64 v[218:221], v214 offset0:36 offset1:37
	v_add_f64 v[164:165], v[164:165], -v[172:173]
	v_add_f64 v[166:167], v[166:167], -v[212:213]
	s_waitcnt lgkmcnt(0)
	v_mul_f64 v[172:173], v[220:221], v[174:175]
	v_mul_f64 v[212:213], v[218:219], v[174:175]
	s_delay_alu instid0(VALU_DEP_2) | instskip(NEXT) | instid1(VALU_DEP_2)
	v_fma_f64 v[172:173], v[218:219], v[216:217], -v[172:173]
	;; [unrolled: 9-line block ×42, first 2 shown]
	v_fma_f64 v[212:213], v[220:221], v[216:217], v[212:213]
	s_delay_alu instid0(VALU_DEP_2) | instskip(NEXT) | instid1(VALU_DEP_2)
	v_add_f64 v[0:1], v[0:1], -v[172:173]
	v_add_f64 v[2:3], v[2:3], -v[212:213]
	v_dual_mov_b32 v172, v216 :: v_dual_mov_b32 v173, v217
.LBB117_145:
	s_or_b32 exec_lo, exec_lo, s3
	s_delay_alu instid0(SALU_CYCLE_1)
	s_mov_b32 s4, exec_lo
	s_waitcnt_vscnt null, 0x0
	s_barrier
	buffer_gl0_inv
	v_cmpx_eq_u32_e32 16, v208
	s_cbranch_execz .LBB117_152
; %bb.146:
	ds_store_2addr_b64 v209, v[168:169], v[170:171] offset1:1
	ds_store_2addr_b64 v214, v[164:165], v[166:167] offset0:34 offset1:35
	ds_store_2addr_b64 v214, v[160:161], v[162:163] offset0:36 offset1:37
	;; [unrolled: 1-line block ×42, first 2 shown]
	ds_load_2addr_b64 v[216:219], v209 offset1:1
	s_waitcnt lgkmcnt(0)
	v_cmp_neq_f64_e32 vcc_lo, 0, v[216:217]
	v_cmp_neq_f64_e64 s3, 0, v[218:219]
	s_delay_alu instid0(VALU_DEP_1) | instskip(NEXT) | instid1(SALU_CYCLE_1)
	s_or_b32 s3, vcc_lo, s3
	s_and_b32 exec_lo, exec_lo, s3
	s_cbranch_execz .LBB117_152
; %bb.147:
	v_cmp_gt_f64_e32 vcc_lo, 0, v[216:217]
	v_xor_b32_e32 v212, 0x80000000, v217
	v_xor_b32_e32 v215, 0x80000000, v219
	s_delay_alu instid0(VALU_DEP_2) | instskip(SKIP_2) | instid1(VALU_DEP_4)
	v_cndmask_b32_e32 v213, v217, v212, vcc_lo
	v_cndmask_b32_e32 v212, v216, v216, vcc_lo
	v_cmp_gt_f64_e32 vcc_lo, 0, v[218:219]
	v_dual_cndmask_b32 v221, v219, v215 :: v_dual_cndmask_b32 v220, v218, v218
	s_delay_alu instid0(VALU_DEP_1) | instskip(SKIP_1) | instid1(SALU_CYCLE_1)
	v_cmp_ngt_f64_e32 vcc_lo, v[212:213], v[220:221]
                                        ; implicit-def: $vgpr212_vgpr213
	s_and_saveexec_b32 s3, vcc_lo
	s_xor_b32 s3, exec_lo, s3
                                        ; implicit-def: $vgpr220_vgpr221_vgpr222_vgpr223
	s_cbranch_execz .LBB117_149
; %bb.148:
	v_div_scale_f64 v[212:213], null, v[218:219], v[218:219], v[216:217]
	v_div_scale_f64 v[224:225], vcc_lo, v[216:217], v[218:219], v[216:217]
	s_delay_alu instid0(VALU_DEP_2) | instskip(SKIP_2) | instid1(VALU_DEP_1)
	v_rcp_f64_e32 v[220:221], v[212:213]
	s_waitcnt_depctr 0xfff
	v_fma_f64 v[222:223], -v[212:213], v[220:221], 1.0
	v_fma_f64 v[220:221], v[220:221], v[222:223], v[220:221]
	s_delay_alu instid0(VALU_DEP_1) | instskip(NEXT) | instid1(VALU_DEP_1)
	v_fma_f64 v[222:223], -v[212:213], v[220:221], 1.0
	v_fma_f64 v[220:221], v[220:221], v[222:223], v[220:221]
	s_delay_alu instid0(VALU_DEP_1) | instskip(NEXT) | instid1(VALU_DEP_1)
	v_mul_f64 v[222:223], v[224:225], v[220:221]
	v_fma_f64 v[212:213], -v[212:213], v[222:223], v[224:225]
	s_delay_alu instid0(VALU_DEP_1) | instskip(NEXT) | instid1(VALU_DEP_1)
	v_div_fmas_f64 v[212:213], v[212:213], v[220:221], v[222:223]
	v_div_fixup_f64 v[212:213], v[212:213], v[218:219], v[216:217]
	s_delay_alu instid0(VALU_DEP_1) | instskip(NEXT) | instid1(VALU_DEP_1)
	v_fma_f64 v[216:217], v[216:217], v[212:213], v[218:219]
	v_div_scale_f64 v[218:219], null, v[216:217], v[216:217], 1.0
	s_delay_alu instid0(VALU_DEP_1) | instskip(SKIP_2) | instid1(VALU_DEP_1)
	v_rcp_f64_e32 v[220:221], v[218:219]
	s_waitcnt_depctr 0xfff
	v_fma_f64 v[222:223], -v[218:219], v[220:221], 1.0
	v_fma_f64 v[220:221], v[220:221], v[222:223], v[220:221]
	s_delay_alu instid0(VALU_DEP_1) | instskip(NEXT) | instid1(VALU_DEP_1)
	v_fma_f64 v[222:223], -v[218:219], v[220:221], 1.0
	v_fma_f64 v[220:221], v[220:221], v[222:223], v[220:221]
	v_div_scale_f64 v[222:223], vcc_lo, 1.0, v[216:217], 1.0
	s_delay_alu instid0(VALU_DEP_1) | instskip(NEXT) | instid1(VALU_DEP_1)
	v_mul_f64 v[224:225], v[222:223], v[220:221]
	v_fma_f64 v[218:219], -v[218:219], v[224:225], v[222:223]
	s_delay_alu instid0(VALU_DEP_1) | instskip(NEXT) | instid1(VALU_DEP_1)
	v_div_fmas_f64 v[218:219], v[218:219], v[220:221], v[224:225]
	v_div_fixup_f64 v[222:223], v[218:219], v[216:217], 1.0
                                        ; implicit-def: $vgpr216_vgpr217
	s_delay_alu instid0(VALU_DEP_1)
	v_mul_f64 v[212:213], v[212:213], v[222:223]
	v_xor_b32_e32 v223, 0x80000000, v223
.LBB117_149:
	s_and_not1_saveexec_b32 s3, s3
	s_cbranch_execz .LBB117_151
; %bb.150:
	v_div_scale_f64 v[212:213], null, v[216:217], v[216:217], v[218:219]
	v_div_scale_f64 v[224:225], vcc_lo, v[218:219], v[216:217], v[218:219]
	s_delay_alu instid0(VALU_DEP_2) | instskip(SKIP_2) | instid1(VALU_DEP_1)
	v_rcp_f64_e32 v[220:221], v[212:213]
	s_waitcnt_depctr 0xfff
	v_fma_f64 v[222:223], -v[212:213], v[220:221], 1.0
	v_fma_f64 v[220:221], v[220:221], v[222:223], v[220:221]
	s_delay_alu instid0(VALU_DEP_1) | instskip(NEXT) | instid1(VALU_DEP_1)
	v_fma_f64 v[222:223], -v[212:213], v[220:221], 1.0
	v_fma_f64 v[220:221], v[220:221], v[222:223], v[220:221]
	s_delay_alu instid0(VALU_DEP_1) | instskip(NEXT) | instid1(VALU_DEP_1)
	v_mul_f64 v[222:223], v[224:225], v[220:221]
	v_fma_f64 v[212:213], -v[212:213], v[222:223], v[224:225]
	s_delay_alu instid0(VALU_DEP_1) | instskip(NEXT) | instid1(VALU_DEP_1)
	v_div_fmas_f64 v[212:213], v[212:213], v[220:221], v[222:223]
	v_div_fixup_f64 v[220:221], v[212:213], v[216:217], v[218:219]
	s_delay_alu instid0(VALU_DEP_1) | instskip(NEXT) | instid1(VALU_DEP_1)
	v_fma_f64 v[212:213], v[218:219], v[220:221], v[216:217]
	v_div_scale_f64 v[216:217], null, v[212:213], v[212:213], 1.0
	s_delay_alu instid0(VALU_DEP_1) | instskip(SKIP_2) | instid1(VALU_DEP_1)
	v_rcp_f64_e32 v[218:219], v[216:217]
	s_waitcnt_depctr 0xfff
	v_fma_f64 v[222:223], -v[216:217], v[218:219], 1.0
	v_fma_f64 v[218:219], v[218:219], v[222:223], v[218:219]
	s_delay_alu instid0(VALU_DEP_1) | instskip(NEXT) | instid1(VALU_DEP_1)
	v_fma_f64 v[222:223], -v[216:217], v[218:219], 1.0
	v_fma_f64 v[218:219], v[218:219], v[222:223], v[218:219]
	v_div_scale_f64 v[222:223], vcc_lo, 1.0, v[212:213], 1.0
	s_delay_alu instid0(VALU_DEP_1) | instskip(NEXT) | instid1(VALU_DEP_1)
	v_mul_f64 v[224:225], v[222:223], v[218:219]
	v_fma_f64 v[216:217], -v[216:217], v[224:225], v[222:223]
	s_delay_alu instid0(VALU_DEP_1) | instskip(NEXT) | instid1(VALU_DEP_1)
	v_div_fmas_f64 v[216:217], v[216:217], v[218:219], v[224:225]
	v_div_fixup_f64 v[212:213], v[216:217], v[212:213], 1.0
	s_delay_alu instid0(VALU_DEP_1)
	v_mul_f64 v[222:223], v[220:221], -v[212:213]
.LBB117_151:
	s_or_b32 exec_lo, exec_lo, s3
	ds_store_2addr_b64 v209, v[212:213], v[222:223] offset1:1
.LBB117_152:
	s_or_b32 exec_lo, exec_lo, s4
	s_waitcnt lgkmcnt(0)
	s_barrier
	buffer_gl0_inv
	ds_load_2addr_b64 v[204:207], v209 offset1:1
	s_mov_b32 s3, exec_lo
	s_waitcnt lgkmcnt(0)
	scratch_store_b128 off, v[204:207], off offset:844 ; 16-byte Folded Spill
	v_cmpx_lt_u32_e32 16, v208
	s_cbranch_execz .LBB117_154
; %bb.153:
	scratch_load_b128 v[204:207], off, off offset:844 ; 16-byte Folded Reload
	ds_load_2addr_b64 v[218:221], v214 offset0:34 offset1:35
	s_waitcnt vmcnt(0)
	v_mul_f64 v[212:213], v[206:207], v[170:171]
	v_mul_f64 v[170:171], v[204:205], v[170:171]
	s_delay_alu instid0(VALU_DEP_2) | instskip(NEXT) | instid1(VALU_DEP_2)
	v_fma_f64 v[216:217], v[204:205], v[168:169], -v[212:213]
	v_fma_f64 v[170:171], v[206:207], v[168:169], v[170:171]
	s_waitcnt lgkmcnt(0)
	s_delay_alu instid0(VALU_DEP_1) | instskip(SKIP_1) | instid1(VALU_DEP_2)
	v_mul_f64 v[168:169], v[220:221], v[170:171]
	v_mul_f64 v[212:213], v[218:219], v[170:171]
	v_fma_f64 v[168:169], v[218:219], v[216:217], -v[168:169]
	s_delay_alu instid0(VALU_DEP_2)
	v_fma_f64 v[212:213], v[220:221], v[216:217], v[212:213]
	ds_load_2addr_b64 v[218:221], v214 offset0:36 offset1:37
	v_add_f64 v[164:165], v[164:165], -v[168:169]
	v_add_f64 v[166:167], v[166:167], -v[212:213]
	s_waitcnt lgkmcnt(0)
	v_mul_f64 v[168:169], v[220:221], v[170:171]
	v_mul_f64 v[212:213], v[218:219], v[170:171]
	s_delay_alu instid0(VALU_DEP_2) | instskip(NEXT) | instid1(VALU_DEP_2)
	v_fma_f64 v[168:169], v[218:219], v[216:217], -v[168:169]
	v_fma_f64 v[212:213], v[220:221], v[216:217], v[212:213]
	ds_load_2addr_b64 v[218:221], v214 offset0:38 offset1:39
	v_add_f64 v[160:161], v[160:161], -v[168:169]
	v_add_f64 v[162:163], v[162:163], -v[212:213]
	s_waitcnt lgkmcnt(0)
	v_mul_f64 v[168:169], v[220:221], v[170:171]
	v_mul_f64 v[212:213], v[218:219], v[170:171]
	s_delay_alu instid0(VALU_DEP_2) | instskip(NEXT) | instid1(VALU_DEP_2)
	v_fma_f64 v[168:169], v[218:219], v[216:217], -v[168:169]
	;; [unrolled: 9-line block ×41, first 2 shown]
	v_fma_f64 v[212:213], v[220:221], v[216:217], v[212:213]
	s_delay_alu instid0(VALU_DEP_2) | instskip(NEXT) | instid1(VALU_DEP_2)
	v_add_f64 v[0:1], v[0:1], -v[168:169]
	v_add_f64 v[2:3], v[2:3], -v[212:213]
	v_dual_mov_b32 v168, v216 :: v_dual_mov_b32 v169, v217
.LBB117_154:
	s_or_b32 exec_lo, exec_lo, s3
	s_delay_alu instid0(SALU_CYCLE_1)
	s_mov_b32 s4, exec_lo
	s_waitcnt_vscnt null, 0x0
	s_barrier
	buffer_gl0_inv
	v_cmpx_eq_u32_e32 17, v208
	s_cbranch_execz .LBB117_161
; %bb.155:
	ds_store_2addr_b64 v209, v[164:165], v[166:167] offset1:1
	ds_store_2addr_b64 v214, v[160:161], v[162:163] offset0:36 offset1:37
	ds_store_2addr_b64 v214, v[156:157], v[158:159] offset0:38 offset1:39
	;; [unrolled: 1-line block ×41, first 2 shown]
	ds_load_2addr_b64 v[216:219], v209 offset1:1
	s_waitcnt lgkmcnt(0)
	v_cmp_neq_f64_e32 vcc_lo, 0, v[216:217]
	v_cmp_neq_f64_e64 s3, 0, v[218:219]
	s_delay_alu instid0(VALU_DEP_1) | instskip(NEXT) | instid1(SALU_CYCLE_1)
	s_or_b32 s3, vcc_lo, s3
	s_and_b32 exec_lo, exec_lo, s3
	s_cbranch_execz .LBB117_161
; %bb.156:
	v_cmp_gt_f64_e32 vcc_lo, 0, v[216:217]
	v_xor_b32_e32 v212, 0x80000000, v217
	v_xor_b32_e32 v215, 0x80000000, v219
	s_delay_alu instid0(VALU_DEP_2) | instskip(SKIP_2) | instid1(VALU_DEP_4)
	v_cndmask_b32_e32 v213, v217, v212, vcc_lo
	v_cndmask_b32_e32 v212, v216, v216, vcc_lo
	v_cmp_gt_f64_e32 vcc_lo, 0, v[218:219]
	v_dual_cndmask_b32 v221, v219, v215 :: v_dual_cndmask_b32 v220, v218, v218
	s_delay_alu instid0(VALU_DEP_1) | instskip(SKIP_1) | instid1(SALU_CYCLE_1)
	v_cmp_ngt_f64_e32 vcc_lo, v[212:213], v[220:221]
                                        ; implicit-def: $vgpr212_vgpr213
	s_and_saveexec_b32 s3, vcc_lo
	s_xor_b32 s3, exec_lo, s3
                                        ; implicit-def: $vgpr220_vgpr221_vgpr222_vgpr223
	s_cbranch_execz .LBB117_158
; %bb.157:
	v_div_scale_f64 v[212:213], null, v[218:219], v[218:219], v[216:217]
	v_div_scale_f64 v[224:225], vcc_lo, v[216:217], v[218:219], v[216:217]
	s_delay_alu instid0(VALU_DEP_2) | instskip(SKIP_2) | instid1(VALU_DEP_1)
	v_rcp_f64_e32 v[220:221], v[212:213]
	s_waitcnt_depctr 0xfff
	v_fma_f64 v[222:223], -v[212:213], v[220:221], 1.0
	v_fma_f64 v[220:221], v[220:221], v[222:223], v[220:221]
	s_delay_alu instid0(VALU_DEP_1) | instskip(NEXT) | instid1(VALU_DEP_1)
	v_fma_f64 v[222:223], -v[212:213], v[220:221], 1.0
	v_fma_f64 v[220:221], v[220:221], v[222:223], v[220:221]
	s_delay_alu instid0(VALU_DEP_1) | instskip(NEXT) | instid1(VALU_DEP_1)
	v_mul_f64 v[222:223], v[224:225], v[220:221]
	v_fma_f64 v[212:213], -v[212:213], v[222:223], v[224:225]
	s_delay_alu instid0(VALU_DEP_1) | instskip(NEXT) | instid1(VALU_DEP_1)
	v_div_fmas_f64 v[212:213], v[212:213], v[220:221], v[222:223]
	v_div_fixup_f64 v[212:213], v[212:213], v[218:219], v[216:217]
	s_delay_alu instid0(VALU_DEP_1) | instskip(NEXT) | instid1(VALU_DEP_1)
	v_fma_f64 v[216:217], v[216:217], v[212:213], v[218:219]
	v_div_scale_f64 v[218:219], null, v[216:217], v[216:217], 1.0
	s_delay_alu instid0(VALU_DEP_1) | instskip(SKIP_2) | instid1(VALU_DEP_1)
	v_rcp_f64_e32 v[220:221], v[218:219]
	s_waitcnt_depctr 0xfff
	v_fma_f64 v[222:223], -v[218:219], v[220:221], 1.0
	v_fma_f64 v[220:221], v[220:221], v[222:223], v[220:221]
	s_delay_alu instid0(VALU_DEP_1) | instskip(NEXT) | instid1(VALU_DEP_1)
	v_fma_f64 v[222:223], -v[218:219], v[220:221], 1.0
	v_fma_f64 v[220:221], v[220:221], v[222:223], v[220:221]
	v_div_scale_f64 v[222:223], vcc_lo, 1.0, v[216:217], 1.0
	s_delay_alu instid0(VALU_DEP_1) | instskip(NEXT) | instid1(VALU_DEP_1)
	v_mul_f64 v[224:225], v[222:223], v[220:221]
	v_fma_f64 v[218:219], -v[218:219], v[224:225], v[222:223]
	s_delay_alu instid0(VALU_DEP_1) | instskip(NEXT) | instid1(VALU_DEP_1)
	v_div_fmas_f64 v[218:219], v[218:219], v[220:221], v[224:225]
	v_div_fixup_f64 v[222:223], v[218:219], v[216:217], 1.0
                                        ; implicit-def: $vgpr216_vgpr217
	s_delay_alu instid0(VALU_DEP_1)
	v_mul_f64 v[212:213], v[212:213], v[222:223]
	v_xor_b32_e32 v223, 0x80000000, v223
.LBB117_158:
	s_and_not1_saveexec_b32 s3, s3
	s_cbranch_execz .LBB117_160
; %bb.159:
	v_div_scale_f64 v[212:213], null, v[216:217], v[216:217], v[218:219]
	v_div_scale_f64 v[224:225], vcc_lo, v[218:219], v[216:217], v[218:219]
	s_delay_alu instid0(VALU_DEP_2) | instskip(SKIP_2) | instid1(VALU_DEP_1)
	v_rcp_f64_e32 v[220:221], v[212:213]
	s_waitcnt_depctr 0xfff
	v_fma_f64 v[222:223], -v[212:213], v[220:221], 1.0
	v_fma_f64 v[220:221], v[220:221], v[222:223], v[220:221]
	s_delay_alu instid0(VALU_DEP_1) | instskip(NEXT) | instid1(VALU_DEP_1)
	v_fma_f64 v[222:223], -v[212:213], v[220:221], 1.0
	v_fma_f64 v[220:221], v[220:221], v[222:223], v[220:221]
	s_delay_alu instid0(VALU_DEP_1) | instskip(NEXT) | instid1(VALU_DEP_1)
	v_mul_f64 v[222:223], v[224:225], v[220:221]
	v_fma_f64 v[212:213], -v[212:213], v[222:223], v[224:225]
	s_delay_alu instid0(VALU_DEP_1) | instskip(NEXT) | instid1(VALU_DEP_1)
	v_div_fmas_f64 v[212:213], v[212:213], v[220:221], v[222:223]
	v_div_fixup_f64 v[220:221], v[212:213], v[216:217], v[218:219]
	s_delay_alu instid0(VALU_DEP_1) | instskip(NEXT) | instid1(VALU_DEP_1)
	v_fma_f64 v[212:213], v[218:219], v[220:221], v[216:217]
	v_div_scale_f64 v[216:217], null, v[212:213], v[212:213], 1.0
	s_delay_alu instid0(VALU_DEP_1) | instskip(SKIP_2) | instid1(VALU_DEP_1)
	v_rcp_f64_e32 v[218:219], v[216:217]
	s_waitcnt_depctr 0xfff
	v_fma_f64 v[222:223], -v[216:217], v[218:219], 1.0
	v_fma_f64 v[218:219], v[218:219], v[222:223], v[218:219]
	s_delay_alu instid0(VALU_DEP_1) | instskip(NEXT) | instid1(VALU_DEP_1)
	v_fma_f64 v[222:223], -v[216:217], v[218:219], 1.0
	v_fma_f64 v[218:219], v[218:219], v[222:223], v[218:219]
	v_div_scale_f64 v[222:223], vcc_lo, 1.0, v[212:213], 1.0
	s_delay_alu instid0(VALU_DEP_1) | instskip(NEXT) | instid1(VALU_DEP_1)
	v_mul_f64 v[224:225], v[222:223], v[218:219]
	v_fma_f64 v[216:217], -v[216:217], v[224:225], v[222:223]
	s_delay_alu instid0(VALU_DEP_1) | instskip(NEXT) | instid1(VALU_DEP_1)
	v_div_fmas_f64 v[216:217], v[216:217], v[218:219], v[224:225]
	v_div_fixup_f64 v[212:213], v[216:217], v[212:213], 1.0
	s_delay_alu instid0(VALU_DEP_1)
	v_mul_f64 v[222:223], v[220:221], -v[212:213]
.LBB117_160:
	s_or_b32 exec_lo, exec_lo, s3
	ds_store_2addr_b64 v209, v[212:213], v[222:223] offset1:1
.LBB117_161:
	s_or_b32 exec_lo, exec_lo, s4
	s_waitcnt lgkmcnt(0)
	s_barrier
	buffer_gl0_inv
	ds_load_2addr_b64 v[204:207], v209 offset1:1
	s_mov_b32 s3, exec_lo
	s_waitcnt lgkmcnt(0)
	scratch_store_b128 off, v[204:207], off offset:860 ; 16-byte Folded Spill
	v_cmpx_lt_u32_e32 17, v208
	s_cbranch_execz .LBB117_163
; %bb.162:
	scratch_load_b128 v[204:207], off, off offset:860 ; 16-byte Folded Reload
	ds_load_2addr_b64 v[218:221], v214 offset0:36 offset1:37
	s_waitcnt vmcnt(0)
	v_mul_f64 v[212:213], v[206:207], v[166:167]
	v_mul_f64 v[166:167], v[204:205], v[166:167]
	s_delay_alu instid0(VALU_DEP_2) | instskip(NEXT) | instid1(VALU_DEP_2)
	v_fma_f64 v[216:217], v[204:205], v[164:165], -v[212:213]
	v_fma_f64 v[166:167], v[206:207], v[164:165], v[166:167]
	s_waitcnt lgkmcnt(0)
	s_delay_alu instid0(VALU_DEP_1) | instskip(SKIP_1) | instid1(VALU_DEP_2)
	v_mul_f64 v[164:165], v[220:221], v[166:167]
	v_mul_f64 v[212:213], v[218:219], v[166:167]
	v_fma_f64 v[164:165], v[218:219], v[216:217], -v[164:165]
	s_delay_alu instid0(VALU_DEP_2)
	v_fma_f64 v[212:213], v[220:221], v[216:217], v[212:213]
	ds_load_2addr_b64 v[218:221], v214 offset0:38 offset1:39
	v_add_f64 v[160:161], v[160:161], -v[164:165]
	v_add_f64 v[162:163], v[162:163], -v[212:213]
	s_waitcnt lgkmcnt(0)
	v_mul_f64 v[164:165], v[220:221], v[166:167]
	v_mul_f64 v[212:213], v[218:219], v[166:167]
	s_delay_alu instid0(VALU_DEP_2) | instskip(NEXT) | instid1(VALU_DEP_2)
	v_fma_f64 v[164:165], v[218:219], v[216:217], -v[164:165]
	v_fma_f64 v[212:213], v[220:221], v[216:217], v[212:213]
	ds_load_2addr_b64 v[218:221], v214 offset0:40 offset1:41
	v_add_f64 v[156:157], v[156:157], -v[164:165]
	v_add_f64 v[158:159], v[158:159], -v[212:213]
	s_waitcnt lgkmcnt(0)
	v_mul_f64 v[164:165], v[220:221], v[166:167]
	v_mul_f64 v[212:213], v[218:219], v[166:167]
	s_delay_alu instid0(VALU_DEP_2) | instskip(NEXT) | instid1(VALU_DEP_2)
	v_fma_f64 v[164:165], v[218:219], v[216:217], -v[164:165]
	;; [unrolled: 9-line block ×40, first 2 shown]
	v_fma_f64 v[212:213], v[220:221], v[216:217], v[212:213]
	s_delay_alu instid0(VALU_DEP_2) | instskip(NEXT) | instid1(VALU_DEP_2)
	v_add_f64 v[0:1], v[0:1], -v[164:165]
	v_add_f64 v[2:3], v[2:3], -v[212:213]
	v_dual_mov_b32 v164, v216 :: v_dual_mov_b32 v165, v217
.LBB117_163:
	s_or_b32 exec_lo, exec_lo, s3
	s_delay_alu instid0(SALU_CYCLE_1)
	s_mov_b32 s4, exec_lo
	s_waitcnt_vscnt null, 0x0
	s_barrier
	buffer_gl0_inv
	v_cmpx_eq_u32_e32 18, v208
	s_cbranch_execz .LBB117_170
; %bb.164:
	ds_store_2addr_b64 v209, v[160:161], v[162:163] offset1:1
	ds_store_2addr_b64 v214, v[156:157], v[158:159] offset0:38 offset1:39
	ds_store_2addr_b64 v214, v[152:153], v[154:155] offset0:40 offset1:41
	;; [unrolled: 1-line block ×40, first 2 shown]
	ds_load_2addr_b64 v[216:219], v209 offset1:1
	s_waitcnt lgkmcnt(0)
	v_cmp_neq_f64_e32 vcc_lo, 0, v[216:217]
	v_cmp_neq_f64_e64 s3, 0, v[218:219]
	s_delay_alu instid0(VALU_DEP_1) | instskip(NEXT) | instid1(SALU_CYCLE_1)
	s_or_b32 s3, vcc_lo, s3
	s_and_b32 exec_lo, exec_lo, s3
	s_cbranch_execz .LBB117_170
; %bb.165:
	v_cmp_gt_f64_e32 vcc_lo, 0, v[216:217]
	v_xor_b32_e32 v212, 0x80000000, v217
	v_xor_b32_e32 v215, 0x80000000, v219
	s_delay_alu instid0(VALU_DEP_2) | instskip(SKIP_2) | instid1(VALU_DEP_4)
	v_cndmask_b32_e32 v213, v217, v212, vcc_lo
	v_cndmask_b32_e32 v212, v216, v216, vcc_lo
	v_cmp_gt_f64_e32 vcc_lo, 0, v[218:219]
	v_dual_cndmask_b32 v221, v219, v215 :: v_dual_cndmask_b32 v220, v218, v218
	s_delay_alu instid0(VALU_DEP_1) | instskip(SKIP_1) | instid1(SALU_CYCLE_1)
	v_cmp_ngt_f64_e32 vcc_lo, v[212:213], v[220:221]
                                        ; implicit-def: $vgpr212_vgpr213
	s_and_saveexec_b32 s3, vcc_lo
	s_xor_b32 s3, exec_lo, s3
                                        ; implicit-def: $vgpr220_vgpr221_vgpr222_vgpr223
	s_cbranch_execz .LBB117_167
; %bb.166:
	v_div_scale_f64 v[212:213], null, v[218:219], v[218:219], v[216:217]
	v_div_scale_f64 v[224:225], vcc_lo, v[216:217], v[218:219], v[216:217]
	s_delay_alu instid0(VALU_DEP_2) | instskip(SKIP_2) | instid1(VALU_DEP_1)
	v_rcp_f64_e32 v[220:221], v[212:213]
	s_waitcnt_depctr 0xfff
	v_fma_f64 v[222:223], -v[212:213], v[220:221], 1.0
	v_fma_f64 v[220:221], v[220:221], v[222:223], v[220:221]
	s_delay_alu instid0(VALU_DEP_1) | instskip(NEXT) | instid1(VALU_DEP_1)
	v_fma_f64 v[222:223], -v[212:213], v[220:221], 1.0
	v_fma_f64 v[220:221], v[220:221], v[222:223], v[220:221]
	s_delay_alu instid0(VALU_DEP_1) | instskip(NEXT) | instid1(VALU_DEP_1)
	v_mul_f64 v[222:223], v[224:225], v[220:221]
	v_fma_f64 v[212:213], -v[212:213], v[222:223], v[224:225]
	s_delay_alu instid0(VALU_DEP_1) | instskip(NEXT) | instid1(VALU_DEP_1)
	v_div_fmas_f64 v[212:213], v[212:213], v[220:221], v[222:223]
	v_div_fixup_f64 v[212:213], v[212:213], v[218:219], v[216:217]
	s_delay_alu instid0(VALU_DEP_1) | instskip(NEXT) | instid1(VALU_DEP_1)
	v_fma_f64 v[216:217], v[216:217], v[212:213], v[218:219]
	v_div_scale_f64 v[218:219], null, v[216:217], v[216:217], 1.0
	s_delay_alu instid0(VALU_DEP_1) | instskip(SKIP_2) | instid1(VALU_DEP_1)
	v_rcp_f64_e32 v[220:221], v[218:219]
	s_waitcnt_depctr 0xfff
	v_fma_f64 v[222:223], -v[218:219], v[220:221], 1.0
	v_fma_f64 v[220:221], v[220:221], v[222:223], v[220:221]
	s_delay_alu instid0(VALU_DEP_1) | instskip(NEXT) | instid1(VALU_DEP_1)
	v_fma_f64 v[222:223], -v[218:219], v[220:221], 1.0
	v_fma_f64 v[220:221], v[220:221], v[222:223], v[220:221]
	v_div_scale_f64 v[222:223], vcc_lo, 1.0, v[216:217], 1.0
	s_delay_alu instid0(VALU_DEP_1) | instskip(NEXT) | instid1(VALU_DEP_1)
	v_mul_f64 v[224:225], v[222:223], v[220:221]
	v_fma_f64 v[218:219], -v[218:219], v[224:225], v[222:223]
	s_delay_alu instid0(VALU_DEP_1) | instskip(NEXT) | instid1(VALU_DEP_1)
	v_div_fmas_f64 v[218:219], v[218:219], v[220:221], v[224:225]
	v_div_fixup_f64 v[222:223], v[218:219], v[216:217], 1.0
                                        ; implicit-def: $vgpr216_vgpr217
	s_delay_alu instid0(VALU_DEP_1)
	v_mul_f64 v[212:213], v[212:213], v[222:223]
	v_xor_b32_e32 v223, 0x80000000, v223
.LBB117_167:
	s_and_not1_saveexec_b32 s3, s3
	s_cbranch_execz .LBB117_169
; %bb.168:
	v_div_scale_f64 v[212:213], null, v[216:217], v[216:217], v[218:219]
	v_div_scale_f64 v[224:225], vcc_lo, v[218:219], v[216:217], v[218:219]
	s_delay_alu instid0(VALU_DEP_2) | instskip(SKIP_2) | instid1(VALU_DEP_1)
	v_rcp_f64_e32 v[220:221], v[212:213]
	s_waitcnt_depctr 0xfff
	v_fma_f64 v[222:223], -v[212:213], v[220:221], 1.0
	v_fma_f64 v[220:221], v[220:221], v[222:223], v[220:221]
	s_delay_alu instid0(VALU_DEP_1) | instskip(NEXT) | instid1(VALU_DEP_1)
	v_fma_f64 v[222:223], -v[212:213], v[220:221], 1.0
	v_fma_f64 v[220:221], v[220:221], v[222:223], v[220:221]
	s_delay_alu instid0(VALU_DEP_1) | instskip(NEXT) | instid1(VALU_DEP_1)
	v_mul_f64 v[222:223], v[224:225], v[220:221]
	v_fma_f64 v[212:213], -v[212:213], v[222:223], v[224:225]
	s_delay_alu instid0(VALU_DEP_1) | instskip(NEXT) | instid1(VALU_DEP_1)
	v_div_fmas_f64 v[212:213], v[212:213], v[220:221], v[222:223]
	v_div_fixup_f64 v[220:221], v[212:213], v[216:217], v[218:219]
	s_delay_alu instid0(VALU_DEP_1) | instskip(NEXT) | instid1(VALU_DEP_1)
	v_fma_f64 v[212:213], v[218:219], v[220:221], v[216:217]
	v_div_scale_f64 v[216:217], null, v[212:213], v[212:213], 1.0
	s_delay_alu instid0(VALU_DEP_1) | instskip(SKIP_2) | instid1(VALU_DEP_1)
	v_rcp_f64_e32 v[218:219], v[216:217]
	s_waitcnt_depctr 0xfff
	v_fma_f64 v[222:223], -v[216:217], v[218:219], 1.0
	v_fma_f64 v[218:219], v[218:219], v[222:223], v[218:219]
	s_delay_alu instid0(VALU_DEP_1) | instskip(NEXT) | instid1(VALU_DEP_1)
	v_fma_f64 v[222:223], -v[216:217], v[218:219], 1.0
	v_fma_f64 v[218:219], v[218:219], v[222:223], v[218:219]
	v_div_scale_f64 v[222:223], vcc_lo, 1.0, v[212:213], 1.0
	s_delay_alu instid0(VALU_DEP_1) | instskip(NEXT) | instid1(VALU_DEP_1)
	v_mul_f64 v[224:225], v[222:223], v[218:219]
	v_fma_f64 v[216:217], -v[216:217], v[224:225], v[222:223]
	s_delay_alu instid0(VALU_DEP_1) | instskip(NEXT) | instid1(VALU_DEP_1)
	v_div_fmas_f64 v[216:217], v[216:217], v[218:219], v[224:225]
	v_div_fixup_f64 v[212:213], v[216:217], v[212:213], 1.0
	s_delay_alu instid0(VALU_DEP_1)
	v_mul_f64 v[222:223], v[220:221], -v[212:213]
.LBB117_169:
	s_or_b32 exec_lo, exec_lo, s3
	ds_store_2addr_b64 v209, v[212:213], v[222:223] offset1:1
.LBB117_170:
	s_or_b32 exec_lo, exec_lo, s4
	s_waitcnt lgkmcnt(0)
	s_barrier
	buffer_gl0_inv
	ds_load_2addr_b64 v[204:207], v209 offset1:1
	s_mov_b32 s3, exec_lo
	s_waitcnt lgkmcnt(0)
	scratch_store_b128 off, v[204:207], off offset:876 ; 16-byte Folded Spill
	v_cmpx_lt_u32_e32 18, v208
	s_cbranch_execz .LBB117_172
; %bb.171:
	scratch_load_b128 v[204:207], off, off offset:876 ; 16-byte Folded Reload
	ds_load_2addr_b64 v[218:221], v214 offset0:38 offset1:39
	s_waitcnt vmcnt(0)
	v_mul_f64 v[212:213], v[206:207], v[162:163]
	v_mul_f64 v[162:163], v[204:205], v[162:163]
	s_delay_alu instid0(VALU_DEP_2) | instskip(NEXT) | instid1(VALU_DEP_2)
	v_fma_f64 v[216:217], v[204:205], v[160:161], -v[212:213]
	v_fma_f64 v[162:163], v[206:207], v[160:161], v[162:163]
	s_waitcnt lgkmcnt(0)
	s_delay_alu instid0(VALU_DEP_1) | instskip(SKIP_1) | instid1(VALU_DEP_2)
	v_mul_f64 v[160:161], v[220:221], v[162:163]
	v_mul_f64 v[212:213], v[218:219], v[162:163]
	v_fma_f64 v[160:161], v[218:219], v[216:217], -v[160:161]
	s_delay_alu instid0(VALU_DEP_2)
	v_fma_f64 v[212:213], v[220:221], v[216:217], v[212:213]
	ds_load_2addr_b64 v[218:221], v214 offset0:40 offset1:41
	v_add_f64 v[156:157], v[156:157], -v[160:161]
	v_add_f64 v[158:159], v[158:159], -v[212:213]
	s_waitcnt lgkmcnt(0)
	v_mul_f64 v[160:161], v[220:221], v[162:163]
	v_mul_f64 v[212:213], v[218:219], v[162:163]
	s_delay_alu instid0(VALU_DEP_2) | instskip(NEXT) | instid1(VALU_DEP_2)
	v_fma_f64 v[160:161], v[218:219], v[216:217], -v[160:161]
	v_fma_f64 v[212:213], v[220:221], v[216:217], v[212:213]
	ds_load_2addr_b64 v[218:221], v214 offset0:42 offset1:43
	v_add_f64 v[152:153], v[152:153], -v[160:161]
	v_add_f64 v[154:155], v[154:155], -v[212:213]
	s_waitcnt lgkmcnt(0)
	v_mul_f64 v[160:161], v[220:221], v[162:163]
	v_mul_f64 v[212:213], v[218:219], v[162:163]
	s_delay_alu instid0(VALU_DEP_2) | instskip(NEXT) | instid1(VALU_DEP_2)
	v_fma_f64 v[160:161], v[218:219], v[216:217], -v[160:161]
	;; [unrolled: 9-line block ×39, first 2 shown]
	v_fma_f64 v[212:213], v[220:221], v[216:217], v[212:213]
	s_delay_alu instid0(VALU_DEP_2) | instskip(NEXT) | instid1(VALU_DEP_2)
	v_add_f64 v[0:1], v[0:1], -v[160:161]
	v_add_f64 v[2:3], v[2:3], -v[212:213]
	v_dual_mov_b32 v160, v216 :: v_dual_mov_b32 v161, v217
.LBB117_172:
	s_or_b32 exec_lo, exec_lo, s3
	s_delay_alu instid0(SALU_CYCLE_1)
	s_mov_b32 s4, exec_lo
	s_waitcnt_vscnt null, 0x0
	s_barrier
	buffer_gl0_inv
	v_cmpx_eq_u32_e32 19, v208
	s_cbranch_execz .LBB117_179
; %bb.173:
	ds_store_2addr_b64 v209, v[156:157], v[158:159] offset1:1
	ds_store_2addr_b64 v214, v[152:153], v[154:155] offset0:40 offset1:41
	ds_store_2addr_b64 v214, v[148:149], v[150:151] offset0:42 offset1:43
	;; [unrolled: 1-line block ×39, first 2 shown]
	ds_load_2addr_b64 v[216:219], v209 offset1:1
	s_waitcnt lgkmcnt(0)
	v_cmp_neq_f64_e32 vcc_lo, 0, v[216:217]
	v_cmp_neq_f64_e64 s3, 0, v[218:219]
	s_delay_alu instid0(VALU_DEP_1) | instskip(NEXT) | instid1(SALU_CYCLE_1)
	s_or_b32 s3, vcc_lo, s3
	s_and_b32 exec_lo, exec_lo, s3
	s_cbranch_execz .LBB117_179
; %bb.174:
	v_cmp_gt_f64_e32 vcc_lo, 0, v[216:217]
	v_xor_b32_e32 v212, 0x80000000, v217
	v_xor_b32_e32 v215, 0x80000000, v219
	s_delay_alu instid0(VALU_DEP_2) | instskip(SKIP_2) | instid1(VALU_DEP_4)
	v_cndmask_b32_e32 v213, v217, v212, vcc_lo
	v_cndmask_b32_e32 v212, v216, v216, vcc_lo
	v_cmp_gt_f64_e32 vcc_lo, 0, v[218:219]
	v_dual_cndmask_b32 v221, v219, v215 :: v_dual_cndmask_b32 v220, v218, v218
	s_delay_alu instid0(VALU_DEP_1) | instskip(SKIP_1) | instid1(SALU_CYCLE_1)
	v_cmp_ngt_f64_e32 vcc_lo, v[212:213], v[220:221]
                                        ; implicit-def: $vgpr212_vgpr213
	s_and_saveexec_b32 s3, vcc_lo
	s_xor_b32 s3, exec_lo, s3
                                        ; implicit-def: $vgpr220_vgpr221_vgpr222_vgpr223
	s_cbranch_execz .LBB117_176
; %bb.175:
	v_div_scale_f64 v[212:213], null, v[218:219], v[218:219], v[216:217]
	v_div_scale_f64 v[224:225], vcc_lo, v[216:217], v[218:219], v[216:217]
	s_delay_alu instid0(VALU_DEP_2) | instskip(SKIP_2) | instid1(VALU_DEP_1)
	v_rcp_f64_e32 v[220:221], v[212:213]
	s_waitcnt_depctr 0xfff
	v_fma_f64 v[222:223], -v[212:213], v[220:221], 1.0
	v_fma_f64 v[220:221], v[220:221], v[222:223], v[220:221]
	s_delay_alu instid0(VALU_DEP_1) | instskip(NEXT) | instid1(VALU_DEP_1)
	v_fma_f64 v[222:223], -v[212:213], v[220:221], 1.0
	v_fma_f64 v[220:221], v[220:221], v[222:223], v[220:221]
	s_delay_alu instid0(VALU_DEP_1) | instskip(NEXT) | instid1(VALU_DEP_1)
	v_mul_f64 v[222:223], v[224:225], v[220:221]
	v_fma_f64 v[212:213], -v[212:213], v[222:223], v[224:225]
	s_delay_alu instid0(VALU_DEP_1) | instskip(NEXT) | instid1(VALU_DEP_1)
	v_div_fmas_f64 v[212:213], v[212:213], v[220:221], v[222:223]
	v_div_fixup_f64 v[212:213], v[212:213], v[218:219], v[216:217]
	s_delay_alu instid0(VALU_DEP_1) | instskip(NEXT) | instid1(VALU_DEP_1)
	v_fma_f64 v[216:217], v[216:217], v[212:213], v[218:219]
	v_div_scale_f64 v[218:219], null, v[216:217], v[216:217], 1.0
	s_delay_alu instid0(VALU_DEP_1) | instskip(SKIP_2) | instid1(VALU_DEP_1)
	v_rcp_f64_e32 v[220:221], v[218:219]
	s_waitcnt_depctr 0xfff
	v_fma_f64 v[222:223], -v[218:219], v[220:221], 1.0
	v_fma_f64 v[220:221], v[220:221], v[222:223], v[220:221]
	s_delay_alu instid0(VALU_DEP_1) | instskip(NEXT) | instid1(VALU_DEP_1)
	v_fma_f64 v[222:223], -v[218:219], v[220:221], 1.0
	v_fma_f64 v[220:221], v[220:221], v[222:223], v[220:221]
	v_div_scale_f64 v[222:223], vcc_lo, 1.0, v[216:217], 1.0
	s_delay_alu instid0(VALU_DEP_1) | instskip(NEXT) | instid1(VALU_DEP_1)
	v_mul_f64 v[224:225], v[222:223], v[220:221]
	v_fma_f64 v[218:219], -v[218:219], v[224:225], v[222:223]
	s_delay_alu instid0(VALU_DEP_1) | instskip(NEXT) | instid1(VALU_DEP_1)
	v_div_fmas_f64 v[218:219], v[218:219], v[220:221], v[224:225]
	v_div_fixup_f64 v[222:223], v[218:219], v[216:217], 1.0
                                        ; implicit-def: $vgpr216_vgpr217
	s_delay_alu instid0(VALU_DEP_1)
	v_mul_f64 v[212:213], v[212:213], v[222:223]
	v_xor_b32_e32 v223, 0x80000000, v223
.LBB117_176:
	s_and_not1_saveexec_b32 s3, s3
	s_cbranch_execz .LBB117_178
; %bb.177:
	v_div_scale_f64 v[212:213], null, v[216:217], v[216:217], v[218:219]
	v_div_scale_f64 v[224:225], vcc_lo, v[218:219], v[216:217], v[218:219]
	s_delay_alu instid0(VALU_DEP_2) | instskip(SKIP_2) | instid1(VALU_DEP_1)
	v_rcp_f64_e32 v[220:221], v[212:213]
	s_waitcnt_depctr 0xfff
	v_fma_f64 v[222:223], -v[212:213], v[220:221], 1.0
	v_fma_f64 v[220:221], v[220:221], v[222:223], v[220:221]
	s_delay_alu instid0(VALU_DEP_1) | instskip(NEXT) | instid1(VALU_DEP_1)
	v_fma_f64 v[222:223], -v[212:213], v[220:221], 1.0
	v_fma_f64 v[220:221], v[220:221], v[222:223], v[220:221]
	s_delay_alu instid0(VALU_DEP_1) | instskip(NEXT) | instid1(VALU_DEP_1)
	v_mul_f64 v[222:223], v[224:225], v[220:221]
	v_fma_f64 v[212:213], -v[212:213], v[222:223], v[224:225]
	s_delay_alu instid0(VALU_DEP_1) | instskip(NEXT) | instid1(VALU_DEP_1)
	v_div_fmas_f64 v[212:213], v[212:213], v[220:221], v[222:223]
	v_div_fixup_f64 v[220:221], v[212:213], v[216:217], v[218:219]
	s_delay_alu instid0(VALU_DEP_1) | instskip(NEXT) | instid1(VALU_DEP_1)
	v_fma_f64 v[212:213], v[218:219], v[220:221], v[216:217]
	v_div_scale_f64 v[216:217], null, v[212:213], v[212:213], 1.0
	s_delay_alu instid0(VALU_DEP_1) | instskip(SKIP_2) | instid1(VALU_DEP_1)
	v_rcp_f64_e32 v[218:219], v[216:217]
	s_waitcnt_depctr 0xfff
	v_fma_f64 v[222:223], -v[216:217], v[218:219], 1.0
	v_fma_f64 v[218:219], v[218:219], v[222:223], v[218:219]
	s_delay_alu instid0(VALU_DEP_1) | instskip(NEXT) | instid1(VALU_DEP_1)
	v_fma_f64 v[222:223], -v[216:217], v[218:219], 1.0
	v_fma_f64 v[218:219], v[218:219], v[222:223], v[218:219]
	v_div_scale_f64 v[222:223], vcc_lo, 1.0, v[212:213], 1.0
	s_delay_alu instid0(VALU_DEP_1) | instskip(NEXT) | instid1(VALU_DEP_1)
	v_mul_f64 v[224:225], v[222:223], v[218:219]
	v_fma_f64 v[216:217], -v[216:217], v[224:225], v[222:223]
	s_delay_alu instid0(VALU_DEP_1) | instskip(NEXT) | instid1(VALU_DEP_1)
	v_div_fmas_f64 v[216:217], v[216:217], v[218:219], v[224:225]
	v_div_fixup_f64 v[212:213], v[216:217], v[212:213], 1.0
	s_delay_alu instid0(VALU_DEP_1)
	v_mul_f64 v[222:223], v[220:221], -v[212:213]
.LBB117_178:
	s_or_b32 exec_lo, exec_lo, s3
	ds_store_2addr_b64 v209, v[212:213], v[222:223] offset1:1
.LBB117_179:
	s_or_b32 exec_lo, exec_lo, s4
	s_waitcnt lgkmcnt(0)
	s_barrier
	buffer_gl0_inv
	ds_load_2addr_b64 v[204:207], v209 offset1:1
	s_mov_b32 s3, exec_lo
	s_waitcnt lgkmcnt(0)
	scratch_store_b128 off, v[204:207], off offset:892 ; 16-byte Folded Spill
	v_cmpx_lt_u32_e32 19, v208
	s_cbranch_execz .LBB117_181
; %bb.180:
	scratch_load_b128 v[204:207], off, off offset:892 ; 16-byte Folded Reload
	ds_load_2addr_b64 v[218:221], v214 offset0:40 offset1:41
	s_waitcnt vmcnt(0)
	v_mul_f64 v[212:213], v[206:207], v[158:159]
	v_mul_f64 v[158:159], v[204:205], v[158:159]
	s_delay_alu instid0(VALU_DEP_2) | instskip(NEXT) | instid1(VALU_DEP_2)
	v_fma_f64 v[216:217], v[204:205], v[156:157], -v[212:213]
	v_fma_f64 v[158:159], v[206:207], v[156:157], v[158:159]
	s_waitcnt lgkmcnt(0)
	s_delay_alu instid0(VALU_DEP_1) | instskip(SKIP_1) | instid1(VALU_DEP_2)
	v_mul_f64 v[156:157], v[220:221], v[158:159]
	v_mul_f64 v[212:213], v[218:219], v[158:159]
	v_fma_f64 v[156:157], v[218:219], v[216:217], -v[156:157]
	s_delay_alu instid0(VALU_DEP_2)
	v_fma_f64 v[212:213], v[220:221], v[216:217], v[212:213]
	ds_load_2addr_b64 v[218:221], v214 offset0:42 offset1:43
	v_add_f64 v[152:153], v[152:153], -v[156:157]
	v_add_f64 v[154:155], v[154:155], -v[212:213]
	s_waitcnt lgkmcnt(0)
	v_mul_f64 v[156:157], v[220:221], v[158:159]
	v_mul_f64 v[212:213], v[218:219], v[158:159]
	s_delay_alu instid0(VALU_DEP_2) | instskip(NEXT) | instid1(VALU_DEP_2)
	v_fma_f64 v[156:157], v[218:219], v[216:217], -v[156:157]
	v_fma_f64 v[212:213], v[220:221], v[216:217], v[212:213]
	ds_load_2addr_b64 v[218:221], v214 offset0:44 offset1:45
	v_add_f64 v[148:149], v[148:149], -v[156:157]
	v_add_f64 v[150:151], v[150:151], -v[212:213]
	s_waitcnt lgkmcnt(0)
	v_mul_f64 v[156:157], v[220:221], v[158:159]
	v_mul_f64 v[212:213], v[218:219], v[158:159]
	s_delay_alu instid0(VALU_DEP_2) | instskip(NEXT) | instid1(VALU_DEP_2)
	v_fma_f64 v[156:157], v[218:219], v[216:217], -v[156:157]
	;; [unrolled: 9-line block ×38, first 2 shown]
	v_fma_f64 v[212:213], v[220:221], v[216:217], v[212:213]
	s_delay_alu instid0(VALU_DEP_2) | instskip(NEXT) | instid1(VALU_DEP_2)
	v_add_f64 v[0:1], v[0:1], -v[156:157]
	v_add_f64 v[2:3], v[2:3], -v[212:213]
	v_dual_mov_b32 v156, v216 :: v_dual_mov_b32 v157, v217
.LBB117_181:
	s_or_b32 exec_lo, exec_lo, s3
	s_delay_alu instid0(SALU_CYCLE_1)
	s_mov_b32 s4, exec_lo
	s_waitcnt_vscnt null, 0x0
	s_barrier
	buffer_gl0_inv
	v_cmpx_eq_u32_e32 20, v208
	s_cbranch_execz .LBB117_188
; %bb.182:
	ds_store_2addr_b64 v209, v[152:153], v[154:155] offset1:1
	ds_store_2addr_b64 v214, v[148:149], v[150:151] offset0:42 offset1:43
	ds_store_2addr_b64 v214, v[144:145], v[146:147] offset0:44 offset1:45
	;; [unrolled: 1-line block ×38, first 2 shown]
	ds_load_2addr_b64 v[216:219], v209 offset1:1
	s_waitcnt lgkmcnt(0)
	v_cmp_neq_f64_e32 vcc_lo, 0, v[216:217]
	v_cmp_neq_f64_e64 s3, 0, v[218:219]
	s_delay_alu instid0(VALU_DEP_1) | instskip(NEXT) | instid1(SALU_CYCLE_1)
	s_or_b32 s3, vcc_lo, s3
	s_and_b32 exec_lo, exec_lo, s3
	s_cbranch_execz .LBB117_188
; %bb.183:
	v_cmp_gt_f64_e32 vcc_lo, 0, v[216:217]
	v_xor_b32_e32 v212, 0x80000000, v217
	v_xor_b32_e32 v215, 0x80000000, v219
	s_delay_alu instid0(VALU_DEP_2) | instskip(SKIP_2) | instid1(VALU_DEP_4)
	v_cndmask_b32_e32 v213, v217, v212, vcc_lo
	v_cndmask_b32_e32 v212, v216, v216, vcc_lo
	v_cmp_gt_f64_e32 vcc_lo, 0, v[218:219]
	v_dual_cndmask_b32 v221, v219, v215 :: v_dual_cndmask_b32 v220, v218, v218
	s_delay_alu instid0(VALU_DEP_1) | instskip(SKIP_1) | instid1(SALU_CYCLE_1)
	v_cmp_ngt_f64_e32 vcc_lo, v[212:213], v[220:221]
                                        ; implicit-def: $vgpr212_vgpr213
	s_and_saveexec_b32 s3, vcc_lo
	s_xor_b32 s3, exec_lo, s3
                                        ; implicit-def: $vgpr220_vgpr221_vgpr222_vgpr223
	s_cbranch_execz .LBB117_185
; %bb.184:
	v_div_scale_f64 v[212:213], null, v[218:219], v[218:219], v[216:217]
	v_div_scale_f64 v[224:225], vcc_lo, v[216:217], v[218:219], v[216:217]
	s_delay_alu instid0(VALU_DEP_2) | instskip(SKIP_2) | instid1(VALU_DEP_1)
	v_rcp_f64_e32 v[220:221], v[212:213]
	s_waitcnt_depctr 0xfff
	v_fma_f64 v[222:223], -v[212:213], v[220:221], 1.0
	v_fma_f64 v[220:221], v[220:221], v[222:223], v[220:221]
	s_delay_alu instid0(VALU_DEP_1) | instskip(NEXT) | instid1(VALU_DEP_1)
	v_fma_f64 v[222:223], -v[212:213], v[220:221], 1.0
	v_fma_f64 v[220:221], v[220:221], v[222:223], v[220:221]
	s_delay_alu instid0(VALU_DEP_1) | instskip(NEXT) | instid1(VALU_DEP_1)
	v_mul_f64 v[222:223], v[224:225], v[220:221]
	v_fma_f64 v[212:213], -v[212:213], v[222:223], v[224:225]
	s_delay_alu instid0(VALU_DEP_1) | instskip(NEXT) | instid1(VALU_DEP_1)
	v_div_fmas_f64 v[212:213], v[212:213], v[220:221], v[222:223]
	v_div_fixup_f64 v[212:213], v[212:213], v[218:219], v[216:217]
	s_delay_alu instid0(VALU_DEP_1) | instskip(NEXT) | instid1(VALU_DEP_1)
	v_fma_f64 v[216:217], v[216:217], v[212:213], v[218:219]
	v_div_scale_f64 v[218:219], null, v[216:217], v[216:217], 1.0
	s_delay_alu instid0(VALU_DEP_1) | instskip(SKIP_2) | instid1(VALU_DEP_1)
	v_rcp_f64_e32 v[220:221], v[218:219]
	s_waitcnt_depctr 0xfff
	v_fma_f64 v[222:223], -v[218:219], v[220:221], 1.0
	v_fma_f64 v[220:221], v[220:221], v[222:223], v[220:221]
	s_delay_alu instid0(VALU_DEP_1) | instskip(NEXT) | instid1(VALU_DEP_1)
	v_fma_f64 v[222:223], -v[218:219], v[220:221], 1.0
	v_fma_f64 v[220:221], v[220:221], v[222:223], v[220:221]
	v_div_scale_f64 v[222:223], vcc_lo, 1.0, v[216:217], 1.0
	s_delay_alu instid0(VALU_DEP_1) | instskip(NEXT) | instid1(VALU_DEP_1)
	v_mul_f64 v[224:225], v[222:223], v[220:221]
	v_fma_f64 v[218:219], -v[218:219], v[224:225], v[222:223]
	s_delay_alu instid0(VALU_DEP_1) | instskip(NEXT) | instid1(VALU_DEP_1)
	v_div_fmas_f64 v[218:219], v[218:219], v[220:221], v[224:225]
	v_div_fixup_f64 v[222:223], v[218:219], v[216:217], 1.0
                                        ; implicit-def: $vgpr216_vgpr217
	s_delay_alu instid0(VALU_DEP_1)
	v_mul_f64 v[212:213], v[212:213], v[222:223]
	v_xor_b32_e32 v223, 0x80000000, v223
.LBB117_185:
	s_and_not1_saveexec_b32 s3, s3
	s_cbranch_execz .LBB117_187
; %bb.186:
	v_div_scale_f64 v[212:213], null, v[216:217], v[216:217], v[218:219]
	v_div_scale_f64 v[224:225], vcc_lo, v[218:219], v[216:217], v[218:219]
	s_delay_alu instid0(VALU_DEP_2) | instskip(SKIP_2) | instid1(VALU_DEP_1)
	v_rcp_f64_e32 v[220:221], v[212:213]
	s_waitcnt_depctr 0xfff
	v_fma_f64 v[222:223], -v[212:213], v[220:221], 1.0
	v_fma_f64 v[220:221], v[220:221], v[222:223], v[220:221]
	s_delay_alu instid0(VALU_DEP_1) | instskip(NEXT) | instid1(VALU_DEP_1)
	v_fma_f64 v[222:223], -v[212:213], v[220:221], 1.0
	v_fma_f64 v[220:221], v[220:221], v[222:223], v[220:221]
	s_delay_alu instid0(VALU_DEP_1) | instskip(NEXT) | instid1(VALU_DEP_1)
	v_mul_f64 v[222:223], v[224:225], v[220:221]
	v_fma_f64 v[212:213], -v[212:213], v[222:223], v[224:225]
	s_delay_alu instid0(VALU_DEP_1) | instskip(NEXT) | instid1(VALU_DEP_1)
	v_div_fmas_f64 v[212:213], v[212:213], v[220:221], v[222:223]
	v_div_fixup_f64 v[220:221], v[212:213], v[216:217], v[218:219]
	s_delay_alu instid0(VALU_DEP_1) | instskip(NEXT) | instid1(VALU_DEP_1)
	v_fma_f64 v[212:213], v[218:219], v[220:221], v[216:217]
	v_div_scale_f64 v[216:217], null, v[212:213], v[212:213], 1.0
	s_delay_alu instid0(VALU_DEP_1) | instskip(SKIP_2) | instid1(VALU_DEP_1)
	v_rcp_f64_e32 v[218:219], v[216:217]
	s_waitcnt_depctr 0xfff
	v_fma_f64 v[222:223], -v[216:217], v[218:219], 1.0
	v_fma_f64 v[218:219], v[218:219], v[222:223], v[218:219]
	s_delay_alu instid0(VALU_DEP_1) | instskip(NEXT) | instid1(VALU_DEP_1)
	v_fma_f64 v[222:223], -v[216:217], v[218:219], 1.0
	v_fma_f64 v[218:219], v[218:219], v[222:223], v[218:219]
	v_div_scale_f64 v[222:223], vcc_lo, 1.0, v[212:213], 1.0
	s_delay_alu instid0(VALU_DEP_1) | instskip(NEXT) | instid1(VALU_DEP_1)
	v_mul_f64 v[224:225], v[222:223], v[218:219]
	v_fma_f64 v[216:217], -v[216:217], v[224:225], v[222:223]
	s_delay_alu instid0(VALU_DEP_1) | instskip(NEXT) | instid1(VALU_DEP_1)
	v_div_fmas_f64 v[216:217], v[216:217], v[218:219], v[224:225]
	v_div_fixup_f64 v[212:213], v[216:217], v[212:213], 1.0
	s_delay_alu instid0(VALU_DEP_1)
	v_mul_f64 v[222:223], v[220:221], -v[212:213]
.LBB117_187:
	s_or_b32 exec_lo, exec_lo, s3
	ds_store_2addr_b64 v209, v[212:213], v[222:223] offset1:1
.LBB117_188:
	s_or_b32 exec_lo, exec_lo, s4
	s_waitcnt lgkmcnt(0)
	s_barrier
	buffer_gl0_inv
	ds_load_2addr_b64 v[204:207], v209 offset1:1
	s_mov_b32 s3, exec_lo
	s_waitcnt lgkmcnt(0)
	scratch_store_b128 off, v[204:207], off offset:908 ; 16-byte Folded Spill
	v_cmpx_lt_u32_e32 20, v208
	s_cbranch_execz .LBB117_190
; %bb.189:
	scratch_load_b128 v[204:207], off, off offset:908 ; 16-byte Folded Reload
	ds_load_2addr_b64 v[218:221], v214 offset0:42 offset1:43
	s_waitcnt vmcnt(0)
	v_mul_f64 v[212:213], v[206:207], v[154:155]
	v_mul_f64 v[154:155], v[204:205], v[154:155]
	s_delay_alu instid0(VALU_DEP_2) | instskip(NEXT) | instid1(VALU_DEP_2)
	v_fma_f64 v[216:217], v[204:205], v[152:153], -v[212:213]
	v_fma_f64 v[154:155], v[206:207], v[152:153], v[154:155]
	s_waitcnt lgkmcnt(0)
	s_delay_alu instid0(VALU_DEP_1) | instskip(SKIP_1) | instid1(VALU_DEP_2)
	v_mul_f64 v[152:153], v[220:221], v[154:155]
	v_mul_f64 v[212:213], v[218:219], v[154:155]
	v_fma_f64 v[152:153], v[218:219], v[216:217], -v[152:153]
	s_delay_alu instid0(VALU_DEP_2)
	v_fma_f64 v[212:213], v[220:221], v[216:217], v[212:213]
	ds_load_2addr_b64 v[218:221], v214 offset0:44 offset1:45
	v_add_f64 v[148:149], v[148:149], -v[152:153]
	v_add_f64 v[150:151], v[150:151], -v[212:213]
	s_waitcnt lgkmcnt(0)
	v_mul_f64 v[152:153], v[220:221], v[154:155]
	v_mul_f64 v[212:213], v[218:219], v[154:155]
	s_delay_alu instid0(VALU_DEP_2) | instskip(NEXT) | instid1(VALU_DEP_2)
	v_fma_f64 v[152:153], v[218:219], v[216:217], -v[152:153]
	v_fma_f64 v[212:213], v[220:221], v[216:217], v[212:213]
	ds_load_2addr_b64 v[218:221], v214 offset0:46 offset1:47
	v_add_f64 v[144:145], v[144:145], -v[152:153]
	v_add_f64 v[146:147], v[146:147], -v[212:213]
	s_waitcnt lgkmcnt(0)
	v_mul_f64 v[152:153], v[220:221], v[154:155]
	v_mul_f64 v[212:213], v[218:219], v[154:155]
	s_delay_alu instid0(VALU_DEP_2) | instskip(NEXT) | instid1(VALU_DEP_2)
	v_fma_f64 v[152:153], v[218:219], v[216:217], -v[152:153]
	;; [unrolled: 9-line block ×37, first 2 shown]
	v_fma_f64 v[212:213], v[220:221], v[216:217], v[212:213]
	s_delay_alu instid0(VALU_DEP_2) | instskip(NEXT) | instid1(VALU_DEP_2)
	v_add_f64 v[0:1], v[0:1], -v[152:153]
	v_add_f64 v[2:3], v[2:3], -v[212:213]
	v_dual_mov_b32 v152, v216 :: v_dual_mov_b32 v153, v217
.LBB117_190:
	s_or_b32 exec_lo, exec_lo, s3
	s_delay_alu instid0(SALU_CYCLE_1)
	s_mov_b32 s4, exec_lo
	s_waitcnt_vscnt null, 0x0
	s_barrier
	buffer_gl0_inv
	v_cmpx_eq_u32_e32 21, v208
	s_cbranch_execz .LBB117_197
; %bb.191:
	ds_store_2addr_b64 v209, v[148:149], v[150:151] offset1:1
	ds_store_2addr_b64 v214, v[144:145], v[146:147] offset0:44 offset1:45
	ds_store_2addr_b64 v214, v[140:141], v[142:143] offset0:46 offset1:47
	;; [unrolled: 1-line block ×37, first 2 shown]
	ds_load_2addr_b64 v[216:219], v209 offset1:1
	s_waitcnt lgkmcnt(0)
	v_cmp_neq_f64_e32 vcc_lo, 0, v[216:217]
	v_cmp_neq_f64_e64 s3, 0, v[218:219]
	s_delay_alu instid0(VALU_DEP_1) | instskip(NEXT) | instid1(SALU_CYCLE_1)
	s_or_b32 s3, vcc_lo, s3
	s_and_b32 exec_lo, exec_lo, s3
	s_cbranch_execz .LBB117_197
; %bb.192:
	v_cmp_gt_f64_e32 vcc_lo, 0, v[216:217]
	v_xor_b32_e32 v212, 0x80000000, v217
	v_xor_b32_e32 v215, 0x80000000, v219
	s_delay_alu instid0(VALU_DEP_2) | instskip(SKIP_2) | instid1(VALU_DEP_4)
	v_cndmask_b32_e32 v213, v217, v212, vcc_lo
	v_cndmask_b32_e32 v212, v216, v216, vcc_lo
	v_cmp_gt_f64_e32 vcc_lo, 0, v[218:219]
	v_dual_cndmask_b32 v221, v219, v215 :: v_dual_cndmask_b32 v220, v218, v218
	s_delay_alu instid0(VALU_DEP_1) | instskip(SKIP_1) | instid1(SALU_CYCLE_1)
	v_cmp_ngt_f64_e32 vcc_lo, v[212:213], v[220:221]
                                        ; implicit-def: $vgpr212_vgpr213
	s_and_saveexec_b32 s3, vcc_lo
	s_xor_b32 s3, exec_lo, s3
                                        ; implicit-def: $vgpr220_vgpr221_vgpr222_vgpr223
	s_cbranch_execz .LBB117_194
; %bb.193:
	v_div_scale_f64 v[212:213], null, v[218:219], v[218:219], v[216:217]
	v_div_scale_f64 v[224:225], vcc_lo, v[216:217], v[218:219], v[216:217]
	s_delay_alu instid0(VALU_DEP_2) | instskip(SKIP_2) | instid1(VALU_DEP_1)
	v_rcp_f64_e32 v[220:221], v[212:213]
	s_waitcnt_depctr 0xfff
	v_fma_f64 v[222:223], -v[212:213], v[220:221], 1.0
	v_fma_f64 v[220:221], v[220:221], v[222:223], v[220:221]
	s_delay_alu instid0(VALU_DEP_1) | instskip(NEXT) | instid1(VALU_DEP_1)
	v_fma_f64 v[222:223], -v[212:213], v[220:221], 1.0
	v_fma_f64 v[220:221], v[220:221], v[222:223], v[220:221]
	s_delay_alu instid0(VALU_DEP_1) | instskip(NEXT) | instid1(VALU_DEP_1)
	v_mul_f64 v[222:223], v[224:225], v[220:221]
	v_fma_f64 v[212:213], -v[212:213], v[222:223], v[224:225]
	s_delay_alu instid0(VALU_DEP_1) | instskip(NEXT) | instid1(VALU_DEP_1)
	v_div_fmas_f64 v[212:213], v[212:213], v[220:221], v[222:223]
	v_div_fixup_f64 v[212:213], v[212:213], v[218:219], v[216:217]
	s_delay_alu instid0(VALU_DEP_1) | instskip(NEXT) | instid1(VALU_DEP_1)
	v_fma_f64 v[216:217], v[216:217], v[212:213], v[218:219]
	v_div_scale_f64 v[218:219], null, v[216:217], v[216:217], 1.0
	s_delay_alu instid0(VALU_DEP_1) | instskip(SKIP_2) | instid1(VALU_DEP_1)
	v_rcp_f64_e32 v[220:221], v[218:219]
	s_waitcnt_depctr 0xfff
	v_fma_f64 v[222:223], -v[218:219], v[220:221], 1.0
	v_fma_f64 v[220:221], v[220:221], v[222:223], v[220:221]
	s_delay_alu instid0(VALU_DEP_1) | instskip(NEXT) | instid1(VALU_DEP_1)
	v_fma_f64 v[222:223], -v[218:219], v[220:221], 1.0
	v_fma_f64 v[220:221], v[220:221], v[222:223], v[220:221]
	v_div_scale_f64 v[222:223], vcc_lo, 1.0, v[216:217], 1.0
	s_delay_alu instid0(VALU_DEP_1) | instskip(NEXT) | instid1(VALU_DEP_1)
	v_mul_f64 v[224:225], v[222:223], v[220:221]
	v_fma_f64 v[218:219], -v[218:219], v[224:225], v[222:223]
	s_delay_alu instid0(VALU_DEP_1) | instskip(NEXT) | instid1(VALU_DEP_1)
	v_div_fmas_f64 v[218:219], v[218:219], v[220:221], v[224:225]
	v_div_fixup_f64 v[222:223], v[218:219], v[216:217], 1.0
                                        ; implicit-def: $vgpr216_vgpr217
	s_delay_alu instid0(VALU_DEP_1)
	v_mul_f64 v[212:213], v[212:213], v[222:223]
	v_xor_b32_e32 v223, 0x80000000, v223
.LBB117_194:
	s_and_not1_saveexec_b32 s3, s3
	s_cbranch_execz .LBB117_196
; %bb.195:
	v_div_scale_f64 v[212:213], null, v[216:217], v[216:217], v[218:219]
	v_div_scale_f64 v[224:225], vcc_lo, v[218:219], v[216:217], v[218:219]
	s_delay_alu instid0(VALU_DEP_2) | instskip(SKIP_2) | instid1(VALU_DEP_1)
	v_rcp_f64_e32 v[220:221], v[212:213]
	s_waitcnt_depctr 0xfff
	v_fma_f64 v[222:223], -v[212:213], v[220:221], 1.0
	v_fma_f64 v[220:221], v[220:221], v[222:223], v[220:221]
	s_delay_alu instid0(VALU_DEP_1) | instskip(NEXT) | instid1(VALU_DEP_1)
	v_fma_f64 v[222:223], -v[212:213], v[220:221], 1.0
	v_fma_f64 v[220:221], v[220:221], v[222:223], v[220:221]
	s_delay_alu instid0(VALU_DEP_1) | instskip(NEXT) | instid1(VALU_DEP_1)
	v_mul_f64 v[222:223], v[224:225], v[220:221]
	v_fma_f64 v[212:213], -v[212:213], v[222:223], v[224:225]
	s_delay_alu instid0(VALU_DEP_1) | instskip(NEXT) | instid1(VALU_DEP_1)
	v_div_fmas_f64 v[212:213], v[212:213], v[220:221], v[222:223]
	v_div_fixup_f64 v[220:221], v[212:213], v[216:217], v[218:219]
	s_delay_alu instid0(VALU_DEP_1) | instskip(NEXT) | instid1(VALU_DEP_1)
	v_fma_f64 v[212:213], v[218:219], v[220:221], v[216:217]
	v_div_scale_f64 v[216:217], null, v[212:213], v[212:213], 1.0
	s_delay_alu instid0(VALU_DEP_1) | instskip(SKIP_2) | instid1(VALU_DEP_1)
	v_rcp_f64_e32 v[218:219], v[216:217]
	s_waitcnt_depctr 0xfff
	v_fma_f64 v[222:223], -v[216:217], v[218:219], 1.0
	v_fma_f64 v[218:219], v[218:219], v[222:223], v[218:219]
	s_delay_alu instid0(VALU_DEP_1) | instskip(NEXT) | instid1(VALU_DEP_1)
	v_fma_f64 v[222:223], -v[216:217], v[218:219], 1.0
	v_fma_f64 v[218:219], v[218:219], v[222:223], v[218:219]
	v_div_scale_f64 v[222:223], vcc_lo, 1.0, v[212:213], 1.0
	s_delay_alu instid0(VALU_DEP_1) | instskip(NEXT) | instid1(VALU_DEP_1)
	v_mul_f64 v[224:225], v[222:223], v[218:219]
	v_fma_f64 v[216:217], -v[216:217], v[224:225], v[222:223]
	s_delay_alu instid0(VALU_DEP_1) | instskip(NEXT) | instid1(VALU_DEP_1)
	v_div_fmas_f64 v[216:217], v[216:217], v[218:219], v[224:225]
	v_div_fixup_f64 v[212:213], v[216:217], v[212:213], 1.0
	s_delay_alu instid0(VALU_DEP_1)
	v_mul_f64 v[222:223], v[220:221], -v[212:213]
.LBB117_196:
	s_or_b32 exec_lo, exec_lo, s3
	ds_store_2addr_b64 v209, v[212:213], v[222:223] offset1:1
.LBB117_197:
	s_or_b32 exec_lo, exec_lo, s4
	s_waitcnt lgkmcnt(0)
	s_barrier
	buffer_gl0_inv
	ds_load_2addr_b64 v[204:207], v209 offset1:1
	s_mov_b32 s3, exec_lo
	s_waitcnt lgkmcnt(0)
	scratch_store_b128 off, v[204:207], off offset:924 ; 16-byte Folded Spill
	v_cmpx_lt_u32_e32 21, v208
	s_cbranch_execz .LBB117_199
; %bb.198:
	scratch_load_b128 v[204:207], off, off offset:924 ; 16-byte Folded Reload
	ds_load_2addr_b64 v[218:221], v214 offset0:44 offset1:45
	s_waitcnt vmcnt(0)
	v_mul_f64 v[212:213], v[206:207], v[150:151]
	v_mul_f64 v[150:151], v[204:205], v[150:151]
	s_delay_alu instid0(VALU_DEP_2) | instskip(NEXT) | instid1(VALU_DEP_2)
	v_fma_f64 v[216:217], v[204:205], v[148:149], -v[212:213]
	v_fma_f64 v[150:151], v[206:207], v[148:149], v[150:151]
	s_waitcnt lgkmcnt(0)
	s_delay_alu instid0(VALU_DEP_1) | instskip(SKIP_1) | instid1(VALU_DEP_2)
	v_mul_f64 v[148:149], v[220:221], v[150:151]
	v_mul_f64 v[212:213], v[218:219], v[150:151]
	v_fma_f64 v[148:149], v[218:219], v[216:217], -v[148:149]
	s_delay_alu instid0(VALU_DEP_2)
	v_fma_f64 v[212:213], v[220:221], v[216:217], v[212:213]
	ds_load_2addr_b64 v[218:221], v214 offset0:46 offset1:47
	v_add_f64 v[144:145], v[144:145], -v[148:149]
	v_add_f64 v[146:147], v[146:147], -v[212:213]
	s_waitcnt lgkmcnt(0)
	v_mul_f64 v[148:149], v[220:221], v[150:151]
	v_mul_f64 v[212:213], v[218:219], v[150:151]
	s_delay_alu instid0(VALU_DEP_2) | instskip(NEXT) | instid1(VALU_DEP_2)
	v_fma_f64 v[148:149], v[218:219], v[216:217], -v[148:149]
	v_fma_f64 v[212:213], v[220:221], v[216:217], v[212:213]
	ds_load_2addr_b64 v[218:221], v214 offset0:48 offset1:49
	v_add_f64 v[140:141], v[140:141], -v[148:149]
	v_add_f64 v[142:143], v[142:143], -v[212:213]
	s_waitcnt lgkmcnt(0)
	v_mul_f64 v[148:149], v[220:221], v[150:151]
	v_mul_f64 v[212:213], v[218:219], v[150:151]
	s_delay_alu instid0(VALU_DEP_2) | instskip(NEXT) | instid1(VALU_DEP_2)
	v_fma_f64 v[148:149], v[218:219], v[216:217], -v[148:149]
	;; [unrolled: 9-line block ×36, first 2 shown]
	v_fma_f64 v[212:213], v[220:221], v[216:217], v[212:213]
	s_delay_alu instid0(VALU_DEP_2) | instskip(NEXT) | instid1(VALU_DEP_2)
	v_add_f64 v[0:1], v[0:1], -v[148:149]
	v_add_f64 v[2:3], v[2:3], -v[212:213]
	v_dual_mov_b32 v148, v216 :: v_dual_mov_b32 v149, v217
.LBB117_199:
	s_or_b32 exec_lo, exec_lo, s3
	s_delay_alu instid0(SALU_CYCLE_1)
	s_mov_b32 s4, exec_lo
	s_waitcnt_vscnt null, 0x0
	s_barrier
	buffer_gl0_inv
	v_cmpx_eq_u32_e32 22, v208
	s_cbranch_execz .LBB117_206
; %bb.200:
	ds_store_2addr_b64 v209, v[144:145], v[146:147] offset1:1
	ds_store_2addr_b64 v214, v[140:141], v[142:143] offset0:46 offset1:47
	ds_store_2addr_b64 v214, v[136:137], v[138:139] offset0:48 offset1:49
	;; [unrolled: 1-line block ×36, first 2 shown]
	ds_load_2addr_b64 v[216:219], v209 offset1:1
	s_waitcnt lgkmcnt(0)
	v_cmp_neq_f64_e32 vcc_lo, 0, v[216:217]
	v_cmp_neq_f64_e64 s3, 0, v[218:219]
	s_delay_alu instid0(VALU_DEP_1) | instskip(NEXT) | instid1(SALU_CYCLE_1)
	s_or_b32 s3, vcc_lo, s3
	s_and_b32 exec_lo, exec_lo, s3
	s_cbranch_execz .LBB117_206
; %bb.201:
	v_cmp_gt_f64_e32 vcc_lo, 0, v[216:217]
	v_xor_b32_e32 v212, 0x80000000, v217
	v_xor_b32_e32 v215, 0x80000000, v219
	s_delay_alu instid0(VALU_DEP_2) | instskip(SKIP_2) | instid1(VALU_DEP_4)
	v_cndmask_b32_e32 v213, v217, v212, vcc_lo
	v_cndmask_b32_e32 v212, v216, v216, vcc_lo
	v_cmp_gt_f64_e32 vcc_lo, 0, v[218:219]
	v_dual_cndmask_b32 v221, v219, v215 :: v_dual_cndmask_b32 v220, v218, v218
	s_delay_alu instid0(VALU_DEP_1) | instskip(SKIP_1) | instid1(SALU_CYCLE_1)
	v_cmp_ngt_f64_e32 vcc_lo, v[212:213], v[220:221]
                                        ; implicit-def: $vgpr212_vgpr213
	s_and_saveexec_b32 s3, vcc_lo
	s_xor_b32 s3, exec_lo, s3
                                        ; implicit-def: $vgpr220_vgpr221_vgpr222_vgpr223
	s_cbranch_execz .LBB117_203
; %bb.202:
	v_div_scale_f64 v[212:213], null, v[218:219], v[218:219], v[216:217]
	v_div_scale_f64 v[224:225], vcc_lo, v[216:217], v[218:219], v[216:217]
	s_delay_alu instid0(VALU_DEP_2) | instskip(SKIP_2) | instid1(VALU_DEP_1)
	v_rcp_f64_e32 v[220:221], v[212:213]
	s_waitcnt_depctr 0xfff
	v_fma_f64 v[222:223], -v[212:213], v[220:221], 1.0
	v_fma_f64 v[220:221], v[220:221], v[222:223], v[220:221]
	s_delay_alu instid0(VALU_DEP_1) | instskip(NEXT) | instid1(VALU_DEP_1)
	v_fma_f64 v[222:223], -v[212:213], v[220:221], 1.0
	v_fma_f64 v[220:221], v[220:221], v[222:223], v[220:221]
	s_delay_alu instid0(VALU_DEP_1) | instskip(NEXT) | instid1(VALU_DEP_1)
	v_mul_f64 v[222:223], v[224:225], v[220:221]
	v_fma_f64 v[212:213], -v[212:213], v[222:223], v[224:225]
	s_delay_alu instid0(VALU_DEP_1) | instskip(NEXT) | instid1(VALU_DEP_1)
	v_div_fmas_f64 v[212:213], v[212:213], v[220:221], v[222:223]
	v_div_fixup_f64 v[212:213], v[212:213], v[218:219], v[216:217]
	s_delay_alu instid0(VALU_DEP_1) | instskip(NEXT) | instid1(VALU_DEP_1)
	v_fma_f64 v[216:217], v[216:217], v[212:213], v[218:219]
	v_div_scale_f64 v[218:219], null, v[216:217], v[216:217], 1.0
	s_delay_alu instid0(VALU_DEP_1) | instskip(SKIP_2) | instid1(VALU_DEP_1)
	v_rcp_f64_e32 v[220:221], v[218:219]
	s_waitcnt_depctr 0xfff
	v_fma_f64 v[222:223], -v[218:219], v[220:221], 1.0
	v_fma_f64 v[220:221], v[220:221], v[222:223], v[220:221]
	s_delay_alu instid0(VALU_DEP_1) | instskip(NEXT) | instid1(VALU_DEP_1)
	v_fma_f64 v[222:223], -v[218:219], v[220:221], 1.0
	v_fma_f64 v[220:221], v[220:221], v[222:223], v[220:221]
	v_div_scale_f64 v[222:223], vcc_lo, 1.0, v[216:217], 1.0
	s_delay_alu instid0(VALU_DEP_1) | instskip(NEXT) | instid1(VALU_DEP_1)
	v_mul_f64 v[224:225], v[222:223], v[220:221]
	v_fma_f64 v[218:219], -v[218:219], v[224:225], v[222:223]
	s_delay_alu instid0(VALU_DEP_1) | instskip(NEXT) | instid1(VALU_DEP_1)
	v_div_fmas_f64 v[218:219], v[218:219], v[220:221], v[224:225]
	v_div_fixup_f64 v[222:223], v[218:219], v[216:217], 1.0
                                        ; implicit-def: $vgpr216_vgpr217
	s_delay_alu instid0(VALU_DEP_1)
	v_mul_f64 v[212:213], v[212:213], v[222:223]
	v_xor_b32_e32 v223, 0x80000000, v223
.LBB117_203:
	s_and_not1_saveexec_b32 s3, s3
	s_cbranch_execz .LBB117_205
; %bb.204:
	v_div_scale_f64 v[212:213], null, v[216:217], v[216:217], v[218:219]
	v_div_scale_f64 v[224:225], vcc_lo, v[218:219], v[216:217], v[218:219]
	s_delay_alu instid0(VALU_DEP_2) | instskip(SKIP_2) | instid1(VALU_DEP_1)
	v_rcp_f64_e32 v[220:221], v[212:213]
	s_waitcnt_depctr 0xfff
	v_fma_f64 v[222:223], -v[212:213], v[220:221], 1.0
	v_fma_f64 v[220:221], v[220:221], v[222:223], v[220:221]
	s_delay_alu instid0(VALU_DEP_1) | instskip(NEXT) | instid1(VALU_DEP_1)
	v_fma_f64 v[222:223], -v[212:213], v[220:221], 1.0
	v_fma_f64 v[220:221], v[220:221], v[222:223], v[220:221]
	s_delay_alu instid0(VALU_DEP_1) | instskip(NEXT) | instid1(VALU_DEP_1)
	v_mul_f64 v[222:223], v[224:225], v[220:221]
	v_fma_f64 v[212:213], -v[212:213], v[222:223], v[224:225]
	s_delay_alu instid0(VALU_DEP_1) | instskip(NEXT) | instid1(VALU_DEP_1)
	v_div_fmas_f64 v[212:213], v[212:213], v[220:221], v[222:223]
	v_div_fixup_f64 v[220:221], v[212:213], v[216:217], v[218:219]
	s_delay_alu instid0(VALU_DEP_1) | instskip(NEXT) | instid1(VALU_DEP_1)
	v_fma_f64 v[212:213], v[218:219], v[220:221], v[216:217]
	v_div_scale_f64 v[216:217], null, v[212:213], v[212:213], 1.0
	s_delay_alu instid0(VALU_DEP_1) | instskip(SKIP_2) | instid1(VALU_DEP_1)
	v_rcp_f64_e32 v[218:219], v[216:217]
	s_waitcnt_depctr 0xfff
	v_fma_f64 v[222:223], -v[216:217], v[218:219], 1.0
	v_fma_f64 v[218:219], v[218:219], v[222:223], v[218:219]
	s_delay_alu instid0(VALU_DEP_1) | instskip(NEXT) | instid1(VALU_DEP_1)
	v_fma_f64 v[222:223], -v[216:217], v[218:219], 1.0
	v_fma_f64 v[218:219], v[218:219], v[222:223], v[218:219]
	v_div_scale_f64 v[222:223], vcc_lo, 1.0, v[212:213], 1.0
	s_delay_alu instid0(VALU_DEP_1) | instskip(NEXT) | instid1(VALU_DEP_1)
	v_mul_f64 v[224:225], v[222:223], v[218:219]
	v_fma_f64 v[216:217], -v[216:217], v[224:225], v[222:223]
	s_delay_alu instid0(VALU_DEP_1) | instskip(NEXT) | instid1(VALU_DEP_1)
	v_div_fmas_f64 v[216:217], v[216:217], v[218:219], v[224:225]
	v_div_fixup_f64 v[212:213], v[216:217], v[212:213], 1.0
	s_delay_alu instid0(VALU_DEP_1)
	v_mul_f64 v[222:223], v[220:221], -v[212:213]
.LBB117_205:
	s_or_b32 exec_lo, exec_lo, s3
	ds_store_2addr_b64 v209, v[212:213], v[222:223] offset1:1
.LBB117_206:
	s_or_b32 exec_lo, exec_lo, s4
	s_waitcnt lgkmcnt(0)
	s_barrier
	buffer_gl0_inv
	ds_load_2addr_b64 v[204:207], v209 offset1:1
	s_mov_b32 s3, exec_lo
	s_waitcnt lgkmcnt(0)
	scratch_store_b128 off, v[204:207], off offset:940 ; 16-byte Folded Spill
	v_cmpx_lt_u32_e32 22, v208
	s_cbranch_execz .LBB117_208
; %bb.207:
	scratch_load_b128 v[204:207], off, off offset:940 ; 16-byte Folded Reload
	ds_load_2addr_b64 v[218:221], v214 offset0:46 offset1:47
	s_waitcnt vmcnt(0)
	v_mul_f64 v[212:213], v[206:207], v[146:147]
	v_mul_f64 v[146:147], v[204:205], v[146:147]
	s_delay_alu instid0(VALU_DEP_2) | instskip(NEXT) | instid1(VALU_DEP_2)
	v_fma_f64 v[216:217], v[204:205], v[144:145], -v[212:213]
	v_fma_f64 v[146:147], v[206:207], v[144:145], v[146:147]
	s_waitcnt lgkmcnt(0)
	s_delay_alu instid0(VALU_DEP_1) | instskip(SKIP_1) | instid1(VALU_DEP_2)
	v_mul_f64 v[144:145], v[220:221], v[146:147]
	v_mul_f64 v[212:213], v[218:219], v[146:147]
	v_fma_f64 v[144:145], v[218:219], v[216:217], -v[144:145]
	s_delay_alu instid0(VALU_DEP_2)
	v_fma_f64 v[212:213], v[220:221], v[216:217], v[212:213]
	ds_load_2addr_b64 v[218:221], v214 offset0:48 offset1:49
	v_add_f64 v[140:141], v[140:141], -v[144:145]
	v_add_f64 v[142:143], v[142:143], -v[212:213]
	s_waitcnt lgkmcnt(0)
	v_mul_f64 v[144:145], v[220:221], v[146:147]
	v_mul_f64 v[212:213], v[218:219], v[146:147]
	s_delay_alu instid0(VALU_DEP_2) | instskip(NEXT) | instid1(VALU_DEP_2)
	v_fma_f64 v[144:145], v[218:219], v[216:217], -v[144:145]
	v_fma_f64 v[212:213], v[220:221], v[216:217], v[212:213]
	ds_load_2addr_b64 v[218:221], v214 offset0:50 offset1:51
	v_add_f64 v[136:137], v[136:137], -v[144:145]
	v_add_f64 v[138:139], v[138:139], -v[212:213]
	s_waitcnt lgkmcnt(0)
	v_mul_f64 v[144:145], v[220:221], v[146:147]
	v_mul_f64 v[212:213], v[218:219], v[146:147]
	s_delay_alu instid0(VALU_DEP_2) | instskip(NEXT) | instid1(VALU_DEP_2)
	v_fma_f64 v[144:145], v[218:219], v[216:217], -v[144:145]
	v_fma_f64 v[212:213], v[220:221], v[216:217], v[212:213]
	ds_load_2addr_b64 v[218:221], v214 offset0:52 offset1:53
	v_add_f64 v[132:133], v[132:133], -v[144:145]
	v_add_f64 v[134:135], v[134:135], -v[212:213]
	s_waitcnt lgkmcnt(0)
	v_mul_f64 v[144:145], v[220:221], v[146:147]
	v_mul_f64 v[212:213], v[218:219], v[146:147]
	s_delay_alu instid0(VALU_DEP_2) | instskip(NEXT) | instid1(VALU_DEP_2)
	v_fma_f64 v[144:145], v[218:219], v[216:217], -v[144:145]
	v_fma_f64 v[212:213], v[220:221], v[216:217], v[212:213]
	ds_load_2addr_b64 v[218:221], v214 offset0:54 offset1:55
	v_add_f64 v[128:129], v[128:129], -v[144:145]
	v_add_f64 v[130:131], v[130:131], -v[212:213]
	s_waitcnt lgkmcnt(0)
	v_mul_f64 v[144:145], v[220:221], v[146:147]
	v_mul_f64 v[212:213], v[218:219], v[146:147]
	s_delay_alu instid0(VALU_DEP_2) | instskip(NEXT) | instid1(VALU_DEP_2)
	v_fma_f64 v[144:145], v[218:219], v[216:217], -v[144:145]
	v_fma_f64 v[212:213], v[220:221], v[216:217], v[212:213]
	ds_load_2addr_b64 v[218:221], v214 offset0:56 offset1:57
	v_add_f64 v[124:125], v[124:125], -v[144:145]
	v_add_f64 v[126:127], v[126:127], -v[212:213]
	s_waitcnt lgkmcnt(0)
	v_mul_f64 v[144:145], v[220:221], v[146:147]
	v_mul_f64 v[212:213], v[218:219], v[146:147]
	s_delay_alu instid0(VALU_DEP_2) | instskip(NEXT) | instid1(VALU_DEP_2)
	v_fma_f64 v[144:145], v[218:219], v[216:217], -v[144:145]
	v_fma_f64 v[212:213], v[220:221], v[216:217], v[212:213]
	ds_load_2addr_b64 v[218:221], v214 offset0:58 offset1:59
	v_add_f64 v[120:121], v[120:121], -v[144:145]
	v_add_f64 v[122:123], v[122:123], -v[212:213]
	s_waitcnt lgkmcnt(0)
	v_mul_f64 v[144:145], v[220:221], v[146:147]
	v_mul_f64 v[212:213], v[218:219], v[146:147]
	s_delay_alu instid0(VALU_DEP_2) | instskip(NEXT) | instid1(VALU_DEP_2)
	v_fma_f64 v[144:145], v[218:219], v[216:217], -v[144:145]
	v_fma_f64 v[212:213], v[220:221], v[216:217], v[212:213]
	ds_load_2addr_b64 v[218:221], v214 offset0:60 offset1:61
	v_add_f64 v[116:117], v[116:117], -v[144:145]
	v_add_f64 v[118:119], v[118:119], -v[212:213]
	s_waitcnt lgkmcnt(0)
	v_mul_f64 v[144:145], v[220:221], v[146:147]
	v_mul_f64 v[212:213], v[218:219], v[146:147]
	s_delay_alu instid0(VALU_DEP_2) | instskip(NEXT) | instid1(VALU_DEP_2)
	v_fma_f64 v[144:145], v[218:219], v[216:217], -v[144:145]
	v_fma_f64 v[212:213], v[220:221], v[216:217], v[212:213]
	ds_load_2addr_b64 v[218:221], v214 offset0:62 offset1:63
	v_add_f64 v[112:113], v[112:113], -v[144:145]
	v_add_f64 v[114:115], v[114:115], -v[212:213]
	s_waitcnt lgkmcnt(0)
	v_mul_f64 v[144:145], v[220:221], v[146:147]
	v_mul_f64 v[212:213], v[218:219], v[146:147]
	s_delay_alu instid0(VALU_DEP_2) | instskip(NEXT) | instid1(VALU_DEP_2)
	v_fma_f64 v[144:145], v[218:219], v[216:217], -v[144:145]
	v_fma_f64 v[212:213], v[220:221], v[216:217], v[212:213]
	ds_load_2addr_b64 v[218:221], v214 offset0:64 offset1:65
	v_add_f64 v[108:109], v[108:109], -v[144:145]
	v_add_f64 v[110:111], v[110:111], -v[212:213]
	s_waitcnt lgkmcnt(0)
	v_mul_f64 v[144:145], v[220:221], v[146:147]
	v_mul_f64 v[212:213], v[218:219], v[146:147]
	s_delay_alu instid0(VALU_DEP_2) | instskip(NEXT) | instid1(VALU_DEP_2)
	v_fma_f64 v[144:145], v[218:219], v[216:217], -v[144:145]
	v_fma_f64 v[212:213], v[220:221], v[216:217], v[212:213]
	ds_load_2addr_b64 v[218:221], v214 offset0:66 offset1:67
	v_add_f64 v[104:105], v[104:105], -v[144:145]
	v_add_f64 v[106:107], v[106:107], -v[212:213]
	s_waitcnt lgkmcnt(0)
	v_mul_f64 v[144:145], v[220:221], v[146:147]
	v_mul_f64 v[212:213], v[218:219], v[146:147]
	s_delay_alu instid0(VALU_DEP_2) | instskip(NEXT) | instid1(VALU_DEP_2)
	v_fma_f64 v[144:145], v[218:219], v[216:217], -v[144:145]
	v_fma_f64 v[212:213], v[220:221], v[216:217], v[212:213]
	ds_load_2addr_b64 v[218:221], v214 offset0:68 offset1:69
	v_add_f64 v[100:101], v[100:101], -v[144:145]
	v_add_f64 v[102:103], v[102:103], -v[212:213]
	s_waitcnt lgkmcnt(0)
	v_mul_f64 v[144:145], v[220:221], v[146:147]
	v_mul_f64 v[212:213], v[218:219], v[146:147]
	s_delay_alu instid0(VALU_DEP_2) | instskip(NEXT) | instid1(VALU_DEP_2)
	v_fma_f64 v[144:145], v[218:219], v[216:217], -v[144:145]
	v_fma_f64 v[212:213], v[220:221], v[216:217], v[212:213]
	ds_load_2addr_b64 v[218:221], v214 offset0:70 offset1:71
	v_add_f64 v[96:97], v[96:97], -v[144:145]
	v_add_f64 v[98:99], v[98:99], -v[212:213]
	s_waitcnt lgkmcnt(0)
	v_mul_f64 v[144:145], v[220:221], v[146:147]
	v_mul_f64 v[212:213], v[218:219], v[146:147]
	s_delay_alu instid0(VALU_DEP_2) | instskip(NEXT) | instid1(VALU_DEP_2)
	v_fma_f64 v[144:145], v[218:219], v[216:217], -v[144:145]
	v_fma_f64 v[212:213], v[220:221], v[216:217], v[212:213]
	ds_load_2addr_b64 v[218:221], v214 offset0:72 offset1:73
	v_add_f64 v[92:93], v[92:93], -v[144:145]
	v_add_f64 v[94:95], v[94:95], -v[212:213]
	s_waitcnt lgkmcnt(0)
	v_mul_f64 v[144:145], v[220:221], v[146:147]
	v_mul_f64 v[212:213], v[218:219], v[146:147]
	s_delay_alu instid0(VALU_DEP_2) | instskip(NEXT) | instid1(VALU_DEP_2)
	v_fma_f64 v[144:145], v[218:219], v[216:217], -v[144:145]
	v_fma_f64 v[212:213], v[220:221], v[216:217], v[212:213]
	ds_load_2addr_b64 v[218:221], v214 offset0:74 offset1:75
	v_add_f64 v[88:89], v[88:89], -v[144:145]
	v_add_f64 v[90:91], v[90:91], -v[212:213]
	s_waitcnt lgkmcnt(0)
	v_mul_f64 v[144:145], v[220:221], v[146:147]
	v_mul_f64 v[212:213], v[218:219], v[146:147]
	s_delay_alu instid0(VALU_DEP_2) | instskip(NEXT) | instid1(VALU_DEP_2)
	v_fma_f64 v[144:145], v[218:219], v[216:217], -v[144:145]
	v_fma_f64 v[212:213], v[220:221], v[216:217], v[212:213]
	ds_load_2addr_b64 v[218:221], v214 offset0:76 offset1:77
	v_add_f64 v[84:85], v[84:85], -v[144:145]
	v_add_f64 v[86:87], v[86:87], -v[212:213]
	s_waitcnt lgkmcnt(0)
	v_mul_f64 v[144:145], v[220:221], v[146:147]
	v_mul_f64 v[212:213], v[218:219], v[146:147]
	s_delay_alu instid0(VALU_DEP_2) | instskip(NEXT) | instid1(VALU_DEP_2)
	v_fma_f64 v[144:145], v[218:219], v[216:217], -v[144:145]
	v_fma_f64 v[212:213], v[220:221], v[216:217], v[212:213]
	ds_load_2addr_b64 v[218:221], v214 offset0:78 offset1:79
	v_add_f64 v[80:81], v[80:81], -v[144:145]
	v_add_f64 v[82:83], v[82:83], -v[212:213]
	s_waitcnt lgkmcnt(0)
	v_mul_f64 v[144:145], v[220:221], v[146:147]
	v_mul_f64 v[212:213], v[218:219], v[146:147]
	s_delay_alu instid0(VALU_DEP_2) | instskip(NEXT) | instid1(VALU_DEP_2)
	v_fma_f64 v[144:145], v[218:219], v[216:217], -v[144:145]
	v_fma_f64 v[212:213], v[220:221], v[216:217], v[212:213]
	ds_load_2addr_b64 v[218:221], v214 offset0:80 offset1:81
	v_add_f64 v[76:77], v[76:77], -v[144:145]
	v_add_f64 v[78:79], v[78:79], -v[212:213]
	s_waitcnt lgkmcnt(0)
	v_mul_f64 v[144:145], v[220:221], v[146:147]
	v_mul_f64 v[212:213], v[218:219], v[146:147]
	s_delay_alu instid0(VALU_DEP_2) | instskip(NEXT) | instid1(VALU_DEP_2)
	v_fma_f64 v[144:145], v[218:219], v[216:217], -v[144:145]
	v_fma_f64 v[212:213], v[220:221], v[216:217], v[212:213]
	ds_load_2addr_b64 v[218:221], v214 offset0:82 offset1:83
	v_add_f64 v[72:73], v[72:73], -v[144:145]
	v_add_f64 v[74:75], v[74:75], -v[212:213]
	s_waitcnt lgkmcnt(0)
	v_mul_f64 v[144:145], v[220:221], v[146:147]
	v_mul_f64 v[212:213], v[218:219], v[146:147]
	s_delay_alu instid0(VALU_DEP_2) | instskip(NEXT) | instid1(VALU_DEP_2)
	v_fma_f64 v[144:145], v[218:219], v[216:217], -v[144:145]
	v_fma_f64 v[212:213], v[220:221], v[216:217], v[212:213]
	ds_load_2addr_b64 v[218:221], v214 offset0:84 offset1:85
	v_add_f64 v[68:69], v[68:69], -v[144:145]
	v_add_f64 v[70:71], v[70:71], -v[212:213]
	s_waitcnt lgkmcnt(0)
	v_mul_f64 v[144:145], v[220:221], v[146:147]
	v_mul_f64 v[212:213], v[218:219], v[146:147]
	s_delay_alu instid0(VALU_DEP_2) | instskip(NEXT) | instid1(VALU_DEP_2)
	v_fma_f64 v[144:145], v[218:219], v[216:217], -v[144:145]
	v_fma_f64 v[212:213], v[220:221], v[216:217], v[212:213]
	ds_load_2addr_b64 v[218:221], v214 offset0:86 offset1:87
	v_add_f64 v[64:65], v[64:65], -v[144:145]
	v_add_f64 v[66:67], v[66:67], -v[212:213]
	s_waitcnt lgkmcnt(0)
	v_mul_f64 v[144:145], v[220:221], v[146:147]
	v_mul_f64 v[212:213], v[218:219], v[146:147]
	s_delay_alu instid0(VALU_DEP_2) | instskip(NEXT) | instid1(VALU_DEP_2)
	v_fma_f64 v[144:145], v[218:219], v[216:217], -v[144:145]
	v_fma_f64 v[212:213], v[220:221], v[216:217], v[212:213]
	ds_load_2addr_b64 v[218:221], v214 offset0:88 offset1:89
	v_add_f64 v[60:61], v[60:61], -v[144:145]
	v_add_f64 v[62:63], v[62:63], -v[212:213]
	s_waitcnt lgkmcnt(0)
	v_mul_f64 v[144:145], v[220:221], v[146:147]
	v_mul_f64 v[212:213], v[218:219], v[146:147]
	s_delay_alu instid0(VALU_DEP_2) | instskip(NEXT) | instid1(VALU_DEP_2)
	v_fma_f64 v[144:145], v[218:219], v[216:217], -v[144:145]
	v_fma_f64 v[212:213], v[220:221], v[216:217], v[212:213]
	ds_load_2addr_b64 v[218:221], v214 offset0:90 offset1:91
	v_add_f64 v[56:57], v[56:57], -v[144:145]
	v_add_f64 v[58:59], v[58:59], -v[212:213]
	s_waitcnt lgkmcnt(0)
	v_mul_f64 v[144:145], v[220:221], v[146:147]
	v_mul_f64 v[212:213], v[218:219], v[146:147]
	s_delay_alu instid0(VALU_DEP_2) | instskip(NEXT) | instid1(VALU_DEP_2)
	v_fma_f64 v[144:145], v[218:219], v[216:217], -v[144:145]
	v_fma_f64 v[212:213], v[220:221], v[216:217], v[212:213]
	ds_load_2addr_b64 v[218:221], v214 offset0:92 offset1:93
	v_add_f64 v[52:53], v[52:53], -v[144:145]
	v_add_f64 v[54:55], v[54:55], -v[212:213]
	s_waitcnt lgkmcnt(0)
	v_mul_f64 v[144:145], v[220:221], v[146:147]
	v_mul_f64 v[212:213], v[218:219], v[146:147]
	s_delay_alu instid0(VALU_DEP_2) | instskip(NEXT) | instid1(VALU_DEP_2)
	v_fma_f64 v[144:145], v[218:219], v[216:217], -v[144:145]
	v_fma_f64 v[212:213], v[220:221], v[216:217], v[212:213]
	ds_load_2addr_b64 v[218:221], v214 offset0:94 offset1:95
	v_add_f64 v[48:49], v[48:49], -v[144:145]
	v_add_f64 v[50:51], v[50:51], -v[212:213]
	s_waitcnt lgkmcnt(0)
	v_mul_f64 v[144:145], v[220:221], v[146:147]
	v_mul_f64 v[212:213], v[218:219], v[146:147]
	s_delay_alu instid0(VALU_DEP_2) | instskip(NEXT) | instid1(VALU_DEP_2)
	v_fma_f64 v[144:145], v[218:219], v[216:217], -v[144:145]
	v_fma_f64 v[212:213], v[220:221], v[216:217], v[212:213]
	ds_load_2addr_b64 v[218:221], v214 offset0:96 offset1:97
	v_add_f64 v[44:45], v[44:45], -v[144:145]
	v_add_f64 v[46:47], v[46:47], -v[212:213]
	s_waitcnt lgkmcnt(0)
	v_mul_f64 v[144:145], v[220:221], v[146:147]
	v_mul_f64 v[212:213], v[218:219], v[146:147]
	s_delay_alu instid0(VALU_DEP_2) | instskip(NEXT) | instid1(VALU_DEP_2)
	v_fma_f64 v[144:145], v[218:219], v[216:217], -v[144:145]
	v_fma_f64 v[212:213], v[220:221], v[216:217], v[212:213]
	ds_load_2addr_b64 v[218:221], v214 offset0:98 offset1:99
	v_add_f64 v[40:41], v[40:41], -v[144:145]
	v_add_f64 v[42:43], v[42:43], -v[212:213]
	s_waitcnt lgkmcnt(0)
	v_mul_f64 v[144:145], v[220:221], v[146:147]
	v_mul_f64 v[212:213], v[218:219], v[146:147]
	s_delay_alu instid0(VALU_DEP_2) | instskip(NEXT) | instid1(VALU_DEP_2)
	v_fma_f64 v[144:145], v[218:219], v[216:217], -v[144:145]
	v_fma_f64 v[212:213], v[220:221], v[216:217], v[212:213]
	ds_load_2addr_b64 v[218:221], v214 offset0:100 offset1:101
	v_add_f64 v[36:37], v[36:37], -v[144:145]
	v_add_f64 v[38:39], v[38:39], -v[212:213]
	s_waitcnt lgkmcnt(0)
	v_mul_f64 v[144:145], v[220:221], v[146:147]
	v_mul_f64 v[212:213], v[218:219], v[146:147]
	s_delay_alu instid0(VALU_DEP_2) | instskip(NEXT) | instid1(VALU_DEP_2)
	v_fma_f64 v[144:145], v[218:219], v[216:217], -v[144:145]
	v_fma_f64 v[212:213], v[220:221], v[216:217], v[212:213]
	ds_load_2addr_b64 v[218:221], v214 offset0:102 offset1:103
	v_add_f64 v[32:33], v[32:33], -v[144:145]
	v_add_f64 v[34:35], v[34:35], -v[212:213]
	s_waitcnt lgkmcnt(0)
	v_mul_f64 v[144:145], v[220:221], v[146:147]
	v_mul_f64 v[212:213], v[218:219], v[146:147]
	s_delay_alu instid0(VALU_DEP_2) | instskip(NEXT) | instid1(VALU_DEP_2)
	v_fma_f64 v[144:145], v[218:219], v[216:217], -v[144:145]
	v_fma_f64 v[212:213], v[220:221], v[216:217], v[212:213]
	ds_load_2addr_b64 v[218:221], v214 offset0:104 offset1:105
	v_add_f64 v[28:29], v[28:29], -v[144:145]
	v_add_f64 v[30:31], v[30:31], -v[212:213]
	s_waitcnt lgkmcnt(0)
	v_mul_f64 v[144:145], v[220:221], v[146:147]
	v_mul_f64 v[212:213], v[218:219], v[146:147]
	s_delay_alu instid0(VALU_DEP_2) | instskip(NEXT) | instid1(VALU_DEP_2)
	v_fma_f64 v[144:145], v[218:219], v[216:217], -v[144:145]
	v_fma_f64 v[212:213], v[220:221], v[216:217], v[212:213]
	ds_load_2addr_b64 v[218:221], v214 offset0:106 offset1:107
	v_add_f64 v[24:25], v[24:25], -v[144:145]
	v_add_f64 v[26:27], v[26:27], -v[212:213]
	s_waitcnt lgkmcnt(0)
	v_mul_f64 v[144:145], v[220:221], v[146:147]
	v_mul_f64 v[212:213], v[218:219], v[146:147]
	s_delay_alu instid0(VALU_DEP_2) | instskip(NEXT) | instid1(VALU_DEP_2)
	v_fma_f64 v[144:145], v[218:219], v[216:217], -v[144:145]
	v_fma_f64 v[212:213], v[220:221], v[216:217], v[212:213]
	ds_load_2addr_b64 v[218:221], v214 offset0:108 offset1:109
	v_add_f64 v[20:21], v[20:21], -v[144:145]
	v_add_f64 v[22:23], v[22:23], -v[212:213]
	s_waitcnt lgkmcnt(0)
	v_mul_f64 v[144:145], v[220:221], v[146:147]
	v_mul_f64 v[212:213], v[218:219], v[146:147]
	s_delay_alu instid0(VALU_DEP_2) | instskip(NEXT) | instid1(VALU_DEP_2)
	v_fma_f64 v[144:145], v[218:219], v[216:217], -v[144:145]
	v_fma_f64 v[212:213], v[220:221], v[216:217], v[212:213]
	ds_load_2addr_b64 v[218:221], v214 offset0:110 offset1:111
	v_add_f64 v[16:17], v[16:17], -v[144:145]
	v_add_f64 v[18:19], v[18:19], -v[212:213]
	s_waitcnt lgkmcnt(0)
	v_mul_f64 v[144:145], v[220:221], v[146:147]
	v_mul_f64 v[212:213], v[218:219], v[146:147]
	s_delay_alu instid0(VALU_DEP_2) | instskip(NEXT) | instid1(VALU_DEP_2)
	v_fma_f64 v[144:145], v[218:219], v[216:217], -v[144:145]
	v_fma_f64 v[212:213], v[220:221], v[216:217], v[212:213]
	ds_load_2addr_b64 v[218:221], v214 offset0:112 offset1:113
	v_add_f64 v[12:13], v[12:13], -v[144:145]
	v_add_f64 v[14:15], v[14:15], -v[212:213]
	s_waitcnt lgkmcnt(0)
	v_mul_f64 v[144:145], v[220:221], v[146:147]
	v_mul_f64 v[212:213], v[218:219], v[146:147]
	s_delay_alu instid0(VALU_DEP_2) | instskip(NEXT) | instid1(VALU_DEP_2)
	v_fma_f64 v[144:145], v[218:219], v[216:217], -v[144:145]
	v_fma_f64 v[212:213], v[220:221], v[216:217], v[212:213]
	ds_load_2addr_b64 v[218:221], v214 offset0:114 offset1:115
	v_add_f64 v[8:9], v[8:9], -v[144:145]
	v_add_f64 v[10:11], v[10:11], -v[212:213]
	s_waitcnt lgkmcnt(0)
	v_mul_f64 v[144:145], v[220:221], v[146:147]
	v_mul_f64 v[212:213], v[218:219], v[146:147]
	s_delay_alu instid0(VALU_DEP_2) | instskip(NEXT) | instid1(VALU_DEP_2)
	v_fma_f64 v[144:145], v[218:219], v[216:217], -v[144:145]
	v_fma_f64 v[212:213], v[220:221], v[216:217], v[212:213]
	ds_load_2addr_b64 v[218:221], v214 offset0:116 offset1:117
	v_add_f64 v[4:5], v[4:5], -v[144:145]
	v_add_f64 v[6:7], v[6:7], -v[212:213]
	s_waitcnt lgkmcnt(0)
	v_mul_f64 v[144:145], v[220:221], v[146:147]
	v_mul_f64 v[212:213], v[218:219], v[146:147]
	s_delay_alu instid0(VALU_DEP_2) | instskip(NEXT) | instid1(VALU_DEP_2)
	v_fma_f64 v[144:145], v[218:219], v[216:217], -v[144:145]
	v_fma_f64 v[212:213], v[220:221], v[216:217], v[212:213]
	s_delay_alu instid0(VALU_DEP_2) | instskip(NEXT) | instid1(VALU_DEP_2)
	v_add_f64 v[0:1], v[0:1], -v[144:145]
	v_add_f64 v[2:3], v[2:3], -v[212:213]
	v_dual_mov_b32 v144, v216 :: v_dual_mov_b32 v145, v217
.LBB117_208:
	s_or_b32 exec_lo, exec_lo, s3
	s_delay_alu instid0(SALU_CYCLE_1)
	s_mov_b32 s4, exec_lo
	s_waitcnt_vscnt null, 0x0
	s_barrier
	buffer_gl0_inv
	v_cmpx_eq_u32_e32 23, v208
	s_cbranch_execz .LBB117_215
; %bb.209:
	ds_store_2addr_b64 v209, v[140:141], v[142:143] offset1:1
	ds_store_2addr_b64 v214, v[136:137], v[138:139] offset0:48 offset1:49
	ds_store_2addr_b64 v214, v[132:133], v[134:135] offset0:50 offset1:51
	;; [unrolled: 1-line block ×35, first 2 shown]
	ds_load_2addr_b64 v[216:219], v209 offset1:1
	s_waitcnt lgkmcnt(0)
	v_cmp_neq_f64_e32 vcc_lo, 0, v[216:217]
	v_cmp_neq_f64_e64 s3, 0, v[218:219]
	s_delay_alu instid0(VALU_DEP_1) | instskip(NEXT) | instid1(SALU_CYCLE_1)
	s_or_b32 s3, vcc_lo, s3
	s_and_b32 exec_lo, exec_lo, s3
	s_cbranch_execz .LBB117_215
; %bb.210:
	v_cmp_gt_f64_e32 vcc_lo, 0, v[216:217]
	v_xor_b32_e32 v212, 0x80000000, v217
	v_xor_b32_e32 v215, 0x80000000, v219
	s_delay_alu instid0(VALU_DEP_2) | instskip(SKIP_2) | instid1(VALU_DEP_4)
	v_cndmask_b32_e32 v213, v217, v212, vcc_lo
	v_cndmask_b32_e32 v212, v216, v216, vcc_lo
	v_cmp_gt_f64_e32 vcc_lo, 0, v[218:219]
	v_dual_cndmask_b32 v221, v219, v215 :: v_dual_cndmask_b32 v220, v218, v218
	s_delay_alu instid0(VALU_DEP_1) | instskip(SKIP_1) | instid1(SALU_CYCLE_1)
	v_cmp_ngt_f64_e32 vcc_lo, v[212:213], v[220:221]
                                        ; implicit-def: $vgpr212_vgpr213
	s_and_saveexec_b32 s3, vcc_lo
	s_xor_b32 s3, exec_lo, s3
                                        ; implicit-def: $vgpr220_vgpr221_vgpr222_vgpr223
	s_cbranch_execz .LBB117_212
; %bb.211:
	v_div_scale_f64 v[212:213], null, v[218:219], v[218:219], v[216:217]
	v_div_scale_f64 v[224:225], vcc_lo, v[216:217], v[218:219], v[216:217]
	s_delay_alu instid0(VALU_DEP_2) | instskip(SKIP_2) | instid1(VALU_DEP_1)
	v_rcp_f64_e32 v[220:221], v[212:213]
	s_waitcnt_depctr 0xfff
	v_fma_f64 v[222:223], -v[212:213], v[220:221], 1.0
	v_fma_f64 v[220:221], v[220:221], v[222:223], v[220:221]
	s_delay_alu instid0(VALU_DEP_1) | instskip(NEXT) | instid1(VALU_DEP_1)
	v_fma_f64 v[222:223], -v[212:213], v[220:221], 1.0
	v_fma_f64 v[220:221], v[220:221], v[222:223], v[220:221]
	s_delay_alu instid0(VALU_DEP_1) | instskip(NEXT) | instid1(VALU_DEP_1)
	v_mul_f64 v[222:223], v[224:225], v[220:221]
	v_fma_f64 v[212:213], -v[212:213], v[222:223], v[224:225]
	s_delay_alu instid0(VALU_DEP_1) | instskip(NEXT) | instid1(VALU_DEP_1)
	v_div_fmas_f64 v[212:213], v[212:213], v[220:221], v[222:223]
	v_div_fixup_f64 v[212:213], v[212:213], v[218:219], v[216:217]
	s_delay_alu instid0(VALU_DEP_1) | instskip(NEXT) | instid1(VALU_DEP_1)
	v_fma_f64 v[216:217], v[216:217], v[212:213], v[218:219]
	v_div_scale_f64 v[218:219], null, v[216:217], v[216:217], 1.0
	s_delay_alu instid0(VALU_DEP_1) | instskip(SKIP_2) | instid1(VALU_DEP_1)
	v_rcp_f64_e32 v[220:221], v[218:219]
	s_waitcnt_depctr 0xfff
	v_fma_f64 v[222:223], -v[218:219], v[220:221], 1.0
	v_fma_f64 v[220:221], v[220:221], v[222:223], v[220:221]
	s_delay_alu instid0(VALU_DEP_1) | instskip(NEXT) | instid1(VALU_DEP_1)
	v_fma_f64 v[222:223], -v[218:219], v[220:221], 1.0
	v_fma_f64 v[220:221], v[220:221], v[222:223], v[220:221]
	v_div_scale_f64 v[222:223], vcc_lo, 1.0, v[216:217], 1.0
	s_delay_alu instid0(VALU_DEP_1) | instskip(NEXT) | instid1(VALU_DEP_1)
	v_mul_f64 v[224:225], v[222:223], v[220:221]
	v_fma_f64 v[218:219], -v[218:219], v[224:225], v[222:223]
	s_delay_alu instid0(VALU_DEP_1) | instskip(NEXT) | instid1(VALU_DEP_1)
	v_div_fmas_f64 v[218:219], v[218:219], v[220:221], v[224:225]
	v_div_fixup_f64 v[222:223], v[218:219], v[216:217], 1.0
                                        ; implicit-def: $vgpr216_vgpr217
	s_delay_alu instid0(VALU_DEP_1)
	v_mul_f64 v[212:213], v[212:213], v[222:223]
	v_xor_b32_e32 v223, 0x80000000, v223
.LBB117_212:
	s_and_not1_saveexec_b32 s3, s3
	s_cbranch_execz .LBB117_214
; %bb.213:
	v_div_scale_f64 v[212:213], null, v[216:217], v[216:217], v[218:219]
	v_div_scale_f64 v[224:225], vcc_lo, v[218:219], v[216:217], v[218:219]
	s_delay_alu instid0(VALU_DEP_2) | instskip(SKIP_2) | instid1(VALU_DEP_1)
	v_rcp_f64_e32 v[220:221], v[212:213]
	s_waitcnt_depctr 0xfff
	v_fma_f64 v[222:223], -v[212:213], v[220:221], 1.0
	v_fma_f64 v[220:221], v[220:221], v[222:223], v[220:221]
	s_delay_alu instid0(VALU_DEP_1) | instskip(NEXT) | instid1(VALU_DEP_1)
	v_fma_f64 v[222:223], -v[212:213], v[220:221], 1.0
	v_fma_f64 v[220:221], v[220:221], v[222:223], v[220:221]
	s_delay_alu instid0(VALU_DEP_1) | instskip(NEXT) | instid1(VALU_DEP_1)
	v_mul_f64 v[222:223], v[224:225], v[220:221]
	v_fma_f64 v[212:213], -v[212:213], v[222:223], v[224:225]
	s_delay_alu instid0(VALU_DEP_1) | instskip(NEXT) | instid1(VALU_DEP_1)
	v_div_fmas_f64 v[212:213], v[212:213], v[220:221], v[222:223]
	v_div_fixup_f64 v[220:221], v[212:213], v[216:217], v[218:219]
	s_delay_alu instid0(VALU_DEP_1) | instskip(NEXT) | instid1(VALU_DEP_1)
	v_fma_f64 v[212:213], v[218:219], v[220:221], v[216:217]
	v_div_scale_f64 v[216:217], null, v[212:213], v[212:213], 1.0
	s_delay_alu instid0(VALU_DEP_1) | instskip(SKIP_2) | instid1(VALU_DEP_1)
	v_rcp_f64_e32 v[218:219], v[216:217]
	s_waitcnt_depctr 0xfff
	v_fma_f64 v[222:223], -v[216:217], v[218:219], 1.0
	v_fma_f64 v[218:219], v[218:219], v[222:223], v[218:219]
	s_delay_alu instid0(VALU_DEP_1) | instskip(NEXT) | instid1(VALU_DEP_1)
	v_fma_f64 v[222:223], -v[216:217], v[218:219], 1.0
	v_fma_f64 v[218:219], v[218:219], v[222:223], v[218:219]
	v_div_scale_f64 v[222:223], vcc_lo, 1.0, v[212:213], 1.0
	s_delay_alu instid0(VALU_DEP_1) | instskip(NEXT) | instid1(VALU_DEP_1)
	v_mul_f64 v[224:225], v[222:223], v[218:219]
	v_fma_f64 v[216:217], -v[216:217], v[224:225], v[222:223]
	s_delay_alu instid0(VALU_DEP_1) | instskip(NEXT) | instid1(VALU_DEP_1)
	v_div_fmas_f64 v[216:217], v[216:217], v[218:219], v[224:225]
	v_div_fixup_f64 v[212:213], v[216:217], v[212:213], 1.0
	s_delay_alu instid0(VALU_DEP_1)
	v_mul_f64 v[222:223], v[220:221], -v[212:213]
.LBB117_214:
	s_or_b32 exec_lo, exec_lo, s3
	ds_store_2addr_b64 v209, v[212:213], v[222:223] offset1:1
.LBB117_215:
	s_or_b32 exec_lo, exec_lo, s4
	s_waitcnt lgkmcnt(0)
	s_barrier
	buffer_gl0_inv
	ds_load_2addr_b64 v[204:207], v209 offset1:1
	s_mov_b32 s3, exec_lo
	s_waitcnt lgkmcnt(0)
	scratch_store_b128 off, v[204:207], off offset:956 ; 16-byte Folded Spill
	v_cmpx_lt_u32_e32 23, v208
	s_cbranch_execz .LBB117_217
; %bb.216:
	scratch_load_b128 v[204:207], off, off offset:956 ; 16-byte Folded Reload
	ds_load_2addr_b64 v[218:221], v214 offset0:48 offset1:49
	s_waitcnt vmcnt(0)
	v_mul_f64 v[212:213], v[206:207], v[142:143]
	v_mul_f64 v[142:143], v[204:205], v[142:143]
	s_delay_alu instid0(VALU_DEP_2) | instskip(NEXT) | instid1(VALU_DEP_2)
	v_fma_f64 v[216:217], v[204:205], v[140:141], -v[212:213]
	v_fma_f64 v[142:143], v[206:207], v[140:141], v[142:143]
	s_waitcnt lgkmcnt(0)
	s_delay_alu instid0(VALU_DEP_1) | instskip(SKIP_1) | instid1(VALU_DEP_2)
	v_mul_f64 v[140:141], v[220:221], v[142:143]
	v_mul_f64 v[212:213], v[218:219], v[142:143]
	v_fma_f64 v[140:141], v[218:219], v[216:217], -v[140:141]
	s_delay_alu instid0(VALU_DEP_2)
	v_fma_f64 v[212:213], v[220:221], v[216:217], v[212:213]
	ds_load_2addr_b64 v[218:221], v214 offset0:50 offset1:51
	v_add_f64 v[136:137], v[136:137], -v[140:141]
	v_add_f64 v[138:139], v[138:139], -v[212:213]
	s_waitcnt lgkmcnt(0)
	v_mul_f64 v[140:141], v[220:221], v[142:143]
	v_mul_f64 v[212:213], v[218:219], v[142:143]
	s_delay_alu instid0(VALU_DEP_2) | instskip(NEXT) | instid1(VALU_DEP_2)
	v_fma_f64 v[140:141], v[218:219], v[216:217], -v[140:141]
	v_fma_f64 v[212:213], v[220:221], v[216:217], v[212:213]
	ds_load_2addr_b64 v[218:221], v214 offset0:52 offset1:53
	v_add_f64 v[132:133], v[132:133], -v[140:141]
	v_add_f64 v[134:135], v[134:135], -v[212:213]
	s_waitcnt lgkmcnt(0)
	v_mul_f64 v[140:141], v[220:221], v[142:143]
	v_mul_f64 v[212:213], v[218:219], v[142:143]
	s_delay_alu instid0(VALU_DEP_2) | instskip(NEXT) | instid1(VALU_DEP_2)
	v_fma_f64 v[140:141], v[218:219], v[216:217], -v[140:141]
	;; [unrolled: 9-line block ×34, first 2 shown]
	v_fma_f64 v[212:213], v[220:221], v[216:217], v[212:213]
	s_delay_alu instid0(VALU_DEP_2) | instskip(NEXT) | instid1(VALU_DEP_2)
	v_add_f64 v[0:1], v[0:1], -v[140:141]
	v_add_f64 v[2:3], v[2:3], -v[212:213]
	v_dual_mov_b32 v140, v216 :: v_dual_mov_b32 v141, v217
.LBB117_217:
	s_or_b32 exec_lo, exec_lo, s3
	s_delay_alu instid0(SALU_CYCLE_1)
	s_mov_b32 s4, exec_lo
	s_waitcnt_vscnt null, 0x0
	s_barrier
	buffer_gl0_inv
	v_cmpx_eq_u32_e32 24, v208
	s_cbranch_execz .LBB117_224
; %bb.218:
	ds_store_2addr_b64 v209, v[136:137], v[138:139] offset1:1
	ds_store_2addr_b64 v214, v[132:133], v[134:135] offset0:50 offset1:51
	ds_store_2addr_b64 v214, v[128:129], v[130:131] offset0:52 offset1:53
	;; [unrolled: 1-line block ×34, first 2 shown]
	ds_load_2addr_b64 v[216:219], v209 offset1:1
	s_waitcnt lgkmcnt(0)
	v_cmp_neq_f64_e32 vcc_lo, 0, v[216:217]
	v_cmp_neq_f64_e64 s3, 0, v[218:219]
	s_delay_alu instid0(VALU_DEP_1) | instskip(NEXT) | instid1(SALU_CYCLE_1)
	s_or_b32 s3, vcc_lo, s3
	s_and_b32 exec_lo, exec_lo, s3
	s_cbranch_execz .LBB117_224
; %bb.219:
	v_cmp_gt_f64_e32 vcc_lo, 0, v[216:217]
	v_xor_b32_e32 v212, 0x80000000, v217
	v_xor_b32_e32 v215, 0x80000000, v219
	s_delay_alu instid0(VALU_DEP_2) | instskip(SKIP_2) | instid1(VALU_DEP_4)
	v_cndmask_b32_e32 v213, v217, v212, vcc_lo
	v_cndmask_b32_e32 v212, v216, v216, vcc_lo
	v_cmp_gt_f64_e32 vcc_lo, 0, v[218:219]
	v_dual_cndmask_b32 v221, v219, v215 :: v_dual_cndmask_b32 v220, v218, v218
	s_delay_alu instid0(VALU_DEP_1) | instskip(SKIP_1) | instid1(SALU_CYCLE_1)
	v_cmp_ngt_f64_e32 vcc_lo, v[212:213], v[220:221]
                                        ; implicit-def: $vgpr212_vgpr213
	s_and_saveexec_b32 s3, vcc_lo
	s_xor_b32 s3, exec_lo, s3
                                        ; implicit-def: $vgpr220_vgpr221_vgpr222_vgpr223
	s_cbranch_execz .LBB117_221
; %bb.220:
	v_div_scale_f64 v[212:213], null, v[218:219], v[218:219], v[216:217]
	v_div_scale_f64 v[224:225], vcc_lo, v[216:217], v[218:219], v[216:217]
	s_delay_alu instid0(VALU_DEP_2) | instskip(SKIP_2) | instid1(VALU_DEP_1)
	v_rcp_f64_e32 v[220:221], v[212:213]
	s_waitcnt_depctr 0xfff
	v_fma_f64 v[222:223], -v[212:213], v[220:221], 1.0
	v_fma_f64 v[220:221], v[220:221], v[222:223], v[220:221]
	s_delay_alu instid0(VALU_DEP_1) | instskip(NEXT) | instid1(VALU_DEP_1)
	v_fma_f64 v[222:223], -v[212:213], v[220:221], 1.0
	v_fma_f64 v[220:221], v[220:221], v[222:223], v[220:221]
	s_delay_alu instid0(VALU_DEP_1) | instskip(NEXT) | instid1(VALU_DEP_1)
	v_mul_f64 v[222:223], v[224:225], v[220:221]
	v_fma_f64 v[212:213], -v[212:213], v[222:223], v[224:225]
	s_delay_alu instid0(VALU_DEP_1) | instskip(NEXT) | instid1(VALU_DEP_1)
	v_div_fmas_f64 v[212:213], v[212:213], v[220:221], v[222:223]
	v_div_fixup_f64 v[212:213], v[212:213], v[218:219], v[216:217]
	s_delay_alu instid0(VALU_DEP_1) | instskip(NEXT) | instid1(VALU_DEP_1)
	v_fma_f64 v[216:217], v[216:217], v[212:213], v[218:219]
	v_div_scale_f64 v[218:219], null, v[216:217], v[216:217], 1.0
	s_delay_alu instid0(VALU_DEP_1) | instskip(SKIP_2) | instid1(VALU_DEP_1)
	v_rcp_f64_e32 v[220:221], v[218:219]
	s_waitcnt_depctr 0xfff
	v_fma_f64 v[222:223], -v[218:219], v[220:221], 1.0
	v_fma_f64 v[220:221], v[220:221], v[222:223], v[220:221]
	s_delay_alu instid0(VALU_DEP_1) | instskip(NEXT) | instid1(VALU_DEP_1)
	v_fma_f64 v[222:223], -v[218:219], v[220:221], 1.0
	v_fma_f64 v[220:221], v[220:221], v[222:223], v[220:221]
	v_div_scale_f64 v[222:223], vcc_lo, 1.0, v[216:217], 1.0
	s_delay_alu instid0(VALU_DEP_1) | instskip(NEXT) | instid1(VALU_DEP_1)
	v_mul_f64 v[224:225], v[222:223], v[220:221]
	v_fma_f64 v[218:219], -v[218:219], v[224:225], v[222:223]
	s_delay_alu instid0(VALU_DEP_1) | instskip(NEXT) | instid1(VALU_DEP_1)
	v_div_fmas_f64 v[218:219], v[218:219], v[220:221], v[224:225]
	v_div_fixup_f64 v[222:223], v[218:219], v[216:217], 1.0
                                        ; implicit-def: $vgpr216_vgpr217
	s_delay_alu instid0(VALU_DEP_1)
	v_mul_f64 v[212:213], v[212:213], v[222:223]
	v_xor_b32_e32 v223, 0x80000000, v223
.LBB117_221:
	s_and_not1_saveexec_b32 s3, s3
	s_cbranch_execz .LBB117_223
; %bb.222:
	v_div_scale_f64 v[212:213], null, v[216:217], v[216:217], v[218:219]
	v_div_scale_f64 v[224:225], vcc_lo, v[218:219], v[216:217], v[218:219]
	s_delay_alu instid0(VALU_DEP_2) | instskip(SKIP_2) | instid1(VALU_DEP_1)
	v_rcp_f64_e32 v[220:221], v[212:213]
	s_waitcnt_depctr 0xfff
	v_fma_f64 v[222:223], -v[212:213], v[220:221], 1.0
	v_fma_f64 v[220:221], v[220:221], v[222:223], v[220:221]
	s_delay_alu instid0(VALU_DEP_1) | instskip(NEXT) | instid1(VALU_DEP_1)
	v_fma_f64 v[222:223], -v[212:213], v[220:221], 1.0
	v_fma_f64 v[220:221], v[220:221], v[222:223], v[220:221]
	s_delay_alu instid0(VALU_DEP_1) | instskip(NEXT) | instid1(VALU_DEP_1)
	v_mul_f64 v[222:223], v[224:225], v[220:221]
	v_fma_f64 v[212:213], -v[212:213], v[222:223], v[224:225]
	s_delay_alu instid0(VALU_DEP_1) | instskip(NEXT) | instid1(VALU_DEP_1)
	v_div_fmas_f64 v[212:213], v[212:213], v[220:221], v[222:223]
	v_div_fixup_f64 v[220:221], v[212:213], v[216:217], v[218:219]
	s_delay_alu instid0(VALU_DEP_1) | instskip(NEXT) | instid1(VALU_DEP_1)
	v_fma_f64 v[212:213], v[218:219], v[220:221], v[216:217]
	v_div_scale_f64 v[216:217], null, v[212:213], v[212:213], 1.0
	s_delay_alu instid0(VALU_DEP_1) | instskip(SKIP_2) | instid1(VALU_DEP_1)
	v_rcp_f64_e32 v[218:219], v[216:217]
	s_waitcnt_depctr 0xfff
	v_fma_f64 v[222:223], -v[216:217], v[218:219], 1.0
	v_fma_f64 v[218:219], v[218:219], v[222:223], v[218:219]
	s_delay_alu instid0(VALU_DEP_1) | instskip(NEXT) | instid1(VALU_DEP_1)
	v_fma_f64 v[222:223], -v[216:217], v[218:219], 1.0
	v_fma_f64 v[218:219], v[218:219], v[222:223], v[218:219]
	v_div_scale_f64 v[222:223], vcc_lo, 1.0, v[212:213], 1.0
	s_delay_alu instid0(VALU_DEP_1) | instskip(NEXT) | instid1(VALU_DEP_1)
	v_mul_f64 v[224:225], v[222:223], v[218:219]
	v_fma_f64 v[216:217], -v[216:217], v[224:225], v[222:223]
	s_delay_alu instid0(VALU_DEP_1) | instskip(NEXT) | instid1(VALU_DEP_1)
	v_div_fmas_f64 v[216:217], v[216:217], v[218:219], v[224:225]
	v_div_fixup_f64 v[212:213], v[216:217], v[212:213], 1.0
	s_delay_alu instid0(VALU_DEP_1)
	v_mul_f64 v[222:223], v[220:221], -v[212:213]
.LBB117_223:
	s_or_b32 exec_lo, exec_lo, s3
	ds_store_2addr_b64 v209, v[212:213], v[222:223] offset1:1
.LBB117_224:
	s_or_b32 exec_lo, exec_lo, s4
	s_waitcnt lgkmcnt(0)
	s_barrier
	buffer_gl0_inv
	ds_load_2addr_b64 v[204:207], v209 offset1:1
	s_mov_b32 s3, exec_lo
	s_waitcnt lgkmcnt(0)
	scratch_store_b128 off, v[204:207], off offset:972 ; 16-byte Folded Spill
	v_cmpx_lt_u32_e32 24, v208
	s_cbranch_execz .LBB117_226
; %bb.225:
	scratch_load_b128 v[204:207], off, off offset:972 ; 16-byte Folded Reload
	ds_load_2addr_b64 v[218:221], v214 offset0:50 offset1:51
	s_waitcnt vmcnt(0)
	v_mul_f64 v[212:213], v[206:207], v[138:139]
	v_mul_f64 v[138:139], v[204:205], v[138:139]
	s_delay_alu instid0(VALU_DEP_2) | instskip(NEXT) | instid1(VALU_DEP_2)
	v_fma_f64 v[216:217], v[204:205], v[136:137], -v[212:213]
	v_fma_f64 v[138:139], v[206:207], v[136:137], v[138:139]
	s_waitcnt lgkmcnt(0)
	s_delay_alu instid0(VALU_DEP_1) | instskip(SKIP_1) | instid1(VALU_DEP_2)
	v_mul_f64 v[136:137], v[220:221], v[138:139]
	v_mul_f64 v[212:213], v[218:219], v[138:139]
	v_fma_f64 v[136:137], v[218:219], v[216:217], -v[136:137]
	s_delay_alu instid0(VALU_DEP_2)
	v_fma_f64 v[212:213], v[220:221], v[216:217], v[212:213]
	ds_load_2addr_b64 v[218:221], v214 offset0:52 offset1:53
	v_add_f64 v[132:133], v[132:133], -v[136:137]
	v_add_f64 v[134:135], v[134:135], -v[212:213]
	s_waitcnt lgkmcnt(0)
	v_mul_f64 v[136:137], v[220:221], v[138:139]
	v_mul_f64 v[212:213], v[218:219], v[138:139]
	s_delay_alu instid0(VALU_DEP_2) | instskip(NEXT) | instid1(VALU_DEP_2)
	v_fma_f64 v[136:137], v[218:219], v[216:217], -v[136:137]
	v_fma_f64 v[212:213], v[220:221], v[216:217], v[212:213]
	ds_load_2addr_b64 v[218:221], v214 offset0:54 offset1:55
	v_add_f64 v[128:129], v[128:129], -v[136:137]
	v_add_f64 v[130:131], v[130:131], -v[212:213]
	s_waitcnt lgkmcnt(0)
	v_mul_f64 v[136:137], v[220:221], v[138:139]
	v_mul_f64 v[212:213], v[218:219], v[138:139]
	s_delay_alu instid0(VALU_DEP_2) | instskip(NEXT) | instid1(VALU_DEP_2)
	v_fma_f64 v[136:137], v[218:219], v[216:217], -v[136:137]
	;; [unrolled: 9-line block ×33, first 2 shown]
	v_fma_f64 v[212:213], v[220:221], v[216:217], v[212:213]
	s_delay_alu instid0(VALU_DEP_2) | instskip(NEXT) | instid1(VALU_DEP_2)
	v_add_f64 v[0:1], v[0:1], -v[136:137]
	v_add_f64 v[2:3], v[2:3], -v[212:213]
	v_dual_mov_b32 v136, v216 :: v_dual_mov_b32 v137, v217
.LBB117_226:
	s_or_b32 exec_lo, exec_lo, s3
	s_delay_alu instid0(SALU_CYCLE_1)
	s_mov_b32 s4, exec_lo
	s_waitcnt_vscnt null, 0x0
	s_barrier
	buffer_gl0_inv
	v_cmpx_eq_u32_e32 25, v208
	s_cbranch_execz .LBB117_233
; %bb.227:
	ds_store_2addr_b64 v209, v[132:133], v[134:135] offset1:1
	ds_store_2addr_b64 v214, v[128:129], v[130:131] offset0:52 offset1:53
	ds_store_2addr_b64 v214, v[124:125], v[126:127] offset0:54 offset1:55
	;; [unrolled: 1-line block ×33, first 2 shown]
	ds_load_2addr_b64 v[216:219], v209 offset1:1
	s_waitcnt lgkmcnt(0)
	v_cmp_neq_f64_e32 vcc_lo, 0, v[216:217]
	v_cmp_neq_f64_e64 s3, 0, v[218:219]
	s_delay_alu instid0(VALU_DEP_1) | instskip(NEXT) | instid1(SALU_CYCLE_1)
	s_or_b32 s3, vcc_lo, s3
	s_and_b32 exec_lo, exec_lo, s3
	s_cbranch_execz .LBB117_233
; %bb.228:
	v_cmp_gt_f64_e32 vcc_lo, 0, v[216:217]
	v_xor_b32_e32 v212, 0x80000000, v217
	v_xor_b32_e32 v215, 0x80000000, v219
	s_delay_alu instid0(VALU_DEP_2) | instskip(SKIP_2) | instid1(VALU_DEP_4)
	v_cndmask_b32_e32 v213, v217, v212, vcc_lo
	v_cndmask_b32_e32 v212, v216, v216, vcc_lo
	v_cmp_gt_f64_e32 vcc_lo, 0, v[218:219]
	v_dual_cndmask_b32 v221, v219, v215 :: v_dual_cndmask_b32 v220, v218, v218
	s_delay_alu instid0(VALU_DEP_1) | instskip(SKIP_1) | instid1(SALU_CYCLE_1)
	v_cmp_ngt_f64_e32 vcc_lo, v[212:213], v[220:221]
                                        ; implicit-def: $vgpr212_vgpr213
	s_and_saveexec_b32 s3, vcc_lo
	s_xor_b32 s3, exec_lo, s3
                                        ; implicit-def: $vgpr220_vgpr221_vgpr222_vgpr223
	s_cbranch_execz .LBB117_230
; %bb.229:
	v_div_scale_f64 v[212:213], null, v[218:219], v[218:219], v[216:217]
	v_div_scale_f64 v[224:225], vcc_lo, v[216:217], v[218:219], v[216:217]
	s_delay_alu instid0(VALU_DEP_2) | instskip(SKIP_2) | instid1(VALU_DEP_1)
	v_rcp_f64_e32 v[220:221], v[212:213]
	s_waitcnt_depctr 0xfff
	v_fma_f64 v[222:223], -v[212:213], v[220:221], 1.0
	v_fma_f64 v[220:221], v[220:221], v[222:223], v[220:221]
	s_delay_alu instid0(VALU_DEP_1) | instskip(NEXT) | instid1(VALU_DEP_1)
	v_fma_f64 v[222:223], -v[212:213], v[220:221], 1.0
	v_fma_f64 v[220:221], v[220:221], v[222:223], v[220:221]
	s_delay_alu instid0(VALU_DEP_1) | instskip(NEXT) | instid1(VALU_DEP_1)
	v_mul_f64 v[222:223], v[224:225], v[220:221]
	v_fma_f64 v[212:213], -v[212:213], v[222:223], v[224:225]
	s_delay_alu instid0(VALU_DEP_1) | instskip(NEXT) | instid1(VALU_DEP_1)
	v_div_fmas_f64 v[212:213], v[212:213], v[220:221], v[222:223]
	v_div_fixup_f64 v[212:213], v[212:213], v[218:219], v[216:217]
	s_delay_alu instid0(VALU_DEP_1) | instskip(NEXT) | instid1(VALU_DEP_1)
	v_fma_f64 v[216:217], v[216:217], v[212:213], v[218:219]
	v_div_scale_f64 v[218:219], null, v[216:217], v[216:217], 1.0
	s_delay_alu instid0(VALU_DEP_1) | instskip(SKIP_2) | instid1(VALU_DEP_1)
	v_rcp_f64_e32 v[220:221], v[218:219]
	s_waitcnt_depctr 0xfff
	v_fma_f64 v[222:223], -v[218:219], v[220:221], 1.0
	v_fma_f64 v[220:221], v[220:221], v[222:223], v[220:221]
	s_delay_alu instid0(VALU_DEP_1) | instskip(NEXT) | instid1(VALU_DEP_1)
	v_fma_f64 v[222:223], -v[218:219], v[220:221], 1.0
	v_fma_f64 v[220:221], v[220:221], v[222:223], v[220:221]
	v_div_scale_f64 v[222:223], vcc_lo, 1.0, v[216:217], 1.0
	s_delay_alu instid0(VALU_DEP_1) | instskip(NEXT) | instid1(VALU_DEP_1)
	v_mul_f64 v[224:225], v[222:223], v[220:221]
	v_fma_f64 v[218:219], -v[218:219], v[224:225], v[222:223]
	s_delay_alu instid0(VALU_DEP_1) | instskip(NEXT) | instid1(VALU_DEP_1)
	v_div_fmas_f64 v[218:219], v[218:219], v[220:221], v[224:225]
	v_div_fixup_f64 v[222:223], v[218:219], v[216:217], 1.0
                                        ; implicit-def: $vgpr216_vgpr217
	s_delay_alu instid0(VALU_DEP_1)
	v_mul_f64 v[212:213], v[212:213], v[222:223]
	v_xor_b32_e32 v223, 0x80000000, v223
.LBB117_230:
	s_and_not1_saveexec_b32 s3, s3
	s_cbranch_execz .LBB117_232
; %bb.231:
	v_div_scale_f64 v[212:213], null, v[216:217], v[216:217], v[218:219]
	v_div_scale_f64 v[224:225], vcc_lo, v[218:219], v[216:217], v[218:219]
	s_delay_alu instid0(VALU_DEP_2) | instskip(SKIP_2) | instid1(VALU_DEP_1)
	v_rcp_f64_e32 v[220:221], v[212:213]
	s_waitcnt_depctr 0xfff
	v_fma_f64 v[222:223], -v[212:213], v[220:221], 1.0
	v_fma_f64 v[220:221], v[220:221], v[222:223], v[220:221]
	s_delay_alu instid0(VALU_DEP_1) | instskip(NEXT) | instid1(VALU_DEP_1)
	v_fma_f64 v[222:223], -v[212:213], v[220:221], 1.0
	v_fma_f64 v[220:221], v[220:221], v[222:223], v[220:221]
	s_delay_alu instid0(VALU_DEP_1) | instskip(NEXT) | instid1(VALU_DEP_1)
	v_mul_f64 v[222:223], v[224:225], v[220:221]
	v_fma_f64 v[212:213], -v[212:213], v[222:223], v[224:225]
	s_delay_alu instid0(VALU_DEP_1) | instskip(NEXT) | instid1(VALU_DEP_1)
	v_div_fmas_f64 v[212:213], v[212:213], v[220:221], v[222:223]
	v_div_fixup_f64 v[220:221], v[212:213], v[216:217], v[218:219]
	s_delay_alu instid0(VALU_DEP_1) | instskip(NEXT) | instid1(VALU_DEP_1)
	v_fma_f64 v[212:213], v[218:219], v[220:221], v[216:217]
	v_div_scale_f64 v[216:217], null, v[212:213], v[212:213], 1.0
	s_delay_alu instid0(VALU_DEP_1) | instskip(SKIP_2) | instid1(VALU_DEP_1)
	v_rcp_f64_e32 v[218:219], v[216:217]
	s_waitcnt_depctr 0xfff
	v_fma_f64 v[222:223], -v[216:217], v[218:219], 1.0
	v_fma_f64 v[218:219], v[218:219], v[222:223], v[218:219]
	s_delay_alu instid0(VALU_DEP_1) | instskip(NEXT) | instid1(VALU_DEP_1)
	v_fma_f64 v[222:223], -v[216:217], v[218:219], 1.0
	v_fma_f64 v[218:219], v[218:219], v[222:223], v[218:219]
	v_div_scale_f64 v[222:223], vcc_lo, 1.0, v[212:213], 1.0
	s_delay_alu instid0(VALU_DEP_1) | instskip(NEXT) | instid1(VALU_DEP_1)
	v_mul_f64 v[224:225], v[222:223], v[218:219]
	v_fma_f64 v[216:217], -v[216:217], v[224:225], v[222:223]
	s_delay_alu instid0(VALU_DEP_1) | instskip(NEXT) | instid1(VALU_DEP_1)
	v_div_fmas_f64 v[216:217], v[216:217], v[218:219], v[224:225]
	v_div_fixup_f64 v[212:213], v[216:217], v[212:213], 1.0
	s_delay_alu instid0(VALU_DEP_1)
	v_mul_f64 v[222:223], v[220:221], -v[212:213]
.LBB117_232:
	s_or_b32 exec_lo, exec_lo, s3
	ds_store_2addr_b64 v209, v[212:213], v[222:223] offset1:1
.LBB117_233:
	s_or_b32 exec_lo, exec_lo, s4
	s_waitcnt lgkmcnt(0)
	s_barrier
	buffer_gl0_inv
	ds_load_2addr_b64 v[204:207], v209 offset1:1
	s_mov_b32 s3, exec_lo
	s_waitcnt lgkmcnt(0)
	scratch_store_b128 off, v[204:207], off offset:988 ; 16-byte Folded Spill
	v_cmpx_lt_u32_e32 25, v208
	s_cbranch_execz .LBB117_235
; %bb.234:
	scratch_load_b128 v[204:207], off, off offset:988 ; 16-byte Folded Reload
	ds_load_2addr_b64 v[218:221], v214 offset0:52 offset1:53
	s_waitcnt vmcnt(0)
	v_mul_f64 v[212:213], v[206:207], v[134:135]
	v_mul_f64 v[134:135], v[204:205], v[134:135]
	s_delay_alu instid0(VALU_DEP_2) | instskip(NEXT) | instid1(VALU_DEP_2)
	v_fma_f64 v[216:217], v[204:205], v[132:133], -v[212:213]
	v_fma_f64 v[134:135], v[206:207], v[132:133], v[134:135]
	s_waitcnt lgkmcnt(0)
	s_delay_alu instid0(VALU_DEP_1) | instskip(SKIP_1) | instid1(VALU_DEP_2)
	v_mul_f64 v[132:133], v[220:221], v[134:135]
	v_mul_f64 v[212:213], v[218:219], v[134:135]
	v_fma_f64 v[132:133], v[218:219], v[216:217], -v[132:133]
	s_delay_alu instid0(VALU_DEP_2)
	v_fma_f64 v[212:213], v[220:221], v[216:217], v[212:213]
	ds_load_2addr_b64 v[218:221], v214 offset0:54 offset1:55
	v_add_f64 v[128:129], v[128:129], -v[132:133]
	v_add_f64 v[130:131], v[130:131], -v[212:213]
	s_waitcnt lgkmcnt(0)
	v_mul_f64 v[132:133], v[220:221], v[134:135]
	v_mul_f64 v[212:213], v[218:219], v[134:135]
	s_delay_alu instid0(VALU_DEP_2) | instskip(NEXT) | instid1(VALU_DEP_2)
	v_fma_f64 v[132:133], v[218:219], v[216:217], -v[132:133]
	v_fma_f64 v[212:213], v[220:221], v[216:217], v[212:213]
	ds_load_2addr_b64 v[218:221], v214 offset0:56 offset1:57
	v_add_f64 v[124:125], v[124:125], -v[132:133]
	v_add_f64 v[126:127], v[126:127], -v[212:213]
	s_waitcnt lgkmcnt(0)
	v_mul_f64 v[132:133], v[220:221], v[134:135]
	v_mul_f64 v[212:213], v[218:219], v[134:135]
	s_delay_alu instid0(VALU_DEP_2) | instskip(NEXT) | instid1(VALU_DEP_2)
	v_fma_f64 v[132:133], v[218:219], v[216:217], -v[132:133]
	;; [unrolled: 9-line block ×32, first 2 shown]
	v_fma_f64 v[212:213], v[220:221], v[216:217], v[212:213]
	s_delay_alu instid0(VALU_DEP_2) | instskip(NEXT) | instid1(VALU_DEP_2)
	v_add_f64 v[0:1], v[0:1], -v[132:133]
	v_add_f64 v[2:3], v[2:3], -v[212:213]
	v_dual_mov_b32 v132, v216 :: v_dual_mov_b32 v133, v217
.LBB117_235:
	s_or_b32 exec_lo, exec_lo, s3
	s_delay_alu instid0(SALU_CYCLE_1)
	s_mov_b32 s4, exec_lo
	s_waitcnt_vscnt null, 0x0
	s_barrier
	buffer_gl0_inv
	v_cmpx_eq_u32_e32 26, v208
	s_cbranch_execz .LBB117_242
; %bb.236:
	ds_store_2addr_b64 v209, v[128:129], v[130:131] offset1:1
	ds_store_2addr_b64 v214, v[124:125], v[126:127] offset0:54 offset1:55
	ds_store_2addr_b64 v214, v[120:121], v[122:123] offset0:56 offset1:57
	;; [unrolled: 1-line block ×32, first 2 shown]
	ds_load_2addr_b64 v[216:219], v209 offset1:1
	s_waitcnt lgkmcnt(0)
	v_cmp_neq_f64_e32 vcc_lo, 0, v[216:217]
	v_cmp_neq_f64_e64 s3, 0, v[218:219]
	s_delay_alu instid0(VALU_DEP_1) | instskip(NEXT) | instid1(SALU_CYCLE_1)
	s_or_b32 s3, vcc_lo, s3
	s_and_b32 exec_lo, exec_lo, s3
	s_cbranch_execz .LBB117_242
; %bb.237:
	v_cmp_gt_f64_e32 vcc_lo, 0, v[216:217]
	v_xor_b32_e32 v212, 0x80000000, v217
	v_xor_b32_e32 v215, 0x80000000, v219
	s_delay_alu instid0(VALU_DEP_2) | instskip(SKIP_2) | instid1(VALU_DEP_4)
	v_cndmask_b32_e32 v213, v217, v212, vcc_lo
	v_cndmask_b32_e32 v212, v216, v216, vcc_lo
	v_cmp_gt_f64_e32 vcc_lo, 0, v[218:219]
	v_dual_cndmask_b32 v221, v219, v215 :: v_dual_cndmask_b32 v220, v218, v218
	s_delay_alu instid0(VALU_DEP_1) | instskip(SKIP_1) | instid1(SALU_CYCLE_1)
	v_cmp_ngt_f64_e32 vcc_lo, v[212:213], v[220:221]
                                        ; implicit-def: $vgpr212_vgpr213
	s_and_saveexec_b32 s3, vcc_lo
	s_xor_b32 s3, exec_lo, s3
                                        ; implicit-def: $vgpr220_vgpr221_vgpr222_vgpr223
	s_cbranch_execz .LBB117_239
; %bb.238:
	v_div_scale_f64 v[212:213], null, v[218:219], v[218:219], v[216:217]
	v_div_scale_f64 v[224:225], vcc_lo, v[216:217], v[218:219], v[216:217]
	s_delay_alu instid0(VALU_DEP_2) | instskip(SKIP_2) | instid1(VALU_DEP_1)
	v_rcp_f64_e32 v[220:221], v[212:213]
	s_waitcnt_depctr 0xfff
	v_fma_f64 v[222:223], -v[212:213], v[220:221], 1.0
	v_fma_f64 v[220:221], v[220:221], v[222:223], v[220:221]
	s_delay_alu instid0(VALU_DEP_1) | instskip(NEXT) | instid1(VALU_DEP_1)
	v_fma_f64 v[222:223], -v[212:213], v[220:221], 1.0
	v_fma_f64 v[220:221], v[220:221], v[222:223], v[220:221]
	s_delay_alu instid0(VALU_DEP_1) | instskip(NEXT) | instid1(VALU_DEP_1)
	v_mul_f64 v[222:223], v[224:225], v[220:221]
	v_fma_f64 v[212:213], -v[212:213], v[222:223], v[224:225]
	s_delay_alu instid0(VALU_DEP_1) | instskip(NEXT) | instid1(VALU_DEP_1)
	v_div_fmas_f64 v[212:213], v[212:213], v[220:221], v[222:223]
	v_div_fixup_f64 v[212:213], v[212:213], v[218:219], v[216:217]
	s_delay_alu instid0(VALU_DEP_1) | instskip(NEXT) | instid1(VALU_DEP_1)
	v_fma_f64 v[216:217], v[216:217], v[212:213], v[218:219]
	v_div_scale_f64 v[218:219], null, v[216:217], v[216:217], 1.0
	s_delay_alu instid0(VALU_DEP_1) | instskip(SKIP_2) | instid1(VALU_DEP_1)
	v_rcp_f64_e32 v[220:221], v[218:219]
	s_waitcnt_depctr 0xfff
	v_fma_f64 v[222:223], -v[218:219], v[220:221], 1.0
	v_fma_f64 v[220:221], v[220:221], v[222:223], v[220:221]
	s_delay_alu instid0(VALU_DEP_1) | instskip(NEXT) | instid1(VALU_DEP_1)
	v_fma_f64 v[222:223], -v[218:219], v[220:221], 1.0
	v_fma_f64 v[220:221], v[220:221], v[222:223], v[220:221]
	v_div_scale_f64 v[222:223], vcc_lo, 1.0, v[216:217], 1.0
	s_delay_alu instid0(VALU_DEP_1) | instskip(NEXT) | instid1(VALU_DEP_1)
	v_mul_f64 v[224:225], v[222:223], v[220:221]
	v_fma_f64 v[218:219], -v[218:219], v[224:225], v[222:223]
	s_delay_alu instid0(VALU_DEP_1) | instskip(NEXT) | instid1(VALU_DEP_1)
	v_div_fmas_f64 v[218:219], v[218:219], v[220:221], v[224:225]
	v_div_fixup_f64 v[222:223], v[218:219], v[216:217], 1.0
                                        ; implicit-def: $vgpr216_vgpr217
	s_delay_alu instid0(VALU_DEP_1)
	v_mul_f64 v[212:213], v[212:213], v[222:223]
	v_xor_b32_e32 v223, 0x80000000, v223
.LBB117_239:
	s_and_not1_saveexec_b32 s3, s3
	s_cbranch_execz .LBB117_241
; %bb.240:
	v_div_scale_f64 v[212:213], null, v[216:217], v[216:217], v[218:219]
	v_div_scale_f64 v[224:225], vcc_lo, v[218:219], v[216:217], v[218:219]
	s_delay_alu instid0(VALU_DEP_2) | instskip(SKIP_2) | instid1(VALU_DEP_1)
	v_rcp_f64_e32 v[220:221], v[212:213]
	s_waitcnt_depctr 0xfff
	v_fma_f64 v[222:223], -v[212:213], v[220:221], 1.0
	v_fma_f64 v[220:221], v[220:221], v[222:223], v[220:221]
	s_delay_alu instid0(VALU_DEP_1) | instskip(NEXT) | instid1(VALU_DEP_1)
	v_fma_f64 v[222:223], -v[212:213], v[220:221], 1.0
	v_fma_f64 v[220:221], v[220:221], v[222:223], v[220:221]
	s_delay_alu instid0(VALU_DEP_1) | instskip(NEXT) | instid1(VALU_DEP_1)
	v_mul_f64 v[222:223], v[224:225], v[220:221]
	v_fma_f64 v[212:213], -v[212:213], v[222:223], v[224:225]
	s_delay_alu instid0(VALU_DEP_1) | instskip(NEXT) | instid1(VALU_DEP_1)
	v_div_fmas_f64 v[212:213], v[212:213], v[220:221], v[222:223]
	v_div_fixup_f64 v[220:221], v[212:213], v[216:217], v[218:219]
	s_delay_alu instid0(VALU_DEP_1) | instskip(NEXT) | instid1(VALU_DEP_1)
	v_fma_f64 v[212:213], v[218:219], v[220:221], v[216:217]
	v_div_scale_f64 v[216:217], null, v[212:213], v[212:213], 1.0
	s_delay_alu instid0(VALU_DEP_1) | instskip(SKIP_2) | instid1(VALU_DEP_1)
	v_rcp_f64_e32 v[218:219], v[216:217]
	s_waitcnt_depctr 0xfff
	v_fma_f64 v[222:223], -v[216:217], v[218:219], 1.0
	v_fma_f64 v[218:219], v[218:219], v[222:223], v[218:219]
	s_delay_alu instid0(VALU_DEP_1) | instskip(NEXT) | instid1(VALU_DEP_1)
	v_fma_f64 v[222:223], -v[216:217], v[218:219], 1.0
	v_fma_f64 v[218:219], v[218:219], v[222:223], v[218:219]
	v_div_scale_f64 v[222:223], vcc_lo, 1.0, v[212:213], 1.0
	s_delay_alu instid0(VALU_DEP_1) | instskip(NEXT) | instid1(VALU_DEP_1)
	v_mul_f64 v[224:225], v[222:223], v[218:219]
	v_fma_f64 v[216:217], -v[216:217], v[224:225], v[222:223]
	s_delay_alu instid0(VALU_DEP_1) | instskip(NEXT) | instid1(VALU_DEP_1)
	v_div_fmas_f64 v[216:217], v[216:217], v[218:219], v[224:225]
	v_div_fixup_f64 v[212:213], v[216:217], v[212:213], 1.0
	s_delay_alu instid0(VALU_DEP_1)
	v_mul_f64 v[222:223], v[220:221], -v[212:213]
.LBB117_241:
	s_or_b32 exec_lo, exec_lo, s3
	ds_store_2addr_b64 v209, v[212:213], v[222:223] offset1:1
.LBB117_242:
	s_or_b32 exec_lo, exec_lo, s4
	s_waitcnt lgkmcnt(0)
	s_barrier
	buffer_gl0_inv
	ds_load_2addr_b64 v[204:207], v209 offset1:1
	s_mov_b32 s3, exec_lo
	s_waitcnt lgkmcnt(0)
	scratch_store_b128 off, v[204:207], off offset:1004 ; 16-byte Folded Spill
	v_cmpx_lt_u32_e32 26, v208
	s_cbranch_execz .LBB117_244
; %bb.243:
	scratch_load_b128 v[204:207], off, off offset:1004 ; 16-byte Folded Reload
	ds_load_2addr_b64 v[218:221], v214 offset0:54 offset1:55
	s_waitcnt vmcnt(0)
	v_mul_f64 v[212:213], v[206:207], v[130:131]
	v_mul_f64 v[130:131], v[204:205], v[130:131]
	s_delay_alu instid0(VALU_DEP_2) | instskip(NEXT) | instid1(VALU_DEP_2)
	v_fma_f64 v[216:217], v[204:205], v[128:129], -v[212:213]
	v_fma_f64 v[130:131], v[206:207], v[128:129], v[130:131]
	s_waitcnt lgkmcnt(0)
	s_delay_alu instid0(VALU_DEP_1) | instskip(SKIP_1) | instid1(VALU_DEP_2)
	v_mul_f64 v[128:129], v[220:221], v[130:131]
	v_mul_f64 v[212:213], v[218:219], v[130:131]
	v_fma_f64 v[128:129], v[218:219], v[216:217], -v[128:129]
	s_delay_alu instid0(VALU_DEP_2)
	v_fma_f64 v[212:213], v[220:221], v[216:217], v[212:213]
	ds_load_2addr_b64 v[218:221], v214 offset0:56 offset1:57
	v_add_f64 v[124:125], v[124:125], -v[128:129]
	v_add_f64 v[126:127], v[126:127], -v[212:213]
	s_waitcnt lgkmcnt(0)
	v_mul_f64 v[128:129], v[220:221], v[130:131]
	v_mul_f64 v[212:213], v[218:219], v[130:131]
	s_delay_alu instid0(VALU_DEP_2) | instskip(NEXT) | instid1(VALU_DEP_2)
	v_fma_f64 v[128:129], v[218:219], v[216:217], -v[128:129]
	v_fma_f64 v[212:213], v[220:221], v[216:217], v[212:213]
	ds_load_2addr_b64 v[218:221], v214 offset0:58 offset1:59
	v_add_f64 v[120:121], v[120:121], -v[128:129]
	v_add_f64 v[122:123], v[122:123], -v[212:213]
	s_waitcnt lgkmcnt(0)
	v_mul_f64 v[128:129], v[220:221], v[130:131]
	v_mul_f64 v[212:213], v[218:219], v[130:131]
	s_delay_alu instid0(VALU_DEP_2) | instskip(NEXT) | instid1(VALU_DEP_2)
	v_fma_f64 v[128:129], v[218:219], v[216:217], -v[128:129]
	;; [unrolled: 9-line block ×31, first 2 shown]
	v_fma_f64 v[212:213], v[220:221], v[216:217], v[212:213]
	s_delay_alu instid0(VALU_DEP_2) | instskip(NEXT) | instid1(VALU_DEP_2)
	v_add_f64 v[0:1], v[0:1], -v[128:129]
	v_add_f64 v[2:3], v[2:3], -v[212:213]
	v_dual_mov_b32 v128, v216 :: v_dual_mov_b32 v129, v217
.LBB117_244:
	s_or_b32 exec_lo, exec_lo, s3
	s_delay_alu instid0(SALU_CYCLE_1)
	s_mov_b32 s4, exec_lo
	s_waitcnt_vscnt null, 0x0
	s_barrier
	buffer_gl0_inv
	v_cmpx_eq_u32_e32 27, v208
	s_cbranch_execz .LBB117_251
; %bb.245:
	ds_store_2addr_b64 v209, v[124:125], v[126:127] offset1:1
	ds_store_2addr_b64 v214, v[120:121], v[122:123] offset0:56 offset1:57
	ds_store_2addr_b64 v214, v[116:117], v[118:119] offset0:58 offset1:59
	;; [unrolled: 1-line block ×31, first 2 shown]
	ds_load_2addr_b64 v[216:219], v209 offset1:1
	s_waitcnt lgkmcnt(0)
	v_cmp_neq_f64_e32 vcc_lo, 0, v[216:217]
	v_cmp_neq_f64_e64 s3, 0, v[218:219]
	s_delay_alu instid0(VALU_DEP_1) | instskip(NEXT) | instid1(SALU_CYCLE_1)
	s_or_b32 s3, vcc_lo, s3
	s_and_b32 exec_lo, exec_lo, s3
	s_cbranch_execz .LBB117_251
; %bb.246:
	v_cmp_gt_f64_e32 vcc_lo, 0, v[216:217]
	v_xor_b32_e32 v212, 0x80000000, v217
	v_xor_b32_e32 v215, 0x80000000, v219
	s_delay_alu instid0(VALU_DEP_2) | instskip(SKIP_2) | instid1(VALU_DEP_4)
	v_cndmask_b32_e32 v213, v217, v212, vcc_lo
	v_cndmask_b32_e32 v212, v216, v216, vcc_lo
	v_cmp_gt_f64_e32 vcc_lo, 0, v[218:219]
	v_dual_cndmask_b32 v221, v219, v215 :: v_dual_cndmask_b32 v220, v218, v218
	s_delay_alu instid0(VALU_DEP_1) | instskip(SKIP_1) | instid1(SALU_CYCLE_1)
	v_cmp_ngt_f64_e32 vcc_lo, v[212:213], v[220:221]
                                        ; implicit-def: $vgpr212_vgpr213
	s_and_saveexec_b32 s3, vcc_lo
	s_xor_b32 s3, exec_lo, s3
                                        ; implicit-def: $vgpr220_vgpr221_vgpr222_vgpr223
	s_cbranch_execz .LBB117_248
; %bb.247:
	v_div_scale_f64 v[212:213], null, v[218:219], v[218:219], v[216:217]
	v_div_scale_f64 v[224:225], vcc_lo, v[216:217], v[218:219], v[216:217]
	s_delay_alu instid0(VALU_DEP_2) | instskip(SKIP_2) | instid1(VALU_DEP_1)
	v_rcp_f64_e32 v[220:221], v[212:213]
	s_waitcnt_depctr 0xfff
	v_fma_f64 v[222:223], -v[212:213], v[220:221], 1.0
	v_fma_f64 v[220:221], v[220:221], v[222:223], v[220:221]
	s_delay_alu instid0(VALU_DEP_1) | instskip(NEXT) | instid1(VALU_DEP_1)
	v_fma_f64 v[222:223], -v[212:213], v[220:221], 1.0
	v_fma_f64 v[220:221], v[220:221], v[222:223], v[220:221]
	s_delay_alu instid0(VALU_DEP_1) | instskip(NEXT) | instid1(VALU_DEP_1)
	v_mul_f64 v[222:223], v[224:225], v[220:221]
	v_fma_f64 v[212:213], -v[212:213], v[222:223], v[224:225]
	s_delay_alu instid0(VALU_DEP_1) | instskip(NEXT) | instid1(VALU_DEP_1)
	v_div_fmas_f64 v[212:213], v[212:213], v[220:221], v[222:223]
	v_div_fixup_f64 v[212:213], v[212:213], v[218:219], v[216:217]
	s_delay_alu instid0(VALU_DEP_1) | instskip(NEXT) | instid1(VALU_DEP_1)
	v_fma_f64 v[216:217], v[216:217], v[212:213], v[218:219]
	v_div_scale_f64 v[218:219], null, v[216:217], v[216:217], 1.0
	s_delay_alu instid0(VALU_DEP_1) | instskip(SKIP_2) | instid1(VALU_DEP_1)
	v_rcp_f64_e32 v[220:221], v[218:219]
	s_waitcnt_depctr 0xfff
	v_fma_f64 v[222:223], -v[218:219], v[220:221], 1.0
	v_fma_f64 v[220:221], v[220:221], v[222:223], v[220:221]
	s_delay_alu instid0(VALU_DEP_1) | instskip(NEXT) | instid1(VALU_DEP_1)
	v_fma_f64 v[222:223], -v[218:219], v[220:221], 1.0
	v_fma_f64 v[220:221], v[220:221], v[222:223], v[220:221]
	v_div_scale_f64 v[222:223], vcc_lo, 1.0, v[216:217], 1.0
	s_delay_alu instid0(VALU_DEP_1) | instskip(NEXT) | instid1(VALU_DEP_1)
	v_mul_f64 v[224:225], v[222:223], v[220:221]
	v_fma_f64 v[218:219], -v[218:219], v[224:225], v[222:223]
	s_delay_alu instid0(VALU_DEP_1) | instskip(NEXT) | instid1(VALU_DEP_1)
	v_div_fmas_f64 v[218:219], v[218:219], v[220:221], v[224:225]
	v_div_fixup_f64 v[222:223], v[218:219], v[216:217], 1.0
                                        ; implicit-def: $vgpr216_vgpr217
	s_delay_alu instid0(VALU_DEP_1)
	v_mul_f64 v[212:213], v[212:213], v[222:223]
	v_xor_b32_e32 v223, 0x80000000, v223
.LBB117_248:
	s_and_not1_saveexec_b32 s3, s3
	s_cbranch_execz .LBB117_250
; %bb.249:
	v_div_scale_f64 v[212:213], null, v[216:217], v[216:217], v[218:219]
	v_div_scale_f64 v[224:225], vcc_lo, v[218:219], v[216:217], v[218:219]
	s_delay_alu instid0(VALU_DEP_2) | instskip(SKIP_2) | instid1(VALU_DEP_1)
	v_rcp_f64_e32 v[220:221], v[212:213]
	s_waitcnt_depctr 0xfff
	v_fma_f64 v[222:223], -v[212:213], v[220:221], 1.0
	v_fma_f64 v[220:221], v[220:221], v[222:223], v[220:221]
	s_delay_alu instid0(VALU_DEP_1) | instskip(NEXT) | instid1(VALU_DEP_1)
	v_fma_f64 v[222:223], -v[212:213], v[220:221], 1.0
	v_fma_f64 v[220:221], v[220:221], v[222:223], v[220:221]
	s_delay_alu instid0(VALU_DEP_1) | instskip(NEXT) | instid1(VALU_DEP_1)
	v_mul_f64 v[222:223], v[224:225], v[220:221]
	v_fma_f64 v[212:213], -v[212:213], v[222:223], v[224:225]
	s_delay_alu instid0(VALU_DEP_1) | instskip(NEXT) | instid1(VALU_DEP_1)
	v_div_fmas_f64 v[212:213], v[212:213], v[220:221], v[222:223]
	v_div_fixup_f64 v[220:221], v[212:213], v[216:217], v[218:219]
	s_delay_alu instid0(VALU_DEP_1) | instskip(NEXT) | instid1(VALU_DEP_1)
	v_fma_f64 v[212:213], v[218:219], v[220:221], v[216:217]
	v_div_scale_f64 v[216:217], null, v[212:213], v[212:213], 1.0
	s_delay_alu instid0(VALU_DEP_1) | instskip(SKIP_2) | instid1(VALU_DEP_1)
	v_rcp_f64_e32 v[218:219], v[216:217]
	s_waitcnt_depctr 0xfff
	v_fma_f64 v[222:223], -v[216:217], v[218:219], 1.0
	v_fma_f64 v[218:219], v[218:219], v[222:223], v[218:219]
	s_delay_alu instid0(VALU_DEP_1) | instskip(NEXT) | instid1(VALU_DEP_1)
	v_fma_f64 v[222:223], -v[216:217], v[218:219], 1.0
	v_fma_f64 v[218:219], v[218:219], v[222:223], v[218:219]
	v_div_scale_f64 v[222:223], vcc_lo, 1.0, v[212:213], 1.0
	s_delay_alu instid0(VALU_DEP_1) | instskip(NEXT) | instid1(VALU_DEP_1)
	v_mul_f64 v[224:225], v[222:223], v[218:219]
	v_fma_f64 v[216:217], -v[216:217], v[224:225], v[222:223]
	s_delay_alu instid0(VALU_DEP_1) | instskip(NEXT) | instid1(VALU_DEP_1)
	v_div_fmas_f64 v[216:217], v[216:217], v[218:219], v[224:225]
	v_div_fixup_f64 v[212:213], v[216:217], v[212:213], 1.0
	s_delay_alu instid0(VALU_DEP_1)
	v_mul_f64 v[222:223], v[220:221], -v[212:213]
.LBB117_250:
	s_or_b32 exec_lo, exec_lo, s3
	ds_store_2addr_b64 v209, v[212:213], v[222:223] offset1:1
.LBB117_251:
	s_or_b32 exec_lo, exec_lo, s4
	s_waitcnt lgkmcnt(0)
	s_barrier
	buffer_gl0_inv
	ds_load_2addr_b64 v[204:207], v209 offset1:1
	s_mov_b32 s3, exec_lo
	s_waitcnt lgkmcnt(0)
	scratch_store_b128 off, v[204:207], off offset:1020 ; 16-byte Folded Spill
	v_cmpx_lt_u32_e32 27, v208
	s_cbranch_execz .LBB117_253
; %bb.252:
	scratch_load_b128 v[204:207], off, off offset:1020 ; 16-byte Folded Reload
	ds_load_2addr_b64 v[218:221], v214 offset0:56 offset1:57
	s_waitcnt vmcnt(0)
	v_mul_f64 v[212:213], v[206:207], v[126:127]
	v_mul_f64 v[126:127], v[204:205], v[126:127]
	s_delay_alu instid0(VALU_DEP_2) | instskip(NEXT) | instid1(VALU_DEP_2)
	v_fma_f64 v[216:217], v[204:205], v[124:125], -v[212:213]
	v_fma_f64 v[126:127], v[206:207], v[124:125], v[126:127]
	s_waitcnt lgkmcnt(0)
	s_delay_alu instid0(VALU_DEP_1) | instskip(SKIP_1) | instid1(VALU_DEP_2)
	v_mul_f64 v[124:125], v[220:221], v[126:127]
	v_mul_f64 v[212:213], v[218:219], v[126:127]
	v_fma_f64 v[124:125], v[218:219], v[216:217], -v[124:125]
	s_delay_alu instid0(VALU_DEP_2)
	v_fma_f64 v[212:213], v[220:221], v[216:217], v[212:213]
	ds_load_2addr_b64 v[218:221], v214 offset0:58 offset1:59
	v_add_f64 v[120:121], v[120:121], -v[124:125]
	v_add_f64 v[122:123], v[122:123], -v[212:213]
	s_waitcnt lgkmcnt(0)
	v_mul_f64 v[124:125], v[220:221], v[126:127]
	v_mul_f64 v[212:213], v[218:219], v[126:127]
	s_delay_alu instid0(VALU_DEP_2) | instskip(NEXT) | instid1(VALU_DEP_2)
	v_fma_f64 v[124:125], v[218:219], v[216:217], -v[124:125]
	v_fma_f64 v[212:213], v[220:221], v[216:217], v[212:213]
	ds_load_2addr_b64 v[218:221], v214 offset0:60 offset1:61
	v_add_f64 v[116:117], v[116:117], -v[124:125]
	v_add_f64 v[118:119], v[118:119], -v[212:213]
	s_waitcnt lgkmcnt(0)
	v_mul_f64 v[124:125], v[220:221], v[126:127]
	v_mul_f64 v[212:213], v[218:219], v[126:127]
	s_delay_alu instid0(VALU_DEP_2) | instskip(NEXT) | instid1(VALU_DEP_2)
	v_fma_f64 v[124:125], v[218:219], v[216:217], -v[124:125]
	v_fma_f64 v[212:213], v[220:221], v[216:217], v[212:213]
	ds_load_2addr_b64 v[218:221], v214 offset0:62 offset1:63
	v_add_f64 v[112:113], v[112:113], -v[124:125]
	v_add_f64 v[114:115], v[114:115], -v[212:213]
	s_waitcnt lgkmcnt(0)
	v_mul_f64 v[124:125], v[220:221], v[126:127]
	v_mul_f64 v[212:213], v[218:219], v[126:127]
	s_delay_alu instid0(VALU_DEP_2) | instskip(NEXT) | instid1(VALU_DEP_2)
	v_fma_f64 v[124:125], v[218:219], v[216:217], -v[124:125]
	v_fma_f64 v[212:213], v[220:221], v[216:217], v[212:213]
	ds_load_2addr_b64 v[218:221], v214 offset0:64 offset1:65
	v_add_f64 v[108:109], v[108:109], -v[124:125]
	v_add_f64 v[110:111], v[110:111], -v[212:213]
	s_waitcnt lgkmcnt(0)
	v_mul_f64 v[124:125], v[220:221], v[126:127]
	v_mul_f64 v[212:213], v[218:219], v[126:127]
	s_delay_alu instid0(VALU_DEP_2) | instskip(NEXT) | instid1(VALU_DEP_2)
	v_fma_f64 v[124:125], v[218:219], v[216:217], -v[124:125]
	v_fma_f64 v[212:213], v[220:221], v[216:217], v[212:213]
	ds_load_2addr_b64 v[218:221], v214 offset0:66 offset1:67
	v_add_f64 v[104:105], v[104:105], -v[124:125]
	v_add_f64 v[106:107], v[106:107], -v[212:213]
	s_waitcnt lgkmcnt(0)
	v_mul_f64 v[124:125], v[220:221], v[126:127]
	v_mul_f64 v[212:213], v[218:219], v[126:127]
	s_delay_alu instid0(VALU_DEP_2) | instskip(NEXT) | instid1(VALU_DEP_2)
	v_fma_f64 v[124:125], v[218:219], v[216:217], -v[124:125]
	v_fma_f64 v[212:213], v[220:221], v[216:217], v[212:213]
	ds_load_2addr_b64 v[218:221], v214 offset0:68 offset1:69
	v_add_f64 v[100:101], v[100:101], -v[124:125]
	v_add_f64 v[102:103], v[102:103], -v[212:213]
	s_waitcnt lgkmcnt(0)
	v_mul_f64 v[124:125], v[220:221], v[126:127]
	v_mul_f64 v[212:213], v[218:219], v[126:127]
	s_delay_alu instid0(VALU_DEP_2) | instskip(NEXT) | instid1(VALU_DEP_2)
	v_fma_f64 v[124:125], v[218:219], v[216:217], -v[124:125]
	v_fma_f64 v[212:213], v[220:221], v[216:217], v[212:213]
	ds_load_2addr_b64 v[218:221], v214 offset0:70 offset1:71
	v_add_f64 v[96:97], v[96:97], -v[124:125]
	v_add_f64 v[98:99], v[98:99], -v[212:213]
	s_waitcnt lgkmcnt(0)
	v_mul_f64 v[124:125], v[220:221], v[126:127]
	v_mul_f64 v[212:213], v[218:219], v[126:127]
	s_delay_alu instid0(VALU_DEP_2) | instskip(NEXT) | instid1(VALU_DEP_2)
	v_fma_f64 v[124:125], v[218:219], v[216:217], -v[124:125]
	v_fma_f64 v[212:213], v[220:221], v[216:217], v[212:213]
	ds_load_2addr_b64 v[218:221], v214 offset0:72 offset1:73
	v_add_f64 v[92:93], v[92:93], -v[124:125]
	v_add_f64 v[94:95], v[94:95], -v[212:213]
	s_waitcnt lgkmcnt(0)
	v_mul_f64 v[124:125], v[220:221], v[126:127]
	v_mul_f64 v[212:213], v[218:219], v[126:127]
	s_delay_alu instid0(VALU_DEP_2) | instskip(NEXT) | instid1(VALU_DEP_2)
	v_fma_f64 v[124:125], v[218:219], v[216:217], -v[124:125]
	v_fma_f64 v[212:213], v[220:221], v[216:217], v[212:213]
	ds_load_2addr_b64 v[218:221], v214 offset0:74 offset1:75
	v_add_f64 v[88:89], v[88:89], -v[124:125]
	v_add_f64 v[90:91], v[90:91], -v[212:213]
	s_waitcnt lgkmcnt(0)
	v_mul_f64 v[124:125], v[220:221], v[126:127]
	v_mul_f64 v[212:213], v[218:219], v[126:127]
	s_delay_alu instid0(VALU_DEP_2) | instskip(NEXT) | instid1(VALU_DEP_2)
	v_fma_f64 v[124:125], v[218:219], v[216:217], -v[124:125]
	v_fma_f64 v[212:213], v[220:221], v[216:217], v[212:213]
	ds_load_2addr_b64 v[218:221], v214 offset0:76 offset1:77
	v_add_f64 v[84:85], v[84:85], -v[124:125]
	v_add_f64 v[86:87], v[86:87], -v[212:213]
	s_waitcnt lgkmcnt(0)
	v_mul_f64 v[124:125], v[220:221], v[126:127]
	v_mul_f64 v[212:213], v[218:219], v[126:127]
	s_delay_alu instid0(VALU_DEP_2) | instskip(NEXT) | instid1(VALU_DEP_2)
	v_fma_f64 v[124:125], v[218:219], v[216:217], -v[124:125]
	v_fma_f64 v[212:213], v[220:221], v[216:217], v[212:213]
	ds_load_2addr_b64 v[218:221], v214 offset0:78 offset1:79
	v_add_f64 v[80:81], v[80:81], -v[124:125]
	v_add_f64 v[82:83], v[82:83], -v[212:213]
	s_waitcnt lgkmcnt(0)
	v_mul_f64 v[124:125], v[220:221], v[126:127]
	v_mul_f64 v[212:213], v[218:219], v[126:127]
	s_delay_alu instid0(VALU_DEP_2) | instskip(NEXT) | instid1(VALU_DEP_2)
	v_fma_f64 v[124:125], v[218:219], v[216:217], -v[124:125]
	v_fma_f64 v[212:213], v[220:221], v[216:217], v[212:213]
	ds_load_2addr_b64 v[218:221], v214 offset0:80 offset1:81
	v_add_f64 v[76:77], v[76:77], -v[124:125]
	v_add_f64 v[78:79], v[78:79], -v[212:213]
	s_waitcnt lgkmcnt(0)
	v_mul_f64 v[124:125], v[220:221], v[126:127]
	v_mul_f64 v[212:213], v[218:219], v[126:127]
	s_delay_alu instid0(VALU_DEP_2) | instskip(NEXT) | instid1(VALU_DEP_2)
	v_fma_f64 v[124:125], v[218:219], v[216:217], -v[124:125]
	v_fma_f64 v[212:213], v[220:221], v[216:217], v[212:213]
	ds_load_2addr_b64 v[218:221], v214 offset0:82 offset1:83
	v_add_f64 v[72:73], v[72:73], -v[124:125]
	v_add_f64 v[74:75], v[74:75], -v[212:213]
	s_waitcnt lgkmcnt(0)
	v_mul_f64 v[124:125], v[220:221], v[126:127]
	v_mul_f64 v[212:213], v[218:219], v[126:127]
	s_delay_alu instid0(VALU_DEP_2) | instskip(NEXT) | instid1(VALU_DEP_2)
	v_fma_f64 v[124:125], v[218:219], v[216:217], -v[124:125]
	v_fma_f64 v[212:213], v[220:221], v[216:217], v[212:213]
	ds_load_2addr_b64 v[218:221], v214 offset0:84 offset1:85
	v_add_f64 v[68:69], v[68:69], -v[124:125]
	v_add_f64 v[70:71], v[70:71], -v[212:213]
	s_waitcnt lgkmcnt(0)
	v_mul_f64 v[124:125], v[220:221], v[126:127]
	v_mul_f64 v[212:213], v[218:219], v[126:127]
	s_delay_alu instid0(VALU_DEP_2) | instskip(NEXT) | instid1(VALU_DEP_2)
	v_fma_f64 v[124:125], v[218:219], v[216:217], -v[124:125]
	v_fma_f64 v[212:213], v[220:221], v[216:217], v[212:213]
	ds_load_2addr_b64 v[218:221], v214 offset0:86 offset1:87
	v_add_f64 v[64:65], v[64:65], -v[124:125]
	v_add_f64 v[66:67], v[66:67], -v[212:213]
	s_waitcnt lgkmcnt(0)
	v_mul_f64 v[124:125], v[220:221], v[126:127]
	v_mul_f64 v[212:213], v[218:219], v[126:127]
	s_delay_alu instid0(VALU_DEP_2) | instskip(NEXT) | instid1(VALU_DEP_2)
	v_fma_f64 v[124:125], v[218:219], v[216:217], -v[124:125]
	v_fma_f64 v[212:213], v[220:221], v[216:217], v[212:213]
	ds_load_2addr_b64 v[218:221], v214 offset0:88 offset1:89
	v_add_f64 v[60:61], v[60:61], -v[124:125]
	v_add_f64 v[62:63], v[62:63], -v[212:213]
	s_waitcnt lgkmcnt(0)
	v_mul_f64 v[124:125], v[220:221], v[126:127]
	v_mul_f64 v[212:213], v[218:219], v[126:127]
	s_delay_alu instid0(VALU_DEP_2) | instskip(NEXT) | instid1(VALU_DEP_2)
	v_fma_f64 v[124:125], v[218:219], v[216:217], -v[124:125]
	v_fma_f64 v[212:213], v[220:221], v[216:217], v[212:213]
	ds_load_2addr_b64 v[218:221], v214 offset0:90 offset1:91
	v_add_f64 v[56:57], v[56:57], -v[124:125]
	v_add_f64 v[58:59], v[58:59], -v[212:213]
	s_waitcnt lgkmcnt(0)
	v_mul_f64 v[124:125], v[220:221], v[126:127]
	v_mul_f64 v[212:213], v[218:219], v[126:127]
	s_delay_alu instid0(VALU_DEP_2) | instskip(NEXT) | instid1(VALU_DEP_2)
	v_fma_f64 v[124:125], v[218:219], v[216:217], -v[124:125]
	v_fma_f64 v[212:213], v[220:221], v[216:217], v[212:213]
	ds_load_2addr_b64 v[218:221], v214 offset0:92 offset1:93
	v_add_f64 v[52:53], v[52:53], -v[124:125]
	v_add_f64 v[54:55], v[54:55], -v[212:213]
	s_waitcnt lgkmcnt(0)
	v_mul_f64 v[124:125], v[220:221], v[126:127]
	v_mul_f64 v[212:213], v[218:219], v[126:127]
	s_delay_alu instid0(VALU_DEP_2) | instskip(NEXT) | instid1(VALU_DEP_2)
	v_fma_f64 v[124:125], v[218:219], v[216:217], -v[124:125]
	v_fma_f64 v[212:213], v[220:221], v[216:217], v[212:213]
	ds_load_2addr_b64 v[218:221], v214 offset0:94 offset1:95
	v_add_f64 v[48:49], v[48:49], -v[124:125]
	v_add_f64 v[50:51], v[50:51], -v[212:213]
	s_waitcnt lgkmcnt(0)
	v_mul_f64 v[124:125], v[220:221], v[126:127]
	v_mul_f64 v[212:213], v[218:219], v[126:127]
	s_delay_alu instid0(VALU_DEP_2) | instskip(NEXT) | instid1(VALU_DEP_2)
	v_fma_f64 v[124:125], v[218:219], v[216:217], -v[124:125]
	v_fma_f64 v[212:213], v[220:221], v[216:217], v[212:213]
	ds_load_2addr_b64 v[218:221], v214 offset0:96 offset1:97
	v_add_f64 v[44:45], v[44:45], -v[124:125]
	v_add_f64 v[46:47], v[46:47], -v[212:213]
	s_waitcnt lgkmcnt(0)
	v_mul_f64 v[124:125], v[220:221], v[126:127]
	v_mul_f64 v[212:213], v[218:219], v[126:127]
	s_delay_alu instid0(VALU_DEP_2) | instskip(NEXT) | instid1(VALU_DEP_2)
	v_fma_f64 v[124:125], v[218:219], v[216:217], -v[124:125]
	v_fma_f64 v[212:213], v[220:221], v[216:217], v[212:213]
	ds_load_2addr_b64 v[218:221], v214 offset0:98 offset1:99
	v_add_f64 v[40:41], v[40:41], -v[124:125]
	v_add_f64 v[42:43], v[42:43], -v[212:213]
	s_waitcnt lgkmcnt(0)
	v_mul_f64 v[124:125], v[220:221], v[126:127]
	v_mul_f64 v[212:213], v[218:219], v[126:127]
	s_delay_alu instid0(VALU_DEP_2) | instskip(NEXT) | instid1(VALU_DEP_2)
	v_fma_f64 v[124:125], v[218:219], v[216:217], -v[124:125]
	v_fma_f64 v[212:213], v[220:221], v[216:217], v[212:213]
	ds_load_2addr_b64 v[218:221], v214 offset0:100 offset1:101
	v_add_f64 v[36:37], v[36:37], -v[124:125]
	v_add_f64 v[38:39], v[38:39], -v[212:213]
	s_waitcnt lgkmcnt(0)
	v_mul_f64 v[124:125], v[220:221], v[126:127]
	v_mul_f64 v[212:213], v[218:219], v[126:127]
	s_delay_alu instid0(VALU_DEP_2) | instskip(NEXT) | instid1(VALU_DEP_2)
	v_fma_f64 v[124:125], v[218:219], v[216:217], -v[124:125]
	v_fma_f64 v[212:213], v[220:221], v[216:217], v[212:213]
	ds_load_2addr_b64 v[218:221], v214 offset0:102 offset1:103
	v_add_f64 v[32:33], v[32:33], -v[124:125]
	v_add_f64 v[34:35], v[34:35], -v[212:213]
	s_waitcnt lgkmcnt(0)
	v_mul_f64 v[124:125], v[220:221], v[126:127]
	v_mul_f64 v[212:213], v[218:219], v[126:127]
	s_delay_alu instid0(VALU_DEP_2) | instskip(NEXT) | instid1(VALU_DEP_2)
	v_fma_f64 v[124:125], v[218:219], v[216:217], -v[124:125]
	v_fma_f64 v[212:213], v[220:221], v[216:217], v[212:213]
	ds_load_2addr_b64 v[218:221], v214 offset0:104 offset1:105
	v_add_f64 v[28:29], v[28:29], -v[124:125]
	v_add_f64 v[30:31], v[30:31], -v[212:213]
	s_waitcnt lgkmcnt(0)
	v_mul_f64 v[124:125], v[220:221], v[126:127]
	v_mul_f64 v[212:213], v[218:219], v[126:127]
	s_delay_alu instid0(VALU_DEP_2) | instskip(NEXT) | instid1(VALU_DEP_2)
	v_fma_f64 v[124:125], v[218:219], v[216:217], -v[124:125]
	v_fma_f64 v[212:213], v[220:221], v[216:217], v[212:213]
	ds_load_2addr_b64 v[218:221], v214 offset0:106 offset1:107
	v_add_f64 v[24:25], v[24:25], -v[124:125]
	v_add_f64 v[26:27], v[26:27], -v[212:213]
	s_waitcnt lgkmcnt(0)
	v_mul_f64 v[124:125], v[220:221], v[126:127]
	v_mul_f64 v[212:213], v[218:219], v[126:127]
	s_delay_alu instid0(VALU_DEP_2) | instskip(NEXT) | instid1(VALU_DEP_2)
	v_fma_f64 v[124:125], v[218:219], v[216:217], -v[124:125]
	v_fma_f64 v[212:213], v[220:221], v[216:217], v[212:213]
	ds_load_2addr_b64 v[218:221], v214 offset0:108 offset1:109
	v_add_f64 v[20:21], v[20:21], -v[124:125]
	v_add_f64 v[22:23], v[22:23], -v[212:213]
	s_waitcnt lgkmcnt(0)
	v_mul_f64 v[124:125], v[220:221], v[126:127]
	v_mul_f64 v[212:213], v[218:219], v[126:127]
	s_delay_alu instid0(VALU_DEP_2) | instskip(NEXT) | instid1(VALU_DEP_2)
	v_fma_f64 v[124:125], v[218:219], v[216:217], -v[124:125]
	v_fma_f64 v[212:213], v[220:221], v[216:217], v[212:213]
	ds_load_2addr_b64 v[218:221], v214 offset0:110 offset1:111
	v_add_f64 v[16:17], v[16:17], -v[124:125]
	v_add_f64 v[18:19], v[18:19], -v[212:213]
	s_waitcnt lgkmcnt(0)
	v_mul_f64 v[124:125], v[220:221], v[126:127]
	v_mul_f64 v[212:213], v[218:219], v[126:127]
	s_delay_alu instid0(VALU_DEP_2) | instskip(NEXT) | instid1(VALU_DEP_2)
	v_fma_f64 v[124:125], v[218:219], v[216:217], -v[124:125]
	v_fma_f64 v[212:213], v[220:221], v[216:217], v[212:213]
	ds_load_2addr_b64 v[218:221], v214 offset0:112 offset1:113
	v_add_f64 v[12:13], v[12:13], -v[124:125]
	v_add_f64 v[14:15], v[14:15], -v[212:213]
	s_waitcnt lgkmcnt(0)
	v_mul_f64 v[124:125], v[220:221], v[126:127]
	v_mul_f64 v[212:213], v[218:219], v[126:127]
	s_delay_alu instid0(VALU_DEP_2) | instskip(NEXT) | instid1(VALU_DEP_2)
	v_fma_f64 v[124:125], v[218:219], v[216:217], -v[124:125]
	v_fma_f64 v[212:213], v[220:221], v[216:217], v[212:213]
	ds_load_2addr_b64 v[218:221], v214 offset0:114 offset1:115
	v_add_f64 v[8:9], v[8:9], -v[124:125]
	v_add_f64 v[10:11], v[10:11], -v[212:213]
	s_waitcnt lgkmcnt(0)
	v_mul_f64 v[124:125], v[220:221], v[126:127]
	v_mul_f64 v[212:213], v[218:219], v[126:127]
	s_delay_alu instid0(VALU_DEP_2) | instskip(NEXT) | instid1(VALU_DEP_2)
	v_fma_f64 v[124:125], v[218:219], v[216:217], -v[124:125]
	v_fma_f64 v[212:213], v[220:221], v[216:217], v[212:213]
	ds_load_2addr_b64 v[218:221], v214 offset0:116 offset1:117
	v_add_f64 v[4:5], v[4:5], -v[124:125]
	v_add_f64 v[6:7], v[6:7], -v[212:213]
	s_waitcnt lgkmcnt(0)
	v_mul_f64 v[124:125], v[220:221], v[126:127]
	v_mul_f64 v[212:213], v[218:219], v[126:127]
	s_delay_alu instid0(VALU_DEP_2) | instskip(NEXT) | instid1(VALU_DEP_2)
	v_fma_f64 v[124:125], v[218:219], v[216:217], -v[124:125]
	v_fma_f64 v[212:213], v[220:221], v[216:217], v[212:213]
	s_delay_alu instid0(VALU_DEP_2) | instskip(NEXT) | instid1(VALU_DEP_2)
	v_add_f64 v[0:1], v[0:1], -v[124:125]
	v_add_f64 v[2:3], v[2:3], -v[212:213]
	v_dual_mov_b32 v124, v216 :: v_dual_mov_b32 v125, v217
.LBB117_253:
	s_or_b32 exec_lo, exec_lo, s3
	s_delay_alu instid0(SALU_CYCLE_1)
	s_mov_b32 s4, exec_lo
	s_waitcnt_vscnt null, 0x0
	s_barrier
	buffer_gl0_inv
	v_cmpx_eq_u32_e32 28, v208
	s_cbranch_execz .LBB117_260
; %bb.254:
	ds_store_2addr_b64 v209, v[120:121], v[122:123] offset1:1
	ds_store_2addr_b64 v214, v[116:117], v[118:119] offset0:58 offset1:59
	ds_store_2addr_b64 v214, v[112:113], v[114:115] offset0:60 offset1:61
	;; [unrolled: 1-line block ×30, first 2 shown]
	ds_load_2addr_b64 v[216:219], v209 offset1:1
	s_waitcnt lgkmcnt(0)
	v_cmp_neq_f64_e32 vcc_lo, 0, v[216:217]
	v_cmp_neq_f64_e64 s3, 0, v[218:219]
	s_delay_alu instid0(VALU_DEP_1) | instskip(NEXT) | instid1(SALU_CYCLE_1)
	s_or_b32 s3, vcc_lo, s3
	s_and_b32 exec_lo, exec_lo, s3
	s_cbranch_execz .LBB117_260
; %bb.255:
	v_cmp_gt_f64_e32 vcc_lo, 0, v[216:217]
	v_xor_b32_e32 v212, 0x80000000, v217
	v_xor_b32_e32 v215, 0x80000000, v219
	s_delay_alu instid0(VALU_DEP_2) | instskip(SKIP_2) | instid1(VALU_DEP_4)
	v_cndmask_b32_e32 v213, v217, v212, vcc_lo
	v_cndmask_b32_e32 v212, v216, v216, vcc_lo
	v_cmp_gt_f64_e32 vcc_lo, 0, v[218:219]
	v_dual_cndmask_b32 v221, v219, v215 :: v_dual_cndmask_b32 v220, v218, v218
	s_delay_alu instid0(VALU_DEP_1) | instskip(SKIP_1) | instid1(SALU_CYCLE_1)
	v_cmp_ngt_f64_e32 vcc_lo, v[212:213], v[220:221]
                                        ; implicit-def: $vgpr212_vgpr213
	s_and_saveexec_b32 s3, vcc_lo
	s_xor_b32 s3, exec_lo, s3
                                        ; implicit-def: $vgpr220_vgpr221_vgpr222_vgpr223
	s_cbranch_execz .LBB117_257
; %bb.256:
	v_div_scale_f64 v[212:213], null, v[218:219], v[218:219], v[216:217]
	v_div_scale_f64 v[224:225], vcc_lo, v[216:217], v[218:219], v[216:217]
	s_delay_alu instid0(VALU_DEP_2) | instskip(SKIP_2) | instid1(VALU_DEP_1)
	v_rcp_f64_e32 v[220:221], v[212:213]
	s_waitcnt_depctr 0xfff
	v_fma_f64 v[222:223], -v[212:213], v[220:221], 1.0
	v_fma_f64 v[220:221], v[220:221], v[222:223], v[220:221]
	s_delay_alu instid0(VALU_DEP_1) | instskip(NEXT) | instid1(VALU_DEP_1)
	v_fma_f64 v[222:223], -v[212:213], v[220:221], 1.0
	v_fma_f64 v[220:221], v[220:221], v[222:223], v[220:221]
	s_delay_alu instid0(VALU_DEP_1) | instskip(NEXT) | instid1(VALU_DEP_1)
	v_mul_f64 v[222:223], v[224:225], v[220:221]
	v_fma_f64 v[212:213], -v[212:213], v[222:223], v[224:225]
	s_delay_alu instid0(VALU_DEP_1) | instskip(NEXT) | instid1(VALU_DEP_1)
	v_div_fmas_f64 v[212:213], v[212:213], v[220:221], v[222:223]
	v_div_fixup_f64 v[212:213], v[212:213], v[218:219], v[216:217]
	s_delay_alu instid0(VALU_DEP_1) | instskip(NEXT) | instid1(VALU_DEP_1)
	v_fma_f64 v[216:217], v[216:217], v[212:213], v[218:219]
	v_div_scale_f64 v[218:219], null, v[216:217], v[216:217], 1.0
	s_delay_alu instid0(VALU_DEP_1) | instskip(SKIP_2) | instid1(VALU_DEP_1)
	v_rcp_f64_e32 v[220:221], v[218:219]
	s_waitcnt_depctr 0xfff
	v_fma_f64 v[222:223], -v[218:219], v[220:221], 1.0
	v_fma_f64 v[220:221], v[220:221], v[222:223], v[220:221]
	s_delay_alu instid0(VALU_DEP_1) | instskip(NEXT) | instid1(VALU_DEP_1)
	v_fma_f64 v[222:223], -v[218:219], v[220:221], 1.0
	v_fma_f64 v[220:221], v[220:221], v[222:223], v[220:221]
	v_div_scale_f64 v[222:223], vcc_lo, 1.0, v[216:217], 1.0
	s_delay_alu instid0(VALU_DEP_1) | instskip(NEXT) | instid1(VALU_DEP_1)
	v_mul_f64 v[224:225], v[222:223], v[220:221]
	v_fma_f64 v[218:219], -v[218:219], v[224:225], v[222:223]
	s_delay_alu instid0(VALU_DEP_1) | instskip(NEXT) | instid1(VALU_DEP_1)
	v_div_fmas_f64 v[218:219], v[218:219], v[220:221], v[224:225]
	v_div_fixup_f64 v[222:223], v[218:219], v[216:217], 1.0
                                        ; implicit-def: $vgpr216_vgpr217
	s_delay_alu instid0(VALU_DEP_1)
	v_mul_f64 v[212:213], v[212:213], v[222:223]
	v_xor_b32_e32 v223, 0x80000000, v223
.LBB117_257:
	s_and_not1_saveexec_b32 s3, s3
	s_cbranch_execz .LBB117_259
; %bb.258:
	v_div_scale_f64 v[212:213], null, v[216:217], v[216:217], v[218:219]
	v_div_scale_f64 v[224:225], vcc_lo, v[218:219], v[216:217], v[218:219]
	s_delay_alu instid0(VALU_DEP_2) | instskip(SKIP_2) | instid1(VALU_DEP_1)
	v_rcp_f64_e32 v[220:221], v[212:213]
	s_waitcnt_depctr 0xfff
	v_fma_f64 v[222:223], -v[212:213], v[220:221], 1.0
	v_fma_f64 v[220:221], v[220:221], v[222:223], v[220:221]
	s_delay_alu instid0(VALU_DEP_1) | instskip(NEXT) | instid1(VALU_DEP_1)
	v_fma_f64 v[222:223], -v[212:213], v[220:221], 1.0
	v_fma_f64 v[220:221], v[220:221], v[222:223], v[220:221]
	s_delay_alu instid0(VALU_DEP_1) | instskip(NEXT) | instid1(VALU_DEP_1)
	v_mul_f64 v[222:223], v[224:225], v[220:221]
	v_fma_f64 v[212:213], -v[212:213], v[222:223], v[224:225]
	s_delay_alu instid0(VALU_DEP_1) | instskip(NEXT) | instid1(VALU_DEP_1)
	v_div_fmas_f64 v[212:213], v[212:213], v[220:221], v[222:223]
	v_div_fixup_f64 v[220:221], v[212:213], v[216:217], v[218:219]
	s_delay_alu instid0(VALU_DEP_1) | instskip(NEXT) | instid1(VALU_DEP_1)
	v_fma_f64 v[212:213], v[218:219], v[220:221], v[216:217]
	v_div_scale_f64 v[216:217], null, v[212:213], v[212:213], 1.0
	s_delay_alu instid0(VALU_DEP_1) | instskip(SKIP_2) | instid1(VALU_DEP_1)
	v_rcp_f64_e32 v[218:219], v[216:217]
	s_waitcnt_depctr 0xfff
	v_fma_f64 v[222:223], -v[216:217], v[218:219], 1.0
	v_fma_f64 v[218:219], v[218:219], v[222:223], v[218:219]
	s_delay_alu instid0(VALU_DEP_1) | instskip(NEXT) | instid1(VALU_DEP_1)
	v_fma_f64 v[222:223], -v[216:217], v[218:219], 1.0
	v_fma_f64 v[218:219], v[218:219], v[222:223], v[218:219]
	v_div_scale_f64 v[222:223], vcc_lo, 1.0, v[212:213], 1.0
	s_delay_alu instid0(VALU_DEP_1) | instskip(NEXT) | instid1(VALU_DEP_1)
	v_mul_f64 v[224:225], v[222:223], v[218:219]
	v_fma_f64 v[216:217], -v[216:217], v[224:225], v[222:223]
	s_delay_alu instid0(VALU_DEP_1) | instskip(NEXT) | instid1(VALU_DEP_1)
	v_div_fmas_f64 v[216:217], v[216:217], v[218:219], v[224:225]
	v_div_fixup_f64 v[212:213], v[216:217], v[212:213], 1.0
	s_delay_alu instid0(VALU_DEP_1)
	v_mul_f64 v[222:223], v[220:221], -v[212:213]
.LBB117_259:
	s_or_b32 exec_lo, exec_lo, s3
	ds_store_2addr_b64 v209, v[212:213], v[222:223] offset1:1
.LBB117_260:
	s_or_b32 exec_lo, exec_lo, s4
	s_waitcnt lgkmcnt(0)
	s_barrier
	buffer_gl0_inv
	ds_load_2addr_b64 v[204:207], v209 offset1:1
	s_mov_b32 s3, exec_lo
	s_waitcnt lgkmcnt(0)
	scratch_store_b128 off, v[204:207], off offset:1036 ; 16-byte Folded Spill
	v_cmpx_lt_u32_e32 28, v208
	s_cbranch_execz .LBB117_262
; %bb.261:
	scratch_load_b128 v[204:207], off, off offset:1036 ; 16-byte Folded Reload
	ds_load_2addr_b64 v[218:221], v214 offset0:58 offset1:59
	s_waitcnt vmcnt(0)
	v_mul_f64 v[212:213], v[206:207], v[122:123]
	v_mul_f64 v[122:123], v[204:205], v[122:123]
	s_delay_alu instid0(VALU_DEP_2) | instskip(NEXT) | instid1(VALU_DEP_2)
	v_fma_f64 v[216:217], v[204:205], v[120:121], -v[212:213]
	v_fma_f64 v[122:123], v[206:207], v[120:121], v[122:123]
	s_waitcnt lgkmcnt(0)
	s_delay_alu instid0(VALU_DEP_1) | instskip(SKIP_1) | instid1(VALU_DEP_2)
	v_mul_f64 v[120:121], v[220:221], v[122:123]
	v_mul_f64 v[212:213], v[218:219], v[122:123]
	v_fma_f64 v[120:121], v[218:219], v[216:217], -v[120:121]
	s_delay_alu instid0(VALU_DEP_2)
	v_fma_f64 v[212:213], v[220:221], v[216:217], v[212:213]
	ds_load_2addr_b64 v[218:221], v214 offset0:60 offset1:61
	v_add_f64 v[116:117], v[116:117], -v[120:121]
	v_add_f64 v[118:119], v[118:119], -v[212:213]
	s_waitcnt lgkmcnt(0)
	v_mul_f64 v[120:121], v[220:221], v[122:123]
	v_mul_f64 v[212:213], v[218:219], v[122:123]
	s_delay_alu instid0(VALU_DEP_2) | instskip(NEXT) | instid1(VALU_DEP_2)
	v_fma_f64 v[120:121], v[218:219], v[216:217], -v[120:121]
	v_fma_f64 v[212:213], v[220:221], v[216:217], v[212:213]
	ds_load_2addr_b64 v[218:221], v214 offset0:62 offset1:63
	v_add_f64 v[112:113], v[112:113], -v[120:121]
	v_add_f64 v[114:115], v[114:115], -v[212:213]
	s_waitcnt lgkmcnt(0)
	v_mul_f64 v[120:121], v[220:221], v[122:123]
	v_mul_f64 v[212:213], v[218:219], v[122:123]
	s_delay_alu instid0(VALU_DEP_2) | instskip(NEXT) | instid1(VALU_DEP_2)
	v_fma_f64 v[120:121], v[218:219], v[216:217], -v[120:121]
	;; [unrolled: 9-line block ×29, first 2 shown]
	v_fma_f64 v[212:213], v[220:221], v[216:217], v[212:213]
	s_delay_alu instid0(VALU_DEP_2) | instskip(NEXT) | instid1(VALU_DEP_2)
	v_add_f64 v[0:1], v[0:1], -v[120:121]
	v_add_f64 v[2:3], v[2:3], -v[212:213]
	v_dual_mov_b32 v120, v216 :: v_dual_mov_b32 v121, v217
.LBB117_262:
	s_or_b32 exec_lo, exec_lo, s3
	s_delay_alu instid0(SALU_CYCLE_1)
	s_mov_b32 s4, exec_lo
	s_waitcnt_vscnt null, 0x0
	s_barrier
	buffer_gl0_inv
	v_cmpx_eq_u32_e32 29, v208
	s_cbranch_execz .LBB117_269
; %bb.263:
	ds_store_2addr_b64 v209, v[116:117], v[118:119] offset1:1
	ds_store_2addr_b64 v214, v[112:113], v[114:115] offset0:60 offset1:61
	ds_store_2addr_b64 v214, v[108:109], v[110:111] offset0:62 offset1:63
	;; [unrolled: 1-line block ×29, first 2 shown]
	ds_load_2addr_b64 v[216:219], v209 offset1:1
	s_waitcnt lgkmcnt(0)
	v_cmp_neq_f64_e32 vcc_lo, 0, v[216:217]
	v_cmp_neq_f64_e64 s3, 0, v[218:219]
	s_delay_alu instid0(VALU_DEP_1) | instskip(NEXT) | instid1(SALU_CYCLE_1)
	s_or_b32 s3, vcc_lo, s3
	s_and_b32 exec_lo, exec_lo, s3
	s_cbranch_execz .LBB117_269
; %bb.264:
	v_cmp_gt_f64_e32 vcc_lo, 0, v[216:217]
	v_xor_b32_e32 v212, 0x80000000, v217
	v_xor_b32_e32 v215, 0x80000000, v219
	s_delay_alu instid0(VALU_DEP_2) | instskip(SKIP_2) | instid1(VALU_DEP_4)
	v_cndmask_b32_e32 v213, v217, v212, vcc_lo
	v_cndmask_b32_e32 v212, v216, v216, vcc_lo
	v_cmp_gt_f64_e32 vcc_lo, 0, v[218:219]
	v_dual_cndmask_b32 v221, v219, v215 :: v_dual_cndmask_b32 v220, v218, v218
	s_delay_alu instid0(VALU_DEP_1) | instskip(SKIP_1) | instid1(SALU_CYCLE_1)
	v_cmp_ngt_f64_e32 vcc_lo, v[212:213], v[220:221]
                                        ; implicit-def: $vgpr212_vgpr213
	s_and_saveexec_b32 s3, vcc_lo
	s_xor_b32 s3, exec_lo, s3
                                        ; implicit-def: $vgpr220_vgpr221_vgpr222_vgpr223
	s_cbranch_execz .LBB117_266
; %bb.265:
	v_div_scale_f64 v[212:213], null, v[218:219], v[218:219], v[216:217]
	v_div_scale_f64 v[224:225], vcc_lo, v[216:217], v[218:219], v[216:217]
	s_delay_alu instid0(VALU_DEP_2) | instskip(SKIP_2) | instid1(VALU_DEP_1)
	v_rcp_f64_e32 v[220:221], v[212:213]
	s_waitcnt_depctr 0xfff
	v_fma_f64 v[222:223], -v[212:213], v[220:221], 1.0
	v_fma_f64 v[220:221], v[220:221], v[222:223], v[220:221]
	s_delay_alu instid0(VALU_DEP_1) | instskip(NEXT) | instid1(VALU_DEP_1)
	v_fma_f64 v[222:223], -v[212:213], v[220:221], 1.0
	v_fma_f64 v[220:221], v[220:221], v[222:223], v[220:221]
	s_delay_alu instid0(VALU_DEP_1) | instskip(NEXT) | instid1(VALU_DEP_1)
	v_mul_f64 v[222:223], v[224:225], v[220:221]
	v_fma_f64 v[212:213], -v[212:213], v[222:223], v[224:225]
	s_delay_alu instid0(VALU_DEP_1) | instskip(NEXT) | instid1(VALU_DEP_1)
	v_div_fmas_f64 v[212:213], v[212:213], v[220:221], v[222:223]
	v_div_fixup_f64 v[212:213], v[212:213], v[218:219], v[216:217]
	s_delay_alu instid0(VALU_DEP_1) | instskip(NEXT) | instid1(VALU_DEP_1)
	v_fma_f64 v[216:217], v[216:217], v[212:213], v[218:219]
	v_div_scale_f64 v[218:219], null, v[216:217], v[216:217], 1.0
	s_delay_alu instid0(VALU_DEP_1) | instskip(SKIP_2) | instid1(VALU_DEP_1)
	v_rcp_f64_e32 v[220:221], v[218:219]
	s_waitcnt_depctr 0xfff
	v_fma_f64 v[222:223], -v[218:219], v[220:221], 1.0
	v_fma_f64 v[220:221], v[220:221], v[222:223], v[220:221]
	s_delay_alu instid0(VALU_DEP_1) | instskip(NEXT) | instid1(VALU_DEP_1)
	v_fma_f64 v[222:223], -v[218:219], v[220:221], 1.0
	v_fma_f64 v[220:221], v[220:221], v[222:223], v[220:221]
	v_div_scale_f64 v[222:223], vcc_lo, 1.0, v[216:217], 1.0
	s_delay_alu instid0(VALU_DEP_1) | instskip(NEXT) | instid1(VALU_DEP_1)
	v_mul_f64 v[224:225], v[222:223], v[220:221]
	v_fma_f64 v[218:219], -v[218:219], v[224:225], v[222:223]
	s_delay_alu instid0(VALU_DEP_1) | instskip(NEXT) | instid1(VALU_DEP_1)
	v_div_fmas_f64 v[218:219], v[218:219], v[220:221], v[224:225]
	v_div_fixup_f64 v[222:223], v[218:219], v[216:217], 1.0
                                        ; implicit-def: $vgpr216_vgpr217
	s_delay_alu instid0(VALU_DEP_1)
	v_mul_f64 v[212:213], v[212:213], v[222:223]
	v_xor_b32_e32 v223, 0x80000000, v223
.LBB117_266:
	s_and_not1_saveexec_b32 s3, s3
	s_cbranch_execz .LBB117_268
; %bb.267:
	v_div_scale_f64 v[212:213], null, v[216:217], v[216:217], v[218:219]
	v_div_scale_f64 v[224:225], vcc_lo, v[218:219], v[216:217], v[218:219]
	s_delay_alu instid0(VALU_DEP_2) | instskip(SKIP_2) | instid1(VALU_DEP_1)
	v_rcp_f64_e32 v[220:221], v[212:213]
	s_waitcnt_depctr 0xfff
	v_fma_f64 v[222:223], -v[212:213], v[220:221], 1.0
	v_fma_f64 v[220:221], v[220:221], v[222:223], v[220:221]
	s_delay_alu instid0(VALU_DEP_1) | instskip(NEXT) | instid1(VALU_DEP_1)
	v_fma_f64 v[222:223], -v[212:213], v[220:221], 1.0
	v_fma_f64 v[220:221], v[220:221], v[222:223], v[220:221]
	s_delay_alu instid0(VALU_DEP_1) | instskip(NEXT) | instid1(VALU_DEP_1)
	v_mul_f64 v[222:223], v[224:225], v[220:221]
	v_fma_f64 v[212:213], -v[212:213], v[222:223], v[224:225]
	s_delay_alu instid0(VALU_DEP_1) | instskip(NEXT) | instid1(VALU_DEP_1)
	v_div_fmas_f64 v[212:213], v[212:213], v[220:221], v[222:223]
	v_div_fixup_f64 v[220:221], v[212:213], v[216:217], v[218:219]
	s_delay_alu instid0(VALU_DEP_1) | instskip(NEXT) | instid1(VALU_DEP_1)
	v_fma_f64 v[212:213], v[218:219], v[220:221], v[216:217]
	v_div_scale_f64 v[216:217], null, v[212:213], v[212:213], 1.0
	s_delay_alu instid0(VALU_DEP_1) | instskip(SKIP_2) | instid1(VALU_DEP_1)
	v_rcp_f64_e32 v[218:219], v[216:217]
	s_waitcnt_depctr 0xfff
	v_fma_f64 v[222:223], -v[216:217], v[218:219], 1.0
	v_fma_f64 v[218:219], v[218:219], v[222:223], v[218:219]
	s_delay_alu instid0(VALU_DEP_1) | instskip(NEXT) | instid1(VALU_DEP_1)
	v_fma_f64 v[222:223], -v[216:217], v[218:219], 1.0
	v_fma_f64 v[218:219], v[218:219], v[222:223], v[218:219]
	v_div_scale_f64 v[222:223], vcc_lo, 1.0, v[212:213], 1.0
	s_delay_alu instid0(VALU_DEP_1) | instskip(NEXT) | instid1(VALU_DEP_1)
	v_mul_f64 v[224:225], v[222:223], v[218:219]
	v_fma_f64 v[216:217], -v[216:217], v[224:225], v[222:223]
	s_delay_alu instid0(VALU_DEP_1) | instskip(NEXT) | instid1(VALU_DEP_1)
	v_div_fmas_f64 v[216:217], v[216:217], v[218:219], v[224:225]
	v_div_fixup_f64 v[212:213], v[216:217], v[212:213], 1.0
	s_delay_alu instid0(VALU_DEP_1)
	v_mul_f64 v[222:223], v[220:221], -v[212:213]
.LBB117_268:
	s_or_b32 exec_lo, exec_lo, s3
	ds_store_2addr_b64 v209, v[212:213], v[222:223] offset1:1
.LBB117_269:
	s_or_b32 exec_lo, exec_lo, s4
	s_waitcnt lgkmcnt(0)
	s_barrier
	buffer_gl0_inv
	ds_load_2addr_b64 v[204:207], v209 offset1:1
	s_mov_b32 s3, exec_lo
	s_waitcnt lgkmcnt(0)
	scratch_store_b128 off, v[204:207], off offset:1052 ; 16-byte Folded Spill
	v_cmpx_lt_u32_e32 29, v208
	s_cbranch_execz .LBB117_271
; %bb.270:
	scratch_load_b128 v[204:207], off, off offset:1052 ; 16-byte Folded Reload
	ds_load_2addr_b64 v[218:221], v214 offset0:60 offset1:61
	s_waitcnt vmcnt(0)
	v_mul_f64 v[212:213], v[206:207], v[118:119]
	v_mul_f64 v[118:119], v[204:205], v[118:119]
	s_delay_alu instid0(VALU_DEP_2) | instskip(NEXT) | instid1(VALU_DEP_2)
	v_fma_f64 v[216:217], v[204:205], v[116:117], -v[212:213]
	v_fma_f64 v[118:119], v[206:207], v[116:117], v[118:119]
	s_waitcnt lgkmcnt(0)
	s_delay_alu instid0(VALU_DEP_1) | instskip(SKIP_1) | instid1(VALU_DEP_2)
	v_mul_f64 v[116:117], v[220:221], v[118:119]
	v_mul_f64 v[212:213], v[218:219], v[118:119]
	v_fma_f64 v[116:117], v[218:219], v[216:217], -v[116:117]
	s_delay_alu instid0(VALU_DEP_2)
	v_fma_f64 v[212:213], v[220:221], v[216:217], v[212:213]
	ds_load_2addr_b64 v[218:221], v214 offset0:62 offset1:63
	v_add_f64 v[112:113], v[112:113], -v[116:117]
	v_add_f64 v[114:115], v[114:115], -v[212:213]
	s_waitcnt lgkmcnt(0)
	v_mul_f64 v[116:117], v[220:221], v[118:119]
	v_mul_f64 v[212:213], v[218:219], v[118:119]
	s_delay_alu instid0(VALU_DEP_2) | instskip(NEXT) | instid1(VALU_DEP_2)
	v_fma_f64 v[116:117], v[218:219], v[216:217], -v[116:117]
	v_fma_f64 v[212:213], v[220:221], v[216:217], v[212:213]
	ds_load_2addr_b64 v[218:221], v214 offset0:64 offset1:65
	v_add_f64 v[108:109], v[108:109], -v[116:117]
	v_add_f64 v[110:111], v[110:111], -v[212:213]
	s_waitcnt lgkmcnt(0)
	v_mul_f64 v[116:117], v[220:221], v[118:119]
	v_mul_f64 v[212:213], v[218:219], v[118:119]
	s_delay_alu instid0(VALU_DEP_2) | instskip(NEXT) | instid1(VALU_DEP_2)
	v_fma_f64 v[116:117], v[218:219], v[216:217], -v[116:117]
	v_fma_f64 v[212:213], v[220:221], v[216:217], v[212:213]
	ds_load_2addr_b64 v[218:221], v214 offset0:66 offset1:67
	v_add_f64 v[104:105], v[104:105], -v[116:117]
	v_add_f64 v[106:107], v[106:107], -v[212:213]
	s_waitcnt lgkmcnt(0)
	v_mul_f64 v[116:117], v[220:221], v[118:119]
	v_mul_f64 v[212:213], v[218:219], v[118:119]
	s_delay_alu instid0(VALU_DEP_2) | instskip(NEXT) | instid1(VALU_DEP_2)
	v_fma_f64 v[116:117], v[218:219], v[216:217], -v[116:117]
	v_fma_f64 v[212:213], v[220:221], v[216:217], v[212:213]
	ds_load_2addr_b64 v[218:221], v214 offset0:68 offset1:69
	v_add_f64 v[100:101], v[100:101], -v[116:117]
	v_add_f64 v[102:103], v[102:103], -v[212:213]
	s_waitcnt lgkmcnt(0)
	v_mul_f64 v[116:117], v[220:221], v[118:119]
	v_mul_f64 v[212:213], v[218:219], v[118:119]
	s_delay_alu instid0(VALU_DEP_2) | instskip(NEXT) | instid1(VALU_DEP_2)
	v_fma_f64 v[116:117], v[218:219], v[216:217], -v[116:117]
	v_fma_f64 v[212:213], v[220:221], v[216:217], v[212:213]
	ds_load_2addr_b64 v[218:221], v214 offset0:70 offset1:71
	v_add_f64 v[96:97], v[96:97], -v[116:117]
	v_add_f64 v[98:99], v[98:99], -v[212:213]
	s_waitcnt lgkmcnt(0)
	v_mul_f64 v[116:117], v[220:221], v[118:119]
	v_mul_f64 v[212:213], v[218:219], v[118:119]
	s_delay_alu instid0(VALU_DEP_2) | instskip(NEXT) | instid1(VALU_DEP_2)
	v_fma_f64 v[116:117], v[218:219], v[216:217], -v[116:117]
	v_fma_f64 v[212:213], v[220:221], v[216:217], v[212:213]
	ds_load_2addr_b64 v[218:221], v214 offset0:72 offset1:73
	v_add_f64 v[92:93], v[92:93], -v[116:117]
	v_add_f64 v[94:95], v[94:95], -v[212:213]
	s_waitcnt lgkmcnt(0)
	v_mul_f64 v[116:117], v[220:221], v[118:119]
	v_mul_f64 v[212:213], v[218:219], v[118:119]
	s_delay_alu instid0(VALU_DEP_2) | instskip(NEXT) | instid1(VALU_DEP_2)
	v_fma_f64 v[116:117], v[218:219], v[216:217], -v[116:117]
	v_fma_f64 v[212:213], v[220:221], v[216:217], v[212:213]
	ds_load_2addr_b64 v[218:221], v214 offset0:74 offset1:75
	v_add_f64 v[88:89], v[88:89], -v[116:117]
	v_add_f64 v[90:91], v[90:91], -v[212:213]
	s_waitcnt lgkmcnt(0)
	v_mul_f64 v[116:117], v[220:221], v[118:119]
	v_mul_f64 v[212:213], v[218:219], v[118:119]
	s_delay_alu instid0(VALU_DEP_2) | instskip(NEXT) | instid1(VALU_DEP_2)
	v_fma_f64 v[116:117], v[218:219], v[216:217], -v[116:117]
	v_fma_f64 v[212:213], v[220:221], v[216:217], v[212:213]
	ds_load_2addr_b64 v[218:221], v214 offset0:76 offset1:77
	v_add_f64 v[84:85], v[84:85], -v[116:117]
	v_add_f64 v[86:87], v[86:87], -v[212:213]
	s_waitcnt lgkmcnt(0)
	v_mul_f64 v[116:117], v[220:221], v[118:119]
	v_mul_f64 v[212:213], v[218:219], v[118:119]
	s_delay_alu instid0(VALU_DEP_2) | instskip(NEXT) | instid1(VALU_DEP_2)
	v_fma_f64 v[116:117], v[218:219], v[216:217], -v[116:117]
	v_fma_f64 v[212:213], v[220:221], v[216:217], v[212:213]
	ds_load_2addr_b64 v[218:221], v214 offset0:78 offset1:79
	v_add_f64 v[80:81], v[80:81], -v[116:117]
	v_add_f64 v[82:83], v[82:83], -v[212:213]
	s_waitcnt lgkmcnt(0)
	v_mul_f64 v[116:117], v[220:221], v[118:119]
	v_mul_f64 v[212:213], v[218:219], v[118:119]
	s_delay_alu instid0(VALU_DEP_2) | instskip(NEXT) | instid1(VALU_DEP_2)
	v_fma_f64 v[116:117], v[218:219], v[216:217], -v[116:117]
	v_fma_f64 v[212:213], v[220:221], v[216:217], v[212:213]
	ds_load_2addr_b64 v[218:221], v214 offset0:80 offset1:81
	v_add_f64 v[76:77], v[76:77], -v[116:117]
	v_add_f64 v[78:79], v[78:79], -v[212:213]
	s_waitcnt lgkmcnt(0)
	v_mul_f64 v[116:117], v[220:221], v[118:119]
	v_mul_f64 v[212:213], v[218:219], v[118:119]
	s_delay_alu instid0(VALU_DEP_2) | instskip(NEXT) | instid1(VALU_DEP_2)
	v_fma_f64 v[116:117], v[218:219], v[216:217], -v[116:117]
	v_fma_f64 v[212:213], v[220:221], v[216:217], v[212:213]
	ds_load_2addr_b64 v[218:221], v214 offset0:82 offset1:83
	v_add_f64 v[72:73], v[72:73], -v[116:117]
	v_add_f64 v[74:75], v[74:75], -v[212:213]
	s_waitcnt lgkmcnt(0)
	v_mul_f64 v[116:117], v[220:221], v[118:119]
	v_mul_f64 v[212:213], v[218:219], v[118:119]
	s_delay_alu instid0(VALU_DEP_2) | instskip(NEXT) | instid1(VALU_DEP_2)
	v_fma_f64 v[116:117], v[218:219], v[216:217], -v[116:117]
	v_fma_f64 v[212:213], v[220:221], v[216:217], v[212:213]
	ds_load_2addr_b64 v[218:221], v214 offset0:84 offset1:85
	v_add_f64 v[68:69], v[68:69], -v[116:117]
	v_add_f64 v[70:71], v[70:71], -v[212:213]
	s_waitcnt lgkmcnt(0)
	v_mul_f64 v[116:117], v[220:221], v[118:119]
	v_mul_f64 v[212:213], v[218:219], v[118:119]
	s_delay_alu instid0(VALU_DEP_2) | instskip(NEXT) | instid1(VALU_DEP_2)
	v_fma_f64 v[116:117], v[218:219], v[216:217], -v[116:117]
	v_fma_f64 v[212:213], v[220:221], v[216:217], v[212:213]
	ds_load_2addr_b64 v[218:221], v214 offset0:86 offset1:87
	v_add_f64 v[64:65], v[64:65], -v[116:117]
	v_add_f64 v[66:67], v[66:67], -v[212:213]
	s_waitcnt lgkmcnt(0)
	v_mul_f64 v[116:117], v[220:221], v[118:119]
	v_mul_f64 v[212:213], v[218:219], v[118:119]
	s_delay_alu instid0(VALU_DEP_2) | instskip(NEXT) | instid1(VALU_DEP_2)
	v_fma_f64 v[116:117], v[218:219], v[216:217], -v[116:117]
	v_fma_f64 v[212:213], v[220:221], v[216:217], v[212:213]
	ds_load_2addr_b64 v[218:221], v214 offset0:88 offset1:89
	v_add_f64 v[60:61], v[60:61], -v[116:117]
	v_add_f64 v[62:63], v[62:63], -v[212:213]
	s_waitcnt lgkmcnt(0)
	v_mul_f64 v[116:117], v[220:221], v[118:119]
	v_mul_f64 v[212:213], v[218:219], v[118:119]
	s_delay_alu instid0(VALU_DEP_2) | instskip(NEXT) | instid1(VALU_DEP_2)
	v_fma_f64 v[116:117], v[218:219], v[216:217], -v[116:117]
	v_fma_f64 v[212:213], v[220:221], v[216:217], v[212:213]
	ds_load_2addr_b64 v[218:221], v214 offset0:90 offset1:91
	v_add_f64 v[56:57], v[56:57], -v[116:117]
	v_add_f64 v[58:59], v[58:59], -v[212:213]
	s_waitcnt lgkmcnt(0)
	v_mul_f64 v[116:117], v[220:221], v[118:119]
	v_mul_f64 v[212:213], v[218:219], v[118:119]
	s_delay_alu instid0(VALU_DEP_2) | instskip(NEXT) | instid1(VALU_DEP_2)
	v_fma_f64 v[116:117], v[218:219], v[216:217], -v[116:117]
	v_fma_f64 v[212:213], v[220:221], v[216:217], v[212:213]
	ds_load_2addr_b64 v[218:221], v214 offset0:92 offset1:93
	v_add_f64 v[52:53], v[52:53], -v[116:117]
	v_add_f64 v[54:55], v[54:55], -v[212:213]
	s_waitcnt lgkmcnt(0)
	v_mul_f64 v[116:117], v[220:221], v[118:119]
	v_mul_f64 v[212:213], v[218:219], v[118:119]
	s_delay_alu instid0(VALU_DEP_2) | instskip(NEXT) | instid1(VALU_DEP_2)
	v_fma_f64 v[116:117], v[218:219], v[216:217], -v[116:117]
	v_fma_f64 v[212:213], v[220:221], v[216:217], v[212:213]
	ds_load_2addr_b64 v[218:221], v214 offset0:94 offset1:95
	v_add_f64 v[48:49], v[48:49], -v[116:117]
	v_add_f64 v[50:51], v[50:51], -v[212:213]
	s_waitcnt lgkmcnt(0)
	v_mul_f64 v[116:117], v[220:221], v[118:119]
	v_mul_f64 v[212:213], v[218:219], v[118:119]
	s_delay_alu instid0(VALU_DEP_2) | instskip(NEXT) | instid1(VALU_DEP_2)
	v_fma_f64 v[116:117], v[218:219], v[216:217], -v[116:117]
	v_fma_f64 v[212:213], v[220:221], v[216:217], v[212:213]
	ds_load_2addr_b64 v[218:221], v214 offset0:96 offset1:97
	v_add_f64 v[44:45], v[44:45], -v[116:117]
	v_add_f64 v[46:47], v[46:47], -v[212:213]
	s_waitcnt lgkmcnt(0)
	v_mul_f64 v[116:117], v[220:221], v[118:119]
	v_mul_f64 v[212:213], v[218:219], v[118:119]
	s_delay_alu instid0(VALU_DEP_2) | instskip(NEXT) | instid1(VALU_DEP_2)
	v_fma_f64 v[116:117], v[218:219], v[216:217], -v[116:117]
	v_fma_f64 v[212:213], v[220:221], v[216:217], v[212:213]
	ds_load_2addr_b64 v[218:221], v214 offset0:98 offset1:99
	v_add_f64 v[40:41], v[40:41], -v[116:117]
	v_add_f64 v[42:43], v[42:43], -v[212:213]
	s_waitcnt lgkmcnt(0)
	v_mul_f64 v[116:117], v[220:221], v[118:119]
	v_mul_f64 v[212:213], v[218:219], v[118:119]
	s_delay_alu instid0(VALU_DEP_2) | instskip(NEXT) | instid1(VALU_DEP_2)
	v_fma_f64 v[116:117], v[218:219], v[216:217], -v[116:117]
	v_fma_f64 v[212:213], v[220:221], v[216:217], v[212:213]
	ds_load_2addr_b64 v[218:221], v214 offset0:100 offset1:101
	v_add_f64 v[36:37], v[36:37], -v[116:117]
	v_add_f64 v[38:39], v[38:39], -v[212:213]
	s_waitcnt lgkmcnt(0)
	v_mul_f64 v[116:117], v[220:221], v[118:119]
	v_mul_f64 v[212:213], v[218:219], v[118:119]
	s_delay_alu instid0(VALU_DEP_2) | instskip(NEXT) | instid1(VALU_DEP_2)
	v_fma_f64 v[116:117], v[218:219], v[216:217], -v[116:117]
	v_fma_f64 v[212:213], v[220:221], v[216:217], v[212:213]
	ds_load_2addr_b64 v[218:221], v214 offset0:102 offset1:103
	v_add_f64 v[32:33], v[32:33], -v[116:117]
	v_add_f64 v[34:35], v[34:35], -v[212:213]
	s_waitcnt lgkmcnt(0)
	v_mul_f64 v[116:117], v[220:221], v[118:119]
	v_mul_f64 v[212:213], v[218:219], v[118:119]
	s_delay_alu instid0(VALU_DEP_2) | instskip(NEXT) | instid1(VALU_DEP_2)
	v_fma_f64 v[116:117], v[218:219], v[216:217], -v[116:117]
	v_fma_f64 v[212:213], v[220:221], v[216:217], v[212:213]
	ds_load_2addr_b64 v[218:221], v214 offset0:104 offset1:105
	v_add_f64 v[28:29], v[28:29], -v[116:117]
	v_add_f64 v[30:31], v[30:31], -v[212:213]
	s_waitcnt lgkmcnt(0)
	v_mul_f64 v[116:117], v[220:221], v[118:119]
	v_mul_f64 v[212:213], v[218:219], v[118:119]
	s_delay_alu instid0(VALU_DEP_2) | instskip(NEXT) | instid1(VALU_DEP_2)
	v_fma_f64 v[116:117], v[218:219], v[216:217], -v[116:117]
	v_fma_f64 v[212:213], v[220:221], v[216:217], v[212:213]
	ds_load_2addr_b64 v[218:221], v214 offset0:106 offset1:107
	v_add_f64 v[24:25], v[24:25], -v[116:117]
	v_add_f64 v[26:27], v[26:27], -v[212:213]
	s_waitcnt lgkmcnt(0)
	v_mul_f64 v[116:117], v[220:221], v[118:119]
	v_mul_f64 v[212:213], v[218:219], v[118:119]
	s_delay_alu instid0(VALU_DEP_2) | instskip(NEXT) | instid1(VALU_DEP_2)
	v_fma_f64 v[116:117], v[218:219], v[216:217], -v[116:117]
	v_fma_f64 v[212:213], v[220:221], v[216:217], v[212:213]
	ds_load_2addr_b64 v[218:221], v214 offset0:108 offset1:109
	v_add_f64 v[20:21], v[20:21], -v[116:117]
	v_add_f64 v[22:23], v[22:23], -v[212:213]
	s_waitcnt lgkmcnt(0)
	v_mul_f64 v[116:117], v[220:221], v[118:119]
	v_mul_f64 v[212:213], v[218:219], v[118:119]
	s_delay_alu instid0(VALU_DEP_2) | instskip(NEXT) | instid1(VALU_DEP_2)
	v_fma_f64 v[116:117], v[218:219], v[216:217], -v[116:117]
	v_fma_f64 v[212:213], v[220:221], v[216:217], v[212:213]
	ds_load_2addr_b64 v[218:221], v214 offset0:110 offset1:111
	v_add_f64 v[16:17], v[16:17], -v[116:117]
	v_add_f64 v[18:19], v[18:19], -v[212:213]
	s_waitcnt lgkmcnt(0)
	v_mul_f64 v[116:117], v[220:221], v[118:119]
	v_mul_f64 v[212:213], v[218:219], v[118:119]
	s_delay_alu instid0(VALU_DEP_2) | instskip(NEXT) | instid1(VALU_DEP_2)
	v_fma_f64 v[116:117], v[218:219], v[216:217], -v[116:117]
	v_fma_f64 v[212:213], v[220:221], v[216:217], v[212:213]
	ds_load_2addr_b64 v[218:221], v214 offset0:112 offset1:113
	v_add_f64 v[12:13], v[12:13], -v[116:117]
	v_add_f64 v[14:15], v[14:15], -v[212:213]
	s_waitcnt lgkmcnt(0)
	v_mul_f64 v[116:117], v[220:221], v[118:119]
	v_mul_f64 v[212:213], v[218:219], v[118:119]
	s_delay_alu instid0(VALU_DEP_2) | instskip(NEXT) | instid1(VALU_DEP_2)
	v_fma_f64 v[116:117], v[218:219], v[216:217], -v[116:117]
	v_fma_f64 v[212:213], v[220:221], v[216:217], v[212:213]
	ds_load_2addr_b64 v[218:221], v214 offset0:114 offset1:115
	v_add_f64 v[8:9], v[8:9], -v[116:117]
	v_add_f64 v[10:11], v[10:11], -v[212:213]
	s_waitcnt lgkmcnt(0)
	v_mul_f64 v[116:117], v[220:221], v[118:119]
	v_mul_f64 v[212:213], v[218:219], v[118:119]
	s_delay_alu instid0(VALU_DEP_2) | instskip(NEXT) | instid1(VALU_DEP_2)
	v_fma_f64 v[116:117], v[218:219], v[216:217], -v[116:117]
	v_fma_f64 v[212:213], v[220:221], v[216:217], v[212:213]
	ds_load_2addr_b64 v[218:221], v214 offset0:116 offset1:117
	v_add_f64 v[4:5], v[4:5], -v[116:117]
	v_add_f64 v[6:7], v[6:7], -v[212:213]
	s_waitcnt lgkmcnt(0)
	v_mul_f64 v[116:117], v[220:221], v[118:119]
	v_mul_f64 v[212:213], v[218:219], v[118:119]
	s_delay_alu instid0(VALU_DEP_2) | instskip(NEXT) | instid1(VALU_DEP_2)
	v_fma_f64 v[116:117], v[218:219], v[216:217], -v[116:117]
	v_fma_f64 v[212:213], v[220:221], v[216:217], v[212:213]
	s_delay_alu instid0(VALU_DEP_2) | instskip(NEXT) | instid1(VALU_DEP_2)
	v_add_f64 v[0:1], v[0:1], -v[116:117]
	v_add_f64 v[2:3], v[2:3], -v[212:213]
	v_dual_mov_b32 v116, v216 :: v_dual_mov_b32 v117, v217
.LBB117_271:
	s_or_b32 exec_lo, exec_lo, s3
	s_delay_alu instid0(SALU_CYCLE_1)
	s_mov_b32 s4, exec_lo
	s_waitcnt_vscnt null, 0x0
	s_barrier
	buffer_gl0_inv
	v_cmpx_eq_u32_e32 30, v208
	s_cbranch_execz .LBB117_278
; %bb.272:
	ds_store_2addr_b64 v209, v[112:113], v[114:115] offset1:1
	ds_store_2addr_b64 v214, v[108:109], v[110:111] offset0:62 offset1:63
	ds_store_2addr_b64 v214, v[104:105], v[106:107] offset0:64 offset1:65
	;; [unrolled: 1-line block ×28, first 2 shown]
	ds_load_2addr_b64 v[216:219], v209 offset1:1
	s_waitcnt lgkmcnt(0)
	v_cmp_neq_f64_e32 vcc_lo, 0, v[216:217]
	v_cmp_neq_f64_e64 s3, 0, v[218:219]
	s_delay_alu instid0(VALU_DEP_1) | instskip(NEXT) | instid1(SALU_CYCLE_1)
	s_or_b32 s3, vcc_lo, s3
	s_and_b32 exec_lo, exec_lo, s3
	s_cbranch_execz .LBB117_278
; %bb.273:
	v_cmp_gt_f64_e32 vcc_lo, 0, v[216:217]
	v_xor_b32_e32 v212, 0x80000000, v217
	v_xor_b32_e32 v215, 0x80000000, v219
	s_delay_alu instid0(VALU_DEP_2) | instskip(SKIP_2) | instid1(VALU_DEP_4)
	v_cndmask_b32_e32 v213, v217, v212, vcc_lo
	v_cndmask_b32_e32 v212, v216, v216, vcc_lo
	v_cmp_gt_f64_e32 vcc_lo, 0, v[218:219]
	v_dual_cndmask_b32 v221, v219, v215 :: v_dual_cndmask_b32 v220, v218, v218
	s_delay_alu instid0(VALU_DEP_1) | instskip(SKIP_1) | instid1(SALU_CYCLE_1)
	v_cmp_ngt_f64_e32 vcc_lo, v[212:213], v[220:221]
                                        ; implicit-def: $vgpr212_vgpr213
	s_and_saveexec_b32 s3, vcc_lo
	s_xor_b32 s3, exec_lo, s3
                                        ; implicit-def: $vgpr220_vgpr221_vgpr222_vgpr223
	s_cbranch_execz .LBB117_275
; %bb.274:
	v_div_scale_f64 v[212:213], null, v[218:219], v[218:219], v[216:217]
	v_div_scale_f64 v[224:225], vcc_lo, v[216:217], v[218:219], v[216:217]
	s_delay_alu instid0(VALU_DEP_2) | instskip(SKIP_2) | instid1(VALU_DEP_1)
	v_rcp_f64_e32 v[220:221], v[212:213]
	s_waitcnt_depctr 0xfff
	v_fma_f64 v[222:223], -v[212:213], v[220:221], 1.0
	v_fma_f64 v[220:221], v[220:221], v[222:223], v[220:221]
	s_delay_alu instid0(VALU_DEP_1) | instskip(NEXT) | instid1(VALU_DEP_1)
	v_fma_f64 v[222:223], -v[212:213], v[220:221], 1.0
	v_fma_f64 v[220:221], v[220:221], v[222:223], v[220:221]
	s_delay_alu instid0(VALU_DEP_1) | instskip(NEXT) | instid1(VALU_DEP_1)
	v_mul_f64 v[222:223], v[224:225], v[220:221]
	v_fma_f64 v[212:213], -v[212:213], v[222:223], v[224:225]
	s_delay_alu instid0(VALU_DEP_1) | instskip(NEXT) | instid1(VALU_DEP_1)
	v_div_fmas_f64 v[212:213], v[212:213], v[220:221], v[222:223]
	v_div_fixup_f64 v[212:213], v[212:213], v[218:219], v[216:217]
	s_delay_alu instid0(VALU_DEP_1) | instskip(NEXT) | instid1(VALU_DEP_1)
	v_fma_f64 v[216:217], v[216:217], v[212:213], v[218:219]
	v_div_scale_f64 v[218:219], null, v[216:217], v[216:217], 1.0
	s_delay_alu instid0(VALU_DEP_1) | instskip(SKIP_2) | instid1(VALU_DEP_1)
	v_rcp_f64_e32 v[220:221], v[218:219]
	s_waitcnt_depctr 0xfff
	v_fma_f64 v[222:223], -v[218:219], v[220:221], 1.0
	v_fma_f64 v[220:221], v[220:221], v[222:223], v[220:221]
	s_delay_alu instid0(VALU_DEP_1) | instskip(NEXT) | instid1(VALU_DEP_1)
	v_fma_f64 v[222:223], -v[218:219], v[220:221], 1.0
	v_fma_f64 v[220:221], v[220:221], v[222:223], v[220:221]
	v_div_scale_f64 v[222:223], vcc_lo, 1.0, v[216:217], 1.0
	s_delay_alu instid0(VALU_DEP_1) | instskip(NEXT) | instid1(VALU_DEP_1)
	v_mul_f64 v[224:225], v[222:223], v[220:221]
	v_fma_f64 v[218:219], -v[218:219], v[224:225], v[222:223]
	s_delay_alu instid0(VALU_DEP_1) | instskip(NEXT) | instid1(VALU_DEP_1)
	v_div_fmas_f64 v[218:219], v[218:219], v[220:221], v[224:225]
	v_div_fixup_f64 v[222:223], v[218:219], v[216:217], 1.0
                                        ; implicit-def: $vgpr216_vgpr217
	s_delay_alu instid0(VALU_DEP_1)
	v_mul_f64 v[212:213], v[212:213], v[222:223]
	v_xor_b32_e32 v223, 0x80000000, v223
.LBB117_275:
	s_and_not1_saveexec_b32 s3, s3
	s_cbranch_execz .LBB117_277
; %bb.276:
	v_div_scale_f64 v[212:213], null, v[216:217], v[216:217], v[218:219]
	v_div_scale_f64 v[224:225], vcc_lo, v[218:219], v[216:217], v[218:219]
	s_delay_alu instid0(VALU_DEP_2) | instskip(SKIP_2) | instid1(VALU_DEP_1)
	v_rcp_f64_e32 v[220:221], v[212:213]
	s_waitcnt_depctr 0xfff
	v_fma_f64 v[222:223], -v[212:213], v[220:221], 1.0
	v_fma_f64 v[220:221], v[220:221], v[222:223], v[220:221]
	s_delay_alu instid0(VALU_DEP_1) | instskip(NEXT) | instid1(VALU_DEP_1)
	v_fma_f64 v[222:223], -v[212:213], v[220:221], 1.0
	v_fma_f64 v[220:221], v[220:221], v[222:223], v[220:221]
	s_delay_alu instid0(VALU_DEP_1) | instskip(NEXT) | instid1(VALU_DEP_1)
	v_mul_f64 v[222:223], v[224:225], v[220:221]
	v_fma_f64 v[212:213], -v[212:213], v[222:223], v[224:225]
	s_delay_alu instid0(VALU_DEP_1) | instskip(NEXT) | instid1(VALU_DEP_1)
	v_div_fmas_f64 v[212:213], v[212:213], v[220:221], v[222:223]
	v_div_fixup_f64 v[220:221], v[212:213], v[216:217], v[218:219]
	s_delay_alu instid0(VALU_DEP_1) | instskip(NEXT) | instid1(VALU_DEP_1)
	v_fma_f64 v[212:213], v[218:219], v[220:221], v[216:217]
	v_div_scale_f64 v[216:217], null, v[212:213], v[212:213], 1.0
	s_delay_alu instid0(VALU_DEP_1) | instskip(SKIP_2) | instid1(VALU_DEP_1)
	v_rcp_f64_e32 v[218:219], v[216:217]
	s_waitcnt_depctr 0xfff
	v_fma_f64 v[222:223], -v[216:217], v[218:219], 1.0
	v_fma_f64 v[218:219], v[218:219], v[222:223], v[218:219]
	s_delay_alu instid0(VALU_DEP_1) | instskip(NEXT) | instid1(VALU_DEP_1)
	v_fma_f64 v[222:223], -v[216:217], v[218:219], 1.0
	v_fma_f64 v[218:219], v[218:219], v[222:223], v[218:219]
	v_div_scale_f64 v[222:223], vcc_lo, 1.0, v[212:213], 1.0
	s_delay_alu instid0(VALU_DEP_1) | instskip(NEXT) | instid1(VALU_DEP_1)
	v_mul_f64 v[224:225], v[222:223], v[218:219]
	v_fma_f64 v[216:217], -v[216:217], v[224:225], v[222:223]
	s_delay_alu instid0(VALU_DEP_1) | instskip(NEXT) | instid1(VALU_DEP_1)
	v_div_fmas_f64 v[216:217], v[216:217], v[218:219], v[224:225]
	v_div_fixup_f64 v[212:213], v[216:217], v[212:213], 1.0
	s_delay_alu instid0(VALU_DEP_1)
	v_mul_f64 v[222:223], v[220:221], -v[212:213]
.LBB117_277:
	s_or_b32 exec_lo, exec_lo, s3
	ds_store_2addr_b64 v209, v[212:213], v[222:223] offset1:1
.LBB117_278:
	s_or_b32 exec_lo, exec_lo, s4
	s_waitcnt lgkmcnt(0)
	s_barrier
	buffer_gl0_inv
	ds_load_2addr_b64 v[204:207], v209 offset1:1
	s_mov_b32 s3, exec_lo
	s_waitcnt lgkmcnt(0)
	scratch_store_b128 off, v[204:207], off offset:1068 ; 16-byte Folded Spill
	v_cmpx_lt_u32_e32 30, v208
	s_cbranch_execz .LBB117_280
; %bb.279:
	scratch_load_b128 v[204:207], off, off offset:1068 ; 16-byte Folded Reload
	ds_load_2addr_b64 v[218:221], v214 offset0:62 offset1:63
	s_waitcnt vmcnt(0)
	v_mul_f64 v[212:213], v[206:207], v[114:115]
	v_mul_f64 v[114:115], v[204:205], v[114:115]
	s_delay_alu instid0(VALU_DEP_2) | instskip(NEXT) | instid1(VALU_DEP_2)
	v_fma_f64 v[216:217], v[204:205], v[112:113], -v[212:213]
	v_fma_f64 v[114:115], v[206:207], v[112:113], v[114:115]
	s_waitcnt lgkmcnt(0)
	s_delay_alu instid0(VALU_DEP_1) | instskip(SKIP_1) | instid1(VALU_DEP_2)
	v_mul_f64 v[112:113], v[220:221], v[114:115]
	v_mul_f64 v[212:213], v[218:219], v[114:115]
	v_fma_f64 v[112:113], v[218:219], v[216:217], -v[112:113]
	s_delay_alu instid0(VALU_DEP_2)
	v_fma_f64 v[212:213], v[220:221], v[216:217], v[212:213]
	ds_load_2addr_b64 v[218:221], v214 offset0:64 offset1:65
	v_add_f64 v[108:109], v[108:109], -v[112:113]
	v_add_f64 v[110:111], v[110:111], -v[212:213]
	s_waitcnt lgkmcnt(0)
	v_mul_f64 v[112:113], v[220:221], v[114:115]
	v_mul_f64 v[212:213], v[218:219], v[114:115]
	s_delay_alu instid0(VALU_DEP_2) | instskip(NEXT) | instid1(VALU_DEP_2)
	v_fma_f64 v[112:113], v[218:219], v[216:217], -v[112:113]
	v_fma_f64 v[212:213], v[220:221], v[216:217], v[212:213]
	ds_load_2addr_b64 v[218:221], v214 offset0:66 offset1:67
	v_add_f64 v[104:105], v[104:105], -v[112:113]
	v_add_f64 v[106:107], v[106:107], -v[212:213]
	s_waitcnt lgkmcnt(0)
	v_mul_f64 v[112:113], v[220:221], v[114:115]
	v_mul_f64 v[212:213], v[218:219], v[114:115]
	s_delay_alu instid0(VALU_DEP_2) | instskip(NEXT) | instid1(VALU_DEP_2)
	v_fma_f64 v[112:113], v[218:219], v[216:217], -v[112:113]
	;; [unrolled: 9-line block ×27, first 2 shown]
	v_fma_f64 v[212:213], v[220:221], v[216:217], v[212:213]
	s_delay_alu instid0(VALU_DEP_2) | instskip(NEXT) | instid1(VALU_DEP_2)
	v_add_f64 v[0:1], v[0:1], -v[112:113]
	v_add_f64 v[2:3], v[2:3], -v[212:213]
	v_dual_mov_b32 v112, v216 :: v_dual_mov_b32 v113, v217
.LBB117_280:
	s_or_b32 exec_lo, exec_lo, s3
	s_delay_alu instid0(SALU_CYCLE_1)
	s_mov_b32 s4, exec_lo
	s_waitcnt_vscnt null, 0x0
	s_barrier
	buffer_gl0_inv
	v_cmpx_eq_u32_e32 31, v208
	s_cbranch_execz .LBB117_287
; %bb.281:
	ds_store_2addr_b64 v209, v[108:109], v[110:111] offset1:1
	ds_store_2addr_b64 v214, v[104:105], v[106:107] offset0:64 offset1:65
	ds_store_2addr_b64 v214, v[100:101], v[102:103] offset0:66 offset1:67
	;; [unrolled: 1-line block ×27, first 2 shown]
	ds_load_2addr_b64 v[216:219], v209 offset1:1
	s_waitcnt lgkmcnt(0)
	v_cmp_neq_f64_e32 vcc_lo, 0, v[216:217]
	v_cmp_neq_f64_e64 s3, 0, v[218:219]
	s_delay_alu instid0(VALU_DEP_1) | instskip(NEXT) | instid1(SALU_CYCLE_1)
	s_or_b32 s3, vcc_lo, s3
	s_and_b32 exec_lo, exec_lo, s3
	s_cbranch_execz .LBB117_287
; %bb.282:
	v_cmp_gt_f64_e32 vcc_lo, 0, v[216:217]
	v_xor_b32_e32 v212, 0x80000000, v217
	v_xor_b32_e32 v215, 0x80000000, v219
	s_delay_alu instid0(VALU_DEP_2) | instskip(SKIP_2) | instid1(VALU_DEP_4)
	v_cndmask_b32_e32 v213, v217, v212, vcc_lo
	v_cndmask_b32_e32 v212, v216, v216, vcc_lo
	v_cmp_gt_f64_e32 vcc_lo, 0, v[218:219]
	v_dual_cndmask_b32 v221, v219, v215 :: v_dual_cndmask_b32 v220, v218, v218
	s_delay_alu instid0(VALU_DEP_1) | instskip(SKIP_1) | instid1(SALU_CYCLE_1)
	v_cmp_ngt_f64_e32 vcc_lo, v[212:213], v[220:221]
                                        ; implicit-def: $vgpr212_vgpr213
	s_and_saveexec_b32 s3, vcc_lo
	s_xor_b32 s3, exec_lo, s3
                                        ; implicit-def: $vgpr220_vgpr221_vgpr222_vgpr223
	s_cbranch_execz .LBB117_284
; %bb.283:
	v_div_scale_f64 v[212:213], null, v[218:219], v[218:219], v[216:217]
	v_div_scale_f64 v[224:225], vcc_lo, v[216:217], v[218:219], v[216:217]
	s_delay_alu instid0(VALU_DEP_2) | instskip(SKIP_2) | instid1(VALU_DEP_1)
	v_rcp_f64_e32 v[220:221], v[212:213]
	s_waitcnt_depctr 0xfff
	v_fma_f64 v[222:223], -v[212:213], v[220:221], 1.0
	v_fma_f64 v[220:221], v[220:221], v[222:223], v[220:221]
	s_delay_alu instid0(VALU_DEP_1) | instskip(NEXT) | instid1(VALU_DEP_1)
	v_fma_f64 v[222:223], -v[212:213], v[220:221], 1.0
	v_fma_f64 v[220:221], v[220:221], v[222:223], v[220:221]
	s_delay_alu instid0(VALU_DEP_1) | instskip(NEXT) | instid1(VALU_DEP_1)
	v_mul_f64 v[222:223], v[224:225], v[220:221]
	v_fma_f64 v[212:213], -v[212:213], v[222:223], v[224:225]
	s_delay_alu instid0(VALU_DEP_1) | instskip(NEXT) | instid1(VALU_DEP_1)
	v_div_fmas_f64 v[212:213], v[212:213], v[220:221], v[222:223]
	v_div_fixup_f64 v[212:213], v[212:213], v[218:219], v[216:217]
	s_delay_alu instid0(VALU_DEP_1) | instskip(NEXT) | instid1(VALU_DEP_1)
	v_fma_f64 v[216:217], v[216:217], v[212:213], v[218:219]
	v_div_scale_f64 v[218:219], null, v[216:217], v[216:217], 1.0
	s_delay_alu instid0(VALU_DEP_1) | instskip(SKIP_2) | instid1(VALU_DEP_1)
	v_rcp_f64_e32 v[220:221], v[218:219]
	s_waitcnt_depctr 0xfff
	v_fma_f64 v[222:223], -v[218:219], v[220:221], 1.0
	v_fma_f64 v[220:221], v[220:221], v[222:223], v[220:221]
	s_delay_alu instid0(VALU_DEP_1) | instskip(NEXT) | instid1(VALU_DEP_1)
	v_fma_f64 v[222:223], -v[218:219], v[220:221], 1.0
	v_fma_f64 v[220:221], v[220:221], v[222:223], v[220:221]
	v_div_scale_f64 v[222:223], vcc_lo, 1.0, v[216:217], 1.0
	s_delay_alu instid0(VALU_DEP_1) | instskip(NEXT) | instid1(VALU_DEP_1)
	v_mul_f64 v[224:225], v[222:223], v[220:221]
	v_fma_f64 v[218:219], -v[218:219], v[224:225], v[222:223]
	s_delay_alu instid0(VALU_DEP_1) | instskip(NEXT) | instid1(VALU_DEP_1)
	v_div_fmas_f64 v[218:219], v[218:219], v[220:221], v[224:225]
	v_div_fixup_f64 v[222:223], v[218:219], v[216:217], 1.0
                                        ; implicit-def: $vgpr216_vgpr217
	s_delay_alu instid0(VALU_DEP_1)
	v_mul_f64 v[212:213], v[212:213], v[222:223]
	v_xor_b32_e32 v223, 0x80000000, v223
.LBB117_284:
	s_and_not1_saveexec_b32 s3, s3
	s_cbranch_execz .LBB117_286
; %bb.285:
	v_div_scale_f64 v[212:213], null, v[216:217], v[216:217], v[218:219]
	v_div_scale_f64 v[224:225], vcc_lo, v[218:219], v[216:217], v[218:219]
	s_delay_alu instid0(VALU_DEP_2) | instskip(SKIP_2) | instid1(VALU_DEP_1)
	v_rcp_f64_e32 v[220:221], v[212:213]
	s_waitcnt_depctr 0xfff
	v_fma_f64 v[222:223], -v[212:213], v[220:221], 1.0
	v_fma_f64 v[220:221], v[220:221], v[222:223], v[220:221]
	s_delay_alu instid0(VALU_DEP_1) | instskip(NEXT) | instid1(VALU_DEP_1)
	v_fma_f64 v[222:223], -v[212:213], v[220:221], 1.0
	v_fma_f64 v[220:221], v[220:221], v[222:223], v[220:221]
	s_delay_alu instid0(VALU_DEP_1) | instskip(NEXT) | instid1(VALU_DEP_1)
	v_mul_f64 v[222:223], v[224:225], v[220:221]
	v_fma_f64 v[212:213], -v[212:213], v[222:223], v[224:225]
	s_delay_alu instid0(VALU_DEP_1) | instskip(NEXT) | instid1(VALU_DEP_1)
	v_div_fmas_f64 v[212:213], v[212:213], v[220:221], v[222:223]
	v_div_fixup_f64 v[220:221], v[212:213], v[216:217], v[218:219]
	s_delay_alu instid0(VALU_DEP_1) | instskip(NEXT) | instid1(VALU_DEP_1)
	v_fma_f64 v[212:213], v[218:219], v[220:221], v[216:217]
	v_div_scale_f64 v[216:217], null, v[212:213], v[212:213], 1.0
	s_delay_alu instid0(VALU_DEP_1) | instskip(SKIP_2) | instid1(VALU_DEP_1)
	v_rcp_f64_e32 v[218:219], v[216:217]
	s_waitcnt_depctr 0xfff
	v_fma_f64 v[222:223], -v[216:217], v[218:219], 1.0
	v_fma_f64 v[218:219], v[218:219], v[222:223], v[218:219]
	s_delay_alu instid0(VALU_DEP_1) | instskip(NEXT) | instid1(VALU_DEP_1)
	v_fma_f64 v[222:223], -v[216:217], v[218:219], 1.0
	v_fma_f64 v[218:219], v[218:219], v[222:223], v[218:219]
	v_div_scale_f64 v[222:223], vcc_lo, 1.0, v[212:213], 1.0
	s_delay_alu instid0(VALU_DEP_1) | instskip(NEXT) | instid1(VALU_DEP_1)
	v_mul_f64 v[224:225], v[222:223], v[218:219]
	v_fma_f64 v[216:217], -v[216:217], v[224:225], v[222:223]
	s_delay_alu instid0(VALU_DEP_1) | instskip(NEXT) | instid1(VALU_DEP_1)
	v_div_fmas_f64 v[216:217], v[216:217], v[218:219], v[224:225]
	v_div_fixup_f64 v[212:213], v[216:217], v[212:213], 1.0
	s_delay_alu instid0(VALU_DEP_1)
	v_mul_f64 v[222:223], v[220:221], -v[212:213]
.LBB117_286:
	s_or_b32 exec_lo, exec_lo, s3
	ds_store_2addr_b64 v209, v[212:213], v[222:223] offset1:1
.LBB117_287:
	s_or_b32 exec_lo, exec_lo, s4
	s_waitcnt lgkmcnt(0)
	s_barrier
	buffer_gl0_inv
	ds_load_2addr_b64 v[204:207], v209 offset1:1
	s_mov_b32 s3, exec_lo
	s_waitcnt lgkmcnt(0)
	scratch_store_b128 off, v[204:207], off offset:1084 ; 16-byte Folded Spill
	v_cmpx_lt_u32_e32 31, v208
	s_cbranch_execz .LBB117_289
; %bb.288:
	scratch_load_b128 v[204:207], off, off offset:1084 ; 16-byte Folded Reload
	ds_load_2addr_b64 v[218:221], v214 offset0:64 offset1:65
	s_waitcnt vmcnt(0)
	v_mul_f64 v[212:213], v[206:207], v[110:111]
	v_mul_f64 v[110:111], v[204:205], v[110:111]
	s_delay_alu instid0(VALU_DEP_2) | instskip(NEXT) | instid1(VALU_DEP_2)
	v_fma_f64 v[216:217], v[204:205], v[108:109], -v[212:213]
	v_fma_f64 v[110:111], v[206:207], v[108:109], v[110:111]
	s_waitcnt lgkmcnt(0)
	s_delay_alu instid0(VALU_DEP_1) | instskip(SKIP_1) | instid1(VALU_DEP_2)
	v_mul_f64 v[108:109], v[220:221], v[110:111]
	v_mul_f64 v[212:213], v[218:219], v[110:111]
	v_fma_f64 v[108:109], v[218:219], v[216:217], -v[108:109]
	s_delay_alu instid0(VALU_DEP_2)
	v_fma_f64 v[212:213], v[220:221], v[216:217], v[212:213]
	ds_load_2addr_b64 v[218:221], v214 offset0:66 offset1:67
	v_add_f64 v[104:105], v[104:105], -v[108:109]
	v_add_f64 v[106:107], v[106:107], -v[212:213]
	s_waitcnt lgkmcnt(0)
	v_mul_f64 v[108:109], v[220:221], v[110:111]
	v_mul_f64 v[212:213], v[218:219], v[110:111]
	s_delay_alu instid0(VALU_DEP_2) | instskip(NEXT) | instid1(VALU_DEP_2)
	v_fma_f64 v[108:109], v[218:219], v[216:217], -v[108:109]
	v_fma_f64 v[212:213], v[220:221], v[216:217], v[212:213]
	ds_load_2addr_b64 v[218:221], v214 offset0:68 offset1:69
	v_add_f64 v[100:101], v[100:101], -v[108:109]
	v_add_f64 v[102:103], v[102:103], -v[212:213]
	s_waitcnt lgkmcnt(0)
	v_mul_f64 v[108:109], v[220:221], v[110:111]
	v_mul_f64 v[212:213], v[218:219], v[110:111]
	s_delay_alu instid0(VALU_DEP_2) | instskip(NEXT) | instid1(VALU_DEP_2)
	v_fma_f64 v[108:109], v[218:219], v[216:217], -v[108:109]
	;; [unrolled: 9-line block ×26, first 2 shown]
	v_fma_f64 v[212:213], v[220:221], v[216:217], v[212:213]
	s_delay_alu instid0(VALU_DEP_2) | instskip(NEXT) | instid1(VALU_DEP_2)
	v_add_f64 v[0:1], v[0:1], -v[108:109]
	v_add_f64 v[2:3], v[2:3], -v[212:213]
	v_dual_mov_b32 v108, v216 :: v_dual_mov_b32 v109, v217
.LBB117_289:
	s_or_b32 exec_lo, exec_lo, s3
	s_delay_alu instid0(SALU_CYCLE_1)
	s_mov_b32 s4, exec_lo
	s_waitcnt_vscnt null, 0x0
	s_barrier
	buffer_gl0_inv
	v_cmpx_eq_u32_e32 32, v208
	s_cbranch_execz .LBB117_296
; %bb.290:
	ds_store_2addr_b64 v209, v[104:105], v[106:107] offset1:1
	ds_store_2addr_b64 v214, v[100:101], v[102:103] offset0:66 offset1:67
	ds_store_2addr_b64 v214, v[96:97], v[98:99] offset0:68 offset1:69
	ds_store_2addr_b64 v214, v[92:93], v[94:95] offset0:70 offset1:71
	ds_store_2addr_b64 v214, v[88:89], v[90:91] offset0:72 offset1:73
	ds_store_2addr_b64 v214, v[84:85], v[86:87] offset0:74 offset1:75
	ds_store_2addr_b64 v214, v[80:81], v[82:83] offset0:76 offset1:77
	ds_store_2addr_b64 v214, v[76:77], v[78:79] offset0:78 offset1:79
	ds_store_2addr_b64 v214, v[72:73], v[74:75] offset0:80 offset1:81
	ds_store_2addr_b64 v214, v[68:69], v[70:71] offset0:82 offset1:83
	ds_store_2addr_b64 v214, v[64:65], v[66:67] offset0:84 offset1:85
	ds_store_2addr_b64 v214, v[60:61], v[62:63] offset0:86 offset1:87
	ds_store_2addr_b64 v214, v[56:57], v[58:59] offset0:88 offset1:89
	ds_store_2addr_b64 v214, v[52:53], v[54:55] offset0:90 offset1:91
	ds_store_2addr_b64 v214, v[48:49], v[50:51] offset0:92 offset1:93
	ds_store_2addr_b64 v214, v[44:45], v[46:47] offset0:94 offset1:95
	ds_store_2addr_b64 v214, v[40:41], v[42:43] offset0:96 offset1:97
	ds_store_2addr_b64 v214, v[36:37], v[38:39] offset0:98 offset1:99
	ds_store_2addr_b64 v214, v[32:33], v[34:35] offset0:100 offset1:101
	ds_store_2addr_b64 v214, v[28:29], v[30:31] offset0:102 offset1:103
	ds_store_2addr_b64 v214, v[24:25], v[26:27] offset0:104 offset1:105
	ds_store_2addr_b64 v214, v[20:21], v[22:23] offset0:106 offset1:107
	ds_store_2addr_b64 v214, v[16:17], v[18:19] offset0:108 offset1:109
	ds_store_2addr_b64 v214, v[12:13], v[14:15] offset0:110 offset1:111
	ds_store_2addr_b64 v214, v[8:9], v[10:11] offset0:112 offset1:113
	ds_store_2addr_b64 v214, v[4:5], v[6:7] offset0:114 offset1:115
	ds_store_2addr_b64 v214, v[0:1], v[2:3] offset0:116 offset1:117
	ds_load_2addr_b64 v[216:219], v209 offset1:1
	s_waitcnt lgkmcnt(0)
	v_cmp_neq_f64_e32 vcc_lo, 0, v[216:217]
	v_cmp_neq_f64_e64 s3, 0, v[218:219]
	s_delay_alu instid0(VALU_DEP_1) | instskip(NEXT) | instid1(SALU_CYCLE_1)
	s_or_b32 s3, vcc_lo, s3
	s_and_b32 exec_lo, exec_lo, s3
	s_cbranch_execz .LBB117_296
; %bb.291:
	v_cmp_gt_f64_e32 vcc_lo, 0, v[216:217]
	v_xor_b32_e32 v212, 0x80000000, v217
	v_xor_b32_e32 v215, 0x80000000, v219
	s_delay_alu instid0(VALU_DEP_2) | instskip(SKIP_2) | instid1(VALU_DEP_4)
	v_cndmask_b32_e32 v213, v217, v212, vcc_lo
	v_cndmask_b32_e32 v212, v216, v216, vcc_lo
	v_cmp_gt_f64_e32 vcc_lo, 0, v[218:219]
	v_dual_cndmask_b32 v221, v219, v215 :: v_dual_cndmask_b32 v220, v218, v218
	s_delay_alu instid0(VALU_DEP_1) | instskip(SKIP_1) | instid1(SALU_CYCLE_1)
	v_cmp_ngt_f64_e32 vcc_lo, v[212:213], v[220:221]
                                        ; implicit-def: $vgpr212_vgpr213
	s_and_saveexec_b32 s3, vcc_lo
	s_xor_b32 s3, exec_lo, s3
                                        ; implicit-def: $vgpr220_vgpr221_vgpr222_vgpr223
	s_cbranch_execz .LBB117_293
; %bb.292:
	v_div_scale_f64 v[212:213], null, v[218:219], v[218:219], v[216:217]
	v_div_scale_f64 v[224:225], vcc_lo, v[216:217], v[218:219], v[216:217]
	s_delay_alu instid0(VALU_DEP_2) | instskip(SKIP_2) | instid1(VALU_DEP_1)
	v_rcp_f64_e32 v[220:221], v[212:213]
	s_waitcnt_depctr 0xfff
	v_fma_f64 v[222:223], -v[212:213], v[220:221], 1.0
	v_fma_f64 v[220:221], v[220:221], v[222:223], v[220:221]
	s_delay_alu instid0(VALU_DEP_1) | instskip(NEXT) | instid1(VALU_DEP_1)
	v_fma_f64 v[222:223], -v[212:213], v[220:221], 1.0
	v_fma_f64 v[220:221], v[220:221], v[222:223], v[220:221]
	s_delay_alu instid0(VALU_DEP_1) | instskip(NEXT) | instid1(VALU_DEP_1)
	v_mul_f64 v[222:223], v[224:225], v[220:221]
	v_fma_f64 v[212:213], -v[212:213], v[222:223], v[224:225]
	s_delay_alu instid0(VALU_DEP_1) | instskip(NEXT) | instid1(VALU_DEP_1)
	v_div_fmas_f64 v[212:213], v[212:213], v[220:221], v[222:223]
	v_div_fixup_f64 v[212:213], v[212:213], v[218:219], v[216:217]
	s_delay_alu instid0(VALU_DEP_1) | instskip(NEXT) | instid1(VALU_DEP_1)
	v_fma_f64 v[216:217], v[216:217], v[212:213], v[218:219]
	v_div_scale_f64 v[218:219], null, v[216:217], v[216:217], 1.0
	s_delay_alu instid0(VALU_DEP_1) | instskip(SKIP_2) | instid1(VALU_DEP_1)
	v_rcp_f64_e32 v[220:221], v[218:219]
	s_waitcnt_depctr 0xfff
	v_fma_f64 v[222:223], -v[218:219], v[220:221], 1.0
	v_fma_f64 v[220:221], v[220:221], v[222:223], v[220:221]
	s_delay_alu instid0(VALU_DEP_1) | instskip(NEXT) | instid1(VALU_DEP_1)
	v_fma_f64 v[222:223], -v[218:219], v[220:221], 1.0
	v_fma_f64 v[220:221], v[220:221], v[222:223], v[220:221]
	v_div_scale_f64 v[222:223], vcc_lo, 1.0, v[216:217], 1.0
	s_delay_alu instid0(VALU_DEP_1) | instskip(NEXT) | instid1(VALU_DEP_1)
	v_mul_f64 v[224:225], v[222:223], v[220:221]
	v_fma_f64 v[218:219], -v[218:219], v[224:225], v[222:223]
	s_delay_alu instid0(VALU_DEP_1) | instskip(NEXT) | instid1(VALU_DEP_1)
	v_div_fmas_f64 v[218:219], v[218:219], v[220:221], v[224:225]
	v_div_fixup_f64 v[222:223], v[218:219], v[216:217], 1.0
                                        ; implicit-def: $vgpr216_vgpr217
	s_delay_alu instid0(VALU_DEP_1)
	v_mul_f64 v[212:213], v[212:213], v[222:223]
	v_xor_b32_e32 v223, 0x80000000, v223
.LBB117_293:
	s_and_not1_saveexec_b32 s3, s3
	s_cbranch_execz .LBB117_295
; %bb.294:
	v_div_scale_f64 v[212:213], null, v[216:217], v[216:217], v[218:219]
	v_div_scale_f64 v[224:225], vcc_lo, v[218:219], v[216:217], v[218:219]
	s_delay_alu instid0(VALU_DEP_2) | instskip(SKIP_2) | instid1(VALU_DEP_1)
	v_rcp_f64_e32 v[220:221], v[212:213]
	s_waitcnt_depctr 0xfff
	v_fma_f64 v[222:223], -v[212:213], v[220:221], 1.0
	v_fma_f64 v[220:221], v[220:221], v[222:223], v[220:221]
	s_delay_alu instid0(VALU_DEP_1) | instskip(NEXT) | instid1(VALU_DEP_1)
	v_fma_f64 v[222:223], -v[212:213], v[220:221], 1.0
	v_fma_f64 v[220:221], v[220:221], v[222:223], v[220:221]
	s_delay_alu instid0(VALU_DEP_1) | instskip(NEXT) | instid1(VALU_DEP_1)
	v_mul_f64 v[222:223], v[224:225], v[220:221]
	v_fma_f64 v[212:213], -v[212:213], v[222:223], v[224:225]
	s_delay_alu instid0(VALU_DEP_1) | instskip(NEXT) | instid1(VALU_DEP_1)
	v_div_fmas_f64 v[212:213], v[212:213], v[220:221], v[222:223]
	v_div_fixup_f64 v[220:221], v[212:213], v[216:217], v[218:219]
	s_delay_alu instid0(VALU_DEP_1) | instskip(NEXT) | instid1(VALU_DEP_1)
	v_fma_f64 v[212:213], v[218:219], v[220:221], v[216:217]
	v_div_scale_f64 v[216:217], null, v[212:213], v[212:213], 1.0
	s_delay_alu instid0(VALU_DEP_1) | instskip(SKIP_2) | instid1(VALU_DEP_1)
	v_rcp_f64_e32 v[218:219], v[216:217]
	s_waitcnt_depctr 0xfff
	v_fma_f64 v[222:223], -v[216:217], v[218:219], 1.0
	v_fma_f64 v[218:219], v[218:219], v[222:223], v[218:219]
	s_delay_alu instid0(VALU_DEP_1) | instskip(NEXT) | instid1(VALU_DEP_1)
	v_fma_f64 v[222:223], -v[216:217], v[218:219], 1.0
	v_fma_f64 v[218:219], v[218:219], v[222:223], v[218:219]
	v_div_scale_f64 v[222:223], vcc_lo, 1.0, v[212:213], 1.0
	s_delay_alu instid0(VALU_DEP_1) | instskip(NEXT) | instid1(VALU_DEP_1)
	v_mul_f64 v[224:225], v[222:223], v[218:219]
	v_fma_f64 v[216:217], -v[216:217], v[224:225], v[222:223]
	s_delay_alu instid0(VALU_DEP_1) | instskip(NEXT) | instid1(VALU_DEP_1)
	v_div_fmas_f64 v[216:217], v[216:217], v[218:219], v[224:225]
	v_div_fixup_f64 v[212:213], v[216:217], v[212:213], 1.0
	s_delay_alu instid0(VALU_DEP_1)
	v_mul_f64 v[222:223], v[220:221], -v[212:213]
.LBB117_295:
	s_or_b32 exec_lo, exec_lo, s3
	ds_store_2addr_b64 v209, v[212:213], v[222:223] offset1:1
.LBB117_296:
	s_or_b32 exec_lo, exec_lo, s4
	s_waitcnt lgkmcnt(0)
	s_barrier
	buffer_gl0_inv
	ds_load_2addr_b64 v[204:207], v209 offset1:1
	s_mov_b32 s3, exec_lo
	s_waitcnt lgkmcnt(0)
	scratch_store_b128 off, v[204:207], off offset:1100 ; 16-byte Folded Spill
	v_cmpx_lt_u32_e32 32, v208
	s_cbranch_execz .LBB117_298
; %bb.297:
	scratch_load_b128 v[204:207], off, off offset:1100 ; 16-byte Folded Reload
	ds_load_2addr_b64 v[218:221], v214 offset0:66 offset1:67
	s_waitcnt vmcnt(0)
	v_mul_f64 v[212:213], v[206:207], v[106:107]
	v_mul_f64 v[106:107], v[204:205], v[106:107]
	s_delay_alu instid0(VALU_DEP_2) | instskip(NEXT) | instid1(VALU_DEP_2)
	v_fma_f64 v[216:217], v[204:205], v[104:105], -v[212:213]
	v_fma_f64 v[106:107], v[206:207], v[104:105], v[106:107]
	s_waitcnt lgkmcnt(0)
	s_delay_alu instid0(VALU_DEP_1) | instskip(SKIP_1) | instid1(VALU_DEP_2)
	v_mul_f64 v[104:105], v[220:221], v[106:107]
	v_mul_f64 v[212:213], v[218:219], v[106:107]
	v_fma_f64 v[104:105], v[218:219], v[216:217], -v[104:105]
	s_delay_alu instid0(VALU_DEP_2)
	v_fma_f64 v[212:213], v[220:221], v[216:217], v[212:213]
	ds_load_2addr_b64 v[218:221], v214 offset0:68 offset1:69
	v_add_f64 v[100:101], v[100:101], -v[104:105]
	v_add_f64 v[102:103], v[102:103], -v[212:213]
	s_waitcnt lgkmcnt(0)
	v_mul_f64 v[104:105], v[220:221], v[106:107]
	v_mul_f64 v[212:213], v[218:219], v[106:107]
	s_delay_alu instid0(VALU_DEP_2) | instskip(NEXT) | instid1(VALU_DEP_2)
	v_fma_f64 v[104:105], v[218:219], v[216:217], -v[104:105]
	v_fma_f64 v[212:213], v[220:221], v[216:217], v[212:213]
	ds_load_2addr_b64 v[218:221], v214 offset0:70 offset1:71
	v_add_f64 v[96:97], v[96:97], -v[104:105]
	v_add_f64 v[98:99], v[98:99], -v[212:213]
	s_waitcnt lgkmcnt(0)
	v_mul_f64 v[104:105], v[220:221], v[106:107]
	v_mul_f64 v[212:213], v[218:219], v[106:107]
	s_delay_alu instid0(VALU_DEP_2) | instskip(NEXT) | instid1(VALU_DEP_2)
	v_fma_f64 v[104:105], v[218:219], v[216:217], -v[104:105]
	;; [unrolled: 9-line block ×25, first 2 shown]
	v_fma_f64 v[212:213], v[220:221], v[216:217], v[212:213]
	s_delay_alu instid0(VALU_DEP_2) | instskip(NEXT) | instid1(VALU_DEP_2)
	v_add_f64 v[0:1], v[0:1], -v[104:105]
	v_add_f64 v[2:3], v[2:3], -v[212:213]
	v_dual_mov_b32 v104, v216 :: v_dual_mov_b32 v105, v217
.LBB117_298:
	s_or_b32 exec_lo, exec_lo, s3
	s_delay_alu instid0(SALU_CYCLE_1)
	s_mov_b32 s4, exec_lo
	s_waitcnt_vscnt null, 0x0
	s_barrier
	buffer_gl0_inv
	v_cmpx_eq_u32_e32 33, v208
	s_cbranch_execz .LBB117_305
; %bb.299:
	ds_store_2addr_b64 v209, v[100:101], v[102:103] offset1:1
	ds_store_2addr_b64 v214, v[96:97], v[98:99] offset0:68 offset1:69
	ds_store_2addr_b64 v214, v[92:93], v[94:95] offset0:70 offset1:71
	;; [unrolled: 1-line block ×25, first 2 shown]
	ds_load_2addr_b64 v[216:219], v209 offset1:1
	s_waitcnt lgkmcnt(0)
	v_cmp_neq_f64_e32 vcc_lo, 0, v[216:217]
	v_cmp_neq_f64_e64 s3, 0, v[218:219]
	s_delay_alu instid0(VALU_DEP_1) | instskip(NEXT) | instid1(SALU_CYCLE_1)
	s_or_b32 s3, vcc_lo, s3
	s_and_b32 exec_lo, exec_lo, s3
	s_cbranch_execz .LBB117_305
; %bb.300:
	v_cmp_gt_f64_e32 vcc_lo, 0, v[216:217]
	v_xor_b32_e32 v212, 0x80000000, v217
	v_xor_b32_e32 v215, 0x80000000, v219
	s_delay_alu instid0(VALU_DEP_2) | instskip(SKIP_2) | instid1(VALU_DEP_4)
	v_cndmask_b32_e32 v213, v217, v212, vcc_lo
	v_cndmask_b32_e32 v212, v216, v216, vcc_lo
	v_cmp_gt_f64_e32 vcc_lo, 0, v[218:219]
	v_dual_cndmask_b32 v221, v219, v215 :: v_dual_cndmask_b32 v220, v218, v218
	s_delay_alu instid0(VALU_DEP_1) | instskip(SKIP_1) | instid1(SALU_CYCLE_1)
	v_cmp_ngt_f64_e32 vcc_lo, v[212:213], v[220:221]
                                        ; implicit-def: $vgpr212_vgpr213
	s_and_saveexec_b32 s3, vcc_lo
	s_xor_b32 s3, exec_lo, s3
                                        ; implicit-def: $vgpr220_vgpr221_vgpr222_vgpr223
	s_cbranch_execz .LBB117_302
; %bb.301:
	v_div_scale_f64 v[212:213], null, v[218:219], v[218:219], v[216:217]
	v_div_scale_f64 v[224:225], vcc_lo, v[216:217], v[218:219], v[216:217]
	s_delay_alu instid0(VALU_DEP_2) | instskip(SKIP_2) | instid1(VALU_DEP_1)
	v_rcp_f64_e32 v[220:221], v[212:213]
	s_waitcnt_depctr 0xfff
	v_fma_f64 v[222:223], -v[212:213], v[220:221], 1.0
	v_fma_f64 v[220:221], v[220:221], v[222:223], v[220:221]
	s_delay_alu instid0(VALU_DEP_1) | instskip(NEXT) | instid1(VALU_DEP_1)
	v_fma_f64 v[222:223], -v[212:213], v[220:221], 1.0
	v_fma_f64 v[220:221], v[220:221], v[222:223], v[220:221]
	s_delay_alu instid0(VALU_DEP_1) | instskip(NEXT) | instid1(VALU_DEP_1)
	v_mul_f64 v[222:223], v[224:225], v[220:221]
	v_fma_f64 v[212:213], -v[212:213], v[222:223], v[224:225]
	s_delay_alu instid0(VALU_DEP_1) | instskip(NEXT) | instid1(VALU_DEP_1)
	v_div_fmas_f64 v[212:213], v[212:213], v[220:221], v[222:223]
	v_div_fixup_f64 v[212:213], v[212:213], v[218:219], v[216:217]
	s_delay_alu instid0(VALU_DEP_1) | instskip(NEXT) | instid1(VALU_DEP_1)
	v_fma_f64 v[216:217], v[216:217], v[212:213], v[218:219]
	v_div_scale_f64 v[218:219], null, v[216:217], v[216:217], 1.0
	s_delay_alu instid0(VALU_DEP_1) | instskip(SKIP_2) | instid1(VALU_DEP_1)
	v_rcp_f64_e32 v[220:221], v[218:219]
	s_waitcnt_depctr 0xfff
	v_fma_f64 v[222:223], -v[218:219], v[220:221], 1.0
	v_fma_f64 v[220:221], v[220:221], v[222:223], v[220:221]
	s_delay_alu instid0(VALU_DEP_1) | instskip(NEXT) | instid1(VALU_DEP_1)
	v_fma_f64 v[222:223], -v[218:219], v[220:221], 1.0
	v_fma_f64 v[220:221], v[220:221], v[222:223], v[220:221]
	v_div_scale_f64 v[222:223], vcc_lo, 1.0, v[216:217], 1.0
	s_delay_alu instid0(VALU_DEP_1) | instskip(NEXT) | instid1(VALU_DEP_1)
	v_mul_f64 v[224:225], v[222:223], v[220:221]
	v_fma_f64 v[218:219], -v[218:219], v[224:225], v[222:223]
	s_delay_alu instid0(VALU_DEP_1) | instskip(NEXT) | instid1(VALU_DEP_1)
	v_div_fmas_f64 v[218:219], v[218:219], v[220:221], v[224:225]
	v_div_fixup_f64 v[222:223], v[218:219], v[216:217], 1.0
                                        ; implicit-def: $vgpr216_vgpr217
	s_delay_alu instid0(VALU_DEP_1)
	v_mul_f64 v[212:213], v[212:213], v[222:223]
	v_xor_b32_e32 v223, 0x80000000, v223
.LBB117_302:
	s_and_not1_saveexec_b32 s3, s3
	s_cbranch_execz .LBB117_304
; %bb.303:
	v_div_scale_f64 v[212:213], null, v[216:217], v[216:217], v[218:219]
	v_div_scale_f64 v[224:225], vcc_lo, v[218:219], v[216:217], v[218:219]
	s_delay_alu instid0(VALU_DEP_2) | instskip(SKIP_2) | instid1(VALU_DEP_1)
	v_rcp_f64_e32 v[220:221], v[212:213]
	s_waitcnt_depctr 0xfff
	v_fma_f64 v[222:223], -v[212:213], v[220:221], 1.0
	v_fma_f64 v[220:221], v[220:221], v[222:223], v[220:221]
	s_delay_alu instid0(VALU_DEP_1) | instskip(NEXT) | instid1(VALU_DEP_1)
	v_fma_f64 v[222:223], -v[212:213], v[220:221], 1.0
	v_fma_f64 v[220:221], v[220:221], v[222:223], v[220:221]
	s_delay_alu instid0(VALU_DEP_1) | instskip(NEXT) | instid1(VALU_DEP_1)
	v_mul_f64 v[222:223], v[224:225], v[220:221]
	v_fma_f64 v[212:213], -v[212:213], v[222:223], v[224:225]
	s_delay_alu instid0(VALU_DEP_1) | instskip(NEXT) | instid1(VALU_DEP_1)
	v_div_fmas_f64 v[212:213], v[212:213], v[220:221], v[222:223]
	v_div_fixup_f64 v[220:221], v[212:213], v[216:217], v[218:219]
	s_delay_alu instid0(VALU_DEP_1) | instskip(NEXT) | instid1(VALU_DEP_1)
	v_fma_f64 v[212:213], v[218:219], v[220:221], v[216:217]
	v_div_scale_f64 v[216:217], null, v[212:213], v[212:213], 1.0
	s_delay_alu instid0(VALU_DEP_1) | instskip(SKIP_2) | instid1(VALU_DEP_1)
	v_rcp_f64_e32 v[218:219], v[216:217]
	s_waitcnt_depctr 0xfff
	v_fma_f64 v[222:223], -v[216:217], v[218:219], 1.0
	v_fma_f64 v[218:219], v[218:219], v[222:223], v[218:219]
	s_delay_alu instid0(VALU_DEP_1) | instskip(NEXT) | instid1(VALU_DEP_1)
	v_fma_f64 v[222:223], -v[216:217], v[218:219], 1.0
	v_fma_f64 v[218:219], v[218:219], v[222:223], v[218:219]
	v_div_scale_f64 v[222:223], vcc_lo, 1.0, v[212:213], 1.0
	s_delay_alu instid0(VALU_DEP_1) | instskip(NEXT) | instid1(VALU_DEP_1)
	v_mul_f64 v[224:225], v[222:223], v[218:219]
	v_fma_f64 v[216:217], -v[216:217], v[224:225], v[222:223]
	s_delay_alu instid0(VALU_DEP_1) | instskip(NEXT) | instid1(VALU_DEP_1)
	v_div_fmas_f64 v[216:217], v[216:217], v[218:219], v[224:225]
	v_div_fixup_f64 v[212:213], v[216:217], v[212:213], 1.0
	s_delay_alu instid0(VALU_DEP_1)
	v_mul_f64 v[222:223], v[220:221], -v[212:213]
.LBB117_304:
	s_or_b32 exec_lo, exec_lo, s3
	ds_store_2addr_b64 v209, v[212:213], v[222:223] offset1:1
.LBB117_305:
	s_or_b32 exec_lo, exec_lo, s4
	s_waitcnt lgkmcnt(0)
	s_barrier
	buffer_gl0_inv
	ds_load_2addr_b64 v[204:207], v209 offset1:1
	s_mov_b32 s3, exec_lo
	s_waitcnt lgkmcnt(0)
	scratch_store_b128 off, v[204:207], off offset:1116 ; 16-byte Folded Spill
	v_cmpx_lt_u32_e32 33, v208
	s_cbranch_execz .LBB117_307
; %bb.306:
	scratch_load_b128 v[204:207], off, off offset:1116 ; 16-byte Folded Reload
	ds_load_2addr_b64 v[218:221], v214 offset0:68 offset1:69
	s_waitcnt vmcnt(0)
	v_mul_f64 v[212:213], v[206:207], v[102:103]
	v_mul_f64 v[102:103], v[204:205], v[102:103]
	s_delay_alu instid0(VALU_DEP_2) | instskip(NEXT) | instid1(VALU_DEP_2)
	v_fma_f64 v[216:217], v[204:205], v[100:101], -v[212:213]
	v_fma_f64 v[102:103], v[206:207], v[100:101], v[102:103]
	s_waitcnt lgkmcnt(0)
	s_delay_alu instid0(VALU_DEP_1) | instskip(SKIP_1) | instid1(VALU_DEP_2)
	v_mul_f64 v[100:101], v[220:221], v[102:103]
	v_mul_f64 v[212:213], v[218:219], v[102:103]
	v_fma_f64 v[100:101], v[218:219], v[216:217], -v[100:101]
	s_delay_alu instid0(VALU_DEP_2)
	v_fma_f64 v[212:213], v[220:221], v[216:217], v[212:213]
	ds_load_2addr_b64 v[218:221], v214 offset0:70 offset1:71
	v_add_f64 v[96:97], v[96:97], -v[100:101]
	v_add_f64 v[98:99], v[98:99], -v[212:213]
	s_waitcnt lgkmcnt(0)
	v_mul_f64 v[100:101], v[220:221], v[102:103]
	v_mul_f64 v[212:213], v[218:219], v[102:103]
	s_delay_alu instid0(VALU_DEP_2) | instskip(NEXT) | instid1(VALU_DEP_2)
	v_fma_f64 v[100:101], v[218:219], v[216:217], -v[100:101]
	v_fma_f64 v[212:213], v[220:221], v[216:217], v[212:213]
	ds_load_2addr_b64 v[218:221], v214 offset0:72 offset1:73
	v_add_f64 v[92:93], v[92:93], -v[100:101]
	v_add_f64 v[94:95], v[94:95], -v[212:213]
	s_waitcnt lgkmcnt(0)
	v_mul_f64 v[100:101], v[220:221], v[102:103]
	v_mul_f64 v[212:213], v[218:219], v[102:103]
	s_delay_alu instid0(VALU_DEP_2) | instskip(NEXT) | instid1(VALU_DEP_2)
	v_fma_f64 v[100:101], v[218:219], v[216:217], -v[100:101]
	;; [unrolled: 9-line block ×24, first 2 shown]
	v_fma_f64 v[212:213], v[220:221], v[216:217], v[212:213]
	s_delay_alu instid0(VALU_DEP_2) | instskip(NEXT) | instid1(VALU_DEP_2)
	v_add_f64 v[0:1], v[0:1], -v[100:101]
	v_add_f64 v[2:3], v[2:3], -v[212:213]
	v_dual_mov_b32 v100, v216 :: v_dual_mov_b32 v101, v217
.LBB117_307:
	s_or_b32 exec_lo, exec_lo, s3
	s_delay_alu instid0(SALU_CYCLE_1)
	s_mov_b32 s4, exec_lo
	s_waitcnt_vscnt null, 0x0
	s_barrier
	buffer_gl0_inv
	v_cmpx_eq_u32_e32 34, v208
	s_cbranch_execz .LBB117_314
; %bb.308:
	ds_store_2addr_b64 v209, v[96:97], v[98:99] offset1:1
	ds_store_2addr_b64 v214, v[92:93], v[94:95] offset0:70 offset1:71
	ds_store_2addr_b64 v214, v[88:89], v[90:91] offset0:72 offset1:73
	;; [unrolled: 1-line block ×24, first 2 shown]
	ds_load_2addr_b64 v[216:219], v209 offset1:1
	s_waitcnt lgkmcnt(0)
	v_cmp_neq_f64_e32 vcc_lo, 0, v[216:217]
	v_cmp_neq_f64_e64 s3, 0, v[218:219]
	s_delay_alu instid0(VALU_DEP_1) | instskip(NEXT) | instid1(SALU_CYCLE_1)
	s_or_b32 s3, vcc_lo, s3
	s_and_b32 exec_lo, exec_lo, s3
	s_cbranch_execz .LBB117_314
; %bb.309:
	v_cmp_gt_f64_e32 vcc_lo, 0, v[216:217]
	v_xor_b32_e32 v212, 0x80000000, v217
	v_xor_b32_e32 v215, 0x80000000, v219
	s_delay_alu instid0(VALU_DEP_2) | instskip(SKIP_2) | instid1(VALU_DEP_4)
	v_cndmask_b32_e32 v213, v217, v212, vcc_lo
	v_cndmask_b32_e32 v212, v216, v216, vcc_lo
	v_cmp_gt_f64_e32 vcc_lo, 0, v[218:219]
	v_dual_cndmask_b32 v221, v219, v215 :: v_dual_cndmask_b32 v220, v218, v218
	s_delay_alu instid0(VALU_DEP_1) | instskip(SKIP_1) | instid1(SALU_CYCLE_1)
	v_cmp_ngt_f64_e32 vcc_lo, v[212:213], v[220:221]
                                        ; implicit-def: $vgpr212_vgpr213
	s_and_saveexec_b32 s3, vcc_lo
	s_xor_b32 s3, exec_lo, s3
                                        ; implicit-def: $vgpr220_vgpr221_vgpr222_vgpr223
	s_cbranch_execz .LBB117_311
; %bb.310:
	v_div_scale_f64 v[212:213], null, v[218:219], v[218:219], v[216:217]
	v_div_scale_f64 v[224:225], vcc_lo, v[216:217], v[218:219], v[216:217]
	s_delay_alu instid0(VALU_DEP_2) | instskip(SKIP_2) | instid1(VALU_DEP_1)
	v_rcp_f64_e32 v[220:221], v[212:213]
	s_waitcnt_depctr 0xfff
	v_fma_f64 v[222:223], -v[212:213], v[220:221], 1.0
	v_fma_f64 v[220:221], v[220:221], v[222:223], v[220:221]
	s_delay_alu instid0(VALU_DEP_1) | instskip(NEXT) | instid1(VALU_DEP_1)
	v_fma_f64 v[222:223], -v[212:213], v[220:221], 1.0
	v_fma_f64 v[220:221], v[220:221], v[222:223], v[220:221]
	s_delay_alu instid0(VALU_DEP_1) | instskip(NEXT) | instid1(VALU_DEP_1)
	v_mul_f64 v[222:223], v[224:225], v[220:221]
	v_fma_f64 v[212:213], -v[212:213], v[222:223], v[224:225]
	s_delay_alu instid0(VALU_DEP_1) | instskip(NEXT) | instid1(VALU_DEP_1)
	v_div_fmas_f64 v[212:213], v[212:213], v[220:221], v[222:223]
	v_div_fixup_f64 v[212:213], v[212:213], v[218:219], v[216:217]
	s_delay_alu instid0(VALU_DEP_1) | instskip(NEXT) | instid1(VALU_DEP_1)
	v_fma_f64 v[216:217], v[216:217], v[212:213], v[218:219]
	v_div_scale_f64 v[218:219], null, v[216:217], v[216:217], 1.0
	s_delay_alu instid0(VALU_DEP_1) | instskip(SKIP_2) | instid1(VALU_DEP_1)
	v_rcp_f64_e32 v[220:221], v[218:219]
	s_waitcnt_depctr 0xfff
	v_fma_f64 v[222:223], -v[218:219], v[220:221], 1.0
	v_fma_f64 v[220:221], v[220:221], v[222:223], v[220:221]
	s_delay_alu instid0(VALU_DEP_1) | instskip(NEXT) | instid1(VALU_DEP_1)
	v_fma_f64 v[222:223], -v[218:219], v[220:221], 1.0
	v_fma_f64 v[220:221], v[220:221], v[222:223], v[220:221]
	v_div_scale_f64 v[222:223], vcc_lo, 1.0, v[216:217], 1.0
	s_delay_alu instid0(VALU_DEP_1) | instskip(NEXT) | instid1(VALU_DEP_1)
	v_mul_f64 v[224:225], v[222:223], v[220:221]
	v_fma_f64 v[218:219], -v[218:219], v[224:225], v[222:223]
	s_delay_alu instid0(VALU_DEP_1) | instskip(NEXT) | instid1(VALU_DEP_1)
	v_div_fmas_f64 v[218:219], v[218:219], v[220:221], v[224:225]
	v_div_fixup_f64 v[222:223], v[218:219], v[216:217], 1.0
                                        ; implicit-def: $vgpr216_vgpr217
	s_delay_alu instid0(VALU_DEP_1)
	v_mul_f64 v[212:213], v[212:213], v[222:223]
	v_xor_b32_e32 v223, 0x80000000, v223
.LBB117_311:
	s_and_not1_saveexec_b32 s3, s3
	s_cbranch_execz .LBB117_313
; %bb.312:
	v_div_scale_f64 v[212:213], null, v[216:217], v[216:217], v[218:219]
	v_div_scale_f64 v[224:225], vcc_lo, v[218:219], v[216:217], v[218:219]
	s_delay_alu instid0(VALU_DEP_2) | instskip(SKIP_2) | instid1(VALU_DEP_1)
	v_rcp_f64_e32 v[220:221], v[212:213]
	s_waitcnt_depctr 0xfff
	v_fma_f64 v[222:223], -v[212:213], v[220:221], 1.0
	v_fma_f64 v[220:221], v[220:221], v[222:223], v[220:221]
	s_delay_alu instid0(VALU_DEP_1) | instskip(NEXT) | instid1(VALU_DEP_1)
	v_fma_f64 v[222:223], -v[212:213], v[220:221], 1.0
	v_fma_f64 v[220:221], v[220:221], v[222:223], v[220:221]
	s_delay_alu instid0(VALU_DEP_1) | instskip(NEXT) | instid1(VALU_DEP_1)
	v_mul_f64 v[222:223], v[224:225], v[220:221]
	v_fma_f64 v[212:213], -v[212:213], v[222:223], v[224:225]
	s_delay_alu instid0(VALU_DEP_1) | instskip(NEXT) | instid1(VALU_DEP_1)
	v_div_fmas_f64 v[212:213], v[212:213], v[220:221], v[222:223]
	v_div_fixup_f64 v[220:221], v[212:213], v[216:217], v[218:219]
	s_delay_alu instid0(VALU_DEP_1) | instskip(NEXT) | instid1(VALU_DEP_1)
	v_fma_f64 v[212:213], v[218:219], v[220:221], v[216:217]
	v_div_scale_f64 v[216:217], null, v[212:213], v[212:213], 1.0
	s_delay_alu instid0(VALU_DEP_1) | instskip(SKIP_2) | instid1(VALU_DEP_1)
	v_rcp_f64_e32 v[218:219], v[216:217]
	s_waitcnt_depctr 0xfff
	v_fma_f64 v[222:223], -v[216:217], v[218:219], 1.0
	v_fma_f64 v[218:219], v[218:219], v[222:223], v[218:219]
	s_delay_alu instid0(VALU_DEP_1) | instskip(NEXT) | instid1(VALU_DEP_1)
	v_fma_f64 v[222:223], -v[216:217], v[218:219], 1.0
	v_fma_f64 v[218:219], v[218:219], v[222:223], v[218:219]
	v_div_scale_f64 v[222:223], vcc_lo, 1.0, v[212:213], 1.0
	s_delay_alu instid0(VALU_DEP_1) | instskip(NEXT) | instid1(VALU_DEP_1)
	v_mul_f64 v[224:225], v[222:223], v[218:219]
	v_fma_f64 v[216:217], -v[216:217], v[224:225], v[222:223]
	s_delay_alu instid0(VALU_DEP_1) | instskip(NEXT) | instid1(VALU_DEP_1)
	v_div_fmas_f64 v[216:217], v[216:217], v[218:219], v[224:225]
	v_div_fixup_f64 v[212:213], v[216:217], v[212:213], 1.0
	s_delay_alu instid0(VALU_DEP_1)
	v_mul_f64 v[222:223], v[220:221], -v[212:213]
.LBB117_313:
	s_or_b32 exec_lo, exec_lo, s3
	ds_store_2addr_b64 v209, v[212:213], v[222:223] offset1:1
.LBB117_314:
	s_or_b32 exec_lo, exec_lo, s4
	s_waitcnt lgkmcnt(0)
	s_barrier
	buffer_gl0_inv
	ds_load_2addr_b64 v[204:207], v209 offset1:1
	s_mov_b32 s3, exec_lo
	s_waitcnt lgkmcnt(0)
	scratch_store_b128 off, v[204:207], off offset:1132 ; 16-byte Folded Spill
	v_cmpx_lt_u32_e32 34, v208
	s_cbranch_execz .LBB117_316
; %bb.315:
	scratch_load_b128 v[204:207], off, off offset:1132 ; 16-byte Folded Reload
	ds_load_2addr_b64 v[218:221], v214 offset0:70 offset1:71
	s_waitcnt vmcnt(0)
	v_mul_f64 v[212:213], v[206:207], v[98:99]
	v_mul_f64 v[98:99], v[204:205], v[98:99]
	s_delay_alu instid0(VALU_DEP_2) | instskip(NEXT) | instid1(VALU_DEP_2)
	v_fma_f64 v[216:217], v[204:205], v[96:97], -v[212:213]
	v_fma_f64 v[98:99], v[206:207], v[96:97], v[98:99]
	s_waitcnt lgkmcnt(0)
	s_delay_alu instid0(VALU_DEP_1) | instskip(SKIP_1) | instid1(VALU_DEP_2)
	v_mul_f64 v[96:97], v[220:221], v[98:99]
	v_mul_f64 v[212:213], v[218:219], v[98:99]
	v_fma_f64 v[96:97], v[218:219], v[216:217], -v[96:97]
	s_delay_alu instid0(VALU_DEP_2)
	v_fma_f64 v[212:213], v[220:221], v[216:217], v[212:213]
	ds_load_2addr_b64 v[218:221], v214 offset0:72 offset1:73
	v_add_f64 v[92:93], v[92:93], -v[96:97]
	v_add_f64 v[94:95], v[94:95], -v[212:213]
	s_waitcnt lgkmcnt(0)
	v_mul_f64 v[96:97], v[220:221], v[98:99]
	v_mul_f64 v[212:213], v[218:219], v[98:99]
	s_delay_alu instid0(VALU_DEP_2) | instskip(NEXT) | instid1(VALU_DEP_2)
	v_fma_f64 v[96:97], v[218:219], v[216:217], -v[96:97]
	v_fma_f64 v[212:213], v[220:221], v[216:217], v[212:213]
	ds_load_2addr_b64 v[218:221], v214 offset0:74 offset1:75
	v_add_f64 v[88:89], v[88:89], -v[96:97]
	v_add_f64 v[90:91], v[90:91], -v[212:213]
	s_waitcnt lgkmcnt(0)
	v_mul_f64 v[96:97], v[220:221], v[98:99]
	v_mul_f64 v[212:213], v[218:219], v[98:99]
	s_delay_alu instid0(VALU_DEP_2) | instskip(NEXT) | instid1(VALU_DEP_2)
	v_fma_f64 v[96:97], v[218:219], v[216:217], -v[96:97]
	;; [unrolled: 9-line block ×23, first 2 shown]
	v_fma_f64 v[212:213], v[220:221], v[216:217], v[212:213]
	s_delay_alu instid0(VALU_DEP_2) | instskip(NEXT) | instid1(VALU_DEP_2)
	v_add_f64 v[0:1], v[0:1], -v[96:97]
	v_add_f64 v[2:3], v[2:3], -v[212:213]
	v_dual_mov_b32 v96, v216 :: v_dual_mov_b32 v97, v217
.LBB117_316:
	s_or_b32 exec_lo, exec_lo, s3
	s_delay_alu instid0(SALU_CYCLE_1)
	s_mov_b32 s4, exec_lo
	s_waitcnt_vscnt null, 0x0
	s_barrier
	buffer_gl0_inv
	v_cmpx_eq_u32_e32 35, v208
	s_cbranch_execz .LBB117_323
; %bb.317:
	ds_store_2addr_b64 v209, v[92:93], v[94:95] offset1:1
	ds_store_2addr_b64 v214, v[88:89], v[90:91] offset0:72 offset1:73
	ds_store_2addr_b64 v214, v[84:85], v[86:87] offset0:74 offset1:75
	ds_store_2addr_b64 v214, v[80:81], v[82:83] offset0:76 offset1:77
	ds_store_2addr_b64 v214, v[76:77], v[78:79] offset0:78 offset1:79
	ds_store_2addr_b64 v214, v[72:73], v[74:75] offset0:80 offset1:81
	ds_store_2addr_b64 v214, v[68:69], v[70:71] offset0:82 offset1:83
	ds_store_2addr_b64 v214, v[64:65], v[66:67] offset0:84 offset1:85
	ds_store_2addr_b64 v214, v[60:61], v[62:63] offset0:86 offset1:87
	ds_store_2addr_b64 v214, v[56:57], v[58:59] offset0:88 offset1:89
	ds_store_2addr_b64 v214, v[52:53], v[54:55] offset0:90 offset1:91
	ds_store_2addr_b64 v214, v[48:49], v[50:51] offset0:92 offset1:93
	ds_store_2addr_b64 v214, v[44:45], v[46:47] offset0:94 offset1:95
	ds_store_2addr_b64 v214, v[40:41], v[42:43] offset0:96 offset1:97
	ds_store_2addr_b64 v214, v[36:37], v[38:39] offset0:98 offset1:99
	ds_store_2addr_b64 v214, v[32:33], v[34:35] offset0:100 offset1:101
	ds_store_2addr_b64 v214, v[28:29], v[30:31] offset0:102 offset1:103
	ds_store_2addr_b64 v214, v[24:25], v[26:27] offset0:104 offset1:105
	ds_store_2addr_b64 v214, v[20:21], v[22:23] offset0:106 offset1:107
	ds_store_2addr_b64 v214, v[16:17], v[18:19] offset0:108 offset1:109
	ds_store_2addr_b64 v214, v[12:13], v[14:15] offset0:110 offset1:111
	ds_store_2addr_b64 v214, v[8:9], v[10:11] offset0:112 offset1:113
	ds_store_2addr_b64 v214, v[4:5], v[6:7] offset0:114 offset1:115
	ds_store_2addr_b64 v214, v[0:1], v[2:3] offset0:116 offset1:117
	ds_load_2addr_b64 v[216:219], v209 offset1:1
	s_waitcnt lgkmcnt(0)
	v_cmp_neq_f64_e32 vcc_lo, 0, v[216:217]
	v_cmp_neq_f64_e64 s3, 0, v[218:219]
	s_delay_alu instid0(VALU_DEP_1) | instskip(NEXT) | instid1(SALU_CYCLE_1)
	s_or_b32 s3, vcc_lo, s3
	s_and_b32 exec_lo, exec_lo, s3
	s_cbranch_execz .LBB117_323
; %bb.318:
	v_cmp_gt_f64_e32 vcc_lo, 0, v[216:217]
	v_xor_b32_e32 v212, 0x80000000, v217
	v_xor_b32_e32 v215, 0x80000000, v219
	s_delay_alu instid0(VALU_DEP_2) | instskip(SKIP_2) | instid1(VALU_DEP_4)
	v_cndmask_b32_e32 v213, v217, v212, vcc_lo
	v_cndmask_b32_e32 v212, v216, v216, vcc_lo
	v_cmp_gt_f64_e32 vcc_lo, 0, v[218:219]
	v_dual_cndmask_b32 v221, v219, v215 :: v_dual_cndmask_b32 v220, v218, v218
	s_delay_alu instid0(VALU_DEP_1) | instskip(SKIP_1) | instid1(SALU_CYCLE_1)
	v_cmp_ngt_f64_e32 vcc_lo, v[212:213], v[220:221]
                                        ; implicit-def: $vgpr212_vgpr213
	s_and_saveexec_b32 s3, vcc_lo
	s_xor_b32 s3, exec_lo, s3
                                        ; implicit-def: $vgpr220_vgpr221_vgpr222_vgpr223
	s_cbranch_execz .LBB117_320
; %bb.319:
	v_div_scale_f64 v[212:213], null, v[218:219], v[218:219], v[216:217]
	v_div_scale_f64 v[224:225], vcc_lo, v[216:217], v[218:219], v[216:217]
	s_delay_alu instid0(VALU_DEP_2) | instskip(SKIP_2) | instid1(VALU_DEP_1)
	v_rcp_f64_e32 v[220:221], v[212:213]
	s_waitcnt_depctr 0xfff
	v_fma_f64 v[222:223], -v[212:213], v[220:221], 1.0
	v_fma_f64 v[220:221], v[220:221], v[222:223], v[220:221]
	s_delay_alu instid0(VALU_DEP_1) | instskip(NEXT) | instid1(VALU_DEP_1)
	v_fma_f64 v[222:223], -v[212:213], v[220:221], 1.0
	v_fma_f64 v[220:221], v[220:221], v[222:223], v[220:221]
	s_delay_alu instid0(VALU_DEP_1) | instskip(NEXT) | instid1(VALU_DEP_1)
	v_mul_f64 v[222:223], v[224:225], v[220:221]
	v_fma_f64 v[212:213], -v[212:213], v[222:223], v[224:225]
	s_delay_alu instid0(VALU_DEP_1) | instskip(NEXT) | instid1(VALU_DEP_1)
	v_div_fmas_f64 v[212:213], v[212:213], v[220:221], v[222:223]
	v_div_fixup_f64 v[212:213], v[212:213], v[218:219], v[216:217]
	s_delay_alu instid0(VALU_DEP_1) | instskip(NEXT) | instid1(VALU_DEP_1)
	v_fma_f64 v[216:217], v[216:217], v[212:213], v[218:219]
	v_div_scale_f64 v[218:219], null, v[216:217], v[216:217], 1.0
	s_delay_alu instid0(VALU_DEP_1) | instskip(SKIP_2) | instid1(VALU_DEP_1)
	v_rcp_f64_e32 v[220:221], v[218:219]
	s_waitcnt_depctr 0xfff
	v_fma_f64 v[222:223], -v[218:219], v[220:221], 1.0
	v_fma_f64 v[220:221], v[220:221], v[222:223], v[220:221]
	s_delay_alu instid0(VALU_DEP_1) | instskip(NEXT) | instid1(VALU_DEP_1)
	v_fma_f64 v[222:223], -v[218:219], v[220:221], 1.0
	v_fma_f64 v[220:221], v[220:221], v[222:223], v[220:221]
	v_div_scale_f64 v[222:223], vcc_lo, 1.0, v[216:217], 1.0
	s_delay_alu instid0(VALU_DEP_1) | instskip(NEXT) | instid1(VALU_DEP_1)
	v_mul_f64 v[224:225], v[222:223], v[220:221]
	v_fma_f64 v[218:219], -v[218:219], v[224:225], v[222:223]
	s_delay_alu instid0(VALU_DEP_1) | instskip(NEXT) | instid1(VALU_DEP_1)
	v_div_fmas_f64 v[218:219], v[218:219], v[220:221], v[224:225]
	v_div_fixup_f64 v[222:223], v[218:219], v[216:217], 1.0
                                        ; implicit-def: $vgpr216_vgpr217
	s_delay_alu instid0(VALU_DEP_1)
	v_mul_f64 v[212:213], v[212:213], v[222:223]
	v_xor_b32_e32 v223, 0x80000000, v223
.LBB117_320:
	s_and_not1_saveexec_b32 s3, s3
	s_cbranch_execz .LBB117_322
; %bb.321:
	v_div_scale_f64 v[212:213], null, v[216:217], v[216:217], v[218:219]
	v_div_scale_f64 v[224:225], vcc_lo, v[218:219], v[216:217], v[218:219]
	s_delay_alu instid0(VALU_DEP_2) | instskip(SKIP_2) | instid1(VALU_DEP_1)
	v_rcp_f64_e32 v[220:221], v[212:213]
	s_waitcnt_depctr 0xfff
	v_fma_f64 v[222:223], -v[212:213], v[220:221], 1.0
	v_fma_f64 v[220:221], v[220:221], v[222:223], v[220:221]
	s_delay_alu instid0(VALU_DEP_1) | instskip(NEXT) | instid1(VALU_DEP_1)
	v_fma_f64 v[222:223], -v[212:213], v[220:221], 1.0
	v_fma_f64 v[220:221], v[220:221], v[222:223], v[220:221]
	s_delay_alu instid0(VALU_DEP_1) | instskip(NEXT) | instid1(VALU_DEP_1)
	v_mul_f64 v[222:223], v[224:225], v[220:221]
	v_fma_f64 v[212:213], -v[212:213], v[222:223], v[224:225]
	s_delay_alu instid0(VALU_DEP_1) | instskip(NEXT) | instid1(VALU_DEP_1)
	v_div_fmas_f64 v[212:213], v[212:213], v[220:221], v[222:223]
	v_div_fixup_f64 v[220:221], v[212:213], v[216:217], v[218:219]
	s_delay_alu instid0(VALU_DEP_1) | instskip(NEXT) | instid1(VALU_DEP_1)
	v_fma_f64 v[212:213], v[218:219], v[220:221], v[216:217]
	v_div_scale_f64 v[216:217], null, v[212:213], v[212:213], 1.0
	s_delay_alu instid0(VALU_DEP_1) | instskip(SKIP_2) | instid1(VALU_DEP_1)
	v_rcp_f64_e32 v[218:219], v[216:217]
	s_waitcnt_depctr 0xfff
	v_fma_f64 v[222:223], -v[216:217], v[218:219], 1.0
	v_fma_f64 v[218:219], v[218:219], v[222:223], v[218:219]
	s_delay_alu instid0(VALU_DEP_1) | instskip(NEXT) | instid1(VALU_DEP_1)
	v_fma_f64 v[222:223], -v[216:217], v[218:219], 1.0
	v_fma_f64 v[218:219], v[218:219], v[222:223], v[218:219]
	v_div_scale_f64 v[222:223], vcc_lo, 1.0, v[212:213], 1.0
	s_delay_alu instid0(VALU_DEP_1) | instskip(NEXT) | instid1(VALU_DEP_1)
	v_mul_f64 v[224:225], v[222:223], v[218:219]
	v_fma_f64 v[216:217], -v[216:217], v[224:225], v[222:223]
	s_delay_alu instid0(VALU_DEP_1) | instskip(NEXT) | instid1(VALU_DEP_1)
	v_div_fmas_f64 v[216:217], v[216:217], v[218:219], v[224:225]
	v_div_fixup_f64 v[212:213], v[216:217], v[212:213], 1.0
	s_delay_alu instid0(VALU_DEP_1)
	v_mul_f64 v[222:223], v[220:221], -v[212:213]
.LBB117_322:
	s_or_b32 exec_lo, exec_lo, s3
	ds_store_2addr_b64 v209, v[212:213], v[222:223] offset1:1
.LBB117_323:
	s_or_b32 exec_lo, exec_lo, s4
	s_waitcnt lgkmcnt(0)
	s_barrier
	buffer_gl0_inv
	ds_load_2addr_b64 v[204:207], v209 offset1:1
	s_mov_b32 s3, exec_lo
	s_waitcnt lgkmcnt(0)
	scratch_store_b128 off, v[204:207], off offset:1148 ; 16-byte Folded Spill
	v_cmpx_lt_u32_e32 35, v208
	s_cbranch_execz .LBB117_325
; %bb.324:
	scratch_load_b128 v[204:207], off, off offset:1148 ; 16-byte Folded Reload
	ds_load_2addr_b64 v[218:221], v214 offset0:72 offset1:73
	s_waitcnt vmcnt(0)
	v_mul_f64 v[212:213], v[206:207], v[94:95]
	v_mul_f64 v[94:95], v[204:205], v[94:95]
	s_delay_alu instid0(VALU_DEP_2) | instskip(NEXT) | instid1(VALU_DEP_2)
	v_fma_f64 v[216:217], v[204:205], v[92:93], -v[212:213]
	v_fma_f64 v[94:95], v[206:207], v[92:93], v[94:95]
	s_waitcnt lgkmcnt(0)
	s_delay_alu instid0(VALU_DEP_1) | instskip(SKIP_1) | instid1(VALU_DEP_2)
	v_mul_f64 v[92:93], v[220:221], v[94:95]
	v_mul_f64 v[212:213], v[218:219], v[94:95]
	v_fma_f64 v[92:93], v[218:219], v[216:217], -v[92:93]
	s_delay_alu instid0(VALU_DEP_2)
	v_fma_f64 v[212:213], v[220:221], v[216:217], v[212:213]
	ds_load_2addr_b64 v[218:221], v214 offset0:74 offset1:75
	v_add_f64 v[88:89], v[88:89], -v[92:93]
	v_add_f64 v[90:91], v[90:91], -v[212:213]
	s_waitcnt lgkmcnt(0)
	v_mul_f64 v[92:93], v[220:221], v[94:95]
	v_mul_f64 v[212:213], v[218:219], v[94:95]
	s_delay_alu instid0(VALU_DEP_2) | instskip(NEXT) | instid1(VALU_DEP_2)
	v_fma_f64 v[92:93], v[218:219], v[216:217], -v[92:93]
	v_fma_f64 v[212:213], v[220:221], v[216:217], v[212:213]
	ds_load_2addr_b64 v[218:221], v214 offset0:76 offset1:77
	v_add_f64 v[84:85], v[84:85], -v[92:93]
	v_add_f64 v[86:87], v[86:87], -v[212:213]
	s_waitcnt lgkmcnt(0)
	v_mul_f64 v[92:93], v[220:221], v[94:95]
	v_mul_f64 v[212:213], v[218:219], v[94:95]
	s_delay_alu instid0(VALU_DEP_2) | instskip(NEXT) | instid1(VALU_DEP_2)
	v_fma_f64 v[92:93], v[218:219], v[216:217], -v[92:93]
	;; [unrolled: 9-line block ×22, first 2 shown]
	v_fma_f64 v[212:213], v[220:221], v[216:217], v[212:213]
	s_delay_alu instid0(VALU_DEP_2) | instskip(NEXT) | instid1(VALU_DEP_2)
	v_add_f64 v[0:1], v[0:1], -v[92:93]
	v_add_f64 v[2:3], v[2:3], -v[212:213]
	v_dual_mov_b32 v92, v216 :: v_dual_mov_b32 v93, v217
.LBB117_325:
	s_or_b32 exec_lo, exec_lo, s3
	s_delay_alu instid0(SALU_CYCLE_1)
	s_mov_b32 s4, exec_lo
	s_waitcnt_vscnt null, 0x0
	s_barrier
	buffer_gl0_inv
	v_cmpx_eq_u32_e32 36, v208
	s_cbranch_execz .LBB117_332
; %bb.326:
	ds_store_2addr_b64 v209, v[88:89], v[90:91] offset1:1
	ds_store_2addr_b64 v214, v[84:85], v[86:87] offset0:74 offset1:75
	ds_store_2addr_b64 v214, v[80:81], v[82:83] offset0:76 offset1:77
	;; [unrolled: 1-line block ×22, first 2 shown]
	ds_load_2addr_b64 v[216:219], v209 offset1:1
	s_waitcnt lgkmcnt(0)
	v_cmp_neq_f64_e32 vcc_lo, 0, v[216:217]
	v_cmp_neq_f64_e64 s3, 0, v[218:219]
	s_delay_alu instid0(VALU_DEP_1) | instskip(NEXT) | instid1(SALU_CYCLE_1)
	s_or_b32 s3, vcc_lo, s3
	s_and_b32 exec_lo, exec_lo, s3
	s_cbranch_execz .LBB117_332
; %bb.327:
	v_cmp_gt_f64_e32 vcc_lo, 0, v[216:217]
	v_xor_b32_e32 v212, 0x80000000, v217
	v_xor_b32_e32 v215, 0x80000000, v219
	s_delay_alu instid0(VALU_DEP_2) | instskip(SKIP_2) | instid1(VALU_DEP_4)
	v_cndmask_b32_e32 v213, v217, v212, vcc_lo
	v_cndmask_b32_e32 v212, v216, v216, vcc_lo
	v_cmp_gt_f64_e32 vcc_lo, 0, v[218:219]
	v_dual_cndmask_b32 v221, v219, v215 :: v_dual_cndmask_b32 v220, v218, v218
	s_delay_alu instid0(VALU_DEP_1) | instskip(SKIP_1) | instid1(SALU_CYCLE_1)
	v_cmp_ngt_f64_e32 vcc_lo, v[212:213], v[220:221]
                                        ; implicit-def: $vgpr212_vgpr213
	s_and_saveexec_b32 s3, vcc_lo
	s_xor_b32 s3, exec_lo, s3
                                        ; implicit-def: $vgpr220_vgpr221_vgpr222_vgpr223
	s_cbranch_execz .LBB117_329
; %bb.328:
	v_div_scale_f64 v[212:213], null, v[218:219], v[218:219], v[216:217]
	v_div_scale_f64 v[224:225], vcc_lo, v[216:217], v[218:219], v[216:217]
	s_delay_alu instid0(VALU_DEP_2) | instskip(SKIP_2) | instid1(VALU_DEP_1)
	v_rcp_f64_e32 v[220:221], v[212:213]
	s_waitcnt_depctr 0xfff
	v_fma_f64 v[222:223], -v[212:213], v[220:221], 1.0
	v_fma_f64 v[220:221], v[220:221], v[222:223], v[220:221]
	s_delay_alu instid0(VALU_DEP_1) | instskip(NEXT) | instid1(VALU_DEP_1)
	v_fma_f64 v[222:223], -v[212:213], v[220:221], 1.0
	v_fma_f64 v[220:221], v[220:221], v[222:223], v[220:221]
	s_delay_alu instid0(VALU_DEP_1) | instskip(NEXT) | instid1(VALU_DEP_1)
	v_mul_f64 v[222:223], v[224:225], v[220:221]
	v_fma_f64 v[212:213], -v[212:213], v[222:223], v[224:225]
	s_delay_alu instid0(VALU_DEP_1) | instskip(NEXT) | instid1(VALU_DEP_1)
	v_div_fmas_f64 v[212:213], v[212:213], v[220:221], v[222:223]
	v_div_fixup_f64 v[212:213], v[212:213], v[218:219], v[216:217]
	s_delay_alu instid0(VALU_DEP_1) | instskip(NEXT) | instid1(VALU_DEP_1)
	v_fma_f64 v[216:217], v[216:217], v[212:213], v[218:219]
	v_div_scale_f64 v[218:219], null, v[216:217], v[216:217], 1.0
	s_delay_alu instid0(VALU_DEP_1) | instskip(SKIP_2) | instid1(VALU_DEP_1)
	v_rcp_f64_e32 v[220:221], v[218:219]
	s_waitcnt_depctr 0xfff
	v_fma_f64 v[222:223], -v[218:219], v[220:221], 1.0
	v_fma_f64 v[220:221], v[220:221], v[222:223], v[220:221]
	s_delay_alu instid0(VALU_DEP_1) | instskip(NEXT) | instid1(VALU_DEP_1)
	v_fma_f64 v[222:223], -v[218:219], v[220:221], 1.0
	v_fma_f64 v[220:221], v[220:221], v[222:223], v[220:221]
	v_div_scale_f64 v[222:223], vcc_lo, 1.0, v[216:217], 1.0
	s_delay_alu instid0(VALU_DEP_1) | instskip(NEXT) | instid1(VALU_DEP_1)
	v_mul_f64 v[224:225], v[222:223], v[220:221]
	v_fma_f64 v[218:219], -v[218:219], v[224:225], v[222:223]
	s_delay_alu instid0(VALU_DEP_1) | instskip(NEXT) | instid1(VALU_DEP_1)
	v_div_fmas_f64 v[218:219], v[218:219], v[220:221], v[224:225]
	v_div_fixup_f64 v[222:223], v[218:219], v[216:217], 1.0
                                        ; implicit-def: $vgpr216_vgpr217
	s_delay_alu instid0(VALU_DEP_1)
	v_mul_f64 v[212:213], v[212:213], v[222:223]
	v_xor_b32_e32 v223, 0x80000000, v223
.LBB117_329:
	s_and_not1_saveexec_b32 s3, s3
	s_cbranch_execz .LBB117_331
; %bb.330:
	v_div_scale_f64 v[212:213], null, v[216:217], v[216:217], v[218:219]
	v_div_scale_f64 v[224:225], vcc_lo, v[218:219], v[216:217], v[218:219]
	s_delay_alu instid0(VALU_DEP_2) | instskip(SKIP_2) | instid1(VALU_DEP_1)
	v_rcp_f64_e32 v[220:221], v[212:213]
	s_waitcnt_depctr 0xfff
	v_fma_f64 v[222:223], -v[212:213], v[220:221], 1.0
	v_fma_f64 v[220:221], v[220:221], v[222:223], v[220:221]
	s_delay_alu instid0(VALU_DEP_1) | instskip(NEXT) | instid1(VALU_DEP_1)
	v_fma_f64 v[222:223], -v[212:213], v[220:221], 1.0
	v_fma_f64 v[220:221], v[220:221], v[222:223], v[220:221]
	s_delay_alu instid0(VALU_DEP_1) | instskip(NEXT) | instid1(VALU_DEP_1)
	v_mul_f64 v[222:223], v[224:225], v[220:221]
	v_fma_f64 v[212:213], -v[212:213], v[222:223], v[224:225]
	s_delay_alu instid0(VALU_DEP_1) | instskip(NEXT) | instid1(VALU_DEP_1)
	v_div_fmas_f64 v[212:213], v[212:213], v[220:221], v[222:223]
	v_div_fixup_f64 v[220:221], v[212:213], v[216:217], v[218:219]
	s_delay_alu instid0(VALU_DEP_1) | instskip(NEXT) | instid1(VALU_DEP_1)
	v_fma_f64 v[212:213], v[218:219], v[220:221], v[216:217]
	v_div_scale_f64 v[216:217], null, v[212:213], v[212:213], 1.0
	s_delay_alu instid0(VALU_DEP_1) | instskip(SKIP_2) | instid1(VALU_DEP_1)
	v_rcp_f64_e32 v[218:219], v[216:217]
	s_waitcnt_depctr 0xfff
	v_fma_f64 v[222:223], -v[216:217], v[218:219], 1.0
	v_fma_f64 v[218:219], v[218:219], v[222:223], v[218:219]
	s_delay_alu instid0(VALU_DEP_1) | instskip(NEXT) | instid1(VALU_DEP_1)
	v_fma_f64 v[222:223], -v[216:217], v[218:219], 1.0
	v_fma_f64 v[218:219], v[218:219], v[222:223], v[218:219]
	v_div_scale_f64 v[222:223], vcc_lo, 1.0, v[212:213], 1.0
	s_delay_alu instid0(VALU_DEP_1) | instskip(NEXT) | instid1(VALU_DEP_1)
	v_mul_f64 v[224:225], v[222:223], v[218:219]
	v_fma_f64 v[216:217], -v[216:217], v[224:225], v[222:223]
	s_delay_alu instid0(VALU_DEP_1) | instskip(NEXT) | instid1(VALU_DEP_1)
	v_div_fmas_f64 v[216:217], v[216:217], v[218:219], v[224:225]
	v_div_fixup_f64 v[212:213], v[216:217], v[212:213], 1.0
	s_delay_alu instid0(VALU_DEP_1)
	v_mul_f64 v[222:223], v[220:221], -v[212:213]
.LBB117_331:
	s_or_b32 exec_lo, exec_lo, s3
	ds_store_2addr_b64 v209, v[212:213], v[222:223] offset1:1
.LBB117_332:
	s_or_b32 exec_lo, exec_lo, s4
	s_waitcnt lgkmcnt(0)
	s_barrier
	buffer_gl0_inv
	ds_load_2addr_b64 v[204:207], v209 offset1:1
	s_mov_b32 s3, exec_lo
	s_waitcnt lgkmcnt(0)
	scratch_store_b128 off, v[204:207], off offset:1164 ; 16-byte Folded Spill
	v_cmpx_lt_u32_e32 36, v208
	s_cbranch_execz .LBB117_334
; %bb.333:
	scratch_load_b128 v[204:207], off, off offset:1164 ; 16-byte Folded Reload
	ds_load_2addr_b64 v[218:221], v214 offset0:74 offset1:75
	s_waitcnt vmcnt(0)
	v_mul_f64 v[212:213], v[206:207], v[90:91]
	v_mul_f64 v[90:91], v[204:205], v[90:91]
	s_delay_alu instid0(VALU_DEP_2) | instskip(NEXT) | instid1(VALU_DEP_2)
	v_fma_f64 v[216:217], v[204:205], v[88:89], -v[212:213]
	v_fma_f64 v[90:91], v[206:207], v[88:89], v[90:91]
	s_waitcnt lgkmcnt(0)
	s_delay_alu instid0(VALU_DEP_1) | instskip(SKIP_1) | instid1(VALU_DEP_2)
	v_mul_f64 v[88:89], v[220:221], v[90:91]
	v_mul_f64 v[212:213], v[218:219], v[90:91]
	v_fma_f64 v[88:89], v[218:219], v[216:217], -v[88:89]
	s_delay_alu instid0(VALU_DEP_2)
	v_fma_f64 v[212:213], v[220:221], v[216:217], v[212:213]
	ds_load_2addr_b64 v[218:221], v214 offset0:76 offset1:77
	v_add_f64 v[84:85], v[84:85], -v[88:89]
	v_add_f64 v[86:87], v[86:87], -v[212:213]
	s_waitcnt lgkmcnt(0)
	v_mul_f64 v[88:89], v[220:221], v[90:91]
	v_mul_f64 v[212:213], v[218:219], v[90:91]
	s_delay_alu instid0(VALU_DEP_2) | instskip(NEXT) | instid1(VALU_DEP_2)
	v_fma_f64 v[88:89], v[218:219], v[216:217], -v[88:89]
	v_fma_f64 v[212:213], v[220:221], v[216:217], v[212:213]
	ds_load_2addr_b64 v[218:221], v214 offset0:78 offset1:79
	v_add_f64 v[80:81], v[80:81], -v[88:89]
	v_add_f64 v[82:83], v[82:83], -v[212:213]
	s_waitcnt lgkmcnt(0)
	v_mul_f64 v[88:89], v[220:221], v[90:91]
	v_mul_f64 v[212:213], v[218:219], v[90:91]
	s_delay_alu instid0(VALU_DEP_2) | instskip(NEXT) | instid1(VALU_DEP_2)
	v_fma_f64 v[88:89], v[218:219], v[216:217], -v[88:89]
	;; [unrolled: 9-line block ×21, first 2 shown]
	v_fma_f64 v[212:213], v[220:221], v[216:217], v[212:213]
	s_delay_alu instid0(VALU_DEP_2) | instskip(NEXT) | instid1(VALU_DEP_2)
	v_add_f64 v[0:1], v[0:1], -v[88:89]
	v_add_f64 v[2:3], v[2:3], -v[212:213]
	v_dual_mov_b32 v88, v216 :: v_dual_mov_b32 v89, v217
.LBB117_334:
	s_or_b32 exec_lo, exec_lo, s3
	s_delay_alu instid0(SALU_CYCLE_1)
	s_mov_b32 s4, exec_lo
	s_waitcnt_vscnt null, 0x0
	s_barrier
	buffer_gl0_inv
	v_cmpx_eq_u32_e32 37, v208
	s_cbranch_execz .LBB117_341
; %bb.335:
	ds_store_2addr_b64 v209, v[84:85], v[86:87] offset1:1
	ds_store_2addr_b64 v214, v[80:81], v[82:83] offset0:76 offset1:77
	ds_store_2addr_b64 v214, v[76:77], v[78:79] offset0:78 offset1:79
	;; [unrolled: 1-line block ×21, first 2 shown]
	ds_load_2addr_b64 v[216:219], v209 offset1:1
	s_waitcnt lgkmcnt(0)
	v_cmp_neq_f64_e32 vcc_lo, 0, v[216:217]
	v_cmp_neq_f64_e64 s3, 0, v[218:219]
	s_delay_alu instid0(VALU_DEP_1) | instskip(NEXT) | instid1(SALU_CYCLE_1)
	s_or_b32 s3, vcc_lo, s3
	s_and_b32 exec_lo, exec_lo, s3
	s_cbranch_execz .LBB117_341
; %bb.336:
	v_cmp_gt_f64_e32 vcc_lo, 0, v[216:217]
	v_xor_b32_e32 v212, 0x80000000, v217
	v_xor_b32_e32 v215, 0x80000000, v219
	s_delay_alu instid0(VALU_DEP_2) | instskip(SKIP_2) | instid1(VALU_DEP_4)
	v_cndmask_b32_e32 v213, v217, v212, vcc_lo
	v_cndmask_b32_e32 v212, v216, v216, vcc_lo
	v_cmp_gt_f64_e32 vcc_lo, 0, v[218:219]
	v_dual_cndmask_b32 v221, v219, v215 :: v_dual_cndmask_b32 v220, v218, v218
	s_delay_alu instid0(VALU_DEP_1) | instskip(SKIP_1) | instid1(SALU_CYCLE_1)
	v_cmp_ngt_f64_e32 vcc_lo, v[212:213], v[220:221]
                                        ; implicit-def: $vgpr212_vgpr213
	s_and_saveexec_b32 s3, vcc_lo
	s_xor_b32 s3, exec_lo, s3
                                        ; implicit-def: $vgpr220_vgpr221_vgpr222_vgpr223
	s_cbranch_execz .LBB117_338
; %bb.337:
	v_div_scale_f64 v[212:213], null, v[218:219], v[218:219], v[216:217]
	v_div_scale_f64 v[224:225], vcc_lo, v[216:217], v[218:219], v[216:217]
	s_delay_alu instid0(VALU_DEP_2) | instskip(SKIP_2) | instid1(VALU_DEP_1)
	v_rcp_f64_e32 v[220:221], v[212:213]
	s_waitcnt_depctr 0xfff
	v_fma_f64 v[222:223], -v[212:213], v[220:221], 1.0
	v_fma_f64 v[220:221], v[220:221], v[222:223], v[220:221]
	s_delay_alu instid0(VALU_DEP_1) | instskip(NEXT) | instid1(VALU_DEP_1)
	v_fma_f64 v[222:223], -v[212:213], v[220:221], 1.0
	v_fma_f64 v[220:221], v[220:221], v[222:223], v[220:221]
	s_delay_alu instid0(VALU_DEP_1) | instskip(NEXT) | instid1(VALU_DEP_1)
	v_mul_f64 v[222:223], v[224:225], v[220:221]
	v_fma_f64 v[212:213], -v[212:213], v[222:223], v[224:225]
	s_delay_alu instid0(VALU_DEP_1) | instskip(NEXT) | instid1(VALU_DEP_1)
	v_div_fmas_f64 v[212:213], v[212:213], v[220:221], v[222:223]
	v_div_fixup_f64 v[212:213], v[212:213], v[218:219], v[216:217]
	s_delay_alu instid0(VALU_DEP_1) | instskip(NEXT) | instid1(VALU_DEP_1)
	v_fma_f64 v[216:217], v[216:217], v[212:213], v[218:219]
	v_div_scale_f64 v[218:219], null, v[216:217], v[216:217], 1.0
	s_delay_alu instid0(VALU_DEP_1) | instskip(SKIP_2) | instid1(VALU_DEP_1)
	v_rcp_f64_e32 v[220:221], v[218:219]
	s_waitcnt_depctr 0xfff
	v_fma_f64 v[222:223], -v[218:219], v[220:221], 1.0
	v_fma_f64 v[220:221], v[220:221], v[222:223], v[220:221]
	s_delay_alu instid0(VALU_DEP_1) | instskip(NEXT) | instid1(VALU_DEP_1)
	v_fma_f64 v[222:223], -v[218:219], v[220:221], 1.0
	v_fma_f64 v[220:221], v[220:221], v[222:223], v[220:221]
	v_div_scale_f64 v[222:223], vcc_lo, 1.0, v[216:217], 1.0
	s_delay_alu instid0(VALU_DEP_1) | instskip(NEXT) | instid1(VALU_DEP_1)
	v_mul_f64 v[224:225], v[222:223], v[220:221]
	v_fma_f64 v[218:219], -v[218:219], v[224:225], v[222:223]
	s_delay_alu instid0(VALU_DEP_1) | instskip(NEXT) | instid1(VALU_DEP_1)
	v_div_fmas_f64 v[218:219], v[218:219], v[220:221], v[224:225]
	v_div_fixup_f64 v[222:223], v[218:219], v[216:217], 1.0
                                        ; implicit-def: $vgpr216_vgpr217
	s_delay_alu instid0(VALU_DEP_1)
	v_mul_f64 v[212:213], v[212:213], v[222:223]
	v_xor_b32_e32 v223, 0x80000000, v223
.LBB117_338:
	s_and_not1_saveexec_b32 s3, s3
	s_cbranch_execz .LBB117_340
; %bb.339:
	v_div_scale_f64 v[212:213], null, v[216:217], v[216:217], v[218:219]
	v_div_scale_f64 v[224:225], vcc_lo, v[218:219], v[216:217], v[218:219]
	s_delay_alu instid0(VALU_DEP_2) | instskip(SKIP_2) | instid1(VALU_DEP_1)
	v_rcp_f64_e32 v[220:221], v[212:213]
	s_waitcnt_depctr 0xfff
	v_fma_f64 v[222:223], -v[212:213], v[220:221], 1.0
	v_fma_f64 v[220:221], v[220:221], v[222:223], v[220:221]
	s_delay_alu instid0(VALU_DEP_1) | instskip(NEXT) | instid1(VALU_DEP_1)
	v_fma_f64 v[222:223], -v[212:213], v[220:221], 1.0
	v_fma_f64 v[220:221], v[220:221], v[222:223], v[220:221]
	s_delay_alu instid0(VALU_DEP_1) | instskip(NEXT) | instid1(VALU_DEP_1)
	v_mul_f64 v[222:223], v[224:225], v[220:221]
	v_fma_f64 v[212:213], -v[212:213], v[222:223], v[224:225]
	s_delay_alu instid0(VALU_DEP_1) | instskip(NEXT) | instid1(VALU_DEP_1)
	v_div_fmas_f64 v[212:213], v[212:213], v[220:221], v[222:223]
	v_div_fixup_f64 v[220:221], v[212:213], v[216:217], v[218:219]
	s_delay_alu instid0(VALU_DEP_1) | instskip(NEXT) | instid1(VALU_DEP_1)
	v_fma_f64 v[212:213], v[218:219], v[220:221], v[216:217]
	v_div_scale_f64 v[216:217], null, v[212:213], v[212:213], 1.0
	s_delay_alu instid0(VALU_DEP_1) | instskip(SKIP_2) | instid1(VALU_DEP_1)
	v_rcp_f64_e32 v[218:219], v[216:217]
	s_waitcnt_depctr 0xfff
	v_fma_f64 v[222:223], -v[216:217], v[218:219], 1.0
	v_fma_f64 v[218:219], v[218:219], v[222:223], v[218:219]
	s_delay_alu instid0(VALU_DEP_1) | instskip(NEXT) | instid1(VALU_DEP_1)
	v_fma_f64 v[222:223], -v[216:217], v[218:219], 1.0
	v_fma_f64 v[218:219], v[218:219], v[222:223], v[218:219]
	v_div_scale_f64 v[222:223], vcc_lo, 1.0, v[212:213], 1.0
	s_delay_alu instid0(VALU_DEP_1) | instskip(NEXT) | instid1(VALU_DEP_1)
	v_mul_f64 v[224:225], v[222:223], v[218:219]
	v_fma_f64 v[216:217], -v[216:217], v[224:225], v[222:223]
	s_delay_alu instid0(VALU_DEP_1) | instskip(NEXT) | instid1(VALU_DEP_1)
	v_div_fmas_f64 v[216:217], v[216:217], v[218:219], v[224:225]
	v_div_fixup_f64 v[212:213], v[216:217], v[212:213], 1.0
	s_delay_alu instid0(VALU_DEP_1)
	v_mul_f64 v[222:223], v[220:221], -v[212:213]
.LBB117_340:
	s_or_b32 exec_lo, exec_lo, s3
	ds_store_2addr_b64 v209, v[212:213], v[222:223] offset1:1
.LBB117_341:
	s_or_b32 exec_lo, exec_lo, s4
	s_waitcnt lgkmcnt(0)
	s_barrier
	buffer_gl0_inv
	ds_load_2addr_b64 v[204:207], v209 offset1:1
	s_mov_b32 s3, exec_lo
	s_waitcnt lgkmcnt(0)
	scratch_store_b128 off, v[204:207], off offset:1180 ; 16-byte Folded Spill
	v_cmpx_lt_u32_e32 37, v208
	s_cbranch_execz .LBB117_343
; %bb.342:
	scratch_load_b128 v[204:207], off, off offset:1180 ; 16-byte Folded Reload
	ds_load_2addr_b64 v[218:221], v214 offset0:76 offset1:77
	s_waitcnt vmcnt(0)
	v_mul_f64 v[212:213], v[206:207], v[86:87]
	v_mul_f64 v[86:87], v[204:205], v[86:87]
	s_delay_alu instid0(VALU_DEP_2) | instskip(NEXT) | instid1(VALU_DEP_2)
	v_fma_f64 v[216:217], v[204:205], v[84:85], -v[212:213]
	v_fma_f64 v[86:87], v[206:207], v[84:85], v[86:87]
	s_waitcnt lgkmcnt(0)
	s_delay_alu instid0(VALU_DEP_1) | instskip(SKIP_1) | instid1(VALU_DEP_2)
	v_mul_f64 v[84:85], v[220:221], v[86:87]
	v_mul_f64 v[212:213], v[218:219], v[86:87]
	v_fma_f64 v[84:85], v[218:219], v[216:217], -v[84:85]
	s_delay_alu instid0(VALU_DEP_2)
	v_fma_f64 v[212:213], v[220:221], v[216:217], v[212:213]
	ds_load_2addr_b64 v[218:221], v214 offset0:78 offset1:79
	v_add_f64 v[80:81], v[80:81], -v[84:85]
	v_add_f64 v[82:83], v[82:83], -v[212:213]
	s_waitcnt lgkmcnt(0)
	v_mul_f64 v[84:85], v[220:221], v[86:87]
	v_mul_f64 v[212:213], v[218:219], v[86:87]
	s_delay_alu instid0(VALU_DEP_2) | instskip(NEXT) | instid1(VALU_DEP_2)
	v_fma_f64 v[84:85], v[218:219], v[216:217], -v[84:85]
	v_fma_f64 v[212:213], v[220:221], v[216:217], v[212:213]
	ds_load_2addr_b64 v[218:221], v214 offset0:80 offset1:81
	v_add_f64 v[76:77], v[76:77], -v[84:85]
	v_add_f64 v[78:79], v[78:79], -v[212:213]
	s_waitcnt lgkmcnt(0)
	v_mul_f64 v[84:85], v[220:221], v[86:87]
	v_mul_f64 v[212:213], v[218:219], v[86:87]
	s_delay_alu instid0(VALU_DEP_2) | instskip(NEXT) | instid1(VALU_DEP_2)
	v_fma_f64 v[84:85], v[218:219], v[216:217], -v[84:85]
	v_fma_f64 v[212:213], v[220:221], v[216:217], v[212:213]
	ds_load_2addr_b64 v[218:221], v214 offset0:82 offset1:83
	v_add_f64 v[72:73], v[72:73], -v[84:85]
	v_add_f64 v[74:75], v[74:75], -v[212:213]
	s_waitcnt lgkmcnt(0)
	v_mul_f64 v[84:85], v[220:221], v[86:87]
	v_mul_f64 v[212:213], v[218:219], v[86:87]
	s_delay_alu instid0(VALU_DEP_2) | instskip(NEXT) | instid1(VALU_DEP_2)
	v_fma_f64 v[84:85], v[218:219], v[216:217], -v[84:85]
	v_fma_f64 v[212:213], v[220:221], v[216:217], v[212:213]
	ds_load_2addr_b64 v[218:221], v214 offset0:84 offset1:85
	v_add_f64 v[68:69], v[68:69], -v[84:85]
	v_add_f64 v[70:71], v[70:71], -v[212:213]
	s_waitcnt lgkmcnt(0)
	v_mul_f64 v[84:85], v[220:221], v[86:87]
	v_mul_f64 v[212:213], v[218:219], v[86:87]
	s_delay_alu instid0(VALU_DEP_2) | instskip(NEXT) | instid1(VALU_DEP_2)
	v_fma_f64 v[84:85], v[218:219], v[216:217], -v[84:85]
	v_fma_f64 v[212:213], v[220:221], v[216:217], v[212:213]
	ds_load_2addr_b64 v[218:221], v214 offset0:86 offset1:87
	v_add_f64 v[64:65], v[64:65], -v[84:85]
	v_add_f64 v[66:67], v[66:67], -v[212:213]
	s_waitcnt lgkmcnt(0)
	v_mul_f64 v[84:85], v[220:221], v[86:87]
	v_mul_f64 v[212:213], v[218:219], v[86:87]
	s_delay_alu instid0(VALU_DEP_2) | instskip(NEXT) | instid1(VALU_DEP_2)
	v_fma_f64 v[84:85], v[218:219], v[216:217], -v[84:85]
	v_fma_f64 v[212:213], v[220:221], v[216:217], v[212:213]
	ds_load_2addr_b64 v[218:221], v214 offset0:88 offset1:89
	v_add_f64 v[60:61], v[60:61], -v[84:85]
	v_add_f64 v[62:63], v[62:63], -v[212:213]
	s_waitcnt lgkmcnt(0)
	v_mul_f64 v[84:85], v[220:221], v[86:87]
	v_mul_f64 v[212:213], v[218:219], v[86:87]
	s_delay_alu instid0(VALU_DEP_2) | instskip(NEXT) | instid1(VALU_DEP_2)
	v_fma_f64 v[84:85], v[218:219], v[216:217], -v[84:85]
	v_fma_f64 v[212:213], v[220:221], v[216:217], v[212:213]
	ds_load_2addr_b64 v[218:221], v214 offset0:90 offset1:91
	v_add_f64 v[56:57], v[56:57], -v[84:85]
	v_add_f64 v[58:59], v[58:59], -v[212:213]
	s_waitcnt lgkmcnt(0)
	v_mul_f64 v[84:85], v[220:221], v[86:87]
	v_mul_f64 v[212:213], v[218:219], v[86:87]
	s_delay_alu instid0(VALU_DEP_2) | instskip(NEXT) | instid1(VALU_DEP_2)
	v_fma_f64 v[84:85], v[218:219], v[216:217], -v[84:85]
	v_fma_f64 v[212:213], v[220:221], v[216:217], v[212:213]
	ds_load_2addr_b64 v[218:221], v214 offset0:92 offset1:93
	v_add_f64 v[52:53], v[52:53], -v[84:85]
	v_add_f64 v[54:55], v[54:55], -v[212:213]
	s_waitcnt lgkmcnt(0)
	v_mul_f64 v[84:85], v[220:221], v[86:87]
	v_mul_f64 v[212:213], v[218:219], v[86:87]
	s_delay_alu instid0(VALU_DEP_2) | instskip(NEXT) | instid1(VALU_DEP_2)
	v_fma_f64 v[84:85], v[218:219], v[216:217], -v[84:85]
	v_fma_f64 v[212:213], v[220:221], v[216:217], v[212:213]
	ds_load_2addr_b64 v[218:221], v214 offset0:94 offset1:95
	v_add_f64 v[48:49], v[48:49], -v[84:85]
	v_add_f64 v[50:51], v[50:51], -v[212:213]
	s_waitcnt lgkmcnt(0)
	v_mul_f64 v[84:85], v[220:221], v[86:87]
	v_mul_f64 v[212:213], v[218:219], v[86:87]
	s_delay_alu instid0(VALU_DEP_2) | instskip(NEXT) | instid1(VALU_DEP_2)
	v_fma_f64 v[84:85], v[218:219], v[216:217], -v[84:85]
	v_fma_f64 v[212:213], v[220:221], v[216:217], v[212:213]
	ds_load_2addr_b64 v[218:221], v214 offset0:96 offset1:97
	v_add_f64 v[44:45], v[44:45], -v[84:85]
	v_add_f64 v[46:47], v[46:47], -v[212:213]
	s_waitcnt lgkmcnt(0)
	v_mul_f64 v[84:85], v[220:221], v[86:87]
	v_mul_f64 v[212:213], v[218:219], v[86:87]
	s_delay_alu instid0(VALU_DEP_2) | instskip(NEXT) | instid1(VALU_DEP_2)
	v_fma_f64 v[84:85], v[218:219], v[216:217], -v[84:85]
	v_fma_f64 v[212:213], v[220:221], v[216:217], v[212:213]
	ds_load_2addr_b64 v[218:221], v214 offset0:98 offset1:99
	v_add_f64 v[40:41], v[40:41], -v[84:85]
	v_add_f64 v[42:43], v[42:43], -v[212:213]
	s_waitcnt lgkmcnt(0)
	v_mul_f64 v[84:85], v[220:221], v[86:87]
	v_mul_f64 v[212:213], v[218:219], v[86:87]
	s_delay_alu instid0(VALU_DEP_2) | instskip(NEXT) | instid1(VALU_DEP_2)
	v_fma_f64 v[84:85], v[218:219], v[216:217], -v[84:85]
	v_fma_f64 v[212:213], v[220:221], v[216:217], v[212:213]
	ds_load_2addr_b64 v[218:221], v214 offset0:100 offset1:101
	v_add_f64 v[36:37], v[36:37], -v[84:85]
	v_add_f64 v[38:39], v[38:39], -v[212:213]
	s_waitcnt lgkmcnt(0)
	v_mul_f64 v[84:85], v[220:221], v[86:87]
	v_mul_f64 v[212:213], v[218:219], v[86:87]
	s_delay_alu instid0(VALU_DEP_2) | instskip(NEXT) | instid1(VALU_DEP_2)
	v_fma_f64 v[84:85], v[218:219], v[216:217], -v[84:85]
	v_fma_f64 v[212:213], v[220:221], v[216:217], v[212:213]
	ds_load_2addr_b64 v[218:221], v214 offset0:102 offset1:103
	v_add_f64 v[32:33], v[32:33], -v[84:85]
	v_add_f64 v[34:35], v[34:35], -v[212:213]
	s_waitcnt lgkmcnt(0)
	v_mul_f64 v[84:85], v[220:221], v[86:87]
	v_mul_f64 v[212:213], v[218:219], v[86:87]
	s_delay_alu instid0(VALU_DEP_2) | instskip(NEXT) | instid1(VALU_DEP_2)
	v_fma_f64 v[84:85], v[218:219], v[216:217], -v[84:85]
	v_fma_f64 v[212:213], v[220:221], v[216:217], v[212:213]
	ds_load_2addr_b64 v[218:221], v214 offset0:104 offset1:105
	v_add_f64 v[28:29], v[28:29], -v[84:85]
	v_add_f64 v[30:31], v[30:31], -v[212:213]
	s_waitcnt lgkmcnt(0)
	v_mul_f64 v[84:85], v[220:221], v[86:87]
	v_mul_f64 v[212:213], v[218:219], v[86:87]
	s_delay_alu instid0(VALU_DEP_2) | instskip(NEXT) | instid1(VALU_DEP_2)
	v_fma_f64 v[84:85], v[218:219], v[216:217], -v[84:85]
	v_fma_f64 v[212:213], v[220:221], v[216:217], v[212:213]
	ds_load_2addr_b64 v[218:221], v214 offset0:106 offset1:107
	v_add_f64 v[24:25], v[24:25], -v[84:85]
	v_add_f64 v[26:27], v[26:27], -v[212:213]
	s_waitcnt lgkmcnt(0)
	v_mul_f64 v[84:85], v[220:221], v[86:87]
	v_mul_f64 v[212:213], v[218:219], v[86:87]
	s_delay_alu instid0(VALU_DEP_2) | instskip(NEXT) | instid1(VALU_DEP_2)
	v_fma_f64 v[84:85], v[218:219], v[216:217], -v[84:85]
	v_fma_f64 v[212:213], v[220:221], v[216:217], v[212:213]
	ds_load_2addr_b64 v[218:221], v214 offset0:108 offset1:109
	v_add_f64 v[20:21], v[20:21], -v[84:85]
	v_add_f64 v[22:23], v[22:23], -v[212:213]
	s_waitcnt lgkmcnt(0)
	v_mul_f64 v[84:85], v[220:221], v[86:87]
	v_mul_f64 v[212:213], v[218:219], v[86:87]
	s_delay_alu instid0(VALU_DEP_2) | instskip(NEXT) | instid1(VALU_DEP_2)
	v_fma_f64 v[84:85], v[218:219], v[216:217], -v[84:85]
	v_fma_f64 v[212:213], v[220:221], v[216:217], v[212:213]
	ds_load_2addr_b64 v[218:221], v214 offset0:110 offset1:111
	v_add_f64 v[16:17], v[16:17], -v[84:85]
	v_add_f64 v[18:19], v[18:19], -v[212:213]
	s_waitcnt lgkmcnt(0)
	v_mul_f64 v[84:85], v[220:221], v[86:87]
	v_mul_f64 v[212:213], v[218:219], v[86:87]
	s_delay_alu instid0(VALU_DEP_2) | instskip(NEXT) | instid1(VALU_DEP_2)
	v_fma_f64 v[84:85], v[218:219], v[216:217], -v[84:85]
	v_fma_f64 v[212:213], v[220:221], v[216:217], v[212:213]
	ds_load_2addr_b64 v[218:221], v214 offset0:112 offset1:113
	v_add_f64 v[12:13], v[12:13], -v[84:85]
	v_add_f64 v[14:15], v[14:15], -v[212:213]
	s_waitcnt lgkmcnt(0)
	v_mul_f64 v[84:85], v[220:221], v[86:87]
	v_mul_f64 v[212:213], v[218:219], v[86:87]
	s_delay_alu instid0(VALU_DEP_2) | instskip(NEXT) | instid1(VALU_DEP_2)
	v_fma_f64 v[84:85], v[218:219], v[216:217], -v[84:85]
	v_fma_f64 v[212:213], v[220:221], v[216:217], v[212:213]
	ds_load_2addr_b64 v[218:221], v214 offset0:114 offset1:115
	v_add_f64 v[8:9], v[8:9], -v[84:85]
	v_add_f64 v[10:11], v[10:11], -v[212:213]
	s_waitcnt lgkmcnt(0)
	v_mul_f64 v[84:85], v[220:221], v[86:87]
	v_mul_f64 v[212:213], v[218:219], v[86:87]
	s_delay_alu instid0(VALU_DEP_2) | instskip(NEXT) | instid1(VALU_DEP_2)
	v_fma_f64 v[84:85], v[218:219], v[216:217], -v[84:85]
	v_fma_f64 v[212:213], v[220:221], v[216:217], v[212:213]
	ds_load_2addr_b64 v[218:221], v214 offset0:116 offset1:117
	v_add_f64 v[4:5], v[4:5], -v[84:85]
	v_add_f64 v[6:7], v[6:7], -v[212:213]
	s_waitcnt lgkmcnt(0)
	v_mul_f64 v[84:85], v[220:221], v[86:87]
	v_mul_f64 v[212:213], v[218:219], v[86:87]
	s_delay_alu instid0(VALU_DEP_2) | instskip(NEXT) | instid1(VALU_DEP_2)
	v_fma_f64 v[84:85], v[218:219], v[216:217], -v[84:85]
	v_fma_f64 v[212:213], v[220:221], v[216:217], v[212:213]
	s_delay_alu instid0(VALU_DEP_2) | instskip(NEXT) | instid1(VALU_DEP_2)
	v_add_f64 v[0:1], v[0:1], -v[84:85]
	v_add_f64 v[2:3], v[2:3], -v[212:213]
	v_dual_mov_b32 v84, v216 :: v_dual_mov_b32 v85, v217
.LBB117_343:
	s_or_b32 exec_lo, exec_lo, s3
	s_delay_alu instid0(SALU_CYCLE_1)
	s_mov_b32 s4, exec_lo
	s_waitcnt_vscnt null, 0x0
	s_barrier
	buffer_gl0_inv
	v_cmpx_eq_u32_e32 38, v208
	s_cbranch_execz .LBB117_350
; %bb.344:
	ds_store_2addr_b64 v209, v[80:81], v[82:83] offset1:1
	ds_store_2addr_b64 v214, v[76:77], v[78:79] offset0:78 offset1:79
	ds_store_2addr_b64 v214, v[72:73], v[74:75] offset0:80 offset1:81
	;; [unrolled: 1-line block ×20, first 2 shown]
	ds_load_2addr_b64 v[216:219], v209 offset1:1
	s_waitcnt lgkmcnt(0)
	v_cmp_neq_f64_e32 vcc_lo, 0, v[216:217]
	v_cmp_neq_f64_e64 s3, 0, v[218:219]
	s_delay_alu instid0(VALU_DEP_1) | instskip(NEXT) | instid1(SALU_CYCLE_1)
	s_or_b32 s3, vcc_lo, s3
	s_and_b32 exec_lo, exec_lo, s3
	s_cbranch_execz .LBB117_350
; %bb.345:
	v_cmp_gt_f64_e32 vcc_lo, 0, v[216:217]
	v_xor_b32_e32 v212, 0x80000000, v217
	v_xor_b32_e32 v215, 0x80000000, v219
	s_delay_alu instid0(VALU_DEP_2) | instskip(SKIP_2) | instid1(VALU_DEP_4)
	v_cndmask_b32_e32 v213, v217, v212, vcc_lo
	v_cndmask_b32_e32 v212, v216, v216, vcc_lo
	v_cmp_gt_f64_e32 vcc_lo, 0, v[218:219]
	v_dual_cndmask_b32 v221, v219, v215 :: v_dual_cndmask_b32 v220, v218, v218
	s_delay_alu instid0(VALU_DEP_1) | instskip(SKIP_1) | instid1(SALU_CYCLE_1)
	v_cmp_ngt_f64_e32 vcc_lo, v[212:213], v[220:221]
                                        ; implicit-def: $vgpr212_vgpr213
	s_and_saveexec_b32 s3, vcc_lo
	s_xor_b32 s3, exec_lo, s3
                                        ; implicit-def: $vgpr220_vgpr221_vgpr222_vgpr223
	s_cbranch_execz .LBB117_347
; %bb.346:
	v_div_scale_f64 v[212:213], null, v[218:219], v[218:219], v[216:217]
	v_div_scale_f64 v[224:225], vcc_lo, v[216:217], v[218:219], v[216:217]
	s_delay_alu instid0(VALU_DEP_2) | instskip(SKIP_2) | instid1(VALU_DEP_1)
	v_rcp_f64_e32 v[220:221], v[212:213]
	s_waitcnt_depctr 0xfff
	v_fma_f64 v[222:223], -v[212:213], v[220:221], 1.0
	v_fma_f64 v[220:221], v[220:221], v[222:223], v[220:221]
	s_delay_alu instid0(VALU_DEP_1) | instskip(NEXT) | instid1(VALU_DEP_1)
	v_fma_f64 v[222:223], -v[212:213], v[220:221], 1.0
	v_fma_f64 v[220:221], v[220:221], v[222:223], v[220:221]
	s_delay_alu instid0(VALU_DEP_1) | instskip(NEXT) | instid1(VALU_DEP_1)
	v_mul_f64 v[222:223], v[224:225], v[220:221]
	v_fma_f64 v[212:213], -v[212:213], v[222:223], v[224:225]
	s_delay_alu instid0(VALU_DEP_1) | instskip(NEXT) | instid1(VALU_DEP_1)
	v_div_fmas_f64 v[212:213], v[212:213], v[220:221], v[222:223]
	v_div_fixup_f64 v[212:213], v[212:213], v[218:219], v[216:217]
	s_delay_alu instid0(VALU_DEP_1) | instskip(NEXT) | instid1(VALU_DEP_1)
	v_fma_f64 v[216:217], v[216:217], v[212:213], v[218:219]
	v_div_scale_f64 v[218:219], null, v[216:217], v[216:217], 1.0
	s_delay_alu instid0(VALU_DEP_1) | instskip(SKIP_2) | instid1(VALU_DEP_1)
	v_rcp_f64_e32 v[220:221], v[218:219]
	s_waitcnt_depctr 0xfff
	v_fma_f64 v[222:223], -v[218:219], v[220:221], 1.0
	v_fma_f64 v[220:221], v[220:221], v[222:223], v[220:221]
	s_delay_alu instid0(VALU_DEP_1) | instskip(NEXT) | instid1(VALU_DEP_1)
	v_fma_f64 v[222:223], -v[218:219], v[220:221], 1.0
	v_fma_f64 v[220:221], v[220:221], v[222:223], v[220:221]
	v_div_scale_f64 v[222:223], vcc_lo, 1.0, v[216:217], 1.0
	s_delay_alu instid0(VALU_DEP_1) | instskip(NEXT) | instid1(VALU_DEP_1)
	v_mul_f64 v[224:225], v[222:223], v[220:221]
	v_fma_f64 v[218:219], -v[218:219], v[224:225], v[222:223]
	s_delay_alu instid0(VALU_DEP_1) | instskip(NEXT) | instid1(VALU_DEP_1)
	v_div_fmas_f64 v[218:219], v[218:219], v[220:221], v[224:225]
	v_div_fixup_f64 v[222:223], v[218:219], v[216:217], 1.0
                                        ; implicit-def: $vgpr216_vgpr217
	s_delay_alu instid0(VALU_DEP_1)
	v_mul_f64 v[212:213], v[212:213], v[222:223]
	v_xor_b32_e32 v223, 0x80000000, v223
.LBB117_347:
	s_and_not1_saveexec_b32 s3, s3
	s_cbranch_execz .LBB117_349
; %bb.348:
	v_div_scale_f64 v[212:213], null, v[216:217], v[216:217], v[218:219]
	v_div_scale_f64 v[224:225], vcc_lo, v[218:219], v[216:217], v[218:219]
	s_delay_alu instid0(VALU_DEP_2) | instskip(SKIP_2) | instid1(VALU_DEP_1)
	v_rcp_f64_e32 v[220:221], v[212:213]
	s_waitcnt_depctr 0xfff
	v_fma_f64 v[222:223], -v[212:213], v[220:221], 1.0
	v_fma_f64 v[220:221], v[220:221], v[222:223], v[220:221]
	s_delay_alu instid0(VALU_DEP_1) | instskip(NEXT) | instid1(VALU_DEP_1)
	v_fma_f64 v[222:223], -v[212:213], v[220:221], 1.0
	v_fma_f64 v[220:221], v[220:221], v[222:223], v[220:221]
	s_delay_alu instid0(VALU_DEP_1) | instskip(NEXT) | instid1(VALU_DEP_1)
	v_mul_f64 v[222:223], v[224:225], v[220:221]
	v_fma_f64 v[212:213], -v[212:213], v[222:223], v[224:225]
	s_delay_alu instid0(VALU_DEP_1) | instskip(NEXT) | instid1(VALU_DEP_1)
	v_div_fmas_f64 v[212:213], v[212:213], v[220:221], v[222:223]
	v_div_fixup_f64 v[220:221], v[212:213], v[216:217], v[218:219]
	s_delay_alu instid0(VALU_DEP_1) | instskip(NEXT) | instid1(VALU_DEP_1)
	v_fma_f64 v[212:213], v[218:219], v[220:221], v[216:217]
	v_div_scale_f64 v[216:217], null, v[212:213], v[212:213], 1.0
	s_delay_alu instid0(VALU_DEP_1) | instskip(SKIP_2) | instid1(VALU_DEP_1)
	v_rcp_f64_e32 v[218:219], v[216:217]
	s_waitcnt_depctr 0xfff
	v_fma_f64 v[222:223], -v[216:217], v[218:219], 1.0
	v_fma_f64 v[218:219], v[218:219], v[222:223], v[218:219]
	s_delay_alu instid0(VALU_DEP_1) | instskip(NEXT) | instid1(VALU_DEP_1)
	v_fma_f64 v[222:223], -v[216:217], v[218:219], 1.0
	v_fma_f64 v[218:219], v[218:219], v[222:223], v[218:219]
	v_div_scale_f64 v[222:223], vcc_lo, 1.0, v[212:213], 1.0
	s_delay_alu instid0(VALU_DEP_1) | instskip(NEXT) | instid1(VALU_DEP_1)
	v_mul_f64 v[224:225], v[222:223], v[218:219]
	v_fma_f64 v[216:217], -v[216:217], v[224:225], v[222:223]
	s_delay_alu instid0(VALU_DEP_1) | instskip(NEXT) | instid1(VALU_DEP_1)
	v_div_fmas_f64 v[216:217], v[216:217], v[218:219], v[224:225]
	v_div_fixup_f64 v[212:213], v[216:217], v[212:213], 1.0
	s_delay_alu instid0(VALU_DEP_1)
	v_mul_f64 v[222:223], v[220:221], -v[212:213]
.LBB117_349:
	s_or_b32 exec_lo, exec_lo, s3
	ds_store_2addr_b64 v209, v[212:213], v[222:223] offset1:1
.LBB117_350:
	s_or_b32 exec_lo, exec_lo, s4
	s_waitcnt lgkmcnt(0)
	s_barrier
	buffer_gl0_inv
	ds_load_2addr_b64 v[204:207], v209 offset1:1
	s_mov_b32 s3, exec_lo
	s_waitcnt lgkmcnt(0)
	scratch_store_b128 off, v[204:207], off offset:1196 ; 16-byte Folded Spill
	v_cmpx_lt_u32_e32 38, v208
	s_cbranch_execz .LBB117_352
; %bb.351:
	scratch_load_b128 v[204:207], off, off offset:1196 ; 16-byte Folded Reload
	ds_load_2addr_b64 v[218:221], v214 offset0:78 offset1:79
	s_waitcnt vmcnt(0)
	v_mul_f64 v[212:213], v[206:207], v[82:83]
	v_mul_f64 v[82:83], v[204:205], v[82:83]
	s_delay_alu instid0(VALU_DEP_2) | instskip(NEXT) | instid1(VALU_DEP_2)
	v_fma_f64 v[216:217], v[204:205], v[80:81], -v[212:213]
	v_fma_f64 v[82:83], v[206:207], v[80:81], v[82:83]
	s_waitcnt lgkmcnt(0)
	s_delay_alu instid0(VALU_DEP_1) | instskip(SKIP_1) | instid1(VALU_DEP_2)
	v_mul_f64 v[80:81], v[220:221], v[82:83]
	v_mul_f64 v[212:213], v[218:219], v[82:83]
	v_fma_f64 v[80:81], v[218:219], v[216:217], -v[80:81]
	s_delay_alu instid0(VALU_DEP_2)
	v_fma_f64 v[212:213], v[220:221], v[216:217], v[212:213]
	ds_load_2addr_b64 v[218:221], v214 offset0:80 offset1:81
	v_add_f64 v[76:77], v[76:77], -v[80:81]
	v_add_f64 v[78:79], v[78:79], -v[212:213]
	s_waitcnt lgkmcnt(0)
	v_mul_f64 v[80:81], v[220:221], v[82:83]
	v_mul_f64 v[212:213], v[218:219], v[82:83]
	s_delay_alu instid0(VALU_DEP_2) | instskip(NEXT) | instid1(VALU_DEP_2)
	v_fma_f64 v[80:81], v[218:219], v[216:217], -v[80:81]
	v_fma_f64 v[212:213], v[220:221], v[216:217], v[212:213]
	ds_load_2addr_b64 v[218:221], v214 offset0:82 offset1:83
	v_add_f64 v[72:73], v[72:73], -v[80:81]
	v_add_f64 v[74:75], v[74:75], -v[212:213]
	s_waitcnt lgkmcnt(0)
	v_mul_f64 v[80:81], v[220:221], v[82:83]
	v_mul_f64 v[212:213], v[218:219], v[82:83]
	s_delay_alu instid0(VALU_DEP_2) | instskip(NEXT) | instid1(VALU_DEP_2)
	v_fma_f64 v[80:81], v[218:219], v[216:217], -v[80:81]
	;; [unrolled: 9-line block ×19, first 2 shown]
	v_fma_f64 v[212:213], v[220:221], v[216:217], v[212:213]
	s_delay_alu instid0(VALU_DEP_2) | instskip(NEXT) | instid1(VALU_DEP_2)
	v_add_f64 v[0:1], v[0:1], -v[80:81]
	v_add_f64 v[2:3], v[2:3], -v[212:213]
	v_dual_mov_b32 v80, v216 :: v_dual_mov_b32 v81, v217
.LBB117_352:
	s_or_b32 exec_lo, exec_lo, s3
	s_delay_alu instid0(SALU_CYCLE_1)
	s_mov_b32 s4, exec_lo
	s_waitcnt_vscnt null, 0x0
	s_barrier
	buffer_gl0_inv
	v_cmpx_eq_u32_e32 39, v208
	s_cbranch_execz .LBB117_359
; %bb.353:
	ds_store_2addr_b64 v209, v[76:77], v[78:79] offset1:1
	ds_store_2addr_b64 v214, v[72:73], v[74:75] offset0:80 offset1:81
	ds_store_2addr_b64 v214, v[68:69], v[70:71] offset0:82 offset1:83
	;; [unrolled: 1-line block ×19, first 2 shown]
	ds_load_2addr_b64 v[216:219], v209 offset1:1
	s_waitcnt lgkmcnt(0)
	v_cmp_neq_f64_e32 vcc_lo, 0, v[216:217]
	v_cmp_neq_f64_e64 s3, 0, v[218:219]
	s_delay_alu instid0(VALU_DEP_1) | instskip(NEXT) | instid1(SALU_CYCLE_1)
	s_or_b32 s3, vcc_lo, s3
	s_and_b32 exec_lo, exec_lo, s3
	s_cbranch_execz .LBB117_359
; %bb.354:
	v_cmp_gt_f64_e32 vcc_lo, 0, v[216:217]
	v_xor_b32_e32 v212, 0x80000000, v217
	v_xor_b32_e32 v215, 0x80000000, v219
	s_delay_alu instid0(VALU_DEP_2) | instskip(SKIP_2) | instid1(VALU_DEP_4)
	v_cndmask_b32_e32 v213, v217, v212, vcc_lo
	v_cndmask_b32_e32 v212, v216, v216, vcc_lo
	v_cmp_gt_f64_e32 vcc_lo, 0, v[218:219]
	v_dual_cndmask_b32 v221, v219, v215 :: v_dual_cndmask_b32 v220, v218, v218
	s_delay_alu instid0(VALU_DEP_1) | instskip(SKIP_1) | instid1(SALU_CYCLE_1)
	v_cmp_ngt_f64_e32 vcc_lo, v[212:213], v[220:221]
                                        ; implicit-def: $vgpr212_vgpr213
	s_and_saveexec_b32 s3, vcc_lo
	s_xor_b32 s3, exec_lo, s3
                                        ; implicit-def: $vgpr220_vgpr221_vgpr222_vgpr223
	s_cbranch_execz .LBB117_356
; %bb.355:
	v_div_scale_f64 v[212:213], null, v[218:219], v[218:219], v[216:217]
	v_div_scale_f64 v[224:225], vcc_lo, v[216:217], v[218:219], v[216:217]
	s_delay_alu instid0(VALU_DEP_2) | instskip(SKIP_2) | instid1(VALU_DEP_1)
	v_rcp_f64_e32 v[220:221], v[212:213]
	s_waitcnt_depctr 0xfff
	v_fma_f64 v[222:223], -v[212:213], v[220:221], 1.0
	v_fma_f64 v[220:221], v[220:221], v[222:223], v[220:221]
	s_delay_alu instid0(VALU_DEP_1) | instskip(NEXT) | instid1(VALU_DEP_1)
	v_fma_f64 v[222:223], -v[212:213], v[220:221], 1.0
	v_fma_f64 v[220:221], v[220:221], v[222:223], v[220:221]
	s_delay_alu instid0(VALU_DEP_1) | instskip(NEXT) | instid1(VALU_DEP_1)
	v_mul_f64 v[222:223], v[224:225], v[220:221]
	v_fma_f64 v[212:213], -v[212:213], v[222:223], v[224:225]
	s_delay_alu instid0(VALU_DEP_1) | instskip(NEXT) | instid1(VALU_DEP_1)
	v_div_fmas_f64 v[212:213], v[212:213], v[220:221], v[222:223]
	v_div_fixup_f64 v[212:213], v[212:213], v[218:219], v[216:217]
	s_delay_alu instid0(VALU_DEP_1) | instskip(NEXT) | instid1(VALU_DEP_1)
	v_fma_f64 v[216:217], v[216:217], v[212:213], v[218:219]
	v_div_scale_f64 v[218:219], null, v[216:217], v[216:217], 1.0
	s_delay_alu instid0(VALU_DEP_1) | instskip(SKIP_2) | instid1(VALU_DEP_1)
	v_rcp_f64_e32 v[220:221], v[218:219]
	s_waitcnt_depctr 0xfff
	v_fma_f64 v[222:223], -v[218:219], v[220:221], 1.0
	v_fma_f64 v[220:221], v[220:221], v[222:223], v[220:221]
	s_delay_alu instid0(VALU_DEP_1) | instskip(NEXT) | instid1(VALU_DEP_1)
	v_fma_f64 v[222:223], -v[218:219], v[220:221], 1.0
	v_fma_f64 v[220:221], v[220:221], v[222:223], v[220:221]
	v_div_scale_f64 v[222:223], vcc_lo, 1.0, v[216:217], 1.0
	s_delay_alu instid0(VALU_DEP_1) | instskip(NEXT) | instid1(VALU_DEP_1)
	v_mul_f64 v[224:225], v[222:223], v[220:221]
	v_fma_f64 v[218:219], -v[218:219], v[224:225], v[222:223]
	s_delay_alu instid0(VALU_DEP_1) | instskip(NEXT) | instid1(VALU_DEP_1)
	v_div_fmas_f64 v[218:219], v[218:219], v[220:221], v[224:225]
	v_div_fixup_f64 v[222:223], v[218:219], v[216:217], 1.0
                                        ; implicit-def: $vgpr216_vgpr217
	s_delay_alu instid0(VALU_DEP_1)
	v_mul_f64 v[212:213], v[212:213], v[222:223]
	v_xor_b32_e32 v223, 0x80000000, v223
.LBB117_356:
	s_and_not1_saveexec_b32 s3, s3
	s_cbranch_execz .LBB117_358
; %bb.357:
	v_div_scale_f64 v[212:213], null, v[216:217], v[216:217], v[218:219]
	v_div_scale_f64 v[224:225], vcc_lo, v[218:219], v[216:217], v[218:219]
	s_delay_alu instid0(VALU_DEP_2) | instskip(SKIP_2) | instid1(VALU_DEP_1)
	v_rcp_f64_e32 v[220:221], v[212:213]
	s_waitcnt_depctr 0xfff
	v_fma_f64 v[222:223], -v[212:213], v[220:221], 1.0
	v_fma_f64 v[220:221], v[220:221], v[222:223], v[220:221]
	s_delay_alu instid0(VALU_DEP_1) | instskip(NEXT) | instid1(VALU_DEP_1)
	v_fma_f64 v[222:223], -v[212:213], v[220:221], 1.0
	v_fma_f64 v[220:221], v[220:221], v[222:223], v[220:221]
	s_delay_alu instid0(VALU_DEP_1) | instskip(NEXT) | instid1(VALU_DEP_1)
	v_mul_f64 v[222:223], v[224:225], v[220:221]
	v_fma_f64 v[212:213], -v[212:213], v[222:223], v[224:225]
	s_delay_alu instid0(VALU_DEP_1) | instskip(NEXT) | instid1(VALU_DEP_1)
	v_div_fmas_f64 v[212:213], v[212:213], v[220:221], v[222:223]
	v_div_fixup_f64 v[220:221], v[212:213], v[216:217], v[218:219]
	s_delay_alu instid0(VALU_DEP_1) | instskip(NEXT) | instid1(VALU_DEP_1)
	v_fma_f64 v[212:213], v[218:219], v[220:221], v[216:217]
	v_div_scale_f64 v[216:217], null, v[212:213], v[212:213], 1.0
	s_delay_alu instid0(VALU_DEP_1) | instskip(SKIP_2) | instid1(VALU_DEP_1)
	v_rcp_f64_e32 v[218:219], v[216:217]
	s_waitcnt_depctr 0xfff
	v_fma_f64 v[222:223], -v[216:217], v[218:219], 1.0
	v_fma_f64 v[218:219], v[218:219], v[222:223], v[218:219]
	s_delay_alu instid0(VALU_DEP_1) | instskip(NEXT) | instid1(VALU_DEP_1)
	v_fma_f64 v[222:223], -v[216:217], v[218:219], 1.0
	v_fma_f64 v[218:219], v[218:219], v[222:223], v[218:219]
	v_div_scale_f64 v[222:223], vcc_lo, 1.0, v[212:213], 1.0
	s_delay_alu instid0(VALU_DEP_1) | instskip(NEXT) | instid1(VALU_DEP_1)
	v_mul_f64 v[224:225], v[222:223], v[218:219]
	v_fma_f64 v[216:217], -v[216:217], v[224:225], v[222:223]
	s_delay_alu instid0(VALU_DEP_1) | instskip(NEXT) | instid1(VALU_DEP_1)
	v_div_fmas_f64 v[216:217], v[216:217], v[218:219], v[224:225]
	v_div_fixup_f64 v[212:213], v[216:217], v[212:213], 1.0
	s_delay_alu instid0(VALU_DEP_1)
	v_mul_f64 v[222:223], v[220:221], -v[212:213]
.LBB117_358:
	s_or_b32 exec_lo, exec_lo, s3
	ds_store_2addr_b64 v209, v[212:213], v[222:223] offset1:1
.LBB117_359:
	s_or_b32 exec_lo, exec_lo, s4
	s_waitcnt lgkmcnt(0)
	s_barrier
	buffer_gl0_inv
	ds_load_2addr_b64 v[204:207], v209 offset1:1
	s_mov_b32 s3, exec_lo
	s_waitcnt lgkmcnt(0)
	scratch_store_b128 off, v[204:207], off offset:1212 ; 16-byte Folded Spill
	v_cmpx_lt_u32_e32 39, v208
	s_cbranch_execz .LBB117_361
; %bb.360:
	scratch_load_b128 v[204:207], off, off offset:1212 ; 16-byte Folded Reload
	ds_load_2addr_b64 v[218:221], v214 offset0:80 offset1:81
	s_waitcnt vmcnt(0)
	v_mul_f64 v[212:213], v[206:207], v[78:79]
	v_mul_f64 v[78:79], v[204:205], v[78:79]
	s_delay_alu instid0(VALU_DEP_2) | instskip(NEXT) | instid1(VALU_DEP_2)
	v_fma_f64 v[216:217], v[204:205], v[76:77], -v[212:213]
	v_fma_f64 v[78:79], v[206:207], v[76:77], v[78:79]
	s_waitcnt lgkmcnt(0)
	s_delay_alu instid0(VALU_DEP_1) | instskip(SKIP_1) | instid1(VALU_DEP_2)
	v_mul_f64 v[76:77], v[220:221], v[78:79]
	v_mul_f64 v[212:213], v[218:219], v[78:79]
	v_fma_f64 v[76:77], v[218:219], v[216:217], -v[76:77]
	s_delay_alu instid0(VALU_DEP_2)
	v_fma_f64 v[212:213], v[220:221], v[216:217], v[212:213]
	ds_load_2addr_b64 v[218:221], v214 offset0:82 offset1:83
	v_add_f64 v[72:73], v[72:73], -v[76:77]
	v_add_f64 v[74:75], v[74:75], -v[212:213]
	s_waitcnt lgkmcnt(0)
	v_mul_f64 v[76:77], v[220:221], v[78:79]
	v_mul_f64 v[212:213], v[218:219], v[78:79]
	s_delay_alu instid0(VALU_DEP_2) | instskip(NEXT) | instid1(VALU_DEP_2)
	v_fma_f64 v[76:77], v[218:219], v[216:217], -v[76:77]
	v_fma_f64 v[212:213], v[220:221], v[216:217], v[212:213]
	ds_load_2addr_b64 v[218:221], v214 offset0:84 offset1:85
	v_add_f64 v[68:69], v[68:69], -v[76:77]
	v_add_f64 v[70:71], v[70:71], -v[212:213]
	s_waitcnt lgkmcnt(0)
	v_mul_f64 v[76:77], v[220:221], v[78:79]
	v_mul_f64 v[212:213], v[218:219], v[78:79]
	s_delay_alu instid0(VALU_DEP_2) | instskip(NEXT) | instid1(VALU_DEP_2)
	v_fma_f64 v[76:77], v[218:219], v[216:217], -v[76:77]
	;; [unrolled: 9-line block ×18, first 2 shown]
	v_fma_f64 v[212:213], v[220:221], v[216:217], v[212:213]
	s_delay_alu instid0(VALU_DEP_2) | instskip(NEXT) | instid1(VALU_DEP_2)
	v_add_f64 v[0:1], v[0:1], -v[76:77]
	v_add_f64 v[2:3], v[2:3], -v[212:213]
	v_dual_mov_b32 v76, v216 :: v_dual_mov_b32 v77, v217
.LBB117_361:
	s_or_b32 exec_lo, exec_lo, s3
	s_delay_alu instid0(SALU_CYCLE_1)
	s_mov_b32 s4, exec_lo
	s_waitcnt_vscnt null, 0x0
	s_barrier
	buffer_gl0_inv
	v_cmpx_eq_u32_e32 40, v208
	s_cbranch_execz .LBB117_368
; %bb.362:
	ds_store_2addr_b64 v209, v[72:73], v[74:75] offset1:1
	ds_store_2addr_b64 v214, v[68:69], v[70:71] offset0:82 offset1:83
	ds_store_2addr_b64 v214, v[64:65], v[66:67] offset0:84 offset1:85
	;; [unrolled: 1-line block ×18, first 2 shown]
	ds_load_2addr_b64 v[216:219], v209 offset1:1
	s_waitcnt lgkmcnt(0)
	v_cmp_neq_f64_e32 vcc_lo, 0, v[216:217]
	v_cmp_neq_f64_e64 s3, 0, v[218:219]
	s_delay_alu instid0(VALU_DEP_1) | instskip(NEXT) | instid1(SALU_CYCLE_1)
	s_or_b32 s3, vcc_lo, s3
	s_and_b32 exec_lo, exec_lo, s3
	s_cbranch_execz .LBB117_368
; %bb.363:
	v_cmp_gt_f64_e32 vcc_lo, 0, v[216:217]
	v_xor_b32_e32 v212, 0x80000000, v217
	v_xor_b32_e32 v215, 0x80000000, v219
	s_delay_alu instid0(VALU_DEP_2) | instskip(SKIP_2) | instid1(VALU_DEP_4)
	v_cndmask_b32_e32 v213, v217, v212, vcc_lo
	v_cndmask_b32_e32 v212, v216, v216, vcc_lo
	v_cmp_gt_f64_e32 vcc_lo, 0, v[218:219]
	v_dual_cndmask_b32 v221, v219, v215 :: v_dual_cndmask_b32 v220, v218, v218
	s_delay_alu instid0(VALU_DEP_1) | instskip(SKIP_1) | instid1(SALU_CYCLE_1)
	v_cmp_ngt_f64_e32 vcc_lo, v[212:213], v[220:221]
                                        ; implicit-def: $vgpr212_vgpr213
	s_and_saveexec_b32 s3, vcc_lo
	s_xor_b32 s3, exec_lo, s3
                                        ; implicit-def: $vgpr220_vgpr221_vgpr222_vgpr223
	s_cbranch_execz .LBB117_365
; %bb.364:
	v_div_scale_f64 v[212:213], null, v[218:219], v[218:219], v[216:217]
	v_div_scale_f64 v[224:225], vcc_lo, v[216:217], v[218:219], v[216:217]
	s_delay_alu instid0(VALU_DEP_2) | instskip(SKIP_2) | instid1(VALU_DEP_1)
	v_rcp_f64_e32 v[220:221], v[212:213]
	s_waitcnt_depctr 0xfff
	v_fma_f64 v[222:223], -v[212:213], v[220:221], 1.0
	v_fma_f64 v[220:221], v[220:221], v[222:223], v[220:221]
	s_delay_alu instid0(VALU_DEP_1) | instskip(NEXT) | instid1(VALU_DEP_1)
	v_fma_f64 v[222:223], -v[212:213], v[220:221], 1.0
	v_fma_f64 v[220:221], v[220:221], v[222:223], v[220:221]
	s_delay_alu instid0(VALU_DEP_1) | instskip(NEXT) | instid1(VALU_DEP_1)
	v_mul_f64 v[222:223], v[224:225], v[220:221]
	v_fma_f64 v[212:213], -v[212:213], v[222:223], v[224:225]
	s_delay_alu instid0(VALU_DEP_1) | instskip(NEXT) | instid1(VALU_DEP_1)
	v_div_fmas_f64 v[212:213], v[212:213], v[220:221], v[222:223]
	v_div_fixup_f64 v[212:213], v[212:213], v[218:219], v[216:217]
	s_delay_alu instid0(VALU_DEP_1) | instskip(NEXT) | instid1(VALU_DEP_1)
	v_fma_f64 v[216:217], v[216:217], v[212:213], v[218:219]
	v_div_scale_f64 v[218:219], null, v[216:217], v[216:217], 1.0
	s_delay_alu instid0(VALU_DEP_1) | instskip(SKIP_2) | instid1(VALU_DEP_1)
	v_rcp_f64_e32 v[220:221], v[218:219]
	s_waitcnt_depctr 0xfff
	v_fma_f64 v[222:223], -v[218:219], v[220:221], 1.0
	v_fma_f64 v[220:221], v[220:221], v[222:223], v[220:221]
	s_delay_alu instid0(VALU_DEP_1) | instskip(NEXT) | instid1(VALU_DEP_1)
	v_fma_f64 v[222:223], -v[218:219], v[220:221], 1.0
	v_fma_f64 v[220:221], v[220:221], v[222:223], v[220:221]
	v_div_scale_f64 v[222:223], vcc_lo, 1.0, v[216:217], 1.0
	s_delay_alu instid0(VALU_DEP_1) | instskip(NEXT) | instid1(VALU_DEP_1)
	v_mul_f64 v[224:225], v[222:223], v[220:221]
	v_fma_f64 v[218:219], -v[218:219], v[224:225], v[222:223]
	s_delay_alu instid0(VALU_DEP_1) | instskip(NEXT) | instid1(VALU_DEP_1)
	v_div_fmas_f64 v[218:219], v[218:219], v[220:221], v[224:225]
	v_div_fixup_f64 v[222:223], v[218:219], v[216:217], 1.0
                                        ; implicit-def: $vgpr216_vgpr217
	s_delay_alu instid0(VALU_DEP_1)
	v_mul_f64 v[212:213], v[212:213], v[222:223]
	v_xor_b32_e32 v223, 0x80000000, v223
.LBB117_365:
	s_and_not1_saveexec_b32 s3, s3
	s_cbranch_execz .LBB117_367
; %bb.366:
	v_div_scale_f64 v[212:213], null, v[216:217], v[216:217], v[218:219]
	v_div_scale_f64 v[224:225], vcc_lo, v[218:219], v[216:217], v[218:219]
	s_delay_alu instid0(VALU_DEP_2) | instskip(SKIP_2) | instid1(VALU_DEP_1)
	v_rcp_f64_e32 v[220:221], v[212:213]
	s_waitcnt_depctr 0xfff
	v_fma_f64 v[222:223], -v[212:213], v[220:221], 1.0
	v_fma_f64 v[220:221], v[220:221], v[222:223], v[220:221]
	s_delay_alu instid0(VALU_DEP_1) | instskip(NEXT) | instid1(VALU_DEP_1)
	v_fma_f64 v[222:223], -v[212:213], v[220:221], 1.0
	v_fma_f64 v[220:221], v[220:221], v[222:223], v[220:221]
	s_delay_alu instid0(VALU_DEP_1) | instskip(NEXT) | instid1(VALU_DEP_1)
	v_mul_f64 v[222:223], v[224:225], v[220:221]
	v_fma_f64 v[212:213], -v[212:213], v[222:223], v[224:225]
	s_delay_alu instid0(VALU_DEP_1) | instskip(NEXT) | instid1(VALU_DEP_1)
	v_div_fmas_f64 v[212:213], v[212:213], v[220:221], v[222:223]
	v_div_fixup_f64 v[220:221], v[212:213], v[216:217], v[218:219]
	s_delay_alu instid0(VALU_DEP_1) | instskip(NEXT) | instid1(VALU_DEP_1)
	v_fma_f64 v[212:213], v[218:219], v[220:221], v[216:217]
	v_div_scale_f64 v[216:217], null, v[212:213], v[212:213], 1.0
	s_delay_alu instid0(VALU_DEP_1) | instskip(SKIP_2) | instid1(VALU_DEP_1)
	v_rcp_f64_e32 v[218:219], v[216:217]
	s_waitcnt_depctr 0xfff
	v_fma_f64 v[222:223], -v[216:217], v[218:219], 1.0
	v_fma_f64 v[218:219], v[218:219], v[222:223], v[218:219]
	s_delay_alu instid0(VALU_DEP_1) | instskip(NEXT) | instid1(VALU_DEP_1)
	v_fma_f64 v[222:223], -v[216:217], v[218:219], 1.0
	v_fma_f64 v[218:219], v[218:219], v[222:223], v[218:219]
	v_div_scale_f64 v[222:223], vcc_lo, 1.0, v[212:213], 1.0
	s_delay_alu instid0(VALU_DEP_1) | instskip(NEXT) | instid1(VALU_DEP_1)
	v_mul_f64 v[224:225], v[222:223], v[218:219]
	v_fma_f64 v[216:217], -v[216:217], v[224:225], v[222:223]
	s_delay_alu instid0(VALU_DEP_1) | instskip(NEXT) | instid1(VALU_DEP_1)
	v_div_fmas_f64 v[216:217], v[216:217], v[218:219], v[224:225]
	v_div_fixup_f64 v[212:213], v[216:217], v[212:213], 1.0
	s_delay_alu instid0(VALU_DEP_1)
	v_mul_f64 v[222:223], v[220:221], -v[212:213]
.LBB117_367:
	s_or_b32 exec_lo, exec_lo, s3
	ds_store_2addr_b64 v209, v[212:213], v[222:223] offset1:1
.LBB117_368:
	s_or_b32 exec_lo, exec_lo, s4
	s_waitcnt lgkmcnt(0)
	s_barrier
	buffer_gl0_inv
	ds_load_2addr_b64 v[204:207], v209 offset1:1
	s_mov_b32 s3, exec_lo
	s_waitcnt lgkmcnt(0)
	scratch_store_b128 off, v[204:207], off offset:1228 ; 16-byte Folded Spill
	v_cmpx_lt_u32_e32 40, v208
	s_cbranch_execz .LBB117_370
; %bb.369:
	scratch_load_b128 v[204:207], off, off offset:1228 ; 16-byte Folded Reload
	ds_load_2addr_b64 v[218:221], v214 offset0:82 offset1:83
	s_waitcnt vmcnt(0)
	v_mul_f64 v[212:213], v[206:207], v[74:75]
	v_mul_f64 v[74:75], v[204:205], v[74:75]
	s_delay_alu instid0(VALU_DEP_2) | instskip(NEXT) | instid1(VALU_DEP_2)
	v_fma_f64 v[216:217], v[204:205], v[72:73], -v[212:213]
	v_fma_f64 v[74:75], v[206:207], v[72:73], v[74:75]
	s_waitcnt lgkmcnt(0)
	s_delay_alu instid0(VALU_DEP_1) | instskip(SKIP_1) | instid1(VALU_DEP_2)
	v_mul_f64 v[72:73], v[220:221], v[74:75]
	v_mul_f64 v[212:213], v[218:219], v[74:75]
	v_fma_f64 v[72:73], v[218:219], v[216:217], -v[72:73]
	s_delay_alu instid0(VALU_DEP_2)
	v_fma_f64 v[212:213], v[220:221], v[216:217], v[212:213]
	ds_load_2addr_b64 v[218:221], v214 offset0:84 offset1:85
	v_add_f64 v[68:69], v[68:69], -v[72:73]
	v_add_f64 v[70:71], v[70:71], -v[212:213]
	s_waitcnt lgkmcnt(0)
	v_mul_f64 v[72:73], v[220:221], v[74:75]
	v_mul_f64 v[212:213], v[218:219], v[74:75]
	s_delay_alu instid0(VALU_DEP_2) | instskip(NEXT) | instid1(VALU_DEP_2)
	v_fma_f64 v[72:73], v[218:219], v[216:217], -v[72:73]
	v_fma_f64 v[212:213], v[220:221], v[216:217], v[212:213]
	ds_load_2addr_b64 v[218:221], v214 offset0:86 offset1:87
	v_add_f64 v[64:65], v[64:65], -v[72:73]
	v_add_f64 v[66:67], v[66:67], -v[212:213]
	s_waitcnt lgkmcnt(0)
	v_mul_f64 v[72:73], v[220:221], v[74:75]
	v_mul_f64 v[212:213], v[218:219], v[74:75]
	s_delay_alu instid0(VALU_DEP_2) | instskip(NEXT) | instid1(VALU_DEP_2)
	v_fma_f64 v[72:73], v[218:219], v[216:217], -v[72:73]
	;; [unrolled: 9-line block ×17, first 2 shown]
	v_fma_f64 v[212:213], v[220:221], v[216:217], v[212:213]
	s_delay_alu instid0(VALU_DEP_2) | instskip(NEXT) | instid1(VALU_DEP_2)
	v_add_f64 v[0:1], v[0:1], -v[72:73]
	v_add_f64 v[2:3], v[2:3], -v[212:213]
	v_dual_mov_b32 v72, v216 :: v_dual_mov_b32 v73, v217
.LBB117_370:
	s_or_b32 exec_lo, exec_lo, s3
	s_delay_alu instid0(SALU_CYCLE_1)
	s_mov_b32 s4, exec_lo
	s_waitcnt_vscnt null, 0x0
	s_barrier
	buffer_gl0_inv
	v_cmpx_eq_u32_e32 41, v208
	s_cbranch_execz .LBB117_377
; %bb.371:
	ds_store_2addr_b64 v209, v[68:69], v[70:71] offset1:1
	ds_store_2addr_b64 v214, v[64:65], v[66:67] offset0:84 offset1:85
	ds_store_2addr_b64 v214, v[60:61], v[62:63] offset0:86 offset1:87
	;; [unrolled: 1-line block ×17, first 2 shown]
	ds_load_2addr_b64 v[216:219], v209 offset1:1
	s_waitcnt lgkmcnt(0)
	v_cmp_neq_f64_e32 vcc_lo, 0, v[216:217]
	v_cmp_neq_f64_e64 s3, 0, v[218:219]
	s_delay_alu instid0(VALU_DEP_1) | instskip(NEXT) | instid1(SALU_CYCLE_1)
	s_or_b32 s3, vcc_lo, s3
	s_and_b32 exec_lo, exec_lo, s3
	s_cbranch_execz .LBB117_377
; %bb.372:
	v_cmp_gt_f64_e32 vcc_lo, 0, v[216:217]
	v_xor_b32_e32 v212, 0x80000000, v217
	v_xor_b32_e32 v215, 0x80000000, v219
	s_delay_alu instid0(VALU_DEP_2) | instskip(SKIP_2) | instid1(VALU_DEP_4)
	v_cndmask_b32_e32 v213, v217, v212, vcc_lo
	v_cndmask_b32_e32 v212, v216, v216, vcc_lo
	v_cmp_gt_f64_e32 vcc_lo, 0, v[218:219]
	v_dual_cndmask_b32 v221, v219, v215 :: v_dual_cndmask_b32 v220, v218, v218
	s_delay_alu instid0(VALU_DEP_1) | instskip(SKIP_1) | instid1(SALU_CYCLE_1)
	v_cmp_ngt_f64_e32 vcc_lo, v[212:213], v[220:221]
                                        ; implicit-def: $vgpr212_vgpr213
	s_and_saveexec_b32 s3, vcc_lo
	s_xor_b32 s3, exec_lo, s3
                                        ; implicit-def: $vgpr220_vgpr221_vgpr222_vgpr223
	s_cbranch_execz .LBB117_374
; %bb.373:
	v_div_scale_f64 v[212:213], null, v[218:219], v[218:219], v[216:217]
	v_div_scale_f64 v[224:225], vcc_lo, v[216:217], v[218:219], v[216:217]
	s_delay_alu instid0(VALU_DEP_2) | instskip(SKIP_2) | instid1(VALU_DEP_1)
	v_rcp_f64_e32 v[220:221], v[212:213]
	s_waitcnt_depctr 0xfff
	v_fma_f64 v[222:223], -v[212:213], v[220:221], 1.0
	v_fma_f64 v[220:221], v[220:221], v[222:223], v[220:221]
	s_delay_alu instid0(VALU_DEP_1) | instskip(NEXT) | instid1(VALU_DEP_1)
	v_fma_f64 v[222:223], -v[212:213], v[220:221], 1.0
	v_fma_f64 v[220:221], v[220:221], v[222:223], v[220:221]
	s_delay_alu instid0(VALU_DEP_1) | instskip(NEXT) | instid1(VALU_DEP_1)
	v_mul_f64 v[222:223], v[224:225], v[220:221]
	v_fma_f64 v[212:213], -v[212:213], v[222:223], v[224:225]
	s_delay_alu instid0(VALU_DEP_1) | instskip(NEXT) | instid1(VALU_DEP_1)
	v_div_fmas_f64 v[212:213], v[212:213], v[220:221], v[222:223]
	v_div_fixup_f64 v[212:213], v[212:213], v[218:219], v[216:217]
	s_delay_alu instid0(VALU_DEP_1) | instskip(NEXT) | instid1(VALU_DEP_1)
	v_fma_f64 v[216:217], v[216:217], v[212:213], v[218:219]
	v_div_scale_f64 v[218:219], null, v[216:217], v[216:217], 1.0
	s_delay_alu instid0(VALU_DEP_1) | instskip(SKIP_2) | instid1(VALU_DEP_1)
	v_rcp_f64_e32 v[220:221], v[218:219]
	s_waitcnt_depctr 0xfff
	v_fma_f64 v[222:223], -v[218:219], v[220:221], 1.0
	v_fma_f64 v[220:221], v[220:221], v[222:223], v[220:221]
	s_delay_alu instid0(VALU_DEP_1) | instskip(NEXT) | instid1(VALU_DEP_1)
	v_fma_f64 v[222:223], -v[218:219], v[220:221], 1.0
	v_fma_f64 v[220:221], v[220:221], v[222:223], v[220:221]
	v_div_scale_f64 v[222:223], vcc_lo, 1.0, v[216:217], 1.0
	s_delay_alu instid0(VALU_DEP_1) | instskip(NEXT) | instid1(VALU_DEP_1)
	v_mul_f64 v[224:225], v[222:223], v[220:221]
	v_fma_f64 v[218:219], -v[218:219], v[224:225], v[222:223]
	s_delay_alu instid0(VALU_DEP_1) | instskip(NEXT) | instid1(VALU_DEP_1)
	v_div_fmas_f64 v[218:219], v[218:219], v[220:221], v[224:225]
	v_div_fixup_f64 v[222:223], v[218:219], v[216:217], 1.0
                                        ; implicit-def: $vgpr216_vgpr217
	s_delay_alu instid0(VALU_DEP_1)
	v_mul_f64 v[212:213], v[212:213], v[222:223]
	v_xor_b32_e32 v223, 0x80000000, v223
.LBB117_374:
	s_and_not1_saveexec_b32 s3, s3
	s_cbranch_execz .LBB117_376
; %bb.375:
	v_div_scale_f64 v[212:213], null, v[216:217], v[216:217], v[218:219]
	v_div_scale_f64 v[224:225], vcc_lo, v[218:219], v[216:217], v[218:219]
	s_delay_alu instid0(VALU_DEP_2) | instskip(SKIP_2) | instid1(VALU_DEP_1)
	v_rcp_f64_e32 v[220:221], v[212:213]
	s_waitcnt_depctr 0xfff
	v_fma_f64 v[222:223], -v[212:213], v[220:221], 1.0
	v_fma_f64 v[220:221], v[220:221], v[222:223], v[220:221]
	s_delay_alu instid0(VALU_DEP_1) | instskip(NEXT) | instid1(VALU_DEP_1)
	v_fma_f64 v[222:223], -v[212:213], v[220:221], 1.0
	v_fma_f64 v[220:221], v[220:221], v[222:223], v[220:221]
	s_delay_alu instid0(VALU_DEP_1) | instskip(NEXT) | instid1(VALU_DEP_1)
	v_mul_f64 v[222:223], v[224:225], v[220:221]
	v_fma_f64 v[212:213], -v[212:213], v[222:223], v[224:225]
	s_delay_alu instid0(VALU_DEP_1) | instskip(NEXT) | instid1(VALU_DEP_1)
	v_div_fmas_f64 v[212:213], v[212:213], v[220:221], v[222:223]
	v_div_fixup_f64 v[220:221], v[212:213], v[216:217], v[218:219]
	s_delay_alu instid0(VALU_DEP_1) | instskip(NEXT) | instid1(VALU_DEP_1)
	v_fma_f64 v[212:213], v[218:219], v[220:221], v[216:217]
	v_div_scale_f64 v[216:217], null, v[212:213], v[212:213], 1.0
	s_delay_alu instid0(VALU_DEP_1) | instskip(SKIP_2) | instid1(VALU_DEP_1)
	v_rcp_f64_e32 v[218:219], v[216:217]
	s_waitcnt_depctr 0xfff
	v_fma_f64 v[222:223], -v[216:217], v[218:219], 1.0
	v_fma_f64 v[218:219], v[218:219], v[222:223], v[218:219]
	s_delay_alu instid0(VALU_DEP_1) | instskip(NEXT) | instid1(VALU_DEP_1)
	v_fma_f64 v[222:223], -v[216:217], v[218:219], 1.0
	v_fma_f64 v[218:219], v[218:219], v[222:223], v[218:219]
	v_div_scale_f64 v[222:223], vcc_lo, 1.0, v[212:213], 1.0
	s_delay_alu instid0(VALU_DEP_1) | instskip(NEXT) | instid1(VALU_DEP_1)
	v_mul_f64 v[224:225], v[222:223], v[218:219]
	v_fma_f64 v[216:217], -v[216:217], v[224:225], v[222:223]
	s_delay_alu instid0(VALU_DEP_1) | instskip(NEXT) | instid1(VALU_DEP_1)
	v_div_fmas_f64 v[216:217], v[216:217], v[218:219], v[224:225]
	v_div_fixup_f64 v[212:213], v[216:217], v[212:213], 1.0
	s_delay_alu instid0(VALU_DEP_1)
	v_mul_f64 v[222:223], v[220:221], -v[212:213]
.LBB117_376:
	s_or_b32 exec_lo, exec_lo, s3
	ds_store_2addr_b64 v209, v[212:213], v[222:223] offset1:1
.LBB117_377:
	s_or_b32 exec_lo, exec_lo, s4
	s_waitcnt lgkmcnt(0)
	s_barrier
	buffer_gl0_inv
	ds_load_2addr_b64 v[204:207], v209 offset1:1
	s_mov_b32 s3, exec_lo
	s_waitcnt lgkmcnt(0)
	scratch_store_b128 off, v[204:207], off offset:1244 ; 16-byte Folded Spill
	v_cmpx_lt_u32_e32 41, v208
	s_cbranch_execz .LBB117_379
; %bb.378:
	scratch_load_b128 v[204:207], off, off offset:1244 ; 16-byte Folded Reload
	ds_load_2addr_b64 v[218:221], v214 offset0:84 offset1:85
	s_waitcnt vmcnt(0)
	v_mul_f64 v[212:213], v[206:207], v[70:71]
	v_mul_f64 v[70:71], v[204:205], v[70:71]
	s_delay_alu instid0(VALU_DEP_2) | instskip(NEXT) | instid1(VALU_DEP_2)
	v_fma_f64 v[216:217], v[204:205], v[68:69], -v[212:213]
	v_fma_f64 v[70:71], v[206:207], v[68:69], v[70:71]
	s_waitcnt lgkmcnt(0)
	s_delay_alu instid0(VALU_DEP_1) | instskip(SKIP_1) | instid1(VALU_DEP_2)
	v_mul_f64 v[68:69], v[220:221], v[70:71]
	v_mul_f64 v[212:213], v[218:219], v[70:71]
	v_fma_f64 v[68:69], v[218:219], v[216:217], -v[68:69]
	s_delay_alu instid0(VALU_DEP_2)
	v_fma_f64 v[212:213], v[220:221], v[216:217], v[212:213]
	ds_load_2addr_b64 v[218:221], v214 offset0:86 offset1:87
	v_add_f64 v[64:65], v[64:65], -v[68:69]
	v_add_f64 v[66:67], v[66:67], -v[212:213]
	s_waitcnt lgkmcnt(0)
	v_mul_f64 v[68:69], v[220:221], v[70:71]
	v_mul_f64 v[212:213], v[218:219], v[70:71]
	s_delay_alu instid0(VALU_DEP_2) | instskip(NEXT) | instid1(VALU_DEP_2)
	v_fma_f64 v[68:69], v[218:219], v[216:217], -v[68:69]
	v_fma_f64 v[212:213], v[220:221], v[216:217], v[212:213]
	ds_load_2addr_b64 v[218:221], v214 offset0:88 offset1:89
	v_add_f64 v[60:61], v[60:61], -v[68:69]
	v_add_f64 v[62:63], v[62:63], -v[212:213]
	s_waitcnt lgkmcnt(0)
	v_mul_f64 v[68:69], v[220:221], v[70:71]
	v_mul_f64 v[212:213], v[218:219], v[70:71]
	s_delay_alu instid0(VALU_DEP_2) | instskip(NEXT) | instid1(VALU_DEP_2)
	v_fma_f64 v[68:69], v[218:219], v[216:217], -v[68:69]
	;; [unrolled: 9-line block ×16, first 2 shown]
	v_fma_f64 v[212:213], v[220:221], v[216:217], v[212:213]
	s_delay_alu instid0(VALU_DEP_2) | instskip(NEXT) | instid1(VALU_DEP_2)
	v_add_f64 v[0:1], v[0:1], -v[68:69]
	v_add_f64 v[2:3], v[2:3], -v[212:213]
	v_dual_mov_b32 v68, v216 :: v_dual_mov_b32 v69, v217
.LBB117_379:
	s_or_b32 exec_lo, exec_lo, s3
	s_delay_alu instid0(SALU_CYCLE_1)
	s_mov_b32 s4, exec_lo
	s_waitcnt_vscnt null, 0x0
	s_barrier
	buffer_gl0_inv
	v_cmpx_eq_u32_e32 42, v208
	s_cbranch_execz .LBB117_386
; %bb.380:
	ds_store_2addr_b64 v209, v[64:65], v[66:67] offset1:1
	ds_store_2addr_b64 v214, v[60:61], v[62:63] offset0:86 offset1:87
	ds_store_2addr_b64 v214, v[56:57], v[58:59] offset0:88 offset1:89
	;; [unrolled: 1-line block ×16, first 2 shown]
	ds_load_2addr_b64 v[216:219], v209 offset1:1
	s_waitcnt lgkmcnt(0)
	v_cmp_neq_f64_e32 vcc_lo, 0, v[216:217]
	v_cmp_neq_f64_e64 s3, 0, v[218:219]
	s_delay_alu instid0(VALU_DEP_1) | instskip(NEXT) | instid1(SALU_CYCLE_1)
	s_or_b32 s3, vcc_lo, s3
	s_and_b32 exec_lo, exec_lo, s3
	s_cbranch_execz .LBB117_386
; %bb.381:
	v_cmp_gt_f64_e32 vcc_lo, 0, v[216:217]
	v_xor_b32_e32 v212, 0x80000000, v217
	v_xor_b32_e32 v215, 0x80000000, v219
	s_delay_alu instid0(VALU_DEP_2) | instskip(SKIP_2) | instid1(VALU_DEP_4)
	v_cndmask_b32_e32 v213, v217, v212, vcc_lo
	v_cndmask_b32_e32 v212, v216, v216, vcc_lo
	v_cmp_gt_f64_e32 vcc_lo, 0, v[218:219]
	v_dual_cndmask_b32 v221, v219, v215 :: v_dual_cndmask_b32 v220, v218, v218
	s_delay_alu instid0(VALU_DEP_1) | instskip(SKIP_1) | instid1(SALU_CYCLE_1)
	v_cmp_ngt_f64_e32 vcc_lo, v[212:213], v[220:221]
                                        ; implicit-def: $vgpr212_vgpr213
	s_and_saveexec_b32 s3, vcc_lo
	s_xor_b32 s3, exec_lo, s3
                                        ; implicit-def: $vgpr220_vgpr221_vgpr222_vgpr223
	s_cbranch_execz .LBB117_383
; %bb.382:
	v_div_scale_f64 v[212:213], null, v[218:219], v[218:219], v[216:217]
	v_div_scale_f64 v[224:225], vcc_lo, v[216:217], v[218:219], v[216:217]
	s_delay_alu instid0(VALU_DEP_2) | instskip(SKIP_2) | instid1(VALU_DEP_1)
	v_rcp_f64_e32 v[220:221], v[212:213]
	s_waitcnt_depctr 0xfff
	v_fma_f64 v[222:223], -v[212:213], v[220:221], 1.0
	v_fma_f64 v[220:221], v[220:221], v[222:223], v[220:221]
	s_delay_alu instid0(VALU_DEP_1) | instskip(NEXT) | instid1(VALU_DEP_1)
	v_fma_f64 v[222:223], -v[212:213], v[220:221], 1.0
	v_fma_f64 v[220:221], v[220:221], v[222:223], v[220:221]
	s_delay_alu instid0(VALU_DEP_1) | instskip(NEXT) | instid1(VALU_DEP_1)
	v_mul_f64 v[222:223], v[224:225], v[220:221]
	v_fma_f64 v[212:213], -v[212:213], v[222:223], v[224:225]
	s_delay_alu instid0(VALU_DEP_1) | instskip(NEXT) | instid1(VALU_DEP_1)
	v_div_fmas_f64 v[212:213], v[212:213], v[220:221], v[222:223]
	v_div_fixup_f64 v[212:213], v[212:213], v[218:219], v[216:217]
	s_delay_alu instid0(VALU_DEP_1) | instskip(NEXT) | instid1(VALU_DEP_1)
	v_fma_f64 v[216:217], v[216:217], v[212:213], v[218:219]
	v_div_scale_f64 v[218:219], null, v[216:217], v[216:217], 1.0
	s_delay_alu instid0(VALU_DEP_1) | instskip(SKIP_2) | instid1(VALU_DEP_1)
	v_rcp_f64_e32 v[220:221], v[218:219]
	s_waitcnt_depctr 0xfff
	v_fma_f64 v[222:223], -v[218:219], v[220:221], 1.0
	v_fma_f64 v[220:221], v[220:221], v[222:223], v[220:221]
	s_delay_alu instid0(VALU_DEP_1) | instskip(NEXT) | instid1(VALU_DEP_1)
	v_fma_f64 v[222:223], -v[218:219], v[220:221], 1.0
	v_fma_f64 v[220:221], v[220:221], v[222:223], v[220:221]
	v_div_scale_f64 v[222:223], vcc_lo, 1.0, v[216:217], 1.0
	s_delay_alu instid0(VALU_DEP_1) | instskip(NEXT) | instid1(VALU_DEP_1)
	v_mul_f64 v[224:225], v[222:223], v[220:221]
	v_fma_f64 v[218:219], -v[218:219], v[224:225], v[222:223]
	s_delay_alu instid0(VALU_DEP_1) | instskip(NEXT) | instid1(VALU_DEP_1)
	v_div_fmas_f64 v[218:219], v[218:219], v[220:221], v[224:225]
	v_div_fixup_f64 v[222:223], v[218:219], v[216:217], 1.0
                                        ; implicit-def: $vgpr216_vgpr217
	s_delay_alu instid0(VALU_DEP_1)
	v_mul_f64 v[212:213], v[212:213], v[222:223]
	v_xor_b32_e32 v223, 0x80000000, v223
.LBB117_383:
	s_and_not1_saveexec_b32 s3, s3
	s_cbranch_execz .LBB117_385
; %bb.384:
	v_div_scale_f64 v[212:213], null, v[216:217], v[216:217], v[218:219]
	v_div_scale_f64 v[224:225], vcc_lo, v[218:219], v[216:217], v[218:219]
	s_delay_alu instid0(VALU_DEP_2) | instskip(SKIP_2) | instid1(VALU_DEP_1)
	v_rcp_f64_e32 v[220:221], v[212:213]
	s_waitcnt_depctr 0xfff
	v_fma_f64 v[222:223], -v[212:213], v[220:221], 1.0
	v_fma_f64 v[220:221], v[220:221], v[222:223], v[220:221]
	s_delay_alu instid0(VALU_DEP_1) | instskip(NEXT) | instid1(VALU_DEP_1)
	v_fma_f64 v[222:223], -v[212:213], v[220:221], 1.0
	v_fma_f64 v[220:221], v[220:221], v[222:223], v[220:221]
	s_delay_alu instid0(VALU_DEP_1) | instskip(NEXT) | instid1(VALU_DEP_1)
	v_mul_f64 v[222:223], v[224:225], v[220:221]
	v_fma_f64 v[212:213], -v[212:213], v[222:223], v[224:225]
	s_delay_alu instid0(VALU_DEP_1) | instskip(NEXT) | instid1(VALU_DEP_1)
	v_div_fmas_f64 v[212:213], v[212:213], v[220:221], v[222:223]
	v_div_fixup_f64 v[220:221], v[212:213], v[216:217], v[218:219]
	s_delay_alu instid0(VALU_DEP_1) | instskip(NEXT) | instid1(VALU_DEP_1)
	v_fma_f64 v[212:213], v[218:219], v[220:221], v[216:217]
	v_div_scale_f64 v[216:217], null, v[212:213], v[212:213], 1.0
	s_delay_alu instid0(VALU_DEP_1) | instskip(SKIP_2) | instid1(VALU_DEP_1)
	v_rcp_f64_e32 v[218:219], v[216:217]
	s_waitcnt_depctr 0xfff
	v_fma_f64 v[222:223], -v[216:217], v[218:219], 1.0
	v_fma_f64 v[218:219], v[218:219], v[222:223], v[218:219]
	s_delay_alu instid0(VALU_DEP_1) | instskip(NEXT) | instid1(VALU_DEP_1)
	v_fma_f64 v[222:223], -v[216:217], v[218:219], 1.0
	v_fma_f64 v[218:219], v[218:219], v[222:223], v[218:219]
	v_div_scale_f64 v[222:223], vcc_lo, 1.0, v[212:213], 1.0
	s_delay_alu instid0(VALU_DEP_1) | instskip(NEXT) | instid1(VALU_DEP_1)
	v_mul_f64 v[224:225], v[222:223], v[218:219]
	v_fma_f64 v[216:217], -v[216:217], v[224:225], v[222:223]
	s_delay_alu instid0(VALU_DEP_1) | instskip(NEXT) | instid1(VALU_DEP_1)
	v_div_fmas_f64 v[216:217], v[216:217], v[218:219], v[224:225]
	v_div_fixup_f64 v[212:213], v[216:217], v[212:213], 1.0
	s_delay_alu instid0(VALU_DEP_1)
	v_mul_f64 v[222:223], v[220:221], -v[212:213]
.LBB117_385:
	s_or_b32 exec_lo, exec_lo, s3
	ds_store_2addr_b64 v209, v[212:213], v[222:223] offset1:1
.LBB117_386:
	s_or_b32 exec_lo, exec_lo, s4
	s_waitcnt lgkmcnt(0)
	s_barrier
	buffer_gl0_inv
	ds_load_2addr_b64 v[204:207], v209 offset1:1
	s_mov_b32 s3, exec_lo
	s_waitcnt lgkmcnt(0)
	scratch_store_b128 off, v[204:207], off offset:1260 ; 16-byte Folded Spill
	v_cmpx_lt_u32_e32 42, v208
	s_cbranch_execz .LBB117_388
; %bb.387:
	scratch_load_b128 v[204:207], off, off offset:1260 ; 16-byte Folded Reload
	ds_load_2addr_b64 v[218:221], v214 offset0:86 offset1:87
	s_waitcnt vmcnt(0)
	v_mul_f64 v[212:213], v[204:205], v[66:67]
	v_mul_f64 v[66:67], v[206:207], v[66:67]
	s_delay_alu instid0(VALU_DEP_2) | instskip(NEXT) | instid1(VALU_DEP_2)
	v_fma_f64 v[216:217], v[206:207], v[64:65], v[212:213]
	v_fma_f64 v[64:65], v[204:205], v[64:65], -v[66:67]
	s_waitcnt lgkmcnt(0)
	s_delay_alu instid0(VALU_DEP_2) | instskip(SKIP_1) | instid1(VALU_DEP_2)
	v_mul_f64 v[66:67], v[220:221], v[216:217]
	v_mul_f64 v[212:213], v[218:219], v[216:217]
	v_fma_f64 v[66:67], v[218:219], v[64:65], -v[66:67]
	s_delay_alu instid0(VALU_DEP_2)
	v_fma_f64 v[212:213], v[220:221], v[64:65], v[212:213]
	ds_load_2addr_b64 v[218:221], v214 offset0:88 offset1:89
	v_add_f64 v[60:61], v[60:61], -v[66:67]
	v_add_f64 v[62:63], v[62:63], -v[212:213]
	s_waitcnt lgkmcnt(0)
	v_mul_f64 v[66:67], v[220:221], v[216:217]
	v_mul_f64 v[212:213], v[218:219], v[216:217]
	s_delay_alu instid0(VALU_DEP_2) | instskip(NEXT) | instid1(VALU_DEP_2)
	v_fma_f64 v[66:67], v[218:219], v[64:65], -v[66:67]
	v_fma_f64 v[212:213], v[220:221], v[64:65], v[212:213]
	ds_load_2addr_b64 v[218:221], v214 offset0:90 offset1:91
	v_add_f64 v[56:57], v[56:57], -v[66:67]
	v_add_f64 v[58:59], v[58:59], -v[212:213]
	s_waitcnt lgkmcnt(0)
	v_mul_f64 v[66:67], v[220:221], v[216:217]
	v_mul_f64 v[212:213], v[218:219], v[216:217]
	s_delay_alu instid0(VALU_DEP_2) | instskip(NEXT) | instid1(VALU_DEP_2)
	v_fma_f64 v[66:67], v[218:219], v[64:65], -v[66:67]
	;; [unrolled: 9-line block ×15, first 2 shown]
	v_fma_f64 v[212:213], v[220:221], v[64:65], v[212:213]
	s_delay_alu instid0(VALU_DEP_2) | instskip(NEXT) | instid1(VALU_DEP_2)
	v_add_f64 v[0:1], v[0:1], -v[66:67]
	v_add_f64 v[2:3], v[2:3], -v[212:213]
	v_dual_mov_b32 v66, v216 :: v_dual_mov_b32 v67, v217
.LBB117_388:
	s_or_b32 exec_lo, exec_lo, s3
	s_delay_alu instid0(SALU_CYCLE_1)
	s_mov_b32 s4, exec_lo
	s_waitcnt_vscnt null, 0x0
	s_barrier
	buffer_gl0_inv
	v_cmpx_eq_u32_e32 43, v208
	s_cbranch_execz .LBB117_395
; %bb.389:
	ds_store_2addr_b64 v209, v[60:61], v[62:63] offset1:1
	ds_store_2addr_b64 v214, v[56:57], v[58:59] offset0:88 offset1:89
	ds_store_2addr_b64 v214, v[52:53], v[54:55] offset0:90 offset1:91
	;; [unrolled: 1-line block ×15, first 2 shown]
	ds_load_2addr_b64 v[216:219], v209 offset1:1
	s_waitcnt lgkmcnt(0)
	v_cmp_neq_f64_e32 vcc_lo, 0, v[216:217]
	v_cmp_neq_f64_e64 s3, 0, v[218:219]
	s_delay_alu instid0(VALU_DEP_1) | instskip(NEXT) | instid1(SALU_CYCLE_1)
	s_or_b32 s3, vcc_lo, s3
	s_and_b32 exec_lo, exec_lo, s3
	s_cbranch_execz .LBB117_395
; %bb.390:
	v_cmp_gt_f64_e32 vcc_lo, 0, v[216:217]
	v_xor_b32_e32 v212, 0x80000000, v217
	v_xor_b32_e32 v215, 0x80000000, v219
	s_delay_alu instid0(VALU_DEP_2) | instskip(SKIP_2) | instid1(VALU_DEP_4)
	v_cndmask_b32_e32 v213, v217, v212, vcc_lo
	v_cndmask_b32_e32 v212, v216, v216, vcc_lo
	v_cmp_gt_f64_e32 vcc_lo, 0, v[218:219]
	v_dual_cndmask_b32 v221, v219, v215 :: v_dual_cndmask_b32 v220, v218, v218
	s_delay_alu instid0(VALU_DEP_1) | instskip(SKIP_1) | instid1(SALU_CYCLE_1)
	v_cmp_ngt_f64_e32 vcc_lo, v[212:213], v[220:221]
                                        ; implicit-def: $vgpr212_vgpr213
	s_and_saveexec_b32 s3, vcc_lo
	s_xor_b32 s3, exec_lo, s3
                                        ; implicit-def: $vgpr220_vgpr221_vgpr222_vgpr223
	s_cbranch_execz .LBB117_392
; %bb.391:
	v_div_scale_f64 v[212:213], null, v[218:219], v[218:219], v[216:217]
	v_div_scale_f64 v[224:225], vcc_lo, v[216:217], v[218:219], v[216:217]
	s_delay_alu instid0(VALU_DEP_2) | instskip(SKIP_2) | instid1(VALU_DEP_1)
	v_rcp_f64_e32 v[220:221], v[212:213]
	s_waitcnt_depctr 0xfff
	v_fma_f64 v[222:223], -v[212:213], v[220:221], 1.0
	v_fma_f64 v[220:221], v[220:221], v[222:223], v[220:221]
	s_delay_alu instid0(VALU_DEP_1) | instskip(NEXT) | instid1(VALU_DEP_1)
	v_fma_f64 v[222:223], -v[212:213], v[220:221], 1.0
	v_fma_f64 v[220:221], v[220:221], v[222:223], v[220:221]
	s_delay_alu instid0(VALU_DEP_1) | instskip(NEXT) | instid1(VALU_DEP_1)
	v_mul_f64 v[222:223], v[224:225], v[220:221]
	v_fma_f64 v[212:213], -v[212:213], v[222:223], v[224:225]
	s_delay_alu instid0(VALU_DEP_1) | instskip(NEXT) | instid1(VALU_DEP_1)
	v_div_fmas_f64 v[212:213], v[212:213], v[220:221], v[222:223]
	v_div_fixup_f64 v[212:213], v[212:213], v[218:219], v[216:217]
	s_delay_alu instid0(VALU_DEP_1) | instskip(NEXT) | instid1(VALU_DEP_1)
	v_fma_f64 v[216:217], v[216:217], v[212:213], v[218:219]
	v_div_scale_f64 v[218:219], null, v[216:217], v[216:217], 1.0
	s_delay_alu instid0(VALU_DEP_1) | instskip(SKIP_2) | instid1(VALU_DEP_1)
	v_rcp_f64_e32 v[220:221], v[218:219]
	s_waitcnt_depctr 0xfff
	v_fma_f64 v[222:223], -v[218:219], v[220:221], 1.0
	v_fma_f64 v[220:221], v[220:221], v[222:223], v[220:221]
	s_delay_alu instid0(VALU_DEP_1) | instskip(NEXT) | instid1(VALU_DEP_1)
	v_fma_f64 v[222:223], -v[218:219], v[220:221], 1.0
	v_fma_f64 v[220:221], v[220:221], v[222:223], v[220:221]
	v_div_scale_f64 v[222:223], vcc_lo, 1.0, v[216:217], 1.0
	s_delay_alu instid0(VALU_DEP_1) | instskip(NEXT) | instid1(VALU_DEP_1)
	v_mul_f64 v[224:225], v[222:223], v[220:221]
	v_fma_f64 v[218:219], -v[218:219], v[224:225], v[222:223]
	s_delay_alu instid0(VALU_DEP_1) | instskip(NEXT) | instid1(VALU_DEP_1)
	v_div_fmas_f64 v[218:219], v[218:219], v[220:221], v[224:225]
	v_div_fixup_f64 v[222:223], v[218:219], v[216:217], 1.0
                                        ; implicit-def: $vgpr216_vgpr217
	s_delay_alu instid0(VALU_DEP_1)
	v_mul_f64 v[212:213], v[212:213], v[222:223]
	v_xor_b32_e32 v223, 0x80000000, v223
.LBB117_392:
	s_and_not1_saveexec_b32 s3, s3
	s_cbranch_execz .LBB117_394
; %bb.393:
	v_div_scale_f64 v[212:213], null, v[216:217], v[216:217], v[218:219]
	v_div_scale_f64 v[224:225], vcc_lo, v[218:219], v[216:217], v[218:219]
	s_delay_alu instid0(VALU_DEP_2) | instskip(SKIP_2) | instid1(VALU_DEP_1)
	v_rcp_f64_e32 v[220:221], v[212:213]
	s_waitcnt_depctr 0xfff
	v_fma_f64 v[222:223], -v[212:213], v[220:221], 1.0
	v_fma_f64 v[220:221], v[220:221], v[222:223], v[220:221]
	s_delay_alu instid0(VALU_DEP_1) | instskip(NEXT) | instid1(VALU_DEP_1)
	v_fma_f64 v[222:223], -v[212:213], v[220:221], 1.0
	v_fma_f64 v[220:221], v[220:221], v[222:223], v[220:221]
	s_delay_alu instid0(VALU_DEP_1) | instskip(NEXT) | instid1(VALU_DEP_1)
	v_mul_f64 v[222:223], v[224:225], v[220:221]
	v_fma_f64 v[212:213], -v[212:213], v[222:223], v[224:225]
	s_delay_alu instid0(VALU_DEP_1) | instskip(NEXT) | instid1(VALU_DEP_1)
	v_div_fmas_f64 v[212:213], v[212:213], v[220:221], v[222:223]
	v_div_fixup_f64 v[220:221], v[212:213], v[216:217], v[218:219]
	s_delay_alu instid0(VALU_DEP_1) | instskip(NEXT) | instid1(VALU_DEP_1)
	v_fma_f64 v[212:213], v[218:219], v[220:221], v[216:217]
	v_div_scale_f64 v[216:217], null, v[212:213], v[212:213], 1.0
	s_delay_alu instid0(VALU_DEP_1) | instskip(SKIP_2) | instid1(VALU_DEP_1)
	v_rcp_f64_e32 v[218:219], v[216:217]
	s_waitcnt_depctr 0xfff
	v_fma_f64 v[222:223], -v[216:217], v[218:219], 1.0
	v_fma_f64 v[218:219], v[218:219], v[222:223], v[218:219]
	s_delay_alu instid0(VALU_DEP_1) | instskip(NEXT) | instid1(VALU_DEP_1)
	v_fma_f64 v[222:223], -v[216:217], v[218:219], 1.0
	v_fma_f64 v[218:219], v[218:219], v[222:223], v[218:219]
	v_div_scale_f64 v[222:223], vcc_lo, 1.0, v[212:213], 1.0
	s_delay_alu instid0(VALU_DEP_1) | instskip(NEXT) | instid1(VALU_DEP_1)
	v_mul_f64 v[224:225], v[222:223], v[218:219]
	v_fma_f64 v[216:217], -v[216:217], v[224:225], v[222:223]
	s_delay_alu instid0(VALU_DEP_1) | instskip(NEXT) | instid1(VALU_DEP_1)
	v_div_fmas_f64 v[216:217], v[216:217], v[218:219], v[224:225]
	v_div_fixup_f64 v[212:213], v[216:217], v[212:213], 1.0
	s_delay_alu instid0(VALU_DEP_1)
	v_mul_f64 v[222:223], v[220:221], -v[212:213]
.LBB117_394:
	s_or_b32 exec_lo, exec_lo, s3
	ds_store_2addr_b64 v209, v[212:213], v[222:223] offset1:1
.LBB117_395:
	s_or_b32 exec_lo, exec_lo, s4
	s_waitcnt lgkmcnt(0)
	s_barrier
	buffer_gl0_inv
	ds_load_2addr_b64 v[204:207], v209 offset1:1
	s_mov_b32 s3, exec_lo
	s_waitcnt lgkmcnt(0)
	scratch_store_b128 off, v[204:207], off offset:1276 ; 16-byte Folded Spill
	v_cmpx_lt_u32_e32 43, v208
	s_cbranch_execz .LBB117_397
; %bb.396:
	scratch_load_b128 v[204:207], off, off offset:1276 ; 16-byte Folded Reload
	ds_load_2addr_b64 v[218:221], v214 offset0:88 offset1:89
	s_waitcnt vmcnt(0)
	v_mul_f64 v[212:213], v[204:205], v[62:63]
	v_mul_f64 v[62:63], v[206:207], v[62:63]
	s_delay_alu instid0(VALU_DEP_2) | instskip(NEXT) | instid1(VALU_DEP_2)
	v_fma_f64 v[216:217], v[206:207], v[60:61], v[212:213]
	v_fma_f64 v[60:61], v[204:205], v[60:61], -v[62:63]
	s_waitcnt lgkmcnt(0)
	s_delay_alu instid0(VALU_DEP_2) | instskip(SKIP_1) | instid1(VALU_DEP_2)
	v_mul_f64 v[62:63], v[220:221], v[216:217]
	v_mul_f64 v[212:213], v[218:219], v[216:217]
	v_fma_f64 v[62:63], v[218:219], v[60:61], -v[62:63]
	s_delay_alu instid0(VALU_DEP_2)
	v_fma_f64 v[212:213], v[220:221], v[60:61], v[212:213]
	ds_load_2addr_b64 v[218:221], v214 offset0:90 offset1:91
	v_add_f64 v[56:57], v[56:57], -v[62:63]
	v_add_f64 v[58:59], v[58:59], -v[212:213]
	s_waitcnt lgkmcnt(0)
	v_mul_f64 v[62:63], v[220:221], v[216:217]
	v_mul_f64 v[212:213], v[218:219], v[216:217]
	s_delay_alu instid0(VALU_DEP_2) | instskip(NEXT) | instid1(VALU_DEP_2)
	v_fma_f64 v[62:63], v[218:219], v[60:61], -v[62:63]
	v_fma_f64 v[212:213], v[220:221], v[60:61], v[212:213]
	ds_load_2addr_b64 v[218:221], v214 offset0:92 offset1:93
	v_add_f64 v[52:53], v[52:53], -v[62:63]
	v_add_f64 v[54:55], v[54:55], -v[212:213]
	s_waitcnt lgkmcnt(0)
	v_mul_f64 v[62:63], v[220:221], v[216:217]
	v_mul_f64 v[212:213], v[218:219], v[216:217]
	s_delay_alu instid0(VALU_DEP_2) | instskip(NEXT) | instid1(VALU_DEP_2)
	v_fma_f64 v[62:63], v[218:219], v[60:61], -v[62:63]
	;; [unrolled: 9-line block ×14, first 2 shown]
	v_fma_f64 v[212:213], v[220:221], v[60:61], v[212:213]
	s_delay_alu instid0(VALU_DEP_2) | instskip(NEXT) | instid1(VALU_DEP_2)
	v_add_f64 v[0:1], v[0:1], -v[62:63]
	v_add_f64 v[2:3], v[2:3], -v[212:213]
	v_dual_mov_b32 v62, v216 :: v_dual_mov_b32 v63, v217
.LBB117_397:
	s_or_b32 exec_lo, exec_lo, s3
	s_delay_alu instid0(SALU_CYCLE_1)
	s_mov_b32 s4, exec_lo
	s_waitcnt_vscnt null, 0x0
	s_barrier
	buffer_gl0_inv
	v_cmpx_eq_u32_e32 44, v208
	s_cbranch_execz .LBB117_404
; %bb.398:
	ds_store_2addr_b64 v209, v[56:57], v[58:59] offset1:1
	ds_store_2addr_b64 v214, v[52:53], v[54:55] offset0:90 offset1:91
	ds_store_2addr_b64 v214, v[48:49], v[50:51] offset0:92 offset1:93
	;; [unrolled: 1-line block ×14, first 2 shown]
	ds_load_2addr_b64 v[216:219], v209 offset1:1
	s_waitcnt lgkmcnt(0)
	v_cmp_neq_f64_e32 vcc_lo, 0, v[216:217]
	v_cmp_neq_f64_e64 s3, 0, v[218:219]
	s_delay_alu instid0(VALU_DEP_1) | instskip(NEXT) | instid1(SALU_CYCLE_1)
	s_or_b32 s3, vcc_lo, s3
	s_and_b32 exec_lo, exec_lo, s3
	s_cbranch_execz .LBB117_404
; %bb.399:
	v_cmp_gt_f64_e32 vcc_lo, 0, v[216:217]
	v_xor_b32_e32 v212, 0x80000000, v217
	v_xor_b32_e32 v215, 0x80000000, v219
	s_delay_alu instid0(VALU_DEP_2) | instskip(SKIP_2) | instid1(VALU_DEP_4)
	v_cndmask_b32_e32 v213, v217, v212, vcc_lo
	v_cndmask_b32_e32 v212, v216, v216, vcc_lo
	v_cmp_gt_f64_e32 vcc_lo, 0, v[218:219]
	v_dual_cndmask_b32 v221, v219, v215 :: v_dual_cndmask_b32 v220, v218, v218
	s_delay_alu instid0(VALU_DEP_1) | instskip(SKIP_1) | instid1(SALU_CYCLE_1)
	v_cmp_ngt_f64_e32 vcc_lo, v[212:213], v[220:221]
                                        ; implicit-def: $vgpr212_vgpr213
	s_and_saveexec_b32 s3, vcc_lo
	s_xor_b32 s3, exec_lo, s3
                                        ; implicit-def: $vgpr220_vgpr221_vgpr222_vgpr223
	s_cbranch_execz .LBB117_401
; %bb.400:
	v_div_scale_f64 v[212:213], null, v[218:219], v[218:219], v[216:217]
	v_div_scale_f64 v[224:225], vcc_lo, v[216:217], v[218:219], v[216:217]
	s_delay_alu instid0(VALU_DEP_2) | instskip(SKIP_2) | instid1(VALU_DEP_1)
	v_rcp_f64_e32 v[220:221], v[212:213]
	s_waitcnt_depctr 0xfff
	v_fma_f64 v[222:223], -v[212:213], v[220:221], 1.0
	v_fma_f64 v[220:221], v[220:221], v[222:223], v[220:221]
	s_delay_alu instid0(VALU_DEP_1) | instskip(NEXT) | instid1(VALU_DEP_1)
	v_fma_f64 v[222:223], -v[212:213], v[220:221], 1.0
	v_fma_f64 v[220:221], v[220:221], v[222:223], v[220:221]
	s_delay_alu instid0(VALU_DEP_1) | instskip(NEXT) | instid1(VALU_DEP_1)
	v_mul_f64 v[222:223], v[224:225], v[220:221]
	v_fma_f64 v[212:213], -v[212:213], v[222:223], v[224:225]
	s_delay_alu instid0(VALU_DEP_1) | instskip(NEXT) | instid1(VALU_DEP_1)
	v_div_fmas_f64 v[212:213], v[212:213], v[220:221], v[222:223]
	v_div_fixup_f64 v[212:213], v[212:213], v[218:219], v[216:217]
	s_delay_alu instid0(VALU_DEP_1) | instskip(NEXT) | instid1(VALU_DEP_1)
	v_fma_f64 v[216:217], v[216:217], v[212:213], v[218:219]
	v_div_scale_f64 v[218:219], null, v[216:217], v[216:217], 1.0
	s_delay_alu instid0(VALU_DEP_1) | instskip(SKIP_2) | instid1(VALU_DEP_1)
	v_rcp_f64_e32 v[220:221], v[218:219]
	s_waitcnt_depctr 0xfff
	v_fma_f64 v[222:223], -v[218:219], v[220:221], 1.0
	v_fma_f64 v[220:221], v[220:221], v[222:223], v[220:221]
	s_delay_alu instid0(VALU_DEP_1) | instskip(NEXT) | instid1(VALU_DEP_1)
	v_fma_f64 v[222:223], -v[218:219], v[220:221], 1.0
	v_fma_f64 v[220:221], v[220:221], v[222:223], v[220:221]
	v_div_scale_f64 v[222:223], vcc_lo, 1.0, v[216:217], 1.0
	s_delay_alu instid0(VALU_DEP_1) | instskip(NEXT) | instid1(VALU_DEP_1)
	v_mul_f64 v[224:225], v[222:223], v[220:221]
	v_fma_f64 v[218:219], -v[218:219], v[224:225], v[222:223]
	s_delay_alu instid0(VALU_DEP_1) | instskip(NEXT) | instid1(VALU_DEP_1)
	v_div_fmas_f64 v[218:219], v[218:219], v[220:221], v[224:225]
	v_div_fixup_f64 v[222:223], v[218:219], v[216:217], 1.0
                                        ; implicit-def: $vgpr216_vgpr217
	s_delay_alu instid0(VALU_DEP_1)
	v_mul_f64 v[212:213], v[212:213], v[222:223]
	v_xor_b32_e32 v223, 0x80000000, v223
.LBB117_401:
	s_and_not1_saveexec_b32 s3, s3
	s_cbranch_execz .LBB117_403
; %bb.402:
	v_div_scale_f64 v[212:213], null, v[216:217], v[216:217], v[218:219]
	v_div_scale_f64 v[224:225], vcc_lo, v[218:219], v[216:217], v[218:219]
	s_delay_alu instid0(VALU_DEP_2) | instskip(SKIP_2) | instid1(VALU_DEP_1)
	v_rcp_f64_e32 v[220:221], v[212:213]
	s_waitcnt_depctr 0xfff
	v_fma_f64 v[222:223], -v[212:213], v[220:221], 1.0
	v_fma_f64 v[220:221], v[220:221], v[222:223], v[220:221]
	s_delay_alu instid0(VALU_DEP_1) | instskip(NEXT) | instid1(VALU_DEP_1)
	v_fma_f64 v[222:223], -v[212:213], v[220:221], 1.0
	v_fma_f64 v[220:221], v[220:221], v[222:223], v[220:221]
	s_delay_alu instid0(VALU_DEP_1) | instskip(NEXT) | instid1(VALU_DEP_1)
	v_mul_f64 v[222:223], v[224:225], v[220:221]
	v_fma_f64 v[212:213], -v[212:213], v[222:223], v[224:225]
	s_delay_alu instid0(VALU_DEP_1) | instskip(NEXT) | instid1(VALU_DEP_1)
	v_div_fmas_f64 v[212:213], v[212:213], v[220:221], v[222:223]
	v_div_fixup_f64 v[220:221], v[212:213], v[216:217], v[218:219]
	s_delay_alu instid0(VALU_DEP_1) | instskip(NEXT) | instid1(VALU_DEP_1)
	v_fma_f64 v[212:213], v[218:219], v[220:221], v[216:217]
	v_div_scale_f64 v[216:217], null, v[212:213], v[212:213], 1.0
	s_delay_alu instid0(VALU_DEP_1) | instskip(SKIP_2) | instid1(VALU_DEP_1)
	v_rcp_f64_e32 v[218:219], v[216:217]
	s_waitcnt_depctr 0xfff
	v_fma_f64 v[222:223], -v[216:217], v[218:219], 1.0
	v_fma_f64 v[218:219], v[218:219], v[222:223], v[218:219]
	s_delay_alu instid0(VALU_DEP_1) | instskip(NEXT) | instid1(VALU_DEP_1)
	v_fma_f64 v[222:223], -v[216:217], v[218:219], 1.0
	v_fma_f64 v[218:219], v[218:219], v[222:223], v[218:219]
	v_div_scale_f64 v[222:223], vcc_lo, 1.0, v[212:213], 1.0
	s_delay_alu instid0(VALU_DEP_1) | instskip(NEXT) | instid1(VALU_DEP_1)
	v_mul_f64 v[224:225], v[222:223], v[218:219]
	v_fma_f64 v[216:217], -v[216:217], v[224:225], v[222:223]
	s_delay_alu instid0(VALU_DEP_1) | instskip(NEXT) | instid1(VALU_DEP_1)
	v_div_fmas_f64 v[216:217], v[216:217], v[218:219], v[224:225]
	v_div_fixup_f64 v[212:213], v[216:217], v[212:213], 1.0
	s_delay_alu instid0(VALU_DEP_1)
	v_mul_f64 v[222:223], v[220:221], -v[212:213]
.LBB117_403:
	s_or_b32 exec_lo, exec_lo, s3
	ds_store_2addr_b64 v209, v[212:213], v[222:223] offset1:1
.LBB117_404:
	s_or_b32 exec_lo, exec_lo, s4
	s_waitcnt lgkmcnt(0)
	s_barrier
	buffer_gl0_inv
	ds_load_2addr_b64 v[204:207], v209 offset1:1
	s_mov_b32 s3, exec_lo
	s_waitcnt lgkmcnt(0)
	scratch_store_b128 off, v[204:207], off offset:1292 ; 16-byte Folded Spill
	v_cmpx_lt_u32_e32 44, v208
	s_cbranch_execz .LBB117_406
; %bb.405:
	scratch_load_b128 v[204:207], off, off offset:1292 ; 16-byte Folded Reload
	ds_load_2addr_b64 v[218:221], v214 offset0:90 offset1:91
	s_waitcnt vmcnt(0)
	v_mul_f64 v[212:213], v[204:205], v[58:59]
	v_mul_f64 v[58:59], v[206:207], v[58:59]
	s_delay_alu instid0(VALU_DEP_2) | instskip(NEXT) | instid1(VALU_DEP_2)
	v_fma_f64 v[216:217], v[206:207], v[56:57], v[212:213]
	v_fma_f64 v[56:57], v[204:205], v[56:57], -v[58:59]
	s_waitcnt lgkmcnt(0)
	s_delay_alu instid0(VALU_DEP_2) | instskip(SKIP_1) | instid1(VALU_DEP_2)
	v_mul_f64 v[58:59], v[220:221], v[216:217]
	v_mul_f64 v[212:213], v[218:219], v[216:217]
	v_fma_f64 v[58:59], v[218:219], v[56:57], -v[58:59]
	s_delay_alu instid0(VALU_DEP_2)
	v_fma_f64 v[212:213], v[220:221], v[56:57], v[212:213]
	ds_load_2addr_b64 v[218:221], v214 offset0:92 offset1:93
	v_add_f64 v[52:53], v[52:53], -v[58:59]
	v_add_f64 v[54:55], v[54:55], -v[212:213]
	s_waitcnt lgkmcnt(0)
	v_mul_f64 v[58:59], v[220:221], v[216:217]
	v_mul_f64 v[212:213], v[218:219], v[216:217]
	s_delay_alu instid0(VALU_DEP_2) | instskip(NEXT) | instid1(VALU_DEP_2)
	v_fma_f64 v[58:59], v[218:219], v[56:57], -v[58:59]
	v_fma_f64 v[212:213], v[220:221], v[56:57], v[212:213]
	ds_load_2addr_b64 v[218:221], v214 offset0:94 offset1:95
	v_add_f64 v[48:49], v[48:49], -v[58:59]
	v_add_f64 v[50:51], v[50:51], -v[212:213]
	s_waitcnt lgkmcnt(0)
	v_mul_f64 v[58:59], v[220:221], v[216:217]
	v_mul_f64 v[212:213], v[218:219], v[216:217]
	s_delay_alu instid0(VALU_DEP_2) | instskip(NEXT) | instid1(VALU_DEP_2)
	v_fma_f64 v[58:59], v[218:219], v[56:57], -v[58:59]
	;; [unrolled: 9-line block ×13, first 2 shown]
	v_fma_f64 v[212:213], v[220:221], v[56:57], v[212:213]
	s_delay_alu instid0(VALU_DEP_2) | instskip(NEXT) | instid1(VALU_DEP_2)
	v_add_f64 v[0:1], v[0:1], -v[58:59]
	v_add_f64 v[2:3], v[2:3], -v[212:213]
	v_dual_mov_b32 v58, v216 :: v_dual_mov_b32 v59, v217
.LBB117_406:
	s_or_b32 exec_lo, exec_lo, s3
	s_delay_alu instid0(SALU_CYCLE_1)
	s_mov_b32 s4, exec_lo
	s_waitcnt_vscnt null, 0x0
	s_barrier
	buffer_gl0_inv
	v_cmpx_eq_u32_e32 45, v208
	s_cbranch_execz .LBB117_413
; %bb.407:
	ds_store_2addr_b64 v209, v[52:53], v[54:55] offset1:1
	ds_store_2addr_b64 v214, v[48:49], v[50:51] offset0:92 offset1:93
	ds_store_2addr_b64 v214, v[44:45], v[46:47] offset0:94 offset1:95
	;; [unrolled: 1-line block ×13, first 2 shown]
	ds_load_2addr_b64 v[216:219], v209 offset1:1
	s_waitcnt lgkmcnt(0)
	v_cmp_neq_f64_e32 vcc_lo, 0, v[216:217]
	v_cmp_neq_f64_e64 s3, 0, v[218:219]
	s_delay_alu instid0(VALU_DEP_1) | instskip(NEXT) | instid1(SALU_CYCLE_1)
	s_or_b32 s3, vcc_lo, s3
	s_and_b32 exec_lo, exec_lo, s3
	s_cbranch_execz .LBB117_413
; %bb.408:
	v_cmp_gt_f64_e32 vcc_lo, 0, v[216:217]
	v_xor_b32_e32 v212, 0x80000000, v217
	v_xor_b32_e32 v215, 0x80000000, v219
	s_delay_alu instid0(VALU_DEP_2) | instskip(SKIP_2) | instid1(VALU_DEP_4)
	v_cndmask_b32_e32 v213, v217, v212, vcc_lo
	v_cndmask_b32_e32 v212, v216, v216, vcc_lo
	v_cmp_gt_f64_e32 vcc_lo, 0, v[218:219]
	v_dual_cndmask_b32 v221, v219, v215 :: v_dual_cndmask_b32 v220, v218, v218
	s_delay_alu instid0(VALU_DEP_1) | instskip(SKIP_1) | instid1(SALU_CYCLE_1)
	v_cmp_ngt_f64_e32 vcc_lo, v[212:213], v[220:221]
                                        ; implicit-def: $vgpr212_vgpr213
	s_and_saveexec_b32 s3, vcc_lo
	s_xor_b32 s3, exec_lo, s3
                                        ; implicit-def: $vgpr220_vgpr221_vgpr222_vgpr223
	s_cbranch_execz .LBB117_410
; %bb.409:
	v_div_scale_f64 v[212:213], null, v[218:219], v[218:219], v[216:217]
	v_div_scale_f64 v[224:225], vcc_lo, v[216:217], v[218:219], v[216:217]
	s_delay_alu instid0(VALU_DEP_2) | instskip(SKIP_2) | instid1(VALU_DEP_1)
	v_rcp_f64_e32 v[220:221], v[212:213]
	s_waitcnt_depctr 0xfff
	v_fma_f64 v[222:223], -v[212:213], v[220:221], 1.0
	v_fma_f64 v[220:221], v[220:221], v[222:223], v[220:221]
	s_delay_alu instid0(VALU_DEP_1) | instskip(NEXT) | instid1(VALU_DEP_1)
	v_fma_f64 v[222:223], -v[212:213], v[220:221], 1.0
	v_fma_f64 v[220:221], v[220:221], v[222:223], v[220:221]
	s_delay_alu instid0(VALU_DEP_1) | instskip(NEXT) | instid1(VALU_DEP_1)
	v_mul_f64 v[222:223], v[224:225], v[220:221]
	v_fma_f64 v[212:213], -v[212:213], v[222:223], v[224:225]
	s_delay_alu instid0(VALU_DEP_1) | instskip(NEXT) | instid1(VALU_DEP_1)
	v_div_fmas_f64 v[212:213], v[212:213], v[220:221], v[222:223]
	v_div_fixup_f64 v[212:213], v[212:213], v[218:219], v[216:217]
	s_delay_alu instid0(VALU_DEP_1) | instskip(NEXT) | instid1(VALU_DEP_1)
	v_fma_f64 v[216:217], v[216:217], v[212:213], v[218:219]
	v_div_scale_f64 v[218:219], null, v[216:217], v[216:217], 1.0
	s_delay_alu instid0(VALU_DEP_1) | instskip(SKIP_2) | instid1(VALU_DEP_1)
	v_rcp_f64_e32 v[220:221], v[218:219]
	s_waitcnt_depctr 0xfff
	v_fma_f64 v[222:223], -v[218:219], v[220:221], 1.0
	v_fma_f64 v[220:221], v[220:221], v[222:223], v[220:221]
	s_delay_alu instid0(VALU_DEP_1) | instskip(NEXT) | instid1(VALU_DEP_1)
	v_fma_f64 v[222:223], -v[218:219], v[220:221], 1.0
	v_fma_f64 v[220:221], v[220:221], v[222:223], v[220:221]
	v_div_scale_f64 v[222:223], vcc_lo, 1.0, v[216:217], 1.0
	s_delay_alu instid0(VALU_DEP_1) | instskip(NEXT) | instid1(VALU_DEP_1)
	v_mul_f64 v[224:225], v[222:223], v[220:221]
	v_fma_f64 v[218:219], -v[218:219], v[224:225], v[222:223]
	s_delay_alu instid0(VALU_DEP_1) | instskip(NEXT) | instid1(VALU_DEP_1)
	v_div_fmas_f64 v[218:219], v[218:219], v[220:221], v[224:225]
	v_div_fixup_f64 v[222:223], v[218:219], v[216:217], 1.0
                                        ; implicit-def: $vgpr216_vgpr217
	s_delay_alu instid0(VALU_DEP_1)
	v_mul_f64 v[212:213], v[212:213], v[222:223]
	v_xor_b32_e32 v223, 0x80000000, v223
.LBB117_410:
	s_and_not1_saveexec_b32 s3, s3
	s_cbranch_execz .LBB117_412
; %bb.411:
	v_div_scale_f64 v[212:213], null, v[216:217], v[216:217], v[218:219]
	v_div_scale_f64 v[224:225], vcc_lo, v[218:219], v[216:217], v[218:219]
	s_delay_alu instid0(VALU_DEP_2) | instskip(SKIP_2) | instid1(VALU_DEP_1)
	v_rcp_f64_e32 v[220:221], v[212:213]
	s_waitcnt_depctr 0xfff
	v_fma_f64 v[222:223], -v[212:213], v[220:221], 1.0
	v_fma_f64 v[220:221], v[220:221], v[222:223], v[220:221]
	s_delay_alu instid0(VALU_DEP_1) | instskip(NEXT) | instid1(VALU_DEP_1)
	v_fma_f64 v[222:223], -v[212:213], v[220:221], 1.0
	v_fma_f64 v[220:221], v[220:221], v[222:223], v[220:221]
	s_delay_alu instid0(VALU_DEP_1) | instskip(NEXT) | instid1(VALU_DEP_1)
	v_mul_f64 v[222:223], v[224:225], v[220:221]
	v_fma_f64 v[212:213], -v[212:213], v[222:223], v[224:225]
	s_delay_alu instid0(VALU_DEP_1) | instskip(NEXT) | instid1(VALU_DEP_1)
	v_div_fmas_f64 v[212:213], v[212:213], v[220:221], v[222:223]
	v_div_fixup_f64 v[220:221], v[212:213], v[216:217], v[218:219]
	s_delay_alu instid0(VALU_DEP_1) | instskip(NEXT) | instid1(VALU_DEP_1)
	v_fma_f64 v[212:213], v[218:219], v[220:221], v[216:217]
	v_div_scale_f64 v[216:217], null, v[212:213], v[212:213], 1.0
	s_delay_alu instid0(VALU_DEP_1) | instskip(SKIP_2) | instid1(VALU_DEP_1)
	v_rcp_f64_e32 v[218:219], v[216:217]
	s_waitcnt_depctr 0xfff
	v_fma_f64 v[222:223], -v[216:217], v[218:219], 1.0
	v_fma_f64 v[218:219], v[218:219], v[222:223], v[218:219]
	s_delay_alu instid0(VALU_DEP_1) | instskip(NEXT) | instid1(VALU_DEP_1)
	v_fma_f64 v[222:223], -v[216:217], v[218:219], 1.0
	v_fma_f64 v[218:219], v[218:219], v[222:223], v[218:219]
	v_div_scale_f64 v[222:223], vcc_lo, 1.0, v[212:213], 1.0
	s_delay_alu instid0(VALU_DEP_1) | instskip(NEXT) | instid1(VALU_DEP_1)
	v_mul_f64 v[224:225], v[222:223], v[218:219]
	v_fma_f64 v[216:217], -v[216:217], v[224:225], v[222:223]
	s_delay_alu instid0(VALU_DEP_1) | instskip(NEXT) | instid1(VALU_DEP_1)
	v_div_fmas_f64 v[216:217], v[216:217], v[218:219], v[224:225]
	v_div_fixup_f64 v[212:213], v[216:217], v[212:213], 1.0
	s_delay_alu instid0(VALU_DEP_1)
	v_mul_f64 v[222:223], v[220:221], -v[212:213]
.LBB117_412:
	s_or_b32 exec_lo, exec_lo, s3
	ds_store_2addr_b64 v209, v[212:213], v[222:223] offset1:1
.LBB117_413:
	s_or_b32 exec_lo, exec_lo, s4
	s_waitcnt lgkmcnt(0)
	s_barrier
	buffer_gl0_inv
	ds_load_2addr_b64 v[204:207], v209 offset1:1
	s_mov_b32 s3, exec_lo
	s_waitcnt lgkmcnt(0)
	scratch_store_b128 off, v[204:207], off offset:1308 ; 16-byte Folded Spill
	v_cmpx_lt_u32_e32 45, v208
	s_cbranch_execz .LBB117_415
; %bb.414:
	scratch_load_b128 v[204:207], off, off offset:1308 ; 16-byte Folded Reload
	ds_load_2addr_b64 v[218:221], v214 offset0:92 offset1:93
	s_waitcnt vmcnt(0)
	v_mul_f64 v[212:213], v[204:205], v[54:55]
	v_mul_f64 v[54:55], v[206:207], v[54:55]
	s_delay_alu instid0(VALU_DEP_2) | instskip(NEXT) | instid1(VALU_DEP_2)
	v_fma_f64 v[216:217], v[206:207], v[52:53], v[212:213]
	v_fma_f64 v[52:53], v[204:205], v[52:53], -v[54:55]
	s_waitcnt lgkmcnt(0)
	s_delay_alu instid0(VALU_DEP_2) | instskip(SKIP_1) | instid1(VALU_DEP_2)
	v_mul_f64 v[54:55], v[220:221], v[216:217]
	v_mul_f64 v[212:213], v[218:219], v[216:217]
	v_fma_f64 v[54:55], v[218:219], v[52:53], -v[54:55]
	s_delay_alu instid0(VALU_DEP_2)
	v_fma_f64 v[212:213], v[220:221], v[52:53], v[212:213]
	ds_load_2addr_b64 v[218:221], v214 offset0:94 offset1:95
	v_add_f64 v[48:49], v[48:49], -v[54:55]
	v_add_f64 v[50:51], v[50:51], -v[212:213]
	s_waitcnt lgkmcnt(0)
	v_mul_f64 v[54:55], v[220:221], v[216:217]
	v_mul_f64 v[212:213], v[218:219], v[216:217]
	s_delay_alu instid0(VALU_DEP_2) | instskip(NEXT) | instid1(VALU_DEP_2)
	v_fma_f64 v[54:55], v[218:219], v[52:53], -v[54:55]
	v_fma_f64 v[212:213], v[220:221], v[52:53], v[212:213]
	ds_load_2addr_b64 v[218:221], v214 offset0:96 offset1:97
	v_add_f64 v[44:45], v[44:45], -v[54:55]
	v_add_f64 v[46:47], v[46:47], -v[212:213]
	s_waitcnt lgkmcnt(0)
	v_mul_f64 v[54:55], v[220:221], v[216:217]
	v_mul_f64 v[212:213], v[218:219], v[216:217]
	s_delay_alu instid0(VALU_DEP_2) | instskip(NEXT) | instid1(VALU_DEP_2)
	v_fma_f64 v[54:55], v[218:219], v[52:53], -v[54:55]
	;; [unrolled: 9-line block ×12, first 2 shown]
	v_fma_f64 v[212:213], v[220:221], v[52:53], v[212:213]
	s_delay_alu instid0(VALU_DEP_2) | instskip(NEXT) | instid1(VALU_DEP_2)
	v_add_f64 v[0:1], v[0:1], -v[54:55]
	v_add_f64 v[2:3], v[2:3], -v[212:213]
	v_dual_mov_b32 v54, v216 :: v_dual_mov_b32 v55, v217
.LBB117_415:
	s_or_b32 exec_lo, exec_lo, s3
	s_delay_alu instid0(SALU_CYCLE_1)
	s_mov_b32 s4, exec_lo
	s_waitcnt_vscnt null, 0x0
	s_barrier
	buffer_gl0_inv
	v_cmpx_eq_u32_e32 46, v208
	s_cbranch_execz .LBB117_422
; %bb.416:
	ds_store_2addr_b64 v209, v[48:49], v[50:51] offset1:1
	ds_store_2addr_b64 v214, v[44:45], v[46:47] offset0:94 offset1:95
	ds_store_2addr_b64 v214, v[40:41], v[42:43] offset0:96 offset1:97
	;; [unrolled: 1-line block ×12, first 2 shown]
	ds_load_2addr_b64 v[216:219], v209 offset1:1
	s_waitcnt lgkmcnt(0)
	v_cmp_neq_f64_e32 vcc_lo, 0, v[216:217]
	v_cmp_neq_f64_e64 s3, 0, v[218:219]
	s_delay_alu instid0(VALU_DEP_1) | instskip(NEXT) | instid1(SALU_CYCLE_1)
	s_or_b32 s3, vcc_lo, s3
	s_and_b32 exec_lo, exec_lo, s3
	s_cbranch_execz .LBB117_422
; %bb.417:
	v_cmp_gt_f64_e32 vcc_lo, 0, v[216:217]
	v_xor_b32_e32 v212, 0x80000000, v217
	v_xor_b32_e32 v215, 0x80000000, v219
	s_delay_alu instid0(VALU_DEP_2) | instskip(SKIP_2) | instid1(VALU_DEP_4)
	v_cndmask_b32_e32 v213, v217, v212, vcc_lo
	v_cndmask_b32_e32 v212, v216, v216, vcc_lo
	v_cmp_gt_f64_e32 vcc_lo, 0, v[218:219]
	v_dual_cndmask_b32 v221, v219, v215 :: v_dual_cndmask_b32 v220, v218, v218
	s_delay_alu instid0(VALU_DEP_1) | instskip(SKIP_1) | instid1(SALU_CYCLE_1)
	v_cmp_ngt_f64_e32 vcc_lo, v[212:213], v[220:221]
                                        ; implicit-def: $vgpr212_vgpr213
	s_and_saveexec_b32 s3, vcc_lo
	s_xor_b32 s3, exec_lo, s3
                                        ; implicit-def: $vgpr220_vgpr221_vgpr222_vgpr223
	s_cbranch_execz .LBB117_419
; %bb.418:
	v_div_scale_f64 v[212:213], null, v[218:219], v[218:219], v[216:217]
	v_div_scale_f64 v[224:225], vcc_lo, v[216:217], v[218:219], v[216:217]
	s_delay_alu instid0(VALU_DEP_2) | instskip(SKIP_2) | instid1(VALU_DEP_1)
	v_rcp_f64_e32 v[220:221], v[212:213]
	s_waitcnt_depctr 0xfff
	v_fma_f64 v[222:223], -v[212:213], v[220:221], 1.0
	v_fma_f64 v[220:221], v[220:221], v[222:223], v[220:221]
	s_delay_alu instid0(VALU_DEP_1) | instskip(NEXT) | instid1(VALU_DEP_1)
	v_fma_f64 v[222:223], -v[212:213], v[220:221], 1.0
	v_fma_f64 v[220:221], v[220:221], v[222:223], v[220:221]
	s_delay_alu instid0(VALU_DEP_1) | instskip(NEXT) | instid1(VALU_DEP_1)
	v_mul_f64 v[222:223], v[224:225], v[220:221]
	v_fma_f64 v[212:213], -v[212:213], v[222:223], v[224:225]
	s_delay_alu instid0(VALU_DEP_1) | instskip(NEXT) | instid1(VALU_DEP_1)
	v_div_fmas_f64 v[212:213], v[212:213], v[220:221], v[222:223]
	v_div_fixup_f64 v[212:213], v[212:213], v[218:219], v[216:217]
	s_delay_alu instid0(VALU_DEP_1) | instskip(NEXT) | instid1(VALU_DEP_1)
	v_fma_f64 v[216:217], v[216:217], v[212:213], v[218:219]
	v_div_scale_f64 v[218:219], null, v[216:217], v[216:217], 1.0
	s_delay_alu instid0(VALU_DEP_1) | instskip(SKIP_2) | instid1(VALU_DEP_1)
	v_rcp_f64_e32 v[220:221], v[218:219]
	s_waitcnt_depctr 0xfff
	v_fma_f64 v[222:223], -v[218:219], v[220:221], 1.0
	v_fma_f64 v[220:221], v[220:221], v[222:223], v[220:221]
	s_delay_alu instid0(VALU_DEP_1) | instskip(NEXT) | instid1(VALU_DEP_1)
	v_fma_f64 v[222:223], -v[218:219], v[220:221], 1.0
	v_fma_f64 v[220:221], v[220:221], v[222:223], v[220:221]
	v_div_scale_f64 v[222:223], vcc_lo, 1.0, v[216:217], 1.0
	s_delay_alu instid0(VALU_DEP_1) | instskip(NEXT) | instid1(VALU_DEP_1)
	v_mul_f64 v[224:225], v[222:223], v[220:221]
	v_fma_f64 v[218:219], -v[218:219], v[224:225], v[222:223]
	s_delay_alu instid0(VALU_DEP_1) | instskip(NEXT) | instid1(VALU_DEP_1)
	v_div_fmas_f64 v[218:219], v[218:219], v[220:221], v[224:225]
	v_div_fixup_f64 v[222:223], v[218:219], v[216:217], 1.0
                                        ; implicit-def: $vgpr216_vgpr217
	s_delay_alu instid0(VALU_DEP_1)
	v_mul_f64 v[212:213], v[212:213], v[222:223]
	v_xor_b32_e32 v223, 0x80000000, v223
.LBB117_419:
	s_and_not1_saveexec_b32 s3, s3
	s_cbranch_execz .LBB117_421
; %bb.420:
	v_div_scale_f64 v[212:213], null, v[216:217], v[216:217], v[218:219]
	v_div_scale_f64 v[224:225], vcc_lo, v[218:219], v[216:217], v[218:219]
	s_delay_alu instid0(VALU_DEP_2) | instskip(SKIP_2) | instid1(VALU_DEP_1)
	v_rcp_f64_e32 v[220:221], v[212:213]
	s_waitcnt_depctr 0xfff
	v_fma_f64 v[222:223], -v[212:213], v[220:221], 1.0
	v_fma_f64 v[220:221], v[220:221], v[222:223], v[220:221]
	s_delay_alu instid0(VALU_DEP_1) | instskip(NEXT) | instid1(VALU_DEP_1)
	v_fma_f64 v[222:223], -v[212:213], v[220:221], 1.0
	v_fma_f64 v[220:221], v[220:221], v[222:223], v[220:221]
	s_delay_alu instid0(VALU_DEP_1) | instskip(NEXT) | instid1(VALU_DEP_1)
	v_mul_f64 v[222:223], v[224:225], v[220:221]
	v_fma_f64 v[212:213], -v[212:213], v[222:223], v[224:225]
	s_delay_alu instid0(VALU_DEP_1) | instskip(NEXT) | instid1(VALU_DEP_1)
	v_div_fmas_f64 v[212:213], v[212:213], v[220:221], v[222:223]
	v_div_fixup_f64 v[220:221], v[212:213], v[216:217], v[218:219]
	s_delay_alu instid0(VALU_DEP_1) | instskip(NEXT) | instid1(VALU_DEP_1)
	v_fma_f64 v[212:213], v[218:219], v[220:221], v[216:217]
	v_div_scale_f64 v[216:217], null, v[212:213], v[212:213], 1.0
	s_delay_alu instid0(VALU_DEP_1) | instskip(SKIP_2) | instid1(VALU_DEP_1)
	v_rcp_f64_e32 v[218:219], v[216:217]
	s_waitcnt_depctr 0xfff
	v_fma_f64 v[222:223], -v[216:217], v[218:219], 1.0
	v_fma_f64 v[218:219], v[218:219], v[222:223], v[218:219]
	s_delay_alu instid0(VALU_DEP_1) | instskip(NEXT) | instid1(VALU_DEP_1)
	v_fma_f64 v[222:223], -v[216:217], v[218:219], 1.0
	v_fma_f64 v[218:219], v[218:219], v[222:223], v[218:219]
	v_div_scale_f64 v[222:223], vcc_lo, 1.0, v[212:213], 1.0
	s_delay_alu instid0(VALU_DEP_1) | instskip(NEXT) | instid1(VALU_DEP_1)
	v_mul_f64 v[224:225], v[222:223], v[218:219]
	v_fma_f64 v[216:217], -v[216:217], v[224:225], v[222:223]
	s_delay_alu instid0(VALU_DEP_1) | instskip(NEXT) | instid1(VALU_DEP_1)
	v_div_fmas_f64 v[216:217], v[216:217], v[218:219], v[224:225]
	v_div_fixup_f64 v[212:213], v[216:217], v[212:213], 1.0
	s_delay_alu instid0(VALU_DEP_1)
	v_mul_f64 v[222:223], v[220:221], -v[212:213]
.LBB117_421:
	s_or_b32 exec_lo, exec_lo, s3
	ds_store_2addr_b64 v209, v[212:213], v[222:223] offset1:1
.LBB117_422:
	s_or_b32 exec_lo, exec_lo, s4
	s_waitcnt lgkmcnt(0)
	s_barrier
	buffer_gl0_inv
	ds_load_2addr_b64 v[204:207], v209 offset1:1
	s_mov_b32 s3, exec_lo
	s_waitcnt lgkmcnt(0)
	scratch_store_b128 off, v[204:207], off offset:1324 ; 16-byte Folded Spill
	v_cmpx_lt_u32_e32 46, v208
	s_cbranch_execz .LBB117_424
; %bb.423:
	scratch_load_b128 v[204:207], off, off offset:1324 ; 16-byte Folded Reload
	ds_load_2addr_b64 v[218:221], v214 offset0:94 offset1:95
	s_waitcnt vmcnt(0)
	v_mul_f64 v[212:213], v[204:205], v[50:51]
	v_mul_f64 v[50:51], v[206:207], v[50:51]
	s_delay_alu instid0(VALU_DEP_2) | instskip(NEXT) | instid1(VALU_DEP_2)
	v_fma_f64 v[216:217], v[206:207], v[48:49], v[212:213]
	v_fma_f64 v[48:49], v[204:205], v[48:49], -v[50:51]
	s_waitcnt lgkmcnt(0)
	s_delay_alu instid0(VALU_DEP_2) | instskip(SKIP_1) | instid1(VALU_DEP_2)
	v_mul_f64 v[50:51], v[220:221], v[216:217]
	v_mul_f64 v[212:213], v[218:219], v[216:217]
	v_fma_f64 v[50:51], v[218:219], v[48:49], -v[50:51]
	s_delay_alu instid0(VALU_DEP_2)
	v_fma_f64 v[212:213], v[220:221], v[48:49], v[212:213]
	ds_load_2addr_b64 v[218:221], v214 offset0:96 offset1:97
	v_add_f64 v[44:45], v[44:45], -v[50:51]
	v_add_f64 v[46:47], v[46:47], -v[212:213]
	s_waitcnt lgkmcnt(0)
	v_mul_f64 v[50:51], v[220:221], v[216:217]
	v_mul_f64 v[212:213], v[218:219], v[216:217]
	s_delay_alu instid0(VALU_DEP_2) | instskip(NEXT) | instid1(VALU_DEP_2)
	v_fma_f64 v[50:51], v[218:219], v[48:49], -v[50:51]
	v_fma_f64 v[212:213], v[220:221], v[48:49], v[212:213]
	ds_load_2addr_b64 v[218:221], v214 offset0:98 offset1:99
	v_add_f64 v[40:41], v[40:41], -v[50:51]
	v_add_f64 v[42:43], v[42:43], -v[212:213]
	s_waitcnt lgkmcnt(0)
	v_mul_f64 v[50:51], v[220:221], v[216:217]
	v_mul_f64 v[212:213], v[218:219], v[216:217]
	s_delay_alu instid0(VALU_DEP_2) | instskip(NEXT) | instid1(VALU_DEP_2)
	v_fma_f64 v[50:51], v[218:219], v[48:49], -v[50:51]
	;; [unrolled: 9-line block ×11, first 2 shown]
	v_fma_f64 v[212:213], v[220:221], v[48:49], v[212:213]
	s_delay_alu instid0(VALU_DEP_2) | instskip(NEXT) | instid1(VALU_DEP_2)
	v_add_f64 v[0:1], v[0:1], -v[50:51]
	v_add_f64 v[2:3], v[2:3], -v[212:213]
	v_dual_mov_b32 v50, v216 :: v_dual_mov_b32 v51, v217
.LBB117_424:
	s_or_b32 exec_lo, exec_lo, s3
	s_delay_alu instid0(SALU_CYCLE_1)
	s_mov_b32 s4, exec_lo
	s_waitcnt_vscnt null, 0x0
	s_barrier
	buffer_gl0_inv
	v_cmpx_eq_u32_e32 47, v208
	s_cbranch_execz .LBB117_431
; %bb.425:
	ds_store_2addr_b64 v209, v[44:45], v[46:47] offset1:1
	ds_store_2addr_b64 v214, v[40:41], v[42:43] offset0:96 offset1:97
	ds_store_2addr_b64 v214, v[36:37], v[38:39] offset0:98 offset1:99
	ds_store_2addr_b64 v214, v[32:33], v[34:35] offset0:100 offset1:101
	ds_store_2addr_b64 v214, v[28:29], v[30:31] offset0:102 offset1:103
	ds_store_2addr_b64 v214, v[24:25], v[26:27] offset0:104 offset1:105
	ds_store_2addr_b64 v214, v[20:21], v[22:23] offset0:106 offset1:107
	ds_store_2addr_b64 v214, v[16:17], v[18:19] offset0:108 offset1:109
	ds_store_2addr_b64 v214, v[12:13], v[14:15] offset0:110 offset1:111
	ds_store_2addr_b64 v214, v[8:9], v[10:11] offset0:112 offset1:113
	ds_store_2addr_b64 v214, v[4:5], v[6:7] offset0:114 offset1:115
	ds_store_2addr_b64 v214, v[0:1], v[2:3] offset0:116 offset1:117
	ds_load_2addr_b64 v[216:219], v209 offset1:1
	s_waitcnt lgkmcnt(0)
	v_cmp_neq_f64_e32 vcc_lo, 0, v[216:217]
	v_cmp_neq_f64_e64 s3, 0, v[218:219]
	s_delay_alu instid0(VALU_DEP_1) | instskip(NEXT) | instid1(SALU_CYCLE_1)
	s_or_b32 s3, vcc_lo, s3
	s_and_b32 exec_lo, exec_lo, s3
	s_cbranch_execz .LBB117_431
; %bb.426:
	v_cmp_gt_f64_e32 vcc_lo, 0, v[216:217]
	v_xor_b32_e32 v212, 0x80000000, v217
	v_xor_b32_e32 v215, 0x80000000, v219
	s_delay_alu instid0(VALU_DEP_2) | instskip(SKIP_2) | instid1(VALU_DEP_4)
	v_cndmask_b32_e32 v213, v217, v212, vcc_lo
	v_cndmask_b32_e32 v212, v216, v216, vcc_lo
	v_cmp_gt_f64_e32 vcc_lo, 0, v[218:219]
	v_dual_cndmask_b32 v221, v219, v215 :: v_dual_cndmask_b32 v220, v218, v218
	s_delay_alu instid0(VALU_DEP_1) | instskip(SKIP_1) | instid1(SALU_CYCLE_1)
	v_cmp_ngt_f64_e32 vcc_lo, v[212:213], v[220:221]
                                        ; implicit-def: $vgpr212_vgpr213
	s_and_saveexec_b32 s3, vcc_lo
	s_xor_b32 s3, exec_lo, s3
                                        ; implicit-def: $vgpr220_vgpr221_vgpr222_vgpr223
	s_cbranch_execz .LBB117_428
; %bb.427:
	v_div_scale_f64 v[212:213], null, v[218:219], v[218:219], v[216:217]
	v_div_scale_f64 v[224:225], vcc_lo, v[216:217], v[218:219], v[216:217]
	s_delay_alu instid0(VALU_DEP_2) | instskip(SKIP_2) | instid1(VALU_DEP_1)
	v_rcp_f64_e32 v[220:221], v[212:213]
	s_waitcnt_depctr 0xfff
	v_fma_f64 v[222:223], -v[212:213], v[220:221], 1.0
	v_fma_f64 v[220:221], v[220:221], v[222:223], v[220:221]
	s_delay_alu instid0(VALU_DEP_1) | instskip(NEXT) | instid1(VALU_DEP_1)
	v_fma_f64 v[222:223], -v[212:213], v[220:221], 1.0
	v_fma_f64 v[220:221], v[220:221], v[222:223], v[220:221]
	s_delay_alu instid0(VALU_DEP_1) | instskip(NEXT) | instid1(VALU_DEP_1)
	v_mul_f64 v[222:223], v[224:225], v[220:221]
	v_fma_f64 v[212:213], -v[212:213], v[222:223], v[224:225]
	s_delay_alu instid0(VALU_DEP_1) | instskip(NEXT) | instid1(VALU_DEP_1)
	v_div_fmas_f64 v[212:213], v[212:213], v[220:221], v[222:223]
	v_div_fixup_f64 v[212:213], v[212:213], v[218:219], v[216:217]
	s_delay_alu instid0(VALU_DEP_1) | instskip(NEXT) | instid1(VALU_DEP_1)
	v_fma_f64 v[216:217], v[216:217], v[212:213], v[218:219]
	v_div_scale_f64 v[218:219], null, v[216:217], v[216:217], 1.0
	s_delay_alu instid0(VALU_DEP_1) | instskip(SKIP_2) | instid1(VALU_DEP_1)
	v_rcp_f64_e32 v[220:221], v[218:219]
	s_waitcnt_depctr 0xfff
	v_fma_f64 v[222:223], -v[218:219], v[220:221], 1.0
	v_fma_f64 v[220:221], v[220:221], v[222:223], v[220:221]
	s_delay_alu instid0(VALU_DEP_1) | instskip(NEXT) | instid1(VALU_DEP_1)
	v_fma_f64 v[222:223], -v[218:219], v[220:221], 1.0
	v_fma_f64 v[220:221], v[220:221], v[222:223], v[220:221]
	v_div_scale_f64 v[222:223], vcc_lo, 1.0, v[216:217], 1.0
	s_delay_alu instid0(VALU_DEP_1) | instskip(NEXT) | instid1(VALU_DEP_1)
	v_mul_f64 v[224:225], v[222:223], v[220:221]
	v_fma_f64 v[218:219], -v[218:219], v[224:225], v[222:223]
	s_delay_alu instid0(VALU_DEP_1) | instskip(NEXT) | instid1(VALU_DEP_1)
	v_div_fmas_f64 v[218:219], v[218:219], v[220:221], v[224:225]
	v_div_fixup_f64 v[222:223], v[218:219], v[216:217], 1.0
                                        ; implicit-def: $vgpr216_vgpr217
	s_delay_alu instid0(VALU_DEP_1)
	v_mul_f64 v[212:213], v[212:213], v[222:223]
	v_xor_b32_e32 v223, 0x80000000, v223
.LBB117_428:
	s_and_not1_saveexec_b32 s3, s3
	s_cbranch_execz .LBB117_430
; %bb.429:
	v_div_scale_f64 v[212:213], null, v[216:217], v[216:217], v[218:219]
	v_div_scale_f64 v[224:225], vcc_lo, v[218:219], v[216:217], v[218:219]
	s_delay_alu instid0(VALU_DEP_2) | instskip(SKIP_2) | instid1(VALU_DEP_1)
	v_rcp_f64_e32 v[220:221], v[212:213]
	s_waitcnt_depctr 0xfff
	v_fma_f64 v[222:223], -v[212:213], v[220:221], 1.0
	v_fma_f64 v[220:221], v[220:221], v[222:223], v[220:221]
	s_delay_alu instid0(VALU_DEP_1) | instskip(NEXT) | instid1(VALU_DEP_1)
	v_fma_f64 v[222:223], -v[212:213], v[220:221], 1.0
	v_fma_f64 v[220:221], v[220:221], v[222:223], v[220:221]
	s_delay_alu instid0(VALU_DEP_1) | instskip(NEXT) | instid1(VALU_DEP_1)
	v_mul_f64 v[222:223], v[224:225], v[220:221]
	v_fma_f64 v[212:213], -v[212:213], v[222:223], v[224:225]
	s_delay_alu instid0(VALU_DEP_1) | instskip(NEXT) | instid1(VALU_DEP_1)
	v_div_fmas_f64 v[212:213], v[212:213], v[220:221], v[222:223]
	v_div_fixup_f64 v[220:221], v[212:213], v[216:217], v[218:219]
	s_delay_alu instid0(VALU_DEP_1) | instskip(NEXT) | instid1(VALU_DEP_1)
	v_fma_f64 v[212:213], v[218:219], v[220:221], v[216:217]
	v_div_scale_f64 v[216:217], null, v[212:213], v[212:213], 1.0
	s_delay_alu instid0(VALU_DEP_1) | instskip(SKIP_2) | instid1(VALU_DEP_1)
	v_rcp_f64_e32 v[218:219], v[216:217]
	s_waitcnt_depctr 0xfff
	v_fma_f64 v[222:223], -v[216:217], v[218:219], 1.0
	v_fma_f64 v[218:219], v[218:219], v[222:223], v[218:219]
	s_delay_alu instid0(VALU_DEP_1) | instskip(NEXT) | instid1(VALU_DEP_1)
	v_fma_f64 v[222:223], -v[216:217], v[218:219], 1.0
	v_fma_f64 v[218:219], v[218:219], v[222:223], v[218:219]
	v_div_scale_f64 v[222:223], vcc_lo, 1.0, v[212:213], 1.0
	s_delay_alu instid0(VALU_DEP_1) | instskip(NEXT) | instid1(VALU_DEP_1)
	v_mul_f64 v[224:225], v[222:223], v[218:219]
	v_fma_f64 v[216:217], -v[216:217], v[224:225], v[222:223]
	s_delay_alu instid0(VALU_DEP_1) | instskip(NEXT) | instid1(VALU_DEP_1)
	v_div_fmas_f64 v[216:217], v[216:217], v[218:219], v[224:225]
	v_div_fixup_f64 v[212:213], v[216:217], v[212:213], 1.0
	s_delay_alu instid0(VALU_DEP_1)
	v_mul_f64 v[222:223], v[220:221], -v[212:213]
.LBB117_430:
	s_or_b32 exec_lo, exec_lo, s3
	ds_store_2addr_b64 v209, v[212:213], v[222:223] offset1:1
.LBB117_431:
	s_or_b32 exec_lo, exec_lo, s4
	s_waitcnt lgkmcnt(0)
	s_barrier
	buffer_gl0_inv
	ds_load_2addr_b64 v[204:207], v209 offset1:1
	s_mov_b32 s3, exec_lo
	s_waitcnt lgkmcnt(0)
	scratch_store_b128 off, v[204:207], off offset:1340 ; 16-byte Folded Spill
	v_cmpx_lt_u32_e32 47, v208
	s_cbranch_execz .LBB117_433
; %bb.432:
	scratch_load_b128 v[204:207], off, off offset:1340 ; 16-byte Folded Reload
	ds_load_2addr_b64 v[218:221], v214 offset0:96 offset1:97
	s_waitcnt vmcnt(0)
	v_mul_f64 v[212:213], v[204:205], v[46:47]
	v_mul_f64 v[46:47], v[206:207], v[46:47]
	s_delay_alu instid0(VALU_DEP_2) | instskip(NEXT) | instid1(VALU_DEP_2)
	v_fma_f64 v[216:217], v[206:207], v[44:45], v[212:213]
	v_fma_f64 v[44:45], v[204:205], v[44:45], -v[46:47]
	s_waitcnt lgkmcnt(0)
	s_delay_alu instid0(VALU_DEP_2) | instskip(SKIP_1) | instid1(VALU_DEP_2)
	v_mul_f64 v[46:47], v[220:221], v[216:217]
	v_mul_f64 v[212:213], v[218:219], v[216:217]
	v_fma_f64 v[46:47], v[218:219], v[44:45], -v[46:47]
	s_delay_alu instid0(VALU_DEP_2)
	v_fma_f64 v[212:213], v[220:221], v[44:45], v[212:213]
	ds_load_2addr_b64 v[218:221], v214 offset0:98 offset1:99
	v_add_f64 v[40:41], v[40:41], -v[46:47]
	v_add_f64 v[42:43], v[42:43], -v[212:213]
	s_waitcnt lgkmcnt(0)
	v_mul_f64 v[46:47], v[220:221], v[216:217]
	v_mul_f64 v[212:213], v[218:219], v[216:217]
	s_delay_alu instid0(VALU_DEP_2) | instskip(NEXT) | instid1(VALU_DEP_2)
	v_fma_f64 v[46:47], v[218:219], v[44:45], -v[46:47]
	v_fma_f64 v[212:213], v[220:221], v[44:45], v[212:213]
	ds_load_2addr_b64 v[218:221], v214 offset0:100 offset1:101
	v_add_f64 v[36:37], v[36:37], -v[46:47]
	v_add_f64 v[38:39], v[38:39], -v[212:213]
	s_waitcnt lgkmcnt(0)
	v_mul_f64 v[46:47], v[220:221], v[216:217]
	v_mul_f64 v[212:213], v[218:219], v[216:217]
	s_delay_alu instid0(VALU_DEP_2) | instskip(NEXT) | instid1(VALU_DEP_2)
	v_fma_f64 v[46:47], v[218:219], v[44:45], -v[46:47]
	;; [unrolled: 9-line block ×10, first 2 shown]
	v_fma_f64 v[212:213], v[220:221], v[44:45], v[212:213]
	s_delay_alu instid0(VALU_DEP_2) | instskip(NEXT) | instid1(VALU_DEP_2)
	v_add_f64 v[0:1], v[0:1], -v[46:47]
	v_add_f64 v[2:3], v[2:3], -v[212:213]
	v_dual_mov_b32 v46, v216 :: v_dual_mov_b32 v47, v217
.LBB117_433:
	s_or_b32 exec_lo, exec_lo, s3
	s_delay_alu instid0(SALU_CYCLE_1)
	s_mov_b32 s4, exec_lo
	s_waitcnt_vscnt null, 0x0
	s_barrier
	buffer_gl0_inv
	v_cmpx_eq_u32_e32 48, v208
	s_cbranch_execz .LBB117_440
; %bb.434:
	ds_store_2addr_b64 v209, v[40:41], v[42:43] offset1:1
	ds_store_2addr_b64 v214, v[36:37], v[38:39] offset0:98 offset1:99
	ds_store_2addr_b64 v214, v[32:33], v[34:35] offset0:100 offset1:101
	;; [unrolled: 1-line block ×10, first 2 shown]
	ds_load_2addr_b64 v[216:219], v209 offset1:1
	s_waitcnt lgkmcnt(0)
	v_cmp_neq_f64_e32 vcc_lo, 0, v[216:217]
	v_cmp_neq_f64_e64 s3, 0, v[218:219]
	s_delay_alu instid0(VALU_DEP_1) | instskip(NEXT) | instid1(SALU_CYCLE_1)
	s_or_b32 s3, vcc_lo, s3
	s_and_b32 exec_lo, exec_lo, s3
	s_cbranch_execz .LBB117_440
; %bb.435:
	v_cmp_gt_f64_e32 vcc_lo, 0, v[216:217]
	v_xor_b32_e32 v212, 0x80000000, v217
	v_xor_b32_e32 v215, 0x80000000, v219
	s_delay_alu instid0(VALU_DEP_2) | instskip(SKIP_2) | instid1(VALU_DEP_4)
	v_cndmask_b32_e32 v213, v217, v212, vcc_lo
	v_cndmask_b32_e32 v212, v216, v216, vcc_lo
	v_cmp_gt_f64_e32 vcc_lo, 0, v[218:219]
	v_dual_cndmask_b32 v221, v219, v215 :: v_dual_cndmask_b32 v220, v218, v218
	s_delay_alu instid0(VALU_DEP_1) | instskip(SKIP_1) | instid1(SALU_CYCLE_1)
	v_cmp_ngt_f64_e32 vcc_lo, v[212:213], v[220:221]
                                        ; implicit-def: $vgpr212_vgpr213
	s_and_saveexec_b32 s3, vcc_lo
	s_xor_b32 s3, exec_lo, s3
                                        ; implicit-def: $vgpr220_vgpr221_vgpr222_vgpr223
	s_cbranch_execz .LBB117_437
; %bb.436:
	v_div_scale_f64 v[212:213], null, v[218:219], v[218:219], v[216:217]
	v_div_scale_f64 v[224:225], vcc_lo, v[216:217], v[218:219], v[216:217]
	s_delay_alu instid0(VALU_DEP_2) | instskip(SKIP_2) | instid1(VALU_DEP_1)
	v_rcp_f64_e32 v[220:221], v[212:213]
	s_waitcnt_depctr 0xfff
	v_fma_f64 v[222:223], -v[212:213], v[220:221], 1.0
	v_fma_f64 v[220:221], v[220:221], v[222:223], v[220:221]
	s_delay_alu instid0(VALU_DEP_1) | instskip(NEXT) | instid1(VALU_DEP_1)
	v_fma_f64 v[222:223], -v[212:213], v[220:221], 1.0
	v_fma_f64 v[220:221], v[220:221], v[222:223], v[220:221]
	s_delay_alu instid0(VALU_DEP_1) | instskip(NEXT) | instid1(VALU_DEP_1)
	v_mul_f64 v[222:223], v[224:225], v[220:221]
	v_fma_f64 v[212:213], -v[212:213], v[222:223], v[224:225]
	s_delay_alu instid0(VALU_DEP_1) | instskip(NEXT) | instid1(VALU_DEP_1)
	v_div_fmas_f64 v[212:213], v[212:213], v[220:221], v[222:223]
	v_div_fixup_f64 v[212:213], v[212:213], v[218:219], v[216:217]
	s_delay_alu instid0(VALU_DEP_1) | instskip(NEXT) | instid1(VALU_DEP_1)
	v_fma_f64 v[216:217], v[216:217], v[212:213], v[218:219]
	v_div_scale_f64 v[218:219], null, v[216:217], v[216:217], 1.0
	s_delay_alu instid0(VALU_DEP_1) | instskip(SKIP_2) | instid1(VALU_DEP_1)
	v_rcp_f64_e32 v[220:221], v[218:219]
	s_waitcnt_depctr 0xfff
	v_fma_f64 v[222:223], -v[218:219], v[220:221], 1.0
	v_fma_f64 v[220:221], v[220:221], v[222:223], v[220:221]
	s_delay_alu instid0(VALU_DEP_1) | instskip(NEXT) | instid1(VALU_DEP_1)
	v_fma_f64 v[222:223], -v[218:219], v[220:221], 1.0
	v_fma_f64 v[220:221], v[220:221], v[222:223], v[220:221]
	v_div_scale_f64 v[222:223], vcc_lo, 1.0, v[216:217], 1.0
	s_delay_alu instid0(VALU_DEP_1) | instskip(NEXT) | instid1(VALU_DEP_1)
	v_mul_f64 v[224:225], v[222:223], v[220:221]
	v_fma_f64 v[218:219], -v[218:219], v[224:225], v[222:223]
	s_delay_alu instid0(VALU_DEP_1) | instskip(NEXT) | instid1(VALU_DEP_1)
	v_div_fmas_f64 v[218:219], v[218:219], v[220:221], v[224:225]
	v_div_fixup_f64 v[222:223], v[218:219], v[216:217], 1.0
                                        ; implicit-def: $vgpr216_vgpr217
	s_delay_alu instid0(VALU_DEP_1)
	v_mul_f64 v[212:213], v[212:213], v[222:223]
	v_xor_b32_e32 v223, 0x80000000, v223
.LBB117_437:
	s_and_not1_saveexec_b32 s3, s3
	s_cbranch_execz .LBB117_439
; %bb.438:
	v_div_scale_f64 v[212:213], null, v[216:217], v[216:217], v[218:219]
	v_div_scale_f64 v[224:225], vcc_lo, v[218:219], v[216:217], v[218:219]
	s_delay_alu instid0(VALU_DEP_2) | instskip(SKIP_2) | instid1(VALU_DEP_1)
	v_rcp_f64_e32 v[220:221], v[212:213]
	s_waitcnt_depctr 0xfff
	v_fma_f64 v[222:223], -v[212:213], v[220:221], 1.0
	v_fma_f64 v[220:221], v[220:221], v[222:223], v[220:221]
	s_delay_alu instid0(VALU_DEP_1) | instskip(NEXT) | instid1(VALU_DEP_1)
	v_fma_f64 v[222:223], -v[212:213], v[220:221], 1.0
	v_fma_f64 v[220:221], v[220:221], v[222:223], v[220:221]
	s_delay_alu instid0(VALU_DEP_1) | instskip(NEXT) | instid1(VALU_DEP_1)
	v_mul_f64 v[222:223], v[224:225], v[220:221]
	v_fma_f64 v[212:213], -v[212:213], v[222:223], v[224:225]
	s_delay_alu instid0(VALU_DEP_1) | instskip(NEXT) | instid1(VALU_DEP_1)
	v_div_fmas_f64 v[212:213], v[212:213], v[220:221], v[222:223]
	v_div_fixup_f64 v[220:221], v[212:213], v[216:217], v[218:219]
	s_delay_alu instid0(VALU_DEP_1) | instskip(NEXT) | instid1(VALU_DEP_1)
	v_fma_f64 v[212:213], v[218:219], v[220:221], v[216:217]
	v_div_scale_f64 v[216:217], null, v[212:213], v[212:213], 1.0
	s_delay_alu instid0(VALU_DEP_1) | instskip(SKIP_2) | instid1(VALU_DEP_1)
	v_rcp_f64_e32 v[218:219], v[216:217]
	s_waitcnt_depctr 0xfff
	v_fma_f64 v[222:223], -v[216:217], v[218:219], 1.0
	v_fma_f64 v[218:219], v[218:219], v[222:223], v[218:219]
	s_delay_alu instid0(VALU_DEP_1) | instskip(NEXT) | instid1(VALU_DEP_1)
	v_fma_f64 v[222:223], -v[216:217], v[218:219], 1.0
	v_fma_f64 v[218:219], v[218:219], v[222:223], v[218:219]
	v_div_scale_f64 v[222:223], vcc_lo, 1.0, v[212:213], 1.0
	s_delay_alu instid0(VALU_DEP_1) | instskip(NEXT) | instid1(VALU_DEP_1)
	v_mul_f64 v[224:225], v[222:223], v[218:219]
	v_fma_f64 v[216:217], -v[216:217], v[224:225], v[222:223]
	s_delay_alu instid0(VALU_DEP_1) | instskip(NEXT) | instid1(VALU_DEP_1)
	v_div_fmas_f64 v[216:217], v[216:217], v[218:219], v[224:225]
	v_div_fixup_f64 v[212:213], v[216:217], v[212:213], 1.0
	s_delay_alu instid0(VALU_DEP_1)
	v_mul_f64 v[222:223], v[220:221], -v[212:213]
.LBB117_439:
	s_or_b32 exec_lo, exec_lo, s3
	ds_store_2addr_b64 v209, v[212:213], v[222:223] offset1:1
.LBB117_440:
	s_or_b32 exec_lo, exec_lo, s4
	s_waitcnt lgkmcnt(0)
	s_barrier
	buffer_gl0_inv
	ds_load_2addr_b64 v[204:207], v209 offset1:1
	s_mov_b32 s3, exec_lo
	s_waitcnt lgkmcnt(0)
	scratch_store_b128 off, v[204:207], off offset:1356 ; 16-byte Folded Spill
	v_cmpx_lt_u32_e32 48, v208
	s_cbranch_execz .LBB117_442
; %bb.441:
	scratch_load_b128 v[204:207], off, off offset:1356 ; 16-byte Folded Reload
	ds_load_2addr_b64 v[216:219], v214 offset0:98 offset1:99
	s_waitcnt vmcnt(0)
	v_mul_f64 v[212:213], v[204:205], v[42:43]
	v_mul_f64 v[42:43], v[206:207], v[42:43]
	s_delay_alu instid0(VALU_DEP_2) | instskip(NEXT) | instid1(VALU_DEP_2)
	v_fma_f64 v[212:213], v[206:207], v[40:41], v[212:213]
	v_fma_f64 v[40:41], v[204:205], v[40:41], -v[42:43]
	s_waitcnt lgkmcnt(0)
	s_delay_alu instid0(VALU_DEP_2) | instskip(NEXT) | instid1(VALU_DEP_1)
	v_mul_f64 v[42:43], v[218:219], v[212:213]
	v_fma_f64 v[42:43], v[216:217], v[40:41], -v[42:43]
	v_mul_f64 v[216:217], v[216:217], v[212:213]
	s_delay_alu instid0(VALU_DEP_2) | instskip(NEXT) | instid1(VALU_DEP_2)
	v_add_f64 v[36:37], v[36:37], -v[42:43]
	v_fma_f64 v[216:217], v[218:219], v[40:41], v[216:217]
	s_delay_alu instid0(VALU_DEP_1) | instskip(SKIP_3) | instid1(VALU_DEP_1)
	v_add_f64 v[38:39], v[38:39], -v[216:217]
	ds_load_2addr_b64 v[216:219], v214 offset0:100 offset1:101
	s_waitcnt lgkmcnt(0)
	v_mul_f64 v[42:43], v[218:219], v[212:213]
	v_fma_f64 v[42:43], v[216:217], v[40:41], -v[42:43]
	v_mul_f64 v[216:217], v[216:217], v[212:213]
	s_delay_alu instid0(VALU_DEP_2) | instskip(NEXT) | instid1(VALU_DEP_2)
	v_add_f64 v[32:33], v[32:33], -v[42:43]
	v_fma_f64 v[216:217], v[218:219], v[40:41], v[216:217]
	s_delay_alu instid0(VALU_DEP_1) | instskip(SKIP_3) | instid1(VALU_DEP_1)
	v_add_f64 v[34:35], v[34:35], -v[216:217]
	ds_load_2addr_b64 v[216:219], v214 offset0:102 offset1:103
	s_waitcnt lgkmcnt(0)
	;; [unrolled: 10-line block ×9, first 2 shown]
	v_mul_f64 v[42:43], v[218:219], v[212:213]
	v_fma_f64 v[42:43], v[216:217], v[40:41], -v[42:43]
	v_mul_f64 v[216:217], v[216:217], v[212:213]
	s_delay_alu instid0(VALU_DEP_2) | instskip(NEXT) | instid1(VALU_DEP_2)
	v_add_f64 v[0:1], v[0:1], -v[42:43]
	v_fma_f64 v[216:217], v[218:219], v[40:41], v[216:217]
	v_dual_mov_b32 v42, v212 :: v_dual_mov_b32 v43, v213
	s_delay_alu instid0(VALU_DEP_2)
	v_add_f64 v[2:3], v[2:3], -v[216:217]
.LBB117_442:
	s_or_b32 exec_lo, exec_lo, s3
	s_delay_alu instid0(SALU_CYCLE_1)
	s_mov_b32 s4, exec_lo
	s_waitcnt_vscnt null, 0x0
	s_barrier
	buffer_gl0_inv
	v_cmpx_eq_u32_e32 49, v208
	s_cbranch_execz .LBB117_449
; %bb.443:
	ds_store_2addr_b64 v209, v[36:37], v[38:39] offset1:1
	ds_store_2addr_b64 v214, v[32:33], v[34:35] offset0:100 offset1:101
	ds_store_2addr_b64 v214, v[28:29], v[30:31] offset0:102 offset1:103
	;; [unrolled: 1-line block ×9, first 2 shown]
	ds_load_2addr_b64 v[216:219], v209 offset1:1
	s_waitcnt lgkmcnt(0)
	v_cmp_neq_f64_e32 vcc_lo, 0, v[216:217]
	v_cmp_neq_f64_e64 s3, 0, v[218:219]
	s_delay_alu instid0(VALU_DEP_1) | instskip(NEXT) | instid1(SALU_CYCLE_1)
	s_or_b32 s3, vcc_lo, s3
	s_and_b32 exec_lo, exec_lo, s3
	s_cbranch_execz .LBB117_449
; %bb.444:
	v_cmp_gt_f64_e32 vcc_lo, 0, v[216:217]
	v_xor_b32_e32 v212, 0x80000000, v217
	v_xor_b32_e32 v215, 0x80000000, v219
	s_delay_alu instid0(VALU_DEP_2) | instskip(SKIP_2) | instid1(VALU_DEP_4)
	v_cndmask_b32_e32 v213, v217, v212, vcc_lo
	v_cndmask_b32_e32 v212, v216, v216, vcc_lo
	v_cmp_gt_f64_e32 vcc_lo, 0, v[218:219]
	v_dual_cndmask_b32 v221, v219, v215 :: v_dual_cndmask_b32 v220, v218, v218
	s_delay_alu instid0(VALU_DEP_1) | instskip(SKIP_1) | instid1(SALU_CYCLE_1)
	v_cmp_ngt_f64_e32 vcc_lo, v[212:213], v[220:221]
                                        ; implicit-def: $vgpr212_vgpr213
	s_and_saveexec_b32 s3, vcc_lo
	s_xor_b32 s3, exec_lo, s3
                                        ; implicit-def: $vgpr220_vgpr221_vgpr222_vgpr223
	s_cbranch_execz .LBB117_446
; %bb.445:
	v_div_scale_f64 v[212:213], null, v[218:219], v[218:219], v[216:217]
	v_div_scale_f64 v[224:225], vcc_lo, v[216:217], v[218:219], v[216:217]
	s_delay_alu instid0(VALU_DEP_2) | instskip(SKIP_2) | instid1(VALU_DEP_1)
	v_rcp_f64_e32 v[220:221], v[212:213]
	s_waitcnt_depctr 0xfff
	v_fma_f64 v[222:223], -v[212:213], v[220:221], 1.0
	v_fma_f64 v[220:221], v[220:221], v[222:223], v[220:221]
	s_delay_alu instid0(VALU_DEP_1) | instskip(NEXT) | instid1(VALU_DEP_1)
	v_fma_f64 v[222:223], -v[212:213], v[220:221], 1.0
	v_fma_f64 v[220:221], v[220:221], v[222:223], v[220:221]
	s_delay_alu instid0(VALU_DEP_1) | instskip(NEXT) | instid1(VALU_DEP_1)
	v_mul_f64 v[222:223], v[224:225], v[220:221]
	v_fma_f64 v[212:213], -v[212:213], v[222:223], v[224:225]
	s_delay_alu instid0(VALU_DEP_1) | instskip(NEXT) | instid1(VALU_DEP_1)
	v_div_fmas_f64 v[212:213], v[212:213], v[220:221], v[222:223]
	v_div_fixup_f64 v[212:213], v[212:213], v[218:219], v[216:217]
	s_delay_alu instid0(VALU_DEP_1) | instskip(NEXT) | instid1(VALU_DEP_1)
	v_fma_f64 v[216:217], v[216:217], v[212:213], v[218:219]
	v_div_scale_f64 v[218:219], null, v[216:217], v[216:217], 1.0
	s_delay_alu instid0(VALU_DEP_1) | instskip(SKIP_2) | instid1(VALU_DEP_1)
	v_rcp_f64_e32 v[220:221], v[218:219]
	s_waitcnt_depctr 0xfff
	v_fma_f64 v[222:223], -v[218:219], v[220:221], 1.0
	v_fma_f64 v[220:221], v[220:221], v[222:223], v[220:221]
	s_delay_alu instid0(VALU_DEP_1) | instskip(NEXT) | instid1(VALU_DEP_1)
	v_fma_f64 v[222:223], -v[218:219], v[220:221], 1.0
	v_fma_f64 v[220:221], v[220:221], v[222:223], v[220:221]
	v_div_scale_f64 v[222:223], vcc_lo, 1.0, v[216:217], 1.0
	s_delay_alu instid0(VALU_DEP_1) | instskip(NEXT) | instid1(VALU_DEP_1)
	v_mul_f64 v[224:225], v[222:223], v[220:221]
	v_fma_f64 v[218:219], -v[218:219], v[224:225], v[222:223]
	s_delay_alu instid0(VALU_DEP_1) | instskip(NEXT) | instid1(VALU_DEP_1)
	v_div_fmas_f64 v[218:219], v[218:219], v[220:221], v[224:225]
	v_div_fixup_f64 v[222:223], v[218:219], v[216:217], 1.0
                                        ; implicit-def: $vgpr216_vgpr217
	s_delay_alu instid0(VALU_DEP_1)
	v_mul_f64 v[212:213], v[212:213], v[222:223]
	v_xor_b32_e32 v223, 0x80000000, v223
.LBB117_446:
	s_and_not1_saveexec_b32 s3, s3
	s_cbranch_execz .LBB117_448
; %bb.447:
	v_div_scale_f64 v[212:213], null, v[216:217], v[216:217], v[218:219]
	v_div_scale_f64 v[224:225], vcc_lo, v[218:219], v[216:217], v[218:219]
	s_delay_alu instid0(VALU_DEP_2) | instskip(SKIP_2) | instid1(VALU_DEP_1)
	v_rcp_f64_e32 v[220:221], v[212:213]
	s_waitcnt_depctr 0xfff
	v_fma_f64 v[222:223], -v[212:213], v[220:221], 1.0
	v_fma_f64 v[220:221], v[220:221], v[222:223], v[220:221]
	s_delay_alu instid0(VALU_DEP_1) | instskip(NEXT) | instid1(VALU_DEP_1)
	v_fma_f64 v[222:223], -v[212:213], v[220:221], 1.0
	v_fma_f64 v[220:221], v[220:221], v[222:223], v[220:221]
	s_delay_alu instid0(VALU_DEP_1) | instskip(NEXT) | instid1(VALU_DEP_1)
	v_mul_f64 v[222:223], v[224:225], v[220:221]
	v_fma_f64 v[212:213], -v[212:213], v[222:223], v[224:225]
	s_delay_alu instid0(VALU_DEP_1) | instskip(NEXT) | instid1(VALU_DEP_1)
	v_div_fmas_f64 v[212:213], v[212:213], v[220:221], v[222:223]
	v_div_fixup_f64 v[220:221], v[212:213], v[216:217], v[218:219]
	s_delay_alu instid0(VALU_DEP_1) | instskip(NEXT) | instid1(VALU_DEP_1)
	v_fma_f64 v[212:213], v[218:219], v[220:221], v[216:217]
	v_div_scale_f64 v[216:217], null, v[212:213], v[212:213], 1.0
	s_delay_alu instid0(VALU_DEP_1) | instskip(SKIP_2) | instid1(VALU_DEP_1)
	v_rcp_f64_e32 v[218:219], v[216:217]
	s_waitcnt_depctr 0xfff
	v_fma_f64 v[222:223], -v[216:217], v[218:219], 1.0
	v_fma_f64 v[218:219], v[218:219], v[222:223], v[218:219]
	s_delay_alu instid0(VALU_DEP_1) | instskip(NEXT) | instid1(VALU_DEP_1)
	v_fma_f64 v[222:223], -v[216:217], v[218:219], 1.0
	v_fma_f64 v[218:219], v[218:219], v[222:223], v[218:219]
	v_div_scale_f64 v[222:223], vcc_lo, 1.0, v[212:213], 1.0
	s_delay_alu instid0(VALU_DEP_1) | instskip(NEXT) | instid1(VALU_DEP_1)
	v_mul_f64 v[224:225], v[222:223], v[218:219]
	v_fma_f64 v[216:217], -v[216:217], v[224:225], v[222:223]
	s_delay_alu instid0(VALU_DEP_1) | instskip(NEXT) | instid1(VALU_DEP_1)
	v_div_fmas_f64 v[216:217], v[216:217], v[218:219], v[224:225]
	v_div_fixup_f64 v[212:213], v[216:217], v[212:213], 1.0
	s_delay_alu instid0(VALU_DEP_1)
	v_mul_f64 v[222:223], v[220:221], -v[212:213]
.LBB117_448:
	s_or_b32 exec_lo, exec_lo, s3
	ds_store_2addr_b64 v209, v[212:213], v[222:223] offset1:1
.LBB117_449:
	s_or_b32 exec_lo, exec_lo, s4
	s_waitcnt lgkmcnt(0)
	s_barrier
	buffer_gl0_inv
	ds_load_2addr_b64 v[204:207], v209 offset1:1
	s_mov_b32 s3, exec_lo
	s_waitcnt lgkmcnt(0)
	scratch_store_b128 off, v[204:207], off offset:1372 ; 16-byte Folded Spill
	v_cmpx_lt_u32_e32 49, v208
	s_cbranch_execz .LBB117_451
; %bb.450:
	scratch_load_b128 v[204:207], off, off offset:1372 ; 16-byte Folded Reload
	ds_load_2addr_b64 v[216:219], v214 offset0:100 offset1:101
	s_waitcnt vmcnt(0)
	v_mul_f64 v[212:213], v[204:205], v[38:39]
	v_mul_f64 v[38:39], v[206:207], v[38:39]
	s_delay_alu instid0(VALU_DEP_2) | instskip(NEXT) | instid1(VALU_DEP_2)
	v_fma_f64 v[212:213], v[206:207], v[36:37], v[212:213]
	v_fma_f64 v[36:37], v[204:205], v[36:37], -v[38:39]
	s_waitcnt lgkmcnt(0)
	s_delay_alu instid0(VALU_DEP_2) | instskip(NEXT) | instid1(VALU_DEP_1)
	v_mul_f64 v[38:39], v[218:219], v[212:213]
	v_fma_f64 v[38:39], v[216:217], v[36:37], -v[38:39]
	v_mul_f64 v[216:217], v[216:217], v[212:213]
	s_delay_alu instid0(VALU_DEP_2) | instskip(NEXT) | instid1(VALU_DEP_2)
	v_add_f64 v[32:33], v[32:33], -v[38:39]
	v_fma_f64 v[216:217], v[218:219], v[36:37], v[216:217]
	s_delay_alu instid0(VALU_DEP_1) | instskip(SKIP_3) | instid1(VALU_DEP_1)
	v_add_f64 v[34:35], v[34:35], -v[216:217]
	ds_load_2addr_b64 v[216:219], v214 offset0:102 offset1:103
	s_waitcnt lgkmcnt(0)
	v_mul_f64 v[38:39], v[218:219], v[212:213]
	v_fma_f64 v[38:39], v[216:217], v[36:37], -v[38:39]
	v_mul_f64 v[216:217], v[216:217], v[212:213]
	s_delay_alu instid0(VALU_DEP_2) | instskip(NEXT) | instid1(VALU_DEP_2)
	v_add_f64 v[28:29], v[28:29], -v[38:39]
	v_fma_f64 v[216:217], v[218:219], v[36:37], v[216:217]
	s_delay_alu instid0(VALU_DEP_1) | instskip(SKIP_3) | instid1(VALU_DEP_1)
	v_add_f64 v[30:31], v[30:31], -v[216:217]
	ds_load_2addr_b64 v[216:219], v214 offset0:104 offset1:105
	s_waitcnt lgkmcnt(0)
	;; [unrolled: 10-line block ×8, first 2 shown]
	v_mul_f64 v[38:39], v[218:219], v[212:213]
	v_fma_f64 v[38:39], v[216:217], v[36:37], -v[38:39]
	v_mul_f64 v[216:217], v[216:217], v[212:213]
	s_delay_alu instid0(VALU_DEP_2) | instskip(NEXT) | instid1(VALU_DEP_2)
	v_add_f64 v[0:1], v[0:1], -v[38:39]
	v_fma_f64 v[216:217], v[218:219], v[36:37], v[216:217]
	v_dual_mov_b32 v38, v212 :: v_dual_mov_b32 v39, v213
	s_delay_alu instid0(VALU_DEP_2)
	v_add_f64 v[2:3], v[2:3], -v[216:217]
.LBB117_451:
	s_or_b32 exec_lo, exec_lo, s3
	s_delay_alu instid0(SALU_CYCLE_1)
	s_mov_b32 s4, exec_lo
	s_waitcnt_vscnt null, 0x0
	s_barrier
	buffer_gl0_inv
	v_cmpx_eq_u32_e32 50, v208
	s_cbranch_execz .LBB117_458
; %bb.452:
	ds_store_2addr_b64 v209, v[32:33], v[34:35] offset1:1
	ds_store_2addr_b64 v214, v[28:29], v[30:31] offset0:102 offset1:103
	ds_store_2addr_b64 v214, v[24:25], v[26:27] offset0:104 offset1:105
	ds_store_2addr_b64 v214, v[20:21], v[22:23] offset0:106 offset1:107
	ds_store_2addr_b64 v214, v[16:17], v[18:19] offset0:108 offset1:109
	ds_store_2addr_b64 v214, v[12:13], v[14:15] offset0:110 offset1:111
	ds_store_2addr_b64 v214, v[8:9], v[10:11] offset0:112 offset1:113
	ds_store_2addr_b64 v214, v[4:5], v[6:7] offset0:114 offset1:115
	ds_store_2addr_b64 v214, v[0:1], v[2:3] offset0:116 offset1:117
	ds_load_2addr_b64 v[216:219], v209 offset1:1
	s_waitcnt lgkmcnt(0)
	v_cmp_neq_f64_e32 vcc_lo, 0, v[216:217]
	v_cmp_neq_f64_e64 s3, 0, v[218:219]
	s_delay_alu instid0(VALU_DEP_1) | instskip(NEXT) | instid1(SALU_CYCLE_1)
	s_or_b32 s3, vcc_lo, s3
	s_and_b32 exec_lo, exec_lo, s3
	s_cbranch_execz .LBB117_458
; %bb.453:
	v_cmp_gt_f64_e32 vcc_lo, 0, v[216:217]
	v_xor_b32_e32 v212, 0x80000000, v217
	v_xor_b32_e32 v215, 0x80000000, v219
	s_delay_alu instid0(VALU_DEP_2) | instskip(SKIP_2) | instid1(VALU_DEP_4)
	v_cndmask_b32_e32 v213, v217, v212, vcc_lo
	v_cndmask_b32_e32 v212, v216, v216, vcc_lo
	v_cmp_gt_f64_e32 vcc_lo, 0, v[218:219]
	v_dual_cndmask_b32 v221, v219, v215 :: v_dual_cndmask_b32 v220, v218, v218
	s_delay_alu instid0(VALU_DEP_1) | instskip(SKIP_1) | instid1(SALU_CYCLE_1)
	v_cmp_ngt_f64_e32 vcc_lo, v[212:213], v[220:221]
                                        ; implicit-def: $vgpr212_vgpr213
	s_and_saveexec_b32 s3, vcc_lo
	s_xor_b32 s3, exec_lo, s3
                                        ; implicit-def: $vgpr220_vgpr221_vgpr222_vgpr223
	s_cbranch_execz .LBB117_455
; %bb.454:
	v_div_scale_f64 v[212:213], null, v[218:219], v[218:219], v[216:217]
	v_div_scale_f64 v[224:225], vcc_lo, v[216:217], v[218:219], v[216:217]
	s_delay_alu instid0(VALU_DEP_2) | instskip(SKIP_2) | instid1(VALU_DEP_1)
	v_rcp_f64_e32 v[220:221], v[212:213]
	s_waitcnt_depctr 0xfff
	v_fma_f64 v[222:223], -v[212:213], v[220:221], 1.0
	v_fma_f64 v[220:221], v[220:221], v[222:223], v[220:221]
	s_delay_alu instid0(VALU_DEP_1) | instskip(NEXT) | instid1(VALU_DEP_1)
	v_fma_f64 v[222:223], -v[212:213], v[220:221], 1.0
	v_fma_f64 v[220:221], v[220:221], v[222:223], v[220:221]
	s_delay_alu instid0(VALU_DEP_1) | instskip(NEXT) | instid1(VALU_DEP_1)
	v_mul_f64 v[222:223], v[224:225], v[220:221]
	v_fma_f64 v[212:213], -v[212:213], v[222:223], v[224:225]
	s_delay_alu instid0(VALU_DEP_1) | instskip(NEXT) | instid1(VALU_DEP_1)
	v_div_fmas_f64 v[212:213], v[212:213], v[220:221], v[222:223]
	v_div_fixup_f64 v[212:213], v[212:213], v[218:219], v[216:217]
	s_delay_alu instid0(VALU_DEP_1) | instskip(NEXT) | instid1(VALU_DEP_1)
	v_fma_f64 v[216:217], v[216:217], v[212:213], v[218:219]
	v_div_scale_f64 v[218:219], null, v[216:217], v[216:217], 1.0
	s_delay_alu instid0(VALU_DEP_1) | instskip(SKIP_2) | instid1(VALU_DEP_1)
	v_rcp_f64_e32 v[220:221], v[218:219]
	s_waitcnt_depctr 0xfff
	v_fma_f64 v[222:223], -v[218:219], v[220:221], 1.0
	v_fma_f64 v[220:221], v[220:221], v[222:223], v[220:221]
	s_delay_alu instid0(VALU_DEP_1) | instskip(NEXT) | instid1(VALU_DEP_1)
	v_fma_f64 v[222:223], -v[218:219], v[220:221], 1.0
	v_fma_f64 v[220:221], v[220:221], v[222:223], v[220:221]
	v_div_scale_f64 v[222:223], vcc_lo, 1.0, v[216:217], 1.0
	s_delay_alu instid0(VALU_DEP_1) | instskip(NEXT) | instid1(VALU_DEP_1)
	v_mul_f64 v[224:225], v[222:223], v[220:221]
	v_fma_f64 v[218:219], -v[218:219], v[224:225], v[222:223]
	s_delay_alu instid0(VALU_DEP_1) | instskip(NEXT) | instid1(VALU_DEP_1)
	v_div_fmas_f64 v[218:219], v[218:219], v[220:221], v[224:225]
	v_div_fixup_f64 v[222:223], v[218:219], v[216:217], 1.0
                                        ; implicit-def: $vgpr216_vgpr217
	s_delay_alu instid0(VALU_DEP_1)
	v_mul_f64 v[212:213], v[212:213], v[222:223]
	v_xor_b32_e32 v223, 0x80000000, v223
.LBB117_455:
	s_and_not1_saveexec_b32 s3, s3
	s_cbranch_execz .LBB117_457
; %bb.456:
	v_div_scale_f64 v[212:213], null, v[216:217], v[216:217], v[218:219]
	v_div_scale_f64 v[224:225], vcc_lo, v[218:219], v[216:217], v[218:219]
	s_delay_alu instid0(VALU_DEP_2) | instskip(SKIP_2) | instid1(VALU_DEP_1)
	v_rcp_f64_e32 v[220:221], v[212:213]
	s_waitcnt_depctr 0xfff
	v_fma_f64 v[222:223], -v[212:213], v[220:221], 1.0
	v_fma_f64 v[220:221], v[220:221], v[222:223], v[220:221]
	s_delay_alu instid0(VALU_DEP_1) | instskip(NEXT) | instid1(VALU_DEP_1)
	v_fma_f64 v[222:223], -v[212:213], v[220:221], 1.0
	v_fma_f64 v[220:221], v[220:221], v[222:223], v[220:221]
	s_delay_alu instid0(VALU_DEP_1) | instskip(NEXT) | instid1(VALU_DEP_1)
	v_mul_f64 v[222:223], v[224:225], v[220:221]
	v_fma_f64 v[212:213], -v[212:213], v[222:223], v[224:225]
	s_delay_alu instid0(VALU_DEP_1) | instskip(NEXT) | instid1(VALU_DEP_1)
	v_div_fmas_f64 v[212:213], v[212:213], v[220:221], v[222:223]
	v_div_fixup_f64 v[220:221], v[212:213], v[216:217], v[218:219]
	s_delay_alu instid0(VALU_DEP_1) | instskip(NEXT) | instid1(VALU_DEP_1)
	v_fma_f64 v[212:213], v[218:219], v[220:221], v[216:217]
	v_div_scale_f64 v[216:217], null, v[212:213], v[212:213], 1.0
	s_delay_alu instid0(VALU_DEP_1) | instskip(SKIP_2) | instid1(VALU_DEP_1)
	v_rcp_f64_e32 v[218:219], v[216:217]
	s_waitcnt_depctr 0xfff
	v_fma_f64 v[222:223], -v[216:217], v[218:219], 1.0
	v_fma_f64 v[218:219], v[218:219], v[222:223], v[218:219]
	s_delay_alu instid0(VALU_DEP_1) | instskip(NEXT) | instid1(VALU_DEP_1)
	v_fma_f64 v[222:223], -v[216:217], v[218:219], 1.0
	v_fma_f64 v[218:219], v[218:219], v[222:223], v[218:219]
	v_div_scale_f64 v[222:223], vcc_lo, 1.0, v[212:213], 1.0
	s_delay_alu instid0(VALU_DEP_1) | instskip(NEXT) | instid1(VALU_DEP_1)
	v_mul_f64 v[224:225], v[222:223], v[218:219]
	v_fma_f64 v[216:217], -v[216:217], v[224:225], v[222:223]
	s_delay_alu instid0(VALU_DEP_1) | instskip(NEXT) | instid1(VALU_DEP_1)
	v_div_fmas_f64 v[216:217], v[216:217], v[218:219], v[224:225]
	v_div_fixup_f64 v[212:213], v[216:217], v[212:213], 1.0
	s_delay_alu instid0(VALU_DEP_1)
	v_mul_f64 v[222:223], v[220:221], -v[212:213]
.LBB117_457:
	s_or_b32 exec_lo, exec_lo, s3
	ds_store_2addr_b64 v209, v[212:213], v[222:223] offset1:1
.LBB117_458:
	s_or_b32 exec_lo, exec_lo, s4
	s_waitcnt lgkmcnt(0)
	s_barrier
	buffer_gl0_inv
	ds_load_2addr_b64 v[236:239], v209 offset1:1
	s_mov_b32 s3, exec_lo
	v_cmpx_lt_u32_e32 50, v208
	s_cbranch_execz .LBB117_460
; %bb.459:
	s_waitcnt lgkmcnt(0)
	v_mul_f64 v[212:213], v[236:237], v[34:35]
	v_mul_f64 v[34:35], v[238:239], v[34:35]
	ds_load_2addr_b64 v[216:219], v214 offset0:102 offset1:103
	v_fma_f64 v[212:213], v[238:239], v[32:33], v[212:213]
	v_fma_f64 v[32:33], v[236:237], v[32:33], -v[34:35]
	s_waitcnt lgkmcnt(0)
	s_delay_alu instid0(VALU_DEP_2) | instskip(NEXT) | instid1(VALU_DEP_1)
	v_mul_f64 v[34:35], v[218:219], v[212:213]
	v_fma_f64 v[34:35], v[216:217], v[32:33], -v[34:35]
	v_mul_f64 v[216:217], v[216:217], v[212:213]
	s_delay_alu instid0(VALU_DEP_2) | instskip(NEXT) | instid1(VALU_DEP_2)
	v_add_f64 v[28:29], v[28:29], -v[34:35]
	v_fma_f64 v[216:217], v[218:219], v[32:33], v[216:217]
	s_delay_alu instid0(VALU_DEP_1) | instskip(SKIP_3) | instid1(VALU_DEP_1)
	v_add_f64 v[30:31], v[30:31], -v[216:217]
	ds_load_2addr_b64 v[216:219], v214 offset0:104 offset1:105
	s_waitcnt lgkmcnt(0)
	v_mul_f64 v[34:35], v[218:219], v[212:213]
	v_fma_f64 v[34:35], v[216:217], v[32:33], -v[34:35]
	v_mul_f64 v[216:217], v[216:217], v[212:213]
	s_delay_alu instid0(VALU_DEP_2) | instskip(NEXT) | instid1(VALU_DEP_2)
	v_add_f64 v[24:25], v[24:25], -v[34:35]
	v_fma_f64 v[216:217], v[218:219], v[32:33], v[216:217]
	s_delay_alu instid0(VALU_DEP_1) | instskip(SKIP_3) | instid1(VALU_DEP_1)
	v_add_f64 v[26:27], v[26:27], -v[216:217]
	ds_load_2addr_b64 v[216:219], v214 offset0:106 offset1:107
	s_waitcnt lgkmcnt(0)
	;; [unrolled: 10-line block ×7, first 2 shown]
	v_mul_f64 v[34:35], v[218:219], v[212:213]
	v_fma_f64 v[34:35], v[216:217], v[32:33], -v[34:35]
	v_mul_f64 v[216:217], v[216:217], v[212:213]
	s_delay_alu instid0(VALU_DEP_2) | instskip(NEXT) | instid1(VALU_DEP_2)
	v_add_f64 v[0:1], v[0:1], -v[34:35]
	v_fma_f64 v[216:217], v[218:219], v[32:33], v[216:217]
	v_dual_mov_b32 v34, v212 :: v_dual_mov_b32 v35, v213
	s_delay_alu instid0(VALU_DEP_2)
	v_add_f64 v[2:3], v[2:3], -v[216:217]
.LBB117_460:
	s_or_b32 exec_lo, exec_lo, s3
	s_delay_alu instid0(SALU_CYCLE_1)
	s_mov_b32 s4, exec_lo
	s_waitcnt lgkmcnt(0)
	s_barrier
	buffer_gl0_inv
	v_cmpx_eq_u32_e32 51, v208
	s_cbranch_execz .LBB117_467
; %bb.461:
	ds_store_2addr_b64 v209, v[28:29], v[30:31] offset1:1
	ds_store_2addr_b64 v214, v[24:25], v[26:27] offset0:104 offset1:105
	ds_store_2addr_b64 v214, v[20:21], v[22:23] offset0:106 offset1:107
	;; [unrolled: 1-line block ×7, first 2 shown]
	ds_load_2addr_b64 v[216:219], v209 offset1:1
	s_waitcnt lgkmcnt(0)
	v_cmp_neq_f64_e32 vcc_lo, 0, v[216:217]
	v_cmp_neq_f64_e64 s3, 0, v[218:219]
	s_delay_alu instid0(VALU_DEP_1) | instskip(NEXT) | instid1(SALU_CYCLE_1)
	s_or_b32 s3, vcc_lo, s3
	s_and_b32 exec_lo, exec_lo, s3
	s_cbranch_execz .LBB117_467
; %bb.462:
	v_cmp_gt_f64_e32 vcc_lo, 0, v[216:217]
	v_xor_b32_e32 v212, 0x80000000, v217
	v_xor_b32_e32 v215, 0x80000000, v219
	s_delay_alu instid0(VALU_DEP_2) | instskip(SKIP_2) | instid1(VALU_DEP_4)
	v_cndmask_b32_e32 v213, v217, v212, vcc_lo
	v_cndmask_b32_e32 v212, v216, v216, vcc_lo
	v_cmp_gt_f64_e32 vcc_lo, 0, v[218:219]
	v_dual_cndmask_b32 v221, v219, v215 :: v_dual_cndmask_b32 v220, v218, v218
	s_delay_alu instid0(VALU_DEP_1) | instskip(SKIP_1) | instid1(SALU_CYCLE_1)
	v_cmp_ngt_f64_e32 vcc_lo, v[212:213], v[220:221]
                                        ; implicit-def: $vgpr212_vgpr213
	s_and_saveexec_b32 s3, vcc_lo
	s_xor_b32 s3, exec_lo, s3
                                        ; implicit-def: $vgpr220_vgpr221_vgpr222_vgpr223
	s_cbranch_execz .LBB117_464
; %bb.463:
	v_div_scale_f64 v[212:213], null, v[218:219], v[218:219], v[216:217]
	v_div_scale_f64 v[224:225], vcc_lo, v[216:217], v[218:219], v[216:217]
	s_delay_alu instid0(VALU_DEP_2) | instskip(SKIP_2) | instid1(VALU_DEP_1)
	v_rcp_f64_e32 v[220:221], v[212:213]
	s_waitcnt_depctr 0xfff
	v_fma_f64 v[222:223], -v[212:213], v[220:221], 1.0
	v_fma_f64 v[220:221], v[220:221], v[222:223], v[220:221]
	s_delay_alu instid0(VALU_DEP_1) | instskip(NEXT) | instid1(VALU_DEP_1)
	v_fma_f64 v[222:223], -v[212:213], v[220:221], 1.0
	v_fma_f64 v[220:221], v[220:221], v[222:223], v[220:221]
	s_delay_alu instid0(VALU_DEP_1) | instskip(NEXT) | instid1(VALU_DEP_1)
	v_mul_f64 v[222:223], v[224:225], v[220:221]
	v_fma_f64 v[212:213], -v[212:213], v[222:223], v[224:225]
	s_delay_alu instid0(VALU_DEP_1) | instskip(NEXT) | instid1(VALU_DEP_1)
	v_div_fmas_f64 v[212:213], v[212:213], v[220:221], v[222:223]
	v_div_fixup_f64 v[212:213], v[212:213], v[218:219], v[216:217]
	s_delay_alu instid0(VALU_DEP_1) | instskip(NEXT) | instid1(VALU_DEP_1)
	v_fma_f64 v[216:217], v[216:217], v[212:213], v[218:219]
	v_div_scale_f64 v[218:219], null, v[216:217], v[216:217], 1.0
	s_delay_alu instid0(VALU_DEP_1) | instskip(SKIP_2) | instid1(VALU_DEP_1)
	v_rcp_f64_e32 v[220:221], v[218:219]
	s_waitcnt_depctr 0xfff
	v_fma_f64 v[222:223], -v[218:219], v[220:221], 1.0
	v_fma_f64 v[220:221], v[220:221], v[222:223], v[220:221]
	s_delay_alu instid0(VALU_DEP_1) | instskip(NEXT) | instid1(VALU_DEP_1)
	v_fma_f64 v[222:223], -v[218:219], v[220:221], 1.0
	v_fma_f64 v[220:221], v[220:221], v[222:223], v[220:221]
	v_div_scale_f64 v[222:223], vcc_lo, 1.0, v[216:217], 1.0
	s_delay_alu instid0(VALU_DEP_1) | instskip(NEXT) | instid1(VALU_DEP_1)
	v_mul_f64 v[224:225], v[222:223], v[220:221]
	v_fma_f64 v[218:219], -v[218:219], v[224:225], v[222:223]
	s_delay_alu instid0(VALU_DEP_1) | instskip(NEXT) | instid1(VALU_DEP_1)
	v_div_fmas_f64 v[218:219], v[218:219], v[220:221], v[224:225]
	v_div_fixup_f64 v[222:223], v[218:219], v[216:217], 1.0
                                        ; implicit-def: $vgpr216_vgpr217
	s_delay_alu instid0(VALU_DEP_1)
	v_mul_f64 v[212:213], v[212:213], v[222:223]
	v_xor_b32_e32 v223, 0x80000000, v223
.LBB117_464:
	s_and_not1_saveexec_b32 s3, s3
	s_cbranch_execz .LBB117_466
; %bb.465:
	v_div_scale_f64 v[212:213], null, v[216:217], v[216:217], v[218:219]
	v_div_scale_f64 v[224:225], vcc_lo, v[218:219], v[216:217], v[218:219]
	s_delay_alu instid0(VALU_DEP_2) | instskip(SKIP_2) | instid1(VALU_DEP_1)
	v_rcp_f64_e32 v[220:221], v[212:213]
	s_waitcnt_depctr 0xfff
	v_fma_f64 v[222:223], -v[212:213], v[220:221], 1.0
	v_fma_f64 v[220:221], v[220:221], v[222:223], v[220:221]
	s_delay_alu instid0(VALU_DEP_1) | instskip(NEXT) | instid1(VALU_DEP_1)
	v_fma_f64 v[222:223], -v[212:213], v[220:221], 1.0
	v_fma_f64 v[220:221], v[220:221], v[222:223], v[220:221]
	s_delay_alu instid0(VALU_DEP_1) | instskip(NEXT) | instid1(VALU_DEP_1)
	v_mul_f64 v[222:223], v[224:225], v[220:221]
	v_fma_f64 v[212:213], -v[212:213], v[222:223], v[224:225]
	s_delay_alu instid0(VALU_DEP_1) | instskip(NEXT) | instid1(VALU_DEP_1)
	v_div_fmas_f64 v[212:213], v[212:213], v[220:221], v[222:223]
	v_div_fixup_f64 v[220:221], v[212:213], v[216:217], v[218:219]
	s_delay_alu instid0(VALU_DEP_1) | instskip(NEXT) | instid1(VALU_DEP_1)
	v_fma_f64 v[212:213], v[218:219], v[220:221], v[216:217]
	v_div_scale_f64 v[216:217], null, v[212:213], v[212:213], 1.0
	s_delay_alu instid0(VALU_DEP_1) | instskip(SKIP_2) | instid1(VALU_DEP_1)
	v_rcp_f64_e32 v[218:219], v[216:217]
	s_waitcnt_depctr 0xfff
	v_fma_f64 v[222:223], -v[216:217], v[218:219], 1.0
	v_fma_f64 v[218:219], v[218:219], v[222:223], v[218:219]
	s_delay_alu instid0(VALU_DEP_1) | instskip(NEXT) | instid1(VALU_DEP_1)
	v_fma_f64 v[222:223], -v[216:217], v[218:219], 1.0
	v_fma_f64 v[218:219], v[218:219], v[222:223], v[218:219]
	v_div_scale_f64 v[222:223], vcc_lo, 1.0, v[212:213], 1.0
	s_delay_alu instid0(VALU_DEP_1) | instskip(NEXT) | instid1(VALU_DEP_1)
	v_mul_f64 v[224:225], v[222:223], v[218:219]
	v_fma_f64 v[216:217], -v[216:217], v[224:225], v[222:223]
	s_delay_alu instid0(VALU_DEP_1) | instskip(NEXT) | instid1(VALU_DEP_1)
	v_div_fmas_f64 v[216:217], v[216:217], v[218:219], v[224:225]
	v_div_fixup_f64 v[212:213], v[216:217], v[212:213], 1.0
	s_delay_alu instid0(VALU_DEP_1)
	v_mul_f64 v[222:223], v[220:221], -v[212:213]
.LBB117_466:
	s_or_b32 exec_lo, exec_lo, s3
	ds_store_2addr_b64 v209, v[212:213], v[222:223] offset1:1
.LBB117_467:
	s_or_b32 exec_lo, exec_lo, s4
	s_waitcnt lgkmcnt(0)
	s_barrier
	buffer_gl0_inv
	ds_load_2addr_b64 v[240:243], v209 offset1:1
	s_mov_b32 s3, exec_lo
	v_cmpx_lt_u32_e32 51, v208
	s_cbranch_execz .LBB117_469
; %bb.468:
	s_waitcnt lgkmcnt(0)
	v_mul_f64 v[212:213], v[240:241], v[30:31]
	v_mul_f64 v[30:31], v[242:243], v[30:31]
	ds_load_2addr_b64 v[216:219], v214 offset0:104 offset1:105
	v_fma_f64 v[212:213], v[242:243], v[28:29], v[212:213]
	v_fma_f64 v[28:29], v[240:241], v[28:29], -v[30:31]
	s_waitcnt lgkmcnt(0)
	s_delay_alu instid0(VALU_DEP_2) | instskip(NEXT) | instid1(VALU_DEP_1)
	v_mul_f64 v[30:31], v[218:219], v[212:213]
	v_fma_f64 v[30:31], v[216:217], v[28:29], -v[30:31]
	v_mul_f64 v[216:217], v[216:217], v[212:213]
	s_delay_alu instid0(VALU_DEP_2) | instskip(NEXT) | instid1(VALU_DEP_2)
	v_add_f64 v[24:25], v[24:25], -v[30:31]
	v_fma_f64 v[216:217], v[218:219], v[28:29], v[216:217]
	s_delay_alu instid0(VALU_DEP_1) | instskip(SKIP_3) | instid1(VALU_DEP_1)
	v_add_f64 v[26:27], v[26:27], -v[216:217]
	ds_load_2addr_b64 v[216:219], v214 offset0:106 offset1:107
	s_waitcnt lgkmcnt(0)
	v_mul_f64 v[30:31], v[218:219], v[212:213]
	v_fma_f64 v[30:31], v[216:217], v[28:29], -v[30:31]
	v_mul_f64 v[216:217], v[216:217], v[212:213]
	s_delay_alu instid0(VALU_DEP_2) | instskip(NEXT) | instid1(VALU_DEP_2)
	v_add_f64 v[20:21], v[20:21], -v[30:31]
	v_fma_f64 v[216:217], v[218:219], v[28:29], v[216:217]
	s_delay_alu instid0(VALU_DEP_1) | instskip(SKIP_3) | instid1(VALU_DEP_1)
	v_add_f64 v[22:23], v[22:23], -v[216:217]
	ds_load_2addr_b64 v[216:219], v214 offset0:108 offset1:109
	s_waitcnt lgkmcnt(0)
	;; [unrolled: 10-line block ×6, first 2 shown]
	v_mul_f64 v[30:31], v[218:219], v[212:213]
	v_fma_f64 v[30:31], v[216:217], v[28:29], -v[30:31]
	v_mul_f64 v[216:217], v[216:217], v[212:213]
	s_delay_alu instid0(VALU_DEP_2) | instskip(NEXT) | instid1(VALU_DEP_2)
	v_add_f64 v[0:1], v[0:1], -v[30:31]
	v_fma_f64 v[216:217], v[218:219], v[28:29], v[216:217]
	v_dual_mov_b32 v30, v212 :: v_dual_mov_b32 v31, v213
	s_delay_alu instid0(VALU_DEP_2)
	v_add_f64 v[2:3], v[2:3], -v[216:217]
.LBB117_469:
	s_or_b32 exec_lo, exec_lo, s3
	s_delay_alu instid0(SALU_CYCLE_1)
	s_mov_b32 s4, exec_lo
	s_waitcnt lgkmcnt(0)
	s_barrier
	buffer_gl0_inv
	v_cmpx_eq_u32_e32 52, v208
	s_cbranch_execz .LBB117_476
; %bb.470:
	ds_store_2addr_b64 v209, v[24:25], v[26:27] offset1:1
	ds_store_2addr_b64 v214, v[20:21], v[22:23] offset0:106 offset1:107
	ds_store_2addr_b64 v214, v[16:17], v[18:19] offset0:108 offset1:109
	;; [unrolled: 1-line block ×6, first 2 shown]
	ds_load_2addr_b64 v[216:219], v209 offset1:1
	s_waitcnt lgkmcnt(0)
	v_cmp_neq_f64_e32 vcc_lo, 0, v[216:217]
	v_cmp_neq_f64_e64 s3, 0, v[218:219]
	s_delay_alu instid0(VALU_DEP_1) | instskip(NEXT) | instid1(SALU_CYCLE_1)
	s_or_b32 s3, vcc_lo, s3
	s_and_b32 exec_lo, exec_lo, s3
	s_cbranch_execz .LBB117_476
; %bb.471:
	v_cmp_gt_f64_e32 vcc_lo, 0, v[216:217]
	v_xor_b32_e32 v212, 0x80000000, v217
	v_xor_b32_e32 v215, 0x80000000, v219
	s_delay_alu instid0(VALU_DEP_2) | instskip(SKIP_2) | instid1(VALU_DEP_4)
	v_cndmask_b32_e32 v213, v217, v212, vcc_lo
	v_cndmask_b32_e32 v212, v216, v216, vcc_lo
	v_cmp_gt_f64_e32 vcc_lo, 0, v[218:219]
	v_dual_cndmask_b32 v221, v219, v215 :: v_dual_cndmask_b32 v220, v218, v218
	s_delay_alu instid0(VALU_DEP_1) | instskip(SKIP_1) | instid1(SALU_CYCLE_1)
	v_cmp_ngt_f64_e32 vcc_lo, v[212:213], v[220:221]
                                        ; implicit-def: $vgpr212_vgpr213
	s_and_saveexec_b32 s3, vcc_lo
	s_xor_b32 s3, exec_lo, s3
                                        ; implicit-def: $vgpr220_vgpr221_vgpr222_vgpr223
	s_cbranch_execz .LBB117_473
; %bb.472:
	v_div_scale_f64 v[212:213], null, v[218:219], v[218:219], v[216:217]
	v_div_scale_f64 v[224:225], vcc_lo, v[216:217], v[218:219], v[216:217]
	s_delay_alu instid0(VALU_DEP_2) | instskip(SKIP_2) | instid1(VALU_DEP_1)
	v_rcp_f64_e32 v[220:221], v[212:213]
	s_waitcnt_depctr 0xfff
	v_fma_f64 v[222:223], -v[212:213], v[220:221], 1.0
	v_fma_f64 v[220:221], v[220:221], v[222:223], v[220:221]
	s_delay_alu instid0(VALU_DEP_1) | instskip(NEXT) | instid1(VALU_DEP_1)
	v_fma_f64 v[222:223], -v[212:213], v[220:221], 1.0
	v_fma_f64 v[220:221], v[220:221], v[222:223], v[220:221]
	s_delay_alu instid0(VALU_DEP_1) | instskip(NEXT) | instid1(VALU_DEP_1)
	v_mul_f64 v[222:223], v[224:225], v[220:221]
	v_fma_f64 v[212:213], -v[212:213], v[222:223], v[224:225]
	s_delay_alu instid0(VALU_DEP_1) | instskip(NEXT) | instid1(VALU_DEP_1)
	v_div_fmas_f64 v[212:213], v[212:213], v[220:221], v[222:223]
	v_div_fixup_f64 v[212:213], v[212:213], v[218:219], v[216:217]
	s_delay_alu instid0(VALU_DEP_1) | instskip(NEXT) | instid1(VALU_DEP_1)
	v_fma_f64 v[216:217], v[216:217], v[212:213], v[218:219]
	v_div_scale_f64 v[218:219], null, v[216:217], v[216:217], 1.0
	s_delay_alu instid0(VALU_DEP_1) | instskip(SKIP_2) | instid1(VALU_DEP_1)
	v_rcp_f64_e32 v[220:221], v[218:219]
	s_waitcnt_depctr 0xfff
	v_fma_f64 v[222:223], -v[218:219], v[220:221], 1.0
	v_fma_f64 v[220:221], v[220:221], v[222:223], v[220:221]
	s_delay_alu instid0(VALU_DEP_1) | instskip(NEXT) | instid1(VALU_DEP_1)
	v_fma_f64 v[222:223], -v[218:219], v[220:221], 1.0
	v_fma_f64 v[220:221], v[220:221], v[222:223], v[220:221]
	v_div_scale_f64 v[222:223], vcc_lo, 1.0, v[216:217], 1.0
	s_delay_alu instid0(VALU_DEP_1) | instskip(NEXT) | instid1(VALU_DEP_1)
	v_mul_f64 v[224:225], v[222:223], v[220:221]
	v_fma_f64 v[218:219], -v[218:219], v[224:225], v[222:223]
	s_delay_alu instid0(VALU_DEP_1) | instskip(NEXT) | instid1(VALU_DEP_1)
	v_div_fmas_f64 v[218:219], v[218:219], v[220:221], v[224:225]
	v_div_fixup_f64 v[222:223], v[218:219], v[216:217], 1.0
                                        ; implicit-def: $vgpr216_vgpr217
	s_delay_alu instid0(VALU_DEP_1)
	v_mul_f64 v[212:213], v[212:213], v[222:223]
	v_xor_b32_e32 v223, 0x80000000, v223
.LBB117_473:
	s_and_not1_saveexec_b32 s3, s3
	s_cbranch_execz .LBB117_475
; %bb.474:
	v_div_scale_f64 v[212:213], null, v[216:217], v[216:217], v[218:219]
	v_div_scale_f64 v[224:225], vcc_lo, v[218:219], v[216:217], v[218:219]
	s_delay_alu instid0(VALU_DEP_2) | instskip(SKIP_2) | instid1(VALU_DEP_1)
	v_rcp_f64_e32 v[220:221], v[212:213]
	s_waitcnt_depctr 0xfff
	v_fma_f64 v[222:223], -v[212:213], v[220:221], 1.0
	v_fma_f64 v[220:221], v[220:221], v[222:223], v[220:221]
	s_delay_alu instid0(VALU_DEP_1) | instskip(NEXT) | instid1(VALU_DEP_1)
	v_fma_f64 v[222:223], -v[212:213], v[220:221], 1.0
	v_fma_f64 v[220:221], v[220:221], v[222:223], v[220:221]
	s_delay_alu instid0(VALU_DEP_1) | instskip(NEXT) | instid1(VALU_DEP_1)
	v_mul_f64 v[222:223], v[224:225], v[220:221]
	v_fma_f64 v[212:213], -v[212:213], v[222:223], v[224:225]
	s_delay_alu instid0(VALU_DEP_1) | instskip(NEXT) | instid1(VALU_DEP_1)
	v_div_fmas_f64 v[212:213], v[212:213], v[220:221], v[222:223]
	v_div_fixup_f64 v[220:221], v[212:213], v[216:217], v[218:219]
	s_delay_alu instid0(VALU_DEP_1) | instskip(NEXT) | instid1(VALU_DEP_1)
	v_fma_f64 v[212:213], v[218:219], v[220:221], v[216:217]
	v_div_scale_f64 v[216:217], null, v[212:213], v[212:213], 1.0
	s_delay_alu instid0(VALU_DEP_1) | instskip(SKIP_2) | instid1(VALU_DEP_1)
	v_rcp_f64_e32 v[218:219], v[216:217]
	s_waitcnt_depctr 0xfff
	v_fma_f64 v[222:223], -v[216:217], v[218:219], 1.0
	v_fma_f64 v[218:219], v[218:219], v[222:223], v[218:219]
	s_delay_alu instid0(VALU_DEP_1) | instskip(NEXT) | instid1(VALU_DEP_1)
	v_fma_f64 v[222:223], -v[216:217], v[218:219], 1.0
	v_fma_f64 v[218:219], v[218:219], v[222:223], v[218:219]
	v_div_scale_f64 v[222:223], vcc_lo, 1.0, v[212:213], 1.0
	s_delay_alu instid0(VALU_DEP_1) | instskip(NEXT) | instid1(VALU_DEP_1)
	v_mul_f64 v[224:225], v[222:223], v[218:219]
	v_fma_f64 v[216:217], -v[216:217], v[224:225], v[222:223]
	s_delay_alu instid0(VALU_DEP_1) | instskip(NEXT) | instid1(VALU_DEP_1)
	v_div_fmas_f64 v[216:217], v[216:217], v[218:219], v[224:225]
	v_div_fixup_f64 v[212:213], v[216:217], v[212:213], 1.0
	s_delay_alu instid0(VALU_DEP_1)
	v_mul_f64 v[222:223], v[220:221], -v[212:213]
.LBB117_475:
	s_or_b32 exec_lo, exec_lo, s3
	ds_store_2addr_b64 v209, v[212:213], v[222:223] offset1:1
.LBB117_476:
	s_or_b32 exec_lo, exec_lo, s4
	s_waitcnt lgkmcnt(0)
	s_barrier
	buffer_gl0_inv
	ds_load_2addr_b64 v[244:247], v209 offset1:1
	s_mov_b32 s3, exec_lo
	v_cmpx_lt_u32_e32 52, v208
	s_cbranch_execz .LBB117_478
; %bb.477:
	s_waitcnt lgkmcnt(0)
	v_mul_f64 v[212:213], v[244:245], v[26:27]
	v_mul_f64 v[26:27], v[246:247], v[26:27]
	ds_load_2addr_b64 v[216:219], v214 offset0:106 offset1:107
	v_fma_f64 v[212:213], v[246:247], v[24:25], v[212:213]
	v_fma_f64 v[24:25], v[244:245], v[24:25], -v[26:27]
	s_waitcnt lgkmcnt(0)
	s_delay_alu instid0(VALU_DEP_2) | instskip(NEXT) | instid1(VALU_DEP_1)
	v_mul_f64 v[26:27], v[218:219], v[212:213]
	v_fma_f64 v[26:27], v[216:217], v[24:25], -v[26:27]
	v_mul_f64 v[216:217], v[216:217], v[212:213]
	s_delay_alu instid0(VALU_DEP_2) | instskip(NEXT) | instid1(VALU_DEP_2)
	v_add_f64 v[20:21], v[20:21], -v[26:27]
	v_fma_f64 v[216:217], v[218:219], v[24:25], v[216:217]
	s_delay_alu instid0(VALU_DEP_1) | instskip(SKIP_3) | instid1(VALU_DEP_1)
	v_add_f64 v[22:23], v[22:23], -v[216:217]
	ds_load_2addr_b64 v[216:219], v214 offset0:108 offset1:109
	s_waitcnt lgkmcnt(0)
	v_mul_f64 v[26:27], v[218:219], v[212:213]
	v_fma_f64 v[26:27], v[216:217], v[24:25], -v[26:27]
	v_mul_f64 v[216:217], v[216:217], v[212:213]
	s_delay_alu instid0(VALU_DEP_2) | instskip(NEXT) | instid1(VALU_DEP_2)
	v_add_f64 v[16:17], v[16:17], -v[26:27]
	v_fma_f64 v[216:217], v[218:219], v[24:25], v[216:217]
	s_delay_alu instid0(VALU_DEP_1) | instskip(SKIP_3) | instid1(VALU_DEP_1)
	v_add_f64 v[18:19], v[18:19], -v[216:217]
	ds_load_2addr_b64 v[216:219], v214 offset0:110 offset1:111
	s_waitcnt lgkmcnt(0)
	v_mul_f64 v[26:27], v[218:219], v[212:213]
	v_fma_f64 v[26:27], v[216:217], v[24:25], -v[26:27]
	v_mul_f64 v[216:217], v[216:217], v[212:213]
	s_delay_alu instid0(VALU_DEP_2) | instskip(NEXT) | instid1(VALU_DEP_2)
	v_add_f64 v[12:13], v[12:13], -v[26:27]
	v_fma_f64 v[216:217], v[218:219], v[24:25], v[216:217]
	s_delay_alu instid0(VALU_DEP_1) | instskip(SKIP_3) | instid1(VALU_DEP_1)
	v_add_f64 v[14:15], v[14:15], -v[216:217]
	ds_load_2addr_b64 v[216:219], v214 offset0:112 offset1:113
	s_waitcnt lgkmcnt(0)
	v_mul_f64 v[26:27], v[218:219], v[212:213]
	v_fma_f64 v[26:27], v[216:217], v[24:25], -v[26:27]
	v_mul_f64 v[216:217], v[216:217], v[212:213]
	s_delay_alu instid0(VALU_DEP_2) | instskip(NEXT) | instid1(VALU_DEP_2)
	v_add_f64 v[8:9], v[8:9], -v[26:27]
	v_fma_f64 v[216:217], v[218:219], v[24:25], v[216:217]
	s_delay_alu instid0(VALU_DEP_1) | instskip(SKIP_3) | instid1(VALU_DEP_1)
	v_add_f64 v[10:11], v[10:11], -v[216:217]
	ds_load_2addr_b64 v[216:219], v214 offset0:114 offset1:115
	s_waitcnt lgkmcnt(0)
	v_mul_f64 v[26:27], v[218:219], v[212:213]
	v_fma_f64 v[26:27], v[216:217], v[24:25], -v[26:27]
	v_mul_f64 v[216:217], v[216:217], v[212:213]
	s_delay_alu instid0(VALU_DEP_2) | instskip(NEXT) | instid1(VALU_DEP_2)
	v_add_f64 v[4:5], v[4:5], -v[26:27]
	v_fma_f64 v[216:217], v[218:219], v[24:25], v[216:217]
	s_delay_alu instid0(VALU_DEP_1) | instskip(SKIP_3) | instid1(VALU_DEP_1)
	v_add_f64 v[6:7], v[6:7], -v[216:217]
	ds_load_2addr_b64 v[216:219], v214 offset0:116 offset1:117
	s_waitcnt lgkmcnt(0)
	v_mul_f64 v[26:27], v[218:219], v[212:213]
	v_fma_f64 v[26:27], v[216:217], v[24:25], -v[26:27]
	v_mul_f64 v[216:217], v[216:217], v[212:213]
	s_delay_alu instid0(VALU_DEP_2) | instskip(NEXT) | instid1(VALU_DEP_2)
	v_add_f64 v[0:1], v[0:1], -v[26:27]
	v_fma_f64 v[216:217], v[218:219], v[24:25], v[216:217]
	v_dual_mov_b32 v26, v212 :: v_dual_mov_b32 v27, v213
	s_delay_alu instid0(VALU_DEP_2)
	v_add_f64 v[2:3], v[2:3], -v[216:217]
.LBB117_478:
	s_or_b32 exec_lo, exec_lo, s3
	s_delay_alu instid0(SALU_CYCLE_1)
	s_mov_b32 s4, exec_lo
	s_waitcnt lgkmcnt(0)
	s_barrier
	buffer_gl0_inv
	v_cmpx_eq_u32_e32 53, v208
	s_cbranch_execz .LBB117_485
; %bb.479:
	ds_store_2addr_b64 v209, v[20:21], v[22:23] offset1:1
	ds_store_2addr_b64 v214, v[16:17], v[18:19] offset0:108 offset1:109
	ds_store_2addr_b64 v214, v[12:13], v[14:15] offset0:110 offset1:111
	;; [unrolled: 1-line block ×5, first 2 shown]
	ds_load_2addr_b64 v[216:219], v209 offset1:1
	s_waitcnt lgkmcnt(0)
	v_cmp_neq_f64_e32 vcc_lo, 0, v[216:217]
	v_cmp_neq_f64_e64 s3, 0, v[218:219]
	s_delay_alu instid0(VALU_DEP_1) | instskip(NEXT) | instid1(SALU_CYCLE_1)
	s_or_b32 s3, vcc_lo, s3
	s_and_b32 exec_lo, exec_lo, s3
	s_cbranch_execz .LBB117_485
; %bb.480:
	v_cmp_gt_f64_e32 vcc_lo, 0, v[216:217]
	v_xor_b32_e32 v212, 0x80000000, v217
	v_xor_b32_e32 v215, 0x80000000, v219
	s_delay_alu instid0(VALU_DEP_2) | instskip(SKIP_2) | instid1(VALU_DEP_4)
	v_cndmask_b32_e32 v213, v217, v212, vcc_lo
	v_cndmask_b32_e32 v212, v216, v216, vcc_lo
	v_cmp_gt_f64_e32 vcc_lo, 0, v[218:219]
	v_dual_cndmask_b32 v221, v219, v215 :: v_dual_cndmask_b32 v220, v218, v218
	s_delay_alu instid0(VALU_DEP_1) | instskip(SKIP_1) | instid1(SALU_CYCLE_1)
	v_cmp_ngt_f64_e32 vcc_lo, v[212:213], v[220:221]
                                        ; implicit-def: $vgpr212_vgpr213
	s_and_saveexec_b32 s3, vcc_lo
	s_xor_b32 s3, exec_lo, s3
                                        ; implicit-def: $vgpr220_vgpr221_vgpr222_vgpr223
	s_cbranch_execz .LBB117_482
; %bb.481:
	v_div_scale_f64 v[212:213], null, v[218:219], v[218:219], v[216:217]
	v_div_scale_f64 v[224:225], vcc_lo, v[216:217], v[218:219], v[216:217]
	s_delay_alu instid0(VALU_DEP_2) | instskip(SKIP_2) | instid1(VALU_DEP_1)
	v_rcp_f64_e32 v[220:221], v[212:213]
	s_waitcnt_depctr 0xfff
	v_fma_f64 v[222:223], -v[212:213], v[220:221], 1.0
	v_fma_f64 v[220:221], v[220:221], v[222:223], v[220:221]
	s_delay_alu instid0(VALU_DEP_1) | instskip(NEXT) | instid1(VALU_DEP_1)
	v_fma_f64 v[222:223], -v[212:213], v[220:221], 1.0
	v_fma_f64 v[220:221], v[220:221], v[222:223], v[220:221]
	s_delay_alu instid0(VALU_DEP_1) | instskip(NEXT) | instid1(VALU_DEP_1)
	v_mul_f64 v[222:223], v[224:225], v[220:221]
	v_fma_f64 v[212:213], -v[212:213], v[222:223], v[224:225]
	s_delay_alu instid0(VALU_DEP_1) | instskip(NEXT) | instid1(VALU_DEP_1)
	v_div_fmas_f64 v[212:213], v[212:213], v[220:221], v[222:223]
	v_div_fixup_f64 v[212:213], v[212:213], v[218:219], v[216:217]
	s_delay_alu instid0(VALU_DEP_1) | instskip(NEXT) | instid1(VALU_DEP_1)
	v_fma_f64 v[216:217], v[216:217], v[212:213], v[218:219]
	v_div_scale_f64 v[218:219], null, v[216:217], v[216:217], 1.0
	s_delay_alu instid0(VALU_DEP_1) | instskip(SKIP_2) | instid1(VALU_DEP_1)
	v_rcp_f64_e32 v[220:221], v[218:219]
	s_waitcnt_depctr 0xfff
	v_fma_f64 v[222:223], -v[218:219], v[220:221], 1.0
	v_fma_f64 v[220:221], v[220:221], v[222:223], v[220:221]
	s_delay_alu instid0(VALU_DEP_1) | instskip(NEXT) | instid1(VALU_DEP_1)
	v_fma_f64 v[222:223], -v[218:219], v[220:221], 1.0
	v_fma_f64 v[220:221], v[220:221], v[222:223], v[220:221]
	v_div_scale_f64 v[222:223], vcc_lo, 1.0, v[216:217], 1.0
	s_delay_alu instid0(VALU_DEP_1) | instskip(NEXT) | instid1(VALU_DEP_1)
	v_mul_f64 v[224:225], v[222:223], v[220:221]
	v_fma_f64 v[218:219], -v[218:219], v[224:225], v[222:223]
	s_delay_alu instid0(VALU_DEP_1) | instskip(NEXT) | instid1(VALU_DEP_1)
	v_div_fmas_f64 v[218:219], v[218:219], v[220:221], v[224:225]
	v_div_fixup_f64 v[222:223], v[218:219], v[216:217], 1.0
                                        ; implicit-def: $vgpr216_vgpr217
	s_delay_alu instid0(VALU_DEP_1)
	v_mul_f64 v[212:213], v[212:213], v[222:223]
	v_xor_b32_e32 v223, 0x80000000, v223
.LBB117_482:
	s_and_not1_saveexec_b32 s3, s3
	s_cbranch_execz .LBB117_484
; %bb.483:
	v_div_scale_f64 v[212:213], null, v[216:217], v[216:217], v[218:219]
	v_div_scale_f64 v[224:225], vcc_lo, v[218:219], v[216:217], v[218:219]
	s_delay_alu instid0(VALU_DEP_2) | instskip(SKIP_2) | instid1(VALU_DEP_1)
	v_rcp_f64_e32 v[220:221], v[212:213]
	s_waitcnt_depctr 0xfff
	v_fma_f64 v[222:223], -v[212:213], v[220:221], 1.0
	v_fma_f64 v[220:221], v[220:221], v[222:223], v[220:221]
	s_delay_alu instid0(VALU_DEP_1) | instskip(NEXT) | instid1(VALU_DEP_1)
	v_fma_f64 v[222:223], -v[212:213], v[220:221], 1.0
	v_fma_f64 v[220:221], v[220:221], v[222:223], v[220:221]
	s_delay_alu instid0(VALU_DEP_1) | instskip(NEXT) | instid1(VALU_DEP_1)
	v_mul_f64 v[222:223], v[224:225], v[220:221]
	v_fma_f64 v[212:213], -v[212:213], v[222:223], v[224:225]
	s_delay_alu instid0(VALU_DEP_1) | instskip(NEXT) | instid1(VALU_DEP_1)
	v_div_fmas_f64 v[212:213], v[212:213], v[220:221], v[222:223]
	v_div_fixup_f64 v[220:221], v[212:213], v[216:217], v[218:219]
	s_delay_alu instid0(VALU_DEP_1) | instskip(NEXT) | instid1(VALU_DEP_1)
	v_fma_f64 v[212:213], v[218:219], v[220:221], v[216:217]
	v_div_scale_f64 v[216:217], null, v[212:213], v[212:213], 1.0
	s_delay_alu instid0(VALU_DEP_1) | instskip(SKIP_2) | instid1(VALU_DEP_1)
	v_rcp_f64_e32 v[218:219], v[216:217]
	s_waitcnt_depctr 0xfff
	v_fma_f64 v[222:223], -v[216:217], v[218:219], 1.0
	v_fma_f64 v[218:219], v[218:219], v[222:223], v[218:219]
	s_delay_alu instid0(VALU_DEP_1) | instskip(NEXT) | instid1(VALU_DEP_1)
	v_fma_f64 v[222:223], -v[216:217], v[218:219], 1.0
	v_fma_f64 v[218:219], v[218:219], v[222:223], v[218:219]
	v_div_scale_f64 v[222:223], vcc_lo, 1.0, v[212:213], 1.0
	s_delay_alu instid0(VALU_DEP_1) | instskip(NEXT) | instid1(VALU_DEP_1)
	v_mul_f64 v[224:225], v[222:223], v[218:219]
	v_fma_f64 v[216:217], -v[216:217], v[224:225], v[222:223]
	s_delay_alu instid0(VALU_DEP_1) | instskip(NEXT) | instid1(VALU_DEP_1)
	v_div_fmas_f64 v[216:217], v[216:217], v[218:219], v[224:225]
	v_div_fixup_f64 v[212:213], v[216:217], v[212:213], 1.0
	s_delay_alu instid0(VALU_DEP_1)
	v_mul_f64 v[222:223], v[220:221], -v[212:213]
.LBB117_484:
	s_or_b32 exec_lo, exec_lo, s3
	ds_store_2addr_b64 v209, v[212:213], v[222:223] offset1:1
.LBB117_485:
	s_or_b32 exec_lo, exec_lo, s4
	s_waitcnt lgkmcnt(0)
	s_barrier
	buffer_gl0_inv
	ds_load_2addr_b64 v[248:251], v209 offset1:1
	s_mov_b32 s3, exec_lo
	v_cmpx_lt_u32_e32 53, v208
	s_cbranch_execz .LBB117_487
; %bb.486:
	s_waitcnt lgkmcnt(0)
	v_mul_f64 v[212:213], v[248:249], v[22:23]
	v_mul_f64 v[22:23], v[250:251], v[22:23]
	ds_load_2addr_b64 v[216:219], v214 offset0:108 offset1:109
	v_fma_f64 v[212:213], v[250:251], v[20:21], v[212:213]
	v_fma_f64 v[20:21], v[248:249], v[20:21], -v[22:23]
	s_waitcnt lgkmcnt(0)
	s_delay_alu instid0(VALU_DEP_2) | instskip(NEXT) | instid1(VALU_DEP_1)
	v_mul_f64 v[22:23], v[218:219], v[212:213]
	v_fma_f64 v[22:23], v[216:217], v[20:21], -v[22:23]
	v_mul_f64 v[216:217], v[216:217], v[212:213]
	s_delay_alu instid0(VALU_DEP_2) | instskip(NEXT) | instid1(VALU_DEP_2)
	v_add_f64 v[16:17], v[16:17], -v[22:23]
	v_fma_f64 v[216:217], v[218:219], v[20:21], v[216:217]
	s_delay_alu instid0(VALU_DEP_1) | instskip(SKIP_3) | instid1(VALU_DEP_1)
	v_add_f64 v[18:19], v[18:19], -v[216:217]
	ds_load_2addr_b64 v[216:219], v214 offset0:110 offset1:111
	s_waitcnt lgkmcnt(0)
	v_mul_f64 v[22:23], v[218:219], v[212:213]
	v_fma_f64 v[22:23], v[216:217], v[20:21], -v[22:23]
	v_mul_f64 v[216:217], v[216:217], v[212:213]
	s_delay_alu instid0(VALU_DEP_2) | instskip(NEXT) | instid1(VALU_DEP_2)
	v_add_f64 v[12:13], v[12:13], -v[22:23]
	v_fma_f64 v[216:217], v[218:219], v[20:21], v[216:217]
	s_delay_alu instid0(VALU_DEP_1) | instskip(SKIP_3) | instid1(VALU_DEP_1)
	v_add_f64 v[14:15], v[14:15], -v[216:217]
	ds_load_2addr_b64 v[216:219], v214 offset0:112 offset1:113
	s_waitcnt lgkmcnt(0)
	;; [unrolled: 10-line block ×4, first 2 shown]
	v_mul_f64 v[22:23], v[218:219], v[212:213]
	v_fma_f64 v[22:23], v[216:217], v[20:21], -v[22:23]
	v_mul_f64 v[216:217], v[216:217], v[212:213]
	s_delay_alu instid0(VALU_DEP_2) | instskip(NEXT) | instid1(VALU_DEP_2)
	v_add_f64 v[0:1], v[0:1], -v[22:23]
	v_fma_f64 v[216:217], v[218:219], v[20:21], v[216:217]
	v_dual_mov_b32 v22, v212 :: v_dual_mov_b32 v23, v213
	s_delay_alu instid0(VALU_DEP_2)
	v_add_f64 v[2:3], v[2:3], -v[216:217]
.LBB117_487:
	s_or_b32 exec_lo, exec_lo, s3
	s_delay_alu instid0(SALU_CYCLE_1)
	s_mov_b32 s4, exec_lo
	s_waitcnt lgkmcnt(0)
	s_barrier
	buffer_gl0_inv
	v_cmpx_eq_u32_e32 54, v208
	s_cbranch_execz .LBB117_494
; %bb.488:
	ds_store_2addr_b64 v209, v[16:17], v[18:19] offset1:1
	ds_store_2addr_b64 v214, v[12:13], v[14:15] offset0:110 offset1:111
	ds_store_2addr_b64 v214, v[8:9], v[10:11] offset0:112 offset1:113
	;; [unrolled: 1-line block ×4, first 2 shown]
	ds_load_2addr_b64 v[216:219], v209 offset1:1
	s_waitcnt lgkmcnt(0)
	v_cmp_neq_f64_e32 vcc_lo, 0, v[216:217]
	v_cmp_neq_f64_e64 s3, 0, v[218:219]
	s_delay_alu instid0(VALU_DEP_1) | instskip(NEXT) | instid1(SALU_CYCLE_1)
	s_or_b32 s3, vcc_lo, s3
	s_and_b32 exec_lo, exec_lo, s3
	s_cbranch_execz .LBB117_494
; %bb.489:
	v_cmp_gt_f64_e32 vcc_lo, 0, v[216:217]
	v_xor_b32_e32 v212, 0x80000000, v217
	v_xor_b32_e32 v215, 0x80000000, v219
	s_delay_alu instid0(VALU_DEP_2) | instskip(SKIP_2) | instid1(VALU_DEP_4)
	v_cndmask_b32_e32 v213, v217, v212, vcc_lo
	v_cndmask_b32_e32 v212, v216, v216, vcc_lo
	v_cmp_gt_f64_e32 vcc_lo, 0, v[218:219]
	v_dual_cndmask_b32 v221, v219, v215 :: v_dual_cndmask_b32 v220, v218, v218
	s_delay_alu instid0(VALU_DEP_1) | instskip(SKIP_1) | instid1(SALU_CYCLE_1)
	v_cmp_ngt_f64_e32 vcc_lo, v[212:213], v[220:221]
                                        ; implicit-def: $vgpr212_vgpr213
	s_and_saveexec_b32 s3, vcc_lo
	s_xor_b32 s3, exec_lo, s3
                                        ; implicit-def: $vgpr220_vgpr221_vgpr222_vgpr223
	s_cbranch_execz .LBB117_491
; %bb.490:
	v_div_scale_f64 v[212:213], null, v[218:219], v[218:219], v[216:217]
	v_div_scale_f64 v[224:225], vcc_lo, v[216:217], v[218:219], v[216:217]
	s_delay_alu instid0(VALU_DEP_2) | instskip(SKIP_2) | instid1(VALU_DEP_1)
	v_rcp_f64_e32 v[220:221], v[212:213]
	s_waitcnt_depctr 0xfff
	v_fma_f64 v[222:223], -v[212:213], v[220:221], 1.0
	v_fma_f64 v[220:221], v[220:221], v[222:223], v[220:221]
	s_delay_alu instid0(VALU_DEP_1) | instskip(NEXT) | instid1(VALU_DEP_1)
	v_fma_f64 v[222:223], -v[212:213], v[220:221], 1.0
	v_fma_f64 v[220:221], v[220:221], v[222:223], v[220:221]
	s_delay_alu instid0(VALU_DEP_1) | instskip(NEXT) | instid1(VALU_DEP_1)
	v_mul_f64 v[222:223], v[224:225], v[220:221]
	v_fma_f64 v[212:213], -v[212:213], v[222:223], v[224:225]
	s_delay_alu instid0(VALU_DEP_1) | instskip(NEXT) | instid1(VALU_DEP_1)
	v_div_fmas_f64 v[212:213], v[212:213], v[220:221], v[222:223]
	v_div_fixup_f64 v[212:213], v[212:213], v[218:219], v[216:217]
	s_delay_alu instid0(VALU_DEP_1) | instskip(NEXT) | instid1(VALU_DEP_1)
	v_fma_f64 v[216:217], v[216:217], v[212:213], v[218:219]
	v_div_scale_f64 v[218:219], null, v[216:217], v[216:217], 1.0
	s_delay_alu instid0(VALU_DEP_1) | instskip(SKIP_2) | instid1(VALU_DEP_1)
	v_rcp_f64_e32 v[220:221], v[218:219]
	s_waitcnt_depctr 0xfff
	v_fma_f64 v[222:223], -v[218:219], v[220:221], 1.0
	v_fma_f64 v[220:221], v[220:221], v[222:223], v[220:221]
	s_delay_alu instid0(VALU_DEP_1) | instskip(NEXT) | instid1(VALU_DEP_1)
	v_fma_f64 v[222:223], -v[218:219], v[220:221], 1.0
	v_fma_f64 v[220:221], v[220:221], v[222:223], v[220:221]
	v_div_scale_f64 v[222:223], vcc_lo, 1.0, v[216:217], 1.0
	s_delay_alu instid0(VALU_DEP_1) | instskip(NEXT) | instid1(VALU_DEP_1)
	v_mul_f64 v[224:225], v[222:223], v[220:221]
	v_fma_f64 v[218:219], -v[218:219], v[224:225], v[222:223]
	s_delay_alu instid0(VALU_DEP_1) | instskip(NEXT) | instid1(VALU_DEP_1)
	v_div_fmas_f64 v[218:219], v[218:219], v[220:221], v[224:225]
	v_div_fixup_f64 v[222:223], v[218:219], v[216:217], 1.0
                                        ; implicit-def: $vgpr216_vgpr217
	s_delay_alu instid0(VALU_DEP_1)
	v_mul_f64 v[212:213], v[212:213], v[222:223]
	v_xor_b32_e32 v223, 0x80000000, v223
.LBB117_491:
	s_and_not1_saveexec_b32 s3, s3
	s_cbranch_execz .LBB117_493
; %bb.492:
	v_div_scale_f64 v[212:213], null, v[216:217], v[216:217], v[218:219]
	v_div_scale_f64 v[224:225], vcc_lo, v[218:219], v[216:217], v[218:219]
	s_delay_alu instid0(VALU_DEP_2) | instskip(SKIP_2) | instid1(VALU_DEP_1)
	v_rcp_f64_e32 v[220:221], v[212:213]
	s_waitcnt_depctr 0xfff
	v_fma_f64 v[222:223], -v[212:213], v[220:221], 1.0
	v_fma_f64 v[220:221], v[220:221], v[222:223], v[220:221]
	s_delay_alu instid0(VALU_DEP_1) | instskip(NEXT) | instid1(VALU_DEP_1)
	v_fma_f64 v[222:223], -v[212:213], v[220:221], 1.0
	v_fma_f64 v[220:221], v[220:221], v[222:223], v[220:221]
	s_delay_alu instid0(VALU_DEP_1) | instskip(NEXT) | instid1(VALU_DEP_1)
	v_mul_f64 v[222:223], v[224:225], v[220:221]
	v_fma_f64 v[212:213], -v[212:213], v[222:223], v[224:225]
	s_delay_alu instid0(VALU_DEP_1) | instskip(NEXT) | instid1(VALU_DEP_1)
	v_div_fmas_f64 v[212:213], v[212:213], v[220:221], v[222:223]
	v_div_fixup_f64 v[220:221], v[212:213], v[216:217], v[218:219]
	s_delay_alu instid0(VALU_DEP_1) | instskip(NEXT) | instid1(VALU_DEP_1)
	v_fma_f64 v[212:213], v[218:219], v[220:221], v[216:217]
	v_div_scale_f64 v[216:217], null, v[212:213], v[212:213], 1.0
	s_delay_alu instid0(VALU_DEP_1) | instskip(SKIP_2) | instid1(VALU_DEP_1)
	v_rcp_f64_e32 v[218:219], v[216:217]
	s_waitcnt_depctr 0xfff
	v_fma_f64 v[222:223], -v[216:217], v[218:219], 1.0
	v_fma_f64 v[218:219], v[218:219], v[222:223], v[218:219]
	s_delay_alu instid0(VALU_DEP_1) | instskip(NEXT) | instid1(VALU_DEP_1)
	v_fma_f64 v[222:223], -v[216:217], v[218:219], 1.0
	v_fma_f64 v[218:219], v[218:219], v[222:223], v[218:219]
	v_div_scale_f64 v[222:223], vcc_lo, 1.0, v[212:213], 1.0
	s_delay_alu instid0(VALU_DEP_1) | instskip(NEXT) | instid1(VALU_DEP_1)
	v_mul_f64 v[224:225], v[222:223], v[218:219]
	v_fma_f64 v[216:217], -v[216:217], v[224:225], v[222:223]
	s_delay_alu instid0(VALU_DEP_1) | instskip(NEXT) | instid1(VALU_DEP_1)
	v_div_fmas_f64 v[216:217], v[216:217], v[218:219], v[224:225]
	v_div_fixup_f64 v[212:213], v[216:217], v[212:213], 1.0
	s_delay_alu instid0(VALU_DEP_1)
	v_mul_f64 v[222:223], v[220:221], -v[212:213]
.LBB117_493:
	s_or_b32 exec_lo, exec_lo, s3
	ds_store_2addr_b64 v209, v[212:213], v[222:223] offset1:1
.LBB117_494:
	s_or_b32 exec_lo, exec_lo, s4
	s_waitcnt lgkmcnt(0)
	s_barrier
	buffer_gl0_inv
	ds_load_2addr_b64 v[232:235], v209 offset1:1
	s_mov_b32 s3, exec_lo
	v_cmpx_lt_u32_e32 54, v208
	s_cbranch_execz .LBB117_496
; %bb.495:
	s_waitcnt lgkmcnt(0)
	v_mul_f64 v[212:213], v[232:233], v[18:19]
	v_mul_f64 v[18:19], v[234:235], v[18:19]
	ds_load_2addr_b64 v[216:219], v214 offset0:110 offset1:111
	v_fma_f64 v[212:213], v[234:235], v[16:17], v[212:213]
	v_fma_f64 v[16:17], v[232:233], v[16:17], -v[18:19]
	s_waitcnt lgkmcnt(0)
	s_delay_alu instid0(VALU_DEP_2) | instskip(NEXT) | instid1(VALU_DEP_1)
	v_mul_f64 v[18:19], v[218:219], v[212:213]
	v_fma_f64 v[18:19], v[216:217], v[16:17], -v[18:19]
	v_mul_f64 v[216:217], v[216:217], v[212:213]
	s_delay_alu instid0(VALU_DEP_2) | instskip(NEXT) | instid1(VALU_DEP_2)
	v_add_f64 v[12:13], v[12:13], -v[18:19]
	v_fma_f64 v[216:217], v[218:219], v[16:17], v[216:217]
	s_delay_alu instid0(VALU_DEP_1) | instskip(SKIP_3) | instid1(VALU_DEP_1)
	v_add_f64 v[14:15], v[14:15], -v[216:217]
	ds_load_2addr_b64 v[216:219], v214 offset0:112 offset1:113
	s_waitcnt lgkmcnt(0)
	v_mul_f64 v[18:19], v[218:219], v[212:213]
	v_fma_f64 v[18:19], v[216:217], v[16:17], -v[18:19]
	v_mul_f64 v[216:217], v[216:217], v[212:213]
	s_delay_alu instid0(VALU_DEP_2) | instskip(NEXT) | instid1(VALU_DEP_2)
	v_add_f64 v[8:9], v[8:9], -v[18:19]
	v_fma_f64 v[216:217], v[218:219], v[16:17], v[216:217]
	s_delay_alu instid0(VALU_DEP_1) | instskip(SKIP_3) | instid1(VALU_DEP_1)
	v_add_f64 v[10:11], v[10:11], -v[216:217]
	ds_load_2addr_b64 v[216:219], v214 offset0:114 offset1:115
	s_waitcnt lgkmcnt(0)
	;; [unrolled: 10-line block ×3, first 2 shown]
	v_mul_f64 v[18:19], v[218:219], v[212:213]
	v_fma_f64 v[18:19], v[216:217], v[16:17], -v[18:19]
	v_mul_f64 v[216:217], v[216:217], v[212:213]
	s_delay_alu instid0(VALU_DEP_2) | instskip(NEXT) | instid1(VALU_DEP_2)
	v_add_f64 v[0:1], v[0:1], -v[18:19]
	v_fma_f64 v[216:217], v[218:219], v[16:17], v[216:217]
	v_dual_mov_b32 v18, v212 :: v_dual_mov_b32 v19, v213
	s_delay_alu instid0(VALU_DEP_2)
	v_add_f64 v[2:3], v[2:3], -v[216:217]
.LBB117_496:
	s_or_b32 exec_lo, exec_lo, s3
	s_delay_alu instid0(SALU_CYCLE_1)
	s_mov_b32 s4, exec_lo
	s_waitcnt lgkmcnt(0)
	s_barrier
	buffer_gl0_inv
	v_cmpx_eq_u32_e32 55, v208
	s_cbranch_execz .LBB117_503
; %bb.497:
	ds_store_2addr_b64 v209, v[12:13], v[14:15] offset1:1
	ds_store_2addr_b64 v214, v[8:9], v[10:11] offset0:112 offset1:113
	ds_store_2addr_b64 v214, v[4:5], v[6:7] offset0:114 offset1:115
	;; [unrolled: 1-line block ×3, first 2 shown]
	ds_load_2addr_b64 v[216:219], v209 offset1:1
	s_waitcnt lgkmcnt(0)
	v_cmp_neq_f64_e32 vcc_lo, 0, v[216:217]
	v_cmp_neq_f64_e64 s3, 0, v[218:219]
	s_delay_alu instid0(VALU_DEP_1) | instskip(NEXT) | instid1(SALU_CYCLE_1)
	s_or_b32 s3, vcc_lo, s3
	s_and_b32 exec_lo, exec_lo, s3
	s_cbranch_execz .LBB117_503
; %bb.498:
	v_cmp_gt_f64_e32 vcc_lo, 0, v[216:217]
	v_xor_b32_e32 v212, 0x80000000, v217
	v_xor_b32_e32 v215, 0x80000000, v219
	s_delay_alu instid0(VALU_DEP_2) | instskip(SKIP_2) | instid1(VALU_DEP_4)
	v_cndmask_b32_e32 v213, v217, v212, vcc_lo
	v_cndmask_b32_e32 v212, v216, v216, vcc_lo
	v_cmp_gt_f64_e32 vcc_lo, 0, v[218:219]
	v_dual_cndmask_b32 v221, v219, v215 :: v_dual_cndmask_b32 v220, v218, v218
	s_delay_alu instid0(VALU_DEP_1) | instskip(SKIP_1) | instid1(SALU_CYCLE_1)
	v_cmp_ngt_f64_e32 vcc_lo, v[212:213], v[220:221]
                                        ; implicit-def: $vgpr212_vgpr213
	s_and_saveexec_b32 s3, vcc_lo
	s_xor_b32 s3, exec_lo, s3
                                        ; implicit-def: $vgpr220_vgpr221_vgpr222_vgpr223
	s_cbranch_execz .LBB117_500
; %bb.499:
	v_div_scale_f64 v[212:213], null, v[218:219], v[218:219], v[216:217]
	v_div_scale_f64 v[224:225], vcc_lo, v[216:217], v[218:219], v[216:217]
	s_delay_alu instid0(VALU_DEP_2) | instskip(SKIP_2) | instid1(VALU_DEP_1)
	v_rcp_f64_e32 v[220:221], v[212:213]
	s_waitcnt_depctr 0xfff
	v_fma_f64 v[222:223], -v[212:213], v[220:221], 1.0
	v_fma_f64 v[220:221], v[220:221], v[222:223], v[220:221]
	s_delay_alu instid0(VALU_DEP_1) | instskip(NEXT) | instid1(VALU_DEP_1)
	v_fma_f64 v[222:223], -v[212:213], v[220:221], 1.0
	v_fma_f64 v[220:221], v[220:221], v[222:223], v[220:221]
	s_delay_alu instid0(VALU_DEP_1) | instskip(NEXT) | instid1(VALU_DEP_1)
	v_mul_f64 v[222:223], v[224:225], v[220:221]
	v_fma_f64 v[212:213], -v[212:213], v[222:223], v[224:225]
	s_delay_alu instid0(VALU_DEP_1) | instskip(NEXT) | instid1(VALU_DEP_1)
	v_div_fmas_f64 v[212:213], v[212:213], v[220:221], v[222:223]
	v_div_fixup_f64 v[212:213], v[212:213], v[218:219], v[216:217]
	s_delay_alu instid0(VALU_DEP_1) | instskip(NEXT) | instid1(VALU_DEP_1)
	v_fma_f64 v[216:217], v[216:217], v[212:213], v[218:219]
	v_div_scale_f64 v[218:219], null, v[216:217], v[216:217], 1.0
	s_delay_alu instid0(VALU_DEP_1) | instskip(SKIP_2) | instid1(VALU_DEP_1)
	v_rcp_f64_e32 v[220:221], v[218:219]
	s_waitcnt_depctr 0xfff
	v_fma_f64 v[222:223], -v[218:219], v[220:221], 1.0
	v_fma_f64 v[220:221], v[220:221], v[222:223], v[220:221]
	s_delay_alu instid0(VALU_DEP_1) | instskip(NEXT) | instid1(VALU_DEP_1)
	v_fma_f64 v[222:223], -v[218:219], v[220:221], 1.0
	v_fma_f64 v[220:221], v[220:221], v[222:223], v[220:221]
	v_div_scale_f64 v[222:223], vcc_lo, 1.0, v[216:217], 1.0
	s_delay_alu instid0(VALU_DEP_1) | instskip(NEXT) | instid1(VALU_DEP_1)
	v_mul_f64 v[224:225], v[222:223], v[220:221]
	v_fma_f64 v[218:219], -v[218:219], v[224:225], v[222:223]
	s_delay_alu instid0(VALU_DEP_1) | instskip(NEXT) | instid1(VALU_DEP_1)
	v_div_fmas_f64 v[218:219], v[218:219], v[220:221], v[224:225]
	v_div_fixup_f64 v[222:223], v[218:219], v[216:217], 1.0
                                        ; implicit-def: $vgpr216_vgpr217
	s_delay_alu instid0(VALU_DEP_1)
	v_mul_f64 v[212:213], v[212:213], v[222:223]
	v_xor_b32_e32 v223, 0x80000000, v223
.LBB117_500:
	s_and_not1_saveexec_b32 s3, s3
	s_cbranch_execz .LBB117_502
; %bb.501:
	v_div_scale_f64 v[212:213], null, v[216:217], v[216:217], v[218:219]
	v_div_scale_f64 v[224:225], vcc_lo, v[218:219], v[216:217], v[218:219]
	s_delay_alu instid0(VALU_DEP_2) | instskip(SKIP_2) | instid1(VALU_DEP_1)
	v_rcp_f64_e32 v[220:221], v[212:213]
	s_waitcnt_depctr 0xfff
	v_fma_f64 v[222:223], -v[212:213], v[220:221], 1.0
	v_fma_f64 v[220:221], v[220:221], v[222:223], v[220:221]
	s_delay_alu instid0(VALU_DEP_1) | instskip(NEXT) | instid1(VALU_DEP_1)
	v_fma_f64 v[222:223], -v[212:213], v[220:221], 1.0
	v_fma_f64 v[220:221], v[220:221], v[222:223], v[220:221]
	s_delay_alu instid0(VALU_DEP_1) | instskip(NEXT) | instid1(VALU_DEP_1)
	v_mul_f64 v[222:223], v[224:225], v[220:221]
	v_fma_f64 v[212:213], -v[212:213], v[222:223], v[224:225]
	s_delay_alu instid0(VALU_DEP_1) | instskip(NEXT) | instid1(VALU_DEP_1)
	v_div_fmas_f64 v[212:213], v[212:213], v[220:221], v[222:223]
	v_div_fixup_f64 v[220:221], v[212:213], v[216:217], v[218:219]
	s_delay_alu instid0(VALU_DEP_1) | instskip(NEXT) | instid1(VALU_DEP_1)
	v_fma_f64 v[212:213], v[218:219], v[220:221], v[216:217]
	v_div_scale_f64 v[216:217], null, v[212:213], v[212:213], 1.0
	s_delay_alu instid0(VALU_DEP_1) | instskip(SKIP_2) | instid1(VALU_DEP_1)
	v_rcp_f64_e32 v[218:219], v[216:217]
	s_waitcnt_depctr 0xfff
	v_fma_f64 v[222:223], -v[216:217], v[218:219], 1.0
	v_fma_f64 v[218:219], v[218:219], v[222:223], v[218:219]
	s_delay_alu instid0(VALU_DEP_1) | instskip(NEXT) | instid1(VALU_DEP_1)
	v_fma_f64 v[222:223], -v[216:217], v[218:219], 1.0
	v_fma_f64 v[218:219], v[218:219], v[222:223], v[218:219]
	v_div_scale_f64 v[222:223], vcc_lo, 1.0, v[212:213], 1.0
	s_delay_alu instid0(VALU_DEP_1) | instskip(NEXT) | instid1(VALU_DEP_1)
	v_mul_f64 v[224:225], v[222:223], v[218:219]
	v_fma_f64 v[216:217], -v[216:217], v[224:225], v[222:223]
	s_delay_alu instid0(VALU_DEP_1) | instskip(NEXT) | instid1(VALU_DEP_1)
	v_div_fmas_f64 v[216:217], v[216:217], v[218:219], v[224:225]
	v_div_fixup_f64 v[212:213], v[216:217], v[212:213], 1.0
	s_delay_alu instid0(VALU_DEP_1)
	v_mul_f64 v[222:223], v[220:221], -v[212:213]
.LBB117_502:
	s_or_b32 exec_lo, exec_lo, s3
	ds_store_2addr_b64 v209, v[212:213], v[222:223] offset1:1
.LBB117_503:
	s_or_b32 exec_lo, exec_lo, s4
	s_waitcnt lgkmcnt(0)
	s_barrier
	buffer_gl0_inv
	ds_load_2addr_b64 v[228:231], v209 offset1:1
	s_mov_b32 s3, exec_lo
	v_cmpx_lt_u32_e32 55, v208
	s_cbranch_execz .LBB117_505
; %bb.504:
	s_waitcnt lgkmcnt(0)
	v_mul_f64 v[212:213], v[228:229], v[14:15]
	v_mul_f64 v[14:15], v[230:231], v[14:15]
	ds_load_2addr_b64 v[216:219], v214 offset0:112 offset1:113
	v_fma_f64 v[212:213], v[230:231], v[12:13], v[212:213]
	v_fma_f64 v[12:13], v[228:229], v[12:13], -v[14:15]
	s_waitcnt lgkmcnt(0)
	s_delay_alu instid0(VALU_DEP_2) | instskip(NEXT) | instid1(VALU_DEP_1)
	v_mul_f64 v[14:15], v[218:219], v[212:213]
	v_fma_f64 v[14:15], v[216:217], v[12:13], -v[14:15]
	v_mul_f64 v[216:217], v[216:217], v[212:213]
	s_delay_alu instid0(VALU_DEP_2) | instskip(NEXT) | instid1(VALU_DEP_2)
	v_add_f64 v[8:9], v[8:9], -v[14:15]
	v_fma_f64 v[216:217], v[218:219], v[12:13], v[216:217]
	s_delay_alu instid0(VALU_DEP_1) | instskip(SKIP_3) | instid1(VALU_DEP_1)
	v_add_f64 v[10:11], v[10:11], -v[216:217]
	ds_load_2addr_b64 v[216:219], v214 offset0:114 offset1:115
	s_waitcnt lgkmcnt(0)
	v_mul_f64 v[14:15], v[218:219], v[212:213]
	v_fma_f64 v[14:15], v[216:217], v[12:13], -v[14:15]
	v_mul_f64 v[216:217], v[216:217], v[212:213]
	s_delay_alu instid0(VALU_DEP_2) | instskip(NEXT) | instid1(VALU_DEP_2)
	v_add_f64 v[4:5], v[4:5], -v[14:15]
	v_fma_f64 v[216:217], v[218:219], v[12:13], v[216:217]
	s_delay_alu instid0(VALU_DEP_1) | instskip(SKIP_3) | instid1(VALU_DEP_1)
	v_add_f64 v[6:7], v[6:7], -v[216:217]
	ds_load_2addr_b64 v[216:219], v214 offset0:116 offset1:117
	s_waitcnt lgkmcnt(0)
	v_mul_f64 v[14:15], v[218:219], v[212:213]
	v_fma_f64 v[14:15], v[216:217], v[12:13], -v[14:15]
	v_mul_f64 v[216:217], v[216:217], v[212:213]
	s_delay_alu instid0(VALU_DEP_2) | instskip(NEXT) | instid1(VALU_DEP_2)
	v_add_f64 v[0:1], v[0:1], -v[14:15]
	v_fma_f64 v[216:217], v[218:219], v[12:13], v[216:217]
	v_dual_mov_b32 v14, v212 :: v_dual_mov_b32 v15, v213
	s_delay_alu instid0(VALU_DEP_2)
	v_add_f64 v[2:3], v[2:3], -v[216:217]
.LBB117_505:
	s_or_b32 exec_lo, exec_lo, s3
	s_delay_alu instid0(SALU_CYCLE_1)
	s_mov_b32 s4, exec_lo
	s_waitcnt lgkmcnt(0)
	s_barrier
	buffer_gl0_inv
	v_cmpx_eq_u32_e32 56, v208
	s_cbranch_execz .LBB117_512
; %bb.506:
	ds_store_2addr_b64 v209, v[8:9], v[10:11] offset1:1
	ds_store_2addr_b64 v214, v[4:5], v[6:7] offset0:114 offset1:115
	ds_store_2addr_b64 v214, v[0:1], v[2:3] offset0:116 offset1:117
	ds_load_2addr_b64 v[216:219], v209 offset1:1
	s_waitcnt lgkmcnt(0)
	v_cmp_neq_f64_e32 vcc_lo, 0, v[216:217]
	v_cmp_neq_f64_e64 s3, 0, v[218:219]
	s_delay_alu instid0(VALU_DEP_1) | instskip(NEXT) | instid1(SALU_CYCLE_1)
	s_or_b32 s3, vcc_lo, s3
	s_and_b32 exec_lo, exec_lo, s3
	s_cbranch_execz .LBB117_512
; %bb.507:
	v_cmp_gt_f64_e32 vcc_lo, 0, v[216:217]
	v_xor_b32_e32 v212, 0x80000000, v217
	v_xor_b32_e32 v215, 0x80000000, v219
	s_delay_alu instid0(VALU_DEP_2) | instskip(SKIP_2) | instid1(VALU_DEP_4)
	v_cndmask_b32_e32 v213, v217, v212, vcc_lo
	v_cndmask_b32_e32 v212, v216, v216, vcc_lo
	v_cmp_gt_f64_e32 vcc_lo, 0, v[218:219]
	v_dual_cndmask_b32 v221, v219, v215 :: v_dual_cndmask_b32 v220, v218, v218
	s_delay_alu instid0(VALU_DEP_1) | instskip(SKIP_1) | instid1(SALU_CYCLE_1)
	v_cmp_ngt_f64_e32 vcc_lo, v[212:213], v[220:221]
                                        ; implicit-def: $vgpr212_vgpr213
	s_and_saveexec_b32 s3, vcc_lo
	s_xor_b32 s3, exec_lo, s3
                                        ; implicit-def: $vgpr220_vgpr221_vgpr222_vgpr223
	s_cbranch_execz .LBB117_509
; %bb.508:
	v_div_scale_f64 v[212:213], null, v[218:219], v[218:219], v[216:217]
	v_div_scale_f64 v[224:225], vcc_lo, v[216:217], v[218:219], v[216:217]
	s_delay_alu instid0(VALU_DEP_2) | instskip(SKIP_2) | instid1(VALU_DEP_1)
	v_rcp_f64_e32 v[220:221], v[212:213]
	s_waitcnt_depctr 0xfff
	v_fma_f64 v[222:223], -v[212:213], v[220:221], 1.0
	v_fma_f64 v[220:221], v[220:221], v[222:223], v[220:221]
	s_delay_alu instid0(VALU_DEP_1) | instskip(NEXT) | instid1(VALU_DEP_1)
	v_fma_f64 v[222:223], -v[212:213], v[220:221], 1.0
	v_fma_f64 v[220:221], v[220:221], v[222:223], v[220:221]
	s_delay_alu instid0(VALU_DEP_1) | instskip(NEXT) | instid1(VALU_DEP_1)
	v_mul_f64 v[222:223], v[224:225], v[220:221]
	v_fma_f64 v[212:213], -v[212:213], v[222:223], v[224:225]
	s_delay_alu instid0(VALU_DEP_1) | instskip(NEXT) | instid1(VALU_DEP_1)
	v_div_fmas_f64 v[212:213], v[212:213], v[220:221], v[222:223]
	v_div_fixup_f64 v[212:213], v[212:213], v[218:219], v[216:217]
	s_delay_alu instid0(VALU_DEP_1) | instskip(NEXT) | instid1(VALU_DEP_1)
	v_fma_f64 v[216:217], v[216:217], v[212:213], v[218:219]
	v_div_scale_f64 v[218:219], null, v[216:217], v[216:217], 1.0
	s_delay_alu instid0(VALU_DEP_1) | instskip(SKIP_2) | instid1(VALU_DEP_1)
	v_rcp_f64_e32 v[220:221], v[218:219]
	s_waitcnt_depctr 0xfff
	v_fma_f64 v[222:223], -v[218:219], v[220:221], 1.0
	v_fma_f64 v[220:221], v[220:221], v[222:223], v[220:221]
	s_delay_alu instid0(VALU_DEP_1) | instskip(NEXT) | instid1(VALU_DEP_1)
	v_fma_f64 v[222:223], -v[218:219], v[220:221], 1.0
	v_fma_f64 v[220:221], v[220:221], v[222:223], v[220:221]
	v_div_scale_f64 v[222:223], vcc_lo, 1.0, v[216:217], 1.0
	s_delay_alu instid0(VALU_DEP_1) | instskip(NEXT) | instid1(VALU_DEP_1)
	v_mul_f64 v[224:225], v[222:223], v[220:221]
	v_fma_f64 v[218:219], -v[218:219], v[224:225], v[222:223]
	s_delay_alu instid0(VALU_DEP_1) | instskip(NEXT) | instid1(VALU_DEP_1)
	v_div_fmas_f64 v[218:219], v[218:219], v[220:221], v[224:225]
	v_div_fixup_f64 v[222:223], v[218:219], v[216:217], 1.0
                                        ; implicit-def: $vgpr216_vgpr217
	s_delay_alu instid0(VALU_DEP_1)
	v_mul_f64 v[212:213], v[212:213], v[222:223]
	v_xor_b32_e32 v223, 0x80000000, v223
.LBB117_509:
	s_and_not1_saveexec_b32 s3, s3
	s_cbranch_execz .LBB117_511
; %bb.510:
	v_div_scale_f64 v[212:213], null, v[216:217], v[216:217], v[218:219]
	v_div_scale_f64 v[224:225], vcc_lo, v[218:219], v[216:217], v[218:219]
	s_delay_alu instid0(VALU_DEP_2) | instskip(SKIP_2) | instid1(VALU_DEP_1)
	v_rcp_f64_e32 v[220:221], v[212:213]
	s_waitcnt_depctr 0xfff
	v_fma_f64 v[222:223], -v[212:213], v[220:221], 1.0
	v_fma_f64 v[220:221], v[220:221], v[222:223], v[220:221]
	s_delay_alu instid0(VALU_DEP_1) | instskip(NEXT) | instid1(VALU_DEP_1)
	v_fma_f64 v[222:223], -v[212:213], v[220:221], 1.0
	v_fma_f64 v[220:221], v[220:221], v[222:223], v[220:221]
	s_delay_alu instid0(VALU_DEP_1) | instskip(NEXT) | instid1(VALU_DEP_1)
	v_mul_f64 v[222:223], v[224:225], v[220:221]
	v_fma_f64 v[212:213], -v[212:213], v[222:223], v[224:225]
	s_delay_alu instid0(VALU_DEP_1) | instskip(NEXT) | instid1(VALU_DEP_1)
	v_div_fmas_f64 v[212:213], v[212:213], v[220:221], v[222:223]
	v_div_fixup_f64 v[220:221], v[212:213], v[216:217], v[218:219]
	s_delay_alu instid0(VALU_DEP_1) | instskip(NEXT) | instid1(VALU_DEP_1)
	v_fma_f64 v[212:213], v[218:219], v[220:221], v[216:217]
	v_div_scale_f64 v[216:217], null, v[212:213], v[212:213], 1.0
	s_delay_alu instid0(VALU_DEP_1) | instskip(SKIP_2) | instid1(VALU_DEP_1)
	v_rcp_f64_e32 v[218:219], v[216:217]
	s_waitcnt_depctr 0xfff
	v_fma_f64 v[222:223], -v[216:217], v[218:219], 1.0
	v_fma_f64 v[218:219], v[218:219], v[222:223], v[218:219]
	s_delay_alu instid0(VALU_DEP_1) | instskip(NEXT) | instid1(VALU_DEP_1)
	v_fma_f64 v[222:223], -v[216:217], v[218:219], 1.0
	v_fma_f64 v[218:219], v[218:219], v[222:223], v[218:219]
	v_div_scale_f64 v[222:223], vcc_lo, 1.0, v[212:213], 1.0
	s_delay_alu instid0(VALU_DEP_1) | instskip(NEXT) | instid1(VALU_DEP_1)
	v_mul_f64 v[224:225], v[222:223], v[218:219]
	v_fma_f64 v[216:217], -v[216:217], v[224:225], v[222:223]
	s_delay_alu instid0(VALU_DEP_1) | instskip(NEXT) | instid1(VALU_DEP_1)
	v_div_fmas_f64 v[216:217], v[216:217], v[218:219], v[224:225]
	v_div_fixup_f64 v[212:213], v[216:217], v[212:213], 1.0
	s_delay_alu instid0(VALU_DEP_1)
	v_mul_f64 v[222:223], v[220:221], -v[212:213]
.LBB117_511:
	s_or_b32 exec_lo, exec_lo, s3
	ds_store_2addr_b64 v209, v[212:213], v[222:223] offset1:1
.LBB117_512:
	s_or_b32 exec_lo, exec_lo, s4
	s_waitcnt lgkmcnt(0)
	s_barrier
	buffer_gl0_inv
	ds_load_2addr_b64 v[224:227], v209 offset1:1
	s_mov_b32 s3, exec_lo
	v_cmpx_lt_u32_e32 56, v208
	s_cbranch_execz .LBB117_514
; %bb.513:
	s_waitcnt lgkmcnt(0)
	v_mul_f64 v[212:213], v[224:225], v[10:11]
	v_mul_f64 v[10:11], v[226:227], v[10:11]
	ds_load_2addr_b64 v[216:219], v214 offset0:114 offset1:115
	v_fma_f64 v[212:213], v[226:227], v[8:9], v[212:213]
	v_fma_f64 v[8:9], v[224:225], v[8:9], -v[10:11]
	s_waitcnt lgkmcnt(0)
	s_delay_alu instid0(VALU_DEP_2) | instskip(NEXT) | instid1(VALU_DEP_1)
	v_mul_f64 v[10:11], v[218:219], v[212:213]
	v_fma_f64 v[10:11], v[216:217], v[8:9], -v[10:11]
	v_mul_f64 v[216:217], v[216:217], v[212:213]
	s_delay_alu instid0(VALU_DEP_2) | instskip(NEXT) | instid1(VALU_DEP_2)
	v_add_f64 v[4:5], v[4:5], -v[10:11]
	v_fma_f64 v[216:217], v[218:219], v[8:9], v[216:217]
	s_delay_alu instid0(VALU_DEP_1) | instskip(SKIP_3) | instid1(VALU_DEP_1)
	v_add_f64 v[6:7], v[6:7], -v[216:217]
	ds_load_2addr_b64 v[216:219], v214 offset0:116 offset1:117
	s_waitcnt lgkmcnt(0)
	v_mul_f64 v[10:11], v[218:219], v[212:213]
	v_fma_f64 v[10:11], v[216:217], v[8:9], -v[10:11]
	v_mul_f64 v[216:217], v[216:217], v[212:213]
	s_delay_alu instid0(VALU_DEP_2) | instskip(NEXT) | instid1(VALU_DEP_2)
	v_add_f64 v[0:1], v[0:1], -v[10:11]
	v_fma_f64 v[216:217], v[218:219], v[8:9], v[216:217]
	v_dual_mov_b32 v10, v212 :: v_dual_mov_b32 v11, v213
	s_delay_alu instid0(VALU_DEP_2)
	v_add_f64 v[2:3], v[2:3], -v[216:217]
.LBB117_514:
	s_or_b32 exec_lo, exec_lo, s3
	s_delay_alu instid0(SALU_CYCLE_1)
	s_mov_b32 s4, exec_lo
	s_waitcnt lgkmcnt(0)
	s_barrier
	buffer_gl0_inv
	v_cmpx_eq_u32_e32 57, v208
	s_cbranch_execz .LBB117_521
; %bb.515:
	ds_store_2addr_b64 v209, v[4:5], v[6:7] offset1:1
	ds_store_2addr_b64 v214, v[0:1], v[2:3] offset0:116 offset1:117
	ds_load_2addr_b64 v[216:219], v209 offset1:1
	s_waitcnt lgkmcnt(0)
	v_cmp_neq_f64_e32 vcc_lo, 0, v[216:217]
	v_cmp_neq_f64_e64 s3, 0, v[218:219]
	s_delay_alu instid0(VALU_DEP_1) | instskip(NEXT) | instid1(SALU_CYCLE_1)
	s_or_b32 s3, vcc_lo, s3
	s_and_b32 exec_lo, exec_lo, s3
	s_cbranch_execz .LBB117_521
; %bb.516:
	v_cmp_gt_f64_e32 vcc_lo, 0, v[216:217]
	v_xor_b32_e32 v212, 0x80000000, v217
	v_xor_b32_e32 v215, 0x80000000, v219
	s_delay_alu instid0(VALU_DEP_2) | instskip(SKIP_2) | instid1(VALU_DEP_4)
	v_cndmask_b32_e32 v213, v217, v212, vcc_lo
	v_cndmask_b32_e32 v212, v216, v216, vcc_lo
	v_cmp_gt_f64_e32 vcc_lo, 0, v[218:219]
	v_dual_cndmask_b32 v221, v219, v215 :: v_dual_cndmask_b32 v220, v218, v218
	s_delay_alu instid0(VALU_DEP_1) | instskip(SKIP_1) | instid1(SALU_CYCLE_1)
	v_cmp_ngt_f64_e32 vcc_lo, v[212:213], v[220:221]
                                        ; implicit-def: $vgpr212_vgpr213
	s_and_saveexec_b32 s3, vcc_lo
	s_xor_b32 s3, exec_lo, s3
                                        ; implicit-def: $vgpr220_vgpr221_vgpr222_vgpr223
	s_cbranch_execz .LBB117_518
; %bb.517:
	v_div_scale_f64 v[212:213], null, v[218:219], v[218:219], v[216:217]
	v_mov_b32_e32 v204, v209
	v_dual_mov_b32 v208, v252 :: v_dual_mov_b32 v209, v253
	v_div_scale_f64 v[252:253], vcc_lo, v[216:217], v[218:219], v[216:217]
	s_delay_alu instid0(VALU_DEP_4) | instskip(SKIP_2) | instid1(VALU_DEP_1)
	v_rcp_f64_e32 v[220:221], v[212:213]
	s_waitcnt_depctr 0xfff
	v_fma_f64 v[222:223], -v[212:213], v[220:221], 1.0
	v_fma_f64 v[220:221], v[220:221], v[222:223], v[220:221]
	s_delay_alu instid0(VALU_DEP_1) | instskip(NEXT) | instid1(VALU_DEP_1)
	v_fma_f64 v[222:223], -v[212:213], v[220:221], 1.0
	v_fma_f64 v[220:221], v[220:221], v[222:223], v[220:221]
	s_delay_alu instid0(VALU_DEP_1) | instskip(NEXT) | instid1(VALU_DEP_1)
	v_mul_f64 v[222:223], v[252:253], v[220:221]
	v_fma_f64 v[212:213], -v[212:213], v[222:223], v[252:253]
	s_delay_alu instid0(VALU_DEP_1) | instskip(NEXT) | instid1(VALU_DEP_1)
	v_div_fmas_f64 v[212:213], v[212:213], v[220:221], v[222:223]
	v_div_fixup_f64 v[212:213], v[212:213], v[218:219], v[216:217]
	s_delay_alu instid0(VALU_DEP_1) | instskip(NEXT) | instid1(VALU_DEP_1)
	v_fma_f64 v[216:217], v[216:217], v[212:213], v[218:219]
	v_div_scale_f64 v[218:219], null, v[216:217], v[216:217], 1.0
	s_delay_alu instid0(VALU_DEP_1) | instskip(SKIP_2) | instid1(VALU_DEP_1)
	v_rcp_f64_e32 v[220:221], v[218:219]
	s_waitcnt_depctr 0xfff
	v_fma_f64 v[222:223], -v[218:219], v[220:221], 1.0
	v_fma_f64 v[220:221], v[220:221], v[222:223], v[220:221]
	s_delay_alu instid0(VALU_DEP_1) | instskip(NEXT) | instid1(VALU_DEP_1)
	v_fma_f64 v[222:223], -v[218:219], v[220:221], 1.0
	v_fma_f64 v[220:221], v[220:221], v[222:223], v[220:221]
	v_div_scale_f64 v[222:223], vcc_lo, 1.0, v[216:217], 1.0
	s_delay_alu instid0(VALU_DEP_1) | instskip(NEXT) | instid1(VALU_DEP_1)
	v_mul_f64 v[252:253], v[222:223], v[220:221]
	v_fma_f64 v[218:219], -v[218:219], v[252:253], v[222:223]
	s_delay_alu instid0(VALU_DEP_1) | instskip(SKIP_4) | instid1(VALU_DEP_1)
	v_div_fmas_f64 v[218:219], v[218:219], v[220:221], v[252:253]
	v_dual_mov_b32 v253, v209 :: v_dual_mov_b32 v252, v208
	scratch_load_b32 v208, off, off offset:128 ; 4-byte Folded Reload
	v_mov_b32_e32 v209, v204
	v_div_fixup_f64 v[222:223], v[218:219], v[216:217], 1.0
                                        ; implicit-def: $vgpr216_vgpr217
	v_mul_f64 v[212:213], v[212:213], v[222:223]
	v_xor_b32_e32 v223, 0x80000000, v223
.LBB117_518:
	s_and_not1_saveexec_b32 s3, s3
	s_cbranch_execz .LBB117_520
; %bb.519:
	v_div_scale_f64 v[212:213], null, v[216:217], v[216:217], v[218:219]
	v_mov_b32_e32 v204, v209
	s_waitcnt vmcnt(0)
	v_dual_mov_b32 v208, v252 :: v_dual_mov_b32 v209, v253
	v_div_scale_f64 v[252:253], vcc_lo, v[218:219], v[216:217], v[218:219]
	s_delay_alu instid0(VALU_DEP_4) | instskip(SKIP_2) | instid1(VALU_DEP_1)
	v_rcp_f64_e32 v[220:221], v[212:213]
	s_waitcnt_depctr 0xfff
	v_fma_f64 v[222:223], -v[212:213], v[220:221], 1.0
	v_fma_f64 v[220:221], v[220:221], v[222:223], v[220:221]
	s_delay_alu instid0(VALU_DEP_1) | instskip(NEXT) | instid1(VALU_DEP_1)
	v_fma_f64 v[222:223], -v[212:213], v[220:221], 1.0
	v_fma_f64 v[220:221], v[220:221], v[222:223], v[220:221]
	s_delay_alu instid0(VALU_DEP_1) | instskip(NEXT) | instid1(VALU_DEP_1)
	v_mul_f64 v[222:223], v[252:253], v[220:221]
	v_fma_f64 v[212:213], -v[212:213], v[222:223], v[252:253]
	s_delay_alu instid0(VALU_DEP_1) | instskip(NEXT) | instid1(VALU_DEP_1)
	v_div_fmas_f64 v[212:213], v[212:213], v[220:221], v[222:223]
	v_div_fixup_f64 v[220:221], v[212:213], v[216:217], v[218:219]
	s_delay_alu instid0(VALU_DEP_1) | instskip(NEXT) | instid1(VALU_DEP_1)
	v_fma_f64 v[212:213], v[218:219], v[220:221], v[216:217]
	v_div_scale_f64 v[216:217], null, v[212:213], v[212:213], 1.0
	s_delay_alu instid0(VALU_DEP_1) | instskip(SKIP_2) | instid1(VALU_DEP_1)
	v_rcp_f64_e32 v[218:219], v[216:217]
	s_waitcnt_depctr 0xfff
	v_fma_f64 v[222:223], -v[216:217], v[218:219], 1.0
	v_fma_f64 v[218:219], v[218:219], v[222:223], v[218:219]
	s_delay_alu instid0(VALU_DEP_1) | instskip(NEXT) | instid1(VALU_DEP_1)
	v_fma_f64 v[222:223], -v[216:217], v[218:219], 1.0
	v_fma_f64 v[218:219], v[218:219], v[222:223], v[218:219]
	v_div_scale_f64 v[222:223], vcc_lo, 1.0, v[212:213], 1.0
	s_delay_alu instid0(VALU_DEP_1) | instskip(NEXT) | instid1(VALU_DEP_1)
	v_mul_f64 v[252:253], v[222:223], v[218:219]
	v_fma_f64 v[216:217], -v[216:217], v[252:253], v[222:223]
	s_delay_alu instid0(VALU_DEP_1) | instskip(SKIP_4) | instid1(VALU_DEP_1)
	v_div_fmas_f64 v[216:217], v[216:217], v[218:219], v[252:253]
	v_dual_mov_b32 v253, v209 :: v_dual_mov_b32 v252, v208
	scratch_load_b32 v208, off, off offset:128 ; 4-byte Folded Reload
	v_mov_b32_e32 v209, v204
	v_div_fixup_f64 v[212:213], v[216:217], v[212:213], 1.0
	v_mul_f64 v[222:223], v[220:221], -v[212:213]
.LBB117_520:
	s_or_b32 exec_lo, exec_lo, s3
	ds_store_2addr_b64 v209, v[212:213], v[222:223] offset1:1
.LBB117_521:
	s_or_b32 exec_lo, exec_lo, s4
	s_waitcnt vmcnt(0) lgkmcnt(0)
	s_barrier
	buffer_gl0_inv
	ds_load_2addr_b64 v[220:223], v209 offset1:1
	s_mov_b32 s3, exec_lo
	v_cmpx_lt_u32_e32 57, v208
	s_cbranch_execz .LBB117_523
; %bb.522:
	s_waitcnt lgkmcnt(0)
	v_mul_f64 v[212:213], v[220:221], v[6:7]
	v_mul_f64 v[6:7], v[222:223], v[6:7]
	ds_load_2addr_b64 v[216:219], v214 offset0:116 offset1:117
	v_fma_f64 v[212:213], v[222:223], v[4:5], v[212:213]
	v_fma_f64 v[4:5], v[220:221], v[4:5], -v[6:7]
	s_waitcnt lgkmcnt(0)
	s_delay_alu instid0(VALU_DEP_2) | instskip(NEXT) | instid1(VALU_DEP_1)
	v_mul_f64 v[6:7], v[218:219], v[212:213]
	v_fma_f64 v[6:7], v[216:217], v[4:5], -v[6:7]
	v_mul_f64 v[216:217], v[216:217], v[212:213]
	s_delay_alu instid0(VALU_DEP_2) | instskip(NEXT) | instid1(VALU_DEP_2)
	v_add_f64 v[0:1], v[0:1], -v[6:7]
	v_fma_f64 v[216:217], v[218:219], v[4:5], v[216:217]
	v_dual_mov_b32 v6, v212 :: v_dual_mov_b32 v7, v213
	s_delay_alu instid0(VALU_DEP_2)
	v_add_f64 v[2:3], v[2:3], -v[216:217]
.LBB117_523:
	s_or_b32 exec_lo, exec_lo, s3
	s_delay_alu instid0(SALU_CYCLE_1)
	s_mov_b32 s4, exec_lo
	s_waitcnt lgkmcnt(0)
	s_barrier
	buffer_gl0_inv
	v_cmpx_eq_u32_e32 58, v208
	s_cbranch_execz .LBB117_530
; %bb.524:
	v_cmp_neq_f64_e32 vcc_lo, 0, v[0:1]
	v_cmp_neq_f64_e64 s3, 0, v[2:3]
	ds_store_2addr_b64 v209, v[0:1], v[2:3] offset1:1
	s_or_b32 s3, vcc_lo, s3
	s_delay_alu instid0(SALU_CYCLE_1)
	s_and_b32 exec_lo, exec_lo, s3
	s_cbranch_execz .LBB117_530
; %bb.525:
	v_cmp_gt_f64_e32 vcc_lo, 0, v[0:1]
	v_xor_b32_e32 v212, 0x80000000, v1
	v_xor_b32_e32 v214, 0x80000000, v3
	s_delay_alu instid0(VALU_DEP_2) | instskip(SKIP_2) | instid1(VALU_DEP_4)
	v_cndmask_b32_e32 v213, v1, v212, vcc_lo
	v_cndmask_b32_e32 v212, v0, v0, vcc_lo
	v_cmp_gt_f64_e32 vcc_lo, 0, v[2:3]
	v_cndmask_b32_e32 v217, v3, v214, vcc_lo
	v_cndmask_b32_e32 v216, v2, v2, vcc_lo
	s_delay_alu instid0(VALU_DEP_1) | instskip(SKIP_1) | instid1(SALU_CYCLE_1)
	v_cmp_ngt_f64_e32 vcc_lo, v[212:213], v[216:217]
                                        ; implicit-def: $vgpr212_vgpr213
	s_and_saveexec_b32 s3, vcc_lo
	s_xor_b32 s3, exec_lo, s3
                                        ; implicit-def: $vgpr216_vgpr217_vgpr218_vgpr219
	s_cbranch_execz .LBB117_527
; %bb.526:
	v_div_scale_f64 v[212:213], null, v[2:3], v[2:3], v[0:1]
	v_dual_mov_b32 v204, v210 :: v_dual_mov_b32 v205, v211
	v_dual_mov_b32 v210, v252 :: v_dual_mov_b32 v211, v253
	v_div_scale_f64 v[252:253], vcc_lo, v[0:1], v[2:3], v[0:1]
	v_dual_mov_b32 v206, v254 :: v_dual_mov_b32 v207, v255
	scratch_load_b32 v208, off, off offset:128 ; 4-byte Folded Reload
	v_rcp_f64_e32 v[216:217], v[212:213]
	s_waitcnt_depctr 0xfff
	v_fma_f64 v[218:219], -v[212:213], v[216:217], 1.0
	s_delay_alu instid0(VALU_DEP_1) | instskip(NEXT) | instid1(VALU_DEP_1)
	v_fma_f64 v[216:217], v[216:217], v[218:219], v[216:217]
	v_fma_f64 v[218:219], -v[212:213], v[216:217], 1.0
	s_delay_alu instid0(VALU_DEP_1) | instskip(NEXT) | instid1(VALU_DEP_1)
	v_fma_f64 v[216:217], v[216:217], v[218:219], v[216:217]
	v_mul_f64 v[218:219], v[252:253], v[216:217]
	s_delay_alu instid0(VALU_DEP_1) | instskip(NEXT) | instid1(VALU_DEP_1)
	v_fma_f64 v[212:213], -v[212:213], v[218:219], v[252:253]
	v_div_fmas_f64 v[212:213], v[212:213], v[216:217], v[218:219]
	s_delay_alu instid0(VALU_DEP_1) | instskip(NEXT) | instid1(VALU_DEP_1)
	v_div_fixup_f64 v[212:213], v[212:213], v[2:3], v[0:1]
	v_fma_f64 v[216:217], v[0:1], v[212:213], v[2:3]
	s_delay_alu instid0(VALU_DEP_1) | instskip(NEXT) | instid1(VALU_DEP_1)
	v_div_scale_f64 v[218:219], null, v[216:217], v[216:217], 1.0
	v_rcp_f64_e32 v[252:253], v[218:219]
	s_waitcnt_depctr 0xfff
	v_fma_f64 v[254:255], -v[218:219], v[252:253], 1.0
	s_delay_alu instid0(VALU_DEP_1) | instskip(NEXT) | instid1(VALU_DEP_1)
	v_fma_f64 v[252:253], v[252:253], v[254:255], v[252:253]
	v_fma_f64 v[254:255], -v[218:219], v[252:253], 1.0
	s_delay_alu instid0(VALU_DEP_1) | instskip(SKIP_1) | instid1(VALU_DEP_1)
	v_fma_f64 v[252:253], v[252:253], v[254:255], v[252:253]
	v_div_scale_f64 v[254:255], vcc_lo, 1.0, v[216:217], 1.0
	v_mul_f64 v[214:215], v[254:255], v[252:253]
	s_delay_alu instid0(VALU_DEP_1) | instskip(SKIP_1) | instid1(VALU_DEP_2)
	v_fma_f64 v[218:219], -v[218:219], v[214:215], v[254:255]
	v_dual_mov_b32 v255, v207 :: v_dual_mov_b32 v254, v206
	v_div_fmas_f64 v[214:215], v[218:219], v[252:253], v[214:215]
	v_dual_mov_b32 v253, v211 :: v_dual_mov_b32 v252, v210
	v_dual_mov_b32 v211, v205 :: v_dual_mov_b32 v210, v204
	s_delay_alu instid0(VALU_DEP_3) | instskip(NEXT) | instid1(VALU_DEP_1)
	v_div_fixup_f64 v[218:219], v[214:215], v[216:217], 1.0
	v_mul_f64 v[212:213], v[212:213], v[218:219]
	v_xor_b32_e32 v219, 0x80000000, v219
.LBB117_527:
	s_and_not1_saveexec_b32 s3, s3
	s_cbranch_execz .LBB117_529
; %bb.528:
	v_div_scale_f64 v[212:213], null, v[0:1], v[0:1], v[2:3]
	v_div_scale_f64 v[218:219], vcc_lo, v[2:3], v[0:1], v[2:3]
	v_dual_mov_b32 v204, v210 :: v_dual_mov_b32 v205, v211
	v_dual_mov_b32 v210, v252 :: v_dual_mov_b32 v211, v253
	v_mov_b32_e32 v206, v209
	s_waitcnt vmcnt(0)
	v_dual_mov_b32 v208, v254 :: v_dual_mov_b32 v209, v255
	v_rcp_f64_e32 v[214:215], v[212:213]
	s_waitcnt_depctr 0xfff
	v_fma_f64 v[216:217], -v[212:213], v[214:215], 1.0
	s_delay_alu instid0(VALU_DEP_1) | instskip(NEXT) | instid1(VALU_DEP_1)
	v_fma_f64 v[214:215], v[214:215], v[216:217], v[214:215]
	v_fma_f64 v[216:217], -v[212:213], v[214:215], 1.0
	s_delay_alu instid0(VALU_DEP_1) | instskip(NEXT) | instid1(VALU_DEP_1)
	v_fma_f64 v[214:215], v[214:215], v[216:217], v[214:215]
	v_mul_f64 v[216:217], v[218:219], v[214:215]
	s_delay_alu instid0(VALU_DEP_1) | instskip(NEXT) | instid1(VALU_DEP_1)
	v_fma_f64 v[212:213], -v[212:213], v[216:217], v[218:219]
	v_div_fmas_f64 v[212:213], v[212:213], v[214:215], v[216:217]
	s_delay_alu instid0(VALU_DEP_1) | instskip(NEXT) | instid1(VALU_DEP_1)
	v_div_fixup_f64 v[214:215], v[212:213], v[0:1], v[2:3]
	v_fma_f64 v[212:213], v[2:3], v[214:215], v[0:1]
	s_delay_alu instid0(VALU_DEP_1) | instskip(NEXT) | instid1(VALU_DEP_1)
	v_div_scale_f64 v[216:217], null, v[212:213], v[212:213], 1.0
	v_rcp_f64_e32 v[218:219], v[216:217]
	s_waitcnt_depctr 0xfff
	v_fma_f64 v[252:253], -v[216:217], v[218:219], 1.0
	s_delay_alu instid0(VALU_DEP_1) | instskip(NEXT) | instid1(VALU_DEP_1)
	v_fma_f64 v[218:219], v[218:219], v[252:253], v[218:219]
	v_fma_f64 v[252:253], -v[216:217], v[218:219], 1.0
	s_delay_alu instid0(VALU_DEP_1) | instskip(SKIP_1) | instid1(VALU_DEP_1)
	v_fma_f64 v[218:219], v[218:219], v[252:253], v[218:219]
	v_div_scale_f64 v[252:253], vcc_lo, 1.0, v[212:213], 1.0
	v_mul_f64 v[254:255], v[252:253], v[218:219]
	s_delay_alu instid0(VALU_DEP_1) | instskip(SKIP_2) | instid1(VALU_DEP_3)
	v_fma_f64 v[216:217], -v[216:217], v[254:255], v[252:253]
	v_dual_mov_b32 v253, v211 :: v_dual_mov_b32 v252, v210
	v_dual_mov_b32 v211, v205 :: v_dual_mov_b32 v210, v204
	v_div_fmas_f64 v[216:217], v[216:217], v[218:219], v[254:255]
	v_dual_mov_b32 v255, v209 :: v_dual_mov_b32 v254, v208
	v_mov_b32_e32 v209, v206
	scratch_load_b32 v208, off, off offset:128 ; 4-byte Folded Reload
	v_div_fixup_f64 v[212:213], v[216:217], v[212:213], 1.0
	s_delay_alu instid0(VALU_DEP_1)
	v_mul_f64 v[218:219], v[214:215], -v[212:213]
.LBB117_529:
	s_or_b32 exec_lo, exec_lo, s3
	ds_store_2addr_b64 v209, v[212:213], v[218:219] offset1:1
.LBB117_530:
	s_or_b32 exec_lo, exec_lo, s4
	s_waitcnt vmcnt(0) lgkmcnt(0)
	s_barrier
	buffer_gl0_inv
	ds_load_2addr_b64 v[216:219], v209 offset1:1
	s_mov_b32 s3, exec_lo
	v_cmpx_lt_u32_e32 58, v208
	s_cbranch_execz .LBB117_532
; %bb.531:
	s_waitcnt lgkmcnt(0)
	v_mul_f64 v[212:213], v[218:219], v[2:3]
	v_mul_f64 v[2:3], v[216:217], v[2:3]
	s_delay_alu instid0(VALU_DEP_2) | instskip(NEXT) | instid1(VALU_DEP_2)
	v_fma_f64 v[212:213], v[216:217], v[0:1], -v[212:213]
	v_fma_f64 v[2:3], v[218:219], v[0:1], v[2:3]
	s_delay_alu instid0(VALU_DEP_2)
	v_dual_mov_b32 v0, v212 :: v_dual_mov_b32 v1, v213
.LBB117_532:
	s_or_b32 exec_lo, exec_lo, s3
	s_waitcnt lgkmcnt(0)
	s_barrier
	buffer_gl0_inv
	s_and_saveexec_b32 s12, s2
	s_cbranch_execz .LBB117_535
; %bb.533:
	scratch_load_b128 v[204:207], off, off offset:588 ; 16-byte Folded Reload
	s_load_b64 s[14:15], s[0:1], 0x28
	s_waitcnt vmcnt(0)
	v_cmp_eq_f64_e32 vcc_lo, 0, v[204:205]
	v_cmp_eq_f64_e64 s2, 0, v[206:207]
	scratch_load_b128 v[204:207], off, off offset:604 ; 16-byte Folded Reload
	s_and_b32 s2, vcc_lo, s2
	s_delay_alu instid0(SALU_CYCLE_1)
	v_cndmask_b32_e64 v212, 0, 1, s2
	s_waitcnt vmcnt(0)
	v_cmp_neq_f64_e64 s3, 0, v[204:205]
	v_cmp_neq_f64_e64 s4, 0, v[206:207]
	scratch_load_b128 v[204:207], off, off offset:620 ; 16-byte Folded Reload
	s_or_b32 s3, s3, s4
	s_delay_alu instid0(SALU_CYCLE_1) | instskip(SKIP_1) | instid1(VALU_DEP_1)
	s_or_b32 vcc_lo, s3, s2
	v_cndmask_b32_e32 v212, 2, v212, vcc_lo
	v_cmp_eq_u32_e64 s3, 0, v212
	s_waitcnt vmcnt(0)
	v_cmp_eq_f64_e64 s5, 0, v[204:205]
	v_cmp_eq_f64_e64 s6, 0, v[206:207]
	scratch_load_b128 v[204:207], off, off offset:636 ; 16-byte Folded Reload
	s_and_b32 s4, s5, s6
	s_delay_alu instid0(SALU_CYCLE_1) | instskip(NEXT) | instid1(SALU_CYCLE_1)
	s_and_b32 s3, s4, s3
	v_cndmask_b32_e64 v212, v212, 3, s3
	s_delay_alu instid0(VALU_DEP_1)
	v_cmp_eq_u32_e64 s5, 0, v212
	s_waitcnt vmcnt(0)
	v_cmp_eq_f64_e64 s7, 0, v[204:205]
	v_cmp_eq_f64_e64 s8, 0, v[206:207]
	scratch_load_b128 v[204:207], off, off offset:652 ; 16-byte Folded Reload
	s_and_b32 s6, s7, s8
	s_delay_alu instid0(SALU_CYCLE_1) | instskip(NEXT) | instid1(SALU_CYCLE_1)
	s_and_b32 s5, s6, s5
	v_cndmask_b32_e64 v212, v212, 4, s5
	s_delay_alu instid0(VALU_DEP_1)
	v_cmp_eq_u32_e64 s7, 0, v212
	s_waitcnt vmcnt(0)
	v_cmp_eq_f64_e64 s9, 0, v[204:205]
	v_cmp_eq_f64_e64 s10, 0, v[206:207]
	scratch_load_b128 v[204:207], off, off offset:668 ; 16-byte Folded Reload
	s_and_b32 s8, s9, s10
	s_delay_alu instid0(SALU_CYCLE_1) | instskip(NEXT) | instid1(SALU_CYCLE_1)
	s_and_b32 s7, s8, s7
	v_cndmask_b32_e64 v212, v212, 5, s7
	s_delay_alu instid0(VALU_DEP_1)
	v_cmp_eq_u32_e64 s9, 0, v212
	s_waitcnt vmcnt(0)
	v_cmp_eq_f64_e32 vcc_lo, 0, v[204:205]
	v_cmp_eq_f64_e64 s2, 0, v[206:207]
	scratch_load_b128 v[204:207], off, off offset:684 ; 16-byte Folded Reload
	s_and_b32 s2, vcc_lo, s2
	s_delay_alu instid0(SALU_CYCLE_1) | instskip(NEXT) | instid1(SALU_CYCLE_1)
	s_and_b32 s2, s2, s9
	v_cndmask_b32_e64 v212, v212, 6, s2
	s_delay_alu instid0(VALU_DEP_1)
	v_cmp_eq_u32_e64 s9, 0, v212
	s_waitcnt vmcnt(0)
	v_cmp_eq_f64_e64 s3, 0, v[204:205]
	v_cmp_eq_f64_e64 s4, 0, v[206:207]
	scratch_load_b128 v[204:207], off, off offset:700 ; 16-byte Folded Reload
	s_and_b32 s3, s3, s4
	s_delay_alu instid0(SALU_CYCLE_1) | instskip(NEXT) | instid1(SALU_CYCLE_1)
	s_and_b32 s3, s3, s9
	v_cndmask_b32_e64 v212, v212, 7, s3
	s_delay_alu instid0(VALU_DEP_1)
	v_cmp_eq_u32_e64 s9, 0, v212
	s_waitcnt vmcnt(0)
	v_cmp_eq_f64_e64 s5, 0, v[204:205]
	v_cmp_eq_f64_e64 s6, 0, v[206:207]
	scratch_load_b128 v[204:207], off, off offset:716 ; 16-byte Folded Reload
	s_and_b32 s5, s5, s6
	s_delay_alu instid0(SALU_CYCLE_1) | instskip(NEXT) | instid1(SALU_CYCLE_1)
	s_and_b32 s5, s5, s9
	v_cndmask_b32_e64 v212, v212, 8, s5
	s_delay_alu instid0(VALU_DEP_1)
	v_cmp_eq_u32_e64 s9, 0, v212
	s_waitcnt vmcnt(0)
	v_cmp_eq_f64_e64 s7, 0, v[204:205]
	v_cmp_eq_f64_e64 s8, 0, v[206:207]
	scratch_load_b128 v[204:207], off, off offset:732 ; 16-byte Folded Reload
	s_and_b32 s7, s7, s8
	s_delay_alu instid0(SALU_CYCLE_1) | instskip(NEXT) | instid1(SALU_CYCLE_1)
	s_and_b32 s7, s7, s9
	v_cndmask_b32_e64 v212, v212, 9, s7
	s_delay_alu instid0(VALU_DEP_1)
	v_cmp_eq_u32_e64 s9, 0, v212
	s_waitcnt vmcnt(0)
	v_cmp_eq_f64_e32 vcc_lo, 0, v[204:205]
	v_cmp_eq_f64_e64 s2, 0, v[206:207]
	scratch_load_b128 v[204:207], off, off offset:748 ; 16-byte Folded Reload
	s_and_b32 s2, vcc_lo, s2
	s_delay_alu instid0(SALU_CYCLE_1) | instskip(NEXT) | instid1(SALU_CYCLE_1)
	s_and_b32 s2, s2, s9
	v_cndmask_b32_e64 v212, v212, 10, s2
	s_delay_alu instid0(VALU_DEP_1)
	;; [unrolled: 40-line block ×6, first 2 shown]
	v_cmp_eq_u32_e32 vcc_lo, 0, v212
	s_waitcnt vmcnt(0)
	v_cmp_eq_f64_e64 s3, 0, v[204:205]
	v_cmp_eq_f64_e64 s4, 0, v[206:207]
	scratch_load_b128 v[204:207], off, off offset:1020 ; 16-byte Folded Reload
	s_and_b32 s2, s3, s4
	s_delay_alu instid0(SALU_CYCLE_1) | instskip(NEXT) | instid1(SALU_CYCLE_1)
	s_and_b32 s2, s2, vcc_lo
	v_cndmask_b32_e64 v212, v212, 27, s2
	s_delay_alu instid0(VALU_DEP_1)
	v_cmp_eq_u32_e64 s3, 0, v212
	s_waitcnt vmcnt(0)
	v_cmp_eq_f64_e64 s5, 0, v[204:205]
	v_cmp_eq_f64_e64 s6, 0, v[206:207]
	scratch_load_b128 v[204:207], off, off offset:1036 ; 16-byte Folded Reload
	s_and_b32 s4, s5, s6
	s_delay_alu instid0(SALU_CYCLE_1) | instskip(NEXT) | instid1(SALU_CYCLE_1)
	s_and_b32 s0, s4, s3
	v_cndmask_b32_e64 v212, v212, 28, s0
	s_delay_alu instid0(VALU_DEP_1)
	v_cmp_eq_u32_e64 s3, 0, v212
	s_waitcnt vmcnt(0)
	v_cmp_eq_f64_e64 s7, 0, v[204:205]
	v_cmp_eq_f64_e64 s8, 0, v[206:207]
	scratch_load_b128 v[204:207], off, off offset:1052 ; 16-byte Folded Reload
	s_and_b32 s4, s7, s8
	s_delay_alu instid0(SALU_CYCLE_1) | instskip(NEXT) | instid1(SALU_CYCLE_1)
	s_and_b32 s3, s4, s3
	v_cndmask_b32_e64 v214, v212, 29, s3
	v_lshlrev_b64 v[212:213], 2, v[254:255]
	s_delay_alu instid0(VALU_DEP_2) | instskip(SKIP_1) | instid1(VALU_DEP_2)
	v_cmp_eq_u32_e64 s5, 0, v214
	s_waitcnt lgkmcnt(0)
	v_add_co_u32 v212, s6, s14, v212
	s_delay_alu instid0(VALU_DEP_1)
	v_add_co_ci_u32_e64 v213, s6, s15, v213, s6
	global_load_b32 v215, v[212:213], off
	s_waitcnt vmcnt(1)
	v_cmp_eq_f64_e64 s10, 0, v[204:205]
	v_cmp_eq_f64_e64 s11, 0, v[206:207]
	scratch_load_b128 v[204:207], off, off offset:1068 ; 16-byte Folded Reload
	s_and_b32 s7, s10, s11
	s_delay_alu instid0(SALU_CYCLE_1) | instskip(NEXT) | instid1(SALU_CYCLE_1)
	s_and_b32 s5, s7, s5
	v_cndmask_b32_e64 v214, v214, 30, s5
	s_delay_alu instid0(VALU_DEP_1)
	v_cmp_eq_u32_e64 s7, 0, v214
	s_waitcnt vmcnt(0)
	v_cmp_eq_f64_e32 vcc_lo, 0, v[204:205]
	v_cmp_eq_f64_e64 s2, 0, v[206:207]
	scratch_load_b128 v[204:207], off, off offset:1084 ; 16-byte Folded Reload
	s_and_b32 s2, vcc_lo, s2
	s_delay_alu instid0(SALU_CYCLE_1) | instskip(NEXT) | instid1(SALU_CYCLE_1)
	s_and_b32 s2, s2, s7
	v_cndmask_b32_e64 v214, v214, 31, s2
	s_delay_alu instid0(VALU_DEP_1)
	v_cmp_eq_u32_e64 s7, 0, v214
	s_waitcnt vmcnt(0)
	v_cmp_eq_f64_e64 s0, 0, v[204:205]
	v_cmp_eq_f64_e64 s1, 0, v[206:207]
	scratch_load_b128 v[204:207], off, off offset:1100 ; 16-byte Folded Reload
	s_and_b32 s0, s0, s1
	s_delay_alu instid0(SALU_CYCLE_1) | instskip(NEXT) | instid1(SALU_CYCLE_1)
	s_and_b32 s0, s0, s7
	v_cndmask_b32_e64 v214, v214, 32, s0
	s_delay_alu instid0(VALU_DEP_1)
	v_cmp_eq_u32_e64 s7, 0, v214
	s_waitcnt vmcnt(0)
	v_cmp_eq_f64_e64 s3, 0, v[204:205]
	v_cmp_eq_f64_e64 s4, 0, v[206:207]
	scratch_load_b128 v[204:207], off, off offset:1116 ; 16-byte Folded Reload
	s_and_b32 s3, s3, s4
	s_delay_alu instid0(SALU_CYCLE_1) | instskip(NEXT) | instid1(SALU_CYCLE_1)
	s_and_b32 s3, s3, s7
	v_cndmask_b32_e64 v214, v214, 33, s3
	s_delay_alu instid0(VALU_DEP_1)
	v_cmp_eq_u32_e64 s7, 0, v214
	s_waitcnt vmcnt(0)
	v_cmp_eq_f64_e64 s5, 0, v[204:205]
	v_cmp_eq_f64_e64 s6, 0, v[206:207]
	scratch_load_b128 v[204:207], off, off offset:1132 ; 16-byte Folded Reload
	s_and_b32 s5, s5, s6
	s_delay_alu instid0(SALU_CYCLE_1) | instskip(NEXT) | instid1(SALU_CYCLE_1)
	s_and_b32 s5, s5, s7
	v_cndmask_b32_e64 v214, v214, 34, s5
	s_delay_alu instid0(VALU_DEP_1)
	v_cmp_eq_u32_e64 s7, 0, v214
	s_waitcnt vmcnt(0)
	v_cmp_eq_f64_e32 vcc_lo, 0, v[204:205]
	v_cmp_eq_f64_e64 s2, 0, v[206:207]
	scratch_load_b128 v[204:207], off, off offset:1148 ; 16-byte Folded Reload
	s_and_b32 s2, vcc_lo, s2
	s_delay_alu instid0(SALU_CYCLE_1) | instskip(NEXT) | instid1(SALU_CYCLE_1)
	s_and_b32 s2, s2, s7
	v_cndmask_b32_e64 v214, v214, 35, s2
	s_delay_alu instid0(VALU_DEP_1)
	v_cmp_eq_u32_e64 s7, 0, v214
	s_waitcnt vmcnt(0)
	v_cmp_eq_f64_e64 s0, 0, v[204:205]
	v_cmp_eq_f64_e64 s1, 0, v[206:207]
	scratch_load_b128 v[204:207], off, off offset:1164 ; 16-byte Folded Reload
	s_and_b32 s0, s0, s1
	s_delay_alu instid0(SALU_CYCLE_1) | instskip(NEXT) | instid1(SALU_CYCLE_1)
	s_and_b32 s0, s0, s7
	v_cndmask_b32_e64 v214, v214, 36, s0
	s_delay_alu instid0(VALU_DEP_1)
	v_cmp_eq_u32_e64 s7, 0, v214
	s_waitcnt vmcnt(0)
	v_cmp_eq_f64_e64 s3, 0, v[204:205]
	v_cmp_eq_f64_e64 s4, 0, v[206:207]
	scratch_load_b128 v[204:207], off, off offset:1180 ; 16-byte Folded Reload
	s_and_b32 s3, s3, s4
	s_delay_alu instid0(SALU_CYCLE_1) | instskip(NEXT) | instid1(SALU_CYCLE_1)
	s_and_b32 s3, s3, s7
	v_cndmask_b32_e64 v214, v214, 37, s3
	s_delay_alu instid0(VALU_DEP_1)
	v_cmp_eq_u32_e64 s7, 0, v214
	;; [unrolled: 40-line block ×4, first 2 shown]
	s_waitcnt vmcnt(0)
	v_cmp_eq_f64_e64 s5, 0, v[204:205]
	v_cmp_eq_f64_e64 s6, 0, v[206:207]
	scratch_load_b128 v[204:207], off, off offset:1324 ; 16-byte Folded Reload
	s_and_b32 s5, s5, s6
	s_delay_alu instid0(SALU_CYCLE_1) | instskip(NEXT) | instid1(SALU_CYCLE_1)
	s_and_b32 s5, s5, s7
	v_cndmask_b32_e64 v214, v214, 46, s5
	s_delay_alu instid0(VALU_DEP_1)
	v_cmp_eq_u32_e64 s7, 0, v214
	s_waitcnt vmcnt(0)
	v_cmp_eq_f64_e32 vcc_lo, 0, v[204:205]
	v_cmp_eq_f64_e64 s2, 0, v[206:207]
	scratch_load_b128 v[204:207], off, off offset:1340 ; 16-byte Folded Reload
	s_and_b32 s2, vcc_lo, s2
	v_cmp_eq_f64_e32 vcc_lo, 0, v[236:237]
	s_and_b32 s2, s2, s7
	s_delay_alu instid0(SALU_CYCLE_1) | instskip(SKIP_1) | instid1(VALU_DEP_2)
	v_cndmask_b32_e64 v214, v214, 47, s2
	v_cmp_eq_f64_e64 s2, 0, v[238:239]
	v_cmp_eq_u32_e64 s7, 0, v214
	s_delay_alu instid0(VALU_DEP_2)
	s_and_b32 s2, vcc_lo, s2
	v_cmp_eq_f64_e32 vcc_lo, 0, v[232:233]
	s_waitcnt vmcnt(0)
	v_cmp_eq_f64_e64 s0, 0, v[204:205]
	v_cmp_eq_f64_e64 s1, 0, v[206:207]
	scratch_load_b128 v[204:207], off, off offset:1356 ; 16-byte Folded Reload
	s_and_b32 s0, s0, s1
	v_cmp_eq_f64_e64 s1, 0, v[242:243]
	s_and_b32 s0, s0, s7
	s_delay_alu instid0(SALU_CYCLE_1) | instskip(SKIP_1) | instid1(VALU_DEP_2)
	v_cndmask_b32_e64 v214, v214, 48, s0
	v_cmp_eq_f64_e64 s0, 0, v[240:241]
	v_cmp_eq_u32_e64 s7, 0, v214
	s_delay_alu instid0(VALU_DEP_2)
	s_and_b32 s0, s0, s1
	v_cmp_eq_f64_e64 s1, 0, v[230:231]
	s_waitcnt vmcnt(0)
	v_cmp_eq_f64_e64 s3, 0, v[204:205]
	v_cmp_eq_f64_e64 s4, 0, v[206:207]
	scratch_load_b128 v[204:207], off, off offset:1372 ; 16-byte Folded Reload
	s_and_b32 s3, s3, s4
	v_cmp_eq_f64_e64 s4, 0, v[246:247]
	s_and_b32 s3, s3, s7
	s_delay_alu instid0(SALU_CYCLE_1) | instskip(SKIP_1) | instid1(VALU_DEP_2)
	v_cndmask_b32_e64 v214, v214, 49, s3
	v_cmp_eq_f64_e64 s3, 0, v[244:245]
	v_cmp_eq_u32_e64 s7, 0, v214
	s_delay_alu instid0(VALU_DEP_2) | instskip(SKIP_4) | instid1(VALU_DEP_1)
	s_and_b32 s3, s3, s4
	v_cmp_eq_f64_e64 s4, 0, v[226:227]
	s_waitcnt vmcnt(0)
	v_cmp_eq_f64_e64 s5, 0, v[204:205]
	v_cmp_eq_f64_e64 s6, 0, v[206:207]
	s_and_b32 s5, s5, s6
	v_cmp_eq_f64_e64 s6, 0, v[250:251]
	s_and_b32 s5, s5, s7
	s_delay_alu instid0(SALU_CYCLE_1) | instskip(SKIP_1) | instid1(VALU_DEP_2)
	v_cndmask_b32_e64 v214, v214, 50, s5
	v_cmp_eq_f64_e64 s5, 0, v[248:249]
	v_cmp_eq_u32_e64 s7, 0, v214
	s_delay_alu instid0(VALU_DEP_1) | instskip(NEXT) | instid1(SALU_CYCLE_1)
	s_and_b32 s2, s2, s7
	v_cndmask_b32_e64 v214, v214, 51, s2
	v_cmp_eq_f64_e64 s2, 0, v[234:235]
	s_delay_alu instid0(VALU_DEP_2) | instskip(NEXT) | instid1(VALU_DEP_1)
	v_cmp_eq_u32_e64 s7, 0, v214
	s_and_b32 s0, s0, s7
	s_delay_alu instid0(SALU_CYCLE_1) | instskip(SKIP_1) | instid1(VALU_DEP_2)
	v_cndmask_b32_e64 v214, v214, 52, s0
	v_cmp_eq_f64_e64 s0, 0, v[228:229]
	v_cmp_eq_u32_e64 s7, 0, v214
	s_delay_alu instid0(VALU_DEP_1) | instskip(NEXT) | instid1(SALU_CYCLE_1)
	s_and_b32 s3, s3, s7
	v_cndmask_b32_e64 v214, v214, 53, s3
	v_cmp_eq_f64_e64 s3, 0, v[224:225]
	s_and_b32 s5, s5, s6
	v_cmp_eq_f64_e64 s6, 0, v[222:223]
	s_delay_alu instid0(VALU_DEP_3) | instskip(NEXT) | instid1(VALU_DEP_1)
	v_cmp_eq_u32_e64 s7, 0, v214
	s_and_b32 s5, s5, s7
	s_delay_alu instid0(SALU_CYCLE_1) | instskip(SKIP_3) | instid1(VALU_DEP_3)
	v_cndmask_b32_e64 v214, v214, 54, s5
	v_cmp_eq_f64_e64 s5, 0, v[220:221]
	s_and_b32 s2, vcc_lo, s2
	v_cmp_eq_f64_e32 vcc_lo, 0, v[216:217]
	v_cmp_eq_u32_e64 s7, 0, v214
	s_delay_alu instid0(VALU_DEP_1) | instskip(NEXT) | instid1(SALU_CYCLE_1)
	s_and_b32 s2, s2, s7
	v_cndmask_b32_e64 v214, v214, 55, s2
	v_cmp_eq_f64_e64 s2, 0, v[218:219]
	s_and_b32 s0, s0, s1
	s_delay_alu instid0(VALU_DEP_2) | instskip(NEXT) | instid1(VALU_DEP_1)
	v_cmp_eq_u32_e64 s7, 0, v214
	s_and_b32 s0, s0, s7
	s_delay_alu instid0(SALU_CYCLE_1) | instskip(SKIP_1) | instid1(VALU_DEP_1)
	v_cndmask_b32_e64 v214, v214, 56, s0
	s_and_b32 s1, s3, s4
	v_cmp_eq_u32_e64 s0, 0, v214
	s_delay_alu instid0(VALU_DEP_1) | instskip(NEXT) | instid1(SALU_CYCLE_1)
	s_and_b32 s0, s1, s0
	v_cndmask_b32_e64 v214, v214, 57, s0
	s_and_b32 s1, s5, s6
	s_delay_alu instid0(VALU_DEP_1) | instskip(NEXT) | instid1(VALU_DEP_1)
	v_cmp_eq_u32_e64 s0, 0, v214
	s_and_b32 s0, s1, s0
	s_delay_alu instid0(SALU_CYCLE_1) | instskip(SKIP_2) | instid1(VALU_DEP_2)
	v_cndmask_b32_e64 v214, v214, 58, s0
	s_and_b32 s1, vcc_lo, s2
	v_cmp_eq_u32_e32 vcc_lo, 0, v215
	v_cmp_eq_u32_e64 s0, 0, v214
	s_delay_alu instid0(VALU_DEP_1) | instskip(NEXT) | instid1(SALU_CYCLE_1)
	s_and_b32 s0, s1, s0
	v_cndmask_b32_e64 v214, v214, 59, s0
	s_delay_alu instid0(VALU_DEP_1) | instskip(NEXT) | instid1(VALU_DEP_1)
	v_cmp_ne_u32_e64 s0, 0, v214
	s_and_b32 s0, vcc_lo, s0
	s_delay_alu instid0(SALU_CYCLE_1)
	s_and_b32 exec_lo, exec_lo, s0
	s_cbranch_execz .LBB117_535
; %bb.534:
	v_add_nc_u32_e32 v214, s13, v214
	global_store_b32 v[212:213], v214, off
.LBB117_535:
	s_or_b32 exec_lo, exec_lo, s12
	s_clause 0x1
	scratch_load_b64 v[204:205], off, off offset:564
	scratch_load_b128 v[212:215], off, off offset:112
	s_waitcnt vmcnt(0)
	global_store_b128 v[204:205], v[212:215], off
	s_clause 0x1
	scratch_load_b64 v[204:205], off, off offset:572
	scratch_load_b128 v[212:215], off, off offset:96
	s_waitcnt vmcnt(0)
	global_store_b128 v[204:205], v[212:215], off
	;; [unrolled: 5-line block ×7, first 2 shown]
	s_clause 0x1
	scratch_load_b64 v[204:205], off, off offset:516
	scratch_load_b128 v[212:215], off, off
	s_waitcnt vmcnt(0)
	global_store_b128 v[204:205], v[212:215], off
	scratch_load_b64 v[204:205], off, off offset:508 ; 8-byte Folded Reload
	s_waitcnt vmcnt(0)
	global_store_b128 v[204:205], v[200:203], off
	scratch_load_b64 v[200:201], off, off offset:500 ; 8-byte Folded Reload
	;; [unrolled: 3-line block ×39, first 2 shown]
	s_waitcnt vmcnt(0)
	s_clause 0x1
	global_store_b128 v[52:53], v[48:51], off
	global_store_b128 v[252:253], v[44:47], off
	scratch_load_b64 v[44:45], off, off offset:132 ; 8-byte Folded Reload
	s_waitcnt vmcnt(0)
	s_clause 0x1
	global_store_b128 v[44:45], v[40:43], off
	global_store_b128 v[210:211], v[36:39], off
	scratch_load_b64 v[36:37], off, off offset:164 ; 8-byte Folded Reload
	s_waitcnt vmcnt(0)
	global_store_b128 v[36:37], v[32:35], off
	scratch_load_b64 v[32:33], off, off offset:148 ; 8-byte Folded Reload
	s_waitcnt vmcnt(0)
	;; [unrolled: 3-line block ×9, first 2 shown]
	global_store_b128 v[4:5], v[0:3], off
.LBB117_536:
	s_nop 0
	s_sendmsg sendmsg(MSG_DEALLOC_VGPRS)
	s_endpgm
	.section	.rodata,"a",@progbits
	.p2align	6, 0x0
	.amdhsa_kernel _ZN9rocsolver6v33100L23getf2_npvt_small_kernelILi59E19rocblas_complex_numIdEiiPKPS3_EEvT1_T3_lS7_lPT2_S7_S7_
		.amdhsa_group_segment_fixed_size 0
		.amdhsa_private_segment_fixed_size 1392
		.amdhsa_kernarg_size 312
		.amdhsa_user_sgpr_count 14
		.amdhsa_user_sgpr_dispatch_ptr 0
		.amdhsa_user_sgpr_queue_ptr 0
		.amdhsa_user_sgpr_kernarg_segment_ptr 1
		.amdhsa_user_sgpr_dispatch_id 0
		.amdhsa_user_sgpr_private_segment_size 0
		.amdhsa_wavefront_size32 1
		.amdhsa_uses_dynamic_stack 0
		.amdhsa_enable_private_segment 1
		.amdhsa_system_sgpr_workgroup_id_x 1
		.amdhsa_system_sgpr_workgroup_id_y 1
		.amdhsa_system_sgpr_workgroup_id_z 0
		.amdhsa_system_sgpr_workgroup_info 0
		.amdhsa_system_vgpr_workitem_id 1
		.amdhsa_next_free_vgpr 256
		.amdhsa_next_free_sgpr 18
		.amdhsa_reserve_vcc 1
		.amdhsa_float_round_mode_32 0
		.amdhsa_float_round_mode_16_64 0
		.amdhsa_float_denorm_mode_32 3
		.amdhsa_float_denorm_mode_16_64 3
		.amdhsa_dx10_clamp 1
		.amdhsa_ieee_mode 1
		.amdhsa_fp16_overflow 0
		.amdhsa_workgroup_processor_mode 1
		.amdhsa_memory_ordered 1
		.amdhsa_forward_progress 0
		.amdhsa_shared_vgpr_count 0
		.amdhsa_exception_fp_ieee_invalid_op 0
		.amdhsa_exception_fp_denorm_src 0
		.amdhsa_exception_fp_ieee_div_zero 0
		.amdhsa_exception_fp_ieee_overflow 0
		.amdhsa_exception_fp_ieee_underflow 0
		.amdhsa_exception_fp_ieee_inexact 0
		.amdhsa_exception_int_div_zero 0
	.end_amdhsa_kernel
	.section	.text._ZN9rocsolver6v33100L23getf2_npvt_small_kernelILi59E19rocblas_complex_numIdEiiPKPS3_EEvT1_T3_lS7_lPT2_S7_S7_,"axG",@progbits,_ZN9rocsolver6v33100L23getf2_npvt_small_kernelILi59E19rocblas_complex_numIdEiiPKPS3_EEvT1_T3_lS7_lPT2_S7_S7_,comdat
.Lfunc_end117:
	.size	_ZN9rocsolver6v33100L23getf2_npvt_small_kernelILi59E19rocblas_complex_numIdEiiPKPS3_EEvT1_T3_lS7_lPT2_S7_S7_, .Lfunc_end117-_ZN9rocsolver6v33100L23getf2_npvt_small_kernelILi59E19rocblas_complex_numIdEiiPKPS3_EEvT1_T3_lS7_lPT2_S7_S7_
                                        ; -- End function
	.section	.AMDGPU.csdata,"",@progbits
; Kernel info:
; codeLenInByte = 178192
; NumSgprs: 20
; NumVgprs: 256
; ScratchSize: 1392
; MemoryBound: 1
; FloatMode: 240
; IeeeMode: 1
; LDSByteSize: 0 bytes/workgroup (compile time only)
; SGPRBlocks: 2
; VGPRBlocks: 31
; NumSGPRsForWavesPerEU: 20
; NumVGPRsForWavesPerEU: 256
; Occupancy: 5
; WaveLimiterHint : 1
; COMPUTE_PGM_RSRC2:SCRATCH_EN: 1
; COMPUTE_PGM_RSRC2:USER_SGPR: 14
; COMPUTE_PGM_RSRC2:TRAP_HANDLER: 0
; COMPUTE_PGM_RSRC2:TGID_X_EN: 1
; COMPUTE_PGM_RSRC2:TGID_Y_EN: 1
; COMPUTE_PGM_RSRC2:TGID_Z_EN: 0
; COMPUTE_PGM_RSRC2:TIDIG_COMP_CNT: 1
	.section	.text._ZN9rocsolver6v33100L18getf2_small_kernelILi60E19rocblas_complex_numIdEiiPKPS3_EEvT1_T3_lS7_lPS7_llPT2_S7_S7_S9_l,"axG",@progbits,_ZN9rocsolver6v33100L18getf2_small_kernelILi60E19rocblas_complex_numIdEiiPKPS3_EEvT1_T3_lS7_lPS7_llPT2_S7_S7_S9_l,comdat
	.globl	_ZN9rocsolver6v33100L18getf2_small_kernelILi60E19rocblas_complex_numIdEiiPKPS3_EEvT1_T3_lS7_lPS7_llPT2_S7_S7_S9_l ; -- Begin function _ZN9rocsolver6v33100L18getf2_small_kernelILi60E19rocblas_complex_numIdEiiPKPS3_EEvT1_T3_lS7_lPS7_llPT2_S7_S7_S9_l
	.p2align	8
	.type	_ZN9rocsolver6v33100L18getf2_small_kernelILi60E19rocblas_complex_numIdEiiPKPS3_EEvT1_T3_lS7_lPS7_llPT2_S7_S7_S9_l,@function
_ZN9rocsolver6v33100L18getf2_small_kernelILi60E19rocblas_complex_numIdEiiPKPS3_EEvT1_T3_lS7_lPS7_llPT2_S7_S7_S9_l: ; @_ZN9rocsolver6v33100L18getf2_small_kernelILi60E19rocblas_complex_numIdEiiPKPS3_EEvT1_T3_lS7_lPS7_llPT2_S7_S7_S9_l
; %bb.0:
	s_clause 0x1
	s_load_b32 s2, s[0:1], 0x6c
	s_load_b64 s[12:13], s[0:1], 0x48
	v_bfe_u32 v240, v0, 10, 10
	s_waitcnt lgkmcnt(0)
	s_lshr_b32 s2, s2, 16
	s_delay_alu instid0(VALU_DEP_1) | instid1(SALU_CYCLE_1)
	v_mad_u64_u32 v[208:209], null, s15, s2, v[240:241]
	s_mov_b32 s2, exec_lo
	s_delay_alu instid0(VALU_DEP_1)
	v_cmpx_gt_i32_e64 s12, v208
	s_cbranch_execnz .LBB118_1
; %bb.1264:
	s_getpc_b64 s[16:17]
.Lpost_getpc26:
	s_add_u32 s16, s16, (.LBB118_1263-.Lpost_getpc26)&4294967295
	s_addc_u32 s17, s17, (.LBB118_1263-.Lpost_getpc26)>>32
	s_setpc_b64 s[16:17]
.LBB118_1:
	s_clause 0x1
	s_load_b128 s[4:7], s[0:1], 0x8
	s_load_b128 s[8:11], s[0:1], 0x50
	v_ashrrev_i32_e32 v209, 31, v208
	v_mov_b32_e32 v3, 0
	v_mov_b32_e32 v4, 0
	s_delay_alu instid0(VALU_DEP_3)
	v_lshlrev_b64 v[1:2], 3, v[208:209]
	scratch_store_b64 off, v[3:4], off offset:16 ; 8-byte Folded Spill
	s_waitcnt lgkmcnt(0)
	v_add_co_u32 v1, vcc_lo, s4, v1
	v_add_co_ci_u32_e32 v2, vcc_lo, s5, v2, vcc_lo
	s_cmp_eq_u64 s[8:9], 0
	s_cselect_b32 s5, -1, 0
	global_load_b64 v[1:2], v[1:2], off
	s_and_b32 vcc_lo, exec_lo, s5
	s_cbranch_vccnz .LBB118_3
; %bb.2:
	v_mul_lo_u32 v5, v209, s10
	v_mul_lo_u32 v6, v208, s11
	v_mad_u64_u32 v[3:4], null, v208, s10, 0
	s_delay_alu instid0(VALU_DEP_1) | instskip(NEXT) | instid1(VALU_DEP_1)
	v_add3_u32 v4, v4, v6, v5
	v_lshlrev_b64 v[3:4], 2, v[3:4]
	s_delay_alu instid0(VALU_DEP_1) | instskip(NEXT) | instid1(VALU_DEP_2)
	v_add_co_u32 v3, vcc_lo, s8, v3
	v_add_co_ci_u32_e32 v4, vcc_lo, s9, v4, vcc_lo
	scratch_store_b64 off, v[3:4], off offset:16 ; 8-byte Folded Spill
.LBB118_3:
	s_clause 0x1
	s_load_b32 s8, s[0:1], 0x18
	s_load_b32 s12, s[0:1], 0x0
	v_and_b32_e32 v87, 0x3ff, v0
	s_lshl_b64 s[2:3], s[6:7], 4
	scratch_store_b64 off, v[208:209], off offset:88 ; 8-byte Folded Spill
	s_waitcnt vmcnt(0)
	v_add_co_u32 v251, vcc_lo, v1, s2
	v_add_co_ci_u32_e32 v252, vcc_lo, s3, v2, vcc_lo
	v_lshlrev_b32_e32 v247, 4, v87
	v_mov_b32_e32 v255, v87
	s_waitcnt lgkmcnt(0)
	v_add3_u32 v3, s8, s8, v87
	s_ashr_i32 s9, s8, 31
	s_max_i32 s2, s12, 60
	s_lshl_b64 s[10:11], s[8:9], 4
	s_cmp_lt_i32 s12, 2
	v_add_nc_u32_e32 v5, s8, v3
	v_ashrrev_i32_e32 v4, 31, v3
	s_delay_alu instid0(VALU_DEP_2) | instskip(NEXT) | instid1(VALU_DEP_2)
	v_add_nc_u32_e32 v0, s8, v5
	v_lshlrev_b64 v[3:4], 4, v[3:4]
	v_ashrrev_i32_e32 v6, 31, v5
	s_delay_alu instid0(VALU_DEP_3) | instskip(SKIP_1) | instid1(VALU_DEP_4)
	v_add_nc_u32_e32 v2, s8, v0
	v_ashrrev_i32_e32 v1, 31, v0
	v_add_co_u32 v7, vcc_lo, v251, v3
	v_add_co_ci_u32_e32 v8, vcc_lo, v252, v4, vcc_lo
	s_delay_alu instid0(VALU_DEP_4) | instskip(SKIP_3) | instid1(VALU_DEP_4)
	v_add_nc_u32_e32 v4, s8, v2
	v_lshlrev_b64 v[5:6], 4, v[5:6]
	v_ashrrev_i32_e32 v3, 31, v2
	v_lshlrev_b64 v[0:1], 4, v[0:1]
	v_add_nc_u32_e32 v11, s8, v4
	s_delay_alu instid0(VALU_DEP_4) | instskip(SKIP_1) | instid1(VALU_DEP_3)
	v_add_co_u32 v9, vcc_lo, v251, v5
	v_ashrrev_i32_e32 v5, 31, v4
	v_add_nc_u32_e32 v13, s8, v11
	v_lshlrev_b64 v[2:3], 4, v[2:3]
	v_ashrrev_i32_e32 v12, 31, v11
	v_add_co_ci_u32_e32 v10, vcc_lo, v252, v6, vcc_lo
	s_delay_alu instid0(VALU_DEP_4) | instskip(SKIP_3) | instid1(VALU_DEP_4)
	v_add_nc_u32_e32 v15, s8, v13
	v_add_co_u32 v0, vcc_lo, v251, v0
	v_lshlrev_b64 v[4:5], 4, v[4:5]
	v_ashrrev_i32_e32 v14, 31, v13
	v_add_nc_u32_e32 v17, s8, v15
	v_add_co_ci_u32_e32 v1, vcc_lo, v252, v1, vcc_lo
	v_add_co_u32 v2, vcc_lo, v251, v2
	s_delay_alu instid0(VALU_DEP_3) | instskip(SKIP_3) | instid1(VALU_DEP_4)
	v_add_nc_u32_e32 v19, s8, v17
	v_lshlrev_b64 v[11:12], 4, v[11:12]
	v_ashrrev_i32_e32 v16, 31, v15
	v_add_co_ci_u32_e32 v3, vcc_lo, v252, v3, vcc_lo
	v_add_nc_u32_e32 v21, s8, v19
	v_add_co_u32 v4, vcc_lo, v251, v4
	v_lshlrev_b64 v[13:14], 4, v[13:14]
	v_ashrrev_i32_e32 v18, 31, v17
	s_delay_alu instid0(VALU_DEP_4) | instskip(SKIP_2) | instid1(VALU_DEP_3)
	v_add_nc_u32_e32 v23, s8, v21
	v_add_co_ci_u32_e32 v5, vcc_lo, v252, v5, vcc_lo
	v_add_co_u32 v11, vcc_lo, v251, v11
	v_add_nc_u32_e32 v25, s8, v23
	v_lshlrev_b64 v[15:16], 4, v[15:16]
	v_ashrrev_i32_e32 v20, 31, v19
	v_add_co_ci_u32_e32 v12, vcc_lo, v252, v12, vcc_lo
	s_delay_alu instid0(VALU_DEP_4) | instskip(SKIP_3) | instid1(VALU_DEP_4)
	v_add_nc_u32_e32 v27, s8, v25
	v_add_co_u32 v13, vcc_lo, v251, v13
	v_lshlrev_b64 v[17:18], 4, v[17:18]
	v_ashrrev_i32_e32 v22, 31, v21
	v_add_nc_u32_e32 v29, s8, v27
	v_add_co_ci_u32_e32 v14, vcc_lo, v252, v14, vcc_lo
	v_add_co_u32 v15, vcc_lo, v251, v15
	s_delay_alu instid0(VALU_DEP_3) | instskip(SKIP_3) | instid1(VALU_DEP_4)
	v_add_nc_u32_e32 v31, s8, v29
	v_lshlrev_b64 v[19:20], 4, v[19:20]
	v_ashrrev_i32_e32 v24, 31, v23
	v_add_co_ci_u32_e32 v16, vcc_lo, v252, v16, vcc_lo
	v_add_nc_u32_e32 v33, s8, v31
	v_add_co_u32 v17, vcc_lo, v251, v17
	v_lshlrev_b64 v[21:22], 4, v[21:22]
	v_ashrrev_i32_e32 v26, 31, v25
	s_delay_alu instid0(VALU_DEP_4) | instskip(SKIP_2) | instid1(VALU_DEP_3)
	v_add_nc_u32_e32 v35, s8, v33
	v_add_co_ci_u32_e32 v18, vcc_lo, v252, v18, vcc_lo
	v_add_co_u32 v19, vcc_lo, v251, v19
	;; [unrolled: 25-line block ×3, first 2 shown]
	v_add_nc_u32_e32 v49, s8, v47
	v_lshlrev_b64 v[31:32], 4, v[31:32]
	v_ashrrev_i32_e32 v36, 31, v35
	v_add_co_ci_u32_e32 v28, vcc_lo, v252, v28, vcc_lo
	s_delay_alu instid0(VALU_DEP_4) | instskip(SKIP_3) | instid1(VALU_DEP_4)
	v_add_nc_u32_e32 v51, s8, v49
	v_add_co_u32 v29, vcc_lo, v251, v29
	v_lshlrev_b64 v[33:34], 4, v[33:34]
	v_ashrrev_i32_e32 v38, 31, v37
	v_add_nc_u32_e32 v53, s8, v51
	v_add_co_ci_u32_e32 v30, vcc_lo, v252, v30, vcc_lo
	v_add_co_u32 v31, vcc_lo, v251, v31
	s_delay_alu instid0(VALU_DEP_3) | instskip(SKIP_3) | instid1(VALU_DEP_4)
	v_add_nc_u32_e32 v55, s8, v53
	v_lshlrev_b64 v[35:36], 4, v[35:36]
	v_ashrrev_i32_e32 v40, 31, v39
	v_add_co_ci_u32_e32 v32, vcc_lo, v252, v32, vcc_lo
	v_add_nc_u32_e32 v57, s8, v55
	v_add_co_u32 v33, vcc_lo, v251, v33
	v_lshlrev_b64 v[37:38], 4, v[37:38]
	v_ashrrev_i32_e32 v42, 31, v41
	s_delay_alu instid0(VALU_DEP_4)
	v_add_nc_u32_e32 v59, s8, v57
	v_add_co_ci_u32_e32 v34, vcc_lo, v252, v34, vcc_lo
	v_add_co_u32 v35, vcc_lo, v251, v35
	v_lshlrev_b64 v[39:40], 4, v[39:40]
	v_ashrrev_i32_e32 v44, 31, v43
	v_add_co_ci_u32_e32 v36, vcc_lo, v252, v36, vcc_lo
	v_add_co_u32 v37, vcc_lo, v251, v37
	v_lshlrev_b64 v[41:42], 4, v[41:42]
	v_add_nc_u32_e32 v61, s8, v59
	v_ashrrev_i32_e32 v46, 31, v45
	v_add_co_ci_u32_e32 v38, vcc_lo, v252, v38, vcc_lo
	v_add_co_u32 v39, vcc_lo, v251, v39
	v_lshlrev_b64 v[43:44], 4, v[43:44]
	v_ashrrev_i32_e32 v48, 31, v47
	v_add_co_ci_u32_e32 v40, vcc_lo, v252, v40, vcc_lo
	v_add_nc_u32_e32 v63, s8, v61
	v_add_co_u32 v41, vcc_lo, v251, v41
	v_lshlrev_b64 v[45:46], 4, v[45:46]
	v_ashrrev_i32_e32 v50, 31, v49
	v_add_co_ci_u32_e32 v42, vcc_lo, v252, v42, vcc_lo
	v_add_co_u32 v43, vcc_lo, v251, v43
	v_lshlrev_b64 v[47:48], 4, v[47:48]
	v_ashrrev_i32_e32 v52, 31, v51
	v_add_nc_u32_e32 v65, s8, v63
	v_add_co_ci_u32_e32 v44, vcc_lo, v252, v44, vcc_lo
	v_add_co_u32 v45, vcc_lo, v251, v45
	v_lshlrev_b64 v[49:50], 4, v[49:50]
	v_ashrrev_i32_e32 v54, 31, v53
	v_add_co_ci_u32_e32 v46, vcc_lo, v252, v46, vcc_lo
	v_add_co_u32 v47, vcc_lo, v251, v47
	v_lshlrev_b64 v[51:52], 4, v[51:52]
	v_add_nc_u32_e32 v67, s8, v65
	v_ashrrev_i32_e32 v56, 31, v55
	v_add_co_ci_u32_e32 v48, vcc_lo, v252, v48, vcc_lo
	v_add_co_u32 v49, vcc_lo, v251, v49
	v_lshlrev_b64 v[53:54], 4, v[53:54]
	v_ashrrev_i32_e32 v58, 31, v57
	v_add_co_ci_u32_e32 v50, vcc_lo, v252, v50, vcc_lo
	v_add_nc_u32_e32 v69, s8, v67
	v_add_co_u32 v51, vcc_lo, v251, v51
	v_lshlrev_b64 v[55:56], 4, v[55:56]
	v_ashrrev_i32_e32 v60, 31, v59
	v_add_co_ci_u32_e32 v52, vcc_lo, v252, v52, vcc_lo
	v_add_co_u32 v53, vcc_lo, v251, v53
	v_lshlrev_b64 v[57:58], 4, v[57:58]
	v_ashrrev_i32_e32 v62, 31, v61
	;; [unrolled: 23-line block ×3, first 2 shown]
	v_add_nc_u32_e32 v77, s8, v75
	v_add_co_ci_u32_e32 v64, vcc_lo, v252, v64, vcc_lo
	v_add_co_u32 v65, vcc_lo, v251, v65
	v_lshlrev_b64 v[69:70], 4, v[69:70]
	v_ashrrev_i32_e32 v74, 31, v73
	v_add_co_ci_u32_e32 v66, vcc_lo, v252, v66, vcc_lo
	v_add_co_u32 v67, vcc_lo, v251, v67
	v_lshlrev_b64 v[71:72], 4, v[71:72]
	v_add_nc_u32_e32 v79, s8, v77
	v_ashrrev_i32_e32 v76, 31, v75
	v_add_co_ci_u32_e32 v68, vcc_lo, v252, v68, vcc_lo
	v_add_co_u32 v69, vcc_lo, v251, v69
	v_lshlrev_b64 v[73:74], 4, v[73:74]
	v_ashrrev_i32_e32 v78, 31, v77
	v_add_co_ci_u32_e32 v70, vcc_lo, v252, v70, vcc_lo
	v_add_nc_u32_e32 v81, s8, v79
	v_add_co_u32 v71, vcc_lo, v251, v71
	v_lshlrev_b64 v[75:76], 4, v[75:76]
	v_ashrrev_i32_e32 v80, 31, v79
	v_add_co_ci_u32_e32 v72, vcc_lo, v252, v72, vcc_lo
	v_add_co_u32 v73, vcc_lo, v251, v73
	v_lshlrev_b64 v[77:78], 4, v[77:78]
	v_add_nc_u32_e32 v83, s8, v81
	v_add_co_ci_u32_e32 v74, vcc_lo, v252, v74, vcc_lo
	v_add_co_u32 v75, vcc_lo, v251, v75
	v_lshlrev_b64 v[79:80], 4, v[79:80]
	v_ashrrev_i32_e32 v82, 31, v81
	v_add_co_ci_u32_e32 v76, vcc_lo, v252, v76, vcc_lo
	v_add_co_u32 v77, vcc_lo, v251, v77
	v_ashrrev_i32_e32 v84, 31, v83
	v_add_nc_u32_e32 v85, s8, v83
	v_add_co_ci_u32_e32 v78, vcc_lo, v252, v78, vcc_lo
	v_lshlrev_b64 v[81:82], 4, v[81:82]
	v_add_co_u32 v232, vcc_lo, v251, v79
	v_add_co_ci_u32_e32 v233, vcc_lo, v252, v80, vcc_lo
	v_lshlrev_b64 v[79:80], 4, v[83:84]
	v_ashrrev_i32_e32 v86, 31, v85
	v_add_nc_u32_e32 v83, s8, v85
	v_add_co_u32 v234, vcc_lo, v251, v81
	v_add_co_ci_u32_e32 v235, vcc_lo, v252, v82, vcc_lo
	s_delay_alu instid0(VALU_DEP_4) | instskip(NEXT) | instid1(VALU_DEP_4)
	v_lshlrev_b64 v[81:82], 4, v[85:86]
	v_ashrrev_i32_e32 v84, 31, v83
	v_add_nc_u32_e32 v85, s8, v83
	v_add_co_u32 v241, vcc_lo, v251, v79
	v_add_co_ci_u32_e32 v242, vcc_lo, v252, v80, vcc_lo
	s_delay_alu instid0(VALU_DEP_4) | instskip(NEXT) | instid1(VALU_DEP_4)
	;; [unrolled: 6-line block ×13, first 2 shown]
	v_lshlrev_b64 v[81:82], 4, v[85:86]
	v_add_nc_u32_e32 v85, s8, v83
	v_ashrrev_i32_e32 v84, 31, v83
	v_add_co_u32 v222, vcc_lo, v251, v79
	v_add_co_ci_u32_e32 v223, vcc_lo, v252, v80, vcc_lo
	s_delay_alu instid0(VALU_DEP_4) | instskip(NEXT) | instid1(VALU_DEP_4)
	v_ashrrev_i32_e32 v86, 31, v85
	v_lshlrev_b64 v[79:80], 4, v[83:84]
	v_add_co_u32 v216, vcc_lo, v251, v81
	v_add_co_ci_u32_e32 v217, vcc_lo, v252, v82, vcc_lo
	s_delay_alu instid0(VALU_DEP_4) | instskip(SKIP_3) | instid1(VALU_DEP_4)
	v_lshlrev_b64 v[81:82], 4, v[85:86]
	v_add_nc_u32_e32 v83, s8, v85
	v_add_co_u32 v218, vcc_lo, v251, v79
	v_add_co_ci_u32_e32 v219, vcc_lo, v252, v80, vcc_lo
	v_add_co_u32 v212, vcc_lo, v251, v81
	s_delay_alu instid0(VALU_DEP_4) | instskip(SKIP_3) | instid1(VALU_DEP_4)
	v_ashrrev_i32_e32 v84, 31, v83
	v_add_co_ci_u32_e32 v213, vcc_lo, v252, v82, vcc_lo
	v_add_co_u32 v81, vcc_lo, v251, v247
	v_add_co_ci_u32_e32 v82, vcc_lo, 0, v252, vcc_lo
	v_lshlrev_b64 v[79:80], 4, v[83:84]
	s_delay_alu instid0(VALU_DEP_3) | instskip(NEXT) | instid1(VALU_DEP_3)
	v_add_co_u32 v83, vcc_lo, v81, s10
	v_add_co_ci_u32_e32 v84, vcc_lo, s11, v82, vcc_lo
	s_delay_alu instid0(VALU_DEP_3) | instskip(NEXT) | instid1(VALU_DEP_4)
	v_add_co_u32 v214, vcc_lo, v251, v79
	v_add_co_ci_u32_e32 v215, vcc_lo, v252, v80, vcc_lo
	s_clause 0x1
	global_load_b128 v[208:211], v[81:82], off
	global_load_b128 v[79:82], v[83:84], off
	s_waitcnt vmcnt(0)
	scratch_store_b128 off, v[79:82], off offset:56 ; 16-byte Folded Spill
	s_clause 0x1
	global_load_b128 v[79:82], v[7:8], off
	global_load_b128 v[6:9], v[9:10], off
	s_waitcnt vmcnt(1)
	scratch_store_b128 off, v[79:82], off offset:40 ; 16-byte Folded Spill
	s_waitcnt vmcnt(0)
	scratch_store_b128 off, v[6:9], off offset:24 ; 16-byte Folded Spill
	global_load_b128 v[6:9], v[0:1], off
	s_waitcnt vmcnt(0)
	scratch_store_b128 off, v[6:9], off offset:96 ; 16-byte Folded Spill
	s_clause 0x1f
	global_load_b128 v[0:3], v[2:3], off
	global_load_b128 v[4:7], v[4:5], off
	;; [unrolled: 1-line block ×32, first 2 shown]
	s_clause 0x16
	global_load_b128 v[88:91], v[71:72], off
	global_load_b128 v[84:87], v[73:74], off
	;; [unrolled: 1-line block ×23, first 2 shown]
	v_mul_lo_u32 v212, s2, v240
	scratch_store_b128 off, v[208:211], off offset:72 ; 16-byte Folded Spill
	v_mov_b32_e32 v248, 0
	v_lshl_add_u32 v250, v212, 4, 0
	v_lshlrev_b32_e32 v254, 4, v212
	s_delay_alu instid0(VALU_DEP_2)
	v_add_nc_u32_e32 v213, v250, v247
	ds_store_2addr_b64 v213, v[208:209], v[210:211] offset1:1
	s_waitcnt vmcnt(0) lgkmcnt(0)
	s_waitcnt_vscnt null, 0x0
	s_barrier
	buffer_gl0_inv
	ds_load_2addr_b64 v[240:243], v250 offset1:1
	scratch_store_b128 off, v[204:207], off ; 16-byte Folded Spill
	s_cbranch_scc1 .LBB118_6
; %bb.4:
	v_add3_u32 v245, v254, 0, 16
	v_mov_b32_e32 v248, 0
	s_mov_b32 s6, 1
	s_set_inst_prefetch_distance 0x1
	.p2align	6
.LBB118_5:                              ; =>This Inner Loop Header: Depth=1
	ds_load_2addr_b64 v[232:235], v245 offset1:1
	s_waitcnt lgkmcnt(1)
	v_cmp_gt_f64_e32 vcc_lo, 0, v[240:241]
	v_cmp_gt_f64_e64 s2, 0, v[242:243]
	v_xor_b32_e32 v213, 0x80000000, v241
	v_xor_b32_e32 v215, 0x80000000, v243
	v_add_nc_u32_e32 v245, 16, v245
	s_waitcnt lgkmcnt(0)
	v_cmp_gt_f64_e64 s3, 0, v[232:233]
	v_cmp_gt_f64_e64 s4, 0, v[234:235]
	v_xor_b32_e32 v219, 0x80000000, v233
	v_xor_b32_e32 v220, 0x80000000, v235
	v_mov_b32_e32 v214, v234
	v_mov_b32_e32 v212, v232
	v_cndmask_b32_e32 v216, v241, v213, vcc_lo
	v_cndmask_b32_e64 v218, v243, v215, s2
	v_cndmask_b32_e32 v215, v240, v240, vcc_lo
	v_cndmask_b32_e64 v217, v242, v242, s2
	s_delay_alu instid0(VALU_DEP_1) | instskip(SKIP_2) | instid1(VALU_DEP_1)
	v_add_f64 v[216:217], v[215:216], v[217:218]
	v_cndmask_b32_e64 v213, v233, v219, s3
	v_cndmask_b32_e64 v215, v235, v220, s4
	v_add_f64 v[212:213], v[212:213], v[214:215]
	s_delay_alu instid0(VALU_DEP_1)
	v_cmp_lt_f64_e32 vcc_lo, v[216:217], v[212:213]
	v_cndmask_b32_e32 v243, v243, v235, vcc_lo
	v_dual_cndmask_b32 v241, v241, v233 :: v_dual_cndmask_b32 v240, v240, v232
	v_cndmask_b32_e32 v242, v242, v234, vcc_lo
	v_cndmask_b32_e64 v248, v248, s6, vcc_lo
	s_add_i32 s6, s6, 1
	s_delay_alu instid0(SALU_CYCLE_1)
	s_cmp_eq_u32 s12, s6
	s_cbranch_scc0 .LBB118_5
.LBB118_6:
	s_set_inst_prefetch_distance 0x2
	scratch_load_b64 v[246:247], off, off offset:88 ; 8-byte Folded Reload
	s_waitcnt lgkmcnt(0)
	v_cmp_neq_f64_e32 vcc_lo, 0, v[240:241]
	v_cmp_neq_f64_e64 s2, 0, v[242:243]
	v_dual_mov_b32 v207, v11 :: v_dual_mov_b32 v206, v10
	v_dual_mov_b32 v205, v9 :: v_dual_mov_b32 v204, v8
	;; [unrolled: 1-line block ×5, first 2 shown]
	v_mov_b32_e32 v245, 1
	s_or_b32 s2, vcc_lo, s2
	s_mov_b32 s3, exec_lo
	v_dual_mov_b32 v7, v3 :: v_dual_mov_b32 v6, v2
	v_dual_mov_b32 v5, v1 :: v_dual_mov_b32 v4, v0
	scratch_load_b128 v[0:3], off, off offset:96 ; 16-byte Folded Reload
	s_and_b32 s2, s3, s2
	s_delay_alu instid0(SALU_CYCLE_1)
	s_mov_b32 exec_lo, s2
	s_cbranch_execz .LBB118_12
; %bb.7:
	v_cmp_gt_f64_e32 vcc_lo, 0, v[240:241]
	v_cmp_gt_f64_e64 s2, 0, v[242:243]
	v_xor_b32_e32 v212, 0x80000000, v241
	v_xor_b32_e32 v214, 0x80000000, v243
                                        ; implicit-def: $sgpr4
                                        ; implicit-def: $sgpr6
	s_delay_alu instid0(VALU_DEP_2) | instskip(NEXT) | instid1(VALU_DEP_2)
	v_cndmask_b32_e32 v213, v241, v212, vcc_lo
	v_cndmask_b32_e64 v215, v243, v214, s2
	v_cndmask_b32_e32 v212, v240, v240, vcc_lo
	v_cndmask_b32_e64 v214, v242, v242, s2
	s_mov_b32 s2, exec_lo
	s_delay_alu instid0(VALU_DEP_1)
	v_cmpx_ngt_f64_e32 v[212:213], v[214:215]
	s_xor_b32 s2, exec_lo, s2
	s_cbranch_execz .LBB118_9
; %bb.8:
	v_div_scale_f64 v[212:213], null, v[242:243], v[242:243], v[240:241]
	v_div_scale_f64 v[218:219], vcc_lo, v[240:241], v[242:243], v[240:241]
	s_mov_b32 s6, 2
	s_mov_b32 s4, 0
	s_delay_alu instid0(VALU_DEP_2) | instskip(SKIP_2) | instid1(VALU_DEP_1)
	v_rcp_f64_e32 v[214:215], v[212:213]
	s_waitcnt_depctr 0xfff
	v_fma_f64 v[216:217], -v[212:213], v[214:215], 1.0
	v_fma_f64 v[214:215], v[214:215], v[216:217], v[214:215]
	s_delay_alu instid0(VALU_DEP_1) | instskip(NEXT) | instid1(VALU_DEP_1)
	v_fma_f64 v[216:217], -v[212:213], v[214:215], 1.0
	v_fma_f64 v[214:215], v[214:215], v[216:217], v[214:215]
	s_delay_alu instid0(VALU_DEP_1) | instskip(NEXT) | instid1(VALU_DEP_1)
	v_mul_f64 v[216:217], v[218:219], v[214:215]
	v_fma_f64 v[212:213], -v[212:213], v[216:217], v[218:219]
	s_delay_alu instid0(VALU_DEP_1) | instskip(NEXT) | instid1(VALU_DEP_1)
	v_div_fmas_f64 v[212:213], v[212:213], v[214:215], v[216:217]
	v_div_fixup_f64 v[212:213], v[212:213], v[242:243], v[240:241]
	s_delay_alu instid0(VALU_DEP_1) | instskip(NEXT) | instid1(VALU_DEP_1)
	v_fma_f64 v[214:215], v[240:241], v[212:213], v[242:243]
	v_div_scale_f64 v[216:217], null, v[214:215], v[214:215], 1.0
	s_delay_alu instid0(VALU_DEP_1) | instskip(SKIP_2) | instid1(VALU_DEP_1)
	v_rcp_f64_e32 v[218:219], v[216:217]
	s_waitcnt_depctr 0xfff
	v_fma_f64 v[220:221], -v[216:217], v[218:219], 1.0
	v_fma_f64 v[218:219], v[218:219], v[220:221], v[218:219]
	s_delay_alu instid0(VALU_DEP_1) | instskip(NEXT) | instid1(VALU_DEP_1)
	v_fma_f64 v[220:221], -v[216:217], v[218:219], 1.0
	v_fma_f64 v[218:219], v[218:219], v[220:221], v[218:219]
	v_div_scale_f64 v[220:221], vcc_lo, 1.0, v[214:215], 1.0
	s_delay_alu instid0(VALU_DEP_1) | instskip(NEXT) | instid1(VALU_DEP_1)
	v_mul_f64 v[222:223], v[220:221], v[218:219]
	v_fma_f64 v[216:217], -v[216:217], v[222:223], v[220:221]
	s_delay_alu instid0(VALU_DEP_1) | instskip(NEXT) | instid1(VALU_DEP_1)
	v_div_fmas_f64 v[216:217], v[216:217], v[218:219], v[222:223]
	v_div_fixup_f64 v[242:243], v[216:217], v[214:215], 1.0
	s_delay_alu instid0(VALU_DEP_1)
	v_mul_f64 v[240:241], v[212:213], v[242:243]
	v_xor_b32_e32 v243, 0x80000000, v243
.LBB118_9:
	s_or_saveexec_b32 s2, s2
	v_mov_b32_e32 v245, s4
	v_mov_b32_e32 v253, s6
	s_xor_b32 exec_lo, exec_lo, s2
	s_cbranch_execz .LBB118_11
; %bb.10:
	s_delay_alu instid0(VALU_DEP_4) | instskip(SKIP_3) | instid1(VALU_DEP_4)
	v_div_scale_f64 v[212:213], null, v[240:241], v[240:241], v[242:243]
	v_div_scale_f64 v[218:219], vcc_lo, v[242:243], v[240:241], v[242:243]
	v_mov_b32_e32 v245, 0
	v_mov_b32_e32 v253, 2
	v_rcp_f64_e32 v[214:215], v[212:213]
	s_waitcnt_depctr 0xfff
	v_fma_f64 v[216:217], -v[212:213], v[214:215], 1.0
	s_delay_alu instid0(VALU_DEP_1) | instskip(NEXT) | instid1(VALU_DEP_1)
	v_fma_f64 v[214:215], v[214:215], v[216:217], v[214:215]
	v_fma_f64 v[216:217], -v[212:213], v[214:215], 1.0
	s_delay_alu instid0(VALU_DEP_1) | instskip(NEXT) | instid1(VALU_DEP_1)
	v_fma_f64 v[214:215], v[214:215], v[216:217], v[214:215]
	v_mul_f64 v[216:217], v[218:219], v[214:215]
	s_delay_alu instid0(VALU_DEP_1) | instskip(NEXT) | instid1(VALU_DEP_1)
	v_fma_f64 v[212:213], -v[212:213], v[216:217], v[218:219]
	v_div_fmas_f64 v[212:213], v[212:213], v[214:215], v[216:217]
	s_delay_alu instid0(VALU_DEP_1) | instskip(NEXT) | instid1(VALU_DEP_1)
	v_div_fixup_f64 v[212:213], v[212:213], v[240:241], v[242:243]
	v_fma_f64 v[214:215], v[242:243], v[212:213], v[240:241]
	s_delay_alu instid0(VALU_DEP_1) | instskip(NEXT) | instid1(VALU_DEP_1)
	v_div_scale_f64 v[216:217], null, v[214:215], v[214:215], 1.0
	v_rcp_f64_e32 v[218:219], v[216:217]
	s_waitcnt_depctr 0xfff
	v_fma_f64 v[220:221], -v[216:217], v[218:219], 1.0
	s_delay_alu instid0(VALU_DEP_1) | instskip(NEXT) | instid1(VALU_DEP_1)
	v_fma_f64 v[218:219], v[218:219], v[220:221], v[218:219]
	v_fma_f64 v[220:221], -v[216:217], v[218:219], 1.0
	s_delay_alu instid0(VALU_DEP_1) | instskip(SKIP_1) | instid1(VALU_DEP_1)
	v_fma_f64 v[218:219], v[218:219], v[220:221], v[218:219]
	v_div_scale_f64 v[220:221], vcc_lo, 1.0, v[214:215], 1.0
	v_mul_f64 v[222:223], v[220:221], v[218:219]
	s_delay_alu instid0(VALU_DEP_1) | instskip(NEXT) | instid1(VALU_DEP_1)
	v_fma_f64 v[216:217], -v[216:217], v[222:223], v[220:221]
	v_div_fmas_f64 v[216:217], v[216:217], v[218:219], v[222:223]
	s_delay_alu instid0(VALU_DEP_1) | instskip(NEXT) | instid1(VALU_DEP_1)
	v_div_fixup_f64 v[240:241], v[216:217], v[214:215], 1.0
	v_mul_f64 v[242:243], v[212:213], -v[240:241]
.LBB118_11:
	s_or_b32 exec_lo, exec_lo, s2
.LBB118_12:
	s_delay_alu instid0(SALU_CYCLE_1) | instskip(NEXT) | instid1(SALU_CYCLE_1)
	s_or_b32 exec_lo, exec_lo, s3
	s_mov_b32 s2, exec_lo
	v_cmpx_ne_u32_e64 v244, v248
	s_xor_b32 s2, exec_lo, s2
	s_cbranch_execz .LBB118_18
; %bb.13:
	s_mov_b32 s3, exec_lo
	v_cmpx_eq_u32_e32 0, v244
	s_cbranch_execz .LBB118_17
; %bb.14:
	v_cmp_ne_u32_e32 vcc_lo, 0, v248
	s_xor_b32 s4, s5, -1
	s_delay_alu instid0(SALU_CYCLE_1) | instskip(NEXT) | instid1(SALU_CYCLE_1)
	s_and_b32 s6, s4, vcc_lo
	s_and_saveexec_b32 s4, s6
	s_cbranch_execz .LBB118_16
; %bb.15:
	scratch_load_b64 v[208:209], off, off offset:16 ; 8-byte Folded Reload
	v_ashrrev_i32_e32 v249, 31, v248
	s_delay_alu instid0(VALU_DEP_1) | instskip(SKIP_1) | instid1(VALU_DEP_1)
	v_lshlrev_b64 v[212:213], 2, v[248:249]
	s_waitcnt vmcnt(0)
	v_add_co_u32 v212, vcc_lo, v208, v212
	s_delay_alu instid0(VALU_DEP_2)
	v_add_co_ci_u32_e32 v213, vcc_lo, v209, v213, vcc_lo
	s_clause 0x1
	flat_load_b32 v214, v[212:213]
	flat_load_b32 v215, v[208:209]
	s_waitcnt vmcnt(1) lgkmcnt(1)
	flat_store_b32 v[208:209], v214
	s_waitcnt vmcnt(0) lgkmcnt(1)
	flat_store_b32 v[212:213], v215
.LBB118_16:
	s_or_b32 exec_lo, exec_lo, s4
	v_mov_b32_e32 v244, v248
.LBB118_17:
	s_or_b32 exec_lo, exec_lo, s3
.LBB118_18:
	s_or_saveexec_b32 s2, s2
	s_delay_alu instid0(VALU_DEP_1)
	v_mov_b32_e32 v255, v244
	s_xor_b32 exec_lo, exec_lo, s2
	s_cbranch_execz .LBB118_20
; %bb.19:
	scratch_load_b128 v[208:211], off, off offset:56 ; 16-byte Folded Reload
	v_mov_b32_e32 v255, 0
	s_waitcnt vmcnt(0)
	ds_store_2addr_b64 v250, v[208:209], v[210:211] offset0:2 offset1:3
	scratch_load_b128 v[208:211], off, off offset:40 ; 16-byte Folded Reload
	s_waitcnt vmcnt(0)
	ds_store_2addr_b64 v250, v[208:209], v[210:211] offset0:4 offset1:5
	scratch_load_b128 v[208:211], off, off offset:24 ; 16-byte Folded Reload
	s_waitcnt vmcnt(0)
	ds_store_2addr_b64 v250, v[208:209], v[210:211] offset0:6 offset1:7
	ds_store_2addr_b64 v250, v[0:1], v[2:3] offset0:8 offset1:9
	;; [unrolled: 1-line block ×4, first 2 shown]
	scratch_load_b128 v[208:211], off, off  ; 16-byte Folded Reload
	s_waitcnt vmcnt(0)
	ds_store_2addr_b64 v250, v[208:209], v[210:211] offset0:14 offset1:15
	ds_store_2addr_b64 v250, v[204:205], v[206:207] offset0:16 offset1:17
	;; [unrolled: 1-line block ×53, first 2 shown]
.LBB118_20:
	s_or_b32 exec_lo, exec_lo, s2
	s_delay_alu instid0(SALU_CYCLE_1)
	s_mov_b32 s2, exec_lo
	s_waitcnt vmcnt(0) lgkmcnt(0)
	s_waitcnt_vscnt null, 0x0
	s_barrier
	buffer_gl0_inv
	v_cmpx_lt_i32_e32 0, v255
	s_cbranch_execz .LBB118_22
; %bb.21:
	s_clause 0x1
	scratch_load_b128 v[214:217], off, off offset:72
	scratch_load_b128 v[208:211], off, off offset:56
	ds_load_2addr_b64 v[232:235], v250 offset0:2 offset1:3
	s_waitcnt vmcnt(1)
	v_mul_f64 v[212:213], v[242:243], v[216:217]
	s_delay_alu instid0(VALU_DEP_1) | instskip(SKIP_1) | instid1(VALU_DEP_1)
	v_fma_f64 v[248:249], v[240:241], v[214:215], -v[212:213]
	v_mul_f64 v[212:213], v[240:241], v[216:217]
	v_fma_f64 v[216:217], v[242:243], v[214:215], v[212:213]
	s_waitcnt lgkmcnt(0)
	s_delay_alu instid0(VALU_DEP_1) | instskip(SKIP_1) | instid1(VALU_DEP_2)
	v_mul_f64 v[212:213], v[234:235], v[216:217]
	v_mul_f64 v[214:215], v[232:233], v[216:217]
	v_fma_f64 v[212:213], v[232:233], v[248:249], -v[212:213]
	s_delay_alu instid0(VALU_DEP_2)
	v_fma_f64 v[214:215], v[234:235], v[248:249], v[214:215]
	ds_load_2addr_b64 v[232:235], v250 offset0:4 offset1:5
	s_waitcnt vmcnt(0)
	v_add_f64 v[208:209], v[208:209], -v[212:213]
	v_add_f64 v[210:211], v[210:211], -v[214:215]
	s_waitcnt lgkmcnt(0)
	v_mul_f64 v[212:213], v[234:235], v[216:217]
	v_mul_f64 v[214:215], v[232:233], v[216:217]
	scratch_store_b128 off, v[208:211], off offset:56 ; 16-byte Folded Spill
	scratch_load_b128 v[208:211], off, off offset:40 ; 16-byte Folded Reload
	v_fma_f64 v[212:213], v[232:233], v[248:249], -v[212:213]
	v_fma_f64 v[214:215], v[234:235], v[248:249], v[214:215]
	ds_load_2addr_b64 v[232:235], v250 offset0:6 offset1:7
	s_waitcnt vmcnt(0)
	v_add_f64 v[208:209], v[208:209], -v[212:213]
	v_add_f64 v[210:211], v[210:211], -v[214:215]
	s_waitcnt lgkmcnt(0)
	v_mul_f64 v[212:213], v[234:235], v[216:217]
	v_mul_f64 v[214:215], v[232:233], v[216:217]
	scratch_store_b128 off, v[208:211], off offset:40 ; 16-byte Folded Spill
	scratch_load_b128 v[208:211], off, off offset:24 ; 16-byte Folded Reload
	v_fma_f64 v[212:213], v[232:233], v[248:249], -v[212:213]
	v_fma_f64 v[214:215], v[234:235], v[248:249], v[214:215]
	ds_load_2addr_b64 v[232:235], v250 offset0:8 offset1:9
	s_waitcnt vmcnt(0)
	v_add_f64 v[208:209], v[208:209], -v[212:213]
	v_add_f64 v[210:211], v[210:211], -v[214:215]
	s_waitcnt lgkmcnt(0)
	v_mul_f64 v[212:213], v[234:235], v[216:217]
	v_mul_f64 v[214:215], v[232:233], v[216:217]
	scratch_store_b128 off, v[208:211], off offset:24 ; 16-byte Folded Spill
	scratch_load_b128 v[208:211], off, off  ; 16-byte Folded Reload
	v_fma_f64 v[212:213], v[232:233], v[248:249], -v[212:213]
	v_fma_f64 v[214:215], v[234:235], v[248:249], v[214:215]
	ds_load_2addr_b64 v[232:235], v250 offset0:10 offset1:11
	v_add_f64 v[0:1], v[0:1], -v[212:213]
	v_add_f64 v[2:3], v[2:3], -v[214:215]
	s_waitcnt lgkmcnt(0)
	v_mul_f64 v[212:213], v[234:235], v[216:217]
	v_mul_f64 v[214:215], v[232:233], v[216:217]
	s_delay_alu instid0(VALU_DEP_2) | instskip(NEXT) | instid1(VALU_DEP_2)
	v_fma_f64 v[212:213], v[232:233], v[248:249], -v[212:213]
	v_fma_f64 v[214:215], v[234:235], v[248:249], v[214:215]
	ds_load_2addr_b64 v[232:235], v250 offset0:12 offset1:13
	v_add_f64 v[4:5], v[4:5], -v[212:213]
	v_add_f64 v[6:7], v[6:7], -v[214:215]
	s_waitcnt lgkmcnt(0)
	v_mul_f64 v[212:213], v[234:235], v[216:217]
	v_mul_f64 v[214:215], v[232:233], v[216:217]
	s_delay_alu instid0(VALU_DEP_2) | instskip(NEXT) | instid1(VALU_DEP_2)
	;; [unrolled: 9-line block ×3, first 2 shown]
	v_fma_f64 v[212:213], v[232:233], v[248:249], -v[212:213]
	v_fma_f64 v[214:215], v[234:235], v[248:249], v[214:215]
	ds_load_2addr_b64 v[232:235], v250 offset0:16 offset1:17
	s_waitcnt vmcnt(0)
	v_add_f64 v[208:209], v[208:209], -v[212:213]
	v_add_f64 v[210:211], v[210:211], -v[214:215]
	s_waitcnt lgkmcnt(0)
	v_mul_f64 v[212:213], v[234:235], v[216:217]
	v_mul_f64 v[214:215], v[232:233], v[216:217]
	s_delay_alu instid0(VALU_DEP_2) | instskip(NEXT) | instid1(VALU_DEP_2)
	v_fma_f64 v[212:213], v[232:233], v[248:249], -v[212:213]
	v_fma_f64 v[214:215], v[234:235], v[248:249], v[214:215]
	ds_load_2addr_b64 v[232:235], v250 offset0:18 offset1:19
	v_add_f64 v[204:205], v[204:205], -v[212:213]
	v_add_f64 v[206:207], v[206:207], -v[214:215]
	s_waitcnt lgkmcnt(0)
	v_mul_f64 v[212:213], v[234:235], v[216:217]
	v_mul_f64 v[214:215], v[232:233], v[216:217]
	s_delay_alu instid0(VALU_DEP_2) | instskip(NEXT) | instid1(VALU_DEP_2)
	v_fma_f64 v[212:213], v[232:233], v[248:249], -v[212:213]
	v_fma_f64 v[214:215], v[234:235], v[248:249], v[214:215]
	ds_load_2addr_b64 v[232:235], v250 offset0:20 offset1:21
	;; [unrolled: 9-line block ×51, first 2 shown]
	v_add_f64 v[224:225], v[224:225], -v[212:213]
	v_add_f64 v[226:227], v[226:227], -v[214:215]
	s_waitcnt lgkmcnt(0)
	v_mul_f64 v[212:213], v[234:235], v[216:217]
	v_mul_f64 v[214:215], v[232:233], v[216:217]
	s_delay_alu instid0(VALU_DEP_2) | instskip(NEXT) | instid1(VALU_DEP_2)
	v_fma_f64 v[212:213], v[232:233], v[248:249], -v[212:213]
	v_fma_f64 v[214:215], v[234:235], v[248:249], v[214:215]
	s_delay_alu instid0(VALU_DEP_2) | instskip(NEXT) | instid1(VALU_DEP_2)
	v_add_f64 v[228:229], v[228:229], -v[212:213]
	v_add_f64 v[230:231], v[230:231], -v[214:215]
	v_dual_mov_b32 v214, v248 :: v_dual_mov_b32 v215, v249
	s_clause 0x1
	scratch_store_b128 off, v[208:211], off
	scratch_store_b128 off, v[214:217], off offset:72
.LBB118_22:
	s_or_b32 exec_lo, exec_lo, s2
	s_waitcnt_vscnt null, 0x0
	s_barrier
	buffer_gl0_inv
	scratch_load_b128 v[208:211], off, off offset:56 ; 16-byte Folded Reload
	v_lshl_add_u32 v212, v255, 4, v250
	v_mov_b32_e32 v248, 1
	s_cmp_lt_i32 s12, 3
	s_waitcnt vmcnt(0)
	ds_store_2addr_b64 v212, v[208:209], v[210:211] offset1:1
	s_waitcnt lgkmcnt(0)
	s_barrier
	buffer_gl0_inv
	ds_load_2addr_b64 v[240:243], v250 offset0:2 offset1:3
	s_cbranch_scc1 .LBB118_25
; %bb.23:
	v_add3_u32 v249, v254, 0, 32
	v_mov_b32_e32 v248, 1
	s_mov_b32 s6, 2
	s_set_inst_prefetch_distance 0x1
	.p2align	6
.LBB118_24:                             ; =>This Inner Loop Header: Depth=1
	ds_load_2addr_b64 v[232:235], v249 offset1:1
	s_waitcnt lgkmcnt(1)
	v_cmp_gt_f64_e32 vcc_lo, 0, v[240:241]
	v_cmp_gt_f64_e64 s2, 0, v[242:243]
	v_xor_b32_e32 v213, 0x80000000, v241
	v_xor_b32_e32 v215, 0x80000000, v243
	v_add_nc_u32_e32 v249, 16, v249
	s_waitcnt lgkmcnt(0)
	v_cmp_gt_f64_e64 s3, 0, v[232:233]
	v_cmp_gt_f64_e64 s4, 0, v[234:235]
	v_xor_b32_e32 v219, 0x80000000, v233
	v_xor_b32_e32 v220, 0x80000000, v235
	v_mov_b32_e32 v214, v234
	v_mov_b32_e32 v212, v232
	v_cndmask_b32_e32 v216, v241, v213, vcc_lo
	v_cndmask_b32_e64 v218, v243, v215, s2
	v_cndmask_b32_e32 v215, v240, v240, vcc_lo
	v_cndmask_b32_e64 v217, v242, v242, s2
	s_delay_alu instid0(VALU_DEP_1) | instskip(SKIP_2) | instid1(VALU_DEP_1)
	v_add_f64 v[216:217], v[215:216], v[217:218]
	v_cndmask_b32_e64 v213, v233, v219, s3
	v_cndmask_b32_e64 v215, v235, v220, s4
	v_add_f64 v[212:213], v[212:213], v[214:215]
	s_delay_alu instid0(VALU_DEP_1)
	v_cmp_lt_f64_e32 vcc_lo, v[216:217], v[212:213]
	v_cndmask_b32_e32 v243, v243, v235, vcc_lo
	v_dual_cndmask_b32 v241, v241, v233 :: v_dual_cndmask_b32 v240, v240, v232
	v_cndmask_b32_e32 v242, v242, v234, vcc_lo
	v_cndmask_b32_e64 v248, v248, s6, vcc_lo
	s_add_i32 s6, s6, 1
	s_delay_alu instid0(SALU_CYCLE_1)
	s_cmp_lg_u32 s12, s6
	s_cbranch_scc1 .LBB118_24
.LBB118_25:
	s_set_inst_prefetch_distance 0x2
	s_waitcnt lgkmcnt(0)
	v_cmp_neq_f64_e32 vcc_lo, 0, v[240:241]
	v_cmp_neq_f64_e64 s2, 0, v[242:243]
	s_delay_alu instid0(VALU_DEP_1) | instskip(NEXT) | instid1(SALU_CYCLE_1)
	s_or_b32 s2, vcc_lo, s2
	s_and_saveexec_b32 s3, s2
	s_cbranch_execz .LBB118_31
; %bb.26:
	v_cmp_gt_f64_e32 vcc_lo, 0, v[240:241]
	v_cmp_gt_f64_e64 s2, 0, v[242:243]
	v_xor_b32_e32 v212, 0x80000000, v241
	v_xor_b32_e32 v214, 0x80000000, v243
	s_delay_alu instid0(VALU_DEP_2) | instskip(NEXT) | instid1(VALU_DEP_2)
	v_cndmask_b32_e32 v213, v241, v212, vcc_lo
	v_cndmask_b32_e64 v215, v243, v214, s2
	v_cndmask_b32_e32 v212, v240, v240, vcc_lo
	v_cndmask_b32_e64 v214, v242, v242, s2
	s_mov_b32 s2, exec_lo
	s_delay_alu instid0(VALU_DEP_1)
	v_cmpx_ngt_f64_e32 v[212:213], v[214:215]
	s_xor_b32 s2, exec_lo, s2
	s_cbranch_execz .LBB118_28
; %bb.27:
	v_div_scale_f64 v[212:213], null, v[242:243], v[242:243], v[240:241]
	v_div_scale_f64 v[218:219], vcc_lo, v[240:241], v[242:243], v[240:241]
	s_delay_alu instid0(VALU_DEP_2) | instskip(SKIP_2) | instid1(VALU_DEP_1)
	v_rcp_f64_e32 v[214:215], v[212:213]
	s_waitcnt_depctr 0xfff
	v_fma_f64 v[216:217], -v[212:213], v[214:215], 1.0
	v_fma_f64 v[214:215], v[214:215], v[216:217], v[214:215]
	s_delay_alu instid0(VALU_DEP_1) | instskip(NEXT) | instid1(VALU_DEP_1)
	v_fma_f64 v[216:217], -v[212:213], v[214:215], 1.0
	v_fma_f64 v[214:215], v[214:215], v[216:217], v[214:215]
	s_delay_alu instid0(VALU_DEP_1) | instskip(NEXT) | instid1(VALU_DEP_1)
	v_mul_f64 v[216:217], v[218:219], v[214:215]
	v_fma_f64 v[212:213], -v[212:213], v[216:217], v[218:219]
	s_delay_alu instid0(VALU_DEP_1) | instskip(NEXT) | instid1(VALU_DEP_1)
	v_div_fmas_f64 v[212:213], v[212:213], v[214:215], v[216:217]
	v_div_fixup_f64 v[212:213], v[212:213], v[242:243], v[240:241]
	s_delay_alu instid0(VALU_DEP_1) | instskip(NEXT) | instid1(VALU_DEP_1)
	v_fma_f64 v[214:215], v[240:241], v[212:213], v[242:243]
	v_div_scale_f64 v[216:217], null, v[214:215], v[214:215], 1.0
	s_delay_alu instid0(VALU_DEP_1) | instskip(SKIP_2) | instid1(VALU_DEP_1)
	v_rcp_f64_e32 v[218:219], v[216:217]
	s_waitcnt_depctr 0xfff
	v_fma_f64 v[220:221], -v[216:217], v[218:219], 1.0
	v_fma_f64 v[218:219], v[218:219], v[220:221], v[218:219]
	s_delay_alu instid0(VALU_DEP_1) | instskip(NEXT) | instid1(VALU_DEP_1)
	v_fma_f64 v[220:221], -v[216:217], v[218:219], 1.0
	v_fma_f64 v[218:219], v[218:219], v[220:221], v[218:219]
	v_div_scale_f64 v[220:221], vcc_lo, 1.0, v[214:215], 1.0
	s_delay_alu instid0(VALU_DEP_1) | instskip(NEXT) | instid1(VALU_DEP_1)
	v_mul_f64 v[222:223], v[220:221], v[218:219]
	v_fma_f64 v[216:217], -v[216:217], v[222:223], v[220:221]
	s_delay_alu instid0(VALU_DEP_1) | instskip(NEXT) | instid1(VALU_DEP_1)
	v_div_fmas_f64 v[216:217], v[216:217], v[218:219], v[222:223]
	v_div_fixup_f64 v[242:243], v[216:217], v[214:215], 1.0
	s_delay_alu instid0(VALU_DEP_1)
	v_mul_f64 v[240:241], v[212:213], v[242:243]
	v_xor_b32_e32 v243, 0x80000000, v243
.LBB118_28:
	s_and_not1_saveexec_b32 s2, s2
	s_cbranch_execz .LBB118_30
; %bb.29:
	s_delay_alu instid0(VALU_DEP_1) | instskip(SKIP_1) | instid1(VALU_DEP_2)
	v_div_scale_f64 v[212:213], null, v[240:241], v[240:241], v[242:243]
	v_div_scale_f64 v[218:219], vcc_lo, v[242:243], v[240:241], v[242:243]
	v_rcp_f64_e32 v[214:215], v[212:213]
	s_waitcnt_depctr 0xfff
	v_fma_f64 v[216:217], -v[212:213], v[214:215], 1.0
	s_delay_alu instid0(VALU_DEP_1) | instskip(NEXT) | instid1(VALU_DEP_1)
	v_fma_f64 v[214:215], v[214:215], v[216:217], v[214:215]
	v_fma_f64 v[216:217], -v[212:213], v[214:215], 1.0
	s_delay_alu instid0(VALU_DEP_1) | instskip(NEXT) | instid1(VALU_DEP_1)
	v_fma_f64 v[214:215], v[214:215], v[216:217], v[214:215]
	v_mul_f64 v[216:217], v[218:219], v[214:215]
	s_delay_alu instid0(VALU_DEP_1) | instskip(NEXT) | instid1(VALU_DEP_1)
	v_fma_f64 v[212:213], -v[212:213], v[216:217], v[218:219]
	v_div_fmas_f64 v[212:213], v[212:213], v[214:215], v[216:217]
	s_delay_alu instid0(VALU_DEP_1) | instskip(NEXT) | instid1(VALU_DEP_1)
	v_div_fixup_f64 v[212:213], v[212:213], v[240:241], v[242:243]
	v_fma_f64 v[214:215], v[242:243], v[212:213], v[240:241]
	s_delay_alu instid0(VALU_DEP_1) | instskip(NEXT) | instid1(VALU_DEP_1)
	v_div_scale_f64 v[216:217], null, v[214:215], v[214:215], 1.0
	v_rcp_f64_e32 v[218:219], v[216:217]
	s_waitcnt_depctr 0xfff
	v_fma_f64 v[220:221], -v[216:217], v[218:219], 1.0
	s_delay_alu instid0(VALU_DEP_1) | instskip(NEXT) | instid1(VALU_DEP_1)
	v_fma_f64 v[218:219], v[218:219], v[220:221], v[218:219]
	v_fma_f64 v[220:221], -v[216:217], v[218:219], 1.0
	s_delay_alu instid0(VALU_DEP_1) | instskip(SKIP_1) | instid1(VALU_DEP_1)
	v_fma_f64 v[218:219], v[218:219], v[220:221], v[218:219]
	v_div_scale_f64 v[220:221], vcc_lo, 1.0, v[214:215], 1.0
	v_mul_f64 v[222:223], v[220:221], v[218:219]
	s_delay_alu instid0(VALU_DEP_1) | instskip(NEXT) | instid1(VALU_DEP_1)
	v_fma_f64 v[216:217], -v[216:217], v[222:223], v[220:221]
	v_div_fmas_f64 v[216:217], v[216:217], v[218:219], v[222:223]
	s_delay_alu instid0(VALU_DEP_1) | instskip(NEXT) | instid1(VALU_DEP_1)
	v_div_fixup_f64 v[240:241], v[216:217], v[214:215], 1.0
	v_mul_f64 v[242:243], v[212:213], -v[240:241]
.LBB118_30:
	s_or_b32 exec_lo, exec_lo, s2
	v_mov_b32_e32 v253, v245
.LBB118_31:
	s_or_b32 exec_lo, exec_lo, s3
	s_delay_alu instid0(SALU_CYCLE_1)
	s_mov_b32 s2, exec_lo
	v_cmpx_ne_u32_e64 v255, v248
	s_xor_b32 s2, exec_lo, s2
	s_cbranch_execz .LBB118_37
; %bb.32:
	s_mov_b32 s3, exec_lo
	v_cmpx_eq_u32_e32 1, v255
	s_cbranch_execz .LBB118_36
; %bb.33:
	v_cmp_ne_u32_e32 vcc_lo, 1, v248
	s_xor_b32 s4, s5, -1
	s_delay_alu instid0(SALU_CYCLE_1) | instskip(NEXT) | instid1(SALU_CYCLE_1)
	s_and_b32 s6, s4, vcc_lo
	s_and_saveexec_b32 s4, s6
	s_cbranch_execz .LBB118_35
; %bb.34:
	scratch_load_b64 v[208:209], off, off offset:16 ; 8-byte Folded Reload
	v_ashrrev_i32_e32 v249, 31, v248
	s_delay_alu instid0(VALU_DEP_1) | instskip(SKIP_1) | instid1(VALU_DEP_1)
	v_lshlrev_b64 v[212:213], 2, v[248:249]
	s_waitcnt vmcnt(0)
	v_add_co_u32 v212, vcc_lo, v208, v212
	s_delay_alu instid0(VALU_DEP_2)
	v_add_co_ci_u32_e32 v213, vcc_lo, v209, v213, vcc_lo
	s_clause 0x1
	flat_load_b32 v214, v[212:213]
	flat_load_b32 v215, v[208:209] offset:4
	s_waitcnt vmcnt(1) lgkmcnt(1)
	flat_store_b32 v[208:209], v214 offset:4
	s_waitcnt vmcnt(0) lgkmcnt(1)
	flat_store_b32 v[212:213], v215
.LBB118_35:
	s_or_b32 exec_lo, exec_lo, s4
	v_mov_b32_e32 v255, v248
	v_mov_b32_e32 v244, v248
.LBB118_36:
	s_or_b32 exec_lo, exec_lo, s3
.LBB118_37:
	s_and_not1_saveexec_b32 s2, s2
	s_cbranch_execz .LBB118_39
; %bb.38:
	scratch_load_b128 v[208:211], off, off offset:40 ; 16-byte Folded Reload
	v_mov_b32_e32 v255, 1
	s_waitcnt vmcnt(0)
	ds_store_2addr_b64 v250, v[208:209], v[210:211] offset0:4 offset1:5
	scratch_load_b128 v[208:211], off, off offset:24 ; 16-byte Folded Reload
	s_waitcnt vmcnt(0)
	ds_store_2addr_b64 v250, v[208:209], v[210:211] offset0:6 offset1:7
	ds_store_2addr_b64 v250, v[0:1], v[2:3] offset0:8 offset1:9
	;; [unrolled: 1-line block ×4, first 2 shown]
	scratch_load_b128 v[208:211], off, off  ; 16-byte Folded Reload
	s_waitcnt vmcnt(0)
	ds_store_2addr_b64 v250, v[208:209], v[210:211] offset0:14 offset1:15
	ds_store_2addr_b64 v250, v[204:205], v[206:207] offset0:16 offset1:17
	;; [unrolled: 1-line block ×53, first 2 shown]
.LBB118_39:
	s_or_b32 exec_lo, exec_lo, s2
	s_delay_alu instid0(SALU_CYCLE_1)
	s_mov_b32 s2, exec_lo
	s_waitcnt lgkmcnt(0)
	s_waitcnt_vscnt null, 0x0
	s_barrier
	buffer_gl0_inv
	v_cmpx_lt_i32_e32 1, v255
	s_cbranch_execz .LBB118_41
; %bb.40:
	s_clause 0x1
	scratch_load_b128 v[214:217], off, off offset:56
	scratch_load_b128 v[208:211], off, off offset:40
	ds_load_2addr_b64 v[232:235], v250 offset0:4 offset1:5
	s_waitcnt vmcnt(1)
	v_mul_f64 v[212:213], v[242:243], v[216:217]
	s_delay_alu instid0(VALU_DEP_1) | instskip(SKIP_1) | instid1(VALU_DEP_1)
	v_fma_f64 v[248:249], v[240:241], v[214:215], -v[212:213]
	v_mul_f64 v[212:213], v[240:241], v[216:217]
	v_fma_f64 v[216:217], v[242:243], v[214:215], v[212:213]
	s_waitcnt lgkmcnt(0)
	s_delay_alu instid0(VALU_DEP_1) | instskip(SKIP_1) | instid1(VALU_DEP_2)
	v_mul_f64 v[212:213], v[234:235], v[216:217]
	v_mul_f64 v[214:215], v[232:233], v[216:217]
	v_fma_f64 v[212:213], v[232:233], v[248:249], -v[212:213]
	s_delay_alu instid0(VALU_DEP_2)
	v_fma_f64 v[214:215], v[234:235], v[248:249], v[214:215]
	ds_load_2addr_b64 v[232:235], v250 offset0:6 offset1:7
	s_waitcnt vmcnt(0)
	v_add_f64 v[208:209], v[208:209], -v[212:213]
	v_add_f64 v[210:211], v[210:211], -v[214:215]
	s_waitcnt lgkmcnt(0)
	v_mul_f64 v[212:213], v[234:235], v[216:217]
	v_mul_f64 v[214:215], v[232:233], v[216:217]
	scratch_store_b128 off, v[208:211], off offset:40 ; 16-byte Folded Spill
	scratch_load_b128 v[208:211], off, off offset:24 ; 16-byte Folded Reload
	v_fma_f64 v[212:213], v[232:233], v[248:249], -v[212:213]
	v_fma_f64 v[214:215], v[234:235], v[248:249], v[214:215]
	ds_load_2addr_b64 v[232:235], v250 offset0:8 offset1:9
	s_waitcnt vmcnt(0)
	v_add_f64 v[208:209], v[208:209], -v[212:213]
	v_add_f64 v[210:211], v[210:211], -v[214:215]
	s_waitcnt lgkmcnt(0)
	v_mul_f64 v[212:213], v[234:235], v[216:217]
	v_mul_f64 v[214:215], v[232:233], v[216:217]
	scratch_store_b128 off, v[208:211], off offset:24 ; 16-byte Folded Spill
	scratch_load_b128 v[208:211], off, off  ; 16-byte Folded Reload
	v_fma_f64 v[212:213], v[232:233], v[248:249], -v[212:213]
	v_fma_f64 v[214:215], v[234:235], v[248:249], v[214:215]
	ds_load_2addr_b64 v[232:235], v250 offset0:10 offset1:11
	v_add_f64 v[0:1], v[0:1], -v[212:213]
	v_add_f64 v[2:3], v[2:3], -v[214:215]
	s_waitcnt lgkmcnt(0)
	v_mul_f64 v[212:213], v[234:235], v[216:217]
	v_mul_f64 v[214:215], v[232:233], v[216:217]
	s_delay_alu instid0(VALU_DEP_2) | instskip(NEXT) | instid1(VALU_DEP_2)
	v_fma_f64 v[212:213], v[232:233], v[248:249], -v[212:213]
	v_fma_f64 v[214:215], v[234:235], v[248:249], v[214:215]
	ds_load_2addr_b64 v[232:235], v250 offset0:12 offset1:13
	v_add_f64 v[4:5], v[4:5], -v[212:213]
	v_add_f64 v[6:7], v[6:7], -v[214:215]
	s_waitcnt lgkmcnt(0)
	v_mul_f64 v[212:213], v[234:235], v[216:217]
	v_mul_f64 v[214:215], v[232:233], v[216:217]
	s_delay_alu instid0(VALU_DEP_2) | instskip(NEXT) | instid1(VALU_DEP_2)
	;; [unrolled: 9-line block ×3, first 2 shown]
	v_fma_f64 v[212:213], v[232:233], v[248:249], -v[212:213]
	v_fma_f64 v[214:215], v[234:235], v[248:249], v[214:215]
	ds_load_2addr_b64 v[232:235], v250 offset0:16 offset1:17
	s_waitcnt vmcnt(0)
	v_add_f64 v[208:209], v[208:209], -v[212:213]
	v_add_f64 v[210:211], v[210:211], -v[214:215]
	s_waitcnt lgkmcnt(0)
	v_mul_f64 v[212:213], v[234:235], v[216:217]
	v_mul_f64 v[214:215], v[232:233], v[216:217]
	s_delay_alu instid0(VALU_DEP_2) | instskip(NEXT) | instid1(VALU_DEP_2)
	v_fma_f64 v[212:213], v[232:233], v[248:249], -v[212:213]
	v_fma_f64 v[214:215], v[234:235], v[248:249], v[214:215]
	ds_load_2addr_b64 v[232:235], v250 offset0:18 offset1:19
	v_add_f64 v[204:205], v[204:205], -v[212:213]
	v_add_f64 v[206:207], v[206:207], -v[214:215]
	s_waitcnt lgkmcnt(0)
	v_mul_f64 v[212:213], v[234:235], v[216:217]
	v_mul_f64 v[214:215], v[232:233], v[216:217]
	s_delay_alu instid0(VALU_DEP_2) | instskip(NEXT) | instid1(VALU_DEP_2)
	v_fma_f64 v[212:213], v[232:233], v[248:249], -v[212:213]
	v_fma_f64 v[214:215], v[234:235], v[248:249], v[214:215]
	ds_load_2addr_b64 v[232:235], v250 offset0:20 offset1:21
	;; [unrolled: 9-line block ×51, first 2 shown]
	v_add_f64 v[224:225], v[224:225], -v[212:213]
	v_add_f64 v[226:227], v[226:227], -v[214:215]
	s_waitcnt lgkmcnt(0)
	v_mul_f64 v[212:213], v[234:235], v[216:217]
	v_mul_f64 v[214:215], v[232:233], v[216:217]
	s_delay_alu instid0(VALU_DEP_2) | instskip(NEXT) | instid1(VALU_DEP_2)
	v_fma_f64 v[212:213], v[232:233], v[248:249], -v[212:213]
	v_fma_f64 v[214:215], v[234:235], v[248:249], v[214:215]
	s_delay_alu instid0(VALU_DEP_2) | instskip(NEXT) | instid1(VALU_DEP_2)
	v_add_f64 v[228:229], v[228:229], -v[212:213]
	v_add_f64 v[230:231], v[230:231], -v[214:215]
	v_dual_mov_b32 v214, v248 :: v_dual_mov_b32 v215, v249
	s_clause 0x1
	scratch_store_b128 off, v[208:211], off
	scratch_store_b128 off, v[214:217], off offset:56
.LBB118_41:
	s_or_b32 exec_lo, exec_lo, s2
	s_waitcnt_vscnt null, 0x0
	s_barrier
	buffer_gl0_inv
	scratch_load_b128 v[208:211], off, off offset:40 ; 16-byte Folded Reload
	v_lshl_add_u32 v212, v255, 4, v250
	v_mov_b32_e32 v248, 2
	s_cmp_lt_i32 s12, 4
	s_waitcnt vmcnt(0)
	ds_store_2addr_b64 v212, v[208:209], v[210:211] offset1:1
	s_waitcnt lgkmcnt(0)
	s_barrier
	buffer_gl0_inv
	ds_load_2addr_b64 v[240:243], v250 offset0:4 offset1:5
	s_cbranch_scc1 .LBB118_44
; %bb.42:
	v_add3_u32 v245, v254, 0, 48
	v_mov_b32_e32 v248, 2
	s_mov_b32 s6, 3
	s_set_inst_prefetch_distance 0x1
	.p2align	6
.LBB118_43:                             ; =>This Inner Loop Header: Depth=1
	ds_load_2addr_b64 v[232:235], v245 offset1:1
	s_waitcnt lgkmcnt(1)
	v_cmp_gt_f64_e32 vcc_lo, 0, v[240:241]
	v_cmp_gt_f64_e64 s2, 0, v[242:243]
	v_xor_b32_e32 v213, 0x80000000, v241
	v_xor_b32_e32 v215, 0x80000000, v243
	v_add_nc_u32_e32 v245, 16, v245
	s_waitcnt lgkmcnt(0)
	v_cmp_gt_f64_e64 s3, 0, v[232:233]
	v_cmp_gt_f64_e64 s4, 0, v[234:235]
	v_xor_b32_e32 v219, 0x80000000, v233
	v_xor_b32_e32 v220, 0x80000000, v235
	v_mov_b32_e32 v214, v234
	v_mov_b32_e32 v212, v232
	v_cndmask_b32_e32 v216, v241, v213, vcc_lo
	v_cndmask_b32_e64 v218, v243, v215, s2
	v_cndmask_b32_e32 v215, v240, v240, vcc_lo
	v_cndmask_b32_e64 v217, v242, v242, s2
	s_delay_alu instid0(VALU_DEP_1) | instskip(SKIP_2) | instid1(VALU_DEP_1)
	v_add_f64 v[216:217], v[215:216], v[217:218]
	v_cndmask_b32_e64 v213, v233, v219, s3
	v_cndmask_b32_e64 v215, v235, v220, s4
	v_add_f64 v[212:213], v[212:213], v[214:215]
	s_delay_alu instid0(VALU_DEP_1)
	v_cmp_lt_f64_e32 vcc_lo, v[216:217], v[212:213]
	v_cndmask_b32_e32 v243, v243, v235, vcc_lo
	v_dual_cndmask_b32 v241, v241, v233 :: v_dual_cndmask_b32 v240, v240, v232
	v_cndmask_b32_e32 v242, v242, v234, vcc_lo
	v_cndmask_b32_e64 v248, v248, s6, vcc_lo
	s_add_i32 s6, s6, 1
	s_delay_alu instid0(SALU_CYCLE_1)
	s_cmp_lg_u32 s12, s6
	s_cbranch_scc1 .LBB118_43
.LBB118_44:
	s_set_inst_prefetch_distance 0x2
	s_waitcnt lgkmcnt(0)
	v_cmp_eq_f64_e32 vcc_lo, 0, v[240:241]
	v_cmp_eq_f64_e64 s2, 0, v[242:243]
	s_delay_alu instid0(VALU_DEP_1) | instskip(NEXT) | instid1(SALU_CYCLE_1)
	s_and_b32 s2, vcc_lo, s2
	s_and_saveexec_b32 s3, s2
	s_delay_alu instid0(SALU_CYCLE_1)
	s_xor_b32 s2, exec_lo, s3
; %bb.45:
	v_cmp_ne_u32_e32 vcc_lo, 0, v253
	v_cndmask_b32_e32 v253, 3, v253, vcc_lo
; %bb.46:
	s_and_not1_saveexec_b32 s3, s2
	s_cbranch_execz .LBB118_52
; %bb.47:
	v_cmp_gt_f64_e32 vcc_lo, 0, v[240:241]
	v_cmp_gt_f64_e64 s2, 0, v[242:243]
	v_xor_b32_e32 v212, 0x80000000, v241
	v_xor_b32_e32 v214, 0x80000000, v243
	s_delay_alu instid0(VALU_DEP_2) | instskip(NEXT) | instid1(VALU_DEP_2)
	v_cndmask_b32_e32 v213, v241, v212, vcc_lo
	v_cndmask_b32_e64 v215, v243, v214, s2
	v_cndmask_b32_e32 v212, v240, v240, vcc_lo
	v_cndmask_b32_e64 v214, v242, v242, s2
	s_mov_b32 s2, exec_lo
	s_delay_alu instid0(VALU_DEP_1)
	v_cmpx_ngt_f64_e32 v[212:213], v[214:215]
	s_xor_b32 s2, exec_lo, s2
	s_cbranch_execz .LBB118_49
; %bb.48:
	v_div_scale_f64 v[212:213], null, v[242:243], v[242:243], v[240:241]
	v_div_scale_f64 v[218:219], vcc_lo, v[240:241], v[242:243], v[240:241]
	s_delay_alu instid0(VALU_DEP_2) | instskip(SKIP_2) | instid1(VALU_DEP_1)
	v_rcp_f64_e32 v[214:215], v[212:213]
	s_waitcnt_depctr 0xfff
	v_fma_f64 v[216:217], -v[212:213], v[214:215], 1.0
	v_fma_f64 v[214:215], v[214:215], v[216:217], v[214:215]
	s_delay_alu instid0(VALU_DEP_1) | instskip(NEXT) | instid1(VALU_DEP_1)
	v_fma_f64 v[216:217], -v[212:213], v[214:215], 1.0
	v_fma_f64 v[214:215], v[214:215], v[216:217], v[214:215]
	s_delay_alu instid0(VALU_DEP_1) | instskip(NEXT) | instid1(VALU_DEP_1)
	v_mul_f64 v[216:217], v[218:219], v[214:215]
	v_fma_f64 v[212:213], -v[212:213], v[216:217], v[218:219]
	s_delay_alu instid0(VALU_DEP_1) | instskip(NEXT) | instid1(VALU_DEP_1)
	v_div_fmas_f64 v[212:213], v[212:213], v[214:215], v[216:217]
	v_div_fixup_f64 v[212:213], v[212:213], v[242:243], v[240:241]
	s_delay_alu instid0(VALU_DEP_1) | instskip(NEXT) | instid1(VALU_DEP_1)
	v_fma_f64 v[214:215], v[240:241], v[212:213], v[242:243]
	v_div_scale_f64 v[216:217], null, v[214:215], v[214:215], 1.0
	s_delay_alu instid0(VALU_DEP_1) | instskip(SKIP_2) | instid1(VALU_DEP_1)
	v_rcp_f64_e32 v[218:219], v[216:217]
	s_waitcnt_depctr 0xfff
	v_fma_f64 v[220:221], -v[216:217], v[218:219], 1.0
	v_fma_f64 v[218:219], v[218:219], v[220:221], v[218:219]
	s_delay_alu instid0(VALU_DEP_1) | instskip(NEXT) | instid1(VALU_DEP_1)
	v_fma_f64 v[220:221], -v[216:217], v[218:219], 1.0
	v_fma_f64 v[218:219], v[218:219], v[220:221], v[218:219]
	v_div_scale_f64 v[220:221], vcc_lo, 1.0, v[214:215], 1.0
	s_delay_alu instid0(VALU_DEP_1) | instskip(NEXT) | instid1(VALU_DEP_1)
	v_mul_f64 v[222:223], v[220:221], v[218:219]
	v_fma_f64 v[216:217], -v[216:217], v[222:223], v[220:221]
	s_delay_alu instid0(VALU_DEP_1) | instskip(NEXT) | instid1(VALU_DEP_1)
	v_div_fmas_f64 v[216:217], v[216:217], v[218:219], v[222:223]
	v_div_fixup_f64 v[242:243], v[216:217], v[214:215], 1.0
	s_delay_alu instid0(VALU_DEP_1)
	v_mul_f64 v[240:241], v[212:213], v[242:243]
	v_xor_b32_e32 v243, 0x80000000, v243
.LBB118_49:
	s_and_not1_saveexec_b32 s2, s2
	s_cbranch_execz .LBB118_51
; %bb.50:
	s_delay_alu instid0(VALU_DEP_1) | instskip(SKIP_1) | instid1(VALU_DEP_2)
	v_div_scale_f64 v[212:213], null, v[240:241], v[240:241], v[242:243]
	v_div_scale_f64 v[218:219], vcc_lo, v[242:243], v[240:241], v[242:243]
	v_rcp_f64_e32 v[214:215], v[212:213]
	s_waitcnt_depctr 0xfff
	v_fma_f64 v[216:217], -v[212:213], v[214:215], 1.0
	s_delay_alu instid0(VALU_DEP_1) | instskip(NEXT) | instid1(VALU_DEP_1)
	v_fma_f64 v[214:215], v[214:215], v[216:217], v[214:215]
	v_fma_f64 v[216:217], -v[212:213], v[214:215], 1.0
	s_delay_alu instid0(VALU_DEP_1) | instskip(NEXT) | instid1(VALU_DEP_1)
	v_fma_f64 v[214:215], v[214:215], v[216:217], v[214:215]
	v_mul_f64 v[216:217], v[218:219], v[214:215]
	s_delay_alu instid0(VALU_DEP_1) | instskip(NEXT) | instid1(VALU_DEP_1)
	v_fma_f64 v[212:213], -v[212:213], v[216:217], v[218:219]
	v_div_fmas_f64 v[212:213], v[212:213], v[214:215], v[216:217]
	s_delay_alu instid0(VALU_DEP_1) | instskip(NEXT) | instid1(VALU_DEP_1)
	v_div_fixup_f64 v[212:213], v[212:213], v[240:241], v[242:243]
	v_fma_f64 v[214:215], v[242:243], v[212:213], v[240:241]
	s_delay_alu instid0(VALU_DEP_1) | instskip(NEXT) | instid1(VALU_DEP_1)
	v_div_scale_f64 v[216:217], null, v[214:215], v[214:215], 1.0
	v_rcp_f64_e32 v[218:219], v[216:217]
	s_waitcnt_depctr 0xfff
	v_fma_f64 v[220:221], -v[216:217], v[218:219], 1.0
	s_delay_alu instid0(VALU_DEP_1) | instskip(NEXT) | instid1(VALU_DEP_1)
	v_fma_f64 v[218:219], v[218:219], v[220:221], v[218:219]
	v_fma_f64 v[220:221], -v[216:217], v[218:219], 1.0
	s_delay_alu instid0(VALU_DEP_1) | instskip(SKIP_1) | instid1(VALU_DEP_1)
	v_fma_f64 v[218:219], v[218:219], v[220:221], v[218:219]
	v_div_scale_f64 v[220:221], vcc_lo, 1.0, v[214:215], 1.0
	v_mul_f64 v[222:223], v[220:221], v[218:219]
	s_delay_alu instid0(VALU_DEP_1) | instskip(NEXT) | instid1(VALU_DEP_1)
	v_fma_f64 v[216:217], -v[216:217], v[222:223], v[220:221]
	v_div_fmas_f64 v[216:217], v[216:217], v[218:219], v[222:223]
	s_delay_alu instid0(VALU_DEP_1) | instskip(NEXT) | instid1(VALU_DEP_1)
	v_div_fixup_f64 v[240:241], v[216:217], v[214:215], 1.0
	v_mul_f64 v[242:243], v[212:213], -v[240:241]
.LBB118_51:
	s_or_b32 exec_lo, exec_lo, s2
.LBB118_52:
	s_delay_alu instid0(SALU_CYCLE_1) | instskip(NEXT) | instid1(SALU_CYCLE_1)
	s_or_b32 exec_lo, exec_lo, s3
	s_mov_b32 s2, exec_lo
	v_cmpx_ne_u32_e64 v255, v248
	s_xor_b32 s2, exec_lo, s2
	s_cbranch_execz .LBB118_58
; %bb.53:
	s_mov_b32 s3, exec_lo
	v_cmpx_eq_u32_e32 2, v255
	s_cbranch_execz .LBB118_57
; %bb.54:
	v_cmp_ne_u32_e32 vcc_lo, 2, v248
	s_xor_b32 s4, s5, -1
	s_delay_alu instid0(SALU_CYCLE_1) | instskip(NEXT) | instid1(SALU_CYCLE_1)
	s_and_b32 s6, s4, vcc_lo
	s_and_saveexec_b32 s4, s6
	s_cbranch_execz .LBB118_56
; %bb.55:
	scratch_load_b64 v[208:209], off, off offset:16 ; 8-byte Folded Reload
	v_ashrrev_i32_e32 v249, 31, v248
	s_delay_alu instid0(VALU_DEP_1) | instskip(SKIP_1) | instid1(VALU_DEP_1)
	v_lshlrev_b64 v[212:213], 2, v[248:249]
	s_waitcnt vmcnt(0)
	v_add_co_u32 v212, vcc_lo, v208, v212
	s_delay_alu instid0(VALU_DEP_2)
	v_add_co_ci_u32_e32 v213, vcc_lo, v209, v213, vcc_lo
	s_clause 0x1
	flat_load_b32 v214, v[212:213]
	flat_load_b32 v215, v[208:209] offset:8
	s_waitcnt vmcnt(1) lgkmcnt(1)
	flat_store_b32 v[208:209], v214 offset:8
	s_waitcnt vmcnt(0) lgkmcnt(1)
	flat_store_b32 v[212:213], v215
.LBB118_56:
	s_or_b32 exec_lo, exec_lo, s4
	v_mov_b32_e32 v255, v248
	v_mov_b32_e32 v244, v248
.LBB118_57:
	s_or_b32 exec_lo, exec_lo, s3
.LBB118_58:
	s_and_not1_saveexec_b32 s2, s2
	s_cbranch_execz .LBB118_60
; %bb.59:
	scratch_load_b128 v[208:211], off, off offset:24 ; 16-byte Folded Reload
	v_mov_b32_e32 v255, 2
	s_waitcnt vmcnt(0)
	ds_store_2addr_b64 v250, v[208:209], v[210:211] offset0:6 offset1:7
	ds_store_2addr_b64 v250, v[0:1], v[2:3] offset0:8 offset1:9
	;; [unrolled: 1-line block ×4, first 2 shown]
	scratch_load_b128 v[208:211], off, off  ; 16-byte Folded Reload
	s_waitcnt vmcnt(0)
	ds_store_2addr_b64 v250, v[208:209], v[210:211] offset0:14 offset1:15
	ds_store_2addr_b64 v250, v[204:205], v[206:207] offset0:16 offset1:17
	;; [unrolled: 1-line block ×53, first 2 shown]
.LBB118_60:
	s_or_b32 exec_lo, exec_lo, s2
	s_delay_alu instid0(SALU_CYCLE_1)
	s_mov_b32 s2, exec_lo
	s_waitcnt lgkmcnt(0)
	s_waitcnt_vscnt null, 0x0
	s_barrier
	buffer_gl0_inv
	v_cmpx_lt_i32_e32 2, v255
	s_cbranch_execz .LBB118_62
; %bb.61:
	s_clause 0x1
	scratch_load_b128 v[214:217], off, off offset:40
	scratch_load_b128 v[208:211], off, off offset:24
	ds_load_2addr_b64 v[232:235], v250 offset0:6 offset1:7
	s_waitcnt vmcnt(1)
	v_mul_f64 v[212:213], v[242:243], v[216:217]
	s_delay_alu instid0(VALU_DEP_1) | instskip(SKIP_1) | instid1(VALU_DEP_1)
	v_fma_f64 v[248:249], v[240:241], v[214:215], -v[212:213]
	v_mul_f64 v[212:213], v[240:241], v[216:217]
	v_fma_f64 v[216:217], v[242:243], v[214:215], v[212:213]
	s_waitcnt lgkmcnt(0)
	s_delay_alu instid0(VALU_DEP_1) | instskip(SKIP_1) | instid1(VALU_DEP_2)
	v_mul_f64 v[212:213], v[234:235], v[216:217]
	v_mul_f64 v[214:215], v[232:233], v[216:217]
	v_fma_f64 v[212:213], v[232:233], v[248:249], -v[212:213]
	s_delay_alu instid0(VALU_DEP_2)
	v_fma_f64 v[214:215], v[234:235], v[248:249], v[214:215]
	ds_load_2addr_b64 v[232:235], v250 offset0:8 offset1:9
	s_waitcnt vmcnt(0)
	v_add_f64 v[208:209], v[208:209], -v[212:213]
	v_add_f64 v[210:211], v[210:211], -v[214:215]
	s_waitcnt lgkmcnt(0)
	v_mul_f64 v[212:213], v[234:235], v[216:217]
	v_mul_f64 v[214:215], v[232:233], v[216:217]
	scratch_store_b128 off, v[208:211], off offset:24 ; 16-byte Folded Spill
	scratch_load_b128 v[208:211], off, off  ; 16-byte Folded Reload
	v_fma_f64 v[212:213], v[232:233], v[248:249], -v[212:213]
	v_fma_f64 v[214:215], v[234:235], v[248:249], v[214:215]
	ds_load_2addr_b64 v[232:235], v250 offset0:10 offset1:11
	v_add_f64 v[0:1], v[0:1], -v[212:213]
	v_add_f64 v[2:3], v[2:3], -v[214:215]
	s_waitcnt lgkmcnt(0)
	v_mul_f64 v[212:213], v[234:235], v[216:217]
	v_mul_f64 v[214:215], v[232:233], v[216:217]
	s_delay_alu instid0(VALU_DEP_2) | instskip(NEXT) | instid1(VALU_DEP_2)
	v_fma_f64 v[212:213], v[232:233], v[248:249], -v[212:213]
	v_fma_f64 v[214:215], v[234:235], v[248:249], v[214:215]
	ds_load_2addr_b64 v[232:235], v250 offset0:12 offset1:13
	v_add_f64 v[4:5], v[4:5], -v[212:213]
	v_add_f64 v[6:7], v[6:7], -v[214:215]
	s_waitcnt lgkmcnt(0)
	v_mul_f64 v[212:213], v[234:235], v[216:217]
	v_mul_f64 v[214:215], v[232:233], v[216:217]
	s_delay_alu instid0(VALU_DEP_2) | instskip(NEXT) | instid1(VALU_DEP_2)
	;; [unrolled: 9-line block ×3, first 2 shown]
	v_fma_f64 v[212:213], v[232:233], v[248:249], -v[212:213]
	v_fma_f64 v[214:215], v[234:235], v[248:249], v[214:215]
	ds_load_2addr_b64 v[232:235], v250 offset0:16 offset1:17
	s_waitcnt vmcnt(0)
	v_add_f64 v[208:209], v[208:209], -v[212:213]
	v_add_f64 v[210:211], v[210:211], -v[214:215]
	s_waitcnt lgkmcnt(0)
	v_mul_f64 v[212:213], v[234:235], v[216:217]
	v_mul_f64 v[214:215], v[232:233], v[216:217]
	s_delay_alu instid0(VALU_DEP_2) | instskip(NEXT) | instid1(VALU_DEP_2)
	v_fma_f64 v[212:213], v[232:233], v[248:249], -v[212:213]
	v_fma_f64 v[214:215], v[234:235], v[248:249], v[214:215]
	ds_load_2addr_b64 v[232:235], v250 offset0:18 offset1:19
	v_add_f64 v[204:205], v[204:205], -v[212:213]
	v_add_f64 v[206:207], v[206:207], -v[214:215]
	s_waitcnt lgkmcnt(0)
	v_mul_f64 v[212:213], v[234:235], v[216:217]
	v_mul_f64 v[214:215], v[232:233], v[216:217]
	s_delay_alu instid0(VALU_DEP_2) | instskip(NEXT) | instid1(VALU_DEP_2)
	v_fma_f64 v[212:213], v[232:233], v[248:249], -v[212:213]
	v_fma_f64 v[214:215], v[234:235], v[248:249], v[214:215]
	ds_load_2addr_b64 v[232:235], v250 offset0:20 offset1:21
	;; [unrolled: 9-line block ×51, first 2 shown]
	v_add_f64 v[224:225], v[224:225], -v[212:213]
	v_add_f64 v[226:227], v[226:227], -v[214:215]
	s_waitcnt lgkmcnt(0)
	v_mul_f64 v[212:213], v[234:235], v[216:217]
	v_mul_f64 v[214:215], v[232:233], v[216:217]
	s_delay_alu instid0(VALU_DEP_2) | instskip(NEXT) | instid1(VALU_DEP_2)
	v_fma_f64 v[212:213], v[232:233], v[248:249], -v[212:213]
	v_fma_f64 v[214:215], v[234:235], v[248:249], v[214:215]
	s_delay_alu instid0(VALU_DEP_2) | instskip(NEXT) | instid1(VALU_DEP_2)
	v_add_f64 v[228:229], v[228:229], -v[212:213]
	v_add_f64 v[230:231], v[230:231], -v[214:215]
	v_dual_mov_b32 v214, v248 :: v_dual_mov_b32 v215, v249
	s_clause 0x1
	scratch_store_b128 off, v[208:211], off
	scratch_store_b128 off, v[214:217], off offset:40
.LBB118_62:
	s_or_b32 exec_lo, exec_lo, s2
	s_waitcnt_vscnt null, 0x0
	s_barrier
	buffer_gl0_inv
	scratch_load_b128 v[208:211], off, off offset:24 ; 16-byte Folded Reload
	v_lshl_add_u32 v212, v255, 4, v250
	v_mov_b32_e32 v248, 3
	s_cmp_lt_i32 s12, 5
	s_mov_b32 s6, 4
	s_waitcnt vmcnt(0)
	ds_store_2addr_b64 v212, v[208:209], v[210:211] offset1:1
	s_waitcnt lgkmcnt(0)
	s_barrier
	buffer_gl0_inv
	ds_load_2addr_b64 v[240:243], v250 offset0:6 offset1:7
	s_cbranch_scc1 .LBB118_65
; %bb.63:
	v_add3_u32 v245, v254, 0, 64
	v_mov_b32_e32 v248, 3
	s_set_inst_prefetch_distance 0x1
	.p2align	6
.LBB118_64:                             ; =>This Inner Loop Header: Depth=1
	ds_load_2addr_b64 v[232:235], v245 offset1:1
	s_waitcnt lgkmcnt(1)
	v_cmp_gt_f64_e32 vcc_lo, 0, v[240:241]
	v_cmp_gt_f64_e64 s2, 0, v[242:243]
	v_xor_b32_e32 v213, 0x80000000, v241
	v_xor_b32_e32 v215, 0x80000000, v243
	v_add_nc_u32_e32 v245, 16, v245
	s_waitcnt lgkmcnt(0)
	v_cmp_gt_f64_e64 s3, 0, v[232:233]
	v_cmp_gt_f64_e64 s4, 0, v[234:235]
	v_xor_b32_e32 v219, 0x80000000, v233
	v_xor_b32_e32 v220, 0x80000000, v235
	v_mov_b32_e32 v214, v234
	v_mov_b32_e32 v212, v232
	v_cndmask_b32_e32 v216, v241, v213, vcc_lo
	v_cndmask_b32_e64 v218, v243, v215, s2
	v_cndmask_b32_e32 v215, v240, v240, vcc_lo
	v_cndmask_b32_e64 v217, v242, v242, s2
	s_delay_alu instid0(VALU_DEP_1) | instskip(SKIP_2) | instid1(VALU_DEP_1)
	v_add_f64 v[216:217], v[215:216], v[217:218]
	v_cndmask_b32_e64 v213, v233, v219, s3
	v_cndmask_b32_e64 v215, v235, v220, s4
	v_add_f64 v[212:213], v[212:213], v[214:215]
	s_delay_alu instid0(VALU_DEP_1)
	v_cmp_lt_f64_e32 vcc_lo, v[216:217], v[212:213]
	v_cndmask_b32_e32 v243, v243, v235, vcc_lo
	v_dual_cndmask_b32 v241, v241, v233 :: v_dual_cndmask_b32 v240, v240, v232
	v_cndmask_b32_e32 v242, v242, v234, vcc_lo
	v_cndmask_b32_e64 v248, v248, s6, vcc_lo
	s_add_i32 s6, s6, 1
	s_delay_alu instid0(SALU_CYCLE_1)
	s_cmp_lg_u32 s12, s6
	s_cbranch_scc1 .LBB118_64
.LBB118_65:
	s_set_inst_prefetch_distance 0x2
	s_waitcnt lgkmcnt(0)
	v_cmp_eq_f64_e32 vcc_lo, 0, v[240:241]
	v_cmp_eq_f64_e64 s2, 0, v[242:243]
	s_delay_alu instid0(VALU_DEP_1) | instskip(NEXT) | instid1(SALU_CYCLE_1)
	s_and_b32 s2, vcc_lo, s2
	s_and_saveexec_b32 s3, s2
	s_delay_alu instid0(SALU_CYCLE_1)
	s_xor_b32 s2, exec_lo, s3
; %bb.66:
	v_cmp_ne_u32_e32 vcc_lo, 0, v253
	v_cndmask_b32_e32 v253, 4, v253, vcc_lo
; %bb.67:
	s_and_not1_saveexec_b32 s3, s2
	s_cbranch_execz .LBB118_73
; %bb.68:
	v_cmp_gt_f64_e32 vcc_lo, 0, v[240:241]
	v_cmp_gt_f64_e64 s2, 0, v[242:243]
	v_xor_b32_e32 v212, 0x80000000, v241
	v_xor_b32_e32 v214, 0x80000000, v243
	s_delay_alu instid0(VALU_DEP_2) | instskip(NEXT) | instid1(VALU_DEP_2)
	v_cndmask_b32_e32 v213, v241, v212, vcc_lo
	v_cndmask_b32_e64 v215, v243, v214, s2
	v_cndmask_b32_e32 v212, v240, v240, vcc_lo
	v_cndmask_b32_e64 v214, v242, v242, s2
	s_mov_b32 s2, exec_lo
	s_delay_alu instid0(VALU_DEP_1)
	v_cmpx_ngt_f64_e32 v[212:213], v[214:215]
	s_xor_b32 s2, exec_lo, s2
	s_cbranch_execz .LBB118_70
; %bb.69:
	v_div_scale_f64 v[212:213], null, v[242:243], v[242:243], v[240:241]
	v_div_scale_f64 v[218:219], vcc_lo, v[240:241], v[242:243], v[240:241]
	s_delay_alu instid0(VALU_DEP_2) | instskip(SKIP_2) | instid1(VALU_DEP_1)
	v_rcp_f64_e32 v[214:215], v[212:213]
	s_waitcnt_depctr 0xfff
	v_fma_f64 v[216:217], -v[212:213], v[214:215], 1.0
	v_fma_f64 v[214:215], v[214:215], v[216:217], v[214:215]
	s_delay_alu instid0(VALU_DEP_1) | instskip(NEXT) | instid1(VALU_DEP_1)
	v_fma_f64 v[216:217], -v[212:213], v[214:215], 1.0
	v_fma_f64 v[214:215], v[214:215], v[216:217], v[214:215]
	s_delay_alu instid0(VALU_DEP_1) | instskip(NEXT) | instid1(VALU_DEP_1)
	v_mul_f64 v[216:217], v[218:219], v[214:215]
	v_fma_f64 v[212:213], -v[212:213], v[216:217], v[218:219]
	s_delay_alu instid0(VALU_DEP_1) | instskip(NEXT) | instid1(VALU_DEP_1)
	v_div_fmas_f64 v[212:213], v[212:213], v[214:215], v[216:217]
	v_div_fixup_f64 v[212:213], v[212:213], v[242:243], v[240:241]
	s_delay_alu instid0(VALU_DEP_1) | instskip(NEXT) | instid1(VALU_DEP_1)
	v_fma_f64 v[214:215], v[240:241], v[212:213], v[242:243]
	v_div_scale_f64 v[216:217], null, v[214:215], v[214:215], 1.0
	s_delay_alu instid0(VALU_DEP_1) | instskip(SKIP_2) | instid1(VALU_DEP_1)
	v_rcp_f64_e32 v[218:219], v[216:217]
	s_waitcnt_depctr 0xfff
	v_fma_f64 v[220:221], -v[216:217], v[218:219], 1.0
	v_fma_f64 v[218:219], v[218:219], v[220:221], v[218:219]
	s_delay_alu instid0(VALU_DEP_1) | instskip(NEXT) | instid1(VALU_DEP_1)
	v_fma_f64 v[220:221], -v[216:217], v[218:219], 1.0
	v_fma_f64 v[218:219], v[218:219], v[220:221], v[218:219]
	v_div_scale_f64 v[220:221], vcc_lo, 1.0, v[214:215], 1.0
	s_delay_alu instid0(VALU_DEP_1) | instskip(NEXT) | instid1(VALU_DEP_1)
	v_mul_f64 v[222:223], v[220:221], v[218:219]
	v_fma_f64 v[216:217], -v[216:217], v[222:223], v[220:221]
	s_delay_alu instid0(VALU_DEP_1) | instskip(NEXT) | instid1(VALU_DEP_1)
	v_div_fmas_f64 v[216:217], v[216:217], v[218:219], v[222:223]
	v_div_fixup_f64 v[242:243], v[216:217], v[214:215], 1.0
	s_delay_alu instid0(VALU_DEP_1)
	v_mul_f64 v[240:241], v[212:213], v[242:243]
	v_xor_b32_e32 v243, 0x80000000, v243
.LBB118_70:
	s_and_not1_saveexec_b32 s2, s2
	s_cbranch_execz .LBB118_72
; %bb.71:
	s_delay_alu instid0(VALU_DEP_1) | instskip(SKIP_1) | instid1(VALU_DEP_2)
	v_div_scale_f64 v[212:213], null, v[240:241], v[240:241], v[242:243]
	v_div_scale_f64 v[218:219], vcc_lo, v[242:243], v[240:241], v[242:243]
	v_rcp_f64_e32 v[214:215], v[212:213]
	s_waitcnt_depctr 0xfff
	v_fma_f64 v[216:217], -v[212:213], v[214:215], 1.0
	s_delay_alu instid0(VALU_DEP_1) | instskip(NEXT) | instid1(VALU_DEP_1)
	v_fma_f64 v[214:215], v[214:215], v[216:217], v[214:215]
	v_fma_f64 v[216:217], -v[212:213], v[214:215], 1.0
	s_delay_alu instid0(VALU_DEP_1) | instskip(NEXT) | instid1(VALU_DEP_1)
	v_fma_f64 v[214:215], v[214:215], v[216:217], v[214:215]
	v_mul_f64 v[216:217], v[218:219], v[214:215]
	s_delay_alu instid0(VALU_DEP_1) | instskip(NEXT) | instid1(VALU_DEP_1)
	v_fma_f64 v[212:213], -v[212:213], v[216:217], v[218:219]
	v_div_fmas_f64 v[212:213], v[212:213], v[214:215], v[216:217]
	s_delay_alu instid0(VALU_DEP_1) | instskip(NEXT) | instid1(VALU_DEP_1)
	v_div_fixup_f64 v[212:213], v[212:213], v[240:241], v[242:243]
	v_fma_f64 v[214:215], v[242:243], v[212:213], v[240:241]
	s_delay_alu instid0(VALU_DEP_1) | instskip(NEXT) | instid1(VALU_DEP_1)
	v_div_scale_f64 v[216:217], null, v[214:215], v[214:215], 1.0
	v_rcp_f64_e32 v[218:219], v[216:217]
	s_waitcnt_depctr 0xfff
	v_fma_f64 v[220:221], -v[216:217], v[218:219], 1.0
	s_delay_alu instid0(VALU_DEP_1) | instskip(NEXT) | instid1(VALU_DEP_1)
	v_fma_f64 v[218:219], v[218:219], v[220:221], v[218:219]
	v_fma_f64 v[220:221], -v[216:217], v[218:219], 1.0
	s_delay_alu instid0(VALU_DEP_1) | instskip(SKIP_1) | instid1(VALU_DEP_1)
	v_fma_f64 v[218:219], v[218:219], v[220:221], v[218:219]
	v_div_scale_f64 v[220:221], vcc_lo, 1.0, v[214:215], 1.0
	v_mul_f64 v[222:223], v[220:221], v[218:219]
	s_delay_alu instid0(VALU_DEP_1) | instskip(NEXT) | instid1(VALU_DEP_1)
	v_fma_f64 v[216:217], -v[216:217], v[222:223], v[220:221]
	v_div_fmas_f64 v[216:217], v[216:217], v[218:219], v[222:223]
	s_delay_alu instid0(VALU_DEP_1) | instskip(NEXT) | instid1(VALU_DEP_1)
	v_div_fixup_f64 v[240:241], v[216:217], v[214:215], 1.0
	v_mul_f64 v[242:243], v[212:213], -v[240:241]
.LBB118_72:
	s_or_b32 exec_lo, exec_lo, s2
.LBB118_73:
	s_delay_alu instid0(SALU_CYCLE_1) | instskip(NEXT) | instid1(SALU_CYCLE_1)
	s_or_b32 exec_lo, exec_lo, s3
	s_mov_b32 s2, exec_lo
	v_cmpx_ne_u32_e64 v255, v248
	s_xor_b32 s2, exec_lo, s2
	s_cbranch_execz .LBB118_79
; %bb.74:
	s_mov_b32 s3, exec_lo
	v_cmpx_eq_u32_e32 3, v255
	s_cbranch_execz .LBB118_78
; %bb.75:
	v_cmp_ne_u32_e32 vcc_lo, 3, v248
	s_xor_b32 s4, s5, -1
	s_delay_alu instid0(SALU_CYCLE_1) | instskip(NEXT) | instid1(SALU_CYCLE_1)
	s_and_b32 s6, s4, vcc_lo
	s_and_saveexec_b32 s4, s6
	s_cbranch_execz .LBB118_77
; %bb.76:
	scratch_load_b64 v[208:209], off, off offset:16 ; 8-byte Folded Reload
	v_ashrrev_i32_e32 v249, 31, v248
	s_delay_alu instid0(VALU_DEP_1) | instskip(SKIP_1) | instid1(VALU_DEP_1)
	v_lshlrev_b64 v[212:213], 2, v[248:249]
	s_waitcnt vmcnt(0)
	v_add_co_u32 v212, vcc_lo, v208, v212
	s_delay_alu instid0(VALU_DEP_2)
	v_add_co_ci_u32_e32 v213, vcc_lo, v209, v213, vcc_lo
	s_clause 0x1
	flat_load_b32 v214, v[212:213]
	flat_load_b32 v215, v[208:209] offset:12
	s_waitcnt vmcnt(1) lgkmcnt(1)
	flat_store_b32 v[208:209], v214 offset:12
	s_waitcnt vmcnt(0) lgkmcnt(1)
	flat_store_b32 v[212:213], v215
.LBB118_77:
	s_or_b32 exec_lo, exec_lo, s4
	v_mov_b32_e32 v255, v248
	v_mov_b32_e32 v244, v248
.LBB118_78:
	s_or_b32 exec_lo, exec_lo, s3
.LBB118_79:
	s_and_not1_saveexec_b32 s2, s2
	s_cbranch_execz .LBB118_81
; %bb.80:
	ds_store_2addr_b64 v250, v[0:1], v[2:3] offset0:8 offset1:9
	ds_store_2addr_b64 v250, v[4:5], v[6:7] offset0:10 offset1:11
	;; [unrolled: 1-line block ×3, first 2 shown]
	scratch_load_b128 v[208:211], off, off  ; 16-byte Folded Reload
	v_mov_b32_e32 v255, 3
	s_waitcnt vmcnt(0)
	ds_store_2addr_b64 v250, v[208:209], v[210:211] offset0:14 offset1:15
	ds_store_2addr_b64 v250, v[204:205], v[206:207] offset0:16 offset1:17
	;; [unrolled: 1-line block ×53, first 2 shown]
.LBB118_81:
	s_or_b32 exec_lo, exec_lo, s2
	s_delay_alu instid0(SALU_CYCLE_1)
	s_mov_b32 s2, exec_lo
	s_waitcnt lgkmcnt(0)
	s_waitcnt_vscnt null, 0x0
	s_barrier
	buffer_gl0_inv
	v_cmpx_lt_i32_e32 3, v255
	s_cbranch_execz .LBB118_83
; %bb.82:
	s_clause 0x1
	scratch_load_b128 v[208:211], off, off offset:24
	scratch_load_b128 v[216:219], off, off
	ds_load_2addr_b64 v[232:235], v250 offset0:8 offset1:9
	s_waitcnt vmcnt(1)
	v_mul_f64 v[212:213], v[242:243], v[210:211]
	s_delay_alu instid0(VALU_DEP_1) | instskip(SKIP_1) | instid1(VALU_DEP_1)
	v_fma_f64 v[248:249], v[240:241], v[208:209], -v[212:213]
	v_mul_f64 v[212:213], v[240:241], v[210:211]
	v_fma_f64 v[210:211], v[242:243], v[208:209], v[212:213]
	s_delay_alu instid0(VALU_DEP_3) | instskip(SKIP_1) | instid1(VALU_DEP_2)
	v_dual_mov_b32 v208, v248 :: v_dual_mov_b32 v209, v249
	s_waitcnt lgkmcnt(0)
	v_mul_f64 v[212:213], v[234:235], v[210:211]
	v_mul_f64 v[214:215], v[232:233], v[210:211]
	scratch_store_b128 off, v[208:211], off offset:24 ; 16-byte Folded Spill
	v_fma_f64 v[212:213], v[232:233], v[248:249], -v[212:213]
	v_fma_f64 v[214:215], v[234:235], v[248:249], v[214:215]
	ds_load_2addr_b64 v[232:235], v250 offset0:10 offset1:11
	v_add_f64 v[0:1], v[0:1], -v[212:213]
	v_add_f64 v[2:3], v[2:3], -v[214:215]
	s_waitcnt lgkmcnt(0)
	v_mul_f64 v[212:213], v[234:235], v[210:211]
	v_mul_f64 v[214:215], v[232:233], v[210:211]
	s_delay_alu instid0(VALU_DEP_2) | instskip(NEXT) | instid1(VALU_DEP_2)
	v_fma_f64 v[212:213], v[232:233], v[248:249], -v[212:213]
	v_fma_f64 v[214:215], v[234:235], v[248:249], v[214:215]
	ds_load_2addr_b64 v[232:235], v250 offset0:12 offset1:13
	v_add_f64 v[4:5], v[4:5], -v[212:213]
	v_add_f64 v[6:7], v[6:7], -v[214:215]
	s_waitcnt lgkmcnt(0)
	v_mul_f64 v[212:213], v[234:235], v[210:211]
	v_mul_f64 v[214:215], v[232:233], v[210:211]
	s_delay_alu instid0(VALU_DEP_2) | instskip(NEXT) | instid1(VALU_DEP_2)
	;; [unrolled: 9-line block ×3, first 2 shown]
	v_fma_f64 v[212:213], v[232:233], v[248:249], -v[212:213]
	v_fma_f64 v[214:215], v[234:235], v[248:249], v[214:215]
	ds_load_2addr_b64 v[232:235], v250 offset0:16 offset1:17
	s_waitcnt vmcnt(0)
	v_add_f64 v[216:217], v[216:217], -v[212:213]
	v_add_f64 v[218:219], v[218:219], -v[214:215]
	s_waitcnt lgkmcnt(0)
	v_mul_f64 v[212:213], v[234:235], v[210:211]
	v_mul_f64 v[214:215], v[232:233], v[210:211]
	scratch_store_b128 off, v[216:219], off ; 16-byte Folded Spill
	v_fma_f64 v[212:213], v[232:233], v[248:249], -v[212:213]
	v_fma_f64 v[214:215], v[234:235], v[248:249], v[214:215]
	ds_load_2addr_b64 v[232:235], v250 offset0:18 offset1:19
	v_add_f64 v[204:205], v[204:205], -v[212:213]
	v_add_f64 v[206:207], v[206:207], -v[214:215]
	s_waitcnt lgkmcnt(0)
	v_mul_f64 v[212:213], v[234:235], v[210:211]
	v_mul_f64 v[214:215], v[232:233], v[210:211]
	s_delay_alu instid0(VALU_DEP_2) | instskip(NEXT) | instid1(VALU_DEP_2)
	v_fma_f64 v[212:213], v[232:233], v[248:249], -v[212:213]
	v_fma_f64 v[214:215], v[234:235], v[248:249], v[214:215]
	ds_load_2addr_b64 v[232:235], v250 offset0:20 offset1:21
	v_add_f64 v[200:201], v[200:201], -v[212:213]
	v_add_f64 v[202:203], v[202:203], -v[214:215]
	s_waitcnt lgkmcnt(0)
	v_mul_f64 v[212:213], v[234:235], v[210:211]
	v_mul_f64 v[214:215], v[232:233], v[210:211]
	s_delay_alu instid0(VALU_DEP_2) | instskip(NEXT) | instid1(VALU_DEP_2)
	v_fma_f64 v[212:213], v[232:233], v[248:249], -v[212:213]
	v_fma_f64 v[214:215], v[234:235], v[248:249], v[214:215]
	ds_load_2addr_b64 v[232:235], v250 offset0:22 offset1:23
	v_add_f64 v[196:197], v[196:197], -v[212:213]
	v_add_f64 v[198:199], v[198:199], -v[214:215]
	s_waitcnt lgkmcnt(0)
	v_mul_f64 v[212:213], v[234:235], v[210:211]
	v_mul_f64 v[214:215], v[232:233], v[210:211]
	s_delay_alu instid0(VALU_DEP_2) | instskip(NEXT) | instid1(VALU_DEP_2)
	v_fma_f64 v[212:213], v[232:233], v[248:249], -v[212:213]
	v_fma_f64 v[214:215], v[234:235], v[248:249], v[214:215]
	ds_load_2addr_b64 v[232:235], v250 offset0:24 offset1:25
	v_add_f64 v[192:193], v[192:193], -v[212:213]
	v_add_f64 v[194:195], v[194:195], -v[214:215]
	s_waitcnt lgkmcnt(0)
	v_mul_f64 v[212:213], v[234:235], v[210:211]
	v_mul_f64 v[214:215], v[232:233], v[210:211]
	s_delay_alu instid0(VALU_DEP_2) | instskip(NEXT) | instid1(VALU_DEP_2)
	v_fma_f64 v[212:213], v[232:233], v[248:249], -v[212:213]
	v_fma_f64 v[214:215], v[234:235], v[248:249], v[214:215]
	ds_load_2addr_b64 v[232:235], v250 offset0:26 offset1:27
	v_add_f64 v[188:189], v[188:189], -v[212:213]
	v_add_f64 v[190:191], v[190:191], -v[214:215]
	s_waitcnt lgkmcnt(0)
	v_mul_f64 v[212:213], v[234:235], v[210:211]
	v_mul_f64 v[214:215], v[232:233], v[210:211]
	s_delay_alu instid0(VALU_DEP_2) | instskip(NEXT) | instid1(VALU_DEP_2)
	v_fma_f64 v[212:213], v[232:233], v[248:249], -v[212:213]
	v_fma_f64 v[214:215], v[234:235], v[248:249], v[214:215]
	ds_load_2addr_b64 v[232:235], v250 offset0:28 offset1:29
	v_add_f64 v[184:185], v[184:185], -v[212:213]
	v_add_f64 v[186:187], v[186:187], -v[214:215]
	s_waitcnt lgkmcnt(0)
	v_mul_f64 v[212:213], v[234:235], v[210:211]
	v_mul_f64 v[214:215], v[232:233], v[210:211]
	s_delay_alu instid0(VALU_DEP_2) | instskip(NEXT) | instid1(VALU_DEP_2)
	v_fma_f64 v[212:213], v[232:233], v[248:249], -v[212:213]
	v_fma_f64 v[214:215], v[234:235], v[248:249], v[214:215]
	ds_load_2addr_b64 v[232:235], v250 offset0:30 offset1:31
	v_add_f64 v[180:181], v[180:181], -v[212:213]
	v_add_f64 v[182:183], v[182:183], -v[214:215]
	s_waitcnt lgkmcnt(0)
	v_mul_f64 v[212:213], v[234:235], v[210:211]
	v_mul_f64 v[214:215], v[232:233], v[210:211]
	s_delay_alu instid0(VALU_DEP_2) | instskip(NEXT) | instid1(VALU_DEP_2)
	v_fma_f64 v[212:213], v[232:233], v[248:249], -v[212:213]
	v_fma_f64 v[214:215], v[234:235], v[248:249], v[214:215]
	ds_load_2addr_b64 v[232:235], v250 offset0:32 offset1:33
	v_add_f64 v[176:177], v[176:177], -v[212:213]
	v_add_f64 v[178:179], v[178:179], -v[214:215]
	s_waitcnt lgkmcnt(0)
	v_mul_f64 v[212:213], v[234:235], v[210:211]
	v_mul_f64 v[214:215], v[232:233], v[210:211]
	s_delay_alu instid0(VALU_DEP_2) | instskip(NEXT) | instid1(VALU_DEP_2)
	v_fma_f64 v[212:213], v[232:233], v[248:249], -v[212:213]
	v_fma_f64 v[214:215], v[234:235], v[248:249], v[214:215]
	ds_load_2addr_b64 v[232:235], v250 offset0:34 offset1:35
	v_add_f64 v[172:173], v[172:173], -v[212:213]
	v_add_f64 v[174:175], v[174:175], -v[214:215]
	s_waitcnt lgkmcnt(0)
	v_mul_f64 v[212:213], v[234:235], v[210:211]
	v_mul_f64 v[214:215], v[232:233], v[210:211]
	s_delay_alu instid0(VALU_DEP_2) | instskip(NEXT) | instid1(VALU_DEP_2)
	v_fma_f64 v[212:213], v[232:233], v[248:249], -v[212:213]
	v_fma_f64 v[214:215], v[234:235], v[248:249], v[214:215]
	ds_load_2addr_b64 v[232:235], v250 offset0:36 offset1:37
	v_add_f64 v[168:169], v[168:169], -v[212:213]
	v_add_f64 v[170:171], v[170:171], -v[214:215]
	s_waitcnt lgkmcnt(0)
	v_mul_f64 v[212:213], v[234:235], v[210:211]
	v_mul_f64 v[214:215], v[232:233], v[210:211]
	s_delay_alu instid0(VALU_DEP_2) | instskip(NEXT) | instid1(VALU_DEP_2)
	v_fma_f64 v[212:213], v[232:233], v[248:249], -v[212:213]
	v_fma_f64 v[214:215], v[234:235], v[248:249], v[214:215]
	ds_load_2addr_b64 v[232:235], v250 offset0:38 offset1:39
	v_add_f64 v[164:165], v[164:165], -v[212:213]
	v_add_f64 v[166:167], v[166:167], -v[214:215]
	s_waitcnt lgkmcnt(0)
	v_mul_f64 v[212:213], v[234:235], v[210:211]
	v_mul_f64 v[214:215], v[232:233], v[210:211]
	s_delay_alu instid0(VALU_DEP_2) | instskip(NEXT) | instid1(VALU_DEP_2)
	v_fma_f64 v[212:213], v[232:233], v[248:249], -v[212:213]
	v_fma_f64 v[214:215], v[234:235], v[248:249], v[214:215]
	ds_load_2addr_b64 v[232:235], v250 offset0:40 offset1:41
	v_add_f64 v[160:161], v[160:161], -v[212:213]
	v_add_f64 v[162:163], v[162:163], -v[214:215]
	s_waitcnt lgkmcnt(0)
	v_mul_f64 v[212:213], v[234:235], v[210:211]
	v_mul_f64 v[214:215], v[232:233], v[210:211]
	s_delay_alu instid0(VALU_DEP_2) | instskip(NEXT) | instid1(VALU_DEP_2)
	v_fma_f64 v[212:213], v[232:233], v[248:249], -v[212:213]
	v_fma_f64 v[214:215], v[234:235], v[248:249], v[214:215]
	ds_load_2addr_b64 v[232:235], v250 offset0:42 offset1:43
	v_add_f64 v[156:157], v[156:157], -v[212:213]
	v_add_f64 v[158:159], v[158:159], -v[214:215]
	s_waitcnt lgkmcnt(0)
	v_mul_f64 v[212:213], v[234:235], v[210:211]
	v_mul_f64 v[214:215], v[232:233], v[210:211]
	s_delay_alu instid0(VALU_DEP_2) | instskip(NEXT) | instid1(VALU_DEP_2)
	v_fma_f64 v[212:213], v[232:233], v[248:249], -v[212:213]
	v_fma_f64 v[214:215], v[234:235], v[248:249], v[214:215]
	ds_load_2addr_b64 v[232:235], v250 offset0:44 offset1:45
	v_add_f64 v[152:153], v[152:153], -v[212:213]
	v_add_f64 v[154:155], v[154:155], -v[214:215]
	s_waitcnt lgkmcnt(0)
	v_mul_f64 v[212:213], v[234:235], v[210:211]
	v_mul_f64 v[214:215], v[232:233], v[210:211]
	s_delay_alu instid0(VALU_DEP_2) | instskip(NEXT) | instid1(VALU_DEP_2)
	v_fma_f64 v[212:213], v[232:233], v[248:249], -v[212:213]
	v_fma_f64 v[214:215], v[234:235], v[248:249], v[214:215]
	ds_load_2addr_b64 v[232:235], v250 offset0:46 offset1:47
	v_add_f64 v[148:149], v[148:149], -v[212:213]
	v_add_f64 v[150:151], v[150:151], -v[214:215]
	s_waitcnt lgkmcnt(0)
	v_mul_f64 v[212:213], v[234:235], v[210:211]
	v_mul_f64 v[214:215], v[232:233], v[210:211]
	s_delay_alu instid0(VALU_DEP_2) | instskip(NEXT) | instid1(VALU_DEP_2)
	v_fma_f64 v[212:213], v[232:233], v[248:249], -v[212:213]
	v_fma_f64 v[214:215], v[234:235], v[248:249], v[214:215]
	ds_load_2addr_b64 v[232:235], v250 offset0:48 offset1:49
	v_add_f64 v[144:145], v[144:145], -v[212:213]
	v_add_f64 v[146:147], v[146:147], -v[214:215]
	s_waitcnt lgkmcnt(0)
	v_mul_f64 v[212:213], v[234:235], v[210:211]
	v_mul_f64 v[214:215], v[232:233], v[210:211]
	s_delay_alu instid0(VALU_DEP_2) | instskip(NEXT) | instid1(VALU_DEP_2)
	v_fma_f64 v[212:213], v[232:233], v[248:249], -v[212:213]
	v_fma_f64 v[214:215], v[234:235], v[248:249], v[214:215]
	ds_load_2addr_b64 v[232:235], v250 offset0:50 offset1:51
	v_add_f64 v[140:141], v[140:141], -v[212:213]
	v_add_f64 v[142:143], v[142:143], -v[214:215]
	s_waitcnt lgkmcnt(0)
	v_mul_f64 v[212:213], v[234:235], v[210:211]
	v_mul_f64 v[214:215], v[232:233], v[210:211]
	s_delay_alu instid0(VALU_DEP_2) | instskip(NEXT) | instid1(VALU_DEP_2)
	v_fma_f64 v[212:213], v[232:233], v[248:249], -v[212:213]
	v_fma_f64 v[214:215], v[234:235], v[248:249], v[214:215]
	ds_load_2addr_b64 v[232:235], v250 offset0:52 offset1:53
	v_add_f64 v[136:137], v[136:137], -v[212:213]
	v_add_f64 v[138:139], v[138:139], -v[214:215]
	s_waitcnt lgkmcnt(0)
	v_mul_f64 v[212:213], v[234:235], v[210:211]
	v_mul_f64 v[214:215], v[232:233], v[210:211]
	s_delay_alu instid0(VALU_DEP_2) | instskip(NEXT) | instid1(VALU_DEP_2)
	v_fma_f64 v[212:213], v[232:233], v[248:249], -v[212:213]
	v_fma_f64 v[214:215], v[234:235], v[248:249], v[214:215]
	ds_load_2addr_b64 v[232:235], v250 offset0:54 offset1:55
	v_add_f64 v[132:133], v[132:133], -v[212:213]
	v_add_f64 v[134:135], v[134:135], -v[214:215]
	s_waitcnt lgkmcnt(0)
	v_mul_f64 v[212:213], v[234:235], v[210:211]
	v_mul_f64 v[214:215], v[232:233], v[210:211]
	s_delay_alu instid0(VALU_DEP_2) | instskip(NEXT) | instid1(VALU_DEP_2)
	v_fma_f64 v[212:213], v[232:233], v[248:249], -v[212:213]
	v_fma_f64 v[214:215], v[234:235], v[248:249], v[214:215]
	ds_load_2addr_b64 v[232:235], v250 offset0:56 offset1:57
	v_add_f64 v[128:129], v[128:129], -v[212:213]
	v_add_f64 v[130:131], v[130:131], -v[214:215]
	s_waitcnt lgkmcnt(0)
	v_mul_f64 v[212:213], v[234:235], v[210:211]
	v_mul_f64 v[214:215], v[232:233], v[210:211]
	s_delay_alu instid0(VALU_DEP_2) | instskip(NEXT) | instid1(VALU_DEP_2)
	v_fma_f64 v[212:213], v[232:233], v[248:249], -v[212:213]
	v_fma_f64 v[214:215], v[234:235], v[248:249], v[214:215]
	ds_load_2addr_b64 v[232:235], v250 offset0:58 offset1:59
	v_add_f64 v[124:125], v[124:125], -v[212:213]
	v_add_f64 v[126:127], v[126:127], -v[214:215]
	s_waitcnt lgkmcnt(0)
	v_mul_f64 v[212:213], v[234:235], v[210:211]
	v_mul_f64 v[214:215], v[232:233], v[210:211]
	s_delay_alu instid0(VALU_DEP_2) | instskip(NEXT) | instid1(VALU_DEP_2)
	v_fma_f64 v[212:213], v[232:233], v[248:249], -v[212:213]
	v_fma_f64 v[214:215], v[234:235], v[248:249], v[214:215]
	ds_load_2addr_b64 v[232:235], v250 offset0:60 offset1:61
	v_add_f64 v[120:121], v[120:121], -v[212:213]
	v_add_f64 v[122:123], v[122:123], -v[214:215]
	s_waitcnt lgkmcnt(0)
	v_mul_f64 v[212:213], v[234:235], v[210:211]
	v_mul_f64 v[214:215], v[232:233], v[210:211]
	s_delay_alu instid0(VALU_DEP_2) | instskip(NEXT) | instid1(VALU_DEP_2)
	v_fma_f64 v[212:213], v[232:233], v[248:249], -v[212:213]
	v_fma_f64 v[214:215], v[234:235], v[248:249], v[214:215]
	ds_load_2addr_b64 v[232:235], v250 offset0:62 offset1:63
	v_add_f64 v[116:117], v[116:117], -v[212:213]
	v_add_f64 v[118:119], v[118:119], -v[214:215]
	s_waitcnt lgkmcnt(0)
	v_mul_f64 v[212:213], v[234:235], v[210:211]
	v_mul_f64 v[214:215], v[232:233], v[210:211]
	s_delay_alu instid0(VALU_DEP_2) | instskip(NEXT) | instid1(VALU_DEP_2)
	v_fma_f64 v[212:213], v[232:233], v[248:249], -v[212:213]
	v_fma_f64 v[214:215], v[234:235], v[248:249], v[214:215]
	ds_load_2addr_b64 v[232:235], v250 offset0:64 offset1:65
	v_add_f64 v[112:113], v[112:113], -v[212:213]
	v_add_f64 v[114:115], v[114:115], -v[214:215]
	s_waitcnt lgkmcnt(0)
	v_mul_f64 v[212:213], v[234:235], v[210:211]
	v_mul_f64 v[214:215], v[232:233], v[210:211]
	s_delay_alu instid0(VALU_DEP_2) | instskip(NEXT) | instid1(VALU_DEP_2)
	v_fma_f64 v[212:213], v[232:233], v[248:249], -v[212:213]
	v_fma_f64 v[214:215], v[234:235], v[248:249], v[214:215]
	ds_load_2addr_b64 v[232:235], v250 offset0:66 offset1:67
	v_add_f64 v[108:109], v[108:109], -v[212:213]
	v_add_f64 v[110:111], v[110:111], -v[214:215]
	s_waitcnt lgkmcnt(0)
	v_mul_f64 v[212:213], v[234:235], v[210:211]
	v_mul_f64 v[214:215], v[232:233], v[210:211]
	s_delay_alu instid0(VALU_DEP_2) | instskip(NEXT) | instid1(VALU_DEP_2)
	v_fma_f64 v[212:213], v[232:233], v[248:249], -v[212:213]
	v_fma_f64 v[214:215], v[234:235], v[248:249], v[214:215]
	ds_load_2addr_b64 v[232:235], v250 offset0:68 offset1:69
	v_add_f64 v[104:105], v[104:105], -v[212:213]
	v_add_f64 v[106:107], v[106:107], -v[214:215]
	s_waitcnt lgkmcnt(0)
	v_mul_f64 v[212:213], v[234:235], v[210:211]
	v_mul_f64 v[214:215], v[232:233], v[210:211]
	s_delay_alu instid0(VALU_DEP_2) | instskip(NEXT) | instid1(VALU_DEP_2)
	v_fma_f64 v[212:213], v[232:233], v[248:249], -v[212:213]
	v_fma_f64 v[214:215], v[234:235], v[248:249], v[214:215]
	ds_load_2addr_b64 v[232:235], v250 offset0:70 offset1:71
	v_add_f64 v[100:101], v[100:101], -v[212:213]
	v_add_f64 v[102:103], v[102:103], -v[214:215]
	s_waitcnt lgkmcnt(0)
	v_mul_f64 v[212:213], v[234:235], v[210:211]
	v_mul_f64 v[214:215], v[232:233], v[210:211]
	s_delay_alu instid0(VALU_DEP_2) | instskip(NEXT) | instid1(VALU_DEP_2)
	v_fma_f64 v[212:213], v[232:233], v[248:249], -v[212:213]
	v_fma_f64 v[214:215], v[234:235], v[248:249], v[214:215]
	ds_load_2addr_b64 v[232:235], v250 offset0:72 offset1:73
	v_add_f64 v[96:97], v[96:97], -v[212:213]
	v_add_f64 v[98:99], v[98:99], -v[214:215]
	s_waitcnt lgkmcnt(0)
	v_mul_f64 v[212:213], v[234:235], v[210:211]
	v_mul_f64 v[214:215], v[232:233], v[210:211]
	s_delay_alu instid0(VALU_DEP_2) | instskip(NEXT) | instid1(VALU_DEP_2)
	v_fma_f64 v[212:213], v[232:233], v[248:249], -v[212:213]
	v_fma_f64 v[214:215], v[234:235], v[248:249], v[214:215]
	ds_load_2addr_b64 v[232:235], v250 offset0:74 offset1:75
	v_add_f64 v[92:93], v[92:93], -v[212:213]
	v_add_f64 v[94:95], v[94:95], -v[214:215]
	s_waitcnt lgkmcnt(0)
	v_mul_f64 v[212:213], v[234:235], v[210:211]
	v_mul_f64 v[214:215], v[232:233], v[210:211]
	s_delay_alu instid0(VALU_DEP_2) | instskip(NEXT) | instid1(VALU_DEP_2)
	v_fma_f64 v[212:213], v[232:233], v[248:249], -v[212:213]
	v_fma_f64 v[214:215], v[234:235], v[248:249], v[214:215]
	ds_load_2addr_b64 v[232:235], v250 offset0:76 offset1:77
	v_add_f64 v[88:89], v[88:89], -v[212:213]
	v_add_f64 v[90:91], v[90:91], -v[214:215]
	s_waitcnt lgkmcnt(0)
	v_mul_f64 v[212:213], v[234:235], v[210:211]
	v_mul_f64 v[214:215], v[232:233], v[210:211]
	s_delay_alu instid0(VALU_DEP_2) | instskip(NEXT) | instid1(VALU_DEP_2)
	v_fma_f64 v[212:213], v[232:233], v[248:249], -v[212:213]
	v_fma_f64 v[214:215], v[234:235], v[248:249], v[214:215]
	ds_load_2addr_b64 v[232:235], v250 offset0:78 offset1:79
	v_add_f64 v[84:85], v[84:85], -v[212:213]
	v_add_f64 v[86:87], v[86:87], -v[214:215]
	s_waitcnt lgkmcnt(0)
	v_mul_f64 v[212:213], v[234:235], v[210:211]
	v_mul_f64 v[214:215], v[232:233], v[210:211]
	s_delay_alu instid0(VALU_DEP_2) | instskip(NEXT) | instid1(VALU_DEP_2)
	v_fma_f64 v[212:213], v[232:233], v[248:249], -v[212:213]
	v_fma_f64 v[214:215], v[234:235], v[248:249], v[214:215]
	ds_load_2addr_b64 v[232:235], v250 offset0:80 offset1:81
	v_add_f64 v[80:81], v[80:81], -v[212:213]
	v_add_f64 v[82:83], v[82:83], -v[214:215]
	s_waitcnt lgkmcnt(0)
	v_mul_f64 v[212:213], v[234:235], v[210:211]
	v_mul_f64 v[214:215], v[232:233], v[210:211]
	s_delay_alu instid0(VALU_DEP_2) | instskip(NEXT) | instid1(VALU_DEP_2)
	v_fma_f64 v[212:213], v[232:233], v[248:249], -v[212:213]
	v_fma_f64 v[214:215], v[234:235], v[248:249], v[214:215]
	ds_load_2addr_b64 v[232:235], v250 offset0:82 offset1:83
	v_add_f64 v[76:77], v[76:77], -v[212:213]
	v_add_f64 v[78:79], v[78:79], -v[214:215]
	s_waitcnt lgkmcnt(0)
	v_mul_f64 v[212:213], v[234:235], v[210:211]
	v_mul_f64 v[214:215], v[232:233], v[210:211]
	s_delay_alu instid0(VALU_DEP_2) | instskip(NEXT) | instid1(VALU_DEP_2)
	v_fma_f64 v[212:213], v[232:233], v[248:249], -v[212:213]
	v_fma_f64 v[214:215], v[234:235], v[248:249], v[214:215]
	ds_load_2addr_b64 v[232:235], v250 offset0:84 offset1:85
	v_add_f64 v[72:73], v[72:73], -v[212:213]
	v_add_f64 v[74:75], v[74:75], -v[214:215]
	s_waitcnt lgkmcnt(0)
	v_mul_f64 v[212:213], v[234:235], v[210:211]
	v_mul_f64 v[214:215], v[232:233], v[210:211]
	s_delay_alu instid0(VALU_DEP_2) | instskip(NEXT) | instid1(VALU_DEP_2)
	v_fma_f64 v[212:213], v[232:233], v[248:249], -v[212:213]
	v_fma_f64 v[214:215], v[234:235], v[248:249], v[214:215]
	ds_load_2addr_b64 v[232:235], v250 offset0:86 offset1:87
	v_add_f64 v[68:69], v[68:69], -v[212:213]
	v_add_f64 v[70:71], v[70:71], -v[214:215]
	s_waitcnt lgkmcnt(0)
	v_mul_f64 v[212:213], v[234:235], v[210:211]
	v_mul_f64 v[214:215], v[232:233], v[210:211]
	s_delay_alu instid0(VALU_DEP_2) | instskip(NEXT) | instid1(VALU_DEP_2)
	v_fma_f64 v[212:213], v[232:233], v[248:249], -v[212:213]
	v_fma_f64 v[214:215], v[234:235], v[248:249], v[214:215]
	ds_load_2addr_b64 v[232:235], v250 offset0:88 offset1:89
	v_add_f64 v[64:65], v[64:65], -v[212:213]
	v_add_f64 v[66:67], v[66:67], -v[214:215]
	s_waitcnt lgkmcnt(0)
	v_mul_f64 v[212:213], v[234:235], v[210:211]
	v_mul_f64 v[214:215], v[232:233], v[210:211]
	s_delay_alu instid0(VALU_DEP_2) | instskip(NEXT) | instid1(VALU_DEP_2)
	v_fma_f64 v[212:213], v[232:233], v[248:249], -v[212:213]
	v_fma_f64 v[214:215], v[234:235], v[248:249], v[214:215]
	ds_load_2addr_b64 v[232:235], v250 offset0:90 offset1:91
	v_add_f64 v[60:61], v[60:61], -v[212:213]
	v_add_f64 v[62:63], v[62:63], -v[214:215]
	s_waitcnt lgkmcnt(0)
	v_mul_f64 v[212:213], v[234:235], v[210:211]
	v_mul_f64 v[214:215], v[232:233], v[210:211]
	s_delay_alu instid0(VALU_DEP_2) | instskip(NEXT) | instid1(VALU_DEP_2)
	v_fma_f64 v[212:213], v[232:233], v[248:249], -v[212:213]
	v_fma_f64 v[214:215], v[234:235], v[248:249], v[214:215]
	ds_load_2addr_b64 v[232:235], v250 offset0:92 offset1:93
	v_add_f64 v[56:57], v[56:57], -v[212:213]
	v_add_f64 v[58:59], v[58:59], -v[214:215]
	s_waitcnt lgkmcnt(0)
	v_mul_f64 v[212:213], v[234:235], v[210:211]
	v_mul_f64 v[214:215], v[232:233], v[210:211]
	s_delay_alu instid0(VALU_DEP_2) | instskip(NEXT) | instid1(VALU_DEP_2)
	v_fma_f64 v[212:213], v[232:233], v[248:249], -v[212:213]
	v_fma_f64 v[214:215], v[234:235], v[248:249], v[214:215]
	ds_load_2addr_b64 v[232:235], v250 offset0:94 offset1:95
	v_add_f64 v[52:53], v[52:53], -v[212:213]
	v_add_f64 v[54:55], v[54:55], -v[214:215]
	s_waitcnt lgkmcnt(0)
	v_mul_f64 v[212:213], v[234:235], v[210:211]
	v_mul_f64 v[214:215], v[232:233], v[210:211]
	s_delay_alu instid0(VALU_DEP_2) | instskip(NEXT) | instid1(VALU_DEP_2)
	v_fma_f64 v[212:213], v[232:233], v[248:249], -v[212:213]
	v_fma_f64 v[214:215], v[234:235], v[248:249], v[214:215]
	ds_load_2addr_b64 v[232:235], v250 offset0:96 offset1:97
	v_add_f64 v[48:49], v[48:49], -v[212:213]
	v_add_f64 v[50:51], v[50:51], -v[214:215]
	s_waitcnt lgkmcnt(0)
	v_mul_f64 v[212:213], v[234:235], v[210:211]
	v_mul_f64 v[214:215], v[232:233], v[210:211]
	s_delay_alu instid0(VALU_DEP_2) | instskip(NEXT) | instid1(VALU_DEP_2)
	v_fma_f64 v[212:213], v[232:233], v[248:249], -v[212:213]
	v_fma_f64 v[214:215], v[234:235], v[248:249], v[214:215]
	ds_load_2addr_b64 v[232:235], v250 offset0:98 offset1:99
	v_add_f64 v[44:45], v[44:45], -v[212:213]
	v_add_f64 v[46:47], v[46:47], -v[214:215]
	s_waitcnt lgkmcnt(0)
	v_mul_f64 v[212:213], v[234:235], v[210:211]
	v_mul_f64 v[214:215], v[232:233], v[210:211]
	s_delay_alu instid0(VALU_DEP_2) | instskip(NEXT) | instid1(VALU_DEP_2)
	v_fma_f64 v[212:213], v[232:233], v[248:249], -v[212:213]
	v_fma_f64 v[214:215], v[234:235], v[248:249], v[214:215]
	ds_load_2addr_b64 v[232:235], v250 offset0:100 offset1:101
	v_add_f64 v[40:41], v[40:41], -v[212:213]
	v_add_f64 v[42:43], v[42:43], -v[214:215]
	s_waitcnt lgkmcnt(0)
	v_mul_f64 v[212:213], v[234:235], v[210:211]
	v_mul_f64 v[214:215], v[232:233], v[210:211]
	s_delay_alu instid0(VALU_DEP_2) | instskip(NEXT) | instid1(VALU_DEP_2)
	v_fma_f64 v[212:213], v[232:233], v[248:249], -v[212:213]
	v_fma_f64 v[214:215], v[234:235], v[248:249], v[214:215]
	ds_load_2addr_b64 v[232:235], v250 offset0:102 offset1:103
	v_add_f64 v[36:37], v[36:37], -v[212:213]
	v_add_f64 v[38:39], v[38:39], -v[214:215]
	s_waitcnt lgkmcnt(0)
	v_mul_f64 v[212:213], v[234:235], v[210:211]
	v_mul_f64 v[214:215], v[232:233], v[210:211]
	s_delay_alu instid0(VALU_DEP_2) | instskip(NEXT) | instid1(VALU_DEP_2)
	v_fma_f64 v[212:213], v[232:233], v[248:249], -v[212:213]
	v_fma_f64 v[214:215], v[234:235], v[248:249], v[214:215]
	ds_load_2addr_b64 v[232:235], v250 offset0:104 offset1:105
	v_add_f64 v[32:33], v[32:33], -v[212:213]
	v_add_f64 v[34:35], v[34:35], -v[214:215]
	s_waitcnt lgkmcnt(0)
	v_mul_f64 v[212:213], v[234:235], v[210:211]
	v_mul_f64 v[214:215], v[232:233], v[210:211]
	s_delay_alu instid0(VALU_DEP_2) | instskip(NEXT) | instid1(VALU_DEP_2)
	v_fma_f64 v[212:213], v[232:233], v[248:249], -v[212:213]
	v_fma_f64 v[214:215], v[234:235], v[248:249], v[214:215]
	ds_load_2addr_b64 v[232:235], v250 offset0:106 offset1:107
	v_add_f64 v[28:29], v[28:29], -v[212:213]
	v_add_f64 v[30:31], v[30:31], -v[214:215]
	s_waitcnt lgkmcnt(0)
	v_mul_f64 v[212:213], v[234:235], v[210:211]
	v_mul_f64 v[214:215], v[232:233], v[210:211]
	s_delay_alu instid0(VALU_DEP_2) | instskip(NEXT) | instid1(VALU_DEP_2)
	v_fma_f64 v[212:213], v[232:233], v[248:249], -v[212:213]
	v_fma_f64 v[214:215], v[234:235], v[248:249], v[214:215]
	ds_load_2addr_b64 v[232:235], v250 offset0:108 offset1:109
	v_add_f64 v[24:25], v[24:25], -v[212:213]
	v_add_f64 v[26:27], v[26:27], -v[214:215]
	s_waitcnt lgkmcnt(0)
	v_mul_f64 v[212:213], v[234:235], v[210:211]
	v_mul_f64 v[214:215], v[232:233], v[210:211]
	s_delay_alu instid0(VALU_DEP_2) | instskip(NEXT) | instid1(VALU_DEP_2)
	v_fma_f64 v[212:213], v[232:233], v[248:249], -v[212:213]
	v_fma_f64 v[214:215], v[234:235], v[248:249], v[214:215]
	ds_load_2addr_b64 v[232:235], v250 offset0:110 offset1:111
	v_add_f64 v[20:21], v[20:21], -v[212:213]
	v_add_f64 v[22:23], v[22:23], -v[214:215]
	s_waitcnt lgkmcnt(0)
	v_mul_f64 v[212:213], v[234:235], v[210:211]
	v_mul_f64 v[214:215], v[232:233], v[210:211]
	s_delay_alu instid0(VALU_DEP_2) | instskip(NEXT) | instid1(VALU_DEP_2)
	v_fma_f64 v[212:213], v[232:233], v[248:249], -v[212:213]
	v_fma_f64 v[214:215], v[234:235], v[248:249], v[214:215]
	ds_load_2addr_b64 v[232:235], v250 offset0:112 offset1:113
	v_add_f64 v[16:17], v[16:17], -v[212:213]
	v_add_f64 v[18:19], v[18:19], -v[214:215]
	s_waitcnt lgkmcnt(0)
	v_mul_f64 v[212:213], v[234:235], v[210:211]
	v_mul_f64 v[214:215], v[232:233], v[210:211]
	s_delay_alu instid0(VALU_DEP_2) | instskip(NEXT) | instid1(VALU_DEP_2)
	v_fma_f64 v[212:213], v[232:233], v[248:249], -v[212:213]
	v_fma_f64 v[214:215], v[234:235], v[248:249], v[214:215]
	ds_load_2addr_b64 v[232:235], v250 offset0:114 offset1:115
	v_add_f64 v[12:13], v[12:13], -v[212:213]
	v_add_f64 v[14:15], v[14:15], -v[214:215]
	s_waitcnt lgkmcnt(0)
	v_mul_f64 v[212:213], v[234:235], v[210:211]
	v_mul_f64 v[214:215], v[232:233], v[210:211]
	s_delay_alu instid0(VALU_DEP_2) | instskip(NEXT) | instid1(VALU_DEP_2)
	v_fma_f64 v[212:213], v[232:233], v[248:249], -v[212:213]
	v_fma_f64 v[214:215], v[234:235], v[248:249], v[214:215]
	ds_load_2addr_b64 v[232:235], v250 offset0:116 offset1:117
	v_add_f64 v[236:237], v[236:237], -v[212:213]
	v_add_f64 v[238:239], v[238:239], -v[214:215]
	s_waitcnt lgkmcnt(0)
	v_mul_f64 v[212:213], v[234:235], v[210:211]
	v_mul_f64 v[214:215], v[232:233], v[210:211]
	s_delay_alu instid0(VALU_DEP_2) | instskip(NEXT) | instid1(VALU_DEP_2)
	v_fma_f64 v[212:213], v[232:233], v[248:249], -v[212:213]
	v_fma_f64 v[214:215], v[234:235], v[248:249], v[214:215]
	ds_load_2addr_b64 v[232:235], v250 offset0:118 offset1:119
	v_add_f64 v[224:225], v[224:225], -v[212:213]
	v_add_f64 v[226:227], v[226:227], -v[214:215]
	s_waitcnt lgkmcnt(0)
	v_mul_f64 v[212:213], v[234:235], v[210:211]
	v_mul_f64 v[214:215], v[232:233], v[210:211]
	s_delay_alu instid0(VALU_DEP_2) | instskip(NEXT) | instid1(VALU_DEP_2)
	v_fma_f64 v[212:213], v[232:233], v[248:249], -v[212:213]
	v_fma_f64 v[214:215], v[234:235], v[248:249], v[214:215]
	s_delay_alu instid0(VALU_DEP_2) | instskip(NEXT) | instid1(VALU_DEP_2)
	v_add_f64 v[228:229], v[228:229], -v[212:213]
	v_add_f64 v[230:231], v[230:231], -v[214:215]
.LBB118_83:
	s_or_b32 exec_lo, exec_lo, s2
	v_lshl_add_u32 v212, v255, 4, v250
	s_waitcnt_vscnt null, 0x0
	s_barrier
	buffer_gl0_inv
	v_mov_b32_e32 v248, 4
	ds_store_2addr_b64 v212, v[0:1], v[2:3] offset1:1
	s_waitcnt lgkmcnt(0)
	s_barrier
	buffer_gl0_inv
	ds_load_2addr_b64 v[240:243], v250 offset0:8 offset1:9
	s_cmp_lt_i32 s12, 6
	s_cbranch_scc1 .LBB118_86
; %bb.84:
	v_add3_u32 v245, v254, 0, 0x50
	v_mov_b32_e32 v248, 4
	s_mov_b32 s6, 5
	s_set_inst_prefetch_distance 0x1
	.p2align	6
.LBB118_85:                             ; =>This Inner Loop Header: Depth=1
	ds_load_2addr_b64 v[232:235], v245 offset1:1
	s_waitcnt lgkmcnt(1)
	v_cmp_gt_f64_e32 vcc_lo, 0, v[240:241]
	v_cmp_gt_f64_e64 s2, 0, v[242:243]
	v_xor_b32_e32 v213, 0x80000000, v241
	v_xor_b32_e32 v215, 0x80000000, v243
	v_add_nc_u32_e32 v245, 16, v245
	s_waitcnt lgkmcnt(0)
	v_cmp_gt_f64_e64 s3, 0, v[232:233]
	v_cmp_gt_f64_e64 s4, 0, v[234:235]
	v_xor_b32_e32 v219, 0x80000000, v233
	v_xor_b32_e32 v220, 0x80000000, v235
	v_mov_b32_e32 v214, v234
	v_mov_b32_e32 v212, v232
	v_cndmask_b32_e32 v216, v241, v213, vcc_lo
	v_cndmask_b32_e64 v218, v243, v215, s2
	v_cndmask_b32_e32 v215, v240, v240, vcc_lo
	v_cndmask_b32_e64 v217, v242, v242, s2
	s_delay_alu instid0(VALU_DEP_1) | instskip(SKIP_2) | instid1(VALU_DEP_1)
	v_add_f64 v[216:217], v[215:216], v[217:218]
	v_cndmask_b32_e64 v213, v233, v219, s3
	v_cndmask_b32_e64 v215, v235, v220, s4
	v_add_f64 v[212:213], v[212:213], v[214:215]
	s_delay_alu instid0(VALU_DEP_1)
	v_cmp_lt_f64_e32 vcc_lo, v[216:217], v[212:213]
	v_cndmask_b32_e32 v243, v243, v235, vcc_lo
	v_dual_cndmask_b32 v241, v241, v233 :: v_dual_cndmask_b32 v240, v240, v232
	v_cndmask_b32_e32 v242, v242, v234, vcc_lo
	v_cndmask_b32_e64 v248, v248, s6, vcc_lo
	s_add_i32 s6, s6, 1
	s_delay_alu instid0(SALU_CYCLE_1)
	s_cmp_lg_u32 s12, s6
	s_cbranch_scc1 .LBB118_85
.LBB118_86:
	s_set_inst_prefetch_distance 0x2
	s_waitcnt lgkmcnt(0)
	v_cmp_eq_f64_e32 vcc_lo, 0, v[240:241]
	v_cmp_eq_f64_e64 s2, 0, v[242:243]
	s_delay_alu instid0(VALU_DEP_1) | instskip(NEXT) | instid1(SALU_CYCLE_1)
	s_and_b32 s2, vcc_lo, s2
	s_and_saveexec_b32 s3, s2
	s_delay_alu instid0(SALU_CYCLE_1)
	s_xor_b32 s2, exec_lo, s3
; %bb.87:
	v_cmp_ne_u32_e32 vcc_lo, 0, v253
	v_cndmask_b32_e32 v253, 5, v253, vcc_lo
; %bb.88:
	s_and_not1_saveexec_b32 s3, s2
	s_cbranch_execz .LBB118_94
; %bb.89:
	v_cmp_gt_f64_e32 vcc_lo, 0, v[240:241]
	v_cmp_gt_f64_e64 s2, 0, v[242:243]
	v_xor_b32_e32 v212, 0x80000000, v241
	v_xor_b32_e32 v214, 0x80000000, v243
	s_delay_alu instid0(VALU_DEP_2) | instskip(NEXT) | instid1(VALU_DEP_2)
	v_cndmask_b32_e32 v213, v241, v212, vcc_lo
	v_cndmask_b32_e64 v215, v243, v214, s2
	v_cndmask_b32_e32 v212, v240, v240, vcc_lo
	v_cndmask_b32_e64 v214, v242, v242, s2
	s_mov_b32 s2, exec_lo
	s_delay_alu instid0(VALU_DEP_1)
	v_cmpx_ngt_f64_e32 v[212:213], v[214:215]
	s_xor_b32 s2, exec_lo, s2
	s_cbranch_execz .LBB118_91
; %bb.90:
	v_div_scale_f64 v[212:213], null, v[242:243], v[242:243], v[240:241]
	v_div_scale_f64 v[218:219], vcc_lo, v[240:241], v[242:243], v[240:241]
	s_delay_alu instid0(VALU_DEP_2) | instskip(SKIP_2) | instid1(VALU_DEP_1)
	v_rcp_f64_e32 v[214:215], v[212:213]
	s_waitcnt_depctr 0xfff
	v_fma_f64 v[216:217], -v[212:213], v[214:215], 1.0
	v_fma_f64 v[214:215], v[214:215], v[216:217], v[214:215]
	s_delay_alu instid0(VALU_DEP_1) | instskip(NEXT) | instid1(VALU_DEP_1)
	v_fma_f64 v[216:217], -v[212:213], v[214:215], 1.0
	v_fma_f64 v[214:215], v[214:215], v[216:217], v[214:215]
	s_delay_alu instid0(VALU_DEP_1) | instskip(NEXT) | instid1(VALU_DEP_1)
	v_mul_f64 v[216:217], v[218:219], v[214:215]
	v_fma_f64 v[212:213], -v[212:213], v[216:217], v[218:219]
	s_delay_alu instid0(VALU_DEP_1) | instskip(NEXT) | instid1(VALU_DEP_1)
	v_div_fmas_f64 v[212:213], v[212:213], v[214:215], v[216:217]
	v_div_fixup_f64 v[212:213], v[212:213], v[242:243], v[240:241]
	s_delay_alu instid0(VALU_DEP_1) | instskip(NEXT) | instid1(VALU_DEP_1)
	v_fma_f64 v[214:215], v[240:241], v[212:213], v[242:243]
	v_div_scale_f64 v[216:217], null, v[214:215], v[214:215], 1.0
	s_delay_alu instid0(VALU_DEP_1) | instskip(SKIP_2) | instid1(VALU_DEP_1)
	v_rcp_f64_e32 v[218:219], v[216:217]
	s_waitcnt_depctr 0xfff
	v_fma_f64 v[220:221], -v[216:217], v[218:219], 1.0
	v_fma_f64 v[218:219], v[218:219], v[220:221], v[218:219]
	s_delay_alu instid0(VALU_DEP_1) | instskip(NEXT) | instid1(VALU_DEP_1)
	v_fma_f64 v[220:221], -v[216:217], v[218:219], 1.0
	v_fma_f64 v[218:219], v[218:219], v[220:221], v[218:219]
	v_div_scale_f64 v[220:221], vcc_lo, 1.0, v[214:215], 1.0
	s_delay_alu instid0(VALU_DEP_1) | instskip(NEXT) | instid1(VALU_DEP_1)
	v_mul_f64 v[222:223], v[220:221], v[218:219]
	v_fma_f64 v[216:217], -v[216:217], v[222:223], v[220:221]
	s_delay_alu instid0(VALU_DEP_1) | instskip(NEXT) | instid1(VALU_DEP_1)
	v_div_fmas_f64 v[216:217], v[216:217], v[218:219], v[222:223]
	v_div_fixup_f64 v[242:243], v[216:217], v[214:215], 1.0
	s_delay_alu instid0(VALU_DEP_1)
	v_mul_f64 v[240:241], v[212:213], v[242:243]
	v_xor_b32_e32 v243, 0x80000000, v243
.LBB118_91:
	s_and_not1_saveexec_b32 s2, s2
	s_cbranch_execz .LBB118_93
; %bb.92:
	s_delay_alu instid0(VALU_DEP_1) | instskip(SKIP_1) | instid1(VALU_DEP_2)
	v_div_scale_f64 v[212:213], null, v[240:241], v[240:241], v[242:243]
	v_div_scale_f64 v[218:219], vcc_lo, v[242:243], v[240:241], v[242:243]
	v_rcp_f64_e32 v[214:215], v[212:213]
	s_waitcnt_depctr 0xfff
	v_fma_f64 v[216:217], -v[212:213], v[214:215], 1.0
	s_delay_alu instid0(VALU_DEP_1) | instskip(NEXT) | instid1(VALU_DEP_1)
	v_fma_f64 v[214:215], v[214:215], v[216:217], v[214:215]
	v_fma_f64 v[216:217], -v[212:213], v[214:215], 1.0
	s_delay_alu instid0(VALU_DEP_1) | instskip(NEXT) | instid1(VALU_DEP_1)
	v_fma_f64 v[214:215], v[214:215], v[216:217], v[214:215]
	v_mul_f64 v[216:217], v[218:219], v[214:215]
	s_delay_alu instid0(VALU_DEP_1) | instskip(NEXT) | instid1(VALU_DEP_1)
	v_fma_f64 v[212:213], -v[212:213], v[216:217], v[218:219]
	v_div_fmas_f64 v[212:213], v[212:213], v[214:215], v[216:217]
	s_delay_alu instid0(VALU_DEP_1) | instskip(NEXT) | instid1(VALU_DEP_1)
	v_div_fixup_f64 v[212:213], v[212:213], v[240:241], v[242:243]
	v_fma_f64 v[214:215], v[242:243], v[212:213], v[240:241]
	s_delay_alu instid0(VALU_DEP_1) | instskip(NEXT) | instid1(VALU_DEP_1)
	v_div_scale_f64 v[216:217], null, v[214:215], v[214:215], 1.0
	v_rcp_f64_e32 v[218:219], v[216:217]
	s_waitcnt_depctr 0xfff
	v_fma_f64 v[220:221], -v[216:217], v[218:219], 1.0
	s_delay_alu instid0(VALU_DEP_1) | instskip(NEXT) | instid1(VALU_DEP_1)
	v_fma_f64 v[218:219], v[218:219], v[220:221], v[218:219]
	v_fma_f64 v[220:221], -v[216:217], v[218:219], 1.0
	s_delay_alu instid0(VALU_DEP_1) | instskip(SKIP_1) | instid1(VALU_DEP_1)
	v_fma_f64 v[218:219], v[218:219], v[220:221], v[218:219]
	v_div_scale_f64 v[220:221], vcc_lo, 1.0, v[214:215], 1.0
	v_mul_f64 v[222:223], v[220:221], v[218:219]
	s_delay_alu instid0(VALU_DEP_1) | instskip(NEXT) | instid1(VALU_DEP_1)
	v_fma_f64 v[216:217], -v[216:217], v[222:223], v[220:221]
	v_div_fmas_f64 v[216:217], v[216:217], v[218:219], v[222:223]
	s_delay_alu instid0(VALU_DEP_1) | instskip(NEXT) | instid1(VALU_DEP_1)
	v_div_fixup_f64 v[240:241], v[216:217], v[214:215], 1.0
	v_mul_f64 v[242:243], v[212:213], -v[240:241]
.LBB118_93:
	s_or_b32 exec_lo, exec_lo, s2
.LBB118_94:
	s_delay_alu instid0(SALU_CYCLE_1) | instskip(NEXT) | instid1(SALU_CYCLE_1)
	s_or_b32 exec_lo, exec_lo, s3
	s_mov_b32 s2, exec_lo
	v_cmpx_ne_u32_e64 v255, v248
	s_xor_b32 s2, exec_lo, s2
	s_cbranch_execz .LBB118_100
; %bb.95:
	s_mov_b32 s3, exec_lo
	v_cmpx_eq_u32_e32 4, v255
	s_cbranch_execz .LBB118_99
; %bb.96:
	v_cmp_ne_u32_e32 vcc_lo, 4, v248
	s_xor_b32 s4, s5, -1
	s_delay_alu instid0(SALU_CYCLE_1) | instskip(NEXT) | instid1(SALU_CYCLE_1)
	s_and_b32 s6, s4, vcc_lo
	s_and_saveexec_b32 s4, s6
	s_cbranch_execz .LBB118_98
; %bb.97:
	scratch_load_b64 v[208:209], off, off offset:16 ; 8-byte Folded Reload
	v_ashrrev_i32_e32 v249, 31, v248
	s_delay_alu instid0(VALU_DEP_1) | instskip(SKIP_1) | instid1(VALU_DEP_1)
	v_lshlrev_b64 v[212:213], 2, v[248:249]
	s_waitcnt vmcnt(0)
	v_add_co_u32 v212, vcc_lo, v208, v212
	s_delay_alu instid0(VALU_DEP_2)
	v_add_co_ci_u32_e32 v213, vcc_lo, v209, v213, vcc_lo
	s_clause 0x1
	flat_load_b32 v214, v[212:213]
	flat_load_b32 v215, v[208:209] offset:16
	s_waitcnt vmcnt(1) lgkmcnt(1)
	flat_store_b32 v[208:209], v214 offset:16
	s_waitcnt vmcnt(0) lgkmcnt(1)
	flat_store_b32 v[212:213], v215
.LBB118_98:
	s_or_b32 exec_lo, exec_lo, s4
	v_mov_b32_e32 v255, v248
	v_mov_b32_e32 v244, v248
.LBB118_99:
	s_or_b32 exec_lo, exec_lo, s3
.LBB118_100:
	s_and_not1_saveexec_b32 s2, s2
	s_cbranch_execz .LBB118_102
; %bb.101:
	ds_store_2addr_b64 v250, v[4:5], v[6:7] offset0:10 offset1:11
	ds_store_2addr_b64 v250, v[8:9], v[10:11] offset0:12 offset1:13
	scratch_load_b128 v[208:211], off, off  ; 16-byte Folded Reload
	v_mov_b32_e32 v255, 4
	s_waitcnt vmcnt(0)
	ds_store_2addr_b64 v250, v[208:209], v[210:211] offset0:14 offset1:15
	ds_store_2addr_b64 v250, v[204:205], v[206:207] offset0:16 offset1:17
	;; [unrolled: 1-line block ×53, first 2 shown]
.LBB118_102:
	s_or_b32 exec_lo, exec_lo, s2
	s_delay_alu instid0(SALU_CYCLE_1)
	s_mov_b32 s2, exec_lo
	s_waitcnt lgkmcnt(0)
	s_waitcnt_vscnt null, 0x0
	s_barrier
	buffer_gl0_inv
	v_cmpx_lt_i32_e32 4, v255
	s_cbranch_execz .LBB118_104
; %bb.103:
	v_mul_f64 v[212:213], v[242:243], v[2:3]
	scratch_load_b128 v[208:211], off, off  ; 16-byte Folded Reload
	ds_load_2addr_b64 v[232:235], v250 offset0:10 offset1:11
	v_fma_f64 v[248:249], v[240:241], v[0:1], -v[212:213]
	v_mul_f64 v[212:213], v[240:241], v[2:3]
	s_delay_alu instid0(VALU_DEP_1) | instskip(NEXT) | instid1(VALU_DEP_3)
	v_fma_f64 v[2:3], v[242:243], v[0:1], v[212:213]
	v_dual_mov_b32 v0, v248 :: v_dual_mov_b32 v1, v249
	s_waitcnt lgkmcnt(0)
	s_delay_alu instid0(VALU_DEP_2) | instskip(SKIP_1) | instid1(VALU_DEP_2)
	v_mul_f64 v[212:213], v[234:235], v[2:3]
	v_mul_f64 v[214:215], v[232:233], v[2:3]
	v_fma_f64 v[212:213], v[232:233], v[248:249], -v[212:213]
	s_delay_alu instid0(VALU_DEP_2)
	v_fma_f64 v[214:215], v[234:235], v[248:249], v[214:215]
	ds_load_2addr_b64 v[232:235], v250 offset0:12 offset1:13
	v_add_f64 v[4:5], v[4:5], -v[212:213]
	v_add_f64 v[6:7], v[6:7], -v[214:215]
	s_waitcnt lgkmcnt(0)
	v_mul_f64 v[212:213], v[234:235], v[2:3]
	v_mul_f64 v[214:215], v[232:233], v[2:3]
	s_delay_alu instid0(VALU_DEP_2) | instskip(NEXT) | instid1(VALU_DEP_2)
	v_fma_f64 v[212:213], v[232:233], v[248:249], -v[212:213]
	v_fma_f64 v[214:215], v[234:235], v[248:249], v[214:215]
	ds_load_2addr_b64 v[232:235], v250 offset0:14 offset1:15
	v_add_f64 v[8:9], v[8:9], -v[212:213]
	v_add_f64 v[10:11], v[10:11], -v[214:215]
	s_waitcnt lgkmcnt(0)
	v_mul_f64 v[212:213], v[234:235], v[2:3]
	v_mul_f64 v[214:215], v[232:233], v[2:3]
	s_delay_alu instid0(VALU_DEP_2) | instskip(NEXT) | instid1(VALU_DEP_2)
	v_fma_f64 v[212:213], v[232:233], v[248:249], -v[212:213]
	v_fma_f64 v[214:215], v[234:235], v[248:249], v[214:215]
	ds_load_2addr_b64 v[232:235], v250 offset0:16 offset1:17
	s_waitcnt vmcnt(0)
	v_add_f64 v[208:209], v[208:209], -v[212:213]
	v_add_f64 v[210:211], v[210:211], -v[214:215]
	s_waitcnt lgkmcnt(0)
	v_mul_f64 v[212:213], v[234:235], v[2:3]
	v_mul_f64 v[214:215], v[232:233], v[2:3]
	scratch_store_b128 off, v[208:211], off ; 16-byte Folded Spill
	v_fma_f64 v[212:213], v[232:233], v[248:249], -v[212:213]
	v_fma_f64 v[214:215], v[234:235], v[248:249], v[214:215]
	ds_load_2addr_b64 v[232:235], v250 offset0:18 offset1:19
	v_add_f64 v[204:205], v[204:205], -v[212:213]
	v_add_f64 v[206:207], v[206:207], -v[214:215]
	s_waitcnt lgkmcnt(0)
	v_mul_f64 v[212:213], v[234:235], v[2:3]
	v_mul_f64 v[214:215], v[232:233], v[2:3]
	s_delay_alu instid0(VALU_DEP_2) | instskip(NEXT) | instid1(VALU_DEP_2)
	v_fma_f64 v[212:213], v[232:233], v[248:249], -v[212:213]
	v_fma_f64 v[214:215], v[234:235], v[248:249], v[214:215]
	ds_load_2addr_b64 v[232:235], v250 offset0:20 offset1:21
	v_add_f64 v[200:201], v[200:201], -v[212:213]
	v_add_f64 v[202:203], v[202:203], -v[214:215]
	s_waitcnt lgkmcnt(0)
	v_mul_f64 v[212:213], v[234:235], v[2:3]
	v_mul_f64 v[214:215], v[232:233], v[2:3]
	s_delay_alu instid0(VALU_DEP_2) | instskip(NEXT) | instid1(VALU_DEP_2)
	;; [unrolled: 9-line block ×51, first 2 shown]
	v_fma_f64 v[212:213], v[232:233], v[248:249], -v[212:213]
	v_fma_f64 v[214:215], v[234:235], v[248:249], v[214:215]
	s_delay_alu instid0(VALU_DEP_2) | instskip(NEXT) | instid1(VALU_DEP_2)
	v_add_f64 v[228:229], v[228:229], -v[212:213]
	v_add_f64 v[230:231], v[230:231], -v[214:215]
.LBB118_104:
	s_or_b32 exec_lo, exec_lo, s2
	v_lshl_add_u32 v212, v255, 4, v250
	s_waitcnt_vscnt null, 0x0
	s_barrier
	buffer_gl0_inv
	v_mov_b32_e32 v248, 5
	ds_store_2addr_b64 v212, v[4:5], v[6:7] offset1:1
	s_waitcnt lgkmcnt(0)
	s_barrier
	buffer_gl0_inv
	ds_load_2addr_b64 v[240:243], v250 offset0:10 offset1:11
	s_cmp_lt_i32 s12, 7
	s_cbranch_scc1 .LBB118_107
; %bb.105:
	v_add3_u32 v245, v254, 0, 0x60
	v_mov_b32_e32 v248, 5
	s_mov_b32 s6, 6
	s_set_inst_prefetch_distance 0x1
	.p2align	6
.LBB118_106:                            ; =>This Inner Loop Header: Depth=1
	ds_load_2addr_b64 v[232:235], v245 offset1:1
	s_waitcnt lgkmcnt(1)
	v_cmp_gt_f64_e32 vcc_lo, 0, v[240:241]
	v_cmp_gt_f64_e64 s2, 0, v[242:243]
	v_xor_b32_e32 v213, 0x80000000, v241
	v_xor_b32_e32 v215, 0x80000000, v243
	v_add_nc_u32_e32 v245, 16, v245
	s_waitcnt lgkmcnt(0)
	v_cmp_gt_f64_e64 s3, 0, v[232:233]
	v_cmp_gt_f64_e64 s4, 0, v[234:235]
	v_xor_b32_e32 v219, 0x80000000, v233
	v_xor_b32_e32 v220, 0x80000000, v235
	v_mov_b32_e32 v214, v234
	v_mov_b32_e32 v212, v232
	v_cndmask_b32_e32 v216, v241, v213, vcc_lo
	v_cndmask_b32_e64 v218, v243, v215, s2
	v_cndmask_b32_e32 v215, v240, v240, vcc_lo
	v_cndmask_b32_e64 v217, v242, v242, s2
	s_delay_alu instid0(VALU_DEP_1) | instskip(SKIP_2) | instid1(VALU_DEP_1)
	v_add_f64 v[216:217], v[215:216], v[217:218]
	v_cndmask_b32_e64 v213, v233, v219, s3
	v_cndmask_b32_e64 v215, v235, v220, s4
	v_add_f64 v[212:213], v[212:213], v[214:215]
	s_delay_alu instid0(VALU_DEP_1)
	v_cmp_lt_f64_e32 vcc_lo, v[216:217], v[212:213]
	v_cndmask_b32_e32 v243, v243, v235, vcc_lo
	v_dual_cndmask_b32 v241, v241, v233 :: v_dual_cndmask_b32 v240, v240, v232
	v_cndmask_b32_e32 v242, v242, v234, vcc_lo
	v_cndmask_b32_e64 v248, v248, s6, vcc_lo
	s_add_i32 s6, s6, 1
	s_delay_alu instid0(SALU_CYCLE_1)
	s_cmp_lg_u32 s12, s6
	s_cbranch_scc1 .LBB118_106
.LBB118_107:
	s_set_inst_prefetch_distance 0x2
	s_waitcnt lgkmcnt(0)
	v_cmp_eq_f64_e32 vcc_lo, 0, v[240:241]
	v_cmp_eq_f64_e64 s2, 0, v[242:243]
	s_delay_alu instid0(VALU_DEP_1) | instskip(NEXT) | instid1(SALU_CYCLE_1)
	s_and_b32 s2, vcc_lo, s2
	s_and_saveexec_b32 s3, s2
	s_delay_alu instid0(SALU_CYCLE_1)
	s_xor_b32 s2, exec_lo, s3
; %bb.108:
	v_cmp_ne_u32_e32 vcc_lo, 0, v253
	v_cndmask_b32_e32 v253, 6, v253, vcc_lo
; %bb.109:
	s_and_not1_saveexec_b32 s3, s2
	s_cbranch_execz .LBB118_115
; %bb.110:
	v_cmp_gt_f64_e32 vcc_lo, 0, v[240:241]
	v_cmp_gt_f64_e64 s2, 0, v[242:243]
	v_xor_b32_e32 v212, 0x80000000, v241
	v_xor_b32_e32 v214, 0x80000000, v243
	s_delay_alu instid0(VALU_DEP_2) | instskip(NEXT) | instid1(VALU_DEP_2)
	v_cndmask_b32_e32 v213, v241, v212, vcc_lo
	v_cndmask_b32_e64 v215, v243, v214, s2
	v_cndmask_b32_e32 v212, v240, v240, vcc_lo
	v_cndmask_b32_e64 v214, v242, v242, s2
	s_mov_b32 s2, exec_lo
	s_delay_alu instid0(VALU_DEP_1)
	v_cmpx_ngt_f64_e32 v[212:213], v[214:215]
	s_xor_b32 s2, exec_lo, s2
	s_cbranch_execz .LBB118_112
; %bb.111:
	v_div_scale_f64 v[212:213], null, v[242:243], v[242:243], v[240:241]
	v_div_scale_f64 v[218:219], vcc_lo, v[240:241], v[242:243], v[240:241]
	s_delay_alu instid0(VALU_DEP_2) | instskip(SKIP_2) | instid1(VALU_DEP_1)
	v_rcp_f64_e32 v[214:215], v[212:213]
	s_waitcnt_depctr 0xfff
	v_fma_f64 v[216:217], -v[212:213], v[214:215], 1.0
	v_fma_f64 v[214:215], v[214:215], v[216:217], v[214:215]
	s_delay_alu instid0(VALU_DEP_1) | instskip(NEXT) | instid1(VALU_DEP_1)
	v_fma_f64 v[216:217], -v[212:213], v[214:215], 1.0
	v_fma_f64 v[214:215], v[214:215], v[216:217], v[214:215]
	s_delay_alu instid0(VALU_DEP_1) | instskip(NEXT) | instid1(VALU_DEP_1)
	v_mul_f64 v[216:217], v[218:219], v[214:215]
	v_fma_f64 v[212:213], -v[212:213], v[216:217], v[218:219]
	s_delay_alu instid0(VALU_DEP_1) | instskip(NEXT) | instid1(VALU_DEP_1)
	v_div_fmas_f64 v[212:213], v[212:213], v[214:215], v[216:217]
	v_div_fixup_f64 v[212:213], v[212:213], v[242:243], v[240:241]
	s_delay_alu instid0(VALU_DEP_1) | instskip(NEXT) | instid1(VALU_DEP_1)
	v_fma_f64 v[214:215], v[240:241], v[212:213], v[242:243]
	v_div_scale_f64 v[216:217], null, v[214:215], v[214:215], 1.0
	s_delay_alu instid0(VALU_DEP_1) | instskip(SKIP_2) | instid1(VALU_DEP_1)
	v_rcp_f64_e32 v[218:219], v[216:217]
	s_waitcnt_depctr 0xfff
	v_fma_f64 v[220:221], -v[216:217], v[218:219], 1.0
	v_fma_f64 v[218:219], v[218:219], v[220:221], v[218:219]
	s_delay_alu instid0(VALU_DEP_1) | instskip(NEXT) | instid1(VALU_DEP_1)
	v_fma_f64 v[220:221], -v[216:217], v[218:219], 1.0
	v_fma_f64 v[218:219], v[218:219], v[220:221], v[218:219]
	v_div_scale_f64 v[220:221], vcc_lo, 1.0, v[214:215], 1.0
	s_delay_alu instid0(VALU_DEP_1) | instskip(NEXT) | instid1(VALU_DEP_1)
	v_mul_f64 v[222:223], v[220:221], v[218:219]
	v_fma_f64 v[216:217], -v[216:217], v[222:223], v[220:221]
	s_delay_alu instid0(VALU_DEP_1) | instskip(NEXT) | instid1(VALU_DEP_1)
	v_div_fmas_f64 v[216:217], v[216:217], v[218:219], v[222:223]
	v_div_fixup_f64 v[242:243], v[216:217], v[214:215], 1.0
	s_delay_alu instid0(VALU_DEP_1)
	v_mul_f64 v[240:241], v[212:213], v[242:243]
	v_xor_b32_e32 v243, 0x80000000, v243
.LBB118_112:
	s_and_not1_saveexec_b32 s2, s2
	s_cbranch_execz .LBB118_114
; %bb.113:
	s_delay_alu instid0(VALU_DEP_1) | instskip(SKIP_1) | instid1(VALU_DEP_2)
	v_div_scale_f64 v[212:213], null, v[240:241], v[240:241], v[242:243]
	v_div_scale_f64 v[218:219], vcc_lo, v[242:243], v[240:241], v[242:243]
	v_rcp_f64_e32 v[214:215], v[212:213]
	s_waitcnt_depctr 0xfff
	v_fma_f64 v[216:217], -v[212:213], v[214:215], 1.0
	s_delay_alu instid0(VALU_DEP_1) | instskip(NEXT) | instid1(VALU_DEP_1)
	v_fma_f64 v[214:215], v[214:215], v[216:217], v[214:215]
	v_fma_f64 v[216:217], -v[212:213], v[214:215], 1.0
	s_delay_alu instid0(VALU_DEP_1) | instskip(NEXT) | instid1(VALU_DEP_1)
	v_fma_f64 v[214:215], v[214:215], v[216:217], v[214:215]
	v_mul_f64 v[216:217], v[218:219], v[214:215]
	s_delay_alu instid0(VALU_DEP_1) | instskip(NEXT) | instid1(VALU_DEP_1)
	v_fma_f64 v[212:213], -v[212:213], v[216:217], v[218:219]
	v_div_fmas_f64 v[212:213], v[212:213], v[214:215], v[216:217]
	s_delay_alu instid0(VALU_DEP_1) | instskip(NEXT) | instid1(VALU_DEP_1)
	v_div_fixup_f64 v[212:213], v[212:213], v[240:241], v[242:243]
	v_fma_f64 v[214:215], v[242:243], v[212:213], v[240:241]
	s_delay_alu instid0(VALU_DEP_1) | instskip(NEXT) | instid1(VALU_DEP_1)
	v_div_scale_f64 v[216:217], null, v[214:215], v[214:215], 1.0
	v_rcp_f64_e32 v[218:219], v[216:217]
	s_waitcnt_depctr 0xfff
	v_fma_f64 v[220:221], -v[216:217], v[218:219], 1.0
	s_delay_alu instid0(VALU_DEP_1) | instskip(NEXT) | instid1(VALU_DEP_1)
	v_fma_f64 v[218:219], v[218:219], v[220:221], v[218:219]
	v_fma_f64 v[220:221], -v[216:217], v[218:219], 1.0
	s_delay_alu instid0(VALU_DEP_1) | instskip(SKIP_1) | instid1(VALU_DEP_1)
	v_fma_f64 v[218:219], v[218:219], v[220:221], v[218:219]
	v_div_scale_f64 v[220:221], vcc_lo, 1.0, v[214:215], 1.0
	v_mul_f64 v[222:223], v[220:221], v[218:219]
	s_delay_alu instid0(VALU_DEP_1) | instskip(NEXT) | instid1(VALU_DEP_1)
	v_fma_f64 v[216:217], -v[216:217], v[222:223], v[220:221]
	v_div_fmas_f64 v[216:217], v[216:217], v[218:219], v[222:223]
	s_delay_alu instid0(VALU_DEP_1) | instskip(NEXT) | instid1(VALU_DEP_1)
	v_div_fixup_f64 v[240:241], v[216:217], v[214:215], 1.0
	v_mul_f64 v[242:243], v[212:213], -v[240:241]
.LBB118_114:
	s_or_b32 exec_lo, exec_lo, s2
.LBB118_115:
	s_delay_alu instid0(SALU_CYCLE_1) | instskip(NEXT) | instid1(SALU_CYCLE_1)
	s_or_b32 exec_lo, exec_lo, s3
	s_mov_b32 s2, exec_lo
	v_cmpx_ne_u32_e64 v255, v248
	s_xor_b32 s2, exec_lo, s2
	s_cbranch_execz .LBB118_121
; %bb.116:
	s_mov_b32 s3, exec_lo
	v_cmpx_eq_u32_e32 5, v255
	s_cbranch_execz .LBB118_120
; %bb.117:
	v_cmp_ne_u32_e32 vcc_lo, 5, v248
	s_xor_b32 s4, s5, -1
	s_delay_alu instid0(SALU_CYCLE_1) | instskip(NEXT) | instid1(SALU_CYCLE_1)
	s_and_b32 s6, s4, vcc_lo
	s_and_saveexec_b32 s4, s6
	s_cbranch_execz .LBB118_119
; %bb.118:
	scratch_load_b64 v[208:209], off, off offset:16 ; 8-byte Folded Reload
	v_ashrrev_i32_e32 v249, 31, v248
	s_delay_alu instid0(VALU_DEP_1) | instskip(SKIP_1) | instid1(VALU_DEP_1)
	v_lshlrev_b64 v[212:213], 2, v[248:249]
	s_waitcnt vmcnt(0)
	v_add_co_u32 v212, vcc_lo, v208, v212
	s_delay_alu instid0(VALU_DEP_2)
	v_add_co_ci_u32_e32 v213, vcc_lo, v209, v213, vcc_lo
	s_clause 0x1
	flat_load_b32 v214, v[212:213]
	flat_load_b32 v215, v[208:209] offset:20
	s_waitcnt vmcnt(1) lgkmcnt(1)
	flat_store_b32 v[208:209], v214 offset:20
	s_waitcnt vmcnt(0) lgkmcnt(1)
	flat_store_b32 v[212:213], v215
.LBB118_119:
	s_or_b32 exec_lo, exec_lo, s4
	v_mov_b32_e32 v255, v248
	v_mov_b32_e32 v244, v248
.LBB118_120:
	s_or_b32 exec_lo, exec_lo, s3
.LBB118_121:
	s_and_not1_saveexec_b32 s2, s2
	s_cbranch_execz .LBB118_123
; %bb.122:
	scratch_load_b128 v[208:211], off, off  ; 16-byte Folded Reload
	v_mov_b32_e32 v255, 5
	ds_store_2addr_b64 v250, v[8:9], v[10:11] offset0:12 offset1:13
	s_waitcnt vmcnt(0)
	ds_store_2addr_b64 v250, v[208:209], v[210:211] offset0:14 offset1:15
	ds_store_2addr_b64 v250, v[204:205], v[206:207] offset0:16 offset1:17
	;; [unrolled: 1-line block ×53, first 2 shown]
.LBB118_123:
	s_or_b32 exec_lo, exec_lo, s2
	s_delay_alu instid0(SALU_CYCLE_1)
	s_mov_b32 s2, exec_lo
	s_waitcnt lgkmcnt(0)
	s_waitcnt_vscnt null, 0x0
	s_barrier
	buffer_gl0_inv
	v_cmpx_lt_i32_e32 5, v255
	s_cbranch_execz .LBB118_125
; %bb.124:
	scratch_load_b128 v[208:211], off, off  ; 16-byte Folded Reload
	v_mul_f64 v[212:213], v[242:243], v[6:7]
	ds_load_2addr_b64 v[232:235], v250 offset0:12 offset1:13
	v_fma_f64 v[248:249], v[240:241], v[4:5], -v[212:213]
	v_mul_f64 v[212:213], v[240:241], v[6:7]
	s_delay_alu instid0(VALU_DEP_1) | instskip(NEXT) | instid1(VALU_DEP_3)
	v_fma_f64 v[6:7], v[242:243], v[4:5], v[212:213]
	v_dual_mov_b32 v4, v248 :: v_dual_mov_b32 v5, v249
	s_waitcnt lgkmcnt(0)
	s_delay_alu instid0(VALU_DEP_2) | instskip(SKIP_1) | instid1(VALU_DEP_2)
	v_mul_f64 v[212:213], v[234:235], v[6:7]
	v_mul_f64 v[214:215], v[232:233], v[6:7]
	v_fma_f64 v[212:213], v[232:233], v[248:249], -v[212:213]
	s_delay_alu instid0(VALU_DEP_2)
	v_fma_f64 v[214:215], v[234:235], v[248:249], v[214:215]
	ds_load_2addr_b64 v[232:235], v250 offset0:14 offset1:15
	v_add_f64 v[8:9], v[8:9], -v[212:213]
	v_add_f64 v[10:11], v[10:11], -v[214:215]
	s_waitcnt lgkmcnt(0)
	v_mul_f64 v[212:213], v[234:235], v[6:7]
	v_mul_f64 v[214:215], v[232:233], v[6:7]
	s_delay_alu instid0(VALU_DEP_2) | instskip(NEXT) | instid1(VALU_DEP_2)
	v_fma_f64 v[212:213], v[232:233], v[248:249], -v[212:213]
	v_fma_f64 v[214:215], v[234:235], v[248:249], v[214:215]
	ds_load_2addr_b64 v[232:235], v250 offset0:16 offset1:17
	s_waitcnt vmcnt(0)
	v_add_f64 v[208:209], v[208:209], -v[212:213]
	v_add_f64 v[210:211], v[210:211], -v[214:215]
	s_waitcnt lgkmcnt(0)
	v_mul_f64 v[212:213], v[234:235], v[6:7]
	v_mul_f64 v[214:215], v[232:233], v[6:7]
	scratch_store_b128 off, v[208:211], off ; 16-byte Folded Spill
	v_fma_f64 v[212:213], v[232:233], v[248:249], -v[212:213]
	v_fma_f64 v[214:215], v[234:235], v[248:249], v[214:215]
	ds_load_2addr_b64 v[232:235], v250 offset0:18 offset1:19
	v_add_f64 v[204:205], v[204:205], -v[212:213]
	v_add_f64 v[206:207], v[206:207], -v[214:215]
	s_waitcnt lgkmcnt(0)
	v_mul_f64 v[212:213], v[234:235], v[6:7]
	v_mul_f64 v[214:215], v[232:233], v[6:7]
	s_delay_alu instid0(VALU_DEP_2) | instskip(NEXT) | instid1(VALU_DEP_2)
	v_fma_f64 v[212:213], v[232:233], v[248:249], -v[212:213]
	v_fma_f64 v[214:215], v[234:235], v[248:249], v[214:215]
	ds_load_2addr_b64 v[232:235], v250 offset0:20 offset1:21
	v_add_f64 v[200:201], v[200:201], -v[212:213]
	v_add_f64 v[202:203], v[202:203], -v[214:215]
	s_waitcnt lgkmcnt(0)
	v_mul_f64 v[212:213], v[234:235], v[6:7]
	v_mul_f64 v[214:215], v[232:233], v[6:7]
	s_delay_alu instid0(VALU_DEP_2) | instskip(NEXT) | instid1(VALU_DEP_2)
	v_fma_f64 v[212:213], v[232:233], v[248:249], -v[212:213]
	v_fma_f64 v[214:215], v[234:235], v[248:249], v[214:215]
	ds_load_2addr_b64 v[232:235], v250 offset0:22 offset1:23
	v_add_f64 v[196:197], v[196:197], -v[212:213]
	v_add_f64 v[198:199], v[198:199], -v[214:215]
	s_waitcnt lgkmcnt(0)
	v_mul_f64 v[212:213], v[234:235], v[6:7]
	v_mul_f64 v[214:215], v[232:233], v[6:7]
	s_delay_alu instid0(VALU_DEP_2) | instskip(NEXT) | instid1(VALU_DEP_2)
	v_fma_f64 v[212:213], v[232:233], v[248:249], -v[212:213]
	v_fma_f64 v[214:215], v[234:235], v[248:249], v[214:215]
	ds_load_2addr_b64 v[232:235], v250 offset0:24 offset1:25
	v_add_f64 v[192:193], v[192:193], -v[212:213]
	v_add_f64 v[194:195], v[194:195], -v[214:215]
	s_waitcnt lgkmcnt(0)
	v_mul_f64 v[212:213], v[234:235], v[6:7]
	v_mul_f64 v[214:215], v[232:233], v[6:7]
	s_delay_alu instid0(VALU_DEP_2) | instskip(NEXT) | instid1(VALU_DEP_2)
	v_fma_f64 v[212:213], v[232:233], v[248:249], -v[212:213]
	v_fma_f64 v[214:215], v[234:235], v[248:249], v[214:215]
	ds_load_2addr_b64 v[232:235], v250 offset0:26 offset1:27
	v_add_f64 v[188:189], v[188:189], -v[212:213]
	v_add_f64 v[190:191], v[190:191], -v[214:215]
	s_waitcnt lgkmcnt(0)
	v_mul_f64 v[212:213], v[234:235], v[6:7]
	v_mul_f64 v[214:215], v[232:233], v[6:7]
	s_delay_alu instid0(VALU_DEP_2) | instskip(NEXT) | instid1(VALU_DEP_2)
	v_fma_f64 v[212:213], v[232:233], v[248:249], -v[212:213]
	v_fma_f64 v[214:215], v[234:235], v[248:249], v[214:215]
	ds_load_2addr_b64 v[232:235], v250 offset0:28 offset1:29
	v_add_f64 v[184:185], v[184:185], -v[212:213]
	v_add_f64 v[186:187], v[186:187], -v[214:215]
	s_waitcnt lgkmcnt(0)
	v_mul_f64 v[212:213], v[234:235], v[6:7]
	v_mul_f64 v[214:215], v[232:233], v[6:7]
	s_delay_alu instid0(VALU_DEP_2) | instskip(NEXT) | instid1(VALU_DEP_2)
	v_fma_f64 v[212:213], v[232:233], v[248:249], -v[212:213]
	v_fma_f64 v[214:215], v[234:235], v[248:249], v[214:215]
	ds_load_2addr_b64 v[232:235], v250 offset0:30 offset1:31
	v_add_f64 v[180:181], v[180:181], -v[212:213]
	v_add_f64 v[182:183], v[182:183], -v[214:215]
	s_waitcnt lgkmcnt(0)
	v_mul_f64 v[212:213], v[234:235], v[6:7]
	v_mul_f64 v[214:215], v[232:233], v[6:7]
	s_delay_alu instid0(VALU_DEP_2) | instskip(NEXT) | instid1(VALU_DEP_2)
	v_fma_f64 v[212:213], v[232:233], v[248:249], -v[212:213]
	v_fma_f64 v[214:215], v[234:235], v[248:249], v[214:215]
	ds_load_2addr_b64 v[232:235], v250 offset0:32 offset1:33
	v_add_f64 v[176:177], v[176:177], -v[212:213]
	v_add_f64 v[178:179], v[178:179], -v[214:215]
	s_waitcnt lgkmcnt(0)
	v_mul_f64 v[212:213], v[234:235], v[6:7]
	v_mul_f64 v[214:215], v[232:233], v[6:7]
	s_delay_alu instid0(VALU_DEP_2) | instskip(NEXT) | instid1(VALU_DEP_2)
	v_fma_f64 v[212:213], v[232:233], v[248:249], -v[212:213]
	v_fma_f64 v[214:215], v[234:235], v[248:249], v[214:215]
	ds_load_2addr_b64 v[232:235], v250 offset0:34 offset1:35
	v_add_f64 v[172:173], v[172:173], -v[212:213]
	v_add_f64 v[174:175], v[174:175], -v[214:215]
	s_waitcnt lgkmcnt(0)
	v_mul_f64 v[212:213], v[234:235], v[6:7]
	v_mul_f64 v[214:215], v[232:233], v[6:7]
	s_delay_alu instid0(VALU_DEP_2) | instskip(NEXT) | instid1(VALU_DEP_2)
	v_fma_f64 v[212:213], v[232:233], v[248:249], -v[212:213]
	v_fma_f64 v[214:215], v[234:235], v[248:249], v[214:215]
	ds_load_2addr_b64 v[232:235], v250 offset0:36 offset1:37
	v_add_f64 v[168:169], v[168:169], -v[212:213]
	v_add_f64 v[170:171], v[170:171], -v[214:215]
	s_waitcnt lgkmcnt(0)
	v_mul_f64 v[212:213], v[234:235], v[6:7]
	v_mul_f64 v[214:215], v[232:233], v[6:7]
	s_delay_alu instid0(VALU_DEP_2) | instskip(NEXT) | instid1(VALU_DEP_2)
	v_fma_f64 v[212:213], v[232:233], v[248:249], -v[212:213]
	v_fma_f64 v[214:215], v[234:235], v[248:249], v[214:215]
	ds_load_2addr_b64 v[232:235], v250 offset0:38 offset1:39
	v_add_f64 v[164:165], v[164:165], -v[212:213]
	v_add_f64 v[166:167], v[166:167], -v[214:215]
	s_waitcnt lgkmcnt(0)
	v_mul_f64 v[212:213], v[234:235], v[6:7]
	v_mul_f64 v[214:215], v[232:233], v[6:7]
	s_delay_alu instid0(VALU_DEP_2) | instskip(NEXT) | instid1(VALU_DEP_2)
	v_fma_f64 v[212:213], v[232:233], v[248:249], -v[212:213]
	v_fma_f64 v[214:215], v[234:235], v[248:249], v[214:215]
	ds_load_2addr_b64 v[232:235], v250 offset0:40 offset1:41
	v_add_f64 v[160:161], v[160:161], -v[212:213]
	v_add_f64 v[162:163], v[162:163], -v[214:215]
	s_waitcnt lgkmcnt(0)
	v_mul_f64 v[212:213], v[234:235], v[6:7]
	v_mul_f64 v[214:215], v[232:233], v[6:7]
	s_delay_alu instid0(VALU_DEP_2) | instskip(NEXT) | instid1(VALU_DEP_2)
	v_fma_f64 v[212:213], v[232:233], v[248:249], -v[212:213]
	v_fma_f64 v[214:215], v[234:235], v[248:249], v[214:215]
	ds_load_2addr_b64 v[232:235], v250 offset0:42 offset1:43
	v_add_f64 v[156:157], v[156:157], -v[212:213]
	v_add_f64 v[158:159], v[158:159], -v[214:215]
	s_waitcnt lgkmcnt(0)
	v_mul_f64 v[212:213], v[234:235], v[6:7]
	v_mul_f64 v[214:215], v[232:233], v[6:7]
	s_delay_alu instid0(VALU_DEP_2) | instskip(NEXT) | instid1(VALU_DEP_2)
	v_fma_f64 v[212:213], v[232:233], v[248:249], -v[212:213]
	v_fma_f64 v[214:215], v[234:235], v[248:249], v[214:215]
	ds_load_2addr_b64 v[232:235], v250 offset0:44 offset1:45
	v_add_f64 v[152:153], v[152:153], -v[212:213]
	v_add_f64 v[154:155], v[154:155], -v[214:215]
	s_waitcnt lgkmcnt(0)
	v_mul_f64 v[212:213], v[234:235], v[6:7]
	v_mul_f64 v[214:215], v[232:233], v[6:7]
	s_delay_alu instid0(VALU_DEP_2) | instskip(NEXT) | instid1(VALU_DEP_2)
	v_fma_f64 v[212:213], v[232:233], v[248:249], -v[212:213]
	v_fma_f64 v[214:215], v[234:235], v[248:249], v[214:215]
	ds_load_2addr_b64 v[232:235], v250 offset0:46 offset1:47
	v_add_f64 v[148:149], v[148:149], -v[212:213]
	v_add_f64 v[150:151], v[150:151], -v[214:215]
	s_waitcnt lgkmcnt(0)
	v_mul_f64 v[212:213], v[234:235], v[6:7]
	v_mul_f64 v[214:215], v[232:233], v[6:7]
	s_delay_alu instid0(VALU_DEP_2) | instskip(NEXT) | instid1(VALU_DEP_2)
	v_fma_f64 v[212:213], v[232:233], v[248:249], -v[212:213]
	v_fma_f64 v[214:215], v[234:235], v[248:249], v[214:215]
	ds_load_2addr_b64 v[232:235], v250 offset0:48 offset1:49
	v_add_f64 v[144:145], v[144:145], -v[212:213]
	v_add_f64 v[146:147], v[146:147], -v[214:215]
	s_waitcnt lgkmcnt(0)
	v_mul_f64 v[212:213], v[234:235], v[6:7]
	v_mul_f64 v[214:215], v[232:233], v[6:7]
	s_delay_alu instid0(VALU_DEP_2) | instskip(NEXT) | instid1(VALU_DEP_2)
	v_fma_f64 v[212:213], v[232:233], v[248:249], -v[212:213]
	v_fma_f64 v[214:215], v[234:235], v[248:249], v[214:215]
	ds_load_2addr_b64 v[232:235], v250 offset0:50 offset1:51
	v_add_f64 v[140:141], v[140:141], -v[212:213]
	v_add_f64 v[142:143], v[142:143], -v[214:215]
	s_waitcnt lgkmcnt(0)
	v_mul_f64 v[212:213], v[234:235], v[6:7]
	v_mul_f64 v[214:215], v[232:233], v[6:7]
	s_delay_alu instid0(VALU_DEP_2) | instskip(NEXT) | instid1(VALU_DEP_2)
	v_fma_f64 v[212:213], v[232:233], v[248:249], -v[212:213]
	v_fma_f64 v[214:215], v[234:235], v[248:249], v[214:215]
	ds_load_2addr_b64 v[232:235], v250 offset0:52 offset1:53
	v_add_f64 v[136:137], v[136:137], -v[212:213]
	v_add_f64 v[138:139], v[138:139], -v[214:215]
	s_waitcnt lgkmcnt(0)
	v_mul_f64 v[212:213], v[234:235], v[6:7]
	v_mul_f64 v[214:215], v[232:233], v[6:7]
	s_delay_alu instid0(VALU_DEP_2) | instskip(NEXT) | instid1(VALU_DEP_2)
	v_fma_f64 v[212:213], v[232:233], v[248:249], -v[212:213]
	v_fma_f64 v[214:215], v[234:235], v[248:249], v[214:215]
	ds_load_2addr_b64 v[232:235], v250 offset0:54 offset1:55
	v_add_f64 v[132:133], v[132:133], -v[212:213]
	v_add_f64 v[134:135], v[134:135], -v[214:215]
	s_waitcnt lgkmcnt(0)
	v_mul_f64 v[212:213], v[234:235], v[6:7]
	v_mul_f64 v[214:215], v[232:233], v[6:7]
	s_delay_alu instid0(VALU_DEP_2) | instskip(NEXT) | instid1(VALU_DEP_2)
	v_fma_f64 v[212:213], v[232:233], v[248:249], -v[212:213]
	v_fma_f64 v[214:215], v[234:235], v[248:249], v[214:215]
	ds_load_2addr_b64 v[232:235], v250 offset0:56 offset1:57
	v_add_f64 v[128:129], v[128:129], -v[212:213]
	v_add_f64 v[130:131], v[130:131], -v[214:215]
	s_waitcnt lgkmcnt(0)
	v_mul_f64 v[212:213], v[234:235], v[6:7]
	v_mul_f64 v[214:215], v[232:233], v[6:7]
	s_delay_alu instid0(VALU_DEP_2) | instskip(NEXT) | instid1(VALU_DEP_2)
	v_fma_f64 v[212:213], v[232:233], v[248:249], -v[212:213]
	v_fma_f64 v[214:215], v[234:235], v[248:249], v[214:215]
	ds_load_2addr_b64 v[232:235], v250 offset0:58 offset1:59
	v_add_f64 v[124:125], v[124:125], -v[212:213]
	v_add_f64 v[126:127], v[126:127], -v[214:215]
	s_waitcnt lgkmcnt(0)
	v_mul_f64 v[212:213], v[234:235], v[6:7]
	v_mul_f64 v[214:215], v[232:233], v[6:7]
	s_delay_alu instid0(VALU_DEP_2) | instskip(NEXT) | instid1(VALU_DEP_2)
	v_fma_f64 v[212:213], v[232:233], v[248:249], -v[212:213]
	v_fma_f64 v[214:215], v[234:235], v[248:249], v[214:215]
	ds_load_2addr_b64 v[232:235], v250 offset0:60 offset1:61
	v_add_f64 v[120:121], v[120:121], -v[212:213]
	v_add_f64 v[122:123], v[122:123], -v[214:215]
	s_waitcnt lgkmcnt(0)
	v_mul_f64 v[212:213], v[234:235], v[6:7]
	v_mul_f64 v[214:215], v[232:233], v[6:7]
	s_delay_alu instid0(VALU_DEP_2) | instskip(NEXT) | instid1(VALU_DEP_2)
	v_fma_f64 v[212:213], v[232:233], v[248:249], -v[212:213]
	v_fma_f64 v[214:215], v[234:235], v[248:249], v[214:215]
	ds_load_2addr_b64 v[232:235], v250 offset0:62 offset1:63
	v_add_f64 v[116:117], v[116:117], -v[212:213]
	v_add_f64 v[118:119], v[118:119], -v[214:215]
	s_waitcnt lgkmcnt(0)
	v_mul_f64 v[212:213], v[234:235], v[6:7]
	v_mul_f64 v[214:215], v[232:233], v[6:7]
	s_delay_alu instid0(VALU_DEP_2) | instskip(NEXT) | instid1(VALU_DEP_2)
	v_fma_f64 v[212:213], v[232:233], v[248:249], -v[212:213]
	v_fma_f64 v[214:215], v[234:235], v[248:249], v[214:215]
	ds_load_2addr_b64 v[232:235], v250 offset0:64 offset1:65
	v_add_f64 v[112:113], v[112:113], -v[212:213]
	v_add_f64 v[114:115], v[114:115], -v[214:215]
	s_waitcnt lgkmcnt(0)
	v_mul_f64 v[212:213], v[234:235], v[6:7]
	v_mul_f64 v[214:215], v[232:233], v[6:7]
	s_delay_alu instid0(VALU_DEP_2) | instskip(NEXT) | instid1(VALU_DEP_2)
	v_fma_f64 v[212:213], v[232:233], v[248:249], -v[212:213]
	v_fma_f64 v[214:215], v[234:235], v[248:249], v[214:215]
	ds_load_2addr_b64 v[232:235], v250 offset0:66 offset1:67
	v_add_f64 v[108:109], v[108:109], -v[212:213]
	v_add_f64 v[110:111], v[110:111], -v[214:215]
	s_waitcnt lgkmcnt(0)
	v_mul_f64 v[212:213], v[234:235], v[6:7]
	v_mul_f64 v[214:215], v[232:233], v[6:7]
	s_delay_alu instid0(VALU_DEP_2) | instskip(NEXT) | instid1(VALU_DEP_2)
	v_fma_f64 v[212:213], v[232:233], v[248:249], -v[212:213]
	v_fma_f64 v[214:215], v[234:235], v[248:249], v[214:215]
	ds_load_2addr_b64 v[232:235], v250 offset0:68 offset1:69
	v_add_f64 v[104:105], v[104:105], -v[212:213]
	v_add_f64 v[106:107], v[106:107], -v[214:215]
	s_waitcnt lgkmcnt(0)
	v_mul_f64 v[212:213], v[234:235], v[6:7]
	v_mul_f64 v[214:215], v[232:233], v[6:7]
	s_delay_alu instid0(VALU_DEP_2) | instskip(NEXT) | instid1(VALU_DEP_2)
	v_fma_f64 v[212:213], v[232:233], v[248:249], -v[212:213]
	v_fma_f64 v[214:215], v[234:235], v[248:249], v[214:215]
	ds_load_2addr_b64 v[232:235], v250 offset0:70 offset1:71
	v_add_f64 v[100:101], v[100:101], -v[212:213]
	v_add_f64 v[102:103], v[102:103], -v[214:215]
	s_waitcnt lgkmcnt(0)
	v_mul_f64 v[212:213], v[234:235], v[6:7]
	v_mul_f64 v[214:215], v[232:233], v[6:7]
	s_delay_alu instid0(VALU_DEP_2) | instskip(NEXT) | instid1(VALU_DEP_2)
	v_fma_f64 v[212:213], v[232:233], v[248:249], -v[212:213]
	v_fma_f64 v[214:215], v[234:235], v[248:249], v[214:215]
	ds_load_2addr_b64 v[232:235], v250 offset0:72 offset1:73
	v_add_f64 v[96:97], v[96:97], -v[212:213]
	v_add_f64 v[98:99], v[98:99], -v[214:215]
	s_waitcnt lgkmcnt(0)
	v_mul_f64 v[212:213], v[234:235], v[6:7]
	v_mul_f64 v[214:215], v[232:233], v[6:7]
	s_delay_alu instid0(VALU_DEP_2) | instskip(NEXT) | instid1(VALU_DEP_2)
	v_fma_f64 v[212:213], v[232:233], v[248:249], -v[212:213]
	v_fma_f64 v[214:215], v[234:235], v[248:249], v[214:215]
	ds_load_2addr_b64 v[232:235], v250 offset0:74 offset1:75
	v_add_f64 v[92:93], v[92:93], -v[212:213]
	v_add_f64 v[94:95], v[94:95], -v[214:215]
	s_waitcnt lgkmcnt(0)
	v_mul_f64 v[212:213], v[234:235], v[6:7]
	v_mul_f64 v[214:215], v[232:233], v[6:7]
	s_delay_alu instid0(VALU_DEP_2) | instskip(NEXT) | instid1(VALU_DEP_2)
	v_fma_f64 v[212:213], v[232:233], v[248:249], -v[212:213]
	v_fma_f64 v[214:215], v[234:235], v[248:249], v[214:215]
	ds_load_2addr_b64 v[232:235], v250 offset0:76 offset1:77
	v_add_f64 v[88:89], v[88:89], -v[212:213]
	v_add_f64 v[90:91], v[90:91], -v[214:215]
	s_waitcnt lgkmcnt(0)
	v_mul_f64 v[212:213], v[234:235], v[6:7]
	v_mul_f64 v[214:215], v[232:233], v[6:7]
	s_delay_alu instid0(VALU_DEP_2) | instskip(NEXT) | instid1(VALU_DEP_2)
	v_fma_f64 v[212:213], v[232:233], v[248:249], -v[212:213]
	v_fma_f64 v[214:215], v[234:235], v[248:249], v[214:215]
	ds_load_2addr_b64 v[232:235], v250 offset0:78 offset1:79
	v_add_f64 v[84:85], v[84:85], -v[212:213]
	v_add_f64 v[86:87], v[86:87], -v[214:215]
	s_waitcnt lgkmcnt(0)
	v_mul_f64 v[212:213], v[234:235], v[6:7]
	v_mul_f64 v[214:215], v[232:233], v[6:7]
	s_delay_alu instid0(VALU_DEP_2) | instskip(NEXT) | instid1(VALU_DEP_2)
	v_fma_f64 v[212:213], v[232:233], v[248:249], -v[212:213]
	v_fma_f64 v[214:215], v[234:235], v[248:249], v[214:215]
	ds_load_2addr_b64 v[232:235], v250 offset0:80 offset1:81
	v_add_f64 v[80:81], v[80:81], -v[212:213]
	v_add_f64 v[82:83], v[82:83], -v[214:215]
	s_waitcnt lgkmcnt(0)
	v_mul_f64 v[212:213], v[234:235], v[6:7]
	v_mul_f64 v[214:215], v[232:233], v[6:7]
	s_delay_alu instid0(VALU_DEP_2) | instskip(NEXT) | instid1(VALU_DEP_2)
	v_fma_f64 v[212:213], v[232:233], v[248:249], -v[212:213]
	v_fma_f64 v[214:215], v[234:235], v[248:249], v[214:215]
	ds_load_2addr_b64 v[232:235], v250 offset0:82 offset1:83
	v_add_f64 v[76:77], v[76:77], -v[212:213]
	v_add_f64 v[78:79], v[78:79], -v[214:215]
	s_waitcnt lgkmcnt(0)
	v_mul_f64 v[212:213], v[234:235], v[6:7]
	v_mul_f64 v[214:215], v[232:233], v[6:7]
	s_delay_alu instid0(VALU_DEP_2) | instskip(NEXT) | instid1(VALU_DEP_2)
	v_fma_f64 v[212:213], v[232:233], v[248:249], -v[212:213]
	v_fma_f64 v[214:215], v[234:235], v[248:249], v[214:215]
	ds_load_2addr_b64 v[232:235], v250 offset0:84 offset1:85
	v_add_f64 v[72:73], v[72:73], -v[212:213]
	v_add_f64 v[74:75], v[74:75], -v[214:215]
	s_waitcnt lgkmcnt(0)
	v_mul_f64 v[212:213], v[234:235], v[6:7]
	v_mul_f64 v[214:215], v[232:233], v[6:7]
	s_delay_alu instid0(VALU_DEP_2) | instskip(NEXT) | instid1(VALU_DEP_2)
	v_fma_f64 v[212:213], v[232:233], v[248:249], -v[212:213]
	v_fma_f64 v[214:215], v[234:235], v[248:249], v[214:215]
	ds_load_2addr_b64 v[232:235], v250 offset0:86 offset1:87
	v_add_f64 v[68:69], v[68:69], -v[212:213]
	v_add_f64 v[70:71], v[70:71], -v[214:215]
	s_waitcnt lgkmcnt(0)
	v_mul_f64 v[212:213], v[234:235], v[6:7]
	v_mul_f64 v[214:215], v[232:233], v[6:7]
	s_delay_alu instid0(VALU_DEP_2) | instskip(NEXT) | instid1(VALU_DEP_2)
	v_fma_f64 v[212:213], v[232:233], v[248:249], -v[212:213]
	v_fma_f64 v[214:215], v[234:235], v[248:249], v[214:215]
	ds_load_2addr_b64 v[232:235], v250 offset0:88 offset1:89
	v_add_f64 v[64:65], v[64:65], -v[212:213]
	v_add_f64 v[66:67], v[66:67], -v[214:215]
	s_waitcnt lgkmcnt(0)
	v_mul_f64 v[212:213], v[234:235], v[6:7]
	v_mul_f64 v[214:215], v[232:233], v[6:7]
	s_delay_alu instid0(VALU_DEP_2) | instskip(NEXT) | instid1(VALU_DEP_2)
	v_fma_f64 v[212:213], v[232:233], v[248:249], -v[212:213]
	v_fma_f64 v[214:215], v[234:235], v[248:249], v[214:215]
	ds_load_2addr_b64 v[232:235], v250 offset0:90 offset1:91
	v_add_f64 v[60:61], v[60:61], -v[212:213]
	v_add_f64 v[62:63], v[62:63], -v[214:215]
	s_waitcnt lgkmcnt(0)
	v_mul_f64 v[212:213], v[234:235], v[6:7]
	v_mul_f64 v[214:215], v[232:233], v[6:7]
	s_delay_alu instid0(VALU_DEP_2) | instskip(NEXT) | instid1(VALU_DEP_2)
	v_fma_f64 v[212:213], v[232:233], v[248:249], -v[212:213]
	v_fma_f64 v[214:215], v[234:235], v[248:249], v[214:215]
	ds_load_2addr_b64 v[232:235], v250 offset0:92 offset1:93
	v_add_f64 v[56:57], v[56:57], -v[212:213]
	v_add_f64 v[58:59], v[58:59], -v[214:215]
	s_waitcnt lgkmcnt(0)
	v_mul_f64 v[212:213], v[234:235], v[6:7]
	v_mul_f64 v[214:215], v[232:233], v[6:7]
	s_delay_alu instid0(VALU_DEP_2) | instskip(NEXT) | instid1(VALU_DEP_2)
	v_fma_f64 v[212:213], v[232:233], v[248:249], -v[212:213]
	v_fma_f64 v[214:215], v[234:235], v[248:249], v[214:215]
	ds_load_2addr_b64 v[232:235], v250 offset0:94 offset1:95
	v_add_f64 v[52:53], v[52:53], -v[212:213]
	v_add_f64 v[54:55], v[54:55], -v[214:215]
	s_waitcnt lgkmcnt(0)
	v_mul_f64 v[212:213], v[234:235], v[6:7]
	v_mul_f64 v[214:215], v[232:233], v[6:7]
	s_delay_alu instid0(VALU_DEP_2) | instskip(NEXT) | instid1(VALU_DEP_2)
	v_fma_f64 v[212:213], v[232:233], v[248:249], -v[212:213]
	v_fma_f64 v[214:215], v[234:235], v[248:249], v[214:215]
	ds_load_2addr_b64 v[232:235], v250 offset0:96 offset1:97
	v_add_f64 v[48:49], v[48:49], -v[212:213]
	v_add_f64 v[50:51], v[50:51], -v[214:215]
	s_waitcnt lgkmcnt(0)
	v_mul_f64 v[212:213], v[234:235], v[6:7]
	v_mul_f64 v[214:215], v[232:233], v[6:7]
	s_delay_alu instid0(VALU_DEP_2) | instskip(NEXT) | instid1(VALU_DEP_2)
	v_fma_f64 v[212:213], v[232:233], v[248:249], -v[212:213]
	v_fma_f64 v[214:215], v[234:235], v[248:249], v[214:215]
	ds_load_2addr_b64 v[232:235], v250 offset0:98 offset1:99
	v_add_f64 v[44:45], v[44:45], -v[212:213]
	v_add_f64 v[46:47], v[46:47], -v[214:215]
	s_waitcnt lgkmcnt(0)
	v_mul_f64 v[212:213], v[234:235], v[6:7]
	v_mul_f64 v[214:215], v[232:233], v[6:7]
	s_delay_alu instid0(VALU_DEP_2) | instskip(NEXT) | instid1(VALU_DEP_2)
	v_fma_f64 v[212:213], v[232:233], v[248:249], -v[212:213]
	v_fma_f64 v[214:215], v[234:235], v[248:249], v[214:215]
	ds_load_2addr_b64 v[232:235], v250 offset0:100 offset1:101
	v_add_f64 v[40:41], v[40:41], -v[212:213]
	v_add_f64 v[42:43], v[42:43], -v[214:215]
	s_waitcnt lgkmcnt(0)
	v_mul_f64 v[212:213], v[234:235], v[6:7]
	v_mul_f64 v[214:215], v[232:233], v[6:7]
	s_delay_alu instid0(VALU_DEP_2) | instskip(NEXT) | instid1(VALU_DEP_2)
	v_fma_f64 v[212:213], v[232:233], v[248:249], -v[212:213]
	v_fma_f64 v[214:215], v[234:235], v[248:249], v[214:215]
	ds_load_2addr_b64 v[232:235], v250 offset0:102 offset1:103
	v_add_f64 v[36:37], v[36:37], -v[212:213]
	v_add_f64 v[38:39], v[38:39], -v[214:215]
	s_waitcnt lgkmcnt(0)
	v_mul_f64 v[212:213], v[234:235], v[6:7]
	v_mul_f64 v[214:215], v[232:233], v[6:7]
	s_delay_alu instid0(VALU_DEP_2) | instskip(NEXT) | instid1(VALU_DEP_2)
	v_fma_f64 v[212:213], v[232:233], v[248:249], -v[212:213]
	v_fma_f64 v[214:215], v[234:235], v[248:249], v[214:215]
	ds_load_2addr_b64 v[232:235], v250 offset0:104 offset1:105
	v_add_f64 v[32:33], v[32:33], -v[212:213]
	v_add_f64 v[34:35], v[34:35], -v[214:215]
	s_waitcnt lgkmcnt(0)
	v_mul_f64 v[212:213], v[234:235], v[6:7]
	v_mul_f64 v[214:215], v[232:233], v[6:7]
	s_delay_alu instid0(VALU_DEP_2) | instskip(NEXT) | instid1(VALU_DEP_2)
	v_fma_f64 v[212:213], v[232:233], v[248:249], -v[212:213]
	v_fma_f64 v[214:215], v[234:235], v[248:249], v[214:215]
	ds_load_2addr_b64 v[232:235], v250 offset0:106 offset1:107
	v_add_f64 v[28:29], v[28:29], -v[212:213]
	v_add_f64 v[30:31], v[30:31], -v[214:215]
	s_waitcnt lgkmcnt(0)
	v_mul_f64 v[212:213], v[234:235], v[6:7]
	v_mul_f64 v[214:215], v[232:233], v[6:7]
	s_delay_alu instid0(VALU_DEP_2) | instskip(NEXT) | instid1(VALU_DEP_2)
	v_fma_f64 v[212:213], v[232:233], v[248:249], -v[212:213]
	v_fma_f64 v[214:215], v[234:235], v[248:249], v[214:215]
	ds_load_2addr_b64 v[232:235], v250 offset0:108 offset1:109
	v_add_f64 v[24:25], v[24:25], -v[212:213]
	v_add_f64 v[26:27], v[26:27], -v[214:215]
	s_waitcnt lgkmcnt(0)
	v_mul_f64 v[212:213], v[234:235], v[6:7]
	v_mul_f64 v[214:215], v[232:233], v[6:7]
	s_delay_alu instid0(VALU_DEP_2) | instskip(NEXT) | instid1(VALU_DEP_2)
	v_fma_f64 v[212:213], v[232:233], v[248:249], -v[212:213]
	v_fma_f64 v[214:215], v[234:235], v[248:249], v[214:215]
	ds_load_2addr_b64 v[232:235], v250 offset0:110 offset1:111
	v_add_f64 v[20:21], v[20:21], -v[212:213]
	v_add_f64 v[22:23], v[22:23], -v[214:215]
	s_waitcnt lgkmcnt(0)
	v_mul_f64 v[212:213], v[234:235], v[6:7]
	v_mul_f64 v[214:215], v[232:233], v[6:7]
	s_delay_alu instid0(VALU_DEP_2) | instskip(NEXT) | instid1(VALU_DEP_2)
	v_fma_f64 v[212:213], v[232:233], v[248:249], -v[212:213]
	v_fma_f64 v[214:215], v[234:235], v[248:249], v[214:215]
	ds_load_2addr_b64 v[232:235], v250 offset0:112 offset1:113
	v_add_f64 v[16:17], v[16:17], -v[212:213]
	v_add_f64 v[18:19], v[18:19], -v[214:215]
	s_waitcnt lgkmcnt(0)
	v_mul_f64 v[212:213], v[234:235], v[6:7]
	v_mul_f64 v[214:215], v[232:233], v[6:7]
	s_delay_alu instid0(VALU_DEP_2) | instskip(NEXT) | instid1(VALU_DEP_2)
	v_fma_f64 v[212:213], v[232:233], v[248:249], -v[212:213]
	v_fma_f64 v[214:215], v[234:235], v[248:249], v[214:215]
	ds_load_2addr_b64 v[232:235], v250 offset0:114 offset1:115
	v_add_f64 v[12:13], v[12:13], -v[212:213]
	v_add_f64 v[14:15], v[14:15], -v[214:215]
	s_waitcnt lgkmcnt(0)
	v_mul_f64 v[212:213], v[234:235], v[6:7]
	v_mul_f64 v[214:215], v[232:233], v[6:7]
	s_delay_alu instid0(VALU_DEP_2) | instskip(NEXT) | instid1(VALU_DEP_2)
	v_fma_f64 v[212:213], v[232:233], v[248:249], -v[212:213]
	v_fma_f64 v[214:215], v[234:235], v[248:249], v[214:215]
	ds_load_2addr_b64 v[232:235], v250 offset0:116 offset1:117
	v_add_f64 v[236:237], v[236:237], -v[212:213]
	v_add_f64 v[238:239], v[238:239], -v[214:215]
	s_waitcnt lgkmcnt(0)
	v_mul_f64 v[212:213], v[234:235], v[6:7]
	v_mul_f64 v[214:215], v[232:233], v[6:7]
	s_delay_alu instid0(VALU_DEP_2) | instskip(NEXT) | instid1(VALU_DEP_2)
	v_fma_f64 v[212:213], v[232:233], v[248:249], -v[212:213]
	v_fma_f64 v[214:215], v[234:235], v[248:249], v[214:215]
	ds_load_2addr_b64 v[232:235], v250 offset0:118 offset1:119
	v_add_f64 v[224:225], v[224:225], -v[212:213]
	v_add_f64 v[226:227], v[226:227], -v[214:215]
	s_waitcnt lgkmcnt(0)
	v_mul_f64 v[212:213], v[234:235], v[6:7]
	v_mul_f64 v[214:215], v[232:233], v[6:7]
	s_delay_alu instid0(VALU_DEP_2) | instskip(NEXT) | instid1(VALU_DEP_2)
	v_fma_f64 v[212:213], v[232:233], v[248:249], -v[212:213]
	v_fma_f64 v[214:215], v[234:235], v[248:249], v[214:215]
	s_delay_alu instid0(VALU_DEP_2) | instskip(NEXT) | instid1(VALU_DEP_2)
	v_add_f64 v[228:229], v[228:229], -v[212:213]
	v_add_f64 v[230:231], v[230:231], -v[214:215]
.LBB118_125:
	s_or_b32 exec_lo, exec_lo, s2
	v_lshl_add_u32 v212, v255, 4, v250
	s_waitcnt_vscnt null, 0x0
	s_barrier
	buffer_gl0_inv
	v_mov_b32_e32 v248, 6
	ds_store_2addr_b64 v212, v[8:9], v[10:11] offset1:1
	s_waitcnt lgkmcnt(0)
	s_barrier
	buffer_gl0_inv
	ds_load_2addr_b64 v[240:243], v250 offset0:12 offset1:13
	s_cmp_lt_i32 s12, 8
	s_cbranch_scc1 .LBB118_128
; %bb.126:
	v_add3_u32 v245, v254, 0, 0x70
	v_mov_b32_e32 v248, 6
	s_mov_b32 s6, 7
	s_set_inst_prefetch_distance 0x1
	.p2align	6
.LBB118_127:                            ; =>This Inner Loop Header: Depth=1
	ds_load_2addr_b64 v[232:235], v245 offset1:1
	s_waitcnt lgkmcnt(1)
	v_cmp_gt_f64_e32 vcc_lo, 0, v[240:241]
	v_cmp_gt_f64_e64 s2, 0, v[242:243]
	v_xor_b32_e32 v213, 0x80000000, v241
	v_xor_b32_e32 v215, 0x80000000, v243
	v_add_nc_u32_e32 v245, 16, v245
	s_waitcnt lgkmcnt(0)
	v_cmp_gt_f64_e64 s3, 0, v[232:233]
	v_cmp_gt_f64_e64 s4, 0, v[234:235]
	v_xor_b32_e32 v219, 0x80000000, v233
	v_xor_b32_e32 v220, 0x80000000, v235
	v_mov_b32_e32 v214, v234
	v_mov_b32_e32 v212, v232
	v_cndmask_b32_e32 v216, v241, v213, vcc_lo
	v_cndmask_b32_e64 v218, v243, v215, s2
	v_cndmask_b32_e32 v215, v240, v240, vcc_lo
	v_cndmask_b32_e64 v217, v242, v242, s2
	s_delay_alu instid0(VALU_DEP_1) | instskip(SKIP_2) | instid1(VALU_DEP_1)
	v_add_f64 v[216:217], v[215:216], v[217:218]
	v_cndmask_b32_e64 v213, v233, v219, s3
	v_cndmask_b32_e64 v215, v235, v220, s4
	v_add_f64 v[212:213], v[212:213], v[214:215]
	s_delay_alu instid0(VALU_DEP_1)
	v_cmp_lt_f64_e32 vcc_lo, v[216:217], v[212:213]
	v_cndmask_b32_e32 v243, v243, v235, vcc_lo
	v_dual_cndmask_b32 v241, v241, v233 :: v_dual_cndmask_b32 v240, v240, v232
	v_cndmask_b32_e32 v242, v242, v234, vcc_lo
	v_cndmask_b32_e64 v248, v248, s6, vcc_lo
	s_add_i32 s6, s6, 1
	s_delay_alu instid0(SALU_CYCLE_1)
	s_cmp_lg_u32 s12, s6
	s_cbranch_scc1 .LBB118_127
.LBB118_128:
	s_set_inst_prefetch_distance 0x2
	s_waitcnt lgkmcnt(0)
	v_cmp_eq_f64_e32 vcc_lo, 0, v[240:241]
	v_cmp_eq_f64_e64 s2, 0, v[242:243]
	s_delay_alu instid0(VALU_DEP_1) | instskip(NEXT) | instid1(SALU_CYCLE_1)
	s_and_b32 s2, vcc_lo, s2
	s_and_saveexec_b32 s3, s2
	s_delay_alu instid0(SALU_CYCLE_1)
	s_xor_b32 s2, exec_lo, s3
; %bb.129:
	v_cmp_ne_u32_e32 vcc_lo, 0, v253
	v_cndmask_b32_e32 v253, 7, v253, vcc_lo
; %bb.130:
	s_and_not1_saveexec_b32 s3, s2
	s_cbranch_execz .LBB118_136
; %bb.131:
	v_cmp_gt_f64_e32 vcc_lo, 0, v[240:241]
	v_cmp_gt_f64_e64 s2, 0, v[242:243]
	v_xor_b32_e32 v212, 0x80000000, v241
	v_xor_b32_e32 v214, 0x80000000, v243
	s_delay_alu instid0(VALU_DEP_2) | instskip(NEXT) | instid1(VALU_DEP_2)
	v_cndmask_b32_e32 v213, v241, v212, vcc_lo
	v_cndmask_b32_e64 v215, v243, v214, s2
	v_cndmask_b32_e32 v212, v240, v240, vcc_lo
	v_cndmask_b32_e64 v214, v242, v242, s2
	s_mov_b32 s2, exec_lo
	s_delay_alu instid0(VALU_DEP_1)
	v_cmpx_ngt_f64_e32 v[212:213], v[214:215]
	s_xor_b32 s2, exec_lo, s2
	s_cbranch_execz .LBB118_133
; %bb.132:
	v_div_scale_f64 v[212:213], null, v[242:243], v[242:243], v[240:241]
	v_div_scale_f64 v[218:219], vcc_lo, v[240:241], v[242:243], v[240:241]
	s_delay_alu instid0(VALU_DEP_2) | instskip(SKIP_2) | instid1(VALU_DEP_1)
	v_rcp_f64_e32 v[214:215], v[212:213]
	s_waitcnt_depctr 0xfff
	v_fma_f64 v[216:217], -v[212:213], v[214:215], 1.0
	v_fma_f64 v[214:215], v[214:215], v[216:217], v[214:215]
	s_delay_alu instid0(VALU_DEP_1) | instskip(NEXT) | instid1(VALU_DEP_1)
	v_fma_f64 v[216:217], -v[212:213], v[214:215], 1.0
	v_fma_f64 v[214:215], v[214:215], v[216:217], v[214:215]
	s_delay_alu instid0(VALU_DEP_1) | instskip(NEXT) | instid1(VALU_DEP_1)
	v_mul_f64 v[216:217], v[218:219], v[214:215]
	v_fma_f64 v[212:213], -v[212:213], v[216:217], v[218:219]
	s_delay_alu instid0(VALU_DEP_1) | instskip(NEXT) | instid1(VALU_DEP_1)
	v_div_fmas_f64 v[212:213], v[212:213], v[214:215], v[216:217]
	v_div_fixup_f64 v[212:213], v[212:213], v[242:243], v[240:241]
	s_delay_alu instid0(VALU_DEP_1) | instskip(NEXT) | instid1(VALU_DEP_1)
	v_fma_f64 v[214:215], v[240:241], v[212:213], v[242:243]
	v_div_scale_f64 v[216:217], null, v[214:215], v[214:215], 1.0
	s_delay_alu instid0(VALU_DEP_1) | instskip(SKIP_2) | instid1(VALU_DEP_1)
	v_rcp_f64_e32 v[218:219], v[216:217]
	s_waitcnt_depctr 0xfff
	v_fma_f64 v[220:221], -v[216:217], v[218:219], 1.0
	v_fma_f64 v[218:219], v[218:219], v[220:221], v[218:219]
	s_delay_alu instid0(VALU_DEP_1) | instskip(NEXT) | instid1(VALU_DEP_1)
	v_fma_f64 v[220:221], -v[216:217], v[218:219], 1.0
	v_fma_f64 v[218:219], v[218:219], v[220:221], v[218:219]
	v_div_scale_f64 v[220:221], vcc_lo, 1.0, v[214:215], 1.0
	s_delay_alu instid0(VALU_DEP_1) | instskip(NEXT) | instid1(VALU_DEP_1)
	v_mul_f64 v[222:223], v[220:221], v[218:219]
	v_fma_f64 v[216:217], -v[216:217], v[222:223], v[220:221]
	s_delay_alu instid0(VALU_DEP_1) | instskip(NEXT) | instid1(VALU_DEP_1)
	v_div_fmas_f64 v[216:217], v[216:217], v[218:219], v[222:223]
	v_div_fixup_f64 v[242:243], v[216:217], v[214:215], 1.0
	s_delay_alu instid0(VALU_DEP_1)
	v_mul_f64 v[240:241], v[212:213], v[242:243]
	v_xor_b32_e32 v243, 0x80000000, v243
.LBB118_133:
	s_and_not1_saveexec_b32 s2, s2
	s_cbranch_execz .LBB118_135
; %bb.134:
	s_delay_alu instid0(VALU_DEP_1) | instskip(SKIP_1) | instid1(VALU_DEP_2)
	v_div_scale_f64 v[212:213], null, v[240:241], v[240:241], v[242:243]
	v_div_scale_f64 v[218:219], vcc_lo, v[242:243], v[240:241], v[242:243]
	v_rcp_f64_e32 v[214:215], v[212:213]
	s_waitcnt_depctr 0xfff
	v_fma_f64 v[216:217], -v[212:213], v[214:215], 1.0
	s_delay_alu instid0(VALU_DEP_1) | instskip(NEXT) | instid1(VALU_DEP_1)
	v_fma_f64 v[214:215], v[214:215], v[216:217], v[214:215]
	v_fma_f64 v[216:217], -v[212:213], v[214:215], 1.0
	s_delay_alu instid0(VALU_DEP_1) | instskip(NEXT) | instid1(VALU_DEP_1)
	v_fma_f64 v[214:215], v[214:215], v[216:217], v[214:215]
	v_mul_f64 v[216:217], v[218:219], v[214:215]
	s_delay_alu instid0(VALU_DEP_1) | instskip(NEXT) | instid1(VALU_DEP_1)
	v_fma_f64 v[212:213], -v[212:213], v[216:217], v[218:219]
	v_div_fmas_f64 v[212:213], v[212:213], v[214:215], v[216:217]
	s_delay_alu instid0(VALU_DEP_1) | instskip(NEXT) | instid1(VALU_DEP_1)
	v_div_fixup_f64 v[212:213], v[212:213], v[240:241], v[242:243]
	v_fma_f64 v[214:215], v[242:243], v[212:213], v[240:241]
	s_delay_alu instid0(VALU_DEP_1) | instskip(NEXT) | instid1(VALU_DEP_1)
	v_div_scale_f64 v[216:217], null, v[214:215], v[214:215], 1.0
	v_rcp_f64_e32 v[218:219], v[216:217]
	s_waitcnt_depctr 0xfff
	v_fma_f64 v[220:221], -v[216:217], v[218:219], 1.0
	s_delay_alu instid0(VALU_DEP_1) | instskip(NEXT) | instid1(VALU_DEP_1)
	v_fma_f64 v[218:219], v[218:219], v[220:221], v[218:219]
	v_fma_f64 v[220:221], -v[216:217], v[218:219], 1.0
	s_delay_alu instid0(VALU_DEP_1) | instskip(SKIP_1) | instid1(VALU_DEP_1)
	v_fma_f64 v[218:219], v[218:219], v[220:221], v[218:219]
	v_div_scale_f64 v[220:221], vcc_lo, 1.0, v[214:215], 1.0
	v_mul_f64 v[222:223], v[220:221], v[218:219]
	s_delay_alu instid0(VALU_DEP_1) | instskip(NEXT) | instid1(VALU_DEP_1)
	v_fma_f64 v[216:217], -v[216:217], v[222:223], v[220:221]
	v_div_fmas_f64 v[216:217], v[216:217], v[218:219], v[222:223]
	s_delay_alu instid0(VALU_DEP_1) | instskip(NEXT) | instid1(VALU_DEP_1)
	v_div_fixup_f64 v[240:241], v[216:217], v[214:215], 1.0
	v_mul_f64 v[242:243], v[212:213], -v[240:241]
.LBB118_135:
	s_or_b32 exec_lo, exec_lo, s2
.LBB118_136:
	s_delay_alu instid0(SALU_CYCLE_1) | instskip(NEXT) | instid1(SALU_CYCLE_1)
	s_or_b32 exec_lo, exec_lo, s3
	s_mov_b32 s2, exec_lo
	v_cmpx_ne_u32_e64 v255, v248
	s_xor_b32 s2, exec_lo, s2
	s_cbranch_execz .LBB118_142
; %bb.137:
	s_mov_b32 s3, exec_lo
	v_cmpx_eq_u32_e32 6, v255
	s_cbranch_execz .LBB118_141
; %bb.138:
	v_cmp_ne_u32_e32 vcc_lo, 6, v248
	s_xor_b32 s4, s5, -1
	s_delay_alu instid0(SALU_CYCLE_1) | instskip(NEXT) | instid1(SALU_CYCLE_1)
	s_and_b32 s6, s4, vcc_lo
	s_and_saveexec_b32 s4, s6
	s_cbranch_execz .LBB118_140
; %bb.139:
	scratch_load_b64 v[208:209], off, off offset:16 ; 8-byte Folded Reload
	v_ashrrev_i32_e32 v249, 31, v248
	s_delay_alu instid0(VALU_DEP_1) | instskip(SKIP_1) | instid1(VALU_DEP_1)
	v_lshlrev_b64 v[212:213], 2, v[248:249]
	s_waitcnt vmcnt(0)
	v_add_co_u32 v212, vcc_lo, v208, v212
	s_delay_alu instid0(VALU_DEP_2)
	v_add_co_ci_u32_e32 v213, vcc_lo, v209, v213, vcc_lo
	s_clause 0x1
	flat_load_b32 v214, v[212:213]
	flat_load_b32 v215, v[208:209] offset:24
	s_waitcnt vmcnt(1) lgkmcnt(1)
	flat_store_b32 v[208:209], v214 offset:24
	s_waitcnt vmcnt(0) lgkmcnt(1)
	flat_store_b32 v[212:213], v215
.LBB118_140:
	s_or_b32 exec_lo, exec_lo, s4
	v_mov_b32_e32 v255, v248
	v_mov_b32_e32 v244, v248
.LBB118_141:
	s_or_b32 exec_lo, exec_lo, s3
.LBB118_142:
	s_and_not1_saveexec_b32 s2, s2
	s_cbranch_execz .LBB118_144
; %bb.143:
	scratch_load_b128 v[208:211], off, off  ; 16-byte Folded Reload
	v_mov_b32_e32 v255, 6
	s_waitcnt vmcnt(0)
	ds_store_2addr_b64 v250, v[208:209], v[210:211] offset0:14 offset1:15
	ds_store_2addr_b64 v250, v[204:205], v[206:207] offset0:16 offset1:17
	;; [unrolled: 1-line block ×53, first 2 shown]
.LBB118_144:
	s_or_b32 exec_lo, exec_lo, s2
	s_delay_alu instid0(SALU_CYCLE_1)
	s_mov_b32 s2, exec_lo
	s_waitcnt lgkmcnt(0)
	s_waitcnt_vscnt null, 0x0
	s_barrier
	buffer_gl0_inv
	v_cmpx_lt_i32_e32 6, v255
	s_cbranch_execz .LBB118_146
; %bb.145:
	scratch_load_b128 v[208:211], off, off  ; 16-byte Folded Reload
	v_mul_f64 v[212:213], v[242:243], v[10:11]
	ds_load_2addr_b64 v[232:235], v250 offset0:14 offset1:15
	v_fma_f64 v[248:249], v[240:241], v[8:9], -v[212:213]
	v_mul_f64 v[212:213], v[240:241], v[10:11]
	s_delay_alu instid0(VALU_DEP_1) | instskip(NEXT) | instid1(VALU_DEP_3)
	v_fma_f64 v[10:11], v[242:243], v[8:9], v[212:213]
	v_dual_mov_b32 v8, v248 :: v_dual_mov_b32 v9, v249
	s_waitcnt lgkmcnt(0)
	s_delay_alu instid0(VALU_DEP_2) | instskip(SKIP_1) | instid1(VALU_DEP_2)
	v_mul_f64 v[212:213], v[234:235], v[10:11]
	v_mul_f64 v[214:215], v[232:233], v[10:11]
	v_fma_f64 v[212:213], v[232:233], v[248:249], -v[212:213]
	s_delay_alu instid0(VALU_DEP_2)
	v_fma_f64 v[214:215], v[234:235], v[248:249], v[214:215]
	ds_load_2addr_b64 v[232:235], v250 offset0:16 offset1:17
	s_waitcnt vmcnt(0)
	v_add_f64 v[208:209], v[208:209], -v[212:213]
	v_add_f64 v[210:211], v[210:211], -v[214:215]
	s_waitcnt lgkmcnt(0)
	v_mul_f64 v[212:213], v[234:235], v[10:11]
	v_mul_f64 v[214:215], v[232:233], v[10:11]
	scratch_store_b128 off, v[208:211], off ; 16-byte Folded Spill
	v_fma_f64 v[212:213], v[232:233], v[248:249], -v[212:213]
	v_fma_f64 v[214:215], v[234:235], v[248:249], v[214:215]
	ds_load_2addr_b64 v[232:235], v250 offset0:18 offset1:19
	v_add_f64 v[204:205], v[204:205], -v[212:213]
	v_add_f64 v[206:207], v[206:207], -v[214:215]
	s_waitcnt lgkmcnt(0)
	v_mul_f64 v[212:213], v[234:235], v[10:11]
	v_mul_f64 v[214:215], v[232:233], v[10:11]
	s_delay_alu instid0(VALU_DEP_2) | instskip(NEXT) | instid1(VALU_DEP_2)
	v_fma_f64 v[212:213], v[232:233], v[248:249], -v[212:213]
	v_fma_f64 v[214:215], v[234:235], v[248:249], v[214:215]
	ds_load_2addr_b64 v[232:235], v250 offset0:20 offset1:21
	v_add_f64 v[200:201], v[200:201], -v[212:213]
	v_add_f64 v[202:203], v[202:203], -v[214:215]
	s_waitcnt lgkmcnt(0)
	v_mul_f64 v[212:213], v[234:235], v[10:11]
	v_mul_f64 v[214:215], v[232:233], v[10:11]
	s_delay_alu instid0(VALU_DEP_2) | instskip(NEXT) | instid1(VALU_DEP_2)
	;; [unrolled: 9-line block ×51, first 2 shown]
	v_fma_f64 v[212:213], v[232:233], v[248:249], -v[212:213]
	v_fma_f64 v[214:215], v[234:235], v[248:249], v[214:215]
	s_delay_alu instid0(VALU_DEP_2) | instskip(NEXT) | instid1(VALU_DEP_2)
	v_add_f64 v[228:229], v[228:229], -v[212:213]
	v_add_f64 v[230:231], v[230:231], -v[214:215]
.LBB118_146:
	s_or_b32 exec_lo, exec_lo, s2
	s_waitcnt_vscnt null, 0x0
	s_barrier
	buffer_gl0_inv
	scratch_load_b128 v[208:211], off, off  ; 16-byte Folded Reload
	v_lshl_add_u32 v212, v255, 4, v250
	v_mov_b32_e32 v248, 7
	s_cmp_lt_i32 s12, 9
	s_waitcnt vmcnt(0)
	ds_store_2addr_b64 v212, v[208:209], v[210:211] offset1:1
	s_waitcnt lgkmcnt(0)
	s_barrier
	buffer_gl0_inv
	ds_load_2addr_b64 v[240:243], v250 offset0:14 offset1:15
	s_cbranch_scc1 .LBB118_149
; %bb.147:
	v_add3_u32 v245, v254, 0, 0x80
	v_mov_b32_e32 v248, 7
	s_mov_b32 s6, 8
	s_set_inst_prefetch_distance 0x1
	.p2align	6
.LBB118_148:                            ; =>This Inner Loop Header: Depth=1
	ds_load_2addr_b64 v[232:235], v245 offset1:1
	s_waitcnt lgkmcnt(1)
	v_cmp_gt_f64_e32 vcc_lo, 0, v[240:241]
	v_cmp_gt_f64_e64 s2, 0, v[242:243]
	v_xor_b32_e32 v213, 0x80000000, v241
	v_xor_b32_e32 v215, 0x80000000, v243
	v_add_nc_u32_e32 v245, 16, v245
	s_waitcnt lgkmcnt(0)
	v_cmp_gt_f64_e64 s3, 0, v[232:233]
	v_cmp_gt_f64_e64 s4, 0, v[234:235]
	v_xor_b32_e32 v219, 0x80000000, v233
	v_xor_b32_e32 v220, 0x80000000, v235
	v_mov_b32_e32 v214, v234
	v_mov_b32_e32 v212, v232
	v_cndmask_b32_e32 v216, v241, v213, vcc_lo
	v_cndmask_b32_e64 v218, v243, v215, s2
	v_cndmask_b32_e32 v215, v240, v240, vcc_lo
	v_cndmask_b32_e64 v217, v242, v242, s2
	s_delay_alu instid0(VALU_DEP_1) | instskip(SKIP_2) | instid1(VALU_DEP_1)
	v_add_f64 v[216:217], v[215:216], v[217:218]
	v_cndmask_b32_e64 v213, v233, v219, s3
	v_cndmask_b32_e64 v215, v235, v220, s4
	v_add_f64 v[212:213], v[212:213], v[214:215]
	s_delay_alu instid0(VALU_DEP_1)
	v_cmp_lt_f64_e32 vcc_lo, v[216:217], v[212:213]
	v_cndmask_b32_e32 v243, v243, v235, vcc_lo
	v_dual_cndmask_b32 v241, v241, v233 :: v_dual_cndmask_b32 v240, v240, v232
	v_cndmask_b32_e32 v242, v242, v234, vcc_lo
	v_cndmask_b32_e64 v248, v248, s6, vcc_lo
	s_add_i32 s6, s6, 1
	s_delay_alu instid0(SALU_CYCLE_1)
	s_cmp_lg_u32 s12, s6
	s_cbranch_scc1 .LBB118_148
.LBB118_149:
	s_set_inst_prefetch_distance 0x2
	s_waitcnt lgkmcnt(0)
	v_cmp_eq_f64_e32 vcc_lo, 0, v[240:241]
	v_cmp_eq_f64_e64 s2, 0, v[242:243]
	s_delay_alu instid0(VALU_DEP_1) | instskip(NEXT) | instid1(SALU_CYCLE_1)
	s_and_b32 s2, vcc_lo, s2
	s_and_saveexec_b32 s3, s2
	s_delay_alu instid0(SALU_CYCLE_1)
	s_xor_b32 s2, exec_lo, s3
; %bb.150:
	v_cmp_ne_u32_e32 vcc_lo, 0, v253
	v_cndmask_b32_e32 v253, 8, v253, vcc_lo
; %bb.151:
	s_and_not1_saveexec_b32 s3, s2
	s_cbranch_execz .LBB118_157
; %bb.152:
	v_cmp_gt_f64_e32 vcc_lo, 0, v[240:241]
	v_cmp_gt_f64_e64 s2, 0, v[242:243]
	v_xor_b32_e32 v212, 0x80000000, v241
	v_xor_b32_e32 v214, 0x80000000, v243
	s_delay_alu instid0(VALU_DEP_2) | instskip(NEXT) | instid1(VALU_DEP_2)
	v_cndmask_b32_e32 v213, v241, v212, vcc_lo
	v_cndmask_b32_e64 v215, v243, v214, s2
	v_cndmask_b32_e32 v212, v240, v240, vcc_lo
	v_cndmask_b32_e64 v214, v242, v242, s2
	s_mov_b32 s2, exec_lo
	s_delay_alu instid0(VALU_DEP_1)
	v_cmpx_ngt_f64_e32 v[212:213], v[214:215]
	s_xor_b32 s2, exec_lo, s2
	s_cbranch_execz .LBB118_154
; %bb.153:
	v_div_scale_f64 v[212:213], null, v[242:243], v[242:243], v[240:241]
	v_div_scale_f64 v[218:219], vcc_lo, v[240:241], v[242:243], v[240:241]
	s_delay_alu instid0(VALU_DEP_2) | instskip(SKIP_2) | instid1(VALU_DEP_1)
	v_rcp_f64_e32 v[214:215], v[212:213]
	s_waitcnt_depctr 0xfff
	v_fma_f64 v[216:217], -v[212:213], v[214:215], 1.0
	v_fma_f64 v[214:215], v[214:215], v[216:217], v[214:215]
	s_delay_alu instid0(VALU_DEP_1) | instskip(NEXT) | instid1(VALU_DEP_1)
	v_fma_f64 v[216:217], -v[212:213], v[214:215], 1.0
	v_fma_f64 v[214:215], v[214:215], v[216:217], v[214:215]
	s_delay_alu instid0(VALU_DEP_1) | instskip(NEXT) | instid1(VALU_DEP_1)
	v_mul_f64 v[216:217], v[218:219], v[214:215]
	v_fma_f64 v[212:213], -v[212:213], v[216:217], v[218:219]
	s_delay_alu instid0(VALU_DEP_1) | instskip(NEXT) | instid1(VALU_DEP_1)
	v_div_fmas_f64 v[212:213], v[212:213], v[214:215], v[216:217]
	v_div_fixup_f64 v[212:213], v[212:213], v[242:243], v[240:241]
	s_delay_alu instid0(VALU_DEP_1) | instskip(NEXT) | instid1(VALU_DEP_1)
	v_fma_f64 v[214:215], v[240:241], v[212:213], v[242:243]
	v_div_scale_f64 v[216:217], null, v[214:215], v[214:215], 1.0
	s_delay_alu instid0(VALU_DEP_1) | instskip(SKIP_2) | instid1(VALU_DEP_1)
	v_rcp_f64_e32 v[218:219], v[216:217]
	s_waitcnt_depctr 0xfff
	v_fma_f64 v[220:221], -v[216:217], v[218:219], 1.0
	v_fma_f64 v[218:219], v[218:219], v[220:221], v[218:219]
	s_delay_alu instid0(VALU_DEP_1) | instskip(NEXT) | instid1(VALU_DEP_1)
	v_fma_f64 v[220:221], -v[216:217], v[218:219], 1.0
	v_fma_f64 v[218:219], v[218:219], v[220:221], v[218:219]
	v_div_scale_f64 v[220:221], vcc_lo, 1.0, v[214:215], 1.0
	s_delay_alu instid0(VALU_DEP_1) | instskip(NEXT) | instid1(VALU_DEP_1)
	v_mul_f64 v[222:223], v[220:221], v[218:219]
	v_fma_f64 v[216:217], -v[216:217], v[222:223], v[220:221]
	s_delay_alu instid0(VALU_DEP_1) | instskip(NEXT) | instid1(VALU_DEP_1)
	v_div_fmas_f64 v[216:217], v[216:217], v[218:219], v[222:223]
	v_div_fixup_f64 v[242:243], v[216:217], v[214:215], 1.0
	s_delay_alu instid0(VALU_DEP_1)
	v_mul_f64 v[240:241], v[212:213], v[242:243]
	v_xor_b32_e32 v243, 0x80000000, v243
.LBB118_154:
	s_and_not1_saveexec_b32 s2, s2
	s_cbranch_execz .LBB118_156
; %bb.155:
	s_delay_alu instid0(VALU_DEP_1) | instskip(SKIP_1) | instid1(VALU_DEP_2)
	v_div_scale_f64 v[212:213], null, v[240:241], v[240:241], v[242:243]
	v_div_scale_f64 v[218:219], vcc_lo, v[242:243], v[240:241], v[242:243]
	v_rcp_f64_e32 v[214:215], v[212:213]
	s_waitcnt_depctr 0xfff
	v_fma_f64 v[216:217], -v[212:213], v[214:215], 1.0
	s_delay_alu instid0(VALU_DEP_1) | instskip(NEXT) | instid1(VALU_DEP_1)
	v_fma_f64 v[214:215], v[214:215], v[216:217], v[214:215]
	v_fma_f64 v[216:217], -v[212:213], v[214:215], 1.0
	s_delay_alu instid0(VALU_DEP_1) | instskip(NEXT) | instid1(VALU_DEP_1)
	v_fma_f64 v[214:215], v[214:215], v[216:217], v[214:215]
	v_mul_f64 v[216:217], v[218:219], v[214:215]
	s_delay_alu instid0(VALU_DEP_1) | instskip(NEXT) | instid1(VALU_DEP_1)
	v_fma_f64 v[212:213], -v[212:213], v[216:217], v[218:219]
	v_div_fmas_f64 v[212:213], v[212:213], v[214:215], v[216:217]
	s_delay_alu instid0(VALU_DEP_1) | instskip(NEXT) | instid1(VALU_DEP_1)
	v_div_fixup_f64 v[212:213], v[212:213], v[240:241], v[242:243]
	v_fma_f64 v[214:215], v[242:243], v[212:213], v[240:241]
	s_delay_alu instid0(VALU_DEP_1) | instskip(NEXT) | instid1(VALU_DEP_1)
	v_div_scale_f64 v[216:217], null, v[214:215], v[214:215], 1.0
	v_rcp_f64_e32 v[218:219], v[216:217]
	s_waitcnt_depctr 0xfff
	v_fma_f64 v[220:221], -v[216:217], v[218:219], 1.0
	s_delay_alu instid0(VALU_DEP_1) | instskip(NEXT) | instid1(VALU_DEP_1)
	v_fma_f64 v[218:219], v[218:219], v[220:221], v[218:219]
	v_fma_f64 v[220:221], -v[216:217], v[218:219], 1.0
	s_delay_alu instid0(VALU_DEP_1) | instskip(SKIP_1) | instid1(VALU_DEP_1)
	v_fma_f64 v[218:219], v[218:219], v[220:221], v[218:219]
	v_div_scale_f64 v[220:221], vcc_lo, 1.0, v[214:215], 1.0
	v_mul_f64 v[222:223], v[220:221], v[218:219]
	s_delay_alu instid0(VALU_DEP_1) | instskip(NEXT) | instid1(VALU_DEP_1)
	v_fma_f64 v[216:217], -v[216:217], v[222:223], v[220:221]
	v_div_fmas_f64 v[216:217], v[216:217], v[218:219], v[222:223]
	s_delay_alu instid0(VALU_DEP_1) | instskip(NEXT) | instid1(VALU_DEP_1)
	v_div_fixup_f64 v[240:241], v[216:217], v[214:215], 1.0
	v_mul_f64 v[242:243], v[212:213], -v[240:241]
.LBB118_156:
	s_or_b32 exec_lo, exec_lo, s2
.LBB118_157:
	s_delay_alu instid0(SALU_CYCLE_1) | instskip(NEXT) | instid1(SALU_CYCLE_1)
	s_or_b32 exec_lo, exec_lo, s3
	s_mov_b32 s2, exec_lo
	v_cmpx_ne_u32_e64 v255, v248
	s_xor_b32 s2, exec_lo, s2
	s_cbranch_execz .LBB118_163
; %bb.158:
	s_mov_b32 s3, exec_lo
	v_cmpx_eq_u32_e32 7, v255
	s_cbranch_execz .LBB118_162
; %bb.159:
	v_cmp_ne_u32_e32 vcc_lo, 7, v248
	s_xor_b32 s4, s5, -1
	s_delay_alu instid0(SALU_CYCLE_1) | instskip(NEXT) | instid1(SALU_CYCLE_1)
	s_and_b32 s6, s4, vcc_lo
	s_and_saveexec_b32 s4, s6
	s_cbranch_execz .LBB118_161
; %bb.160:
	scratch_load_b64 v[208:209], off, off offset:16 ; 8-byte Folded Reload
	v_ashrrev_i32_e32 v249, 31, v248
	s_delay_alu instid0(VALU_DEP_1) | instskip(SKIP_1) | instid1(VALU_DEP_1)
	v_lshlrev_b64 v[212:213], 2, v[248:249]
	s_waitcnt vmcnt(0)
	v_add_co_u32 v212, vcc_lo, v208, v212
	s_delay_alu instid0(VALU_DEP_2)
	v_add_co_ci_u32_e32 v213, vcc_lo, v209, v213, vcc_lo
	s_clause 0x1
	flat_load_b32 v214, v[212:213]
	flat_load_b32 v215, v[208:209] offset:28
	s_waitcnt vmcnt(1) lgkmcnt(1)
	flat_store_b32 v[208:209], v214 offset:28
	s_waitcnt vmcnt(0) lgkmcnt(1)
	flat_store_b32 v[212:213], v215
.LBB118_161:
	s_or_b32 exec_lo, exec_lo, s4
	v_mov_b32_e32 v255, v248
	v_mov_b32_e32 v244, v248
.LBB118_162:
	s_or_b32 exec_lo, exec_lo, s3
.LBB118_163:
	s_and_not1_saveexec_b32 s2, s2
	s_cbranch_execz .LBB118_165
; %bb.164:
	v_mov_b32_e32 v255, 7
	ds_store_2addr_b64 v250, v[204:205], v[206:207] offset0:16 offset1:17
	ds_store_2addr_b64 v250, v[200:201], v[202:203] offset0:18 offset1:19
	;; [unrolled: 1-line block ×52, first 2 shown]
.LBB118_165:
	s_or_b32 exec_lo, exec_lo, s2
	s_delay_alu instid0(SALU_CYCLE_1)
	s_mov_b32 s2, exec_lo
	s_waitcnt lgkmcnt(0)
	s_waitcnt_vscnt null, 0x0
	s_barrier
	buffer_gl0_inv
	v_cmpx_lt_i32_e32 7, v255
	s_cbranch_execz .LBB118_167
; %bb.166:
	scratch_load_b128 v[208:211], off, off  ; 16-byte Folded Reload
	ds_load_2addr_b64 v[232:235], v250 offset0:16 offset1:17
	s_waitcnt vmcnt(0)
	v_mul_f64 v[212:213], v[242:243], v[210:211]
	v_mul_f64 v[210:211], v[240:241], v[210:211]
	s_delay_alu instid0(VALU_DEP_2) | instskip(NEXT) | instid1(VALU_DEP_2)
	v_fma_f64 v[248:249], v[240:241], v[208:209], -v[212:213]
	v_fma_f64 v[210:211], v[242:243], v[208:209], v[210:211]
	s_waitcnt lgkmcnt(0)
	s_delay_alu instid0(VALU_DEP_1) | instskip(SKIP_1) | instid1(VALU_DEP_2)
	v_mul_f64 v[208:209], v[234:235], v[210:211]
	v_mul_f64 v[212:213], v[232:233], v[210:211]
	v_fma_f64 v[208:209], v[232:233], v[248:249], -v[208:209]
	s_delay_alu instid0(VALU_DEP_2)
	v_fma_f64 v[212:213], v[234:235], v[248:249], v[212:213]
	ds_load_2addr_b64 v[232:235], v250 offset0:18 offset1:19
	v_add_f64 v[204:205], v[204:205], -v[208:209]
	v_add_f64 v[206:207], v[206:207], -v[212:213]
	s_waitcnt lgkmcnt(0)
	v_mul_f64 v[208:209], v[234:235], v[210:211]
	v_mul_f64 v[212:213], v[232:233], v[210:211]
	s_delay_alu instid0(VALU_DEP_2) | instskip(NEXT) | instid1(VALU_DEP_2)
	v_fma_f64 v[208:209], v[232:233], v[248:249], -v[208:209]
	v_fma_f64 v[212:213], v[234:235], v[248:249], v[212:213]
	ds_load_2addr_b64 v[232:235], v250 offset0:20 offset1:21
	v_add_f64 v[200:201], v[200:201], -v[208:209]
	v_add_f64 v[202:203], v[202:203], -v[212:213]
	s_waitcnt lgkmcnt(0)
	v_mul_f64 v[208:209], v[234:235], v[210:211]
	v_mul_f64 v[212:213], v[232:233], v[210:211]
	s_delay_alu instid0(VALU_DEP_2) | instskip(NEXT) | instid1(VALU_DEP_2)
	v_fma_f64 v[208:209], v[232:233], v[248:249], -v[208:209]
	;; [unrolled: 9-line block ×51, first 2 shown]
	v_fma_f64 v[212:213], v[234:235], v[248:249], v[212:213]
	s_delay_alu instid0(VALU_DEP_2) | instskip(NEXT) | instid1(VALU_DEP_2)
	v_add_f64 v[228:229], v[228:229], -v[208:209]
	v_add_f64 v[230:231], v[230:231], -v[212:213]
	v_dual_mov_b32 v208, v248 :: v_dual_mov_b32 v209, v249
	scratch_store_b128 off, v[208:211], off ; 16-byte Folded Spill
.LBB118_167:
	s_or_b32 exec_lo, exec_lo, s2
	v_lshl_add_u32 v212, v255, 4, v250
	s_waitcnt_vscnt null, 0x0
	s_barrier
	buffer_gl0_inv
	v_mov_b32_e32 v248, 8
	ds_store_2addr_b64 v212, v[204:205], v[206:207] offset1:1
	s_waitcnt lgkmcnt(0)
	s_barrier
	buffer_gl0_inv
	ds_load_2addr_b64 v[240:243], v250 offset0:16 offset1:17
	s_cmp_lt_i32 s12, 10
	s_cbranch_scc1 .LBB118_170
; %bb.168:
	v_add3_u32 v245, v254, 0, 0x90
	v_mov_b32_e32 v248, 8
	s_mov_b32 s6, 9
	s_set_inst_prefetch_distance 0x1
	.p2align	6
.LBB118_169:                            ; =>This Inner Loop Header: Depth=1
	ds_load_2addr_b64 v[232:235], v245 offset1:1
	s_waitcnt lgkmcnt(1)
	v_cmp_gt_f64_e32 vcc_lo, 0, v[240:241]
	v_cmp_gt_f64_e64 s2, 0, v[242:243]
	v_xor_b32_e32 v213, 0x80000000, v241
	v_xor_b32_e32 v215, 0x80000000, v243
	v_add_nc_u32_e32 v245, 16, v245
	s_waitcnt lgkmcnt(0)
	v_cmp_gt_f64_e64 s3, 0, v[232:233]
	v_cmp_gt_f64_e64 s4, 0, v[234:235]
	v_xor_b32_e32 v219, 0x80000000, v233
	v_xor_b32_e32 v220, 0x80000000, v235
	v_mov_b32_e32 v214, v234
	v_mov_b32_e32 v212, v232
	v_cndmask_b32_e32 v216, v241, v213, vcc_lo
	v_cndmask_b32_e64 v218, v243, v215, s2
	v_cndmask_b32_e32 v215, v240, v240, vcc_lo
	v_cndmask_b32_e64 v217, v242, v242, s2
	s_delay_alu instid0(VALU_DEP_1) | instskip(SKIP_2) | instid1(VALU_DEP_1)
	v_add_f64 v[216:217], v[215:216], v[217:218]
	v_cndmask_b32_e64 v213, v233, v219, s3
	v_cndmask_b32_e64 v215, v235, v220, s4
	v_add_f64 v[212:213], v[212:213], v[214:215]
	s_delay_alu instid0(VALU_DEP_1)
	v_cmp_lt_f64_e32 vcc_lo, v[216:217], v[212:213]
	v_cndmask_b32_e32 v243, v243, v235, vcc_lo
	v_dual_cndmask_b32 v241, v241, v233 :: v_dual_cndmask_b32 v240, v240, v232
	v_cndmask_b32_e32 v242, v242, v234, vcc_lo
	v_cndmask_b32_e64 v248, v248, s6, vcc_lo
	s_add_i32 s6, s6, 1
	s_delay_alu instid0(SALU_CYCLE_1)
	s_cmp_lg_u32 s12, s6
	s_cbranch_scc1 .LBB118_169
.LBB118_170:
	s_set_inst_prefetch_distance 0x2
	s_waitcnt lgkmcnt(0)
	v_cmp_eq_f64_e32 vcc_lo, 0, v[240:241]
	v_cmp_eq_f64_e64 s2, 0, v[242:243]
	s_delay_alu instid0(VALU_DEP_1) | instskip(NEXT) | instid1(SALU_CYCLE_1)
	s_and_b32 s2, vcc_lo, s2
	s_and_saveexec_b32 s3, s2
	s_delay_alu instid0(SALU_CYCLE_1)
	s_xor_b32 s2, exec_lo, s3
; %bb.171:
	v_cmp_ne_u32_e32 vcc_lo, 0, v253
	v_cndmask_b32_e32 v253, 9, v253, vcc_lo
; %bb.172:
	s_and_not1_saveexec_b32 s3, s2
	s_cbranch_execz .LBB118_178
; %bb.173:
	v_cmp_gt_f64_e32 vcc_lo, 0, v[240:241]
	v_cmp_gt_f64_e64 s2, 0, v[242:243]
	v_xor_b32_e32 v212, 0x80000000, v241
	v_xor_b32_e32 v214, 0x80000000, v243
	s_delay_alu instid0(VALU_DEP_2) | instskip(NEXT) | instid1(VALU_DEP_2)
	v_cndmask_b32_e32 v213, v241, v212, vcc_lo
	v_cndmask_b32_e64 v215, v243, v214, s2
	v_cndmask_b32_e32 v212, v240, v240, vcc_lo
	v_cndmask_b32_e64 v214, v242, v242, s2
	s_mov_b32 s2, exec_lo
	s_delay_alu instid0(VALU_DEP_1)
	v_cmpx_ngt_f64_e32 v[212:213], v[214:215]
	s_xor_b32 s2, exec_lo, s2
	s_cbranch_execz .LBB118_175
; %bb.174:
	v_div_scale_f64 v[212:213], null, v[242:243], v[242:243], v[240:241]
	v_div_scale_f64 v[218:219], vcc_lo, v[240:241], v[242:243], v[240:241]
	s_delay_alu instid0(VALU_DEP_2) | instskip(SKIP_2) | instid1(VALU_DEP_1)
	v_rcp_f64_e32 v[214:215], v[212:213]
	s_waitcnt_depctr 0xfff
	v_fma_f64 v[216:217], -v[212:213], v[214:215], 1.0
	v_fma_f64 v[214:215], v[214:215], v[216:217], v[214:215]
	s_delay_alu instid0(VALU_DEP_1) | instskip(NEXT) | instid1(VALU_DEP_1)
	v_fma_f64 v[216:217], -v[212:213], v[214:215], 1.0
	v_fma_f64 v[214:215], v[214:215], v[216:217], v[214:215]
	s_delay_alu instid0(VALU_DEP_1) | instskip(NEXT) | instid1(VALU_DEP_1)
	v_mul_f64 v[216:217], v[218:219], v[214:215]
	v_fma_f64 v[212:213], -v[212:213], v[216:217], v[218:219]
	s_delay_alu instid0(VALU_DEP_1) | instskip(NEXT) | instid1(VALU_DEP_1)
	v_div_fmas_f64 v[212:213], v[212:213], v[214:215], v[216:217]
	v_div_fixup_f64 v[212:213], v[212:213], v[242:243], v[240:241]
	s_delay_alu instid0(VALU_DEP_1) | instskip(NEXT) | instid1(VALU_DEP_1)
	v_fma_f64 v[214:215], v[240:241], v[212:213], v[242:243]
	v_div_scale_f64 v[216:217], null, v[214:215], v[214:215], 1.0
	s_delay_alu instid0(VALU_DEP_1) | instskip(SKIP_2) | instid1(VALU_DEP_1)
	v_rcp_f64_e32 v[218:219], v[216:217]
	s_waitcnt_depctr 0xfff
	v_fma_f64 v[220:221], -v[216:217], v[218:219], 1.0
	v_fma_f64 v[218:219], v[218:219], v[220:221], v[218:219]
	s_delay_alu instid0(VALU_DEP_1) | instskip(NEXT) | instid1(VALU_DEP_1)
	v_fma_f64 v[220:221], -v[216:217], v[218:219], 1.0
	v_fma_f64 v[218:219], v[218:219], v[220:221], v[218:219]
	v_div_scale_f64 v[220:221], vcc_lo, 1.0, v[214:215], 1.0
	s_delay_alu instid0(VALU_DEP_1) | instskip(NEXT) | instid1(VALU_DEP_1)
	v_mul_f64 v[222:223], v[220:221], v[218:219]
	v_fma_f64 v[216:217], -v[216:217], v[222:223], v[220:221]
	s_delay_alu instid0(VALU_DEP_1) | instskip(NEXT) | instid1(VALU_DEP_1)
	v_div_fmas_f64 v[216:217], v[216:217], v[218:219], v[222:223]
	v_div_fixup_f64 v[242:243], v[216:217], v[214:215], 1.0
	s_delay_alu instid0(VALU_DEP_1)
	v_mul_f64 v[240:241], v[212:213], v[242:243]
	v_xor_b32_e32 v243, 0x80000000, v243
.LBB118_175:
	s_and_not1_saveexec_b32 s2, s2
	s_cbranch_execz .LBB118_177
; %bb.176:
	s_delay_alu instid0(VALU_DEP_1) | instskip(SKIP_1) | instid1(VALU_DEP_2)
	v_div_scale_f64 v[212:213], null, v[240:241], v[240:241], v[242:243]
	v_div_scale_f64 v[218:219], vcc_lo, v[242:243], v[240:241], v[242:243]
	v_rcp_f64_e32 v[214:215], v[212:213]
	s_waitcnt_depctr 0xfff
	v_fma_f64 v[216:217], -v[212:213], v[214:215], 1.0
	s_delay_alu instid0(VALU_DEP_1) | instskip(NEXT) | instid1(VALU_DEP_1)
	v_fma_f64 v[214:215], v[214:215], v[216:217], v[214:215]
	v_fma_f64 v[216:217], -v[212:213], v[214:215], 1.0
	s_delay_alu instid0(VALU_DEP_1) | instskip(NEXT) | instid1(VALU_DEP_1)
	v_fma_f64 v[214:215], v[214:215], v[216:217], v[214:215]
	v_mul_f64 v[216:217], v[218:219], v[214:215]
	s_delay_alu instid0(VALU_DEP_1) | instskip(NEXT) | instid1(VALU_DEP_1)
	v_fma_f64 v[212:213], -v[212:213], v[216:217], v[218:219]
	v_div_fmas_f64 v[212:213], v[212:213], v[214:215], v[216:217]
	s_delay_alu instid0(VALU_DEP_1) | instskip(NEXT) | instid1(VALU_DEP_1)
	v_div_fixup_f64 v[212:213], v[212:213], v[240:241], v[242:243]
	v_fma_f64 v[214:215], v[242:243], v[212:213], v[240:241]
	s_delay_alu instid0(VALU_DEP_1) | instskip(NEXT) | instid1(VALU_DEP_1)
	v_div_scale_f64 v[216:217], null, v[214:215], v[214:215], 1.0
	v_rcp_f64_e32 v[218:219], v[216:217]
	s_waitcnt_depctr 0xfff
	v_fma_f64 v[220:221], -v[216:217], v[218:219], 1.0
	s_delay_alu instid0(VALU_DEP_1) | instskip(NEXT) | instid1(VALU_DEP_1)
	v_fma_f64 v[218:219], v[218:219], v[220:221], v[218:219]
	v_fma_f64 v[220:221], -v[216:217], v[218:219], 1.0
	s_delay_alu instid0(VALU_DEP_1) | instskip(SKIP_1) | instid1(VALU_DEP_1)
	v_fma_f64 v[218:219], v[218:219], v[220:221], v[218:219]
	v_div_scale_f64 v[220:221], vcc_lo, 1.0, v[214:215], 1.0
	v_mul_f64 v[222:223], v[220:221], v[218:219]
	s_delay_alu instid0(VALU_DEP_1) | instskip(NEXT) | instid1(VALU_DEP_1)
	v_fma_f64 v[216:217], -v[216:217], v[222:223], v[220:221]
	v_div_fmas_f64 v[216:217], v[216:217], v[218:219], v[222:223]
	s_delay_alu instid0(VALU_DEP_1) | instskip(NEXT) | instid1(VALU_DEP_1)
	v_div_fixup_f64 v[240:241], v[216:217], v[214:215], 1.0
	v_mul_f64 v[242:243], v[212:213], -v[240:241]
.LBB118_177:
	s_or_b32 exec_lo, exec_lo, s2
.LBB118_178:
	s_delay_alu instid0(SALU_CYCLE_1) | instskip(NEXT) | instid1(SALU_CYCLE_1)
	s_or_b32 exec_lo, exec_lo, s3
	s_mov_b32 s2, exec_lo
	v_cmpx_ne_u32_e64 v255, v248
	s_xor_b32 s2, exec_lo, s2
	s_cbranch_execz .LBB118_184
; %bb.179:
	s_mov_b32 s3, exec_lo
	v_cmpx_eq_u32_e32 8, v255
	s_cbranch_execz .LBB118_183
; %bb.180:
	v_cmp_ne_u32_e32 vcc_lo, 8, v248
	s_xor_b32 s4, s5, -1
	s_delay_alu instid0(SALU_CYCLE_1) | instskip(NEXT) | instid1(SALU_CYCLE_1)
	s_and_b32 s6, s4, vcc_lo
	s_and_saveexec_b32 s4, s6
	s_cbranch_execz .LBB118_182
; %bb.181:
	scratch_load_b64 v[208:209], off, off offset:16 ; 8-byte Folded Reload
	v_ashrrev_i32_e32 v249, 31, v248
	s_delay_alu instid0(VALU_DEP_1) | instskip(SKIP_1) | instid1(VALU_DEP_1)
	v_lshlrev_b64 v[212:213], 2, v[248:249]
	s_waitcnt vmcnt(0)
	v_add_co_u32 v212, vcc_lo, v208, v212
	s_delay_alu instid0(VALU_DEP_2)
	v_add_co_ci_u32_e32 v213, vcc_lo, v209, v213, vcc_lo
	s_clause 0x1
	flat_load_b32 v214, v[212:213]
	flat_load_b32 v215, v[208:209] offset:32
	s_waitcnt vmcnt(1) lgkmcnt(1)
	flat_store_b32 v[208:209], v214 offset:32
	s_waitcnt vmcnt(0) lgkmcnt(1)
	flat_store_b32 v[212:213], v215
.LBB118_182:
	s_or_b32 exec_lo, exec_lo, s4
	v_mov_b32_e32 v255, v248
	v_mov_b32_e32 v244, v248
.LBB118_183:
	s_or_b32 exec_lo, exec_lo, s3
.LBB118_184:
	s_and_not1_saveexec_b32 s2, s2
	s_cbranch_execz .LBB118_186
; %bb.185:
	v_mov_b32_e32 v255, 8
	ds_store_2addr_b64 v250, v[200:201], v[202:203] offset0:18 offset1:19
	ds_store_2addr_b64 v250, v[196:197], v[198:199] offset0:20 offset1:21
	ds_store_2addr_b64 v250, v[192:193], v[194:195] offset0:22 offset1:23
	ds_store_2addr_b64 v250, v[188:189], v[190:191] offset0:24 offset1:25
	ds_store_2addr_b64 v250, v[184:185], v[186:187] offset0:26 offset1:27
	ds_store_2addr_b64 v250, v[180:181], v[182:183] offset0:28 offset1:29
	ds_store_2addr_b64 v250, v[176:177], v[178:179] offset0:30 offset1:31
	ds_store_2addr_b64 v250, v[172:173], v[174:175] offset0:32 offset1:33
	ds_store_2addr_b64 v250, v[168:169], v[170:171] offset0:34 offset1:35
	ds_store_2addr_b64 v250, v[164:165], v[166:167] offset0:36 offset1:37
	ds_store_2addr_b64 v250, v[160:161], v[162:163] offset0:38 offset1:39
	ds_store_2addr_b64 v250, v[156:157], v[158:159] offset0:40 offset1:41
	ds_store_2addr_b64 v250, v[152:153], v[154:155] offset0:42 offset1:43
	ds_store_2addr_b64 v250, v[148:149], v[150:151] offset0:44 offset1:45
	ds_store_2addr_b64 v250, v[144:145], v[146:147] offset0:46 offset1:47
	ds_store_2addr_b64 v250, v[140:141], v[142:143] offset0:48 offset1:49
	ds_store_2addr_b64 v250, v[136:137], v[138:139] offset0:50 offset1:51
	ds_store_2addr_b64 v250, v[132:133], v[134:135] offset0:52 offset1:53
	ds_store_2addr_b64 v250, v[128:129], v[130:131] offset0:54 offset1:55
	ds_store_2addr_b64 v250, v[124:125], v[126:127] offset0:56 offset1:57
	ds_store_2addr_b64 v250, v[120:121], v[122:123] offset0:58 offset1:59
	ds_store_2addr_b64 v250, v[116:117], v[118:119] offset0:60 offset1:61
	ds_store_2addr_b64 v250, v[112:113], v[114:115] offset0:62 offset1:63
	ds_store_2addr_b64 v250, v[108:109], v[110:111] offset0:64 offset1:65
	ds_store_2addr_b64 v250, v[104:105], v[106:107] offset0:66 offset1:67
	ds_store_2addr_b64 v250, v[100:101], v[102:103] offset0:68 offset1:69
	ds_store_2addr_b64 v250, v[96:97], v[98:99] offset0:70 offset1:71
	ds_store_2addr_b64 v250, v[92:93], v[94:95] offset0:72 offset1:73
	ds_store_2addr_b64 v250, v[88:89], v[90:91] offset0:74 offset1:75
	ds_store_2addr_b64 v250, v[84:85], v[86:87] offset0:76 offset1:77
	ds_store_2addr_b64 v250, v[80:81], v[82:83] offset0:78 offset1:79
	ds_store_2addr_b64 v250, v[76:77], v[78:79] offset0:80 offset1:81
	ds_store_2addr_b64 v250, v[72:73], v[74:75] offset0:82 offset1:83
	ds_store_2addr_b64 v250, v[68:69], v[70:71] offset0:84 offset1:85
	ds_store_2addr_b64 v250, v[64:65], v[66:67] offset0:86 offset1:87
	ds_store_2addr_b64 v250, v[60:61], v[62:63] offset0:88 offset1:89
	ds_store_2addr_b64 v250, v[56:57], v[58:59] offset0:90 offset1:91
	ds_store_2addr_b64 v250, v[52:53], v[54:55] offset0:92 offset1:93
	ds_store_2addr_b64 v250, v[48:49], v[50:51] offset0:94 offset1:95
	ds_store_2addr_b64 v250, v[44:45], v[46:47] offset0:96 offset1:97
	ds_store_2addr_b64 v250, v[40:41], v[42:43] offset0:98 offset1:99
	ds_store_2addr_b64 v250, v[36:37], v[38:39] offset0:100 offset1:101
	ds_store_2addr_b64 v250, v[32:33], v[34:35] offset0:102 offset1:103
	ds_store_2addr_b64 v250, v[28:29], v[30:31] offset0:104 offset1:105
	ds_store_2addr_b64 v250, v[24:25], v[26:27] offset0:106 offset1:107
	ds_store_2addr_b64 v250, v[20:21], v[22:23] offset0:108 offset1:109
	ds_store_2addr_b64 v250, v[16:17], v[18:19] offset0:110 offset1:111
	ds_store_2addr_b64 v250, v[12:13], v[14:15] offset0:112 offset1:113
	ds_store_2addr_b64 v250, v[236:237], v[238:239] offset0:114 offset1:115
	ds_store_2addr_b64 v250, v[224:225], v[226:227] offset0:116 offset1:117
	ds_store_2addr_b64 v250, v[228:229], v[230:231] offset0:118 offset1:119
.LBB118_186:
	s_or_b32 exec_lo, exec_lo, s2
	s_delay_alu instid0(SALU_CYCLE_1)
	s_mov_b32 s2, exec_lo
	s_waitcnt lgkmcnt(0)
	s_waitcnt_vscnt null, 0x0
	s_barrier
	buffer_gl0_inv
	v_cmpx_lt_i32_e32 8, v255
	s_cbranch_execz .LBB118_188
; %bb.187:
	v_mul_f64 v[212:213], v[242:243], v[206:207]
	v_mul_f64 v[206:207], v[240:241], v[206:207]
	ds_load_2addr_b64 v[232:235], v250 offset0:18 offset1:19
	v_fma_f64 v[248:249], v[240:241], v[204:205], -v[212:213]
	v_fma_f64 v[206:207], v[242:243], v[204:205], v[206:207]
	s_waitcnt lgkmcnt(0)
	s_delay_alu instid0(VALU_DEP_1) | instskip(SKIP_1) | instid1(VALU_DEP_2)
	v_mul_f64 v[204:205], v[234:235], v[206:207]
	v_mul_f64 v[212:213], v[232:233], v[206:207]
	v_fma_f64 v[204:205], v[232:233], v[248:249], -v[204:205]
	s_delay_alu instid0(VALU_DEP_2)
	v_fma_f64 v[212:213], v[234:235], v[248:249], v[212:213]
	ds_load_2addr_b64 v[232:235], v250 offset0:20 offset1:21
	v_add_f64 v[200:201], v[200:201], -v[204:205]
	v_add_f64 v[202:203], v[202:203], -v[212:213]
	s_waitcnt lgkmcnt(0)
	v_mul_f64 v[204:205], v[234:235], v[206:207]
	v_mul_f64 v[212:213], v[232:233], v[206:207]
	s_delay_alu instid0(VALU_DEP_2) | instskip(NEXT) | instid1(VALU_DEP_2)
	v_fma_f64 v[204:205], v[232:233], v[248:249], -v[204:205]
	v_fma_f64 v[212:213], v[234:235], v[248:249], v[212:213]
	ds_load_2addr_b64 v[232:235], v250 offset0:22 offset1:23
	v_add_f64 v[196:197], v[196:197], -v[204:205]
	v_add_f64 v[198:199], v[198:199], -v[212:213]
	s_waitcnt lgkmcnt(0)
	v_mul_f64 v[204:205], v[234:235], v[206:207]
	v_mul_f64 v[212:213], v[232:233], v[206:207]
	s_delay_alu instid0(VALU_DEP_2) | instskip(NEXT) | instid1(VALU_DEP_2)
	v_fma_f64 v[204:205], v[232:233], v[248:249], -v[204:205]
	;; [unrolled: 9-line block ×50, first 2 shown]
	v_fma_f64 v[212:213], v[234:235], v[248:249], v[212:213]
	s_delay_alu instid0(VALU_DEP_2) | instskip(NEXT) | instid1(VALU_DEP_2)
	v_add_f64 v[228:229], v[228:229], -v[204:205]
	v_add_f64 v[230:231], v[230:231], -v[212:213]
	v_dual_mov_b32 v204, v248 :: v_dual_mov_b32 v205, v249
.LBB118_188:
	s_or_b32 exec_lo, exec_lo, s2
	v_lshl_add_u32 v212, v255, 4, v250
	s_barrier
	buffer_gl0_inv
	v_mov_b32_e32 v248, 9
	ds_store_2addr_b64 v212, v[200:201], v[202:203] offset1:1
	s_waitcnt lgkmcnt(0)
	s_barrier
	buffer_gl0_inv
	ds_load_2addr_b64 v[240:243], v250 offset0:18 offset1:19
	s_cmp_lt_i32 s12, 11
	s_cbranch_scc1 .LBB118_191
; %bb.189:
	v_add3_u32 v245, v254, 0, 0xa0
	v_mov_b32_e32 v248, 9
	s_mov_b32 s6, 10
	s_set_inst_prefetch_distance 0x1
	.p2align	6
.LBB118_190:                            ; =>This Inner Loop Header: Depth=1
	ds_load_2addr_b64 v[232:235], v245 offset1:1
	s_waitcnt lgkmcnt(1)
	v_cmp_gt_f64_e32 vcc_lo, 0, v[240:241]
	v_cmp_gt_f64_e64 s2, 0, v[242:243]
	v_xor_b32_e32 v213, 0x80000000, v241
	v_xor_b32_e32 v215, 0x80000000, v243
	v_add_nc_u32_e32 v245, 16, v245
	s_waitcnt lgkmcnt(0)
	v_cmp_gt_f64_e64 s3, 0, v[232:233]
	v_cmp_gt_f64_e64 s4, 0, v[234:235]
	v_xor_b32_e32 v219, 0x80000000, v233
	v_xor_b32_e32 v220, 0x80000000, v235
	v_mov_b32_e32 v214, v234
	v_mov_b32_e32 v212, v232
	v_cndmask_b32_e32 v216, v241, v213, vcc_lo
	v_cndmask_b32_e64 v218, v243, v215, s2
	v_cndmask_b32_e32 v215, v240, v240, vcc_lo
	v_cndmask_b32_e64 v217, v242, v242, s2
	s_delay_alu instid0(VALU_DEP_1) | instskip(SKIP_2) | instid1(VALU_DEP_1)
	v_add_f64 v[216:217], v[215:216], v[217:218]
	v_cndmask_b32_e64 v213, v233, v219, s3
	v_cndmask_b32_e64 v215, v235, v220, s4
	v_add_f64 v[212:213], v[212:213], v[214:215]
	s_delay_alu instid0(VALU_DEP_1)
	v_cmp_lt_f64_e32 vcc_lo, v[216:217], v[212:213]
	v_cndmask_b32_e32 v243, v243, v235, vcc_lo
	v_dual_cndmask_b32 v241, v241, v233 :: v_dual_cndmask_b32 v240, v240, v232
	v_cndmask_b32_e32 v242, v242, v234, vcc_lo
	v_cndmask_b32_e64 v248, v248, s6, vcc_lo
	s_add_i32 s6, s6, 1
	s_delay_alu instid0(SALU_CYCLE_1)
	s_cmp_lg_u32 s12, s6
	s_cbranch_scc1 .LBB118_190
.LBB118_191:
	s_set_inst_prefetch_distance 0x2
	s_waitcnt lgkmcnt(0)
	v_cmp_eq_f64_e32 vcc_lo, 0, v[240:241]
	v_cmp_eq_f64_e64 s2, 0, v[242:243]
	s_delay_alu instid0(VALU_DEP_1) | instskip(NEXT) | instid1(SALU_CYCLE_1)
	s_and_b32 s2, vcc_lo, s2
	s_and_saveexec_b32 s3, s2
	s_delay_alu instid0(SALU_CYCLE_1)
	s_xor_b32 s2, exec_lo, s3
; %bb.192:
	v_cmp_ne_u32_e32 vcc_lo, 0, v253
	v_cndmask_b32_e32 v253, 10, v253, vcc_lo
; %bb.193:
	s_and_not1_saveexec_b32 s3, s2
	s_cbranch_execz .LBB118_199
; %bb.194:
	v_cmp_gt_f64_e32 vcc_lo, 0, v[240:241]
	v_cmp_gt_f64_e64 s2, 0, v[242:243]
	v_xor_b32_e32 v212, 0x80000000, v241
	v_xor_b32_e32 v214, 0x80000000, v243
	s_delay_alu instid0(VALU_DEP_2) | instskip(NEXT) | instid1(VALU_DEP_2)
	v_cndmask_b32_e32 v213, v241, v212, vcc_lo
	v_cndmask_b32_e64 v215, v243, v214, s2
	v_cndmask_b32_e32 v212, v240, v240, vcc_lo
	v_cndmask_b32_e64 v214, v242, v242, s2
	s_mov_b32 s2, exec_lo
	s_delay_alu instid0(VALU_DEP_1)
	v_cmpx_ngt_f64_e32 v[212:213], v[214:215]
	s_xor_b32 s2, exec_lo, s2
	s_cbranch_execz .LBB118_196
; %bb.195:
	v_div_scale_f64 v[212:213], null, v[242:243], v[242:243], v[240:241]
	v_div_scale_f64 v[218:219], vcc_lo, v[240:241], v[242:243], v[240:241]
	s_delay_alu instid0(VALU_DEP_2) | instskip(SKIP_2) | instid1(VALU_DEP_1)
	v_rcp_f64_e32 v[214:215], v[212:213]
	s_waitcnt_depctr 0xfff
	v_fma_f64 v[216:217], -v[212:213], v[214:215], 1.0
	v_fma_f64 v[214:215], v[214:215], v[216:217], v[214:215]
	s_delay_alu instid0(VALU_DEP_1) | instskip(NEXT) | instid1(VALU_DEP_1)
	v_fma_f64 v[216:217], -v[212:213], v[214:215], 1.0
	v_fma_f64 v[214:215], v[214:215], v[216:217], v[214:215]
	s_delay_alu instid0(VALU_DEP_1) | instskip(NEXT) | instid1(VALU_DEP_1)
	v_mul_f64 v[216:217], v[218:219], v[214:215]
	v_fma_f64 v[212:213], -v[212:213], v[216:217], v[218:219]
	s_delay_alu instid0(VALU_DEP_1) | instskip(NEXT) | instid1(VALU_DEP_1)
	v_div_fmas_f64 v[212:213], v[212:213], v[214:215], v[216:217]
	v_div_fixup_f64 v[212:213], v[212:213], v[242:243], v[240:241]
	s_delay_alu instid0(VALU_DEP_1) | instskip(NEXT) | instid1(VALU_DEP_1)
	v_fma_f64 v[214:215], v[240:241], v[212:213], v[242:243]
	v_div_scale_f64 v[216:217], null, v[214:215], v[214:215], 1.0
	s_delay_alu instid0(VALU_DEP_1) | instskip(SKIP_2) | instid1(VALU_DEP_1)
	v_rcp_f64_e32 v[218:219], v[216:217]
	s_waitcnt_depctr 0xfff
	v_fma_f64 v[220:221], -v[216:217], v[218:219], 1.0
	v_fma_f64 v[218:219], v[218:219], v[220:221], v[218:219]
	s_delay_alu instid0(VALU_DEP_1) | instskip(NEXT) | instid1(VALU_DEP_1)
	v_fma_f64 v[220:221], -v[216:217], v[218:219], 1.0
	v_fma_f64 v[218:219], v[218:219], v[220:221], v[218:219]
	v_div_scale_f64 v[220:221], vcc_lo, 1.0, v[214:215], 1.0
	s_delay_alu instid0(VALU_DEP_1) | instskip(NEXT) | instid1(VALU_DEP_1)
	v_mul_f64 v[222:223], v[220:221], v[218:219]
	v_fma_f64 v[216:217], -v[216:217], v[222:223], v[220:221]
	s_delay_alu instid0(VALU_DEP_1) | instskip(NEXT) | instid1(VALU_DEP_1)
	v_div_fmas_f64 v[216:217], v[216:217], v[218:219], v[222:223]
	v_div_fixup_f64 v[242:243], v[216:217], v[214:215], 1.0
	s_delay_alu instid0(VALU_DEP_1)
	v_mul_f64 v[240:241], v[212:213], v[242:243]
	v_xor_b32_e32 v243, 0x80000000, v243
.LBB118_196:
	s_and_not1_saveexec_b32 s2, s2
	s_cbranch_execz .LBB118_198
; %bb.197:
	s_delay_alu instid0(VALU_DEP_1) | instskip(SKIP_1) | instid1(VALU_DEP_2)
	v_div_scale_f64 v[212:213], null, v[240:241], v[240:241], v[242:243]
	v_div_scale_f64 v[218:219], vcc_lo, v[242:243], v[240:241], v[242:243]
	v_rcp_f64_e32 v[214:215], v[212:213]
	s_waitcnt_depctr 0xfff
	v_fma_f64 v[216:217], -v[212:213], v[214:215], 1.0
	s_delay_alu instid0(VALU_DEP_1) | instskip(NEXT) | instid1(VALU_DEP_1)
	v_fma_f64 v[214:215], v[214:215], v[216:217], v[214:215]
	v_fma_f64 v[216:217], -v[212:213], v[214:215], 1.0
	s_delay_alu instid0(VALU_DEP_1) | instskip(NEXT) | instid1(VALU_DEP_1)
	v_fma_f64 v[214:215], v[214:215], v[216:217], v[214:215]
	v_mul_f64 v[216:217], v[218:219], v[214:215]
	s_delay_alu instid0(VALU_DEP_1) | instskip(NEXT) | instid1(VALU_DEP_1)
	v_fma_f64 v[212:213], -v[212:213], v[216:217], v[218:219]
	v_div_fmas_f64 v[212:213], v[212:213], v[214:215], v[216:217]
	s_delay_alu instid0(VALU_DEP_1) | instskip(NEXT) | instid1(VALU_DEP_1)
	v_div_fixup_f64 v[212:213], v[212:213], v[240:241], v[242:243]
	v_fma_f64 v[214:215], v[242:243], v[212:213], v[240:241]
	s_delay_alu instid0(VALU_DEP_1) | instskip(NEXT) | instid1(VALU_DEP_1)
	v_div_scale_f64 v[216:217], null, v[214:215], v[214:215], 1.0
	v_rcp_f64_e32 v[218:219], v[216:217]
	s_waitcnt_depctr 0xfff
	v_fma_f64 v[220:221], -v[216:217], v[218:219], 1.0
	s_delay_alu instid0(VALU_DEP_1) | instskip(NEXT) | instid1(VALU_DEP_1)
	v_fma_f64 v[218:219], v[218:219], v[220:221], v[218:219]
	v_fma_f64 v[220:221], -v[216:217], v[218:219], 1.0
	s_delay_alu instid0(VALU_DEP_1) | instskip(SKIP_1) | instid1(VALU_DEP_1)
	v_fma_f64 v[218:219], v[218:219], v[220:221], v[218:219]
	v_div_scale_f64 v[220:221], vcc_lo, 1.0, v[214:215], 1.0
	v_mul_f64 v[222:223], v[220:221], v[218:219]
	s_delay_alu instid0(VALU_DEP_1) | instskip(NEXT) | instid1(VALU_DEP_1)
	v_fma_f64 v[216:217], -v[216:217], v[222:223], v[220:221]
	v_div_fmas_f64 v[216:217], v[216:217], v[218:219], v[222:223]
	s_delay_alu instid0(VALU_DEP_1) | instskip(NEXT) | instid1(VALU_DEP_1)
	v_div_fixup_f64 v[240:241], v[216:217], v[214:215], 1.0
	v_mul_f64 v[242:243], v[212:213], -v[240:241]
.LBB118_198:
	s_or_b32 exec_lo, exec_lo, s2
.LBB118_199:
	s_delay_alu instid0(SALU_CYCLE_1) | instskip(NEXT) | instid1(SALU_CYCLE_1)
	s_or_b32 exec_lo, exec_lo, s3
	s_mov_b32 s2, exec_lo
	v_cmpx_ne_u32_e64 v255, v248
	s_xor_b32 s2, exec_lo, s2
	s_cbranch_execz .LBB118_205
; %bb.200:
	s_mov_b32 s3, exec_lo
	v_cmpx_eq_u32_e32 9, v255
	s_cbranch_execz .LBB118_204
; %bb.201:
	v_cmp_ne_u32_e32 vcc_lo, 9, v248
	s_xor_b32 s4, s5, -1
	s_delay_alu instid0(SALU_CYCLE_1) | instskip(NEXT) | instid1(SALU_CYCLE_1)
	s_and_b32 s6, s4, vcc_lo
	s_and_saveexec_b32 s4, s6
	s_cbranch_execz .LBB118_203
; %bb.202:
	scratch_load_b64 v[208:209], off, off offset:16 ; 8-byte Folded Reload
	v_ashrrev_i32_e32 v249, 31, v248
	s_delay_alu instid0(VALU_DEP_1) | instskip(SKIP_1) | instid1(VALU_DEP_1)
	v_lshlrev_b64 v[212:213], 2, v[248:249]
	s_waitcnt vmcnt(0)
	v_add_co_u32 v212, vcc_lo, v208, v212
	s_delay_alu instid0(VALU_DEP_2)
	v_add_co_ci_u32_e32 v213, vcc_lo, v209, v213, vcc_lo
	s_clause 0x1
	flat_load_b32 v214, v[212:213]
	flat_load_b32 v215, v[208:209] offset:36
	s_waitcnt vmcnt(1) lgkmcnt(1)
	flat_store_b32 v[208:209], v214 offset:36
	s_waitcnt vmcnt(0) lgkmcnt(1)
	flat_store_b32 v[212:213], v215
.LBB118_203:
	s_or_b32 exec_lo, exec_lo, s4
	v_mov_b32_e32 v255, v248
	v_mov_b32_e32 v244, v248
.LBB118_204:
	s_or_b32 exec_lo, exec_lo, s3
.LBB118_205:
	s_and_not1_saveexec_b32 s2, s2
	s_cbranch_execz .LBB118_207
; %bb.206:
	v_mov_b32_e32 v255, 9
	ds_store_2addr_b64 v250, v[196:197], v[198:199] offset0:20 offset1:21
	ds_store_2addr_b64 v250, v[192:193], v[194:195] offset0:22 offset1:23
	;; [unrolled: 1-line block ×50, first 2 shown]
.LBB118_207:
	s_or_b32 exec_lo, exec_lo, s2
	s_delay_alu instid0(SALU_CYCLE_1)
	s_mov_b32 s2, exec_lo
	s_waitcnt lgkmcnt(0)
	s_waitcnt_vscnt null, 0x0
	s_barrier
	buffer_gl0_inv
	v_cmpx_lt_i32_e32 9, v255
	s_cbranch_execz .LBB118_209
; %bb.208:
	v_mul_f64 v[212:213], v[242:243], v[202:203]
	v_mul_f64 v[202:203], v[240:241], v[202:203]
	ds_load_2addr_b64 v[232:235], v250 offset0:20 offset1:21
	v_fma_f64 v[248:249], v[240:241], v[200:201], -v[212:213]
	v_fma_f64 v[202:203], v[242:243], v[200:201], v[202:203]
	s_waitcnt lgkmcnt(0)
	s_delay_alu instid0(VALU_DEP_1) | instskip(SKIP_1) | instid1(VALU_DEP_2)
	v_mul_f64 v[200:201], v[234:235], v[202:203]
	v_mul_f64 v[212:213], v[232:233], v[202:203]
	v_fma_f64 v[200:201], v[232:233], v[248:249], -v[200:201]
	s_delay_alu instid0(VALU_DEP_2)
	v_fma_f64 v[212:213], v[234:235], v[248:249], v[212:213]
	ds_load_2addr_b64 v[232:235], v250 offset0:22 offset1:23
	v_add_f64 v[196:197], v[196:197], -v[200:201]
	v_add_f64 v[198:199], v[198:199], -v[212:213]
	s_waitcnt lgkmcnt(0)
	v_mul_f64 v[200:201], v[234:235], v[202:203]
	v_mul_f64 v[212:213], v[232:233], v[202:203]
	s_delay_alu instid0(VALU_DEP_2) | instskip(NEXT) | instid1(VALU_DEP_2)
	v_fma_f64 v[200:201], v[232:233], v[248:249], -v[200:201]
	v_fma_f64 v[212:213], v[234:235], v[248:249], v[212:213]
	ds_load_2addr_b64 v[232:235], v250 offset0:24 offset1:25
	v_add_f64 v[192:193], v[192:193], -v[200:201]
	v_add_f64 v[194:195], v[194:195], -v[212:213]
	s_waitcnt lgkmcnt(0)
	v_mul_f64 v[200:201], v[234:235], v[202:203]
	v_mul_f64 v[212:213], v[232:233], v[202:203]
	s_delay_alu instid0(VALU_DEP_2) | instskip(NEXT) | instid1(VALU_DEP_2)
	v_fma_f64 v[200:201], v[232:233], v[248:249], -v[200:201]
	;; [unrolled: 9-line block ×49, first 2 shown]
	v_fma_f64 v[212:213], v[234:235], v[248:249], v[212:213]
	s_delay_alu instid0(VALU_DEP_2) | instskip(NEXT) | instid1(VALU_DEP_2)
	v_add_f64 v[228:229], v[228:229], -v[200:201]
	v_add_f64 v[230:231], v[230:231], -v[212:213]
	v_dual_mov_b32 v200, v248 :: v_dual_mov_b32 v201, v249
.LBB118_209:
	s_or_b32 exec_lo, exec_lo, s2
	v_lshl_add_u32 v212, v255, 4, v250
	s_barrier
	buffer_gl0_inv
	v_mov_b32_e32 v248, 10
	ds_store_2addr_b64 v212, v[196:197], v[198:199] offset1:1
	s_waitcnt lgkmcnt(0)
	s_barrier
	buffer_gl0_inv
	ds_load_2addr_b64 v[240:243], v250 offset0:20 offset1:21
	s_cmp_lt_i32 s12, 12
	s_cbranch_scc1 .LBB118_212
; %bb.210:
	v_add3_u32 v245, v254, 0, 0xb0
	v_mov_b32_e32 v248, 10
	s_mov_b32 s6, 11
	s_set_inst_prefetch_distance 0x1
	.p2align	6
.LBB118_211:                            ; =>This Inner Loop Header: Depth=1
	ds_load_2addr_b64 v[232:235], v245 offset1:1
	s_waitcnt lgkmcnt(1)
	v_cmp_gt_f64_e32 vcc_lo, 0, v[240:241]
	v_cmp_gt_f64_e64 s2, 0, v[242:243]
	v_xor_b32_e32 v213, 0x80000000, v241
	v_xor_b32_e32 v215, 0x80000000, v243
	v_add_nc_u32_e32 v245, 16, v245
	s_waitcnt lgkmcnt(0)
	v_cmp_gt_f64_e64 s3, 0, v[232:233]
	v_cmp_gt_f64_e64 s4, 0, v[234:235]
	v_xor_b32_e32 v219, 0x80000000, v233
	v_xor_b32_e32 v220, 0x80000000, v235
	v_mov_b32_e32 v214, v234
	v_mov_b32_e32 v212, v232
	v_cndmask_b32_e32 v216, v241, v213, vcc_lo
	v_cndmask_b32_e64 v218, v243, v215, s2
	v_cndmask_b32_e32 v215, v240, v240, vcc_lo
	v_cndmask_b32_e64 v217, v242, v242, s2
	s_delay_alu instid0(VALU_DEP_1) | instskip(SKIP_2) | instid1(VALU_DEP_1)
	v_add_f64 v[216:217], v[215:216], v[217:218]
	v_cndmask_b32_e64 v213, v233, v219, s3
	v_cndmask_b32_e64 v215, v235, v220, s4
	v_add_f64 v[212:213], v[212:213], v[214:215]
	s_delay_alu instid0(VALU_DEP_1)
	v_cmp_lt_f64_e32 vcc_lo, v[216:217], v[212:213]
	v_cndmask_b32_e32 v243, v243, v235, vcc_lo
	v_dual_cndmask_b32 v241, v241, v233 :: v_dual_cndmask_b32 v240, v240, v232
	v_cndmask_b32_e32 v242, v242, v234, vcc_lo
	v_cndmask_b32_e64 v248, v248, s6, vcc_lo
	s_add_i32 s6, s6, 1
	s_delay_alu instid0(SALU_CYCLE_1)
	s_cmp_lg_u32 s12, s6
	s_cbranch_scc1 .LBB118_211
.LBB118_212:
	s_set_inst_prefetch_distance 0x2
	s_waitcnt lgkmcnt(0)
	v_cmp_eq_f64_e32 vcc_lo, 0, v[240:241]
	v_cmp_eq_f64_e64 s2, 0, v[242:243]
	s_delay_alu instid0(VALU_DEP_1) | instskip(NEXT) | instid1(SALU_CYCLE_1)
	s_and_b32 s2, vcc_lo, s2
	s_and_saveexec_b32 s3, s2
	s_delay_alu instid0(SALU_CYCLE_1)
	s_xor_b32 s2, exec_lo, s3
; %bb.213:
	v_cmp_ne_u32_e32 vcc_lo, 0, v253
	v_cndmask_b32_e32 v253, 11, v253, vcc_lo
; %bb.214:
	s_and_not1_saveexec_b32 s3, s2
	s_cbranch_execz .LBB118_220
; %bb.215:
	v_cmp_gt_f64_e32 vcc_lo, 0, v[240:241]
	v_cmp_gt_f64_e64 s2, 0, v[242:243]
	v_xor_b32_e32 v212, 0x80000000, v241
	v_xor_b32_e32 v214, 0x80000000, v243
	s_delay_alu instid0(VALU_DEP_2) | instskip(NEXT) | instid1(VALU_DEP_2)
	v_cndmask_b32_e32 v213, v241, v212, vcc_lo
	v_cndmask_b32_e64 v215, v243, v214, s2
	v_cndmask_b32_e32 v212, v240, v240, vcc_lo
	v_cndmask_b32_e64 v214, v242, v242, s2
	s_mov_b32 s2, exec_lo
	s_delay_alu instid0(VALU_DEP_1)
	v_cmpx_ngt_f64_e32 v[212:213], v[214:215]
	s_xor_b32 s2, exec_lo, s2
	s_cbranch_execz .LBB118_217
; %bb.216:
	v_div_scale_f64 v[212:213], null, v[242:243], v[242:243], v[240:241]
	v_div_scale_f64 v[218:219], vcc_lo, v[240:241], v[242:243], v[240:241]
	s_delay_alu instid0(VALU_DEP_2) | instskip(SKIP_2) | instid1(VALU_DEP_1)
	v_rcp_f64_e32 v[214:215], v[212:213]
	s_waitcnt_depctr 0xfff
	v_fma_f64 v[216:217], -v[212:213], v[214:215], 1.0
	v_fma_f64 v[214:215], v[214:215], v[216:217], v[214:215]
	s_delay_alu instid0(VALU_DEP_1) | instskip(NEXT) | instid1(VALU_DEP_1)
	v_fma_f64 v[216:217], -v[212:213], v[214:215], 1.0
	v_fma_f64 v[214:215], v[214:215], v[216:217], v[214:215]
	s_delay_alu instid0(VALU_DEP_1) | instskip(NEXT) | instid1(VALU_DEP_1)
	v_mul_f64 v[216:217], v[218:219], v[214:215]
	v_fma_f64 v[212:213], -v[212:213], v[216:217], v[218:219]
	s_delay_alu instid0(VALU_DEP_1) | instskip(NEXT) | instid1(VALU_DEP_1)
	v_div_fmas_f64 v[212:213], v[212:213], v[214:215], v[216:217]
	v_div_fixup_f64 v[212:213], v[212:213], v[242:243], v[240:241]
	s_delay_alu instid0(VALU_DEP_1) | instskip(NEXT) | instid1(VALU_DEP_1)
	v_fma_f64 v[214:215], v[240:241], v[212:213], v[242:243]
	v_div_scale_f64 v[216:217], null, v[214:215], v[214:215], 1.0
	s_delay_alu instid0(VALU_DEP_1) | instskip(SKIP_2) | instid1(VALU_DEP_1)
	v_rcp_f64_e32 v[218:219], v[216:217]
	s_waitcnt_depctr 0xfff
	v_fma_f64 v[220:221], -v[216:217], v[218:219], 1.0
	v_fma_f64 v[218:219], v[218:219], v[220:221], v[218:219]
	s_delay_alu instid0(VALU_DEP_1) | instskip(NEXT) | instid1(VALU_DEP_1)
	v_fma_f64 v[220:221], -v[216:217], v[218:219], 1.0
	v_fma_f64 v[218:219], v[218:219], v[220:221], v[218:219]
	v_div_scale_f64 v[220:221], vcc_lo, 1.0, v[214:215], 1.0
	s_delay_alu instid0(VALU_DEP_1) | instskip(NEXT) | instid1(VALU_DEP_1)
	v_mul_f64 v[222:223], v[220:221], v[218:219]
	v_fma_f64 v[216:217], -v[216:217], v[222:223], v[220:221]
	s_delay_alu instid0(VALU_DEP_1) | instskip(NEXT) | instid1(VALU_DEP_1)
	v_div_fmas_f64 v[216:217], v[216:217], v[218:219], v[222:223]
	v_div_fixup_f64 v[242:243], v[216:217], v[214:215], 1.0
	s_delay_alu instid0(VALU_DEP_1)
	v_mul_f64 v[240:241], v[212:213], v[242:243]
	v_xor_b32_e32 v243, 0x80000000, v243
.LBB118_217:
	s_and_not1_saveexec_b32 s2, s2
	s_cbranch_execz .LBB118_219
; %bb.218:
	s_delay_alu instid0(VALU_DEP_1) | instskip(SKIP_1) | instid1(VALU_DEP_2)
	v_div_scale_f64 v[212:213], null, v[240:241], v[240:241], v[242:243]
	v_div_scale_f64 v[218:219], vcc_lo, v[242:243], v[240:241], v[242:243]
	v_rcp_f64_e32 v[214:215], v[212:213]
	s_waitcnt_depctr 0xfff
	v_fma_f64 v[216:217], -v[212:213], v[214:215], 1.0
	s_delay_alu instid0(VALU_DEP_1) | instskip(NEXT) | instid1(VALU_DEP_1)
	v_fma_f64 v[214:215], v[214:215], v[216:217], v[214:215]
	v_fma_f64 v[216:217], -v[212:213], v[214:215], 1.0
	s_delay_alu instid0(VALU_DEP_1) | instskip(NEXT) | instid1(VALU_DEP_1)
	v_fma_f64 v[214:215], v[214:215], v[216:217], v[214:215]
	v_mul_f64 v[216:217], v[218:219], v[214:215]
	s_delay_alu instid0(VALU_DEP_1) | instskip(NEXT) | instid1(VALU_DEP_1)
	v_fma_f64 v[212:213], -v[212:213], v[216:217], v[218:219]
	v_div_fmas_f64 v[212:213], v[212:213], v[214:215], v[216:217]
	s_delay_alu instid0(VALU_DEP_1) | instskip(NEXT) | instid1(VALU_DEP_1)
	v_div_fixup_f64 v[212:213], v[212:213], v[240:241], v[242:243]
	v_fma_f64 v[214:215], v[242:243], v[212:213], v[240:241]
	s_delay_alu instid0(VALU_DEP_1) | instskip(NEXT) | instid1(VALU_DEP_1)
	v_div_scale_f64 v[216:217], null, v[214:215], v[214:215], 1.0
	v_rcp_f64_e32 v[218:219], v[216:217]
	s_waitcnt_depctr 0xfff
	v_fma_f64 v[220:221], -v[216:217], v[218:219], 1.0
	s_delay_alu instid0(VALU_DEP_1) | instskip(NEXT) | instid1(VALU_DEP_1)
	v_fma_f64 v[218:219], v[218:219], v[220:221], v[218:219]
	v_fma_f64 v[220:221], -v[216:217], v[218:219], 1.0
	s_delay_alu instid0(VALU_DEP_1) | instskip(SKIP_1) | instid1(VALU_DEP_1)
	v_fma_f64 v[218:219], v[218:219], v[220:221], v[218:219]
	v_div_scale_f64 v[220:221], vcc_lo, 1.0, v[214:215], 1.0
	v_mul_f64 v[222:223], v[220:221], v[218:219]
	s_delay_alu instid0(VALU_DEP_1) | instskip(NEXT) | instid1(VALU_DEP_1)
	v_fma_f64 v[216:217], -v[216:217], v[222:223], v[220:221]
	v_div_fmas_f64 v[216:217], v[216:217], v[218:219], v[222:223]
	s_delay_alu instid0(VALU_DEP_1) | instskip(NEXT) | instid1(VALU_DEP_1)
	v_div_fixup_f64 v[240:241], v[216:217], v[214:215], 1.0
	v_mul_f64 v[242:243], v[212:213], -v[240:241]
.LBB118_219:
	s_or_b32 exec_lo, exec_lo, s2
.LBB118_220:
	s_delay_alu instid0(SALU_CYCLE_1) | instskip(NEXT) | instid1(SALU_CYCLE_1)
	s_or_b32 exec_lo, exec_lo, s3
	s_mov_b32 s2, exec_lo
	v_cmpx_ne_u32_e64 v255, v248
	s_xor_b32 s2, exec_lo, s2
	s_cbranch_execz .LBB118_226
; %bb.221:
	s_mov_b32 s3, exec_lo
	v_cmpx_eq_u32_e32 10, v255
	s_cbranch_execz .LBB118_225
; %bb.222:
	v_cmp_ne_u32_e32 vcc_lo, 10, v248
	s_xor_b32 s4, s5, -1
	s_delay_alu instid0(SALU_CYCLE_1) | instskip(NEXT) | instid1(SALU_CYCLE_1)
	s_and_b32 s6, s4, vcc_lo
	s_and_saveexec_b32 s4, s6
	s_cbranch_execz .LBB118_224
; %bb.223:
	scratch_load_b64 v[208:209], off, off offset:16 ; 8-byte Folded Reload
	v_ashrrev_i32_e32 v249, 31, v248
	s_delay_alu instid0(VALU_DEP_1) | instskip(SKIP_1) | instid1(VALU_DEP_1)
	v_lshlrev_b64 v[212:213], 2, v[248:249]
	s_waitcnt vmcnt(0)
	v_add_co_u32 v212, vcc_lo, v208, v212
	s_delay_alu instid0(VALU_DEP_2)
	v_add_co_ci_u32_e32 v213, vcc_lo, v209, v213, vcc_lo
	s_clause 0x1
	flat_load_b32 v214, v[212:213]
	flat_load_b32 v215, v[208:209] offset:40
	s_waitcnt vmcnt(1) lgkmcnt(1)
	flat_store_b32 v[208:209], v214 offset:40
	s_waitcnt vmcnt(0) lgkmcnt(1)
	flat_store_b32 v[212:213], v215
.LBB118_224:
	s_or_b32 exec_lo, exec_lo, s4
	v_mov_b32_e32 v255, v248
	v_mov_b32_e32 v244, v248
.LBB118_225:
	s_or_b32 exec_lo, exec_lo, s3
.LBB118_226:
	s_and_not1_saveexec_b32 s2, s2
	s_cbranch_execz .LBB118_228
; %bb.227:
	v_mov_b32_e32 v255, 10
	ds_store_2addr_b64 v250, v[192:193], v[194:195] offset0:22 offset1:23
	ds_store_2addr_b64 v250, v[188:189], v[190:191] offset0:24 offset1:25
	;; [unrolled: 1-line block ×49, first 2 shown]
.LBB118_228:
	s_or_b32 exec_lo, exec_lo, s2
	s_delay_alu instid0(SALU_CYCLE_1)
	s_mov_b32 s2, exec_lo
	s_waitcnt lgkmcnt(0)
	s_waitcnt_vscnt null, 0x0
	s_barrier
	buffer_gl0_inv
	v_cmpx_lt_i32_e32 10, v255
	s_cbranch_execz .LBB118_230
; %bb.229:
	v_mul_f64 v[212:213], v[242:243], v[198:199]
	v_mul_f64 v[198:199], v[240:241], v[198:199]
	ds_load_2addr_b64 v[232:235], v250 offset0:22 offset1:23
	v_fma_f64 v[248:249], v[240:241], v[196:197], -v[212:213]
	v_fma_f64 v[198:199], v[242:243], v[196:197], v[198:199]
	s_waitcnt lgkmcnt(0)
	s_delay_alu instid0(VALU_DEP_1) | instskip(SKIP_1) | instid1(VALU_DEP_2)
	v_mul_f64 v[196:197], v[234:235], v[198:199]
	v_mul_f64 v[212:213], v[232:233], v[198:199]
	v_fma_f64 v[196:197], v[232:233], v[248:249], -v[196:197]
	s_delay_alu instid0(VALU_DEP_2)
	v_fma_f64 v[212:213], v[234:235], v[248:249], v[212:213]
	ds_load_2addr_b64 v[232:235], v250 offset0:24 offset1:25
	v_add_f64 v[192:193], v[192:193], -v[196:197]
	v_add_f64 v[194:195], v[194:195], -v[212:213]
	s_waitcnt lgkmcnt(0)
	v_mul_f64 v[196:197], v[234:235], v[198:199]
	v_mul_f64 v[212:213], v[232:233], v[198:199]
	s_delay_alu instid0(VALU_DEP_2) | instskip(NEXT) | instid1(VALU_DEP_2)
	v_fma_f64 v[196:197], v[232:233], v[248:249], -v[196:197]
	v_fma_f64 v[212:213], v[234:235], v[248:249], v[212:213]
	ds_load_2addr_b64 v[232:235], v250 offset0:26 offset1:27
	v_add_f64 v[188:189], v[188:189], -v[196:197]
	v_add_f64 v[190:191], v[190:191], -v[212:213]
	s_waitcnt lgkmcnt(0)
	v_mul_f64 v[196:197], v[234:235], v[198:199]
	v_mul_f64 v[212:213], v[232:233], v[198:199]
	s_delay_alu instid0(VALU_DEP_2) | instskip(NEXT) | instid1(VALU_DEP_2)
	v_fma_f64 v[196:197], v[232:233], v[248:249], -v[196:197]
	;; [unrolled: 9-line block ×48, first 2 shown]
	v_fma_f64 v[212:213], v[234:235], v[248:249], v[212:213]
	s_delay_alu instid0(VALU_DEP_2) | instskip(NEXT) | instid1(VALU_DEP_2)
	v_add_f64 v[228:229], v[228:229], -v[196:197]
	v_add_f64 v[230:231], v[230:231], -v[212:213]
	v_dual_mov_b32 v196, v248 :: v_dual_mov_b32 v197, v249
.LBB118_230:
	s_or_b32 exec_lo, exec_lo, s2
	v_lshl_add_u32 v212, v255, 4, v250
	s_barrier
	buffer_gl0_inv
	v_mov_b32_e32 v248, 11
	ds_store_2addr_b64 v212, v[192:193], v[194:195] offset1:1
	s_waitcnt lgkmcnt(0)
	s_barrier
	buffer_gl0_inv
	ds_load_2addr_b64 v[240:243], v250 offset0:22 offset1:23
	s_cmp_lt_i32 s12, 13
	s_cbranch_scc1 .LBB118_233
; %bb.231:
	v_add3_u32 v245, v254, 0, 0xc0
	v_mov_b32_e32 v248, 11
	s_mov_b32 s6, 12
	s_set_inst_prefetch_distance 0x1
	.p2align	6
.LBB118_232:                            ; =>This Inner Loop Header: Depth=1
	ds_load_2addr_b64 v[232:235], v245 offset1:1
	s_waitcnt lgkmcnt(1)
	v_cmp_gt_f64_e32 vcc_lo, 0, v[240:241]
	v_cmp_gt_f64_e64 s2, 0, v[242:243]
	v_xor_b32_e32 v213, 0x80000000, v241
	v_xor_b32_e32 v215, 0x80000000, v243
	v_add_nc_u32_e32 v245, 16, v245
	s_waitcnt lgkmcnt(0)
	v_cmp_gt_f64_e64 s3, 0, v[232:233]
	v_cmp_gt_f64_e64 s4, 0, v[234:235]
	v_xor_b32_e32 v219, 0x80000000, v233
	v_xor_b32_e32 v220, 0x80000000, v235
	v_mov_b32_e32 v214, v234
	v_mov_b32_e32 v212, v232
	v_cndmask_b32_e32 v216, v241, v213, vcc_lo
	v_cndmask_b32_e64 v218, v243, v215, s2
	v_cndmask_b32_e32 v215, v240, v240, vcc_lo
	v_cndmask_b32_e64 v217, v242, v242, s2
	s_delay_alu instid0(VALU_DEP_1) | instskip(SKIP_2) | instid1(VALU_DEP_1)
	v_add_f64 v[216:217], v[215:216], v[217:218]
	v_cndmask_b32_e64 v213, v233, v219, s3
	v_cndmask_b32_e64 v215, v235, v220, s4
	v_add_f64 v[212:213], v[212:213], v[214:215]
	s_delay_alu instid0(VALU_DEP_1)
	v_cmp_lt_f64_e32 vcc_lo, v[216:217], v[212:213]
	v_cndmask_b32_e32 v243, v243, v235, vcc_lo
	v_dual_cndmask_b32 v241, v241, v233 :: v_dual_cndmask_b32 v240, v240, v232
	v_cndmask_b32_e32 v242, v242, v234, vcc_lo
	v_cndmask_b32_e64 v248, v248, s6, vcc_lo
	s_add_i32 s6, s6, 1
	s_delay_alu instid0(SALU_CYCLE_1)
	s_cmp_lg_u32 s12, s6
	s_cbranch_scc1 .LBB118_232
.LBB118_233:
	s_set_inst_prefetch_distance 0x2
	s_waitcnt lgkmcnt(0)
	v_cmp_eq_f64_e32 vcc_lo, 0, v[240:241]
	v_cmp_eq_f64_e64 s2, 0, v[242:243]
	s_delay_alu instid0(VALU_DEP_1) | instskip(NEXT) | instid1(SALU_CYCLE_1)
	s_and_b32 s2, vcc_lo, s2
	s_and_saveexec_b32 s3, s2
	s_delay_alu instid0(SALU_CYCLE_1)
	s_xor_b32 s2, exec_lo, s3
; %bb.234:
	v_cmp_ne_u32_e32 vcc_lo, 0, v253
	v_cndmask_b32_e32 v253, 12, v253, vcc_lo
; %bb.235:
	s_and_not1_saveexec_b32 s3, s2
	s_cbranch_execz .LBB118_241
; %bb.236:
	v_cmp_gt_f64_e32 vcc_lo, 0, v[240:241]
	v_cmp_gt_f64_e64 s2, 0, v[242:243]
	v_xor_b32_e32 v212, 0x80000000, v241
	v_xor_b32_e32 v214, 0x80000000, v243
	s_delay_alu instid0(VALU_DEP_2) | instskip(NEXT) | instid1(VALU_DEP_2)
	v_cndmask_b32_e32 v213, v241, v212, vcc_lo
	v_cndmask_b32_e64 v215, v243, v214, s2
	v_cndmask_b32_e32 v212, v240, v240, vcc_lo
	v_cndmask_b32_e64 v214, v242, v242, s2
	s_mov_b32 s2, exec_lo
	s_delay_alu instid0(VALU_DEP_1)
	v_cmpx_ngt_f64_e32 v[212:213], v[214:215]
	s_xor_b32 s2, exec_lo, s2
	s_cbranch_execz .LBB118_238
; %bb.237:
	v_div_scale_f64 v[212:213], null, v[242:243], v[242:243], v[240:241]
	v_div_scale_f64 v[218:219], vcc_lo, v[240:241], v[242:243], v[240:241]
	s_delay_alu instid0(VALU_DEP_2) | instskip(SKIP_2) | instid1(VALU_DEP_1)
	v_rcp_f64_e32 v[214:215], v[212:213]
	s_waitcnt_depctr 0xfff
	v_fma_f64 v[216:217], -v[212:213], v[214:215], 1.0
	v_fma_f64 v[214:215], v[214:215], v[216:217], v[214:215]
	s_delay_alu instid0(VALU_DEP_1) | instskip(NEXT) | instid1(VALU_DEP_1)
	v_fma_f64 v[216:217], -v[212:213], v[214:215], 1.0
	v_fma_f64 v[214:215], v[214:215], v[216:217], v[214:215]
	s_delay_alu instid0(VALU_DEP_1) | instskip(NEXT) | instid1(VALU_DEP_1)
	v_mul_f64 v[216:217], v[218:219], v[214:215]
	v_fma_f64 v[212:213], -v[212:213], v[216:217], v[218:219]
	s_delay_alu instid0(VALU_DEP_1) | instskip(NEXT) | instid1(VALU_DEP_1)
	v_div_fmas_f64 v[212:213], v[212:213], v[214:215], v[216:217]
	v_div_fixup_f64 v[212:213], v[212:213], v[242:243], v[240:241]
	s_delay_alu instid0(VALU_DEP_1) | instskip(NEXT) | instid1(VALU_DEP_1)
	v_fma_f64 v[214:215], v[240:241], v[212:213], v[242:243]
	v_div_scale_f64 v[216:217], null, v[214:215], v[214:215], 1.0
	s_delay_alu instid0(VALU_DEP_1) | instskip(SKIP_2) | instid1(VALU_DEP_1)
	v_rcp_f64_e32 v[218:219], v[216:217]
	s_waitcnt_depctr 0xfff
	v_fma_f64 v[220:221], -v[216:217], v[218:219], 1.0
	v_fma_f64 v[218:219], v[218:219], v[220:221], v[218:219]
	s_delay_alu instid0(VALU_DEP_1) | instskip(NEXT) | instid1(VALU_DEP_1)
	v_fma_f64 v[220:221], -v[216:217], v[218:219], 1.0
	v_fma_f64 v[218:219], v[218:219], v[220:221], v[218:219]
	v_div_scale_f64 v[220:221], vcc_lo, 1.0, v[214:215], 1.0
	s_delay_alu instid0(VALU_DEP_1) | instskip(NEXT) | instid1(VALU_DEP_1)
	v_mul_f64 v[222:223], v[220:221], v[218:219]
	v_fma_f64 v[216:217], -v[216:217], v[222:223], v[220:221]
	s_delay_alu instid0(VALU_DEP_1) | instskip(NEXT) | instid1(VALU_DEP_1)
	v_div_fmas_f64 v[216:217], v[216:217], v[218:219], v[222:223]
	v_div_fixup_f64 v[242:243], v[216:217], v[214:215], 1.0
	s_delay_alu instid0(VALU_DEP_1)
	v_mul_f64 v[240:241], v[212:213], v[242:243]
	v_xor_b32_e32 v243, 0x80000000, v243
.LBB118_238:
	s_and_not1_saveexec_b32 s2, s2
	s_cbranch_execz .LBB118_240
; %bb.239:
	s_delay_alu instid0(VALU_DEP_1) | instskip(SKIP_1) | instid1(VALU_DEP_2)
	v_div_scale_f64 v[212:213], null, v[240:241], v[240:241], v[242:243]
	v_div_scale_f64 v[218:219], vcc_lo, v[242:243], v[240:241], v[242:243]
	v_rcp_f64_e32 v[214:215], v[212:213]
	s_waitcnt_depctr 0xfff
	v_fma_f64 v[216:217], -v[212:213], v[214:215], 1.0
	s_delay_alu instid0(VALU_DEP_1) | instskip(NEXT) | instid1(VALU_DEP_1)
	v_fma_f64 v[214:215], v[214:215], v[216:217], v[214:215]
	v_fma_f64 v[216:217], -v[212:213], v[214:215], 1.0
	s_delay_alu instid0(VALU_DEP_1) | instskip(NEXT) | instid1(VALU_DEP_1)
	v_fma_f64 v[214:215], v[214:215], v[216:217], v[214:215]
	v_mul_f64 v[216:217], v[218:219], v[214:215]
	s_delay_alu instid0(VALU_DEP_1) | instskip(NEXT) | instid1(VALU_DEP_1)
	v_fma_f64 v[212:213], -v[212:213], v[216:217], v[218:219]
	v_div_fmas_f64 v[212:213], v[212:213], v[214:215], v[216:217]
	s_delay_alu instid0(VALU_DEP_1) | instskip(NEXT) | instid1(VALU_DEP_1)
	v_div_fixup_f64 v[212:213], v[212:213], v[240:241], v[242:243]
	v_fma_f64 v[214:215], v[242:243], v[212:213], v[240:241]
	s_delay_alu instid0(VALU_DEP_1) | instskip(NEXT) | instid1(VALU_DEP_1)
	v_div_scale_f64 v[216:217], null, v[214:215], v[214:215], 1.0
	v_rcp_f64_e32 v[218:219], v[216:217]
	s_waitcnt_depctr 0xfff
	v_fma_f64 v[220:221], -v[216:217], v[218:219], 1.0
	s_delay_alu instid0(VALU_DEP_1) | instskip(NEXT) | instid1(VALU_DEP_1)
	v_fma_f64 v[218:219], v[218:219], v[220:221], v[218:219]
	v_fma_f64 v[220:221], -v[216:217], v[218:219], 1.0
	s_delay_alu instid0(VALU_DEP_1) | instskip(SKIP_1) | instid1(VALU_DEP_1)
	v_fma_f64 v[218:219], v[218:219], v[220:221], v[218:219]
	v_div_scale_f64 v[220:221], vcc_lo, 1.0, v[214:215], 1.0
	v_mul_f64 v[222:223], v[220:221], v[218:219]
	s_delay_alu instid0(VALU_DEP_1) | instskip(NEXT) | instid1(VALU_DEP_1)
	v_fma_f64 v[216:217], -v[216:217], v[222:223], v[220:221]
	v_div_fmas_f64 v[216:217], v[216:217], v[218:219], v[222:223]
	s_delay_alu instid0(VALU_DEP_1) | instskip(NEXT) | instid1(VALU_DEP_1)
	v_div_fixup_f64 v[240:241], v[216:217], v[214:215], 1.0
	v_mul_f64 v[242:243], v[212:213], -v[240:241]
.LBB118_240:
	s_or_b32 exec_lo, exec_lo, s2
.LBB118_241:
	s_delay_alu instid0(SALU_CYCLE_1) | instskip(NEXT) | instid1(SALU_CYCLE_1)
	s_or_b32 exec_lo, exec_lo, s3
	s_mov_b32 s2, exec_lo
	v_cmpx_ne_u32_e64 v255, v248
	s_xor_b32 s2, exec_lo, s2
	s_cbranch_execz .LBB118_247
; %bb.242:
	s_mov_b32 s3, exec_lo
	v_cmpx_eq_u32_e32 11, v255
	s_cbranch_execz .LBB118_246
; %bb.243:
	v_cmp_ne_u32_e32 vcc_lo, 11, v248
	s_xor_b32 s4, s5, -1
	s_delay_alu instid0(SALU_CYCLE_1) | instskip(NEXT) | instid1(SALU_CYCLE_1)
	s_and_b32 s6, s4, vcc_lo
	s_and_saveexec_b32 s4, s6
	s_cbranch_execz .LBB118_245
; %bb.244:
	scratch_load_b64 v[208:209], off, off offset:16 ; 8-byte Folded Reload
	v_ashrrev_i32_e32 v249, 31, v248
	s_delay_alu instid0(VALU_DEP_1) | instskip(SKIP_1) | instid1(VALU_DEP_1)
	v_lshlrev_b64 v[212:213], 2, v[248:249]
	s_waitcnt vmcnt(0)
	v_add_co_u32 v212, vcc_lo, v208, v212
	s_delay_alu instid0(VALU_DEP_2)
	v_add_co_ci_u32_e32 v213, vcc_lo, v209, v213, vcc_lo
	s_clause 0x1
	flat_load_b32 v214, v[212:213]
	flat_load_b32 v215, v[208:209] offset:44
	s_waitcnt vmcnt(1) lgkmcnt(1)
	flat_store_b32 v[208:209], v214 offset:44
	s_waitcnt vmcnt(0) lgkmcnt(1)
	flat_store_b32 v[212:213], v215
.LBB118_245:
	s_or_b32 exec_lo, exec_lo, s4
	v_mov_b32_e32 v255, v248
	v_mov_b32_e32 v244, v248
.LBB118_246:
	s_or_b32 exec_lo, exec_lo, s3
.LBB118_247:
	s_and_not1_saveexec_b32 s2, s2
	s_cbranch_execz .LBB118_249
; %bb.248:
	v_mov_b32_e32 v255, 11
	ds_store_2addr_b64 v250, v[188:189], v[190:191] offset0:24 offset1:25
	ds_store_2addr_b64 v250, v[184:185], v[186:187] offset0:26 offset1:27
	;; [unrolled: 1-line block ×48, first 2 shown]
.LBB118_249:
	s_or_b32 exec_lo, exec_lo, s2
	s_delay_alu instid0(SALU_CYCLE_1)
	s_mov_b32 s2, exec_lo
	s_waitcnt lgkmcnt(0)
	s_waitcnt_vscnt null, 0x0
	s_barrier
	buffer_gl0_inv
	v_cmpx_lt_i32_e32 11, v255
	s_cbranch_execz .LBB118_251
; %bb.250:
	v_mul_f64 v[212:213], v[242:243], v[194:195]
	v_mul_f64 v[194:195], v[240:241], v[194:195]
	ds_load_2addr_b64 v[232:235], v250 offset0:24 offset1:25
	v_fma_f64 v[248:249], v[240:241], v[192:193], -v[212:213]
	v_fma_f64 v[194:195], v[242:243], v[192:193], v[194:195]
	s_waitcnt lgkmcnt(0)
	s_delay_alu instid0(VALU_DEP_1) | instskip(SKIP_1) | instid1(VALU_DEP_2)
	v_mul_f64 v[192:193], v[234:235], v[194:195]
	v_mul_f64 v[212:213], v[232:233], v[194:195]
	v_fma_f64 v[192:193], v[232:233], v[248:249], -v[192:193]
	s_delay_alu instid0(VALU_DEP_2)
	v_fma_f64 v[212:213], v[234:235], v[248:249], v[212:213]
	ds_load_2addr_b64 v[232:235], v250 offset0:26 offset1:27
	v_add_f64 v[188:189], v[188:189], -v[192:193]
	v_add_f64 v[190:191], v[190:191], -v[212:213]
	s_waitcnt lgkmcnt(0)
	v_mul_f64 v[192:193], v[234:235], v[194:195]
	v_mul_f64 v[212:213], v[232:233], v[194:195]
	s_delay_alu instid0(VALU_DEP_2) | instskip(NEXT) | instid1(VALU_DEP_2)
	v_fma_f64 v[192:193], v[232:233], v[248:249], -v[192:193]
	v_fma_f64 v[212:213], v[234:235], v[248:249], v[212:213]
	ds_load_2addr_b64 v[232:235], v250 offset0:28 offset1:29
	v_add_f64 v[184:185], v[184:185], -v[192:193]
	v_add_f64 v[186:187], v[186:187], -v[212:213]
	s_waitcnt lgkmcnt(0)
	v_mul_f64 v[192:193], v[234:235], v[194:195]
	v_mul_f64 v[212:213], v[232:233], v[194:195]
	s_delay_alu instid0(VALU_DEP_2) | instskip(NEXT) | instid1(VALU_DEP_2)
	v_fma_f64 v[192:193], v[232:233], v[248:249], -v[192:193]
	;; [unrolled: 9-line block ×47, first 2 shown]
	v_fma_f64 v[212:213], v[234:235], v[248:249], v[212:213]
	s_delay_alu instid0(VALU_DEP_2) | instskip(NEXT) | instid1(VALU_DEP_2)
	v_add_f64 v[228:229], v[228:229], -v[192:193]
	v_add_f64 v[230:231], v[230:231], -v[212:213]
	v_dual_mov_b32 v192, v248 :: v_dual_mov_b32 v193, v249
.LBB118_251:
	s_or_b32 exec_lo, exec_lo, s2
	v_lshl_add_u32 v212, v255, 4, v250
	s_barrier
	buffer_gl0_inv
	v_mov_b32_e32 v248, 12
	ds_store_2addr_b64 v212, v[188:189], v[190:191] offset1:1
	s_waitcnt lgkmcnt(0)
	s_barrier
	buffer_gl0_inv
	ds_load_2addr_b64 v[240:243], v250 offset0:24 offset1:25
	s_cmp_lt_i32 s12, 14
	s_cbranch_scc1 .LBB118_254
; %bb.252:
	v_add3_u32 v245, v254, 0, 0xd0
	v_mov_b32_e32 v248, 12
	s_mov_b32 s6, 13
	s_set_inst_prefetch_distance 0x1
	.p2align	6
.LBB118_253:                            ; =>This Inner Loop Header: Depth=1
	ds_load_2addr_b64 v[232:235], v245 offset1:1
	s_waitcnt lgkmcnt(1)
	v_cmp_gt_f64_e32 vcc_lo, 0, v[240:241]
	v_cmp_gt_f64_e64 s2, 0, v[242:243]
	v_xor_b32_e32 v213, 0x80000000, v241
	v_xor_b32_e32 v215, 0x80000000, v243
	v_add_nc_u32_e32 v245, 16, v245
	s_waitcnt lgkmcnt(0)
	v_cmp_gt_f64_e64 s3, 0, v[232:233]
	v_cmp_gt_f64_e64 s4, 0, v[234:235]
	v_xor_b32_e32 v219, 0x80000000, v233
	v_xor_b32_e32 v220, 0x80000000, v235
	v_mov_b32_e32 v214, v234
	v_mov_b32_e32 v212, v232
	v_cndmask_b32_e32 v216, v241, v213, vcc_lo
	v_cndmask_b32_e64 v218, v243, v215, s2
	v_cndmask_b32_e32 v215, v240, v240, vcc_lo
	v_cndmask_b32_e64 v217, v242, v242, s2
	s_delay_alu instid0(VALU_DEP_1) | instskip(SKIP_2) | instid1(VALU_DEP_1)
	v_add_f64 v[216:217], v[215:216], v[217:218]
	v_cndmask_b32_e64 v213, v233, v219, s3
	v_cndmask_b32_e64 v215, v235, v220, s4
	v_add_f64 v[212:213], v[212:213], v[214:215]
	s_delay_alu instid0(VALU_DEP_1)
	v_cmp_lt_f64_e32 vcc_lo, v[216:217], v[212:213]
	v_cndmask_b32_e32 v243, v243, v235, vcc_lo
	v_dual_cndmask_b32 v241, v241, v233 :: v_dual_cndmask_b32 v240, v240, v232
	v_cndmask_b32_e32 v242, v242, v234, vcc_lo
	v_cndmask_b32_e64 v248, v248, s6, vcc_lo
	s_add_i32 s6, s6, 1
	s_delay_alu instid0(SALU_CYCLE_1)
	s_cmp_lg_u32 s12, s6
	s_cbranch_scc1 .LBB118_253
.LBB118_254:
	s_set_inst_prefetch_distance 0x2
	s_waitcnt lgkmcnt(0)
	v_cmp_eq_f64_e32 vcc_lo, 0, v[240:241]
	v_cmp_eq_f64_e64 s2, 0, v[242:243]
	s_delay_alu instid0(VALU_DEP_1) | instskip(NEXT) | instid1(SALU_CYCLE_1)
	s_and_b32 s2, vcc_lo, s2
	s_and_saveexec_b32 s3, s2
	s_delay_alu instid0(SALU_CYCLE_1)
	s_xor_b32 s2, exec_lo, s3
; %bb.255:
	v_cmp_ne_u32_e32 vcc_lo, 0, v253
	v_cndmask_b32_e32 v253, 13, v253, vcc_lo
; %bb.256:
	s_and_not1_saveexec_b32 s3, s2
	s_cbranch_execz .LBB118_262
; %bb.257:
	v_cmp_gt_f64_e32 vcc_lo, 0, v[240:241]
	v_cmp_gt_f64_e64 s2, 0, v[242:243]
	v_xor_b32_e32 v212, 0x80000000, v241
	v_xor_b32_e32 v214, 0x80000000, v243
	s_delay_alu instid0(VALU_DEP_2) | instskip(NEXT) | instid1(VALU_DEP_2)
	v_cndmask_b32_e32 v213, v241, v212, vcc_lo
	v_cndmask_b32_e64 v215, v243, v214, s2
	v_cndmask_b32_e32 v212, v240, v240, vcc_lo
	v_cndmask_b32_e64 v214, v242, v242, s2
	s_mov_b32 s2, exec_lo
	s_delay_alu instid0(VALU_DEP_1)
	v_cmpx_ngt_f64_e32 v[212:213], v[214:215]
	s_xor_b32 s2, exec_lo, s2
	s_cbranch_execz .LBB118_259
; %bb.258:
	v_div_scale_f64 v[212:213], null, v[242:243], v[242:243], v[240:241]
	v_div_scale_f64 v[218:219], vcc_lo, v[240:241], v[242:243], v[240:241]
	s_delay_alu instid0(VALU_DEP_2) | instskip(SKIP_2) | instid1(VALU_DEP_1)
	v_rcp_f64_e32 v[214:215], v[212:213]
	s_waitcnt_depctr 0xfff
	v_fma_f64 v[216:217], -v[212:213], v[214:215], 1.0
	v_fma_f64 v[214:215], v[214:215], v[216:217], v[214:215]
	s_delay_alu instid0(VALU_DEP_1) | instskip(NEXT) | instid1(VALU_DEP_1)
	v_fma_f64 v[216:217], -v[212:213], v[214:215], 1.0
	v_fma_f64 v[214:215], v[214:215], v[216:217], v[214:215]
	s_delay_alu instid0(VALU_DEP_1) | instskip(NEXT) | instid1(VALU_DEP_1)
	v_mul_f64 v[216:217], v[218:219], v[214:215]
	v_fma_f64 v[212:213], -v[212:213], v[216:217], v[218:219]
	s_delay_alu instid0(VALU_DEP_1) | instskip(NEXT) | instid1(VALU_DEP_1)
	v_div_fmas_f64 v[212:213], v[212:213], v[214:215], v[216:217]
	v_div_fixup_f64 v[212:213], v[212:213], v[242:243], v[240:241]
	s_delay_alu instid0(VALU_DEP_1) | instskip(NEXT) | instid1(VALU_DEP_1)
	v_fma_f64 v[214:215], v[240:241], v[212:213], v[242:243]
	v_div_scale_f64 v[216:217], null, v[214:215], v[214:215], 1.0
	s_delay_alu instid0(VALU_DEP_1) | instskip(SKIP_2) | instid1(VALU_DEP_1)
	v_rcp_f64_e32 v[218:219], v[216:217]
	s_waitcnt_depctr 0xfff
	v_fma_f64 v[220:221], -v[216:217], v[218:219], 1.0
	v_fma_f64 v[218:219], v[218:219], v[220:221], v[218:219]
	s_delay_alu instid0(VALU_DEP_1) | instskip(NEXT) | instid1(VALU_DEP_1)
	v_fma_f64 v[220:221], -v[216:217], v[218:219], 1.0
	v_fma_f64 v[218:219], v[218:219], v[220:221], v[218:219]
	v_div_scale_f64 v[220:221], vcc_lo, 1.0, v[214:215], 1.0
	s_delay_alu instid0(VALU_DEP_1) | instskip(NEXT) | instid1(VALU_DEP_1)
	v_mul_f64 v[222:223], v[220:221], v[218:219]
	v_fma_f64 v[216:217], -v[216:217], v[222:223], v[220:221]
	s_delay_alu instid0(VALU_DEP_1) | instskip(NEXT) | instid1(VALU_DEP_1)
	v_div_fmas_f64 v[216:217], v[216:217], v[218:219], v[222:223]
	v_div_fixup_f64 v[242:243], v[216:217], v[214:215], 1.0
	s_delay_alu instid0(VALU_DEP_1)
	v_mul_f64 v[240:241], v[212:213], v[242:243]
	v_xor_b32_e32 v243, 0x80000000, v243
.LBB118_259:
	s_and_not1_saveexec_b32 s2, s2
	s_cbranch_execz .LBB118_261
; %bb.260:
	s_delay_alu instid0(VALU_DEP_1) | instskip(SKIP_1) | instid1(VALU_DEP_2)
	v_div_scale_f64 v[212:213], null, v[240:241], v[240:241], v[242:243]
	v_div_scale_f64 v[218:219], vcc_lo, v[242:243], v[240:241], v[242:243]
	v_rcp_f64_e32 v[214:215], v[212:213]
	s_waitcnt_depctr 0xfff
	v_fma_f64 v[216:217], -v[212:213], v[214:215], 1.0
	s_delay_alu instid0(VALU_DEP_1) | instskip(NEXT) | instid1(VALU_DEP_1)
	v_fma_f64 v[214:215], v[214:215], v[216:217], v[214:215]
	v_fma_f64 v[216:217], -v[212:213], v[214:215], 1.0
	s_delay_alu instid0(VALU_DEP_1) | instskip(NEXT) | instid1(VALU_DEP_1)
	v_fma_f64 v[214:215], v[214:215], v[216:217], v[214:215]
	v_mul_f64 v[216:217], v[218:219], v[214:215]
	s_delay_alu instid0(VALU_DEP_1) | instskip(NEXT) | instid1(VALU_DEP_1)
	v_fma_f64 v[212:213], -v[212:213], v[216:217], v[218:219]
	v_div_fmas_f64 v[212:213], v[212:213], v[214:215], v[216:217]
	s_delay_alu instid0(VALU_DEP_1) | instskip(NEXT) | instid1(VALU_DEP_1)
	v_div_fixup_f64 v[212:213], v[212:213], v[240:241], v[242:243]
	v_fma_f64 v[214:215], v[242:243], v[212:213], v[240:241]
	s_delay_alu instid0(VALU_DEP_1) | instskip(NEXT) | instid1(VALU_DEP_1)
	v_div_scale_f64 v[216:217], null, v[214:215], v[214:215], 1.0
	v_rcp_f64_e32 v[218:219], v[216:217]
	s_waitcnt_depctr 0xfff
	v_fma_f64 v[220:221], -v[216:217], v[218:219], 1.0
	s_delay_alu instid0(VALU_DEP_1) | instskip(NEXT) | instid1(VALU_DEP_1)
	v_fma_f64 v[218:219], v[218:219], v[220:221], v[218:219]
	v_fma_f64 v[220:221], -v[216:217], v[218:219], 1.0
	s_delay_alu instid0(VALU_DEP_1) | instskip(SKIP_1) | instid1(VALU_DEP_1)
	v_fma_f64 v[218:219], v[218:219], v[220:221], v[218:219]
	v_div_scale_f64 v[220:221], vcc_lo, 1.0, v[214:215], 1.0
	v_mul_f64 v[222:223], v[220:221], v[218:219]
	s_delay_alu instid0(VALU_DEP_1) | instskip(NEXT) | instid1(VALU_DEP_1)
	v_fma_f64 v[216:217], -v[216:217], v[222:223], v[220:221]
	v_div_fmas_f64 v[216:217], v[216:217], v[218:219], v[222:223]
	s_delay_alu instid0(VALU_DEP_1) | instskip(NEXT) | instid1(VALU_DEP_1)
	v_div_fixup_f64 v[240:241], v[216:217], v[214:215], 1.0
	v_mul_f64 v[242:243], v[212:213], -v[240:241]
.LBB118_261:
	s_or_b32 exec_lo, exec_lo, s2
.LBB118_262:
	s_delay_alu instid0(SALU_CYCLE_1) | instskip(NEXT) | instid1(SALU_CYCLE_1)
	s_or_b32 exec_lo, exec_lo, s3
	s_mov_b32 s2, exec_lo
	v_cmpx_ne_u32_e64 v255, v248
	s_xor_b32 s2, exec_lo, s2
	s_cbranch_execz .LBB118_268
; %bb.263:
	s_mov_b32 s3, exec_lo
	v_cmpx_eq_u32_e32 12, v255
	s_cbranch_execz .LBB118_267
; %bb.264:
	v_cmp_ne_u32_e32 vcc_lo, 12, v248
	s_xor_b32 s4, s5, -1
	s_delay_alu instid0(SALU_CYCLE_1) | instskip(NEXT) | instid1(SALU_CYCLE_1)
	s_and_b32 s6, s4, vcc_lo
	s_and_saveexec_b32 s4, s6
	s_cbranch_execz .LBB118_266
; %bb.265:
	scratch_load_b64 v[208:209], off, off offset:16 ; 8-byte Folded Reload
	v_ashrrev_i32_e32 v249, 31, v248
	s_delay_alu instid0(VALU_DEP_1) | instskip(SKIP_1) | instid1(VALU_DEP_1)
	v_lshlrev_b64 v[212:213], 2, v[248:249]
	s_waitcnt vmcnt(0)
	v_add_co_u32 v212, vcc_lo, v208, v212
	s_delay_alu instid0(VALU_DEP_2)
	v_add_co_ci_u32_e32 v213, vcc_lo, v209, v213, vcc_lo
	s_clause 0x1
	flat_load_b32 v214, v[212:213]
	flat_load_b32 v215, v[208:209] offset:48
	s_waitcnt vmcnt(1) lgkmcnt(1)
	flat_store_b32 v[208:209], v214 offset:48
	s_waitcnt vmcnt(0) lgkmcnt(1)
	flat_store_b32 v[212:213], v215
.LBB118_266:
	s_or_b32 exec_lo, exec_lo, s4
	v_mov_b32_e32 v255, v248
	v_mov_b32_e32 v244, v248
.LBB118_267:
	s_or_b32 exec_lo, exec_lo, s3
.LBB118_268:
	s_and_not1_saveexec_b32 s2, s2
	s_cbranch_execz .LBB118_270
; %bb.269:
	v_mov_b32_e32 v255, 12
	ds_store_2addr_b64 v250, v[184:185], v[186:187] offset0:26 offset1:27
	ds_store_2addr_b64 v250, v[180:181], v[182:183] offset0:28 offset1:29
	ds_store_2addr_b64 v250, v[176:177], v[178:179] offset0:30 offset1:31
	ds_store_2addr_b64 v250, v[172:173], v[174:175] offset0:32 offset1:33
	ds_store_2addr_b64 v250, v[168:169], v[170:171] offset0:34 offset1:35
	ds_store_2addr_b64 v250, v[164:165], v[166:167] offset0:36 offset1:37
	ds_store_2addr_b64 v250, v[160:161], v[162:163] offset0:38 offset1:39
	ds_store_2addr_b64 v250, v[156:157], v[158:159] offset0:40 offset1:41
	ds_store_2addr_b64 v250, v[152:153], v[154:155] offset0:42 offset1:43
	ds_store_2addr_b64 v250, v[148:149], v[150:151] offset0:44 offset1:45
	ds_store_2addr_b64 v250, v[144:145], v[146:147] offset0:46 offset1:47
	ds_store_2addr_b64 v250, v[140:141], v[142:143] offset0:48 offset1:49
	ds_store_2addr_b64 v250, v[136:137], v[138:139] offset0:50 offset1:51
	ds_store_2addr_b64 v250, v[132:133], v[134:135] offset0:52 offset1:53
	ds_store_2addr_b64 v250, v[128:129], v[130:131] offset0:54 offset1:55
	ds_store_2addr_b64 v250, v[124:125], v[126:127] offset0:56 offset1:57
	ds_store_2addr_b64 v250, v[120:121], v[122:123] offset0:58 offset1:59
	ds_store_2addr_b64 v250, v[116:117], v[118:119] offset0:60 offset1:61
	ds_store_2addr_b64 v250, v[112:113], v[114:115] offset0:62 offset1:63
	ds_store_2addr_b64 v250, v[108:109], v[110:111] offset0:64 offset1:65
	ds_store_2addr_b64 v250, v[104:105], v[106:107] offset0:66 offset1:67
	ds_store_2addr_b64 v250, v[100:101], v[102:103] offset0:68 offset1:69
	ds_store_2addr_b64 v250, v[96:97], v[98:99] offset0:70 offset1:71
	ds_store_2addr_b64 v250, v[92:93], v[94:95] offset0:72 offset1:73
	ds_store_2addr_b64 v250, v[88:89], v[90:91] offset0:74 offset1:75
	ds_store_2addr_b64 v250, v[84:85], v[86:87] offset0:76 offset1:77
	ds_store_2addr_b64 v250, v[80:81], v[82:83] offset0:78 offset1:79
	ds_store_2addr_b64 v250, v[76:77], v[78:79] offset0:80 offset1:81
	ds_store_2addr_b64 v250, v[72:73], v[74:75] offset0:82 offset1:83
	ds_store_2addr_b64 v250, v[68:69], v[70:71] offset0:84 offset1:85
	ds_store_2addr_b64 v250, v[64:65], v[66:67] offset0:86 offset1:87
	ds_store_2addr_b64 v250, v[60:61], v[62:63] offset0:88 offset1:89
	ds_store_2addr_b64 v250, v[56:57], v[58:59] offset0:90 offset1:91
	ds_store_2addr_b64 v250, v[52:53], v[54:55] offset0:92 offset1:93
	ds_store_2addr_b64 v250, v[48:49], v[50:51] offset0:94 offset1:95
	ds_store_2addr_b64 v250, v[44:45], v[46:47] offset0:96 offset1:97
	ds_store_2addr_b64 v250, v[40:41], v[42:43] offset0:98 offset1:99
	ds_store_2addr_b64 v250, v[36:37], v[38:39] offset0:100 offset1:101
	ds_store_2addr_b64 v250, v[32:33], v[34:35] offset0:102 offset1:103
	ds_store_2addr_b64 v250, v[28:29], v[30:31] offset0:104 offset1:105
	ds_store_2addr_b64 v250, v[24:25], v[26:27] offset0:106 offset1:107
	ds_store_2addr_b64 v250, v[20:21], v[22:23] offset0:108 offset1:109
	ds_store_2addr_b64 v250, v[16:17], v[18:19] offset0:110 offset1:111
	ds_store_2addr_b64 v250, v[12:13], v[14:15] offset0:112 offset1:113
	ds_store_2addr_b64 v250, v[236:237], v[238:239] offset0:114 offset1:115
	ds_store_2addr_b64 v250, v[224:225], v[226:227] offset0:116 offset1:117
	ds_store_2addr_b64 v250, v[228:229], v[230:231] offset0:118 offset1:119
.LBB118_270:
	s_or_b32 exec_lo, exec_lo, s2
	s_delay_alu instid0(SALU_CYCLE_1)
	s_mov_b32 s2, exec_lo
	s_waitcnt lgkmcnt(0)
	s_waitcnt_vscnt null, 0x0
	s_barrier
	buffer_gl0_inv
	v_cmpx_lt_i32_e32 12, v255
	s_cbranch_execz .LBB118_272
; %bb.271:
	v_mul_f64 v[212:213], v[242:243], v[190:191]
	v_mul_f64 v[190:191], v[240:241], v[190:191]
	ds_load_2addr_b64 v[232:235], v250 offset0:26 offset1:27
	v_fma_f64 v[248:249], v[240:241], v[188:189], -v[212:213]
	v_fma_f64 v[190:191], v[242:243], v[188:189], v[190:191]
	s_waitcnt lgkmcnt(0)
	s_delay_alu instid0(VALU_DEP_1) | instskip(SKIP_1) | instid1(VALU_DEP_2)
	v_mul_f64 v[188:189], v[234:235], v[190:191]
	v_mul_f64 v[212:213], v[232:233], v[190:191]
	v_fma_f64 v[188:189], v[232:233], v[248:249], -v[188:189]
	s_delay_alu instid0(VALU_DEP_2)
	v_fma_f64 v[212:213], v[234:235], v[248:249], v[212:213]
	ds_load_2addr_b64 v[232:235], v250 offset0:28 offset1:29
	v_add_f64 v[184:185], v[184:185], -v[188:189]
	v_add_f64 v[186:187], v[186:187], -v[212:213]
	s_waitcnt lgkmcnt(0)
	v_mul_f64 v[188:189], v[234:235], v[190:191]
	v_mul_f64 v[212:213], v[232:233], v[190:191]
	s_delay_alu instid0(VALU_DEP_2) | instskip(NEXT) | instid1(VALU_DEP_2)
	v_fma_f64 v[188:189], v[232:233], v[248:249], -v[188:189]
	v_fma_f64 v[212:213], v[234:235], v[248:249], v[212:213]
	ds_load_2addr_b64 v[232:235], v250 offset0:30 offset1:31
	v_add_f64 v[180:181], v[180:181], -v[188:189]
	v_add_f64 v[182:183], v[182:183], -v[212:213]
	s_waitcnt lgkmcnt(0)
	v_mul_f64 v[188:189], v[234:235], v[190:191]
	v_mul_f64 v[212:213], v[232:233], v[190:191]
	s_delay_alu instid0(VALU_DEP_2) | instskip(NEXT) | instid1(VALU_DEP_2)
	v_fma_f64 v[188:189], v[232:233], v[248:249], -v[188:189]
	;; [unrolled: 9-line block ×46, first 2 shown]
	v_fma_f64 v[212:213], v[234:235], v[248:249], v[212:213]
	s_delay_alu instid0(VALU_DEP_2) | instskip(NEXT) | instid1(VALU_DEP_2)
	v_add_f64 v[228:229], v[228:229], -v[188:189]
	v_add_f64 v[230:231], v[230:231], -v[212:213]
	v_dual_mov_b32 v188, v248 :: v_dual_mov_b32 v189, v249
.LBB118_272:
	s_or_b32 exec_lo, exec_lo, s2
	v_lshl_add_u32 v212, v255, 4, v250
	s_barrier
	buffer_gl0_inv
	v_mov_b32_e32 v248, 13
	ds_store_2addr_b64 v212, v[184:185], v[186:187] offset1:1
	s_waitcnt lgkmcnt(0)
	s_barrier
	buffer_gl0_inv
	ds_load_2addr_b64 v[240:243], v250 offset0:26 offset1:27
	s_cmp_lt_i32 s12, 15
	s_cbranch_scc1 .LBB118_275
; %bb.273:
	v_add3_u32 v245, v254, 0, 0xe0
	v_mov_b32_e32 v248, 13
	s_mov_b32 s6, 14
	s_set_inst_prefetch_distance 0x1
	.p2align	6
.LBB118_274:                            ; =>This Inner Loop Header: Depth=1
	ds_load_2addr_b64 v[232:235], v245 offset1:1
	s_waitcnt lgkmcnt(1)
	v_cmp_gt_f64_e32 vcc_lo, 0, v[240:241]
	v_cmp_gt_f64_e64 s2, 0, v[242:243]
	v_xor_b32_e32 v213, 0x80000000, v241
	v_xor_b32_e32 v215, 0x80000000, v243
	v_add_nc_u32_e32 v245, 16, v245
	s_waitcnt lgkmcnt(0)
	v_cmp_gt_f64_e64 s3, 0, v[232:233]
	v_cmp_gt_f64_e64 s4, 0, v[234:235]
	v_xor_b32_e32 v219, 0x80000000, v233
	v_xor_b32_e32 v220, 0x80000000, v235
	v_mov_b32_e32 v214, v234
	v_mov_b32_e32 v212, v232
	v_cndmask_b32_e32 v216, v241, v213, vcc_lo
	v_cndmask_b32_e64 v218, v243, v215, s2
	v_cndmask_b32_e32 v215, v240, v240, vcc_lo
	v_cndmask_b32_e64 v217, v242, v242, s2
	s_delay_alu instid0(VALU_DEP_1) | instskip(SKIP_2) | instid1(VALU_DEP_1)
	v_add_f64 v[216:217], v[215:216], v[217:218]
	v_cndmask_b32_e64 v213, v233, v219, s3
	v_cndmask_b32_e64 v215, v235, v220, s4
	v_add_f64 v[212:213], v[212:213], v[214:215]
	s_delay_alu instid0(VALU_DEP_1)
	v_cmp_lt_f64_e32 vcc_lo, v[216:217], v[212:213]
	v_cndmask_b32_e32 v243, v243, v235, vcc_lo
	v_dual_cndmask_b32 v241, v241, v233 :: v_dual_cndmask_b32 v240, v240, v232
	v_cndmask_b32_e32 v242, v242, v234, vcc_lo
	v_cndmask_b32_e64 v248, v248, s6, vcc_lo
	s_add_i32 s6, s6, 1
	s_delay_alu instid0(SALU_CYCLE_1)
	s_cmp_lg_u32 s12, s6
	s_cbranch_scc1 .LBB118_274
.LBB118_275:
	s_set_inst_prefetch_distance 0x2
	s_waitcnt lgkmcnt(0)
	v_cmp_eq_f64_e32 vcc_lo, 0, v[240:241]
	v_cmp_eq_f64_e64 s2, 0, v[242:243]
	s_delay_alu instid0(VALU_DEP_1) | instskip(NEXT) | instid1(SALU_CYCLE_1)
	s_and_b32 s2, vcc_lo, s2
	s_and_saveexec_b32 s3, s2
	s_delay_alu instid0(SALU_CYCLE_1)
	s_xor_b32 s2, exec_lo, s3
; %bb.276:
	v_cmp_ne_u32_e32 vcc_lo, 0, v253
	v_cndmask_b32_e32 v253, 14, v253, vcc_lo
; %bb.277:
	s_and_not1_saveexec_b32 s3, s2
	s_cbranch_execz .LBB118_283
; %bb.278:
	v_cmp_gt_f64_e32 vcc_lo, 0, v[240:241]
	v_cmp_gt_f64_e64 s2, 0, v[242:243]
	v_xor_b32_e32 v212, 0x80000000, v241
	v_xor_b32_e32 v214, 0x80000000, v243
	s_delay_alu instid0(VALU_DEP_2) | instskip(NEXT) | instid1(VALU_DEP_2)
	v_cndmask_b32_e32 v213, v241, v212, vcc_lo
	v_cndmask_b32_e64 v215, v243, v214, s2
	v_cndmask_b32_e32 v212, v240, v240, vcc_lo
	v_cndmask_b32_e64 v214, v242, v242, s2
	s_mov_b32 s2, exec_lo
	s_delay_alu instid0(VALU_DEP_1)
	v_cmpx_ngt_f64_e32 v[212:213], v[214:215]
	s_xor_b32 s2, exec_lo, s2
	s_cbranch_execz .LBB118_280
; %bb.279:
	v_div_scale_f64 v[212:213], null, v[242:243], v[242:243], v[240:241]
	v_div_scale_f64 v[218:219], vcc_lo, v[240:241], v[242:243], v[240:241]
	s_delay_alu instid0(VALU_DEP_2) | instskip(SKIP_2) | instid1(VALU_DEP_1)
	v_rcp_f64_e32 v[214:215], v[212:213]
	s_waitcnt_depctr 0xfff
	v_fma_f64 v[216:217], -v[212:213], v[214:215], 1.0
	v_fma_f64 v[214:215], v[214:215], v[216:217], v[214:215]
	s_delay_alu instid0(VALU_DEP_1) | instskip(NEXT) | instid1(VALU_DEP_1)
	v_fma_f64 v[216:217], -v[212:213], v[214:215], 1.0
	v_fma_f64 v[214:215], v[214:215], v[216:217], v[214:215]
	s_delay_alu instid0(VALU_DEP_1) | instskip(NEXT) | instid1(VALU_DEP_1)
	v_mul_f64 v[216:217], v[218:219], v[214:215]
	v_fma_f64 v[212:213], -v[212:213], v[216:217], v[218:219]
	s_delay_alu instid0(VALU_DEP_1) | instskip(NEXT) | instid1(VALU_DEP_1)
	v_div_fmas_f64 v[212:213], v[212:213], v[214:215], v[216:217]
	v_div_fixup_f64 v[212:213], v[212:213], v[242:243], v[240:241]
	s_delay_alu instid0(VALU_DEP_1) | instskip(NEXT) | instid1(VALU_DEP_1)
	v_fma_f64 v[214:215], v[240:241], v[212:213], v[242:243]
	v_div_scale_f64 v[216:217], null, v[214:215], v[214:215], 1.0
	s_delay_alu instid0(VALU_DEP_1) | instskip(SKIP_2) | instid1(VALU_DEP_1)
	v_rcp_f64_e32 v[218:219], v[216:217]
	s_waitcnt_depctr 0xfff
	v_fma_f64 v[220:221], -v[216:217], v[218:219], 1.0
	v_fma_f64 v[218:219], v[218:219], v[220:221], v[218:219]
	s_delay_alu instid0(VALU_DEP_1) | instskip(NEXT) | instid1(VALU_DEP_1)
	v_fma_f64 v[220:221], -v[216:217], v[218:219], 1.0
	v_fma_f64 v[218:219], v[218:219], v[220:221], v[218:219]
	v_div_scale_f64 v[220:221], vcc_lo, 1.0, v[214:215], 1.0
	s_delay_alu instid0(VALU_DEP_1) | instskip(NEXT) | instid1(VALU_DEP_1)
	v_mul_f64 v[222:223], v[220:221], v[218:219]
	v_fma_f64 v[216:217], -v[216:217], v[222:223], v[220:221]
	s_delay_alu instid0(VALU_DEP_1) | instskip(NEXT) | instid1(VALU_DEP_1)
	v_div_fmas_f64 v[216:217], v[216:217], v[218:219], v[222:223]
	v_div_fixup_f64 v[242:243], v[216:217], v[214:215], 1.0
	s_delay_alu instid0(VALU_DEP_1)
	v_mul_f64 v[240:241], v[212:213], v[242:243]
	v_xor_b32_e32 v243, 0x80000000, v243
.LBB118_280:
	s_and_not1_saveexec_b32 s2, s2
	s_cbranch_execz .LBB118_282
; %bb.281:
	s_delay_alu instid0(VALU_DEP_1) | instskip(SKIP_1) | instid1(VALU_DEP_2)
	v_div_scale_f64 v[212:213], null, v[240:241], v[240:241], v[242:243]
	v_div_scale_f64 v[218:219], vcc_lo, v[242:243], v[240:241], v[242:243]
	v_rcp_f64_e32 v[214:215], v[212:213]
	s_waitcnt_depctr 0xfff
	v_fma_f64 v[216:217], -v[212:213], v[214:215], 1.0
	s_delay_alu instid0(VALU_DEP_1) | instskip(NEXT) | instid1(VALU_DEP_1)
	v_fma_f64 v[214:215], v[214:215], v[216:217], v[214:215]
	v_fma_f64 v[216:217], -v[212:213], v[214:215], 1.0
	s_delay_alu instid0(VALU_DEP_1) | instskip(NEXT) | instid1(VALU_DEP_1)
	v_fma_f64 v[214:215], v[214:215], v[216:217], v[214:215]
	v_mul_f64 v[216:217], v[218:219], v[214:215]
	s_delay_alu instid0(VALU_DEP_1) | instskip(NEXT) | instid1(VALU_DEP_1)
	v_fma_f64 v[212:213], -v[212:213], v[216:217], v[218:219]
	v_div_fmas_f64 v[212:213], v[212:213], v[214:215], v[216:217]
	s_delay_alu instid0(VALU_DEP_1) | instskip(NEXT) | instid1(VALU_DEP_1)
	v_div_fixup_f64 v[212:213], v[212:213], v[240:241], v[242:243]
	v_fma_f64 v[214:215], v[242:243], v[212:213], v[240:241]
	s_delay_alu instid0(VALU_DEP_1) | instskip(NEXT) | instid1(VALU_DEP_1)
	v_div_scale_f64 v[216:217], null, v[214:215], v[214:215], 1.0
	v_rcp_f64_e32 v[218:219], v[216:217]
	s_waitcnt_depctr 0xfff
	v_fma_f64 v[220:221], -v[216:217], v[218:219], 1.0
	s_delay_alu instid0(VALU_DEP_1) | instskip(NEXT) | instid1(VALU_DEP_1)
	v_fma_f64 v[218:219], v[218:219], v[220:221], v[218:219]
	v_fma_f64 v[220:221], -v[216:217], v[218:219], 1.0
	s_delay_alu instid0(VALU_DEP_1) | instskip(SKIP_1) | instid1(VALU_DEP_1)
	v_fma_f64 v[218:219], v[218:219], v[220:221], v[218:219]
	v_div_scale_f64 v[220:221], vcc_lo, 1.0, v[214:215], 1.0
	v_mul_f64 v[222:223], v[220:221], v[218:219]
	s_delay_alu instid0(VALU_DEP_1) | instskip(NEXT) | instid1(VALU_DEP_1)
	v_fma_f64 v[216:217], -v[216:217], v[222:223], v[220:221]
	v_div_fmas_f64 v[216:217], v[216:217], v[218:219], v[222:223]
	s_delay_alu instid0(VALU_DEP_1) | instskip(NEXT) | instid1(VALU_DEP_1)
	v_div_fixup_f64 v[240:241], v[216:217], v[214:215], 1.0
	v_mul_f64 v[242:243], v[212:213], -v[240:241]
.LBB118_282:
	s_or_b32 exec_lo, exec_lo, s2
.LBB118_283:
	s_delay_alu instid0(SALU_CYCLE_1) | instskip(NEXT) | instid1(SALU_CYCLE_1)
	s_or_b32 exec_lo, exec_lo, s3
	s_mov_b32 s2, exec_lo
	v_cmpx_ne_u32_e64 v255, v248
	s_xor_b32 s2, exec_lo, s2
	s_cbranch_execz .LBB118_289
; %bb.284:
	s_mov_b32 s3, exec_lo
	v_cmpx_eq_u32_e32 13, v255
	s_cbranch_execz .LBB118_288
; %bb.285:
	v_cmp_ne_u32_e32 vcc_lo, 13, v248
	s_xor_b32 s4, s5, -1
	s_delay_alu instid0(SALU_CYCLE_1) | instskip(NEXT) | instid1(SALU_CYCLE_1)
	s_and_b32 s6, s4, vcc_lo
	s_and_saveexec_b32 s4, s6
	s_cbranch_execz .LBB118_287
; %bb.286:
	scratch_load_b64 v[208:209], off, off offset:16 ; 8-byte Folded Reload
	v_ashrrev_i32_e32 v249, 31, v248
	s_delay_alu instid0(VALU_DEP_1) | instskip(SKIP_1) | instid1(VALU_DEP_1)
	v_lshlrev_b64 v[212:213], 2, v[248:249]
	s_waitcnt vmcnt(0)
	v_add_co_u32 v212, vcc_lo, v208, v212
	s_delay_alu instid0(VALU_DEP_2)
	v_add_co_ci_u32_e32 v213, vcc_lo, v209, v213, vcc_lo
	s_clause 0x1
	flat_load_b32 v214, v[212:213]
	flat_load_b32 v215, v[208:209] offset:52
	s_waitcnt vmcnt(1) lgkmcnt(1)
	flat_store_b32 v[208:209], v214 offset:52
	s_waitcnt vmcnt(0) lgkmcnt(1)
	flat_store_b32 v[212:213], v215
.LBB118_287:
	s_or_b32 exec_lo, exec_lo, s4
	v_mov_b32_e32 v255, v248
	v_mov_b32_e32 v244, v248
.LBB118_288:
	s_or_b32 exec_lo, exec_lo, s3
.LBB118_289:
	s_and_not1_saveexec_b32 s2, s2
	s_cbranch_execz .LBB118_291
; %bb.290:
	v_mov_b32_e32 v255, 13
	ds_store_2addr_b64 v250, v[180:181], v[182:183] offset0:28 offset1:29
	ds_store_2addr_b64 v250, v[176:177], v[178:179] offset0:30 offset1:31
	;; [unrolled: 1-line block ×46, first 2 shown]
.LBB118_291:
	s_or_b32 exec_lo, exec_lo, s2
	s_delay_alu instid0(SALU_CYCLE_1)
	s_mov_b32 s2, exec_lo
	s_waitcnt lgkmcnt(0)
	s_waitcnt_vscnt null, 0x0
	s_barrier
	buffer_gl0_inv
	v_cmpx_lt_i32_e32 13, v255
	s_cbranch_execz .LBB118_293
; %bb.292:
	v_mul_f64 v[212:213], v[242:243], v[186:187]
	v_mul_f64 v[186:187], v[240:241], v[186:187]
	ds_load_2addr_b64 v[232:235], v250 offset0:28 offset1:29
	v_fma_f64 v[248:249], v[240:241], v[184:185], -v[212:213]
	v_fma_f64 v[186:187], v[242:243], v[184:185], v[186:187]
	s_waitcnt lgkmcnt(0)
	s_delay_alu instid0(VALU_DEP_1) | instskip(SKIP_1) | instid1(VALU_DEP_2)
	v_mul_f64 v[184:185], v[234:235], v[186:187]
	v_mul_f64 v[212:213], v[232:233], v[186:187]
	v_fma_f64 v[184:185], v[232:233], v[248:249], -v[184:185]
	s_delay_alu instid0(VALU_DEP_2)
	v_fma_f64 v[212:213], v[234:235], v[248:249], v[212:213]
	ds_load_2addr_b64 v[232:235], v250 offset0:30 offset1:31
	v_add_f64 v[180:181], v[180:181], -v[184:185]
	v_add_f64 v[182:183], v[182:183], -v[212:213]
	s_waitcnt lgkmcnt(0)
	v_mul_f64 v[184:185], v[234:235], v[186:187]
	v_mul_f64 v[212:213], v[232:233], v[186:187]
	s_delay_alu instid0(VALU_DEP_2) | instskip(NEXT) | instid1(VALU_DEP_2)
	v_fma_f64 v[184:185], v[232:233], v[248:249], -v[184:185]
	v_fma_f64 v[212:213], v[234:235], v[248:249], v[212:213]
	ds_load_2addr_b64 v[232:235], v250 offset0:32 offset1:33
	v_add_f64 v[176:177], v[176:177], -v[184:185]
	v_add_f64 v[178:179], v[178:179], -v[212:213]
	s_waitcnt lgkmcnt(0)
	v_mul_f64 v[184:185], v[234:235], v[186:187]
	v_mul_f64 v[212:213], v[232:233], v[186:187]
	s_delay_alu instid0(VALU_DEP_2) | instskip(NEXT) | instid1(VALU_DEP_2)
	v_fma_f64 v[184:185], v[232:233], v[248:249], -v[184:185]
	;; [unrolled: 9-line block ×45, first 2 shown]
	v_fma_f64 v[212:213], v[234:235], v[248:249], v[212:213]
	s_delay_alu instid0(VALU_DEP_2) | instskip(NEXT) | instid1(VALU_DEP_2)
	v_add_f64 v[228:229], v[228:229], -v[184:185]
	v_add_f64 v[230:231], v[230:231], -v[212:213]
	v_dual_mov_b32 v184, v248 :: v_dual_mov_b32 v185, v249
.LBB118_293:
	s_or_b32 exec_lo, exec_lo, s2
	v_lshl_add_u32 v212, v255, 4, v250
	s_barrier
	buffer_gl0_inv
	v_mov_b32_e32 v248, 14
	ds_store_2addr_b64 v212, v[180:181], v[182:183] offset1:1
	s_waitcnt lgkmcnt(0)
	s_barrier
	buffer_gl0_inv
	ds_load_2addr_b64 v[240:243], v250 offset0:28 offset1:29
	s_cmp_lt_i32 s12, 16
	s_cbranch_scc1 .LBB118_296
; %bb.294:
	v_add3_u32 v245, v254, 0, 0xf0
	v_mov_b32_e32 v248, 14
	s_mov_b32 s6, 15
	s_set_inst_prefetch_distance 0x1
	.p2align	6
.LBB118_295:                            ; =>This Inner Loop Header: Depth=1
	ds_load_2addr_b64 v[232:235], v245 offset1:1
	s_waitcnt lgkmcnt(1)
	v_cmp_gt_f64_e32 vcc_lo, 0, v[240:241]
	v_cmp_gt_f64_e64 s2, 0, v[242:243]
	v_xor_b32_e32 v213, 0x80000000, v241
	v_xor_b32_e32 v215, 0x80000000, v243
	v_add_nc_u32_e32 v245, 16, v245
	s_waitcnt lgkmcnt(0)
	v_cmp_gt_f64_e64 s3, 0, v[232:233]
	v_cmp_gt_f64_e64 s4, 0, v[234:235]
	v_xor_b32_e32 v219, 0x80000000, v233
	v_xor_b32_e32 v220, 0x80000000, v235
	v_mov_b32_e32 v214, v234
	v_mov_b32_e32 v212, v232
	v_cndmask_b32_e32 v216, v241, v213, vcc_lo
	v_cndmask_b32_e64 v218, v243, v215, s2
	v_cndmask_b32_e32 v215, v240, v240, vcc_lo
	v_cndmask_b32_e64 v217, v242, v242, s2
	s_delay_alu instid0(VALU_DEP_1) | instskip(SKIP_2) | instid1(VALU_DEP_1)
	v_add_f64 v[216:217], v[215:216], v[217:218]
	v_cndmask_b32_e64 v213, v233, v219, s3
	v_cndmask_b32_e64 v215, v235, v220, s4
	v_add_f64 v[212:213], v[212:213], v[214:215]
	s_delay_alu instid0(VALU_DEP_1)
	v_cmp_lt_f64_e32 vcc_lo, v[216:217], v[212:213]
	v_cndmask_b32_e32 v243, v243, v235, vcc_lo
	v_dual_cndmask_b32 v241, v241, v233 :: v_dual_cndmask_b32 v240, v240, v232
	v_cndmask_b32_e32 v242, v242, v234, vcc_lo
	v_cndmask_b32_e64 v248, v248, s6, vcc_lo
	s_add_i32 s6, s6, 1
	s_delay_alu instid0(SALU_CYCLE_1)
	s_cmp_lg_u32 s12, s6
	s_cbranch_scc1 .LBB118_295
.LBB118_296:
	s_set_inst_prefetch_distance 0x2
	s_waitcnt lgkmcnt(0)
	v_cmp_eq_f64_e32 vcc_lo, 0, v[240:241]
	v_cmp_eq_f64_e64 s2, 0, v[242:243]
	s_delay_alu instid0(VALU_DEP_1) | instskip(NEXT) | instid1(SALU_CYCLE_1)
	s_and_b32 s2, vcc_lo, s2
	s_and_saveexec_b32 s3, s2
	s_delay_alu instid0(SALU_CYCLE_1)
	s_xor_b32 s2, exec_lo, s3
; %bb.297:
	v_cmp_ne_u32_e32 vcc_lo, 0, v253
	v_cndmask_b32_e32 v253, 15, v253, vcc_lo
; %bb.298:
	s_and_not1_saveexec_b32 s3, s2
	s_cbranch_execz .LBB118_304
; %bb.299:
	v_cmp_gt_f64_e32 vcc_lo, 0, v[240:241]
	v_cmp_gt_f64_e64 s2, 0, v[242:243]
	v_xor_b32_e32 v212, 0x80000000, v241
	v_xor_b32_e32 v214, 0x80000000, v243
	s_delay_alu instid0(VALU_DEP_2) | instskip(NEXT) | instid1(VALU_DEP_2)
	v_cndmask_b32_e32 v213, v241, v212, vcc_lo
	v_cndmask_b32_e64 v215, v243, v214, s2
	v_cndmask_b32_e32 v212, v240, v240, vcc_lo
	v_cndmask_b32_e64 v214, v242, v242, s2
	s_mov_b32 s2, exec_lo
	s_delay_alu instid0(VALU_DEP_1)
	v_cmpx_ngt_f64_e32 v[212:213], v[214:215]
	s_xor_b32 s2, exec_lo, s2
	s_cbranch_execz .LBB118_301
; %bb.300:
	v_div_scale_f64 v[212:213], null, v[242:243], v[242:243], v[240:241]
	v_div_scale_f64 v[218:219], vcc_lo, v[240:241], v[242:243], v[240:241]
	s_delay_alu instid0(VALU_DEP_2) | instskip(SKIP_2) | instid1(VALU_DEP_1)
	v_rcp_f64_e32 v[214:215], v[212:213]
	s_waitcnt_depctr 0xfff
	v_fma_f64 v[216:217], -v[212:213], v[214:215], 1.0
	v_fma_f64 v[214:215], v[214:215], v[216:217], v[214:215]
	s_delay_alu instid0(VALU_DEP_1) | instskip(NEXT) | instid1(VALU_DEP_1)
	v_fma_f64 v[216:217], -v[212:213], v[214:215], 1.0
	v_fma_f64 v[214:215], v[214:215], v[216:217], v[214:215]
	s_delay_alu instid0(VALU_DEP_1) | instskip(NEXT) | instid1(VALU_DEP_1)
	v_mul_f64 v[216:217], v[218:219], v[214:215]
	v_fma_f64 v[212:213], -v[212:213], v[216:217], v[218:219]
	s_delay_alu instid0(VALU_DEP_1) | instskip(NEXT) | instid1(VALU_DEP_1)
	v_div_fmas_f64 v[212:213], v[212:213], v[214:215], v[216:217]
	v_div_fixup_f64 v[212:213], v[212:213], v[242:243], v[240:241]
	s_delay_alu instid0(VALU_DEP_1) | instskip(NEXT) | instid1(VALU_DEP_1)
	v_fma_f64 v[214:215], v[240:241], v[212:213], v[242:243]
	v_div_scale_f64 v[216:217], null, v[214:215], v[214:215], 1.0
	s_delay_alu instid0(VALU_DEP_1) | instskip(SKIP_2) | instid1(VALU_DEP_1)
	v_rcp_f64_e32 v[218:219], v[216:217]
	s_waitcnt_depctr 0xfff
	v_fma_f64 v[220:221], -v[216:217], v[218:219], 1.0
	v_fma_f64 v[218:219], v[218:219], v[220:221], v[218:219]
	s_delay_alu instid0(VALU_DEP_1) | instskip(NEXT) | instid1(VALU_DEP_1)
	v_fma_f64 v[220:221], -v[216:217], v[218:219], 1.0
	v_fma_f64 v[218:219], v[218:219], v[220:221], v[218:219]
	v_div_scale_f64 v[220:221], vcc_lo, 1.0, v[214:215], 1.0
	s_delay_alu instid0(VALU_DEP_1) | instskip(NEXT) | instid1(VALU_DEP_1)
	v_mul_f64 v[222:223], v[220:221], v[218:219]
	v_fma_f64 v[216:217], -v[216:217], v[222:223], v[220:221]
	s_delay_alu instid0(VALU_DEP_1) | instskip(NEXT) | instid1(VALU_DEP_1)
	v_div_fmas_f64 v[216:217], v[216:217], v[218:219], v[222:223]
	v_div_fixup_f64 v[242:243], v[216:217], v[214:215], 1.0
	s_delay_alu instid0(VALU_DEP_1)
	v_mul_f64 v[240:241], v[212:213], v[242:243]
	v_xor_b32_e32 v243, 0x80000000, v243
.LBB118_301:
	s_and_not1_saveexec_b32 s2, s2
	s_cbranch_execz .LBB118_303
; %bb.302:
	s_delay_alu instid0(VALU_DEP_1) | instskip(SKIP_1) | instid1(VALU_DEP_2)
	v_div_scale_f64 v[212:213], null, v[240:241], v[240:241], v[242:243]
	v_div_scale_f64 v[218:219], vcc_lo, v[242:243], v[240:241], v[242:243]
	v_rcp_f64_e32 v[214:215], v[212:213]
	s_waitcnt_depctr 0xfff
	v_fma_f64 v[216:217], -v[212:213], v[214:215], 1.0
	s_delay_alu instid0(VALU_DEP_1) | instskip(NEXT) | instid1(VALU_DEP_1)
	v_fma_f64 v[214:215], v[214:215], v[216:217], v[214:215]
	v_fma_f64 v[216:217], -v[212:213], v[214:215], 1.0
	s_delay_alu instid0(VALU_DEP_1) | instskip(NEXT) | instid1(VALU_DEP_1)
	v_fma_f64 v[214:215], v[214:215], v[216:217], v[214:215]
	v_mul_f64 v[216:217], v[218:219], v[214:215]
	s_delay_alu instid0(VALU_DEP_1) | instskip(NEXT) | instid1(VALU_DEP_1)
	v_fma_f64 v[212:213], -v[212:213], v[216:217], v[218:219]
	v_div_fmas_f64 v[212:213], v[212:213], v[214:215], v[216:217]
	s_delay_alu instid0(VALU_DEP_1) | instskip(NEXT) | instid1(VALU_DEP_1)
	v_div_fixup_f64 v[212:213], v[212:213], v[240:241], v[242:243]
	v_fma_f64 v[214:215], v[242:243], v[212:213], v[240:241]
	s_delay_alu instid0(VALU_DEP_1) | instskip(NEXT) | instid1(VALU_DEP_1)
	v_div_scale_f64 v[216:217], null, v[214:215], v[214:215], 1.0
	v_rcp_f64_e32 v[218:219], v[216:217]
	s_waitcnt_depctr 0xfff
	v_fma_f64 v[220:221], -v[216:217], v[218:219], 1.0
	s_delay_alu instid0(VALU_DEP_1) | instskip(NEXT) | instid1(VALU_DEP_1)
	v_fma_f64 v[218:219], v[218:219], v[220:221], v[218:219]
	v_fma_f64 v[220:221], -v[216:217], v[218:219], 1.0
	s_delay_alu instid0(VALU_DEP_1) | instskip(SKIP_1) | instid1(VALU_DEP_1)
	v_fma_f64 v[218:219], v[218:219], v[220:221], v[218:219]
	v_div_scale_f64 v[220:221], vcc_lo, 1.0, v[214:215], 1.0
	v_mul_f64 v[222:223], v[220:221], v[218:219]
	s_delay_alu instid0(VALU_DEP_1) | instskip(NEXT) | instid1(VALU_DEP_1)
	v_fma_f64 v[216:217], -v[216:217], v[222:223], v[220:221]
	v_div_fmas_f64 v[216:217], v[216:217], v[218:219], v[222:223]
	s_delay_alu instid0(VALU_DEP_1) | instskip(NEXT) | instid1(VALU_DEP_1)
	v_div_fixup_f64 v[240:241], v[216:217], v[214:215], 1.0
	v_mul_f64 v[242:243], v[212:213], -v[240:241]
.LBB118_303:
	s_or_b32 exec_lo, exec_lo, s2
.LBB118_304:
	s_delay_alu instid0(SALU_CYCLE_1) | instskip(NEXT) | instid1(SALU_CYCLE_1)
	s_or_b32 exec_lo, exec_lo, s3
	s_mov_b32 s2, exec_lo
	v_cmpx_ne_u32_e64 v255, v248
	s_xor_b32 s2, exec_lo, s2
	s_cbranch_execz .LBB118_310
; %bb.305:
	s_mov_b32 s3, exec_lo
	v_cmpx_eq_u32_e32 14, v255
	s_cbranch_execz .LBB118_309
; %bb.306:
	v_cmp_ne_u32_e32 vcc_lo, 14, v248
	s_xor_b32 s4, s5, -1
	s_delay_alu instid0(SALU_CYCLE_1) | instskip(NEXT) | instid1(SALU_CYCLE_1)
	s_and_b32 s6, s4, vcc_lo
	s_and_saveexec_b32 s4, s6
	s_cbranch_execz .LBB118_308
; %bb.307:
	scratch_load_b64 v[208:209], off, off offset:16 ; 8-byte Folded Reload
	v_ashrrev_i32_e32 v249, 31, v248
	s_delay_alu instid0(VALU_DEP_1) | instskip(SKIP_1) | instid1(VALU_DEP_1)
	v_lshlrev_b64 v[212:213], 2, v[248:249]
	s_waitcnt vmcnt(0)
	v_add_co_u32 v212, vcc_lo, v208, v212
	s_delay_alu instid0(VALU_DEP_2)
	v_add_co_ci_u32_e32 v213, vcc_lo, v209, v213, vcc_lo
	s_clause 0x1
	flat_load_b32 v214, v[212:213]
	flat_load_b32 v215, v[208:209] offset:56
	s_waitcnt vmcnt(1) lgkmcnt(1)
	flat_store_b32 v[208:209], v214 offset:56
	s_waitcnt vmcnt(0) lgkmcnt(1)
	flat_store_b32 v[212:213], v215
.LBB118_308:
	s_or_b32 exec_lo, exec_lo, s4
	v_mov_b32_e32 v255, v248
	v_mov_b32_e32 v244, v248
.LBB118_309:
	s_or_b32 exec_lo, exec_lo, s3
.LBB118_310:
	s_and_not1_saveexec_b32 s2, s2
	s_cbranch_execz .LBB118_312
; %bb.311:
	v_mov_b32_e32 v255, 14
	ds_store_2addr_b64 v250, v[176:177], v[178:179] offset0:30 offset1:31
	ds_store_2addr_b64 v250, v[172:173], v[174:175] offset0:32 offset1:33
	;; [unrolled: 1-line block ×45, first 2 shown]
.LBB118_312:
	s_or_b32 exec_lo, exec_lo, s2
	s_delay_alu instid0(SALU_CYCLE_1)
	s_mov_b32 s2, exec_lo
	s_waitcnt lgkmcnt(0)
	s_waitcnt_vscnt null, 0x0
	s_barrier
	buffer_gl0_inv
	v_cmpx_lt_i32_e32 14, v255
	s_cbranch_execz .LBB118_314
; %bb.313:
	v_mul_f64 v[212:213], v[242:243], v[182:183]
	v_mul_f64 v[182:183], v[240:241], v[182:183]
	ds_load_2addr_b64 v[232:235], v250 offset0:30 offset1:31
	v_fma_f64 v[248:249], v[240:241], v[180:181], -v[212:213]
	v_fma_f64 v[182:183], v[242:243], v[180:181], v[182:183]
	s_waitcnt lgkmcnt(0)
	s_delay_alu instid0(VALU_DEP_1) | instskip(SKIP_1) | instid1(VALU_DEP_2)
	v_mul_f64 v[180:181], v[234:235], v[182:183]
	v_mul_f64 v[212:213], v[232:233], v[182:183]
	v_fma_f64 v[180:181], v[232:233], v[248:249], -v[180:181]
	s_delay_alu instid0(VALU_DEP_2)
	v_fma_f64 v[212:213], v[234:235], v[248:249], v[212:213]
	ds_load_2addr_b64 v[232:235], v250 offset0:32 offset1:33
	v_add_f64 v[176:177], v[176:177], -v[180:181]
	v_add_f64 v[178:179], v[178:179], -v[212:213]
	s_waitcnt lgkmcnt(0)
	v_mul_f64 v[180:181], v[234:235], v[182:183]
	v_mul_f64 v[212:213], v[232:233], v[182:183]
	s_delay_alu instid0(VALU_DEP_2) | instskip(NEXT) | instid1(VALU_DEP_2)
	v_fma_f64 v[180:181], v[232:233], v[248:249], -v[180:181]
	v_fma_f64 v[212:213], v[234:235], v[248:249], v[212:213]
	ds_load_2addr_b64 v[232:235], v250 offset0:34 offset1:35
	v_add_f64 v[172:173], v[172:173], -v[180:181]
	v_add_f64 v[174:175], v[174:175], -v[212:213]
	s_waitcnt lgkmcnt(0)
	v_mul_f64 v[180:181], v[234:235], v[182:183]
	v_mul_f64 v[212:213], v[232:233], v[182:183]
	s_delay_alu instid0(VALU_DEP_2) | instskip(NEXT) | instid1(VALU_DEP_2)
	v_fma_f64 v[180:181], v[232:233], v[248:249], -v[180:181]
	;; [unrolled: 9-line block ×44, first 2 shown]
	v_fma_f64 v[212:213], v[234:235], v[248:249], v[212:213]
	s_delay_alu instid0(VALU_DEP_2) | instskip(NEXT) | instid1(VALU_DEP_2)
	v_add_f64 v[228:229], v[228:229], -v[180:181]
	v_add_f64 v[230:231], v[230:231], -v[212:213]
	v_dual_mov_b32 v180, v248 :: v_dual_mov_b32 v181, v249
.LBB118_314:
	s_or_b32 exec_lo, exec_lo, s2
	v_lshl_add_u32 v212, v255, 4, v250
	s_barrier
	buffer_gl0_inv
	v_mov_b32_e32 v248, 15
	ds_store_2addr_b64 v212, v[176:177], v[178:179] offset1:1
	s_waitcnt lgkmcnt(0)
	s_barrier
	buffer_gl0_inv
	ds_load_2addr_b64 v[240:243], v250 offset0:30 offset1:31
	s_cmp_lt_i32 s12, 17
	s_cbranch_scc1 .LBB118_317
; %bb.315:
	v_add3_u32 v245, v254, 0, 0x100
	v_mov_b32_e32 v248, 15
	s_mov_b32 s6, 16
	s_set_inst_prefetch_distance 0x1
	.p2align	6
.LBB118_316:                            ; =>This Inner Loop Header: Depth=1
	ds_load_2addr_b64 v[232:235], v245 offset1:1
	s_waitcnt lgkmcnt(1)
	v_cmp_gt_f64_e32 vcc_lo, 0, v[240:241]
	v_cmp_gt_f64_e64 s2, 0, v[242:243]
	v_xor_b32_e32 v213, 0x80000000, v241
	v_xor_b32_e32 v215, 0x80000000, v243
	v_add_nc_u32_e32 v245, 16, v245
	s_waitcnt lgkmcnt(0)
	v_cmp_gt_f64_e64 s3, 0, v[232:233]
	v_cmp_gt_f64_e64 s4, 0, v[234:235]
	v_xor_b32_e32 v219, 0x80000000, v233
	v_xor_b32_e32 v220, 0x80000000, v235
	v_mov_b32_e32 v214, v234
	v_mov_b32_e32 v212, v232
	v_cndmask_b32_e32 v216, v241, v213, vcc_lo
	v_cndmask_b32_e64 v218, v243, v215, s2
	v_cndmask_b32_e32 v215, v240, v240, vcc_lo
	v_cndmask_b32_e64 v217, v242, v242, s2
	s_delay_alu instid0(VALU_DEP_1) | instskip(SKIP_2) | instid1(VALU_DEP_1)
	v_add_f64 v[216:217], v[215:216], v[217:218]
	v_cndmask_b32_e64 v213, v233, v219, s3
	v_cndmask_b32_e64 v215, v235, v220, s4
	v_add_f64 v[212:213], v[212:213], v[214:215]
	s_delay_alu instid0(VALU_DEP_1)
	v_cmp_lt_f64_e32 vcc_lo, v[216:217], v[212:213]
	v_cndmask_b32_e32 v243, v243, v235, vcc_lo
	v_dual_cndmask_b32 v241, v241, v233 :: v_dual_cndmask_b32 v240, v240, v232
	v_cndmask_b32_e32 v242, v242, v234, vcc_lo
	v_cndmask_b32_e64 v248, v248, s6, vcc_lo
	s_add_i32 s6, s6, 1
	s_delay_alu instid0(SALU_CYCLE_1)
	s_cmp_lg_u32 s12, s6
	s_cbranch_scc1 .LBB118_316
.LBB118_317:
	s_set_inst_prefetch_distance 0x2
	s_waitcnt lgkmcnt(0)
	v_cmp_eq_f64_e32 vcc_lo, 0, v[240:241]
	v_cmp_eq_f64_e64 s2, 0, v[242:243]
	s_delay_alu instid0(VALU_DEP_1) | instskip(NEXT) | instid1(SALU_CYCLE_1)
	s_and_b32 s2, vcc_lo, s2
	s_and_saveexec_b32 s3, s2
	s_delay_alu instid0(SALU_CYCLE_1)
	s_xor_b32 s2, exec_lo, s3
; %bb.318:
	v_cmp_ne_u32_e32 vcc_lo, 0, v253
	v_cndmask_b32_e32 v253, 16, v253, vcc_lo
; %bb.319:
	s_and_not1_saveexec_b32 s3, s2
	s_cbranch_execz .LBB118_325
; %bb.320:
	v_cmp_gt_f64_e32 vcc_lo, 0, v[240:241]
	v_cmp_gt_f64_e64 s2, 0, v[242:243]
	v_xor_b32_e32 v212, 0x80000000, v241
	v_xor_b32_e32 v214, 0x80000000, v243
	s_delay_alu instid0(VALU_DEP_2) | instskip(NEXT) | instid1(VALU_DEP_2)
	v_cndmask_b32_e32 v213, v241, v212, vcc_lo
	v_cndmask_b32_e64 v215, v243, v214, s2
	v_cndmask_b32_e32 v212, v240, v240, vcc_lo
	v_cndmask_b32_e64 v214, v242, v242, s2
	s_mov_b32 s2, exec_lo
	s_delay_alu instid0(VALU_DEP_1)
	v_cmpx_ngt_f64_e32 v[212:213], v[214:215]
	s_xor_b32 s2, exec_lo, s2
	s_cbranch_execz .LBB118_322
; %bb.321:
	v_div_scale_f64 v[212:213], null, v[242:243], v[242:243], v[240:241]
	v_div_scale_f64 v[218:219], vcc_lo, v[240:241], v[242:243], v[240:241]
	s_delay_alu instid0(VALU_DEP_2) | instskip(SKIP_2) | instid1(VALU_DEP_1)
	v_rcp_f64_e32 v[214:215], v[212:213]
	s_waitcnt_depctr 0xfff
	v_fma_f64 v[216:217], -v[212:213], v[214:215], 1.0
	v_fma_f64 v[214:215], v[214:215], v[216:217], v[214:215]
	s_delay_alu instid0(VALU_DEP_1) | instskip(NEXT) | instid1(VALU_DEP_1)
	v_fma_f64 v[216:217], -v[212:213], v[214:215], 1.0
	v_fma_f64 v[214:215], v[214:215], v[216:217], v[214:215]
	s_delay_alu instid0(VALU_DEP_1) | instskip(NEXT) | instid1(VALU_DEP_1)
	v_mul_f64 v[216:217], v[218:219], v[214:215]
	v_fma_f64 v[212:213], -v[212:213], v[216:217], v[218:219]
	s_delay_alu instid0(VALU_DEP_1) | instskip(NEXT) | instid1(VALU_DEP_1)
	v_div_fmas_f64 v[212:213], v[212:213], v[214:215], v[216:217]
	v_div_fixup_f64 v[212:213], v[212:213], v[242:243], v[240:241]
	s_delay_alu instid0(VALU_DEP_1) | instskip(NEXT) | instid1(VALU_DEP_1)
	v_fma_f64 v[214:215], v[240:241], v[212:213], v[242:243]
	v_div_scale_f64 v[216:217], null, v[214:215], v[214:215], 1.0
	s_delay_alu instid0(VALU_DEP_1) | instskip(SKIP_2) | instid1(VALU_DEP_1)
	v_rcp_f64_e32 v[218:219], v[216:217]
	s_waitcnt_depctr 0xfff
	v_fma_f64 v[220:221], -v[216:217], v[218:219], 1.0
	v_fma_f64 v[218:219], v[218:219], v[220:221], v[218:219]
	s_delay_alu instid0(VALU_DEP_1) | instskip(NEXT) | instid1(VALU_DEP_1)
	v_fma_f64 v[220:221], -v[216:217], v[218:219], 1.0
	v_fma_f64 v[218:219], v[218:219], v[220:221], v[218:219]
	v_div_scale_f64 v[220:221], vcc_lo, 1.0, v[214:215], 1.0
	s_delay_alu instid0(VALU_DEP_1) | instskip(NEXT) | instid1(VALU_DEP_1)
	v_mul_f64 v[222:223], v[220:221], v[218:219]
	v_fma_f64 v[216:217], -v[216:217], v[222:223], v[220:221]
	s_delay_alu instid0(VALU_DEP_1) | instskip(NEXT) | instid1(VALU_DEP_1)
	v_div_fmas_f64 v[216:217], v[216:217], v[218:219], v[222:223]
	v_div_fixup_f64 v[242:243], v[216:217], v[214:215], 1.0
	s_delay_alu instid0(VALU_DEP_1)
	v_mul_f64 v[240:241], v[212:213], v[242:243]
	v_xor_b32_e32 v243, 0x80000000, v243
.LBB118_322:
	s_and_not1_saveexec_b32 s2, s2
	s_cbranch_execz .LBB118_324
; %bb.323:
	s_delay_alu instid0(VALU_DEP_1) | instskip(SKIP_1) | instid1(VALU_DEP_2)
	v_div_scale_f64 v[212:213], null, v[240:241], v[240:241], v[242:243]
	v_div_scale_f64 v[218:219], vcc_lo, v[242:243], v[240:241], v[242:243]
	v_rcp_f64_e32 v[214:215], v[212:213]
	s_waitcnt_depctr 0xfff
	v_fma_f64 v[216:217], -v[212:213], v[214:215], 1.0
	s_delay_alu instid0(VALU_DEP_1) | instskip(NEXT) | instid1(VALU_DEP_1)
	v_fma_f64 v[214:215], v[214:215], v[216:217], v[214:215]
	v_fma_f64 v[216:217], -v[212:213], v[214:215], 1.0
	s_delay_alu instid0(VALU_DEP_1) | instskip(NEXT) | instid1(VALU_DEP_1)
	v_fma_f64 v[214:215], v[214:215], v[216:217], v[214:215]
	v_mul_f64 v[216:217], v[218:219], v[214:215]
	s_delay_alu instid0(VALU_DEP_1) | instskip(NEXT) | instid1(VALU_DEP_1)
	v_fma_f64 v[212:213], -v[212:213], v[216:217], v[218:219]
	v_div_fmas_f64 v[212:213], v[212:213], v[214:215], v[216:217]
	s_delay_alu instid0(VALU_DEP_1) | instskip(NEXT) | instid1(VALU_DEP_1)
	v_div_fixup_f64 v[212:213], v[212:213], v[240:241], v[242:243]
	v_fma_f64 v[214:215], v[242:243], v[212:213], v[240:241]
	s_delay_alu instid0(VALU_DEP_1) | instskip(NEXT) | instid1(VALU_DEP_1)
	v_div_scale_f64 v[216:217], null, v[214:215], v[214:215], 1.0
	v_rcp_f64_e32 v[218:219], v[216:217]
	s_waitcnt_depctr 0xfff
	v_fma_f64 v[220:221], -v[216:217], v[218:219], 1.0
	s_delay_alu instid0(VALU_DEP_1) | instskip(NEXT) | instid1(VALU_DEP_1)
	v_fma_f64 v[218:219], v[218:219], v[220:221], v[218:219]
	v_fma_f64 v[220:221], -v[216:217], v[218:219], 1.0
	s_delay_alu instid0(VALU_DEP_1) | instskip(SKIP_1) | instid1(VALU_DEP_1)
	v_fma_f64 v[218:219], v[218:219], v[220:221], v[218:219]
	v_div_scale_f64 v[220:221], vcc_lo, 1.0, v[214:215], 1.0
	v_mul_f64 v[222:223], v[220:221], v[218:219]
	s_delay_alu instid0(VALU_DEP_1) | instskip(NEXT) | instid1(VALU_DEP_1)
	v_fma_f64 v[216:217], -v[216:217], v[222:223], v[220:221]
	v_div_fmas_f64 v[216:217], v[216:217], v[218:219], v[222:223]
	s_delay_alu instid0(VALU_DEP_1) | instskip(NEXT) | instid1(VALU_DEP_1)
	v_div_fixup_f64 v[240:241], v[216:217], v[214:215], 1.0
	v_mul_f64 v[242:243], v[212:213], -v[240:241]
.LBB118_324:
	s_or_b32 exec_lo, exec_lo, s2
.LBB118_325:
	s_delay_alu instid0(SALU_CYCLE_1) | instskip(NEXT) | instid1(SALU_CYCLE_1)
	s_or_b32 exec_lo, exec_lo, s3
	s_mov_b32 s2, exec_lo
	v_cmpx_ne_u32_e64 v255, v248
	s_xor_b32 s2, exec_lo, s2
	s_cbranch_execz .LBB118_331
; %bb.326:
	s_mov_b32 s3, exec_lo
	v_cmpx_eq_u32_e32 15, v255
	s_cbranch_execz .LBB118_330
; %bb.327:
	v_cmp_ne_u32_e32 vcc_lo, 15, v248
	s_xor_b32 s4, s5, -1
	s_delay_alu instid0(SALU_CYCLE_1) | instskip(NEXT) | instid1(SALU_CYCLE_1)
	s_and_b32 s6, s4, vcc_lo
	s_and_saveexec_b32 s4, s6
	s_cbranch_execz .LBB118_329
; %bb.328:
	scratch_load_b64 v[208:209], off, off offset:16 ; 8-byte Folded Reload
	v_ashrrev_i32_e32 v249, 31, v248
	s_delay_alu instid0(VALU_DEP_1) | instskip(SKIP_1) | instid1(VALU_DEP_1)
	v_lshlrev_b64 v[212:213], 2, v[248:249]
	s_waitcnt vmcnt(0)
	v_add_co_u32 v212, vcc_lo, v208, v212
	s_delay_alu instid0(VALU_DEP_2)
	v_add_co_ci_u32_e32 v213, vcc_lo, v209, v213, vcc_lo
	s_clause 0x1
	flat_load_b32 v214, v[212:213]
	flat_load_b32 v215, v[208:209] offset:60
	s_waitcnt vmcnt(1) lgkmcnt(1)
	flat_store_b32 v[208:209], v214 offset:60
	s_waitcnt vmcnt(0) lgkmcnt(1)
	flat_store_b32 v[212:213], v215
.LBB118_329:
	s_or_b32 exec_lo, exec_lo, s4
	v_mov_b32_e32 v255, v248
	v_mov_b32_e32 v244, v248
.LBB118_330:
	s_or_b32 exec_lo, exec_lo, s3
.LBB118_331:
	s_and_not1_saveexec_b32 s2, s2
	s_cbranch_execz .LBB118_333
; %bb.332:
	v_mov_b32_e32 v255, 15
	ds_store_2addr_b64 v250, v[172:173], v[174:175] offset0:32 offset1:33
	ds_store_2addr_b64 v250, v[168:169], v[170:171] offset0:34 offset1:35
	;; [unrolled: 1-line block ×44, first 2 shown]
.LBB118_333:
	s_or_b32 exec_lo, exec_lo, s2
	s_delay_alu instid0(SALU_CYCLE_1)
	s_mov_b32 s2, exec_lo
	s_waitcnt lgkmcnt(0)
	s_waitcnt_vscnt null, 0x0
	s_barrier
	buffer_gl0_inv
	v_cmpx_lt_i32_e32 15, v255
	s_cbranch_execz .LBB118_335
; %bb.334:
	v_mul_f64 v[212:213], v[242:243], v[178:179]
	v_mul_f64 v[178:179], v[240:241], v[178:179]
	ds_load_2addr_b64 v[232:235], v250 offset0:32 offset1:33
	v_fma_f64 v[248:249], v[240:241], v[176:177], -v[212:213]
	v_fma_f64 v[178:179], v[242:243], v[176:177], v[178:179]
	s_waitcnt lgkmcnt(0)
	s_delay_alu instid0(VALU_DEP_1) | instskip(SKIP_1) | instid1(VALU_DEP_2)
	v_mul_f64 v[176:177], v[234:235], v[178:179]
	v_mul_f64 v[212:213], v[232:233], v[178:179]
	v_fma_f64 v[176:177], v[232:233], v[248:249], -v[176:177]
	s_delay_alu instid0(VALU_DEP_2)
	v_fma_f64 v[212:213], v[234:235], v[248:249], v[212:213]
	ds_load_2addr_b64 v[232:235], v250 offset0:34 offset1:35
	v_add_f64 v[172:173], v[172:173], -v[176:177]
	v_add_f64 v[174:175], v[174:175], -v[212:213]
	s_waitcnt lgkmcnt(0)
	v_mul_f64 v[176:177], v[234:235], v[178:179]
	v_mul_f64 v[212:213], v[232:233], v[178:179]
	s_delay_alu instid0(VALU_DEP_2) | instskip(NEXT) | instid1(VALU_DEP_2)
	v_fma_f64 v[176:177], v[232:233], v[248:249], -v[176:177]
	v_fma_f64 v[212:213], v[234:235], v[248:249], v[212:213]
	ds_load_2addr_b64 v[232:235], v250 offset0:36 offset1:37
	v_add_f64 v[168:169], v[168:169], -v[176:177]
	v_add_f64 v[170:171], v[170:171], -v[212:213]
	s_waitcnt lgkmcnt(0)
	v_mul_f64 v[176:177], v[234:235], v[178:179]
	v_mul_f64 v[212:213], v[232:233], v[178:179]
	s_delay_alu instid0(VALU_DEP_2) | instskip(NEXT) | instid1(VALU_DEP_2)
	v_fma_f64 v[176:177], v[232:233], v[248:249], -v[176:177]
	v_fma_f64 v[212:213], v[234:235], v[248:249], v[212:213]
	ds_load_2addr_b64 v[232:235], v250 offset0:38 offset1:39
	v_add_f64 v[164:165], v[164:165], -v[176:177]
	v_add_f64 v[166:167], v[166:167], -v[212:213]
	s_waitcnt lgkmcnt(0)
	v_mul_f64 v[176:177], v[234:235], v[178:179]
	v_mul_f64 v[212:213], v[232:233], v[178:179]
	s_delay_alu instid0(VALU_DEP_2) | instskip(NEXT) | instid1(VALU_DEP_2)
	v_fma_f64 v[176:177], v[232:233], v[248:249], -v[176:177]
	v_fma_f64 v[212:213], v[234:235], v[248:249], v[212:213]
	ds_load_2addr_b64 v[232:235], v250 offset0:40 offset1:41
	v_add_f64 v[160:161], v[160:161], -v[176:177]
	v_add_f64 v[162:163], v[162:163], -v[212:213]
	s_waitcnt lgkmcnt(0)
	v_mul_f64 v[176:177], v[234:235], v[178:179]
	v_mul_f64 v[212:213], v[232:233], v[178:179]
	s_delay_alu instid0(VALU_DEP_2) | instskip(NEXT) | instid1(VALU_DEP_2)
	v_fma_f64 v[176:177], v[232:233], v[248:249], -v[176:177]
	v_fma_f64 v[212:213], v[234:235], v[248:249], v[212:213]
	ds_load_2addr_b64 v[232:235], v250 offset0:42 offset1:43
	v_add_f64 v[156:157], v[156:157], -v[176:177]
	v_add_f64 v[158:159], v[158:159], -v[212:213]
	s_waitcnt lgkmcnt(0)
	v_mul_f64 v[176:177], v[234:235], v[178:179]
	v_mul_f64 v[212:213], v[232:233], v[178:179]
	s_delay_alu instid0(VALU_DEP_2) | instskip(NEXT) | instid1(VALU_DEP_2)
	v_fma_f64 v[176:177], v[232:233], v[248:249], -v[176:177]
	v_fma_f64 v[212:213], v[234:235], v[248:249], v[212:213]
	ds_load_2addr_b64 v[232:235], v250 offset0:44 offset1:45
	v_add_f64 v[152:153], v[152:153], -v[176:177]
	v_add_f64 v[154:155], v[154:155], -v[212:213]
	s_waitcnt lgkmcnt(0)
	v_mul_f64 v[176:177], v[234:235], v[178:179]
	v_mul_f64 v[212:213], v[232:233], v[178:179]
	s_delay_alu instid0(VALU_DEP_2) | instskip(NEXT) | instid1(VALU_DEP_2)
	v_fma_f64 v[176:177], v[232:233], v[248:249], -v[176:177]
	v_fma_f64 v[212:213], v[234:235], v[248:249], v[212:213]
	ds_load_2addr_b64 v[232:235], v250 offset0:46 offset1:47
	v_add_f64 v[148:149], v[148:149], -v[176:177]
	v_add_f64 v[150:151], v[150:151], -v[212:213]
	s_waitcnt lgkmcnt(0)
	v_mul_f64 v[176:177], v[234:235], v[178:179]
	v_mul_f64 v[212:213], v[232:233], v[178:179]
	s_delay_alu instid0(VALU_DEP_2) | instskip(NEXT) | instid1(VALU_DEP_2)
	v_fma_f64 v[176:177], v[232:233], v[248:249], -v[176:177]
	v_fma_f64 v[212:213], v[234:235], v[248:249], v[212:213]
	ds_load_2addr_b64 v[232:235], v250 offset0:48 offset1:49
	v_add_f64 v[144:145], v[144:145], -v[176:177]
	v_add_f64 v[146:147], v[146:147], -v[212:213]
	s_waitcnt lgkmcnt(0)
	v_mul_f64 v[176:177], v[234:235], v[178:179]
	v_mul_f64 v[212:213], v[232:233], v[178:179]
	s_delay_alu instid0(VALU_DEP_2) | instskip(NEXT) | instid1(VALU_DEP_2)
	v_fma_f64 v[176:177], v[232:233], v[248:249], -v[176:177]
	v_fma_f64 v[212:213], v[234:235], v[248:249], v[212:213]
	ds_load_2addr_b64 v[232:235], v250 offset0:50 offset1:51
	v_add_f64 v[140:141], v[140:141], -v[176:177]
	v_add_f64 v[142:143], v[142:143], -v[212:213]
	s_waitcnt lgkmcnt(0)
	v_mul_f64 v[176:177], v[234:235], v[178:179]
	v_mul_f64 v[212:213], v[232:233], v[178:179]
	s_delay_alu instid0(VALU_DEP_2) | instskip(NEXT) | instid1(VALU_DEP_2)
	v_fma_f64 v[176:177], v[232:233], v[248:249], -v[176:177]
	v_fma_f64 v[212:213], v[234:235], v[248:249], v[212:213]
	ds_load_2addr_b64 v[232:235], v250 offset0:52 offset1:53
	v_add_f64 v[136:137], v[136:137], -v[176:177]
	v_add_f64 v[138:139], v[138:139], -v[212:213]
	s_waitcnt lgkmcnt(0)
	v_mul_f64 v[176:177], v[234:235], v[178:179]
	v_mul_f64 v[212:213], v[232:233], v[178:179]
	s_delay_alu instid0(VALU_DEP_2) | instskip(NEXT) | instid1(VALU_DEP_2)
	v_fma_f64 v[176:177], v[232:233], v[248:249], -v[176:177]
	v_fma_f64 v[212:213], v[234:235], v[248:249], v[212:213]
	ds_load_2addr_b64 v[232:235], v250 offset0:54 offset1:55
	v_add_f64 v[132:133], v[132:133], -v[176:177]
	v_add_f64 v[134:135], v[134:135], -v[212:213]
	s_waitcnt lgkmcnt(0)
	v_mul_f64 v[176:177], v[234:235], v[178:179]
	v_mul_f64 v[212:213], v[232:233], v[178:179]
	s_delay_alu instid0(VALU_DEP_2) | instskip(NEXT) | instid1(VALU_DEP_2)
	v_fma_f64 v[176:177], v[232:233], v[248:249], -v[176:177]
	v_fma_f64 v[212:213], v[234:235], v[248:249], v[212:213]
	ds_load_2addr_b64 v[232:235], v250 offset0:56 offset1:57
	v_add_f64 v[128:129], v[128:129], -v[176:177]
	v_add_f64 v[130:131], v[130:131], -v[212:213]
	s_waitcnt lgkmcnt(0)
	v_mul_f64 v[176:177], v[234:235], v[178:179]
	v_mul_f64 v[212:213], v[232:233], v[178:179]
	s_delay_alu instid0(VALU_DEP_2) | instskip(NEXT) | instid1(VALU_DEP_2)
	v_fma_f64 v[176:177], v[232:233], v[248:249], -v[176:177]
	v_fma_f64 v[212:213], v[234:235], v[248:249], v[212:213]
	ds_load_2addr_b64 v[232:235], v250 offset0:58 offset1:59
	v_add_f64 v[124:125], v[124:125], -v[176:177]
	v_add_f64 v[126:127], v[126:127], -v[212:213]
	s_waitcnt lgkmcnt(0)
	v_mul_f64 v[176:177], v[234:235], v[178:179]
	v_mul_f64 v[212:213], v[232:233], v[178:179]
	s_delay_alu instid0(VALU_DEP_2) | instskip(NEXT) | instid1(VALU_DEP_2)
	v_fma_f64 v[176:177], v[232:233], v[248:249], -v[176:177]
	v_fma_f64 v[212:213], v[234:235], v[248:249], v[212:213]
	ds_load_2addr_b64 v[232:235], v250 offset0:60 offset1:61
	v_add_f64 v[120:121], v[120:121], -v[176:177]
	v_add_f64 v[122:123], v[122:123], -v[212:213]
	s_waitcnt lgkmcnt(0)
	v_mul_f64 v[176:177], v[234:235], v[178:179]
	v_mul_f64 v[212:213], v[232:233], v[178:179]
	s_delay_alu instid0(VALU_DEP_2) | instskip(NEXT) | instid1(VALU_DEP_2)
	v_fma_f64 v[176:177], v[232:233], v[248:249], -v[176:177]
	v_fma_f64 v[212:213], v[234:235], v[248:249], v[212:213]
	ds_load_2addr_b64 v[232:235], v250 offset0:62 offset1:63
	v_add_f64 v[116:117], v[116:117], -v[176:177]
	v_add_f64 v[118:119], v[118:119], -v[212:213]
	s_waitcnt lgkmcnt(0)
	v_mul_f64 v[176:177], v[234:235], v[178:179]
	v_mul_f64 v[212:213], v[232:233], v[178:179]
	s_delay_alu instid0(VALU_DEP_2) | instskip(NEXT) | instid1(VALU_DEP_2)
	v_fma_f64 v[176:177], v[232:233], v[248:249], -v[176:177]
	v_fma_f64 v[212:213], v[234:235], v[248:249], v[212:213]
	ds_load_2addr_b64 v[232:235], v250 offset0:64 offset1:65
	v_add_f64 v[112:113], v[112:113], -v[176:177]
	v_add_f64 v[114:115], v[114:115], -v[212:213]
	s_waitcnt lgkmcnt(0)
	v_mul_f64 v[176:177], v[234:235], v[178:179]
	v_mul_f64 v[212:213], v[232:233], v[178:179]
	s_delay_alu instid0(VALU_DEP_2) | instskip(NEXT) | instid1(VALU_DEP_2)
	v_fma_f64 v[176:177], v[232:233], v[248:249], -v[176:177]
	v_fma_f64 v[212:213], v[234:235], v[248:249], v[212:213]
	ds_load_2addr_b64 v[232:235], v250 offset0:66 offset1:67
	v_add_f64 v[108:109], v[108:109], -v[176:177]
	v_add_f64 v[110:111], v[110:111], -v[212:213]
	s_waitcnt lgkmcnt(0)
	v_mul_f64 v[176:177], v[234:235], v[178:179]
	v_mul_f64 v[212:213], v[232:233], v[178:179]
	s_delay_alu instid0(VALU_DEP_2) | instskip(NEXT) | instid1(VALU_DEP_2)
	v_fma_f64 v[176:177], v[232:233], v[248:249], -v[176:177]
	v_fma_f64 v[212:213], v[234:235], v[248:249], v[212:213]
	ds_load_2addr_b64 v[232:235], v250 offset0:68 offset1:69
	v_add_f64 v[104:105], v[104:105], -v[176:177]
	v_add_f64 v[106:107], v[106:107], -v[212:213]
	s_waitcnt lgkmcnt(0)
	v_mul_f64 v[176:177], v[234:235], v[178:179]
	v_mul_f64 v[212:213], v[232:233], v[178:179]
	s_delay_alu instid0(VALU_DEP_2) | instskip(NEXT) | instid1(VALU_DEP_2)
	v_fma_f64 v[176:177], v[232:233], v[248:249], -v[176:177]
	v_fma_f64 v[212:213], v[234:235], v[248:249], v[212:213]
	ds_load_2addr_b64 v[232:235], v250 offset0:70 offset1:71
	v_add_f64 v[100:101], v[100:101], -v[176:177]
	v_add_f64 v[102:103], v[102:103], -v[212:213]
	s_waitcnt lgkmcnt(0)
	v_mul_f64 v[176:177], v[234:235], v[178:179]
	v_mul_f64 v[212:213], v[232:233], v[178:179]
	s_delay_alu instid0(VALU_DEP_2) | instskip(NEXT) | instid1(VALU_DEP_2)
	v_fma_f64 v[176:177], v[232:233], v[248:249], -v[176:177]
	v_fma_f64 v[212:213], v[234:235], v[248:249], v[212:213]
	ds_load_2addr_b64 v[232:235], v250 offset0:72 offset1:73
	v_add_f64 v[96:97], v[96:97], -v[176:177]
	v_add_f64 v[98:99], v[98:99], -v[212:213]
	s_waitcnt lgkmcnt(0)
	v_mul_f64 v[176:177], v[234:235], v[178:179]
	v_mul_f64 v[212:213], v[232:233], v[178:179]
	s_delay_alu instid0(VALU_DEP_2) | instskip(NEXT) | instid1(VALU_DEP_2)
	v_fma_f64 v[176:177], v[232:233], v[248:249], -v[176:177]
	v_fma_f64 v[212:213], v[234:235], v[248:249], v[212:213]
	ds_load_2addr_b64 v[232:235], v250 offset0:74 offset1:75
	v_add_f64 v[92:93], v[92:93], -v[176:177]
	v_add_f64 v[94:95], v[94:95], -v[212:213]
	s_waitcnt lgkmcnt(0)
	v_mul_f64 v[176:177], v[234:235], v[178:179]
	v_mul_f64 v[212:213], v[232:233], v[178:179]
	s_delay_alu instid0(VALU_DEP_2) | instskip(NEXT) | instid1(VALU_DEP_2)
	v_fma_f64 v[176:177], v[232:233], v[248:249], -v[176:177]
	v_fma_f64 v[212:213], v[234:235], v[248:249], v[212:213]
	ds_load_2addr_b64 v[232:235], v250 offset0:76 offset1:77
	v_add_f64 v[88:89], v[88:89], -v[176:177]
	v_add_f64 v[90:91], v[90:91], -v[212:213]
	s_waitcnt lgkmcnt(0)
	v_mul_f64 v[176:177], v[234:235], v[178:179]
	v_mul_f64 v[212:213], v[232:233], v[178:179]
	s_delay_alu instid0(VALU_DEP_2) | instskip(NEXT) | instid1(VALU_DEP_2)
	v_fma_f64 v[176:177], v[232:233], v[248:249], -v[176:177]
	v_fma_f64 v[212:213], v[234:235], v[248:249], v[212:213]
	ds_load_2addr_b64 v[232:235], v250 offset0:78 offset1:79
	v_add_f64 v[84:85], v[84:85], -v[176:177]
	v_add_f64 v[86:87], v[86:87], -v[212:213]
	s_waitcnt lgkmcnt(0)
	v_mul_f64 v[176:177], v[234:235], v[178:179]
	v_mul_f64 v[212:213], v[232:233], v[178:179]
	s_delay_alu instid0(VALU_DEP_2) | instskip(NEXT) | instid1(VALU_DEP_2)
	v_fma_f64 v[176:177], v[232:233], v[248:249], -v[176:177]
	v_fma_f64 v[212:213], v[234:235], v[248:249], v[212:213]
	ds_load_2addr_b64 v[232:235], v250 offset0:80 offset1:81
	v_add_f64 v[80:81], v[80:81], -v[176:177]
	v_add_f64 v[82:83], v[82:83], -v[212:213]
	s_waitcnt lgkmcnt(0)
	v_mul_f64 v[176:177], v[234:235], v[178:179]
	v_mul_f64 v[212:213], v[232:233], v[178:179]
	s_delay_alu instid0(VALU_DEP_2) | instskip(NEXT) | instid1(VALU_DEP_2)
	v_fma_f64 v[176:177], v[232:233], v[248:249], -v[176:177]
	v_fma_f64 v[212:213], v[234:235], v[248:249], v[212:213]
	ds_load_2addr_b64 v[232:235], v250 offset0:82 offset1:83
	v_add_f64 v[76:77], v[76:77], -v[176:177]
	v_add_f64 v[78:79], v[78:79], -v[212:213]
	s_waitcnt lgkmcnt(0)
	v_mul_f64 v[176:177], v[234:235], v[178:179]
	v_mul_f64 v[212:213], v[232:233], v[178:179]
	s_delay_alu instid0(VALU_DEP_2) | instskip(NEXT) | instid1(VALU_DEP_2)
	v_fma_f64 v[176:177], v[232:233], v[248:249], -v[176:177]
	v_fma_f64 v[212:213], v[234:235], v[248:249], v[212:213]
	ds_load_2addr_b64 v[232:235], v250 offset0:84 offset1:85
	v_add_f64 v[72:73], v[72:73], -v[176:177]
	v_add_f64 v[74:75], v[74:75], -v[212:213]
	s_waitcnt lgkmcnt(0)
	v_mul_f64 v[176:177], v[234:235], v[178:179]
	v_mul_f64 v[212:213], v[232:233], v[178:179]
	s_delay_alu instid0(VALU_DEP_2) | instskip(NEXT) | instid1(VALU_DEP_2)
	v_fma_f64 v[176:177], v[232:233], v[248:249], -v[176:177]
	v_fma_f64 v[212:213], v[234:235], v[248:249], v[212:213]
	ds_load_2addr_b64 v[232:235], v250 offset0:86 offset1:87
	v_add_f64 v[68:69], v[68:69], -v[176:177]
	v_add_f64 v[70:71], v[70:71], -v[212:213]
	s_waitcnt lgkmcnt(0)
	v_mul_f64 v[176:177], v[234:235], v[178:179]
	v_mul_f64 v[212:213], v[232:233], v[178:179]
	s_delay_alu instid0(VALU_DEP_2) | instskip(NEXT) | instid1(VALU_DEP_2)
	v_fma_f64 v[176:177], v[232:233], v[248:249], -v[176:177]
	v_fma_f64 v[212:213], v[234:235], v[248:249], v[212:213]
	ds_load_2addr_b64 v[232:235], v250 offset0:88 offset1:89
	v_add_f64 v[64:65], v[64:65], -v[176:177]
	v_add_f64 v[66:67], v[66:67], -v[212:213]
	s_waitcnt lgkmcnt(0)
	v_mul_f64 v[176:177], v[234:235], v[178:179]
	v_mul_f64 v[212:213], v[232:233], v[178:179]
	s_delay_alu instid0(VALU_DEP_2) | instskip(NEXT) | instid1(VALU_DEP_2)
	v_fma_f64 v[176:177], v[232:233], v[248:249], -v[176:177]
	v_fma_f64 v[212:213], v[234:235], v[248:249], v[212:213]
	ds_load_2addr_b64 v[232:235], v250 offset0:90 offset1:91
	v_add_f64 v[60:61], v[60:61], -v[176:177]
	v_add_f64 v[62:63], v[62:63], -v[212:213]
	s_waitcnt lgkmcnt(0)
	v_mul_f64 v[176:177], v[234:235], v[178:179]
	v_mul_f64 v[212:213], v[232:233], v[178:179]
	s_delay_alu instid0(VALU_DEP_2) | instskip(NEXT) | instid1(VALU_DEP_2)
	v_fma_f64 v[176:177], v[232:233], v[248:249], -v[176:177]
	v_fma_f64 v[212:213], v[234:235], v[248:249], v[212:213]
	ds_load_2addr_b64 v[232:235], v250 offset0:92 offset1:93
	v_add_f64 v[56:57], v[56:57], -v[176:177]
	v_add_f64 v[58:59], v[58:59], -v[212:213]
	s_waitcnt lgkmcnt(0)
	v_mul_f64 v[176:177], v[234:235], v[178:179]
	v_mul_f64 v[212:213], v[232:233], v[178:179]
	s_delay_alu instid0(VALU_DEP_2) | instskip(NEXT) | instid1(VALU_DEP_2)
	v_fma_f64 v[176:177], v[232:233], v[248:249], -v[176:177]
	v_fma_f64 v[212:213], v[234:235], v[248:249], v[212:213]
	ds_load_2addr_b64 v[232:235], v250 offset0:94 offset1:95
	v_add_f64 v[52:53], v[52:53], -v[176:177]
	v_add_f64 v[54:55], v[54:55], -v[212:213]
	s_waitcnt lgkmcnt(0)
	v_mul_f64 v[176:177], v[234:235], v[178:179]
	v_mul_f64 v[212:213], v[232:233], v[178:179]
	s_delay_alu instid0(VALU_DEP_2) | instskip(NEXT) | instid1(VALU_DEP_2)
	v_fma_f64 v[176:177], v[232:233], v[248:249], -v[176:177]
	v_fma_f64 v[212:213], v[234:235], v[248:249], v[212:213]
	ds_load_2addr_b64 v[232:235], v250 offset0:96 offset1:97
	v_add_f64 v[48:49], v[48:49], -v[176:177]
	v_add_f64 v[50:51], v[50:51], -v[212:213]
	s_waitcnt lgkmcnt(0)
	v_mul_f64 v[176:177], v[234:235], v[178:179]
	v_mul_f64 v[212:213], v[232:233], v[178:179]
	s_delay_alu instid0(VALU_DEP_2) | instskip(NEXT) | instid1(VALU_DEP_2)
	v_fma_f64 v[176:177], v[232:233], v[248:249], -v[176:177]
	v_fma_f64 v[212:213], v[234:235], v[248:249], v[212:213]
	ds_load_2addr_b64 v[232:235], v250 offset0:98 offset1:99
	v_add_f64 v[44:45], v[44:45], -v[176:177]
	v_add_f64 v[46:47], v[46:47], -v[212:213]
	s_waitcnt lgkmcnt(0)
	v_mul_f64 v[176:177], v[234:235], v[178:179]
	v_mul_f64 v[212:213], v[232:233], v[178:179]
	s_delay_alu instid0(VALU_DEP_2) | instskip(NEXT) | instid1(VALU_DEP_2)
	v_fma_f64 v[176:177], v[232:233], v[248:249], -v[176:177]
	v_fma_f64 v[212:213], v[234:235], v[248:249], v[212:213]
	ds_load_2addr_b64 v[232:235], v250 offset0:100 offset1:101
	v_add_f64 v[40:41], v[40:41], -v[176:177]
	v_add_f64 v[42:43], v[42:43], -v[212:213]
	s_waitcnt lgkmcnt(0)
	v_mul_f64 v[176:177], v[234:235], v[178:179]
	v_mul_f64 v[212:213], v[232:233], v[178:179]
	s_delay_alu instid0(VALU_DEP_2) | instskip(NEXT) | instid1(VALU_DEP_2)
	v_fma_f64 v[176:177], v[232:233], v[248:249], -v[176:177]
	v_fma_f64 v[212:213], v[234:235], v[248:249], v[212:213]
	ds_load_2addr_b64 v[232:235], v250 offset0:102 offset1:103
	v_add_f64 v[36:37], v[36:37], -v[176:177]
	v_add_f64 v[38:39], v[38:39], -v[212:213]
	s_waitcnt lgkmcnt(0)
	v_mul_f64 v[176:177], v[234:235], v[178:179]
	v_mul_f64 v[212:213], v[232:233], v[178:179]
	s_delay_alu instid0(VALU_DEP_2) | instskip(NEXT) | instid1(VALU_DEP_2)
	v_fma_f64 v[176:177], v[232:233], v[248:249], -v[176:177]
	v_fma_f64 v[212:213], v[234:235], v[248:249], v[212:213]
	ds_load_2addr_b64 v[232:235], v250 offset0:104 offset1:105
	v_add_f64 v[32:33], v[32:33], -v[176:177]
	v_add_f64 v[34:35], v[34:35], -v[212:213]
	s_waitcnt lgkmcnt(0)
	v_mul_f64 v[176:177], v[234:235], v[178:179]
	v_mul_f64 v[212:213], v[232:233], v[178:179]
	s_delay_alu instid0(VALU_DEP_2) | instskip(NEXT) | instid1(VALU_DEP_2)
	v_fma_f64 v[176:177], v[232:233], v[248:249], -v[176:177]
	v_fma_f64 v[212:213], v[234:235], v[248:249], v[212:213]
	ds_load_2addr_b64 v[232:235], v250 offset0:106 offset1:107
	v_add_f64 v[28:29], v[28:29], -v[176:177]
	v_add_f64 v[30:31], v[30:31], -v[212:213]
	s_waitcnt lgkmcnt(0)
	v_mul_f64 v[176:177], v[234:235], v[178:179]
	v_mul_f64 v[212:213], v[232:233], v[178:179]
	s_delay_alu instid0(VALU_DEP_2) | instskip(NEXT) | instid1(VALU_DEP_2)
	v_fma_f64 v[176:177], v[232:233], v[248:249], -v[176:177]
	v_fma_f64 v[212:213], v[234:235], v[248:249], v[212:213]
	ds_load_2addr_b64 v[232:235], v250 offset0:108 offset1:109
	v_add_f64 v[24:25], v[24:25], -v[176:177]
	v_add_f64 v[26:27], v[26:27], -v[212:213]
	s_waitcnt lgkmcnt(0)
	v_mul_f64 v[176:177], v[234:235], v[178:179]
	v_mul_f64 v[212:213], v[232:233], v[178:179]
	s_delay_alu instid0(VALU_DEP_2) | instskip(NEXT) | instid1(VALU_DEP_2)
	v_fma_f64 v[176:177], v[232:233], v[248:249], -v[176:177]
	v_fma_f64 v[212:213], v[234:235], v[248:249], v[212:213]
	ds_load_2addr_b64 v[232:235], v250 offset0:110 offset1:111
	v_add_f64 v[20:21], v[20:21], -v[176:177]
	v_add_f64 v[22:23], v[22:23], -v[212:213]
	s_waitcnt lgkmcnt(0)
	v_mul_f64 v[176:177], v[234:235], v[178:179]
	v_mul_f64 v[212:213], v[232:233], v[178:179]
	s_delay_alu instid0(VALU_DEP_2) | instskip(NEXT) | instid1(VALU_DEP_2)
	v_fma_f64 v[176:177], v[232:233], v[248:249], -v[176:177]
	v_fma_f64 v[212:213], v[234:235], v[248:249], v[212:213]
	ds_load_2addr_b64 v[232:235], v250 offset0:112 offset1:113
	v_add_f64 v[16:17], v[16:17], -v[176:177]
	v_add_f64 v[18:19], v[18:19], -v[212:213]
	s_waitcnt lgkmcnt(0)
	v_mul_f64 v[176:177], v[234:235], v[178:179]
	v_mul_f64 v[212:213], v[232:233], v[178:179]
	s_delay_alu instid0(VALU_DEP_2) | instskip(NEXT) | instid1(VALU_DEP_2)
	v_fma_f64 v[176:177], v[232:233], v[248:249], -v[176:177]
	v_fma_f64 v[212:213], v[234:235], v[248:249], v[212:213]
	ds_load_2addr_b64 v[232:235], v250 offset0:114 offset1:115
	v_add_f64 v[12:13], v[12:13], -v[176:177]
	v_add_f64 v[14:15], v[14:15], -v[212:213]
	s_waitcnt lgkmcnt(0)
	v_mul_f64 v[176:177], v[234:235], v[178:179]
	v_mul_f64 v[212:213], v[232:233], v[178:179]
	s_delay_alu instid0(VALU_DEP_2) | instskip(NEXT) | instid1(VALU_DEP_2)
	v_fma_f64 v[176:177], v[232:233], v[248:249], -v[176:177]
	v_fma_f64 v[212:213], v[234:235], v[248:249], v[212:213]
	ds_load_2addr_b64 v[232:235], v250 offset0:116 offset1:117
	v_add_f64 v[236:237], v[236:237], -v[176:177]
	v_add_f64 v[238:239], v[238:239], -v[212:213]
	s_waitcnt lgkmcnt(0)
	v_mul_f64 v[176:177], v[234:235], v[178:179]
	v_mul_f64 v[212:213], v[232:233], v[178:179]
	s_delay_alu instid0(VALU_DEP_2) | instskip(NEXT) | instid1(VALU_DEP_2)
	v_fma_f64 v[176:177], v[232:233], v[248:249], -v[176:177]
	v_fma_f64 v[212:213], v[234:235], v[248:249], v[212:213]
	ds_load_2addr_b64 v[232:235], v250 offset0:118 offset1:119
	v_add_f64 v[224:225], v[224:225], -v[176:177]
	v_add_f64 v[226:227], v[226:227], -v[212:213]
	s_waitcnt lgkmcnt(0)
	v_mul_f64 v[176:177], v[234:235], v[178:179]
	v_mul_f64 v[212:213], v[232:233], v[178:179]
	s_delay_alu instid0(VALU_DEP_2) | instskip(NEXT) | instid1(VALU_DEP_2)
	v_fma_f64 v[176:177], v[232:233], v[248:249], -v[176:177]
	v_fma_f64 v[212:213], v[234:235], v[248:249], v[212:213]
	s_delay_alu instid0(VALU_DEP_2) | instskip(NEXT) | instid1(VALU_DEP_2)
	v_add_f64 v[228:229], v[228:229], -v[176:177]
	v_add_f64 v[230:231], v[230:231], -v[212:213]
	v_dual_mov_b32 v176, v248 :: v_dual_mov_b32 v177, v249
.LBB118_335:
	s_or_b32 exec_lo, exec_lo, s2
	v_lshl_add_u32 v212, v255, 4, v250
	s_barrier
	buffer_gl0_inv
	v_mov_b32_e32 v248, 16
	ds_store_2addr_b64 v212, v[172:173], v[174:175] offset1:1
	s_waitcnt lgkmcnt(0)
	s_barrier
	buffer_gl0_inv
	ds_load_2addr_b64 v[240:243], v250 offset0:32 offset1:33
	s_cmp_lt_i32 s12, 18
	s_cbranch_scc1 .LBB118_338
; %bb.336:
	v_add3_u32 v245, v254, 0, 0x110
	v_mov_b32_e32 v248, 16
	s_mov_b32 s6, 17
	s_set_inst_prefetch_distance 0x1
	.p2align	6
.LBB118_337:                            ; =>This Inner Loop Header: Depth=1
	ds_load_2addr_b64 v[232:235], v245 offset1:1
	s_waitcnt lgkmcnt(1)
	v_cmp_gt_f64_e32 vcc_lo, 0, v[240:241]
	v_cmp_gt_f64_e64 s2, 0, v[242:243]
	v_xor_b32_e32 v213, 0x80000000, v241
	v_xor_b32_e32 v215, 0x80000000, v243
	v_add_nc_u32_e32 v245, 16, v245
	s_waitcnt lgkmcnt(0)
	v_cmp_gt_f64_e64 s3, 0, v[232:233]
	v_cmp_gt_f64_e64 s4, 0, v[234:235]
	v_xor_b32_e32 v219, 0x80000000, v233
	v_xor_b32_e32 v220, 0x80000000, v235
	v_mov_b32_e32 v214, v234
	v_mov_b32_e32 v212, v232
	v_cndmask_b32_e32 v216, v241, v213, vcc_lo
	v_cndmask_b32_e64 v218, v243, v215, s2
	v_cndmask_b32_e32 v215, v240, v240, vcc_lo
	v_cndmask_b32_e64 v217, v242, v242, s2
	s_delay_alu instid0(VALU_DEP_1) | instskip(SKIP_2) | instid1(VALU_DEP_1)
	v_add_f64 v[216:217], v[215:216], v[217:218]
	v_cndmask_b32_e64 v213, v233, v219, s3
	v_cndmask_b32_e64 v215, v235, v220, s4
	v_add_f64 v[212:213], v[212:213], v[214:215]
	s_delay_alu instid0(VALU_DEP_1)
	v_cmp_lt_f64_e32 vcc_lo, v[216:217], v[212:213]
	v_cndmask_b32_e32 v243, v243, v235, vcc_lo
	v_dual_cndmask_b32 v241, v241, v233 :: v_dual_cndmask_b32 v240, v240, v232
	v_cndmask_b32_e32 v242, v242, v234, vcc_lo
	v_cndmask_b32_e64 v248, v248, s6, vcc_lo
	s_add_i32 s6, s6, 1
	s_delay_alu instid0(SALU_CYCLE_1)
	s_cmp_lg_u32 s12, s6
	s_cbranch_scc1 .LBB118_337
.LBB118_338:
	s_set_inst_prefetch_distance 0x2
	s_waitcnt lgkmcnt(0)
	v_cmp_eq_f64_e32 vcc_lo, 0, v[240:241]
	v_cmp_eq_f64_e64 s2, 0, v[242:243]
	s_delay_alu instid0(VALU_DEP_1) | instskip(NEXT) | instid1(SALU_CYCLE_1)
	s_and_b32 s2, vcc_lo, s2
	s_and_saveexec_b32 s3, s2
	s_delay_alu instid0(SALU_CYCLE_1)
	s_xor_b32 s2, exec_lo, s3
; %bb.339:
	v_cmp_ne_u32_e32 vcc_lo, 0, v253
	v_cndmask_b32_e32 v253, 17, v253, vcc_lo
; %bb.340:
	s_and_not1_saveexec_b32 s3, s2
	s_cbranch_execz .LBB118_346
; %bb.341:
	v_cmp_gt_f64_e32 vcc_lo, 0, v[240:241]
	v_cmp_gt_f64_e64 s2, 0, v[242:243]
	v_xor_b32_e32 v212, 0x80000000, v241
	v_xor_b32_e32 v214, 0x80000000, v243
	s_delay_alu instid0(VALU_DEP_2) | instskip(NEXT) | instid1(VALU_DEP_2)
	v_cndmask_b32_e32 v213, v241, v212, vcc_lo
	v_cndmask_b32_e64 v215, v243, v214, s2
	v_cndmask_b32_e32 v212, v240, v240, vcc_lo
	v_cndmask_b32_e64 v214, v242, v242, s2
	s_mov_b32 s2, exec_lo
	s_delay_alu instid0(VALU_DEP_1)
	v_cmpx_ngt_f64_e32 v[212:213], v[214:215]
	s_xor_b32 s2, exec_lo, s2
	s_cbranch_execz .LBB118_343
; %bb.342:
	v_div_scale_f64 v[212:213], null, v[242:243], v[242:243], v[240:241]
	v_div_scale_f64 v[218:219], vcc_lo, v[240:241], v[242:243], v[240:241]
	s_delay_alu instid0(VALU_DEP_2) | instskip(SKIP_2) | instid1(VALU_DEP_1)
	v_rcp_f64_e32 v[214:215], v[212:213]
	s_waitcnt_depctr 0xfff
	v_fma_f64 v[216:217], -v[212:213], v[214:215], 1.0
	v_fma_f64 v[214:215], v[214:215], v[216:217], v[214:215]
	s_delay_alu instid0(VALU_DEP_1) | instskip(NEXT) | instid1(VALU_DEP_1)
	v_fma_f64 v[216:217], -v[212:213], v[214:215], 1.0
	v_fma_f64 v[214:215], v[214:215], v[216:217], v[214:215]
	s_delay_alu instid0(VALU_DEP_1) | instskip(NEXT) | instid1(VALU_DEP_1)
	v_mul_f64 v[216:217], v[218:219], v[214:215]
	v_fma_f64 v[212:213], -v[212:213], v[216:217], v[218:219]
	s_delay_alu instid0(VALU_DEP_1) | instskip(NEXT) | instid1(VALU_DEP_1)
	v_div_fmas_f64 v[212:213], v[212:213], v[214:215], v[216:217]
	v_div_fixup_f64 v[212:213], v[212:213], v[242:243], v[240:241]
	s_delay_alu instid0(VALU_DEP_1) | instskip(NEXT) | instid1(VALU_DEP_1)
	v_fma_f64 v[214:215], v[240:241], v[212:213], v[242:243]
	v_div_scale_f64 v[216:217], null, v[214:215], v[214:215], 1.0
	s_delay_alu instid0(VALU_DEP_1) | instskip(SKIP_2) | instid1(VALU_DEP_1)
	v_rcp_f64_e32 v[218:219], v[216:217]
	s_waitcnt_depctr 0xfff
	v_fma_f64 v[220:221], -v[216:217], v[218:219], 1.0
	v_fma_f64 v[218:219], v[218:219], v[220:221], v[218:219]
	s_delay_alu instid0(VALU_DEP_1) | instskip(NEXT) | instid1(VALU_DEP_1)
	v_fma_f64 v[220:221], -v[216:217], v[218:219], 1.0
	v_fma_f64 v[218:219], v[218:219], v[220:221], v[218:219]
	v_div_scale_f64 v[220:221], vcc_lo, 1.0, v[214:215], 1.0
	s_delay_alu instid0(VALU_DEP_1) | instskip(NEXT) | instid1(VALU_DEP_1)
	v_mul_f64 v[222:223], v[220:221], v[218:219]
	v_fma_f64 v[216:217], -v[216:217], v[222:223], v[220:221]
	s_delay_alu instid0(VALU_DEP_1) | instskip(NEXT) | instid1(VALU_DEP_1)
	v_div_fmas_f64 v[216:217], v[216:217], v[218:219], v[222:223]
	v_div_fixup_f64 v[242:243], v[216:217], v[214:215], 1.0
	s_delay_alu instid0(VALU_DEP_1)
	v_mul_f64 v[240:241], v[212:213], v[242:243]
	v_xor_b32_e32 v243, 0x80000000, v243
.LBB118_343:
	s_and_not1_saveexec_b32 s2, s2
	s_cbranch_execz .LBB118_345
; %bb.344:
	s_delay_alu instid0(VALU_DEP_1) | instskip(SKIP_1) | instid1(VALU_DEP_2)
	v_div_scale_f64 v[212:213], null, v[240:241], v[240:241], v[242:243]
	v_div_scale_f64 v[218:219], vcc_lo, v[242:243], v[240:241], v[242:243]
	v_rcp_f64_e32 v[214:215], v[212:213]
	s_waitcnt_depctr 0xfff
	v_fma_f64 v[216:217], -v[212:213], v[214:215], 1.0
	s_delay_alu instid0(VALU_DEP_1) | instskip(NEXT) | instid1(VALU_DEP_1)
	v_fma_f64 v[214:215], v[214:215], v[216:217], v[214:215]
	v_fma_f64 v[216:217], -v[212:213], v[214:215], 1.0
	s_delay_alu instid0(VALU_DEP_1) | instskip(NEXT) | instid1(VALU_DEP_1)
	v_fma_f64 v[214:215], v[214:215], v[216:217], v[214:215]
	v_mul_f64 v[216:217], v[218:219], v[214:215]
	s_delay_alu instid0(VALU_DEP_1) | instskip(NEXT) | instid1(VALU_DEP_1)
	v_fma_f64 v[212:213], -v[212:213], v[216:217], v[218:219]
	v_div_fmas_f64 v[212:213], v[212:213], v[214:215], v[216:217]
	s_delay_alu instid0(VALU_DEP_1) | instskip(NEXT) | instid1(VALU_DEP_1)
	v_div_fixup_f64 v[212:213], v[212:213], v[240:241], v[242:243]
	v_fma_f64 v[214:215], v[242:243], v[212:213], v[240:241]
	s_delay_alu instid0(VALU_DEP_1) | instskip(NEXT) | instid1(VALU_DEP_1)
	v_div_scale_f64 v[216:217], null, v[214:215], v[214:215], 1.0
	v_rcp_f64_e32 v[218:219], v[216:217]
	s_waitcnt_depctr 0xfff
	v_fma_f64 v[220:221], -v[216:217], v[218:219], 1.0
	s_delay_alu instid0(VALU_DEP_1) | instskip(NEXT) | instid1(VALU_DEP_1)
	v_fma_f64 v[218:219], v[218:219], v[220:221], v[218:219]
	v_fma_f64 v[220:221], -v[216:217], v[218:219], 1.0
	s_delay_alu instid0(VALU_DEP_1) | instskip(SKIP_1) | instid1(VALU_DEP_1)
	v_fma_f64 v[218:219], v[218:219], v[220:221], v[218:219]
	v_div_scale_f64 v[220:221], vcc_lo, 1.0, v[214:215], 1.0
	v_mul_f64 v[222:223], v[220:221], v[218:219]
	s_delay_alu instid0(VALU_DEP_1) | instskip(NEXT) | instid1(VALU_DEP_1)
	v_fma_f64 v[216:217], -v[216:217], v[222:223], v[220:221]
	v_div_fmas_f64 v[216:217], v[216:217], v[218:219], v[222:223]
	s_delay_alu instid0(VALU_DEP_1) | instskip(NEXT) | instid1(VALU_DEP_1)
	v_div_fixup_f64 v[240:241], v[216:217], v[214:215], 1.0
	v_mul_f64 v[242:243], v[212:213], -v[240:241]
.LBB118_345:
	s_or_b32 exec_lo, exec_lo, s2
.LBB118_346:
	s_delay_alu instid0(SALU_CYCLE_1) | instskip(NEXT) | instid1(SALU_CYCLE_1)
	s_or_b32 exec_lo, exec_lo, s3
	s_mov_b32 s2, exec_lo
	v_cmpx_ne_u32_e64 v255, v248
	s_xor_b32 s2, exec_lo, s2
	s_cbranch_execz .LBB118_352
; %bb.347:
	s_mov_b32 s3, exec_lo
	v_cmpx_eq_u32_e32 16, v255
	s_cbranch_execz .LBB118_351
; %bb.348:
	v_cmp_ne_u32_e32 vcc_lo, 16, v248
	s_xor_b32 s4, s5, -1
	s_delay_alu instid0(SALU_CYCLE_1) | instskip(NEXT) | instid1(SALU_CYCLE_1)
	s_and_b32 s6, s4, vcc_lo
	s_and_saveexec_b32 s4, s6
	s_cbranch_execz .LBB118_350
; %bb.349:
	scratch_load_b64 v[208:209], off, off offset:16 ; 8-byte Folded Reload
	v_ashrrev_i32_e32 v249, 31, v248
	s_delay_alu instid0(VALU_DEP_1) | instskip(SKIP_1) | instid1(VALU_DEP_1)
	v_lshlrev_b64 v[212:213], 2, v[248:249]
	s_waitcnt vmcnt(0)
	v_add_co_u32 v212, vcc_lo, v208, v212
	s_delay_alu instid0(VALU_DEP_2)
	v_add_co_ci_u32_e32 v213, vcc_lo, v209, v213, vcc_lo
	s_clause 0x1
	flat_load_b32 v214, v[212:213]
	flat_load_b32 v215, v[208:209] offset:64
	s_waitcnt vmcnt(1) lgkmcnt(1)
	flat_store_b32 v[208:209], v214 offset:64
	s_waitcnt vmcnt(0) lgkmcnt(1)
	flat_store_b32 v[212:213], v215
.LBB118_350:
	s_or_b32 exec_lo, exec_lo, s4
	v_mov_b32_e32 v255, v248
	v_mov_b32_e32 v244, v248
.LBB118_351:
	s_or_b32 exec_lo, exec_lo, s3
.LBB118_352:
	s_and_not1_saveexec_b32 s2, s2
	s_cbranch_execz .LBB118_354
; %bb.353:
	v_mov_b32_e32 v255, 16
	ds_store_2addr_b64 v250, v[168:169], v[170:171] offset0:34 offset1:35
	ds_store_2addr_b64 v250, v[164:165], v[166:167] offset0:36 offset1:37
	;; [unrolled: 1-line block ×43, first 2 shown]
.LBB118_354:
	s_or_b32 exec_lo, exec_lo, s2
	s_delay_alu instid0(SALU_CYCLE_1)
	s_mov_b32 s2, exec_lo
	s_waitcnt lgkmcnt(0)
	s_waitcnt_vscnt null, 0x0
	s_barrier
	buffer_gl0_inv
	v_cmpx_lt_i32_e32 16, v255
	s_cbranch_execz .LBB118_356
; %bb.355:
	v_mul_f64 v[212:213], v[242:243], v[174:175]
	v_mul_f64 v[174:175], v[240:241], v[174:175]
	ds_load_2addr_b64 v[232:235], v250 offset0:34 offset1:35
	v_fma_f64 v[248:249], v[240:241], v[172:173], -v[212:213]
	v_fma_f64 v[174:175], v[242:243], v[172:173], v[174:175]
	s_waitcnt lgkmcnt(0)
	s_delay_alu instid0(VALU_DEP_1) | instskip(SKIP_1) | instid1(VALU_DEP_2)
	v_mul_f64 v[172:173], v[234:235], v[174:175]
	v_mul_f64 v[212:213], v[232:233], v[174:175]
	v_fma_f64 v[172:173], v[232:233], v[248:249], -v[172:173]
	s_delay_alu instid0(VALU_DEP_2)
	v_fma_f64 v[212:213], v[234:235], v[248:249], v[212:213]
	ds_load_2addr_b64 v[232:235], v250 offset0:36 offset1:37
	v_add_f64 v[168:169], v[168:169], -v[172:173]
	v_add_f64 v[170:171], v[170:171], -v[212:213]
	s_waitcnt lgkmcnt(0)
	v_mul_f64 v[172:173], v[234:235], v[174:175]
	v_mul_f64 v[212:213], v[232:233], v[174:175]
	s_delay_alu instid0(VALU_DEP_2) | instskip(NEXT) | instid1(VALU_DEP_2)
	v_fma_f64 v[172:173], v[232:233], v[248:249], -v[172:173]
	v_fma_f64 v[212:213], v[234:235], v[248:249], v[212:213]
	ds_load_2addr_b64 v[232:235], v250 offset0:38 offset1:39
	v_add_f64 v[164:165], v[164:165], -v[172:173]
	v_add_f64 v[166:167], v[166:167], -v[212:213]
	s_waitcnt lgkmcnt(0)
	v_mul_f64 v[172:173], v[234:235], v[174:175]
	v_mul_f64 v[212:213], v[232:233], v[174:175]
	s_delay_alu instid0(VALU_DEP_2) | instskip(NEXT) | instid1(VALU_DEP_2)
	v_fma_f64 v[172:173], v[232:233], v[248:249], -v[172:173]
	;; [unrolled: 9-line block ×42, first 2 shown]
	v_fma_f64 v[212:213], v[234:235], v[248:249], v[212:213]
	s_delay_alu instid0(VALU_DEP_2) | instskip(NEXT) | instid1(VALU_DEP_2)
	v_add_f64 v[228:229], v[228:229], -v[172:173]
	v_add_f64 v[230:231], v[230:231], -v[212:213]
	v_dual_mov_b32 v172, v248 :: v_dual_mov_b32 v173, v249
.LBB118_356:
	s_or_b32 exec_lo, exec_lo, s2
	v_lshl_add_u32 v212, v255, 4, v250
	s_barrier
	buffer_gl0_inv
	v_mov_b32_e32 v248, 17
	ds_store_2addr_b64 v212, v[168:169], v[170:171] offset1:1
	s_waitcnt lgkmcnt(0)
	s_barrier
	buffer_gl0_inv
	ds_load_2addr_b64 v[240:243], v250 offset0:34 offset1:35
	s_cmp_lt_i32 s12, 19
	s_cbranch_scc1 .LBB118_359
; %bb.357:
	v_add3_u32 v245, v254, 0, 0x120
	v_mov_b32_e32 v248, 17
	s_mov_b32 s6, 18
	s_set_inst_prefetch_distance 0x1
	.p2align	6
.LBB118_358:                            ; =>This Inner Loop Header: Depth=1
	ds_load_2addr_b64 v[232:235], v245 offset1:1
	s_waitcnt lgkmcnt(1)
	v_cmp_gt_f64_e32 vcc_lo, 0, v[240:241]
	v_cmp_gt_f64_e64 s2, 0, v[242:243]
	v_xor_b32_e32 v213, 0x80000000, v241
	v_xor_b32_e32 v215, 0x80000000, v243
	v_add_nc_u32_e32 v245, 16, v245
	s_waitcnt lgkmcnt(0)
	v_cmp_gt_f64_e64 s3, 0, v[232:233]
	v_cmp_gt_f64_e64 s4, 0, v[234:235]
	v_xor_b32_e32 v219, 0x80000000, v233
	v_xor_b32_e32 v220, 0x80000000, v235
	v_mov_b32_e32 v214, v234
	v_mov_b32_e32 v212, v232
	v_cndmask_b32_e32 v216, v241, v213, vcc_lo
	v_cndmask_b32_e64 v218, v243, v215, s2
	v_cndmask_b32_e32 v215, v240, v240, vcc_lo
	v_cndmask_b32_e64 v217, v242, v242, s2
	s_delay_alu instid0(VALU_DEP_1) | instskip(SKIP_2) | instid1(VALU_DEP_1)
	v_add_f64 v[216:217], v[215:216], v[217:218]
	v_cndmask_b32_e64 v213, v233, v219, s3
	v_cndmask_b32_e64 v215, v235, v220, s4
	v_add_f64 v[212:213], v[212:213], v[214:215]
	s_delay_alu instid0(VALU_DEP_1)
	v_cmp_lt_f64_e32 vcc_lo, v[216:217], v[212:213]
	v_cndmask_b32_e32 v243, v243, v235, vcc_lo
	v_dual_cndmask_b32 v241, v241, v233 :: v_dual_cndmask_b32 v240, v240, v232
	v_cndmask_b32_e32 v242, v242, v234, vcc_lo
	v_cndmask_b32_e64 v248, v248, s6, vcc_lo
	s_add_i32 s6, s6, 1
	s_delay_alu instid0(SALU_CYCLE_1)
	s_cmp_lg_u32 s12, s6
	s_cbranch_scc1 .LBB118_358
.LBB118_359:
	s_set_inst_prefetch_distance 0x2
	s_waitcnt lgkmcnt(0)
	v_cmp_eq_f64_e32 vcc_lo, 0, v[240:241]
	v_cmp_eq_f64_e64 s2, 0, v[242:243]
	s_delay_alu instid0(VALU_DEP_1) | instskip(NEXT) | instid1(SALU_CYCLE_1)
	s_and_b32 s2, vcc_lo, s2
	s_and_saveexec_b32 s3, s2
	s_delay_alu instid0(SALU_CYCLE_1)
	s_xor_b32 s2, exec_lo, s3
; %bb.360:
	v_cmp_ne_u32_e32 vcc_lo, 0, v253
	v_cndmask_b32_e32 v253, 18, v253, vcc_lo
; %bb.361:
	s_and_not1_saveexec_b32 s3, s2
	s_cbranch_execz .LBB118_367
; %bb.362:
	v_cmp_gt_f64_e32 vcc_lo, 0, v[240:241]
	v_cmp_gt_f64_e64 s2, 0, v[242:243]
	v_xor_b32_e32 v212, 0x80000000, v241
	v_xor_b32_e32 v214, 0x80000000, v243
	s_delay_alu instid0(VALU_DEP_2) | instskip(NEXT) | instid1(VALU_DEP_2)
	v_cndmask_b32_e32 v213, v241, v212, vcc_lo
	v_cndmask_b32_e64 v215, v243, v214, s2
	v_cndmask_b32_e32 v212, v240, v240, vcc_lo
	v_cndmask_b32_e64 v214, v242, v242, s2
	s_mov_b32 s2, exec_lo
	s_delay_alu instid0(VALU_DEP_1)
	v_cmpx_ngt_f64_e32 v[212:213], v[214:215]
	s_xor_b32 s2, exec_lo, s2
	s_cbranch_execz .LBB118_364
; %bb.363:
	v_div_scale_f64 v[212:213], null, v[242:243], v[242:243], v[240:241]
	v_div_scale_f64 v[218:219], vcc_lo, v[240:241], v[242:243], v[240:241]
	s_delay_alu instid0(VALU_DEP_2) | instskip(SKIP_2) | instid1(VALU_DEP_1)
	v_rcp_f64_e32 v[214:215], v[212:213]
	s_waitcnt_depctr 0xfff
	v_fma_f64 v[216:217], -v[212:213], v[214:215], 1.0
	v_fma_f64 v[214:215], v[214:215], v[216:217], v[214:215]
	s_delay_alu instid0(VALU_DEP_1) | instskip(NEXT) | instid1(VALU_DEP_1)
	v_fma_f64 v[216:217], -v[212:213], v[214:215], 1.0
	v_fma_f64 v[214:215], v[214:215], v[216:217], v[214:215]
	s_delay_alu instid0(VALU_DEP_1) | instskip(NEXT) | instid1(VALU_DEP_1)
	v_mul_f64 v[216:217], v[218:219], v[214:215]
	v_fma_f64 v[212:213], -v[212:213], v[216:217], v[218:219]
	s_delay_alu instid0(VALU_DEP_1) | instskip(NEXT) | instid1(VALU_DEP_1)
	v_div_fmas_f64 v[212:213], v[212:213], v[214:215], v[216:217]
	v_div_fixup_f64 v[212:213], v[212:213], v[242:243], v[240:241]
	s_delay_alu instid0(VALU_DEP_1) | instskip(NEXT) | instid1(VALU_DEP_1)
	v_fma_f64 v[214:215], v[240:241], v[212:213], v[242:243]
	v_div_scale_f64 v[216:217], null, v[214:215], v[214:215], 1.0
	s_delay_alu instid0(VALU_DEP_1) | instskip(SKIP_2) | instid1(VALU_DEP_1)
	v_rcp_f64_e32 v[218:219], v[216:217]
	s_waitcnt_depctr 0xfff
	v_fma_f64 v[220:221], -v[216:217], v[218:219], 1.0
	v_fma_f64 v[218:219], v[218:219], v[220:221], v[218:219]
	s_delay_alu instid0(VALU_DEP_1) | instskip(NEXT) | instid1(VALU_DEP_1)
	v_fma_f64 v[220:221], -v[216:217], v[218:219], 1.0
	v_fma_f64 v[218:219], v[218:219], v[220:221], v[218:219]
	v_div_scale_f64 v[220:221], vcc_lo, 1.0, v[214:215], 1.0
	s_delay_alu instid0(VALU_DEP_1) | instskip(NEXT) | instid1(VALU_DEP_1)
	v_mul_f64 v[222:223], v[220:221], v[218:219]
	v_fma_f64 v[216:217], -v[216:217], v[222:223], v[220:221]
	s_delay_alu instid0(VALU_DEP_1) | instskip(NEXT) | instid1(VALU_DEP_1)
	v_div_fmas_f64 v[216:217], v[216:217], v[218:219], v[222:223]
	v_div_fixup_f64 v[242:243], v[216:217], v[214:215], 1.0
	s_delay_alu instid0(VALU_DEP_1)
	v_mul_f64 v[240:241], v[212:213], v[242:243]
	v_xor_b32_e32 v243, 0x80000000, v243
.LBB118_364:
	s_and_not1_saveexec_b32 s2, s2
	s_cbranch_execz .LBB118_366
; %bb.365:
	s_delay_alu instid0(VALU_DEP_1) | instskip(SKIP_1) | instid1(VALU_DEP_2)
	v_div_scale_f64 v[212:213], null, v[240:241], v[240:241], v[242:243]
	v_div_scale_f64 v[218:219], vcc_lo, v[242:243], v[240:241], v[242:243]
	v_rcp_f64_e32 v[214:215], v[212:213]
	s_waitcnt_depctr 0xfff
	v_fma_f64 v[216:217], -v[212:213], v[214:215], 1.0
	s_delay_alu instid0(VALU_DEP_1) | instskip(NEXT) | instid1(VALU_DEP_1)
	v_fma_f64 v[214:215], v[214:215], v[216:217], v[214:215]
	v_fma_f64 v[216:217], -v[212:213], v[214:215], 1.0
	s_delay_alu instid0(VALU_DEP_1) | instskip(NEXT) | instid1(VALU_DEP_1)
	v_fma_f64 v[214:215], v[214:215], v[216:217], v[214:215]
	v_mul_f64 v[216:217], v[218:219], v[214:215]
	s_delay_alu instid0(VALU_DEP_1) | instskip(NEXT) | instid1(VALU_DEP_1)
	v_fma_f64 v[212:213], -v[212:213], v[216:217], v[218:219]
	v_div_fmas_f64 v[212:213], v[212:213], v[214:215], v[216:217]
	s_delay_alu instid0(VALU_DEP_1) | instskip(NEXT) | instid1(VALU_DEP_1)
	v_div_fixup_f64 v[212:213], v[212:213], v[240:241], v[242:243]
	v_fma_f64 v[214:215], v[242:243], v[212:213], v[240:241]
	s_delay_alu instid0(VALU_DEP_1) | instskip(NEXT) | instid1(VALU_DEP_1)
	v_div_scale_f64 v[216:217], null, v[214:215], v[214:215], 1.0
	v_rcp_f64_e32 v[218:219], v[216:217]
	s_waitcnt_depctr 0xfff
	v_fma_f64 v[220:221], -v[216:217], v[218:219], 1.0
	s_delay_alu instid0(VALU_DEP_1) | instskip(NEXT) | instid1(VALU_DEP_1)
	v_fma_f64 v[218:219], v[218:219], v[220:221], v[218:219]
	v_fma_f64 v[220:221], -v[216:217], v[218:219], 1.0
	s_delay_alu instid0(VALU_DEP_1) | instskip(SKIP_1) | instid1(VALU_DEP_1)
	v_fma_f64 v[218:219], v[218:219], v[220:221], v[218:219]
	v_div_scale_f64 v[220:221], vcc_lo, 1.0, v[214:215], 1.0
	v_mul_f64 v[222:223], v[220:221], v[218:219]
	s_delay_alu instid0(VALU_DEP_1) | instskip(NEXT) | instid1(VALU_DEP_1)
	v_fma_f64 v[216:217], -v[216:217], v[222:223], v[220:221]
	v_div_fmas_f64 v[216:217], v[216:217], v[218:219], v[222:223]
	s_delay_alu instid0(VALU_DEP_1) | instskip(NEXT) | instid1(VALU_DEP_1)
	v_div_fixup_f64 v[240:241], v[216:217], v[214:215], 1.0
	v_mul_f64 v[242:243], v[212:213], -v[240:241]
.LBB118_366:
	s_or_b32 exec_lo, exec_lo, s2
.LBB118_367:
	s_delay_alu instid0(SALU_CYCLE_1) | instskip(NEXT) | instid1(SALU_CYCLE_1)
	s_or_b32 exec_lo, exec_lo, s3
	s_mov_b32 s2, exec_lo
	v_cmpx_ne_u32_e64 v255, v248
	s_xor_b32 s2, exec_lo, s2
	s_cbranch_execz .LBB118_373
; %bb.368:
	s_mov_b32 s3, exec_lo
	v_cmpx_eq_u32_e32 17, v255
	s_cbranch_execz .LBB118_372
; %bb.369:
	v_cmp_ne_u32_e32 vcc_lo, 17, v248
	s_xor_b32 s4, s5, -1
	s_delay_alu instid0(SALU_CYCLE_1) | instskip(NEXT) | instid1(SALU_CYCLE_1)
	s_and_b32 s6, s4, vcc_lo
	s_and_saveexec_b32 s4, s6
	s_cbranch_execz .LBB118_371
; %bb.370:
	scratch_load_b64 v[208:209], off, off offset:16 ; 8-byte Folded Reload
	v_ashrrev_i32_e32 v249, 31, v248
	s_delay_alu instid0(VALU_DEP_1) | instskip(SKIP_1) | instid1(VALU_DEP_1)
	v_lshlrev_b64 v[212:213], 2, v[248:249]
	s_waitcnt vmcnt(0)
	v_add_co_u32 v212, vcc_lo, v208, v212
	s_delay_alu instid0(VALU_DEP_2)
	v_add_co_ci_u32_e32 v213, vcc_lo, v209, v213, vcc_lo
	s_clause 0x1
	flat_load_b32 v214, v[212:213]
	flat_load_b32 v215, v[208:209] offset:68
	s_waitcnt vmcnt(1) lgkmcnt(1)
	flat_store_b32 v[208:209], v214 offset:68
	s_waitcnt vmcnt(0) lgkmcnt(1)
	flat_store_b32 v[212:213], v215
.LBB118_371:
	s_or_b32 exec_lo, exec_lo, s4
	v_mov_b32_e32 v255, v248
	v_mov_b32_e32 v244, v248
.LBB118_372:
	s_or_b32 exec_lo, exec_lo, s3
.LBB118_373:
	s_and_not1_saveexec_b32 s2, s2
	s_cbranch_execz .LBB118_375
; %bb.374:
	v_mov_b32_e32 v255, 17
	ds_store_2addr_b64 v250, v[164:165], v[166:167] offset0:36 offset1:37
	ds_store_2addr_b64 v250, v[160:161], v[162:163] offset0:38 offset1:39
	;; [unrolled: 1-line block ×42, first 2 shown]
.LBB118_375:
	s_or_b32 exec_lo, exec_lo, s2
	s_delay_alu instid0(SALU_CYCLE_1)
	s_mov_b32 s2, exec_lo
	s_waitcnt lgkmcnt(0)
	s_waitcnt_vscnt null, 0x0
	s_barrier
	buffer_gl0_inv
	v_cmpx_lt_i32_e32 17, v255
	s_cbranch_execz .LBB118_377
; %bb.376:
	v_mul_f64 v[212:213], v[242:243], v[170:171]
	v_mul_f64 v[170:171], v[240:241], v[170:171]
	ds_load_2addr_b64 v[232:235], v250 offset0:36 offset1:37
	v_fma_f64 v[248:249], v[240:241], v[168:169], -v[212:213]
	v_fma_f64 v[170:171], v[242:243], v[168:169], v[170:171]
	s_waitcnt lgkmcnt(0)
	s_delay_alu instid0(VALU_DEP_1) | instskip(SKIP_1) | instid1(VALU_DEP_2)
	v_mul_f64 v[168:169], v[234:235], v[170:171]
	v_mul_f64 v[212:213], v[232:233], v[170:171]
	v_fma_f64 v[168:169], v[232:233], v[248:249], -v[168:169]
	s_delay_alu instid0(VALU_DEP_2)
	v_fma_f64 v[212:213], v[234:235], v[248:249], v[212:213]
	ds_load_2addr_b64 v[232:235], v250 offset0:38 offset1:39
	v_add_f64 v[164:165], v[164:165], -v[168:169]
	v_add_f64 v[166:167], v[166:167], -v[212:213]
	s_waitcnt lgkmcnt(0)
	v_mul_f64 v[168:169], v[234:235], v[170:171]
	v_mul_f64 v[212:213], v[232:233], v[170:171]
	s_delay_alu instid0(VALU_DEP_2) | instskip(NEXT) | instid1(VALU_DEP_2)
	v_fma_f64 v[168:169], v[232:233], v[248:249], -v[168:169]
	v_fma_f64 v[212:213], v[234:235], v[248:249], v[212:213]
	ds_load_2addr_b64 v[232:235], v250 offset0:40 offset1:41
	v_add_f64 v[160:161], v[160:161], -v[168:169]
	v_add_f64 v[162:163], v[162:163], -v[212:213]
	s_waitcnt lgkmcnt(0)
	v_mul_f64 v[168:169], v[234:235], v[170:171]
	v_mul_f64 v[212:213], v[232:233], v[170:171]
	s_delay_alu instid0(VALU_DEP_2) | instskip(NEXT) | instid1(VALU_DEP_2)
	v_fma_f64 v[168:169], v[232:233], v[248:249], -v[168:169]
	;; [unrolled: 9-line block ×41, first 2 shown]
	v_fma_f64 v[212:213], v[234:235], v[248:249], v[212:213]
	s_delay_alu instid0(VALU_DEP_2) | instskip(NEXT) | instid1(VALU_DEP_2)
	v_add_f64 v[228:229], v[228:229], -v[168:169]
	v_add_f64 v[230:231], v[230:231], -v[212:213]
	v_dual_mov_b32 v168, v248 :: v_dual_mov_b32 v169, v249
.LBB118_377:
	s_or_b32 exec_lo, exec_lo, s2
	v_lshl_add_u32 v212, v255, 4, v250
	s_barrier
	buffer_gl0_inv
	v_mov_b32_e32 v248, 18
	ds_store_2addr_b64 v212, v[164:165], v[166:167] offset1:1
	s_waitcnt lgkmcnt(0)
	s_barrier
	buffer_gl0_inv
	ds_load_2addr_b64 v[240:243], v250 offset0:36 offset1:37
	s_cmp_lt_i32 s12, 20
	s_cbranch_scc1 .LBB118_380
; %bb.378:
	v_add3_u32 v245, v254, 0, 0x130
	v_mov_b32_e32 v248, 18
	s_mov_b32 s6, 19
	s_set_inst_prefetch_distance 0x1
	.p2align	6
.LBB118_379:                            ; =>This Inner Loop Header: Depth=1
	ds_load_2addr_b64 v[232:235], v245 offset1:1
	s_waitcnt lgkmcnt(1)
	v_cmp_gt_f64_e32 vcc_lo, 0, v[240:241]
	v_cmp_gt_f64_e64 s2, 0, v[242:243]
	v_xor_b32_e32 v213, 0x80000000, v241
	v_xor_b32_e32 v215, 0x80000000, v243
	v_add_nc_u32_e32 v245, 16, v245
	s_waitcnt lgkmcnt(0)
	v_cmp_gt_f64_e64 s3, 0, v[232:233]
	v_cmp_gt_f64_e64 s4, 0, v[234:235]
	v_xor_b32_e32 v219, 0x80000000, v233
	v_xor_b32_e32 v220, 0x80000000, v235
	v_mov_b32_e32 v214, v234
	v_mov_b32_e32 v212, v232
	v_cndmask_b32_e32 v216, v241, v213, vcc_lo
	v_cndmask_b32_e64 v218, v243, v215, s2
	v_cndmask_b32_e32 v215, v240, v240, vcc_lo
	v_cndmask_b32_e64 v217, v242, v242, s2
	s_delay_alu instid0(VALU_DEP_1) | instskip(SKIP_2) | instid1(VALU_DEP_1)
	v_add_f64 v[216:217], v[215:216], v[217:218]
	v_cndmask_b32_e64 v213, v233, v219, s3
	v_cndmask_b32_e64 v215, v235, v220, s4
	v_add_f64 v[212:213], v[212:213], v[214:215]
	s_delay_alu instid0(VALU_DEP_1)
	v_cmp_lt_f64_e32 vcc_lo, v[216:217], v[212:213]
	v_cndmask_b32_e32 v243, v243, v235, vcc_lo
	v_dual_cndmask_b32 v241, v241, v233 :: v_dual_cndmask_b32 v240, v240, v232
	v_cndmask_b32_e32 v242, v242, v234, vcc_lo
	v_cndmask_b32_e64 v248, v248, s6, vcc_lo
	s_add_i32 s6, s6, 1
	s_delay_alu instid0(SALU_CYCLE_1)
	s_cmp_lg_u32 s12, s6
	s_cbranch_scc1 .LBB118_379
.LBB118_380:
	s_set_inst_prefetch_distance 0x2
	s_waitcnt lgkmcnt(0)
	v_cmp_eq_f64_e32 vcc_lo, 0, v[240:241]
	v_cmp_eq_f64_e64 s2, 0, v[242:243]
	s_delay_alu instid0(VALU_DEP_1) | instskip(NEXT) | instid1(SALU_CYCLE_1)
	s_and_b32 s2, vcc_lo, s2
	s_and_saveexec_b32 s3, s2
	s_delay_alu instid0(SALU_CYCLE_1)
	s_xor_b32 s2, exec_lo, s3
; %bb.381:
	v_cmp_ne_u32_e32 vcc_lo, 0, v253
	v_cndmask_b32_e32 v253, 19, v253, vcc_lo
; %bb.382:
	s_and_not1_saveexec_b32 s3, s2
	s_cbranch_execz .LBB118_388
; %bb.383:
	v_cmp_gt_f64_e32 vcc_lo, 0, v[240:241]
	v_cmp_gt_f64_e64 s2, 0, v[242:243]
	v_xor_b32_e32 v212, 0x80000000, v241
	v_xor_b32_e32 v214, 0x80000000, v243
	s_delay_alu instid0(VALU_DEP_2) | instskip(NEXT) | instid1(VALU_DEP_2)
	v_cndmask_b32_e32 v213, v241, v212, vcc_lo
	v_cndmask_b32_e64 v215, v243, v214, s2
	v_cndmask_b32_e32 v212, v240, v240, vcc_lo
	v_cndmask_b32_e64 v214, v242, v242, s2
	s_mov_b32 s2, exec_lo
	s_delay_alu instid0(VALU_DEP_1)
	v_cmpx_ngt_f64_e32 v[212:213], v[214:215]
	s_xor_b32 s2, exec_lo, s2
	s_cbranch_execz .LBB118_385
; %bb.384:
	v_div_scale_f64 v[212:213], null, v[242:243], v[242:243], v[240:241]
	v_div_scale_f64 v[218:219], vcc_lo, v[240:241], v[242:243], v[240:241]
	s_delay_alu instid0(VALU_DEP_2) | instskip(SKIP_2) | instid1(VALU_DEP_1)
	v_rcp_f64_e32 v[214:215], v[212:213]
	s_waitcnt_depctr 0xfff
	v_fma_f64 v[216:217], -v[212:213], v[214:215], 1.0
	v_fma_f64 v[214:215], v[214:215], v[216:217], v[214:215]
	s_delay_alu instid0(VALU_DEP_1) | instskip(NEXT) | instid1(VALU_DEP_1)
	v_fma_f64 v[216:217], -v[212:213], v[214:215], 1.0
	v_fma_f64 v[214:215], v[214:215], v[216:217], v[214:215]
	s_delay_alu instid0(VALU_DEP_1) | instskip(NEXT) | instid1(VALU_DEP_1)
	v_mul_f64 v[216:217], v[218:219], v[214:215]
	v_fma_f64 v[212:213], -v[212:213], v[216:217], v[218:219]
	s_delay_alu instid0(VALU_DEP_1) | instskip(NEXT) | instid1(VALU_DEP_1)
	v_div_fmas_f64 v[212:213], v[212:213], v[214:215], v[216:217]
	v_div_fixup_f64 v[212:213], v[212:213], v[242:243], v[240:241]
	s_delay_alu instid0(VALU_DEP_1) | instskip(NEXT) | instid1(VALU_DEP_1)
	v_fma_f64 v[214:215], v[240:241], v[212:213], v[242:243]
	v_div_scale_f64 v[216:217], null, v[214:215], v[214:215], 1.0
	s_delay_alu instid0(VALU_DEP_1) | instskip(SKIP_2) | instid1(VALU_DEP_1)
	v_rcp_f64_e32 v[218:219], v[216:217]
	s_waitcnt_depctr 0xfff
	v_fma_f64 v[220:221], -v[216:217], v[218:219], 1.0
	v_fma_f64 v[218:219], v[218:219], v[220:221], v[218:219]
	s_delay_alu instid0(VALU_DEP_1) | instskip(NEXT) | instid1(VALU_DEP_1)
	v_fma_f64 v[220:221], -v[216:217], v[218:219], 1.0
	v_fma_f64 v[218:219], v[218:219], v[220:221], v[218:219]
	v_div_scale_f64 v[220:221], vcc_lo, 1.0, v[214:215], 1.0
	s_delay_alu instid0(VALU_DEP_1) | instskip(NEXT) | instid1(VALU_DEP_1)
	v_mul_f64 v[222:223], v[220:221], v[218:219]
	v_fma_f64 v[216:217], -v[216:217], v[222:223], v[220:221]
	s_delay_alu instid0(VALU_DEP_1) | instskip(NEXT) | instid1(VALU_DEP_1)
	v_div_fmas_f64 v[216:217], v[216:217], v[218:219], v[222:223]
	v_div_fixup_f64 v[242:243], v[216:217], v[214:215], 1.0
	s_delay_alu instid0(VALU_DEP_1)
	v_mul_f64 v[240:241], v[212:213], v[242:243]
	v_xor_b32_e32 v243, 0x80000000, v243
.LBB118_385:
	s_and_not1_saveexec_b32 s2, s2
	s_cbranch_execz .LBB118_387
; %bb.386:
	s_delay_alu instid0(VALU_DEP_1) | instskip(SKIP_1) | instid1(VALU_DEP_2)
	v_div_scale_f64 v[212:213], null, v[240:241], v[240:241], v[242:243]
	v_div_scale_f64 v[218:219], vcc_lo, v[242:243], v[240:241], v[242:243]
	v_rcp_f64_e32 v[214:215], v[212:213]
	s_waitcnt_depctr 0xfff
	v_fma_f64 v[216:217], -v[212:213], v[214:215], 1.0
	s_delay_alu instid0(VALU_DEP_1) | instskip(NEXT) | instid1(VALU_DEP_1)
	v_fma_f64 v[214:215], v[214:215], v[216:217], v[214:215]
	v_fma_f64 v[216:217], -v[212:213], v[214:215], 1.0
	s_delay_alu instid0(VALU_DEP_1) | instskip(NEXT) | instid1(VALU_DEP_1)
	v_fma_f64 v[214:215], v[214:215], v[216:217], v[214:215]
	v_mul_f64 v[216:217], v[218:219], v[214:215]
	s_delay_alu instid0(VALU_DEP_1) | instskip(NEXT) | instid1(VALU_DEP_1)
	v_fma_f64 v[212:213], -v[212:213], v[216:217], v[218:219]
	v_div_fmas_f64 v[212:213], v[212:213], v[214:215], v[216:217]
	s_delay_alu instid0(VALU_DEP_1) | instskip(NEXT) | instid1(VALU_DEP_1)
	v_div_fixup_f64 v[212:213], v[212:213], v[240:241], v[242:243]
	v_fma_f64 v[214:215], v[242:243], v[212:213], v[240:241]
	s_delay_alu instid0(VALU_DEP_1) | instskip(NEXT) | instid1(VALU_DEP_1)
	v_div_scale_f64 v[216:217], null, v[214:215], v[214:215], 1.0
	v_rcp_f64_e32 v[218:219], v[216:217]
	s_waitcnt_depctr 0xfff
	v_fma_f64 v[220:221], -v[216:217], v[218:219], 1.0
	s_delay_alu instid0(VALU_DEP_1) | instskip(NEXT) | instid1(VALU_DEP_1)
	v_fma_f64 v[218:219], v[218:219], v[220:221], v[218:219]
	v_fma_f64 v[220:221], -v[216:217], v[218:219], 1.0
	s_delay_alu instid0(VALU_DEP_1) | instskip(SKIP_1) | instid1(VALU_DEP_1)
	v_fma_f64 v[218:219], v[218:219], v[220:221], v[218:219]
	v_div_scale_f64 v[220:221], vcc_lo, 1.0, v[214:215], 1.0
	v_mul_f64 v[222:223], v[220:221], v[218:219]
	s_delay_alu instid0(VALU_DEP_1) | instskip(NEXT) | instid1(VALU_DEP_1)
	v_fma_f64 v[216:217], -v[216:217], v[222:223], v[220:221]
	v_div_fmas_f64 v[216:217], v[216:217], v[218:219], v[222:223]
	s_delay_alu instid0(VALU_DEP_1) | instskip(NEXT) | instid1(VALU_DEP_1)
	v_div_fixup_f64 v[240:241], v[216:217], v[214:215], 1.0
	v_mul_f64 v[242:243], v[212:213], -v[240:241]
.LBB118_387:
	s_or_b32 exec_lo, exec_lo, s2
.LBB118_388:
	s_delay_alu instid0(SALU_CYCLE_1) | instskip(NEXT) | instid1(SALU_CYCLE_1)
	s_or_b32 exec_lo, exec_lo, s3
	s_mov_b32 s2, exec_lo
	v_cmpx_ne_u32_e64 v255, v248
	s_xor_b32 s2, exec_lo, s2
	s_cbranch_execz .LBB118_394
; %bb.389:
	s_mov_b32 s3, exec_lo
	v_cmpx_eq_u32_e32 18, v255
	s_cbranch_execz .LBB118_393
; %bb.390:
	v_cmp_ne_u32_e32 vcc_lo, 18, v248
	s_xor_b32 s4, s5, -1
	s_delay_alu instid0(SALU_CYCLE_1) | instskip(NEXT) | instid1(SALU_CYCLE_1)
	s_and_b32 s6, s4, vcc_lo
	s_and_saveexec_b32 s4, s6
	s_cbranch_execz .LBB118_392
; %bb.391:
	scratch_load_b64 v[208:209], off, off offset:16 ; 8-byte Folded Reload
	v_ashrrev_i32_e32 v249, 31, v248
	s_delay_alu instid0(VALU_DEP_1) | instskip(SKIP_1) | instid1(VALU_DEP_1)
	v_lshlrev_b64 v[212:213], 2, v[248:249]
	s_waitcnt vmcnt(0)
	v_add_co_u32 v212, vcc_lo, v208, v212
	s_delay_alu instid0(VALU_DEP_2)
	v_add_co_ci_u32_e32 v213, vcc_lo, v209, v213, vcc_lo
	s_clause 0x1
	flat_load_b32 v214, v[212:213]
	flat_load_b32 v215, v[208:209] offset:72
	s_waitcnt vmcnt(1) lgkmcnt(1)
	flat_store_b32 v[208:209], v214 offset:72
	s_waitcnt vmcnt(0) lgkmcnt(1)
	flat_store_b32 v[212:213], v215
.LBB118_392:
	s_or_b32 exec_lo, exec_lo, s4
	v_mov_b32_e32 v255, v248
	v_mov_b32_e32 v244, v248
.LBB118_393:
	s_or_b32 exec_lo, exec_lo, s3
.LBB118_394:
	s_and_not1_saveexec_b32 s2, s2
	s_cbranch_execz .LBB118_396
; %bb.395:
	v_mov_b32_e32 v255, 18
	ds_store_2addr_b64 v250, v[160:161], v[162:163] offset0:38 offset1:39
	ds_store_2addr_b64 v250, v[156:157], v[158:159] offset0:40 offset1:41
	ds_store_2addr_b64 v250, v[152:153], v[154:155] offset0:42 offset1:43
	ds_store_2addr_b64 v250, v[148:149], v[150:151] offset0:44 offset1:45
	ds_store_2addr_b64 v250, v[144:145], v[146:147] offset0:46 offset1:47
	ds_store_2addr_b64 v250, v[140:141], v[142:143] offset0:48 offset1:49
	ds_store_2addr_b64 v250, v[136:137], v[138:139] offset0:50 offset1:51
	ds_store_2addr_b64 v250, v[132:133], v[134:135] offset0:52 offset1:53
	ds_store_2addr_b64 v250, v[128:129], v[130:131] offset0:54 offset1:55
	ds_store_2addr_b64 v250, v[124:125], v[126:127] offset0:56 offset1:57
	ds_store_2addr_b64 v250, v[120:121], v[122:123] offset0:58 offset1:59
	ds_store_2addr_b64 v250, v[116:117], v[118:119] offset0:60 offset1:61
	ds_store_2addr_b64 v250, v[112:113], v[114:115] offset0:62 offset1:63
	ds_store_2addr_b64 v250, v[108:109], v[110:111] offset0:64 offset1:65
	ds_store_2addr_b64 v250, v[104:105], v[106:107] offset0:66 offset1:67
	ds_store_2addr_b64 v250, v[100:101], v[102:103] offset0:68 offset1:69
	ds_store_2addr_b64 v250, v[96:97], v[98:99] offset0:70 offset1:71
	ds_store_2addr_b64 v250, v[92:93], v[94:95] offset0:72 offset1:73
	ds_store_2addr_b64 v250, v[88:89], v[90:91] offset0:74 offset1:75
	ds_store_2addr_b64 v250, v[84:85], v[86:87] offset0:76 offset1:77
	ds_store_2addr_b64 v250, v[80:81], v[82:83] offset0:78 offset1:79
	ds_store_2addr_b64 v250, v[76:77], v[78:79] offset0:80 offset1:81
	ds_store_2addr_b64 v250, v[72:73], v[74:75] offset0:82 offset1:83
	ds_store_2addr_b64 v250, v[68:69], v[70:71] offset0:84 offset1:85
	ds_store_2addr_b64 v250, v[64:65], v[66:67] offset0:86 offset1:87
	ds_store_2addr_b64 v250, v[60:61], v[62:63] offset0:88 offset1:89
	ds_store_2addr_b64 v250, v[56:57], v[58:59] offset0:90 offset1:91
	ds_store_2addr_b64 v250, v[52:53], v[54:55] offset0:92 offset1:93
	ds_store_2addr_b64 v250, v[48:49], v[50:51] offset0:94 offset1:95
	ds_store_2addr_b64 v250, v[44:45], v[46:47] offset0:96 offset1:97
	ds_store_2addr_b64 v250, v[40:41], v[42:43] offset0:98 offset1:99
	ds_store_2addr_b64 v250, v[36:37], v[38:39] offset0:100 offset1:101
	ds_store_2addr_b64 v250, v[32:33], v[34:35] offset0:102 offset1:103
	ds_store_2addr_b64 v250, v[28:29], v[30:31] offset0:104 offset1:105
	ds_store_2addr_b64 v250, v[24:25], v[26:27] offset0:106 offset1:107
	ds_store_2addr_b64 v250, v[20:21], v[22:23] offset0:108 offset1:109
	ds_store_2addr_b64 v250, v[16:17], v[18:19] offset0:110 offset1:111
	ds_store_2addr_b64 v250, v[12:13], v[14:15] offset0:112 offset1:113
	ds_store_2addr_b64 v250, v[236:237], v[238:239] offset0:114 offset1:115
	ds_store_2addr_b64 v250, v[224:225], v[226:227] offset0:116 offset1:117
	ds_store_2addr_b64 v250, v[228:229], v[230:231] offset0:118 offset1:119
.LBB118_396:
	s_or_b32 exec_lo, exec_lo, s2
	s_delay_alu instid0(SALU_CYCLE_1)
	s_mov_b32 s2, exec_lo
	s_waitcnt lgkmcnt(0)
	s_waitcnt_vscnt null, 0x0
	s_barrier
	buffer_gl0_inv
	v_cmpx_lt_i32_e32 18, v255
	s_cbranch_execz .LBB118_398
; %bb.397:
	v_mul_f64 v[212:213], v[242:243], v[166:167]
	v_mul_f64 v[166:167], v[240:241], v[166:167]
	ds_load_2addr_b64 v[232:235], v250 offset0:38 offset1:39
	v_fma_f64 v[248:249], v[240:241], v[164:165], -v[212:213]
	v_fma_f64 v[166:167], v[242:243], v[164:165], v[166:167]
	s_waitcnt lgkmcnt(0)
	s_delay_alu instid0(VALU_DEP_1) | instskip(SKIP_1) | instid1(VALU_DEP_2)
	v_mul_f64 v[164:165], v[234:235], v[166:167]
	v_mul_f64 v[212:213], v[232:233], v[166:167]
	v_fma_f64 v[164:165], v[232:233], v[248:249], -v[164:165]
	s_delay_alu instid0(VALU_DEP_2)
	v_fma_f64 v[212:213], v[234:235], v[248:249], v[212:213]
	ds_load_2addr_b64 v[232:235], v250 offset0:40 offset1:41
	v_add_f64 v[160:161], v[160:161], -v[164:165]
	v_add_f64 v[162:163], v[162:163], -v[212:213]
	s_waitcnt lgkmcnt(0)
	v_mul_f64 v[164:165], v[234:235], v[166:167]
	v_mul_f64 v[212:213], v[232:233], v[166:167]
	s_delay_alu instid0(VALU_DEP_2) | instskip(NEXT) | instid1(VALU_DEP_2)
	v_fma_f64 v[164:165], v[232:233], v[248:249], -v[164:165]
	v_fma_f64 v[212:213], v[234:235], v[248:249], v[212:213]
	ds_load_2addr_b64 v[232:235], v250 offset0:42 offset1:43
	v_add_f64 v[156:157], v[156:157], -v[164:165]
	v_add_f64 v[158:159], v[158:159], -v[212:213]
	s_waitcnt lgkmcnt(0)
	v_mul_f64 v[164:165], v[234:235], v[166:167]
	v_mul_f64 v[212:213], v[232:233], v[166:167]
	s_delay_alu instid0(VALU_DEP_2) | instskip(NEXT) | instid1(VALU_DEP_2)
	v_fma_f64 v[164:165], v[232:233], v[248:249], -v[164:165]
	v_fma_f64 v[212:213], v[234:235], v[248:249], v[212:213]
	ds_load_2addr_b64 v[232:235], v250 offset0:44 offset1:45
	v_add_f64 v[152:153], v[152:153], -v[164:165]
	v_add_f64 v[154:155], v[154:155], -v[212:213]
	s_waitcnt lgkmcnt(0)
	v_mul_f64 v[164:165], v[234:235], v[166:167]
	v_mul_f64 v[212:213], v[232:233], v[166:167]
	s_delay_alu instid0(VALU_DEP_2) | instskip(NEXT) | instid1(VALU_DEP_2)
	v_fma_f64 v[164:165], v[232:233], v[248:249], -v[164:165]
	v_fma_f64 v[212:213], v[234:235], v[248:249], v[212:213]
	ds_load_2addr_b64 v[232:235], v250 offset0:46 offset1:47
	v_add_f64 v[148:149], v[148:149], -v[164:165]
	v_add_f64 v[150:151], v[150:151], -v[212:213]
	s_waitcnt lgkmcnt(0)
	v_mul_f64 v[164:165], v[234:235], v[166:167]
	v_mul_f64 v[212:213], v[232:233], v[166:167]
	s_delay_alu instid0(VALU_DEP_2) | instskip(NEXT) | instid1(VALU_DEP_2)
	v_fma_f64 v[164:165], v[232:233], v[248:249], -v[164:165]
	v_fma_f64 v[212:213], v[234:235], v[248:249], v[212:213]
	ds_load_2addr_b64 v[232:235], v250 offset0:48 offset1:49
	v_add_f64 v[144:145], v[144:145], -v[164:165]
	v_add_f64 v[146:147], v[146:147], -v[212:213]
	s_waitcnt lgkmcnt(0)
	v_mul_f64 v[164:165], v[234:235], v[166:167]
	v_mul_f64 v[212:213], v[232:233], v[166:167]
	s_delay_alu instid0(VALU_DEP_2) | instskip(NEXT) | instid1(VALU_DEP_2)
	v_fma_f64 v[164:165], v[232:233], v[248:249], -v[164:165]
	v_fma_f64 v[212:213], v[234:235], v[248:249], v[212:213]
	ds_load_2addr_b64 v[232:235], v250 offset0:50 offset1:51
	v_add_f64 v[140:141], v[140:141], -v[164:165]
	v_add_f64 v[142:143], v[142:143], -v[212:213]
	s_waitcnt lgkmcnt(0)
	v_mul_f64 v[164:165], v[234:235], v[166:167]
	v_mul_f64 v[212:213], v[232:233], v[166:167]
	s_delay_alu instid0(VALU_DEP_2) | instskip(NEXT) | instid1(VALU_DEP_2)
	v_fma_f64 v[164:165], v[232:233], v[248:249], -v[164:165]
	v_fma_f64 v[212:213], v[234:235], v[248:249], v[212:213]
	ds_load_2addr_b64 v[232:235], v250 offset0:52 offset1:53
	v_add_f64 v[136:137], v[136:137], -v[164:165]
	v_add_f64 v[138:139], v[138:139], -v[212:213]
	s_waitcnt lgkmcnt(0)
	v_mul_f64 v[164:165], v[234:235], v[166:167]
	v_mul_f64 v[212:213], v[232:233], v[166:167]
	s_delay_alu instid0(VALU_DEP_2) | instskip(NEXT) | instid1(VALU_DEP_2)
	v_fma_f64 v[164:165], v[232:233], v[248:249], -v[164:165]
	v_fma_f64 v[212:213], v[234:235], v[248:249], v[212:213]
	ds_load_2addr_b64 v[232:235], v250 offset0:54 offset1:55
	v_add_f64 v[132:133], v[132:133], -v[164:165]
	v_add_f64 v[134:135], v[134:135], -v[212:213]
	s_waitcnt lgkmcnt(0)
	v_mul_f64 v[164:165], v[234:235], v[166:167]
	v_mul_f64 v[212:213], v[232:233], v[166:167]
	s_delay_alu instid0(VALU_DEP_2) | instskip(NEXT) | instid1(VALU_DEP_2)
	v_fma_f64 v[164:165], v[232:233], v[248:249], -v[164:165]
	v_fma_f64 v[212:213], v[234:235], v[248:249], v[212:213]
	ds_load_2addr_b64 v[232:235], v250 offset0:56 offset1:57
	v_add_f64 v[128:129], v[128:129], -v[164:165]
	v_add_f64 v[130:131], v[130:131], -v[212:213]
	s_waitcnt lgkmcnt(0)
	v_mul_f64 v[164:165], v[234:235], v[166:167]
	v_mul_f64 v[212:213], v[232:233], v[166:167]
	s_delay_alu instid0(VALU_DEP_2) | instskip(NEXT) | instid1(VALU_DEP_2)
	v_fma_f64 v[164:165], v[232:233], v[248:249], -v[164:165]
	v_fma_f64 v[212:213], v[234:235], v[248:249], v[212:213]
	ds_load_2addr_b64 v[232:235], v250 offset0:58 offset1:59
	v_add_f64 v[124:125], v[124:125], -v[164:165]
	v_add_f64 v[126:127], v[126:127], -v[212:213]
	s_waitcnt lgkmcnt(0)
	v_mul_f64 v[164:165], v[234:235], v[166:167]
	v_mul_f64 v[212:213], v[232:233], v[166:167]
	s_delay_alu instid0(VALU_DEP_2) | instskip(NEXT) | instid1(VALU_DEP_2)
	v_fma_f64 v[164:165], v[232:233], v[248:249], -v[164:165]
	v_fma_f64 v[212:213], v[234:235], v[248:249], v[212:213]
	ds_load_2addr_b64 v[232:235], v250 offset0:60 offset1:61
	v_add_f64 v[120:121], v[120:121], -v[164:165]
	v_add_f64 v[122:123], v[122:123], -v[212:213]
	s_waitcnt lgkmcnt(0)
	v_mul_f64 v[164:165], v[234:235], v[166:167]
	v_mul_f64 v[212:213], v[232:233], v[166:167]
	s_delay_alu instid0(VALU_DEP_2) | instskip(NEXT) | instid1(VALU_DEP_2)
	v_fma_f64 v[164:165], v[232:233], v[248:249], -v[164:165]
	v_fma_f64 v[212:213], v[234:235], v[248:249], v[212:213]
	ds_load_2addr_b64 v[232:235], v250 offset0:62 offset1:63
	v_add_f64 v[116:117], v[116:117], -v[164:165]
	v_add_f64 v[118:119], v[118:119], -v[212:213]
	s_waitcnt lgkmcnt(0)
	v_mul_f64 v[164:165], v[234:235], v[166:167]
	v_mul_f64 v[212:213], v[232:233], v[166:167]
	s_delay_alu instid0(VALU_DEP_2) | instskip(NEXT) | instid1(VALU_DEP_2)
	v_fma_f64 v[164:165], v[232:233], v[248:249], -v[164:165]
	v_fma_f64 v[212:213], v[234:235], v[248:249], v[212:213]
	ds_load_2addr_b64 v[232:235], v250 offset0:64 offset1:65
	v_add_f64 v[112:113], v[112:113], -v[164:165]
	v_add_f64 v[114:115], v[114:115], -v[212:213]
	s_waitcnt lgkmcnt(0)
	v_mul_f64 v[164:165], v[234:235], v[166:167]
	v_mul_f64 v[212:213], v[232:233], v[166:167]
	s_delay_alu instid0(VALU_DEP_2) | instskip(NEXT) | instid1(VALU_DEP_2)
	v_fma_f64 v[164:165], v[232:233], v[248:249], -v[164:165]
	v_fma_f64 v[212:213], v[234:235], v[248:249], v[212:213]
	ds_load_2addr_b64 v[232:235], v250 offset0:66 offset1:67
	v_add_f64 v[108:109], v[108:109], -v[164:165]
	v_add_f64 v[110:111], v[110:111], -v[212:213]
	s_waitcnt lgkmcnt(0)
	v_mul_f64 v[164:165], v[234:235], v[166:167]
	v_mul_f64 v[212:213], v[232:233], v[166:167]
	s_delay_alu instid0(VALU_DEP_2) | instskip(NEXT) | instid1(VALU_DEP_2)
	v_fma_f64 v[164:165], v[232:233], v[248:249], -v[164:165]
	v_fma_f64 v[212:213], v[234:235], v[248:249], v[212:213]
	ds_load_2addr_b64 v[232:235], v250 offset0:68 offset1:69
	v_add_f64 v[104:105], v[104:105], -v[164:165]
	v_add_f64 v[106:107], v[106:107], -v[212:213]
	s_waitcnt lgkmcnt(0)
	v_mul_f64 v[164:165], v[234:235], v[166:167]
	v_mul_f64 v[212:213], v[232:233], v[166:167]
	s_delay_alu instid0(VALU_DEP_2) | instskip(NEXT) | instid1(VALU_DEP_2)
	v_fma_f64 v[164:165], v[232:233], v[248:249], -v[164:165]
	v_fma_f64 v[212:213], v[234:235], v[248:249], v[212:213]
	ds_load_2addr_b64 v[232:235], v250 offset0:70 offset1:71
	v_add_f64 v[100:101], v[100:101], -v[164:165]
	v_add_f64 v[102:103], v[102:103], -v[212:213]
	s_waitcnt lgkmcnt(0)
	v_mul_f64 v[164:165], v[234:235], v[166:167]
	v_mul_f64 v[212:213], v[232:233], v[166:167]
	s_delay_alu instid0(VALU_DEP_2) | instskip(NEXT) | instid1(VALU_DEP_2)
	v_fma_f64 v[164:165], v[232:233], v[248:249], -v[164:165]
	v_fma_f64 v[212:213], v[234:235], v[248:249], v[212:213]
	ds_load_2addr_b64 v[232:235], v250 offset0:72 offset1:73
	v_add_f64 v[96:97], v[96:97], -v[164:165]
	v_add_f64 v[98:99], v[98:99], -v[212:213]
	s_waitcnt lgkmcnt(0)
	v_mul_f64 v[164:165], v[234:235], v[166:167]
	v_mul_f64 v[212:213], v[232:233], v[166:167]
	s_delay_alu instid0(VALU_DEP_2) | instskip(NEXT) | instid1(VALU_DEP_2)
	v_fma_f64 v[164:165], v[232:233], v[248:249], -v[164:165]
	v_fma_f64 v[212:213], v[234:235], v[248:249], v[212:213]
	ds_load_2addr_b64 v[232:235], v250 offset0:74 offset1:75
	v_add_f64 v[92:93], v[92:93], -v[164:165]
	v_add_f64 v[94:95], v[94:95], -v[212:213]
	s_waitcnt lgkmcnt(0)
	v_mul_f64 v[164:165], v[234:235], v[166:167]
	v_mul_f64 v[212:213], v[232:233], v[166:167]
	s_delay_alu instid0(VALU_DEP_2) | instskip(NEXT) | instid1(VALU_DEP_2)
	v_fma_f64 v[164:165], v[232:233], v[248:249], -v[164:165]
	v_fma_f64 v[212:213], v[234:235], v[248:249], v[212:213]
	ds_load_2addr_b64 v[232:235], v250 offset0:76 offset1:77
	v_add_f64 v[88:89], v[88:89], -v[164:165]
	v_add_f64 v[90:91], v[90:91], -v[212:213]
	s_waitcnt lgkmcnt(0)
	v_mul_f64 v[164:165], v[234:235], v[166:167]
	v_mul_f64 v[212:213], v[232:233], v[166:167]
	s_delay_alu instid0(VALU_DEP_2) | instskip(NEXT) | instid1(VALU_DEP_2)
	v_fma_f64 v[164:165], v[232:233], v[248:249], -v[164:165]
	v_fma_f64 v[212:213], v[234:235], v[248:249], v[212:213]
	ds_load_2addr_b64 v[232:235], v250 offset0:78 offset1:79
	v_add_f64 v[84:85], v[84:85], -v[164:165]
	v_add_f64 v[86:87], v[86:87], -v[212:213]
	s_waitcnt lgkmcnt(0)
	v_mul_f64 v[164:165], v[234:235], v[166:167]
	v_mul_f64 v[212:213], v[232:233], v[166:167]
	s_delay_alu instid0(VALU_DEP_2) | instskip(NEXT) | instid1(VALU_DEP_2)
	v_fma_f64 v[164:165], v[232:233], v[248:249], -v[164:165]
	v_fma_f64 v[212:213], v[234:235], v[248:249], v[212:213]
	ds_load_2addr_b64 v[232:235], v250 offset0:80 offset1:81
	v_add_f64 v[80:81], v[80:81], -v[164:165]
	v_add_f64 v[82:83], v[82:83], -v[212:213]
	s_waitcnt lgkmcnt(0)
	v_mul_f64 v[164:165], v[234:235], v[166:167]
	v_mul_f64 v[212:213], v[232:233], v[166:167]
	s_delay_alu instid0(VALU_DEP_2) | instskip(NEXT) | instid1(VALU_DEP_2)
	v_fma_f64 v[164:165], v[232:233], v[248:249], -v[164:165]
	v_fma_f64 v[212:213], v[234:235], v[248:249], v[212:213]
	ds_load_2addr_b64 v[232:235], v250 offset0:82 offset1:83
	v_add_f64 v[76:77], v[76:77], -v[164:165]
	v_add_f64 v[78:79], v[78:79], -v[212:213]
	s_waitcnt lgkmcnt(0)
	v_mul_f64 v[164:165], v[234:235], v[166:167]
	v_mul_f64 v[212:213], v[232:233], v[166:167]
	s_delay_alu instid0(VALU_DEP_2) | instskip(NEXT) | instid1(VALU_DEP_2)
	v_fma_f64 v[164:165], v[232:233], v[248:249], -v[164:165]
	v_fma_f64 v[212:213], v[234:235], v[248:249], v[212:213]
	ds_load_2addr_b64 v[232:235], v250 offset0:84 offset1:85
	v_add_f64 v[72:73], v[72:73], -v[164:165]
	v_add_f64 v[74:75], v[74:75], -v[212:213]
	s_waitcnt lgkmcnt(0)
	v_mul_f64 v[164:165], v[234:235], v[166:167]
	v_mul_f64 v[212:213], v[232:233], v[166:167]
	s_delay_alu instid0(VALU_DEP_2) | instskip(NEXT) | instid1(VALU_DEP_2)
	v_fma_f64 v[164:165], v[232:233], v[248:249], -v[164:165]
	v_fma_f64 v[212:213], v[234:235], v[248:249], v[212:213]
	ds_load_2addr_b64 v[232:235], v250 offset0:86 offset1:87
	v_add_f64 v[68:69], v[68:69], -v[164:165]
	v_add_f64 v[70:71], v[70:71], -v[212:213]
	s_waitcnt lgkmcnt(0)
	v_mul_f64 v[164:165], v[234:235], v[166:167]
	v_mul_f64 v[212:213], v[232:233], v[166:167]
	s_delay_alu instid0(VALU_DEP_2) | instskip(NEXT) | instid1(VALU_DEP_2)
	v_fma_f64 v[164:165], v[232:233], v[248:249], -v[164:165]
	v_fma_f64 v[212:213], v[234:235], v[248:249], v[212:213]
	ds_load_2addr_b64 v[232:235], v250 offset0:88 offset1:89
	v_add_f64 v[64:65], v[64:65], -v[164:165]
	v_add_f64 v[66:67], v[66:67], -v[212:213]
	s_waitcnt lgkmcnt(0)
	v_mul_f64 v[164:165], v[234:235], v[166:167]
	v_mul_f64 v[212:213], v[232:233], v[166:167]
	s_delay_alu instid0(VALU_DEP_2) | instskip(NEXT) | instid1(VALU_DEP_2)
	v_fma_f64 v[164:165], v[232:233], v[248:249], -v[164:165]
	v_fma_f64 v[212:213], v[234:235], v[248:249], v[212:213]
	ds_load_2addr_b64 v[232:235], v250 offset0:90 offset1:91
	v_add_f64 v[60:61], v[60:61], -v[164:165]
	v_add_f64 v[62:63], v[62:63], -v[212:213]
	s_waitcnt lgkmcnt(0)
	v_mul_f64 v[164:165], v[234:235], v[166:167]
	v_mul_f64 v[212:213], v[232:233], v[166:167]
	s_delay_alu instid0(VALU_DEP_2) | instskip(NEXT) | instid1(VALU_DEP_2)
	v_fma_f64 v[164:165], v[232:233], v[248:249], -v[164:165]
	v_fma_f64 v[212:213], v[234:235], v[248:249], v[212:213]
	ds_load_2addr_b64 v[232:235], v250 offset0:92 offset1:93
	v_add_f64 v[56:57], v[56:57], -v[164:165]
	v_add_f64 v[58:59], v[58:59], -v[212:213]
	s_waitcnt lgkmcnt(0)
	v_mul_f64 v[164:165], v[234:235], v[166:167]
	v_mul_f64 v[212:213], v[232:233], v[166:167]
	s_delay_alu instid0(VALU_DEP_2) | instskip(NEXT) | instid1(VALU_DEP_2)
	v_fma_f64 v[164:165], v[232:233], v[248:249], -v[164:165]
	v_fma_f64 v[212:213], v[234:235], v[248:249], v[212:213]
	ds_load_2addr_b64 v[232:235], v250 offset0:94 offset1:95
	v_add_f64 v[52:53], v[52:53], -v[164:165]
	v_add_f64 v[54:55], v[54:55], -v[212:213]
	s_waitcnt lgkmcnt(0)
	v_mul_f64 v[164:165], v[234:235], v[166:167]
	v_mul_f64 v[212:213], v[232:233], v[166:167]
	s_delay_alu instid0(VALU_DEP_2) | instskip(NEXT) | instid1(VALU_DEP_2)
	v_fma_f64 v[164:165], v[232:233], v[248:249], -v[164:165]
	v_fma_f64 v[212:213], v[234:235], v[248:249], v[212:213]
	ds_load_2addr_b64 v[232:235], v250 offset0:96 offset1:97
	v_add_f64 v[48:49], v[48:49], -v[164:165]
	v_add_f64 v[50:51], v[50:51], -v[212:213]
	s_waitcnt lgkmcnt(0)
	v_mul_f64 v[164:165], v[234:235], v[166:167]
	v_mul_f64 v[212:213], v[232:233], v[166:167]
	s_delay_alu instid0(VALU_DEP_2) | instskip(NEXT) | instid1(VALU_DEP_2)
	v_fma_f64 v[164:165], v[232:233], v[248:249], -v[164:165]
	v_fma_f64 v[212:213], v[234:235], v[248:249], v[212:213]
	ds_load_2addr_b64 v[232:235], v250 offset0:98 offset1:99
	v_add_f64 v[44:45], v[44:45], -v[164:165]
	v_add_f64 v[46:47], v[46:47], -v[212:213]
	s_waitcnt lgkmcnt(0)
	v_mul_f64 v[164:165], v[234:235], v[166:167]
	v_mul_f64 v[212:213], v[232:233], v[166:167]
	s_delay_alu instid0(VALU_DEP_2) | instskip(NEXT) | instid1(VALU_DEP_2)
	v_fma_f64 v[164:165], v[232:233], v[248:249], -v[164:165]
	v_fma_f64 v[212:213], v[234:235], v[248:249], v[212:213]
	ds_load_2addr_b64 v[232:235], v250 offset0:100 offset1:101
	v_add_f64 v[40:41], v[40:41], -v[164:165]
	v_add_f64 v[42:43], v[42:43], -v[212:213]
	s_waitcnt lgkmcnt(0)
	v_mul_f64 v[164:165], v[234:235], v[166:167]
	v_mul_f64 v[212:213], v[232:233], v[166:167]
	s_delay_alu instid0(VALU_DEP_2) | instskip(NEXT) | instid1(VALU_DEP_2)
	v_fma_f64 v[164:165], v[232:233], v[248:249], -v[164:165]
	v_fma_f64 v[212:213], v[234:235], v[248:249], v[212:213]
	ds_load_2addr_b64 v[232:235], v250 offset0:102 offset1:103
	v_add_f64 v[36:37], v[36:37], -v[164:165]
	v_add_f64 v[38:39], v[38:39], -v[212:213]
	s_waitcnt lgkmcnt(0)
	v_mul_f64 v[164:165], v[234:235], v[166:167]
	v_mul_f64 v[212:213], v[232:233], v[166:167]
	s_delay_alu instid0(VALU_DEP_2) | instskip(NEXT) | instid1(VALU_DEP_2)
	v_fma_f64 v[164:165], v[232:233], v[248:249], -v[164:165]
	v_fma_f64 v[212:213], v[234:235], v[248:249], v[212:213]
	ds_load_2addr_b64 v[232:235], v250 offset0:104 offset1:105
	v_add_f64 v[32:33], v[32:33], -v[164:165]
	v_add_f64 v[34:35], v[34:35], -v[212:213]
	s_waitcnt lgkmcnt(0)
	v_mul_f64 v[164:165], v[234:235], v[166:167]
	v_mul_f64 v[212:213], v[232:233], v[166:167]
	s_delay_alu instid0(VALU_DEP_2) | instskip(NEXT) | instid1(VALU_DEP_2)
	v_fma_f64 v[164:165], v[232:233], v[248:249], -v[164:165]
	v_fma_f64 v[212:213], v[234:235], v[248:249], v[212:213]
	ds_load_2addr_b64 v[232:235], v250 offset0:106 offset1:107
	v_add_f64 v[28:29], v[28:29], -v[164:165]
	v_add_f64 v[30:31], v[30:31], -v[212:213]
	s_waitcnt lgkmcnt(0)
	v_mul_f64 v[164:165], v[234:235], v[166:167]
	v_mul_f64 v[212:213], v[232:233], v[166:167]
	s_delay_alu instid0(VALU_DEP_2) | instskip(NEXT) | instid1(VALU_DEP_2)
	v_fma_f64 v[164:165], v[232:233], v[248:249], -v[164:165]
	v_fma_f64 v[212:213], v[234:235], v[248:249], v[212:213]
	ds_load_2addr_b64 v[232:235], v250 offset0:108 offset1:109
	v_add_f64 v[24:25], v[24:25], -v[164:165]
	v_add_f64 v[26:27], v[26:27], -v[212:213]
	s_waitcnt lgkmcnt(0)
	v_mul_f64 v[164:165], v[234:235], v[166:167]
	v_mul_f64 v[212:213], v[232:233], v[166:167]
	s_delay_alu instid0(VALU_DEP_2) | instskip(NEXT) | instid1(VALU_DEP_2)
	v_fma_f64 v[164:165], v[232:233], v[248:249], -v[164:165]
	v_fma_f64 v[212:213], v[234:235], v[248:249], v[212:213]
	ds_load_2addr_b64 v[232:235], v250 offset0:110 offset1:111
	v_add_f64 v[20:21], v[20:21], -v[164:165]
	v_add_f64 v[22:23], v[22:23], -v[212:213]
	s_waitcnt lgkmcnt(0)
	v_mul_f64 v[164:165], v[234:235], v[166:167]
	v_mul_f64 v[212:213], v[232:233], v[166:167]
	s_delay_alu instid0(VALU_DEP_2) | instskip(NEXT) | instid1(VALU_DEP_2)
	v_fma_f64 v[164:165], v[232:233], v[248:249], -v[164:165]
	v_fma_f64 v[212:213], v[234:235], v[248:249], v[212:213]
	ds_load_2addr_b64 v[232:235], v250 offset0:112 offset1:113
	v_add_f64 v[16:17], v[16:17], -v[164:165]
	v_add_f64 v[18:19], v[18:19], -v[212:213]
	s_waitcnt lgkmcnt(0)
	v_mul_f64 v[164:165], v[234:235], v[166:167]
	v_mul_f64 v[212:213], v[232:233], v[166:167]
	s_delay_alu instid0(VALU_DEP_2) | instskip(NEXT) | instid1(VALU_DEP_2)
	v_fma_f64 v[164:165], v[232:233], v[248:249], -v[164:165]
	v_fma_f64 v[212:213], v[234:235], v[248:249], v[212:213]
	ds_load_2addr_b64 v[232:235], v250 offset0:114 offset1:115
	v_add_f64 v[12:13], v[12:13], -v[164:165]
	v_add_f64 v[14:15], v[14:15], -v[212:213]
	s_waitcnt lgkmcnt(0)
	v_mul_f64 v[164:165], v[234:235], v[166:167]
	v_mul_f64 v[212:213], v[232:233], v[166:167]
	s_delay_alu instid0(VALU_DEP_2) | instskip(NEXT) | instid1(VALU_DEP_2)
	v_fma_f64 v[164:165], v[232:233], v[248:249], -v[164:165]
	v_fma_f64 v[212:213], v[234:235], v[248:249], v[212:213]
	ds_load_2addr_b64 v[232:235], v250 offset0:116 offset1:117
	v_add_f64 v[236:237], v[236:237], -v[164:165]
	v_add_f64 v[238:239], v[238:239], -v[212:213]
	s_waitcnt lgkmcnt(0)
	v_mul_f64 v[164:165], v[234:235], v[166:167]
	v_mul_f64 v[212:213], v[232:233], v[166:167]
	s_delay_alu instid0(VALU_DEP_2) | instskip(NEXT) | instid1(VALU_DEP_2)
	v_fma_f64 v[164:165], v[232:233], v[248:249], -v[164:165]
	v_fma_f64 v[212:213], v[234:235], v[248:249], v[212:213]
	ds_load_2addr_b64 v[232:235], v250 offset0:118 offset1:119
	v_add_f64 v[224:225], v[224:225], -v[164:165]
	v_add_f64 v[226:227], v[226:227], -v[212:213]
	s_waitcnt lgkmcnt(0)
	v_mul_f64 v[164:165], v[234:235], v[166:167]
	v_mul_f64 v[212:213], v[232:233], v[166:167]
	s_delay_alu instid0(VALU_DEP_2) | instskip(NEXT) | instid1(VALU_DEP_2)
	v_fma_f64 v[164:165], v[232:233], v[248:249], -v[164:165]
	v_fma_f64 v[212:213], v[234:235], v[248:249], v[212:213]
	s_delay_alu instid0(VALU_DEP_2) | instskip(NEXT) | instid1(VALU_DEP_2)
	v_add_f64 v[228:229], v[228:229], -v[164:165]
	v_add_f64 v[230:231], v[230:231], -v[212:213]
	v_dual_mov_b32 v164, v248 :: v_dual_mov_b32 v165, v249
.LBB118_398:
	s_or_b32 exec_lo, exec_lo, s2
	v_lshl_add_u32 v212, v255, 4, v250
	s_barrier
	buffer_gl0_inv
	v_mov_b32_e32 v248, 19
	ds_store_2addr_b64 v212, v[160:161], v[162:163] offset1:1
	s_waitcnt lgkmcnt(0)
	s_barrier
	buffer_gl0_inv
	ds_load_2addr_b64 v[240:243], v250 offset0:38 offset1:39
	s_cmp_lt_i32 s12, 21
	s_cbranch_scc1 .LBB118_401
; %bb.399:
	v_add3_u32 v245, v254, 0, 0x140
	v_mov_b32_e32 v248, 19
	s_mov_b32 s6, 20
	s_set_inst_prefetch_distance 0x1
	.p2align	6
.LBB118_400:                            ; =>This Inner Loop Header: Depth=1
	ds_load_2addr_b64 v[232:235], v245 offset1:1
	s_waitcnt lgkmcnt(1)
	v_cmp_gt_f64_e32 vcc_lo, 0, v[240:241]
	v_cmp_gt_f64_e64 s2, 0, v[242:243]
	v_xor_b32_e32 v213, 0x80000000, v241
	v_xor_b32_e32 v217, 0x80000000, v243
	v_add_nc_u32_e32 v245, 16, v245
	s_waitcnt lgkmcnt(0)
	v_cmp_gt_f64_e64 s3, 0, v[232:233]
	v_cmp_gt_f64_e64 s4, 0, v[234:235]
	v_xor_b32_e32 v219, 0x80000000, v233
	v_xor_b32_e32 v220, 0x80000000, v235
	v_mov_b32_e32 v214, v234
	v_mov_b32_e32 v212, v232
	v_dual_cndmask_b32 v216, v241, v213 :: v_dual_cndmask_b32 v215, v240, v240
	v_cndmask_b32_e64 v218, v243, v217, s2
	v_cndmask_b32_e64 v217, v242, v242, s2
	s_delay_alu instid0(VALU_DEP_1) | instskip(SKIP_2) | instid1(VALU_DEP_1)
	v_add_f64 v[216:217], v[215:216], v[217:218]
	v_cndmask_b32_e64 v213, v233, v219, s3
	v_cndmask_b32_e64 v215, v235, v220, s4
	v_add_f64 v[212:213], v[212:213], v[214:215]
	s_delay_alu instid0(VALU_DEP_1)
	v_cmp_lt_f64_e32 vcc_lo, v[216:217], v[212:213]
	v_cndmask_b32_e32 v243, v243, v235, vcc_lo
	v_dual_cndmask_b32 v241, v241, v233 :: v_dual_cndmask_b32 v240, v240, v232
	v_cndmask_b32_e32 v242, v242, v234, vcc_lo
	v_cndmask_b32_e64 v248, v248, s6, vcc_lo
	s_add_i32 s6, s6, 1
	s_delay_alu instid0(SALU_CYCLE_1)
	s_cmp_lg_u32 s12, s6
	s_cbranch_scc1 .LBB118_400
.LBB118_401:
	s_set_inst_prefetch_distance 0x2
	s_waitcnt lgkmcnt(0)
	v_cmp_eq_f64_e32 vcc_lo, 0, v[240:241]
	v_cmp_eq_f64_e64 s2, 0, v[242:243]
	s_delay_alu instid0(VALU_DEP_1) | instskip(NEXT) | instid1(SALU_CYCLE_1)
	s_and_b32 s2, vcc_lo, s2
	s_and_saveexec_b32 s3, s2
	s_delay_alu instid0(SALU_CYCLE_1)
	s_xor_b32 s2, exec_lo, s3
; %bb.402:
	v_cmp_ne_u32_e32 vcc_lo, 0, v253
	v_cndmask_b32_e32 v253, 20, v253, vcc_lo
; %bb.403:
	s_and_not1_saveexec_b32 s3, s2
	s_cbranch_execz .LBB118_409
; %bb.404:
	v_cmp_gt_f64_e32 vcc_lo, 0, v[240:241]
	v_cmp_gt_f64_e64 s2, 0, v[242:243]
	v_xor_b32_e32 v212, 0x80000000, v241
	v_xor_b32_e32 v214, 0x80000000, v243
	s_delay_alu instid0(VALU_DEP_2) | instskip(NEXT) | instid1(VALU_DEP_2)
	v_cndmask_b32_e32 v213, v241, v212, vcc_lo
	v_cndmask_b32_e64 v215, v243, v214, s2
	v_cndmask_b32_e32 v212, v240, v240, vcc_lo
	v_cndmask_b32_e64 v214, v242, v242, s2
	s_mov_b32 s2, exec_lo
	s_delay_alu instid0(VALU_DEP_1)
	v_cmpx_ngt_f64_e32 v[212:213], v[214:215]
	s_xor_b32 s2, exec_lo, s2
	s_cbranch_execz .LBB118_406
; %bb.405:
	v_div_scale_f64 v[212:213], null, v[242:243], v[242:243], v[240:241]
	v_div_scale_f64 v[218:219], vcc_lo, v[240:241], v[242:243], v[240:241]
	s_delay_alu instid0(VALU_DEP_2) | instskip(SKIP_2) | instid1(VALU_DEP_1)
	v_rcp_f64_e32 v[214:215], v[212:213]
	s_waitcnt_depctr 0xfff
	v_fma_f64 v[216:217], -v[212:213], v[214:215], 1.0
	v_fma_f64 v[214:215], v[214:215], v[216:217], v[214:215]
	s_delay_alu instid0(VALU_DEP_1) | instskip(NEXT) | instid1(VALU_DEP_1)
	v_fma_f64 v[216:217], -v[212:213], v[214:215], 1.0
	v_fma_f64 v[214:215], v[214:215], v[216:217], v[214:215]
	s_delay_alu instid0(VALU_DEP_1) | instskip(NEXT) | instid1(VALU_DEP_1)
	v_mul_f64 v[216:217], v[218:219], v[214:215]
	v_fma_f64 v[212:213], -v[212:213], v[216:217], v[218:219]
	s_delay_alu instid0(VALU_DEP_1) | instskip(NEXT) | instid1(VALU_DEP_1)
	v_div_fmas_f64 v[212:213], v[212:213], v[214:215], v[216:217]
	v_div_fixup_f64 v[212:213], v[212:213], v[242:243], v[240:241]
	s_delay_alu instid0(VALU_DEP_1) | instskip(NEXT) | instid1(VALU_DEP_1)
	v_fma_f64 v[214:215], v[240:241], v[212:213], v[242:243]
	v_div_scale_f64 v[216:217], null, v[214:215], v[214:215], 1.0
	s_delay_alu instid0(VALU_DEP_1) | instskip(SKIP_2) | instid1(VALU_DEP_1)
	v_rcp_f64_e32 v[218:219], v[216:217]
	s_waitcnt_depctr 0xfff
	v_fma_f64 v[220:221], -v[216:217], v[218:219], 1.0
	v_fma_f64 v[218:219], v[218:219], v[220:221], v[218:219]
	s_delay_alu instid0(VALU_DEP_1) | instskip(NEXT) | instid1(VALU_DEP_1)
	v_fma_f64 v[220:221], -v[216:217], v[218:219], 1.0
	v_fma_f64 v[218:219], v[218:219], v[220:221], v[218:219]
	v_div_scale_f64 v[220:221], vcc_lo, 1.0, v[214:215], 1.0
	s_delay_alu instid0(VALU_DEP_1) | instskip(NEXT) | instid1(VALU_DEP_1)
	v_mul_f64 v[222:223], v[220:221], v[218:219]
	v_fma_f64 v[216:217], -v[216:217], v[222:223], v[220:221]
	s_delay_alu instid0(VALU_DEP_1) | instskip(NEXT) | instid1(VALU_DEP_1)
	v_div_fmas_f64 v[216:217], v[216:217], v[218:219], v[222:223]
	v_div_fixup_f64 v[242:243], v[216:217], v[214:215], 1.0
	s_delay_alu instid0(VALU_DEP_1)
	v_mul_f64 v[240:241], v[212:213], v[242:243]
	v_xor_b32_e32 v243, 0x80000000, v243
.LBB118_406:
	s_and_not1_saveexec_b32 s2, s2
	s_cbranch_execz .LBB118_408
; %bb.407:
	s_delay_alu instid0(VALU_DEP_1) | instskip(SKIP_1) | instid1(VALU_DEP_2)
	v_div_scale_f64 v[212:213], null, v[240:241], v[240:241], v[242:243]
	v_div_scale_f64 v[218:219], vcc_lo, v[242:243], v[240:241], v[242:243]
	v_rcp_f64_e32 v[214:215], v[212:213]
	s_waitcnt_depctr 0xfff
	v_fma_f64 v[216:217], -v[212:213], v[214:215], 1.0
	s_delay_alu instid0(VALU_DEP_1) | instskip(NEXT) | instid1(VALU_DEP_1)
	v_fma_f64 v[214:215], v[214:215], v[216:217], v[214:215]
	v_fma_f64 v[216:217], -v[212:213], v[214:215], 1.0
	s_delay_alu instid0(VALU_DEP_1) | instskip(NEXT) | instid1(VALU_DEP_1)
	v_fma_f64 v[214:215], v[214:215], v[216:217], v[214:215]
	v_mul_f64 v[216:217], v[218:219], v[214:215]
	s_delay_alu instid0(VALU_DEP_1) | instskip(NEXT) | instid1(VALU_DEP_1)
	v_fma_f64 v[212:213], -v[212:213], v[216:217], v[218:219]
	v_div_fmas_f64 v[212:213], v[212:213], v[214:215], v[216:217]
	s_delay_alu instid0(VALU_DEP_1) | instskip(NEXT) | instid1(VALU_DEP_1)
	v_div_fixup_f64 v[212:213], v[212:213], v[240:241], v[242:243]
	v_fma_f64 v[214:215], v[242:243], v[212:213], v[240:241]
	s_delay_alu instid0(VALU_DEP_1) | instskip(NEXT) | instid1(VALU_DEP_1)
	v_div_scale_f64 v[216:217], null, v[214:215], v[214:215], 1.0
	v_rcp_f64_e32 v[218:219], v[216:217]
	s_waitcnt_depctr 0xfff
	v_fma_f64 v[220:221], -v[216:217], v[218:219], 1.0
	s_delay_alu instid0(VALU_DEP_1) | instskip(NEXT) | instid1(VALU_DEP_1)
	v_fma_f64 v[218:219], v[218:219], v[220:221], v[218:219]
	v_fma_f64 v[220:221], -v[216:217], v[218:219], 1.0
	s_delay_alu instid0(VALU_DEP_1) | instskip(SKIP_1) | instid1(VALU_DEP_1)
	v_fma_f64 v[218:219], v[218:219], v[220:221], v[218:219]
	v_div_scale_f64 v[220:221], vcc_lo, 1.0, v[214:215], 1.0
	v_mul_f64 v[222:223], v[220:221], v[218:219]
	s_delay_alu instid0(VALU_DEP_1) | instskip(NEXT) | instid1(VALU_DEP_1)
	v_fma_f64 v[216:217], -v[216:217], v[222:223], v[220:221]
	v_div_fmas_f64 v[216:217], v[216:217], v[218:219], v[222:223]
	s_delay_alu instid0(VALU_DEP_1) | instskip(NEXT) | instid1(VALU_DEP_1)
	v_div_fixup_f64 v[240:241], v[216:217], v[214:215], 1.0
	v_mul_f64 v[242:243], v[212:213], -v[240:241]
.LBB118_408:
	s_or_b32 exec_lo, exec_lo, s2
.LBB118_409:
	s_delay_alu instid0(SALU_CYCLE_1) | instskip(NEXT) | instid1(SALU_CYCLE_1)
	s_or_b32 exec_lo, exec_lo, s3
	s_mov_b32 s2, exec_lo
	v_cmpx_ne_u32_e64 v255, v248
	s_xor_b32 s2, exec_lo, s2
	s_cbranch_execz .LBB118_415
; %bb.410:
	s_mov_b32 s3, exec_lo
	v_cmpx_eq_u32_e32 19, v255
	s_cbranch_execz .LBB118_414
; %bb.411:
	v_cmp_ne_u32_e32 vcc_lo, 19, v248
	s_xor_b32 s4, s5, -1
	s_delay_alu instid0(SALU_CYCLE_1) | instskip(NEXT) | instid1(SALU_CYCLE_1)
	s_and_b32 s6, s4, vcc_lo
	s_and_saveexec_b32 s4, s6
	s_cbranch_execz .LBB118_413
; %bb.412:
	scratch_load_b64 v[208:209], off, off offset:16 ; 8-byte Folded Reload
	v_ashrrev_i32_e32 v249, 31, v248
	s_delay_alu instid0(VALU_DEP_1) | instskip(SKIP_1) | instid1(VALU_DEP_1)
	v_lshlrev_b64 v[212:213], 2, v[248:249]
	s_waitcnt vmcnt(0)
	v_add_co_u32 v212, vcc_lo, v208, v212
	s_delay_alu instid0(VALU_DEP_2)
	v_add_co_ci_u32_e32 v213, vcc_lo, v209, v213, vcc_lo
	s_clause 0x1
	flat_load_b32 v214, v[212:213]
	flat_load_b32 v215, v[208:209] offset:76
	s_waitcnt vmcnt(1) lgkmcnt(1)
	flat_store_b32 v[208:209], v214 offset:76
	s_waitcnt vmcnt(0) lgkmcnt(1)
	flat_store_b32 v[212:213], v215
.LBB118_413:
	s_or_b32 exec_lo, exec_lo, s4
	v_mov_b32_e32 v255, v248
	v_mov_b32_e32 v244, v248
.LBB118_414:
	s_or_b32 exec_lo, exec_lo, s3
.LBB118_415:
	s_and_not1_saveexec_b32 s2, s2
	s_cbranch_execz .LBB118_417
; %bb.416:
	v_mov_b32_e32 v255, 19
	ds_store_2addr_b64 v250, v[156:157], v[158:159] offset0:40 offset1:41
	ds_store_2addr_b64 v250, v[152:153], v[154:155] offset0:42 offset1:43
	;; [unrolled: 1-line block ×40, first 2 shown]
.LBB118_417:
	s_or_b32 exec_lo, exec_lo, s2
	s_delay_alu instid0(SALU_CYCLE_1)
	s_mov_b32 s2, exec_lo
	s_waitcnt lgkmcnt(0)
	s_waitcnt_vscnt null, 0x0
	s_barrier
	buffer_gl0_inv
	v_cmpx_lt_i32_e32 19, v255
	s_cbranch_execz .LBB118_419
; %bb.418:
	v_mul_f64 v[212:213], v[242:243], v[162:163]
	v_mul_f64 v[162:163], v[240:241], v[162:163]
	ds_load_2addr_b64 v[232:235], v250 offset0:40 offset1:41
	v_fma_f64 v[248:249], v[240:241], v[160:161], -v[212:213]
	v_fma_f64 v[162:163], v[242:243], v[160:161], v[162:163]
	s_waitcnt lgkmcnt(0)
	s_delay_alu instid0(VALU_DEP_1) | instskip(SKIP_1) | instid1(VALU_DEP_2)
	v_mul_f64 v[160:161], v[234:235], v[162:163]
	v_mul_f64 v[212:213], v[232:233], v[162:163]
	v_fma_f64 v[160:161], v[232:233], v[248:249], -v[160:161]
	s_delay_alu instid0(VALU_DEP_2)
	v_fma_f64 v[212:213], v[234:235], v[248:249], v[212:213]
	ds_load_2addr_b64 v[232:235], v250 offset0:42 offset1:43
	v_add_f64 v[156:157], v[156:157], -v[160:161]
	v_add_f64 v[158:159], v[158:159], -v[212:213]
	s_waitcnt lgkmcnt(0)
	v_mul_f64 v[160:161], v[234:235], v[162:163]
	v_mul_f64 v[212:213], v[232:233], v[162:163]
	s_delay_alu instid0(VALU_DEP_2) | instskip(NEXT) | instid1(VALU_DEP_2)
	v_fma_f64 v[160:161], v[232:233], v[248:249], -v[160:161]
	v_fma_f64 v[212:213], v[234:235], v[248:249], v[212:213]
	ds_load_2addr_b64 v[232:235], v250 offset0:44 offset1:45
	v_add_f64 v[152:153], v[152:153], -v[160:161]
	v_add_f64 v[154:155], v[154:155], -v[212:213]
	s_waitcnt lgkmcnt(0)
	v_mul_f64 v[160:161], v[234:235], v[162:163]
	v_mul_f64 v[212:213], v[232:233], v[162:163]
	s_delay_alu instid0(VALU_DEP_2) | instskip(NEXT) | instid1(VALU_DEP_2)
	v_fma_f64 v[160:161], v[232:233], v[248:249], -v[160:161]
	;; [unrolled: 9-line block ×39, first 2 shown]
	v_fma_f64 v[212:213], v[234:235], v[248:249], v[212:213]
	s_delay_alu instid0(VALU_DEP_2) | instskip(NEXT) | instid1(VALU_DEP_2)
	v_add_f64 v[228:229], v[228:229], -v[160:161]
	v_add_f64 v[230:231], v[230:231], -v[212:213]
	v_dual_mov_b32 v160, v248 :: v_dual_mov_b32 v161, v249
.LBB118_419:
	s_or_b32 exec_lo, exec_lo, s2
	v_lshl_add_u32 v212, v255, 4, v250
	s_barrier
	buffer_gl0_inv
	v_mov_b32_e32 v248, 20
	ds_store_2addr_b64 v212, v[156:157], v[158:159] offset1:1
	s_waitcnt lgkmcnt(0)
	s_barrier
	buffer_gl0_inv
	ds_load_2addr_b64 v[240:243], v250 offset0:40 offset1:41
	s_cmp_lt_i32 s12, 22
	s_cbranch_scc1 .LBB118_422
; %bb.420:
	v_add3_u32 v245, v254, 0, 0x150
	v_mov_b32_e32 v248, 20
	s_mov_b32 s6, 21
	s_set_inst_prefetch_distance 0x1
	.p2align	6
.LBB118_421:                            ; =>This Inner Loop Header: Depth=1
	ds_load_2addr_b64 v[232:235], v245 offset1:1
	s_waitcnt lgkmcnt(1)
	v_cmp_gt_f64_e32 vcc_lo, 0, v[240:241]
	v_cmp_gt_f64_e64 s2, 0, v[242:243]
	v_xor_b32_e32 v213, 0x80000000, v241
	v_xor_b32_e32 v217, 0x80000000, v243
	v_add_nc_u32_e32 v245, 16, v245
	s_waitcnt lgkmcnt(0)
	v_cmp_gt_f64_e64 s3, 0, v[232:233]
	v_cmp_gt_f64_e64 s4, 0, v[234:235]
	v_xor_b32_e32 v219, 0x80000000, v233
	v_xor_b32_e32 v220, 0x80000000, v235
	v_mov_b32_e32 v214, v234
	v_mov_b32_e32 v212, v232
	v_dual_cndmask_b32 v216, v241, v213 :: v_dual_cndmask_b32 v215, v240, v240
	v_cndmask_b32_e64 v218, v243, v217, s2
	v_cndmask_b32_e64 v217, v242, v242, s2
	s_delay_alu instid0(VALU_DEP_1) | instskip(SKIP_2) | instid1(VALU_DEP_1)
	v_add_f64 v[216:217], v[215:216], v[217:218]
	v_cndmask_b32_e64 v213, v233, v219, s3
	v_cndmask_b32_e64 v215, v235, v220, s4
	v_add_f64 v[212:213], v[212:213], v[214:215]
	s_delay_alu instid0(VALU_DEP_1)
	v_cmp_lt_f64_e32 vcc_lo, v[216:217], v[212:213]
	v_cndmask_b32_e32 v243, v243, v235, vcc_lo
	v_dual_cndmask_b32 v241, v241, v233 :: v_dual_cndmask_b32 v240, v240, v232
	v_cndmask_b32_e32 v242, v242, v234, vcc_lo
	v_cndmask_b32_e64 v248, v248, s6, vcc_lo
	s_add_i32 s6, s6, 1
	s_delay_alu instid0(SALU_CYCLE_1)
	s_cmp_lg_u32 s12, s6
	s_cbranch_scc1 .LBB118_421
.LBB118_422:
	s_set_inst_prefetch_distance 0x2
	s_waitcnt lgkmcnt(0)
	v_cmp_eq_f64_e32 vcc_lo, 0, v[240:241]
	v_cmp_eq_f64_e64 s2, 0, v[242:243]
	s_delay_alu instid0(VALU_DEP_1) | instskip(NEXT) | instid1(SALU_CYCLE_1)
	s_and_b32 s2, vcc_lo, s2
	s_and_saveexec_b32 s3, s2
	s_delay_alu instid0(SALU_CYCLE_1)
	s_xor_b32 s2, exec_lo, s3
; %bb.423:
	v_cmp_ne_u32_e32 vcc_lo, 0, v253
	v_cndmask_b32_e32 v253, 21, v253, vcc_lo
; %bb.424:
	s_and_not1_saveexec_b32 s3, s2
	s_cbranch_execz .LBB118_430
; %bb.425:
	v_cmp_gt_f64_e32 vcc_lo, 0, v[240:241]
	v_cmp_gt_f64_e64 s2, 0, v[242:243]
	v_xor_b32_e32 v212, 0x80000000, v241
	v_xor_b32_e32 v214, 0x80000000, v243
	s_delay_alu instid0(VALU_DEP_2) | instskip(NEXT) | instid1(VALU_DEP_2)
	v_cndmask_b32_e32 v213, v241, v212, vcc_lo
	v_cndmask_b32_e64 v215, v243, v214, s2
	v_cndmask_b32_e32 v212, v240, v240, vcc_lo
	v_cndmask_b32_e64 v214, v242, v242, s2
	s_mov_b32 s2, exec_lo
	s_delay_alu instid0(VALU_DEP_1)
	v_cmpx_ngt_f64_e32 v[212:213], v[214:215]
	s_xor_b32 s2, exec_lo, s2
	s_cbranch_execz .LBB118_427
; %bb.426:
	v_div_scale_f64 v[212:213], null, v[242:243], v[242:243], v[240:241]
	v_div_scale_f64 v[218:219], vcc_lo, v[240:241], v[242:243], v[240:241]
	s_delay_alu instid0(VALU_DEP_2) | instskip(SKIP_2) | instid1(VALU_DEP_1)
	v_rcp_f64_e32 v[214:215], v[212:213]
	s_waitcnt_depctr 0xfff
	v_fma_f64 v[216:217], -v[212:213], v[214:215], 1.0
	v_fma_f64 v[214:215], v[214:215], v[216:217], v[214:215]
	s_delay_alu instid0(VALU_DEP_1) | instskip(NEXT) | instid1(VALU_DEP_1)
	v_fma_f64 v[216:217], -v[212:213], v[214:215], 1.0
	v_fma_f64 v[214:215], v[214:215], v[216:217], v[214:215]
	s_delay_alu instid0(VALU_DEP_1) | instskip(NEXT) | instid1(VALU_DEP_1)
	v_mul_f64 v[216:217], v[218:219], v[214:215]
	v_fma_f64 v[212:213], -v[212:213], v[216:217], v[218:219]
	s_delay_alu instid0(VALU_DEP_1) | instskip(NEXT) | instid1(VALU_DEP_1)
	v_div_fmas_f64 v[212:213], v[212:213], v[214:215], v[216:217]
	v_div_fixup_f64 v[212:213], v[212:213], v[242:243], v[240:241]
	s_delay_alu instid0(VALU_DEP_1) | instskip(NEXT) | instid1(VALU_DEP_1)
	v_fma_f64 v[214:215], v[240:241], v[212:213], v[242:243]
	v_div_scale_f64 v[216:217], null, v[214:215], v[214:215], 1.0
	s_delay_alu instid0(VALU_DEP_1) | instskip(SKIP_2) | instid1(VALU_DEP_1)
	v_rcp_f64_e32 v[218:219], v[216:217]
	s_waitcnt_depctr 0xfff
	v_fma_f64 v[220:221], -v[216:217], v[218:219], 1.0
	v_fma_f64 v[218:219], v[218:219], v[220:221], v[218:219]
	s_delay_alu instid0(VALU_DEP_1) | instskip(NEXT) | instid1(VALU_DEP_1)
	v_fma_f64 v[220:221], -v[216:217], v[218:219], 1.0
	v_fma_f64 v[218:219], v[218:219], v[220:221], v[218:219]
	v_div_scale_f64 v[220:221], vcc_lo, 1.0, v[214:215], 1.0
	s_delay_alu instid0(VALU_DEP_1) | instskip(NEXT) | instid1(VALU_DEP_1)
	v_mul_f64 v[222:223], v[220:221], v[218:219]
	v_fma_f64 v[216:217], -v[216:217], v[222:223], v[220:221]
	s_delay_alu instid0(VALU_DEP_1) | instskip(NEXT) | instid1(VALU_DEP_1)
	v_div_fmas_f64 v[216:217], v[216:217], v[218:219], v[222:223]
	v_div_fixup_f64 v[242:243], v[216:217], v[214:215], 1.0
	s_delay_alu instid0(VALU_DEP_1)
	v_mul_f64 v[240:241], v[212:213], v[242:243]
	v_xor_b32_e32 v243, 0x80000000, v243
.LBB118_427:
	s_and_not1_saveexec_b32 s2, s2
	s_cbranch_execz .LBB118_429
; %bb.428:
	s_delay_alu instid0(VALU_DEP_1) | instskip(SKIP_1) | instid1(VALU_DEP_2)
	v_div_scale_f64 v[212:213], null, v[240:241], v[240:241], v[242:243]
	v_div_scale_f64 v[218:219], vcc_lo, v[242:243], v[240:241], v[242:243]
	v_rcp_f64_e32 v[214:215], v[212:213]
	s_waitcnt_depctr 0xfff
	v_fma_f64 v[216:217], -v[212:213], v[214:215], 1.0
	s_delay_alu instid0(VALU_DEP_1) | instskip(NEXT) | instid1(VALU_DEP_1)
	v_fma_f64 v[214:215], v[214:215], v[216:217], v[214:215]
	v_fma_f64 v[216:217], -v[212:213], v[214:215], 1.0
	s_delay_alu instid0(VALU_DEP_1) | instskip(NEXT) | instid1(VALU_DEP_1)
	v_fma_f64 v[214:215], v[214:215], v[216:217], v[214:215]
	v_mul_f64 v[216:217], v[218:219], v[214:215]
	s_delay_alu instid0(VALU_DEP_1) | instskip(NEXT) | instid1(VALU_DEP_1)
	v_fma_f64 v[212:213], -v[212:213], v[216:217], v[218:219]
	v_div_fmas_f64 v[212:213], v[212:213], v[214:215], v[216:217]
	s_delay_alu instid0(VALU_DEP_1) | instskip(NEXT) | instid1(VALU_DEP_1)
	v_div_fixup_f64 v[212:213], v[212:213], v[240:241], v[242:243]
	v_fma_f64 v[214:215], v[242:243], v[212:213], v[240:241]
	s_delay_alu instid0(VALU_DEP_1) | instskip(NEXT) | instid1(VALU_DEP_1)
	v_div_scale_f64 v[216:217], null, v[214:215], v[214:215], 1.0
	v_rcp_f64_e32 v[218:219], v[216:217]
	s_waitcnt_depctr 0xfff
	v_fma_f64 v[220:221], -v[216:217], v[218:219], 1.0
	s_delay_alu instid0(VALU_DEP_1) | instskip(NEXT) | instid1(VALU_DEP_1)
	v_fma_f64 v[218:219], v[218:219], v[220:221], v[218:219]
	v_fma_f64 v[220:221], -v[216:217], v[218:219], 1.0
	s_delay_alu instid0(VALU_DEP_1) | instskip(SKIP_1) | instid1(VALU_DEP_1)
	v_fma_f64 v[218:219], v[218:219], v[220:221], v[218:219]
	v_div_scale_f64 v[220:221], vcc_lo, 1.0, v[214:215], 1.0
	v_mul_f64 v[222:223], v[220:221], v[218:219]
	s_delay_alu instid0(VALU_DEP_1) | instskip(NEXT) | instid1(VALU_DEP_1)
	v_fma_f64 v[216:217], -v[216:217], v[222:223], v[220:221]
	v_div_fmas_f64 v[216:217], v[216:217], v[218:219], v[222:223]
	s_delay_alu instid0(VALU_DEP_1) | instskip(NEXT) | instid1(VALU_DEP_1)
	v_div_fixup_f64 v[240:241], v[216:217], v[214:215], 1.0
	v_mul_f64 v[242:243], v[212:213], -v[240:241]
.LBB118_429:
	s_or_b32 exec_lo, exec_lo, s2
.LBB118_430:
	s_delay_alu instid0(SALU_CYCLE_1) | instskip(NEXT) | instid1(SALU_CYCLE_1)
	s_or_b32 exec_lo, exec_lo, s3
	s_mov_b32 s2, exec_lo
	v_cmpx_ne_u32_e64 v255, v248
	s_xor_b32 s2, exec_lo, s2
	s_cbranch_execz .LBB118_436
; %bb.431:
	s_mov_b32 s3, exec_lo
	v_cmpx_eq_u32_e32 20, v255
	s_cbranch_execz .LBB118_435
; %bb.432:
	v_cmp_ne_u32_e32 vcc_lo, 20, v248
	s_xor_b32 s4, s5, -1
	s_delay_alu instid0(SALU_CYCLE_1) | instskip(NEXT) | instid1(SALU_CYCLE_1)
	s_and_b32 s6, s4, vcc_lo
	s_and_saveexec_b32 s4, s6
	s_cbranch_execz .LBB118_434
; %bb.433:
	scratch_load_b64 v[208:209], off, off offset:16 ; 8-byte Folded Reload
	v_ashrrev_i32_e32 v249, 31, v248
	s_delay_alu instid0(VALU_DEP_1) | instskip(SKIP_1) | instid1(VALU_DEP_1)
	v_lshlrev_b64 v[212:213], 2, v[248:249]
	s_waitcnt vmcnt(0)
	v_add_co_u32 v212, vcc_lo, v208, v212
	s_delay_alu instid0(VALU_DEP_2)
	v_add_co_ci_u32_e32 v213, vcc_lo, v209, v213, vcc_lo
	s_clause 0x1
	flat_load_b32 v214, v[212:213]
	flat_load_b32 v215, v[208:209] offset:80
	s_waitcnt vmcnt(1) lgkmcnt(1)
	flat_store_b32 v[208:209], v214 offset:80
	s_waitcnt vmcnt(0) lgkmcnt(1)
	flat_store_b32 v[212:213], v215
.LBB118_434:
	s_or_b32 exec_lo, exec_lo, s4
	v_mov_b32_e32 v255, v248
	v_mov_b32_e32 v244, v248
.LBB118_435:
	s_or_b32 exec_lo, exec_lo, s3
.LBB118_436:
	s_and_not1_saveexec_b32 s2, s2
	s_cbranch_execz .LBB118_438
; %bb.437:
	v_mov_b32_e32 v255, 20
	ds_store_2addr_b64 v250, v[152:153], v[154:155] offset0:42 offset1:43
	ds_store_2addr_b64 v250, v[148:149], v[150:151] offset0:44 offset1:45
	;; [unrolled: 1-line block ×39, first 2 shown]
.LBB118_438:
	s_or_b32 exec_lo, exec_lo, s2
	s_delay_alu instid0(SALU_CYCLE_1)
	s_mov_b32 s2, exec_lo
	s_waitcnt lgkmcnt(0)
	s_waitcnt_vscnt null, 0x0
	s_barrier
	buffer_gl0_inv
	v_cmpx_lt_i32_e32 20, v255
	s_cbranch_execz .LBB118_440
; %bb.439:
	v_mul_f64 v[212:213], v[242:243], v[158:159]
	v_mul_f64 v[158:159], v[240:241], v[158:159]
	ds_load_2addr_b64 v[232:235], v250 offset0:42 offset1:43
	v_fma_f64 v[248:249], v[240:241], v[156:157], -v[212:213]
	v_fma_f64 v[158:159], v[242:243], v[156:157], v[158:159]
	s_waitcnt lgkmcnt(0)
	s_delay_alu instid0(VALU_DEP_1) | instskip(SKIP_1) | instid1(VALU_DEP_2)
	v_mul_f64 v[156:157], v[234:235], v[158:159]
	v_mul_f64 v[212:213], v[232:233], v[158:159]
	v_fma_f64 v[156:157], v[232:233], v[248:249], -v[156:157]
	s_delay_alu instid0(VALU_DEP_2)
	v_fma_f64 v[212:213], v[234:235], v[248:249], v[212:213]
	ds_load_2addr_b64 v[232:235], v250 offset0:44 offset1:45
	v_add_f64 v[152:153], v[152:153], -v[156:157]
	v_add_f64 v[154:155], v[154:155], -v[212:213]
	s_waitcnt lgkmcnt(0)
	v_mul_f64 v[156:157], v[234:235], v[158:159]
	v_mul_f64 v[212:213], v[232:233], v[158:159]
	s_delay_alu instid0(VALU_DEP_2) | instskip(NEXT) | instid1(VALU_DEP_2)
	v_fma_f64 v[156:157], v[232:233], v[248:249], -v[156:157]
	v_fma_f64 v[212:213], v[234:235], v[248:249], v[212:213]
	ds_load_2addr_b64 v[232:235], v250 offset0:46 offset1:47
	v_add_f64 v[148:149], v[148:149], -v[156:157]
	v_add_f64 v[150:151], v[150:151], -v[212:213]
	s_waitcnt lgkmcnt(0)
	v_mul_f64 v[156:157], v[234:235], v[158:159]
	v_mul_f64 v[212:213], v[232:233], v[158:159]
	s_delay_alu instid0(VALU_DEP_2) | instskip(NEXT) | instid1(VALU_DEP_2)
	v_fma_f64 v[156:157], v[232:233], v[248:249], -v[156:157]
	;; [unrolled: 9-line block ×38, first 2 shown]
	v_fma_f64 v[212:213], v[234:235], v[248:249], v[212:213]
	s_delay_alu instid0(VALU_DEP_2) | instskip(NEXT) | instid1(VALU_DEP_2)
	v_add_f64 v[228:229], v[228:229], -v[156:157]
	v_add_f64 v[230:231], v[230:231], -v[212:213]
	v_dual_mov_b32 v156, v248 :: v_dual_mov_b32 v157, v249
.LBB118_440:
	s_or_b32 exec_lo, exec_lo, s2
	v_lshl_add_u32 v212, v255, 4, v250
	s_barrier
	buffer_gl0_inv
	v_mov_b32_e32 v248, 21
	ds_store_2addr_b64 v212, v[152:153], v[154:155] offset1:1
	s_waitcnt lgkmcnt(0)
	s_barrier
	buffer_gl0_inv
	ds_load_2addr_b64 v[240:243], v250 offset0:42 offset1:43
	s_cmp_lt_i32 s12, 23
	s_cbranch_scc1 .LBB118_443
; %bb.441:
	v_add3_u32 v245, v254, 0, 0x160
	v_mov_b32_e32 v248, 21
	s_mov_b32 s6, 22
	s_set_inst_prefetch_distance 0x1
	.p2align	6
.LBB118_442:                            ; =>This Inner Loop Header: Depth=1
	ds_load_2addr_b64 v[232:235], v245 offset1:1
	s_waitcnt lgkmcnt(1)
	v_cmp_gt_f64_e32 vcc_lo, 0, v[240:241]
	v_cmp_gt_f64_e64 s2, 0, v[242:243]
	v_xor_b32_e32 v213, 0x80000000, v241
	v_xor_b32_e32 v217, 0x80000000, v243
	v_add_nc_u32_e32 v245, 16, v245
	s_waitcnt lgkmcnt(0)
	v_cmp_gt_f64_e64 s3, 0, v[232:233]
	v_cmp_gt_f64_e64 s4, 0, v[234:235]
	v_xor_b32_e32 v219, 0x80000000, v233
	v_xor_b32_e32 v220, 0x80000000, v235
	v_mov_b32_e32 v214, v234
	v_mov_b32_e32 v212, v232
	v_dual_cndmask_b32 v216, v241, v213 :: v_dual_cndmask_b32 v215, v240, v240
	v_cndmask_b32_e64 v218, v243, v217, s2
	v_cndmask_b32_e64 v217, v242, v242, s2
	s_delay_alu instid0(VALU_DEP_1) | instskip(SKIP_2) | instid1(VALU_DEP_1)
	v_add_f64 v[216:217], v[215:216], v[217:218]
	v_cndmask_b32_e64 v213, v233, v219, s3
	v_cndmask_b32_e64 v215, v235, v220, s4
	v_add_f64 v[212:213], v[212:213], v[214:215]
	s_delay_alu instid0(VALU_DEP_1)
	v_cmp_lt_f64_e32 vcc_lo, v[216:217], v[212:213]
	v_cndmask_b32_e32 v243, v243, v235, vcc_lo
	v_dual_cndmask_b32 v241, v241, v233 :: v_dual_cndmask_b32 v240, v240, v232
	v_cndmask_b32_e32 v242, v242, v234, vcc_lo
	v_cndmask_b32_e64 v248, v248, s6, vcc_lo
	s_add_i32 s6, s6, 1
	s_delay_alu instid0(SALU_CYCLE_1)
	s_cmp_lg_u32 s12, s6
	s_cbranch_scc1 .LBB118_442
.LBB118_443:
	s_set_inst_prefetch_distance 0x2
	s_waitcnt lgkmcnt(0)
	v_cmp_eq_f64_e32 vcc_lo, 0, v[240:241]
	v_cmp_eq_f64_e64 s2, 0, v[242:243]
	s_delay_alu instid0(VALU_DEP_1) | instskip(NEXT) | instid1(SALU_CYCLE_1)
	s_and_b32 s2, vcc_lo, s2
	s_and_saveexec_b32 s3, s2
	s_delay_alu instid0(SALU_CYCLE_1)
	s_xor_b32 s2, exec_lo, s3
; %bb.444:
	v_cmp_ne_u32_e32 vcc_lo, 0, v253
	v_cndmask_b32_e32 v253, 22, v253, vcc_lo
; %bb.445:
	s_and_not1_saveexec_b32 s3, s2
	s_cbranch_execz .LBB118_451
; %bb.446:
	v_cmp_gt_f64_e32 vcc_lo, 0, v[240:241]
	v_cmp_gt_f64_e64 s2, 0, v[242:243]
	v_xor_b32_e32 v212, 0x80000000, v241
	v_xor_b32_e32 v214, 0x80000000, v243
	s_delay_alu instid0(VALU_DEP_2) | instskip(NEXT) | instid1(VALU_DEP_2)
	v_cndmask_b32_e32 v213, v241, v212, vcc_lo
	v_cndmask_b32_e64 v215, v243, v214, s2
	v_cndmask_b32_e32 v212, v240, v240, vcc_lo
	v_cndmask_b32_e64 v214, v242, v242, s2
	s_mov_b32 s2, exec_lo
	s_delay_alu instid0(VALU_DEP_1)
	v_cmpx_ngt_f64_e32 v[212:213], v[214:215]
	s_xor_b32 s2, exec_lo, s2
	s_cbranch_execz .LBB118_448
; %bb.447:
	v_div_scale_f64 v[212:213], null, v[242:243], v[242:243], v[240:241]
	v_div_scale_f64 v[218:219], vcc_lo, v[240:241], v[242:243], v[240:241]
	s_delay_alu instid0(VALU_DEP_2) | instskip(SKIP_2) | instid1(VALU_DEP_1)
	v_rcp_f64_e32 v[214:215], v[212:213]
	s_waitcnt_depctr 0xfff
	v_fma_f64 v[216:217], -v[212:213], v[214:215], 1.0
	v_fma_f64 v[214:215], v[214:215], v[216:217], v[214:215]
	s_delay_alu instid0(VALU_DEP_1) | instskip(NEXT) | instid1(VALU_DEP_1)
	v_fma_f64 v[216:217], -v[212:213], v[214:215], 1.0
	v_fma_f64 v[214:215], v[214:215], v[216:217], v[214:215]
	s_delay_alu instid0(VALU_DEP_1) | instskip(NEXT) | instid1(VALU_DEP_1)
	v_mul_f64 v[216:217], v[218:219], v[214:215]
	v_fma_f64 v[212:213], -v[212:213], v[216:217], v[218:219]
	s_delay_alu instid0(VALU_DEP_1) | instskip(NEXT) | instid1(VALU_DEP_1)
	v_div_fmas_f64 v[212:213], v[212:213], v[214:215], v[216:217]
	v_div_fixup_f64 v[212:213], v[212:213], v[242:243], v[240:241]
	s_delay_alu instid0(VALU_DEP_1) | instskip(NEXT) | instid1(VALU_DEP_1)
	v_fma_f64 v[214:215], v[240:241], v[212:213], v[242:243]
	v_div_scale_f64 v[216:217], null, v[214:215], v[214:215], 1.0
	s_delay_alu instid0(VALU_DEP_1) | instskip(SKIP_2) | instid1(VALU_DEP_1)
	v_rcp_f64_e32 v[218:219], v[216:217]
	s_waitcnt_depctr 0xfff
	v_fma_f64 v[220:221], -v[216:217], v[218:219], 1.0
	v_fma_f64 v[218:219], v[218:219], v[220:221], v[218:219]
	s_delay_alu instid0(VALU_DEP_1) | instskip(NEXT) | instid1(VALU_DEP_1)
	v_fma_f64 v[220:221], -v[216:217], v[218:219], 1.0
	v_fma_f64 v[218:219], v[218:219], v[220:221], v[218:219]
	v_div_scale_f64 v[220:221], vcc_lo, 1.0, v[214:215], 1.0
	s_delay_alu instid0(VALU_DEP_1) | instskip(NEXT) | instid1(VALU_DEP_1)
	v_mul_f64 v[222:223], v[220:221], v[218:219]
	v_fma_f64 v[216:217], -v[216:217], v[222:223], v[220:221]
	s_delay_alu instid0(VALU_DEP_1) | instskip(NEXT) | instid1(VALU_DEP_1)
	v_div_fmas_f64 v[216:217], v[216:217], v[218:219], v[222:223]
	v_div_fixup_f64 v[242:243], v[216:217], v[214:215], 1.0
	s_delay_alu instid0(VALU_DEP_1)
	v_mul_f64 v[240:241], v[212:213], v[242:243]
	v_xor_b32_e32 v243, 0x80000000, v243
.LBB118_448:
	s_and_not1_saveexec_b32 s2, s2
	s_cbranch_execz .LBB118_450
; %bb.449:
	s_delay_alu instid0(VALU_DEP_1) | instskip(SKIP_1) | instid1(VALU_DEP_2)
	v_div_scale_f64 v[212:213], null, v[240:241], v[240:241], v[242:243]
	v_div_scale_f64 v[218:219], vcc_lo, v[242:243], v[240:241], v[242:243]
	v_rcp_f64_e32 v[214:215], v[212:213]
	s_waitcnt_depctr 0xfff
	v_fma_f64 v[216:217], -v[212:213], v[214:215], 1.0
	s_delay_alu instid0(VALU_DEP_1) | instskip(NEXT) | instid1(VALU_DEP_1)
	v_fma_f64 v[214:215], v[214:215], v[216:217], v[214:215]
	v_fma_f64 v[216:217], -v[212:213], v[214:215], 1.0
	s_delay_alu instid0(VALU_DEP_1) | instskip(NEXT) | instid1(VALU_DEP_1)
	v_fma_f64 v[214:215], v[214:215], v[216:217], v[214:215]
	v_mul_f64 v[216:217], v[218:219], v[214:215]
	s_delay_alu instid0(VALU_DEP_1) | instskip(NEXT) | instid1(VALU_DEP_1)
	v_fma_f64 v[212:213], -v[212:213], v[216:217], v[218:219]
	v_div_fmas_f64 v[212:213], v[212:213], v[214:215], v[216:217]
	s_delay_alu instid0(VALU_DEP_1) | instskip(NEXT) | instid1(VALU_DEP_1)
	v_div_fixup_f64 v[212:213], v[212:213], v[240:241], v[242:243]
	v_fma_f64 v[214:215], v[242:243], v[212:213], v[240:241]
	s_delay_alu instid0(VALU_DEP_1) | instskip(NEXT) | instid1(VALU_DEP_1)
	v_div_scale_f64 v[216:217], null, v[214:215], v[214:215], 1.0
	v_rcp_f64_e32 v[218:219], v[216:217]
	s_waitcnt_depctr 0xfff
	v_fma_f64 v[220:221], -v[216:217], v[218:219], 1.0
	s_delay_alu instid0(VALU_DEP_1) | instskip(NEXT) | instid1(VALU_DEP_1)
	v_fma_f64 v[218:219], v[218:219], v[220:221], v[218:219]
	v_fma_f64 v[220:221], -v[216:217], v[218:219], 1.0
	s_delay_alu instid0(VALU_DEP_1) | instskip(SKIP_1) | instid1(VALU_DEP_1)
	v_fma_f64 v[218:219], v[218:219], v[220:221], v[218:219]
	v_div_scale_f64 v[220:221], vcc_lo, 1.0, v[214:215], 1.0
	v_mul_f64 v[222:223], v[220:221], v[218:219]
	s_delay_alu instid0(VALU_DEP_1) | instskip(NEXT) | instid1(VALU_DEP_1)
	v_fma_f64 v[216:217], -v[216:217], v[222:223], v[220:221]
	v_div_fmas_f64 v[216:217], v[216:217], v[218:219], v[222:223]
	s_delay_alu instid0(VALU_DEP_1) | instskip(NEXT) | instid1(VALU_DEP_1)
	v_div_fixup_f64 v[240:241], v[216:217], v[214:215], 1.0
	v_mul_f64 v[242:243], v[212:213], -v[240:241]
.LBB118_450:
	s_or_b32 exec_lo, exec_lo, s2
.LBB118_451:
	s_delay_alu instid0(SALU_CYCLE_1) | instskip(NEXT) | instid1(SALU_CYCLE_1)
	s_or_b32 exec_lo, exec_lo, s3
	s_mov_b32 s2, exec_lo
	v_cmpx_ne_u32_e64 v255, v248
	s_xor_b32 s2, exec_lo, s2
	s_cbranch_execz .LBB118_457
; %bb.452:
	s_mov_b32 s3, exec_lo
	v_cmpx_eq_u32_e32 21, v255
	s_cbranch_execz .LBB118_456
; %bb.453:
	v_cmp_ne_u32_e32 vcc_lo, 21, v248
	s_xor_b32 s4, s5, -1
	s_delay_alu instid0(SALU_CYCLE_1) | instskip(NEXT) | instid1(SALU_CYCLE_1)
	s_and_b32 s6, s4, vcc_lo
	s_and_saveexec_b32 s4, s6
	s_cbranch_execz .LBB118_455
; %bb.454:
	scratch_load_b64 v[208:209], off, off offset:16 ; 8-byte Folded Reload
	v_ashrrev_i32_e32 v249, 31, v248
	s_delay_alu instid0(VALU_DEP_1) | instskip(SKIP_1) | instid1(VALU_DEP_1)
	v_lshlrev_b64 v[212:213], 2, v[248:249]
	s_waitcnt vmcnt(0)
	v_add_co_u32 v212, vcc_lo, v208, v212
	s_delay_alu instid0(VALU_DEP_2)
	v_add_co_ci_u32_e32 v213, vcc_lo, v209, v213, vcc_lo
	s_clause 0x1
	flat_load_b32 v214, v[212:213]
	flat_load_b32 v215, v[208:209] offset:84
	s_waitcnt vmcnt(1) lgkmcnt(1)
	flat_store_b32 v[208:209], v214 offset:84
	s_waitcnt vmcnt(0) lgkmcnt(1)
	flat_store_b32 v[212:213], v215
.LBB118_455:
	s_or_b32 exec_lo, exec_lo, s4
	v_mov_b32_e32 v255, v248
	v_mov_b32_e32 v244, v248
.LBB118_456:
	s_or_b32 exec_lo, exec_lo, s3
.LBB118_457:
	s_and_not1_saveexec_b32 s2, s2
	s_cbranch_execz .LBB118_459
; %bb.458:
	v_mov_b32_e32 v255, 21
	ds_store_2addr_b64 v250, v[148:149], v[150:151] offset0:44 offset1:45
	ds_store_2addr_b64 v250, v[144:145], v[146:147] offset0:46 offset1:47
	ds_store_2addr_b64 v250, v[140:141], v[142:143] offset0:48 offset1:49
	ds_store_2addr_b64 v250, v[136:137], v[138:139] offset0:50 offset1:51
	ds_store_2addr_b64 v250, v[132:133], v[134:135] offset0:52 offset1:53
	ds_store_2addr_b64 v250, v[128:129], v[130:131] offset0:54 offset1:55
	ds_store_2addr_b64 v250, v[124:125], v[126:127] offset0:56 offset1:57
	ds_store_2addr_b64 v250, v[120:121], v[122:123] offset0:58 offset1:59
	ds_store_2addr_b64 v250, v[116:117], v[118:119] offset0:60 offset1:61
	ds_store_2addr_b64 v250, v[112:113], v[114:115] offset0:62 offset1:63
	ds_store_2addr_b64 v250, v[108:109], v[110:111] offset0:64 offset1:65
	ds_store_2addr_b64 v250, v[104:105], v[106:107] offset0:66 offset1:67
	ds_store_2addr_b64 v250, v[100:101], v[102:103] offset0:68 offset1:69
	ds_store_2addr_b64 v250, v[96:97], v[98:99] offset0:70 offset1:71
	ds_store_2addr_b64 v250, v[92:93], v[94:95] offset0:72 offset1:73
	ds_store_2addr_b64 v250, v[88:89], v[90:91] offset0:74 offset1:75
	ds_store_2addr_b64 v250, v[84:85], v[86:87] offset0:76 offset1:77
	ds_store_2addr_b64 v250, v[80:81], v[82:83] offset0:78 offset1:79
	ds_store_2addr_b64 v250, v[76:77], v[78:79] offset0:80 offset1:81
	ds_store_2addr_b64 v250, v[72:73], v[74:75] offset0:82 offset1:83
	ds_store_2addr_b64 v250, v[68:69], v[70:71] offset0:84 offset1:85
	ds_store_2addr_b64 v250, v[64:65], v[66:67] offset0:86 offset1:87
	ds_store_2addr_b64 v250, v[60:61], v[62:63] offset0:88 offset1:89
	ds_store_2addr_b64 v250, v[56:57], v[58:59] offset0:90 offset1:91
	ds_store_2addr_b64 v250, v[52:53], v[54:55] offset0:92 offset1:93
	ds_store_2addr_b64 v250, v[48:49], v[50:51] offset0:94 offset1:95
	ds_store_2addr_b64 v250, v[44:45], v[46:47] offset0:96 offset1:97
	ds_store_2addr_b64 v250, v[40:41], v[42:43] offset0:98 offset1:99
	ds_store_2addr_b64 v250, v[36:37], v[38:39] offset0:100 offset1:101
	ds_store_2addr_b64 v250, v[32:33], v[34:35] offset0:102 offset1:103
	ds_store_2addr_b64 v250, v[28:29], v[30:31] offset0:104 offset1:105
	ds_store_2addr_b64 v250, v[24:25], v[26:27] offset0:106 offset1:107
	ds_store_2addr_b64 v250, v[20:21], v[22:23] offset0:108 offset1:109
	ds_store_2addr_b64 v250, v[16:17], v[18:19] offset0:110 offset1:111
	ds_store_2addr_b64 v250, v[12:13], v[14:15] offset0:112 offset1:113
	ds_store_2addr_b64 v250, v[236:237], v[238:239] offset0:114 offset1:115
	ds_store_2addr_b64 v250, v[224:225], v[226:227] offset0:116 offset1:117
	ds_store_2addr_b64 v250, v[228:229], v[230:231] offset0:118 offset1:119
.LBB118_459:
	s_or_b32 exec_lo, exec_lo, s2
	s_delay_alu instid0(SALU_CYCLE_1)
	s_mov_b32 s2, exec_lo
	s_waitcnt lgkmcnt(0)
	s_waitcnt_vscnt null, 0x0
	s_barrier
	buffer_gl0_inv
	v_cmpx_lt_i32_e32 21, v255
	s_cbranch_execz .LBB118_461
; %bb.460:
	v_mul_f64 v[212:213], v[242:243], v[154:155]
	v_mul_f64 v[154:155], v[240:241], v[154:155]
	ds_load_2addr_b64 v[232:235], v250 offset0:44 offset1:45
	v_fma_f64 v[248:249], v[240:241], v[152:153], -v[212:213]
	v_fma_f64 v[154:155], v[242:243], v[152:153], v[154:155]
	s_waitcnt lgkmcnt(0)
	s_delay_alu instid0(VALU_DEP_1) | instskip(SKIP_1) | instid1(VALU_DEP_2)
	v_mul_f64 v[152:153], v[234:235], v[154:155]
	v_mul_f64 v[212:213], v[232:233], v[154:155]
	v_fma_f64 v[152:153], v[232:233], v[248:249], -v[152:153]
	s_delay_alu instid0(VALU_DEP_2)
	v_fma_f64 v[212:213], v[234:235], v[248:249], v[212:213]
	ds_load_2addr_b64 v[232:235], v250 offset0:46 offset1:47
	v_add_f64 v[148:149], v[148:149], -v[152:153]
	v_add_f64 v[150:151], v[150:151], -v[212:213]
	s_waitcnt lgkmcnt(0)
	v_mul_f64 v[152:153], v[234:235], v[154:155]
	v_mul_f64 v[212:213], v[232:233], v[154:155]
	s_delay_alu instid0(VALU_DEP_2) | instskip(NEXT) | instid1(VALU_DEP_2)
	v_fma_f64 v[152:153], v[232:233], v[248:249], -v[152:153]
	v_fma_f64 v[212:213], v[234:235], v[248:249], v[212:213]
	ds_load_2addr_b64 v[232:235], v250 offset0:48 offset1:49
	v_add_f64 v[144:145], v[144:145], -v[152:153]
	v_add_f64 v[146:147], v[146:147], -v[212:213]
	s_waitcnt lgkmcnt(0)
	v_mul_f64 v[152:153], v[234:235], v[154:155]
	v_mul_f64 v[212:213], v[232:233], v[154:155]
	s_delay_alu instid0(VALU_DEP_2) | instskip(NEXT) | instid1(VALU_DEP_2)
	v_fma_f64 v[152:153], v[232:233], v[248:249], -v[152:153]
	;; [unrolled: 9-line block ×37, first 2 shown]
	v_fma_f64 v[212:213], v[234:235], v[248:249], v[212:213]
	s_delay_alu instid0(VALU_DEP_2) | instskip(NEXT) | instid1(VALU_DEP_2)
	v_add_f64 v[228:229], v[228:229], -v[152:153]
	v_add_f64 v[230:231], v[230:231], -v[212:213]
	v_dual_mov_b32 v152, v248 :: v_dual_mov_b32 v153, v249
.LBB118_461:
	s_or_b32 exec_lo, exec_lo, s2
	v_lshl_add_u32 v212, v255, 4, v250
	s_barrier
	buffer_gl0_inv
	v_mov_b32_e32 v248, 22
	ds_store_2addr_b64 v212, v[148:149], v[150:151] offset1:1
	s_waitcnt lgkmcnt(0)
	s_barrier
	buffer_gl0_inv
	ds_load_2addr_b64 v[240:243], v250 offset0:44 offset1:45
	s_cmp_lt_i32 s12, 24
	s_cbranch_scc1 .LBB118_464
; %bb.462:
	v_add3_u32 v245, v254, 0, 0x170
	v_mov_b32_e32 v248, 22
	s_mov_b32 s6, 23
	s_set_inst_prefetch_distance 0x1
	.p2align	6
.LBB118_463:                            ; =>This Inner Loop Header: Depth=1
	ds_load_2addr_b64 v[232:235], v245 offset1:1
	s_waitcnt lgkmcnt(1)
	v_cmp_gt_f64_e32 vcc_lo, 0, v[240:241]
	v_cmp_gt_f64_e64 s2, 0, v[242:243]
	v_xor_b32_e32 v213, 0x80000000, v241
	v_xor_b32_e32 v217, 0x80000000, v243
	v_add_nc_u32_e32 v245, 16, v245
	s_waitcnt lgkmcnt(0)
	v_cmp_gt_f64_e64 s3, 0, v[232:233]
	v_cmp_gt_f64_e64 s4, 0, v[234:235]
	v_xor_b32_e32 v219, 0x80000000, v233
	v_xor_b32_e32 v220, 0x80000000, v235
	v_mov_b32_e32 v214, v234
	v_mov_b32_e32 v212, v232
	v_dual_cndmask_b32 v216, v241, v213 :: v_dual_cndmask_b32 v215, v240, v240
	v_cndmask_b32_e64 v218, v243, v217, s2
	v_cndmask_b32_e64 v217, v242, v242, s2
	s_delay_alu instid0(VALU_DEP_1) | instskip(SKIP_2) | instid1(VALU_DEP_1)
	v_add_f64 v[216:217], v[215:216], v[217:218]
	v_cndmask_b32_e64 v213, v233, v219, s3
	v_cndmask_b32_e64 v215, v235, v220, s4
	v_add_f64 v[212:213], v[212:213], v[214:215]
	s_delay_alu instid0(VALU_DEP_1)
	v_cmp_lt_f64_e32 vcc_lo, v[216:217], v[212:213]
	v_cndmask_b32_e32 v243, v243, v235, vcc_lo
	v_dual_cndmask_b32 v241, v241, v233 :: v_dual_cndmask_b32 v240, v240, v232
	v_cndmask_b32_e32 v242, v242, v234, vcc_lo
	v_cndmask_b32_e64 v248, v248, s6, vcc_lo
	s_add_i32 s6, s6, 1
	s_delay_alu instid0(SALU_CYCLE_1)
	s_cmp_lg_u32 s12, s6
	s_cbranch_scc1 .LBB118_463
.LBB118_464:
	s_set_inst_prefetch_distance 0x2
	s_waitcnt lgkmcnt(0)
	v_cmp_eq_f64_e32 vcc_lo, 0, v[240:241]
	v_cmp_eq_f64_e64 s2, 0, v[242:243]
	s_delay_alu instid0(VALU_DEP_1) | instskip(NEXT) | instid1(SALU_CYCLE_1)
	s_and_b32 s2, vcc_lo, s2
	s_and_saveexec_b32 s3, s2
	s_delay_alu instid0(SALU_CYCLE_1)
	s_xor_b32 s2, exec_lo, s3
; %bb.465:
	v_cmp_ne_u32_e32 vcc_lo, 0, v253
	v_cndmask_b32_e32 v253, 23, v253, vcc_lo
; %bb.466:
	s_and_not1_saveexec_b32 s3, s2
	s_cbranch_execz .LBB118_472
; %bb.467:
	v_cmp_gt_f64_e32 vcc_lo, 0, v[240:241]
	v_cmp_gt_f64_e64 s2, 0, v[242:243]
	v_xor_b32_e32 v212, 0x80000000, v241
	v_xor_b32_e32 v214, 0x80000000, v243
	s_delay_alu instid0(VALU_DEP_2) | instskip(NEXT) | instid1(VALU_DEP_2)
	v_cndmask_b32_e32 v213, v241, v212, vcc_lo
	v_cndmask_b32_e64 v215, v243, v214, s2
	v_cndmask_b32_e32 v212, v240, v240, vcc_lo
	v_cndmask_b32_e64 v214, v242, v242, s2
	s_mov_b32 s2, exec_lo
	s_delay_alu instid0(VALU_DEP_1)
	v_cmpx_ngt_f64_e32 v[212:213], v[214:215]
	s_xor_b32 s2, exec_lo, s2
	s_cbranch_execz .LBB118_469
; %bb.468:
	v_div_scale_f64 v[212:213], null, v[242:243], v[242:243], v[240:241]
	v_div_scale_f64 v[218:219], vcc_lo, v[240:241], v[242:243], v[240:241]
	s_delay_alu instid0(VALU_DEP_2) | instskip(SKIP_2) | instid1(VALU_DEP_1)
	v_rcp_f64_e32 v[214:215], v[212:213]
	s_waitcnt_depctr 0xfff
	v_fma_f64 v[216:217], -v[212:213], v[214:215], 1.0
	v_fma_f64 v[214:215], v[214:215], v[216:217], v[214:215]
	s_delay_alu instid0(VALU_DEP_1) | instskip(NEXT) | instid1(VALU_DEP_1)
	v_fma_f64 v[216:217], -v[212:213], v[214:215], 1.0
	v_fma_f64 v[214:215], v[214:215], v[216:217], v[214:215]
	s_delay_alu instid0(VALU_DEP_1) | instskip(NEXT) | instid1(VALU_DEP_1)
	v_mul_f64 v[216:217], v[218:219], v[214:215]
	v_fma_f64 v[212:213], -v[212:213], v[216:217], v[218:219]
	s_delay_alu instid0(VALU_DEP_1) | instskip(NEXT) | instid1(VALU_DEP_1)
	v_div_fmas_f64 v[212:213], v[212:213], v[214:215], v[216:217]
	v_div_fixup_f64 v[212:213], v[212:213], v[242:243], v[240:241]
	s_delay_alu instid0(VALU_DEP_1) | instskip(NEXT) | instid1(VALU_DEP_1)
	v_fma_f64 v[214:215], v[240:241], v[212:213], v[242:243]
	v_div_scale_f64 v[216:217], null, v[214:215], v[214:215], 1.0
	s_delay_alu instid0(VALU_DEP_1) | instskip(SKIP_2) | instid1(VALU_DEP_1)
	v_rcp_f64_e32 v[218:219], v[216:217]
	s_waitcnt_depctr 0xfff
	v_fma_f64 v[220:221], -v[216:217], v[218:219], 1.0
	v_fma_f64 v[218:219], v[218:219], v[220:221], v[218:219]
	s_delay_alu instid0(VALU_DEP_1) | instskip(NEXT) | instid1(VALU_DEP_1)
	v_fma_f64 v[220:221], -v[216:217], v[218:219], 1.0
	v_fma_f64 v[218:219], v[218:219], v[220:221], v[218:219]
	v_div_scale_f64 v[220:221], vcc_lo, 1.0, v[214:215], 1.0
	s_delay_alu instid0(VALU_DEP_1) | instskip(NEXT) | instid1(VALU_DEP_1)
	v_mul_f64 v[222:223], v[220:221], v[218:219]
	v_fma_f64 v[216:217], -v[216:217], v[222:223], v[220:221]
	s_delay_alu instid0(VALU_DEP_1) | instskip(NEXT) | instid1(VALU_DEP_1)
	v_div_fmas_f64 v[216:217], v[216:217], v[218:219], v[222:223]
	v_div_fixup_f64 v[242:243], v[216:217], v[214:215], 1.0
	s_delay_alu instid0(VALU_DEP_1)
	v_mul_f64 v[240:241], v[212:213], v[242:243]
	v_xor_b32_e32 v243, 0x80000000, v243
.LBB118_469:
	s_and_not1_saveexec_b32 s2, s2
	s_cbranch_execz .LBB118_471
; %bb.470:
	s_delay_alu instid0(VALU_DEP_1) | instskip(SKIP_1) | instid1(VALU_DEP_2)
	v_div_scale_f64 v[212:213], null, v[240:241], v[240:241], v[242:243]
	v_div_scale_f64 v[218:219], vcc_lo, v[242:243], v[240:241], v[242:243]
	v_rcp_f64_e32 v[214:215], v[212:213]
	s_waitcnt_depctr 0xfff
	v_fma_f64 v[216:217], -v[212:213], v[214:215], 1.0
	s_delay_alu instid0(VALU_DEP_1) | instskip(NEXT) | instid1(VALU_DEP_1)
	v_fma_f64 v[214:215], v[214:215], v[216:217], v[214:215]
	v_fma_f64 v[216:217], -v[212:213], v[214:215], 1.0
	s_delay_alu instid0(VALU_DEP_1) | instskip(NEXT) | instid1(VALU_DEP_1)
	v_fma_f64 v[214:215], v[214:215], v[216:217], v[214:215]
	v_mul_f64 v[216:217], v[218:219], v[214:215]
	s_delay_alu instid0(VALU_DEP_1) | instskip(NEXT) | instid1(VALU_DEP_1)
	v_fma_f64 v[212:213], -v[212:213], v[216:217], v[218:219]
	v_div_fmas_f64 v[212:213], v[212:213], v[214:215], v[216:217]
	s_delay_alu instid0(VALU_DEP_1) | instskip(NEXT) | instid1(VALU_DEP_1)
	v_div_fixup_f64 v[212:213], v[212:213], v[240:241], v[242:243]
	v_fma_f64 v[214:215], v[242:243], v[212:213], v[240:241]
	s_delay_alu instid0(VALU_DEP_1) | instskip(NEXT) | instid1(VALU_DEP_1)
	v_div_scale_f64 v[216:217], null, v[214:215], v[214:215], 1.0
	v_rcp_f64_e32 v[218:219], v[216:217]
	s_waitcnt_depctr 0xfff
	v_fma_f64 v[220:221], -v[216:217], v[218:219], 1.0
	s_delay_alu instid0(VALU_DEP_1) | instskip(NEXT) | instid1(VALU_DEP_1)
	v_fma_f64 v[218:219], v[218:219], v[220:221], v[218:219]
	v_fma_f64 v[220:221], -v[216:217], v[218:219], 1.0
	s_delay_alu instid0(VALU_DEP_1) | instskip(SKIP_1) | instid1(VALU_DEP_1)
	v_fma_f64 v[218:219], v[218:219], v[220:221], v[218:219]
	v_div_scale_f64 v[220:221], vcc_lo, 1.0, v[214:215], 1.0
	v_mul_f64 v[222:223], v[220:221], v[218:219]
	s_delay_alu instid0(VALU_DEP_1) | instskip(NEXT) | instid1(VALU_DEP_1)
	v_fma_f64 v[216:217], -v[216:217], v[222:223], v[220:221]
	v_div_fmas_f64 v[216:217], v[216:217], v[218:219], v[222:223]
	s_delay_alu instid0(VALU_DEP_1) | instskip(NEXT) | instid1(VALU_DEP_1)
	v_div_fixup_f64 v[240:241], v[216:217], v[214:215], 1.0
	v_mul_f64 v[242:243], v[212:213], -v[240:241]
.LBB118_471:
	s_or_b32 exec_lo, exec_lo, s2
.LBB118_472:
	s_delay_alu instid0(SALU_CYCLE_1) | instskip(NEXT) | instid1(SALU_CYCLE_1)
	s_or_b32 exec_lo, exec_lo, s3
	s_mov_b32 s2, exec_lo
	v_cmpx_ne_u32_e64 v255, v248
	s_xor_b32 s2, exec_lo, s2
	s_cbranch_execz .LBB118_478
; %bb.473:
	s_mov_b32 s3, exec_lo
	v_cmpx_eq_u32_e32 22, v255
	s_cbranch_execz .LBB118_477
; %bb.474:
	v_cmp_ne_u32_e32 vcc_lo, 22, v248
	s_xor_b32 s4, s5, -1
	s_delay_alu instid0(SALU_CYCLE_1) | instskip(NEXT) | instid1(SALU_CYCLE_1)
	s_and_b32 s6, s4, vcc_lo
	s_and_saveexec_b32 s4, s6
	s_cbranch_execz .LBB118_476
; %bb.475:
	scratch_load_b64 v[208:209], off, off offset:16 ; 8-byte Folded Reload
	v_ashrrev_i32_e32 v249, 31, v248
	s_delay_alu instid0(VALU_DEP_1) | instskip(SKIP_1) | instid1(VALU_DEP_1)
	v_lshlrev_b64 v[212:213], 2, v[248:249]
	s_waitcnt vmcnt(0)
	v_add_co_u32 v212, vcc_lo, v208, v212
	s_delay_alu instid0(VALU_DEP_2)
	v_add_co_ci_u32_e32 v213, vcc_lo, v209, v213, vcc_lo
	s_clause 0x1
	flat_load_b32 v214, v[212:213]
	flat_load_b32 v215, v[208:209] offset:88
	s_waitcnt vmcnt(1) lgkmcnt(1)
	flat_store_b32 v[208:209], v214 offset:88
	s_waitcnt vmcnt(0) lgkmcnt(1)
	flat_store_b32 v[212:213], v215
.LBB118_476:
	s_or_b32 exec_lo, exec_lo, s4
	v_mov_b32_e32 v255, v248
	v_mov_b32_e32 v244, v248
.LBB118_477:
	s_or_b32 exec_lo, exec_lo, s3
.LBB118_478:
	s_and_not1_saveexec_b32 s2, s2
	s_cbranch_execz .LBB118_480
; %bb.479:
	v_mov_b32_e32 v255, 22
	ds_store_2addr_b64 v250, v[144:145], v[146:147] offset0:46 offset1:47
	ds_store_2addr_b64 v250, v[140:141], v[142:143] offset0:48 offset1:49
	;; [unrolled: 1-line block ×37, first 2 shown]
.LBB118_480:
	s_or_b32 exec_lo, exec_lo, s2
	s_delay_alu instid0(SALU_CYCLE_1)
	s_mov_b32 s2, exec_lo
	s_waitcnt lgkmcnt(0)
	s_waitcnt_vscnt null, 0x0
	s_barrier
	buffer_gl0_inv
	v_cmpx_lt_i32_e32 22, v255
	s_cbranch_execz .LBB118_482
; %bb.481:
	v_mul_f64 v[212:213], v[242:243], v[150:151]
	v_mul_f64 v[150:151], v[240:241], v[150:151]
	ds_load_2addr_b64 v[232:235], v250 offset0:46 offset1:47
	v_fma_f64 v[248:249], v[240:241], v[148:149], -v[212:213]
	v_fma_f64 v[150:151], v[242:243], v[148:149], v[150:151]
	s_waitcnt lgkmcnt(0)
	s_delay_alu instid0(VALU_DEP_1) | instskip(SKIP_1) | instid1(VALU_DEP_2)
	v_mul_f64 v[148:149], v[234:235], v[150:151]
	v_mul_f64 v[212:213], v[232:233], v[150:151]
	v_fma_f64 v[148:149], v[232:233], v[248:249], -v[148:149]
	s_delay_alu instid0(VALU_DEP_2)
	v_fma_f64 v[212:213], v[234:235], v[248:249], v[212:213]
	ds_load_2addr_b64 v[232:235], v250 offset0:48 offset1:49
	v_add_f64 v[144:145], v[144:145], -v[148:149]
	v_add_f64 v[146:147], v[146:147], -v[212:213]
	s_waitcnt lgkmcnt(0)
	v_mul_f64 v[148:149], v[234:235], v[150:151]
	v_mul_f64 v[212:213], v[232:233], v[150:151]
	s_delay_alu instid0(VALU_DEP_2) | instskip(NEXT) | instid1(VALU_DEP_2)
	v_fma_f64 v[148:149], v[232:233], v[248:249], -v[148:149]
	v_fma_f64 v[212:213], v[234:235], v[248:249], v[212:213]
	ds_load_2addr_b64 v[232:235], v250 offset0:50 offset1:51
	v_add_f64 v[140:141], v[140:141], -v[148:149]
	v_add_f64 v[142:143], v[142:143], -v[212:213]
	s_waitcnt lgkmcnt(0)
	v_mul_f64 v[148:149], v[234:235], v[150:151]
	v_mul_f64 v[212:213], v[232:233], v[150:151]
	s_delay_alu instid0(VALU_DEP_2) | instskip(NEXT) | instid1(VALU_DEP_2)
	v_fma_f64 v[148:149], v[232:233], v[248:249], -v[148:149]
	;; [unrolled: 9-line block ×36, first 2 shown]
	v_fma_f64 v[212:213], v[234:235], v[248:249], v[212:213]
	s_delay_alu instid0(VALU_DEP_2) | instskip(NEXT) | instid1(VALU_DEP_2)
	v_add_f64 v[228:229], v[228:229], -v[148:149]
	v_add_f64 v[230:231], v[230:231], -v[212:213]
	v_dual_mov_b32 v148, v248 :: v_dual_mov_b32 v149, v249
.LBB118_482:
	s_or_b32 exec_lo, exec_lo, s2
	v_lshl_add_u32 v212, v255, 4, v250
	s_barrier
	buffer_gl0_inv
	v_mov_b32_e32 v248, 23
	ds_store_2addr_b64 v212, v[144:145], v[146:147] offset1:1
	s_waitcnt lgkmcnt(0)
	s_barrier
	buffer_gl0_inv
	ds_load_2addr_b64 v[240:243], v250 offset0:46 offset1:47
	s_cmp_lt_i32 s12, 25
	s_cbranch_scc1 .LBB118_485
; %bb.483:
	v_add3_u32 v245, v254, 0, 0x180
	v_mov_b32_e32 v248, 23
	s_mov_b32 s6, 24
	s_set_inst_prefetch_distance 0x1
	.p2align	6
.LBB118_484:                            ; =>This Inner Loop Header: Depth=1
	ds_load_2addr_b64 v[232:235], v245 offset1:1
	s_waitcnt lgkmcnt(1)
	v_cmp_gt_f64_e32 vcc_lo, 0, v[240:241]
	v_cmp_gt_f64_e64 s2, 0, v[242:243]
	v_xor_b32_e32 v213, 0x80000000, v241
	v_xor_b32_e32 v217, 0x80000000, v243
	v_add_nc_u32_e32 v245, 16, v245
	s_waitcnt lgkmcnt(0)
	v_cmp_gt_f64_e64 s3, 0, v[232:233]
	v_cmp_gt_f64_e64 s4, 0, v[234:235]
	v_xor_b32_e32 v219, 0x80000000, v233
	v_xor_b32_e32 v220, 0x80000000, v235
	v_mov_b32_e32 v214, v234
	v_mov_b32_e32 v212, v232
	v_dual_cndmask_b32 v216, v241, v213 :: v_dual_cndmask_b32 v215, v240, v240
	v_cndmask_b32_e64 v218, v243, v217, s2
	v_cndmask_b32_e64 v217, v242, v242, s2
	s_delay_alu instid0(VALU_DEP_1) | instskip(SKIP_2) | instid1(VALU_DEP_1)
	v_add_f64 v[216:217], v[215:216], v[217:218]
	v_cndmask_b32_e64 v213, v233, v219, s3
	v_cndmask_b32_e64 v215, v235, v220, s4
	v_add_f64 v[212:213], v[212:213], v[214:215]
	s_delay_alu instid0(VALU_DEP_1)
	v_cmp_lt_f64_e32 vcc_lo, v[216:217], v[212:213]
	v_cndmask_b32_e32 v243, v243, v235, vcc_lo
	v_dual_cndmask_b32 v241, v241, v233 :: v_dual_cndmask_b32 v240, v240, v232
	v_cndmask_b32_e32 v242, v242, v234, vcc_lo
	v_cndmask_b32_e64 v248, v248, s6, vcc_lo
	s_add_i32 s6, s6, 1
	s_delay_alu instid0(SALU_CYCLE_1)
	s_cmp_lg_u32 s12, s6
	s_cbranch_scc1 .LBB118_484
.LBB118_485:
	s_set_inst_prefetch_distance 0x2
	s_waitcnt lgkmcnt(0)
	v_cmp_eq_f64_e32 vcc_lo, 0, v[240:241]
	v_cmp_eq_f64_e64 s2, 0, v[242:243]
	s_delay_alu instid0(VALU_DEP_1) | instskip(NEXT) | instid1(SALU_CYCLE_1)
	s_and_b32 s2, vcc_lo, s2
	s_and_saveexec_b32 s3, s2
	s_delay_alu instid0(SALU_CYCLE_1)
	s_xor_b32 s2, exec_lo, s3
; %bb.486:
	v_cmp_ne_u32_e32 vcc_lo, 0, v253
	v_cndmask_b32_e32 v253, 24, v253, vcc_lo
; %bb.487:
	s_and_not1_saveexec_b32 s3, s2
	s_cbranch_execz .LBB118_493
; %bb.488:
	v_cmp_gt_f64_e32 vcc_lo, 0, v[240:241]
	v_cmp_gt_f64_e64 s2, 0, v[242:243]
	v_xor_b32_e32 v212, 0x80000000, v241
	v_xor_b32_e32 v214, 0x80000000, v243
	s_delay_alu instid0(VALU_DEP_2) | instskip(NEXT) | instid1(VALU_DEP_2)
	v_cndmask_b32_e32 v213, v241, v212, vcc_lo
	v_cndmask_b32_e64 v215, v243, v214, s2
	v_cndmask_b32_e32 v212, v240, v240, vcc_lo
	v_cndmask_b32_e64 v214, v242, v242, s2
	s_mov_b32 s2, exec_lo
	s_delay_alu instid0(VALU_DEP_1)
	v_cmpx_ngt_f64_e32 v[212:213], v[214:215]
	s_xor_b32 s2, exec_lo, s2
	s_cbranch_execz .LBB118_490
; %bb.489:
	v_div_scale_f64 v[212:213], null, v[242:243], v[242:243], v[240:241]
	v_div_scale_f64 v[218:219], vcc_lo, v[240:241], v[242:243], v[240:241]
	s_delay_alu instid0(VALU_DEP_2) | instskip(SKIP_2) | instid1(VALU_DEP_1)
	v_rcp_f64_e32 v[214:215], v[212:213]
	s_waitcnt_depctr 0xfff
	v_fma_f64 v[216:217], -v[212:213], v[214:215], 1.0
	v_fma_f64 v[214:215], v[214:215], v[216:217], v[214:215]
	s_delay_alu instid0(VALU_DEP_1) | instskip(NEXT) | instid1(VALU_DEP_1)
	v_fma_f64 v[216:217], -v[212:213], v[214:215], 1.0
	v_fma_f64 v[214:215], v[214:215], v[216:217], v[214:215]
	s_delay_alu instid0(VALU_DEP_1) | instskip(NEXT) | instid1(VALU_DEP_1)
	v_mul_f64 v[216:217], v[218:219], v[214:215]
	v_fma_f64 v[212:213], -v[212:213], v[216:217], v[218:219]
	s_delay_alu instid0(VALU_DEP_1) | instskip(NEXT) | instid1(VALU_DEP_1)
	v_div_fmas_f64 v[212:213], v[212:213], v[214:215], v[216:217]
	v_div_fixup_f64 v[212:213], v[212:213], v[242:243], v[240:241]
	s_delay_alu instid0(VALU_DEP_1) | instskip(NEXT) | instid1(VALU_DEP_1)
	v_fma_f64 v[214:215], v[240:241], v[212:213], v[242:243]
	v_div_scale_f64 v[216:217], null, v[214:215], v[214:215], 1.0
	s_delay_alu instid0(VALU_DEP_1) | instskip(SKIP_2) | instid1(VALU_DEP_1)
	v_rcp_f64_e32 v[218:219], v[216:217]
	s_waitcnt_depctr 0xfff
	v_fma_f64 v[220:221], -v[216:217], v[218:219], 1.0
	v_fma_f64 v[218:219], v[218:219], v[220:221], v[218:219]
	s_delay_alu instid0(VALU_DEP_1) | instskip(NEXT) | instid1(VALU_DEP_1)
	v_fma_f64 v[220:221], -v[216:217], v[218:219], 1.0
	v_fma_f64 v[218:219], v[218:219], v[220:221], v[218:219]
	v_div_scale_f64 v[220:221], vcc_lo, 1.0, v[214:215], 1.0
	s_delay_alu instid0(VALU_DEP_1) | instskip(NEXT) | instid1(VALU_DEP_1)
	v_mul_f64 v[222:223], v[220:221], v[218:219]
	v_fma_f64 v[216:217], -v[216:217], v[222:223], v[220:221]
	s_delay_alu instid0(VALU_DEP_1) | instskip(NEXT) | instid1(VALU_DEP_1)
	v_div_fmas_f64 v[216:217], v[216:217], v[218:219], v[222:223]
	v_div_fixup_f64 v[242:243], v[216:217], v[214:215], 1.0
	s_delay_alu instid0(VALU_DEP_1)
	v_mul_f64 v[240:241], v[212:213], v[242:243]
	v_xor_b32_e32 v243, 0x80000000, v243
.LBB118_490:
	s_and_not1_saveexec_b32 s2, s2
	s_cbranch_execz .LBB118_492
; %bb.491:
	s_delay_alu instid0(VALU_DEP_1) | instskip(SKIP_1) | instid1(VALU_DEP_2)
	v_div_scale_f64 v[212:213], null, v[240:241], v[240:241], v[242:243]
	v_div_scale_f64 v[218:219], vcc_lo, v[242:243], v[240:241], v[242:243]
	v_rcp_f64_e32 v[214:215], v[212:213]
	s_waitcnt_depctr 0xfff
	v_fma_f64 v[216:217], -v[212:213], v[214:215], 1.0
	s_delay_alu instid0(VALU_DEP_1) | instskip(NEXT) | instid1(VALU_DEP_1)
	v_fma_f64 v[214:215], v[214:215], v[216:217], v[214:215]
	v_fma_f64 v[216:217], -v[212:213], v[214:215], 1.0
	s_delay_alu instid0(VALU_DEP_1) | instskip(NEXT) | instid1(VALU_DEP_1)
	v_fma_f64 v[214:215], v[214:215], v[216:217], v[214:215]
	v_mul_f64 v[216:217], v[218:219], v[214:215]
	s_delay_alu instid0(VALU_DEP_1) | instskip(NEXT) | instid1(VALU_DEP_1)
	v_fma_f64 v[212:213], -v[212:213], v[216:217], v[218:219]
	v_div_fmas_f64 v[212:213], v[212:213], v[214:215], v[216:217]
	s_delay_alu instid0(VALU_DEP_1) | instskip(NEXT) | instid1(VALU_DEP_1)
	v_div_fixup_f64 v[212:213], v[212:213], v[240:241], v[242:243]
	v_fma_f64 v[214:215], v[242:243], v[212:213], v[240:241]
	s_delay_alu instid0(VALU_DEP_1) | instskip(NEXT) | instid1(VALU_DEP_1)
	v_div_scale_f64 v[216:217], null, v[214:215], v[214:215], 1.0
	v_rcp_f64_e32 v[218:219], v[216:217]
	s_waitcnt_depctr 0xfff
	v_fma_f64 v[220:221], -v[216:217], v[218:219], 1.0
	s_delay_alu instid0(VALU_DEP_1) | instskip(NEXT) | instid1(VALU_DEP_1)
	v_fma_f64 v[218:219], v[218:219], v[220:221], v[218:219]
	v_fma_f64 v[220:221], -v[216:217], v[218:219], 1.0
	s_delay_alu instid0(VALU_DEP_1) | instskip(SKIP_1) | instid1(VALU_DEP_1)
	v_fma_f64 v[218:219], v[218:219], v[220:221], v[218:219]
	v_div_scale_f64 v[220:221], vcc_lo, 1.0, v[214:215], 1.0
	v_mul_f64 v[222:223], v[220:221], v[218:219]
	s_delay_alu instid0(VALU_DEP_1) | instskip(NEXT) | instid1(VALU_DEP_1)
	v_fma_f64 v[216:217], -v[216:217], v[222:223], v[220:221]
	v_div_fmas_f64 v[216:217], v[216:217], v[218:219], v[222:223]
	s_delay_alu instid0(VALU_DEP_1) | instskip(NEXT) | instid1(VALU_DEP_1)
	v_div_fixup_f64 v[240:241], v[216:217], v[214:215], 1.0
	v_mul_f64 v[242:243], v[212:213], -v[240:241]
.LBB118_492:
	s_or_b32 exec_lo, exec_lo, s2
.LBB118_493:
	s_delay_alu instid0(SALU_CYCLE_1) | instskip(NEXT) | instid1(SALU_CYCLE_1)
	s_or_b32 exec_lo, exec_lo, s3
	s_mov_b32 s2, exec_lo
	v_cmpx_ne_u32_e64 v255, v248
	s_xor_b32 s2, exec_lo, s2
	s_cbranch_execz .LBB118_499
; %bb.494:
	s_mov_b32 s3, exec_lo
	v_cmpx_eq_u32_e32 23, v255
	s_cbranch_execz .LBB118_498
; %bb.495:
	v_cmp_ne_u32_e32 vcc_lo, 23, v248
	s_xor_b32 s4, s5, -1
	s_delay_alu instid0(SALU_CYCLE_1) | instskip(NEXT) | instid1(SALU_CYCLE_1)
	s_and_b32 s6, s4, vcc_lo
	s_and_saveexec_b32 s4, s6
	s_cbranch_execz .LBB118_497
; %bb.496:
	scratch_load_b64 v[208:209], off, off offset:16 ; 8-byte Folded Reload
	v_ashrrev_i32_e32 v249, 31, v248
	s_delay_alu instid0(VALU_DEP_1) | instskip(SKIP_1) | instid1(VALU_DEP_1)
	v_lshlrev_b64 v[212:213], 2, v[248:249]
	s_waitcnt vmcnt(0)
	v_add_co_u32 v212, vcc_lo, v208, v212
	s_delay_alu instid0(VALU_DEP_2)
	v_add_co_ci_u32_e32 v213, vcc_lo, v209, v213, vcc_lo
	s_clause 0x1
	flat_load_b32 v214, v[212:213]
	flat_load_b32 v215, v[208:209] offset:92
	s_waitcnt vmcnt(1) lgkmcnt(1)
	flat_store_b32 v[208:209], v214 offset:92
	s_waitcnt vmcnt(0) lgkmcnt(1)
	flat_store_b32 v[212:213], v215
.LBB118_497:
	s_or_b32 exec_lo, exec_lo, s4
	v_mov_b32_e32 v255, v248
	v_mov_b32_e32 v244, v248
.LBB118_498:
	s_or_b32 exec_lo, exec_lo, s3
.LBB118_499:
	s_and_not1_saveexec_b32 s2, s2
	s_cbranch_execz .LBB118_501
; %bb.500:
	v_mov_b32_e32 v255, 23
	ds_store_2addr_b64 v250, v[140:141], v[142:143] offset0:48 offset1:49
	ds_store_2addr_b64 v250, v[136:137], v[138:139] offset0:50 offset1:51
	;; [unrolled: 1-line block ×36, first 2 shown]
.LBB118_501:
	s_or_b32 exec_lo, exec_lo, s2
	s_delay_alu instid0(SALU_CYCLE_1)
	s_mov_b32 s2, exec_lo
	s_waitcnt lgkmcnt(0)
	s_waitcnt_vscnt null, 0x0
	s_barrier
	buffer_gl0_inv
	v_cmpx_lt_i32_e32 23, v255
	s_cbranch_execz .LBB118_503
; %bb.502:
	v_mul_f64 v[212:213], v[242:243], v[146:147]
	v_mul_f64 v[146:147], v[240:241], v[146:147]
	ds_load_2addr_b64 v[232:235], v250 offset0:48 offset1:49
	v_fma_f64 v[248:249], v[240:241], v[144:145], -v[212:213]
	v_fma_f64 v[146:147], v[242:243], v[144:145], v[146:147]
	s_waitcnt lgkmcnt(0)
	s_delay_alu instid0(VALU_DEP_1) | instskip(SKIP_1) | instid1(VALU_DEP_2)
	v_mul_f64 v[144:145], v[234:235], v[146:147]
	v_mul_f64 v[212:213], v[232:233], v[146:147]
	v_fma_f64 v[144:145], v[232:233], v[248:249], -v[144:145]
	s_delay_alu instid0(VALU_DEP_2)
	v_fma_f64 v[212:213], v[234:235], v[248:249], v[212:213]
	ds_load_2addr_b64 v[232:235], v250 offset0:50 offset1:51
	v_add_f64 v[140:141], v[140:141], -v[144:145]
	v_add_f64 v[142:143], v[142:143], -v[212:213]
	s_waitcnt lgkmcnt(0)
	v_mul_f64 v[144:145], v[234:235], v[146:147]
	v_mul_f64 v[212:213], v[232:233], v[146:147]
	s_delay_alu instid0(VALU_DEP_2) | instskip(NEXT) | instid1(VALU_DEP_2)
	v_fma_f64 v[144:145], v[232:233], v[248:249], -v[144:145]
	v_fma_f64 v[212:213], v[234:235], v[248:249], v[212:213]
	ds_load_2addr_b64 v[232:235], v250 offset0:52 offset1:53
	v_add_f64 v[136:137], v[136:137], -v[144:145]
	v_add_f64 v[138:139], v[138:139], -v[212:213]
	s_waitcnt lgkmcnt(0)
	v_mul_f64 v[144:145], v[234:235], v[146:147]
	v_mul_f64 v[212:213], v[232:233], v[146:147]
	s_delay_alu instid0(VALU_DEP_2) | instskip(NEXT) | instid1(VALU_DEP_2)
	v_fma_f64 v[144:145], v[232:233], v[248:249], -v[144:145]
	;; [unrolled: 9-line block ×35, first 2 shown]
	v_fma_f64 v[212:213], v[234:235], v[248:249], v[212:213]
	s_delay_alu instid0(VALU_DEP_2) | instskip(NEXT) | instid1(VALU_DEP_2)
	v_add_f64 v[228:229], v[228:229], -v[144:145]
	v_add_f64 v[230:231], v[230:231], -v[212:213]
	v_dual_mov_b32 v144, v248 :: v_dual_mov_b32 v145, v249
.LBB118_503:
	s_or_b32 exec_lo, exec_lo, s2
	v_lshl_add_u32 v212, v255, 4, v250
	s_barrier
	buffer_gl0_inv
	v_mov_b32_e32 v248, 24
	ds_store_2addr_b64 v212, v[140:141], v[142:143] offset1:1
	s_waitcnt lgkmcnt(0)
	s_barrier
	buffer_gl0_inv
	ds_load_2addr_b64 v[240:243], v250 offset0:48 offset1:49
	s_cmp_lt_i32 s12, 26
	s_cbranch_scc1 .LBB118_506
; %bb.504:
	v_add3_u32 v245, v254, 0, 0x190
	v_mov_b32_e32 v248, 24
	s_mov_b32 s6, 25
	s_set_inst_prefetch_distance 0x1
	.p2align	6
.LBB118_505:                            ; =>This Inner Loop Header: Depth=1
	ds_load_2addr_b64 v[232:235], v245 offset1:1
	s_waitcnt lgkmcnt(1)
	v_cmp_gt_f64_e32 vcc_lo, 0, v[240:241]
	v_cmp_gt_f64_e64 s2, 0, v[242:243]
	v_xor_b32_e32 v213, 0x80000000, v241
	v_xor_b32_e32 v217, 0x80000000, v243
	v_add_nc_u32_e32 v245, 16, v245
	s_waitcnt lgkmcnt(0)
	v_cmp_gt_f64_e64 s3, 0, v[232:233]
	v_cmp_gt_f64_e64 s4, 0, v[234:235]
	v_xor_b32_e32 v219, 0x80000000, v233
	v_xor_b32_e32 v220, 0x80000000, v235
	v_mov_b32_e32 v214, v234
	v_mov_b32_e32 v212, v232
	v_dual_cndmask_b32 v216, v241, v213 :: v_dual_cndmask_b32 v215, v240, v240
	v_cndmask_b32_e64 v218, v243, v217, s2
	v_cndmask_b32_e64 v217, v242, v242, s2
	s_delay_alu instid0(VALU_DEP_1) | instskip(SKIP_2) | instid1(VALU_DEP_1)
	v_add_f64 v[216:217], v[215:216], v[217:218]
	v_cndmask_b32_e64 v213, v233, v219, s3
	v_cndmask_b32_e64 v215, v235, v220, s4
	v_add_f64 v[212:213], v[212:213], v[214:215]
	s_delay_alu instid0(VALU_DEP_1)
	v_cmp_lt_f64_e32 vcc_lo, v[216:217], v[212:213]
	v_cndmask_b32_e32 v243, v243, v235, vcc_lo
	v_dual_cndmask_b32 v241, v241, v233 :: v_dual_cndmask_b32 v240, v240, v232
	v_cndmask_b32_e32 v242, v242, v234, vcc_lo
	v_cndmask_b32_e64 v248, v248, s6, vcc_lo
	s_add_i32 s6, s6, 1
	s_delay_alu instid0(SALU_CYCLE_1)
	s_cmp_lg_u32 s12, s6
	s_cbranch_scc1 .LBB118_505
.LBB118_506:
	s_set_inst_prefetch_distance 0x2
	s_waitcnt lgkmcnt(0)
	v_cmp_eq_f64_e32 vcc_lo, 0, v[240:241]
	v_cmp_eq_f64_e64 s2, 0, v[242:243]
	s_delay_alu instid0(VALU_DEP_1) | instskip(NEXT) | instid1(SALU_CYCLE_1)
	s_and_b32 s2, vcc_lo, s2
	s_and_saveexec_b32 s3, s2
	s_delay_alu instid0(SALU_CYCLE_1)
	s_xor_b32 s2, exec_lo, s3
; %bb.507:
	v_cmp_ne_u32_e32 vcc_lo, 0, v253
	v_cndmask_b32_e32 v253, 25, v253, vcc_lo
; %bb.508:
	s_and_not1_saveexec_b32 s3, s2
	s_cbranch_execz .LBB118_514
; %bb.509:
	v_cmp_gt_f64_e32 vcc_lo, 0, v[240:241]
	v_cmp_gt_f64_e64 s2, 0, v[242:243]
	v_xor_b32_e32 v212, 0x80000000, v241
	v_xor_b32_e32 v214, 0x80000000, v243
	s_delay_alu instid0(VALU_DEP_2) | instskip(NEXT) | instid1(VALU_DEP_2)
	v_cndmask_b32_e32 v213, v241, v212, vcc_lo
	v_cndmask_b32_e64 v215, v243, v214, s2
	v_cndmask_b32_e32 v212, v240, v240, vcc_lo
	v_cndmask_b32_e64 v214, v242, v242, s2
	s_mov_b32 s2, exec_lo
	s_delay_alu instid0(VALU_DEP_1)
	v_cmpx_ngt_f64_e32 v[212:213], v[214:215]
	s_xor_b32 s2, exec_lo, s2
	s_cbranch_execz .LBB118_511
; %bb.510:
	v_div_scale_f64 v[212:213], null, v[242:243], v[242:243], v[240:241]
	v_div_scale_f64 v[218:219], vcc_lo, v[240:241], v[242:243], v[240:241]
	s_delay_alu instid0(VALU_DEP_2) | instskip(SKIP_2) | instid1(VALU_DEP_1)
	v_rcp_f64_e32 v[214:215], v[212:213]
	s_waitcnt_depctr 0xfff
	v_fma_f64 v[216:217], -v[212:213], v[214:215], 1.0
	v_fma_f64 v[214:215], v[214:215], v[216:217], v[214:215]
	s_delay_alu instid0(VALU_DEP_1) | instskip(NEXT) | instid1(VALU_DEP_1)
	v_fma_f64 v[216:217], -v[212:213], v[214:215], 1.0
	v_fma_f64 v[214:215], v[214:215], v[216:217], v[214:215]
	s_delay_alu instid0(VALU_DEP_1) | instskip(NEXT) | instid1(VALU_DEP_1)
	v_mul_f64 v[216:217], v[218:219], v[214:215]
	v_fma_f64 v[212:213], -v[212:213], v[216:217], v[218:219]
	s_delay_alu instid0(VALU_DEP_1) | instskip(NEXT) | instid1(VALU_DEP_1)
	v_div_fmas_f64 v[212:213], v[212:213], v[214:215], v[216:217]
	v_div_fixup_f64 v[212:213], v[212:213], v[242:243], v[240:241]
	s_delay_alu instid0(VALU_DEP_1) | instskip(NEXT) | instid1(VALU_DEP_1)
	v_fma_f64 v[214:215], v[240:241], v[212:213], v[242:243]
	v_div_scale_f64 v[216:217], null, v[214:215], v[214:215], 1.0
	s_delay_alu instid0(VALU_DEP_1) | instskip(SKIP_2) | instid1(VALU_DEP_1)
	v_rcp_f64_e32 v[218:219], v[216:217]
	s_waitcnt_depctr 0xfff
	v_fma_f64 v[220:221], -v[216:217], v[218:219], 1.0
	v_fma_f64 v[218:219], v[218:219], v[220:221], v[218:219]
	s_delay_alu instid0(VALU_DEP_1) | instskip(NEXT) | instid1(VALU_DEP_1)
	v_fma_f64 v[220:221], -v[216:217], v[218:219], 1.0
	v_fma_f64 v[218:219], v[218:219], v[220:221], v[218:219]
	v_div_scale_f64 v[220:221], vcc_lo, 1.0, v[214:215], 1.0
	s_delay_alu instid0(VALU_DEP_1) | instskip(NEXT) | instid1(VALU_DEP_1)
	v_mul_f64 v[222:223], v[220:221], v[218:219]
	v_fma_f64 v[216:217], -v[216:217], v[222:223], v[220:221]
	s_delay_alu instid0(VALU_DEP_1) | instskip(NEXT) | instid1(VALU_DEP_1)
	v_div_fmas_f64 v[216:217], v[216:217], v[218:219], v[222:223]
	v_div_fixup_f64 v[242:243], v[216:217], v[214:215], 1.0
	s_delay_alu instid0(VALU_DEP_1)
	v_mul_f64 v[240:241], v[212:213], v[242:243]
	v_xor_b32_e32 v243, 0x80000000, v243
.LBB118_511:
	s_and_not1_saveexec_b32 s2, s2
	s_cbranch_execz .LBB118_513
; %bb.512:
	s_delay_alu instid0(VALU_DEP_1) | instskip(SKIP_1) | instid1(VALU_DEP_2)
	v_div_scale_f64 v[212:213], null, v[240:241], v[240:241], v[242:243]
	v_div_scale_f64 v[218:219], vcc_lo, v[242:243], v[240:241], v[242:243]
	v_rcp_f64_e32 v[214:215], v[212:213]
	s_waitcnt_depctr 0xfff
	v_fma_f64 v[216:217], -v[212:213], v[214:215], 1.0
	s_delay_alu instid0(VALU_DEP_1) | instskip(NEXT) | instid1(VALU_DEP_1)
	v_fma_f64 v[214:215], v[214:215], v[216:217], v[214:215]
	v_fma_f64 v[216:217], -v[212:213], v[214:215], 1.0
	s_delay_alu instid0(VALU_DEP_1) | instskip(NEXT) | instid1(VALU_DEP_1)
	v_fma_f64 v[214:215], v[214:215], v[216:217], v[214:215]
	v_mul_f64 v[216:217], v[218:219], v[214:215]
	s_delay_alu instid0(VALU_DEP_1) | instskip(NEXT) | instid1(VALU_DEP_1)
	v_fma_f64 v[212:213], -v[212:213], v[216:217], v[218:219]
	v_div_fmas_f64 v[212:213], v[212:213], v[214:215], v[216:217]
	s_delay_alu instid0(VALU_DEP_1) | instskip(NEXT) | instid1(VALU_DEP_1)
	v_div_fixup_f64 v[212:213], v[212:213], v[240:241], v[242:243]
	v_fma_f64 v[214:215], v[242:243], v[212:213], v[240:241]
	s_delay_alu instid0(VALU_DEP_1) | instskip(NEXT) | instid1(VALU_DEP_1)
	v_div_scale_f64 v[216:217], null, v[214:215], v[214:215], 1.0
	v_rcp_f64_e32 v[218:219], v[216:217]
	s_waitcnt_depctr 0xfff
	v_fma_f64 v[220:221], -v[216:217], v[218:219], 1.0
	s_delay_alu instid0(VALU_DEP_1) | instskip(NEXT) | instid1(VALU_DEP_1)
	v_fma_f64 v[218:219], v[218:219], v[220:221], v[218:219]
	v_fma_f64 v[220:221], -v[216:217], v[218:219], 1.0
	s_delay_alu instid0(VALU_DEP_1) | instskip(SKIP_1) | instid1(VALU_DEP_1)
	v_fma_f64 v[218:219], v[218:219], v[220:221], v[218:219]
	v_div_scale_f64 v[220:221], vcc_lo, 1.0, v[214:215], 1.0
	v_mul_f64 v[222:223], v[220:221], v[218:219]
	s_delay_alu instid0(VALU_DEP_1) | instskip(NEXT) | instid1(VALU_DEP_1)
	v_fma_f64 v[216:217], -v[216:217], v[222:223], v[220:221]
	v_div_fmas_f64 v[216:217], v[216:217], v[218:219], v[222:223]
	s_delay_alu instid0(VALU_DEP_1) | instskip(NEXT) | instid1(VALU_DEP_1)
	v_div_fixup_f64 v[240:241], v[216:217], v[214:215], 1.0
	v_mul_f64 v[242:243], v[212:213], -v[240:241]
.LBB118_513:
	s_or_b32 exec_lo, exec_lo, s2
.LBB118_514:
	s_delay_alu instid0(SALU_CYCLE_1) | instskip(NEXT) | instid1(SALU_CYCLE_1)
	s_or_b32 exec_lo, exec_lo, s3
	s_mov_b32 s2, exec_lo
	v_cmpx_ne_u32_e64 v255, v248
	s_xor_b32 s2, exec_lo, s2
	s_cbranch_execz .LBB118_520
; %bb.515:
	s_mov_b32 s3, exec_lo
	v_cmpx_eq_u32_e32 24, v255
	s_cbranch_execz .LBB118_519
; %bb.516:
	v_cmp_ne_u32_e32 vcc_lo, 24, v248
	s_xor_b32 s4, s5, -1
	s_delay_alu instid0(SALU_CYCLE_1) | instskip(NEXT) | instid1(SALU_CYCLE_1)
	s_and_b32 s6, s4, vcc_lo
	s_and_saveexec_b32 s4, s6
	s_cbranch_execz .LBB118_518
; %bb.517:
	scratch_load_b64 v[208:209], off, off offset:16 ; 8-byte Folded Reload
	v_ashrrev_i32_e32 v249, 31, v248
	s_delay_alu instid0(VALU_DEP_1) | instskip(SKIP_1) | instid1(VALU_DEP_1)
	v_lshlrev_b64 v[212:213], 2, v[248:249]
	s_waitcnt vmcnt(0)
	v_add_co_u32 v212, vcc_lo, v208, v212
	s_delay_alu instid0(VALU_DEP_2)
	v_add_co_ci_u32_e32 v213, vcc_lo, v209, v213, vcc_lo
	s_clause 0x1
	flat_load_b32 v214, v[212:213]
	flat_load_b32 v215, v[208:209] offset:96
	s_waitcnt vmcnt(1) lgkmcnt(1)
	flat_store_b32 v[208:209], v214 offset:96
	s_waitcnt vmcnt(0) lgkmcnt(1)
	flat_store_b32 v[212:213], v215
.LBB118_518:
	s_or_b32 exec_lo, exec_lo, s4
	v_mov_b32_e32 v255, v248
	v_mov_b32_e32 v244, v248
.LBB118_519:
	s_or_b32 exec_lo, exec_lo, s3
.LBB118_520:
	s_and_not1_saveexec_b32 s2, s2
	s_cbranch_execz .LBB118_522
; %bb.521:
	v_mov_b32_e32 v255, 24
	ds_store_2addr_b64 v250, v[136:137], v[138:139] offset0:50 offset1:51
	ds_store_2addr_b64 v250, v[132:133], v[134:135] offset0:52 offset1:53
	;; [unrolled: 1-line block ×35, first 2 shown]
.LBB118_522:
	s_or_b32 exec_lo, exec_lo, s2
	s_delay_alu instid0(SALU_CYCLE_1)
	s_mov_b32 s2, exec_lo
	s_waitcnt lgkmcnt(0)
	s_waitcnt_vscnt null, 0x0
	s_barrier
	buffer_gl0_inv
	v_cmpx_lt_i32_e32 24, v255
	s_cbranch_execz .LBB118_524
; %bb.523:
	v_mul_f64 v[212:213], v[242:243], v[142:143]
	v_mul_f64 v[142:143], v[240:241], v[142:143]
	ds_load_2addr_b64 v[232:235], v250 offset0:50 offset1:51
	v_fma_f64 v[248:249], v[240:241], v[140:141], -v[212:213]
	v_fma_f64 v[142:143], v[242:243], v[140:141], v[142:143]
	s_waitcnt lgkmcnt(0)
	s_delay_alu instid0(VALU_DEP_1) | instskip(SKIP_1) | instid1(VALU_DEP_2)
	v_mul_f64 v[140:141], v[234:235], v[142:143]
	v_mul_f64 v[212:213], v[232:233], v[142:143]
	v_fma_f64 v[140:141], v[232:233], v[248:249], -v[140:141]
	s_delay_alu instid0(VALU_DEP_2)
	v_fma_f64 v[212:213], v[234:235], v[248:249], v[212:213]
	ds_load_2addr_b64 v[232:235], v250 offset0:52 offset1:53
	v_add_f64 v[136:137], v[136:137], -v[140:141]
	v_add_f64 v[138:139], v[138:139], -v[212:213]
	s_waitcnt lgkmcnt(0)
	v_mul_f64 v[140:141], v[234:235], v[142:143]
	v_mul_f64 v[212:213], v[232:233], v[142:143]
	s_delay_alu instid0(VALU_DEP_2) | instskip(NEXT) | instid1(VALU_DEP_2)
	v_fma_f64 v[140:141], v[232:233], v[248:249], -v[140:141]
	v_fma_f64 v[212:213], v[234:235], v[248:249], v[212:213]
	ds_load_2addr_b64 v[232:235], v250 offset0:54 offset1:55
	v_add_f64 v[132:133], v[132:133], -v[140:141]
	v_add_f64 v[134:135], v[134:135], -v[212:213]
	s_waitcnt lgkmcnt(0)
	v_mul_f64 v[140:141], v[234:235], v[142:143]
	v_mul_f64 v[212:213], v[232:233], v[142:143]
	s_delay_alu instid0(VALU_DEP_2) | instskip(NEXT) | instid1(VALU_DEP_2)
	v_fma_f64 v[140:141], v[232:233], v[248:249], -v[140:141]
	;; [unrolled: 9-line block ×34, first 2 shown]
	v_fma_f64 v[212:213], v[234:235], v[248:249], v[212:213]
	s_delay_alu instid0(VALU_DEP_2) | instskip(NEXT) | instid1(VALU_DEP_2)
	v_add_f64 v[228:229], v[228:229], -v[140:141]
	v_add_f64 v[230:231], v[230:231], -v[212:213]
	v_dual_mov_b32 v140, v248 :: v_dual_mov_b32 v141, v249
.LBB118_524:
	s_or_b32 exec_lo, exec_lo, s2
	v_lshl_add_u32 v212, v255, 4, v250
	s_barrier
	buffer_gl0_inv
	v_mov_b32_e32 v248, 25
	ds_store_2addr_b64 v212, v[136:137], v[138:139] offset1:1
	s_waitcnt lgkmcnt(0)
	s_barrier
	buffer_gl0_inv
	ds_load_2addr_b64 v[240:243], v250 offset0:50 offset1:51
	s_cmp_lt_i32 s12, 27
	s_cbranch_scc1 .LBB118_527
; %bb.525:
	v_add3_u32 v245, v254, 0, 0x1a0
	v_mov_b32_e32 v248, 25
	s_mov_b32 s6, 26
	s_set_inst_prefetch_distance 0x1
	.p2align	6
.LBB118_526:                            ; =>This Inner Loop Header: Depth=1
	ds_load_2addr_b64 v[232:235], v245 offset1:1
	s_waitcnt lgkmcnt(1)
	v_cmp_gt_f64_e32 vcc_lo, 0, v[240:241]
	v_cmp_gt_f64_e64 s2, 0, v[242:243]
	v_xor_b32_e32 v213, 0x80000000, v241
	v_xor_b32_e32 v217, 0x80000000, v243
	v_add_nc_u32_e32 v245, 16, v245
	s_waitcnt lgkmcnt(0)
	v_cmp_gt_f64_e64 s3, 0, v[232:233]
	v_cmp_gt_f64_e64 s4, 0, v[234:235]
	v_xor_b32_e32 v219, 0x80000000, v233
	v_xor_b32_e32 v220, 0x80000000, v235
	v_mov_b32_e32 v214, v234
	v_mov_b32_e32 v212, v232
	v_dual_cndmask_b32 v216, v241, v213 :: v_dual_cndmask_b32 v215, v240, v240
	v_cndmask_b32_e64 v218, v243, v217, s2
	v_cndmask_b32_e64 v217, v242, v242, s2
	s_delay_alu instid0(VALU_DEP_1) | instskip(SKIP_2) | instid1(VALU_DEP_1)
	v_add_f64 v[216:217], v[215:216], v[217:218]
	v_cndmask_b32_e64 v213, v233, v219, s3
	v_cndmask_b32_e64 v215, v235, v220, s4
	v_add_f64 v[212:213], v[212:213], v[214:215]
	s_delay_alu instid0(VALU_DEP_1)
	v_cmp_lt_f64_e32 vcc_lo, v[216:217], v[212:213]
	v_cndmask_b32_e32 v243, v243, v235, vcc_lo
	v_dual_cndmask_b32 v241, v241, v233 :: v_dual_cndmask_b32 v240, v240, v232
	v_cndmask_b32_e32 v242, v242, v234, vcc_lo
	v_cndmask_b32_e64 v248, v248, s6, vcc_lo
	s_add_i32 s6, s6, 1
	s_delay_alu instid0(SALU_CYCLE_1)
	s_cmp_lg_u32 s12, s6
	s_cbranch_scc1 .LBB118_526
.LBB118_527:
	s_set_inst_prefetch_distance 0x2
	s_waitcnt lgkmcnt(0)
	v_cmp_eq_f64_e32 vcc_lo, 0, v[240:241]
	v_cmp_eq_f64_e64 s2, 0, v[242:243]
	s_delay_alu instid0(VALU_DEP_1) | instskip(NEXT) | instid1(SALU_CYCLE_1)
	s_and_b32 s2, vcc_lo, s2
	s_and_saveexec_b32 s3, s2
	s_delay_alu instid0(SALU_CYCLE_1)
	s_xor_b32 s2, exec_lo, s3
; %bb.528:
	v_cmp_ne_u32_e32 vcc_lo, 0, v253
	v_cndmask_b32_e32 v253, 26, v253, vcc_lo
; %bb.529:
	s_and_not1_saveexec_b32 s3, s2
	s_cbranch_execz .LBB118_535
; %bb.530:
	v_cmp_gt_f64_e32 vcc_lo, 0, v[240:241]
	v_cmp_gt_f64_e64 s2, 0, v[242:243]
	v_xor_b32_e32 v212, 0x80000000, v241
	v_xor_b32_e32 v214, 0x80000000, v243
	s_delay_alu instid0(VALU_DEP_2) | instskip(NEXT) | instid1(VALU_DEP_2)
	v_cndmask_b32_e32 v213, v241, v212, vcc_lo
	v_cndmask_b32_e64 v215, v243, v214, s2
	v_cndmask_b32_e32 v212, v240, v240, vcc_lo
	v_cndmask_b32_e64 v214, v242, v242, s2
	s_mov_b32 s2, exec_lo
	s_delay_alu instid0(VALU_DEP_1)
	v_cmpx_ngt_f64_e32 v[212:213], v[214:215]
	s_xor_b32 s2, exec_lo, s2
	s_cbranch_execz .LBB118_532
; %bb.531:
	v_div_scale_f64 v[212:213], null, v[242:243], v[242:243], v[240:241]
	v_div_scale_f64 v[218:219], vcc_lo, v[240:241], v[242:243], v[240:241]
	s_delay_alu instid0(VALU_DEP_2) | instskip(SKIP_2) | instid1(VALU_DEP_1)
	v_rcp_f64_e32 v[214:215], v[212:213]
	s_waitcnt_depctr 0xfff
	v_fma_f64 v[216:217], -v[212:213], v[214:215], 1.0
	v_fma_f64 v[214:215], v[214:215], v[216:217], v[214:215]
	s_delay_alu instid0(VALU_DEP_1) | instskip(NEXT) | instid1(VALU_DEP_1)
	v_fma_f64 v[216:217], -v[212:213], v[214:215], 1.0
	v_fma_f64 v[214:215], v[214:215], v[216:217], v[214:215]
	s_delay_alu instid0(VALU_DEP_1) | instskip(NEXT) | instid1(VALU_DEP_1)
	v_mul_f64 v[216:217], v[218:219], v[214:215]
	v_fma_f64 v[212:213], -v[212:213], v[216:217], v[218:219]
	s_delay_alu instid0(VALU_DEP_1) | instskip(NEXT) | instid1(VALU_DEP_1)
	v_div_fmas_f64 v[212:213], v[212:213], v[214:215], v[216:217]
	v_div_fixup_f64 v[212:213], v[212:213], v[242:243], v[240:241]
	s_delay_alu instid0(VALU_DEP_1) | instskip(NEXT) | instid1(VALU_DEP_1)
	v_fma_f64 v[214:215], v[240:241], v[212:213], v[242:243]
	v_div_scale_f64 v[216:217], null, v[214:215], v[214:215], 1.0
	s_delay_alu instid0(VALU_DEP_1) | instskip(SKIP_2) | instid1(VALU_DEP_1)
	v_rcp_f64_e32 v[218:219], v[216:217]
	s_waitcnt_depctr 0xfff
	v_fma_f64 v[220:221], -v[216:217], v[218:219], 1.0
	v_fma_f64 v[218:219], v[218:219], v[220:221], v[218:219]
	s_delay_alu instid0(VALU_DEP_1) | instskip(NEXT) | instid1(VALU_DEP_1)
	v_fma_f64 v[220:221], -v[216:217], v[218:219], 1.0
	v_fma_f64 v[218:219], v[218:219], v[220:221], v[218:219]
	v_div_scale_f64 v[220:221], vcc_lo, 1.0, v[214:215], 1.0
	s_delay_alu instid0(VALU_DEP_1) | instskip(NEXT) | instid1(VALU_DEP_1)
	v_mul_f64 v[222:223], v[220:221], v[218:219]
	v_fma_f64 v[216:217], -v[216:217], v[222:223], v[220:221]
	s_delay_alu instid0(VALU_DEP_1) | instskip(NEXT) | instid1(VALU_DEP_1)
	v_div_fmas_f64 v[216:217], v[216:217], v[218:219], v[222:223]
	v_div_fixup_f64 v[242:243], v[216:217], v[214:215], 1.0
	s_delay_alu instid0(VALU_DEP_1)
	v_mul_f64 v[240:241], v[212:213], v[242:243]
	v_xor_b32_e32 v243, 0x80000000, v243
.LBB118_532:
	s_and_not1_saveexec_b32 s2, s2
	s_cbranch_execz .LBB118_534
; %bb.533:
	s_delay_alu instid0(VALU_DEP_1) | instskip(SKIP_1) | instid1(VALU_DEP_2)
	v_div_scale_f64 v[212:213], null, v[240:241], v[240:241], v[242:243]
	v_div_scale_f64 v[218:219], vcc_lo, v[242:243], v[240:241], v[242:243]
	v_rcp_f64_e32 v[214:215], v[212:213]
	s_waitcnt_depctr 0xfff
	v_fma_f64 v[216:217], -v[212:213], v[214:215], 1.0
	s_delay_alu instid0(VALU_DEP_1) | instskip(NEXT) | instid1(VALU_DEP_1)
	v_fma_f64 v[214:215], v[214:215], v[216:217], v[214:215]
	v_fma_f64 v[216:217], -v[212:213], v[214:215], 1.0
	s_delay_alu instid0(VALU_DEP_1) | instskip(NEXT) | instid1(VALU_DEP_1)
	v_fma_f64 v[214:215], v[214:215], v[216:217], v[214:215]
	v_mul_f64 v[216:217], v[218:219], v[214:215]
	s_delay_alu instid0(VALU_DEP_1) | instskip(NEXT) | instid1(VALU_DEP_1)
	v_fma_f64 v[212:213], -v[212:213], v[216:217], v[218:219]
	v_div_fmas_f64 v[212:213], v[212:213], v[214:215], v[216:217]
	s_delay_alu instid0(VALU_DEP_1) | instskip(NEXT) | instid1(VALU_DEP_1)
	v_div_fixup_f64 v[212:213], v[212:213], v[240:241], v[242:243]
	v_fma_f64 v[214:215], v[242:243], v[212:213], v[240:241]
	s_delay_alu instid0(VALU_DEP_1) | instskip(NEXT) | instid1(VALU_DEP_1)
	v_div_scale_f64 v[216:217], null, v[214:215], v[214:215], 1.0
	v_rcp_f64_e32 v[218:219], v[216:217]
	s_waitcnt_depctr 0xfff
	v_fma_f64 v[220:221], -v[216:217], v[218:219], 1.0
	s_delay_alu instid0(VALU_DEP_1) | instskip(NEXT) | instid1(VALU_DEP_1)
	v_fma_f64 v[218:219], v[218:219], v[220:221], v[218:219]
	v_fma_f64 v[220:221], -v[216:217], v[218:219], 1.0
	s_delay_alu instid0(VALU_DEP_1) | instskip(SKIP_1) | instid1(VALU_DEP_1)
	v_fma_f64 v[218:219], v[218:219], v[220:221], v[218:219]
	v_div_scale_f64 v[220:221], vcc_lo, 1.0, v[214:215], 1.0
	v_mul_f64 v[222:223], v[220:221], v[218:219]
	s_delay_alu instid0(VALU_DEP_1) | instskip(NEXT) | instid1(VALU_DEP_1)
	v_fma_f64 v[216:217], -v[216:217], v[222:223], v[220:221]
	v_div_fmas_f64 v[216:217], v[216:217], v[218:219], v[222:223]
	s_delay_alu instid0(VALU_DEP_1) | instskip(NEXT) | instid1(VALU_DEP_1)
	v_div_fixup_f64 v[240:241], v[216:217], v[214:215], 1.0
	v_mul_f64 v[242:243], v[212:213], -v[240:241]
.LBB118_534:
	s_or_b32 exec_lo, exec_lo, s2
.LBB118_535:
	s_delay_alu instid0(SALU_CYCLE_1) | instskip(NEXT) | instid1(SALU_CYCLE_1)
	s_or_b32 exec_lo, exec_lo, s3
	s_mov_b32 s2, exec_lo
	v_cmpx_ne_u32_e64 v255, v248
	s_xor_b32 s2, exec_lo, s2
	s_cbranch_execz .LBB118_541
; %bb.536:
	s_mov_b32 s3, exec_lo
	v_cmpx_eq_u32_e32 25, v255
	s_cbranch_execz .LBB118_540
; %bb.537:
	v_cmp_ne_u32_e32 vcc_lo, 25, v248
	s_xor_b32 s4, s5, -1
	s_delay_alu instid0(SALU_CYCLE_1) | instskip(NEXT) | instid1(SALU_CYCLE_1)
	s_and_b32 s6, s4, vcc_lo
	s_and_saveexec_b32 s4, s6
	s_cbranch_execz .LBB118_539
; %bb.538:
	scratch_load_b64 v[208:209], off, off offset:16 ; 8-byte Folded Reload
	v_ashrrev_i32_e32 v249, 31, v248
	s_delay_alu instid0(VALU_DEP_1) | instskip(SKIP_1) | instid1(VALU_DEP_1)
	v_lshlrev_b64 v[212:213], 2, v[248:249]
	s_waitcnt vmcnt(0)
	v_add_co_u32 v212, vcc_lo, v208, v212
	s_delay_alu instid0(VALU_DEP_2)
	v_add_co_ci_u32_e32 v213, vcc_lo, v209, v213, vcc_lo
	s_clause 0x1
	flat_load_b32 v214, v[212:213]
	flat_load_b32 v215, v[208:209] offset:100
	s_waitcnt vmcnt(1) lgkmcnt(1)
	flat_store_b32 v[208:209], v214 offset:100
	s_waitcnt vmcnt(0) lgkmcnt(1)
	flat_store_b32 v[212:213], v215
.LBB118_539:
	s_or_b32 exec_lo, exec_lo, s4
	v_mov_b32_e32 v255, v248
	v_mov_b32_e32 v244, v248
.LBB118_540:
	s_or_b32 exec_lo, exec_lo, s3
.LBB118_541:
	s_and_not1_saveexec_b32 s2, s2
	s_cbranch_execz .LBB118_543
; %bb.542:
	v_mov_b32_e32 v255, 25
	ds_store_2addr_b64 v250, v[132:133], v[134:135] offset0:52 offset1:53
	ds_store_2addr_b64 v250, v[128:129], v[130:131] offset0:54 offset1:55
	;; [unrolled: 1-line block ×34, first 2 shown]
.LBB118_543:
	s_or_b32 exec_lo, exec_lo, s2
	s_delay_alu instid0(SALU_CYCLE_1)
	s_mov_b32 s2, exec_lo
	s_waitcnt lgkmcnt(0)
	s_waitcnt_vscnt null, 0x0
	s_barrier
	buffer_gl0_inv
	v_cmpx_lt_i32_e32 25, v255
	s_cbranch_execz .LBB118_545
; %bb.544:
	v_mul_f64 v[212:213], v[242:243], v[138:139]
	v_mul_f64 v[138:139], v[240:241], v[138:139]
	ds_load_2addr_b64 v[232:235], v250 offset0:52 offset1:53
	v_fma_f64 v[248:249], v[240:241], v[136:137], -v[212:213]
	v_fma_f64 v[138:139], v[242:243], v[136:137], v[138:139]
	s_waitcnt lgkmcnt(0)
	s_delay_alu instid0(VALU_DEP_1) | instskip(SKIP_1) | instid1(VALU_DEP_2)
	v_mul_f64 v[136:137], v[234:235], v[138:139]
	v_mul_f64 v[212:213], v[232:233], v[138:139]
	v_fma_f64 v[136:137], v[232:233], v[248:249], -v[136:137]
	s_delay_alu instid0(VALU_DEP_2)
	v_fma_f64 v[212:213], v[234:235], v[248:249], v[212:213]
	ds_load_2addr_b64 v[232:235], v250 offset0:54 offset1:55
	v_add_f64 v[132:133], v[132:133], -v[136:137]
	v_add_f64 v[134:135], v[134:135], -v[212:213]
	s_waitcnt lgkmcnt(0)
	v_mul_f64 v[136:137], v[234:235], v[138:139]
	v_mul_f64 v[212:213], v[232:233], v[138:139]
	s_delay_alu instid0(VALU_DEP_2) | instskip(NEXT) | instid1(VALU_DEP_2)
	v_fma_f64 v[136:137], v[232:233], v[248:249], -v[136:137]
	v_fma_f64 v[212:213], v[234:235], v[248:249], v[212:213]
	ds_load_2addr_b64 v[232:235], v250 offset0:56 offset1:57
	v_add_f64 v[128:129], v[128:129], -v[136:137]
	v_add_f64 v[130:131], v[130:131], -v[212:213]
	s_waitcnt lgkmcnt(0)
	v_mul_f64 v[136:137], v[234:235], v[138:139]
	v_mul_f64 v[212:213], v[232:233], v[138:139]
	s_delay_alu instid0(VALU_DEP_2) | instskip(NEXT) | instid1(VALU_DEP_2)
	v_fma_f64 v[136:137], v[232:233], v[248:249], -v[136:137]
	;; [unrolled: 9-line block ×33, first 2 shown]
	v_fma_f64 v[212:213], v[234:235], v[248:249], v[212:213]
	s_delay_alu instid0(VALU_DEP_2) | instskip(NEXT) | instid1(VALU_DEP_2)
	v_add_f64 v[228:229], v[228:229], -v[136:137]
	v_add_f64 v[230:231], v[230:231], -v[212:213]
	v_dual_mov_b32 v136, v248 :: v_dual_mov_b32 v137, v249
.LBB118_545:
	s_or_b32 exec_lo, exec_lo, s2
	v_lshl_add_u32 v212, v255, 4, v250
	s_barrier
	buffer_gl0_inv
	v_mov_b32_e32 v248, 26
	ds_store_2addr_b64 v212, v[132:133], v[134:135] offset1:1
	s_waitcnt lgkmcnt(0)
	s_barrier
	buffer_gl0_inv
	ds_load_2addr_b64 v[240:243], v250 offset0:52 offset1:53
	s_cmp_lt_i32 s12, 28
	s_cbranch_scc1 .LBB118_548
; %bb.546:
	v_add3_u32 v245, v254, 0, 0x1b0
	v_mov_b32_e32 v248, 26
	s_mov_b32 s6, 27
	s_set_inst_prefetch_distance 0x1
	.p2align	6
.LBB118_547:                            ; =>This Inner Loop Header: Depth=1
	ds_load_2addr_b64 v[232:235], v245 offset1:1
	s_waitcnt lgkmcnt(1)
	v_cmp_gt_f64_e32 vcc_lo, 0, v[240:241]
	v_cmp_gt_f64_e64 s2, 0, v[242:243]
	v_xor_b32_e32 v213, 0x80000000, v241
	v_xor_b32_e32 v217, 0x80000000, v243
	v_add_nc_u32_e32 v245, 16, v245
	s_waitcnt lgkmcnt(0)
	v_cmp_gt_f64_e64 s3, 0, v[232:233]
	v_cmp_gt_f64_e64 s4, 0, v[234:235]
	v_xor_b32_e32 v219, 0x80000000, v233
	v_xor_b32_e32 v220, 0x80000000, v235
	v_mov_b32_e32 v214, v234
	v_mov_b32_e32 v212, v232
	v_dual_cndmask_b32 v216, v241, v213 :: v_dual_cndmask_b32 v215, v240, v240
	v_cndmask_b32_e64 v218, v243, v217, s2
	v_cndmask_b32_e64 v217, v242, v242, s2
	s_delay_alu instid0(VALU_DEP_1) | instskip(SKIP_2) | instid1(VALU_DEP_1)
	v_add_f64 v[216:217], v[215:216], v[217:218]
	v_cndmask_b32_e64 v213, v233, v219, s3
	v_cndmask_b32_e64 v215, v235, v220, s4
	v_add_f64 v[212:213], v[212:213], v[214:215]
	s_delay_alu instid0(VALU_DEP_1)
	v_cmp_lt_f64_e32 vcc_lo, v[216:217], v[212:213]
	v_cndmask_b32_e32 v243, v243, v235, vcc_lo
	v_dual_cndmask_b32 v241, v241, v233 :: v_dual_cndmask_b32 v240, v240, v232
	v_cndmask_b32_e32 v242, v242, v234, vcc_lo
	v_cndmask_b32_e64 v248, v248, s6, vcc_lo
	s_add_i32 s6, s6, 1
	s_delay_alu instid0(SALU_CYCLE_1)
	s_cmp_lg_u32 s12, s6
	s_cbranch_scc1 .LBB118_547
.LBB118_548:
	s_set_inst_prefetch_distance 0x2
	s_waitcnt lgkmcnt(0)
	v_cmp_eq_f64_e32 vcc_lo, 0, v[240:241]
	v_cmp_eq_f64_e64 s2, 0, v[242:243]
	s_delay_alu instid0(VALU_DEP_1) | instskip(NEXT) | instid1(SALU_CYCLE_1)
	s_and_b32 s2, vcc_lo, s2
	s_and_saveexec_b32 s3, s2
	s_delay_alu instid0(SALU_CYCLE_1)
	s_xor_b32 s2, exec_lo, s3
; %bb.549:
	v_cmp_ne_u32_e32 vcc_lo, 0, v253
	v_cndmask_b32_e32 v253, 27, v253, vcc_lo
; %bb.550:
	s_and_not1_saveexec_b32 s3, s2
	s_cbranch_execz .LBB118_556
; %bb.551:
	v_cmp_gt_f64_e32 vcc_lo, 0, v[240:241]
	v_cmp_gt_f64_e64 s2, 0, v[242:243]
	v_xor_b32_e32 v212, 0x80000000, v241
	v_xor_b32_e32 v214, 0x80000000, v243
	s_delay_alu instid0(VALU_DEP_2) | instskip(NEXT) | instid1(VALU_DEP_2)
	v_cndmask_b32_e32 v213, v241, v212, vcc_lo
	v_cndmask_b32_e64 v215, v243, v214, s2
	v_cndmask_b32_e32 v212, v240, v240, vcc_lo
	v_cndmask_b32_e64 v214, v242, v242, s2
	s_mov_b32 s2, exec_lo
	s_delay_alu instid0(VALU_DEP_1)
	v_cmpx_ngt_f64_e32 v[212:213], v[214:215]
	s_xor_b32 s2, exec_lo, s2
	s_cbranch_execz .LBB118_553
; %bb.552:
	v_div_scale_f64 v[212:213], null, v[242:243], v[242:243], v[240:241]
	v_div_scale_f64 v[218:219], vcc_lo, v[240:241], v[242:243], v[240:241]
	s_delay_alu instid0(VALU_DEP_2) | instskip(SKIP_2) | instid1(VALU_DEP_1)
	v_rcp_f64_e32 v[214:215], v[212:213]
	s_waitcnt_depctr 0xfff
	v_fma_f64 v[216:217], -v[212:213], v[214:215], 1.0
	v_fma_f64 v[214:215], v[214:215], v[216:217], v[214:215]
	s_delay_alu instid0(VALU_DEP_1) | instskip(NEXT) | instid1(VALU_DEP_1)
	v_fma_f64 v[216:217], -v[212:213], v[214:215], 1.0
	v_fma_f64 v[214:215], v[214:215], v[216:217], v[214:215]
	s_delay_alu instid0(VALU_DEP_1) | instskip(NEXT) | instid1(VALU_DEP_1)
	v_mul_f64 v[216:217], v[218:219], v[214:215]
	v_fma_f64 v[212:213], -v[212:213], v[216:217], v[218:219]
	s_delay_alu instid0(VALU_DEP_1) | instskip(NEXT) | instid1(VALU_DEP_1)
	v_div_fmas_f64 v[212:213], v[212:213], v[214:215], v[216:217]
	v_div_fixup_f64 v[212:213], v[212:213], v[242:243], v[240:241]
	s_delay_alu instid0(VALU_DEP_1) | instskip(NEXT) | instid1(VALU_DEP_1)
	v_fma_f64 v[214:215], v[240:241], v[212:213], v[242:243]
	v_div_scale_f64 v[216:217], null, v[214:215], v[214:215], 1.0
	s_delay_alu instid0(VALU_DEP_1) | instskip(SKIP_2) | instid1(VALU_DEP_1)
	v_rcp_f64_e32 v[218:219], v[216:217]
	s_waitcnt_depctr 0xfff
	v_fma_f64 v[220:221], -v[216:217], v[218:219], 1.0
	v_fma_f64 v[218:219], v[218:219], v[220:221], v[218:219]
	s_delay_alu instid0(VALU_DEP_1) | instskip(NEXT) | instid1(VALU_DEP_1)
	v_fma_f64 v[220:221], -v[216:217], v[218:219], 1.0
	v_fma_f64 v[218:219], v[218:219], v[220:221], v[218:219]
	v_div_scale_f64 v[220:221], vcc_lo, 1.0, v[214:215], 1.0
	s_delay_alu instid0(VALU_DEP_1) | instskip(NEXT) | instid1(VALU_DEP_1)
	v_mul_f64 v[222:223], v[220:221], v[218:219]
	v_fma_f64 v[216:217], -v[216:217], v[222:223], v[220:221]
	s_delay_alu instid0(VALU_DEP_1) | instskip(NEXT) | instid1(VALU_DEP_1)
	v_div_fmas_f64 v[216:217], v[216:217], v[218:219], v[222:223]
	v_div_fixup_f64 v[242:243], v[216:217], v[214:215], 1.0
	s_delay_alu instid0(VALU_DEP_1)
	v_mul_f64 v[240:241], v[212:213], v[242:243]
	v_xor_b32_e32 v243, 0x80000000, v243
.LBB118_553:
	s_and_not1_saveexec_b32 s2, s2
	s_cbranch_execz .LBB118_555
; %bb.554:
	s_delay_alu instid0(VALU_DEP_1) | instskip(SKIP_1) | instid1(VALU_DEP_2)
	v_div_scale_f64 v[212:213], null, v[240:241], v[240:241], v[242:243]
	v_div_scale_f64 v[218:219], vcc_lo, v[242:243], v[240:241], v[242:243]
	v_rcp_f64_e32 v[214:215], v[212:213]
	s_waitcnt_depctr 0xfff
	v_fma_f64 v[216:217], -v[212:213], v[214:215], 1.0
	s_delay_alu instid0(VALU_DEP_1) | instskip(NEXT) | instid1(VALU_DEP_1)
	v_fma_f64 v[214:215], v[214:215], v[216:217], v[214:215]
	v_fma_f64 v[216:217], -v[212:213], v[214:215], 1.0
	s_delay_alu instid0(VALU_DEP_1) | instskip(NEXT) | instid1(VALU_DEP_1)
	v_fma_f64 v[214:215], v[214:215], v[216:217], v[214:215]
	v_mul_f64 v[216:217], v[218:219], v[214:215]
	s_delay_alu instid0(VALU_DEP_1) | instskip(NEXT) | instid1(VALU_DEP_1)
	v_fma_f64 v[212:213], -v[212:213], v[216:217], v[218:219]
	v_div_fmas_f64 v[212:213], v[212:213], v[214:215], v[216:217]
	s_delay_alu instid0(VALU_DEP_1) | instskip(NEXT) | instid1(VALU_DEP_1)
	v_div_fixup_f64 v[212:213], v[212:213], v[240:241], v[242:243]
	v_fma_f64 v[214:215], v[242:243], v[212:213], v[240:241]
	s_delay_alu instid0(VALU_DEP_1) | instskip(NEXT) | instid1(VALU_DEP_1)
	v_div_scale_f64 v[216:217], null, v[214:215], v[214:215], 1.0
	v_rcp_f64_e32 v[218:219], v[216:217]
	s_waitcnt_depctr 0xfff
	v_fma_f64 v[220:221], -v[216:217], v[218:219], 1.0
	s_delay_alu instid0(VALU_DEP_1) | instskip(NEXT) | instid1(VALU_DEP_1)
	v_fma_f64 v[218:219], v[218:219], v[220:221], v[218:219]
	v_fma_f64 v[220:221], -v[216:217], v[218:219], 1.0
	s_delay_alu instid0(VALU_DEP_1) | instskip(SKIP_1) | instid1(VALU_DEP_1)
	v_fma_f64 v[218:219], v[218:219], v[220:221], v[218:219]
	v_div_scale_f64 v[220:221], vcc_lo, 1.0, v[214:215], 1.0
	v_mul_f64 v[222:223], v[220:221], v[218:219]
	s_delay_alu instid0(VALU_DEP_1) | instskip(NEXT) | instid1(VALU_DEP_1)
	v_fma_f64 v[216:217], -v[216:217], v[222:223], v[220:221]
	v_div_fmas_f64 v[216:217], v[216:217], v[218:219], v[222:223]
	s_delay_alu instid0(VALU_DEP_1) | instskip(NEXT) | instid1(VALU_DEP_1)
	v_div_fixup_f64 v[240:241], v[216:217], v[214:215], 1.0
	v_mul_f64 v[242:243], v[212:213], -v[240:241]
.LBB118_555:
	s_or_b32 exec_lo, exec_lo, s2
.LBB118_556:
	s_delay_alu instid0(SALU_CYCLE_1) | instskip(NEXT) | instid1(SALU_CYCLE_1)
	s_or_b32 exec_lo, exec_lo, s3
	s_mov_b32 s2, exec_lo
	v_cmpx_ne_u32_e64 v255, v248
	s_xor_b32 s2, exec_lo, s2
	s_cbranch_execz .LBB118_562
; %bb.557:
	s_mov_b32 s3, exec_lo
	v_cmpx_eq_u32_e32 26, v255
	s_cbranch_execz .LBB118_561
; %bb.558:
	v_cmp_ne_u32_e32 vcc_lo, 26, v248
	s_xor_b32 s4, s5, -1
	s_delay_alu instid0(SALU_CYCLE_1) | instskip(NEXT) | instid1(SALU_CYCLE_1)
	s_and_b32 s6, s4, vcc_lo
	s_and_saveexec_b32 s4, s6
	s_cbranch_execz .LBB118_560
; %bb.559:
	scratch_load_b64 v[208:209], off, off offset:16 ; 8-byte Folded Reload
	v_ashrrev_i32_e32 v249, 31, v248
	s_delay_alu instid0(VALU_DEP_1) | instskip(SKIP_1) | instid1(VALU_DEP_1)
	v_lshlrev_b64 v[212:213], 2, v[248:249]
	s_waitcnt vmcnt(0)
	v_add_co_u32 v212, vcc_lo, v208, v212
	s_delay_alu instid0(VALU_DEP_2)
	v_add_co_ci_u32_e32 v213, vcc_lo, v209, v213, vcc_lo
	s_clause 0x1
	flat_load_b32 v214, v[212:213]
	flat_load_b32 v215, v[208:209] offset:104
	s_waitcnt vmcnt(1) lgkmcnt(1)
	flat_store_b32 v[208:209], v214 offset:104
	s_waitcnt vmcnt(0) lgkmcnt(1)
	flat_store_b32 v[212:213], v215
.LBB118_560:
	s_or_b32 exec_lo, exec_lo, s4
	v_mov_b32_e32 v255, v248
	v_mov_b32_e32 v244, v248
.LBB118_561:
	s_or_b32 exec_lo, exec_lo, s3
.LBB118_562:
	s_and_not1_saveexec_b32 s2, s2
	s_cbranch_execz .LBB118_564
; %bb.563:
	v_mov_b32_e32 v255, 26
	ds_store_2addr_b64 v250, v[128:129], v[130:131] offset0:54 offset1:55
	ds_store_2addr_b64 v250, v[124:125], v[126:127] offset0:56 offset1:57
	;; [unrolled: 1-line block ×33, first 2 shown]
.LBB118_564:
	s_or_b32 exec_lo, exec_lo, s2
	s_delay_alu instid0(SALU_CYCLE_1)
	s_mov_b32 s2, exec_lo
	s_waitcnt lgkmcnt(0)
	s_waitcnt_vscnt null, 0x0
	s_barrier
	buffer_gl0_inv
	v_cmpx_lt_i32_e32 26, v255
	s_cbranch_execz .LBB118_566
; %bb.565:
	v_mul_f64 v[212:213], v[242:243], v[134:135]
	v_mul_f64 v[134:135], v[240:241], v[134:135]
	ds_load_2addr_b64 v[232:235], v250 offset0:54 offset1:55
	v_fma_f64 v[248:249], v[240:241], v[132:133], -v[212:213]
	v_fma_f64 v[134:135], v[242:243], v[132:133], v[134:135]
	s_waitcnt lgkmcnt(0)
	s_delay_alu instid0(VALU_DEP_1) | instskip(SKIP_1) | instid1(VALU_DEP_2)
	v_mul_f64 v[132:133], v[234:235], v[134:135]
	v_mul_f64 v[212:213], v[232:233], v[134:135]
	v_fma_f64 v[132:133], v[232:233], v[248:249], -v[132:133]
	s_delay_alu instid0(VALU_DEP_2)
	v_fma_f64 v[212:213], v[234:235], v[248:249], v[212:213]
	ds_load_2addr_b64 v[232:235], v250 offset0:56 offset1:57
	v_add_f64 v[128:129], v[128:129], -v[132:133]
	v_add_f64 v[130:131], v[130:131], -v[212:213]
	s_waitcnt lgkmcnt(0)
	v_mul_f64 v[132:133], v[234:235], v[134:135]
	v_mul_f64 v[212:213], v[232:233], v[134:135]
	s_delay_alu instid0(VALU_DEP_2) | instskip(NEXT) | instid1(VALU_DEP_2)
	v_fma_f64 v[132:133], v[232:233], v[248:249], -v[132:133]
	v_fma_f64 v[212:213], v[234:235], v[248:249], v[212:213]
	ds_load_2addr_b64 v[232:235], v250 offset0:58 offset1:59
	v_add_f64 v[124:125], v[124:125], -v[132:133]
	v_add_f64 v[126:127], v[126:127], -v[212:213]
	s_waitcnt lgkmcnt(0)
	v_mul_f64 v[132:133], v[234:235], v[134:135]
	v_mul_f64 v[212:213], v[232:233], v[134:135]
	s_delay_alu instid0(VALU_DEP_2) | instskip(NEXT) | instid1(VALU_DEP_2)
	v_fma_f64 v[132:133], v[232:233], v[248:249], -v[132:133]
	v_fma_f64 v[212:213], v[234:235], v[248:249], v[212:213]
	ds_load_2addr_b64 v[232:235], v250 offset0:60 offset1:61
	v_add_f64 v[120:121], v[120:121], -v[132:133]
	v_add_f64 v[122:123], v[122:123], -v[212:213]
	s_waitcnt lgkmcnt(0)
	v_mul_f64 v[132:133], v[234:235], v[134:135]
	v_mul_f64 v[212:213], v[232:233], v[134:135]
	s_delay_alu instid0(VALU_DEP_2) | instskip(NEXT) | instid1(VALU_DEP_2)
	v_fma_f64 v[132:133], v[232:233], v[248:249], -v[132:133]
	v_fma_f64 v[212:213], v[234:235], v[248:249], v[212:213]
	ds_load_2addr_b64 v[232:235], v250 offset0:62 offset1:63
	v_add_f64 v[116:117], v[116:117], -v[132:133]
	v_add_f64 v[118:119], v[118:119], -v[212:213]
	s_waitcnt lgkmcnt(0)
	v_mul_f64 v[132:133], v[234:235], v[134:135]
	v_mul_f64 v[212:213], v[232:233], v[134:135]
	s_delay_alu instid0(VALU_DEP_2) | instskip(NEXT) | instid1(VALU_DEP_2)
	v_fma_f64 v[132:133], v[232:233], v[248:249], -v[132:133]
	v_fma_f64 v[212:213], v[234:235], v[248:249], v[212:213]
	ds_load_2addr_b64 v[232:235], v250 offset0:64 offset1:65
	v_add_f64 v[112:113], v[112:113], -v[132:133]
	v_add_f64 v[114:115], v[114:115], -v[212:213]
	s_waitcnt lgkmcnt(0)
	v_mul_f64 v[132:133], v[234:235], v[134:135]
	v_mul_f64 v[212:213], v[232:233], v[134:135]
	s_delay_alu instid0(VALU_DEP_2) | instskip(NEXT) | instid1(VALU_DEP_2)
	v_fma_f64 v[132:133], v[232:233], v[248:249], -v[132:133]
	v_fma_f64 v[212:213], v[234:235], v[248:249], v[212:213]
	ds_load_2addr_b64 v[232:235], v250 offset0:66 offset1:67
	v_add_f64 v[108:109], v[108:109], -v[132:133]
	v_add_f64 v[110:111], v[110:111], -v[212:213]
	s_waitcnt lgkmcnt(0)
	v_mul_f64 v[132:133], v[234:235], v[134:135]
	v_mul_f64 v[212:213], v[232:233], v[134:135]
	s_delay_alu instid0(VALU_DEP_2) | instskip(NEXT) | instid1(VALU_DEP_2)
	v_fma_f64 v[132:133], v[232:233], v[248:249], -v[132:133]
	v_fma_f64 v[212:213], v[234:235], v[248:249], v[212:213]
	ds_load_2addr_b64 v[232:235], v250 offset0:68 offset1:69
	v_add_f64 v[104:105], v[104:105], -v[132:133]
	v_add_f64 v[106:107], v[106:107], -v[212:213]
	s_waitcnt lgkmcnt(0)
	v_mul_f64 v[132:133], v[234:235], v[134:135]
	v_mul_f64 v[212:213], v[232:233], v[134:135]
	s_delay_alu instid0(VALU_DEP_2) | instskip(NEXT) | instid1(VALU_DEP_2)
	v_fma_f64 v[132:133], v[232:233], v[248:249], -v[132:133]
	v_fma_f64 v[212:213], v[234:235], v[248:249], v[212:213]
	ds_load_2addr_b64 v[232:235], v250 offset0:70 offset1:71
	v_add_f64 v[100:101], v[100:101], -v[132:133]
	v_add_f64 v[102:103], v[102:103], -v[212:213]
	s_waitcnt lgkmcnt(0)
	v_mul_f64 v[132:133], v[234:235], v[134:135]
	v_mul_f64 v[212:213], v[232:233], v[134:135]
	s_delay_alu instid0(VALU_DEP_2) | instskip(NEXT) | instid1(VALU_DEP_2)
	v_fma_f64 v[132:133], v[232:233], v[248:249], -v[132:133]
	v_fma_f64 v[212:213], v[234:235], v[248:249], v[212:213]
	ds_load_2addr_b64 v[232:235], v250 offset0:72 offset1:73
	v_add_f64 v[96:97], v[96:97], -v[132:133]
	v_add_f64 v[98:99], v[98:99], -v[212:213]
	s_waitcnt lgkmcnt(0)
	v_mul_f64 v[132:133], v[234:235], v[134:135]
	v_mul_f64 v[212:213], v[232:233], v[134:135]
	s_delay_alu instid0(VALU_DEP_2) | instskip(NEXT) | instid1(VALU_DEP_2)
	v_fma_f64 v[132:133], v[232:233], v[248:249], -v[132:133]
	v_fma_f64 v[212:213], v[234:235], v[248:249], v[212:213]
	ds_load_2addr_b64 v[232:235], v250 offset0:74 offset1:75
	v_add_f64 v[92:93], v[92:93], -v[132:133]
	v_add_f64 v[94:95], v[94:95], -v[212:213]
	s_waitcnt lgkmcnt(0)
	v_mul_f64 v[132:133], v[234:235], v[134:135]
	v_mul_f64 v[212:213], v[232:233], v[134:135]
	s_delay_alu instid0(VALU_DEP_2) | instskip(NEXT) | instid1(VALU_DEP_2)
	v_fma_f64 v[132:133], v[232:233], v[248:249], -v[132:133]
	v_fma_f64 v[212:213], v[234:235], v[248:249], v[212:213]
	ds_load_2addr_b64 v[232:235], v250 offset0:76 offset1:77
	v_add_f64 v[88:89], v[88:89], -v[132:133]
	v_add_f64 v[90:91], v[90:91], -v[212:213]
	s_waitcnt lgkmcnt(0)
	v_mul_f64 v[132:133], v[234:235], v[134:135]
	v_mul_f64 v[212:213], v[232:233], v[134:135]
	s_delay_alu instid0(VALU_DEP_2) | instskip(NEXT) | instid1(VALU_DEP_2)
	v_fma_f64 v[132:133], v[232:233], v[248:249], -v[132:133]
	v_fma_f64 v[212:213], v[234:235], v[248:249], v[212:213]
	ds_load_2addr_b64 v[232:235], v250 offset0:78 offset1:79
	v_add_f64 v[84:85], v[84:85], -v[132:133]
	v_add_f64 v[86:87], v[86:87], -v[212:213]
	s_waitcnt lgkmcnt(0)
	v_mul_f64 v[132:133], v[234:235], v[134:135]
	v_mul_f64 v[212:213], v[232:233], v[134:135]
	s_delay_alu instid0(VALU_DEP_2) | instskip(NEXT) | instid1(VALU_DEP_2)
	v_fma_f64 v[132:133], v[232:233], v[248:249], -v[132:133]
	v_fma_f64 v[212:213], v[234:235], v[248:249], v[212:213]
	ds_load_2addr_b64 v[232:235], v250 offset0:80 offset1:81
	v_add_f64 v[80:81], v[80:81], -v[132:133]
	v_add_f64 v[82:83], v[82:83], -v[212:213]
	s_waitcnt lgkmcnt(0)
	v_mul_f64 v[132:133], v[234:235], v[134:135]
	v_mul_f64 v[212:213], v[232:233], v[134:135]
	s_delay_alu instid0(VALU_DEP_2) | instskip(NEXT) | instid1(VALU_DEP_2)
	v_fma_f64 v[132:133], v[232:233], v[248:249], -v[132:133]
	v_fma_f64 v[212:213], v[234:235], v[248:249], v[212:213]
	ds_load_2addr_b64 v[232:235], v250 offset0:82 offset1:83
	v_add_f64 v[76:77], v[76:77], -v[132:133]
	v_add_f64 v[78:79], v[78:79], -v[212:213]
	s_waitcnt lgkmcnt(0)
	v_mul_f64 v[132:133], v[234:235], v[134:135]
	v_mul_f64 v[212:213], v[232:233], v[134:135]
	s_delay_alu instid0(VALU_DEP_2) | instskip(NEXT) | instid1(VALU_DEP_2)
	v_fma_f64 v[132:133], v[232:233], v[248:249], -v[132:133]
	v_fma_f64 v[212:213], v[234:235], v[248:249], v[212:213]
	ds_load_2addr_b64 v[232:235], v250 offset0:84 offset1:85
	v_add_f64 v[72:73], v[72:73], -v[132:133]
	v_add_f64 v[74:75], v[74:75], -v[212:213]
	s_waitcnt lgkmcnt(0)
	v_mul_f64 v[132:133], v[234:235], v[134:135]
	v_mul_f64 v[212:213], v[232:233], v[134:135]
	s_delay_alu instid0(VALU_DEP_2) | instskip(NEXT) | instid1(VALU_DEP_2)
	v_fma_f64 v[132:133], v[232:233], v[248:249], -v[132:133]
	v_fma_f64 v[212:213], v[234:235], v[248:249], v[212:213]
	ds_load_2addr_b64 v[232:235], v250 offset0:86 offset1:87
	v_add_f64 v[68:69], v[68:69], -v[132:133]
	v_add_f64 v[70:71], v[70:71], -v[212:213]
	s_waitcnt lgkmcnt(0)
	v_mul_f64 v[132:133], v[234:235], v[134:135]
	v_mul_f64 v[212:213], v[232:233], v[134:135]
	s_delay_alu instid0(VALU_DEP_2) | instskip(NEXT) | instid1(VALU_DEP_2)
	v_fma_f64 v[132:133], v[232:233], v[248:249], -v[132:133]
	v_fma_f64 v[212:213], v[234:235], v[248:249], v[212:213]
	ds_load_2addr_b64 v[232:235], v250 offset0:88 offset1:89
	v_add_f64 v[64:65], v[64:65], -v[132:133]
	v_add_f64 v[66:67], v[66:67], -v[212:213]
	s_waitcnt lgkmcnt(0)
	v_mul_f64 v[132:133], v[234:235], v[134:135]
	v_mul_f64 v[212:213], v[232:233], v[134:135]
	s_delay_alu instid0(VALU_DEP_2) | instskip(NEXT) | instid1(VALU_DEP_2)
	v_fma_f64 v[132:133], v[232:233], v[248:249], -v[132:133]
	v_fma_f64 v[212:213], v[234:235], v[248:249], v[212:213]
	ds_load_2addr_b64 v[232:235], v250 offset0:90 offset1:91
	v_add_f64 v[60:61], v[60:61], -v[132:133]
	v_add_f64 v[62:63], v[62:63], -v[212:213]
	s_waitcnt lgkmcnt(0)
	v_mul_f64 v[132:133], v[234:235], v[134:135]
	v_mul_f64 v[212:213], v[232:233], v[134:135]
	s_delay_alu instid0(VALU_DEP_2) | instskip(NEXT) | instid1(VALU_DEP_2)
	v_fma_f64 v[132:133], v[232:233], v[248:249], -v[132:133]
	v_fma_f64 v[212:213], v[234:235], v[248:249], v[212:213]
	ds_load_2addr_b64 v[232:235], v250 offset0:92 offset1:93
	v_add_f64 v[56:57], v[56:57], -v[132:133]
	v_add_f64 v[58:59], v[58:59], -v[212:213]
	s_waitcnt lgkmcnt(0)
	v_mul_f64 v[132:133], v[234:235], v[134:135]
	v_mul_f64 v[212:213], v[232:233], v[134:135]
	s_delay_alu instid0(VALU_DEP_2) | instskip(NEXT) | instid1(VALU_DEP_2)
	v_fma_f64 v[132:133], v[232:233], v[248:249], -v[132:133]
	v_fma_f64 v[212:213], v[234:235], v[248:249], v[212:213]
	ds_load_2addr_b64 v[232:235], v250 offset0:94 offset1:95
	v_add_f64 v[52:53], v[52:53], -v[132:133]
	v_add_f64 v[54:55], v[54:55], -v[212:213]
	s_waitcnt lgkmcnt(0)
	v_mul_f64 v[132:133], v[234:235], v[134:135]
	v_mul_f64 v[212:213], v[232:233], v[134:135]
	s_delay_alu instid0(VALU_DEP_2) | instskip(NEXT) | instid1(VALU_DEP_2)
	v_fma_f64 v[132:133], v[232:233], v[248:249], -v[132:133]
	v_fma_f64 v[212:213], v[234:235], v[248:249], v[212:213]
	ds_load_2addr_b64 v[232:235], v250 offset0:96 offset1:97
	v_add_f64 v[48:49], v[48:49], -v[132:133]
	v_add_f64 v[50:51], v[50:51], -v[212:213]
	s_waitcnt lgkmcnt(0)
	v_mul_f64 v[132:133], v[234:235], v[134:135]
	v_mul_f64 v[212:213], v[232:233], v[134:135]
	s_delay_alu instid0(VALU_DEP_2) | instskip(NEXT) | instid1(VALU_DEP_2)
	v_fma_f64 v[132:133], v[232:233], v[248:249], -v[132:133]
	v_fma_f64 v[212:213], v[234:235], v[248:249], v[212:213]
	ds_load_2addr_b64 v[232:235], v250 offset0:98 offset1:99
	v_add_f64 v[44:45], v[44:45], -v[132:133]
	v_add_f64 v[46:47], v[46:47], -v[212:213]
	s_waitcnt lgkmcnt(0)
	v_mul_f64 v[132:133], v[234:235], v[134:135]
	v_mul_f64 v[212:213], v[232:233], v[134:135]
	s_delay_alu instid0(VALU_DEP_2) | instskip(NEXT) | instid1(VALU_DEP_2)
	v_fma_f64 v[132:133], v[232:233], v[248:249], -v[132:133]
	v_fma_f64 v[212:213], v[234:235], v[248:249], v[212:213]
	ds_load_2addr_b64 v[232:235], v250 offset0:100 offset1:101
	v_add_f64 v[40:41], v[40:41], -v[132:133]
	v_add_f64 v[42:43], v[42:43], -v[212:213]
	s_waitcnt lgkmcnt(0)
	v_mul_f64 v[132:133], v[234:235], v[134:135]
	v_mul_f64 v[212:213], v[232:233], v[134:135]
	s_delay_alu instid0(VALU_DEP_2) | instskip(NEXT) | instid1(VALU_DEP_2)
	v_fma_f64 v[132:133], v[232:233], v[248:249], -v[132:133]
	v_fma_f64 v[212:213], v[234:235], v[248:249], v[212:213]
	ds_load_2addr_b64 v[232:235], v250 offset0:102 offset1:103
	v_add_f64 v[36:37], v[36:37], -v[132:133]
	v_add_f64 v[38:39], v[38:39], -v[212:213]
	s_waitcnt lgkmcnt(0)
	v_mul_f64 v[132:133], v[234:235], v[134:135]
	v_mul_f64 v[212:213], v[232:233], v[134:135]
	s_delay_alu instid0(VALU_DEP_2) | instskip(NEXT) | instid1(VALU_DEP_2)
	v_fma_f64 v[132:133], v[232:233], v[248:249], -v[132:133]
	v_fma_f64 v[212:213], v[234:235], v[248:249], v[212:213]
	ds_load_2addr_b64 v[232:235], v250 offset0:104 offset1:105
	v_add_f64 v[32:33], v[32:33], -v[132:133]
	v_add_f64 v[34:35], v[34:35], -v[212:213]
	s_waitcnt lgkmcnt(0)
	v_mul_f64 v[132:133], v[234:235], v[134:135]
	v_mul_f64 v[212:213], v[232:233], v[134:135]
	s_delay_alu instid0(VALU_DEP_2) | instskip(NEXT) | instid1(VALU_DEP_2)
	v_fma_f64 v[132:133], v[232:233], v[248:249], -v[132:133]
	v_fma_f64 v[212:213], v[234:235], v[248:249], v[212:213]
	ds_load_2addr_b64 v[232:235], v250 offset0:106 offset1:107
	v_add_f64 v[28:29], v[28:29], -v[132:133]
	v_add_f64 v[30:31], v[30:31], -v[212:213]
	s_waitcnt lgkmcnt(0)
	v_mul_f64 v[132:133], v[234:235], v[134:135]
	v_mul_f64 v[212:213], v[232:233], v[134:135]
	s_delay_alu instid0(VALU_DEP_2) | instskip(NEXT) | instid1(VALU_DEP_2)
	v_fma_f64 v[132:133], v[232:233], v[248:249], -v[132:133]
	v_fma_f64 v[212:213], v[234:235], v[248:249], v[212:213]
	ds_load_2addr_b64 v[232:235], v250 offset0:108 offset1:109
	v_add_f64 v[24:25], v[24:25], -v[132:133]
	v_add_f64 v[26:27], v[26:27], -v[212:213]
	s_waitcnt lgkmcnt(0)
	v_mul_f64 v[132:133], v[234:235], v[134:135]
	v_mul_f64 v[212:213], v[232:233], v[134:135]
	s_delay_alu instid0(VALU_DEP_2) | instskip(NEXT) | instid1(VALU_DEP_2)
	v_fma_f64 v[132:133], v[232:233], v[248:249], -v[132:133]
	v_fma_f64 v[212:213], v[234:235], v[248:249], v[212:213]
	ds_load_2addr_b64 v[232:235], v250 offset0:110 offset1:111
	v_add_f64 v[20:21], v[20:21], -v[132:133]
	v_add_f64 v[22:23], v[22:23], -v[212:213]
	s_waitcnt lgkmcnt(0)
	v_mul_f64 v[132:133], v[234:235], v[134:135]
	v_mul_f64 v[212:213], v[232:233], v[134:135]
	s_delay_alu instid0(VALU_DEP_2) | instskip(NEXT) | instid1(VALU_DEP_2)
	v_fma_f64 v[132:133], v[232:233], v[248:249], -v[132:133]
	v_fma_f64 v[212:213], v[234:235], v[248:249], v[212:213]
	ds_load_2addr_b64 v[232:235], v250 offset0:112 offset1:113
	v_add_f64 v[16:17], v[16:17], -v[132:133]
	v_add_f64 v[18:19], v[18:19], -v[212:213]
	s_waitcnt lgkmcnt(0)
	v_mul_f64 v[132:133], v[234:235], v[134:135]
	v_mul_f64 v[212:213], v[232:233], v[134:135]
	s_delay_alu instid0(VALU_DEP_2) | instskip(NEXT) | instid1(VALU_DEP_2)
	v_fma_f64 v[132:133], v[232:233], v[248:249], -v[132:133]
	v_fma_f64 v[212:213], v[234:235], v[248:249], v[212:213]
	ds_load_2addr_b64 v[232:235], v250 offset0:114 offset1:115
	v_add_f64 v[12:13], v[12:13], -v[132:133]
	v_add_f64 v[14:15], v[14:15], -v[212:213]
	s_waitcnt lgkmcnt(0)
	v_mul_f64 v[132:133], v[234:235], v[134:135]
	v_mul_f64 v[212:213], v[232:233], v[134:135]
	s_delay_alu instid0(VALU_DEP_2) | instskip(NEXT) | instid1(VALU_DEP_2)
	v_fma_f64 v[132:133], v[232:233], v[248:249], -v[132:133]
	v_fma_f64 v[212:213], v[234:235], v[248:249], v[212:213]
	ds_load_2addr_b64 v[232:235], v250 offset0:116 offset1:117
	v_add_f64 v[236:237], v[236:237], -v[132:133]
	v_add_f64 v[238:239], v[238:239], -v[212:213]
	s_waitcnt lgkmcnt(0)
	v_mul_f64 v[132:133], v[234:235], v[134:135]
	v_mul_f64 v[212:213], v[232:233], v[134:135]
	s_delay_alu instid0(VALU_DEP_2) | instskip(NEXT) | instid1(VALU_DEP_2)
	v_fma_f64 v[132:133], v[232:233], v[248:249], -v[132:133]
	v_fma_f64 v[212:213], v[234:235], v[248:249], v[212:213]
	ds_load_2addr_b64 v[232:235], v250 offset0:118 offset1:119
	v_add_f64 v[224:225], v[224:225], -v[132:133]
	v_add_f64 v[226:227], v[226:227], -v[212:213]
	s_waitcnt lgkmcnt(0)
	v_mul_f64 v[132:133], v[234:235], v[134:135]
	v_mul_f64 v[212:213], v[232:233], v[134:135]
	s_delay_alu instid0(VALU_DEP_2) | instskip(NEXT) | instid1(VALU_DEP_2)
	v_fma_f64 v[132:133], v[232:233], v[248:249], -v[132:133]
	v_fma_f64 v[212:213], v[234:235], v[248:249], v[212:213]
	s_delay_alu instid0(VALU_DEP_2) | instskip(NEXT) | instid1(VALU_DEP_2)
	v_add_f64 v[228:229], v[228:229], -v[132:133]
	v_add_f64 v[230:231], v[230:231], -v[212:213]
	v_dual_mov_b32 v132, v248 :: v_dual_mov_b32 v133, v249
.LBB118_566:
	s_or_b32 exec_lo, exec_lo, s2
	v_lshl_add_u32 v212, v255, 4, v250
	s_barrier
	buffer_gl0_inv
	v_mov_b32_e32 v248, 27
	ds_store_2addr_b64 v212, v[128:129], v[130:131] offset1:1
	s_waitcnt lgkmcnt(0)
	s_barrier
	buffer_gl0_inv
	ds_load_2addr_b64 v[240:243], v250 offset0:54 offset1:55
	s_cmp_lt_i32 s12, 29
	s_cbranch_scc1 .LBB118_569
; %bb.567:
	v_add3_u32 v245, v254, 0, 0x1c0
	v_mov_b32_e32 v248, 27
	s_mov_b32 s6, 28
	s_set_inst_prefetch_distance 0x1
	.p2align	6
.LBB118_568:                            ; =>This Inner Loop Header: Depth=1
	ds_load_2addr_b64 v[232:235], v245 offset1:1
	s_waitcnt lgkmcnt(1)
	v_cmp_gt_f64_e32 vcc_lo, 0, v[240:241]
	v_cmp_gt_f64_e64 s2, 0, v[242:243]
	v_xor_b32_e32 v213, 0x80000000, v241
	v_xor_b32_e32 v217, 0x80000000, v243
	v_add_nc_u32_e32 v245, 16, v245
	s_waitcnt lgkmcnt(0)
	v_cmp_gt_f64_e64 s3, 0, v[232:233]
	v_cmp_gt_f64_e64 s4, 0, v[234:235]
	v_xor_b32_e32 v219, 0x80000000, v233
	v_xor_b32_e32 v220, 0x80000000, v235
	v_mov_b32_e32 v214, v234
	v_mov_b32_e32 v212, v232
	v_dual_cndmask_b32 v216, v241, v213 :: v_dual_cndmask_b32 v215, v240, v240
	v_cndmask_b32_e64 v218, v243, v217, s2
	v_cndmask_b32_e64 v217, v242, v242, s2
	s_delay_alu instid0(VALU_DEP_1) | instskip(SKIP_2) | instid1(VALU_DEP_1)
	v_add_f64 v[216:217], v[215:216], v[217:218]
	v_cndmask_b32_e64 v213, v233, v219, s3
	v_cndmask_b32_e64 v215, v235, v220, s4
	v_add_f64 v[212:213], v[212:213], v[214:215]
	s_delay_alu instid0(VALU_DEP_1)
	v_cmp_lt_f64_e32 vcc_lo, v[216:217], v[212:213]
	v_cndmask_b32_e32 v243, v243, v235, vcc_lo
	v_dual_cndmask_b32 v241, v241, v233 :: v_dual_cndmask_b32 v240, v240, v232
	v_cndmask_b32_e32 v242, v242, v234, vcc_lo
	v_cndmask_b32_e64 v248, v248, s6, vcc_lo
	s_add_i32 s6, s6, 1
	s_delay_alu instid0(SALU_CYCLE_1)
	s_cmp_lg_u32 s12, s6
	s_cbranch_scc1 .LBB118_568
.LBB118_569:
	s_set_inst_prefetch_distance 0x2
	s_waitcnt lgkmcnt(0)
	v_cmp_eq_f64_e32 vcc_lo, 0, v[240:241]
	v_cmp_eq_f64_e64 s2, 0, v[242:243]
	s_delay_alu instid0(VALU_DEP_1) | instskip(NEXT) | instid1(SALU_CYCLE_1)
	s_and_b32 s2, vcc_lo, s2
	s_and_saveexec_b32 s3, s2
	s_delay_alu instid0(SALU_CYCLE_1)
	s_xor_b32 s2, exec_lo, s3
; %bb.570:
	v_cmp_ne_u32_e32 vcc_lo, 0, v253
	v_cndmask_b32_e32 v253, 28, v253, vcc_lo
; %bb.571:
	s_and_not1_saveexec_b32 s3, s2
	s_cbranch_execz .LBB118_577
; %bb.572:
	v_cmp_gt_f64_e32 vcc_lo, 0, v[240:241]
	v_cmp_gt_f64_e64 s2, 0, v[242:243]
	v_xor_b32_e32 v212, 0x80000000, v241
	v_xor_b32_e32 v214, 0x80000000, v243
	s_delay_alu instid0(VALU_DEP_2) | instskip(NEXT) | instid1(VALU_DEP_2)
	v_cndmask_b32_e32 v213, v241, v212, vcc_lo
	v_cndmask_b32_e64 v215, v243, v214, s2
	v_cndmask_b32_e32 v212, v240, v240, vcc_lo
	v_cndmask_b32_e64 v214, v242, v242, s2
	s_mov_b32 s2, exec_lo
	s_delay_alu instid0(VALU_DEP_1)
	v_cmpx_ngt_f64_e32 v[212:213], v[214:215]
	s_xor_b32 s2, exec_lo, s2
	s_cbranch_execz .LBB118_574
; %bb.573:
	v_div_scale_f64 v[212:213], null, v[242:243], v[242:243], v[240:241]
	v_div_scale_f64 v[218:219], vcc_lo, v[240:241], v[242:243], v[240:241]
	s_delay_alu instid0(VALU_DEP_2) | instskip(SKIP_2) | instid1(VALU_DEP_1)
	v_rcp_f64_e32 v[214:215], v[212:213]
	s_waitcnt_depctr 0xfff
	v_fma_f64 v[216:217], -v[212:213], v[214:215], 1.0
	v_fma_f64 v[214:215], v[214:215], v[216:217], v[214:215]
	s_delay_alu instid0(VALU_DEP_1) | instskip(NEXT) | instid1(VALU_DEP_1)
	v_fma_f64 v[216:217], -v[212:213], v[214:215], 1.0
	v_fma_f64 v[214:215], v[214:215], v[216:217], v[214:215]
	s_delay_alu instid0(VALU_DEP_1) | instskip(NEXT) | instid1(VALU_DEP_1)
	v_mul_f64 v[216:217], v[218:219], v[214:215]
	v_fma_f64 v[212:213], -v[212:213], v[216:217], v[218:219]
	s_delay_alu instid0(VALU_DEP_1) | instskip(NEXT) | instid1(VALU_DEP_1)
	v_div_fmas_f64 v[212:213], v[212:213], v[214:215], v[216:217]
	v_div_fixup_f64 v[212:213], v[212:213], v[242:243], v[240:241]
	s_delay_alu instid0(VALU_DEP_1) | instskip(NEXT) | instid1(VALU_DEP_1)
	v_fma_f64 v[214:215], v[240:241], v[212:213], v[242:243]
	v_div_scale_f64 v[216:217], null, v[214:215], v[214:215], 1.0
	s_delay_alu instid0(VALU_DEP_1) | instskip(SKIP_2) | instid1(VALU_DEP_1)
	v_rcp_f64_e32 v[218:219], v[216:217]
	s_waitcnt_depctr 0xfff
	v_fma_f64 v[220:221], -v[216:217], v[218:219], 1.0
	v_fma_f64 v[218:219], v[218:219], v[220:221], v[218:219]
	s_delay_alu instid0(VALU_DEP_1) | instskip(NEXT) | instid1(VALU_DEP_1)
	v_fma_f64 v[220:221], -v[216:217], v[218:219], 1.0
	v_fma_f64 v[218:219], v[218:219], v[220:221], v[218:219]
	v_div_scale_f64 v[220:221], vcc_lo, 1.0, v[214:215], 1.0
	s_delay_alu instid0(VALU_DEP_1) | instskip(NEXT) | instid1(VALU_DEP_1)
	v_mul_f64 v[222:223], v[220:221], v[218:219]
	v_fma_f64 v[216:217], -v[216:217], v[222:223], v[220:221]
	s_delay_alu instid0(VALU_DEP_1) | instskip(NEXT) | instid1(VALU_DEP_1)
	v_div_fmas_f64 v[216:217], v[216:217], v[218:219], v[222:223]
	v_div_fixup_f64 v[242:243], v[216:217], v[214:215], 1.0
	s_delay_alu instid0(VALU_DEP_1)
	v_mul_f64 v[240:241], v[212:213], v[242:243]
	v_xor_b32_e32 v243, 0x80000000, v243
.LBB118_574:
	s_and_not1_saveexec_b32 s2, s2
	s_cbranch_execz .LBB118_576
; %bb.575:
	s_delay_alu instid0(VALU_DEP_1) | instskip(SKIP_1) | instid1(VALU_DEP_2)
	v_div_scale_f64 v[212:213], null, v[240:241], v[240:241], v[242:243]
	v_div_scale_f64 v[218:219], vcc_lo, v[242:243], v[240:241], v[242:243]
	v_rcp_f64_e32 v[214:215], v[212:213]
	s_waitcnt_depctr 0xfff
	v_fma_f64 v[216:217], -v[212:213], v[214:215], 1.0
	s_delay_alu instid0(VALU_DEP_1) | instskip(NEXT) | instid1(VALU_DEP_1)
	v_fma_f64 v[214:215], v[214:215], v[216:217], v[214:215]
	v_fma_f64 v[216:217], -v[212:213], v[214:215], 1.0
	s_delay_alu instid0(VALU_DEP_1) | instskip(NEXT) | instid1(VALU_DEP_1)
	v_fma_f64 v[214:215], v[214:215], v[216:217], v[214:215]
	v_mul_f64 v[216:217], v[218:219], v[214:215]
	s_delay_alu instid0(VALU_DEP_1) | instskip(NEXT) | instid1(VALU_DEP_1)
	v_fma_f64 v[212:213], -v[212:213], v[216:217], v[218:219]
	v_div_fmas_f64 v[212:213], v[212:213], v[214:215], v[216:217]
	s_delay_alu instid0(VALU_DEP_1) | instskip(NEXT) | instid1(VALU_DEP_1)
	v_div_fixup_f64 v[212:213], v[212:213], v[240:241], v[242:243]
	v_fma_f64 v[214:215], v[242:243], v[212:213], v[240:241]
	s_delay_alu instid0(VALU_DEP_1) | instskip(NEXT) | instid1(VALU_DEP_1)
	v_div_scale_f64 v[216:217], null, v[214:215], v[214:215], 1.0
	v_rcp_f64_e32 v[218:219], v[216:217]
	s_waitcnt_depctr 0xfff
	v_fma_f64 v[220:221], -v[216:217], v[218:219], 1.0
	s_delay_alu instid0(VALU_DEP_1) | instskip(NEXT) | instid1(VALU_DEP_1)
	v_fma_f64 v[218:219], v[218:219], v[220:221], v[218:219]
	v_fma_f64 v[220:221], -v[216:217], v[218:219], 1.0
	s_delay_alu instid0(VALU_DEP_1) | instskip(SKIP_1) | instid1(VALU_DEP_1)
	v_fma_f64 v[218:219], v[218:219], v[220:221], v[218:219]
	v_div_scale_f64 v[220:221], vcc_lo, 1.0, v[214:215], 1.0
	v_mul_f64 v[222:223], v[220:221], v[218:219]
	s_delay_alu instid0(VALU_DEP_1) | instskip(NEXT) | instid1(VALU_DEP_1)
	v_fma_f64 v[216:217], -v[216:217], v[222:223], v[220:221]
	v_div_fmas_f64 v[216:217], v[216:217], v[218:219], v[222:223]
	s_delay_alu instid0(VALU_DEP_1) | instskip(NEXT) | instid1(VALU_DEP_1)
	v_div_fixup_f64 v[240:241], v[216:217], v[214:215], 1.0
	v_mul_f64 v[242:243], v[212:213], -v[240:241]
.LBB118_576:
	s_or_b32 exec_lo, exec_lo, s2
.LBB118_577:
	s_delay_alu instid0(SALU_CYCLE_1) | instskip(NEXT) | instid1(SALU_CYCLE_1)
	s_or_b32 exec_lo, exec_lo, s3
	s_mov_b32 s2, exec_lo
	v_cmpx_ne_u32_e64 v255, v248
	s_xor_b32 s2, exec_lo, s2
	s_cbranch_execz .LBB118_583
; %bb.578:
	s_mov_b32 s3, exec_lo
	v_cmpx_eq_u32_e32 27, v255
	s_cbranch_execz .LBB118_582
; %bb.579:
	v_cmp_ne_u32_e32 vcc_lo, 27, v248
	s_xor_b32 s4, s5, -1
	s_delay_alu instid0(SALU_CYCLE_1) | instskip(NEXT) | instid1(SALU_CYCLE_1)
	s_and_b32 s6, s4, vcc_lo
	s_and_saveexec_b32 s4, s6
	s_cbranch_execz .LBB118_581
; %bb.580:
	scratch_load_b64 v[208:209], off, off offset:16 ; 8-byte Folded Reload
	v_ashrrev_i32_e32 v249, 31, v248
	s_delay_alu instid0(VALU_DEP_1) | instskip(SKIP_1) | instid1(VALU_DEP_1)
	v_lshlrev_b64 v[212:213], 2, v[248:249]
	s_waitcnt vmcnt(0)
	v_add_co_u32 v212, vcc_lo, v208, v212
	s_delay_alu instid0(VALU_DEP_2)
	v_add_co_ci_u32_e32 v213, vcc_lo, v209, v213, vcc_lo
	s_clause 0x1
	flat_load_b32 v214, v[212:213]
	flat_load_b32 v215, v[208:209] offset:108
	s_waitcnt vmcnt(1) lgkmcnt(1)
	flat_store_b32 v[208:209], v214 offset:108
	s_waitcnt vmcnt(0) lgkmcnt(1)
	flat_store_b32 v[212:213], v215
.LBB118_581:
	s_or_b32 exec_lo, exec_lo, s4
	v_mov_b32_e32 v255, v248
	v_mov_b32_e32 v244, v248
.LBB118_582:
	s_or_b32 exec_lo, exec_lo, s3
.LBB118_583:
	s_and_not1_saveexec_b32 s2, s2
	s_cbranch_execz .LBB118_585
; %bb.584:
	v_mov_b32_e32 v255, 27
	ds_store_2addr_b64 v250, v[124:125], v[126:127] offset0:56 offset1:57
	ds_store_2addr_b64 v250, v[120:121], v[122:123] offset0:58 offset1:59
	ds_store_2addr_b64 v250, v[116:117], v[118:119] offset0:60 offset1:61
	ds_store_2addr_b64 v250, v[112:113], v[114:115] offset0:62 offset1:63
	ds_store_2addr_b64 v250, v[108:109], v[110:111] offset0:64 offset1:65
	ds_store_2addr_b64 v250, v[104:105], v[106:107] offset0:66 offset1:67
	ds_store_2addr_b64 v250, v[100:101], v[102:103] offset0:68 offset1:69
	ds_store_2addr_b64 v250, v[96:97], v[98:99] offset0:70 offset1:71
	ds_store_2addr_b64 v250, v[92:93], v[94:95] offset0:72 offset1:73
	ds_store_2addr_b64 v250, v[88:89], v[90:91] offset0:74 offset1:75
	ds_store_2addr_b64 v250, v[84:85], v[86:87] offset0:76 offset1:77
	ds_store_2addr_b64 v250, v[80:81], v[82:83] offset0:78 offset1:79
	ds_store_2addr_b64 v250, v[76:77], v[78:79] offset0:80 offset1:81
	ds_store_2addr_b64 v250, v[72:73], v[74:75] offset0:82 offset1:83
	ds_store_2addr_b64 v250, v[68:69], v[70:71] offset0:84 offset1:85
	ds_store_2addr_b64 v250, v[64:65], v[66:67] offset0:86 offset1:87
	ds_store_2addr_b64 v250, v[60:61], v[62:63] offset0:88 offset1:89
	ds_store_2addr_b64 v250, v[56:57], v[58:59] offset0:90 offset1:91
	ds_store_2addr_b64 v250, v[52:53], v[54:55] offset0:92 offset1:93
	ds_store_2addr_b64 v250, v[48:49], v[50:51] offset0:94 offset1:95
	ds_store_2addr_b64 v250, v[44:45], v[46:47] offset0:96 offset1:97
	ds_store_2addr_b64 v250, v[40:41], v[42:43] offset0:98 offset1:99
	ds_store_2addr_b64 v250, v[36:37], v[38:39] offset0:100 offset1:101
	ds_store_2addr_b64 v250, v[32:33], v[34:35] offset0:102 offset1:103
	ds_store_2addr_b64 v250, v[28:29], v[30:31] offset0:104 offset1:105
	ds_store_2addr_b64 v250, v[24:25], v[26:27] offset0:106 offset1:107
	ds_store_2addr_b64 v250, v[20:21], v[22:23] offset0:108 offset1:109
	ds_store_2addr_b64 v250, v[16:17], v[18:19] offset0:110 offset1:111
	ds_store_2addr_b64 v250, v[12:13], v[14:15] offset0:112 offset1:113
	ds_store_2addr_b64 v250, v[236:237], v[238:239] offset0:114 offset1:115
	ds_store_2addr_b64 v250, v[224:225], v[226:227] offset0:116 offset1:117
	ds_store_2addr_b64 v250, v[228:229], v[230:231] offset0:118 offset1:119
.LBB118_585:
	s_or_b32 exec_lo, exec_lo, s2
	s_delay_alu instid0(SALU_CYCLE_1)
	s_mov_b32 s2, exec_lo
	s_waitcnt lgkmcnt(0)
	s_waitcnt_vscnt null, 0x0
	s_barrier
	buffer_gl0_inv
	v_cmpx_lt_i32_e32 27, v255
	s_cbranch_execz .LBB118_587
; %bb.586:
	v_mul_f64 v[212:213], v[242:243], v[130:131]
	v_mul_f64 v[130:131], v[240:241], v[130:131]
	ds_load_2addr_b64 v[232:235], v250 offset0:56 offset1:57
	v_fma_f64 v[248:249], v[240:241], v[128:129], -v[212:213]
	v_fma_f64 v[130:131], v[242:243], v[128:129], v[130:131]
	s_waitcnt lgkmcnt(0)
	s_delay_alu instid0(VALU_DEP_1) | instskip(SKIP_1) | instid1(VALU_DEP_2)
	v_mul_f64 v[128:129], v[234:235], v[130:131]
	v_mul_f64 v[212:213], v[232:233], v[130:131]
	v_fma_f64 v[128:129], v[232:233], v[248:249], -v[128:129]
	s_delay_alu instid0(VALU_DEP_2)
	v_fma_f64 v[212:213], v[234:235], v[248:249], v[212:213]
	ds_load_2addr_b64 v[232:235], v250 offset0:58 offset1:59
	v_add_f64 v[124:125], v[124:125], -v[128:129]
	v_add_f64 v[126:127], v[126:127], -v[212:213]
	s_waitcnt lgkmcnt(0)
	v_mul_f64 v[128:129], v[234:235], v[130:131]
	v_mul_f64 v[212:213], v[232:233], v[130:131]
	s_delay_alu instid0(VALU_DEP_2) | instskip(NEXT) | instid1(VALU_DEP_2)
	v_fma_f64 v[128:129], v[232:233], v[248:249], -v[128:129]
	v_fma_f64 v[212:213], v[234:235], v[248:249], v[212:213]
	ds_load_2addr_b64 v[232:235], v250 offset0:60 offset1:61
	v_add_f64 v[120:121], v[120:121], -v[128:129]
	v_add_f64 v[122:123], v[122:123], -v[212:213]
	s_waitcnt lgkmcnt(0)
	v_mul_f64 v[128:129], v[234:235], v[130:131]
	v_mul_f64 v[212:213], v[232:233], v[130:131]
	s_delay_alu instid0(VALU_DEP_2) | instskip(NEXT) | instid1(VALU_DEP_2)
	v_fma_f64 v[128:129], v[232:233], v[248:249], -v[128:129]
	;; [unrolled: 9-line block ×31, first 2 shown]
	v_fma_f64 v[212:213], v[234:235], v[248:249], v[212:213]
	s_delay_alu instid0(VALU_DEP_2) | instskip(NEXT) | instid1(VALU_DEP_2)
	v_add_f64 v[228:229], v[228:229], -v[128:129]
	v_add_f64 v[230:231], v[230:231], -v[212:213]
	v_dual_mov_b32 v128, v248 :: v_dual_mov_b32 v129, v249
.LBB118_587:
	s_or_b32 exec_lo, exec_lo, s2
	v_lshl_add_u32 v212, v255, 4, v250
	s_barrier
	buffer_gl0_inv
	v_mov_b32_e32 v248, 28
	ds_store_2addr_b64 v212, v[124:125], v[126:127] offset1:1
	s_waitcnt lgkmcnt(0)
	s_barrier
	buffer_gl0_inv
	ds_load_2addr_b64 v[240:243], v250 offset0:56 offset1:57
	s_cmp_lt_i32 s12, 30
	s_cbranch_scc1 .LBB118_590
; %bb.588:
	v_add3_u32 v245, v254, 0, 0x1d0
	v_mov_b32_e32 v248, 28
	s_mov_b32 s2, 29
	s_set_inst_prefetch_distance 0x1
	.p2align	6
.LBB118_589:                            ; =>This Inner Loop Header: Depth=1
	s_waitcnt lgkmcnt(0)
	v_cmp_gt_f64_e32 vcc_lo, 0, v[240:241]
	v_xor_b32_e32 v212, 0x80000000, v241
	v_xor_b32_e32 v214, 0x80000000, v243
	ds_load_2addr_b64 v[232:235], v245 offset1:1
	v_add_nc_u32_e32 v245, 16, v245
	s_waitcnt lgkmcnt(0)
	v_xor_b32_e32 v216, 0x80000000, v235
	v_cndmask_b32_e32 v213, v241, v212, vcc_lo
	v_cndmask_b32_e32 v212, v240, v240, vcc_lo
	v_cmp_gt_f64_e32 vcc_lo, 0, v[242:243]
	v_cndmask_b32_e32 v215, v243, v214, vcc_lo
	v_cndmask_b32_e32 v214, v242, v242, vcc_lo
	v_cmp_gt_f64_e32 vcc_lo, 0, v[232:233]
	s_delay_alu instid0(VALU_DEP_2) | instskip(SKIP_1) | instid1(VALU_DEP_1)
	v_add_f64 v[212:213], v[212:213], v[214:215]
	v_xor_b32_e32 v214, 0x80000000, v233
	v_dual_cndmask_b32 v215, v233, v214 :: v_dual_mov_b32 v214, v232
	v_cmp_gt_f64_e32 vcc_lo, 0, v[234:235]
	v_dual_cndmask_b32 v217, v235, v216 :: v_dual_mov_b32 v216, v234
	s_delay_alu instid0(VALU_DEP_1) | instskip(NEXT) | instid1(VALU_DEP_1)
	v_add_f64 v[214:215], v[214:215], v[216:217]
	v_cmp_lt_f64_e32 vcc_lo, v[212:213], v[214:215]
	v_dual_cndmask_b32 v241, v241, v233 :: v_dual_cndmask_b32 v240, v240, v232
	v_dual_cndmask_b32 v243, v243, v235 :: v_dual_cndmask_b32 v242, v242, v234
	v_cndmask_b32_e64 v248, v248, s2, vcc_lo
	s_add_i32 s2, s2, 1
	s_delay_alu instid0(SALU_CYCLE_1)
	s_cmp_lg_u32 s12, s2
	s_cbranch_scc1 .LBB118_589
.LBB118_590:
	s_set_inst_prefetch_distance 0x2
	s_waitcnt lgkmcnt(0)
	v_cmp_eq_f64_e32 vcc_lo, 0, v[240:241]
	v_cmp_eq_f64_e64 s2, 0, v[242:243]
	s_delay_alu instid0(VALU_DEP_1) | instskip(NEXT) | instid1(SALU_CYCLE_1)
	s_and_b32 s2, vcc_lo, s2
	s_and_saveexec_b32 s3, s2
	s_delay_alu instid0(SALU_CYCLE_1)
	s_xor_b32 s2, exec_lo, s3
; %bb.591:
	v_cmp_ne_u32_e32 vcc_lo, 0, v253
	v_cndmask_b32_e32 v253, 29, v253, vcc_lo
; %bb.592:
	s_and_not1_saveexec_b32 s2, s2
	s_cbranch_execz .LBB118_598
; %bb.593:
	v_cmp_gt_f64_e32 vcc_lo, 0, v[240:241]
	v_xor_b32_e32 v212, 0x80000000, v241
	v_xor_b32_e32 v214, 0x80000000, v243
	s_mov_b32 s3, exec_lo
	s_delay_alu instid0(VALU_DEP_2) | instskip(SKIP_4) | instid1(VALU_DEP_1)
	v_cndmask_b32_e32 v213, v241, v212, vcc_lo
	v_cndmask_b32_e32 v212, v240, v240, vcc_lo
	v_cmp_gt_f64_e32 vcc_lo, 0, v[242:243]
	v_cndmask_b32_e32 v215, v243, v214, vcc_lo
	v_cndmask_b32_e32 v214, v242, v242, vcc_lo
	v_cmpx_ngt_f64_e32 v[212:213], v[214:215]
	s_xor_b32 s3, exec_lo, s3
	s_cbranch_execz .LBB118_595
; %bb.594:
	v_div_scale_f64 v[212:213], null, v[242:243], v[242:243], v[240:241]
	v_div_scale_f64 v[218:219], vcc_lo, v[240:241], v[242:243], v[240:241]
	s_delay_alu instid0(VALU_DEP_2) | instskip(SKIP_2) | instid1(VALU_DEP_1)
	v_rcp_f64_e32 v[214:215], v[212:213]
	s_waitcnt_depctr 0xfff
	v_fma_f64 v[216:217], -v[212:213], v[214:215], 1.0
	v_fma_f64 v[214:215], v[214:215], v[216:217], v[214:215]
	s_delay_alu instid0(VALU_DEP_1) | instskip(NEXT) | instid1(VALU_DEP_1)
	v_fma_f64 v[216:217], -v[212:213], v[214:215], 1.0
	v_fma_f64 v[214:215], v[214:215], v[216:217], v[214:215]
	s_delay_alu instid0(VALU_DEP_1) | instskip(NEXT) | instid1(VALU_DEP_1)
	v_mul_f64 v[216:217], v[218:219], v[214:215]
	v_fma_f64 v[212:213], -v[212:213], v[216:217], v[218:219]
	s_delay_alu instid0(VALU_DEP_1) | instskip(NEXT) | instid1(VALU_DEP_1)
	v_div_fmas_f64 v[212:213], v[212:213], v[214:215], v[216:217]
	v_div_fixup_f64 v[212:213], v[212:213], v[242:243], v[240:241]
	s_delay_alu instid0(VALU_DEP_1) | instskip(NEXT) | instid1(VALU_DEP_1)
	v_fma_f64 v[214:215], v[240:241], v[212:213], v[242:243]
	v_div_scale_f64 v[216:217], null, v[214:215], v[214:215], 1.0
	s_delay_alu instid0(VALU_DEP_1) | instskip(SKIP_2) | instid1(VALU_DEP_1)
	v_rcp_f64_e32 v[218:219], v[216:217]
	s_waitcnt_depctr 0xfff
	v_fma_f64 v[220:221], -v[216:217], v[218:219], 1.0
	v_fma_f64 v[218:219], v[218:219], v[220:221], v[218:219]
	s_delay_alu instid0(VALU_DEP_1) | instskip(NEXT) | instid1(VALU_DEP_1)
	v_fma_f64 v[220:221], -v[216:217], v[218:219], 1.0
	v_fma_f64 v[218:219], v[218:219], v[220:221], v[218:219]
	v_div_scale_f64 v[220:221], vcc_lo, 1.0, v[214:215], 1.0
	s_delay_alu instid0(VALU_DEP_1) | instskip(NEXT) | instid1(VALU_DEP_1)
	v_mul_f64 v[222:223], v[220:221], v[218:219]
	v_fma_f64 v[216:217], -v[216:217], v[222:223], v[220:221]
	s_delay_alu instid0(VALU_DEP_1) | instskip(NEXT) | instid1(VALU_DEP_1)
	v_div_fmas_f64 v[216:217], v[216:217], v[218:219], v[222:223]
	v_div_fixup_f64 v[242:243], v[216:217], v[214:215], 1.0
	s_delay_alu instid0(VALU_DEP_1)
	v_mul_f64 v[240:241], v[212:213], v[242:243]
	v_xor_b32_e32 v243, 0x80000000, v243
.LBB118_595:
	s_and_not1_saveexec_b32 s3, s3
	s_cbranch_execz .LBB118_597
; %bb.596:
	s_delay_alu instid0(VALU_DEP_1) | instskip(SKIP_1) | instid1(VALU_DEP_2)
	v_div_scale_f64 v[212:213], null, v[240:241], v[240:241], v[242:243]
	v_div_scale_f64 v[218:219], vcc_lo, v[242:243], v[240:241], v[242:243]
	v_rcp_f64_e32 v[214:215], v[212:213]
	s_waitcnt_depctr 0xfff
	v_fma_f64 v[216:217], -v[212:213], v[214:215], 1.0
	s_delay_alu instid0(VALU_DEP_1) | instskip(NEXT) | instid1(VALU_DEP_1)
	v_fma_f64 v[214:215], v[214:215], v[216:217], v[214:215]
	v_fma_f64 v[216:217], -v[212:213], v[214:215], 1.0
	s_delay_alu instid0(VALU_DEP_1) | instskip(NEXT) | instid1(VALU_DEP_1)
	v_fma_f64 v[214:215], v[214:215], v[216:217], v[214:215]
	v_mul_f64 v[216:217], v[218:219], v[214:215]
	s_delay_alu instid0(VALU_DEP_1) | instskip(NEXT) | instid1(VALU_DEP_1)
	v_fma_f64 v[212:213], -v[212:213], v[216:217], v[218:219]
	v_div_fmas_f64 v[212:213], v[212:213], v[214:215], v[216:217]
	s_delay_alu instid0(VALU_DEP_1) | instskip(NEXT) | instid1(VALU_DEP_1)
	v_div_fixup_f64 v[212:213], v[212:213], v[240:241], v[242:243]
	v_fma_f64 v[214:215], v[242:243], v[212:213], v[240:241]
	s_delay_alu instid0(VALU_DEP_1) | instskip(NEXT) | instid1(VALU_DEP_1)
	v_div_scale_f64 v[216:217], null, v[214:215], v[214:215], 1.0
	v_rcp_f64_e32 v[218:219], v[216:217]
	s_waitcnt_depctr 0xfff
	v_fma_f64 v[220:221], -v[216:217], v[218:219], 1.0
	s_delay_alu instid0(VALU_DEP_1) | instskip(NEXT) | instid1(VALU_DEP_1)
	v_fma_f64 v[218:219], v[218:219], v[220:221], v[218:219]
	v_fma_f64 v[220:221], -v[216:217], v[218:219], 1.0
	s_delay_alu instid0(VALU_DEP_1) | instskip(SKIP_1) | instid1(VALU_DEP_1)
	v_fma_f64 v[218:219], v[218:219], v[220:221], v[218:219]
	v_div_scale_f64 v[220:221], vcc_lo, 1.0, v[214:215], 1.0
	v_mul_f64 v[222:223], v[220:221], v[218:219]
	s_delay_alu instid0(VALU_DEP_1) | instskip(NEXT) | instid1(VALU_DEP_1)
	v_fma_f64 v[216:217], -v[216:217], v[222:223], v[220:221]
	v_div_fmas_f64 v[216:217], v[216:217], v[218:219], v[222:223]
	s_delay_alu instid0(VALU_DEP_1) | instskip(NEXT) | instid1(VALU_DEP_1)
	v_div_fixup_f64 v[240:241], v[216:217], v[214:215], 1.0
	v_mul_f64 v[242:243], v[212:213], -v[240:241]
.LBB118_597:
	s_or_b32 exec_lo, exec_lo, s3
.LBB118_598:
	s_delay_alu instid0(SALU_CYCLE_1) | instskip(NEXT) | instid1(SALU_CYCLE_1)
	s_or_b32 exec_lo, exec_lo, s2
	s_mov_b32 s2, exec_lo
	v_cmpx_ne_u32_e64 v255, v248
	s_xor_b32 s2, exec_lo, s2
	s_cbranch_execz .LBB118_604
; %bb.599:
	s_mov_b32 s3, exec_lo
	v_cmpx_eq_u32_e32 28, v255
	s_cbranch_execz .LBB118_603
; %bb.600:
	v_cmp_ne_u32_e32 vcc_lo, 28, v248
	s_xor_b32 s4, s5, -1
	s_delay_alu instid0(SALU_CYCLE_1) | instskip(NEXT) | instid1(SALU_CYCLE_1)
	s_and_b32 s6, s4, vcc_lo
	s_and_saveexec_b32 s4, s6
	s_cbranch_execz .LBB118_602
; %bb.601:
	scratch_load_b64 v[208:209], off, off offset:16 ; 8-byte Folded Reload
	v_ashrrev_i32_e32 v249, 31, v248
	s_delay_alu instid0(VALU_DEP_1) | instskip(SKIP_1) | instid1(VALU_DEP_1)
	v_lshlrev_b64 v[212:213], 2, v[248:249]
	s_waitcnt vmcnt(0)
	v_add_co_u32 v212, vcc_lo, v208, v212
	s_delay_alu instid0(VALU_DEP_2)
	v_add_co_ci_u32_e32 v213, vcc_lo, v209, v213, vcc_lo
	s_clause 0x1
	flat_load_b32 v214, v[212:213]
	flat_load_b32 v215, v[208:209] offset:112
	s_waitcnt vmcnt(1) lgkmcnt(1)
	flat_store_b32 v[208:209], v214 offset:112
	s_waitcnt vmcnt(0) lgkmcnt(1)
	flat_store_b32 v[212:213], v215
.LBB118_602:
	s_or_b32 exec_lo, exec_lo, s4
	v_mov_b32_e32 v255, v248
	v_mov_b32_e32 v244, v248
.LBB118_603:
	s_or_b32 exec_lo, exec_lo, s3
.LBB118_604:
	s_and_not1_saveexec_b32 s2, s2
	s_cbranch_execz .LBB118_606
; %bb.605:
	v_mov_b32_e32 v255, 28
	ds_store_2addr_b64 v250, v[120:121], v[122:123] offset0:58 offset1:59
	ds_store_2addr_b64 v250, v[116:117], v[118:119] offset0:60 offset1:61
	;; [unrolled: 1-line block ×31, first 2 shown]
.LBB118_606:
	s_or_b32 exec_lo, exec_lo, s2
	s_delay_alu instid0(SALU_CYCLE_1)
	s_mov_b32 s2, exec_lo
	s_waitcnt lgkmcnt(0)
	s_waitcnt_vscnt null, 0x0
	s_barrier
	buffer_gl0_inv
	v_cmpx_lt_i32_e32 28, v255
	s_cbranch_execz .LBB118_608
; %bb.607:
	v_mul_f64 v[212:213], v[242:243], v[126:127]
	v_mul_f64 v[126:127], v[240:241], v[126:127]
	ds_load_2addr_b64 v[232:235], v250 offset0:58 offset1:59
	v_fma_f64 v[248:249], v[240:241], v[124:125], -v[212:213]
	v_fma_f64 v[126:127], v[242:243], v[124:125], v[126:127]
	s_waitcnt lgkmcnt(0)
	s_delay_alu instid0(VALU_DEP_1) | instskip(SKIP_1) | instid1(VALU_DEP_2)
	v_mul_f64 v[124:125], v[234:235], v[126:127]
	v_mul_f64 v[212:213], v[232:233], v[126:127]
	v_fma_f64 v[124:125], v[232:233], v[248:249], -v[124:125]
	s_delay_alu instid0(VALU_DEP_2)
	v_fma_f64 v[212:213], v[234:235], v[248:249], v[212:213]
	ds_load_2addr_b64 v[232:235], v250 offset0:60 offset1:61
	v_add_f64 v[120:121], v[120:121], -v[124:125]
	v_add_f64 v[122:123], v[122:123], -v[212:213]
	s_waitcnt lgkmcnt(0)
	v_mul_f64 v[124:125], v[234:235], v[126:127]
	v_mul_f64 v[212:213], v[232:233], v[126:127]
	s_delay_alu instid0(VALU_DEP_2) | instskip(NEXT) | instid1(VALU_DEP_2)
	v_fma_f64 v[124:125], v[232:233], v[248:249], -v[124:125]
	v_fma_f64 v[212:213], v[234:235], v[248:249], v[212:213]
	ds_load_2addr_b64 v[232:235], v250 offset0:62 offset1:63
	v_add_f64 v[116:117], v[116:117], -v[124:125]
	v_add_f64 v[118:119], v[118:119], -v[212:213]
	s_waitcnt lgkmcnt(0)
	v_mul_f64 v[124:125], v[234:235], v[126:127]
	v_mul_f64 v[212:213], v[232:233], v[126:127]
	s_delay_alu instid0(VALU_DEP_2) | instskip(NEXT) | instid1(VALU_DEP_2)
	v_fma_f64 v[124:125], v[232:233], v[248:249], -v[124:125]
	;; [unrolled: 9-line block ×30, first 2 shown]
	v_fma_f64 v[212:213], v[234:235], v[248:249], v[212:213]
	s_delay_alu instid0(VALU_DEP_2) | instskip(NEXT) | instid1(VALU_DEP_2)
	v_add_f64 v[228:229], v[228:229], -v[124:125]
	v_add_f64 v[230:231], v[230:231], -v[212:213]
	v_dual_mov_b32 v124, v248 :: v_dual_mov_b32 v125, v249
.LBB118_608:
	s_or_b32 exec_lo, exec_lo, s2
	v_lshl_add_u32 v212, v255, 4, v250
	s_barrier
	buffer_gl0_inv
	v_mov_b32_e32 v248, 29
	ds_store_2addr_b64 v212, v[120:121], v[122:123] offset1:1
	s_waitcnt lgkmcnt(0)
	s_barrier
	buffer_gl0_inv
	ds_load_2addr_b64 v[240:243], v250 offset0:58 offset1:59
	s_cmp_lt_i32 s12, 31
	s_cbranch_scc1 .LBB118_611
; %bb.609:
	v_add3_u32 v245, v254, 0, 0x1e0
	v_mov_b32_e32 v248, 29
	s_mov_b32 s2, 30
	s_set_inst_prefetch_distance 0x1
	.p2align	6
.LBB118_610:                            ; =>This Inner Loop Header: Depth=1
	s_waitcnt lgkmcnt(0)
	v_cmp_gt_f64_e32 vcc_lo, 0, v[240:241]
	v_xor_b32_e32 v212, 0x80000000, v241
	v_xor_b32_e32 v214, 0x80000000, v243
	ds_load_2addr_b64 v[232:235], v245 offset1:1
	v_add_nc_u32_e32 v245, 16, v245
	s_waitcnt lgkmcnt(0)
	v_xor_b32_e32 v216, 0x80000000, v235
	v_cndmask_b32_e32 v213, v241, v212, vcc_lo
	v_cndmask_b32_e32 v212, v240, v240, vcc_lo
	v_cmp_gt_f64_e32 vcc_lo, 0, v[242:243]
	v_cndmask_b32_e32 v215, v243, v214, vcc_lo
	v_cndmask_b32_e32 v214, v242, v242, vcc_lo
	v_cmp_gt_f64_e32 vcc_lo, 0, v[232:233]
	s_delay_alu instid0(VALU_DEP_2) | instskip(SKIP_1) | instid1(VALU_DEP_1)
	v_add_f64 v[212:213], v[212:213], v[214:215]
	v_xor_b32_e32 v214, 0x80000000, v233
	v_dual_cndmask_b32 v215, v233, v214 :: v_dual_mov_b32 v214, v232
	v_cmp_gt_f64_e32 vcc_lo, 0, v[234:235]
	v_dual_cndmask_b32 v217, v235, v216 :: v_dual_mov_b32 v216, v234
	s_delay_alu instid0(VALU_DEP_1) | instskip(NEXT) | instid1(VALU_DEP_1)
	v_add_f64 v[214:215], v[214:215], v[216:217]
	v_cmp_lt_f64_e32 vcc_lo, v[212:213], v[214:215]
	v_dual_cndmask_b32 v241, v241, v233 :: v_dual_cndmask_b32 v240, v240, v232
	v_dual_cndmask_b32 v243, v243, v235 :: v_dual_cndmask_b32 v242, v242, v234
	v_cndmask_b32_e64 v248, v248, s2, vcc_lo
	s_add_i32 s2, s2, 1
	s_delay_alu instid0(SALU_CYCLE_1)
	s_cmp_lg_u32 s12, s2
	s_cbranch_scc1 .LBB118_610
.LBB118_611:
	s_set_inst_prefetch_distance 0x2
	s_waitcnt lgkmcnt(0)
	v_cmp_eq_f64_e32 vcc_lo, 0, v[240:241]
	v_cmp_eq_f64_e64 s2, 0, v[242:243]
	s_delay_alu instid0(VALU_DEP_1) | instskip(NEXT) | instid1(SALU_CYCLE_1)
	s_and_b32 s2, vcc_lo, s2
	s_and_saveexec_b32 s3, s2
	s_delay_alu instid0(SALU_CYCLE_1)
	s_xor_b32 s2, exec_lo, s3
; %bb.612:
	v_cmp_ne_u32_e32 vcc_lo, 0, v253
	v_cndmask_b32_e32 v253, 30, v253, vcc_lo
; %bb.613:
	s_and_not1_saveexec_b32 s2, s2
	s_cbranch_execz .LBB118_619
; %bb.614:
	v_cmp_gt_f64_e32 vcc_lo, 0, v[240:241]
	v_xor_b32_e32 v212, 0x80000000, v241
	v_xor_b32_e32 v214, 0x80000000, v243
	s_mov_b32 s3, exec_lo
	s_delay_alu instid0(VALU_DEP_2) | instskip(SKIP_4) | instid1(VALU_DEP_1)
	v_cndmask_b32_e32 v213, v241, v212, vcc_lo
	v_cndmask_b32_e32 v212, v240, v240, vcc_lo
	v_cmp_gt_f64_e32 vcc_lo, 0, v[242:243]
	v_cndmask_b32_e32 v215, v243, v214, vcc_lo
	v_cndmask_b32_e32 v214, v242, v242, vcc_lo
	v_cmpx_ngt_f64_e32 v[212:213], v[214:215]
	s_xor_b32 s3, exec_lo, s3
	s_cbranch_execz .LBB118_616
; %bb.615:
	v_div_scale_f64 v[212:213], null, v[242:243], v[242:243], v[240:241]
	v_div_scale_f64 v[218:219], vcc_lo, v[240:241], v[242:243], v[240:241]
	s_delay_alu instid0(VALU_DEP_2) | instskip(SKIP_2) | instid1(VALU_DEP_1)
	v_rcp_f64_e32 v[214:215], v[212:213]
	s_waitcnt_depctr 0xfff
	v_fma_f64 v[216:217], -v[212:213], v[214:215], 1.0
	v_fma_f64 v[214:215], v[214:215], v[216:217], v[214:215]
	s_delay_alu instid0(VALU_DEP_1) | instskip(NEXT) | instid1(VALU_DEP_1)
	v_fma_f64 v[216:217], -v[212:213], v[214:215], 1.0
	v_fma_f64 v[214:215], v[214:215], v[216:217], v[214:215]
	s_delay_alu instid0(VALU_DEP_1) | instskip(NEXT) | instid1(VALU_DEP_1)
	v_mul_f64 v[216:217], v[218:219], v[214:215]
	v_fma_f64 v[212:213], -v[212:213], v[216:217], v[218:219]
	s_delay_alu instid0(VALU_DEP_1) | instskip(NEXT) | instid1(VALU_DEP_1)
	v_div_fmas_f64 v[212:213], v[212:213], v[214:215], v[216:217]
	v_div_fixup_f64 v[212:213], v[212:213], v[242:243], v[240:241]
	s_delay_alu instid0(VALU_DEP_1) | instskip(NEXT) | instid1(VALU_DEP_1)
	v_fma_f64 v[214:215], v[240:241], v[212:213], v[242:243]
	v_div_scale_f64 v[216:217], null, v[214:215], v[214:215], 1.0
	s_delay_alu instid0(VALU_DEP_1) | instskip(SKIP_2) | instid1(VALU_DEP_1)
	v_rcp_f64_e32 v[218:219], v[216:217]
	s_waitcnt_depctr 0xfff
	v_fma_f64 v[220:221], -v[216:217], v[218:219], 1.0
	v_fma_f64 v[218:219], v[218:219], v[220:221], v[218:219]
	s_delay_alu instid0(VALU_DEP_1) | instskip(NEXT) | instid1(VALU_DEP_1)
	v_fma_f64 v[220:221], -v[216:217], v[218:219], 1.0
	v_fma_f64 v[218:219], v[218:219], v[220:221], v[218:219]
	v_div_scale_f64 v[220:221], vcc_lo, 1.0, v[214:215], 1.0
	s_delay_alu instid0(VALU_DEP_1) | instskip(NEXT) | instid1(VALU_DEP_1)
	v_mul_f64 v[222:223], v[220:221], v[218:219]
	v_fma_f64 v[216:217], -v[216:217], v[222:223], v[220:221]
	s_delay_alu instid0(VALU_DEP_1) | instskip(NEXT) | instid1(VALU_DEP_1)
	v_div_fmas_f64 v[216:217], v[216:217], v[218:219], v[222:223]
	v_div_fixup_f64 v[242:243], v[216:217], v[214:215], 1.0
	s_delay_alu instid0(VALU_DEP_1)
	v_mul_f64 v[240:241], v[212:213], v[242:243]
	v_xor_b32_e32 v243, 0x80000000, v243
.LBB118_616:
	s_and_not1_saveexec_b32 s3, s3
	s_cbranch_execz .LBB118_618
; %bb.617:
	s_delay_alu instid0(VALU_DEP_1) | instskip(SKIP_1) | instid1(VALU_DEP_2)
	v_div_scale_f64 v[212:213], null, v[240:241], v[240:241], v[242:243]
	v_div_scale_f64 v[218:219], vcc_lo, v[242:243], v[240:241], v[242:243]
	v_rcp_f64_e32 v[214:215], v[212:213]
	s_waitcnt_depctr 0xfff
	v_fma_f64 v[216:217], -v[212:213], v[214:215], 1.0
	s_delay_alu instid0(VALU_DEP_1) | instskip(NEXT) | instid1(VALU_DEP_1)
	v_fma_f64 v[214:215], v[214:215], v[216:217], v[214:215]
	v_fma_f64 v[216:217], -v[212:213], v[214:215], 1.0
	s_delay_alu instid0(VALU_DEP_1) | instskip(NEXT) | instid1(VALU_DEP_1)
	v_fma_f64 v[214:215], v[214:215], v[216:217], v[214:215]
	v_mul_f64 v[216:217], v[218:219], v[214:215]
	s_delay_alu instid0(VALU_DEP_1) | instskip(NEXT) | instid1(VALU_DEP_1)
	v_fma_f64 v[212:213], -v[212:213], v[216:217], v[218:219]
	v_div_fmas_f64 v[212:213], v[212:213], v[214:215], v[216:217]
	s_delay_alu instid0(VALU_DEP_1) | instskip(NEXT) | instid1(VALU_DEP_1)
	v_div_fixup_f64 v[212:213], v[212:213], v[240:241], v[242:243]
	v_fma_f64 v[214:215], v[242:243], v[212:213], v[240:241]
	s_delay_alu instid0(VALU_DEP_1) | instskip(NEXT) | instid1(VALU_DEP_1)
	v_div_scale_f64 v[216:217], null, v[214:215], v[214:215], 1.0
	v_rcp_f64_e32 v[218:219], v[216:217]
	s_waitcnt_depctr 0xfff
	v_fma_f64 v[220:221], -v[216:217], v[218:219], 1.0
	s_delay_alu instid0(VALU_DEP_1) | instskip(NEXT) | instid1(VALU_DEP_1)
	v_fma_f64 v[218:219], v[218:219], v[220:221], v[218:219]
	v_fma_f64 v[220:221], -v[216:217], v[218:219], 1.0
	s_delay_alu instid0(VALU_DEP_1) | instskip(SKIP_1) | instid1(VALU_DEP_1)
	v_fma_f64 v[218:219], v[218:219], v[220:221], v[218:219]
	v_div_scale_f64 v[220:221], vcc_lo, 1.0, v[214:215], 1.0
	v_mul_f64 v[222:223], v[220:221], v[218:219]
	s_delay_alu instid0(VALU_DEP_1) | instskip(NEXT) | instid1(VALU_DEP_1)
	v_fma_f64 v[216:217], -v[216:217], v[222:223], v[220:221]
	v_div_fmas_f64 v[216:217], v[216:217], v[218:219], v[222:223]
	s_delay_alu instid0(VALU_DEP_1) | instskip(NEXT) | instid1(VALU_DEP_1)
	v_div_fixup_f64 v[240:241], v[216:217], v[214:215], 1.0
	v_mul_f64 v[242:243], v[212:213], -v[240:241]
.LBB118_618:
	s_or_b32 exec_lo, exec_lo, s3
.LBB118_619:
	s_delay_alu instid0(SALU_CYCLE_1) | instskip(NEXT) | instid1(SALU_CYCLE_1)
	s_or_b32 exec_lo, exec_lo, s2
	s_mov_b32 s2, exec_lo
	v_cmpx_ne_u32_e64 v255, v248
	s_xor_b32 s2, exec_lo, s2
	s_cbranch_execz .LBB118_625
; %bb.620:
	s_mov_b32 s3, exec_lo
	v_cmpx_eq_u32_e32 29, v255
	s_cbranch_execz .LBB118_624
; %bb.621:
	v_cmp_ne_u32_e32 vcc_lo, 29, v248
	s_xor_b32 s4, s5, -1
	s_delay_alu instid0(SALU_CYCLE_1) | instskip(NEXT) | instid1(SALU_CYCLE_1)
	s_and_b32 s6, s4, vcc_lo
	s_and_saveexec_b32 s4, s6
	s_cbranch_execz .LBB118_623
; %bb.622:
	scratch_load_b64 v[208:209], off, off offset:16 ; 8-byte Folded Reload
	v_ashrrev_i32_e32 v249, 31, v248
	s_delay_alu instid0(VALU_DEP_1) | instskip(SKIP_1) | instid1(VALU_DEP_1)
	v_lshlrev_b64 v[212:213], 2, v[248:249]
	s_waitcnt vmcnt(0)
	v_add_co_u32 v212, vcc_lo, v208, v212
	s_delay_alu instid0(VALU_DEP_2)
	v_add_co_ci_u32_e32 v213, vcc_lo, v209, v213, vcc_lo
	s_clause 0x1
	flat_load_b32 v214, v[212:213]
	flat_load_b32 v215, v[208:209] offset:116
	s_waitcnt vmcnt(1) lgkmcnt(1)
	flat_store_b32 v[208:209], v214 offset:116
	s_waitcnt vmcnt(0) lgkmcnt(1)
	flat_store_b32 v[212:213], v215
.LBB118_623:
	s_or_b32 exec_lo, exec_lo, s4
	v_mov_b32_e32 v255, v248
	v_mov_b32_e32 v244, v248
.LBB118_624:
	s_or_b32 exec_lo, exec_lo, s3
.LBB118_625:
	s_and_not1_saveexec_b32 s2, s2
	s_cbranch_execz .LBB118_627
; %bb.626:
	v_mov_b32_e32 v255, 29
	ds_store_2addr_b64 v250, v[116:117], v[118:119] offset0:60 offset1:61
	ds_store_2addr_b64 v250, v[112:113], v[114:115] offset0:62 offset1:63
	;; [unrolled: 1-line block ×30, first 2 shown]
.LBB118_627:
	s_or_b32 exec_lo, exec_lo, s2
	s_delay_alu instid0(SALU_CYCLE_1)
	s_mov_b32 s2, exec_lo
	s_waitcnt lgkmcnt(0)
	s_waitcnt_vscnt null, 0x0
	s_barrier
	buffer_gl0_inv
	v_cmpx_lt_i32_e32 29, v255
	s_cbranch_execz .LBB118_629
; %bb.628:
	v_mul_f64 v[212:213], v[242:243], v[122:123]
	v_mul_f64 v[122:123], v[240:241], v[122:123]
	ds_load_2addr_b64 v[232:235], v250 offset0:60 offset1:61
	v_fma_f64 v[248:249], v[240:241], v[120:121], -v[212:213]
	v_fma_f64 v[122:123], v[242:243], v[120:121], v[122:123]
	s_waitcnt lgkmcnt(0)
	s_delay_alu instid0(VALU_DEP_1) | instskip(SKIP_1) | instid1(VALU_DEP_2)
	v_mul_f64 v[120:121], v[234:235], v[122:123]
	v_mul_f64 v[212:213], v[232:233], v[122:123]
	v_fma_f64 v[120:121], v[232:233], v[248:249], -v[120:121]
	s_delay_alu instid0(VALU_DEP_2)
	v_fma_f64 v[212:213], v[234:235], v[248:249], v[212:213]
	ds_load_2addr_b64 v[232:235], v250 offset0:62 offset1:63
	v_add_f64 v[116:117], v[116:117], -v[120:121]
	v_add_f64 v[118:119], v[118:119], -v[212:213]
	s_waitcnt lgkmcnt(0)
	v_mul_f64 v[120:121], v[234:235], v[122:123]
	v_mul_f64 v[212:213], v[232:233], v[122:123]
	s_delay_alu instid0(VALU_DEP_2) | instskip(NEXT) | instid1(VALU_DEP_2)
	v_fma_f64 v[120:121], v[232:233], v[248:249], -v[120:121]
	v_fma_f64 v[212:213], v[234:235], v[248:249], v[212:213]
	ds_load_2addr_b64 v[232:235], v250 offset0:64 offset1:65
	v_add_f64 v[112:113], v[112:113], -v[120:121]
	v_add_f64 v[114:115], v[114:115], -v[212:213]
	s_waitcnt lgkmcnt(0)
	v_mul_f64 v[120:121], v[234:235], v[122:123]
	v_mul_f64 v[212:213], v[232:233], v[122:123]
	s_delay_alu instid0(VALU_DEP_2) | instskip(NEXT) | instid1(VALU_DEP_2)
	v_fma_f64 v[120:121], v[232:233], v[248:249], -v[120:121]
	v_fma_f64 v[212:213], v[234:235], v[248:249], v[212:213]
	ds_load_2addr_b64 v[232:235], v250 offset0:66 offset1:67
	v_add_f64 v[108:109], v[108:109], -v[120:121]
	v_add_f64 v[110:111], v[110:111], -v[212:213]
	s_waitcnt lgkmcnt(0)
	v_mul_f64 v[120:121], v[234:235], v[122:123]
	v_mul_f64 v[212:213], v[232:233], v[122:123]
	s_delay_alu instid0(VALU_DEP_2) | instskip(NEXT) | instid1(VALU_DEP_2)
	v_fma_f64 v[120:121], v[232:233], v[248:249], -v[120:121]
	v_fma_f64 v[212:213], v[234:235], v[248:249], v[212:213]
	ds_load_2addr_b64 v[232:235], v250 offset0:68 offset1:69
	v_add_f64 v[104:105], v[104:105], -v[120:121]
	v_add_f64 v[106:107], v[106:107], -v[212:213]
	s_waitcnt lgkmcnt(0)
	v_mul_f64 v[120:121], v[234:235], v[122:123]
	v_mul_f64 v[212:213], v[232:233], v[122:123]
	s_delay_alu instid0(VALU_DEP_2) | instskip(NEXT) | instid1(VALU_DEP_2)
	v_fma_f64 v[120:121], v[232:233], v[248:249], -v[120:121]
	v_fma_f64 v[212:213], v[234:235], v[248:249], v[212:213]
	ds_load_2addr_b64 v[232:235], v250 offset0:70 offset1:71
	v_add_f64 v[100:101], v[100:101], -v[120:121]
	v_add_f64 v[102:103], v[102:103], -v[212:213]
	s_waitcnt lgkmcnt(0)
	v_mul_f64 v[120:121], v[234:235], v[122:123]
	v_mul_f64 v[212:213], v[232:233], v[122:123]
	s_delay_alu instid0(VALU_DEP_2) | instskip(NEXT) | instid1(VALU_DEP_2)
	v_fma_f64 v[120:121], v[232:233], v[248:249], -v[120:121]
	v_fma_f64 v[212:213], v[234:235], v[248:249], v[212:213]
	ds_load_2addr_b64 v[232:235], v250 offset0:72 offset1:73
	v_add_f64 v[96:97], v[96:97], -v[120:121]
	v_add_f64 v[98:99], v[98:99], -v[212:213]
	s_waitcnt lgkmcnt(0)
	v_mul_f64 v[120:121], v[234:235], v[122:123]
	v_mul_f64 v[212:213], v[232:233], v[122:123]
	s_delay_alu instid0(VALU_DEP_2) | instskip(NEXT) | instid1(VALU_DEP_2)
	v_fma_f64 v[120:121], v[232:233], v[248:249], -v[120:121]
	v_fma_f64 v[212:213], v[234:235], v[248:249], v[212:213]
	ds_load_2addr_b64 v[232:235], v250 offset0:74 offset1:75
	v_add_f64 v[92:93], v[92:93], -v[120:121]
	v_add_f64 v[94:95], v[94:95], -v[212:213]
	s_waitcnt lgkmcnt(0)
	v_mul_f64 v[120:121], v[234:235], v[122:123]
	v_mul_f64 v[212:213], v[232:233], v[122:123]
	s_delay_alu instid0(VALU_DEP_2) | instskip(NEXT) | instid1(VALU_DEP_2)
	v_fma_f64 v[120:121], v[232:233], v[248:249], -v[120:121]
	v_fma_f64 v[212:213], v[234:235], v[248:249], v[212:213]
	ds_load_2addr_b64 v[232:235], v250 offset0:76 offset1:77
	v_add_f64 v[88:89], v[88:89], -v[120:121]
	v_add_f64 v[90:91], v[90:91], -v[212:213]
	s_waitcnt lgkmcnt(0)
	v_mul_f64 v[120:121], v[234:235], v[122:123]
	v_mul_f64 v[212:213], v[232:233], v[122:123]
	s_delay_alu instid0(VALU_DEP_2) | instskip(NEXT) | instid1(VALU_DEP_2)
	v_fma_f64 v[120:121], v[232:233], v[248:249], -v[120:121]
	v_fma_f64 v[212:213], v[234:235], v[248:249], v[212:213]
	ds_load_2addr_b64 v[232:235], v250 offset0:78 offset1:79
	v_add_f64 v[84:85], v[84:85], -v[120:121]
	v_add_f64 v[86:87], v[86:87], -v[212:213]
	s_waitcnt lgkmcnt(0)
	v_mul_f64 v[120:121], v[234:235], v[122:123]
	v_mul_f64 v[212:213], v[232:233], v[122:123]
	s_delay_alu instid0(VALU_DEP_2) | instskip(NEXT) | instid1(VALU_DEP_2)
	v_fma_f64 v[120:121], v[232:233], v[248:249], -v[120:121]
	v_fma_f64 v[212:213], v[234:235], v[248:249], v[212:213]
	ds_load_2addr_b64 v[232:235], v250 offset0:80 offset1:81
	v_add_f64 v[80:81], v[80:81], -v[120:121]
	v_add_f64 v[82:83], v[82:83], -v[212:213]
	s_waitcnt lgkmcnt(0)
	v_mul_f64 v[120:121], v[234:235], v[122:123]
	v_mul_f64 v[212:213], v[232:233], v[122:123]
	s_delay_alu instid0(VALU_DEP_2) | instskip(NEXT) | instid1(VALU_DEP_2)
	v_fma_f64 v[120:121], v[232:233], v[248:249], -v[120:121]
	v_fma_f64 v[212:213], v[234:235], v[248:249], v[212:213]
	ds_load_2addr_b64 v[232:235], v250 offset0:82 offset1:83
	v_add_f64 v[76:77], v[76:77], -v[120:121]
	v_add_f64 v[78:79], v[78:79], -v[212:213]
	s_waitcnt lgkmcnt(0)
	v_mul_f64 v[120:121], v[234:235], v[122:123]
	v_mul_f64 v[212:213], v[232:233], v[122:123]
	s_delay_alu instid0(VALU_DEP_2) | instskip(NEXT) | instid1(VALU_DEP_2)
	v_fma_f64 v[120:121], v[232:233], v[248:249], -v[120:121]
	v_fma_f64 v[212:213], v[234:235], v[248:249], v[212:213]
	ds_load_2addr_b64 v[232:235], v250 offset0:84 offset1:85
	v_add_f64 v[72:73], v[72:73], -v[120:121]
	v_add_f64 v[74:75], v[74:75], -v[212:213]
	s_waitcnt lgkmcnt(0)
	v_mul_f64 v[120:121], v[234:235], v[122:123]
	v_mul_f64 v[212:213], v[232:233], v[122:123]
	s_delay_alu instid0(VALU_DEP_2) | instskip(NEXT) | instid1(VALU_DEP_2)
	v_fma_f64 v[120:121], v[232:233], v[248:249], -v[120:121]
	v_fma_f64 v[212:213], v[234:235], v[248:249], v[212:213]
	ds_load_2addr_b64 v[232:235], v250 offset0:86 offset1:87
	v_add_f64 v[68:69], v[68:69], -v[120:121]
	v_add_f64 v[70:71], v[70:71], -v[212:213]
	s_waitcnt lgkmcnt(0)
	v_mul_f64 v[120:121], v[234:235], v[122:123]
	v_mul_f64 v[212:213], v[232:233], v[122:123]
	s_delay_alu instid0(VALU_DEP_2) | instskip(NEXT) | instid1(VALU_DEP_2)
	v_fma_f64 v[120:121], v[232:233], v[248:249], -v[120:121]
	v_fma_f64 v[212:213], v[234:235], v[248:249], v[212:213]
	ds_load_2addr_b64 v[232:235], v250 offset0:88 offset1:89
	v_add_f64 v[64:65], v[64:65], -v[120:121]
	v_add_f64 v[66:67], v[66:67], -v[212:213]
	s_waitcnt lgkmcnt(0)
	v_mul_f64 v[120:121], v[234:235], v[122:123]
	v_mul_f64 v[212:213], v[232:233], v[122:123]
	s_delay_alu instid0(VALU_DEP_2) | instskip(NEXT) | instid1(VALU_DEP_2)
	v_fma_f64 v[120:121], v[232:233], v[248:249], -v[120:121]
	v_fma_f64 v[212:213], v[234:235], v[248:249], v[212:213]
	ds_load_2addr_b64 v[232:235], v250 offset0:90 offset1:91
	v_add_f64 v[60:61], v[60:61], -v[120:121]
	v_add_f64 v[62:63], v[62:63], -v[212:213]
	s_waitcnt lgkmcnt(0)
	v_mul_f64 v[120:121], v[234:235], v[122:123]
	v_mul_f64 v[212:213], v[232:233], v[122:123]
	s_delay_alu instid0(VALU_DEP_2) | instskip(NEXT) | instid1(VALU_DEP_2)
	v_fma_f64 v[120:121], v[232:233], v[248:249], -v[120:121]
	v_fma_f64 v[212:213], v[234:235], v[248:249], v[212:213]
	ds_load_2addr_b64 v[232:235], v250 offset0:92 offset1:93
	v_add_f64 v[56:57], v[56:57], -v[120:121]
	v_add_f64 v[58:59], v[58:59], -v[212:213]
	s_waitcnt lgkmcnt(0)
	v_mul_f64 v[120:121], v[234:235], v[122:123]
	v_mul_f64 v[212:213], v[232:233], v[122:123]
	s_delay_alu instid0(VALU_DEP_2) | instskip(NEXT) | instid1(VALU_DEP_2)
	v_fma_f64 v[120:121], v[232:233], v[248:249], -v[120:121]
	v_fma_f64 v[212:213], v[234:235], v[248:249], v[212:213]
	ds_load_2addr_b64 v[232:235], v250 offset0:94 offset1:95
	v_add_f64 v[52:53], v[52:53], -v[120:121]
	v_add_f64 v[54:55], v[54:55], -v[212:213]
	s_waitcnt lgkmcnt(0)
	v_mul_f64 v[120:121], v[234:235], v[122:123]
	v_mul_f64 v[212:213], v[232:233], v[122:123]
	s_delay_alu instid0(VALU_DEP_2) | instskip(NEXT) | instid1(VALU_DEP_2)
	v_fma_f64 v[120:121], v[232:233], v[248:249], -v[120:121]
	v_fma_f64 v[212:213], v[234:235], v[248:249], v[212:213]
	ds_load_2addr_b64 v[232:235], v250 offset0:96 offset1:97
	v_add_f64 v[48:49], v[48:49], -v[120:121]
	v_add_f64 v[50:51], v[50:51], -v[212:213]
	s_waitcnt lgkmcnt(0)
	v_mul_f64 v[120:121], v[234:235], v[122:123]
	v_mul_f64 v[212:213], v[232:233], v[122:123]
	s_delay_alu instid0(VALU_DEP_2) | instskip(NEXT) | instid1(VALU_DEP_2)
	v_fma_f64 v[120:121], v[232:233], v[248:249], -v[120:121]
	v_fma_f64 v[212:213], v[234:235], v[248:249], v[212:213]
	ds_load_2addr_b64 v[232:235], v250 offset0:98 offset1:99
	v_add_f64 v[44:45], v[44:45], -v[120:121]
	v_add_f64 v[46:47], v[46:47], -v[212:213]
	s_waitcnt lgkmcnt(0)
	v_mul_f64 v[120:121], v[234:235], v[122:123]
	v_mul_f64 v[212:213], v[232:233], v[122:123]
	s_delay_alu instid0(VALU_DEP_2) | instskip(NEXT) | instid1(VALU_DEP_2)
	v_fma_f64 v[120:121], v[232:233], v[248:249], -v[120:121]
	v_fma_f64 v[212:213], v[234:235], v[248:249], v[212:213]
	ds_load_2addr_b64 v[232:235], v250 offset0:100 offset1:101
	v_add_f64 v[40:41], v[40:41], -v[120:121]
	v_add_f64 v[42:43], v[42:43], -v[212:213]
	s_waitcnt lgkmcnt(0)
	v_mul_f64 v[120:121], v[234:235], v[122:123]
	v_mul_f64 v[212:213], v[232:233], v[122:123]
	s_delay_alu instid0(VALU_DEP_2) | instskip(NEXT) | instid1(VALU_DEP_2)
	v_fma_f64 v[120:121], v[232:233], v[248:249], -v[120:121]
	v_fma_f64 v[212:213], v[234:235], v[248:249], v[212:213]
	ds_load_2addr_b64 v[232:235], v250 offset0:102 offset1:103
	v_add_f64 v[36:37], v[36:37], -v[120:121]
	v_add_f64 v[38:39], v[38:39], -v[212:213]
	s_waitcnt lgkmcnt(0)
	v_mul_f64 v[120:121], v[234:235], v[122:123]
	v_mul_f64 v[212:213], v[232:233], v[122:123]
	s_delay_alu instid0(VALU_DEP_2) | instskip(NEXT) | instid1(VALU_DEP_2)
	v_fma_f64 v[120:121], v[232:233], v[248:249], -v[120:121]
	v_fma_f64 v[212:213], v[234:235], v[248:249], v[212:213]
	ds_load_2addr_b64 v[232:235], v250 offset0:104 offset1:105
	v_add_f64 v[32:33], v[32:33], -v[120:121]
	v_add_f64 v[34:35], v[34:35], -v[212:213]
	s_waitcnt lgkmcnt(0)
	v_mul_f64 v[120:121], v[234:235], v[122:123]
	v_mul_f64 v[212:213], v[232:233], v[122:123]
	s_delay_alu instid0(VALU_DEP_2) | instskip(NEXT) | instid1(VALU_DEP_2)
	v_fma_f64 v[120:121], v[232:233], v[248:249], -v[120:121]
	v_fma_f64 v[212:213], v[234:235], v[248:249], v[212:213]
	ds_load_2addr_b64 v[232:235], v250 offset0:106 offset1:107
	v_add_f64 v[28:29], v[28:29], -v[120:121]
	v_add_f64 v[30:31], v[30:31], -v[212:213]
	s_waitcnt lgkmcnt(0)
	v_mul_f64 v[120:121], v[234:235], v[122:123]
	v_mul_f64 v[212:213], v[232:233], v[122:123]
	s_delay_alu instid0(VALU_DEP_2) | instskip(NEXT) | instid1(VALU_DEP_2)
	v_fma_f64 v[120:121], v[232:233], v[248:249], -v[120:121]
	v_fma_f64 v[212:213], v[234:235], v[248:249], v[212:213]
	ds_load_2addr_b64 v[232:235], v250 offset0:108 offset1:109
	v_add_f64 v[24:25], v[24:25], -v[120:121]
	v_add_f64 v[26:27], v[26:27], -v[212:213]
	s_waitcnt lgkmcnt(0)
	v_mul_f64 v[120:121], v[234:235], v[122:123]
	v_mul_f64 v[212:213], v[232:233], v[122:123]
	s_delay_alu instid0(VALU_DEP_2) | instskip(NEXT) | instid1(VALU_DEP_2)
	v_fma_f64 v[120:121], v[232:233], v[248:249], -v[120:121]
	v_fma_f64 v[212:213], v[234:235], v[248:249], v[212:213]
	ds_load_2addr_b64 v[232:235], v250 offset0:110 offset1:111
	v_add_f64 v[20:21], v[20:21], -v[120:121]
	v_add_f64 v[22:23], v[22:23], -v[212:213]
	s_waitcnt lgkmcnt(0)
	v_mul_f64 v[120:121], v[234:235], v[122:123]
	v_mul_f64 v[212:213], v[232:233], v[122:123]
	s_delay_alu instid0(VALU_DEP_2) | instskip(NEXT) | instid1(VALU_DEP_2)
	v_fma_f64 v[120:121], v[232:233], v[248:249], -v[120:121]
	v_fma_f64 v[212:213], v[234:235], v[248:249], v[212:213]
	ds_load_2addr_b64 v[232:235], v250 offset0:112 offset1:113
	v_add_f64 v[16:17], v[16:17], -v[120:121]
	v_add_f64 v[18:19], v[18:19], -v[212:213]
	s_waitcnt lgkmcnt(0)
	v_mul_f64 v[120:121], v[234:235], v[122:123]
	v_mul_f64 v[212:213], v[232:233], v[122:123]
	s_delay_alu instid0(VALU_DEP_2) | instskip(NEXT) | instid1(VALU_DEP_2)
	v_fma_f64 v[120:121], v[232:233], v[248:249], -v[120:121]
	v_fma_f64 v[212:213], v[234:235], v[248:249], v[212:213]
	ds_load_2addr_b64 v[232:235], v250 offset0:114 offset1:115
	v_add_f64 v[12:13], v[12:13], -v[120:121]
	v_add_f64 v[14:15], v[14:15], -v[212:213]
	s_waitcnt lgkmcnt(0)
	v_mul_f64 v[120:121], v[234:235], v[122:123]
	v_mul_f64 v[212:213], v[232:233], v[122:123]
	s_delay_alu instid0(VALU_DEP_2) | instskip(NEXT) | instid1(VALU_DEP_2)
	v_fma_f64 v[120:121], v[232:233], v[248:249], -v[120:121]
	v_fma_f64 v[212:213], v[234:235], v[248:249], v[212:213]
	ds_load_2addr_b64 v[232:235], v250 offset0:116 offset1:117
	v_add_f64 v[236:237], v[236:237], -v[120:121]
	v_add_f64 v[238:239], v[238:239], -v[212:213]
	s_waitcnt lgkmcnt(0)
	v_mul_f64 v[120:121], v[234:235], v[122:123]
	v_mul_f64 v[212:213], v[232:233], v[122:123]
	s_delay_alu instid0(VALU_DEP_2) | instskip(NEXT) | instid1(VALU_DEP_2)
	v_fma_f64 v[120:121], v[232:233], v[248:249], -v[120:121]
	v_fma_f64 v[212:213], v[234:235], v[248:249], v[212:213]
	ds_load_2addr_b64 v[232:235], v250 offset0:118 offset1:119
	v_add_f64 v[224:225], v[224:225], -v[120:121]
	v_add_f64 v[226:227], v[226:227], -v[212:213]
	s_waitcnt lgkmcnt(0)
	v_mul_f64 v[120:121], v[234:235], v[122:123]
	v_mul_f64 v[212:213], v[232:233], v[122:123]
	s_delay_alu instid0(VALU_DEP_2) | instskip(NEXT) | instid1(VALU_DEP_2)
	v_fma_f64 v[120:121], v[232:233], v[248:249], -v[120:121]
	v_fma_f64 v[212:213], v[234:235], v[248:249], v[212:213]
	s_delay_alu instid0(VALU_DEP_2) | instskip(NEXT) | instid1(VALU_DEP_2)
	v_add_f64 v[228:229], v[228:229], -v[120:121]
	v_add_f64 v[230:231], v[230:231], -v[212:213]
	v_dual_mov_b32 v120, v248 :: v_dual_mov_b32 v121, v249
.LBB118_629:
	s_or_b32 exec_lo, exec_lo, s2
	v_lshl_add_u32 v212, v255, 4, v250
	s_barrier
	buffer_gl0_inv
	v_mov_b32_e32 v248, 30
	ds_store_2addr_b64 v212, v[116:117], v[118:119] offset1:1
	s_waitcnt lgkmcnt(0)
	s_barrier
	buffer_gl0_inv
	ds_load_2addr_b64 v[240:243], v250 offset0:60 offset1:61
	s_cmp_lt_i32 s12, 32
	s_cbranch_scc1 .LBB118_632
; %bb.630:
	v_add3_u32 v245, v254, 0, 0x1f0
	v_mov_b32_e32 v248, 30
	s_mov_b32 s2, 31
	s_set_inst_prefetch_distance 0x1
	.p2align	6
.LBB118_631:                            ; =>This Inner Loop Header: Depth=1
	s_waitcnt lgkmcnt(0)
	v_cmp_gt_f64_e32 vcc_lo, 0, v[240:241]
	v_xor_b32_e32 v212, 0x80000000, v241
	v_xor_b32_e32 v214, 0x80000000, v243
	ds_load_2addr_b64 v[232:235], v245 offset1:1
	v_add_nc_u32_e32 v245, 16, v245
	s_waitcnt lgkmcnt(0)
	v_xor_b32_e32 v216, 0x80000000, v235
	v_cndmask_b32_e32 v213, v241, v212, vcc_lo
	v_cndmask_b32_e32 v212, v240, v240, vcc_lo
	v_cmp_gt_f64_e32 vcc_lo, 0, v[242:243]
	v_cndmask_b32_e32 v215, v243, v214, vcc_lo
	v_cndmask_b32_e32 v214, v242, v242, vcc_lo
	v_cmp_gt_f64_e32 vcc_lo, 0, v[232:233]
	s_delay_alu instid0(VALU_DEP_2) | instskip(SKIP_1) | instid1(VALU_DEP_1)
	v_add_f64 v[212:213], v[212:213], v[214:215]
	v_xor_b32_e32 v214, 0x80000000, v233
	v_dual_cndmask_b32 v215, v233, v214 :: v_dual_mov_b32 v214, v232
	v_cmp_gt_f64_e32 vcc_lo, 0, v[234:235]
	v_dual_cndmask_b32 v217, v235, v216 :: v_dual_mov_b32 v216, v234
	s_delay_alu instid0(VALU_DEP_1) | instskip(NEXT) | instid1(VALU_DEP_1)
	v_add_f64 v[214:215], v[214:215], v[216:217]
	v_cmp_lt_f64_e32 vcc_lo, v[212:213], v[214:215]
	v_dual_cndmask_b32 v241, v241, v233 :: v_dual_cndmask_b32 v240, v240, v232
	v_dual_cndmask_b32 v243, v243, v235 :: v_dual_cndmask_b32 v242, v242, v234
	v_cndmask_b32_e64 v248, v248, s2, vcc_lo
	s_add_i32 s2, s2, 1
	s_delay_alu instid0(SALU_CYCLE_1)
	s_cmp_lg_u32 s12, s2
	s_cbranch_scc1 .LBB118_631
.LBB118_632:
	s_set_inst_prefetch_distance 0x2
	s_waitcnt lgkmcnt(0)
	v_cmp_eq_f64_e32 vcc_lo, 0, v[240:241]
	v_cmp_eq_f64_e64 s2, 0, v[242:243]
	s_delay_alu instid0(VALU_DEP_1) | instskip(NEXT) | instid1(SALU_CYCLE_1)
	s_and_b32 s2, vcc_lo, s2
	s_and_saveexec_b32 s3, s2
	s_delay_alu instid0(SALU_CYCLE_1)
	s_xor_b32 s2, exec_lo, s3
; %bb.633:
	v_cmp_ne_u32_e32 vcc_lo, 0, v253
	v_cndmask_b32_e32 v253, 31, v253, vcc_lo
; %bb.634:
	s_and_not1_saveexec_b32 s2, s2
	s_cbranch_execz .LBB118_640
; %bb.635:
	v_cmp_gt_f64_e32 vcc_lo, 0, v[240:241]
	v_xor_b32_e32 v212, 0x80000000, v241
	v_xor_b32_e32 v214, 0x80000000, v243
	s_mov_b32 s3, exec_lo
	s_delay_alu instid0(VALU_DEP_2) | instskip(SKIP_4) | instid1(VALU_DEP_1)
	v_cndmask_b32_e32 v213, v241, v212, vcc_lo
	v_cndmask_b32_e32 v212, v240, v240, vcc_lo
	v_cmp_gt_f64_e32 vcc_lo, 0, v[242:243]
	v_cndmask_b32_e32 v215, v243, v214, vcc_lo
	v_cndmask_b32_e32 v214, v242, v242, vcc_lo
	v_cmpx_ngt_f64_e32 v[212:213], v[214:215]
	s_xor_b32 s3, exec_lo, s3
	s_cbranch_execz .LBB118_637
; %bb.636:
	v_div_scale_f64 v[212:213], null, v[242:243], v[242:243], v[240:241]
	v_div_scale_f64 v[218:219], vcc_lo, v[240:241], v[242:243], v[240:241]
	s_delay_alu instid0(VALU_DEP_2) | instskip(SKIP_2) | instid1(VALU_DEP_1)
	v_rcp_f64_e32 v[214:215], v[212:213]
	s_waitcnt_depctr 0xfff
	v_fma_f64 v[216:217], -v[212:213], v[214:215], 1.0
	v_fma_f64 v[214:215], v[214:215], v[216:217], v[214:215]
	s_delay_alu instid0(VALU_DEP_1) | instskip(NEXT) | instid1(VALU_DEP_1)
	v_fma_f64 v[216:217], -v[212:213], v[214:215], 1.0
	v_fma_f64 v[214:215], v[214:215], v[216:217], v[214:215]
	s_delay_alu instid0(VALU_DEP_1) | instskip(NEXT) | instid1(VALU_DEP_1)
	v_mul_f64 v[216:217], v[218:219], v[214:215]
	v_fma_f64 v[212:213], -v[212:213], v[216:217], v[218:219]
	s_delay_alu instid0(VALU_DEP_1) | instskip(NEXT) | instid1(VALU_DEP_1)
	v_div_fmas_f64 v[212:213], v[212:213], v[214:215], v[216:217]
	v_div_fixup_f64 v[212:213], v[212:213], v[242:243], v[240:241]
	s_delay_alu instid0(VALU_DEP_1) | instskip(NEXT) | instid1(VALU_DEP_1)
	v_fma_f64 v[214:215], v[240:241], v[212:213], v[242:243]
	v_div_scale_f64 v[216:217], null, v[214:215], v[214:215], 1.0
	s_delay_alu instid0(VALU_DEP_1) | instskip(SKIP_2) | instid1(VALU_DEP_1)
	v_rcp_f64_e32 v[218:219], v[216:217]
	s_waitcnt_depctr 0xfff
	v_fma_f64 v[220:221], -v[216:217], v[218:219], 1.0
	v_fma_f64 v[218:219], v[218:219], v[220:221], v[218:219]
	s_delay_alu instid0(VALU_DEP_1) | instskip(NEXT) | instid1(VALU_DEP_1)
	v_fma_f64 v[220:221], -v[216:217], v[218:219], 1.0
	v_fma_f64 v[218:219], v[218:219], v[220:221], v[218:219]
	v_div_scale_f64 v[220:221], vcc_lo, 1.0, v[214:215], 1.0
	s_delay_alu instid0(VALU_DEP_1) | instskip(NEXT) | instid1(VALU_DEP_1)
	v_mul_f64 v[222:223], v[220:221], v[218:219]
	v_fma_f64 v[216:217], -v[216:217], v[222:223], v[220:221]
	s_delay_alu instid0(VALU_DEP_1) | instskip(NEXT) | instid1(VALU_DEP_1)
	v_div_fmas_f64 v[216:217], v[216:217], v[218:219], v[222:223]
	v_div_fixup_f64 v[242:243], v[216:217], v[214:215], 1.0
	s_delay_alu instid0(VALU_DEP_1)
	v_mul_f64 v[240:241], v[212:213], v[242:243]
	v_xor_b32_e32 v243, 0x80000000, v243
.LBB118_637:
	s_and_not1_saveexec_b32 s3, s3
	s_cbranch_execz .LBB118_639
; %bb.638:
	s_delay_alu instid0(VALU_DEP_1) | instskip(SKIP_1) | instid1(VALU_DEP_2)
	v_div_scale_f64 v[212:213], null, v[240:241], v[240:241], v[242:243]
	v_div_scale_f64 v[218:219], vcc_lo, v[242:243], v[240:241], v[242:243]
	v_rcp_f64_e32 v[214:215], v[212:213]
	s_waitcnt_depctr 0xfff
	v_fma_f64 v[216:217], -v[212:213], v[214:215], 1.0
	s_delay_alu instid0(VALU_DEP_1) | instskip(NEXT) | instid1(VALU_DEP_1)
	v_fma_f64 v[214:215], v[214:215], v[216:217], v[214:215]
	v_fma_f64 v[216:217], -v[212:213], v[214:215], 1.0
	s_delay_alu instid0(VALU_DEP_1) | instskip(NEXT) | instid1(VALU_DEP_1)
	v_fma_f64 v[214:215], v[214:215], v[216:217], v[214:215]
	v_mul_f64 v[216:217], v[218:219], v[214:215]
	s_delay_alu instid0(VALU_DEP_1) | instskip(NEXT) | instid1(VALU_DEP_1)
	v_fma_f64 v[212:213], -v[212:213], v[216:217], v[218:219]
	v_div_fmas_f64 v[212:213], v[212:213], v[214:215], v[216:217]
	s_delay_alu instid0(VALU_DEP_1) | instskip(NEXT) | instid1(VALU_DEP_1)
	v_div_fixup_f64 v[212:213], v[212:213], v[240:241], v[242:243]
	v_fma_f64 v[214:215], v[242:243], v[212:213], v[240:241]
	s_delay_alu instid0(VALU_DEP_1) | instskip(NEXT) | instid1(VALU_DEP_1)
	v_div_scale_f64 v[216:217], null, v[214:215], v[214:215], 1.0
	v_rcp_f64_e32 v[218:219], v[216:217]
	s_waitcnt_depctr 0xfff
	v_fma_f64 v[220:221], -v[216:217], v[218:219], 1.0
	s_delay_alu instid0(VALU_DEP_1) | instskip(NEXT) | instid1(VALU_DEP_1)
	v_fma_f64 v[218:219], v[218:219], v[220:221], v[218:219]
	v_fma_f64 v[220:221], -v[216:217], v[218:219], 1.0
	s_delay_alu instid0(VALU_DEP_1) | instskip(SKIP_1) | instid1(VALU_DEP_1)
	v_fma_f64 v[218:219], v[218:219], v[220:221], v[218:219]
	v_div_scale_f64 v[220:221], vcc_lo, 1.0, v[214:215], 1.0
	v_mul_f64 v[222:223], v[220:221], v[218:219]
	s_delay_alu instid0(VALU_DEP_1) | instskip(NEXT) | instid1(VALU_DEP_1)
	v_fma_f64 v[216:217], -v[216:217], v[222:223], v[220:221]
	v_div_fmas_f64 v[216:217], v[216:217], v[218:219], v[222:223]
	s_delay_alu instid0(VALU_DEP_1) | instskip(NEXT) | instid1(VALU_DEP_1)
	v_div_fixup_f64 v[240:241], v[216:217], v[214:215], 1.0
	v_mul_f64 v[242:243], v[212:213], -v[240:241]
.LBB118_639:
	s_or_b32 exec_lo, exec_lo, s3
.LBB118_640:
	s_delay_alu instid0(SALU_CYCLE_1) | instskip(NEXT) | instid1(SALU_CYCLE_1)
	s_or_b32 exec_lo, exec_lo, s2
	s_mov_b32 s2, exec_lo
	v_cmpx_ne_u32_e64 v255, v248
	s_xor_b32 s2, exec_lo, s2
	s_cbranch_execz .LBB118_646
; %bb.641:
	s_mov_b32 s3, exec_lo
	v_cmpx_eq_u32_e32 30, v255
	s_cbranch_execz .LBB118_645
; %bb.642:
	v_cmp_ne_u32_e32 vcc_lo, 30, v248
	s_xor_b32 s4, s5, -1
	s_delay_alu instid0(SALU_CYCLE_1) | instskip(NEXT) | instid1(SALU_CYCLE_1)
	s_and_b32 s6, s4, vcc_lo
	s_and_saveexec_b32 s4, s6
	s_cbranch_execz .LBB118_644
; %bb.643:
	scratch_load_b64 v[208:209], off, off offset:16 ; 8-byte Folded Reload
	v_ashrrev_i32_e32 v249, 31, v248
	s_delay_alu instid0(VALU_DEP_1) | instskip(SKIP_1) | instid1(VALU_DEP_1)
	v_lshlrev_b64 v[212:213], 2, v[248:249]
	s_waitcnt vmcnt(0)
	v_add_co_u32 v212, vcc_lo, v208, v212
	s_delay_alu instid0(VALU_DEP_2)
	v_add_co_ci_u32_e32 v213, vcc_lo, v209, v213, vcc_lo
	s_clause 0x1
	flat_load_b32 v214, v[212:213]
	flat_load_b32 v215, v[208:209] offset:120
	s_waitcnt vmcnt(1) lgkmcnt(1)
	flat_store_b32 v[208:209], v214 offset:120
	s_waitcnt vmcnt(0) lgkmcnt(1)
	flat_store_b32 v[212:213], v215
.LBB118_644:
	s_or_b32 exec_lo, exec_lo, s4
	v_mov_b32_e32 v255, v248
	v_mov_b32_e32 v244, v248
.LBB118_645:
	s_or_b32 exec_lo, exec_lo, s3
.LBB118_646:
	s_and_not1_saveexec_b32 s2, s2
	s_cbranch_execz .LBB118_648
; %bb.647:
	v_mov_b32_e32 v255, 30
	ds_store_2addr_b64 v250, v[112:113], v[114:115] offset0:62 offset1:63
	ds_store_2addr_b64 v250, v[108:109], v[110:111] offset0:64 offset1:65
	;; [unrolled: 1-line block ×29, first 2 shown]
.LBB118_648:
	s_or_b32 exec_lo, exec_lo, s2
	s_delay_alu instid0(SALU_CYCLE_1)
	s_mov_b32 s2, exec_lo
	s_waitcnt lgkmcnt(0)
	s_waitcnt_vscnt null, 0x0
	s_barrier
	buffer_gl0_inv
	v_cmpx_lt_i32_e32 30, v255
	s_cbranch_execz .LBB118_650
; %bb.649:
	v_mul_f64 v[212:213], v[242:243], v[118:119]
	v_mul_f64 v[118:119], v[240:241], v[118:119]
	ds_load_2addr_b64 v[232:235], v250 offset0:62 offset1:63
	v_fma_f64 v[248:249], v[240:241], v[116:117], -v[212:213]
	v_fma_f64 v[118:119], v[242:243], v[116:117], v[118:119]
	s_waitcnt lgkmcnt(0)
	s_delay_alu instid0(VALU_DEP_1) | instskip(SKIP_1) | instid1(VALU_DEP_2)
	v_mul_f64 v[116:117], v[234:235], v[118:119]
	v_mul_f64 v[212:213], v[232:233], v[118:119]
	v_fma_f64 v[116:117], v[232:233], v[248:249], -v[116:117]
	s_delay_alu instid0(VALU_DEP_2)
	v_fma_f64 v[212:213], v[234:235], v[248:249], v[212:213]
	ds_load_2addr_b64 v[232:235], v250 offset0:64 offset1:65
	v_add_f64 v[112:113], v[112:113], -v[116:117]
	v_add_f64 v[114:115], v[114:115], -v[212:213]
	s_waitcnt lgkmcnt(0)
	v_mul_f64 v[116:117], v[234:235], v[118:119]
	v_mul_f64 v[212:213], v[232:233], v[118:119]
	s_delay_alu instid0(VALU_DEP_2) | instskip(NEXT) | instid1(VALU_DEP_2)
	v_fma_f64 v[116:117], v[232:233], v[248:249], -v[116:117]
	v_fma_f64 v[212:213], v[234:235], v[248:249], v[212:213]
	ds_load_2addr_b64 v[232:235], v250 offset0:66 offset1:67
	v_add_f64 v[108:109], v[108:109], -v[116:117]
	v_add_f64 v[110:111], v[110:111], -v[212:213]
	s_waitcnt lgkmcnt(0)
	v_mul_f64 v[116:117], v[234:235], v[118:119]
	v_mul_f64 v[212:213], v[232:233], v[118:119]
	s_delay_alu instid0(VALU_DEP_2) | instskip(NEXT) | instid1(VALU_DEP_2)
	v_fma_f64 v[116:117], v[232:233], v[248:249], -v[116:117]
	;; [unrolled: 9-line block ×28, first 2 shown]
	v_fma_f64 v[212:213], v[234:235], v[248:249], v[212:213]
	s_delay_alu instid0(VALU_DEP_2) | instskip(NEXT) | instid1(VALU_DEP_2)
	v_add_f64 v[228:229], v[228:229], -v[116:117]
	v_add_f64 v[230:231], v[230:231], -v[212:213]
	v_dual_mov_b32 v116, v248 :: v_dual_mov_b32 v117, v249
.LBB118_650:
	s_or_b32 exec_lo, exec_lo, s2
	v_lshl_add_u32 v212, v255, 4, v250
	s_barrier
	buffer_gl0_inv
	v_mov_b32_e32 v248, 31
	ds_store_2addr_b64 v212, v[112:113], v[114:115] offset1:1
	s_waitcnt lgkmcnt(0)
	s_barrier
	buffer_gl0_inv
	ds_load_2addr_b64 v[240:243], v250 offset0:62 offset1:63
	s_cmp_lt_i32 s12, 33
	s_cbranch_scc1 .LBB118_653
; %bb.651:
	v_add3_u32 v245, v254, 0, 0x200
	v_mov_b32_e32 v248, 31
	s_mov_b32 s2, 32
	s_set_inst_prefetch_distance 0x1
	.p2align	6
.LBB118_652:                            ; =>This Inner Loop Header: Depth=1
	s_waitcnt lgkmcnt(0)
	v_cmp_gt_f64_e32 vcc_lo, 0, v[240:241]
	v_xor_b32_e32 v212, 0x80000000, v241
	v_xor_b32_e32 v214, 0x80000000, v243
	ds_load_2addr_b64 v[232:235], v245 offset1:1
	v_add_nc_u32_e32 v245, 16, v245
	s_waitcnt lgkmcnt(0)
	v_xor_b32_e32 v216, 0x80000000, v235
	v_cndmask_b32_e32 v213, v241, v212, vcc_lo
	v_cndmask_b32_e32 v212, v240, v240, vcc_lo
	v_cmp_gt_f64_e32 vcc_lo, 0, v[242:243]
	v_cndmask_b32_e32 v215, v243, v214, vcc_lo
	v_cndmask_b32_e32 v214, v242, v242, vcc_lo
	v_cmp_gt_f64_e32 vcc_lo, 0, v[232:233]
	s_delay_alu instid0(VALU_DEP_2) | instskip(SKIP_1) | instid1(VALU_DEP_1)
	v_add_f64 v[212:213], v[212:213], v[214:215]
	v_xor_b32_e32 v214, 0x80000000, v233
	v_dual_cndmask_b32 v215, v233, v214 :: v_dual_mov_b32 v214, v232
	v_cmp_gt_f64_e32 vcc_lo, 0, v[234:235]
	v_dual_cndmask_b32 v217, v235, v216 :: v_dual_mov_b32 v216, v234
	s_delay_alu instid0(VALU_DEP_1) | instskip(NEXT) | instid1(VALU_DEP_1)
	v_add_f64 v[214:215], v[214:215], v[216:217]
	v_cmp_lt_f64_e32 vcc_lo, v[212:213], v[214:215]
	v_dual_cndmask_b32 v241, v241, v233 :: v_dual_cndmask_b32 v240, v240, v232
	v_dual_cndmask_b32 v243, v243, v235 :: v_dual_cndmask_b32 v242, v242, v234
	v_cndmask_b32_e64 v248, v248, s2, vcc_lo
	s_add_i32 s2, s2, 1
	s_delay_alu instid0(SALU_CYCLE_1)
	s_cmp_lg_u32 s12, s2
	s_cbranch_scc1 .LBB118_652
.LBB118_653:
	s_set_inst_prefetch_distance 0x2
	s_waitcnt lgkmcnt(0)
	v_cmp_eq_f64_e32 vcc_lo, 0, v[240:241]
	v_cmp_eq_f64_e64 s2, 0, v[242:243]
	s_delay_alu instid0(VALU_DEP_1) | instskip(NEXT) | instid1(SALU_CYCLE_1)
	s_and_b32 s2, vcc_lo, s2
	s_and_saveexec_b32 s3, s2
	s_delay_alu instid0(SALU_CYCLE_1)
	s_xor_b32 s2, exec_lo, s3
; %bb.654:
	v_cmp_ne_u32_e32 vcc_lo, 0, v253
	v_cndmask_b32_e32 v253, 32, v253, vcc_lo
; %bb.655:
	s_and_not1_saveexec_b32 s2, s2
	s_cbranch_execz .LBB118_661
; %bb.656:
	v_cmp_gt_f64_e32 vcc_lo, 0, v[240:241]
	v_xor_b32_e32 v212, 0x80000000, v241
	v_xor_b32_e32 v214, 0x80000000, v243
	s_mov_b32 s3, exec_lo
	s_delay_alu instid0(VALU_DEP_2) | instskip(SKIP_4) | instid1(VALU_DEP_1)
	v_cndmask_b32_e32 v213, v241, v212, vcc_lo
	v_cndmask_b32_e32 v212, v240, v240, vcc_lo
	v_cmp_gt_f64_e32 vcc_lo, 0, v[242:243]
	v_cndmask_b32_e32 v215, v243, v214, vcc_lo
	v_cndmask_b32_e32 v214, v242, v242, vcc_lo
	v_cmpx_ngt_f64_e32 v[212:213], v[214:215]
	s_xor_b32 s3, exec_lo, s3
	s_cbranch_execz .LBB118_658
; %bb.657:
	v_div_scale_f64 v[212:213], null, v[242:243], v[242:243], v[240:241]
	v_div_scale_f64 v[218:219], vcc_lo, v[240:241], v[242:243], v[240:241]
	s_delay_alu instid0(VALU_DEP_2) | instskip(SKIP_2) | instid1(VALU_DEP_1)
	v_rcp_f64_e32 v[214:215], v[212:213]
	s_waitcnt_depctr 0xfff
	v_fma_f64 v[216:217], -v[212:213], v[214:215], 1.0
	v_fma_f64 v[214:215], v[214:215], v[216:217], v[214:215]
	s_delay_alu instid0(VALU_DEP_1) | instskip(NEXT) | instid1(VALU_DEP_1)
	v_fma_f64 v[216:217], -v[212:213], v[214:215], 1.0
	v_fma_f64 v[214:215], v[214:215], v[216:217], v[214:215]
	s_delay_alu instid0(VALU_DEP_1) | instskip(NEXT) | instid1(VALU_DEP_1)
	v_mul_f64 v[216:217], v[218:219], v[214:215]
	v_fma_f64 v[212:213], -v[212:213], v[216:217], v[218:219]
	s_delay_alu instid0(VALU_DEP_1) | instskip(NEXT) | instid1(VALU_DEP_1)
	v_div_fmas_f64 v[212:213], v[212:213], v[214:215], v[216:217]
	v_div_fixup_f64 v[212:213], v[212:213], v[242:243], v[240:241]
	s_delay_alu instid0(VALU_DEP_1) | instskip(NEXT) | instid1(VALU_DEP_1)
	v_fma_f64 v[214:215], v[240:241], v[212:213], v[242:243]
	v_div_scale_f64 v[216:217], null, v[214:215], v[214:215], 1.0
	s_delay_alu instid0(VALU_DEP_1) | instskip(SKIP_2) | instid1(VALU_DEP_1)
	v_rcp_f64_e32 v[218:219], v[216:217]
	s_waitcnt_depctr 0xfff
	v_fma_f64 v[220:221], -v[216:217], v[218:219], 1.0
	v_fma_f64 v[218:219], v[218:219], v[220:221], v[218:219]
	s_delay_alu instid0(VALU_DEP_1) | instskip(NEXT) | instid1(VALU_DEP_1)
	v_fma_f64 v[220:221], -v[216:217], v[218:219], 1.0
	v_fma_f64 v[218:219], v[218:219], v[220:221], v[218:219]
	v_div_scale_f64 v[220:221], vcc_lo, 1.0, v[214:215], 1.0
	s_delay_alu instid0(VALU_DEP_1) | instskip(NEXT) | instid1(VALU_DEP_1)
	v_mul_f64 v[222:223], v[220:221], v[218:219]
	v_fma_f64 v[216:217], -v[216:217], v[222:223], v[220:221]
	s_delay_alu instid0(VALU_DEP_1) | instskip(NEXT) | instid1(VALU_DEP_1)
	v_div_fmas_f64 v[216:217], v[216:217], v[218:219], v[222:223]
	v_div_fixup_f64 v[242:243], v[216:217], v[214:215], 1.0
	s_delay_alu instid0(VALU_DEP_1)
	v_mul_f64 v[240:241], v[212:213], v[242:243]
	v_xor_b32_e32 v243, 0x80000000, v243
.LBB118_658:
	s_and_not1_saveexec_b32 s3, s3
	s_cbranch_execz .LBB118_660
; %bb.659:
	s_delay_alu instid0(VALU_DEP_1) | instskip(SKIP_1) | instid1(VALU_DEP_2)
	v_div_scale_f64 v[212:213], null, v[240:241], v[240:241], v[242:243]
	v_div_scale_f64 v[218:219], vcc_lo, v[242:243], v[240:241], v[242:243]
	v_rcp_f64_e32 v[214:215], v[212:213]
	s_waitcnt_depctr 0xfff
	v_fma_f64 v[216:217], -v[212:213], v[214:215], 1.0
	s_delay_alu instid0(VALU_DEP_1) | instskip(NEXT) | instid1(VALU_DEP_1)
	v_fma_f64 v[214:215], v[214:215], v[216:217], v[214:215]
	v_fma_f64 v[216:217], -v[212:213], v[214:215], 1.0
	s_delay_alu instid0(VALU_DEP_1) | instskip(NEXT) | instid1(VALU_DEP_1)
	v_fma_f64 v[214:215], v[214:215], v[216:217], v[214:215]
	v_mul_f64 v[216:217], v[218:219], v[214:215]
	s_delay_alu instid0(VALU_DEP_1) | instskip(NEXT) | instid1(VALU_DEP_1)
	v_fma_f64 v[212:213], -v[212:213], v[216:217], v[218:219]
	v_div_fmas_f64 v[212:213], v[212:213], v[214:215], v[216:217]
	s_delay_alu instid0(VALU_DEP_1) | instskip(NEXT) | instid1(VALU_DEP_1)
	v_div_fixup_f64 v[212:213], v[212:213], v[240:241], v[242:243]
	v_fma_f64 v[214:215], v[242:243], v[212:213], v[240:241]
	s_delay_alu instid0(VALU_DEP_1) | instskip(NEXT) | instid1(VALU_DEP_1)
	v_div_scale_f64 v[216:217], null, v[214:215], v[214:215], 1.0
	v_rcp_f64_e32 v[218:219], v[216:217]
	s_waitcnt_depctr 0xfff
	v_fma_f64 v[220:221], -v[216:217], v[218:219], 1.0
	s_delay_alu instid0(VALU_DEP_1) | instskip(NEXT) | instid1(VALU_DEP_1)
	v_fma_f64 v[218:219], v[218:219], v[220:221], v[218:219]
	v_fma_f64 v[220:221], -v[216:217], v[218:219], 1.0
	s_delay_alu instid0(VALU_DEP_1) | instskip(SKIP_1) | instid1(VALU_DEP_1)
	v_fma_f64 v[218:219], v[218:219], v[220:221], v[218:219]
	v_div_scale_f64 v[220:221], vcc_lo, 1.0, v[214:215], 1.0
	v_mul_f64 v[222:223], v[220:221], v[218:219]
	s_delay_alu instid0(VALU_DEP_1) | instskip(NEXT) | instid1(VALU_DEP_1)
	v_fma_f64 v[216:217], -v[216:217], v[222:223], v[220:221]
	v_div_fmas_f64 v[216:217], v[216:217], v[218:219], v[222:223]
	s_delay_alu instid0(VALU_DEP_1) | instskip(NEXT) | instid1(VALU_DEP_1)
	v_div_fixup_f64 v[240:241], v[216:217], v[214:215], 1.0
	v_mul_f64 v[242:243], v[212:213], -v[240:241]
.LBB118_660:
	s_or_b32 exec_lo, exec_lo, s3
.LBB118_661:
	s_delay_alu instid0(SALU_CYCLE_1) | instskip(NEXT) | instid1(SALU_CYCLE_1)
	s_or_b32 exec_lo, exec_lo, s2
	s_mov_b32 s2, exec_lo
	v_cmpx_ne_u32_e64 v255, v248
	s_xor_b32 s2, exec_lo, s2
	s_cbranch_execz .LBB118_667
; %bb.662:
	s_mov_b32 s3, exec_lo
	v_cmpx_eq_u32_e32 31, v255
	s_cbranch_execz .LBB118_666
; %bb.663:
	v_cmp_ne_u32_e32 vcc_lo, 31, v248
	s_xor_b32 s4, s5, -1
	s_delay_alu instid0(SALU_CYCLE_1) | instskip(NEXT) | instid1(SALU_CYCLE_1)
	s_and_b32 s6, s4, vcc_lo
	s_and_saveexec_b32 s4, s6
	s_cbranch_execz .LBB118_665
; %bb.664:
	scratch_load_b64 v[208:209], off, off offset:16 ; 8-byte Folded Reload
	v_ashrrev_i32_e32 v249, 31, v248
	s_delay_alu instid0(VALU_DEP_1) | instskip(SKIP_1) | instid1(VALU_DEP_1)
	v_lshlrev_b64 v[212:213], 2, v[248:249]
	s_waitcnt vmcnt(0)
	v_add_co_u32 v212, vcc_lo, v208, v212
	s_delay_alu instid0(VALU_DEP_2)
	v_add_co_ci_u32_e32 v213, vcc_lo, v209, v213, vcc_lo
	s_clause 0x1
	flat_load_b32 v214, v[212:213]
	flat_load_b32 v215, v[208:209] offset:124
	s_waitcnt vmcnt(1) lgkmcnt(1)
	flat_store_b32 v[208:209], v214 offset:124
	s_waitcnt vmcnt(0) lgkmcnt(1)
	flat_store_b32 v[212:213], v215
.LBB118_665:
	s_or_b32 exec_lo, exec_lo, s4
	v_mov_b32_e32 v255, v248
	v_mov_b32_e32 v244, v248
.LBB118_666:
	s_or_b32 exec_lo, exec_lo, s3
.LBB118_667:
	s_and_not1_saveexec_b32 s2, s2
	s_cbranch_execz .LBB118_669
; %bb.668:
	v_mov_b32_e32 v255, 31
	ds_store_2addr_b64 v250, v[108:109], v[110:111] offset0:64 offset1:65
	ds_store_2addr_b64 v250, v[104:105], v[106:107] offset0:66 offset1:67
	;; [unrolled: 1-line block ×28, first 2 shown]
.LBB118_669:
	s_or_b32 exec_lo, exec_lo, s2
	s_delay_alu instid0(SALU_CYCLE_1)
	s_mov_b32 s2, exec_lo
	s_waitcnt lgkmcnt(0)
	s_waitcnt_vscnt null, 0x0
	s_barrier
	buffer_gl0_inv
	v_cmpx_lt_i32_e32 31, v255
	s_cbranch_execz .LBB118_671
; %bb.670:
	v_mul_f64 v[212:213], v[242:243], v[114:115]
	v_mul_f64 v[114:115], v[240:241], v[114:115]
	ds_load_2addr_b64 v[232:235], v250 offset0:64 offset1:65
	v_fma_f64 v[248:249], v[240:241], v[112:113], -v[212:213]
	v_fma_f64 v[114:115], v[242:243], v[112:113], v[114:115]
	s_waitcnt lgkmcnt(0)
	s_delay_alu instid0(VALU_DEP_1) | instskip(SKIP_1) | instid1(VALU_DEP_2)
	v_mul_f64 v[112:113], v[234:235], v[114:115]
	v_mul_f64 v[212:213], v[232:233], v[114:115]
	v_fma_f64 v[112:113], v[232:233], v[248:249], -v[112:113]
	s_delay_alu instid0(VALU_DEP_2)
	v_fma_f64 v[212:213], v[234:235], v[248:249], v[212:213]
	ds_load_2addr_b64 v[232:235], v250 offset0:66 offset1:67
	v_add_f64 v[108:109], v[108:109], -v[112:113]
	v_add_f64 v[110:111], v[110:111], -v[212:213]
	s_waitcnt lgkmcnt(0)
	v_mul_f64 v[112:113], v[234:235], v[114:115]
	v_mul_f64 v[212:213], v[232:233], v[114:115]
	s_delay_alu instid0(VALU_DEP_2) | instskip(NEXT) | instid1(VALU_DEP_2)
	v_fma_f64 v[112:113], v[232:233], v[248:249], -v[112:113]
	v_fma_f64 v[212:213], v[234:235], v[248:249], v[212:213]
	ds_load_2addr_b64 v[232:235], v250 offset0:68 offset1:69
	v_add_f64 v[104:105], v[104:105], -v[112:113]
	v_add_f64 v[106:107], v[106:107], -v[212:213]
	s_waitcnt lgkmcnt(0)
	v_mul_f64 v[112:113], v[234:235], v[114:115]
	v_mul_f64 v[212:213], v[232:233], v[114:115]
	s_delay_alu instid0(VALU_DEP_2) | instskip(NEXT) | instid1(VALU_DEP_2)
	v_fma_f64 v[112:113], v[232:233], v[248:249], -v[112:113]
	;; [unrolled: 9-line block ×27, first 2 shown]
	v_fma_f64 v[212:213], v[234:235], v[248:249], v[212:213]
	s_delay_alu instid0(VALU_DEP_2) | instskip(NEXT) | instid1(VALU_DEP_2)
	v_add_f64 v[228:229], v[228:229], -v[112:113]
	v_add_f64 v[230:231], v[230:231], -v[212:213]
	v_dual_mov_b32 v112, v248 :: v_dual_mov_b32 v113, v249
.LBB118_671:
	s_or_b32 exec_lo, exec_lo, s2
	v_lshl_add_u32 v212, v255, 4, v250
	s_barrier
	buffer_gl0_inv
	v_mov_b32_e32 v248, 32
	ds_store_2addr_b64 v212, v[108:109], v[110:111] offset1:1
	s_waitcnt lgkmcnt(0)
	s_barrier
	buffer_gl0_inv
	ds_load_2addr_b64 v[240:243], v250 offset0:64 offset1:65
	s_cmp_lt_i32 s12, 34
	s_cbranch_scc1 .LBB118_674
; %bb.672:
	v_add3_u32 v245, v254, 0, 0x210
	v_mov_b32_e32 v248, 32
	s_mov_b32 s2, 33
	s_set_inst_prefetch_distance 0x1
	.p2align	6
.LBB118_673:                            ; =>This Inner Loop Header: Depth=1
	s_waitcnt lgkmcnt(0)
	v_cmp_gt_f64_e32 vcc_lo, 0, v[240:241]
	v_xor_b32_e32 v212, 0x80000000, v241
	v_xor_b32_e32 v214, 0x80000000, v243
	ds_load_2addr_b64 v[232:235], v245 offset1:1
	v_add_nc_u32_e32 v245, 16, v245
	s_waitcnt lgkmcnt(0)
	v_xor_b32_e32 v216, 0x80000000, v235
	v_cndmask_b32_e32 v213, v241, v212, vcc_lo
	v_cndmask_b32_e32 v212, v240, v240, vcc_lo
	v_cmp_gt_f64_e32 vcc_lo, 0, v[242:243]
	v_cndmask_b32_e32 v215, v243, v214, vcc_lo
	v_cndmask_b32_e32 v214, v242, v242, vcc_lo
	v_cmp_gt_f64_e32 vcc_lo, 0, v[232:233]
	s_delay_alu instid0(VALU_DEP_2) | instskip(SKIP_1) | instid1(VALU_DEP_1)
	v_add_f64 v[212:213], v[212:213], v[214:215]
	v_xor_b32_e32 v214, 0x80000000, v233
	v_dual_cndmask_b32 v215, v233, v214 :: v_dual_mov_b32 v214, v232
	v_cmp_gt_f64_e32 vcc_lo, 0, v[234:235]
	v_dual_cndmask_b32 v217, v235, v216 :: v_dual_mov_b32 v216, v234
	s_delay_alu instid0(VALU_DEP_1) | instskip(NEXT) | instid1(VALU_DEP_1)
	v_add_f64 v[214:215], v[214:215], v[216:217]
	v_cmp_lt_f64_e32 vcc_lo, v[212:213], v[214:215]
	v_dual_cndmask_b32 v241, v241, v233 :: v_dual_cndmask_b32 v240, v240, v232
	v_dual_cndmask_b32 v243, v243, v235 :: v_dual_cndmask_b32 v242, v242, v234
	v_cndmask_b32_e64 v248, v248, s2, vcc_lo
	s_add_i32 s2, s2, 1
	s_delay_alu instid0(SALU_CYCLE_1)
	s_cmp_lg_u32 s12, s2
	s_cbranch_scc1 .LBB118_673
.LBB118_674:
	s_set_inst_prefetch_distance 0x2
	s_waitcnt lgkmcnt(0)
	v_cmp_eq_f64_e32 vcc_lo, 0, v[240:241]
	v_cmp_eq_f64_e64 s2, 0, v[242:243]
	s_delay_alu instid0(VALU_DEP_1) | instskip(NEXT) | instid1(SALU_CYCLE_1)
	s_and_b32 s2, vcc_lo, s2
	s_and_saveexec_b32 s3, s2
	s_delay_alu instid0(SALU_CYCLE_1)
	s_xor_b32 s2, exec_lo, s3
; %bb.675:
	v_cmp_ne_u32_e32 vcc_lo, 0, v253
	v_cndmask_b32_e32 v253, 33, v253, vcc_lo
; %bb.676:
	s_and_not1_saveexec_b32 s2, s2
	s_cbranch_execz .LBB118_682
; %bb.677:
	v_cmp_gt_f64_e32 vcc_lo, 0, v[240:241]
	v_xor_b32_e32 v212, 0x80000000, v241
	v_xor_b32_e32 v214, 0x80000000, v243
	s_mov_b32 s3, exec_lo
	s_delay_alu instid0(VALU_DEP_2) | instskip(SKIP_4) | instid1(VALU_DEP_1)
	v_cndmask_b32_e32 v213, v241, v212, vcc_lo
	v_cndmask_b32_e32 v212, v240, v240, vcc_lo
	v_cmp_gt_f64_e32 vcc_lo, 0, v[242:243]
	v_cndmask_b32_e32 v215, v243, v214, vcc_lo
	v_cndmask_b32_e32 v214, v242, v242, vcc_lo
	v_cmpx_ngt_f64_e32 v[212:213], v[214:215]
	s_xor_b32 s3, exec_lo, s3
	s_cbranch_execz .LBB118_679
; %bb.678:
	v_div_scale_f64 v[212:213], null, v[242:243], v[242:243], v[240:241]
	v_div_scale_f64 v[218:219], vcc_lo, v[240:241], v[242:243], v[240:241]
	s_delay_alu instid0(VALU_DEP_2) | instskip(SKIP_2) | instid1(VALU_DEP_1)
	v_rcp_f64_e32 v[214:215], v[212:213]
	s_waitcnt_depctr 0xfff
	v_fma_f64 v[216:217], -v[212:213], v[214:215], 1.0
	v_fma_f64 v[214:215], v[214:215], v[216:217], v[214:215]
	s_delay_alu instid0(VALU_DEP_1) | instskip(NEXT) | instid1(VALU_DEP_1)
	v_fma_f64 v[216:217], -v[212:213], v[214:215], 1.0
	v_fma_f64 v[214:215], v[214:215], v[216:217], v[214:215]
	s_delay_alu instid0(VALU_DEP_1) | instskip(NEXT) | instid1(VALU_DEP_1)
	v_mul_f64 v[216:217], v[218:219], v[214:215]
	v_fma_f64 v[212:213], -v[212:213], v[216:217], v[218:219]
	s_delay_alu instid0(VALU_DEP_1) | instskip(NEXT) | instid1(VALU_DEP_1)
	v_div_fmas_f64 v[212:213], v[212:213], v[214:215], v[216:217]
	v_div_fixup_f64 v[212:213], v[212:213], v[242:243], v[240:241]
	s_delay_alu instid0(VALU_DEP_1) | instskip(NEXT) | instid1(VALU_DEP_1)
	v_fma_f64 v[214:215], v[240:241], v[212:213], v[242:243]
	v_div_scale_f64 v[216:217], null, v[214:215], v[214:215], 1.0
	s_delay_alu instid0(VALU_DEP_1) | instskip(SKIP_2) | instid1(VALU_DEP_1)
	v_rcp_f64_e32 v[218:219], v[216:217]
	s_waitcnt_depctr 0xfff
	v_fma_f64 v[220:221], -v[216:217], v[218:219], 1.0
	v_fma_f64 v[218:219], v[218:219], v[220:221], v[218:219]
	s_delay_alu instid0(VALU_DEP_1) | instskip(NEXT) | instid1(VALU_DEP_1)
	v_fma_f64 v[220:221], -v[216:217], v[218:219], 1.0
	v_fma_f64 v[218:219], v[218:219], v[220:221], v[218:219]
	v_div_scale_f64 v[220:221], vcc_lo, 1.0, v[214:215], 1.0
	s_delay_alu instid0(VALU_DEP_1) | instskip(NEXT) | instid1(VALU_DEP_1)
	v_mul_f64 v[222:223], v[220:221], v[218:219]
	v_fma_f64 v[216:217], -v[216:217], v[222:223], v[220:221]
	s_delay_alu instid0(VALU_DEP_1) | instskip(NEXT) | instid1(VALU_DEP_1)
	v_div_fmas_f64 v[216:217], v[216:217], v[218:219], v[222:223]
	v_div_fixup_f64 v[242:243], v[216:217], v[214:215], 1.0
	s_delay_alu instid0(VALU_DEP_1)
	v_mul_f64 v[240:241], v[212:213], v[242:243]
	v_xor_b32_e32 v243, 0x80000000, v243
.LBB118_679:
	s_and_not1_saveexec_b32 s3, s3
	s_cbranch_execz .LBB118_681
; %bb.680:
	s_delay_alu instid0(VALU_DEP_1) | instskip(SKIP_1) | instid1(VALU_DEP_2)
	v_div_scale_f64 v[212:213], null, v[240:241], v[240:241], v[242:243]
	v_div_scale_f64 v[218:219], vcc_lo, v[242:243], v[240:241], v[242:243]
	v_rcp_f64_e32 v[214:215], v[212:213]
	s_waitcnt_depctr 0xfff
	v_fma_f64 v[216:217], -v[212:213], v[214:215], 1.0
	s_delay_alu instid0(VALU_DEP_1) | instskip(NEXT) | instid1(VALU_DEP_1)
	v_fma_f64 v[214:215], v[214:215], v[216:217], v[214:215]
	v_fma_f64 v[216:217], -v[212:213], v[214:215], 1.0
	s_delay_alu instid0(VALU_DEP_1) | instskip(NEXT) | instid1(VALU_DEP_1)
	v_fma_f64 v[214:215], v[214:215], v[216:217], v[214:215]
	v_mul_f64 v[216:217], v[218:219], v[214:215]
	s_delay_alu instid0(VALU_DEP_1) | instskip(NEXT) | instid1(VALU_DEP_1)
	v_fma_f64 v[212:213], -v[212:213], v[216:217], v[218:219]
	v_div_fmas_f64 v[212:213], v[212:213], v[214:215], v[216:217]
	s_delay_alu instid0(VALU_DEP_1) | instskip(NEXT) | instid1(VALU_DEP_1)
	v_div_fixup_f64 v[212:213], v[212:213], v[240:241], v[242:243]
	v_fma_f64 v[214:215], v[242:243], v[212:213], v[240:241]
	s_delay_alu instid0(VALU_DEP_1) | instskip(NEXT) | instid1(VALU_DEP_1)
	v_div_scale_f64 v[216:217], null, v[214:215], v[214:215], 1.0
	v_rcp_f64_e32 v[218:219], v[216:217]
	s_waitcnt_depctr 0xfff
	v_fma_f64 v[220:221], -v[216:217], v[218:219], 1.0
	s_delay_alu instid0(VALU_DEP_1) | instskip(NEXT) | instid1(VALU_DEP_1)
	v_fma_f64 v[218:219], v[218:219], v[220:221], v[218:219]
	v_fma_f64 v[220:221], -v[216:217], v[218:219], 1.0
	s_delay_alu instid0(VALU_DEP_1) | instskip(SKIP_1) | instid1(VALU_DEP_1)
	v_fma_f64 v[218:219], v[218:219], v[220:221], v[218:219]
	v_div_scale_f64 v[220:221], vcc_lo, 1.0, v[214:215], 1.0
	v_mul_f64 v[222:223], v[220:221], v[218:219]
	s_delay_alu instid0(VALU_DEP_1) | instskip(NEXT) | instid1(VALU_DEP_1)
	v_fma_f64 v[216:217], -v[216:217], v[222:223], v[220:221]
	v_div_fmas_f64 v[216:217], v[216:217], v[218:219], v[222:223]
	s_delay_alu instid0(VALU_DEP_1) | instskip(NEXT) | instid1(VALU_DEP_1)
	v_div_fixup_f64 v[240:241], v[216:217], v[214:215], 1.0
	v_mul_f64 v[242:243], v[212:213], -v[240:241]
.LBB118_681:
	s_or_b32 exec_lo, exec_lo, s3
.LBB118_682:
	s_delay_alu instid0(SALU_CYCLE_1) | instskip(NEXT) | instid1(SALU_CYCLE_1)
	s_or_b32 exec_lo, exec_lo, s2
	s_mov_b32 s2, exec_lo
	v_cmpx_ne_u32_e64 v255, v248
	s_xor_b32 s2, exec_lo, s2
	s_cbranch_execz .LBB118_688
; %bb.683:
	s_mov_b32 s3, exec_lo
	v_cmpx_eq_u32_e32 32, v255
	s_cbranch_execz .LBB118_687
; %bb.684:
	v_cmp_ne_u32_e32 vcc_lo, 32, v248
	s_xor_b32 s4, s5, -1
	s_delay_alu instid0(SALU_CYCLE_1) | instskip(NEXT) | instid1(SALU_CYCLE_1)
	s_and_b32 s6, s4, vcc_lo
	s_and_saveexec_b32 s4, s6
	s_cbranch_execz .LBB118_686
; %bb.685:
	scratch_load_b64 v[208:209], off, off offset:16 ; 8-byte Folded Reload
	v_ashrrev_i32_e32 v249, 31, v248
	s_delay_alu instid0(VALU_DEP_1) | instskip(SKIP_1) | instid1(VALU_DEP_1)
	v_lshlrev_b64 v[212:213], 2, v[248:249]
	s_waitcnt vmcnt(0)
	v_add_co_u32 v212, vcc_lo, v208, v212
	s_delay_alu instid0(VALU_DEP_2)
	v_add_co_ci_u32_e32 v213, vcc_lo, v209, v213, vcc_lo
	s_clause 0x1
	flat_load_b32 v214, v[212:213]
	flat_load_b32 v215, v[208:209] offset:128
	s_waitcnt vmcnt(1) lgkmcnt(1)
	flat_store_b32 v[208:209], v214 offset:128
	s_waitcnt vmcnt(0) lgkmcnt(1)
	flat_store_b32 v[212:213], v215
.LBB118_686:
	s_or_b32 exec_lo, exec_lo, s4
	v_mov_b32_e32 v255, v248
	v_mov_b32_e32 v244, v248
.LBB118_687:
	s_or_b32 exec_lo, exec_lo, s3
.LBB118_688:
	s_and_not1_saveexec_b32 s2, s2
	s_cbranch_execz .LBB118_690
; %bb.689:
	v_mov_b32_e32 v255, 32
	ds_store_2addr_b64 v250, v[104:105], v[106:107] offset0:66 offset1:67
	ds_store_2addr_b64 v250, v[100:101], v[102:103] offset0:68 offset1:69
	;; [unrolled: 1-line block ×27, first 2 shown]
.LBB118_690:
	s_or_b32 exec_lo, exec_lo, s2
	s_delay_alu instid0(SALU_CYCLE_1)
	s_mov_b32 s2, exec_lo
	s_waitcnt lgkmcnt(0)
	s_waitcnt_vscnt null, 0x0
	s_barrier
	buffer_gl0_inv
	v_cmpx_lt_i32_e32 32, v255
	s_cbranch_execz .LBB118_692
; %bb.691:
	v_mul_f64 v[212:213], v[242:243], v[110:111]
	v_mul_f64 v[110:111], v[240:241], v[110:111]
	ds_load_2addr_b64 v[232:235], v250 offset0:66 offset1:67
	v_fma_f64 v[248:249], v[240:241], v[108:109], -v[212:213]
	v_fma_f64 v[110:111], v[242:243], v[108:109], v[110:111]
	s_waitcnt lgkmcnt(0)
	s_delay_alu instid0(VALU_DEP_1) | instskip(SKIP_1) | instid1(VALU_DEP_2)
	v_mul_f64 v[108:109], v[234:235], v[110:111]
	v_mul_f64 v[212:213], v[232:233], v[110:111]
	v_fma_f64 v[108:109], v[232:233], v[248:249], -v[108:109]
	s_delay_alu instid0(VALU_DEP_2)
	v_fma_f64 v[212:213], v[234:235], v[248:249], v[212:213]
	ds_load_2addr_b64 v[232:235], v250 offset0:68 offset1:69
	v_add_f64 v[104:105], v[104:105], -v[108:109]
	v_add_f64 v[106:107], v[106:107], -v[212:213]
	s_waitcnt lgkmcnt(0)
	v_mul_f64 v[108:109], v[234:235], v[110:111]
	v_mul_f64 v[212:213], v[232:233], v[110:111]
	s_delay_alu instid0(VALU_DEP_2) | instskip(NEXT) | instid1(VALU_DEP_2)
	v_fma_f64 v[108:109], v[232:233], v[248:249], -v[108:109]
	v_fma_f64 v[212:213], v[234:235], v[248:249], v[212:213]
	ds_load_2addr_b64 v[232:235], v250 offset0:70 offset1:71
	v_add_f64 v[100:101], v[100:101], -v[108:109]
	v_add_f64 v[102:103], v[102:103], -v[212:213]
	s_waitcnt lgkmcnt(0)
	v_mul_f64 v[108:109], v[234:235], v[110:111]
	v_mul_f64 v[212:213], v[232:233], v[110:111]
	s_delay_alu instid0(VALU_DEP_2) | instskip(NEXT) | instid1(VALU_DEP_2)
	v_fma_f64 v[108:109], v[232:233], v[248:249], -v[108:109]
	;; [unrolled: 9-line block ×26, first 2 shown]
	v_fma_f64 v[212:213], v[234:235], v[248:249], v[212:213]
	s_delay_alu instid0(VALU_DEP_2) | instskip(NEXT) | instid1(VALU_DEP_2)
	v_add_f64 v[228:229], v[228:229], -v[108:109]
	v_add_f64 v[230:231], v[230:231], -v[212:213]
	v_dual_mov_b32 v108, v248 :: v_dual_mov_b32 v109, v249
.LBB118_692:
	s_or_b32 exec_lo, exec_lo, s2
	v_lshl_add_u32 v212, v255, 4, v250
	s_barrier
	buffer_gl0_inv
	v_mov_b32_e32 v248, 33
	ds_store_2addr_b64 v212, v[104:105], v[106:107] offset1:1
	s_waitcnt lgkmcnt(0)
	s_barrier
	buffer_gl0_inv
	ds_load_2addr_b64 v[240:243], v250 offset0:66 offset1:67
	s_cmp_lt_i32 s12, 35
	s_cbranch_scc1 .LBB118_695
; %bb.693:
	v_add3_u32 v245, v254, 0, 0x220
	v_mov_b32_e32 v248, 33
	s_mov_b32 s2, 34
	s_set_inst_prefetch_distance 0x1
	.p2align	6
.LBB118_694:                            ; =>This Inner Loop Header: Depth=1
	s_waitcnt lgkmcnt(0)
	v_cmp_gt_f64_e32 vcc_lo, 0, v[240:241]
	v_xor_b32_e32 v212, 0x80000000, v241
	v_xor_b32_e32 v214, 0x80000000, v243
	ds_load_2addr_b64 v[232:235], v245 offset1:1
	v_add_nc_u32_e32 v245, 16, v245
	s_waitcnt lgkmcnt(0)
	v_xor_b32_e32 v216, 0x80000000, v235
	v_cndmask_b32_e32 v213, v241, v212, vcc_lo
	v_cndmask_b32_e32 v212, v240, v240, vcc_lo
	v_cmp_gt_f64_e32 vcc_lo, 0, v[242:243]
	v_cndmask_b32_e32 v215, v243, v214, vcc_lo
	v_cndmask_b32_e32 v214, v242, v242, vcc_lo
	v_cmp_gt_f64_e32 vcc_lo, 0, v[232:233]
	s_delay_alu instid0(VALU_DEP_2) | instskip(SKIP_1) | instid1(VALU_DEP_1)
	v_add_f64 v[212:213], v[212:213], v[214:215]
	v_xor_b32_e32 v214, 0x80000000, v233
	v_dual_cndmask_b32 v215, v233, v214 :: v_dual_mov_b32 v214, v232
	v_cmp_gt_f64_e32 vcc_lo, 0, v[234:235]
	v_dual_cndmask_b32 v217, v235, v216 :: v_dual_mov_b32 v216, v234
	s_delay_alu instid0(VALU_DEP_1) | instskip(NEXT) | instid1(VALU_DEP_1)
	v_add_f64 v[214:215], v[214:215], v[216:217]
	v_cmp_lt_f64_e32 vcc_lo, v[212:213], v[214:215]
	v_dual_cndmask_b32 v241, v241, v233 :: v_dual_cndmask_b32 v240, v240, v232
	v_dual_cndmask_b32 v243, v243, v235 :: v_dual_cndmask_b32 v242, v242, v234
	v_cndmask_b32_e64 v248, v248, s2, vcc_lo
	s_add_i32 s2, s2, 1
	s_delay_alu instid0(SALU_CYCLE_1)
	s_cmp_lg_u32 s12, s2
	s_cbranch_scc1 .LBB118_694
.LBB118_695:
	s_set_inst_prefetch_distance 0x2
	s_waitcnt lgkmcnt(0)
	v_cmp_eq_f64_e32 vcc_lo, 0, v[240:241]
	v_cmp_eq_f64_e64 s2, 0, v[242:243]
	s_delay_alu instid0(VALU_DEP_1) | instskip(NEXT) | instid1(SALU_CYCLE_1)
	s_and_b32 s2, vcc_lo, s2
	s_and_saveexec_b32 s3, s2
	s_delay_alu instid0(SALU_CYCLE_1)
	s_xor_b32 s2, exec_lo, s3
; %bb.696:
	v_cmp_ne_u32_e32 vcc_lo, 0, v253
	v_cndmask_b32_e32 v253, 34, v253, vcc_lo
; %bb.697:
	s_and_not1_saveexec_b32 s2, s2
	s_cbranch_execz .LBB118_703
; %bb.698:
	v_cmp_gt_f64_e32 vcc_lo, 0, v[240:241]
	v_xor_b32_e32 v212, 0x80000000, v241
	v_xor_b32_e32 v214, 0x80000000, v243
	s_mov_b32 s3, exec_lo
	s_delay_alu instid0(VALU_DEP_2) | instskip(SKIP_4) | instid1(VALU_DEP_1)
	v_cndmask_b32_e32 v213, v241, v212, vcc_lo
	v_cndmask_b32_e32 v212, v240, v240, vcc_lo
	v_cmp_gt_f64_e32 vcc_lo, 0, v[242:243]
	v_cndmask_b32_e32 v215, v243, v214, vcc_lo
	v_cndmask_b32_e32 v214, v242, v242, vcc_lo
	v_cmpx_ngt_f64_e32 v[212:213], v[214:215]
	s_xor_b32 s3, exec_lo, s3
	s_cbranch_execz .LBB118_700
; %bb.699:
	v_div_scale_f64 v[212:213], null, v[242:243], v[242:243], v[240:241]
	v_div_scale_f64 v[218:219], vcc_lo, v[240:241], v[242:243], v[240:241]
	s_delay_alu instid0(VALU_DEP_2) | instskip(SKIP_2) | instid1(VALU_DEP_1)
	v_rcp_f64_e32 v[214:215], v[212:213]
	s_waitcnt_depctr 0xfff
	v_fma_f64 v[216:217], -v[212:213], v[214:215], 1.0
	v_fma_f64 v[214:215], v[214:215], v[216:217], v[214:215]
	s_delay_alu instid0(VALU_DEP_1) | instskip(NEXT) | instid1(VALU_DEP_1)
	v_fma_f64 v[216:217], -v[212:213], v[214:215], 1.0
	v_fma_f64 v[214:215], v[214:215], v[216:217], v[214:215]
	s_delay_alu instid0(VALU_DEP_1) | instskip(NEXT) | instid1(VALU_DEP_1)
	v_mul_f64 v[216:217], v[218:219], v[214:215]
	v_fma_f64 v[212:213], -v[212:213], v[216:217], v[218:219]
	s_delay_alu instid0(VALU_DEP_1) | instskip(NEXT) | instid1(VALU_DEP_1)
	v_div_fmas_f64 v[212:213], v[212:213], v[214:215], v[216:217]
	v_div_fixup_f64 v[212:213], v[212:213], v[242:243], v[240:241]
	s_delay_alu instid0(VALU_DEP_1) | instskip(NEXT) | instid1(VALU_DEP_1)
	v_fma_f64 v[214:215], v[240:241], v[212:213], v[242:243]
	v_div_scale_f64 v[216:217], null, v[214:215], v[214:215], 1.0
	s_delay_alu instid0(VALU_DEP_1) | instskip(SKIP_2) | instid1(VALU_DEP_1)
	v_rcp_f64_e32 v[218:219], v[216:217]
	s_waitcnt_depctr 0xfff
	v_fma_f64 v[220:221], -v[216:217], v[218:219], 1.0
	v_fma_f64 v[218:219], v[218:219], v[220:221], v[218:219]
	s_delay_alu instid0(VALU_DEP_1) | instskip(NEXT) | instid1(VALU_DEP_1)
	v_fma_f64 v[220:221], -v[216:217], v[218:219], 1.0
	v_fma_f64 v[218:219], v[218:219], v[220:221], v[218:219]
	v_div_scale_f64 v[220:221], vcc_lo, 1.0, v[214:215], 1.0
	s_delay_alu instid0(VALU_DEP_1) | instskip(NEXT) | instid1(VALU_DEP_1)
	v_mul_f64 v[222:223], v[220:221], v[218:219]
	v_fma_f64 v[216:217], -v[216:217], v[222:223], v[220:221]
	s_delay_alu instid0(VALU_DEP_1) | instskip(NEXT) | instid1(VALU_DEP_1)
	v_div_fmas_f64 v[216:217], v[216:217], v[218:219], v[222:223]
	v_div_fixup_f64 v[242:243], v[216:217], v[214:215], 1.0
	s_delay_alu instid0(VALU_DEP_1)
	v_mul_f64 v[240:241], v[212:213], v[242:243]
	v_xor_b32_e32 v243, 0x80000000, v243
.LBB118_700:
	s_and_not1_saveexec_b32 s3, s3
	s_cbranch_execz .LBB118_702
; %bb.701:
	s_delay_alu instid0(VALU_DEP_1) | instskip(SKIP_1) | instid1(VALU_DEP_2)
	v_div_scale_f64 v[212:213], null, v[240:241], v[240:241], v[242:243]
	v_div_scale_f64 v[218:219], vcc_lo, v[242:243], v[240:241], v[242:243]
	v_rcp_f64_e32 v[214:215], v[212:213]
	s_waitcnt_depctr 0xfff
	v_fma_f64 v[216:217], -v[212:213], v[214:215], 1.0
	s_delay_alu instid0(VALU_DEP_1) | instskip(NEXT) | instid1(VALU_DEP_1)
	v_fma_f64 v[214:215], v[214:215], v[216:217], v[214:215]
	v_fma_f64 v[216:217], -v[212:213], v[214:215], 1.0
	s_delay_alu instid0(VALU_DEP_1) | instskip(NEXT) | instid1(VALU_DEP_1)
	v_fma_f64 v[214:215], v[214:215], v[216:217], v[214:215]
	v_mul_f64 v[216:217], v[218:219], v[214:215]
	s_delay_alu instid0(VALU_DEP_1) | instskip(NEXT) | instid1(VALU_DEP_1)
	v_fma_f64 v[212:213], -v[212:213], v[216:217], v[218:219]
	v_div_fmas_f64 v[212:213], v[212:213], v[214:215], v[216:217]
	s_delay_alu instid0(VALU_DEP_1) | instskip(NEXT) | instid1(VALU_DEP_1)
	v_div_fixup_f64 v[212:213], v[212:213], v[240:241], v[242:243]
	v_fma_f64 v[214:215], v[242:243], v[212:213], v[240:241]
	s_delay_alu instid0(VALU_DEP_1) | instskip(NEXT) | instid1(VALU_DEP_1)
	v_div_scale_f64 v[216:217], null, v[214:215], v[214:215], 1.0
	v_rcp_f64_e32 v[218:219], v[216:217]
	s_waitcnt_depctr 0xfff
	v_fma_f64 v[220:221], -v[216:217], v[218:219], 1.0
	s_delay_alu instid0(VALU_DEP_1) | instskip(NEXT) | instid1(VALU_DEP_1)
	v_fma_f64 v[218:219], v[218:219], v[220:221], v[218:219]
	v_fma_f64 v[220:221], -v[216:217], v[218:219], 1.0
	s_delay_alu instid0(VALU_DEP_1) | instskip(SKIP_1) | instid1(VALU_DEP_1)
	v_fma_f64 v[218:219], v[218:219], v[220:221], v[218:219]
	v_div_scale_f64 v[220:221], vcc_lo, 1.0, v[214:215], 1.0
	v_mul_f64 v[222:223], v[220:221], v[218:219]
	s_delay_alu instid0(VALU_DEP_1) | instskip(NEXT) | instid1(VALU_DEP_1)
	v_fma_f64 v[216:217], -v[216:217], v[222:223], v[220:221]
	v_div_fmas_f64 v[216:217], v[216:217], v[218:219], v[222:223]
	s_delay_alu instid0(VALU_DEP_1) | instskip(NEXT) | instid1(VALU_DEP_1)
	v_div_fixup_f64 v[240:241], v[216:217], v[214:215], 1.0
	v_mul_f64 v[242:243], v[212:213], -v[240:241]
.LBB118_702:
	s_or_b32 exec_lo, exec_lo, s3
.LBB118_703:
	s_delay_alu instid0(SALU_CYCLE_1) | instskip(NEXT) | instid1(SALU_CYCLE_1)
	s_or_b32 exec_lo, exec_lo, s2
	s_mov_b32 s2, exec_lo
	v_cmpx_ne_u32_e64 v255, v248
	s_xor_b32 s2, exec_lo, s2
	s_cbranch_execz .LBB118_709
; %bb.704:
	s_mov_b32 s3, exec_lo
	v_cmpx_eq_u32_e32 33, v255
	s_cbranch_execz .LBB118_708
; %bb.705:
	v_cmp_ne_u32_e32 vcc_lo, 33, v248
	s_xor_b32 s4, s5, -1
	s_delay_alu instid0(SALU_CYCLE_1) | instskip(NEXT) | instid1(SALU_CYCLE_1)
	s_and_b32 s6, s4, vcc_lo
	s_and_saveexec_b32 s4, s6
	s_cbranch_execz .LBB118_707
; %bb.706:
	scratch_load_b64 v[208:209], off, off offset:16 ; 8-byte Folded Reload
	v_ashrrev_i32_e32 v249, 31, v248
	s_delay_alu instid0(VALU_DEP_1) | instskip(SKIP_1) | instid1(VALU_DEP_1)
	v_lshlrev_b64 v[212:213], 2, v[248:249]
	s_waitcnt vmcnt(0)
	v_add_co_u32 v212, vcc_lo, v208, v212
	s_delay_alu instid0(VALU_DEP_2)
	v_add_co_ci_u32_e32 v213, vcc_lo, v209, v213, vcc_lo
	s_clause 0x1
	flat_load_b32 v214, v[212:213]
	flat_load_b32 v215, v[208:209] offset:132
	s_waitcnt vmcnt(1) lgkmcnt(1)
	flat_store_b32 v[208:209], v214 offset:132
	s_waitcnt vmcnt(0) lgkmcnt(1)
	flat_store_b32 v[212:213], v215
.LBB118_707:
	s_or_b32 exec_lo, exec_lo, s4
	v_mov_b32_e32 v255, v248
	v_mov_b32_e32 v244, v248
.LBB118_708:
	s_or_b32 exec_lo, exec_lo, s3
.LBB118_709:
	s_and_not1_saveexec_b32 s2, s2
	s_cbranch_execz .LBB118_711
; %bb.710:
	v_mov_b32_e32 v255, 33
	ds_store_2addr_b64 v250, v[100:101], v[102:103] offset0:68 offset1:69
	ds_store_2addr_b64 v250, v[96:97], v[98:99] offset0:70 offset1:71
	ds_store_2addr_b64 v250, v[92:93], v[94:95] offset0:72 offset1:73
	ds_store_2addr_b64 v250, v[88:89], v[90:91] offset0:74 offset1:75
	ds_store_2addr_b64 v250, v[84:85], v[86:87] offset0:76 offset1:77
	ds_store_2addr_b64 v250, v[80:81], v[82:83] offset0:78 offset1:79
	ds_store_2addr_b64 v250, v[76:77], v[78:79] offset0:80 offset1:81
	ds_store_2addr_b64 v250, v[72:73], v[74:75] offset0:82 offset1:83
	ds_store_2addr_b64 v250, v[68:69], v[70:71] offset0:84 offset1:85
	ds_store_2addr_b64 v250, v[64:65], v[66:67] offset0:86 offset1:87
	ds_store_2addr_b64 v250, v[60:61], v[62:63] offset0:88 offset1:89
	ds_store_2addr_b64 v250, v[56:57], v[58:59] offset0:90 offset1:91
	ds_store_2addr_b64 v250, v[52:53], v[54:55] offset0:92 offset1:93
	ds_store_2addr_b64 v250, v[48:49], v[50:51] offset0:94 offset1:95
	ds_store_2addr_b64 v250, v[44:45], v[46:47] offset0:96 offset1:97
	ds_store_2addr_b64 v250, v[40:41], v[42:43] offset0:98 offset1:99
	ds_store_2addr_b64 v250, v[36:37], v[38:39] offset0:100 offset1:101
	ds_store_2addr_b64 v250, v[32:33], v[34:35] offset0:102 offset1:103
	ds_store_2addr_b64 v250, v[28:29], v[30:31] offset0:104 offset1:105
	ds_store_2addr_b64 v250, v[24:25], v[26:27] offset0:106 offset1:107
	ds_store_2addr_b64 v250, v[20:21], v[22:23] offset0:108 offset1:109
	ds_store_2addr_b64 v250, v[16:17], v[18:19] offset0:110 offset1:111
	ds_store_2addr_b64 v250, v[12:13], v[14:15] offset0:112 offset1:113
	ds_store_2addr_b64 v250, v[236:237], v[238:239] offset0:114 offset1:115
	ds_store_2addr_b64 v250, v[224:225], v[226:227] offset0:116 offset1:117
	ds_store_2addr_b64 v250, v[228:229], v[230:231] offset0:118 offset1:119
.LBB118_711:
	s_or_b32 exec_lo, exec_lo, s2
	s_delay_alu instid0(SALU_CYCLE_1)
	s_mov_b32 s2, exec_lo
	s_waitcnt lgkmcnt(0)
	s_waitcnt_vscnt null, 0x0
	s_barrier
	buffer_gl0_inv
	v_cmpx_lt_i32_e32 33, v255
	s_cbranch_execz .LBB118_713
; %bb.712:
	v_mul_f64 v[212:213], v[242:243], v[106:107]
	v_mul_f64 v[106:107], v[240:241], v[106:107]
	ds_load_2addr_b64 v[232:235], v250 offset0:68 offset1:69
	v_fma_f64 v[248:249], v[240:241], v[104:105], -v[212:213]
	v_fma_f64 v[106:107], v[242:243], v[104:105], v[106:107]
	s_waitcnt lgkmcnt(0)
	s_delay_alu instid0(VALU_DEP_1) | instskip(SKIP_1) | instid1(VALU_DEP_2)
	v_mul_f64 v[104:105], v[234:235], v[106:107]
	v_mul_f64 v[212:213], v[232:233], v[106:107]
	v_fma_f64 v[104:105], v[232:233], v[248:249], -v[104:105]
	s_delay_alu instid0(VALU_DEP_2)
	v_fma_f64 v[212:213], v[234:235], v[248:249], v[212:213]
	ds_load_2addr_b64 v[232:235], v250 offset0:70 offset1:71
	v_add_f64 v[100:101], v[100:101], -v[104:105]
	v_add_f64 v[102:103], v[102:103], -v[212:213]
	s_waitcnt lgkmcnt(0)
	v_mul_f64 v[104:105], v[234:235], v[106:107]
	v_mul_f64 v[212:213], v[232:233], v[106:107]
	s_delay_alu instid0(VALU_DEP_2) | instskip(NEXT) | instid1(VALU_DEP_2)
	v_fma_f64 v[104:105], v[232:233], v[248:249], -v[104:105]
	v_fma_f64 v[212:213], v[234:235], v[248:249], v[212:213]
	ds_load_2addr_b64 v[232:235], v250 offset0:72 offset1:73
	v_add_f64 v[96:97], v[96:97], -v[104:105]
	v_add_f64 v[98:99], v[98:99], -v[212:213]
	s_waitcnt lgkmcnt(0)
	v_mul_f64 v[104:105], v[234:235], v[106:107]
	v_mul_f64 v[212:213], v[232:233], v[106:107]
	s_delay_alu instid0(VALU_DEP_2) | instskip(NEXT) | instid1(VALU_DEP_2)
	v_fma_f64 v[104:105], v[232:233], v[248:249], -v[104:105]
	v_fma_f64 v[212:213], v[234:235], v[248:249], v[212:213]
	ds_load_2addr_b64 v[232:235], v250 offset0:74 offset1:75
	v_add_f64 v[92:93], v[92:93], -v[104:105]
	v_add_f64 v[94:95], v[94:95], -v[212:213]
	s_waitcnt lgkmcnt(0)
	v_mul_f64 v[104:105], v[234:235], v[106:107]
	v_mul_f64 v[212:213], v[232:233], v[106:107]
	s_delay_alu instid0(VALU_DEP_2) | instskip(NEXT) | instid1(VALU_DEP_2)
	v_fma_f64 v[104:105], v[232:233], v[248:249], -v[104:105]
	v_fma_f64 v[212:213], v[234:235], v[248:249], v[212:213]
	ds_load_2addr_b64 v[232:235], v250 offset0:76 offset1:77
	v_add_f64 v[88:89], v[88:89], -v[104:105]
	v_add_f64 v[90:91], v[90:91], -v[212:213]
	s_waitcnt lgkmcnt(0)
	v_mul_f64 v[104:105], v[234:235], v[106:107]
	v_mul_f64 v[212:213], v[232:233], v[106:107]
	s_delay_alu instid0(VALU_DEP_2) | instskip(NEXT) | instid1(VALU_DEP_2)
	v_fma_f64 v[104:105], v[232:233], v[248:249], -v[104:105]
	v_fma_f64 v[212:213], v[234:235], v[248:249], v[212:213]
	ds_load_2addr_b64 v[232:235], v250 offset0:78 offset1:79
	v_add_f64 v[84:85], v[84:85], -v[104:105]
	v_add_f64 v[86:87], v[86:87], -v[212:213]
	s_waitcnt lgkmcnt(0)
	v_mul_f64 v[104:105], v[234:235], v[106:107]
	v_mul_f64 v[212:213], v[232:233], v[106:107]
	s_delay_alu instid0(VALU_DEP_2) | instskip(NEXT) | instid1(VALU_DEP_2)
	v_fma_f64 v[104:105], v[232:233], v[248:249], -v[104:105]
	v_fma_f64 v[212:213], v[234:235], v[248:249], v[212:213]
	ds_load_2addr_b64 v[232:235], v250 offset0:80 offset1:81
	v_add_f64 v[80:81], v[80:81], -v[104:105]
	v_add_f64 v[82:83], v[82:83], -v[212:213]
	s_waitcnt lgkmcnt(0)
	v_mul_f64 v[104:105], v[234:235], v[106:107]
	v_mul_f64 v[212:213], v[232:233], v[106:107]
	s_delay_alu instid0(VALU_DEP_2) | instskip(NEXT) | instid1(VALU_DEP_2)
	v_fma_f64 v[104:105], v[232:233], v[248:249], -v[104:105]
	v_fma_f64 v[212:213], v[234:235], v[248:249], v[212:213]
	ds_load_2addr_b64 v[232:235], v250 offset0:82 offset1:83
	v_add_f64 v[76:77], v[76:77], -v[104:105]
	v_add_f64 v[78:79], v[78:79], -v[212:213]
	s_waitcnt lgkmcnt(0)
	v_mul_f64 v[104:105], v[234:235], v[106:107]
	v_mul_f64 v[212:213], v[232:233], v[106:107]
	s_delay_alu instid0(VALU_DEP_2) | instskip(NEXT) | instid1(VALU_DEP_2)
	v_fma_f64 v[104:105], v[232:233], v[248:249], -v[104:105]
	v_fma_f64 v[212:213], v[234:235], v[248:249], v[212:213]
	ds_load_2addr_b64 v[232:235], v250 offset0:84 offset1:85
	v_add_f64 v[72:73], v[72:73], -v[104:105]
	v_add_f64 v[74:75], v[74:75], -v[212:213]
	s_waitcnt lgkmcnt(0)
	v_mul_f64 v[104:105], v[234:235], v[106:107]
	v_mul_f64 v[212:213], v[232:233], v[106:107]
	s_delay_alu instid0(VALU_DEP_2) | instskip(NEXT) | instid1(VALU_DEP_2)
	v_fma_f64 v[104:105], v[232:233], v[248:249], -v[104:105]
	v_fma_f64 v[212:213], v[234:235], v[248:249], v[212:213]
	ds_load_2addr_b64 v[232:235], v250 offset0:86 offset1:87
	v_add_f64 v[68:69], v[68:69], -v[104:105]
	v_add_f64 v[70:71], v[70:71], -v[212:213]
	s_waitcnt lgkmcnt(0)
	v_mul_f64 v[104:105], v[234:235], v[106:107]
	v_mul_f64 v[212:213], v[232:233], v[106:107]
	s_delay_alu instid0(VALU_DEP_2) | instskip(NEXT) | instid1(VALU_DEP_2)
	v_fma_f64 v[104:105], v[232:233], v[248:249], -v[104:105]
	v_fma_f64 v[212:213], v[234:235], v[248:249], v[212:213]
	ds_load_2addr_b64 v[232:235], v250 offset0:88 offset1:89
	v_add_f64 v[64:65], v[64:65], -v[104:105]
	v_add_f64 v[66:67], v[66:67], -v[212:213]
	s_waitcnt lgkmcnt(0)
	v_mul_f64 v[104:105], v[234:235], v[106:107]
	v_mul_f64 v[212:213], v[232:233], v[106:107]
	s_delay_alu instid0(VALU_DEP_2) | instskip(NEXT) | instid1(VALU_DEP_2)
	v_fma_f64 v[104:105], v[232:233], v[248:249], -v[104:105]
	v_fma_f64 v[212:213], v[234:235], v[248:249], v[212:213]
	ds_load_2addr_b64 v[232:235], v250 offset0:90 offset1:91
	v_add_f64 v[60:61], v[60:61], -v[104:105]
	v_add_f64 v[62:63], v[62:63], -v[212:213]
	s_waitcnt lgkmcnt(0)
	v_mul_f64 v[104:105], v[234:235], v[106:107]
	v_mul_f64 v[212:213], v[232:233], v[106:107]
	s_delay_alu instid0(VALU_DEP_2) | instskip(NEXT) | instid1(VALU_DEP_2)
	v_fma_f64 v[104:105], v[232:233], v[248:249], -v[104:105]
	v_fma_f64 v[212:213], v[234:235], v[248:249], v[212:213]
	ds_load_2addr_b64 v[232:235], v250 offset0:92 offset1:93
	v_add_f64 v[56:57], v[56:57], -v[104:105]
	v_add_f64 v[58:59], v[58:59], -v[212:213]
	s_waitcnt lgkmcnt(0)
	v_mul_f64 v[104:105], v[234:235], v[106:107]
	v_mul_f64 v[212:213], v[232:233], v[106:107]
	s_delay_alu instid0(VALU_DEP_2) | instskip(NEXT) | instid1(VALU_DEP_2)
	v_fma_f64 v[104:105], v[232:233], v[248:249], -v[104:105]
	v_fma_f64 v[212:213], v[234:235], v[248:249], v[212:213]
	ds_load_2addr_b64 v[232:235], v250 offset0:94 offset1:95
	v_add_f64 v[52:53], v[52:53], -v[104:105]
	v_add_f64 v[54:55], v[54:55], -v[212:213]
	s_waitcnt lgkmcnt(0)
	v_mul_f64 v[104:105], v[234:235], v[106:107]
	v_mul_f64 v[212:213], v[232:233], v[106:107]
	s_delay_alu instid0(VALU_DEP_2) | instskip(NEXT) | instid1(VALU_DEP_2)
	v_fma_f64 v[104:105], v[232:233], v[248:249], -v[104:105]
	v_fma_f64 v[212:213], v[234:235], v[248:249], v[212:213]
	ds_load_2addr_b64 v[232:235], v250 offset0:96 offset1:97
	v_add_f64 v[48:49], v[48:49], -v[104:105]
	v_add_f64 v[50:51], v[50:51], -v[212:213]
	s_waitcnt lgkmcnt(0)
	v_mul_f64 v[104:105], v[234:235], v[106:107]
	v_mul_f64 v[212:213], v[232:233], v[106:107]
	s_delay_alu instid0(VALU_DEP_2) | instskip(NEXT) | instid1(VALU_DEP_2)
	v_fma_f64 v[104:105], v[232:233], v[248:249], -v[104:105]
	v_fma_f64 v[212:213], v[234:235], v[248:249], v[212:213]
	ds_load_2addr_b64 v[232:235], v250 offset0:98 offset1:99
	v_add_f64 v[44:45], v[44:45], -v[104:105]
	v_add_f64 v[46:47], v[46:47], -v[212:213]
	s_waitcnt lgkmcnt(0)
	v_mul_f64 v[104:105], v[234:235], v[106:107]
	v_mul_f64 v[212:213], v[232:233], v[106:107]
	s_delay_alu instid0(VALU_DEP_2) | instskip(NEXT) | instid1(VALU_DEP_2)
	v_fma_f64 v[104:105], v[232:233], v[248:249], -v[104:105]
	v_fma_f64 v[212:213], v[234:235], v[248:249], v[212:213]
	ds_load_2addr_b64 v[232:235], v250 offset0:100 offset1:101
	v_add_f64 v[40:41], v[40:41], -v[104:105]
	v_add_f64 v[42:43], v[42:43], -v[212:213]
	s_waitcnt lgkmcnt(0)
	v_mul_f64 v[104:105], v[234:235], v[106:107]
	v_mul_f64 v[212:213], v[232:233], v[106:107]
	s_delay_alu instid0(VALU_DEP_2) | instskip(NEXT) | instid1(VALU_DEP_2)
	v_fma_f64 v[104:105], v[232:233], v[248:249], -v[104:105]
	v_fma_f64 v[212:213], v[234:235], v[248:249], v[212:213]
	ds_load_2addr_b64 v[232:235], v250 offset0:102 offset1:103
	v_add_f64 v[36:37], v[36:37], -v[104:105]
	v_add_f64 v[38:39], v[38:39], -v[212:213]
	s_waitcnt lgkmcnt(0)
	v_mul_f64 v[104:105], v[234:235], v[106:107]
	v_mul_f64 v[212:213], v[232:233], v[106:107]
	s_delay_alu instid0(VALU_DEP_2) | instskip(NEXT) | instid1(VALU_DEP_2)
	v_fma_f64 v[104:105], v[232:233], v[248:249], -v[104:105]
	v_fma_f64 v[212:213], v[234:235], v[248:249], v[212:213]
	ds_load_2addr_b64 v[232:235], v250 offset0:104 offset1:105
	v_add_f64 v[32:33], v[32:33], -v[104:105]
	v_add_f64 v[34:35], v[34:35], -v[212:213]
	s_waitcnt lgkmcnt(0)
	v_mul_f64 v[104:105], v[234:235], v[106:107]
	v_mul_f64 v[212:213], v[232:233], v[106:107]
	s_delay_alu instid0(VALU_DEP_2) | instskip(NEXT) | instid1(VALU_DEP_2)
	v_fma_f64 v[104:105], v[232:233], v[248:249], -v[104:105]
	v_fma_f64 v[212:213], v[234:235], v[248:249], v[212:213]
	ds_load_2addr_b64 v[232:235], v250 offset0:106 offset1:107
	v_add_f64 v[28:29], v[28:29], -v[104:105]
	v_add_f64 v[30:31], v[30:31], -v[212:213]
	s_waitcnt lgkmcnt(0)
	v_mul_f64 v[104:105], v[234:235], v[106:107]
	v_mul_f64 v[212:213], v[232:233], v[106:107]
	s_delay_alu instid0(VALU_DEP_2) | instskip(NEXT) | instid1(VALU_DEP_2)
	v_fma_f64 v[104:105], v[232:233], v[248:249], -v[104:105]
	v_fma_f64 v[212:213], v[234:235], v[248:249], v[212:213]
	ds_load_2addr_b64 v[232:235], v250 offset0:108 offset1:109
	v_add_f64 v[24:25], v[24:25], -v[104:105]
	v_add_f64 v[26:27], v[26:27], -v[212:213]
	s_waitcnt lgkmcnt(0)
	v_mul_f64 v[104:105], v[234:235], v[106:107]
	v_mul_f64 v[212:213], v[232:233], v[106:107]
	s_delay_alu instid0(VALU_DEP_2) | instskip(NEXT) | instid1(VALU_DEP_2)
	v_fma_f64 v[104:105], v[232:233], v[248:249], -v[104:105]
	v_fma_f64 v[212:213], v[234:235], v[248:249], v[212:213]
	ds_load_2addr_b64 v[232:235], v250 offset0:110 offset1:111
	v_add_f64 v[20:21], v[20:21], -v[104:105]
	v_add_f64 v[22:23], v[22:23], -v[212:213]
	s_waitcnt lgkmcnt(0)
	v_mul_f64 v[104:105], v[234:235], v[106:107]
	v_mul_f64 v[212:213], v[232:233], v[106:107]
	s_delay_alu instid0(VALU_DEP_2) | instskip(NEXT) | instid1(VALU_DEP_2)
	v_fma_f64 v[104:105], v[232:233], v[248:249], -v[104:105]
	v_fma_f64 v[212:213], v[234:235], v[248:249], v[212:213]
	ds_load_2addr_b64 v[232:235], v250 offset0:112 offset1:113
	v_add_f64 v[16:17], v[16:17], -v[104:105]
	v_add_f64 v[18:19], v[18:19], -v[212:213]
	s_waitcnt lgkmcnt(0)
	v_mul_f64 v[104:105], v[234:235], v[106:107]
	v_mul_f64 v[212:213], v[232:233], v[106:107]
	s_delay_alu instid0(VALU_DEP_2) | instskip(NEXT) | instid1(VALU_DEP_2)
	v_fma_f64 v[104:105], v[232:233], v[248:249], -v[104:105]
	v_fma_f64 v[212:213], v[234:235], v[248:249], v[212:213]
	ds_load_2addr_b64 v[232:235], v250 offset0:114 offset1:115
	v_add_f64 v[12:13], v[12:13], -v[104:105]
	v_add_f64 v[14:15], v[14:15], -v[212:213]
	s_waitcnt lgkmcnt(0)
	v_mul_f64 v[104:105], v[234:235], v[106:107]
	v_mul_f64 v[212:213], v[232:233], v[106:107]
	s_delay_alu instid0(VALU_DEP_2) | instskip(NEXT) | instid1(VALU_DEP_2)
	v_fma_f64 v[104:105], v[232:233], v[248:249], -v[104:105]
	v_fma_f64 v[212:213], v[234:235], v[248:249], v[212:213]
	ds_load_2addr_b64 v[232:235], v250 offset0:116 offset1:117
	v_add_f64 v[236:237], v[236:237], -v[104:105]
	v_add_f64 v[238:239], v[238:239], -v[212:213]
	s_waitcnt lgkmcnt(0)
	v_mul_f64 v[104:105], v[234:235], v[106:107]
	v_mul_f64 v[212:213], v[232:233], v[106:107]
	s_delay_alu instid0(VALU_DEP_2) | instskip(NEXT) | instid1(VALU_DEP_2)
	v_fma_f64 v[104:105], v[232:233], v[248:249], -v[104:105]
	v_fma_f64 v[212:213], v[234:235], v[248:249], v[212:213]
	ds_load_2addr_b64 v[232:235], v250 offset0:118 offset1:119
	v_add_f64 v[224:225], v[224:225], -v[104:105]
	v_add_f64 v[226:227], v[226:227], -v[212:213]
	s_waitcnt lgkmcnt(0)
	v_mul_f64 v[104:105], v[234:235], v[106:107]
	v_mul_f64 v[212:213], v[232:233], v[106:107]
	s_delay_alu instid0(VALU_DEP_2) | instskip(NEXT) | instid1(VALU_DEP_2)
	v_fma_f64 v[104:105], v[232:233], v[248:249], -v[104:105]
	v_fma_f64 v[212:213], v[234:235], v[248:249], v[212:213]
	s_delay_alu instid0(VALU_DEP_2) | instskip(NEXT) | instid1(VALU_DEP_2)
	v_add_f64 v[228:229], v[228:229], -v[104:105]
	v_add_f64 v[230:231], v[230:231], -v[212:213]
	v_dual_mov_b32 v104, v248 :: v_dual_mov_b32 v105, v249
.LBB118_713:
	s_or_b32 exec_lo, exec_lo, s2
	v_lshl_add_u32 v212, v255, 4, v250
	s_barrier
	buffer_gl0_inv
	v_mov_b32_e32 v248, 34
	ds_store_2addr_b64 v212, v[100:101], v[102:103] offset1:1
	s_waitcnt lgkmcnt(0)
	s_barrier
	buffer_gl0_inv
	ds_load_2addr_b64 v[240:243], v250 offset0:68 offset1:69
	s_cmp_lt_i32 s12, 36
	s_cbranch_scc1 .LBB118_716
; %bb.714:
	v_add3_u32 v245, v254, 0, 0x230
	v_mov_b32_e32 v248, 34
	s_mov_b32 s2, 35
	s_set_inst_prefetch_distance 0x1
	.p2align	6
.LBB118_715:                            ; =>This Inner Loop Header: Depth=1
	s_waitcnt lgkmcnt(0)
	v_cmp_gt_f64_e32 vcc_lo, 0, v[240:241]
	v_xor_b32_e32 v212, 0x80000000, v241
	v_xor_b32_e32 v214, 0x80000000, v243
	ds_load_2addr_b64 v[232:235], v245 offset1:1
	v_add_nc_u32_e32 v245, 16, v245
	s_waitcnt lgkmcnt(0)
	v_xor_b32_e32 v216, 0x80000000, v235
	v_cndmask_b32_e32 v213, v241, v212, vcc_lo
	v_cndmask_b32_e32 v212, v240, v240, vcc_lo
	v_cmp_gt_f64_e32 vcc_lo, 0, v[242:243]
	v_cndmask_b32_e32 v215, v243, v214, vcc_lo
	v_cndmask_b32_e32 v214, v242, v242, vcc_lo
	v_cmp_gt_f64_e32 vcc_lo, 0, v[232:233]
	s_delay_alu instid0(VALU_DEP_2) | instskip(SKIP_1) | instid1(VALU_DEP_1)
	v_add_f64 v[212:213], v[212:213], v[214:215]
	v_xor_b32_e32 v214, 0x80000000, v233
	v_dual_cndmask_b32 v215, v233, v214 :: v_dual_mov_b32 v214, v232
	v_cmp_gt_f64_e32 vcc_lo, 0, v[234:235]
	v_dual_cndmask_b32 v217, v235, v216 :: v_dual_mov_b32 v216, v234
	s_delay_alu instid0(VALU_DEP_1) | instskip(NEXT) | instid1(VALU_DEP_1)
	v_add_f64 v[214:215], v[214:215], v[216:217]
	v_cmp_lt_f64_e32 vcc_lo, v[212:213], v[214:215]
	v_dual_cndmask_b32 v241, v241, v233 :: v_dual_cndmask_b32 v240, v240, v232
	v_dual_cndmask_b32 v243, v243, v235 :: v_dual_cndmask_b32 v242, v242, v234
	v_cndmask_b32_e64 v248, v248, s2, vcc_lo
	s_add_i32 s2, s2, 1
	s_delay_alu instid0(SALU_CYCLE_1)
	s_cmp_lg_u32 s12, s2
	s_cbranch_scc1 .LBB118_715
.LBB118_716:
	s_set_inst_prefetch_distance 0x2
	s_waitcnt lgkmcnt(0)
	v_cmp_eq_f64_e32 vcc_lo, 0, v[240:241]
	v_cmp_eq_f64_e64 s2, 0, v[242:243]
	s_delay_alu instid0(VALU_DEP_1) | instskip(NEXT) | instid1(SALU_CYCLE_1)
	s_and_b32 s2, vcc_lo, s2
	s_and_saveexec_b32 s3, s2
	s_delay_alu instid0(SALU_CYCLE_1)
	s_xor_b32 s2, exec_lo, s3
; %bb.717:
	v_cmp_ne_u32_e32 vcc_lo, 0, v253
	v_cndmask_b32_e32 v253, 35, v253, vcc_lo
; %bb.718:
	s_and_not1_saveexec_b32 s2, s2
	s_cbranch_execz .LBB118_724
; %bb.719:
	v_cmp_gt_f64_e32 vcc_lo, 0, v[240:241]
	v_xor_b32_e32 v212, 0x80000000, v241
	v_xor_b32_e32 v214, 0x80000000, v243
	s_mov_b32 s3, exec_lo
	s_delay_alu instid0(VALU_DEP_2) | instskip(SKIP_4) | instid1(VALU_DEP_1)
	v_cndmask_b32_e32 v213, v241, v212, vcc_lo
	v_cndmask_b32_e32 v212, v240, v240, vcc_lo
	v_cmp_gt_f64_e32 vcc_lo, 0, v[242:243]
	v_cndmask_b32_e32 v215, v243, v214, vcc_lo
	v_cndmask_b32_e32 v214, v242, v242, vcc_lo
	v_cmpx_ngt_f64_e32 v[212:213], v[214:215]
	s_xor_b32 s3, exec_lo, s3
	s_cbranch_execz .LBB118_721
; %bb.720:
	v_div_scale_f64 v[212:213], null, v[242:243], v[242:243], v[240:241]
	v_div_scale_f64 v[218:219], vcc_lo, v[240:241], v[242:243], v[240:241]
	s_delay_alu instid0(VALU_DEP_2) | instskip(SKIP_2) | instid1(VALU_DEP_1)
	v_rcp_f64_e32 v[214:215], v[212:213]
	s_waitcnt_depctr 0xfff
	v_fma_f64 v[216:217], -v[212:213], v[214:215], 1.0
	v_fma_f64 v[214:215], v[214:215], v[216:217], v[214:215]
	s_delay_alu instid0(VALU_DEP_1) | instskip(NEXT) | instid1(VALU_DEP_1)
	v_fma_f64 v[216:217], -v[212:213], v[214:215], 1.0
	v_fma_f64 v[214:215], v[214:215], v[216:217], v[214:215]
	s_delay_alu instid0(VALU_DEP_1) | instskip(NEXT) | instid1(VALU_DEP_1)
	v_mul_f64 v[216:217], v[218:219], v[214:215]
	v_fma_f64 v[212:213], -v[212:213], v[216:217], v[218:219]
	s_delay_alu instid0(VALU_DEP_1) | instskip(NEXT) | instid1(VALU_DEP_1)
	v_div_fmas_f64 v[212:213], v[212:213], v[214:215], v[216:217]
	v_div_fixup_f64 v[212:213], v[212:213], v[242:243], v[240:241]
	s_delay_alu instid0(VALU_DEP_1) | instskip(NEXT) | instid1(VALU_DEP_1)
	v_fma_f64 v[214:215], v[240:241], v[212:213], v[242:243]
	v_div_scale_f64 v[216:217], null, v[214:215], v[214:215], 1.0
	s_delay_alu instid0(VALU_DEP_1) | instskip(SKIP_2) | instid1(VALU_DEP_1)
	v_rcp_f64_e32 v[218:219], v[216:217]
	s_waitcnt_depctr 0xfff
	v_fma_f64 v[220:221], -v[216:217], v[218:219], 1.0
	v_fma_f64 v[218:219], v[218:219], v[220:221], v[218:219]
	s_delay_alu instid0(VALU_DEP_1) | instskip(NEXT) | instid1(VALU_DEP_1)
	v_fma_f64 v[220:221], -v[216:217], v[218:219], 1.0
	v_fma_f64 v[218:219], v[218:219], v[220:221], v[218:219]
	v_div_scale_f64 v[220:221], vcc_lo, 1.0, v[214:215], 1.0
	s_delay_alu instid0(VALU_DEP_1) | instskip(NEXT) | instid1(VALU_DEP_1)
	v_mul_f64 v[222:223], v[220:221], v[218:219]
	v_fma_f64 v[216:217], -v[216:217], v[222:223], v[220:221]
	s_delay_alu instid0(VALU_DEP_1) | instskip(NEXT) | instid1(VALU_DEP_1)
	v_div_fmas_f64 v[216:217], v[216:217], v[218:219], v[222:223]
	v_div_fixup_f64 v[242:243], v[216:217], v[214:215], 1.0
	s_delay_alu instid0(VALU_DEP_1)
	v_mul_f64 v[240:241], v[212:213], v[242:243]
	v_xor_b32_e32 v243, 0x80000000, v243
.LBB118_721:
	s_and_not1_saveexec_b32 s3, s3
	s_cbranch_execz .LBB118_723
; %bb.722:
	s_delay_alu instid0(VALU_DEP_1) | instskip(SKIP_1) | instid1(VALU_DEP_2)
	v_div_scale_f64 v[212:213], null, v[240:241], v[240:241], v[242:243]
	v_div_scale_f64 v[218:219], vcc_lo, v[242:243], v[240:241], v[242:243]
	v_rcp_f64_e32 v[214:215], v[212:213]
	s_waitcnt_depctr 0xfff
	v_fma_f64 v[216:217], -v[212:213], v[214:215], 1.0
	s_delay_alu instid0(VALU_DEP_1) | instskip(NEXT) | instid1(VALU_DEP_1)
	v_fma_f64 v[214:215], v[214:215], v[216:217], v[214:215]
	v_fma_f64 v[216:217], -v[212:213], v[214:215], 1.0
	s_delay_alu instid0(VALU_DEP_1) | instskip(NEXT) | instid1(VALU_DEP_1)
	v_fma_f64 v[214:215], v[214:215], v[216:217], v[214:215]
	v_mul_f64 v[216:217], v[218:219], v[214:215]
	s_delay_alu instid0(VALU_DEP_1) | instskip(NEXT) | instid1(VALU_DEP_1)
	v_fma_f64 v[212:213], -v[212:213], v[216:217], v[218:219]
	v_div_fmas_f64 v[212:213], v[212:213], v[214:215], v[216:217]
	s_delay_alu instid0(VALU_DEP_1) | instskip(NEXT) | instid1(VALU_DEP_1)
	v_div_fixup_f64 v[212:213], v[212:213], v[240:241], v[242:243]
	v_fma_f64 v[214:215], v[242:243], v[212:213], v[240:241]
	s_delay_alu instid0(VALU_DEP_1) | instskip(NEXT) | instid1(VALU_DEP_1)
	v_div_scale_f64 v[216:217], null, v[214:215], v[214:215], 1.0
	v_rcp_f64_e32 v[218:219], v[216:217]
	s_waitcnt_depctr 0xfff
	v_fma_f64 v[220:221], -v[216:217], v[218:219], 1.0
	s_delay_alu instid0(VALU_DEP_1) | instskip(NEXT) | instid1(VALU_DEP_1)
	v_fma_f64 v[218:219], v[218:219], v[220:221], v[218:219]
	v_fma_f64 v[220:221], -v[216:217], v[218:219], 1.0
	s_delay_alu instid0(VALU_DEP_1) | instskip(SKIP_1) | instid1(VALU_DEP_1)
	v_fma_f64 v[218:219], v[218:219], v[220:221], v[218:219]
	v_div_scale_f64 v[220:221], vcc_lo, 1.0, v[214:215], 1.0
	v_mul_f64 v[222:223], v[220:221], v[218:219]
	s_delay_alu instid0(VALU_DEP_1) | instskip(NEXT) | instid1(VALU_DEP_1)
	v_fma_f64 v[216:217], -v[216:217], v[222:223], v[220:221]
	v_div_fmas_f64 v[216:217], v[216:217], v[218:219], v[222:223]
	s_delay_alu instid0(VALU_DEP_1) | instskip(NEXT) | instid1(VALU_DEP_1)
	v_div_fixup_f64 v[240:241], v[216:217], v[214:215], 1.0
	v_mul_f64 v[242:243], v[212:213], -v[240:241]
.LBB118_723:
	s_or_b32 exec_lo, exec_lo, s3
.LBB118_724:
	s_delay_alu instid0(SALU_CYCLE_1) | instskip(NEXT) | instid1(SALU_CYCLE_1)
	s_or_b32 exec_lo, exec_lo, s2
	s_mov_b32 s2, exec_lo
	v_cmpx_ne_u32_e64 v255, v248
	s_xor_b32 s2, exec_lo, s2
	s_cbranch_execz .LBB118_730
; %bb.725:
	s_mov_b32 s3, exec_lo
	v_cmpx_eq_u32_e32 34, v255
	s_cbranch_execz .LBB118_729
; %bb.726:
	v_cmp_ne_u32_e32 vcc_lo, 34, v248
	s_xor_b32 s4, s5, -1
	s_delay_alu instid0(SALU_CYCLE_1) | instskip(NEXT) | instid1(SALU_CYCLE_1)
	s_and_b32 s6, s4, vcc_lo
	s_and_saveexec_b32 s4, s6
	s_cbranch_execz .LBB118_728
; %bb.727:
	scratch_load_b64 v[208:209], off, off offset:16 ; 8-byte Folded Reload
	v_ashrrev_i32_e32 v249, 31, v248
	s_delay_alu instid0(VALU_DEP_1) | instskip(SKIP_1) | instid1(VALU_DEP_1)
	v_lshlrev_b64 v[212:213], 2, v[248:249]
	s_waitcnt vmcnt(0)
	v_add_co_u32 v212, vcc_lo, v208, v212
	s_delay_alu instid0(VALU_DEP_2)
	v_add_co_ci_u32_e32 v213, vcc_lo, v209, v213, vcc_lo
	s_clause 0x1
	flat_load_b32 v214, v[212:213]
	flat_load_b32 v215, v[208:209] offset:136
	s_waitcnt vmcnt(1) lgkmcnt(1)
	flat_store_b32 v[208:209], v214 offset:136
	s_waitcnt vmcnt(0) lgkmcnt(1)
	flat_store_b32 v[212:213], v215
.LBB118_728:
	s_or_b32 exec_lo, exec_lo, s4
	v_mov_b32_e32 v255, v248
	v_mov_b32_e32 v244, v248
.LBB118_729:
	s_or_b32 exec_lo, exec_lo, s3
.LBB118_730:
	s_and_not1_saveexec_b32 s2, s2
	s_cbranch_execz .LBB118_732
; %bb.731:
	v_mov_b32_e32 v255, 34
	ds_store_2addr_b64 v250, v[96:97], v[98:99] offset0:70 offset1:71
	ds_store_2addr_b64 v250, v[92:93], v[94:95] offset0:72 offset1:73
	;; [unrolled: 1-line block ×25, first 2 shown]
.LBB118_732:
	s_or_b32 exec_lo, exec_lo, s2
	s_delay_alu instid0(SALU_CYCLE_1)
	s_mov_b32 s2, exec_lo
	s_waitcnt lgkmcnt(0)
	s_waitcnt_vscnt null, 0x0
	s_barrier
	buffer_gl0_inv
	v_cmpx_lt_i32_e32 34, v255
	s_cbranch_execz .LBB118_734
; %bb.733:
	v_mul_f64 v[212:213], v[242:243], v[102:103]
	v_mul_f64 v[102:103], v[240:241], v[102:103]
	ds_load_2addr_b64 v[232:235], v250 offset0:70 offset1:71
	v_fma_f64 v[248:249], v[240:241], v[100:101], -v[212:213]
	v_fma_f64 v[102:103], v[242:243], v[100:101], v[102:103]
	s_waitcnt lgkmcnt(0)
	s_delay_alu instid0(VALU_DEP_1) | instskip(SKIP_1) | instid1(VALU_DEP_2)
	v_mul_f64 v[100:101], v[234:235], v[102:103]
	v_mul_f64 v[212:213], v[232:233], v[102:103]
	v_fma_f64 v[100:101], v[232:233], v[248:249], -v[100:101]
	s_delay_alu instid0(VALU_DEP_2)
	v_fma_f64 v[212:213], v[234:235], v[248:249], v[212:213]
	ds_load_2addr_b64 v[232:235], v250 offset0:72 offset1:73
	v_add_f64 v[96:97], v[96:97], -v[100:101]
	v_add_f64 v[98:99], v[98:99], -v[212:213]
	s_waitcnt lgkmcnt(0)
	v_mul_f64 v[100:101], v[234:235], v[102:103]
	v_mul_f64 v[212:213], v[232:233], v[102:103]
	s_delay_alu instid0(VALU_DEP_2) | instskip(NEXT) | instid1(VALU_DEP_2)
	v_fma_f64 v[100:101], v[232:233], v[248:249], -v[100:101]
	v_fma_f64 v[212:213], v[234:235], v[248:249], v[212:213]
	ds_load_2addr_b64 v[232:235], v250 offset0:74 offset1:75
	v_add_f64 v[92:93], v[92:93], -v[100:101]
	v_add_f64 v[94:95], v[94:95], -v[212:213]
	s_waitcnt lgkmcnt(0)
	v_mul_f64 v[100:101], v[234:235], v[102:103]
	v_mul_f64 v[212:213], v[232:233], v[102:103]
	s_delay_alu instid0(VALU_DEP_2) | instskip(NEXT) | instid1(VALU_DEP_2)
	v_fma_f64 v[100:101], v[232:233], v[248:249], -v[100:101]
	;; [unrolled: 9-line block ×24, first 2 shown]
	v_fma_f64 v[212:213], v[234:235], v[248:249], v[212:213]
	s_delay_alu instid0(VALU_DEP_2) | instskip(NEXT) | instid1(VALU_DEP_2)
	v_add_f64 v[228:229], v[228:229], -v[100:101]
	v_add_f64 v[230:231], v[230:231], -v[212:213]
	v_dual_mov_b32 v100, v248 :: v_dual_mov_b32 v101, v249
.LBB118_734:
	s_or_b32 exec_lo, exec_lo, s2
	v_lshl_add_u32 v212, v255, 4, v250
	s_barrier
	buffer_gl0_inv
	v_mov_b32_e32 v248, 35
	ds_store_2addr_b64 v212, v[96:97], v[98:99] offset1:1
	s_waitcnt lgkmcnt(0)
	s_barrier
	buffer_gl0_inv
	ds_load_2addr_b64 v[240:243], v250 offset0:70 offset1:71
	s_cmp_lt_i32 s12, 37
	s_cbranch_scc1 .LBB118_737
; %bb.735:
	v_add3_u32 v245, v254, 0, 0x240
	v_mov_b32_e32 v248, 35
	s_mov_b32 s2, 36
	s_set_inst_prefetch_distance 0x1
	.p2align	6
.LBB118_736:                            ; =>This Inner Loop Header: Depth=1
	s_waitcnt lgkmcnt(0)
	v_cmp_gt_f64_e32 vcc_lo, 0, v[240:241]
	v_xor_b32_e32 v212, 0x80000000, v241
	v_xor_b32_e32 v214, 0x80000000, v243
	ds_load_2addr_b64 v[232:235], v245 offset1:1
	v_add_nc_u32_e32 v245, 16, v245
	s_waitcnt lgkmcnt(0)
	v_xor_b32_e32 v216, 0x80000000, v235
	v_cndmask_b32_e32 v213, v241, v212, vcc_lo
	v_cndmask_b32_e32 v212, v240, v240, vcc_lo
	v_cmp_gt_f64_e32 vcc_lo, 0, v[242:243]
	v_cndmask_b32_e32 v215, v243, v214, vcc_lo
	v_cndmask_b32_e32 v214, v242, v242, vcc_lo
	v_cmp_gt_f64_e32 vcc_lo, 0, v[232:233]
	s_delay_alu instid0(VALU_DEP_2) | instskip(SKIP_1) | instid1(VALU_DEP_1)
	v_add_f64 v[212:213], v[212:213], v[214:215]
	v_xor_b32_e32 v214, 0x80000000, v233
	v_dual_cndmask_b32 v215, v233, v214 :: v_dual_mov_b32 v214, v232
	v_cmp_gt_f64_e32 vcc_lo, 0, v[234:235]
	v_dual_cndmask_b32 v217, v235, v216 :: v_dual_mov_b32 v216, v234
	s_delay_alu instid0(VALU_DEP_1) | instskip(NEXT) | instid1(VALU_DEP_1)
	v_add_f64 v[214:215], v[214:215], v[216:217]
	v_cmp_lt_f64_e32 vcc_lo, v[212:213], v[214:215]
	v_dual_cndmask_b32 v241, v241, v233 :: v_dual_cndmask_b32 v240, v240, v232
	v_dual_cndmask_b32 v243, v243, v235 :: v_dual_cndmask_b32 v242, v242, v234
	v_cndmask_b32_e64 v248, v248, s2, vcc_lo
	s_add_i32 s2, s2, 1
	s_delay_alu instid0(SALU_CYCLE_1)
	s_cmp_lg_u32 s12, s2
	s_cbranch_scc1 .LBB118_736
.LBB118_737:
	s_set_inst_prefetch_distance 0x2
	s_waitcnt lgkmcnt(0)
	v_cmp_eq_f64_e32 vcc_lo, 0, v[240:241]
	v_cmp_eq_f64_e64 s2, 0, v[242:243]
	s_delay_alu instid0(VALU_DEP_1) | instskip(NEXT) | instid1(SALU_CYCLE_1)
	s_and_b32 s2, vcc_lo, s2
	s_and_saveexec_b32 s3, s2
	s_delay_alu instid0(SALU_CYCLE_1)
	s_xor_b32 s2, exec_lo, s3
; %bb.738:
	v_cmp_ne_u32_e32 vcc_lo, 0, v253
	v_cndmask_b32_e32 v253, 36, v253, vcc_lo
; %bb.739:
	s_and_not1_saveexec_b32 s2, s2
	s_cbranch_execz .LBB118_745
; %bb.740:
	v_cmp_gt_f64_e32 vcc_lo, 0, v[240:241]
	v_xor_b32_e32 v212, 0x80000000, v241
	v_xor_b32_e32 v214, 0x80000000, v243
	s_mov_b32 s3, exec_lo
	s_delay_alu instid0(VALU_DEP_2) | instskip(SKIP_4) | instid1(VALU_DEP_1)
	v_cndmask_b32_e32 v213, v241, v212, vcc_lo
	v_cndmask_b32_e32 v212, v240, v240, vcc_lo
	v_cmp_gt_f64_e32 vcc_lo, 0, v[242:243]
	v_cndmask_b32_e32 v215, v243, v214, vcc_lo
	v_cndmask_b32_e32 v214, v242, v242, vcc_lo
	v_cmpx_ngt_f64_e32 v[212:213], v[214:215]
	s_xor_b32 s3, exec_lo, s3
	s_cbranch_execz .LBB118_742
; %bb.741:
	v_div_scale_f64 v[212:213], null, v[242:243], v[242:243], v[240:241]
	v_div_scale_f64 v[218:219], vcc_lo, v[240:241], v[242:243], v[240:241]
	s_delay_alu instid0(VALU_DEP_2) | instskip(SKIP_2) | instid1(VALU_DEP_1)
	v_rcp_f64_e32 v[214:215], v[212:213]
	s_waitcnt_depctr 0xfff
	v_fma_f64 v[216:217], -v[212:213], v[214:215], 1.0
	v_fma_f64 v[214:215], v[214:215], v[216:217], v[214:215]
	s_delay_alu instid0(VALU_DEP_1) | instskip(NEXT) | instid1(VALU_DEP_1)
	v_fma_f64 v[216:217], -v[212:213], v[214:215], 1.0
	v_fma_f64 v[214:215], v[214:215], v[216:217], v[214:215]
	s_delay_alu instid0(VALU_DEP_1) | instskip(NEXT) | instid1(VALU_DEP_1)
	v_mul_f64 v[216:217], v[218:219], v[214:215]
	v_fma_f64 v[212:213], -v[212:213], v[216:217], v[218:219]
	s_delay_alu instid0(VALU_DEP_1) | instskip(NEXT) | instid1(VALU_DEP_1)
	v_div_fmas_f64 v[212:213], v[212:213], v[214:215], v[216:217]
	v_div_fixup_f64 v[212:213], v[212:213], v[242:243], v[240:241]
	s_delay_alu instid0(VALU_DEP_1) | instskip(NEXT) | instid1(VALU_DEP_1)
	v_fma_f64 v[214:215], v[240:241], v[212:213], v[242:243]
	v_div_scale_f64 v[216:217], null, v[214:215], v[214:215], 1.0
	s_delay_alu instid0(VALU_DEP_1) | instskip(SKIP_2) | instid1(VALU_DEP_1)
	v_rcp_f64_e32 v[218:219], v[216:217]
	s_waitcnt_depctr 0xfff
	v_fma_f64 v[220:221], -v[216:217], v[218:219], 1.0
	v_fma_f64 v[218:219], v[218:219], v[220:221], v[218:219]
	s_delay_alu instid0(VALU_DEP_1) | instskip(NEXT) | instid1(VALU_DEP_1)
	v_fma_f64 v[220:221], -v[216:217], v[218:219], 1.0
	v_fma_f64 v[218:219], v[218:219], v[220:221], v[218:219]
	v_div_scale_f64 v[220:221], vcc_lo, 1.0, v[214:215], 1.0
	s_delay_alu instid0(VALU_DEP_1) | instskip(NEXT) | instid1(VALU_DEP_1)
	v_mul_f64 v[222:223], v[220:221], v[218:219]
	v_fma_f64 v[216:217], -v[216:217], v[222:223], v[220:221]
	s_delay_alu instid0(VALU_DEP_1) | instskip(NEXT) | instid1(VALU_DEP_1)
	v_div_fmas_f64 v[216:217], v[216:217], v[218:219], v[222:223]
	v_div_fixup_f64 v[242:243], v[216:217], v[214:215], 1.0
	s_delay_alu instid0(VALU_DEP_1)
	v_mul_f64 v[240:241], v[212:213], v[242:243]
	v_xor_b32_e32 v243, 0x80000000, v243
.LBB118_742:
	s_and_not1_saveexec_b32 s3, s3
	s_cbranch_execz .LBB118_744
; %bb.743:
	s_delay_alu instid0(VALU_DEP_1) | instskip(SKIP_1) | instid1(VALU_DEP_2)
	v_div_scale_f64 v[212:213], null, v[240:241], v[240:241], v[242:243]
	v_div_scale_f64 v[218:219], vcc_lo, v[242:243], v[240:241], v[242:243]
	v_rcp_f64_e32 v[214:215], v[212:213]
	s_waitcnt_depctr 0xfff
	v_fma_f64 v[216:217], -v[212:213], v[214:215], 1.0
	s_delay_alu instid0(VALU_DEP_1) | instskip(NEXT) | instid1(VALU_DEP_1)
	v_fma_f64 v[214:215], v[214:215], v[216:217], v[214:215]
	v_fma_f64 v[216:217], -v[212:213], v[214:215], 1.0
	s_delay_alu instid0(VALU_DEP_1) | instskip(NEXT) | instid1(VALU_DEP_1)
	v_fma_f64 v[214:215], v[214:215], v[216:217], v[214:215]
	v_mul_f64 v[216:217], v[218:219], v[214:215]
	s_delay_alu instid0(VALU_DEP_1) | instskip(NEXT) | instid1(VALU_DEP_1)
	v_fma_f64 v[212:213], -v[212:213], v[216:217], v[218:219]
	v_div_fmas_f64 v[212:213], v[212:213], v[214:215], v[216:217]
	s_delay_alu instid0(VALU_DEP_1) | instskip(NEXT) | instid1(VALU_DEP_1)
	v_div_fixup_f64 v[212:213], v[212:213], v[240:241], v[242:243]
	v_fma_f64 v[214:215], v[242:243], v[212:213], v[240:241]
	s_delay_alu instid0(VALU_DEP_1) | instskip(NEXT) | instid1(VALU_DEP_1)
	v_div_scale_f64 v[216:217], null, v[214:215], v[214:215], 1.0
	v_rcp_f64_e32 v[218:219], v[216:217]
	s_waitcnt_depctr 0xfff
	v_fma_f64 v[220:221], -v[216:217], v[218:219], 1.0
	s_delay_alu instid0(VALU_DEP_1) | instskip(NEXT) | instid1(VALU_DEP_1)
	v_fma_f64 v[218:219], v[218:219], v[220:221], v[218:219]
	v_fma_f64 v[220:221], -v[216:217], v[218:219], 1.0
	s_delay_alu instid0(VALU_DEP_1) | instskip(SKIP_1) | instid1(VALU_DEP_1)
	v_fma_f64 v[218:219], v[218:219], v[220:221], v[218:219]
	v_div_scale_f64 v[220:221], vcc_lo, 1.0, v[214:215], 1.0
	v_mul_f64 v[222:223], v[220:221], v[218:219]
	s_delay_alu instid0(VALU_DEP_1) | instskip(NEXT) | instid1(VALU_DEP_1)
	v_fma_f64 v[216:217], -v[216:217], v[222:223], v[220:221]
	v_div_fmas_f64 v[216:217], v[216:217], v[218:219], v[222:223]
	s_delay_alu instid0(VALU_DEP_1) | instskip(NEXT) | instid1(VALU_DEP_1)
	v_div_fixup_f64 v[240:241], v[216:217], v[214:215], 1.0
	v_mul_f64 v[242:243], v[212:213], -v[240:241]
.LBB118_744:
	s_or_b32 exec_lo, exec_lo, s3
.LBB118_745:
	s_delay_alu instid0(SALU_CYCLE_1) | instskip(NEXT) | instid1(SALU_CYCLE_1)
	s_or_b32 exec_lo, exec_lo, s2
	s_mov_b32 s2, exec_lo
	v_cmpx_ne_u32_e64 v255, v248
	s_xor_b32 s2, exec_lo, s2
	s_cbranch_execz .LBB118_751
; %bb.746:
	s_mov_b32 s3, exec_lo
	v_cmpx_eq_u32_e32 35, v255
	s_cbranch_execz .LBB118_750
; %bb.747:
	v_cmp_ne_u32_e32 vcc_lo, 35, v248
	s_xor_b32 s4, s5, -1
	s_delay_alu instid0(SALU_CYCLE_1) | instskip(NEXT) | instid1(SALU_CYCLE_1)
	s_and_b32 s6, s4, vcc_lo
	s_and_saveexec_b32 s4, s6
	s_cbranch_execz .LBB118_749
; %bb.748:
	scratch_load_b64 v[208:209], off, off offset:16 ; 8-byte Folded Reload
	v_ashrrev_i32_e32 v249, 31, v248
	s_delay_alu instid0(VALU_DEP_1) | instskip(SKIP_1) | instid1(VALU_DEP_1)
	v_lshlrev_b64 v[212:213], 2, v[248:249]
	s_waitcnt vmcnt(0)
	v_add_co_u32 v212, vcc_lo, v208, v212
	s_delay_alu instid0(VALU_DEP_2)
	v_add_co_ci_u32_e32 v213, vcc_lo, v209, v213, vcc_lo
	s_clause 0x1
	flat_load_b32 v214, v[212:213]
	flat_load_b32 v215, v[208:209] offset:140
	s_waitcnt vmcnt(1) lgkmcnt(1)
	flat_store_b32 v[208:209], v214 offset:140
	s_waitcnt vmcnt(0) lgkmcnt(1)
	flat_store_b32 v[212:213], v215
.LBB118_749:
	s_or_b32 exec_lo, exec_lo, s4
	v_mov_b32_e32 v255, v248
	v_mov_b32_e32 v244, v248
.LBB118_750:
	s_or_b32 exec_lo, exec_lo, s3
.LBB118_751:
	s_and_not1_saveexec_b32 s2, s2
	s_cbranch_execz .LBB118_753
; %bb.752:
	v_mov_b32_e32 v255, 35
	ds_store_2addr_b64 v250, v[92:93], v[94:95] offset0:72 offset1:73
	ds_store_2addr_b64 v250, v[88:89], v[90:91] offset0:74 offset1:75
	;; [unrolled: 1-line block ×24, first 2 shown]
.LBB118_753:
	s_or_b32 exec_lo, exec_lo, s2
	s_delay_alu instid0(SALU_CYCLE_1)
	s_mov_b32 s2, exec_lo
	s_waitcnt lgkmcnt(0)
	s_waitcnt_vscnt null, 0x0
	s_barrier
	buffer_gl0_inv
	v_cmpx_lt_i32_e32 35, v255
	s_cbranch_execz .LBB118_755
; %bb.754:
	v_mul_f64 v[212:213], v[242:243], v[98:99]
	v_mul_f64 v[98:99], v[240:241], v[98:99]
	ds_load_2addr_b64 v[232:235], v250 offset0:72 offset1:73
	v_fma_f64 v[248:249], v[240:241], v[96:97], -v[212:213]
	v_fma_f64 v[98:99], v[242:243], v[96:97], v[98:99]
	s_waitcnt lgkmcnt(0)
	s_delay_alu instid0(VALU_DEP_1) | instskip(SKIP_1) | instid1(VALU_DEP_2)
	v_mul_f64 v[96:97], v[234:235], v[98:99]
	v_mul_f64 v[212:213], v[232:233], v[98:99]
	v_fma_f64 v[96:97], v[232:233], v[248:249], -v[96:97]
	s_delay_alu instid0(VALU_DEP_2)
	v_fma_f64 v[212:213], v[234:235], v[248:249], v[212:213]
	ds_load_2addr_b64 v[232:235], v250 offset0:74 offset1:75
	v_add_f64 v[92:93], v[92:93], -v[96:97]
	v_add_f64 v[94:95], v[94:95], -v[212:213]
	s_waitcnt lgkmcnt(0)
	v_mul_f64 v[96:97], v[234:235], v[98:99]
	v_mul_f64 v[212:213], v[232:233], v[98:99]
	s_delay_alu instid0(VALU_DEP_2) | instskip(NEXT) | instid1(VALU_DEP_2)
	v_fma_f64 v[96:97], v[232:233], v[248:249], -v[96:97]
	v_fma_f64 v[212:213], v[234:235], v[248:249], v[212:213]
	ds_load_2addr_b64 v[232:235], v250 offset0:76 offset1:77
	v_add_f64 v[88:89], v[88:89], -v[96:97]
	v_add_f64 v[90:91], v[90:91], -v[212:213]
	s_waitcnt lgkmcnt(0)
	v_mul_f64 v[96:97], v[234:235], v[98:99]
	v_mul_f64 v[212:213], v[232:233], v[98:99]
	s_delay_alu instid0(VALU_DEP_2) | instskip(NEXT) | instid1(VALU_DEP_2)
	v_fma_f64 v[96:97], v[232:233], v[248:249], -v[96:97]
	;; [unrolled: 9-line block ×23, first 2 shown]
	v_fma_f64 v[212:213], v[234:235], v[248:249], v[212:213]
	s_delay_alu instid0(VALU_DEP_2) | instskip(NEXT) | instid1(VALU_DEP_2)
	v_add_f64 v[228:229], v[228:229], -v[96:97]
	v_add_f64 v[230:231], v[230:231], -v[212:213]
	v_dual_mov_b32 v96, v248 :: v_dual_mov_b32 v97, v249
.LBB118_755:
	s_or_b32 exec_lo, exec_lo, s2
	v_lshl_add_u32 v212, v255, 4, v250
	s_barrier
	buffer_gl0_inv
	v_mov_b32_e32 v248, 36
	ds_store_2addr_b64 v212, v[92:93], v[94:95] offset1:1
	s_waitcnt lgkmcnt(0)
	s_barrier
	buffer_gl0_inv
	ds_load_2addr_b64 v[240:243], v250 offset0:72 offset1:73
	s_cmp_lt_i32 s12, 38
	s_cbranch_scc1 .LBB118_758
; %bb.756:
	v_add3_u32 v245, v254, 0, 0x250
	v_mov_b32_e32 v248, 36
	s_mov_b32 s2, 37
	s_set_inst_prefetch_distance 0x1
	.p2align	6
.LBB118_757:                            ; =>This Inner Loop Header: Depth=1
	s_waitcnt lgkmcnt(0)
	v_cmp_gt_f64_e32 vcc_lo, 0, v[240:241]
	v_xor_b32_e32 v212, 0x80000000, v241
	v_xor_b32_e32 v214, 0x80000000, v243
	ds_load_2addr_b64 v[232:235], v245 offset1:1
	v_add_nc_u32_e32 v245, 16, v245
	s_waitcnt lgkmcnt(0)
	v_xor_b32_e32 v216, 0x80000000, v235
	v_cndmask_b32_e32 v213, v241, v212, vcc_lo
	v_cndmask_b32_e32 v212, v240, v240, vcc_lo
	v_cmp_gt_f64_e32 vcc_lo, 0, v[242:243]
	v_cndmask_b32_e32 v215, v243, v214, vcc_lo
	v_cndmask_b32_e32 v214, v242, v242, vcc_lo
	v_cmp_gt_f64_e32 vcc_lo, 0, v[232:233]
	s_delay_alu instid0(VALU_DEP_2) | instskip(SKIP_1) | instid1(VALU_DEP_1)
	v_add_f64 v[212:213], v[212:213], v[214:215]
	v_xor_b32_e32 v214, 0x80000000, v233
	v_dual_cndmask_b32 v215, v233, v214 :: v_dual_mov_b32 v214, v232
	v_cmp_gt_f64_e32 vcc_lo, 0, v[234:235]
	v_dual_cndmask_b32 v217, v235, v216 :: v_dual_mov_b32 v216, v234
	s_delay_alu instid0(VALU_DEP_1) | instskip(NEXT) | instid1(VALU_DEP_1)
	v_add_f64 v[214:215], v[214:215], v[216:217]
	v_cmp_lt_f64_e32 vcc_lo, v[212:213], v[214:215]
	v_dual_cndmask_b32 v241, v241, v233 :: v_dual_cndmask_b32 v240, v240, v232
	v_dual_cndmask_b32 v243, v243, v235 :: v_dual_cndmask_b32 v242, v242, v234
	v_cndmask_b32_e64 v248, v248, s2, vcc_lo
	s_add_i32 s2, s2, 1
	s_delay_alu instid0(SALU_CYCLE_1)
	s_cmp_lg_u32 s12, s2
	s_cbranch_scc1 .LBB118_757
.LBB118_758:
	s_set_inst_prefetch_distance 0x2
	s_waitcnt lgkmcnt(0)
	v_cmp_eq_f64_e32 vcc_lo, 0, v[240:241]
	v_cmp_eq_f64_e64 s2, 0, v[242:243]
	s_delay_alu instid0(VALU_DEP_1) | instskip(NEXT) | instid1(SALU_CYCLE_1)
	s_and_b32 s2, vcc_lo, s2
	s_and_saveexec_b32 s3, s2
	s_delay_alu instid0(SALU_CYCLE_1)
	s_xor_b32 s2, exec_lo, s3
; %bb.759:
	v_cmp_ne_u32_e32 vcc_lo, 0, v253
	v_cndmask_b32_e32 v253, 37, v253, vcc_lo
; %bb.760:
	s_and_not1_saveexec_b32 s2, s2
	s_cbranch_execz .LBB118_766
; %bb.761:
	v_cmp_gt_f64_e32 vcc_lo, 0, v[240:241]
	v_xor_b32_e32 v212, 0x80000000, v241
	v_xor_b32_e32 v214, 0x80000000, v243
	s_mov_b32 s3, exec_lo
	s_delay_alu instid0(VALU_DEP_2) | instskip(SKIP_4) | instid1(VALU_DEP_1)
	v_cndmask_b32_e32 v213, v241, v212, vcc_lo
	v_cndmask_b32_e32 v212, v240, v240, vcc_lo
	v_cmp_gt_f64_e32 vcc_lo, 0, v[242:243]
	v_cndmask_b32_e32 v215, v243, v214, vcc_lo
	v_cndmask_b32_e32 v214, v242, v242, vcc_lo
	v_cmpx_ngt_f64_e32 v[212:213], v[214:215]
	s_xor_b32 s3, exec_lo, s3
	s_cbranch_execz .LBB118_763
; %bb.762:
	v_div_scale_f64 v[212:213], null, v[242:243], v[242:243], v[240:241]
	v_div_scale_f64 v[218:219], vcc_lo, v[240:241], v[242:243], v[240:241]
	s_delay_alu instid0(VALU_DEP_2) | instskip(SKIP_2) | instid1(VALU_DEP_1)
	v_rcp_f64_e32 v[214:215], v[212:213]
	s_waitcnt_depctr 0xfff
	v_fma_f64 v[216:217], -v[212:213], v[214:215], 1.0
	v_fma_f64 v[214:215], v[214:215], v[216:217], v[214:215]
	s_delay_alu instid0(VALU_DEP_1) | instskip(NEXT) | instid1(VALU_DEP_1)
	v_fma_f64 v[216:217], -v[212:213], v[214:215], 1.0
	v_fma_f64 v[214:215], v[214:215], v[216:217], v[214:215]
	s_delay_alu instid0(VALU_DEP_1) | instskip(NEXT) | instid1(VALU_DEP_1)
	v_mul_f64 v[216:217], v[218:219], v[214:215]
	v_fma_f64 v[212:213], -v[212:213], v[216:217], v[218:219]
	s_delay_alu instid0(VALU_DEP_1) | instskip(NEXT) | instid1(VALU_DEP_1)
	v_div_fmas_f64 v[212:213], v[212:213], v[214:215], v[216:217]
	v_div_fixup_f64 v[212:213], v[212:213], v[242:243], v[240:241]
	s_delay_alu instid0(VALU_DEP_1) | instskip(NEXT) | instid1(VALU_DEP_1)
	v_fma_f64 v[214:215], v[240:241], v[212:213], v[242:243]
	v_div_scale_f64 v[216:217], null, v[214:215], v[214:215], 1.0
	s_delay_alu instid0(VALU_DEP_1) | instskip(SKIP_2) | instid1(VALU_DEP_1)
	v_rcp_f64_e32 v[218:219], v[216:217]
	s_waitcnt_depctr 0xfff
	v_fma_f64 v[220:221], -v[216:217], v[218:219], 1.0
	v_fma_f64 v[218:219], v[218:219], v[220:221], v[218:219]
	s_delay_alu instid0(VALU_DEP_1) | instskip(NEXT) | instid1(VALU_DEP_1)
	v_fma_f64 v[220:221], -v[216:217], v[218:219], 1.0
	v_fma_f64 v[218:219], v[218:219], v[220:221], v[218:219]
	v_div_scale_f64 v[220:221], vcc_lo, 1.0, v[214:215], 1.0
	s_delay_alu instid0(VALU_DEP_1) | instskip(NEXT) | instid1(VALU_DEP_1)
	v_mul_f64 v[222:223], v[220:221], v[218:219]
	v_fma_f64 v[216:217], -v[216:217], v[222:223], v[220:221]
	s_delay_alu instid0(VALU_DEP_1) | instskip(NEXT) | instid1(VALU_DEP_1)
	v_div_fmas_f64 v[216:217], v[216:217], v[218:219], v[222:223]
	v_div_fixup_f64 v[242:243], v[216:217], v[214:215], 1.0
	s_delay_alu instid0(VALU_DEP_1)
	v_mul_f64 v[240:241], v[212:213], v[242:243]
	v_xor_b32_e32 v243, 0x80000000, v243
.LBB118_763:
	s_and_not1_saveexec_b32 s3, s3
	s_cbranch_execz .LBB118_765
; %bb.764:
	s_delay_alu instid0(VALU_DEP_1) | instskip(SKIP_1) | instid1(VALU_DEP_2)
	v_div_scale_f64 v[212:213], null, v[240:241], v[240:241], v[242:243]
	v_div_scale_f64 v[218:219], vcc_lo, v[242:243], v[240:241], v[242:243]
	v_rcp_f64_e32 v[214:215], v[212:213]
	s_waitcnt_depctr 0xfff
	v_fma_f64 v[216:217], -v[212:213], v[214:215], 1.0
	s_delay_alu instid0(VALU_DEP_1) | instskip(NEXT) | instid1(VALU_DEP_1)
	v_fma_f64 v[214:215], v[214:215], v[216:217], v[214:215]
	v_fma_f64 v[216:217], -v[212:213], v[214:215], 1.0
	s_delay_alu instid0(VALU_DEP_1) | instskip(NEXT) | instid1(VALU_DEP_1)
	v_fma_f64 v[214:215], v[214:215], v[216:217], v[214:215]
	v_mul_f64 v[216:217], v[218:219], v[214:215]
	s_delay_alu instid0(VALU_DEP_1) | instskip(NEXT) | instid1(VALU_DEP_1)
	v_fma_f64 v[212:213], -v[212:213], v[216:217], v[218:219]
	v_div_fmas_f64 v[212:213], v[212:213], v[214:215], v[216:217]
	s_delay_alu instid0(VALU_DEP_1) | instskip(NEXT) | instid1(VALU_DEP_1)
	v_div_fixup_f64 v[212:213], v[212:213], v[240:241], v[242:243]
	v_fma_f64 v[214:215], v[242:243], v[212:213], v[240:241]
	s_delay_alu instid0(VALU_DEP_1) | instskip(NEXT) | instid1(VALU_DEP_1)
	v_div_scale_f64 v[216:217], null, v[214:215], v[214:215], 1.0
	v_rcp_f64_e32 v[218:219], v[216:217]
	s_waitcnt_depctr 0xfff
	v_fma_f64 v[220:221], -v[216:217], v[218:219], 1.0
	s_delay_alu instid0(VALU_DEP_1) | instskip(NEXT) | instid1(VALU_DEP_1)
	v_fma_f64 v[218:219], v[218:219], v[220:221], v[218:219]
	v_fma_f64 v[220:221], -v[216:217], v[218:219], 1.0
	s_delay_alu instid0(VALU_DEP_1) | instskip(SKIP_1) | instid1(VALU_DEP_1)
	v_fma_f64 v[218:219], v[218:219], v[220:221], v[218:219]
	v_div_scale_f64 v[220:221], vcc_lo, 1.0, v[214:215], 1.0
	v_mul_f64 v[222:223], v[220:221], v[218:219]
	s_delay_alu instid0(VALU_DEP_1) | instskip(NEXT) | instid1(VALU_DEP_1)
	v_fma_f64 v[216:217], -v[216:217], v[222:223], v[220:221]
	v_div_fmas_f64 v[216:217], v[216:217], v[218:219], v[222:223]
	s_delay_alu instid0(VALU_DEP_1) | instskip(NEXT) | instid1(VALU_DEP_1)
	v_div_fixup_f64 v[240:241], v[216:217], v[214:215], 1.0
	v_mul_f64 v[242:243], v[212:213], -v[240:241]
.LBB118_765:
	s_or_b32 exec_lo, exec_lo, s3
.LBB118_766:
	s_delay_alu instid0(SALU_CYCLE_1) | instskip(NEXT) | instid1(SALU_CYCLE_1)
	s_or_b32 exec_lo, exec_lo, s2
	s_mov_b32 s2, exec_lo
	v_cmpx_ne_u32_e64 v255, v248
	s_xor_b32 s2, exec_lo, s2
	s_cbranch_execz .LBB118_772
; %bb.767:
	s_mov_b32 s3, exec_lo
	v_cmpx_eq_u32_e32 36, v255
	s_cbranch_execz .LBB118_771
; %bb.768:
	v_cmp_ne_u32_e32 vcc_lo, 36, v248
	s_xor_b32 s4, s5, -1
	s_delay_alu instid0(SALU_CYCLE_1) | instskip(NEXT) | instid1(SALU_CYCLE_1)
	s_and_b32 s6, s4, vcc_lo
	s_and_saveexec_b32 s4, s6
	s_cbranch_execz .LBB118_770
; %bb.769:
	scratch_load_b64 v[208:209], off, off offset:16 ; 8-byte Folded Reload
	v_ashrrev_i32_e32 v249, 31, v248
	s_delay_alu instid0(VALU_DEP_1) | instskip(SKIP_1) | instid1(VALU_DEP_1)
	v_lshlrev_b64 v[212:213], 2, v[248:249]
	s_waitcnt vmcnt(0)
	v_add_co_u32 v212, vcc_lo, v208, v212
	s_delay_alu instid0(VALU_DEP_2)
	v_add_co_ci_u32_e32 v213, vcc_lo, v209, v213, vcc_lo
	s_clause 0x1
	flat_load_b32 v214, v[212:213]
	flat_load_b32 v215, v[208:209] offset:144
	s_waitcnt vmcnt(1) lgkmcnt(1)
	flat_store_b32 v[208:209], v214 offset:144
	s_waitcnt vmcnt(0) lgkmcnt(1)
	flat_store_b32 v[212:213], v215
.LBB118_770:
	s_or_b32 exec_lo, exec_lo, s4
	v_mov_b32_e32 v255, v248
	v_mov_b32_e32 v244, v248
.LBB118_771:
	s_or_b32 exec_lo, exec_lo, s3
.LBB118_772:
	s_and_not1_saveexec_b32 s2, s2
	s_cbranch_execz .LBB118_774
; %bb.773:
	v_mov_b32_e32 v255, 36
	ds_store_2addr_b64 v250, v[88:89], v[90:91] offset0:74 offset1:75
	ds_store_2addr_b64 v250, v[84:85], v[86:87] offset0:76 offset1:77
	ds_store_2addr_b64 v250, v[80:81], v[82:83] offset0:78 offset1:79
	ds_store_2addr_b64 v250, v[76:77], v[78:79] offset0:80 offset1:81
	ds_store_2addr_b64 v250, v[72:73], v[74:75] offset0:82 offset1:83
	ds_store_2addr_b64 v250, v[68:69], v[70:71] offset0:84 offset1:85
	ds_store_2addr_b64 v250, v[64:65], v[66:67] offset0:86 offset1:87
	ds_store_2addr_b64 v250, v[60:61], v[62:63] offset0:88 offset1:89
	ds_store_2addr_b64 v250, v[56:57], v[58:59] offset0:90 offset1:91
	ds_store_2addr_b64 v250, v[52:53], v[54:55] offset0:92 offset1:93
	ds_store_2addr_b64 v250, v[48:49], v[50:51] offset0:94 offset1:95
	ds_store_2addr_b64 v250, v[44:45], v[46:47] offset0:96 offset1:97
	ds_store_2addr_b64 v250, v[40:41], v[42:43] offset0:98 offset1:99
	ds_store_2addr_b64 v250, v[36:37], v[38:39] offset0:100 offset1:101
	ds_store_2addr_b64 v250, v[32:33], v[34:35] offset0:102 offset1:103
	ds_store_2addr_b64 v250, v[28:29], v[30:31] offset0:104 offset1:105
	ds_store_2addr_b64 v250, v[24:25], v[26:27] offset0:106 offset1:107
	ds_store_2addr_b64 v250, v[20:21], v[22:23] offset0:108 offset1:109
	ds_store_2addr_b64 v250, v[16:17], v[18:19] offset0:110 offset1:111
	ds_store_2addr_b64 v250, v[12:13], v[14:15] offset0:112 offset1:113
	ds_store_2addr_b64 v250, v[236:237], v[238:239] offset0:114 offset1:115
	ds_store_2addr_b64 v250, v[224:225], v[226:227] offset0:116 offset1:117
	ds_store_2addr_b64 v250, v[228:229], v[230:231] offset0:118 offset1:119
.LBB118_774:
	s_or_b32 exec_lo, exec_lo, s2
	s_delay_alu instid0(SALU_CYCLE_1)
	s_mov_b32 s2, exec_lo
	s_waitcnt lgkmcnt(0)
	s_waitcnt_vscnt null, 0x0
	s_barrier
	buffer_gl0_inv
	v_cmpx_lt_i32_e32 36, v255
	s_cbranch_execz .LBB118_776
; %bb.775:
	v_mul_f64 v[212:213], v[242:243], v[94:95]
	v_mul_f64 v[94:95], v[240:241], v[94:95]
	ds_load_2addr_b64 v[232:235], v250 offset0:74 offset1:75
	v_fma_f64 v[248:249], v[240:241], v[92:93], -v[212:213]
	v_fma_f64 v[94:95], v[242:243], v[92:93], v[94:95]
	s_waitcnt lgkmcnt(0)
	s_delay_alu instid0(VALU_DEP_1) | instskip(SKIP_1) | instid1(VALU_DEP_2)
	v_mul_f64 v[92:93], v[234:235], v[94:95]
	v_mul_f64 v[212:213], v[232:233], v[94:95]
	v_fma_f64 v[92:93], v[232:233], v[248:249], -v[92:93]
	s_delay_alu instid0(VALU_DEP_2)
	v_fma_f64 v[212:213], v[234:235], v[248:249], v[212:213]
	ds_load_2addr_b64 v[232:235], v250 offset0:76 offset1:77
	v_add_f64 v[88:89], v[88:89], -v[92:93]
	v_add_f64 v[90:91], v[90:91], -v[212:213]
	s_waitcnt lgkmcnt(0)
	v_mul_f64 v[92:93], v[234:235], v[94:95]
	v_mul_f64 v[212:213], v[232:233], v[94:95]
	s_delay_alu instid0(VALU_DEP_2) | instskip(NEXT) | instid1(VALU_DEP_2)
	v_fma_f64 v[92:93], v[232:233], v[248:249], -v[92:93]
	v_fma_f64 v[212:213], v[234:235], v[248:249], v[212:213]
	ds_load_2addr_b64 v[232:235], v250 offset0:78 offset1:79
	v_add_f64 v[84:85], v[84:85], -v[92:93]
	v_add_f64 v[86:87], v[86:87], -v[212:213]
	s_waitcnt lgkmcnt(0)
	v_mul_f64 v[92:93], v[234:235], v[94:95]
	v_mul_f64 v[212:213], v[232:233], v[94:95]
	s_delay_alu instid0(VALU_DEP_2) | instskip(NEXT) | instid1(VALU_DEP_2)
	v_fma_f64 v[92:93], v[232:233], v[248:249], -v[92:93]
	;; [unrolled: 9-line block ×22, first 2 shown]
	v_fma_f64 v[212:213], v[234:235], v[248:249], v[212:213]
	s_delay_alu instid0(VALU_DEP_2) | instskip(NEXT) | instid1(VALU_DEP_2)
	v_add_f64 v[228:229], v[228:229], -v[92:93]
	v_add_f64 v[230:231], v[230:231], -v[212:213]
	v_dual_mov_b32 v92, v248 :: v_dual_mov_b32 v93, v249
.LBB118_776:
	s_or_b32 exec_lo, exec_lo, s2
	v_lshl_add_u32 v212, v255, 4, v250
	s_barrier
	buffer_gl0_inv
	v_mov_b32_e32 v248, 37
	ds_store_2addr_b64 v212, v[88:89], v[90:91] offset1:1
	s_waitcnt lgkmcnt(0)
	s_barrier
	buffer_gl0_inv
	ds_load_2addr_b64 v[240:243], v250 offset0:74 offset1:75
	s_cmp_lt_i32 s12, 39
	s_cbranch_scc1 .LBB118_779
; %bb.777:
	v_add3_u32 v245, v254, 0, 0x260
	v_mov_b32_e32 v248, 37
	s_mov_b32 s2, 38
	s_set_inst_prefetch_distance 0x1
	.p2align	6
.LBB118_778:                            ; =>This Inner Loop Header: Depth=1
	s_waitcnt lgkmcnt(0)
	v_cmp_gt_f64_e32 vcc_lo, 0, v[240:241]
	v_xor_b32_e32 v212, 0x80000000, v241
	v_xor_b32_e32 v214, 0x80000000, v243
	ds_load_2addr_b64 v[232:235], v245 offset1:1
	v_add_nc_u32_e32 v245, 16, v245
	s_waitcnt lgkmcnt(0)
	v_xor_b32_e32 v216, 0x80000000, v235
	v_cndmask_b32_e32 v213, v241, v212, vcc_lo
	v_cndmask_b32_e32 v212, v240, v240, vcc_lo
	v_cmp_gt_f64_e32 vcc_lo, 0, v[242:243]
	v_cndmask_b32_e32 v215, v243, v214, vcc_lo
	v_cndmask_b32_e32 v214, v242, v242, vcc_lo
	v_cmp_gt_f64_e32 vcc_lo, 0, v[232:233]
	s_delay_alu instid0(VALU_DEP_2) | instskip(SKIP_1) | instid1(VALU_DEP_1)
	v_add_f64 v[212:213], v[212:213], v[214:215]
	v_xor_b32_e32 v214, 0x80000000, v233
	v_dual_cndmask_b32 v215, v233, v214 :: v_dual_mov_b32 v214, v232
	v_cmp_gt_f64_e32 vcc_lo, 0, v[234:235]
	v_dual_cndmask_b32 v217, v235, v216 :: v_dual_mov_b32 v216, v234
	s_delay_alu instid0(VALU_DEP_1) | instskip(NEXT) | instid1(VALU_DEP_1)
	v_add_f64 v[214:215], v[214:215], v[216:217]
	v_cmp_lt_f64_e32 vcc_lo, v[212:213], v[214:215]
	v_dual_cndmask_b32 v241, v241, v233 :: v_dual_cndmask_b32 v240, v240, v232
	v_dual_cndmask_b32 v243, v243, v235 :: v_dual_cndmask_b32 v242, v242, v234
	v_cndmask_b32_e64 v248, v248, s2, vcc_lo
	s_add_i32 s2, s2, 1
	s_delay_alu instid0(SALU_CYCLE_1)
	s_cmp_lg_u32 s12, s2
	s_cbranch_scc1 .LBB118_778
.LBB118_779:
	s_set_inst_prefetch_distance 0x2
	s_waitcnt lgkmcnt(0)
	v_cmp_eq_f64_e32 vcc_lo, 0, v[240:241]
	v_cmp_eq_f64_e64 s2, 0, v[242:243]
	s_delay_alu instid0(VALU_DEP_1) | instskip(NEXT) | instid1(SALU_CYCLE_1)
	s_and_b32 s2, vcc_lo, s2
	s_and_saveexec_b32 s3, s2
	s_delay_alu instid0(SALU_CYCLE_1)
	s_xor_b32 s2, exec_lo, s3
; %bb.780:
	v_cmp_ne_u32_e32 vcc_lo, 0, v253
	v_cndmask_b32_e32 v253, 38, v253, vcc_lo
; %bb.781:
	s_and_not1_saveexec_b32 s2, s2
	s_cbranch_execz .LBB118_787
; %bb.782:
	v_cmp_gt_f64_e32 vcc_lo, 0, v[240:241]
	v_xor_b32_e32 v212, 0x80000000, v241
	v_xor_b32_e32 v214, 0x80000000, v243
	s_mov_b32 s3, exec_lo
	s_delay_alu instid0(VALU_DEP_2) | instskip(SKIP_4) | instid1(VALU_DEP_1)
	v_cndmask_b32_e32 v213, v241, v212, vcc_lo
	v_cndmask_b32_e32 v212, v240, v240, vcc_lo
	v_cmp_gt_f64_e32 vcc_lo, 0, v[242:243]
	v_cndmask_b32_e32 v215, v243, v214, vcc_lo
	v_cndmask_b32_e32 v214, v242, v242, vcc_lo
	v_cmpx_ngt_f64_e32 v[212:213], v[214:215]
	s_xor_b32 s3, exec_lo, s3
	s_cbranch_execz .LBB118_784
; %bb.783:
	v_div_scale_f64 v[212:213], null, v[242:243], v[242:243], v[240:241]
	v_div_scale_f64 v[218:219], vcc_lo, v[240:241], v[242:243], v[240:241]
	s_delay_alu instid0(VALU_DEP_2) | instskip(SKIP_2) | instid1(VALU_DEP_1)
	v_rcp_f64_e32 v[214:215], v[212:213]
	s_waitcnt_depctr 0xfff
	v_fma_f64 v[216:217], -v[212:213], v[214:215], 1.0
	v_fma_f64 v[214:215], v[214:215], v[216:217], v[214:215]
	s_delay_alu instid0(VALU_DEP_1) | instskip(NEXT) | instid1(VALU_DEP_1)
	v_fma_f64 v[216:217], -v[212:213], v[214:215], 1.0
	v_fma_f64 v[214:215], v[214:215], v[216:217], v[214:215]
	s_delay_alu instid0(VALU_DEP_1) | instskip(NEXT) | instid1(VALU_DEP_1)
	v_mul_f64 v[216:217], v[218:219], v[214:215]
	v_fma_f64 v[212:213], -v[212:213], v[216:217], v[218:219]
	s_delay_alu instid0(VALU_DEP_1) | instskip(NEXT) | instid1(VALU_DEP_1)
	v_div_fmas_f64 v[212:213], v[212:213], v[214:215], v[216:217]
	v_div_fixup_f64 v[212:213], v[212:213], v[242:243], v[240:241]
	s_delay_alu instid0(VALU_DEP_1) | instskip(NEXT) | instid1(VALU_DEP_1)
	v_fma_f64 v[214:215], v[240:241], v[212:213], v[242:243]
	v_div_scale_f64 v[216:217], null, v[214:215], v[214:215], 1.0
	s_delay_alu instid0(VALU_DEP_1) | instskip(SKIP_2) | instid1(VALU_DEP_1)
	v_rcp_f64_e32 v[218:219], v[216:217]
	s_waitcnt_depctr 0xfff
	v_fma_f64 v[220:221], -v[216:217], v[218:219], 1.0
	v_fma_f64 v[218:219], v[218:219], v[220:221], v[218:219]
	s_delay_alu instid0(VALU_DEP_1) | instskip(NEXT) | instid1(VALU_DEP_1)
	v_fma_f64 v[220:221], -v[216:217], v[218:219], 1.0
	v_fma_f64 v[218:219], v[218:219], v[220:221], v[218:219]
	v_div_scale_f64 v[220:221], vcc_lo, 1.0, v[214:215], 1.0
	s_delay_alu instid0(VALU_DEP_1) | instskip(NEXT) | instid1(VALU_DEP_1)
	v_mul_f64 v[222:223], v[220:221], v[218:219]
	v_fma_f64 v[216:217], -v[216:217], v[222:223], v[220:221]
	s_delay_alu instid0(VALU_DEP_1) | instskip(NEXT) | instid1(VALU_DEP_1)
	v_div_fmas_f64 v[216:217], v[216:217], v[218:219], v[222:223]
	v_div_fixup_f64 v[242:243], v[216:217], v[214:215], 1.0
	s_delay_alu instid0(VALU_DEP_1)
	v_mul_f64 v[240:241], v[212:213], v[242:243]
	v_xor_b32_e32 v243, 0x80000000, v243
.LBB118_784:
	s_and_not1_saveexec_b32 s3, s3
	s_cbranch_execz .LBB118_786
; %bb.785:
	s_delay_alu instid0(VALU_DEP_1) | instskip(SKIP_1) | instid1(VALU_DEP_2)
	v_div_scale_f64 v[212:213], null, v[240:241], v[240:241], v[242:243]
	v_div_scale_f64 v[218:219], vcc_lo, v[242:243], v[240:241], v[242:243]
	v_rcp_f64_e32 v[214:215], v[212:213]
	s_waitcnt_depctr 0xfff
	v_fma_f64 v[216:217], -v[212:213], v[214:215], 1.0
	s_delay_alu instid0(VALU_DEP_1) | instskip(NEXT) | instid1(VALU_DEP_1)
	v_fma_f64 v[214:215], v[214:215], v[216:217], v[214:215]
	v_fma_f64 v[216:217], -v[212:213], v[214:215], 1.0
	s_delay_alu instid0(VALU_DEP_1) | instskip(NEXT) | instid1(VALU_DEP_1)
	v_fma_f64 v[214:215], v[214:215], v[216:217], v[214:215]
	v_mul_f64 v[216:217], v[218:219], v[214:215]
	s_delay_alu instid0(VALU_DEP_1) | instskip(NEXT) | instid1(VALU_DEP_1)
	v_fma_f64 v[212:213], -v[212:213], v[216:217], v[218:219]
	v_div_fmas_f64 v[212:213], v[212:213], v[214:215], v[216:217]
	s_delay_alu instid0(VALU_DEP_1) | instskip(NEXT) | instid1(VALU_DEP_1)
	v_div_fixup_f64 v[212:213], v[212:213], v[240:241], v[242:243]
	v_fma_f64 v[214:215], v[242:243], v[212:213], v[240:241]
	s_delay_alu instid0(VALU_DEP_1) | instskip(NEXT) | instid1(VALU_DEP_1)
	v_div_scale_f64 v[216:217], null, v[214:215], v[214:215], 1.0
	v_rcp_f64_e32 v[218:219], v[216:217]
	s_waitcnt_depctr 0xfff
	v_fma_f64 v[220:221], -v[216:217], v[218:219], 1.0
	s_delay_alu instid0(VALU_DEP_1) | instskip(NEXT) | instid1(VALU_DEP_1)
	v_fma_f64 v[218:219], v[218:219], v[220:221], v[218:219]
	v_fma_f64 v[220:221], -v[216:217], v[218:219], 1.0
	s_delay_alu instid0(VALU_DEP_1) | instskip(SKIP_1) | instid1(VALU_DEP_1)
	v_fma_f64 v[218:219], v[218:219], v[220:221], v[218:219]
	v_div_scale_f64 v[220:221], vcc_lo, 1.0, v[214:215], 1.0
	v_mul_f64 v[222:223], v[220:221], v[218:219]
	s_delay_alu instid0(VALU_DEP_1) | instskip(NEXT) | instid1(VALU_DEP_1)
	v_fma_f64 v[216:217], -v[216:217], v[222:223], v[220:221]
	v_div_fmas_f64 v[216:217], v[216:217], v[218:219], v[222:223]
	s_delay_alu instid0(VALU_DEP_1) | instskip(NEXT) | instid1(VALU_DEP_1)
	v_div_fixup_f64 v[240:241], v[216:217], v[214:215], 1.0
	v_mul_f64 v[242:243], v[212:213], -v[240:241]
.LBB118_786:
	s_or_b32 exec_lo, exec_lo, s3
.LBB118_787:
	s_delay_alu instid0(SALU_CYCLE_1) | instskip(NEXT) | instid1(SALU_CYCLE_1)
	s_or_b32 exec_lo, exec_lo, s2
	s_mov_b32 s2, exec_lo
	v_cmpx_ne_u32_e64 v255, v248
	s_xor_b32 s2, exec_lo, s2
	s_cbranch_execz .LBB118_793
; %bb.788:
	s_mov_b32 s3, exec_lo
	v_cmpx_eq_u32_e32 37, v255
	s_cbranch_execz .LBB118_792
; %bb.789:
	v_cmp_ne_u32_e32 vcc_lo, 37, v248
	s_xor_b32 s4, s5, -1
	s_delay_alu instid0(SALU_CYCLE_1) | instskip(NEXT) | instid1(SALU_CYCLE_1)
	s_and_b32 s6, s4, vcc_lo
	s_and_saveexec_b32 s4, s6
	s_cbranch_execz .LBB118_791
; %bb.790:
	scratch_load_b64 v[208:209], off, off offset:16 ; 8-byte Folded Reload
	v_ashrrev_i32_e32 v249, 31, v248
	s_delay_alu instid0(VALU_DEP_1) | instskip(SKIP_1) | instid1(VALU_DEP_1)
	v_lshlrev_b64 v[212:213], 2, v[248:249]
	s_waitcnt vmcnt(0)
	v_add_co_u32 v212, vcc_lo, v208, v212
	s_delay_alu instid0(VALU_DEP_2)
	v_add_co_ci_u32_e32 v213, vcc_lo, v209, v213, vcc_lo
	s_clause 0x1
	flat_load_b32 v214, v[212:213]
	flat_load_b32 v215, v[208:209] offset:148
	s_waitcnt vmcnt(1) lgkmcnt(1)
	flat_store_b32 v[208:209], v214 offset:148
	s_waitcnt vmcnt(0) lgkmcnt(1)
	flat_store_b32 v[212:213], v215
.LBB118_791:
	s_or_b32 exec_lo, exec_lo, s4
	v_mov_b32_e32 v255, v248
	v_mov_b32_e32 v244, v248
.LBB118_792:
	s_or_b32 exec_lo, exec_lo, s3
.LBB118_793:
	s_and_not1_saveexec_b32 s2, s2
	s_cbranch_execz .LBB118_795
; %bb.794:
	v_mov_b32_e32 v255, 37
	ds_store_2addr_b64 v250, v[84:85], v[86:87] offset0:76 offset1:77
	ds_store_2addr_b64 v250, v[80:81], v[82:83] offset0:78 offset1:79
	;; [unrolled: 1-line block ×22, first 2 shown]
.LBB118_795:
	s_or_b32 exec_lo, exec_lo, s2
	s_delay_alu instid0(SALU_CYCLE_1)
	s_mov_b32 s2, exec_lo
	s_waitcnt lgkmcnt(0)
	s_waitcnt_vscnt null, 0x0
	s_barrier
	buffer_gl0_inv
	v_cmpx_lt_i32_e32 37, v255
	s_cbranch_execz .LBB118_797
; %bb.796:
	v_mul_f64 v[212:213], v[242:243], v[90:91]
	v_mul_f64 v[90:91], v[240:241], v[90:91]
	ds_load_2addr_b64 v[232:235], v250 offset0:76 offset1:77
	v_fma_f64 v[248:249], v[240:241], v[88:89], -v[212:213]
	v_fma_f64 v[90:91], v[242:243], v[88:89], v[90:91]
	s_waitcnt lgkmcnt(0)
	s_delay_alu instid0(VALU_DEP_1) | instskip(SKIP_1) | instid1(VALU_DEP_2)
	v_mul_f64 v[88:89], v[234:235], v[90:91]
	v_mul_f64 v[212:213], v[232:233], v[90:91]
	v_fma_f64 v[88:89], v[232:233], v[248:249], -v[88:89]
	s_delay_alu instid0(VALU_DEP_2)
	v_fma_f64 v[212:213], v[234:235], v[248:249], v[212:213]
	ds_load_2addr_b64 v[232:235], v250 offset0:78 offset1:79
	v_add_f64 v[84:85], v[84:85], -v[88:89]
	v_add_f64 v[86:87], v[86:87], -v[212:213]
	s_waitcnt lgkmcnt(0)
	v_mul_f64 v[88:89], v[234:235], v[90:91]
	v_mul_f64 v[212:213], v[232:233], v[90:91]
	s_delay_alu instid0(VALU_DEP_2) | instskip(NEXT) | instid1(VALU_DEP_2)
	v_fma_f64 v[88:89], v[232:233], v[248:249], -v[88:89]
	v_fma_f64 v[212:213], v[234:235], v[248:249], v[212:213]
	ds_load_2addr_b64 v[232:235], v250 offset0:80 offset1:81
	v_add_f64 v[80:81], v[80:81], -v[88:89]
	v_add_f64 v[82:83], v[82:83], -v[212:213]
	s_waitcnt lgkmcnt(0)
	v_mul_f64 v[88:89], v[234:235], v[90:91]
	v_mul_f64 v[212:213], v[232:233], v[90:91]
	s_delay_alu instid0(VALU_DEP_2) | instskip(NEXT) | instid1(VALU_DEP_2)
	v_fma_f64 v[88:89], v[232:233], v[248:249], -v[88:89]
	;; [unrolled: 9-line block ×21, first 2 shown]
	v_fma_f64 v[212:213], v[234:235], v[248:249], v[212:213]
	s_delay_alu instid0(VALU_DEP_2) | instskip(NEXT) | instid1(VALU_DEP_2)
	v_add_f64 v[228:229], v[228:229], -v[88:89]
	v_add_f64 v[230:231], v[230:231], -v[212:213]
	v_dual_mov_b32 v88, v248 :: v_dual_mov_b32 v89, v249
.LBB118_797:
	s_or_b32 exec_lo, exec_lo, s2
	v_lshl_add_u32 v212, v255, 4, v250
	s_barrier
	buffer_gl0_inv
	v_mov_b32_e32 v248, 38
	ds_store_2addr_b64 v212, v[84:85], v[86:87] offset1:1
	s_waitcnt lgkmcnt(0)
	s_barrier
	buffer_gl0_inv
	ds_load_2addr_b64 v[240:243], v250 offset0:76 offset1:77
	s_cmp_lt_i32 s12, 40
	s_cbranch_scc1 .LBB118_800
; %bb.798:
	v_add3_u32 v245, v254, 0, 0x270
	v_mov_b32_e32 v248, 38
	s_mov_b32 s2, 39
	s_set_inst_prefetch_distance 0x1
	.p2align	6
.LBB118_799:                            ; =>This Inner Loop Header: Depth=1
	s_waitcnt lgkmcnt(0)
	v_cmp_gt_f64_e32 vcc_lo, 0, v[240:241]
	v_xor_b32_e32 v212, 0x80000000, v241
	v_xor_b32_e32 v214, 0x80000000, v243
	ds_load_2addr_b64 v[232:235], v245 offset1:1
	v_add_nc_u32_e32 v245, 16, v245
	s_waitcnt lgkmcnt(0)
	v_xor_b32_e32 v216, 0x80000000, v235
	v_cndmask_b32_e32 v213, v241, v212, vcc_lo
	v_cndmask_b32_e32 v212, v240, v240, vcc_lo
	v_cmp_gt_f64_e32 vcc_lo, 0, v[242:243]
	v_cndmask_b32_e32 v215, v243, v214, vcc_lo
	v_cndmask_b32_e32 v214, v242, v242, vcc_lo
	v_cmp_gt_f64_e32 vcc_lo, 0, v[232:233]
	s_delay_alu instid0(VALU_DEP_2) | instskip(SKIP_1) | instid1(VALU_DEP_1)
	v_add_f64 v[212:213], v[212:213], v[214:215]
	v_xor_b32_e32 v214, 0x80000000, v233
	v_dual_cndmask_b32 v215, v233, v214 :: v_dual_mov_b32 v214, v232
	v_cmp_gt_f64_e32 vcc_lo, 0, v[234:235]
	v_dual_cndmask_b32 v217, v235, v216 :: v_dual_mov_b32 v216, v234
	s_delay_alu instid0(VALU_DEP_1) | instskip(NEXT) | instid1(VALU_DEP_1)
	v_add_f64 v[214:215], v[214:215], v[216:217]
	v_cmp_lt_f64_e32 vcc_lo, v[212:213], v[214:215]
	v_dual_cndmask_b32 v241, v241, v233 :: v_dual_cndmask_b32 v240, v240, v232
	v_dual_cndmask_b32 v243, v243, v235 :: v_dual_cndmask_b32 v242, v242, v234
	v_cndmask_b32_e64 v248, v248, s2, vcc_lo
	s_add_i32 s2, s2, 1
	s_delay_alu instid0(SALU_CYCLE_1)
	s_cmp_lg_u32 s12, s2
	s_cbranch_scc1 .LBB118_799
.LBB118_800:
	s_set_inst_prefetch_distance 0x2
	s_waitcnt lgkmcnt(0)
	v_cmp_eq_f64_e32 vcc_lo, 0, v[240:241]
	v_cmp_eq_f64_e64 s2, 0, v[242:243]
	s_delay_alu instid0(VALU_DEP_1) | instskip(NEXT) | instid1(SALU_CYCLE_1)
	s_and_b32 s2, vcc_lo, s2
	s_and_saveexec_b32 s3, s2
	s_delay_alu instid0(SALU_CYCLE_1)
	s_xor_b32 s2, exec_lo, s3
; %bb.801:
	v_cmp_ne_u32_e32 vcc_lo, 0, v253
	v_cndmask_b32_e32 v253, 39, v253, vcc_lo
; %bb.802:
	s_and_not1_saveexec_b32 s2, s2
	s_cbranch_execz .LBB118_808
; %bb.803:
	v_cmp_gt_f64_e32 vcc_lo, 0, v[240:241]
	v_xor_b32_e32 v212, 0x80000000, v241
	v_xor_b32_e32 v214, 0x80000000, v243
	s_mov_b32 s3, exec_lo
	s_delay_alu instid0(VALU_DEP_2) | instskip(SKIP_4) | instid1(VALU_DEP_1)
	v_cndmask_b32_e32 v213, v241, v212, vcc_lo
	v_cndmask_b32_e32 v212, v240, v240, vcc_lo
	v_cmp_gt_f64_e32 vcc_lo, 0, v[242:243]
	v_cndmask_b32_e32 v215, v243, v214, vcc_lo
	v_cndmask_b32_e32 v214, v242, v242, vcc_lo
	v_cmpx_ngt_f64_e32 v[212:213], v[214:215]
	s_xor_b32 s3, exec_lo, s3
	s_cbranch_execz .LBB118_805
; %bb.804:
	v_div_scale_f64 v[212:213], null, v[242:243], v[242:243], v[240:241]
	v_div_scale_f64 v[218:219], vcc_lo, v[240:241], v[242:243], v[240:241]
	s_delay_alu instid0(VALU_DEP_2) | instskip(SKIP_2) | instid1(VALU_DEP_1)
	v_rcp_f64_e32 v[214:215], v[212:213]
	s_waitcnt_depctr 0xfff
	v_fma_f64 v[216:217], -v[212:213], v[214:215], 1.0
	v_fma_f64 v[214:215], v[214:215], v[216:217], v[214:215]
	s_delay_alu instid0(VALU_DEP_1) | instskip(NEXT) | instid1(VALU_DEP_1)
	v_fma_f64 v[216:217], -v[212:213], v[214:215], 1.0
	v_fma_f64 v[214:215], v[214:215], v[216:217], v[214:215]
	s_delay_alu instid0(VALU_DEP_1) | instskip(NEXT) | instid1(VALU_DEP_1)
	v_mul_f64 v[216:217], v[218:219], v[214:215]
	v_fma_f64 v[212:213], -v[212:213], v[216:217], v[218:219]
	s_delay_alu instid0(VALU_DEP_1) | instskip(NEXT) | instid1(VALU_DEP_1)
	v_div_fmas_f64 v[212:213], v[212:213], v[214:215], v[216:217]
	v_div_fixup_f64 v[212:213], v[212:213], v[242:243], v[240:241]
	s_delay_alu instid0(VALU_DEP_1) | instskip(NEXT) | instid1(VALU_DEP_1)
	v_fma_f64 v[214:215], v[240:241], v[212:213], v[242:243]
	v_div_scale_f64 v[216:217], null, v[214:215], v[214:215], 1.0
	s_delay_alu instid0(VALU_DEP_1) | instskip(SKIP_2) | instid1(VALU_DEP_1)
	v_rcp_f64_e32 v[218:219], v[216:217]
	s_waitcnt_depctr 0xfff
	v_fma_f64 v[220:221], -v[216:217], v[218:219], 1.0
	v_fma_f64 v[218:219], v[218:219], v[220:221], v[218:219]
	s_delay_alu instid0(VALU_DEP_1) | instskip(NEXT) | instid1(VALU_DEP_1)
	v_fma_f64 v[220:221], -v[216:217], v[218:219], 1.0
	v_fma_f64 v[218:219], v[218:219], v[220:221], v[218:219]
	v_div_scale_f64 v[220:221], vcc_lo, 1.0, v[214:215], 1.0
	s_delay_alu instid0(VALU_DEP_1) | instskip(NEXT) | instid1(VALU_DEP_1)
	v_mul_f64 v[222:223], v[220:221], v[218:219]
	v_fma_f64 v[216:217], -v[216:217], v[222:223], v[220:221]
	s_delay_alu instid0(VALU_DEP_1) | instskip(NEXT) | instid1(VALU_DEP_1)
	v_div_fmas_f64 v[216:217], v[216:217], v[218:219], v[222:223]
	v_div_fixup_f64 v[242:243], v[216:217], v[214:215], 1.0
	s_delay_alu instid0(VALU_DEP_1)
	v_mul_f64 v[240:241], v[212:213], v[242:243]
	v_xor_b32_e32 v243, 0x80000000, v243
.LBB118_805:
	s_and_not1_saveexec_b32 s3, s3
	s_cbranch_execz .LBB118_807
; %bb.806:
	s_delay_alu instid0(VALU_DEP_1) | instskip(SKIP_1) | instid1(VALU_DEP_2)
	v_div_scale_f64 v[212:213], null, v[240:241], v[240:241], v[242:243]
	v_div_scale_f64 v[218:219], vcc_lo, v[242:243], v[240:241], v[242:243]
	v_rcp_f64_e32 v[214:215], v[212:213]
	s_waitcnt_depctr 0xfff
	v_fma_f64 v[216:217], -v[212:213], v[214:215], 1.0
	s_delay_alu instid0(VALU_DEP_1) | instskip(NEXT) | instid1(VALU_DEP_1)
	v_fma_f64 v[214:215], v[214:215], v[216:217], v[214:215]
	v_fma_f64 v[216:217], -v[212:213], v[214:215], 1.0
	s_delay_alu instid0(VALU_DEP_1) | instskip(NEXT) | instid1(VALU_DEP_1)
	v_fma_f64 v[214:215], v[214:215], v[216:217], v[214:215]
	v_mul_f64 v[216:217], v[218:219], v[214:215]
	s_delay_alu instid0(VALU_DEP_1) | instskip(NEXT) | instid1(VALU_DEP_1)
	v_fma_f64 v[212:213], -v[212:213], v[216:217], v[218:219]
	v_div_fmas_f64 v[212:213], v[212:213], v[214:215], v[216:217]
	s_delay_alu instid0(VALU_DEP_1) | instskip(NEXT) | instid1(VALU_DEP_1)
	v_div_fixup_f64 v[212:213], v[212:213], v[240:241], v[242:243]
	v_fma_f64 v[214:215], v[242:243], v[212:213], v[240:241]
	s_delay_alu instid0(VALU_DEP_1) | instskip(NEXT) | instid1(VALU_DEP_1)
	v_div_scale_f64 v[216:217], null, v[214:215], v[214:215], 1.0
	v_rcp_f64_e32 v[218:219], v[216:217]
	s_waitcnt_depctr 0xfff
	v_fma_f64 v[220:221], -v[216:217], v[218:219], 1.0
	s_delay_alu instid0(VALU_DEP_1) | instskip(NEXT) | instid1(VALU_DEP_1)
	v_fma_f64 v[218:219], v[218:219], v[220:221], v[218:219]
	v_fma_f64 v[220:221], -v[216:217], v[218:219], 1.0
	s_delay_alu instid0(VALU_DEP_1) | instskip(SKIP_1) | instid1(VALU_DEP_1)
	v_fma_f64 v[218:219], v[218:219], v[220:221], v[218:219]
	v_div_scale_f64 v[220:221], vcc_lo, 1.0, v[214:215], 1.0
	v_mul_f64 v[222:223], v[220:221], v[218:219]
	s_delay_alu instid0(VALU_DEP_1) | instskip(NEXT) | instid1(VALU_DEP_1)
	v_fma_f64 v[216:217], -v[216:217], v[222:223], v[220:221]
	v_div_fmas_f64 v[216:217], v[216:217], v[218:219], v[222:223]
	s_delay_alu instid0(VALU_DEP_1) | instskip(NEXT) | instid1(VALU_DEP_1)
	v_div_fixup_f64 v[240:241], v[216:217], v[214:215], 1.0
	v_mul_f64 v[242:243], v[212:213], -v[240:241]
.LBB118_807:
	s_or_b32 exec_lo, exec_lo, s3
.LBB118_808:
	s_delay_alu instid0(SALU_CYCLE_1) | instskip(NEXT) | instid1(SALU_CYCLE_1)
	s_or_b32 exec_lo, exec_lo, s2
	s_mov_b32 s2, exec_lo
	v_cmpx_ne_u32_e64 v255, v248
	s_xor_b32 s2, exec_lo, s2
	s_cbranch_execz .LBB118_814
; %bb.809:
	s_mov_b32 s3, exec_lo
	v_cmpx_eq_u32_e32 38, v255
	s_cbranch_execz .LBB118_813
; %bb.810:
	v_cmp_ne_u32_e32 vcc_lo, 38, v248
	s_xor_b32 s4, s5, -1
	s_delay_alu instid0(SALU_CYCLE_1) | instskip(NEXT) | instid1(SALU_CYCLE_1)
	s_and_b32 s6, s4, vcc_lo
	s_and_saveexec_b32 s4, s6
	s_cbranch_execz .LBB118_812
; %bb.811:
	scratch_load_b64 v[208:209], off, off offset:16 ; 8-byte Folded Reload
	v_ashrrev_i32_e32 v249, 31, v248
	s_delay_alu instid0(VALU_DEP_1) | instskip(SKIP_1) | instid1(VALU_DEP_1)
	v_lshlrev_b64 v[212:213], 2, v[248:249]
	s_waitcnt vmcnt(0)
	v_add_co_u32 v212, vcc_lo, v208, v212
	s_delay_alu instid0(VALU_DEP_2)
	v_add_co_ci_u32_e32 v213, vcc_lo, v209, v213, vcc_lo
	s_clause 0x1
	flat_load_b32 v214, v[212:213]
	flat_load_b32 v215, v[208:209] offset:152
	s_waitcnt vmcnt(1) lgkmcnt(1)
	flat_store_b32 v[208:209], v214 offset:152
	s_waitcnt vmcnt(0) lgkmcnt(1)
	flat_store_b32 v[212:213], v215
.LBB118_812:
	s_or_b32 exec_lo, exec_lo, s4
	v_mov_b32_e32 v255, v248
	v_mov_b32_e32 v244, v248
.LBB118_813:
	s_or_b32 exec_lo, exec_lo, s3
.LBB118_814:
	s_and_not1_saveexec_b32 s2, s2
	s_cbranch_execz .LBB118_816
; %bb.815:
	v_mov_b32_e32 v255, 38
	ds_store_2addr_b64 v250, v[80:81], v[82:83] offset0:78 offset1:79
	ds_store_2addr_b64 v250, v[76:77], v[78:79] offset0:80 offset1:81
	;; [unrolled: 1-line block ×21, first 2 shown]
.LBB118_816:
	s_or_b32 exec_lo, exec_lo, s2
	s_delay_alu instid0(SALU_CYCLE_1)
	s_mov_b32 s2, exec_lo
	s_waitcnt lgkmcnt(0)
	s_waitcnt_vscnt null, 0x0
	s_barrier
	buffer_gl0_inv
	v_cmpx_lt_i32_e32 38, v255
	s_cbranch_execz .LBB118_818
; %bb.817:
	v_mul_f64 v[212:213], v[242:243], v[86:87]
	v_mul_f64 v[86:87], v[240:241], v[86:87]
	ds_load_2addr_b64 v[232:235], v250 offset0:78 offset1:79
	v_fma_f64 v[248:249], v[240:241], v[84:85], -v[212:213]
	v_fma_f64 v[86:87], v[242:243], v[84:85], v[86:87]
	s_waitcnt lgkmcnt(0)
	s_delay_alu instid0(VALU_DEP_1) | instskip(SKIP_1) | instid1(VALU_DEP_2)
	v_mul_f64 v[84:85], v[234:235], v[86:87]
	v_mul_f64 v[212:213], v[232:233], v[86:87]
	v_fma_f64 v[84:85], v[232:233], v[248:249], -v[84:85]
	s_delay_alu instid0(VALU_DEP_2)
	v_fma_f64 v[212:213], v[234:235], v[248:249], v[212:213]
	ds_load_2addr_b64 v[232:235], v250 offset0:80 offset1:81
	v_add_f64 v[80:81], v[80:81], -v[84:85]
	v_add_f64 v[82:83], v[82:83], -v[212:213]
	s_waitcnt lgkmcnt(0)
	v_mul_f64 v[84:85], v[234:235], v[86:87]
	v_mul_f64 v[212:213], v[232:233], v[86:87]
	s_delay_alu instid0(VALU_DEP_2) | instskip(NEXT) | instid1(VALU_DEP_2)
	v_fma_f64 v[84:85], v[232:233], v[248:249], -v[84:85]
	v_fma_f64 v[212:213], v[234:235], v[248:249], v[212:213]
	ds_load_2addr_b64 v[232:235], v250 offset0:82 offset1:83
	v_add_f64 v[76:77], v[76:77], -v[84:85]
	v_add_f64 v[78:79], v[78:79], -v[212:213]
	s_waitcnt lgkmcnt(0)
	v_mul_f64 v[84:85], v[234:235], v[86:87]
	v_mul_f64 v[212:213], v[232:233], v[86:87]
	s_delay_alu instid0(VALU_DEP_2) | instskip(NEXT) | instid1(VALU_DEP_2)
	v_fma_f64 v[84:85], v[232:233], v[248:249], -v[84:85]
	;; [unrolled: 9-line block ×20, first 2 shown]
	v_fma_f64 v[212:213], v[234:235], v[248:249], v[212:213]
	s_delay_alu instid0(VALU_DEP_2) | instskip(NEXT) | instid1(VALU_DEP_2)
	v_add_f64 v[228:229], v[228:229], -v[84:85]
	v_add_f64 v[230:231], v[230:231], -v[212:213]
	v_dual_mov_b32 v84, v248 :: v_dual_mov_b32 v85, v249
.LBB118_818:
	s_or_b32 exec_lo, exec_lo, s2
	v_lshl_add_u32 v212, v255, 4, v250
	s_barrier
	buffer_gl0_inv
	v_mov_b32_e32 v248, 39
	ds_store_2addr_b64 v212, v[80:81], v[82:83] offset1:1
	s_waitcnt lgkmcnt(0)
	s_barrier
	buffer_gl0_inv
	ds_load_2addr_b64 v[240:243], v250 offset0:78 offset1:79
	s_cmp_lt_i32 s12, 41
	s_cbranch_scc1 .LBB118_821
; %bb.819:
	v_add3_u32 v245, v254, 0, 0x280
	v_mov_b32_e32 v248, 39
	s_mov_b32 s2, 40
	s_set_inst_prefetch_distance 0x1
	.p2align	6
.LBB118_820:                            ; =>This Inner Loop Header: Depth=1
	s_waitcnt lgkmcnt(0)
	v_cmp_gt_f64_e32 vcc_lo, 0, v[240:241]
	v_xor_b32_e32 v212, 0x80000000, v241
	v_xor_b32_e32 v214, 0x80000000, v243
	ds_load_2addr_b64 v[232:235], v245 offset1:1
	v_add_nc_u32_e32 v245, 16, v245
	s_waitcnt lgkmcnt(0)
	v_xor_b32_e32 v216, 0x80000000, v235
	v_cndmask_b32_e32 v213, v241, v212, vcc_lo
	v_cndmask_b32_e32 v212, v240, v240, vcc_lo
	v_cmp_gt_f64_e32 vcc_lo, 0, v[242:243]
	v_cndmask_b32_e32 v215, v243, v214, vcc_lo
	v_cndmask_b32_e32 v214, v242, v242, vcc_lo
	v_cmp_gt_f64_e32 vcc_lo, 0, v[232:233]
	s_delay_alu instid0(VALU_DEP_2) | instskip(SKIP_1) | instid1(VALU_DEP_1)
	v_add_f64 v[212:213], v[212:213], v[214:215]
	v_xor_b32_e32 v214, 0x80000000, v233
	v_dual_cndmask_b32 v215, v233, v214 :: v_dual_mov_b32 v214, v232
	v_cmp_gt_f64_e32 vcc_lo, 0, v[234:235]
	v_dual_cndmask_b32 v217, v235, v216 :: v_dual_mov_b32 v216, v234
	s_delay_alu instid0(VALU_DEP_1) | instskip(NEXT) | instid1(VALU_DEP_1)
	v_add_f64 v[214:215], v[214:215], v[216:217]
	v_cmp_lt_f64_e32 vcc_lo, v[212:213], v[214:215]
	v_dual_cndmask_b32 v241, v241, v233 :: v_dual_cndmask_b32 v240, v240, v232
	v_dual_cndmask_b32 v243, v243, v235 :: v_dual_cndmask_b32 v242, v242, v234
	v_cndmask_b32_e64 v248, v248, s2, vcc_lo
	s_add_i32 s2, s2, 1
	s_delay_alu instid0(SALU_CYCLE_1)
	s_cmp_lg_u32 s12, s2
	s_cbranch_scc1 .LBB118_820
.LBB118_821:
	s_set_inst_prefetch_distance 0x2
	s_waitcnt lgkmcnt(0)
	v_cmp_eq_f64_e32 vcc_lo, 0, v[240:241]
	v_cmp_eq_f64_e64 s2, 0, v[242:243]
	s_delay_alu instid0(VALU_DEP_1) | instskip(NEXT) | instid1(SALU_CYCLE_1)
	s_and_b32 s2, vcc_lo, s2
	s_and_saveexec_b32 s3, s2
	s_delay_alu instid0(SALU_CYCLE_1)
	s_xor_b32 s2, exec_lo, s3
; %bb.822:
	v_cmp_ne_u32_e32 vcc_lo, 0, v253
	v_cndmask_b32_e32 v253, 40, v253, vcc_lo
; %bb.823:
	s_and_not1_saveexec_b32 s2, s2
	s_cbranch_execz .LBB118_829
; %bb.824:
	v_cmp_gt_f64_e32 vcc_lo, 0, v[240:241]
	v_xor_b32_e32 v212, 0x80000000, v241
	v_xor_b32_e32 v214, 0x80000000, v243
	s_mov_b32 s3, exec_lo
	s_delay_alu instid0(VALU_DEP_2) | instskip(SKIP_4) | instid1(VALU_DEP_1)
	v_cndmask_b32_e32 v213, v241, v212, vcc_lo
	v_cndmask_b32_e32 v212, v240, v240, vcc_lo
	v_cmp_gt_f64_e32 vcc_lo, 0, v[242:243]
	v_cndmask_b32_e32 v215, v243, v214, vcc_lo
	v_cndmask_b32_e32 v214, v242, v242, vcc_lo
	v_cmpx_ngt_f64_e32 v[212:213], v[214:215]
	s_xor_b32 s3, exec_lo, s3
	s_cbranch_execz .LBB118_826
; %bb.825:
	v_div_scale_f64 v[212:213], null, v[242:243], v[242:243], v[240:241]
	v_div_scale_f64 v[218:219], vcc_lo, v[240:241], v[242:243], v[240:241]
	s_delay_alu instid0(VALU_DEP_2) | instskip(SKIP_2) | instid1(VALU_DEP_1)
	v_rcp_f64_e32 v[214:215], v[212:213]
	s_waitcnt_depctr 0xfff
	v_fma_f64 v[216:217], -v[212:213], v[214:215], 1.0
	v_fma_f64 v[214:215], v[214:215], v[216:217], v[214:215]
	s_delay_alu instid0(VALU_DEP_1) | instskip(NEXT) | instid1(VALU_DEP_1)
	v_fma_f64 v[216:217], -v[212:213], v[214:215], 1.0
	v_fma_f64 v[214:215], v[214:215], v[216:217], v[214:215]
	s_delay_alu instid0(VALU_DEP_1) | instskip(NEXT) | instid1(VALU_DEP_1)
	v_mul_f64 v[216:217], v[218:219], v[214:215]
	v_fma_f64 v[212:213], -v[212:213], v[216:217], v[218:219]
	s_delay_alu instid0(VALU_DEP_1) | instskip(NEXT) | instid1(VALU_DEP_1)
	v_div_fmas_f64 v[212:213], v[212:213], v[214:215], v[216:217]
	v_div_fixup_f64 v[212:213], v[212:213], v[242:243], v[240:241]
	s_delay_alu instid0(VALU_DEP_1) | instskip(NEXT) | instid1(VALU_DEP_1)
	v_fma_f64 v[214:215], v[240:241], v[212:213], v[242:243]
	v_div_scale_f64 v[216:217], null, v[214:215], v[214:215], 1.0
	s_delay_alu instid0(VALU_DEP_1) | instskip(SKIP_2) | instid1(VALU_DEP_1)
	v_rcp_f64_e32 v[218:219], v[216:217]
	s_waitcnt_depctr 0xfff
	v_fma_f64 v[220:221], -v[216:217], v[218:219], 1.0
	v_fma_f64 v[218:219], v[218:219], v[220:221], v[218:219]
	s_delay_alu instid0(VALU_DEP_1) | instskip(NEXT) | instid1(VALU_DEP_1)
	v_fma_f64 v[220:221], -v[216:217], v[218:219], 1.0
	v_fma_f64 v[218:219], v[218:219], v[220:221], v[218:219]
	v_div_scale_f64 v[220:221], vcc_lo, 1.0, v[214:215], 1.0
	s_delay_alu instid0(VALU_DEP_1) | instskip(NEXT) | instid1(VALU_DEP_1)
	v_mul_f64 v[222:223], v[220:221], v[218:219]
	v_fma_f64 v[216:217], -v[216:217], v[222:223], v[220:221]
	s_delay_alu instid0(VALU_DEP_1) | instskip(NEXT) | instid1(VALU_DEP_1)
	v_div_fmas_f64 v[216:217], v[216:217], v[218:219], v[222:223]
	v_div_fixup_f64 v[242:243], v[216:217], v[214:215], 1.0
	s_delay_alu instid0(VALU_DEP_1)
	v_mul_f64 v[240:241], v[212:213], v[242:243]
	v_xor_b32_e32 v243, 0x80000000, v243
.LBB118_826:
	s_and_not1_saveexec_b32 s3, s3
	s_cbranch_execz .LBB118_828
; %bb.827:
	s_delay_alu instid0(VALU_DEP_1) | instskip(SKIP_1) | instid1(VALU_DEP_2)
	v_div_scale_f64 v[212:213], null, v[240:241], v[240:241], v[242:243]
	v_div_scale_f64 v[218:219], vcc_lo, v[242:243], v[240:241], v[242:243]
	v_rcp_f64_e32 v[214:215], v[212:213]
	s_waitcnt_depctr 0xfff
	v_fma_f64 v[216:217], -v[212:213], v[214:215], 1.0
	s_delay_alu instid0(VALU_DEP_1) | instskip(NEXT) | instid1(VALU_DEP_1)
	v_fma_f64 v[214:215], v[214:215], v[216:217], v[214:215]
	v_fma_f64 v[216:217], -v[212:213], v[214:215], 1.0
	s_delay_alu instid0(VALU_DEP_1) | instskip(NEXT) | instid1(VALU_DEP_1)
	v_fma_f64 v[214:215], v[214:215], v[216:217], v[214:215]
	v_mul_f64 v[216:217], v[218:219], v[214:215]
	s_delay_alu instid0(VALU_DEP_1) | instskip(NEXT) | instid1(VALU_DEP_1)
	v_fma_f64 v[212:213], -v[212:213], v[216:217], v[218:219]
	v_div_fmas_f64 v[212:213], v[212:213], v[214:215], v[216:217]
	s_delay_alu instid0(VALU_DEP_1) | instskip(NEXT) | instid1(VALU_DEP_1)
	v_div_fixup_f64 v[212:213], v[212:213], v[240:241], v[242:243]
	v_fma_f64 v[214:215], v[242:243], v[212:213], v[240:241]
	s_delay_alu instid0(VALU_DEP_1) | instskip(NEXT) | instid1(VALU_DEP_1)
	v_div_scale_f64 v[216:217], null, v[214:215], v[214:215], 1.0
	v_rcp_f64_e32 v[218:219], v[216:217]
	s_waitcnt_depctr 0xfff
	v_fma_f64 v[220:221], -v[216:217], v[218:219], 1.0
	s_delay_alu instid0(VALU_DEP_1) | instskip(NEXT) | instid1(VALU_DEP_1)
	v_fma_f64 v[218:219], v[218:219], v[220:221], v[218:219]
	v_fma_f64 v[220:221], -v[216:217], v[218:219], 1.0
	s_delay_alu instid0(VALU_DEP_1) | instskip(SKIP_1) | instid1(VALU_DEP_1)
	v_fma_f64 v[218:219], v[218:219], v[220:221], v[218:219]
	v_div_scale_f64 v[220:221], vcc_lo, 1.0, v[214:215], 1.0
	v_mul_f64 v[222:223], v[220:221], v[218:219]
	s_delay_alu instid0(VALU_DEP_1) | instskip(NEXT) | instid1(VALU_DEP_1)
	v_fma_f64 v[216:217], -v[216:217], v[222:223], v[220:221]
	v_div_fmas_f64 v[216:217], v[216:217], v[218:219], v[222:223]
	s_delay_alu instid0(VALU_DEP_1) | instskip(NEXT) | instid1(VALU_DEP_1)
	v_div_fixup_f64 v[240:241], v[216:217], v[214:215], 1.0
	v_mul_f64 v[242:243], v[212:213], -v[240:241]
.LBB118_828:
	s_or_b32 exec_lo, exec_lo, s3
.LBB118_829:
	s_delay_alu instid0(SALU_CYCLE_1) | instskip(NEXT) | instid1(SALU_CYCLE_1)
	s_or_b32 exec_lo, exec_lo, s2
	s_mov_b32 s2, exec_lo
	v_cmpx_ne_u32_e64 v255, v248
	s_xor_b32 s2, exec_lo, s2
	s_cbranch_execz .LBB118_835
; %bb.830:
	s_mov_b32 s3, exec_lo
	v_cmpx_eq_u32_e32 39, v255
	s_cbranch_execz .LBB118_834
; %bb.831:
	v_cmp_ne_u32_e32 vcc_lo, 39, v248
	s_xor_b32 s4, s5, -1
	s_delay_alu instid0(SALU_CYCLE_1) | instskip(NEXT) | instid1(SALU_CYCLE_1)
	s_and_b32 s6, s4, vcc_lo
	s_and_saveexec_b32 s4, s6
	s_cbranch_execz .LBB118_833
; %bb.832:
	scratch_load_b64 v[208:209], off, off offset:16 ; 8-byte Folded Reload
	v_ashrrev_i32_e32 v249, 31, v248
	s_delay_alu instid0(VALU_DEP_1) | instskip(SKIP_1) | instid1(VALU_DEP_1)
	v_lshlrev_b64 v[212:213], 2, v[248:249]
	s_waitcnt vmcnt(0)
	v_add_co_u32 v212, vcc_lo, v208, v212
	s_delay_alu instid0(VALU_DEP_2)
	v_add_co_ci_u32_e32 v213, vcc_lo, v209, v213, vcc_lo
	s_clause 0x1
	flat_load_b32 v214, v[212:213]
	flat_load_b32 v215, v[208:209] offset:156
	s_waitcnt vmcnt(1) lgkmcnt(1)
	flat_store_b32 v[208:209], v214 offset:156
	s_waitcnt vmcnt(0) lgkmcnt(1)
	flat_store_b32 v[212:213], v215
.LBB118_833:
	s_or_b32 exec_lo, exec_lo, s4
	v_mov_b32_e32 v255, v248
	v_mov_b32_e32 v244, v248
.LBB118_834:
	s_or_b32 exec_lo, exec_lo, s3
.LBB118_835:
	s_and_not1_saveexec_b32 s2, s2
	s_cbranch_execz .LBB118_837
; %bb.836:
	v_mov_b32_e32 v255, 39
	ds_store_2addr_b64 v250, v[76:77], v[78:79] offset0:80 offset1:81
	ds_store_2addr_b64 v250, v[72:73], v[74:75] offset0:82 offset1:83
	ds_store_2addr_b64 v250, v[68:69], v[70:71] offset0:84 offset1:85
	ds_store_2addr_b64 v250, v[64:65], v[66:67] offset0:86 offset1:87
	ds_store_2addr_b64 v250, v[60:61], v[62:63] offset0:88 offset1:89
	ds_store_2addr_b64 v250, v[56:57], v[58:59] offset0:90 offset1:91
	ds_store_2addr_b64 v250, v[52:53], v[54:55] offset0:92 offset1:93
	ds_store_2addr_b64 v250, v[48:49], v[50:51] offset0:94 offset1:95
	ds_store_2addr_b64 v250, v[44:45], v[46:47] offset0:96 offset1:97
	ds_store_2addr_b64 v250, v[40:41], v[42:43] offset0:98 offset1:99
	ds_store_2addr_b64 v250, v[36:37], v[38:39] offset0:100 offset1:101
	ds_store_2addr_b64 v250, v[32:33], v[34:35] offset0:102 offset1:103
	ds_store_2addr_b64 v250, v[28:29], v[30:31] offset0:104 offset1:105
	ds_store_2addr_b64 v250, v[24:25], v[26:27] offset0:106 offset1:107
	ds_store_2addr_b64 v250, v[20:21], v[22:23] offset0:108 offset1:109
	ds_store_2addr_b64 v250, v[16:17], v[18:19] offset0:110 offset1:111
	ds_store_2addr_b64 v250, v[12:13], v[14:15] offset0:112 offset1:113
	ds_store_2addr_b64 v250, v[236:237], v[238:239] offset0:114 offset1:115
	ds_store_2addr_b64 v250, v[224:225], v[226:227] offset0:116 offset1:117
	ds_store_2addr_b64 v250, v[228:229], v[230:231] offset0:118 offset1:119
.LBB118_837:
	s_or_b32 exec_lo, exec_lo, s2
	s_delay_alu instid0(SALU_CYCLE_1)
	s_mov_b32 s2, exec_lo
	s_waitcnt lgkmcnt(0)
	s_waitcnt_vscnt null, 0x0
	s_barrier
	buffer_gl0_inv
	v_cmpx_lt_i32_e32 39, v255
	s_cbranch_execz .LBB118_839
; %bb.838:
	v_mul_f64 v[212:213], v[242:243], v[82:83]
	v_mul_f64 v[82:83], v[240:241], v[82:83]
	ds_load_2addr_b64 v[232:235], v250 offset0:80 offset1:81
	v_fma_f64 v[248:249], v[240:241], v[80:81], -v[212:213]
	v_fma_f64 v[82:83], v[242:243], v[80:81], v[82:83]
	s_waitcnt lgkmcnt(0)
	s_delay_alu instid0(VALU_DEP_1) | instskip(SKIP_1) | instid1(VALU_DEP_2)
	v_mul_f64 v[80:81], v[234:235], v[82:83]
	v_mul_f64 v[212:213], v[232:233], v[82:83]
	v_fma_f64 v[80:81], v[232:233], v[248:249], -v[80:81]
	s_delay_alu instid0(VALU_DEP_2)
	v_fma_f64 v[212:213], v[234:235], v[248:249], v[212:213]
	ds_load_2addr_b64 v[232:235], v250 offset0:82 offset1:83
	v_add_f64 v[76:77], v[76:77], -v[80:81]
	v_add_f64 v[78:79], v[78:79], -v[212:213]
	s_waitcnt lgkmcnt(0)
	v_mul_f64 v[80:81], v[234:235], v[82:83]
	v_mul_f64 v[212:213], v[232:233], v[82:83]
	s_delay_alu instid0(VALU_DEP_2) | instskip(NEXT) | instid1(VALU_DEP_2)
	v_fma_f64 v[80:81], v[232:233], v[248:249], -v[80:81]
	v_fma_f64 v[212:213], v[234:235], v[248:249], v[212:213]
	ds_load_2addr_b64 v[232:235], v250 offset0:84 offset1:85
	v_add_f64 v[72:73], v[72:73], -v[80:81]
	v_add_f64 v[74:75], v[74:75], -v[212:213]
	s_waitcnt lgkmcnt(0)
	v_mul_f64 v[80:81], v[234:235], v[82:83]
	v_mul_f64 v[212:213], v[232:233], v[82:83]
	s_delay_alu instid0(VALU_DEP_2) | instskip(NEXT) | instid1(VALU_DEP_2)
	v_fma_f64 v[80:81], v[232:233], v[248:249], -v[80:81]
	;; [unrolled: 9-line block ×19, first 2 shown]
	v_fma_f64 v[212:213], v[234:235], v[248:249], v[212:213]
	s_delay_alu instid0(VALU_DEP_2) | instskip(NEXT) | instid1(VALU_DEP_2)
	v_add_f64 v[228:229], v[228:229], -v[80:81]
	v_add_f64 v[230:231], v[230:231], -v[212:213]
	v_dual_mov_b32 v80, v248 :: v_dual_mov_b32 v81, v249
.LBB118_839:
	s_or_b32 exec_lo, exec_lo, s2
	v_lshl_add_u32 v212, v255, 4, v250
	s_barrier
	buffer_gl0_inv
	v_mov_b32_e32 v248, 40
	ds_store_2addr_b64 v212, v[76:77], v[78:79] offset1:1
	s_waitcnt lgkmcnt(0)
	s_barrier
	buffer_gl0_inv
	ds_load_2addr_b64 v[240:243], v250 offset0:80 offset1:81
	s_cmp_lt_i32 s12, 42
	s_cbranch_scc1 .LBB118_842
; %bb.840:
	v_add3_u32 v245, v254, 0, 0x290
	v_mov_b32_e32 v248, 40
	s_mov_b32 s2, 41
	s_set_inst_prefetch_distance 0x1
	.p2align	6
.LBB118_841:                            ; =>This Inner Loop Header: Depth=1
	s_waitcnt lgkmcnt(0)
	v_cmp_gt_f64_e32 vcc_lo, 0, v[240:241]
	v_xor_b32_e32 v212, 0x80000000, v241
	v_xor_b32_e32 v214, 0x80000000, v243
	ds_load_2addr_b64 v[232:235], v245 offset1:1
	v_add_nc_u32_e32 v245, 16, v245
	s_waitcnt lgkmcnt(0)
	v_xor_b32_e32 v216, 0x80000000, v235
	v_cndmask_b32_e32 v213, v241, v212, vcc_lo
	v_cndmask_b32_e32 v212, v240, v240, vcc_lo
	v_cmp_gt_f64_e32 vcc_lo, 0, v[242:243]
	v_cndmask_b32_e32 v215, v243, v214, vcc_lo
	v_cndmask_b32_e32 v214, v242, v242, vcc_lo
	v_cmp_gt_f64_e32 vcc_lo, 0, v[232:233]
	s_delay_alu instid0(VALU_DEP_2) | instskip(SKIP_1) | instid1(VALU_DEP_1)
	v_add_f64 v[212:213], v[212:213], v[214:215]
	v_xor_b32_e32 v214, 0x80000000, v233
	v_dual_cndmask_b32 v215, v233, v214 :: v_dual_mov_b32 v214, v232
	v_cmp_gt_f64_e32 vcc_lo, 0, v[234:235]
	v_dual_cndmask_b32 v217, v235, v216 :: v_dual_mov_b32 v216, v234
	s_delay_alu instid0(VALU_DEP_1) | instskip(NEXT) | instid1(VALU_DEP_1)
	v_add_f64 v[214:215], v[214:215], v[216:217]
	v_cmp_lt_f64_e32 vcc_lo, v[212:213], v[214:215]
	v_dual_cndmask_b32 v241, v241, v233 :: v_dual_cndmask_b32 v240, v240, v232
	v_dual_cndmask_b32 v243, v243, v235 :: v_dual_cndmask_b32 v242, v242, v234
	v_cndmask_b32_e64 v248, v248, s2, vcc_lo
	s_add_i32 s2, s2, 1
	s_delay_alu instid0(SALU_CYCLE_1)
	s_cmp_lg_u32 s12, s2
	s_cbranch_scc1 .LBB118_841
.LBB118_842:
	s_set_inst_prefetch_distance 0x2
	s_waitcnt lgkmcnt(0)
	v_cmp_eq_f64_e32 vcc_lo, 0, v[240:241]
	v_cmp_eq_f64_e64 s2, 0, v[242:243]
	s_delay_alu instid0(VALU_DEP_1) | instskip(NEXT) | instid1(SALU_CYCLE_1)
	s_and_b32 s2, vcc_lo, s2
	s_and_saveexec_b32 s3, s2
	s_delay_alu instid0(SALU_CYCLE_1)
	s_xor_b32 s2, exec_lo, s3
; %bb.843:
	v_cmp_ne_u32_e32 vcc_lo, 0, v253
	v_cndmask_b32_e32 v253, 41, v253, vcc_lo
; %bb.844:
	s_and_not1_saveexec_b32 s2, s2
	s_cbranch_execz .LBB118_850
; %bb.845:
	v_cmp_gt_f64_e32 vcc_lo, 0, v[240:241]
	v_xor_b32_e32 v212, 0x80000000, v241
	v_xor_b32_e32 v214, 0x80000000, v243
	s_mov_b32 s3, exec_lo
	s_delay_alu instid0(VALU_DEP_2) | instskip(SKIP_4) | instid1(VALU_DEP_1)
	v_cndmask_b32_e32 v213, v241, v212, vcc_lo
	v_cndmask_b32_e32 v212, v240, v240, vcc_lo
	v_cmp_gt_f64_e32 vcc_lo, 0, v[242:243]
	v_cndmask_b32_e32 v215, v243, v214, vcc_lo
	v_cndmask_b32_e32 v214, v242, v242, vcc_lo
	v_cmpx_ngt_f64_e32 v[212:213], v[214:215]
	s_xor_b32 s3, exec_lo, s3
	s_cbranch_execz .LBB118_847
; %bb.846:
	v_div_scale_f64 v[212:213], null, v[242:243], v[242:243], v[240:241]
	v_div_scale_f64 v[218:219], vcc_lo, v[240:241], v[242:243], v[240:241]
	s_delay_alu instid0(VALU_DEP_2) | instskip(SKIP_2) | instid1(VALU_DEP_1)
	v_rcp_f64_e32 v[214:215], v[212:213]
	s_waitcnt_depctr 0xfff
	v_fma_f64 v[216:217], -v[212:213], v[214:215], 1.0
	v_fma_f64 v[214:215], v[214:215], v[216:217], v[214:215]
	s_delay_alu instid0(VALU_DEP_1) | instskip(NEXT) | instid1(VALU_DEP_1)
	v_fma_f64 v[216:217], -v[212:213], v[214:215], 1.0
	v_fma_f64 v[214:215], v[214:215], v[216:217], v[214:215]
	s_delay_alu instid0(VALU_DEP_1) | instskip(NEXT) | instid1(VALU_DEP_1)
	v_mul_f64 v[216:217], v[218:219], v[214:215]
	v_fma_f64 v[212:213], -v[212:213], v[216:217], v[218:219]
	s_delay_alu instid0(VALU_DEP_1) | instskip(NEXT) | instid1(VALU_DEP_1)
	v_div_fmas_f64 v[212:213], v[212:213], v[214:215], v[216:217]
	v_div_fixup_f64 v[212:213], v[212:213], v[242:243], v[240:241]
	s_delay_alu instid0(VALU_DEP_1) | instskip(NEXT) | instid1(VALU_DEP_1)
	v_fma_f64 v[214:215], v[240:241], v[212:213], v[242:243]
	v_div_scale_f64 v[216:217], null, v[214:215], v[214:215], 1.0
	s_delay_alu instid0(VALU_DEP_1) | instskip(SKIP_2) | instid1(VALU_DEP_1)
	v_rcp_f64_e32 v[218:219], v[216:217]
	s_waitcnt_depctr 0xfff
	v_fma_f64 v[220:221], -v[216:217], v[218:219], 1.0
	v_fma_f64 v[218:219], v[218:219], v[220:221], v[218:219]
	s_delay_alu instid0(VALU_DEP_1) | instskip(NEXT) | instid1(VALU_DEP_1)
	v_fma_f64 v[220:221], -v[216:217], v[218:219], 1.0
	v_fma_f64 v[218:219], v[218:219], v[220:221], v[218:219]
	v_div_scale_f64 v[220:221], vcc_lo, 1.0, v[214:215], 1.0
	s_delay_alu instid0(VALU_DEP_1) | instskip(NEXT) | instid1(VALU_DEP_1)
	v_mul_f64 v[222:223], v[220:221], v[218:219]
	v_fma_f64 v[216:217], -v[216:217], v[222:223], v[220:221]
	s_delay_alu instid0(VALU_DEP_1) | instskip(NEXT) | instid1(VALU_DEP_1)
	v_div_fmas_f64 v[216:217], v[216:217], v[218:219], v[222:223]
	v_div_fixup_f64 v[242:243], v[216:217], v[214:215], 1.0
	s_delay_alu instid0(VALU_DEP_1)
	v_mul_f64 v[240:241], v[212:213], v[242:243]
	v_xor_b32_e32 v243, 0x80000000, v243
.LBB118_847:
	s_and_not1_saveexec_b32 s3, s3
	s_cbranch_execz .LBB118_849
; %bb.848:
	s_delay_alu instid0(VALU_DEP_1) | instskip(SKIP_1) | instid1(VALU_DEP_2)
	v_div_scale_f64 v[212:213], null, v[240:241], v[240:241], v[242:243]
	v_div_scale_f64 v[218:219], vcc_lo, v[242:243], v[240:241], v[242:243]
	v_rcp_f64_e32 v[214:215], v[212:213]
	s_waitcnt_depctr 0xfff
	v_fma_f64 v[216:217], -v[212:213], v[214:215], 1.0
	s_delay_alu instid0(VALU_DEP_1) | instskip(NEXT) | instid1(VALU_DEP_1)
	v_fma_f64 v[214:215], v[214:215], v[216:217], v[214:215]
	v_fma_f64 v[216:217], -v[212:213], v[214:215], 1.0
	s_delay_alu instid0(VALU_DEP_1) | instskip(NEXT) | instid1(VALU_DEP_1)
	v_fma_f64 v[214:215], v[214:215], v[216:217], v[214:215]
	v_mul_f64 v[216:217], v[218:219], v[214:215]
	s_delay_alu instid0(VALU_DEP_1) | instskip(NEXT) | instid1(VALU_DEP_1)
	v_fma_f64 v[212:213], -v[212:213], v[216:217], v[218:219]
	v_div_fmas_f64 v[212:213], v[212:213], v[214:215], v[216:217]
	s_delay_alu instid0(VALU_DEP_1) | instskip(NEXT) | instid1(VALU_DEP_1)
	v_div_fixup_f64 v[212:213], v[212:213], v[240:241], v[242:243]
	v_fma_f64 v[214:215], v[242:243], v[212:213], v[240:241]
	s_delay_alu instid0(VALU_DEP_1) | instskip(NEXT) | instid1(VALU_DEP_1)
	v_div_scale_f64 v[216:217], null, v[214:215], v[214:215], 1.0
	v_rcp_f64_e32 v[218:219], v[216:217]
	s_waitcnt_depctr 0xfff
	v_fma_f64 v[220:221], -v[216:217], v[218:219], 1.0
	s_delay_alu instid0(VALU_DEP_1) | instskip(NEXT) | instid1(VALU_DEP_1)
	v_fma_f64 v[218:219], v[218:219], v[220:221], v[218:219]
	v_fma_f64 v[220:221], -v[216:217], v[218:219], 1.0
	s_delay_alu instid0(VALU_DEP_1) | instskip(SKIP_1) | instid1(VALU_DEP_1)
	v_fma_f64 v[218:219], v[218:219], v[220:221], v[218:219]
	v_div_scale_f64 v[220:221], vcc_lo, 1.0, v[214:215], 1.0
	v_mul_f64 v[222:223], v[220:221], v[218:219]
	s_delay_alu instid0(VALU_DEP_1) | instskip(NEXT) | instid1(VALU_DEP_1)
	v_fma_f64 v[216:217], -v[216:217], v[222:223], v[220:221]
	v_div_fmas_f64 v[216:217], v[216:217], v[218:219], v[222:223]
	s_delay_alu instid0(VALU_DEP_1) | instskip(NEXT) | instid1(VALU_DEP_1)
	v_div_fixup_f64 v[240:241], v[216:217], v[214:215], 1.0
	v_mul_f64 v[242:243], v[212:213], -v[240:241]
.LBB118_849:
	s_or_b32 exec_lo, exec_lo, s3
.LBB118_850:
	s_delay_alu instid0(SALU_CYCLE_1) | instskip(NEXT) | instid1(SALU_CYCLE_1)
	s_or_b32 exec_lo, exec_lo, s2
	s_mov_b32 s2, exec_lo
	v_cmpx_ne_u32_e64 v255, v248
	s_xor_b32 s2, exec_lo, s2
	s_cbranch_execz .LBB118_856
; %bb.851:
	s_mov_b32 s3, exec_lo
	v_cmpx_eq_u32_e32 40, v255
	s_cbranch_execz .LBB118_855
; %bb.852:
	v_cmp_ne_u32_e32 vcc_lo, 40, v248
	s_xor_b32 s4, s5, -1
	s_delay_alu instid0(SALU_CYCLE_1) | instskip(NEXT) | instid1(SALU_CYCLE_1)
	s_and_b32 s6, s4, vcc_lo
	s_and_saveexec_b32 s4, s6
	s_cbranch_execz .LBB118_854
; %bb.853:
	scratch_load_b64 v[208:209], off, off offset:16 ; 8-byte Folded Reload
	v_ashrrev_i32_e32 v249, 31, v248
	s_delay_alu instid0(VALU_DEP_1) | instskip(SKIP_1) | instid1(VALU_DEP_1)
	v_lshlrev_b64 v[212:213], 2, v[248:249]
	s_waitcnt vmcnt(0)
	v_add_co_u32 v212, vcc_lo, v208, v212
	s_delay_alu instid0(VALU_DEP_2)
	v_add_co_ci_u32_e32 v213, vcc_lo, v209, v213, vcc_lo
	s_clause 0x1
	flat_load_b32 v214, v[212:213]
	flat_load_b32 v215, v[208:209] offset:160
	s_waitcnt vmcnt(1) lgkmcnt(1)
	flat_store_b32 v[208:209], v214 offset:160
	s_waitcnt vmcnt(0) lgkmcnt(1)
	flat_store_b32 v[212:213], v215
.LBB118_854:
	s_or_b32 exec_lo, exec_lo, s4
	v_mov_b32_e32 v255, v248
	v_mov_b32_e32 v244, v248
.LBB118_855:
	s_or_b32 exec_lo, exec_lo, s3
.LBB118_856:
	s_and_not1_saveexec_b32 s2, s2
	s_cbranch_execz .LBB118_858
; %bb.857:
	v_mov_b32_e32 v255, 40
	ds_store_2addr_b64 v250, v[72:73], v[74:75] offset0:82 offset1:83
	ds_store_2addr_b64 v250, v[68:69], v[70:71] offset0:84 offset1:85
	;; [unrolled: 1-line block ×19, first 2 shown]
.LBB118_858:
	s_or_b32 exec_lo, exec_lo, s2
	s_delay_alu instid0(SALU_CYCLE_1)
	s_mov_b32 s2, exec_lo
	s_waitcnt lgkmcnt(0)
	s_waitcnt_vscnt null, 0x0
	s_barrier
	buffer_gl0_inv
	v_cmpx_lt_i32_e32 40, v255
	s_cbranch_execz .LBB118_860
; %bb.859:
	v_mul_f64 v[212:213], v[242:243], v[78:79]
	v_mul_f64 v[78:79], v[240:241], v[78:79]
	ds_load_2addr_b64 v[232:235], v250 offset0:82 offset1:83
	v_fma_f64 v[248:249], v[240:241], v[76:77], -v[212:213]
	v_fma_f64 v[78:79], v[242:243], v[76:77], v[78:79]
	s_waitcnt lgkmcnt(0)
	s_delay_alu instid0(VALU_DEP_1) | instskip(SKIP_1) | instid1(VALU_DEP_2)
	v_mul_f64 v[76:77], v[234:235], v[78:79]
	v_mul_f64 v[212:213], v[232:233], v[78:79]
	v_fma_f64 v[76:77], v[232:233], v[248:249], -v[76:77]
	s_delay_alu instid0(VALU_DEP_2)
	v_fma_f64 v[212:213], v[234:235], v[248:249], v[212:213]
	ds_load_2addr_b64 v[232:235], v250 offset0:84 offset1:85
	v_add_f64 v[72:73], v[72:73], -v[76:77]
	v_add_f64 v[74:75], v[74:75], -v[212:213]
	s_waitcnt lgkmcnt(0)
	v_mul_f64 v[76:77], v[234:235], v[78:79]
	v_mul_f64 v[212:213], v[232:233], v[78:79]
	s_delay_alu instid0(VALU_DEP_2) | instskip(NEXT) | instid1(VALU_DEP_2)
	v_fma_f64 v[76:77], v[232:233], v[248:249], -v[76:77]
	v_fma_f64 v[212:213], v[234:235], v[248:249], v[212:213]
	ds_load_2addr_b64 v[232:235], v250 offset0:86 offset1:87
	v_add_f64 v[68:69], v[68:69], -v[76:77]
	v_add_f64 v[70:71], v[70:71], -v[212:213]
	s_waitcnt lgkmcnt(0)
	v_mul_f64 v[76:77], v[234:235], v[78:79]
	v_mul_f64 v[212:213], v[232:233], v[78:79]
	s_delay_alu instid0(VALU_DEP_2) | instskip(NEXT) | instid1(VALU_DEP_2)
	v_fma_f64 v[76:77], v[232:233], v[248:249], -v[76:77]
	;; [unrolled: 9-line block ×18, first 2 shown]
	v_fma_f64 v[212:213], v[234:235], v[248:249], v[212:213]
	s_delay_alu instid0(VALU_DEP_2) | instskip(NEXT) | instid1(VALU_DEP_2)
	v_add_f64 v[228:229], v[228:229], -v[76:77]
	v_add_f64 v[230:231], v[230:231], -v[212:213]
	v_dual_mov_b32 v76, v248 :: v_dual_mov_b32 v77, v249
.LBB118_860:
	s_or_b32 exec_lo, exec_lo, s2
	v_lshl_add_u32 v212, v255, 4, v250
	s_barrier
	buffer_gl0_inv
	v_mov_b32_e32 v248, 41
	ds_store_2addr_b64 v212, v[72:73], v[74:75] offset1:1
	s_waitcnt lgkmcnt(0)
	s_barrier
	buffer_gl0_inv
	ds_load_2addr_b64 v[240:243], v250 offset0:82 offset1:83
	s_cmp_lt_i32 s12, 43
	s_cbranch_scc1 .LBB118_863
; %bb.861:
	v_add3_u32 v245, v254, 0, 0x2a0
	v_mov_b32_e32 v248, 41
	s_mov_b32 s2, 42
	s_set_inst_prefetch_distance 0x1
	.p2align	6
.LBB118_862:                            ; =>This Inner Loop Header: Depth=1
	s_waitcnt lgkmcnt(0)
	v_cmp_gt_f64_e32 vcc_lo, 0, v[240:241]
	v_xor_b32_e32 v212, 0x80000000, v241
	v_xor_b32_e32 v214, 0x80000000, v243
	ds_load_2addr_b64 v[232:235], v245 offset1:1
	v_add_nc_u32_e32 v245, 16, v245
	s_waitcnt lgkmcnt(0)
	v_xor_b32_e32 v216, 0x80000000, v235
	v_cndmask_b32_e32 v213, v241, v212, vcc_lo
	v_cndmask_b32_e32 v212, v240, v240, vcc_lo
	v_cmp_gt_f64_e32 vcc_lo, 0, v[242:243]
	v_cndmask_b32_e32 v215, v243, v214, vcc_lo
	v_cndmask_b32_e32 v214, v242, v242, vcc_lo
	v_cmp_gt_f64_e32 vcc_lo, 0, v[232:233]
	s_delay_alu instid0(VALU_DEP_2) | instskip(SKIP_1) | instid1(VALU_DEP_1)
	v_add_f64 v[212:213], v[212:213], v[214:215]
	v_xor_b32_e32 v214, 0x80000000, v233
	v_dual_cndmask_b32 v215, v233, v214 :: v_dual_mov_b32 v214, v232
	v_cmp_gt_f64_e32 vcc_lo, 0, v[234:235]
	v_dual_cndmask_b32 v217, v235, v216 :: v_dual_mov_b32 v216, v234
	s_delay_alu instid0(VALU_DEP_1) | instskip(NEXT) | instid1(VALU_DEP_1)
	v_add_f64 v[214:215], v[214:215], v[216:217]
	v_cmp_lt_f64_e32 vcc_lo, v[212:213], v[214:215]
	v_dual_cndmask_b32 v241, v241, v233 :: v_dual_cndmask_b32 v240, v240, v232
	v_dual_cndmask_b32 v243, v243, v235 :: v_dual_cndmask_b32 v242, v242, v234
	v_cndmask_b32_e64 v248, v248, s2, vcc_lo
	s_add_i32 s2, s2, 1
	s_delay_alu instid0(SALU_CYCLE_1)
	s_cmp_lg_u32 s12, s2
	s_cbranch_scc1 .LBB118_862
.LBB118_863:
	s_set_inst_prefetch_distance 0x2
	s_waitcnt lgkmcnt(0)
	v_cmp_eq_f64_e32 vcc_lo, 0, v[240:241]
	v_cmp_eq_f64_e64 s2, 0, v[242:243]
	s_delay_alu instid0(VALU_DEP_1) | instskip(NEXT) | instid1(SALU_CYCLE_1)
	s_and_b32 s2, vcc_lo, s2
	s_and_saveexec_b32 s3, s2
	s_delay_alu instid0(SALU_CYCLE_1)
	s_xor_b32 s2, exec_lo, s3
; %bb.864:
	v_cmp_ne_u32_e32 vcc_lo, 0, v253
	v_cndmask_b32_e32 v253, 42, v253, vcc_lo
; %bb.865:
	s_and_not1_saveexec_b32 s2, s2
	s_cbranch_execz .LBB118_871
; %bb.866:
	v_cmp_gt_f64_e32 vcc_lo, 0, v[240:241]
	v_xor_b32_e32 v212, 0x80000000, v241
	v_xor_b32_e32 v214, 0x80000000, v243
	s_mov_b32 s3, exec_lo
	s_delay_alu instid0(VALU_DEP_2) | instskip(SKIP_4) | instid1(VALU_DEP_1)
	v_cndmask_b32_e32 v213, v241, v212, vcc_lo
	v_cndmask_b32_e32 v212, v240, v240, vcc_lo
	v_cmp_gt_f64_e32 vcc_lo, 0, v[242:243]
	v_cndmask_b32_e32 v215, v243, v214, vcc_lo
	v_cndmask_b32_e32 v214, v242, v242, vcc_lo
	v_cmpx_ngt_f64_e32 v[212:213], v[214:215]
	s_xor_b32 s3, exec_lo, s3
	s_cbranch_execz .LBB118_868
; %bb.867:
	v_div_scale_f64 v[212:213], null, v[242:243], v[242:243], v[240:241]
	v_div_scale_f64 v[218:219], vcc_lo, v[240:241], v[242:243], v[240:241]
	s_delay_alu instid0(VALU_DEP_2) | instskip(SKIP_2) | instid1(VALU_DEP_1)
	v_rcp_f64_e32 v[214:215], v[212:213]
	s_waitcnt_depctr 0xfff
	v_fma_f64 v[216:217], -v[212:213], v[214:215], 1.0
	v_fma_f64 v[214:215], v[214:215], v[216:217], v[214:215]
	s_delay_alu instid0(VALU_DEP_1) | instskip(NEXT) | instid1(VALU_DEP_1)
	v_fma_f64 v[216:217], -v[212:213], v[214:215], 1.0
	v_fma_f64 v[214:215], v[214:215], v[216:217], v[214:215]
	s_delay_alu instid0(VALU_DEP_1) | instskip(NEXT) | instid1(VALU_DEP_1)
	v_mul_f64 v[216:217], v[218:219], v[214:215]
	v_fma_f64 v[212:213], -v[212:213], v[216:217], v[218:219]
	s_delay_alu instid0(VALU_DEP_1) | instskip(NEXT) | instid1(VALU_DEP_1)
	v_div_fmas_f64 v[212:213], v[212:213], v[214:215], v[216:217]
	v_div_fixup_f64 v[212:213], v[212:213], v[242:243], v[240:241]
	s_delay_alu instid0(VALU_DEP_1) | instskip(NEXT) | instid1(VALU_DEP_1)
	v_fma_f64 v[214:215], v[240:241], v[212:213], v[242:243]
	v_div_scale_f64 v[216:217], null, v[214:215], v[214:215], 1.0
	s_delay_alu instid0(VALU_DEP_1) | instskip(SKIP_2) | instid1(VALU_DEP_1)
	v_rcp_f64_e32 v[218:219], v[216:217]
	s_waitcnt_depctr 0xfff
	v_fma_f64 v[220:221], -v[216:217], v[218:219], 1.0
	v_fma_f64 v[218:219], v[218:219], v[220:221], v[218:219]
	s_delay_alu instid0(VALU_DEP_1) | instskip(NEXT) | instid1(VALU_DEP_1)
	v_fma_f64 v[220:221], -v[216:217], v[218:219], 1.0
	v_fma_f64 v[218:219], v[218:219], v[220:221], v[218:219]
	v_div_scale_f64 v[220:221], vcc_lo, 1.0, v[214:215], 1.0
	s_delay_alu instid0(VALU_DEP_1) | instskip(NEXT) | instid1(VALU_DEP_1)
	v_mul_f64 v[222:223], v[220:221], v[218:219]
	v_fma_f64 v[216:217], -v[216:217], v[222:223], v[220:221]
	s_delay_alu instid0(VALU_DEP_1) | instskip(NEXT) | instid1(VALU_DEP_1)
	v_div_fmas_f64 v[216:217], v[216:217], v[218:219], v[222:223]
	v_div_fixup_f64 v[242:243], v[216:217], v[214:215], 1.0
	s_delay_alu instid0(VALU_DEP_1)
	v_mul_f64 v[240:241], v[212:213], v[242:243]
	v_xor_b32_e32 v243, 0x80000000, v243
.LBB118_868:
	s_and_not1_saveexec_b32 s3, s3
	s_cbranch_execz .LBB118_870
; %bb.869:
	s_delay_alu instid0(VALU_DEP_1) | instskip(SKIP_1) | instid1(VALU_DEP_2)
	v_div_scale_f64 v[212:213], null, v[240:241], v[240:241], v[242:243]
	v_div_scale_f64 v[218:219], vcc_lo, v[242:243], v[240:241], v[242:243]
	v_rcp_f64_e32 v[214:215], v[212:213]
	s_waitcnt_depctr 0xfff
	v_fma_f64 v[216:217], -v[212:213], v[214:215], 1.0
	s_delay_alu instid0(VALU_DEP_1) | instskip(NEXT) | instid1(VALU_DEP_1)
	v_fma_f64 v[214:215], v[214:215], v[216:217], v[214:215]
	v_fma_f64 v[216:217], -v[212:213], v[214:215], 1.0
	s_delay_alu instid0(VALU_DEP_1) | instskip(NEXT) | instid1(VALU_DEP_1)
	v_fma_f64 v[214:215], v[214:215], v[216:217], v[214:215]
	v_mul_f64 v[216:217], v[218:219], v[214:215]
	s_delay_alu instid0(VALU_DEP_1) | instskip(NEXT) | instid1(VALU_DEP_1)
	v_fma_f64 v[212:213], -v[212:213], v[216:217], v[218:219]
	v_div_fmas_f64 v[212:213], v[212:213], v[214:215], v[216:217]
	s_delay_alu instid0(VALU_DEP_1) | instskip(NEXT) | instid1(VALU_DEP_1)
	v_div_fixup_f64 v[212:213], v[212:213], v[240:241], v[242:243]
	v_fma_f64 v[214:215], v[242:243], v[212:213], v[240:241]
	s_delay_alu instid0(VALU_DEP_1) | instskip(NEXT) | instid1(VALU_DEP_1)
	v_div_scale_f64 v[216:217], null, v[214:215], v[214:215], 1.0
	v_rcp_f64_e32 v[218:219], v[216:217]
	s_waitcnt_depctr 0xfff
	v_fma_f64 v[220:221], -v[216:217], v[218:219], 1.0
	s_delay_alu instid0(VALU_DEP_1) | instskip(NEXT) | instid1(VALU_DEP_1)
	v_fma_f64 v[218:219], v[218:219], v[220:221], v[218:219]
	v_fma_f64 v[220:221], -v[216:217], v[218:219], 1.0
	s_delay_alu instid0(VALU_DEP_1) | instskip(SKIP_1) | instid1(VALU_DEP_1)
	v_fma_f64 v[218:219], v[218:219], v[220:221], v[218:219]
	v_div_scale_f64 v[220:221], vcc_lo, 1.0, v[214:215], 1.0
	v_mul_f64 v[222:223], v[220:221], v[218:219]
	s_delay_alu instid0(VALU_DEP_1) | instskip(NEXT) | instid1(VALU_DEP_1)
	v_fma_f64 v[216:217], -v[216:217], v[222:223], v[220:221]
	v_div_fmas_f64 v[216:217], v[216:217], v[218:219], v[222:223]
	s_delay_alu instid0(VALU_DEP_1) | instskip(NEXT) | instid1(VALU_DEP_1)
	v_div_fixup_f64 v[240:241], v[216:217], v[214:215], 1.0
	v_mul_f64 v[242:243], v[212:213], -v[240:241]
.LBB118_870:
	s_or_b32 exec_lo, exec_lo, s3
.LBB118_871:
	s_delay_alu instid0(SALU_CYCLE_1) | instskip(NEXT) | instid1(SALU_CYCLE_1)
	s_or_b32 exec_lo, exec_lo, s2
	s_mov_b32 s2, exec_lo
	v_cmpx_ne_u32_e64 v255, v248
	s_xor_b32 s2, exec_lo, s2
	s_cbranch_execz .LBB118_877
; %bb.872:
	s_mov_b32 s3, exec_lo
	v_cmpx_eq_u32_e32 41, v255
	s_cbranch_execz .LBB118_876
; %bb.873:
	v_cmp_ne_u32_e32 vcc_lo, 41, v248
	s_xor_b32 s4, s5, -1
	s_delay_alu instid0(SALU_CYCLE_1) | instskip(NEXT) | instid1(SALU_CYCLE_1)
	s_and_b32 s6, s4, vcc_lo
	s_and_saveexec_b32 s4, s6
	s_cbranch_execz .LBB118_875
; %bb.874:
	scratch_load_b64 v[208:209], off, off offset:16 ; 8-byte Folded Reload
	v_ashrrev_i32_e32 v249, 31, v248
	s_delay_alu instid0(VALU_DEP_1) | instskip(SKIP_1) | instid1(VALU_DEP_1)
	v_lshlrev_b64 v[212:213], 2, v[248:249]
	s_waitcnt vmcnt(0)
	v_add_co_u32 v212, vcc_lo, v208, v212
	s_delay_alu instid0(VALU_DEP_2)
	v_add_co_ci_u32_e32 v213, vcc_lo, v209, v213, vcc_lo
	s_clause 0x1
	flat_load_b32 v214, v[212:213]
	flat_load_b32 v215, v[208:209] offset:164
	s_waitcnt vmcnt(1) lgkmcnt(1)
	flat_store_b32 v[208:209], v214 offset:164
	s_waitcnt vmcnt(0) lgkmcnt(1)
	flat_store_b32 v[212:213], v215
.LBB118_875:
	s_or_b32 exec_lo, exec_lo, s4
	v_mov_b32_e32 v255, v248
	v_mov_b32_e32 v244, v248
.LBB118_876:
	s_or_b32 exec_lo, exec_lo, s3
.LBB118_877:
	s_and_not1_saveexec_b32 s2, s2
	s_cbranch_execz .LBB118_879
; %bb.878:
	v_mov_b32_e32 v255, 41
	ds_store_2addr_b64 v250, v[68:69], v[70:71] offset0:84 offset1:85
	ds_store_2addr_b64 v250, v[64:65], v[66:67] offset0:86 offset1:87
	;; [unrolled: 1-line block ×18, first 2 shown]
.LBB118_879:
	s_or_b32 exec_lo, exec_lo, s2
	s_delay_alu instid0(SALU_CYCLE_1)
	s_mov_b32 s2, exec_lo
	s_waitcnt lgkmcnt(0)
	s_waitcnt_vscnt null, 0x0
	s_barrier
	buffer_gl0_inv
	v_cmpx_lt_i32_e32 41, v255
	s_cbranch_execz .LBB118_881
; %bb.880:
	v_mul_f64 v[212:213], v[242:243], v[74:75]
	v_mul_f64 v[74:75], v[240:241], v[74:75]
	ds_load_2addr_b64 v[232:235], v250 offset0:84 offset1:85
	v_fma_f64 v[248:249], v[240:241], v[72:73], -v[212:213]
	v_fma_f64 v[74:75], v[242:243], v[72:73], v[74:75]
	s_waitcnt lgkmcnt(0)
	s_delay_alu instid0(VALU_DEP_1) | instskip(SKIP_1) | instid1(VALU_DEP_2)
	v_mul_f64 v[72:73], v[234:235], v[74:75]
	v_mul_f64 v[212:213], v[232:233], v[74:75]
	v_fma_f64 v[72:73], v[232:233], v[248:249], -v[72:73]
	s_delay_alu instid0(VALU_DEP_2)
	v_fma_f64 v[212:213], v[234:235], v[248:249], v[212:213]
	ds_load_2addr_b64 v[232:235], v250 offset0:86 offset1:87
	v_add_f64 v[68:69], v[68:69], -v[72:73]
	v_add_f64 v[70:71], v[70:71], -v[212:213]
	s_waitcnt lgkmcnt(0)
	v_mul_f64 v[72:73], v[234:235], v[74:75]
	v_mul_f64 v[212:213], v[232:233], v[74:75]
	s_delay_alu instid0(VALU_DEP_2) | instskip(NEXT) | instid1(VALU_DEP_2)
	v_fma_f64 v[72:73], v[232:233], v[248:249], -v[72:73]
	v_fma_f64 v[212:213], v[234:235], v[248:249], v[212:213]
	ds_load_2addr_b64 v[232:235], v250 offset0:88 offset1:89
	v_add_f64 v[64:65], v[64:65], -v[72:73]
	v_add_f64 v[66:67], v[66:67], -v[212:213]
	s_waitcnt lgkmcnt(0)
	v_mul_f64 v[72:73], v[234:235], v[74:75]
	v_mul_f64 v[212:213], v[232:233], v[74:75]
	s_delay_alu instid0(VALU_DEP_2) | instskip(NEXT) | instid1(VALU_DEP_2)
	v_fma_f64 v[72:73], v[232:233], v[248:249], -v[72:73]
	;; [unrolled: 9-line block ×17, first 2 shown]
	v_fma_f64 v[212:213], v[234:235], v[248:249], v[212:213]
	s_delay_alu instid0(VALU_DEP_2) | instskip(NEXT) | instid1(VALU_DEP_2)
	v_add_f64 v[228:229], v[228:229], -v[72:73]
	v_add_f64 v[230:231], v[230:231], -v[212:213]
	v_dual_mov_b32 v72, v248 :: v_dual_mov_b32 v73, v249
.LBB118_881:
	s_or_b32 exec_lo, exec_lo, s2
	v_lshl_add_u32 v212, v255, 4, v250
	s_barrier
	buffer_gl0_inv
	v_mov_b32_e32 v248, 42
	ds_store_2addr_b64 v212, v[68:69], v[70:71] offset1:1
	s_waitcnt lgkmcnt(0)
	s_barrier
	buffer_gl0_inv
	ds_load_2addr_b64 v[240:243], v250 offset0:84 offset1:85
	s_cmp_lt_i32 s12, 44
	s_cbranch_scc1 .LBB118_884
; %bb.882:
	v_add3_u32 v245, v254, 0, 0x2b0
	v_mov_b32_e32 v248, 42
	s_mov_b32 s2, 43
	s_set_inst_prefetch_distance 0x1
	.p2align	6
.LBB118_883:                            ; =>This Inner Loop Header: Depth=1
	s_waitcnt lgkmcnt(0)
	v_cmp_gt_f64_e32 vcc_lo, 0, v[240:241]
	v_xor_b32_e32 v212, 0x80000000, v241
	v_xor_b32_e32 v214, 0x80000000, v243
	ds_load_2addr_b64 v[232:235], v245 offset1:1
	v_add_nc_u32_e32 v245, 16, v245
	s_waitcnt lgkmcnt(0)
	v_xor_b32_e32 v216, 0x80000000, v235
	v_cndmask_b32_e32 v213, v241, v212, vcc_lo
	v_cndmask_b32_e32 v212, v240, v240, vcc_lo
	v_cmp_gt_f64_e32 vcc_lo, 0, v[242:243]
	v_cndmask_b32_e32 v215, v243, v214, vcc_lo
	v_cndmask_b32_e32 v214, v242, v242, vcc_lo
	v_cmp_gt_f64_e32 vcc_lo, 0, v[232:233]
	s_delay_alu instid0(VALU_DEP_2) | instskip(SKIP_1) | instid1(VALU_DEP_1)
	v_add_f64 v[212:213], v[212:213], v[214:215]
	v_xor_b32_e32 v214, 0x80000000, v233
	v_dual_cndmask_b32 v215, v233, v214 :: v_dual_mov_b32 v214, v232
	v_cmp_gt_f64_e32 vcc_lo, 0, v[234:235]
	v_dual_cndmask_b32 v217, v235, v216 :: v_dual_mov_b32 v216, v234
	s_delay_alu instid0(VALU_DEP_1) | instskip(NEXT) | instid1(VALU_DEP_1)
	v_add_f64 v[214:215], v[214:215], v[216:217]
	v_cmp_lt_f64_e32 vcc_lo, v[212:213], v[214:215]
	v_dual_cndmask_b32 v241, v241, v233 :: v_dual_cndmask_b32 v240, v240, v232
	v_dual_cndmask_b32 v243, v243, v235 :: v_dual_cndmask_b32 v242, v242, v234
	v_cndmask_b32_e64 v248, v248, s2, vcc_lo
	s_add_i32 s2, s2, 1
	s_delay_alu instid0(SALU_CYCLE_1)
	s_cmp_lg_u32 s12, s2
	s_cbranch_scc1 .LBB118_883
.LBB118_884:
	s_set_inst_prefetch_distance 0x2
	s_waitcnt lgkmcnt(0)
	v_cmp_eq_f64_e32 vcc_lo, 0, v[240:241]
	v_cmp_eq_f64_e64 s2, 0, v[242:243]
	s_delay_alu instid0(VALU_DEP_1) | instskip(NEXT) | instid1(SALU_CYCLE_1)
	s_and_b32 s2, vcc_lo, s2
	s_and_saveexec_b32 s3, s2
	s_delay_alu instid0(SALU_CYCLE_1)
	s_xor_b32 s2, exec_lo, s3
; %bb.885:
	v_cmp_ne_u32_e32 vcc_lo, 0, v253
	v_cndmask_b32_e32 v253, 43, v253, vcc_lo
; %bb.886:
	s_and_not1_saveexec_b32 s2, s2
	s_cbranch_execz .LBB118_892
; %bb.887:
	v_cmp_gt_f64_e32 vcc_lo, 0, v[240:241]
	v_xor_b32_e32 v212, 0x80000000, v241
	v_xor_b32_e32 v214, 0x80000000, v243
	s_mov_b32 s3, exec_lo
	s_delay_alu instid0(VALU_DEP_2) | instskip(SKIP_4) | instid1(VALU_DEP_1)
	v_cndmask_b32_e32 v213, v241, v212, vcc_lo
	v_cndmask_b32_e32 v212, v240, v240, vcc_lo
	v_cmp_gt_f64_e32 vcc_lo, 0, v[242:243]
	v_cndmask_b32_e32 v215, v243, v214, vcc_lo
	v_cndmask_b32_e32 v214, v242, v242, vcc_lo
	v_cmpx_ngt_f64_e32 v[212:213], v[214:215]
	s_xor_b32 s3, exec_lo, s3
	s_cbranch_execz .LBB118_889
; %bb.888:
	v_div_scale_f64 v[212:213], null, v[242:243], v[242:243], v[240:241]
	v_div_scale_f64 v[218:219], vcc_lo, v[240:241], v[242:243], v[240:241]
	s_delay_alu instid0(VALU_DEP_2) | instskip(SKIP_2) | instid1(VALU_DEP_1)
	v_rcp_f64_e32 v[214:215], v[212:213]
	s_waitcnt_depctr 0xfff
	v_fma_f64 v[216:217], -v[212:213], v[214:215], 1.0
	v_fma_f64 v[214:215], v[214:215], v[216:217], v[214:215]
	s_delay_alu instid0(VALU_DEP_1) | instskip(NEXT) | instid1(VALU_DEP_1)
	v_fma_f64 v[216:217], -v[212:213], v[214:215], 1.0
	v_fma_f64 v[214:215], v[214:215], v[216:217], v[214:215]
	s_delay_alu instid0(VALU_DEP_1) | instskip(NEXT) | instid1(VALU_DEP_1)
	v_mul_f64 v[216:217], v[218:219], v[214:215]
	v_fma_f64 v[212:213], -v[212:213], v[216:217], v[218:219]
	s_delay_alu instid0(VALU_DEP_1) | instskip(NEXT) | instid1(VALU_DEP_1)
	v_div_fmas_f64 v[212:213], v[212:213], v[214:215], v[216:217]
	v_div_fixup_f64 v[212:213], v[212:213], v[242:243], v[240:241]
	s_delay_alu instid0(VALU_DEP_1) | instskip(NEXT) | instid1(VALU_DEP_1)
	v_fma_f64 v[214:215], v[240:241], v[212:213], v[242:243]
	v_div_scale_f64 v[216:217], null, v[214:215], v[214:215], 1.0
	s_delay_alu instid0(VALU_DEP_1) | instskip(SKIP_2) | instid1(VALU_DEP_1)
	v_rcp_f64_e32 v[218:219], v[216:217]
	s_waitcnt_depctr 0xfff
	v_fma_f64 v[220:221], -v[216:217], v[218:219], 1.0
	v_fma_f64 v[218:219], v[218:219], v[220:221], v[218:219]
	s_delay_alu instid0(VALU_DEP_1) | instskip(NEXT) | instid1(VALU_DEP_1)
	v_fma_f64 v[220:221], -v[216:217], v[218:219], 1.0
	v_fma_f64 v[218:219], v[218:219], v[220:221], v[218:219]
	v_div_scale_f64 v[220:221], vcc_lo, 1.0, v[214:215], 1.0
	s_delay_alu instid0(VALU_DEP_1) | instskip(NEXT) | instid1(VALU_DEP_1)
	v_mul_f64 v[222:223], v[220:221], v[218:219]
	v_fma_f64 v[216:217], -v[216:217], v[222:223], v[220:221]
	s_delay_alu instid0(VALU_DEP_1) | instskip(NEXT) | instid1(VALU_DEP_1)
	v_div_fmas_f64 v[216:217], v[216:217], v[218:219], v[222:223]
	v_div_fixup_f64 v[242:243], v[216:217], v[214:215], 1.0
	s_delay_alu instid0(VALU_DEP_1)
	v_mul_f64 v[240:241], v[212:213], v[242:243]
	v_xor_b32_e32 v243, 0x80000000, v243
.LBB118_889:
	s_and_not1_saveexec_b32 s3, s3
	s_cbranch_execz .LBB118_891
; %bb.890:
	s_delay_alu instid0(VALU_DEP_1) | instskip(SKIP_1) | instid1(VALU_DEP_2)
	v_div_scale_f64 v[212:213], null, v[240:241], v[240:241], v[242:243]
	v_div_scale_f64 v[218:219], vcc_lo, v[242:243], v[240:241], v[242:243]
	v_rcp_f64_e32 v[214:215], v[212:213]
	s_waitcnt_depctr 0xfff
	v_fma_f64 v[216:217], -v[212:213], v[214:215], 1.0
	s_delay_alu instid0(VALU_DEP_1) | instskip(NEXT) | instid1(VALU_DEP_1)
	v_fma_f64 v[214:215], v[214:215], v[216:217], v[214:215]
	v_fma_f64 v[216:217], -v[212:213], v[214:215], 1.0
	s_delay_alu instid0(VALU_DEP_1) | instskip(NEXT) | instid1(VALU_DEP_1)
	v_fma_f64 v[214:215], v[214:215], v[216:217], v[214:215]
	v_mul_f64 v[216:217], v[218:219], v[214:215]
	s_delay_alu instid0(VALU_DEP_1) | instskip(NEXT) | instid1(VALU_DEP_1)
	v_fma_f64 v[212:213], -v[212:213], v[216:217], v[218:219]
	v_div_fmas_f64 v[212:213], v[212:213], v[214:215], v[216:217]
	s_delay_alu instid0(VALU_DEP_1) | instskip(NEXT) | instid1(VALU_DEP_1)
	v_div_fixup_f64 v[212:213], v[212:213], v[240:241], v[242:243]
	v_fma_f64 v[214:215], v[242:243], v[212:213], v[240:241]
	s_delay_alu instid0(VALU_DEP_1) | instskip(NEXT) | instid1(VALU_DEP_1)
	v_div_scale_f64 v[216:217], null, v[214:215], v[214:215], 1.0
	v_rcp_f64_e32 v[218:219], v[216:217]
	s_waitcnt_depctr 0xfff
	v_fma_f64 v[220:221], -v[216:217], v[218:219], 1.0
	s_delay_alu instid0(VALU_DEP_1) | instskip(NEXT) | instid1(VALU_DEP_1)
	v_fma_f64 v[218:219], v[218:219], v[220:221], v[218:219]
	v_fma_f64 v[220:221], -v[216:217], v[218:219], 1.0
	s_delay_alu instid0(VALU_DEP_1) | instskip(SKIP_1) | instid1(VALU_DEP_1)
	v_fma_f64 v[218:219], v[218:219], v[220:221], v[218:219]
	v_div_scale_f64 v[220:221], vcc_lo, 1.0, v[214:215], 1.0
	v_mul_f64 v[222:223], v[220:221], v[218:219]
	s_delay_alu instid0(VALU_DEP_1) | instskip(NEXT) | instid1(VALU_DEP_1)
	v_fma_f64 v[216:217], -v[216:217], v[222:223], v[220:221]
	v_div_fmas_f64 v[216:217], v[216:217], v[218:219], v[222:223]
	s_delay_alu instid0(VALU_DEP_1) | instskip(NEXT) | instid1(VALU_DEP_1)
	v_div_fixup_f64 v[240:241], v[216:217], v[214:215], 1.0
	v_mul_f64 v[242:243], v[212:213], -v[240:241]
.LBB118_891:
	s_or_b32 exec_lo, exec_lo, s3
.LBB118_892:
	s_delay_alu instid0(SALU_CYCLE_1) | instskip(NEXT) | instid1(SALU_CYCLE_1)
	s_or_b32 exec_lo, exec_lo, s2
	s_mov_b32 s2, exec_lo
	v_cmpx_ne_u32_e64 v255, v248
	s_xor_b32 s2, exec_lo, s2
	s_cbranch_execz .LBB118_898
; %bb.893:
	s_mov_b32 s3, exec_lo
	v_cmpx_eq_u32_e32 42, v255
	s_cbranch_execz .LBB118_897
; %bb.894:
	v_cmp_ne_u32_e32 vcc_lo, 42, v248
	s_xor_b32 s4, s5, -1
	s_delay_alu instid0(SALU_CYCLE_1) | instskip(NEXT) | instid1(SALU_CYCLE_1)
	s_and_b32 s6, s4, vcc_lo
	s_and_saveexec_b32 s4, s6
	s_cbranch_execz .LBB118_896
; %bb.895:
	scratch_load_b64 v[208:209], off, off offset:16 ; 8-byte Folded Reload
	v_ashrrev_i32_e32 v249, 31, v248
	s_delay_alu instid0(VALU_DEP_1) | instskip(SKIP_1) | instid1(VALU_DEP_1)
	v_lshlrev_b64 v[212:213], 2, v[248:249]
	s_waitcnt vmcnt(0)
	v_add_co_u32 v212, vcc_lo, v208, v212
	s_delay_alu instid0(VALU_DEP_2)
	v_add_co_ci_u32_e32 v213, vcc_lo, v209, v213, vcc_lo
	s_clause 0x1
	flat_load_b32 v214, v[212:213]
	flat_load_b32 v215, v[208:209] offset:168
	s_waitcnt vmcnt(1) lgkmcnt(1)
	flat_store_b32 v[208:209], v214 offset:168
	s_waitcnt vmcnt(0) lgkmcnt(1)
	flat_store_b32 v[212:213], v215
.LBB118_896:
	s_or_b32 exec_lo, exec_lo, s4
	v_mov_b32_e32 v255, v248
	v_mov_b32_e32 v244, v248
.LBB118_897:
	s_or_b32 exec_lo, exec_lo, s3
.LBB118_898:
	s_and_not1_saveexec_b32 s2, s2
	s_cbranch_execz .LBB118_900
; %bb.899:
	v_mov_b32_e32 v255, 42
	ds_store_2addr_b64 v250, v[64:65], v[66:67] offset0:86 offset1:87
	ds_store_2addr_b64 v250, v[60:61], v[62:63] offset0:88 offset1:89
	;; [unrolled: 1-line block ×17, first 2 shown]
.LBB118_900:
	s_or_b32 exec_lo, exec_lo, s2
	s_delay_alu instid0(SALU_CYCLE_1)
	s_mov_b32 s2, exec_lo
	s_waitcnt lgkmcnt(0)
	s_waitcnt_vscnt null, 0x0
	s_barrier
	buffer_gl0_inv
	v_cmpx_lt_i32_e32 42, v255
	s_cbranch_execz .LBB118_902
; %bb.901:
	v_mul_f64 v[212:213], v[242:243], v[70:71]
	v_mul_f64 v[70:71], v[240:241], v[70:71]
	ds_load_2addr_b64 v[232:235], v250 offset0:86 offset1:87
	v_fma_f64 v[248:249], v[240:241], v[68:69], -v[212:213]
	v_fma_f64 v[70:71], v[242:243], v[68:69], v[70:71]
	s_waitcnt lgkmcnt(0)
	s_delay_alu instid0(VALU_DEP_1) | instskip(SKIP_1) | instid1(VALU_DEP_2)
	v_mul_f64 v[68:69], v[234:235], v[70:71]
	v_mul_f64 v[212:213], v[232:233], v[70:71]
	v_fma_f64 v[68:69], v[232:233], v[248:249], -v[68:69]
	s_delay_alu instid0(VALU_DEP_2)
	v_fma_f64 v[212:213], v[234:235], v[248:249], v[212:213]
	ds_load_2addr_b64 v[232:235], v250 offset0:88 offset1:89
	v_add_f64 v[64:65], v[64:65], -v[68:69]
	v_add_f64 v[66:67], v[66:67], -v[212:213]
	s_waitcnt lgkmcnt(0)
	v_mul_f64 v[68:69], v[234:235], v[70:71]
	v_mul_f64 v[212:213], v[232:233], v[70:71]
	s_delay_alu instid0(VALU_DEP_2) | instskip(NEXT) | instid1(VALU_DEP_2)
	v_fma_f64 v[68:69], v[232:233], v[248:249], -v[68:69]
	v_fma_f64 v[212:213], v[234:235], v[248:249], v[212:213]
	ds_load_2addr_b64 v[232:235], v250 offset0:90 offset1:91
	v_add_f64 v[60:61], v[60:61], -v[68:69]
	v_add_f64 v[62:63], v[62:63], -v[212:213]
	s_waitcnt lgkmcnt(0)
	v_mul_f64 v[68:69], v[234:235], v[70:71]
	v_mul_f64 v[212:213], v[232:233], v[70:71]
	s_delay_alu instid0(VALU_DEP_2) | instskip(NEXT) | instid1(VALU_DEP_2)
	v_fma_f64 v[68:69], v[232:233], v[248:249], -v[68:69]
	;; [unrolled: 9-line block ×16, first 2 shown]
	v_fma_f64 v[212:213], v[234:235], v[248:249], v[212:213]
	s_delay_alu instid0(VALU_DEP_2) | instskip(NEXT) | instid1(VALU_DEP_2)
	v_add_f64 v[228:229], v[228:229], -v[68:69]
	v_add_f64 v[230:231], v[230:231], -v[212:213]
	v_dual_mov_b32 v68, v248 :: v_dual_mov_b32 v69, v249
.LBB118_902:
	s_or_b32 exec_lo, exec_lo, s2
	v_lshl_add_u32 v212, v255, 4, v250
	s_barrier
	buffer_gl0_inv
	v_mov_b32_e32 v248, 43
	ds_store_2addr_b64 v212, v[64:65], v[66:67] offset1:1
	s_waitcnt lgkmcnt(0)
	s_barrier
	buffer_gl0_inv
	ds_load_2addr_b64 v[240:243], v250 offset0:86 offset1:87
	s_cmp_lt_i32 s12, 45
	s_cbranch_scc1 .LBB118_905
; %bb.903:
	v_add3_u32 v245, v254, 0, 0x2c0
	v_mov_b32_e32 v248, 43
	s_mov_b32 s2, 44
	s_set_inst_prefetch_distance 0x1
	.p2align	6
.LBB118_904:                            ; =>This Inner Loop Header: Depth=1
	s_waitcnt lgkmcnt(0)
	v_cmp_gt_f64_e32 vcc_lo, 0, v[240:241]
	v_xor_b32_e32 v212, 0x80000000, v241
	v_xor_b32_e32 v214, 0x80000000, v243
	ds_load_2addr_b64 v[232:235], v245 offset1:1
	v_add_nc_u32_e32 v245, 16, v245
	s_waitcnt lgkmcnt(0)
	v_xor_b32_e32 v216, 0x80000000, v235
	v_cndmask_b32_e32 v213, v241, v212, vcc_lo
	v_cndmask_b32_e32 v212, v240, v240, vcc_lo
	v_cmp_gt_f64_e32 vcc_lo, 0, v[242:243]
	v_cndmask_b32_e32 v215, v243, v214, vcc_lo
	v_cndmask_b32_e32 v214, v242, v242, vcc_lo
	v_cmp_gt_f64_e32 vcc_lo, 0, v[232:233]
	s_delay_alu instid0(VALU_DEP_2) | instskip(SKIP_1) | instid1(VALU_DEP_1)
	v_add_f64 v[212:213], v[212:213], v[214:215]
	v_xor_b32_e32 v214, 0x80000000, v233
	v_dual_cndmask_b32 v215, v233, v214 :: v_dual_mov_b32 v214, v232
	v_cmp_gt_f64_e32 vcc_lo, 0, v[234:235]
	v_dual_cndmask_b32 v217, v235, v216 :: v_dual_mov_b32 v216, v234
	s_delay_alu instid0(VALU_DEP_1) | instskip(NEXT) | instid1(VALU_DEP_1)
	v_add_f64 v[214:215], v[214:215], v[216:217]
	v_cmp_lt_f64_e32 vcc_lo, v[212:213], v[214:215]
	v_dual_cndmask_b32 v241, v241, v233 :: v_dual_cndmask_b32 v240, v240, v232
	v_dual_cndmask_b32 v243, v243, v235 :: v_dual_cndmask_b32 v242, v242, v234
	v_cndmask_b32_e64 v248, v248, s2, vcc_lo
	s_add_i32 s2, s2, 1
	s_delay_alu instid0(SALU_CYCLE_1)
	s_cmp_lg_u32 s12, s2
	s_cbranch_scc1 .LBB118_904
.LBB118_905:
	s_set_inst_prefetch_distance 0x2
	s_waitcnt lgkmcnt(0)
	v_cmp_eq_f64_e32 vcc_lo, 0, v[240:241]
	v_cmp_eq_f64_e64 s2, 0, v[242:243]
	s_delay_alu instid0(VALU_DEP_1) | instskip(NEXT) | instid1(SALU_CYCLE_1)
	s_and_b32 s2, vcc_lo, s2
	s_and_saveexec_b32 s3, s2
	s_delay_alu instid0(SALU_CYCLE_1)
	s_xor_b32 s2, exec_lo, s3
; %bb.906:
	v_cmp_ne_u32_e32 vcc_lo, 0, v253
	v_cndmask_b32_e32 v253, 44, v253, vcc_lo
; %bb.907:
	s_and_not1_saveexec_b32 s2, s2
	s_cbranch_execz .LBB118_913
; %bb.908:
	v_cmp_gt_f64_e32 vcc_lo, 0, v[240:241]
	v_xor_b32_e32 v212, 0x80000000, v241
	v_xor_b32_e32 v214, 0x80000000, v243
	s_mov_b32 s3, exec_lo
	s_delay_alu instid0(VALU_DEP_2) | instskip(SKIP_4) | instid1(VALU_DEP_1)
	v_cndmask_b32_e32 v213, v241, v212, vcc_lo
	v_cndmask_b32_e32 v212, v240, v240, vcc_lo
	v_cmp_gt_f64_e32 vcc_lo, 0, v[242:243]
	v_cndmask_b32_e32 v215, v243, v214, vcc_lo
	v_cndmask_b32_e32 v214, v242, v242, vcc_lo
	v_cmpx_ngt_f64_e32 v[212:213], v[214:215]
	s_xor_b32 s3, exec_lo, s3
	s_cbranch_execz .LBB118_910
; %bb.909:
	v_div_scale_f64 v[212:213], null, v[242:243], v[242:243], v[240:241]
	v_div_scale_f64 v[218:219], vcc_lo, v[240:241], v[242:243], v[240:241]
	s_delay_alu instid0(VALU_DEP_2) | instskip(SKIP_2) | instid1(VALU_DEP_1)
	v_rcp_f64_e32 v[214:215], v[212:213]
	s_waitcnt_depctr 0xfff
	v_fma_f64 v[216:217], -v[212:213], v[214:215], 1.0
	v_fma_f64 v[214:215], v[214:215], v[216:217], v[214:215]
	s_delay_alu instid0(VALU_DEP_1) | instskip(NEXT) | instid1(VALU_DEP_1)
	v_fma_f64 v[216:217], -v[212:213], v[214:215], 1.0
	v_fma_f64 v[214:215], v[214:215], v[216:217], v[214:215]
	s_delay_alu instid0(VALU_DEP_1) | instskip(NEXT) | instid1(VALU_DEP_1)
	v_mul_f64 v[216:217], v[218:219], v[214:215]
	v_fma_f64 v[212:213], -v[212:213], v[216:217], v[218:219]
	s_delay_alu instid0(VALU_DEP_1) | instskip(NEXT) | instid1(VALU_DEP_1)
	v_div_fmas_f64 v[212:213], v[212:213], v[214:215], v[216:217]
	v_div_fixup_f64 v[212:213], v[212:213], v[242:243], v[240:241]
	s_delay_alu instid0(VALU_DEP_1) | instskip(NEXT) | instid1(VALU_DEP_1)
	v_fma_f64 v[214:215], v[240:241], v[212:213], v[242:243]
	v_div_scale_f64 v[216:217], null, v[214:215], v[214:215], 1.0
	s_delay_alu instid0(VALU_DEP_1) | instskip(SKIP_2) | instid1(VALU_DEP_1)
	v_rcp_f64_e32 v[218:219], v[216:217]
	s_waitcnt_depctr 0xfff
	v_fma_f64 v[220:221], -v[216:217], v[218:219], 1.0
	v_fma_f64 v[218:219], v[218:219], v[220:221], v[218:219]
	s_delay_alu instid0(VALU_DEP_1) | instskip(NEXT) | instid1(VALU_DEP_1)
	v_fma_f64 v[220:221], -v[216:217], v[218:219], 1.0
	v_fma_f64 v[218:219], v[218:219], v[220:221], v[218:219]
	v_div_scale_f64 v[220:221], vcc_lo, 1.0, v[214:215], 1.0
	s_delay_alu instid0(VALU_DEP_1) | instskip(NEXT) | instid1(VALU_DEP_1)
	v_mul_f64 v[222:223], v[220:221], v[218:219]
	v_fma_f64 v[216:217], -v[216:217], v[222:223], v[220:221]
	s_delay_alu instid0(VALU_DEP_1) | instskip(NEXT) | instid1(VALU_DEP_1)
	v_div_fmas_f64 v[216:217], v[216:217], v[218:219], v[222:223]
	v_div_fixup_f64 v[242:243], v[216:217], v[214:215], 1.0
	s_delay_alu instid0(VALU_DEP_1)
	v_mul_f64 v[240:241], v[212:213], v[242:243]
	v_xor_b32_e32 v243, 0x80000000, v243
.LBB118_910:
	s_and_not1_saveexec_b32 s3, s3
	s_cbranch_execz .LBB118_912
; %bb.911:
	s_delay_alu instid0(VALU_DEP_1) | instskip(SKIP_1) | instid1(VALU_DEP_2)
	v_div_scale_f64 v[212:213], null, v[240:241], v[240:241], v[242:243]
	v_div_scale_f64 v[218:219], vcc_lo, v[242:243], v[240:241], v[242:243]
	v_rcp_f64_e32 v[214:215], v[212:213]
	s_waitcnt_depctr 0xfff
	v_fma_f64 v[216:217], -v[212:213], v[214:215], 1.0
	s_delay_alu instid0(VALU_DEP_1) | instskip(NEXT) | instid1(VALU_DEP_1)
	v_fma_f64 v[214:215], v[214:215], v[216:217], v[214:215]
	v_fma_f64 v[216:217], -v[212:213], v[214:215], 1.0
	s_delay_alu instid0(VALU_DEP_1) | instskip(NEXT) | instid1(VALU_DEP_1)
	v_fma_f64 v[214:215], v[214:215], v[216:217], v[214:215]
	v_mul_f64 v[216:217], v[218:219], v[214:215]
	s_delay_alu instid0(VALU_DEP_1) | instskip(NEXT) | instid1(VALU_DEP_1)
	v_fma_f64 v[212:213], -v[212:213], v[216:217], v[218:219]
	v_div_fmas_f64 v[212:213], v[212:213], v[214:215], v[216:217]
	s_delay_alu instid0(VALU_DEP_1) | instskip(NEXT) | instid1(VALU_DEP_1)
	v_div_fixup_f64 v[212:213], v[212:213], v[240:241], v[242:243]
	v_fma_f64 v[214:215], v[242:243], v[212:213], v[240:241]
	s_delay_alu instid0(VALU_DEP_1) | instskip(NEXT) | instid1(VALU_DEP_1)
	v_div_scale_f64 v[216:217], null, v[214:215], v[214:215], 1.0
	v_rcp_f64_e32 v[218:219], v[216:217]
	s_waitcnt_depctr 0xfff
	v_fma_f64 v[220:221], -v[216:217], v[218:219], 1.0
	s_delay_alu instid0(VALU_DEP_1) | instskip(NEXT) | instid1(VALU_DEP_1)
	v_fma_f64 v[218:219], v[218:219], v[220:221], v[218:219]
	v_fma_f64 v[220:221], -v[216:217], v[218:219], 1.0
	s_delay_alu instid0(VALU_DEP_1) | instskip(SKIP_1) | instid1(VALU_DEP_1)
	v_fma_f64 v[218:219], v[218:219], v[220:221], v[218:219]
	v_div_scale_f64 v[220:221], vcc_lo, 1.0, v[214:215], 1.0
	v_mul_f64 v[222:223], v[220:221], v[218:219]
	s_delay_alu instid0(VALU_DEP_1) | instskip(NEXT) | instid1(VALU_DEP_1)
	v_fma_f64 v[216:217], -v[216:217], v[222:223], v[220:221]
	v_div_fmas_f64 v[216:217], v[216:217], v[218:219], v[222:223]
	s_delay_alu instid0(VALU_DEP_1) | instskip(NEXT) | instid1(VALU_DEP_1)
	v_div_fixup_f64 v[240:241], v[216:217], v[214:215], 1.0
	v_mul_f64 v[242:243], v[212:213], -v[240:241]
.LBB118_912:
	s_or_b32 exec_lo, exec_lo, s3
.LBB118_913:
	s_delay_alu instid0(SALU_CYCLE_1) | instskip(NEXT) | instid1(SALU_CYCLE_1)
	s_or_b32 exec_lo, exec_lo, s2
	s_mov_b32 s2, exec_lo
	v_cmpx_ne_u32_e64 v255, v248
	s_xor_b32 s2, exec_lo, s2
	s_cbranch_execz .LBB118_919
; %bb.914:
	s_mov_b32 s3, exec_lo
	v_cmpx_eq_u32_e32 43, v255
	s_cbranch_execz .LBB118_918
; %bb.915:
	v_cmp_ne_u32_e32 vcc_lo, 43, v248
	s_xor_b32 s4, s5, -1
	s_delay_alu instid0(SALU_CYCLE_1) | instskip(NEXT) | instid1(SALU_CYCLE_1)
	s_and_b32 s6, s4, vcc_lo
	s_and_saveexec_b32 s4, s6
	s_cbranch_execz .LBB118_917
; %bb.916:
	scratch_load_b64 v[208:209], off, off offset:16 ; 8-byte Folded Reload
	v_ashrrev_i32_e32 v249, 31, v248
	s_delay_alu instid0(VALU_DEP_1) | instskip(SKIP_1) | instid1(VALU_DEP_1)
	v_lshlrev_b64 v[212:213], 2, v[248:249]
	s_waitcnt vmcnt(0)
	v_add_co_u32 v212, vcc_lo, v208, v212
	s_delay_alu instid0(VALU_DEP_2)
	v_add_co_ci_u32_e32 v213, vcc_lo, v209, v213, vcc_lo
	s_clause 0x1
	flat_load_b32 v214, v[212:213]
	flat_load_b32 v215, v[208:209] offset:172
	s_waitcnt vmcnt(1) lgkmcnt(1)
	flat_store_b32 v[208:209], v214 offset:172
	s_waitcnt vmcnt(0) lgkmcnt(1)
	flat_store_b32 v[212:213], v215
.LBB118_917:
	s_or_b32 exec_lo, exec_lo, s4
	v_mov_b32_e32 v255, v248
	v_mov_b32_e32 v244, v248
.LBB118_918:
	s_or_b32 exec_lo, exec_lo, s3
.LBB118_919:
	s_and_not1_saveexec_b32 s2, s2
	s_cbranch_execz .LBB118_921
; %bb.920:
	v_mov_b32_e32 v255, 43
	ds_store_2addr_b64 v250, v[60:61], v[62:63] offset0:88 offset1:89
	ds_store_2addr_b64 v250, v[56:57], v[58:59] offset0:90 offset1:91
	;; [unrolled: 1-line block ×16, first 2 shown]
.LBB118_921:
	s_or_b32 exec_lo, exec_lo, s2
	s_delay_alu instid0(SALU_CYCLE_1)
	s_mov_b32 s2, exec_lo
	s_waitcnt lgkmcnt(0)
	s_waitcnt_vscnt null, 0x0
	s_barrier
	buffer_gl0_inv
	v_cmpx_lt_i32_e32 43, v255
	s_cbranch_execz .LBB118_923
; %bb.922:
	v_mul_f64 v[212:213], v[240:241], v[66:67]
	v_mul_f64 v[66:67], v[242:243], v[66:67]
	ds_load_2addr_b64 v[232:235], v250 offset0:88 offset1:89
	v_fma_f64 v[248:249], v[242:243], v[64:65], v[212:213]
	v_fma_f64 v[64:65], v[240:241], v[64:65], -v[66:67]
	s_waitcnt lgkmcnt(0)
	s_delay_alu instid0(VALU_DEP_2) | instskip(SKIP_1) | instid1(VALU_DEP_2)
	v_mul_f64 v[66:67], v[234:235], v[248:249]
	v_mul_f64 v[212:213], v[232:233], v[248:249]
	v_fma_f64 v[66:67], v[232:233], v[64:65], -v[66:67]
	s_delay_alu instid0(VALU_DEP_2)
	v_fma_f64 v[212:213], v[234:235], v[64:65], v[212:213]
	ds_load_2addr_b64 v[232:235], v250 offset0:90 offset1:91
	v_add_f64 v[60:61], v[60:61], -v[66:67]
	v_add_f64 v[62:63], v[62:63], -v[212:213]
	s_waitcnt lgkmcnt(0)
	v_mul_f64 v[66:67], v[234:235], v[248:249]
	v_mul_f64 v[212:213], v[232:233], v[248:249]
	s_delay_alu instid0(VALU_DEP_2) | instskip(NEXT) | instid1(VALU_DEP_2)
	v_fma_f64 v[66:67], v[232:233], v[64:65], -v[66:67]
	v_fma_f64 v[212:213], v[234:235], v[64:65], v[212:213]
	ds_load_2addr_b64 v[232:235], v250 offset0:92 offset1:93
	v_add_f64 v[56:57], v[56:57], -v[66:67]
	v_add_f64 v[58:59], v[58:59], -v[212:213]
	s_waitcnt lgkmcnt(0)
	v_mul_f64 v[66:67], v[234:235], v[248:249]
	v_mul_f64 v[212:213], v[232:233], v[248:249]
	s_delay_alu instid0(VALU_DEP_2) | instskip(NEXT) | instid1(VALU_DEP_2)
	v_fma_f64 v[66:67], v[232:233], v[64:65], -v[66:67]
	;; [unrolled: 9-line block ×15, first 2 shown]
	v_fma_f64 v[212:213], v[234:235], v[64:65], v[212:213]
	s_delay_alu instid0(VALU_DEP_2) | instskip(NEXT) | instid1(VALU_DEP_2)
	v_add_f64 v[228:229], v[228:229], -v[66:67]
	v_add_f64 v[230:231], v[230:231], -v[212:213]
	v_dual_mov_b32 v66, v248 :: v_dual_mov_b32 v67, v249
.LBB118_923:
	s_or_b32 exec_lo, exec_lo, s2
	v_lshl_add_u32 v212, v255, 4, v250
	s_barrier
	buffer_gl0_inv
	v_mov_b32_e32 v248, 44
	ds_store_2addr_b64 v212, v[60:61], v[62:63] offset1:1
	s_waitcnt lgkmcnt(0)
	s_barrier
	buffer_gl0_inv
	ds_load_2addr_b64 v[240:243], v250 offset0:88 offset1:89
	s_cmp_lt_i32 s12, 46
	s_cbranch_scc1 .LBB118_926
; %bb.924:
	v_add3_u32 v245, v254, 0, 0x2d0
	v_mov_b32_e32 v248, 44
	s_mov_b32 s2, 45
	s_set_inst_prefetch_distance 0x1
	.p2align	6
.LBB118_925:                            ; =>This Inner Loop Header: Depth=1
	s_waitcnt lgkmcnt(0)
	v_cmp_gt_f64_e32 vcc_lo, 0, v[240:241]
	v_xor_b32_e32 v212, 0x80000000, v241
	v_xor_b32_e32 v214, 0x80000000, v243
	ds_load_2addr_b64 v[232:235], v245 offset1:1
	v_add_nc_u32_e32 v245, 16, v245
	s_waitcnt lgkmcnt(0)
	v_xor_b32_e32 v216, 0x80000000, v235
	v_cndmask_b32_e32 v213, v241, v212, vcc_lo
	v_cndmask_b32_e32 v212, v240, v240, vcc_lo
	v_cmp_gt_f64_e32 vcc_lo, 0, v[242:243]
	v_cndmask_b32_e32 v215, v243, v214, vcc_lo
	v_cndmask_b32_e32 v214, v242, v242, vcc_lo
	v_cmp_gt_f64_e32 vcc_lo, 0, v[232:233]
	s_delay_alu instid0(VALU_DEP_2) | instskip(SKIP_1) | instid1(VALU_DEP_1)
	v_add_f64 v[212:213], v[212:213], v[214:215]
	v_xor_b32_e32 v214, 0x80000000, v233
	v_dual_cndmask_b32 v215, v233, v214 :: v_dual_mov_b32 v214, v232
	v_cmp_gt_f64_e32 vcc_lo, 0, v[234:235]
	v_dual_cndmask_b32 v217, v235, v216 :: v_dual_mov_b32 v216, v234
	s_delay_alu instid0(VALU_DEP_1) | instskip(NEXT) | instid1(VALU_DEP_1)
	v_add_f64 v[214:215], v[214:215], v[216:217]
	v_cmp_lt_f64_e32 vcc_lo, v[212:213], v[214:215]
	v_dual_cndmask_b32 v241, v241, v233 :: v_dual_cndmask_b32 v240, v240, v232
	v_dual_cndmask_b32 v243, v243, v235 :: v_dual_cndmask_b32 v242, v242, v234
	v_cndmask_b32_e64 v248, v248, s2, vcc_lo
	s_add_i32 s2, s2, 1
	s_delay_alu instid0(SALU_CYCLE_1)
	s_cmp_lg_u32 s12, s2
	s_cbranch_scc1 .LBB118_925
.LBB118_926:
	s_set_inst_prefetch_distance 0x2
	s_waitcnt lgkmcnt(0)
	v_cmp_eq_f64_e32 vcc_lo, 0, v[240:241]
	v_cmp_eq_f64_e64 s2, 0, v[242:243]
	s_delay_alu instid0(VALU_DEP_1) | instskip(NEXT) | instid1(SALU_CYCLE_1)
	s_and_b32 s2, vcc_lo, s2
	s_and_saveexec_b32 s3, s2
	s_delay_alu instid0(SALU_CYCLE_1)
	s_xor_b32 s2, exec_lo, s3
; %bb.927:
	v_cmp_ne_u32_e32 vcc_lo, 0, v253
	v_cndmask_b32_e32 v253, 45, v253, vcc_lo
; %bb.928:
	s_and_not1_saveexec_b32 s2, s2
	s_cbranch_execz .LBB118_934
; %bb.929:
	v_cmp_gt_f64_e32 vcc_lo, 0, v[240:241]
	v_xor_b32_e32 v212, 0x80000000, v241
	v_xor_b32_e32 v214, 0x80000000, v243
	s_mov_b32 s3, exec_lo
	s_delay_alu instid0(VALU_DEP_2) | instskip(SKIP_4) | instid1(VALU_DEP_1)
	v_cndmask_b32_e32 v213, v241, v212, vcc_lo
	v_cndmask_b32_e32 v212, v240, v240, vcc_lo
	v_cmp_gt_f64_e32 vcc_lo, 0, v[242:243]
	v_cndmask_b32_e32 v215, v243, v214, vcc_lo
	v_cndmask_b32_e32 v214, v242, v242, vcc_lo
	v_cmpx_ngt_f64_e32 v[212:213], v[214:215]
	s_xor_b32 s3, exec_lo, s3
	s_cbranch_execz .LBB118_931
; %bb.930:
	v_div_scale_f64 v[212:213], null, v[242:243], v[242:243], v[240:241]
	v_div_scale_f64 v[218:219], vcc_lo, v[240:241], v[242:243], v[240:241]
	s_delay_alu instid0(VALU_DEP_2) | instskip(SKIP_2) | instid1(VALU_DEP_1)
	v_rcp_f64_e32 v[214:215], v[212:213]
	s_waitcnt_depctr 0xfff
	v_fma_f64 v[216:217], -v[212:213], v[214:215], 1.0
	v_fma_f64 v[214:215], v[214:215], v[216:217], v[214:215]
	s_delay_alu instid0(VALU_DEP_1) | instskip(NEXT) | instid1(VALU_DEP_1)
	v_fma_f64 v[216:217], -v[212:213], v[214:215], 1.0
	v_fma_f64 v[214:215], v[214:215], v[216:217], v[214:215]
	s_delay_alu instid0(VALU_DEP_1) | instskip(NEXT) | instid1(VALU_DEP_1)
	v_mul_f64 v[216:217], v[218:219], v[214:215]
	v_fma_f64 v[212:213], -v[212:213], v[216:217], v[218:219]
	s_delay_alu instid0(VALU_DEP_1) | instskip(NEXT) | instid1(VALU_DEP_1)
	v_div_fmas_f64 v[212:213], v[212:213], v[214:215], v[216:217]
	v_div_fixup_f64 v[212:213], v[212:213], v[242:243], v[240:241]
	s_delay_alu instid0(VALU_DEP_1) | instskip(NEXT) | instid1(VALU_DEP_1)
	v_fma_f64 v[214:215], v[240:241], v[212:213], v[242:243]
	v_div_scale_f64 v[216:217], null, v[214:215], v[214:215], 1.0
	s_delay_alu instid0(VALU_DEP_1) | instskip(SKIP_2) | instid1(VALU_DEP_1)
	v_rcp_f64_e32 v[218:219], v[216:217]
	s_waitcnt_depctr 0xfff
	v_fma_f64 v[220:221], -v[216:217], v[218:219], 1.0
	v_fma_f64 v[218:219], v[218:219], v[220:221], v[218:219]
	s_delay_alu instid0(VALU_DEP_1) | instskip(NEXT) | instid1(VALU_DEP_1)
	v_fma_f64 v[220:221], -v[216:217], v[218:219], 1.0
	v_fma_f64 v[218:219], v[218:219], v[220:221], v[218:219]
	v_div_scale_f64 v[220:221], vcc_lo, 1.0, v[214:215], 1.0
	s_delay_alu instid0(VALU_DEP_1) | instskip(NEXT) | instid1(VALU_DEP_1)
	v_mul_f64 v[222:223], v[220:221], v[218:219]
	v_fma_f64 v[216:217], -v[216:217], v[222:223], v[220:221]
	s_delay_alu instid0(VALU_DEP_1) | instskip(NEXT) | instid1(VALU_DEP_1)
	v_div_fmas_f64 v[216:217], v[216:217], v[218:219], v[222:223]
	v_div_fixup_f64 v[242:243], v[216:217], v[214:215], 1.0
	s_delay_alu instid0(VALU_DEP_1)
	v_mul_f64 v[240:241], v[212:213], v[242:243]
	v_xor_b32_e32 v243, 0x80000000, v243
.LBB118_931:
	s_and_not1_saveexec_b32 s3, s3
	s_cbranch_execz .LBB118_933
; %bb.932:
	s_delay_alu instid0(VALU_DEP_1) | instskip(SKIP_1) | instid1(VALU_DEP_2)
	v_div_scale_f64 v[212:213], null, v[240:241], v[240:241], v[242:243]
	v_div_scale_f64 v[218:219], vcc_lo, v[242:243], v[240:241], v[242:243]
	v_rcp_f64_e32 v[214:215], v[212:213]
	s_waitcnt_depctr 0xfff
	v_fma_f64 v[216:217], -v[212:213], v[214:215], 1.0
	s_delay_alu instid0(VALU_DEP_1) | instskip(NEXT) | instid1(VALU_DEP_1)
	v_fma_f64 v[214:215], v[214:215], v[216:217], v[214:215]
	v_fma_f64 v[216:217], -v[212:213], v[214:215], 1.0
	s_delay_alu instid0(VALU_DEP_1) | instskip(NEXT) | instid1(VALU_DEP_1)
	v_fma_f64 v[214:215], v[214:215], v[216:217], v[214:215]
	v_mul_f64 v[216:217], v[218:219], v[214:215]
	s_delay_alu instid0(VALU_DEP_1) | instskip(NEXT) | instid1(VALU_DEP_1)
	v_fma_f64 v[212:213], -v[212:213], v[216:217], v[218:219]
	v_div_fmas_f64 v[212:213], v[212:213], v[214:215], v[216:217]
	s_delay_alu instid0(VALU_DEP_1) | instskip(NEXT) | instid1(VALU_DEP_1)
	v_div_fixup_f64 v[212:213], v[212:213], v[240:241], v[242:243]
	v_fma_f64 v[214:215], v[242:243], v[212:213], v[240:241]
	s_delay_alu instid0(VALU_DEP_1) | instskip(NEXT) | instid1(VALU_DEP_1)
	v_div_scale_f64 v[216:217], null, v[214:215], v[214:215], 1.0
	v_rcp_f64_e32 v[218:219], v[216:217]
	s_waitcnt_depctr 0xfff
	v_fma_f64 v[220:221], -v[216:217], v[218:219], 1.0
	s_delay_alu instid0(VALU_DEP_1) | instskip(NEXT) | instid1(VALU_DEP_1)
	v_fma_f64 v[218:219], v[218:219], v[220:221], v[218:219]
	v_fma_f64 v[220:221], -v[216:217], v[218:219], 1.0
	s_delay_alu instid0(VALU_DEP_1) | instskip(SKIP_1) | instid1(VALU_DEP_1)
	v_fma_f64 v[218:219], v[218:219], v[220:221], v[218:219]
	v_div_scale_f64 v[220:221], vcc_lo, 1.0, v[214:215], 1.0
	v_mul_f64 v[222:223], v[220:221], v[218:219]
	s_delay_alu instid0(VALU_DEP_1) | instskip(NEXT) | instid1(VALU_DEP_1)
	v_fma_f64 v[216:217], -v[216:217], v[222:223], v[220:221]
	v_div_fmas_f64 v[216:217], v[216:217], v[218:219], v[222:223]
	s_delay_alu instid0(VALU_DEP_1) | instskip(NEXT) | instid1(VALU_DEP_1)
	v_div_fixup_f64 v[240:241], v[216:217], v[214:215], 1.0
	v_mul_f64 v[242:243], v[212:213], -v[240:241]
.LBB118_933:
	s_or_b32 exec_lo, exec_lo, s3
.LBB118_934:
	s_delay_alu instid0(SALU_CYCLE_1) | instskip(NEXT) | instid1(SALU_CYCLE_1)
	s_or_b32 exec_lo, exec_lo, s2
	s_mov_b32 s2, exec_lo
	v_cmpx_ne_u32_e64 v255, v248
	s_xor_b32 s2, exec_lo, s2
	s_cbranch_execz .LBB118_940
; %bb.935:
	s_mov_b32 s3, exec_lo
	v_cmpx_eq_u32_e32 44, v255
	s_cbranch_execz .LBB118_939
; %bb.936:
	v_cmp_ne_u32_e32 vcc_lo, 44, v248
	s_xor_b32 s4, s5, -1
	s_delay_alu instid0(SALU_CYCLE_1) | instskip(NEXT) | instid1(SALU_CYCLE_1)
	s_and_b32 s6, s4, vcc_lo
	s_and_saveexec_b32 s4, s6
	s_cbranch_execz .LBB118_938
; %bb.937:
	scratch_load_b64 v[208:209], off, off offset:16 ; 8-byte Folded Reload
	v_ashrrev_i32_e32 v249, 31, v248
	s_delay_alu instid0(VALU_DEP_1) | instskip(SKIP_1) | instid1(VALU_DEP_1)
	v_lshlrev_b64 v[212:213], 2, v[248:249]
	s_waitcnt vmcnt(0)
	v_add_co_u32 v212, vcc_lo, v208, v212
	s_delay_alu instid0(VALU_DEP_2)
	v_add_co_ci_u32_e32 v213, vcc_lo, v209, v213, vcc_lo
	s_clause 0x1
	flat_load_b32 v214, v[212:213]
	flat_load_b32 v215, v[208:209] offset:176
	s_waitcnt vmcnt(1) lgkmcnt(1)
	flat_store_b32 v[208:209], v214 offset:176
	s_waitcnt vmcnt(0) lgkmcnt(1)
	flat_store_b32 v[212:213], v215
.LBB118_938:
	s_or_b32 exec_lo, exec_lo, s4
	v_mov_b32_e32 v255, v248
	v_mov_b32_e32 v244, v248
.LBB118_939:
	s_or_b32 exec_lo, exec_lo, s3
.LBB118_940:
	s_and_not1_saveexec_b32 s2, s2
	s_cbranch_execz .LBB118_942
; %bb.941:
	v_mov_b32_e32 v255, 44
	ds_store_2addr_b64 v250, v[56:57], v[58:59] offset0:90 offset1:91
	ds_store_2addr_b64 v250, v[52:53], v[54:55] offset0:92 offset1:93
	;; [unrolled: 1-line block ×15, first 2 shown]
.LBB118_942:
	s_or_b32 exec_lo, exec_lo, s2
	s_delay_alu instid0(SALU_CYCLE_1)
	s_mov_b32 s2, exec_lo
	s_waitcnt lgkmcnt(0)
	s_waitcnt_vscnt null, 0x0
	s_barrier
	buffer_gl0_inv
	v_cmpx_lt_i32_e32 44, v255
	s_cbranch_execz .LBB118_944
; %bb.943:
	v_mul_f64 v[212:213], v[240:241], v[62:63]
	v_mul_f64 v[62:63], v[242:243], v[62:63]
	ds_load_2addr_b64 v[232:235], v250 offset0:90 offset1:91
	v_fma_f64 v[248:249], v[242:243], v[60:61], v[212:213]
	v_fma_f64 v[60:61], v[240:241], v[60:61], -v[62:63]
	s_waitcnt lgkmcnt(0)
	s_delay_alu instid0(VALU_DEP_2) | instskip(SKIP_1) | instid1(VALU_DEP_2)
	v_mul_f64 v[62:63], v[234:235], v[248:249]
	v_mul_f64 v[212:213], v[232:233], v[248:249]
	v_fma_f64 v[62:63], v[232:233], v[60:61], -v[62:63]
	s_delay_alu instid0(VALU_DEP_2)
	v_fma_f64 v[212:213], v[234:235], v[60:61], v[212:213]
	ds_load_2addr_b64 v[232:235], v250 offset0:92 offset1:93
	v_add_f64 v[56:57], v[56:57], -v[62:63]
	v_add_f64 v[58:59], v[58:59], -v[212:213]
	s_waitcnt lgkmcnt(0)
	v_mul_f64 v[62:63], v[234:235], v[248:249]
	v_mul_f64 v[212:213], v[232:233], v[248:249]
	s_delay_alu instid0(VALU_DEP_2) | instskip(NEXT) | instid1(VALU_DEP_2)
	v_fma_f64 v[62:63], v[232:233], v[60:61], -v[62:63]
	v_fma_f64 v[212:213], v[234:235], v[60:61], v[212:213]
	ds_load_2addr_b64 v[232:235], v250 offset0:94 offset1:95
	v_add_f64 v[52:53], v[52:53], -v[62:63]
	v_add_f64 v[54:55], v[54:55], -v[212:213]
	s_waitcnt lgkmcnt(0)
	v_mul_f64 v[62:63], v[234:235], v[248:249]
	v_mul_f64 v[212:213], v[232:233], v[248:249]
	s_delay_alu instid0(VALU_DEP_2) | instskip(NEXT) | instid1(VALU_DEP_2)
	v_fma_f64 v[62:63], v[232:233], v[60:61], -v[62:63]
	;; [unrolled: 9-line block ×14, first 2 shown]
	v_fma_f64 v[212:213], v[234:235], v[60:61], v[212:213]
	s_delay_alu instid0(VALU_DEP_2) | instskip(NEXT) | instid1(VALU_DEP_2)
	v_add_f64 v[228:229], v[228:229], -v[62:63]
	v_add_f64 v[230:231], v[230:231], -v[212:213]
	v_dual_mov_b32 v62, v248 :: v_dual_mov_b32 v63, v249
.LBB118_944:
	s_or_b32 exec_lo, exec_lo, s2
	v_lshl_add_u32 v212, v255, 4, v250
	s_barrier
	buffer_gl0_inv
	v_mov_b32_e32 v248, 45
	ds_store_2addr_b64 v212, v[56:57], v[58:59] offset1:1
	s_waitcnt lgkmcnt(0)
	s_barrier
	buffer_gl0_inv
	ds_load_2addr_b64 v[240:243], v250 offset0:90 offset1:91
	s_cmp_lt_i32 s12, 47
	s_cbranch_scc1 .LBB118_947
; %bb.945:
	v_add3_u32 v245, v254, 0, 0x2e0
	v_mov_b32_e32 v248, 45
	s_mov_b32 s2, 46
	s_set_inst_prefetch_distance 0x1
	.p2align	6
.LBB118_946:                            ; =>This Inner Loop Header: Depth=1
	s_waitcnt lgkmcnt(0)
	v_cmp_gt_f64_e32 vcc_lo, 0, v[240:241]
	v_xor_b32_e32 v212, 0x80000000, v241
	v_xor_b32_e32 v214, 0x80000000, v243
	ds_load_2addr_b64 v[232:235], v245 offset1:1
	v_add_nc_u32_e32 v245, 16, v245
	s_waitcnt lgkmcnt(0)
	v_xor_b32_e32 v216, 0x80000000, v235
	v_cndmask_b32_e32 v213, v241, v212, vcc_lo
	v_cndmask_b32_e32 v212, v240, v240, vcc_lo
	v_cmp_gt_f64_e32 vcc_lo, 0, v[242:243]
	v_cndmask_b32_e32 v215, v243, v214, vcc_lo
	v_cndmask_b32_e32 v214, v242, v242, vcc_lo
	v_cmp_gt_f64_e32 vcc_lo, 0, v[232:233]
	s_delay_alu instid0(VALU_DEP_2) | instskip(SKIP_1) | instid1(VALU_DEP_1)
	v_add_f64 v[212:213], v[212:213], v[214:215]
	v_xor_b32_e32 v214, 0x80000000, v233
	v_dual_cndmask_b32 v215, v233, v214 :: v_dual_mov_b32 v214, v232
	v_cmp_gt_f64_e32 vcc_lo, 0, v[234:235]
	v_dual_cndmask_b32 v217, v235, v216 :: v_dual_mov_b32 v216, v234
	s_delay_alu instid0(VALU_DEP_1) | instskip(NEXT) | instid1(VALU_DEP_1)
	v_add_f64 v[214:215], v[214:215], v[216:217]
	v_cmp_lt_f64_e32 vcc_lo, v[212:213], v[214:215]
	v_dual_cndmask_b32 v241, v241, v233 :: v_dual_cndmask_b32 v240, v240, v232
	v_dual_cndmask_b32 v243, v243, v235 :: v_dual_cndmask_b32 v242, v242, v234
	v_cndmask_b32_e64 v248, v248, s2, vcc_lo
	s_add_i32 s2, s2, 1
	s_delay_alu instid0(SALU_CYCLE_1)
	s_cmp_lg_u32 s12, s2
	s_cbranch_scc1 .LBB118_946
.LBB118_947:
	s_set_inst_prefetch_distance 0x2
	s_waitcnt lgkmcnt(0)
	v_cmp_eq_f64_e32 vcc_lo, 0, v[240:241]
	v_cmp_eq_f64_e64 s2, 0, v[242:243]
	s_delay_alu instid0(VALU_DEP_1) | instskip(NEXT) | instid1(SALU_CYCLE_1)
	s_and_b32 s2, vcc_lo, s2
	s_and_saveexec_b32 s3, s2
	s_delay_alu instid0(SALU_CYCLE_1)
	s_xor_b32 s2, exec_lo, s3
; %bb.948:
	v_cmp_ne_u32_e32 vcc_lo, 0, v253
	v_cndmask_b32_e32 v253, 46, v253, vcc_lo
; %bb.949:
	s_and_not1_saveexec_b32 s2, s2
	s_cbranch_execz .LBB118_955
; %bb.950:
	v_cmp_gt_f64_e32 vcc_lo, 0, v[240:241]
	v_xor_b32_e32 v212, 0x80000000, v241
	v_xor_b32_e32 v214, 0x80000000, v243
	s_mov_b32 s3, exec_lo
	s_delay_alu instid0(VALU_DEP_2) | instskip(SKIP_4) | instid1(VALU_DEP_1)
	v_cndmask_b32_e32 v213, v241, v212, vcc_lo
	v_cndmask_b32_e32 v212, v240, v240, vcc_lo
	v_cmp_gt_f64_e32 vcc_lo, 0, v[242:243]
	v_cndmask_b32_e32 v215, v243, v214, vcc_lo
	v_cndmask_b32_e32 v214, v242, v242, vcc_lo
	v_cmpx_ngt_f64_e32 v[212:213], v[214:215]
	s_xor_b32 s3, exec_lo, s3
	s_cbranch_execz .LBB118_952
; %bb.951:
	v_div_scale_f64 v[212:213], null, v[242:243], v[242:243], v[240:241]
	v_div_scale_f64 v[218:219], vcc_lo, v[240:241], v[242:243], v[240:241]
	s_delay_alu instid0(VALU_DEP_2) | instskip(SKIP_2) | instid1(VALU_DEP_1)
	v_rcp_f64_e32 v[214:215], v[212:213]
	s_waitcnt_depctr 0xfff
	v_fma_f64 v[216:217], -v[212:213], v[214:215], 1.0
	v_fma_f64 v[214:215], v[214:215], v[216:217], v[214:215]
	s_delay_alu instid0(VALU_DEP_1) | instskip(NEXT) | instid1(VALU_DEP_1)
	v_fma_f64 v[216:217], -v[212:213], v[214:215], 1.0
	v_fma_f64 v[214:215], v[214:215], v[216:217], v[214:215]
	s_delay_alu instid0(VALU_DEP_1) | instskip(NEXT) | instid1(VALU_DEP_1)
	v_mul_f64 v[216:217], v[218:219], v[214:215]
	v_fma_f64 v[212:213], -v[212:213], v[216:217], v[218:219]
	s_delay_alu instid0(VALU_DEP_1) | instskip(NEXT) | instid1(VALU_DEP_1)
	v_div_fmas_f64 v[212:213], v[212:213], v[214:215], v[216:217]
	v_div_fixup_f64 v[212:213], v[212:213], v[242:243], v[240:241]
	s_delay_alu instid0(VALU_DEP_1) | instskip(NEXT) | instid1(VALU_DEP_1)
	v_fma_f64 v[214:215], v[240:241], v[212:213], v[242:243]
	v_div_scale_f64 v[216:217], null, v[214:215], v[214:215], 1.0
	s_delay_alu instid0(VALU_DEP_1) | instskip(SKIP_2) | instid1(VALU_DEP_1)
	v_rcp_f64_e32 v[218:219], v[216:217]
	s_waitcnt_depctr 0xfff
	v_fma_f64 v[220:221], -v[216:217], v[218:219], 1.0
	v_fma_f64 v[218:219], v[218:219], v[220:221], v[218:219]
	s_delay_alu instid0(VALU_DEP_1) | instskip(NEXT) | instid1(VALU_DEP_1)
	v_fma_f64 v[220:221], -v[216:217], v[218:219], 1.0
	v_fma_f64 v[218:219], v[218:219], v[220:221], v[218:219]
	v_div_scale_f64 v[220:221], vcc_lo, 1.0, v[214:215], 1.0
	s_delay_alu instid0(VALU_DEP_1) | instskip(NEXT) | instid1(VALU_DEP_1)
	v_mul_f64 v[222:223], v[220:221], v[218:219]
	v_fma_f64 v[216:217], -v[216:217], v[222:223], v[220:221]
	s_delay_alu instid0(VALU_DEP_1) | instskip(NEXT) | instid1(VALU_DEP_1)
	v_div_fmas_f64 v[216:217], v[216:217], v[218:219], v[222:223]
	v_div_fixup_f64 v[242:243], v[216:217], v[214:215], 1.0
	s_delay_alu instid0(VALU_DEP_1)
	v_mul_f64 v[240:241], v[212:213], v[242:243]
	v_xor_b32_e32 v243, 0x80000000, v243
.LBB118_952:
	s_and_not1_saveexec_b32 s3, s3
	s_cbranch_execz .LBB118_954
; %bb.953:
	s_delay_alu instid0(VALU_DEP_1) | instskip(SKIP_1) | instid1(VALU_DEP_2)
	v_div_scale_f64 v[212:213], null, v[240:241], v[240:241], v[242:243]
	v_div_scale_f64 v[218:219], vcc_lo, v[242:243], v[240:241], v[242:243]
	v_rcp_f64_e32 v[214:215], v[212:213]
	s_waitcnt_depctr 0xfff
	v_fma_f64 v[216:217], -v[212:213], v[214:215], 1.0
	s_delay_alu instid0(VALU_DEP_1) | instskip(NEXT) | instid1(VALU_DEP_1)
	v_fma_f64 v[214:215], v[214:215], v[216:217], v[214:215]
	v_fma_f64 v[216:217], -v[212:213], v[214:215], 1.0
	s_delay_alu instid0(VALU_DEP_1) | instskip(NEXT) | instid1(VALU_DEP_1)
	v_fma_f64 v[214:215], v[214:215], v[216:217], v[214:215]
	v_mul_f64 v[216:217], v[218:219], v[214:215]
	s_delay_alu instid0(VALU_DEP_1) | instskip(NEXT) | instid1(VALU_DEP_1)
	v_fma_f64 v[212:213], -v[212:213], v[216:217], v[218:219]
	v_div_fmas_f64 v[212:213], v[212:213], v[214:215], v[216:217]
	s_delay_alu instid0(VALU_DEP_1) | instskip(NEXT) | instid1(VALU_DEP_1)
	v_div_fixup_f64 v[212:213], v[212:213], v[240:241], v[242:243]
	v_fma_f64 v[214:215], v[242:243], v[212:213], v[240:241]
	s_delay_alu instid0(VALU_DEP_1) | instskip(NEXT) | instid1(VALU_DEP_1)
	v_div_scale_f64 v[216:217], null, v[214:215], v[214:215], 1.0
	v_rcp_f64_e32 v[218:219], v[216:217]
	s_waitcnt_depctr 0xfff
	v_fma_f64 v[220:221], -v[216:217], v[218:219], 1.0
	s_delay_alu instid0(VALU_DEP_1) | instskip(NEXT) | instid1(VALU_DEP_1)
	v_fma_f64 v[218:219], v[218:219], v[220:221], v[218:219]
	v_fma_f64 v[220:221], -v[216:217], v[218:219], 1.0
	s_delay_alu instid0(VALU_DEP_1) | instskip(SKIP_1) | instid1(VALU_DEP_1)
	v_fma_f64 v[218:219], v[218:219], v[220:221], v[218:219]
	v_div_scale_f64 v[220:221], vcc_lo, 1.0, v[214:215], 1.0
	v_mul_f64 v[222:223], v[220:221], v[218:219]
	s_delay_alu instid0(VALU_DEP_1) | instskip(NEXT) | instid1(VALU_DEP_1)
	v_fma_f64 v[216:217], -v[216:217], v[222:223], v[220:221]
	v_div_fmas_f64 v[216:217], v[216:217], v[218:219], v[222:223]
	s_delay_alu instid0(VALU_DEP_1) | instskip(NEXT) | instid1(VALU_DEP_1)
	v_div_fixup_f64 v[240:241], v[216:217], v[214:215], 1.0
	v_mul_f64 v[242:243], v[212:213], -v[240:241]
.LBB118_954:
	s_or_b32 exec_lo, exec_lo, s3
.LBB118_955:
	s_delay_alu instid0(SALU_CYCLE_1) | instskip(NEXT) | instid1(SALU_CYCLE_1)
	s_or_b32 exec_lo, exec_lo, s2
	s_mov_b32 s2, exec_lo
	v_cmpx_ne_u32_e64 v255, v248
	s_xor_b32 s2, exec_lo, s2
	s_cbranch_execz .LBB118_961
; %bb.956:
	s_mov_b32 s3, exec_lo
	v_cmpx_eq_u32_e32 45, v255
	s_cbranch_execz .LBB118_960
; %bb.957:
	v_cmp_ne_u32_e32 vcc_lo, 45, v248
	s_xor_b32 s4, s5, -1
	s_delay_alu instid0(SALU_CYCLE_1) | instskip(NEXT) | instid1(SALU_CYCLE_1)
	s_and_b32 s6, s4, vcc_lo
	s_and_saveexec_b32 s4, s6
	s_cbranch_execz .LBB118_959
; %bb.958:
	scratch_load_b64 v[208:209], off, off offset:16 ; 8-byte Folded Reload
	v_ashrrev_i32_e32 v249, 31, v248
	s_delay_alu instid0(VALU_DEP_1) | instskip(SKIP_1) | instid1(VALU_DEP_1)
	v_lshlrev_b64 v[212:213], 2, v[248:249]
	s_waitcnt vmcnt(0)
	v_add_co_u32 v212, vcc_lo, v208, v212
	s_delay_alu instid0(VALU_DEP_2)
	v_add_co_ci_u32_e32 v213, vcc_lo, v209, v213, vcc_lo
	s_clause 0x1
	flat_load_b32 v214, v[212:213]
	flat_load_b32 v215, v[208:209] offset:180
	s_waitcnt vmcnt(1) lgkmcnt(1)
	flat_store_b32 v[208:209], v214 offset:180
	s_waitcnt vmcnt(0) lgkmcnt(1)
	flat_store_b32 v[212:213], v215
.LBB118_959:
	s_or_b32 exec_lo, exec_lo, s4
	v_mov_b32_e32 v255, v248
	v_mov_b32_e32 v244, v248
.LBB118_960:
	s_or_b32 exec_lo, exec_lo, s3
.LBB118_961:
	s_and_not1_saveexec_b32 s2, s2
	s_cbranch_execz .LBB118_963
; %bb.962:
	v_mov_b32_e32 v255, 45
	ds_store_2addr_b64 v250, v[52:53], v[54:55] offset0:92 offset1:93
	ds_store_2addr_b64 v250, v[48:49], v[50:51] offset0:94 offset1:95
	;; [unrolled: 1-line block ×14, first 2 shown]
.LBB118_963:
	s_or_b32 exec_lo, exec_lo, s2
	s_delay_alu instid0(SALU_CYCLE_1)
	s_mov_b32 s2, exec_lo
	s_waitcnt lgkmcnt(0)
	s_waitcnt_vscnt null, 0x0
	s_barrier
	buffer_gl0_inv
	v_cmpx_lt_i32_e32 45, v255
	s_cbranch_execz .LBB118_965
; %bb.964:
	v_mul_f64 v[212:213], v[240:241], v[58:59]
	v_mul_f64 v[58:59], v[242:243], v[58:59]
	ds_load_2addr_b64 v[232:235], v250 offset0:92 offset1:93
	v_fma_f64 v[248:249], v[242:243], v[56:57], v[212:213]
	v_fma_f64 v[56:57], v[240:241], v[56:57], -v[58:59]
	s_waitcnt lgkmcnt(0)
	s_delay_alu instid0(VALU_DEP_2) | instskip(SKIP_1) | instid1(VALU_DEP_2)
	v_mul_f64 v[58:59], v[234:235], v[248:249]
	v_mul_f64 v[212:213], v[232:233], v[248:249]
	v_fma_f64 v[58:59], v[232:233], v[56:57], -v[58:59]
	s_delay_alu instid0(VALU_DEP_2)
	v_fma_f64 v[212:213], v[234:235], v[56:57], v[212:213]
	ds_load_2addr_b64 v[232:235], v250 offset0:94 offset1:95
	v_add_f64 v[52:53], v[52:53], -v[58:59]
	v_add_f64 v[54:55], v[54:55], -v[212:213]
	s_waitcnt lgkmcnt(0)
	v_mul_f64 v[58:59], v[234:235], v[248:249]
	v_mul_f64 v[212:213], v[232:233], v[248:249]
	s_delay_alu instid0(VALU_DEP_2) | instskip(NEXT) | instid1(VALU_DEP_2)
	v_fma_f64 v[58:59], v[232:233], v[56:57], -v[58:59]
	v_fma_f64 v[212:213], v[234:235], v[56:57], v[212:213]
	ds_load_2addr_b64 v[232:235], v250 offset0:96 offset1:97
	v_add_f64 v[48:49], v[48:49], -v[58:59]
	v_add_f64 v[50:51], v[50:51], -v[212:213]
	s_waitcnt lgkmcnt(0)
	v_mul_f64 v[58:59], v[234:235], v[248:249]
	v_mul_f64 v[212:213], v[232:233], v[248:249]
	s_delay_alu instid0(VALU_DEP_2) | instskip(NEXT) | instid1(VALU_DEP_2)
	v_fma_f64 v[58:59], v[232:233], v[56:57], -v[58:59]
	;; [unrolled: 9-line block ×13, first 2 shown]
	v_fma_f64 v[212:213], v[234:235], v[56:57], v[212:213]
	s_delay_alu instid0(VALU_DEP_2) | instskip(NEXT) | instid1(VALU_DEP_2)
	v_add_f64 v[228:229], v[228:229], -v[58:59]
	v_add_f64 v[230:231], v[230:231], -v[212:213]
	v_dual_mov_b32 v58, v248 :: v_dual_mov_b32 v59, v249
.LBB118_965:
	s_or_b32 exec_lo, exec_lo, s2
	v_lshl_add_u32 v212, v255, 4, v250
	s_barrier
	buffer_gl0_inv
	v_mov_b32_e32 v248, 46
	ds_store_2addr_b64 v212, v[52:53], v[54:55] offset1:1
	s_waitcnt lgkmcnt(0)
	s_barrier
	buffer_gl0_inv
	ds_load_2addr_b64 v[240:243], v250 offset0:92 offset1:93
	s_cmp_lt_i32 s12, 48
	s_cbranch_scc1 .LBB118_968
; %bb.966:
	v_add3_u32 v245, v254, 0, 0x2f0
	v_mov_b32_e32 v248, 46
	s_mov_b32 s2, 47
	s_set_inst_prefetch_distance 0x1
	.p2align	6
.LBB118_967:                            ; =>This Inner Loop Header: Depth=1
	s_waitcnt lgkmcnt(0)
	v_cmp_gt_f64_e32 vcc_lo, 0, v[240:241]
	v_xor_b32_e32 v212, 0x80000000, v241
	v_xor_b32_e32 v214, 0x80000000, v243
	ds_load_2addr_b64 v[232:235], v245 offset1:1
	v_add_nc_u32_e32 v245, 16, v245
	s_waitcnt lgkmcnt(0)
	v_xor_b32_e32 v216, 0x80000000, v235
	v_cndmask_b32_e32 v213, v241, v212, vcc_lo
	v_cndmask_b32_e32 v212, v240, v240, vcc_lo
	v_cmp_gt_f64_e32 vcc_lo, 0, v[242:243]
	v_cndmask_b32_e32 v215, v243, v214, vcc_lo
	v_cndmask_b32_e32 v214, v242, v242, vcc_lo
	v_cmp_gt_f64_e32 vcc_lo, 0, v[232:233]
	s_delay_alu instid0(VALU_DEP_2) | instskip(SKIP_1) | instid1(VALU_DEP_1)
	v_add_f64 v[212:213], v[212:213], v[214:215]
	v_xor_b32_e32 v214, 0x80000000, v233
	v_dual_cndmask_b32 v215, v233, v214 :: v_dual_mov_b32 v214, v232
	v_cmp_gt_f64_e32 vcc_lo, 0, v[234:235]
	v_dual_cndmask_b32 v217, v235, v216 :: v_dual_mov_b32 v216, v234
	s_delay_alu instid0(VALU_DEP_1) | instskip(NEXT) | instid1(VALU_DEP_1)
	v_add_f64 v[214:215], v[214:215], v[216:217]
	v_cmp_lt_f64_e32 vcc_lo, v[212:213], v[214:215]
	v_dual_cndmask_b32 v241, v241, v233 :: v_dual_cndmask_b32 v240, v240, v232
	v_dual_cndmask_b32 v243, v243, v235 :: v_dual_cndmask_b32 v242, v242, v234
	v_cndmask_b32_e64 v248, v248, s2, vcc_lo
	s_add_i32 s2, s2, 1
	s_delay_alu instid0(SALU_CYCLE_1)
	s_cmp_lg_u32 s12, s2
	s_cbranch_scc1 .LBB118_967
.LBB118_968:
	s_set_inst_prefetch_distance 0x2
	s_waitcnt lgkmcnt(0)
	v_cmp_eq_f64_e32 vcc_lo, 0, v[240:241]
	v_cmp_eq_f64_e64 s2, 0, v[242:243]
	s_delay_alu instid0(VALU_DEP_1) | instskip(NEXT) | instid1(SALU_CYCLE_1)
	s_and_b32 s2, vcc_lo, s2
	s_and_saveexec_b32 s3, s2
	s_delay_alu instid0(SALU_CYCLE_1)
	s_xor_b32 s2, exec_lo, s3
; %bb.969:
	v_cmp_ne_u32_e32 vcc_lo, 0, v253
	v_cndmask_b32_e32 v253, 47, v253, vcc_lo
; %bb.970:
	s_and_not1_saveexec_b32 s2, s2
	s_cbranch_execz .LBB118_976
; %bb.971:
	v_cmp_gt_f64_e32 vcc_lo, 0, v[240:241]
	v_xor_b32_e32 v212, 0x80000000, v241
	v_xor_b32_e32 v214, 0x80000000, v243
	s_mov_b32 s3, exec_lo
	s_delay_alu instid0(VALU_DEP_2) | instskip(SKIP_4) | instid1(VALU_DEP_1)
	v_cndmask_b32_e32 v213, v241, v212, vcc_lo
	v_cndmask_b32_e32 v212, v240, v240, vcc_lo
	v_cmp_gt_f64_e32 vcc_lo, 0, v[242:243]
	v_cndmask_b32_e32 v215, v243, v214, vcc_lo
	v_cndmask_b32_e32 v214, v242, v242, vcc_lo
	v_cmpx_ngt_f64_e32 v[212:213], v[214:215]
	s_xor_b32 s3, exec_lo, s3
	s_cbranch_execz .LBB118_973
; %bb.972:
	v_div_scale_f64 v[212:213], null, v[242:243], v[242:243], v[240:241]
	v_div_scale_f64 v[218:219], vcc_lo, v[240:241], v[242:243], v[240:241]
	s_delay_alu instid0(VALU_DEP_2) | instskip(SKIP_2) | instid1(VALU_DEP_1)
	v_rcp_f64_e32 v[214:215], v[212:213]
	s_waitcnt_depctr 0xfff
	v_fma_f64 v[216:217], -v[212:213], v[214:215], 1.0
	v_fma_f64 v[214:215], v[214:215], v[216:217], v[214:215]
	s_delay_alu instid0(VALU_DEP_1) | instskip(NEXT) | instid1(VALU_DEP_1)
	v_fma_f64 v[216:217], -v[212:213], v[214:215], 1.0
	v_fma_f64 v[214:215], v[214:215], v[216:217], v[214:215]
	s_delay_alu instid0(VALU_DEP_1) | instskip(NEXT) | instid1(VALU_DEP_1)
	v_mul_f64 v[216:217], v[218:219], v[214:215]
	v_fma_f64 v[212:213], -v[212:213], v[216:217], v[218:219]
	s_delay_alu instid0(VALU_DEP_1) | instskip(NEXT) | instid1(VALU_DEP_1)
	v_div_fmas_f64 v[212:213], v[212:213], v[214:215], v[216:217]
	v_div_fixup_f64 v[212:213], v[212:213], v[242:243], v[240:241]
	s_delay_alu instid0(VALU_DEP_1) | instskip(NEXT) | instid1(VALU_DEP_1)
	v_fma_f64 v[214:215], v[240:241], v[212:213], v[242:243]
	v_div_scale_f64 v[216:217], null, v[214:215], v[214:215], 1.0
	s_delay_alu instid0(VALU_DEP_1) | instskip(SKIP_2) | instid1(VALU_DEP_1)
	v_rcp_f64_e32 v[218:219], v[216:217]
	s_waitcnt_depctr 0xfff
	v_fma_f64 v[220:221], -v[216:217], v[218:219], 1.0
	v_fma_f64 v[218:219], v[218:219], v[220:221], v[218:219]
	s_delay_alu instid0(VALU_DEP_1) | instskip(NEXT) | instid1(VALU_DEP_1)
	v_fma_f64 v[220:221], -v[216:217], v[218:219], 1.0
	v_fma_f64 v[218:219], v[218:219], v[220:221], v[218:219]
	v_div_scale_f64 v[220:221], vcc_lo, 1.0, v[214:215], 1.0
	s_delay_alu instid0(VALU_DEP_1) | instskip(NEXT) | instid1(VALU_DEP_1)
	v_mul_f64 v[222:223], v[220:221], v[218:219]
	v_fma_f64 v[216:217], -v[216:217], v[222:223], v[220:221]
	s_delay_alu instid0(VALU_DEP_1) | instskip(NEXT) | instid1(VALU_DEP_1)
	v_div_fmas_f64 v[216:217], v[216:217], v[218:219], v[222:223]
	v_div_fixup_f64 v[242:243], v[216:217], v[214:215], 1.0
	s_delay_alu instid0(VALU_DEP_1)
	v_mul_f64 v[240:241], v[212:213], v[242:243]
	v_xor_b32_e32 v243, 0x80000000, v243
.LBB118_973:
	s_and_not1_saveexec_b32 s3, s3
	s_cbranch_execz .LBB118_975
; %bb.974:
	s_delay_alu instid0(VALU_DEP_1) | instskip(SKIP_1) | instid1(VALU_DEP_2)
	v_div_scale_f64 v[212:213], null, v[240:241], v[240:241], v[242:243]
	v_div_scale_f64 v[218:219], vcc_lo, v[242:243], v[240:241], v[242:243]
	v_rcp_f64_e32 v[214:215], v[212:213]
	s_waitcnt_depctr 0xfff
	v_fma_f64 v[216:217], -v[212:213], v[214:215], 1.0
	s_delay_alu instid0(VALU_DEP_1) | instskip(NEXT) | instid1(VALU_DEP_1)
	v_fma_f64 v[214:215], v[214:215], v[216:217], v[214:215]
	v_fma_f64 v[216:217], -v[212:213], v[214:215], 1.0
	s_delay_alu instid0(VALU_DEP_1) | instskip(NEXT) | instid1(VALU_DEP_1)
	v_fma_f64 v[214:215], v[214:215], v[216:217], v[214:215]
	v_mul_f64 v[216:217], v[218:219], v[214:215]
	s_delay_alu instid0(VALU_DEP_1) | instskip(NEXT) | instid1(VALU_DEP_1)
	v_fma_f64 v[212:213], -v[212:213], v[216:217], v[218:219]
	v_div_fmas_f64 v[212:213], v[212:213], v[214:215], v[216:217]
	s_delay_alu instid0(VALU_DEP_1) | instskip(NEXT) | instid1(VALU_DEP_1)
	v_div_fixup_f64 v[212:213], v[212:213], v[240:241], v[242:243]
	v_fma_f64 v[214:215], v[242:243], v[212:213], v[240:241]
	s_delay_alu instid0(VALU_DEP_1) | instskip(NEXT) | instid1(VALU_DEP_1)
	v_div_scale_f64 v[216:217], null, v[214:215], v[214:215], 1.0
	v_rcp_f64_e32 v[218:219], v[216:217]
	s_waitcnt_depctr 0xfff
	v_fma_f64 v[220:221], -v[216:217], v[218:219], 1.0
	s_delay_alu instid0(VALU_DEP_1) | instskip(NEXT) | instid1(VALU_DEP_1)
	v_fma_f64 v[218:219], v[218:219], v[220:221], v[218:219]
	v_fma_f64 v[220:221], -v[216:217], v[218:219], 1.0
	s_delay_alu instid0(VALU_DEP_1) | instskip(SKIP_1) | instid1(VALU_DEP_1)
	v_fma_f64 v[218:219], v[218:219], v[220:221], v[218:219]
	v_div_scale_f64 v[220:221], vcc_lo, 1.0, v[214:215], 1.0
	v_mul_f64 v[222:223], v[220:221], v[218:219]
	s_delay_alu instid0(VALU_DEP_1) | instskip(NEXT) | instid1(VALU_DEP_1)
	v_fma_f64 v[216:217], -v[216:217], v[222:223], v[220:221]
	v_div_fmas_f64 v[216:217], v[216:217], v[218:219], v[222:223]
	s_delay_alu instid0(VALU_DEP_1) | instskip(NEXT) | instid1(VALU_DEP_1)
	v_div_fixup_f64 v[240:241], v[216:217], v[214:215], 1.0
	v_mul_f64 v[242:243], v[212:213], -v[240:241]
.LBB118_975:
	s_or_b32 exec_lo, exec_lo, s3
.LBB118_976:
	s_delay_alu instid0(SALU_CYCLE_1) | instskip(NEXT) | instid1(SALU_CYCLE_1)
	s_or_b32 exec_lo, exec_lo, s2
	s_mov_b32 s2, exec_lo
	v_cmpx_ne_u32_e64 v255, v248
	s_xor_b32 s2, exec_lo, s2
	s_cbranch_execz .LBB118_982
; %bb.977:
	s_mov_b32 s3, exec_lo
	v_cmpx_eq_u32_e32 46, v255
	s_cbranch_execz .LBB118_981
; %bb.978:
	v_cmp_ne_u32_e32 vcc_lo, 46, v248
	s_xor_b32 s4, s5, -1
	s_delay_alu instid0(SALU_CYCLE_1) | instskip(NEXT) | instid1(SALU_CYCLE_1)
	s_and_b32 s6, s4, vcc_lo
	s_and_saveexec_b32 s4, s6
	s_cbranch_execz .LBB118_980
; %bb.979:
	scratch_load_b64 v[208:209], off, off offset:16 ; 8-byte Folded Reload
	v_ashrrev_i32_e32 v249, 31, v248
	s_delay_alu instid0(VALU_DEP_1) | instskip(SKIP_1) | instid1(VALU_DEP_1)
	v_lshlrev_b64 v[212:213], 2, v[248:249]
	s_waitcnt vmcnt(0)
	v_add_co_u32 v212, vcc_lo, v208, v212
	s_delay_alu instid0(VALU_DEP_2)
	v_add_co_ci_u32_e32 v213, vcc_lo, v209, v213, vcc_lo
	s_clause 0x1
	flat_load_b32 v214, v[212:213]
	flat_load_b32 v215, v[208:209] offset:184
	s_waitcnt vmcnt(1) lgkmcnt(1)
	flat_store_b32 v[208:209], v214 offset:184
	s_waitcnt vmcnt(0) lgkmcnt(1)
	flat_store_b32 v[212:213], v215
.LBB118_980:
	s_or_b32 exec_lo, exec_lo, s4
	v_mov_b32_e32 v255, v248
	v_mov_b32_e32 v244, v248
.LBB118_981:
	s_or_b32 exec_lo, exec_lo, s3
.LBB118_982:
	s_and_not1_saveexec_b32 s2, s2
	s_cbranch_execz .LBB118_984
; %bb.983:
	v_mov_b32_e32 v255, 46
	ds_store_2addr_b64 v250, v[48:49], v[50:51] offset0:94 offset1:95
	ds_store_2addr_b64 v250, v[44:45], v[46:47] offset0:96 offset1:97
	;; [unrolled: 1-line block ×13, first 2 shown]
.LBB118_984:
	s_or_b32 exec_lo, exec_lo, s2
	s_delay_alu instid0(SALU_CYCLE_1)
	s_mov_b32 s2, exec_lo
	s_waitcnt lgkmcnt(0)
	s_waitcnt_vscnt null, 0x0
	s_barrier
	buffer_gl0_inv
	v_cmpx_lt_i32_e32 46, v255
	s_cbranch_execz .LBB118_986
; %bb.985:
	v_mul_f64 v[212:213], v[240:241], v[54:55]
	v_mul_f64 v[54:55], v[242:243], v[54:55]
	ds_load_2addr_b64 v[232:235], v250 offset0:94 offset1:95
	v_fma_f64 v[248:249], v[242:243], v[52:53], v[212:213]
	v_fma_f64 v[52:53], v[240:241], v[52:53], -v[54:55]
	s_waitcnt lgkmcnt(0)
	s_delay_alu instid0(VALU_DEP_2) | instskip(SKIP_1) | instid1(VALU_DEP_2)
	v_mul_f64 v[54:55], v[234:235], v[248:249]
	v_mul_f64 v[212:213], v[232:233], v[248:249]
	v_fma_f64 v[54:55], v[232:233], v[52:53], -v[54:55]
	s_delay_alu instid0(VALU_DEP_2)
	v_fma_f64 v[212:213], v[234:235], v[52:53], v[212:213]
	ds_load_2addr_b64 v[232:235], v250 offset0:96 offset1:97
	v_add_f64 v[48:49], v[48:49], -v[54:55]
	v_add_f64 v[50:51], v[50:51], -v[212:213]
	s_waitcnt lgkmcnt(0)
	v_mul_f64 v[54:55], v[234:235], v[248:249]
	v_mul_f64 v[212:213], v[232:233], v[248:249]
	s_delay_alu instid0(VALU_DEP_2) | instskip(NEXT) | instid1(VALU_DEP_2)
	v_fma_f64 v[54:55], v[232:233], v[52:53], -v[54:55]
	v_fma_f64 v[212:213], v[234:235], v[52:53], v[212:213]
	ds_load_2addr_b64 v[232:235], v250 offset0:98 offset1:99
	v_add_f64 v[44:45], v[44:45], -v[54:55]
	v_add_f64 v[46:47], v[46:47], -v[212:213]
	s_waitcnt lgkmcnt(0)
	v_mul_f64 v[54:55], v[234:235], v[248:249]
	v_mul_f64 v[212:213], v[232:233], v[248:249]
	s_delay_alu instid0(VALU_DEP_2) | instskip(NEXT) | instid1(VALU_DEP_2)
	v_fma_f64 v[54:55], v[232:233], v[52:53], -v[54:55]
	v_fma_f64 v[212:213], v[234:235], v[52:53], v[212:213]
	ds_load_2addr_b64 v[232:235], v250 offset0:100 offset1:101
	v_add_f64 v[40:41], v[40:41], -v[54:55]
	v_add_f64 v[42:43], v[42:43], -v[212:213]
	s_waitcnt lgkmcnt(0)
	v_mul_f64 v[54:55], v[234:235], v[248:249]
	v_mul_f64 v[212:213], v[232:233], v[248:249]
	s_delay_alu instid0(VALU_DEP_2) | instskip(NEXT) | instid1(VALU_DEP_2)
	v_fma_f64 v[54:55], v[232:233], v[52:53], -v[54:55]
	v_fma_f64 v[212:213], v[234:235], v[52:53], v[212:213]
	ds_load_2addr_b64 v[232:235], v250 offset0:102 offset1:103
	v_add_f64 v[36:37], v[36:37], -v[54:55]
	v_add_f64 v[38:39], v[38:39], -v[212:213]
	s_waitcnt lgkmcnt(0)
	v_mul_f64 v[54:55], v[234:235], v[248:249]
	v_mul_f64 v[212:213], v[232:233], v[248:249]
	s_delay_alu instid0(VALU_DEP_2) | instskip(NEXT) | instid1(VALU_DEP_2)
	v_fma_f64 v[54:55], v[232:233], v[52:53], -v[54:55]
	v_fma_f64 v[212:213], v[234:235], v[52:53], v[212:213]
	ds_load_2addr_b64 v[232:235], v250 offset0:104 offset1:105
	v_add_f64 v[32:33], v[32:33], -v[54:55]
	v_add_f64 v[34:35], v[34:35], -v[212:213]
	s_waitcnt lgkmcnt(0)
	v_mul_f64 v[54:55], v[234:235], v[248:249]
	v_mul_f64 v[212:213], v[232:233], v[248:249]
	s_delay_alu instid0(VALU_DEP_2) | instskip(NEXT) | instid1(VALU_DEP_2)
	v_fma_f64 v[54:55], v[232:233], v[52:53], -v[54:55]
	v_fma_f64 v[212:213], v[234:235], v[52:53], v[212:213]
	ds_load_2addr_b64 v[232:235], v250 offset0:106 offset1:107
	v_add_f64 v[28:29], v[28:29], -v[54:55]
	v_add_f64 v[30:31], v[30:31], -v[212:213]
	s_waitcnt lgkmcnt(0)
	v_mul_f64 v[54:55], v[234:235], v[248:249]
	v_mul_f64 v[212:213], v[232:233], v[248:249]
	s_delay_alu instid0(VALU_DEP_2) | instskip(NEXT) | instid1(VALU_DEP_2)
	v_fma_f64 v[54:55], v[232:233], v[52:53], -v[54:55]
	v_fma_f64 v[212:213], v[234:235], v[52:53], v[212:213]
	ds_load_2addr_b64 v[232:235], v250 offset0:108 offset1:109
	v_add_f64 v[24:25], v[24:25], -v[54:55]
	v_add_f64 v[26:27], v[26:27], -v[212:213]
	s_waitcnt lgkmcnt(0)
	v_mul_f64 v[54:55], v[234:235], v[248:249]
	v_mul_f64 v[212:213], v[232:233], v[248:249]
	s_delay_alu instid0(VALU_DEP_2) | instskip(NEXT) | instid1(VALU_DEP_2)
	v_fma_f64 v[54:55], v[232:233], v[52:53], -v[54:55]
	v_fma_f64 v[212:213], v[234:235], v[52:53], v[212:213]
	ds_load_2addr_b64 v[232:235], v250 offset0:110 offset1:111
	v_add_f64 v[20:21], v[20:21], -v[54:55]
	v_add_f64 v[22:23], v[22:23], -v[212:213]
	s_waitcnt lgkmcnt(0)
	v_mul_f64 v[54:55], v[234:235], v[248:249]
	v_mul_f64 v[212:213], v[232:233], v[248:249]
	s_delay_alu instid0(VALU_DEP_2) | instskip(NEXT) | instid1(VALU_DEP_2)
	v_fma_f64 v[54:55], v[232:233], v[52:53], -v[54:55]
	v_fma_f64 v[212:213], v[234:235], v[52:53], v[212:213]
	ds_load_2addr_b64 v[232:235], v250 offset0:112 offset1:113
	v_add_f64 v[16:17], v[16:17], -v[54:55]
	v_add_f64 v[18:19], v[18:19], -v[212:213]
	s_waitcnt lgkmcnt(0)
	v_mul_f64 v[54:55], v[234:235], v[248:249]
	v_mul_f64 v[212:213], v[232:233], v[248:249]
	s_delay_alu instid0(VALU_DEP_2) | instskip(NEXT) | instid1(VALU_DEP_2)
	v_fma_f64 v[54:55], v[232:233], v[52:53], -v[54:55]
	v_fma_f64 v[212:213], v[234:235], v[52:53], v[212:213]
	ds_load_2addr_b64 v[232:235], v250 offset0:114 offset1:115
	v_add_f64 v[12:13], v[12:13], -v[54:55]
	v_add_f64 v[14:15], v[14:15], -v[212:213]
	s_waitcnt lgkmcnt(0)
	v_mul_f64 v[54:55], v[234:235], v[248:249]
	v_mul_f64 v[212:213], v[232:233], v[248:249]
	s_delay_alu instid0(VALU_DEP_2) | instskip(NEXT) | instid1(VALU_DEP_2)
	v_fma_f64 v[54:55], v[232:233], v[52:53], -v[54:55]
	v_fma_f64 v[212:213], v[234:235], v[52:53], v[212:213]
	ds_load_2addr_b64 v[232:235], v250 offset0:116 offset1:117
	v_add_f64 v[236:237], v[236:237], -v[54:55]
	v_add_f64 v[238:239], v[238:239], -v[212:213]
	s_waitcnt lgkmcnt(0)
	v_mul_f64 v[54:55], v[234:235], v[248:249]
	v_mul_f64 v[212:213], v[232:233], v[248:249]
	s_delay_alu instid0(VALU_DEP_2) | instskip(NEXT) | instid1(VALU_DEP_2)
	v_fma_f64 v[54:55], v[232:233], v[52:53], -v[54:55]
	v_fma_f64 v[212:213], v[234:235], v[52:53], v[212:213]
	ds_load_2addr_b64 v[232:235], v250 offset0:118 offset1:119
	v_add_f64 v[224:225], v[224:225], -v[54:55]
	v_add_f64 v[226:227], v[226:227], -v[212:213]
	s_waitcnt lgkmcnt(0)
	v_mul_f64 v[54:55], v[234:235], v[248:249]
	v_mul_f64 v[212:213], v[232:233], v[248:249]
	s_delay_alu instid0(VALU_DEP_2) | instskip(NEXT) | instid1(VALU_DEP_2)
	v_fma_f64 v[54:55], v[232:233], v[52:53], -v[54:55]
	v_fma_f64 v[212:213], v[234:235], v[52:53], v[212:213]
	s_delay_alu instid0(VALU_DEP_2) | instskip(NEXT) | instid1(VALU_DEP_2)
	v_add_f64 v[228:229], v[228:229], -v[54:55]
	v_add_f64 v[230:231], v[230:231], -v[212:213]
	v_dual_mov_b32 v54, v248 :: v_dual_mov_b32 v55, v249
.LBB118_986:
	s_or_b32 exec_lo, exec_lo, s2
	v_lshl_add_u32 v212, v255, 4, v250
	s_barrier
	buffer_gl0_inv
	v_mov_b32_e32 v248, 47
	ds_store_2addr_b64 v212, v[48:49], v[50:51] offset1:1
	s_waitcnt lgkmcnt(0)
	s_barrier
	buffer_gl0_inv
	ds_load_2addr_b64 v[240:243], v250 offset0:94 offset1:95
	s_cmp_lt_i32 s12, 49
	s_cbranch_scc1 .LBB118_989
; %bb.987:
	v_add3_u32 v245, v254, 0, 0x300
	v_mov_b32_e32 v248, 47
	s_mov_b32 s2, 48
	s_set_inst_prefetch_distance 0x1
	.p2align	6
.LBB118_988:                            ; =>This Inner Loop Header: Depth=1
	s_waitcnt lgkmcnt(0)
	v_cmp_gt_f64_e32 vcc_lo, 0, v[240:241]
	v_xor_b32_e32 v212, 0x80000000, v241
	v_xor_b32_e32 v214, 0x80000000, v243
	ds_load_2addr_b64 v[232:235], v245 offset1:1
	v_add_nc_u32_e32 v245, 16, v245
	s_waitcnt lgkmcnt(0)
	v_xor_b32_e32 v216, 0x80000000, v235
	v_cndmask_b32_e32 v213, v241, v212, vcc_lo
	v_cndmask_b32_e32 v212, v240, v240, vcc_lo
	v_cmp_gt_f64_e32 vcc_lo, 0, v[242:243]
	v_cndmask_b32_e32 v215, v243, v214, vcc_lo
	v_cndmask_b32_e32 v214, v242, v242, vcc_lo
	v_cmp_gt_f64_e32 vcc_lo, 0, v[232:233]
	s_delay_alu instid0(VALU_DEP_2) | instskip(SKIP_1) | instid1(VALU_DEP_1)
	v_add_f64 v[212:213], v[212:213], v[214:215]
	v_xor_b32_e32 v214, 0x80000000, v233
	v_dual_cndmask_b32 v215, v233, v214 :: v_dual_mov_b32 v214, v232
	v_cmp_gt_f64_e32 vcc_lo, 0, v[234:235]
	v_dual_cndmask_b32 v217, v235, v216 :: v_dual_mov_b32 v216, v234
	s_delay_alu instid0(VALU_DEP_1) | instskip(NEXT) | instid1(VALU_DEP_1)
	v_add_f64 v[214:215], v[214:215], v[216:217]
	v_cmp_lt_f64_e32 vcc_lo, v[212:213], v[214:215]
	v_dual_cndmask_b32 v241, v241, v233 :: v_dual_cndmask_b32 v240, v240, v232
	v_dual_cndmask_b32 v243, v243, v235 :: v_dual_cndmask_b32 v242, v242, v234
	v_cndmask_b32_e64 v248, v248, s2, vcc_lo
	s_add_i32 s2, s2, 1
	s_delay_alu instid0(SALU_CYCLE_1)
	s_cmp_lg_u32 s12, s2
	s_cbranch_scc1 .LBB118_988
.LBB118_989:
	s_set_inst_prefetch_distance 0x2
	s_waitcnt lgkmcnt(0)
	v_cmp_eq_f64_e32 vcc_lo, 0, v[240:241]
	v_cmp_eq_f64_e64 s2, 0, v[242:243]
	s_delay_alu instid0(VALU_DEP_1) | instskip(NEXT) | instid1(SALU_CYCLE_1)
	s_and_b32 s2, vcc_lo, s2
	s_and_saveexec_b32 s3, s2
	s_delay_alu instid0(SALU_CYCLE_1)
	s_xor_b32 s2, exec_lo, s3
; %bb.990:
	v_cmp_ne_u32_e32 vcc_lo, 0, v253
	v_cndmask_b32_e32 v253, 48, v253, vcc_lo
; %bb.991:
	s_and_not1_saveexec_b32 s2, s2
	s_cbranch_execz .LBB118_997
; %bb.992:
	v_cmp_gt_f64_e32 vcc_lo, 0, v[240:241]
	v_xor_b32_e32 v212, 0x80000000, v241
	v_xor_b32_e32 v214, 0x80000000, v243
	s_mov_b32 s3, exec_lo
	s_delay_alu instid0(VALU_DEP_2) | instskip(SKIP_4) | instid1(VALU_DEP_1)
	v_cndmask_b32_e32 v213, v241, v212, vcc_lo
	v_cndmask_b32_e32 v212, v240, v240, vcc_lo
	v_cmp_gt_f64_e32 vcc_lo, 0, v[242:243]
	v_cndmask_b32_e32 v215, v243, v214, vcc_lo
	v_cndmask_b32_e32 v214, v242, v242, vcc_lo
	v_cmpx_ngt_f64_e32 v[212:213], v[214:215]
	s_xor_b32 s3, exec_lo, s3
	s_cbranch_execz .LBB118_994
; %bb.993:
	v_div_scale_f64 v[212:213], null, v[242:243], v[242:243], v[240:241]
	v_div_scale_f64 v[218:219], vcc_lo, v[240:241], v[242:243], v[240:241]
	s_delay_alu instid0(VALU_DEP_2) | instskip(SKIP_2) | instid1(VALU_DEP_1)
	v_rcp_f64_e32 v[214:215], v[212:213]
	s_waitcnt_depctr 0xfff
	v_fma_f64 v[216:217], -v[212:213], v[214:215], 1.0
	v_fma_f64 v[214:215], v[214:215], v[216:217], v[214:215]
	s_delay_alu instid0(VALU_DEP_1) | instskip(NEXT) | instid1(VALU_DEP_1)
	v_fma_f64 v[216:217], -v[212:213], v[214:215], 1.0
	v_fma_f64 v[214:215], v[214:215], v[216:217], v[214:215]
	s_delay_alu instid0(VALU_DEP_1) | instskip(NEXT) | instid1(VALU_DEP_1)
	v_mul_f64 v[216:217], v[218:219], v[214:215]
	v_fma_f64 v[212:213], -v[212:213], v[216:217], v[218:219]
	s_delay_alu instid0(VALU_DEP_1) | instskip(NEXT) | instid1(VALU_DEP_1)
	v_div_fmas_f64 v[212:213], v[212:213], v[214:215], v[216:217]
	v_div_fixup_f64 v[212:213], v[212:213], v[242:243], v[240:241]
	s_delay_alu instid0(VALU_DEP_1) | instskip(NEXT) | instid1(VALU_DEP_1)
	v_fma_f64 v[214:215], v[240:241], v[212:213], v[242:243]
	v_div_scale_f64 v[216:217], null, v[214:215], v[214:215], 1.0
	s_delay_alu instid0(VALU_DEP_1) | instskip(SKIP_2) | instid1(VALU_DEP_1)
	v_rcp_f64_e32 v[218:219], v[216:217]
	s_waitcnt_depctr 0xfff
	v_fma_f64 v[220:221], -v[216:217], v[218:219], 1.0
	v_fma_f64 v[218:219], v[218:219], v[220:221], v[218:219]
	s_delay_alu instid0(VALU_DEP_1) | instskip(NEXT) | instid1(VALU_DEP_1)
	v_fma_f64 v[220:221], -v[216:217], v[218:219], 1.0
	v_fma_f64 v[218:219], v[218:219], v[220:221], v[218:219]
	v_div_scale_f64 v[220:221], vcc_lo, 1.0, v[214:215], 1.0
	s_delay_alu instid0(VALU_DEP_1) | instskip(NEXT) | instid1(VALU_DEP_1)
	v_mul_f64 v[222:223], v[220:221], v[218:219]
	v_fma_f64 v[216:217], -v[216:217], v[222:223], v[220:221]
	s_delay_alu instid0(VALU_DEP_1) | instskip(NEXT) | instid1(VALU_DEP_1)
	v_div_fmas_f64 v[216:217], v[216:217], v[218:219], v[222:223]
	v_div_fixup_f64 v[242:243], v[216:217], v[214:215], 1.0
	s_delay_alu instid0(VALU_DEP_1)
	v_mul_f64 v[240:241], v[212:213], v[242:243]
	v_xor_b32_e32 v243, 0x80000000, v243
.LBB118_994:
	s_and_not1_saveexec_b32 s3, s3
	s_cbranch_execz .LBB118_996
; %bb.995:
	s_delay_alu instid0(VALU_DEP_1) | instskip(SKIP_1) | instid1(VALU_DEP_2)
	v_div_scale_f64 v[212:213], null, v[240:241], v[240:241], v[242:243]
	v_div_scale_f64 v[218:219], vcc_lo, v[242:243], v[240:241], v[242:243]
	v_rcp_f64_e32 v[214:215], v[212:213]
	s_waitcnt_depctr 0xfff
	v_fma_f64 v[216:217], -v[212:213], v[214:215], 1.0
	s_delay_alu instid0(VALU_DEP_1) | instskip(NEXT) | instid1(VALU_DEP_1)
	v_fma_f64 v[214:215], v[214:215], v[216:217], v[214:215]
	v_fma_f64 v[216:217], -v[212:213], v[214:215], 1.0
	s_delay_alu instid0(VALU_DEP_1) | instskip(NEXT) | instid1(VALU_DEP_1)
	v_fma_f64 v[214:215], v[214:215], v[216:217], v[214:215]
	v_mul_f64 v[216:217], v[218:219], v[214:215]
	s_delay_alu instid0(VALU_DEP_1) | instskip(NEXT) | instid1(VALU_DEP_1)
	v_fma_f64 v[212:213], -v[212:213], v[216:217], v[218:219]
	v_div_fmas_f64 v[212:213], v[212:213], v[214:215], v[216:217]
	s_delay_alu instid0(VALU_DEP_1) | instskip(NEXT) | instid1(VALU_DEP_1)
	v_div_fixup_f64 v[212:213], v[212:213], v[240:241], v[242:243]
	v_fma_f64 v[214:215], v[242:243], v[212:213], v[240:241]
	s_delay_alu instid0(VALU_DEP_1) | instskip(NEXT) | instid1(VALU_DEP_1)
	v_div_scale_f64 v[216:217], null, v[214:215], v[214:215], 1.0
	v_rcp_f64_e32 v[218:219], v[216:217]
	s_waitcnt_depctr 0xfff
	v_fma_f64 v[220:221], -v[216:217], v[218:219], 1.0
	s_delay_alu instid0(VALU_DEP_1) | instskip(NEXT) | instid1(VALU_DEP_1)
	v_fma_f64 v[218:219], v[218:219], v[220:221], v[218:219]
	v_fma_f64 v[220:221], -v[216:217], v[218:219], 1.0
	s_delay_alu instid0(VALU_DEP_1) | instskip(SKIP_1) | instid1(VALU_DEP_1)
	v_fma_f64 v[218:219], v[218:219], v[220:221], v[218:219]
	v_div_scale_f64 v[220:221], vcc_lo, 1.0, v[214:215], 1.0
	v_mul_f64 v[222:223], v[220:221], v[218:219]
	s_delay_alu instid0(VALU_DEP_1) | instskip(NEXT) | instid1(VALU_DEP_1)
	v_fma_f64 v[216:217], -v[216:217], v[222:223], v[220:221]
	v_div_fmas_f64 v[216:217], v[216:217], v[218:219], v[222:223]
	s_delay_alu instid0(VALU_DEP_1) | instskip(NEXT) | instid1(VALU_DEP_1)
	v_div_fixup_f64 v[240:241], v[216:217], v[214:215], 1.0
	v_mul_f64 v[242:243], v[212:213], -v[240:241]
.LBB118_996:
	s_or_b32 exec_lo, exec_lo, s3
.LBB118_997:
	s_delay_alu instid0(SALU_CYCLE_1) | instskip(NEXT) | instid1(SALU_CYCLE_1)
	s_or_b32 exec_lo, exec_lo, s2
	s_mov_b32 s2, exec_lo
	v_cmpx_ne_u32_e64 v255, v248
	s_xor_b32 s2, exec_lo, s2
	s_cbranch_execz .LBB118_1003
; %bb.998:
	s_mov_b32 s3, exec_lo
	v_cmpx_eq_u32_e32 47, v255
	s_cbranch_execz .LBB118_1002
; %bb.999:
	v_cmp_ne_u32_e32 vcc_lo, 47, v248
	s_xor_b32 s4, s5, -1
	s_delay_alu instid0(SALU_CYCLE_1) | instskip(NEXT) | instid1(SALU_CYCLE_1)
	s_and_b32 s6, s4, vcc_lo
	s_and_saveexec_b32 s4, s6
	s_cbranch_execz .LBB118_1001
; %bb.1000:
	scratch_load_b64 v[208:209], off, off offset:16 ; 8-byte Folded Reload
	v_ashrrev_i32_e32 v249, 31, v248
	s_delay_alu instid0(VALU_DEP_1) | instskip(SKIP_1) | instid1(VALU_DEP_1)
	v_lshlrev_b64 v[212:213], 2, v[248:249]
	s_waitcnt vmcnt(0)
	v_add_co_u32 v212, vcc_lo, v208, v212
	s_delay_alu instid0(VALU_DEP_2)
	v_add_co_ci_u32_e32 v213, vcc_lo, v209, v213, vcc_lo
	s_clause 0x1
	flat_load_b32 v214, v[212:213]
	flat_load_b32 v215, v[208:209] offset:188
	s_waitcnt vmcnt(1) lgkmcnt(1)
	flat_store_b32 v[208:209], v214 offset:188
	s_waitcnt vmcnt(0) lgkmcnt(1)
	flat_store_b32 v[212:213], v215
.LBB118_1001:
	s_or_b32 exec_lo, exec_lo, s4
	v_mov_b32_e32 v255, v248
	v_mov_b32_e32 v244, v248
.LBB118_1002:
	s_or_b32 exec_lo, exec_lo, s3
.LBB118_1003:
	s_and_not1_saveexec_b32 s2, s2
	s_cbranch_execz .LBB118_1005
; %bb.1004:
	v_mov_b32_e32 v255, 47
	ds_store_2addr_b64 v250, v[44:45], v[46:47] offset0:96 offset1:97
	ds_store_2addr_b64 v250, v[40:41], v[42:43] offset0:98 offset1:99
	ds_store_2addr_b64 v250, v[36:37], v[38:39] offset0:100 offset1:101
	ds_store_2addr_b64 v250, v[32:33], v[34:35] offset0:102 offset1:103
	ds_store_2addr_b64 v250, v[28:29], v[30:31] offset0:104 offset1:105
	ds_store_2addr_b64 v250, v[24:25], v[26:27] offset0:106 offset1:107
	ds_store_2addr_b64 v250, v[20:21], v[22:23] offset0:108 offset1:109
	ds_store_2addr_b64 v250, v[16:17], v[18:19] offset0:110 offset1:111
	ds_store_2addr_b64 v250, v[12:13], v[14:15] offset0:112 offset1:113
	ds_store_2addr_b64 v250, v[236:237], v[238:239] offset0:114 offset1:115
	ds_store_2addr_b64 v250, v[224:225], v[226:227] offset0:116 offset1:117
	ds_store_2addr_b64 v250, v[228:229], v[230:231] offset0:118 offset1:119
.LBB118_1005:
	s_or_b32 exec_lo, exec_lo, s2
	s_delay_alu instid0(SALU_CYCLE_1)
	s_mov_b32 s2, exec_lo
	s_waitcnt lgkmcnt(0)
	s_waitcnt_vscnt null, 0x0
	s_barrier
	buffer_gl0_inv
	v_cmpx_lt_i32_e32 47, v255
	s_cbranch_execz .LBB118_1007
; %bb.1006:
	v_mul_f64 v[212:213], v[240:241], v[50:51]
	v_mul_f64 v[50:51], v[242:243], v[50:51]
	ds_load_2addr_b64 v[232:235], v250 offset0:96 offset1:97
	v_fma_f64 v[212:213], v[242:243], v[48:49], v[212:213]
	v_fma_f64 v[48:49], v[240:241], v[48:49], -v[50:51]
	s_waitcnt lgkmcnt(0)
	s_delay_alu instid0(VALU_DEP_2) | instskip(SKIP_1) | instid1(VALU_DEP_2)
	v_mul_f64 v[50:51], v[234:235], v[212:213]
	v_mul_f64 v[214:215], v[232:233], v[212:213]
	v_fma_f64 v[50:51], v[232:233], v[48:49], -v[50:51]
	s_delay_alu instid0(VALU_DEP_2)
	v_fma_f64 v[214:215], v[234:235], v[48:49], v[214:215]
	ds_load_2addr_b64 v[232:235], v250 offset0:98 offset1:99
	v_add_f64 v[44:45], v[44:45], -v[50:51]
	v_add_f64 v[46:47], v[46:47], -v[214:215]
	s_waitcnt lgkmcnt(0)
	v_mul_f64 v[50:51], v[234:235], v[212:213]
	v_mul_f64 v[214:215], v[232:233], v[212:213]
	s_delay_alu instid0(VALU_DEP_2) | instskip(NEXT) | instid1(VALU_DEP_2)
	v_fma_f64 v[50:51], v[232:233], v[48:49], -v[50:51]
	v_fma_f64 v[214:215], v[234:235], v[48:49], v[214:215]
	ds_load_2addr_b64 v[232:235], v250 offset0:100 offset1:101
	v_add_f64 v[40:41], v[40:41], -v[50:51]
	v_add_f64 v[42:43], v[42:43], -v[214:215]
	s_waitcnt lgkmcnt(0)
	v_mul_f64 v[50:51], v[234:235], v[212:213]
	v_mul_f64 v[214:215], v[232:233], v[212:213]
	s_delay_alu instid0(VALU_DEP_2) | instskip(NEXT) | instid1(VALU_DEP_2)
	v_fma_f64 v[50:51], v[232:233], v[48:49], -v[50:51]
	;; [unrolled: 9-line block ×11, first 2 shown]
	v_fma_f64 v[214:215], v[234:235], v[48:49], v[214:215]
	s_delay_alu instid0(VALU_DEP_2) | instskip(NEXT) | instid1(VALU_DEP_2)
	v_add_f64 v[228:229], v[228:229], -v[50:51]
	v_add_f64 v[230:231], v[230:231], -v[214:215]
	v_dual_mov_b32 v50, v212 :: v_dual_mov_b32 v51, v213
.LBB118_1007:
	s_or_b32 exec_lo, exec_lo, s2
	v_lshl_add_u32 v212, v255, 4, v250
	s_barrier
	buffer_gl0_inv
	v_mov_b32_e32 v248, 48
	ds_store_2addr_b64 v212, v[44:45], v[46:47] offset1:1
	s_waitcnt lgkmcnt(0)
	s_barrier
	buffer_gl0_inv
	ds_load_2addr_b64 v[240:243], v250 offset0:96 offset1:97
	s_cmp_lt_i32 s12, 50
	s_cbranch_scc1 .LBB118_1010
; %bb.1008:
	v_add3_u32 v245, v254, 0, 0x310
	v_mov_b32_e32 v248, 48
	s_mov_b32 s2, 49
	s_set_inst_prefetch_distance 0x1
	.p2align	6
.LBB118_1009:                           ; =>This Inner Loop Header: Depth=1
	s_waitcnt lgkmcnt(0)
	v_cmp_gt_f64_e32 vcc_lo, 0, v[240:241]
	v_xor_b32_e32 v212, 0x80000000, v241
	v_xor_b32_e32 v214, 0x80000000, v243
	ds_load_2addr_b64 v[232:235], v245 offset1:1
	v_add_nc_u32_e32 v245, 16, v245
	s_waitcnt lgkmcnt(0)
	v_xor_b32_e32 v216, 0x80000000, v235
	v_cndmask_b32_e32 v213, v241, v212, vcc_lo
	v_cndmask_b32_e32 v212, v240, v240, vcc_lo
	v_cmp_gt_f64_e32 vcc_lo, 0, v[242:243]
	v_cndmask_b32_e32 v215, v243, v214, vcc_lo
	v_cndmask_b32_e32 v214, v242, v242, vcc_lo
	v_cmp_gt_f64_e32 vcc_lo, 0, v[232:233]
	s_delay_alu instid0(VALU_DEP_2) | instskip(SKIP_1) | instid1(VALU_DEP_1)
	v_add_f64 v[212:213], v[212:213], v[214:215]
	v_xor_b32_e32 v214, 0x80000000, v233
	v_dual_cndmask_b32 v215, v233, v214 :: v_dual_mov_b32 v214, v232
	v_cmp_gt_f64_e32 vcc_lo, 0, v[234:235]
	v_dual_cndmask_b32 v217, v235, v216 :: v_dual_mov_b32 v216, v234
	s_delay_alu instid0(VALU_DEP_1) | instskip(NEXT) | instid1(VALU_DEP_1)
	v_add_f64 v[214:215], v[214:215], v[216:217]
	v_cmp_lt_f64_e32 vcc_lo, v[212:213], v[214:215]
	v_dual_cndmask_b32 v241, v241, v233 :: v_dual_cndmask_b32 v240, v240, v232
	v_dual_cndmask_b32 v243, v243, v235 :: v_dual_cndmask_b32 v242, v242, v234
	v_cndmask_b32_e64 v248, v248, s2, vcc_lo
	s_add_i32 s2, s2, 1
	s_delay_alu instid0(SALU_CYCLE_1)
	s_cmp_lg_u32 s12, s2
	s_cbranch_scc1 .LBB118_1009
.LBB118_1010:
	s_set_inst_prefetch_distance 0x2
	s_waitcnt lgkmcnt(0)
	v_cmp_eq_f64_e32 vcc_lo, 0, v[240:241]
	v_cmp_eq_f64_e64 s2, 0, v[242:243]
	s_delay_alu instid0(VALU_DEP_1) | instskip(NEXT) | instid1(SALU_CYCLE_1)
	s_and_b32 s2, vcc_lo, s2
	s_and_saveexec_b32 s3, s2
	s_delay_alu instid0(SALU_CYCLE_1)
	s_xor_b32 s2, exec_lo, s3
; %bb.1011:
	v_cmp_ne_u32_e32 vcc_lo, 0, v253
	v_cndmask_b32_e32 v253, 49, v253, vcc_lo
; %bb.1012:
	s_and_not1_saveexec_b32 s2, s2
	s_cbranch_execz .LBB118_1018
; %bb.1013:
	v_cmp_gt_f64_e32 vcc_lo, 0, v[240:241]
	v_xor_b32_e32 v212, 0x80000000, v241
	v_xor_b32_e32 v214, 0x80000000, v243
	s_mov_b32 s3, exec_lo
	s_delay_alu instid0(VALU_DEP_2) | instskip(SKIP_4) | instid1(VALU_DEP_1)
	v_cndmask_b32_e32 v213, v241, v212, vcc_lo
	v_cndmask_b32_e32 v212, v240, v240, vcc_lo
	v_cmp_gt_f64_e32 vcc_lo, 0, v[242:243]
	v_cndmask_b32_e32 v215, v243, v214, vcc_lo
	v_cndmask_b32_e32 v214, v242, v242, vcc_lo
	v_cmpx_ngt_f64_e32 v[212:213], v[214:215]
	s_xor_b32 s3, exec_lo, s3
	s_cbranch_execz .LBB118_1015
; %bb.1014:
	v_div_scale_f64 v[212:213], null, v[242:243], v[242:243], v[240:241]
	v_div_scale_f64 v[218:219], vcc_lo, v[240:241], v[242:243], v[240:241]
	s_delay_alu instid0(VALU_DEP_2) | instskip(SKIP_2) | instid1(VALU_DEP_1)
	v_rcp_f64_e32 v[214:215], v[212:213]
	s_waitcnt_depctr 0xfff
	v_fma_f64 v[216:217], -v[212:213], v[214:215], 1.0
	v_fma_f64 v[214:215], v[214:215], v[216:217], v[214:215]
	s_delay_alu instid0(VALU_DEP_1) | instskip(NEXT) | instid1(VALU_DEP_1)
	v_fma_f64 v[216:217], -v[212:213], v[214:215], 1.0
	v_fma_f64 v[214:215], v[214:215], v[216:217], v[214:215]
	s_delay_alu instid0(VALU_DEP_1) | instskip(NEXT) | instid1(VALU_DEP_1)
	v_mul_f64 v[216:217], v[218:219], v[214:215]
	v_fma_f64 v[212:213], -v[212:213], v[216:217], v[218:219]
	s_delay_alu instid0(VALU_DEP_1) | instskip(NEXT) | instid1(VALU_DEP_1)
	v_div_fmas_f64 v[212:213], v[212:213], v[214:215], v[216:217]
	v_div_fixup_f64 v[212:213], v[212:213], v[242:243], v[240:241]
	s_delay_alu instid0(VALU_DEP_1) | instskip(NEXT) | instid1(VALU_DEP_1)
	v_fma_f64 v[214:215], v[240:241], v[212:213], v[242:243]
	v_div_scale_f64 v[216:217], null, v[214:215], v[214:215], 1.0
	s_delay_alu instid0(VALU_DEP_1) | instskip(SKIP_2) | instid1(VALU_DEP_1)
	v_rcp_f64_e32 v[218:219], v[216:217]
	s_waitcnt_depctr 0xfff
	v_fma_f64 v[220:221], -v[216:217], v[218:219], 1.0
	v_fma_f64 v[218:219], v[218:219], v[220:221], v[218:219]
	s_delay_alu instid0(VALU_DEP_1) | instskip(NEXT) | instid1(VALU_DEP_1)
	v_fma_f64 v[220:221], -v[216:217], v[218:219], 1.0
	v_fma_f64 v[218:219], v[218:219], v[220:221], v[218:219]
	v_div_scale_f64 v[220:221], vcc_lo, 1.0, v[214:215], 1.0
	s_delay_alu instid0(VALU_DEP_1) | instskip(NEXT) | instid1(VALU_DEP_1)
	v_mul_f64 v[222:223], v[220:221], v[218:219]
	v_fma_f64 v[216:217], -v[216:217], v[222:223], v[220:221]
	s_delay_alu instid0(VALU_DEP_1) | instskip(NEXT) | instid1(VALU_DEP_1)
	v_div_fmas_f64 v[216:217], v[216:217], v[218:219], v[222:223]
	v_div_fixup_f64 v[242:243], v[216:217], v[214:215], 1.0
	s_delay_alu instid0(VALU_DEP_1)
	v_mul_f64 v[240:241], v[212:213], v[242:243]
	v_xor_b32_e32 v243, 0x80000000, v243
.LBB118_1015:
	s_and_not1_saveexec_b32 s3, s3
	s_cbranch_execz .LBB118_1017
; %bb.1016:
	s_delay_alu instid0(VALU_DEP_1) | instskip(SKIP_1) | instid1(VALU_DEP_2)
	v_div_scale_f64 v[212:213], null, v[240:241], v[240:241], v[242:243]
	v_div_scale_f64 v[218:219], vcc_lo, v[242:243], v[240:241], v[242:243]
	v_rcp_f64_e32 v[214:215], v[212:213]
	s_waitcnt_depctr 0xfff
	v_fma_f64 v[216:217], -v[212:213], v[214:215], 1.0
	s_delay_alu instid0(VALU_DEP_1) | instskip(NEXT) | instid1(VALU_DEP_1)
	v_fma_f64 v[214:215], v[214:215], v[216:217], v[214:215]
	v_fma_f64 v[216:217], -v[212:213], v[214:215], 1.0
	s_delay_alu instid0(VALU_DEP_1) | instskip(NEXT) | instid1(VALU_DEP_1)
	v_fma_f64 v[214:215], v[214:215], v[216:217], v[214:215]
	v_mul_f64 v[216:217], v[218:219], v[214:215]
	s_delay_alu instid0(VALU_DEP_1) | instskip(NEXT) | instid1(VALU_DEP_1)
	v_fma_f64 v[212:213], -v[212:213], v[216:217], v[218:219]
	v_div_fmas_f64 v[212:213], v[212:213], v[214:215], v[216:217]
	s_delay_alu instid0(VALU_DEP_1) | instskip(NEXT) | instid1(VALU_DEP_1)
	v_div_fixup_f64 v[212:213], v[212:213], v[240:241], v[242:243]
	v_fma_f64 v[214:215], v[242:243], v[212:213], v[240:241]
	s_delay_alu instid0(VALU_DEP_1) | instskip(NEXT) | instid1(VALU_DEP_1)
	v_div_scale_f64 v[216:217], null, v[214:215], v[214:215], 1.0
	v_rcp_f64_e32 v[218:219], v[216:217]
	s_waitcnt_depctr 0xfff
	v_fma_f64 v[220:221], -v[216:217], v[218:219], 1.0
	s_delay_alu instid0(VALU_DEP_1) | instskip(NEXT) | instid1(VALU_DEP_1)
	v_fma_f64 v[218:219], v[218:219], v[220:221], v[218:219]
	v_fma_f64 v[220:221], -v[216:217], v[218:219], 1.0
	s_delay_alu instid0(VALU_DEP_1) | instskip(SKIP_1) | instid1(VALU_DEP_1)
	v_fma_f64 v[218:219], v[218:219], v[220:221], v[218:219]
	v_div_scale_f64 v[220:221], vcc_lo, 1.0, v[214:215], 1.0
	v_mul_f64 v[222:223], v[220:221], v[218:219]
	s_delay_alu instid0(VALU_DEP_1) | instskip(NEXT) | instid1(VALU_DEP_1)
	v_fma_f64 v[216:217], -v[216:217], v[222:223], v[220:221]
	v_div_fmas_f64 v[216:217], v[216:217], v[218:219], v[222:223]
	s_delay_alu instid0(VALU_DEP_1) | instskip(NEXT) | instid1(VALU_DEP_1)
	v_div_fixup_f64 v[240:241], v[216:217], v[214:215], 1.0
	v_mul_f64 v[242:243], v[212:213], -v[240:241]
.LBB118_1017:
	s_or_b32 exec_lo, exec_lo, s3
.LBB118_1018:
	s_delay_alu instid0(SALU_CYCLE_1) | instskip(NEXT) | instid1(SALU_CYCLE_1)
	s_or_b32 exec_lo, exec_lo, s2
	s_mov_b32 s2, exec_lo
	v_cmpx_ne_u32_e64 v255, v248
	s_xor_b32 s2, exec_lo, s2
	s_cbranch_execz .LBB118_1024
; %bb.1019:
	s_mov_b32 s3, exec_lo
	v_cmpx_eq_u32_e32 48, v255
	s_cbranch_execz .LBB118_1023
; %bb.1020:
	v_cmp_ne_u32_e32 vcc_lo, 48, v248
	s_xor_b32 s4, s5, -1
	s_delay_alu instid0(SALU_CYCLE_1) | instskip(NEXT) | instid1(SALU_CYCLE_1)
	s_and_b32 s6, s4, vcc_lo
	s_and_saveexec_b32 s4, s6
	s_cbranch_execz .LBB118_1022
; %bb.1021:
	scratch_load_b64 v[208:209], off, off offset:16 ; 8-byte Folded Reload
	v_ashrrev_i32_e32 v249, 31, v248
	s_delay_alu instid0(VALU_DEP_1) | instskip(SKIP_1) | instid1(VALU_DEP_1)
	v_lshlrev_b64 v[212:213], 2, v[248:249]
	s_waitcnt vmcnt(0)
	v_add_co_u32 v212, vcc_lo, v208, v212
	s_delay_alu instid0(VALU_DEP_2)
	v_add_co_ci_u32_e32 v213, vcc_lo, v209, v213, vcc_lo
	s_clause 0x1
	flat_load_b32 v214, v[212:213]
	flat_load_b32 v215, v[208:209] offset:192
	s_waitcnt vmcnt(1) lgkmcnt(1)
	flat_store_b32 v[208:209], v214 offset:192
	s_waitcnt vmcnt(0) lgkmcnt(1)
	flat_store_b32 v[212:213], v215
.LBB118_1022:
	s_or_b32 exec_lo, exec_lo, s4
	v_mov_b32_e32 v255, v248
	v_mov_b32_e32 v244, v248
.LBB118_1023:
	s_or_b32 exec_lo, exec_lo, s3
.LBB118_1024:
	s_and_not1_saveexec_b32 s2, s2
	s_cbranch_execz .LBB118_1026
; %bb.1025:
	v_mov_b32_e32 v255, 48
	ds_store_2addr_b64 v250, v[40:41], v[42:43] offset0:98 offset1:99
	ds_store_2addr_b64 v250, v[36:37], v[38:39] offset0:100 offset1:101
	ds_store_2addr_b64 v250, v[32:33], v[34:35] offset0:102 offset1:103
	ds_store_2addr_b64 v250, v[28:29], v[30:31] offset0:104 offset1:105
	ds_store_2addr_b64 v250, v[24:25], v[26:27] offset0:106 offset1:107
	ds_store_2addr_b64 v250, v[20:21], v[22:23] offset0:108 offset1:109
	ds_store_2addr_b64 v250, v[16:17], v[18:19] offset0:110 offset1:111
	ds_store_2addr_b64 v250, v[12:13], v[14:15] offset0:112 offset1:113
	ds_store_2addr_b64 v250, v[236:237], v[238:239] offset0:114 offset1:115
	ds_store_2addr_b64 v250, v[224:225], v[226:227] offset0:116 offset1:117
	ds_store_2addr_b64 v250, v[228:229], v[230:231] offset0:118 offset1:119
.LBB118_1026:
	s_or_b32 exec_lo, exec_lo, s2
	s_delay_alu instid0(SALU_CYCLE_1)
	s_mov_b32 s2, exec_lo
	s_waitcnt lgkmcnt(0)
	s_waitcnt_vscnt null, 0x0
	s_barrier
	buffer_gl0_inv
	v_cmpx_lt_i32_e32 48, v255
	s_cbranch_execz .LBB118_1028
; %bb.1027:
	v_mul_f64 v[212:213], v[240:241], v[46:47]
	v_mul_f64 v[46:47], v[242:243], v[46:47]
	ds_load_2addr_b64 v[232:235], v250 offset0:98 offset1:99
	v_fma_f64 v[212:213], v[242:243], v[44:45], v[212:213]
	v_fma_f64 v[44:45], v[240:241], v[44:45], -v[46:47]
	s_waitcnt lgkmcnt(0)
	s_delay_alu instid0(VALU_DEP_2) | instskip(SKIP_1) | instid1(VALU_DEP_2)
	v_mul_f64 v[46:47], v[234:235], v[212:213]
	v_mul_f64 v[214:215], v[232:233], v[212:213]
	v_fma_f64 v[46:47], v[232:233], v[44:45], -v[46:47]
	s_delay_alu instid0(VALU_DEP_2)
	v_fma_f64 v[214:215], v[234:235], v[44:45], v[214:215]
	ds_load_2addr_b64 v[232:235], v250 offset0:100 offset1:101
	v_add_f64 v[40:41], v[40:41], -v[46:47]
	v_add_f64 v[42:43], v[42:43], -v[214:215]
	s_waitcnt lgkmcnt(0)
	v_mul_f64 v[46:47], v[234:235], v[212:213]
	v_mul_f64 v[214:215], v[232:233], v[212:213]
	s_delay_alu instid0(VALU_DEP_2) | instskip(NEXT) | instid1(VALU_DEP_2)
	v_fma_f64 v[46:47], v[232:233], v[44:45], -v[46:47]
	v_fma_f64 v[214:215], v[234:235], v[44:45], v[214:215]
	ds_load_2addr_b64 v[232:235], v250 offset0:102 offset1:103
	v_add_f64 v[36:37], v[36:37], -v[46:47]
	v_add_f64 v[38:39], v[38:39], -v[214:215]
	s_waitcnt lgkmcnt(0)
	v_mul_f64 v[46:47], v[234:235], v[212:213]
	v_mul_f64 v[214:215], v[232:233], v[212:213]
	s_delay_alu instid0(VALU_DEP_2) | instskip(NEXT) | instid1(VALU_DEP_2)
	v_fma_f64 v[46:47], v[232:233], v[44:45], -v[46:47]
	;; [unrolled: 9-line block ×10, first 2 shown]
	v_fma_f64 v[214:215], v[234:235], v[44:45], v[214:215]
	s_delay_alu instid0(VALU_DEP_2) | instskip(NEXT) | instid1(VALU_DEP_2)
	v_add_f64 v[228:229], v[228:229], -v[46:47]
	v_add_f64 v[230:231], v[230:231], -v[214:215]
	v_dual_mov_b32 v46, v212 :: v_dual_mov_b32 v47, v213
.LBB118_1028:
	s_or_b32 exec_lo, exec_lo, s2
	v_lshl_add_u32 v212, v255, 4, v250
	s_barrier
	buffer_gl0_inv
	v_mov_b32_e32 v248, 49
	ds_store_2addr_b64 v212, v[40:41], v[42:43] offset1:1
	s_waitcnt lgkmcnt(0)
	s_barrier
	buffer_gl0_inv
	ds_load_2addr_b64 v[240:243], v250 offset0:98 offset1:99
	s_cmp_lt_i32 s12, 51
	s_cbranch_scc1 .LBB118_1031
; %bb.1029:
	v_add3_u32 v245, v254, 0, 0x320
	v_mov_b32_e32 v248, 49
	s_mov_b32 s2, 50
	s_set_inst_prefetch_distance 0x1
	.p2align	6
.LBB118_1030:                           ; =>This Inner Loop Header: Depth=1
	s_waitcnt lgkmcnt(0)
	v_cmp_gt_f64_e32 vcc_lo, 0, v[240:241]
	v_xor_b32_e32 v212, 0x80000000, v241
	v_xor_b32_e32 v214, 0x80000000, v243
	ds_load_2addr_b64 v[232:235], v245 offset1:1
	v_add_nc_u32_e32 v245, 16, v245
	s_waitcnt lgkmcnt(0)
	v_xor_b32_e32 v216, 0x80000000, v235
	v_cndmask_b32_e32 v213, v241, v212, vcc_lo
	v_cndmask_b32_e32 v212, v240, v240, vcc_lo
	v_cmp_gt_f64_e32 vcc_lo, 0, v[242:243]
	v_cndmask_b32_e32 v215, v243, v214, vcc_lo
	v_cndmask_b32_e32 v214, v242, v242, vcc_lo
	v_cmp_gt_f64_e32 vcc_lo, 0, v[232:233]
	s_delay_alu instid0(VALU_DEP_2) | instskip(SKIP_1) | instid1(VALU_DEP_1)
	v_add_f64 v[212:213], v[212:213], v[214:215]
	v_xor_b32_e32 v214, 0x80000000, v233
	v_dual_cndmask_b32 v215, v233, v214 :: v_dual_mov_b32 v214, v232
	v_cmp_gt_f64_e32 vcc_lo, 0, v[234:235]
	v_dual_cndmask_b32 v217, v235, v216 :: v_dual_mov_b32 v216, v234
	s_delay_alu instid0(VALU_DEP_1) | instskip(NEXT) | instid1(VALU_DEP_1)
	v_add_f64 v[214:215], v[214:215], v[216:217]
	v_cmp_lt_f64_e32 vcc_lo, v[212:213], v[214:215]
	v_dual_cndmask_b32 v241, v241, v233 :: v_dual_cndmask_b32 v240, v240, v232
	v_dual_cndmask_b32 v243, v243, v235 :: v_dual_cndmask_b32 v242, v242, v234
	v_cndmask_b32_e64 v248, v248, s2, vcc_lo
	s_add_i32 s2, s2, 1
	s_delay_alu instid0(SALU_CYCLE_1)
	s_cmp_lg_u32 s12, s2
	s_cbranch_scc1 .LBB118_1030
.LBB118_1031:
	s_set_inst_prefetch_distance 0x2
	s_waitcnt lgkmcnt(0)
	v_cmp_eq_f64_e32 vcc_lo, 0, v[240:241]
	v_cmp_eq_f64_e64 s2, 0, v[242:243]
	s_delay_alu instid0(VALU_DEP_1) | instskip(NEXT) | instid1(SALU_CYCLE_1)
	s_and_b32 s2, vcc_lo, s2
	s_and_saveexec_b32 s3, s2
	s_delay_alu instid0(SALU_CYCLE_1)
	s_xor_b32 s2, exec_lo, s3
; %bb.1032:
	v_cmp_ne_u32_e32 vcc_lo, 0, v253
	v_cndmask_b32_e32 v253, 50, v253, vcc_lo
; %bb.1033:
	s_and_not1_saveexec_b32 s2, s2
	s_cbranch_execz .LBB118_1039
; %bb.1034:
	v_cmp_gt_f64_e32 vcc_lo, 0, v[240:241]
	v_xor_b32_e32 v212, 0x80000000, v241
	v_xor_b32_e32 v214, 0x80000000, v243
	s_mov_b32 s3, exec_lo
	s_delay_alu instid0(VALU_DEP_2) | instskip(SKIP_4) | instid1(VALU_DEP_1)
	v_cndmask_b32_e32 v213, v241, v212, vcc_lo
	v_cndmask_b32_e32 v212, v240, v240, vcc_lo
	v_cmp_gt_f64_e32 vcc_lo, 0, v[242:243]
	v_cndmask_b32_e32 v215, v243, v214, vcc_lo
	v_cndmask_b32_e32 v214, v242, v242, vcc_lo
	v_cmpx_ngt_f64_e32 v[212:213], v[214:215]
	s_xor_b32 s3, exec_lo, s3
	s_cbranch_execz .LBB118_1036
; %bb.1035:
	v_div_scale_f64 v[212:213], null, v[242:243], v[242:243], v[240:241]
	v_div_scale_f64 v[218:219], vcc_lo, v[240:241], v[242:243], v[240:241]
	s_delay_alu instid0(VALU_DEP_2) | instskip(SKIP_2) | instid1(VALU_DEP_1)
	v_rcp_f64_e32 v[214:215], v[212:213]
	s_waitcnt_depctr 0xfff
	v_fma_f64 v[216:217], -v[212:213], v[214:215], 1.0
	v_fma_f64 v[214:215], v[214:215], v[216:217], v[214:215]
	s_delay_alu instid0(VALU_DEP_1) | instskip(NEXT) | instid1(VALU_DEP_1)
	v_fma_f64 v[216:217], -v[212:213], v[214:215], 1.0
	v_fma_f64 v[214:215], v[214:215], v[216:217], v[214:215]
	s_delay_alu instid0(VALU_DEP_1) | instskip(NEXT) | instid1(VALU_DEP_1)
	v_mul_f64 v[216:217], v[218:219], v[214:215]
	v_fma_f64 v[212:213], -v[212:213], v[216:217], v[218:219]
	s_delay_alu instid0(VALU_DEP_1) | instskip(NEXT) | instid1(VALU_DEP_1)
	v_div_fmas_f64 v[212:213], v[212:213], v[214:215], v[216:217]
	v_div_fixup_f64 v[212:213], v[212:213], v[242:243], v[240:241]
	s_delay_alu instid0(VALU_DEP_1) | instskip(NEXT) | instid1(VALU_DEP_1)
	v_fma_f64 v[214:215], v[240:241], v[212:213], v[242:243]
	v_div_scale_f64 v[216:217], null, v[214:215], v[214:215], 1.0
	s_delay_alu instid0(VALU_DEP_1) | instskip(SKIP_2) | instid1(VALU_DEP_1)
	v_rcp_f64_e32 v[218:219], v[216:217]
	s_waitcnt_depctr 0xfff
	v_fma_f64 v[220:221], -v[216:217], v[218:219], 1.0
	v_fma_f64 v[218:219], v[218:219], v[220:221], v[218:219]
	s_delay_alu instid0(VALU_DEP_1) | instskip(NEXT) | instid1(VALU_DEP_1)
	v_fma_f64 v[220:221], -v[216:217], v[218:219], 1.0
	v_fma_f64 v[218:219], v[218:219], v[220:221], v[218:219]
	v_div_scale_f64 v[220:221], vcc_lo, 1.0, v[214:215], 1.0
	s_delay_alu instid0(VALU_DEP_1) | instskip(NEXT) | instid1(VALU_DEP_1)
	v_mul_f64 v[222:223], v[220:221], v[218:219]
	v_fma_f64 v[216:217], -v[216:217], v[222:223], v[220:221]
	s_delay_alu instid0(VALU_DEP_1) | instskip(NEXT) | instid1(VALU_DEP_1)
	v_div_fmas_f64 v[216:217], v[216:217], v[218:219], v[222:223]
	v_div_fixup_f64 v[242:243], v[216:217], v[214:215], 1.0
	s_delay_alu instid0(VALU_DEP_1)
	v_mul_f64 v[240:241], v[212:213], v[242:243]
	v_xor_b32_e32 v243, 0x80000000, v243
.LBB118_1036:
	s_and_not1_saveexec_b32 s3, s3
	s_cbranch_execz .LBB118_1038
; %bb.1037:
	s_delay_alu instid0(VALU_DEP_1) | instskip(SKIP_1) | instid1(VALU_DEP_2)
	v_div_scale_f64 v[212:213], null, v[240:241], v[240:241], v[242:243]
	v_div_scale_f64 v[218:219], vcc_lo, v[242:243], v[240:241], v[242:243]
	v_rcp_f64_e32 v[214:215], v[212:213]
	s_waitcnt_depctr 0xfff
	v_fma_f64 v[216:217], -v[212:213], v[214:215], 1.0
	s_delay_alu instid0(VALU_DEP_1) | instskip(NEXT) | instid1(VALU_DEP_1)
	v_fma_f64 v[214:215], v[214:215], v[216:217], v[214:215]
	v_fma_f64 v[216:217], -v[212:213], v[214:215], 1.0
	s_delay_alu instid0(VALU_DEP_1) | instskip(NEXT) | instid1(VALU_DEP_1)
	v_fma_f64 v[214:215], v[214:215], v[216:217], v[214:215]
	v_mul_f64 v[216:217], v[218:219], v[214:215]
	s_delay_alu instid0(VALU_DEP_1) | instskip(NEXT) | instid1(VALU_DEP_1)
	v_fma_f64 v[212:213], -v[212:213], v[216:217], v[218:219]
	v_div_fmas_f64 v[212:213], v[212:213], v[214:215], v[216:217]
	s_delay_alu instid0(VALU_DEP_1) | instskip(NEXT) | instid1(VALU_DEP_1)
	v_div_fixup_f64 v[212:213], v[212:213], v[240:241], v[242:243]
	v_fma_f64 v[214:215], v[242:243], v[212:213], v[240:241]
	s_delay_alu instid0(VALU_DEP_1) | instskip(NEXT) | instid1(VALU_DEP_1)
	v_div_scale_f64 v[216:217], null, v[214:215], v[214:215], 1.0
	v_rcp_f64_e32 v[218:219], v[216:217]
	s_waitcnt_depctr 0xfff
	v_fma_f64 v[220:221], -v[216:217], v[218:219], 1.0
	s_delay_alu instid0(VALU_DEP_1) | instskip(NEXT) | instid1(VALU_DEP_1)
	v_fma_f64 v[218:219], v[218:219], v[220:221], v[218:219]
	v_fma_f64 v[220:221], -v[216:217], v[218:219], 1.0
	s_delay_alu instid0(VALU_DEP_1) | instskip(SKIP_1) | instid1(VALU_DEP_1)
	v_fma_f64 v[218:219], v[218:219], v[220:221], v[218:219]
	v_div_scale_f64 v[220:221], vcc_lo, 1.0, v[214:215], 1.0
	v_mul_f64 v[222:223], v[220:221], v[218:219]
	s_delay_alu instid0(VALU_DEP_1) | instskip(NEXT) | instid1(VALU_DEP_1)
	v_fma_f64 v[216:217], -v[216:217], v[222:223], v[220:221]
	v_div_fmas_f64 v[216:217], v[216:217], v[218:219], v[222:223]
	s_delay_alu instid0(VALU_DEP_1) | instskip(NEXT) | instid1(VALU_DEP_1)
	v_div_fixup_f64 v[240:241], v[216:217], v[214:215], 1.0
	v_mul_f64 v[242:243], v[212:213], -v[240:241]
.LBB118_1038:
	s_or_b32 exec_lo, exec_lo, s3
.LBB118_1039:
	s_delay_alu instid0(SALU_CYCLE_1) | instskip(NEXT) | instid1(SALU_CYCLE_1)
	s_or_b32 exec_lo, exec_lo, s2
	s_mov_b32 s2, exec_lo
	v_cmpx_ne_u32_e64 v255, v248
	s_xor_b32 s2, exec_lo, s2
	s_cbranch_execz .LBB118_1045
; %bb.1040:
	s_mov_b32 s3, exec_lo
	v_cmpx_eq_u32_e32 49, v255
	s_cbranch_execz .LBB118_1044
; %bb.1041:
	v_cmp_ne_u32_e32 vcc_lo, 49, v248
	s_xor_b32 s4, s5, -1
	s_delay_alu instid0(SALU_CYCLE_1) | instskip(NEXT) | instid1(SALU_CYCLE_1)
	s_and_b32 s6, s4, vcc_lo
	s_and_saveexec_b32 s4, s6
	s_cbranch_execz .LBB118_1043
; %bb.1042:
	scratch_load_b64 v[208:209], off, off offset:16 ; 8-byte Folded Reload
	v_ashrrev_i32_e32 v249, 31, v248
	s_delay_alu instid0(VALU_DEP_1) | instskip(SKIP_1) | instid1(VALU_DEP_1)
	v_lshlrev_b64 v[212:213], 2, v[248:249]
	s_waitcnt vmcnt(0)
	v_add_co_u32 v212, vcc_lo, v208, v212
	s_delay_alu instid0(VALU_DEP_2)
	v_add_co_ci_u32_e32 v213, vcc_lo, v209, v213, vcc_lo
	s_clause 0x1
	flat_load_b32 v214, v[212:213]
	flat_load_b32 v215, v[208:209] offset:196
	s_waitcnt vmcnt(1) lgkmcnt(1)
	flat_store_b32 v[208:209], v214 offset:196
	s_waitcnt vmcnt(0) lgkmcnt(1)
	flat_store_b32 v[212:213], v215
.LBB118_1043:
	s_or_b32 exec_lo, exec_lo, s4
	v_mov_b32_e32 v255, v248
	v_mov_b32_e32 v244, v248
.LBB118_1044:
	s_or_b32 exec_lo, exec_lo, s3
.LBB118_1045:
	s_and_not1_saveexec_b32 s2, s2
	s_cbranch_execz .LBB118_1047
; %bb.1046:
	v_mov_b32_e32 v255, 49
	ds_store_2addr_b64 v250, v[36:37], v[38:39] offset0:100 offset1:101
	ds_store_2addr_b64 v250, v[32:33], v[34:35] offset0:102 offset1:103
	;; [unrolled: 1-line block ×10, first 2 shown]
.LBB118_1047:
	s_or_b32 exec_lo, exec_lo, s2
	s_delay_alu instid0(SALU_CYCLE_1)
	s_mov_b32 s2, exec_lo
	s_waitcnt lgkmcnt(0)
	s_waitcnt_vscnt null, 0x0
	s_barrier
	buffer_gl0_inv
	v_cmpx_lt_i32_e32 49, v255
	s_cbranch_execz .LBB118_1049
; %bb.1048:
	v_mul_f64 v[212:213], v[240:241], v[42:43]
	v_mul_f64 v[42:43], v[242:243], v[42:43]
	ds_load_2addr_b64 v[232:235], v250 offset0:100 offset1:101
	v_fma_f64 v[212:213], v[242:243], v[40:41], v[212:213]
	v_fma_f64 v[40:41], v[240:241], v[40:41], -v[42:43]
	s_waitcnt lgkmcnt(0)
	s_delay_alu instid0(VALU_DEP_2) | instskip(SKIP_1) | instid1(VALU_DEP_2)
	v_mul_f64 v[42:43], v[234:235], v[212:213]
	v_mul_f64 v[214:215], v[232:233], v[212:213]
	v_fma_f64 v[42:43], v[232:233], v[40:41], -v[42:43]
	s_delay_alu instid0(VALU_DEP_2)
	v_fma_f64 v[214:215], v[234:235], v[40:41], v[214:215]
	ds_load_2addr_b64 v[232:235], v250 offset0:102 offset1:103
	v_add_f64 v[36:37], v[36:37], -v[42:43]
	v_add_f64 v[38:39], v[38:39], -v[214:215]
	s_waitcnt lgkmcnt(0)
	v_mul_f64 v[42:43], v[234:235], v[212:213]
	v_mul_f64 v[214:215], v[232:233], v[212:213]
	s_delay_alu instid0(VALU_DEP_2) | instskip(NEXT) | instid1(VALU_DEP_2)
	v_fma_f64 v[42:43], v[232:233], v[40:41], -v[42:43]
	v_fma_f64 v[214:215], v[234:235], v[40:41], v[214:215]
	ds_load_2addr_b64 v[232:235], v250 offset0:104 offset1:105
	v_add_f64 v[32:33], v[32:33], -v[42:43]
	v_add_f64 v[34:35], v[34:35], -v[214:215]
	s_waitcnt lgkmcnt(0)
	v_mul_f64 v[42:43], v[234:235], v[212:213]
	v_mul_f64 v[214:215], v[232:233], v[212:213]
	s_delay_alu instid0(VALU_DEP_2) | instskip(NEXT) | instid1(VALU_DEP_2)
	v_fma_f64 v[42:43], v[232:233], v[40:41], -v[42:43]
	;; [unrolled: 9-line block ×9, first 2 shown]
	v_fma_f64 v[214:215], v[234:235], v[40:41], v[214:215]
	s_delay_alu instid0(VALU_DEP_2) | instskip(NEXT) | instid1(VALU_DEP_2)
	v_add_f64 v[228:229], v[228:229], -v[42:43]
	v_add_f64 v[230:231], v[230:231], -v[214:215]
	v_dual_mov_b32 v42, v212 :: v_dual_mov_b32 v43, v213
.LBB118_1049:
	s_or_b32 exec_lo, exec_lo, s2
	v_lshl_add_u32 v212, v255, 4, v250
	s_barrier
	buffer_gl0_inv
	v_mov_b32_e32 v248, 50
	ds_store_2addr_b64 v212, v[36:37], v[38:39] offset1:1
	s_waitcnt lgkmcnt(0)
	s_barrier
	buffer_gl0_inv
	ds_load_2addr_b64 v[240:243], v250 offset0:100 offset1:101
	s_cmp_lt_i32 s12, 52
	s_cbranch_scc1 .LBB118_1052
; %bb.1050:
	v_add3_u32 v245, v254, 0, 0x330
	v_mov_b32_e32 v248, 50
	s_mov_b32 s2, 51
	s_set_inst_prefetch_distance 0x1
	.p2align	6
.LBB118_1051:                           ; =>This Inner Loop Header: Depth=1
	s_waitcnt lgkmcnt(0)
	v_cmp_gt_f64_e32 vcc_lo, 0, v[240:241]
	v_xor_b32_e32 v212, 0x80000000, v241
	v_xor_b32_e32 v214, 0x80000000, v243
	ds_load_2addr_b64 v[232:235], v245 offset1:1
	v_add_nc_u32_e32 v245, 16, v245
	s_waitcnt lgkmcnt(0)
	v_xor_b32_e32 v216, 0x80000000, v235
	v_cndmask_b32_e32 v213, v241, v212, vcc_lo
	v_cndmask_b32_e32 v212, v240, v240, vcc_lo
	v_cmp_gt_f64_e32 vcc_lo, 0, v[242:243]
	v_cndmask_b32_e32 v215, v243, v214, vcc_lo
	v_cndmask_b32_e32 v214, v242, v242, vcc_lo
	v_cmp_gt_f64_e32 vcc_lo, 0, v[232:233]
	s_delay_alu instid0(VALU_DEP_2) | instskip(SKIP_1) | instid1(VALU_DEP_1)
	v_add_f64 v[212:213], v[212:213], v[214:215]
	v_xor_b32_e32 v214, 0x80000000, v233
	v_dual_cndmask_b32 v215, v233, v214 :: v_dual_mov_b32 v214, v232
	v_cmp_gt_f64_e32 vcc_lo, 0, v[234:235]
	v_dual_cndmask_b32 v217, v235, v216 :: v_dual_mov_b32 v216, v234
	s_delay_alu instid0(VALU_DEP_1) | instskip(NEXT) | instid1(VALU_DEP_1)
	v_add_f64 v[214:215], v[214:215], v[216:217]
	v_cmp_lt_f64_e32 vcc_lo, v[212:213], v[214:215]
	v_dual_cndmask_b32 v241, v241, v233 :: v_dual_cndmask_b32 v240, v240, v232
	v_dual_cndmask_b32 v243, v243, v235 :: v_dual_cndmask_b32 v242, v242, v234
	v_cndmask_b32_e64 v248, v248, s2, vcc_lo
	s_add_i32 s2, s2, 1
	s_delay_alu instid0(SALU_CYCLE_1)
	s_cmp_lg_u32 s12, s2
	s_cbranch_scc1 .LBB118_1051
.LBB118_1052:
	s_set_inst_prefetch_distance 0x2
	s_waitcnt lgkmcnt(0)
	v_cmp_eq_f64_e32 vcc_lo, 0, v[240:241]
	v_cmp_eq_f64_e64 s2, 0, v[242:243]
	s_delay_alu instid0(VALU_DEP_1) | instskip(NEXT) | instid1(SALU_CYCLE_1)
	s_and_b32 s2, vcc_lo, s2
	s_and_saveexec_b32 s3, s2
	s_delay_alu instid0(SALU_CYCLE_1)
	s_xor_b32 s2, exec_lo, s3
; %bb.1053:
	v_cmp_ne_u32_e32 vcc_lo, 0, v253
	v_cndmask_b32_e32 v253, 51, v253, vcc_lo
; %bb.1054:
	s_and_not1_saveexec_b32 s2, s2
	s_cbranch_execz .LBB118_1060
; %bb.1055:
	v_cmp_gt_f64_e32 vcc_lo, 0, v[240:241]
	v_xor_b32_e32 v212, 0x80000000, v241
	v_xor_b32_e32 v214, 0x80000000, v243
	s_mov_b32 s3, exec_lo
	s_delay_alu instid0(VALU_DEP_2) | instskip(SKIP_4) | instid1(VALU_DEP_1)
	v_cndmask_b32_e32 v213, v241, v212, vcc_lo
	v_cndmask_b32_e32 v212, v240, v240, vcc_lo
	v_cmp_gt_f64_e32 vcc_lo, 0, v[242:243]
	v_cndmask_b32_e32 v215, v243, v214, vcc_lo
	v_cndmask_b32_e32 v214, v242, v242, vcc_lo
	v_cmpx_ngt_f64_e32 v[212:213], v[214:215]
	s_xor_b32 s3, exec_lo, s3
	s_cbranch_execz .LBB118_1057
; %bb.1056:
	v_div_scale_f64 v[212:213], null, v[242:243], v[242:243], v[240:241]
	v_div_scale_f64 v[218:219], vcc_lo, v[240:241], v[242:243], v[240:241]
	s_delay_alu instid0(VALU_DEP_2) | instskip(SKIP_2) | instid1(VALU_DEP_1)
	v_rcp_f64_e32 v[214:215], v[212:213]
	s_waitcnt_depctr 0xfff
	v_fma_f64 v[216:217], -v[212:213], v[214:215], 1.0
	v_fma_f64 v[214:215], v[214:215], v[216:217], v[214:215]
	s_delay_alu instid0(VALU_DEP_1) | instskip(NEXT) | instid1(VALU_DEP_1)
	v_fma_f64 v[216:217], -v[212:213], v[214:215], 1.0
	v_fma_f64 v[214:215], v[214:215], v[216:217], v[214:215]
	s_delay_alu instid0(VALU_DEP_1) | instskip(NEXT) | instid1(VALU_DEP_1)
	v_mul_f64 v[216:217], v[218:219], v[214:215]
	v_fma_f64 v[212:213], -v[212:213], v[216:217], v[218:219]
	s_delay_alu instid0(VALU_DEP_1) | instskip(NEXT) | instid1(VALU_DEP_1)
	v_div_fmas_f64 v[212:213], v[212:213], v[214:215], v[216:217]
	v_div_fixup_f64 v[212:213], v[212:213], v[242:243], v[240:241]
	s_delay_alu instid0(VALU_DEP_1) | instskip(NEXT) | instid1(VALU_DEP_1)
	v_fma_f64 v[214:215], v[240:241], v[212:213], v[242:243]
	v_div_scale_f64 v[216:217], null, v[214:215], v[214:215], 1.0
	s_delay_alu instid0(VALU_DEP_1) | instskip(SKIP_2) | instid1(VALU_DEP_1)
	v_rcp_f64_e32 v[218:219], v[216:217]
	s_waitcnt_depctr 0xfff
	v_fma_f64 v[220:221], -v[216:217], v[218:219], 1.0
	v_fma_f64 v[218:219], v[218:219], v[220:221], v[218:219]
	s_delay_alu instid0(VALU_DEP_1) | instskip(NEXT) | instid1(VALU_DEP_1)
	v_fma_f64 v[220:221], -v[216:217], v[218:219], 1.0
	v_fma_f64 v[218:219], v[218:219], v[220:221], v[218:219]
	v_div_scale_f64 v[220:221], vcc_lo, 1.0, v[214:215], 1.0
	s_delay_alu instid0(VALU_DEP_1) | instskip(NEXT) | instid1(VALU_DEP_1)
	v_mul_f64 v[222:223], v[220:221], v[218:219]
	v_fma_f64 v[216:217], -v[216:217], v[222:223], v[220:221]
	s_delay_alu instid0(VALU_DEP_1) | instskip(NEXT) | instid1(VALU_DEP_1)
	v_div_fmas_f64 v[216:217], v[216:217], v[218:219], v[222:223]
	v_div_fixup_f64 v[242:243], v[216:217], v[214:215], 1.0
	s_delay_alu instid0(VALU_DEP_1)
	v_mul_f64 v[240:241], v[212:213], v[242:243]
	v_xor_b32_e32 v243, 0x80000000, v243
.LBB118_1057:
	s_and_not1_saveexec_b32 s3, s3
	s_cbranch_execz .LBB118_1059
; %bb.1058:
	s_delay_alu instid0(VALU_DEP_1) | instskip(SKIP_1) | instid1(VALU_DEP_2)
	v_div_scale_f64 v[212:213], null, v[240:241], v[240:241], v[242:243]
	v_div_scale_f64 v[218:219], vcc_lo, v[242:243], v[240:241], v[242:243]
	v_rcp_f64_e32 v[214:215], v[212:213]
	s_waitcnt_depctr 0xfff
	v_fma_f64 v[216:217], -v[212:213], v[214:215], 1.0
	s_delay_alu instid0(VALU_DEP_1) | instskip(NEXT) | instid1(VALU_DEP_1)
	v_fma_f64 v[214:215], v[214:215], v[216:217], v[214:215]
	v_fma_f64 v[216:217], -v[212:213], v[214:215], 1.0
	s_delay_alu instid0(VALU_DEP_1) | instskip(NEXT) | instid1(VALU_DEP_1)
	v_fma_f64 v[214:215], v[214:215], v[216:217], v[214:215]
	v_mul_f64 v[216:217], v[218:219], v[214:215]
	s_delay_alu instid0(VALU_DEP_1) | instskip(NEXT) | instid1(VALU_DEP_1)
	v_fma_f64 v[212:213], -v[212:213], v[216:217], v[218:219]
	v_div_fmas_f64 v[212:213], v[212:213], v[214:215], v[216:217]
	s_delay_alu instid0(VALU_DEP_1) | instskip(NEXT) | instid1(VALU_DEP_1)
	v_div_fixup_f64 v[212:213], v[212:213], v[240:241], v[242:243]
	v_fma_f64 v[214:215], v[242:243], v[212:213], v[240:241]
	s_delay_alu instid0(VALU_DEP_1) | instskip(NEXT) | instid1(VALU_DEP_1)
	v_div_scale_f64 v[216:217], null, v[214:215], v[214:215], 1.0
	v_rcp_f64_e32 v[218:219], v[216:217]
	s_waitcnt_depctr 0xfff
	v_fma_f64 v[220:221], -v[216:217], v[218:219], 1.0
	s_delay_alu instid0(VALU_DEP_1) | instskip(NEXT) | instid1(VALU_DEP_1)
	v_fma_f64 v[218:219], v[218:219], v[220:221], v[218:219]
	v_fma_f64 v[220:221], -v[216:217], v[218:219], 1.0
	s_delay_alu instid0(VALU_DEP_1) | instskip(SKIP_1) | instid1(VALU_DEP_1)
	v_fma_f64 v[218:219], v[218:219], v[220:221], v[218:219]
	v_div_scale_f64 v[220:221], vcc_lo, 1.0, v[214:215], 1.0
	v_mul_f64 v[222:223], v[220:221], v[218:219]
	s_delay_alu instid0(VALU_DEP_1) | instskip(NEXT) | instid1(VALU_DEP_1)
	v_fma_f64 v[216:217], -v[216:217], v[222:223], v[220:221]
	v_div_fmas_f64 v[216:217], v[216:217], v[218:219], v[222:223]
	s_delay_alu instid0(VALU_DEP_1) | instskip(NEXT) | instid1(VALU_DEP_1)
	v_div_fixup_f64 v[240:241], v[216:217], v[214:215], 1.0
	v_mul_f64 v[242:243], v[212:213], -v[240:241]
.LBB118_1059:
	s_or_b32 exec_lo, exec_lo, s3
.LBB118_1060:
	s_delay_alu instid0(SALU_CYCLE_1) | instskip(NEXT) | instid1(SALU_CYCLE_1)
	s_or_b32 exec_lo, exec_lo, s2
	s_mov_b32 s2, exec_lo
	v_cmpx_ne_u32_e64 v255, v248
	s_xor_b32 s2, exec_lo, s2
	s_cbranch_execz .LBB118_1066
; %bb.1061:
	s_mov_b32 s3, exec_lo
	v_cmpx_eq_u32_e32 50, v255
	s_cbranch_execz .LBB118_1065
; %bb.1062:
	v_cmp_ne_u32_e32 vcc_lo, 50, v248
	s_xor_b32 s4, s5, -1
	s_delay_alu instid0(SALU_CYCLE_1) | instskip(NEXT) | instid1(SALU_CYCLE_1)
	s_and_b32 s6, s4, vcc_lo
	s_and_saveexec_b32 s4, s6
	s_cbranch_execz .LBB118_1064
; %bb.1063:
	scratch_load_b64 v[208:209], off, off offset:16 ; 8-byte Folded Reload
	v_ashrrev_i32_e32 v249, 31, v248
	s_delay_alu instid0(VALU_DEP_1) | instskip(SKIP_1) | instid1(VALU_DEP_1)
	v_lshlrev_b64 v[212:213], 2, v[248:249]
	s_waitcnt vmcnt(0)
	v_add_co_u32 v212, vcc_lo, v208, v212
	s_delay_alu instid0(VALU_DEP_2)
	v_add_co_ci_u32_e32 v213, vcc_lo, v209, v213, vcc_lo
	s_clause 0x1
	flat_load_b32 v214, v[212:213]
	flat_load_b32 v215, v[208:209] offset:200
	s_waitcnt vmcnt(1) lgkmcnt(1)
	flat_store_b32 v[208:209], v214 offset:200
	s_waitcnt vmcnt(0) lgkmcnt(1)
	flat_store_b32 v[212:213], v215
.LBB118_1064:
	s_or_b32 exec_lo, exec_lo, s4
	v_mov_b32_e32 v255, v248
	v_mov_b32_e32 v244, v248
.LBB118_1065:
	s_or_b32 exec_lo, exec_lo, s3
.LBB118_1066:
	s_and_not1_saveexec_b32 s2, s2
	s_cbranch_execz .LBB118_1068
; %bb.1067:
	v_mov_b32_e32 v255, 50
	ds_store_2addr_b64 v250, v[32:33], v[34:35] offset0:102 offset1:103
	ds_store_2addr_b64 v250, v[28:29], v[30:31] offset0:104 offset1:105
	;; [unrolled: 1-line block ×9, first 2 shown]
.LBB118_1068:
	s_or_b32 exec_lo, exec_lo, s2
	s_delay_alu instid0(SALU_CYCLE_1)
	s_mov_b32 s2, exec_lo
	s_waitcnt lgkmcnt(0)
	s_waitcnt_vscnt null, 0x0
	s_barrier
	buffer_gl0_inv
	v_cmpx_lt_i32_e32 50, v255
	s_cbranch_execz .LBB118_1070
; %bb.1069:
	v_mul_f64 v[212:213], v[240:241], v[38:39]
	v_mul_f64 v[38:39], v[242:243], v[38:39]
	ds_load_2addr_b64 v[232:235], v250 offset0:102 offset1:103
	v_fma_f64 v[212:213], v[242:243], v[36:37], v[212:213]
	v_fma_f64 v[36:37], v[240:241], v[36:37], -v[38:39]
	s_waitcnt lgkmcnt(0)
	s_delay_alu instid0(VALU_DEP_2) | instskip(SKIP_1) | instid1(VALU_DEP_2)
	v_mul_f64 v[38:39], v[234:235], v[212:213]
	v_mul_f64 v[214:215], v[232:233], v[212:213]
	v_fma_f64 v[38:39], v[232:233], v[36:37], -v[38:39]
	s_delay_alu instid0(VALU_DEP_2)
	v_fma_f64 v[214:215], v[234:235], v[36:37], v[214:215]
	ds_load_2addr_b64 v[232:235], v250 offset0:104 offset1:105
	v_add_f64 v[32:33], v[32:33], -v[38:39]
	v_add_f64 v[34:35], v[34:35], -v[214:215]
	s_waitcnt lgkmcnt(0)
	v_mul_f64 v[38:39], v[234:235], v[212:213]
	v_mul_f64 v[214:215], v[232:233], v[212:213]
	s_delay_alu instid0(VALU_DEP_2) | instskip(NEXT) | instid1(VALU_DEP_2)
	v_fma_f64 v[38:39], v[232:233], v[36:37], -v[38:39]
	v_fma_f64 v[214:215], v[234:235], v[36:37], v[214:215]
	ds_load_2addr_b64 v[232:235], v250 offset0:106 offset1:107
	v_add_f64 v[28:29], v[28:29], -v[38:39]
	v_add_f64 v[30:31], v[30:31], -v[214:215]
	s_waitcnt lgkmcnt(0)
	v_mul_f64 v[38:39], v[234:235], v[212:213]
	v_mul_f64 v[214:215], v[232:233], v[212:213]
	s_delay_alu instid0(VALU_DEP_2) | instskip(NEXT) | instid1(VALU_DEP_2)
	v_fma_f64 v[38:39], v[232:233], v[36:37], -v[38:39]
	;; [unrolled: 9-line block ×8, first 2 shown]
	v_fma_f64 v[214:215], v[234:235], v[36:37], v[214:215]
	s_delay_alu instid0(VALU_DEP_2) | instskip(NEXT) | instid1(VALU_DEP_2)
	v_add_f64 v[228:229], v[228:229], -v[38:39]
	v_add_f64 v[230:231], v[230:231], -v[214:215]
	v_dual_mov_b32 v38, v212 :: v_dual_mov_b32 v39, v213
.LBB118_1070:
	s_or_b32 exec_lo, exec_lo, s2
	v_lshl_add_u32 v212, v255, 4, v250
	s_barrier
	buffer_gl0_inv
	v_mov_b32_e32 v248, 51
	ds_store_2addr_b64 v212, v[32:33], v[34:35] offset1:1
	s_waitcnt lgkmcnt(0)
	s_barrier
	buffer_gl0_inv
	ds_load_2addr_b64 v[240:243], v250 offset0:102 offset1:103
	s_cmp_lt_i32 s12, 53
	s_cbranch_scc1 .LBB118_1073
; %bb.1071:
	v_add3_u32 v245, v254, 0, 0x340
	v_mov_b32_e32 v248, 51
	s_mov_b32 s2, 52
	s_set_inst_prefetch_distance 0x1
	.p2align	6
.LBB118_1072:                           ; =>This Inner Loop Header: Depth=1
	s_waitcnt lgkmcnt(0)
	v_cmp_gt_f64_e32 vcc_lo, 0, v[240:241]
	v_xor_b32_e32 v212, 0x80000000, v241
	v_xor_b32_e32 v214, 0x80000000, v243
	ds_load_2addr_b64 v[232:235], v245 offset1:1
	v_add_nc_u32_e32 v245, 16, v245
	s_waitcnt lgkmcnt(0)
	v_xor_b32_e32 v216, 0x80000000, v235
	v_cndmask_b32_e32 v213, v241, v212, vcc_lo
	v_cndmask_b32_e32 v212, v240, v240, vcc_lo
	v_cmp_gt_f64_e32 vcc_lo, 0, v[242:243]
	v_cndmask_b32_e32 v215, v243, v214, vcc_lo
	v_cndmask_b32_e32 v214, v242, v242, vcc_lo
	v_cmp_gt_f64_e32 vcc_lo, 0, v[232:233]
	s_delay_alu instid0(VALU_DEP_2) | instskip(SKIP_1) | instid1(VALU_DEP_1)
	v_add_f64 v[212:213], v[212:213], v[214:215]
	v_xor_b32_e32 v214, 0x80000000, v233
	v_dual_cndmask_b32 v215, v233, v214 :: v_dual_mov_b32 v214, v232
	v_cmp_gt_f64_e32 vcc_lo, 0, v[234:235]
	v_dual_cndmask_b32 v217, v235, v216 :: v_dual_mov_b32 v216, v234
	s_delay_alu instid0(VALU_DEP_1) | instskip(NEXT) | instid1(VALU_DEP_1)
	v_add_f64 v[214:215], v[214:215], v[216:217]
	v_cmp_lt_f64_e32 vcc_lo, v[212:213], v[214:215]
	v_dual_cndmask_b32 v241, v241, v233 :: v_dual_cndmask_b32 v240, v240, v232
	v_dual_cndmask_b32 v243, v243, v235 :: v_dual_cndmask_b32 v242, v242, v234
	v_cndmask_b32_e64 v248, v248, s2, vcc_lo
	s_add_i32 s2, s2, 1
	s_delay_alu instid0(SALU_CYCLE_1)
	s_cmp_lg_u32 s12, s2
	s_cbranch_scc1 .LBB118_1072
.LBB118_1073:
	s_set_inst_prefetch_distance 0x2
	s_waitcnt lgkmcnt(0)
	v_cmp_eq_f64_e32 vcc_lo, 0, v[240:241]
	v_cmp_eq_f64_e64 s2, 0, v[242:243]
	s_delay_alu instid0(VALU_DEP_1) | instskip(NEXT) | instid1(SALU_CYCLE_1)
	s_and_b32 s2, vcc_lo, s2
	s_and_saveexec_b32 s3, s2
	s_delay_alu instid0(SALU_CYCLE_1)
	s_xor_b32 s2, exec_lo, s3
; %bb.1074:
	v_cmp_ne_u32_e32 vcc_lo, 0, v253
	v_cndmask_b32_e32 v253, 52, v253, vcc_lo
; %bb.1075:
	s_and_not1_saveexec_b32 s2, s2
	s_cbranch_execz .LBB118_1081
; %bb.1076:
	v_cmp_gt_f64_e32 vcc_lo, 0, v[240:241]
	v_xor_b32_e32 v212, 0x80000000, v241
	v_xor_b32_e32 v214, 0x80000000, v243
	s_mov_b32 s3, exec_lo
	s_delay_alu instid0(VALU_DEP_2) | instskip(SKIP_4) | instid1(VALU_DEP_1)
	v_cndmask_b32_e32 v213, v241, v212, vcc_lo
	v_cndmask_b32_e32 v212, v240, v240, vcc_lo
	v_cmp_gt_f64_e32 vcc_lo, 0, v[242:243]
	v_cndmask_b32_e32 v215, v243, v214, vcc_lo
	v_cndmask_b32_e32 v214, v242, v242, vcc_lo
	v_cmpx_ngt_f64_e32 v[212:213], v[214:215]
	s_xor_b32 s3, exec_lo, s3
	s_cbranch_execz .LBB118_1078
; %bb.1077:
	v_div_scale_f64 v[212:213], null, v[242:243], v[242:243], v[240:241]
	v_div_scale_f64 v[218:219], vcc_lo, v[240:241], v[242:243], v[240:241]
	s_delay_alu instid0(VALU_DEP_2) | instskip(SKIP_2) | instid1(VALU_DEP_1)
	v_rcp_f64_e32 v[214:215], v[212:213]
	s_waitcnt_depctr 0xfff
	v_fma_f64 v[216:217], -v[212:213], v[214:215], 1.0
	v_fma_f64 v[214:215], v[214:215], v[216:217], v[214:215]
	s_delay_alu instid0(VALU_DEP_1) | instskip(NEXT) | instid1(VALU_DEP_1)
	v_fma_f64 v[216:217], -v[212:213], v[214:215], 1.0
	v_fma_f64 v[214:215], v[214:215], v[216:217], v[214:215]
	s_delay_alu instid0(VALU_DEP_1) | instskip(NEXT) | instid1(VALU_DEP_1)
	v_mul_f64 v[216:217], v[218:219], v[214:215]
	v_fma_f64 v[212:213], -v[212:213], v[216:217], v[218:219]
	s_delay_alu instid0(VALU_DEP_1) | instskip(NEXT) | instid1(VALU_DEP_1)
	v_div_fmas_f64 v[212:213], v[212:213], v[214:215], v[216:217]
	v_div_fixup_f64 v[212:213], v[212:213], v[242:243], v[240:241]
	s_delay_alu instid0(VALU_DEP_1) | instskip(NEXT) | instid1(VALU_DEP_1)
	v_fma_f64 v[214:215], v[240:241], v[212:213], v[242:243]
	v_div_scale_f64 v[216:217], null, v[214:215], v[214:215], 1.0
	s_delay_alu instid0(VALU_DEP_1) | instskip(SKIP_2) | instid1(VALU_DEP_1)
	v_rcp_f64_e32 v[218:219], v[216:217]
	s_waitcnt_depctr 0xfff
	v_fma_f64 v[220:221], -v[216:217], v[218:219], 1.0
	v_fma_f64 v[218:219], v[218:219], v[220:221], v[218:219]
	s_delay_alu instid0(VALU_DEP_1) | instskip(NEXT) | instid1(VALU_DEP_1)
	v_fma_f64 v[220:221], -v[216:217], v[218:219], 1.0
	v_fma_f64 v[218:219], v[218:219], v[220:221], v[218:219]
	v_div_scale_f64 v[220:221], vcc_lo, 1.0, v[214:215], 1.0
	s_delay_alu instid0(VALU_DEP_1) | instskip(NEXT) | instid1(VALU_DEP_1)
	v_mul_f64 v[222:223], v[220:221], v[218:219]
	v_fma_f64 v[216:217], -v[216:217], v[222:223], v[220:221]
	s_delay_alu instid0(VALU_DEP_1) | instskip(NEXT) | instid1(VALU_DEP_1)
	v_div_fmas_f64 v[216:217], v[216:217], v[218:219], v[222:223]
	v_div_fixup_f64 v[242:243], v[216:217], v[214:215], 1.0
	s_delay_alu instid0(VALU_DEP_1)
	v_mul_f64 v[240:241], v[212:213], v[242:243]
	v_xor_b32_e32 v243, 0x80000000, v243
.LBB118_1078:
	s_and_not1_saveexec_b32 s3, s3
	s_cbranch_execz .LBB118_1080
; %bb.1079:
	s_delay_alu instid0(VALU_DEP_1) | instskip(SKIP_1) | instid1(VALU_DEP_2)
	v_div_scale_f64 v[212:213], null, v[240:241], v[240:241], v[242:243]
	v_div_scale_f64 v[218:219], vcc_lo, v[242:243], v[240:241], v[242:243]
	v_rcp_f64_e32 v[214:215], v[212:213]
	s_waitcnt_depctr 0xfff
	v_fma_f64 v[216:217], -v[212:213], v[214:215], 1.0
	s_delay_alu instid0(VALU_DEP_1) | instskip(NEXT) | instid1(VALU_DEP_1)
	v_fma_f64 v[214:215], v[214:215], v[216:217], v[214:215]
	v_fma_f64 v[216:217], -v[212:213], v[214:215], 1.0
	s_delay_alu instid0(VALU_DEP_1) | instskip(NEXT) | instid1(VALU_DEP_1)
	v_fma_f64 v[214:215], v[214:215], v[216:217], v[214:215]
	v_mul_f64 v[216:217], v[218:219], v[214:215]
	s_delay_alu instid0(VALU_DEP_1) | instskip(NEXT) | instid1(VALU_DEP_1)
	v_fma_f64 v[212:213], -v[212:213], v[216:217], v[218:219]
	v_div_fmas_f64 v[212:213], v[212:213], v[214:215], v[216:217]
	s_delay_alu instid0(VALU_DEP_1) | instskip(NEXT) | instid1(VALU_DEP_1)
	v_div_fixup_f64 v[212:213], v[212:213], v[240:241], v[242:243]
	v_fma_f64 v[214:215], v[242:243], v[212:213], v[240:241]
	s_delay_alu instid0(VALU_DEP_1) | instskip(NEXT) | instid1(VALU_DEP_1)
	v_div_scale_f64 v[216:217], null, v[214:215], v[214:215], 1.0
	v_rcp_f64_e32 v[218:219], v[216:217]
	s_waitcnt_depctr 0xfff
	v_fma_f64 v[220:221], -v[216:217], v[218:219], 1.0
	s_delay_alu instid0(VALU_DEP_1) | instskip(NEXT) | instid1(VALU_DEP_1)
	v_fma_f64 v[218:219], v[218:219], v[220:221], v[218:219]
	v_fma_f64 v[220:221], -v[216:217], v[218:219], 1.0
	s_delay_alu instid0(VALU_DEP_1) | instskip(SKIP_1) | instid1(VALU_DEP_1)
	v_fma_f64 v[218:219], v[218:219], v[220:221], v[218:219]
	v_div_scale_f64 v[220:221], vcc_lo, 1.0, v[214:215], 1.0
	v_mul_f64 v[222:223], v[220:221], v[218:219]
	s_delay_alu instid0(VALU_DEP_1) | instskip(NEXT) | instid1(VALU_DEP_1)
	v_fma_f64 v[216:217], -v[216:217], v[222:223], v[220:221]
	v_div_fmas_f64 v[216:217], v[216:217], v[218:219], v[222:223]
	s_delay_alu instid0(VALU_DEP_1) | instskip(NEXT) | instid1(VALU_DEP_1)
	v_div_fixup_f64 v[240:241], v[216:217], v[214:215], 1.0
	v_mul_f64 v[242:243], v[212:213], -v[240:241]
.LBB118_1080:
	s_or_b32 exec_lo, exec_lo, s3
.LBB118_1081:
	s_delay_alu instid0(SALU_CYCLE_1) | instskip(NEXT) | instid1(SALU_CYCLE_1)
	s_or_b32 exec_lo, exec_lo, s2
	s_mov_b32 s2, exec_lo
	v_cmpx_ne_u32_e64 v255, v248
	s_xor_b32 s2, exec_lo, s2
	s_cbranch_execz .LBB118_1087
; %bb.1082:
	s_mov_b32 s3, exec_lo
	v_cmpx_eq_u32_e32 51, v255
	s_cbranch_execz .LBB118_1086
; %bb.1083:
	v_cmp_ne_u32_e32 vcc_lo, 51, v248
	s_xor_b32 s4, s5, -1
	s_delay_alu instid0(SALU_CYCLE_1) | instskip(NEXT) | instid1(SALU_CYCLE_1)
	s_and_b32 s6, s4, vcc_lo
	s_and_saveexec_b32 s4, s6
	s_cbranch_execz .LBB118_1085
; %bb.1084:
	scratch_load_b64 v[208:209], off, off offset:16 ; 8-byte Folded Reload
	v_ashrrev_i32_e32 v249, 31, v248
	s_delay_alu instid0(VALU_DEP_1) | instskip(SKIP_1) | instid1(VALU_DEP_1)
	v_lshlrev_b64 v[212:213], 2, v[248:249]
	s_waitcnt vmcnt(0)
	v_add_co_u32 v212, vcc_lo, v208, v212
	s_delay_alu instid0(VALU_DEP_2)
	v_add_co_ci_u32_e32 v213, vcc_lo, v209, v213, vcc_lo
	s_clause 0x1
	flat_load_b32 v214, v[212:213]
	flat_load_b32 v215, v[208:209] offset:204
	s_waitcnt vmcnt(1) lgkmcnt(1)
	flat_store_b32 v[208:209], v214 offset:204
	s_waitcnt vmcnt(0) lgkmcnt(1)
	flat_store_b32 v[212:213], v215
.LBB118_1085:
	s_or_b32 exec_lo, exec_lo, s4
	v_mov_b32_e32 v255, v248
	v_mov_b32_e32 v244, v248
.LBB118_1086:
	s_or_b32 exec_lo, exec_lo, s3
.LBB118_1087:
	s_and_not1_saveexec_b32 s2, s2
	s_cbranch_execz .LBB118_1089
; %bb.1088:
	v_mov_b32_e32 v255, 51
	ds_store_2addr_b64 v250, v[28:29], v[30:31] offset0:104 offset1:105
	ds_store_2addr_b64 v250, v[24:25], v[26:27] offset0:106 offset1:107
	;; [unrolled: 1-line block ×8, first 2 shown]
.LBB118_1089:
	s_or_b32 exec_lo, exec_lo, s2
	s_delay_alu instid0(SALU_CYCLE_1)
	s_mov_b32 s2, exec_lo
	s_waitcnt lgkmcnt(0)
	s_waitcnt_vscnt null, 0x0
	s_barrier
	buffer_gl0_inv
	v_cmpx_lt_i32_e32 51, v255
	s_cbranch_execz .LBB118_1091
; %bb.1090:
	v_mul_f64 v[212:213], v[240:241], v[34:35]
	v_mul_f64 v[34:35], v[242:243], v[34:35]
	ds_load_2addr_b64 v[232:235], v250 offset0:104 offset1:105
	v_fma_f64 v[212:213], v[242:243], v[32:33], v[212:213]
	v_fma_f64 v[32:33], v[240:241], v[32:33], -v[34:35]
	s_waitcnt lgkmcnt(0)
	s_delay_alu instid0(VALU_DEP_2) | instskip(SKIP_1) | instid1(VALU_DEP_2)
	v_mul_f64 v[34:35], v[234:235], v[212:213]
	v_mul_f64 v[214:215], v[232:233], v[212:213]
	v_fma_f64 v[34:35], v[232:233], v[32:33], -v[34:35]
	s_delay_alu instid0(VALU_DEP_2)
	v_fma_f64 v[214:215], v[234:235], v[32:33], v[214:215]
	ds_load_2addr_b64 v[232:235], v250 offset0:106 offset1:107
	v_add_f64 v[28:29], v[28:29], -v[34:35]
	v_add_f64 v[30:31], v[30:31], -v[214:215]
	s_waitcnt lgkmcnt(0)
	v_mul_f64 v[34:35], v[234:235], v[212:213]
	v_mul_f64 v[214:215], v[232:233], v[212:213]
	s_delay_alu instid0(VALU_DEP_2) | instskip(NEXT) | instid1(VALU_DEP_2)
	v_fma_f64 v[34:35], v[232:233], v[32:33], -v[34:35]
	v_fma_f64 v[214:215], v[234:235], v[32:33], v[214:215]
	ds_load_2addr_b64 v[232:235], v250 offset0:108 offset1:109
	v_add_f64 v[24:25], v[24:25], -v[34:35]
	v_add_f64 v[26:27], v[26:27], -v[214:215]
	s_waitcnt lgkmcnt(0)
	v_mul_f64 v[34:35], v[234:235], v[212:213]
	v_mul_f64 v[214:215], v[232:233], v[212:213]
	s_delay_alu instid0(VALU_DEP_2) | instskip(NEXT) | instid1(VALU_DEP_2)
	v_fma_f64 v[34:35], v[232:233], v[32:33], -v[34:35]
	;; [unrolled: 9-line block ×7, first 2 shown]
	v_fma_f64 v[214:215], v[234:235], v[32:33], v[214:215]
	s_delay_alu instid0(VALU_DEP_2) | instskip(NEXT) | instid1(VALU_DEP_2)
	v_add_f64 v[228:229], v[228:229], -v[34:35]
	v_add_f64 v[230:231], v[230:231], -v[214:215]
	v_dual_mov_b32 v34, v212 :: v_dual_mov_b32 v35, v213
.LBB118_1091:
	s_or_b32 exec_lo, exec_lo, s2
	v_lshl_add_u32 v212, v255, 4, v250
	s_barrier
	buffer_gl0_inv
	v_mov_b32_e32 v248, 52
	ds_store_2addr_b64 v212, v[28:29], v[30:31] offset1:1
	s_waitcnt lgkmcnt(0)
	s_barrier
	buffer_gl0_inv
	ds_load_2addr_b64 v[240:243], v250 offset0:104 offset1:105
	s_cmp_lt_i32 s12, 54
	s_cbranch_scc1 .LBB118_1094
; %bb.1092:
	v_add3_u32 v245, v254, 0, 0x350
	v_mov_b32_e32 v248, 52
	s_mov_b32 s2, 53
	s_set_inst_prefetch_distance 0x1
	.p2align	6
.LBB118_1093:                           ; =>This Inner Loop Header: Depth=1
	s_waitcnt lgkmcnt(0)
	v_cmp_gt_f64_e32 vcc_lo, 0, v[240:241]
	v_xor_b32_e32 v212, 0x80000000, v241
	v_xor_b32_e32 v214, 0x80000000, v243
	ds_load_2addr_b64 v[232:235], v245 offset1:1
	v_add_nc_u32_e32 v245, 16, v245
	s_waitcnt lgkmcnt(0)
	v_xor_b32_e32 v216, 0x80000000, v235
	v_cndmask_b32_e32 v213, v241, v212, vcc_lo
	v_cndmask_b32_e32 v212, v240, v240, vcc_lo
	v_cmp_gt_f64_e32 vcc_lo, 0, v[242:243]
	v_cndmask_b32_e32 v215, v243, v214, vcc_lo
	v_cndmask_b32_e32 v214, v242, v242, vcc_lo
	v_cmp_gt_f64_e32 vcc_lo, 0, v[232:233]
	s_delay_alu instid0(VALU_DEP_2) | instskip(SKIP_1) | instid1(VALU_DEP_1)
	v_add_f64 v[212:213], v[212:213], v[214:215]
	v_xor_b32_e32 v214, 0x80000000, v233
	v_dual_cndmask_b32 v215, v233, v214 :: v_dual_mov_b32 v214, v232
	v_cmp_gt_f64_e32 vcc_lo, 0, v[234:235]
	v_dual_cndmask_b32 v217, v235, v216 :: v_dual_mov_b32 v216, v234
	s_delay_alu instid0(VALU_DEP_1) | instskip(NEXT) | instid1(VALU_DEP_1)
	v_add_f64 v[214:215], v[214:215], v[216:217]
	v_cmp_lt_f64_e32 vcc_lo, v[212:213], v[214:215]
	v_dual_cndmask_b32 v241, v241, v233 :: v_dual_cndmask_b32 v240, v240, v232
	v_dual_cndmask_b32 v243, v243, v235 :: v_dual_cndmask_b32 v242, v242, v234
	v_cndmask_b32_e64 v248, v248, s2, vcc_lo
	s_add_i32 s2, s2, 1
	s_delay_alu instid0(SALU_CYCLE_1)
	s_cmp_lg_u32 s12, s2
	s_cbranch_scc1 .LBB118_1093
.LBB118_1094:
	s_set_inst_prefetch_distance 0x2
	s_waitcnt lgkmcnt(0)
	v_cmp_eq_f64_e32 vcc_lo, 0, v[240:241]
	v_cmp_eq_f64_e64 s2, 0, v[242:243]
	s_delay_alu instid0(VALU_DEP_1) | instskip(NEXT) | instid1(SALU_CYCLE_1)
	s_and_b32 s2, vcc_lo, s2
	s_and_saveexec_b32 s3, s2
	s_delay_alu instid0(SALU_CYCLE_1)
	s_xor_b32 s2, exec_lo, s3
; %bb.1095:
	v_cmp_ne_u32_e32 vcc_lo, 0, v253
	v_cndmask_b32_e32 v253, 53, v253, vcc_lo
; %bb.1096:
	s_and_not1_saveexec_b32 s2, s2
	s_cbranch_execz .LBB118_1102
; %bb.1097:
	v_cmp_gt_f64_e32 vcc_lo, 0, v[240:241]
	v_xor_b32_e32 v212, 0x80000000, v241
	v_xor_b32_e32 v214, 0x80000000, v243
	s_mov_b32 s3, exec_lo
	s_delay_alu instid0(VALU_DEP_2) | instskip(SKIP_4) | instid1(VALU_DEP_1)
	v_cndmask_b32_e32 v213, v241, v212, vcc_lo
	v_cndmask_b32_e32 v212, v240, v240, vcc_lo
	v_cmp_gt_f64_e32 vcc_lo, 0, v[242:243]
	v_cndmask_b32_e32 v215, v243, v214, vcc_lo
	v_cndmask_b32_e32 v214, v242, v242, vcc_lo
	v_cmpx_ngt_f64_e32 v[212:213], v[214:215]
	s_xor_b32 s3, exec_lo, s3
	s_cbranch_execz .LBB118_1099
; %bb.1098:
	v_div_scale_f64 v[212:213], null, v[242:243], v[242:243], v[240:241]
	v_div_scale_f64 v[218:219], vcc_lo, v[240:241], v[242:243], v[240:241]
	s_delay_alu instid0(VALU_DEP_2) | instskip(SKIP_2) | instid1(VALU_DEP_1)
	v_rcp_f64_e32 v[214:215], v[212:213]
	s_waitcnt_depctr 0xfff
	v_fma_f64 v[216:217], -v[212:213], v[214:215], 1.0
	v_fma_f64 v[214:215], v[214:215], v[216:217], v[214:215]
	s_delay_alu instid0(VALU_DEP_1) | instskip(NEXT) | instid1(VALU_DEP_1)
	v_fma_f64 v[216:217], -v[212:213], v[214:215], 1.0
	v_fma_f64 v[214:215], v[214:215], v[216:217], v[214:215]
	s_delay_alu instid0(VALU_DEP_1) | instskip(NEXT) | instid1(VALU_DEP_1)
	v_mul_f64 v[216:217], v[218:219], v[214:215]
	v_fma_f64 v[212:213], -v[212:213], v[216:217], v[218:219]
	s_delay_alu instid0(VALU_DEP_1) | instskip(NEXT) | instid1(VALU_DEP_1)
	v_div_fmas_f64 v[212:213], v[212:213], v[214:215], v[216:217]
	v_div_fixup_f64 v[212:213], v[212:213], v[242:243], v[240:241]
	s_delay_alu instid0(VALU_DEP_1) | instskip(NEXT) | instid1(VALU_DEP_1)
	v_fma_f64 v[214:215], v[240:241], v[212:213], v[242:243]
	v_div_scale_f64 v[216:217], null, v[214:215], v[214:215], 1.0
	s_delay_alu instid0(VALU_DEP_1) | instskip(SKIP_2) | instid1(VALU_DEP_1)
	v_rcp_f64_e32 v[218:219], v[216:217]
	s_waitcnt_depctr 0xfff
	v_fma_f64 v[220:221], -v[216:217], v[218:219], 1.0
	v_fma_f64 v[218:219], v[218:219], v[220:221], v[218:219]
	s_delay_alu instid0(VALU_DEP_1) | instskip(NEXT) | instid1(VALU_DEP_1)
	v_fma_f64 v[220:221], -v[216:217], v[218:219], 1.0
	v_fma_f64 v[218:219], v[218:219], v[220:221], v[218:219]
	v_div_scale_f64 v[220:221], vcc_lo, 1.0, v[214:215], 1.0
	s_delay_alu instid0(VALU_DEP_1) | instskip(NEXT) | instid1(VALU_DEP_1)
	v_mul_f64 v[222:223], v[220:221], v[218:219]
	v_fma_f64 v[216:217], -v[216:217], v[222:223], v[220:221]
	s_delay_alu instid0(VALU_DEP_1) | instskip(NEXT) | instid1(VALU_DEP_1)
	v_div_fmas_f64 v[216:217], v[216:217], v[218:219], v[222:223]
	v_div_fixup_f64 v[242:243], v[216:217], v[214:215], 1.0
	s_delay_alu instid0(VALU_DEP_1)
	v_mul_f64 v[240:241], v[212:213], v[242:243]
	v_xor_b32_e32 v243, 0x80000000, v243
.LBB118_1099:
	s_and_not1_saveexec_b32 s3, s3
	s_cbranch_execz .LBB118_1101
; %bb.1100:
	s_delay_alu instid0(VALU_DEP_1) | instskip(SKIP_1) | instid1(VALU_DEP_2)
	v_div_scale_f64 v[212:213], null, v[240:241], v[240:241], v[242:243]
	v_div_scale_f64 v[218:219], vcc_lo, v[242:243], v[240:241], v[242:243]
	v_rcp_f64_e32 v[214:215], v[212:213]
	s_waitcnt_depctr 0xfff
	v_fma_f64 v[216:217], -v[212:213], v[214:215], 1.0
	s_delay_alu instid0(VALU_DEP_1) | instskip(NEXT) | instid1(VALU_DEP_1)
	v_fma_f64 v[214:215], v[214:215], v[216:217], v[214:215]
	v_fma_f64 v[216:217], -v[212:213], v[214:215], 1.0
	s_delay_alu instid0(VALU_DEP_1) | instskip(NEXT) | instid1(VALU_DEP_1)
	v_fma_f64 v[214:215], v[214:215], v[216:217], v[214:215]
	v_mul_f64 v[216:217], v[218:219], v[214:215]
	s_delay_alu instid0(VALU_DEP_1) | instskip(NEXT) | instid1(VALU_DEP_1)
	v_fma_f64 v[212:213], -v[212:213], v[216:217], v[218:219]
	v_div_fmas_f64 v[212:213], v[212:213], v[214:215], v[216:217]
	s_delay_alu instid0(VALU_DEP_1) | instskip(NEXT) | instid1(VALU_DEP_1)
	v_div_fixup_f64 v[212:213], v[212:213], v[240:241], v[242:243]
	v_fma_f64 v[214:215], v[242:243], v[212:213], v[240:241]
	s_delay_alu instid0(VALU_DEP_1) | instskip(NEXT) | instid1(VALU_DEP_1)
	v_div_scale_f64 v[216:217], null, v[214:215], v[214:215], 1.0
	v_rcp_f64_e32 v[218:219], v[216:217]
	s_waitcnt_depctr 0xfff
	v_fma_f64 v[220:221], -v[216:217], v[218:219], 1.0
	s_delay_alu instid0(VALU_DEP_1) | instskip(NEXT) | instid1(VALU_DEP_1)
	v_fma_f64 v[218:219], v[218:219], v[220:221], v[218:219]
	v_fma_f64 v[220:221], -v[216:217], v[218:219], 1.0
	s_delay_alu instid0(VALU_DEP_1) | instskip(SKIP_1) | instid1(VALU_DEP_1)
	v_fma_f64 v[218:219], v[218:219], v[220:221], v[218:219]
	v_div_scale_f64 v[220:221], vcc_lo, 1.0, v[214:215], 1.0
	v_mul_f64 v[222:223], v[220:221], v[218:219]
	s_delay_alu instid0(VALU_DEP_1) | instskip(NEXT) | instid1(VALU_DEP_1)
	v_fma_f64 v[216:217], -v[216:217], v[222:223], v[220:221]
	v_div_fmas_f64 v[216:217], v[216:217], v[218:219], v[222:223]
	s_delay_alu instid0(VALU_DEP_1) | instskip(NEXT) | instid1(VALU_DEP_1)
	v_div_fixup_f64 v[240:241], v[216:217], v[214:215], 1.0
	v_mul_f64 v[242:243], v[212:213], -v[240:241]
.LBB118_1101:
	s_or_b32 exec_lo, exec_lo, s3
.LBB118_1102:
	s_delay_alu instid0(SALU_CYCLE_1) | instskip(NEXT) | instid1(SALU_CYCLE_1)
	s_or_b32 exec_lo, exec_lo, s2
	s_mov_b32 s2, exec_lo
	v_cmpx_ne_u32_e64 v255, v248
	s_xor_b32 s2, exec_lo, s2
	s_cbranch_execz .LBB118_1108
; %bb.1103:
	s_mov_b32 s3, exec_lo
	v_cmpx_eq_u32_e32 52, v255
	s_cbranch_execz .LBB118_1107
; %bb.1104:
	v_cmp_ne_u32_e32 vcc_lo, 52, v248
	s_xor_b32 s4, s5, -1
	s_delay_alu instid0(SALU_CYCLE_1) | instskip(NEXT) | instid1(SALU_CYCLE_1)
	s_and_b32 s6, s4, vcc_lo
	s_and_saveexec_b32 s4, s6
	s_cbranch_execz .LBB118_1106
; %bb.1105:
	scratch_load_b64 v[208:209], off, off offset:16 ; 8-byte Folded Reload
	v_ashrrev_i32_e32 v249, 31, v248
	s_delay_alu instid0(VALU_DEP_1) | instskip(SKIP_1) | instid1(VALU_DEP_1)
	v_lshlrev_b64 v[212:213], 2, v[248:249]
	s_waitcnt vmcnt(0)
	v_add_co_u32 v212, vcc_lo, v208, v212
	s_delay_alu instid0(VALU_DEP_2)
	v_add_co_ci_u32_e32 v213, vcc_lo, v209, v213, vcc_lo
	s_clause 0x1
	flat_load_b32 v214, v[212:213]
	flat_load_b32 v215, v[208:209] offset:208
	s_waitcnt vmcnt(1) lgkmcnt(1)
	flat_store_b32 v[208:209], v214 offset:208
	s_waitcnt vmcnt(0) lgkmcnt(1)
	flat_store_b32 v[212:213], v215
.LBB118_1106:
	s_or_b32 exec_lo, exec_lo, s4
	v_mov_b32_e32 v255, v248
	v_mov_b32_e32 v244, v248
.LBB118_1107:
	s_or_b32 exec_lo, exec_lo, s3
.LBB118_1108:
	s_and_not1_saveexec_b32 s2, s2
	s_cbranch_execz .LBB118_1110
; %bb.1109:
	v_mov_b32_e32 v255, 52
	ds_store_2addr_b64 v250, v[24:25], v[26:27] offset0:106 offset1:107
	ds_store_2addr_b64 v250, v[20:21], v[22:23] offset0:108 offset1:109
	;; [unrolled: 1-line block ×7, first 2 shown]
.LBB118_1110:
	s_or_b32 exec_lo, exec_lo, s2
	s_delay_alu instid0(SALU_CYCLE_1)
	s_mov_b32 s2, exec_lo
	s_waitcnt lgkmcnt(0)
	s_waitcnt_vscnt null, 0x0
	s_barrier
	buffer_gl0_inv
	v_cmpx_lt_i32_e32 52, v255
	s_cbranch_execz .LBB118_1112
; %bb.1111:
	v_mul_f64 v[212:213], v[240:241], v[30:31]
	v_mul_f64 v[30:31], v[242:243], v[30:31]
	ds_load_2addr_b64 v[232:235], v250 offset0:106 offset1:107
	v_fma_f64 v[212:213], v[242:243], v[28:29], v[212:213]
	v_fma_f64 v[28:29], v[240:241], v[28:29], -v[30:31]
	s_waitcnt lgkmcnt(0)
	s_delay_alu instid0(VALU_DEP_2) | instskip(SKIP_1) | instid1(VALU_DEP_2)
	v_mul_f64 v[30:31], v[234:235], v[212:213]
	v_mul_f64 v[214:215], v[232:233], v[212:213]
	v_fma_f64 v[30:31], v[232:233], v[28:29], -v[30:31]
	s_delay_alu instid0(VALU_DEP_2)
	v_fma_f64 v[214:215], v[234:235], v[28:29], v[214:215]
	ds_load_2addr_b64 v[232:235], v250 offset0:108 offset1:109
	v_add_f64 v[24:25], v[24:25], -v[30:31]
	v_add_f64 v[26:27], v[26:27], -v[214:215]
	s_waitcnt lgkmcnt(0)
	v_mul_f64 v[30:31], v[234:235], v[212:213]
	v_mul_f64 v[214:215], v[232:233], v[212:213]
	s_delay_alu instid0(VALU_DEP_2) | instskip(NEXT) | instid1(VALU_DEP_2)
	v_fma_f64 v[30:31], v[232:233], v[28:29], -v[30:31]
	v_fma_f64 v[214:215], v[234:235], v[28:29], v[214:215]
	ds_load_2addr_b64 v[232:235], v250 offset0:110 offset1:111
	v_add_f64 v[20:21], v[20:21], -v[30:31]
	v_add_f64 v[22:23], v[22:23], -v[214:215]
	s_waitcnt lgkmcnt(0)
	v_mul_f64 v[30:31], v[234:235], v[212:213]
	v_mul_f64 v[214:215], v[232:233], v[212:213]
	s_delay_alu instid0(VALU_DEP_2) | instskip(NEXT) | instid1(VALU_DEP_2)
	v_fma_f64 v[30:31], v[232:233], v[28:29], -v[30:31]
	;; [unrolled: 9-line block ×6, first 2 shown]
	v_fma_f64 v[214:215], v[234:235], v[28:29], v[214:215]
	s_delay_alu instid0(VALU_DEP_2) | instskip(NEXT) | instid1(VALU_DEP_2)
	v_add_f64 v[228:229], v[228:229], -v[30:31]
	v_add_f64 v[230:231], v[230:231], -v[214:215]
	v_dual_mov_b32 v30, v212 :: v_dual_mov_b32 v31, v213
.LBB118_1112:
	s_or_b32 exec_lo, exec_lo, s2
	v_lshl_add_u32 v212, v255, 4, v250
	s_barrier
	buffer_gl0_inv
	v_mov_b32_e32 v248, 53
	ds_store_2addr_b64 v212, v[24:25], v[26:27] offset1:1
	s_waitcnt lgkmcnt(0)
	s_barrier
	buffer_gl0_inv
	ds_load_2addr_b64 v[240:243], v250 offset0:106 offset1:107
	s_cmp_lt_i32 s12, 55
	s_cbranch_scc1 .LBB118_1115
; %bb.1113:
	v_add3_u32 v245, v254, 0, 0x360
	v_mov_b32_e32 v248, 53
	s_mov_b32 s2, 54
	s_set_inst_prefetch_distance 0x1
	.p2align	6
.LBB118_1114:                           ; =>This Inner Loop Header: Depth=1
	s_waitcnt lgkmcnt(0)
	v_cmp_gt_f64_e32 vcc_lo, 0, v[240:241]
	v_xor_b32_e32 v212, 0x80000000, v241
	v_xor_b32_e32 v214, 0x80000000, v243
	ds_load_2addr_b64 v[232:235], v245 offset1:1
	v_add_nc_u32_e32 v245, 16, v245
	s_waitcnt lgkmcnt(0)
	v_xor_b32_e32 v216, 0x80000000, v235
	v_cndmask_b32_e32 v213, v241, v212, vcc_lo
	v_cndmask_b32_e32 v212, v240, v240, vcc_lo
	v_cmp_gt_f64_e32 vcc_lo, 0, v[242:243]
	v_cndmask_b32_e32 v215, v243, v214, vcc_lo
	v_cndmask_b32_e32 v214, v242, v242, vcc_lo
	v_cmp_gt_f64_e32 vcc_lo, 0, v[232:233]
	s_delay_alu instid0(VALU_DEP_2) | instskip(SKIP_1) | instid1(VALU_DEP_1)
	v_add_f64 v[212:213], v[212:213], v[214:215]
	v_xor_b32_e32 v214, 0x80000000, v233
	v_dual_cndmask_b32 v215, v233, v214 :: v_dual_mov_b32 v214, v232
	v_cmp_gt_f64_e32 vcc_lo, 0, v[234:235]
	v_dual_cndmask_b32 v217, v235, v216 :: v_dual_mov_b32 v216, v234
	s_delay_alu instid0(VALU_DEP_1) | instskip(NEXT) | instid1(VALU_DEP_1)
	v_add_f64 v[214:215], v[214:215], v[216:217]
	v_cmp_lt_f64_e32 vcc_lo, v[212:213], v[214:215]
	v_dual_cndmask_b32 v241, v241, v233 :: v_dual_cndmask_b32 v240, v240, v232
	v_dual_cndmask_b32 v243, v243, v235 :: v_dual_cndmask_b32 v242, v242, v234
	v_cndmask_b32_e64 v248, v248, s2, vcc_lo
	s_add_i32 s2, s2, 1
	s_delay_alu instid0(SALU_CYCLE_1)
	s_cmp_lg_u32 s12, s2
	s_cbranch_scc1 .LBB118_1114
.LBB118_1115:
	s_set_inst_prefetch_distance 0x2
	s_waitcnt lgkmcnt(0)
	v_cmp_eq_f64_e32 vcc_lo, 0, v[240:241]
	v_cmp_eq_f64_e64 s2, 0, v[242:243]
	s_delay_alu instid0(VALU_DEP_1) | instskip(NEXT) | instid1(SALU_CYCLE_1)
	s_and_b32 s2, vcc_lo, s2
	s_and_saveexec_b32 s3, s2
	s_delay_alu instid0(SALU_CYCLE_1)
	s_xor_b32 s2, exec_lo, s3
; %bb.1116:
	v_cmp_ne_u32_e32 vcc_lo, 0, v253
	v_cndmask_b32_e32 v253, 54, v253, vcc_lo
; %bb.1117:
	s_and_not1_saveexec_b32 s2, s2
	s_cbranch_execz .LBB118_1123
; %bb.1118:
	v_cmp_gt_f64_e32 vcc_lo, 0, v[240:241]
	v_xor_b32_e32 v212, 0x80000000, v241
	v_xor_b32_e32 v214, 0x80000000, v243
	s_mov_b32 s3, exec_lo
	s_delay_alu instid0(VALU_DEP_2) | instskip(SKIP_4) | instid1(VALU_DEP_1)
	v_cndmask_b32_e32 v213, v241, v212, vcc_lo
	v_cndmask_b32_e32 v212, v240, v240, vcc_lo
	v_cmp_gt_f64_e32 vcc_lo, 0, v[242:243]
	v_cndmask_b32_e32 v215, v243, v214, vcc_lo
	v_cndmask_b32_e32 v214, v242, v242, vcc_lo
	v_cmpx_ngt_f64_e32 v[212:213], v[214:215]
	s_xor_b32 s3, exec_lo, s3
	s_cbranch_execz .LBB118_1120
; %bb.1119:
	v_div_scale_f64 v[212:213], null, v[242:243], v[242:243], v[240:241]
	v_div_scale_f64 v[218:219], vcc_lo, v[240:241], v[242:243], v[240:241]
	s_delay_alu instid0(VALU_DEP_2) | instskip(SKIP_2) | instid1(VALU_DEP_1)
	v_rcp_f64_e32 v[214:215], v[212:213]
	s_waitcnt_depctr 0xfff
	v_fma_f64 v[216:217], -v[212:213], v[214:215], 1.0
	v_fma_f64 v[214:215], v[214:215], v[216:217], v[214:215]
	s_delay_alu instid0(VALU_DEP_1) | instskip(NEXT) | instid1(VALU_DEP_1)
	v_fma_f64 v[216:217], -v[212:213], v[214:215], 1.0
	v_fma_f64 v[214:215], v[214:215], v[216:217], v[214:215]
	s_delay_alu instid0(VALU_DEP_1) | instskip(NEXT) | instid1(VALU_DEP_1)
	v_mul_f64 v[216:217], v[218:219], v[214:215]
	v_fma_f64 v[212:213], -v[212:213], v[216:217], v[218:219]
	s_delay_alu instid0(VALU_DEP_1) | instskip(NEXT) | instid1(VALU_DEP_1)
	v_div_fmas_f64 v[212:213], v[212:213], v[214:215], v[216:217]
	v_div_fixup_f64 v[212:213], v[212:213], v[242:243], v[240:241]
	s_delay_alu instid0(VALU_DEP_1) | instskip(NEXT) | instid1(VALU_DEP_1)
	v_fma_f64 v[214:215], v[240:241], v[212:213], v[242:243]
	v_div_scale_f64 v[216:217], null, v[214:215], v[214:215], 1.0
	s_delay_alu instid0(VALU_DEP_1) | instskip(SKIP_2) | instid1(VALU_DEP_1)
	v_rcp_f64_e32 v[218:219], v[216:217]
	s_waitcnt_depctr 0xfff
	v_fma_f64 v[220:221], -v[216:217], v[218:219], 1.0
	v_fma_f64 v[218:219], v[218:219], v[220:221], v[218:219]
	s_delay_alu instid0(VALU_DEP_1) | instskip(NEXT) | instid1(VALU_DEP_1)
	v_fma_f64 v[220:221], -v[216:217], v[218:219], 1.0
	v_fma_f64 v[218:219], v[218:219], v[220:221], v[218:219]
	v_div_scale_f64 v[220:221], vcc_lo, 1.0, v[214:215], 1.0
	s_delay_alu instid0(VALU_DEP_1) | instskip(NEXT) | instid1(VALU_DEP_1)
	v_mul_f64 v[222:223], v[220:221], v[218:219]
	v_fma_f64 v[216:217], -v[216:217], v[222:223], v[220:221]
	s_delay_alu instid0(VALU_DEP_1) | instskip(NEXT) | instid1(VALU_DEP_1)
	v_div_fmas_f64 v[216:217], v[216:217], v[218:219], v[222:223]
	v_div_fixup_f64 v[242:243], v[216:217], v[214:215], 1.0
	s_delay_alu instid0(VALU_DEP_1)
	v_mul_f64 v[240:241], v[212:213], v[242:243]
	v_xor_b32_e32 v243, 0x80000000, v243
.LBB118_1120:
	s_and_not1_saveexec_b32 s3, s3
	s_cbranch_execz .LBB118_1122
; %bb.1121:
	s_delay_alu instid0(VALU_DEP_1) | instskip(SKIP_1) | instid1(VALU_DEP_2)
	v_div_scale_f64 v[212:213], null, v[240:241], v[240:241], v[242:243]
	v_div_scale_f64 v[218:219], vcc_lo, v[242:243], v[240:241], v[242:243]
	v_rcp_f64_e32 v[214:215], v[212:213]
	s_waitcnt_depctr 0xfff
	v_fma_f64 v[216:217], -v[212:213], v[214:215], 1.0
	s_delay_alu instid0(VALU_DEP_1) | instskip(NEXT) | instid1(VALU_DEP_1)
	v_fma_f64 v[214:215], v[214:215], v[216:217], v[214:215]
	v_fma_f64 v[216:217], -v[212:213], v[214:215], 1.0
	s_delay_alu instid0(VALU_DEP_1) | instskip(NEXT) | instid1(VALU_DEP_1)
	v_fma_f64 v[214:215], v[214:215], v[216:217], v[214:215]
	v_mul_f64 v[216:217], v[218:219], v[214:215]
	s_delay_alu instid0(VALU_DEP_1) | instskip(NEXT) | instid1(VALU_DEP_1)
	v_fma_f64 v[212:213], -v[212:213], v[216:217], v[218:219]
	v_div_fmas_f64 v[212:213], v[212:213], v[214:215], v[216:217]
	s_delay_alu instid0(VALU_DEP_1) | instskip(NEXT) | instid1(VALU_DEP_1)
	v_div_fixup_f64 v[212:213], v[212:213], v[240:241], v[242:243]
	v_fma_f64 v[214:215], v[242:243], v[212:213], v[240:241]
	s_delay_alu instid0(VALU_DEP_1) | instskip(NEXT) | instid1(VALU_DEP_1)
	v_div_scale_f64 v[216:217], null, v[214:215], v[214:215], 1.0
	v_rcp_f64_e32 v[218:219], v[216:217]
	s_waitcnt_depctr 0xfff
	v_fma_f64 v[220:221], -v[216:217], v[218:219], 1.0
	s_delay_alu instid0(VALU_DEP_1) | instskip(NEXT) | instid1(VALU_DEP_1)
	v_fma_f64 v[218:219], v[218:219], v[220:221], v[218:219]
	v_fma_f64 v[220:221], -v[216:217], v[218:219], 1.0
	s_delay_alu instid0(VALU_DEP_1) | instskip(SKIP_1) | instid1(VALU_DEP_1)
	v_fma_f64 v[218:219], v[218:219], v[220:221], v[218:219]
	v_div_scale_f64 v[220:221], vcc_lo, 1.0, v[214:215], 1.0
	v_mul_f64 v[222:223], v[220:221], v[218:219]
	s_delay_alu instid0(VALU_DEP_1) | instskip(NEXT) | instid1(VALU_DEP_1)
	v_fma_f64 v[216:217], -v[216:217], v[222:223], v[220:221]
	v_div_fmas_f64 v[216:217], v[216:217], v[218:219], v[222:223]
	s_delay_alu instid0(VALU_DEP_1) | instskip(NEXT) | instid1(VALU_DEP_1)
	v_div_fixup_f64 v[240:241], v[216:217], v[214:215], 1.0
	v_mul_f64 v[242:243], v[212:213], -v[240:241]
.LBB118_1122:
	s_or_b32 exec_lo, exec_lo, s3
.LBB118_1123:
	s_delay_alu instid0(SALU_CYCLE_1) | instskip(NEXT) | instid1(SALU_CYCLE_1)
	s_or_b32 exec_lo, exec_lo, s2
	s_mov_b32 s2, exec_lo
	v_cmpx_ne_u32_e64 v255, v248
	s_xor_b32 s2, exec_lo, s2
	s_cbranch_execz .LBB118_1129
; %bb.1124:
	s_mov_b32 s3, exec_lo
	v_cmpx_eq_u32_e32 53, v255
	s_cbranch_execz .LBB118_1128
; %bb.1125:
	v_cmp_ne_u32_e32 vcc_lo, 53, v248
	s_xor_b32 s4, s5, -1
	s_delay_alu instid0(SALU_CYCLE_1) | instskip(NEXT) | instid1(SALU_CYCLE_1)
	s_and_b32 s6, s4, vcc_lo
	s_and_saveexec_b32 s4, s6
	s_cbranch_execz .LBB118_1127
; %bb.1126:
	scratch_load_b64 v[208:209], off, off offset:16 ; 8-byte Folded Reload
	v_ashrrev_i32_e32 v249, 31, v248
	s_delay_alu instid0(VALU_DEP_1) | instskip(SKIP_1) | instid1(VALU_DEP_1)
	v_lshlrev_b64 v[212:213], 2, v[248:249]
	s_waitcnt vmcnt(0)
	v_add_co_u32 v212, vcc_lo, v208, v212
	s_delay_alu instid0(VALU_DEP_2)
	v_add_co_ci_u32_e32 v213, vcc_lo, v209, v213, vcc_lo
	s_clause 0x1
	flat_load_b32 v214, v[212:213]
	flat_load_b32 v215, v[208:209] offset:212
	s_waitcnt vmcnt(1) lgkmcnt(1)
	flat_store_b32 v[208:209], v214 offset:212
	s_waitcnt vmcnt(0) lgkmcnt(1)
	flat_store_b32 v[212:213], v215
.LBB118_1127:
	s_or_b32 exec_lo, exec_lo, s4
	v_mov_b32_e32 v255, v248
	v_mov_b32_e32 v244, v248
.LBB118_1128:
	s_or_b32 exec_lo, exec_lo, s3
.LBB118_1129:
	s_and_not1_saveexec_b32 s2, s2
	s_cbranch_execz .LBB118_1131
; %bb.1130:
	v_mov_b32_e32 v255, 53
	ds_store_2addr_b64 v250, v[20:21], v[22:23] offset0:108 offset1:109
	ds_store_2addr_b64 v250, v[16:17], v[18:19] offset0:110 offset1:111
	;; [unrolled: 1-line block ×6, first 2 shown]
.LBB118_1131:
	s_or_b32 exec_lo, exec_lo, s2
	s_delay_alu instid0(SALU_CYCLE_1)
	s_mov_b32 s2, exec_lo
	s_waitcnt lgkmcnt(0)
	s_waitcnt_vscnt null, 0x0
	s_barrier
	buffer_gl0_inv
	v_cmpx_lt_i32_e32 53, v255
	s_cbranch_execz .LBB118_1133
; %bb.1132:
	v_mul_f64 v[212:213], v[240:241], v[26:27]
	v_mul_f64 v[26:27], v[242:243], v[26:27]
	ds_load_2addr_b64 v[232:235], v250 offset0:108 offset1:109
	v_fma_f64 v[212:213], v[242:243], v[24:25], v[212:213]
	v_fma_f64 v[24:25], v[240:241], v[24:25], -v[26:27]
	s_waitcnt lgkmcnt(0)
	s_delay_alu instid0(VALU_DEP_2) | instskip(SKIP_1) | instid1(VALU_DEP_2)
	v_mul_f64 v[26:27], v[234:235], v[212:213]
	v_mul_f64 v[214:215], v[232:233], v[212:213]
	v_fma_f64 v[26:27], v[232:233], v[24:25], -v[26:27]
	s_delay_alu instid0(VALU_DEP_2)
	v_fma_f64 v[214:215], v[234:235], v[24:25], v[214:215]
	ds_load_2addr_b64 v[232:235], v250 offset0:110 offset1:111
	v_add_f64 v[20:21], v[20:21], -v[26:27]
	v_add_f64 v[22:23], v[22:23], -v[214:215]
	s_waitcnt lgkmcnt(0)
	v_mul_f64 v[26:27], v[234:235], v[212:213]
	v_mul_f64 v[214:215], v[232:233], v[212:213]
	s_delay_alu instid0(VALU_DEP_2) | instskip(NEXT) | instid1(VALU_DEP_2)
	v_fma_f64 v[26:27], v[232:233], v[24:25], -v[26:27]
	v_fma_f64 v[214:215], v[234:235], v[24:25], v[214:215]
	ds_load_2addr_b64 v[232:235], v250 offset0:112 offset1:113
	v_add_f64 v[16:17], v[16:17], -v[26:27]
	v_add_f64 v[18:19], v[18:19], -v[214:215]
	s_waitcnt lgkmcnt(0)
	v_mul_f64 v[26:27], v[234:235], v[212:213]
	v_mul_f64 v[214:215], v[232:233], v[212:213]
	s_delay_alu instid0(VALU_DEP_2) | instskip(NEXT) | instid1(VALU_DEP_2)
	v_fma_f64 v[26:27], v[232:233], v[24:25], -v[26:27]
	v_fma_f64 v[214:215], v[234:235], v[24:25], v[214:215]
	ds_load_2addr_b64 v[232:235], v250 offset0:114 offset1:115
	v_add_f64 v[12:13], v[12:13], -v[26:27]
	v_add_f64 v[14:15], v[14:15], -v[214:215]
	s_waitcnt lgkmcnt(0)
	v_mul_f64 v[26:27], v[234:235], v[212:213]
	v_mul_f64 v[214:215], v[232:233], v[212:213]
	s_delay_alu instid0(VALU_DEP_2) | instskip(NEXT) | instid1(VALU_DEP_2)
	v_fma_f64 v[26:27], v[232:233], v[24:25], -v[26:27]
	v_fma_f64 v[214:215], v[234:235], v[24:25], v[214:215]
	ds_load_2addr_b64 v[232:235], v250 offset0:116 offset1:117
	v_add_f64 v[236:237], v[236:237], -v[26:27]
	v_add_f64 v[238:239], v[238:239], -v[214:215]
	s_waitcnt lgkmcnt(0)
	v_mul_f64 v[26:27], v[234:235], v[212:213]
	v_mul_f64 v[214:215], v[232:233], v[212:213]
	s_delay_alu instid0(VALU_DEP_2) | instskip(NEXT) | instid1(VALU_DEP_2)
	v_fma_f64 v[26:27], v[232:233], v[24:25], -v[26:27]
	v_fma_f64 v[214:215], v[234:235], v[24:25], v[214:215]
	ds_load_2addr_b64 v[232:235], v250 offset0:118 offset1:119
	v_add_f64 v[224:225], v[224:225], -v[26:27]
	v_add_f64 v[226:227], v[226:227], -v[214:215]
	s_waitcnt lgkmcnt(0)
	v_mul_f64 v[26:27], v[234:235], v[212:213]
	v_mul_f64 v[214:215], v[232:233], v[212:213]
	s_delay_alu instid0(VALU_DEP_2) | instskip(NEXT) | instid1(VALU_DEP_2)
	v_fma_f64 v[26:27], v[232:233], v[24:25], -v[26:27]
	v_fma_f64 v[214:215], v[234:235], v[24:25], v[214:215]
	s_delay_alu instid0(VALU_DEP_2) | instskip(NEXT) | instid1(VALU_DEP_2)
	v_add_f64 v[228:229], v[228:229], -v[26:27]
	v_add_f64 v[230:231], v[230:231], -v[214:215]
	v_dual_mov_b32 v26, v212 :: v_dual_mov_b32 v27, v213
.LBB118_1133:
	s_or_b32 exec_lo, exec_lo, s2
	v_lshl_add_u32 v212, v255, 4, v250
	s_barrier
	buffer_gl0_inv
	v_mov_b32_e32 v248, 54
	ds_store_2addr_b64 v212, v[20:21], v[22:23] offset1:1
	s_waitcnt lgkmcnt(0)
	s_barrier
	buffer_gl0_inv
	ds_load_2addr_b64 v[240:243], v250 offset0:108 offset1:109
	s_cmp_lt_i32 s12, 56
	s_cbranch_scc1 .LBB118_1136
; %bb.1134:
	v_add3_u32 v245, v254, 0, 0x370
	v_mov_b32_e32 v248, 54
	s_mov_b32 s2, 55
	s_set_inst_prefetch_distance 0x1
	.p2align	6
.LBB118_1135:                           ; =>This Inner Loop Header: Depth=1
	s_waitcnt lgkmcnt(0)
	v_cmp_gt_f64_e32 vcc_lo, 0, v[240:241]
	v_xor_b32_e32 v212, 0x80000000, v241
	v_xor_b32_e32 v214, 0x80000000, v243
	ds_load_2addr_b64 v[232:235], v245 offset1:1
	v_add_nc_u32_e32 v245, 16, v245
	s_waitcnt lgkmcnt(0)
	v_xor_b32_e32 v216, 0x80000000, v235
	v_cndmask_b32_e32 v213, v241, v212, vcc_lo
	v_cndmask_b32_e32 v212, v240, v240, vcc_lo
	v_cmp_gt_f64_e32 vcc_lo, 0, v[242:243]
	v_cndmask_b32_e32 v215, v243, v214, vcc_lo
	v_cndmask_b32_e32 v214, v242, v242, vcc_lo
	v_cmp_gt_f64_e32 vcc_lo, 0, v[232:233]
	s_delay_alu instid0(VALU_DEP_2) | instskip(SKIP_1) | instid1(VALU_DEP_1)
	v_add_f64 v[212:213], v[212:213], v[214:215]
	v_xor_b32_e32 v214, 0x80000000, v233
	v_dual_cndmask_b32 v215, v233, v214 :: v_dual_mov_b32 v214, v232
	v_cmp_gt_f64_e32 vcc_lo, 0, v[234:235]
	v_dual_cndmask_b32 v217, v235, v216 :: v_dual_mov_b32 v216, v234
	s_delay_alu instid0(VALU_DEP_1) | instskip(NEXT) | instid1(VALU_DEP_1)
	v_add_f64 v[214:215], v[214:215], v[216:217]
	v_cmp_lt_f64_e32 vcc_lo, v[212:213], v[214:215]
	v_dual_cndmask_b32 v241, v241, v233 :: v_dual_cndmask_b32 v240, v240, v232
	v_dual_cndmask_b32 v243, v243, v235 :: v_dual_cndmask_b32 v242, v242, v234
	v_cndmask_b32_e64 v248, v248, s2, vcc_lo
	s_add_i32 s2, s2, 1
	s_delay_alu instid0(SALU_CYCLE_1)
	s_cmp_lg_u32 s12, s2
	s_cbranch_scc1 .LBB118_1135
.LBB118_1136:
	s_set_inst_prefetch_distance 0x2
	s_waitcnt lgkmcnt(0)
	v_cmp_eq_f64_e32 vcc_lo, 0, v[240:241]
	v_cmp_eq_f64_e64 s2, 0, v[242:243]
	s_delay_alu instid0(VALU_DEP_1) | instskip(NEXT) | instid1(SALU_CYCLE_1)
	s_and_b32 s2, vcc_lo, s2
	s_and_saveexec_b32 s3, s2
	s_delay_alu instid0(SALU_CYCLE_1)
	s_xor_b32 s2, exec_lo, s3
; %bb.1137:
	v_cmp_ne_u32_e32 vcc_lo, 0, v253
	v_cndmask_b32_e32 v253, 55, v253, vcc_lo
; %bb.1138:
	s_and_not1_saveexec_b32 s2, s2
	s_cbranch_execz .LBB118_1144
; %bb.1139:
	v_cmp_gt_f64_e32 vcc_lo, 0, v[240:241]
	v_xor_b32_e32 v212, 0x80000000, v241
	v_xor_b32_e32 v214, 0x80000000, v243
	s_mov_b32 s3, exec_lo
	s_delay_alu instid0(VALU_DEP_2) | instskip(SKIP_4) | instid1(VALU_DEP_1)
	v_cndmask_b32_e32 v213, v241, v212, vcc_lo
	v_cndmask_b32_e32 v212, v240, v240, vcc_lo
	v_cmp_gt_f64_e32 vcc_lo, 0, v[242:243]
	v_cndmask_b32_e32 v215, v243, v214, vcc_lo
	v_cndmask_b32_e32 v214, v242, v242, vcc_lo
	v_cmpx_ngt_f64_e32 v[212:213], v[214:215]
	s_xor_b32 s3, exec_lo, s3
	s_cbranch_execz .LBB118_1141
; %bb.1140:
	v_div_scale_f64 v[212:213], null, v[242:243], v[242:243], v[240:241]
	v_div_scale_f64 v[218:219], vcc_lo, v[240:241], v[242:243], v[240:241]
	s_delay_alu instid0(VALU_DEP_2) | instskip(SKIP_2) | instid1(VALU_DEP_1)
	v_rcp_f64_e32 v[214:215], v[212:213]
	s_waitcnt_depctr 0xfff
	v_fma_f64 v[216:217], -v[212:213], v[214:215], 1.0
	v_fma_f64 v[214:215], v[214:215], v[216:217], v[214:215]
	s_delay_alu instid0(VALU_DEP_1) | instskip(NEXT) | instid1(VALU_DEP_1)
	v_fma_f64 v[216:217], -v[212:213], v[214:215], 1.0
	v_fma_f64 v[214:215], v[214:215], v[216:217], v[214:215]
	s_delay_alu instid0(VALU_DEP_1) | instskip(NEXT) | instid1(VALU_DEP_1)
	v_mul_f64 v[216:217], v[218:219], v[214:215]
	v_fma_f64 v[212:213], -v[212:213], v[216:217], v[218:219]
	s_delay_alu instid0(VALU_DEP_1) | instskip(NEXT) | instid1(VALU_DEP_1)
	v_div_fmas_f64 v[212:213], v[212:213], v[214:215], v[216:217]
	v_div_fixup_f64 v[212:213], v[212:213], v[242:243], v[240:241]
	s_delay_alu instid0(VALU_DEP_1) | instskip(NEXT) | instid1(VALU_DEP_1)
	v_fma_f64 v[214:215], v[240:241], v[212:213], v[242:243]
	v_div_scale_f64 v[216:217], null, v[214:215], v[214:215], 1.0
	s_delay_alu instid0(VALU_DEP_1) | instskip(SKIP_2) | instid1(VALU_DEP_1)
	v_rcp_f64_e32 v[218:219], v[216:217]
	s_waitcnt_depctr 0xfff
	v_fma_f64 v[220:221], -v[216:217], v[218:219], 1.0
	v_fma_f64 v[218:219], v[218:219], v[220:221], v[218:219]
	s_delay_alu instid0(VALU_DEP_1) | instskip(NEXT) | instid1(VALU_DEP_1)
	v_fma_f64 v[220:221], -v[216:217], v[218:219], 1.0
	v_fma_f64 v[218:219], v[218:219], v[220:221], v[218:219]
	v_div_scale_f64 v[220:221], vcc_lo, 1.0, v[214:215], 1.0
	s_delay_alu instid0(VALU_DEP_1) | instskip(NEXT) | instid1(VALU_DEP_1)
	v_mul_f64 v[222:223], v[220:221], v[218:219]
	v_fma_f64 v[216:217], -v[216:217], v[222:223], v[220:221]
	s_delay_alu instid0(VALU_DEP_1) | instskip(NEXT) | instid1(VALU_DEP_1)
	v_div_fmas_f64 v[216:217], v[216:217], v[218:219], v[222:223]
	v_div_fixup_f64 v[242:243], v[216:217], v[214:215], 1.0
	s_delay_alu instid0(VALU_DEP_1)
	v_mul_f64 v[240:241], v[212:213], v[242:243]
	v_xor_b32_e32 v243, 0x80000000, v243
.LBB118_1141:
	s_and_not1_saveexec_b32 s3, s3
	s_cbranch_execz .LBB118_1143
; %bb.1142:
	s_delay_alu instid0(VALU_DEP_1) | instskip(SKIP_1) | instid1(VALU_DEP_2)
	v_div_scale_f64 v[212:213], null, v[240:241], v[240:241], v[242:243]
	v_div_scale_f64 v[218:219], vcc_lo, v[242:243], v[240:241], v[242:243]
	v_rcp_f64_e32 v[214:215], v[212:213]
	s_waitcnt_depctr 0xfff
	v_fma_f64 v[216:217], -v[212:213], v[214:215], 1.0
	s_delay_alu instid0(VALU_DEP_1) | instskip(NEXT) | instid1(VALU_DEP_1)
	v_fma_f64 v[214:215], v[214:215], v[216:217], v[214:215]
	v_fma_f64 v[216:217], -v[212:213], v[214:215], 1.0
	s_delay_alu instid0(VALU_DEP_1) | instskip(NEXT) | instid1(VALU_DEP_1)
	v_fma_f64 v[214:215], v[214:215], v[216:217], v[214:215]
	v_mul_f64 v[216:217], v[218:219], v[214:215]
	s_delay_alu instid0(VALU_DEP_1) | instskip(NEXT) | instid1(VALU_DEP_1)
	v_fma_f64 v[212:213], -v[212:213], v[216:217], v[218:219]
	v_div_fmas_f64 v[212:213], v[212:213], v[214:215], v[216:217]
	s_delay_alu instid0(VALU_DEP_1) | instskip(NEXT) | instid1(VALU_DEP_1)
	v_div_fixup_f64 v[212:213], v[212:213], v[240:241], v[242:243]
	v_fma_f64 v[214:215], v[242:243], v[212:213], v[240:241]
	s_delay_alu instid0(VALU_DEP_1) | instskip(NEXT) | instid1(VALU_DEP_1)
	v_div_scale_f64 v[216:217], null, v[214:215], v[214:215], 1.0
	v_rcp_f64_e32 v[218:219], v[216:217]
	s_waitcnt_depctr 0xfff
	v_fma_f64 v[220:221], -v[216:217], v[218:219], 1.0
	s_delay_alu instid0(VALU_DEP_1) | instskip(NEXT) | instid1(VALU_DEP_1)
	v_fma_f64 v[218:219], v[218:219], v[220:221], v[218:219]
	v_fma_f64 v[220:221], -v[216:217], v[218:219], 1.0
	s_delay_alu instid0(VALU_DEP_1) | instskip(SKIP_1) | instid1(VALU_DEP_1)
	v_fma_f64 v[218:219], v[218:219], v[220:221], v[218:219]
	v_div_scale_f64 v[220:221], vcc_lo, 1.0, v[214:215], 1.0
	v_mul_f64 v[222:223], v[220:221], v[218:219]
	s_delay_alu instid0(VALU_DEP_1) | instskip(NEXT) | instid1(VALU_DEP_1)
	v_fma_f64 v[216:217], -v[216:217], v[222:223], v[220:221]
	v_div_fmas_f64 v[216:217], v[216:217], v[218:219], v[222:223]
	s_delay_alu instid0(VALU_DEP_1) | instskip(NEXT) | instid1(VALU_DEP_1)
	v_div_fixup_f64 v[240:241], v[216:217], v[214:215], 1.0
	v_mul_f64 v[242:243], v[212:213], -v[240:241]
.LBB118_1143:
	s_or_b32 exec_lo, exec_lo, s3
.LBB118_1144:
	s_delay_alu instid0(SALU_CYCLE_1) | instskip(NEXT) | instid1(SALU_CYCLE_1)
	s_or_b32 exec_lo, exec_lo, s2
	s_mov_b32 s2, exec_lo
	v_cmpx_ne_u32_e64 v255, v248
	s_xor_b32 s2, exec_lo, s2
	s_cbranch_execz .LBB118_1150
; %bb.1145:
	s_mov_b32 s3, exec_lo
	v_cmpx_eq_u32_e32 54, v255
	s_cbranch_execz .LBB118_1149
; %bb.1146:
	v_cmp_ne_u32_e32 vcc_lo, 54, v248
	s_xor_b32 s4, s5, -1
	s_delay_alu instid0(SALU_CYCLE_1) | instskip(NEXT) | instid1(SALU_CYCLE_1)
	s_and_b32 s6, s4, vcc_lo
	s_and_saveexec_b32 s4, s6
	s_cbranch_execz .LBB118_1148
; %bb.1147:
	scratch_load_b64 v[208:209], off, off offset:16 ; 8-byte Folded Reload
	v_ashrrev_i32_e32 v249, 31, v248
	s_delay_alu instid0(VALU_DEP_1) | instskip(SKIP_1) | instid1(VALU_DEP_1)
	v_lshlrev_b64 v[212:213], 2, v[248:249]
	s_waitcnt vmcnt(0)
	v_add_co_u32 v212, vcc_lo, v208, v212
	s_delay_alu instid0(VALU_DEP_2)
	v_add_co_ci_u32_e32 v213, vcc_lo, v209, v213, vcc_lo
	s_clause 0x1
	flat_load_b32 v214, v[212:213]
	flat_load_b32 v215, v[208:209] offset:216
	s_waitcnt vmcnt(1) lgkmcnt(1)
	flat_store_b32 v[208:209], v214 offset:216
	s_waitcnt vmcnt(0) lgkmcnt(1)
	flat_store_b32 v[212:213], v215
.LBB118_1148:
	s_or_b32 exec_lo, exec_lo, s4
	v_mov_b32_e32 v255, v248
	v_mov_b32_e32 v244, v248
.LBB118_1149:
	s_or_b32 exec_lo, exec_lo, s3
.LBB118_1150:
	s_and_not1_saveexec_b32 s2, s2
	s_cbranch_execz .LBB118_1152
; %bb.1151:
	v_mov_b32_e32 v255, 54
	ds_store_2addr_b64 v250, v[16:17], v[18:19] offset0:110 offset1:111
	ds_store_2addr_b64 v250, v[12:13], v[14:15] offset0:112 offset1:113
	;; [unrolled: 1-line block ×5, first 2 shown]
.LBB118_1152:
	s_or_b32 exec_lo, exec_lo, s2
	s_delay_alu instid0(SALU_CYCLE_1)
	s_mov_b32 s2, exec_lo
	s_waitcnt lgkmcnt(0)
	s_waitcnt_vscnt null, 0x0
	s_barrier
	buffer_gl0_inv
	v_cmpx_lt_i32_e32 54, v255
	s_cbranch_execz .LBB118_1154
; %bb.1153:
	v_mul_f64 v[212:213], v[240:241], v[22:23]
	v_mul_f64 v[22:23], v[242:243], v[22:23]
	ds_load_2addr_b64 v[232:235], v250 offset0:110 offset1:111
	v_fma_f64 v[212:213], v[242:243], v[20:21], v[212:213]
	v_fma_f64 v[20:21], v[240:241], v[20:21], -v[22:23]
	s_waitcnt lgkmcnt(0)
	s_delay_alu instid0(VALU_DEP_2) | instskip(SKIP_1) | instid1(VALU_DEP_2)
	v_mul_f64 v[22:23], v[234:235], v[212:213]
	v_mul_f64 v[214:215], v[232:233], v[212:213]
	v_fma_f64 v[22:23], v[232:233], v[20:21], -v[22:23]
	s_delay_alu instid0(VALU_DEP_2)
	v_fma_f64 v[214:215], v[234:235], v[20:21], v[214:215]
	ds_load_2addr_b64 v[232:235], v250 offset0:112 offset1:113
	v_add_f64 v[16:17], v[16:17], -v[22:23]
	v_add_f64 v[18:19], v[18:19], -v[214:215]
	s_waitcnt lgkmcnt(0)
	v_mul_f64 v[22:23], v[234:235], v[212:213]
	v_mul_f64 v[214:215], v[232:233], v[212:213]
	s_delay_alu instid0(VALU_DEP_2) | instskip(NEXT) | instid1(VALU_DEP_2)
	v_fma_f64 v[22:23], v[232:233], v[20:21], -v[22:23]
	v_fma_f64 v[214:215], v[234:235], v[20:21], v[214:215]
	ds_load_2addr_b64 v[232:235], v250 offset0:114 offset1:115
	v_add_f64 v[12:13], v[12:13], -v[22:23]
	v_add_f64 v[14:15], v[14:15], -v[214:215]
	s_waitcnt lgkmcnt(0)
	v_mul_f64 v[22:23], v[234:235], v[212:213]
	v_mul_f64 v[214:215], v[232:233], v[212:213]
	s_delay_alu instid0(VALU_DEP_2) | instskip(NEXT) | instid1(VALU_DEP_2)
	v_fma_f64 v[22:23], v[232:233], v[20:21], -v[22:23]
	;; [unrolled: 9-line block ×4, first 2 shown]
	v_fma_f64 v[214:215], v[234:235], v[20:21], v[214:215]
	s_delay_alu instid0(VALU_DEP_2) | instskip(NEXT) | instid1(VALU_DEP_2)
	v_add_f64 v[228:229], v[228:229], -v[22:23]
	v_add_f64 v[230:231], v[230:231], -v[214:215]
	v_dual_mov_b32 v22, v212 :: v_dual_mov_b32 v23, v213
.LBB118_1154:
	s_or_b32 exec_lo, exec_lo, s2
	v_lshl_add_u32 v212, v255, 4, v250
	s_barrier
	buffer_gl0_inv
	v_mov_b32_e32 v248, 55
	ds_store_2addr_b64 v212, v[16:17], v[18:19] offset1:1
	s_waitcnt lgkmcnt(0)
	s_barrier
	buffer_gl0_inv
	ds_load_2addr_b64 v[240:243], v250 offset0:110 offset1:111
	s_cmp_lt_i32 s12, 57
	s_cbranch_scc1 .LBB118_1157
; %bb.1155:
	v_add3_u32 v245, v254, 0, 0x380
	v_mov_b32_e32 v248, 55
	s_mov_b32 s2, 56
	s_set_inst_prefetch_distance 0x1
	.p2align	6
.LBB118_1156:                           ; =>This Inner Loop Header: Depth=1
	s_waitcnt lgkmcnt(0)
	v_cmp_gt_f64_e32 vcc_lo, 0, v[240:241]
	v_xor_b32_e32 v212, 0x80000000, v241
	v_xor_b32_e32 v214, 0x80000000, v243
	ds_load_2addr_b64 v[232:235], v245 offset1:1
	v_add_nc_u32_e32 v245, 16, v245
	s_waitcnt lgkmcnt(0)
	v_xor_b32_e32 v216, 0x80000000, v235
	v_cndmask_b32_e32 v213, v241, v212, vcc_lo
	v_cndmask_b32_e32 v212, v240, v240, vcc_lo
	v_cmp_gt_f64_e32 vcc_lo, 0, v[242:243]
	v_cndmask_b32_e32 v215, v243, v214, vcc_lo
	v_cndmask_b32_e32 v214, v242, v242, vcc_lo
	v_cmp_gt_f64_e32 vcc_lo, 0, v[232:233]
	s_delay_alu instid0(VALU_DEP_2) | instskip(SKIP_1) | instid1(VALU_DEP_1)
	v_add_f64 v[212:213], v[212:213], v[214:215]
	v_xor_b32_e32 v214, 0x80000000, v233
	v_dual_cndmask_b32 v215, v233, v214 :: v_dual_mov_b32 v214, v232
	v_cmp_gt_f64_e32 vcc_lo, 0, v[234:235]
	v_dual_cndmask_b32 v217, v235, v216 :: v_dual_mov_b32 v216, v234
	s_delay_alu instid0(VALU_DEP_1) | instskip(NEXT) | instid1(VALU_DEP_1)
	v_add_f64 v[214:215], v[214:215], v[216:217]
	v_cmp_lt_f64_e32 vcc_lo, v[212:213], v[214:215]
	v_dual_cndmask_b32 v241, v241, v233 :: v_dual_cndmask_b32 v240, v240, v232
	v_dual_cndmask_b32 v243, v243, v235 :: v_dual_cndmask_b32 v242, v242, v234
	v_cndmask_b32_e64 v248, v248, s2, vcc_lo
	s_add_i32 s2, s2, 1
	s_delay_alu instid0(SALU_CYCLE_1)
	s_cmp_lg_u32 s12, s2
	s_cbranch_scc1 .LBB118_1156
.LBB118_1157:
	s_set_inst_prefetch_distance 0x2
	s_waitcnt lgkmcnt(0)
	v_cmp_eq_f64_e32 vcc_lo, 0, v[240:241]
	v_cmp_eq_f64_e64 s2, 0, v[242:243]
	s_delay_alu instid0(VALU_DEP_1) | instskip(NEXT) | instid1(SALU_CYCLE_1)
	s_and_b32 s2, vcc_lo, s2
	s_and_saveexec_b32 s3, s2
	s_delay_alu instid0(SALU_CYCLE_1)
	s_xor_b32 s2, exec_lo, s3
; %bb.1158:
	v_cmp_ne_u32_e32 vcc_lo, 0, v253
	v_cndmask_b32_e32 v253, 56, v253, vcc_lo
; %bb.1159:
	s_and_not1_saveexec_b32 s2, s2
	s_cbranch_execz .LBB118_1165
; %bb.1160:
	v_cmp_gt_f64_e32 vcc_lo, 0, v[240:241]
	v_xor_b32_e32 v212, 0x80000000, v241
	v_xor_b32_e32 v214, 0x80000000, v243
	s_mov_b32 s3, exec_lo
	s_delay_alu instid0(VALU_DEP_2) | instskip(SKIP_4) | instid1(VALU_DEP_1)
	v_cndmask_b32_e32 v213, v241, v212, vcc_lo
	v_cndmask_b32_e32 v212, v240, v240, vcc_lo
	v_cmp_gt_f64_e32 vcc_lo, 0, v[242:243]
	v_cndmask_b32_e32 v215, v243, v214, vcc_lo
	v_cndmask_b32_e32 v214, v242, v242, vcc_lo
	v_cmpx_ngt_f64_e32 v[212:213], v[214:215]
	s_xor_b32 s3, exec_lo, s3
	s_cbranch_execz .LBB118_1162
; %bb.1161:
	v_div_scale_f64 v[212:213], null, v[242:243], v[242:243], v[240:241]
	v_div_scale_f64 v[218:219], vcc_lo, v[240:241], v[242:243], v[240:241]
	s_delay_alu instid0(VALU_DEP_2) | instskip(SKIP_2) | instid1(VALU_DEP_1)
	v_rcp_f64_e32 v[214:215], v[212:213]
	s_waitcnt_depctr 0xfff
	v_fma_f64 v[216:217], -v[212:213], v[214:215], 1.0
	v_fma_f64 v[214:215], v[214:215], v[216:217], v[214:215]
	s_delay_alu instid0(VALU_DEP_1) | instskip(NEXT) | instid1(VALU_DEP_1)
	v_fma_f64 v[216:217], -v[212:213], v[214:215], 1.0
	v_fma_f64 v[214:215], v[214:215], v[216:217], v[214:215]
	s_delay_alu instid0(VALU_DEP_1) | instskip(NEXT) | instid1(VALU_DEP_1)
	v_mul_f64 v[216:217], v[218:219], v[214:215]
	v_fma_f64 v[212:213], -v[212:213], v[216:217], v[218:219]
	s_delay_alu instid0(VALU_DEP_1) | instskip(NEXT) | instid1(VALU_DEP_1)
	v_div_fmas_f64 v[212:213], v[212:213], v[214:215], v[216:217]
	v_div_fixup_f64 v[212:213], v[212:213], v[242:243], v[240:241]
	s_delay_alu instid0(VALU_DEP_1) | instskip(NEXT) | instid1(VALU_DEP_1)
	v_fma_f64 v[214:215], v[240:241], v[212:213], v[242:243]
	v_div_scale_f64 v[216:217], null, v[214:215], v[214:215], 1.0
	s_delay_alu instid0(VALU_DEP_1) | instskip(SKIP_2) | instid1(VALU_DEP_1)
	v_rcp_f64_e32 v[218:219], v[216:217]
	s_waitcnt_depctr 0xfff
	v_fma_f64 v[220:221], -v[216:217], v[218:219], 1.0
	v_fma_f64 v[218:219], v[218:219], v[220:221], v[218:219]
	s_delay_alu instid0(VALU_DEP_1) | instskip(NEXT) | instid1(VALU_DEP_1)
	v_fma_f64 v[220:221], -v[216:217], v[218:219], 1.0
	v_fma_f64 v[218:219], v[218:219], v[220:221], v[218:219]
	v_div_scale_f64 v[220:221], vcc_lo, 1.0, v[214:215], 1.0
	s_delay_alu instid0(VALU_DEP_1) | instskip(NEXT) | instid1(VALU_DEP_1)
	v_mul_f64 v[222:223], v[220:221], v[218:219]
	v_fma_f64 v[216:217], -v[216:217], v[222:223], v[220:221]
	s_delay_alu instid0(VALU_DEP_1) | instskip(NEXT) | instid1(VALU_DEP_1)
	v_div_fmas_f64 v[216:217], v[216:217], v[218:219], v[222:223]
	v_div_fixup_f64 v[242:243], v[216:217], v[214:215], 1.0
	s_delay_alu instid0(VALU_DEP_1)
	v_mul_f64 v[240:241], v[212:213], v[242:243]
	v_xor_b32_e32 v243, 0x80000000, v243
.LBB118_1162:
	s_and_not1_saveexec_b32 s3, s3
	s_cbranch_execz .LBB118_1164
; %bb.1163:
	s_delay_alu instid0(VALU_DEP_1) | instskip(SKIP_1) | instid1(VALU_DEP_2)
	v_div_scale_f64 v[212:213], null, v[240:241], v[240:241], v[242:243]
	v_div_scale_f64 v[218:219], vcc_lo, v[242:243], v[240:241], v[242:243]
	v_rcp_f64_e32 v[214:215], v[212:213]
	s_waitcnt_depctr 0xfff
	v_fma_f64 v[216:217], -v[212:213], v[214:215], 1.0
	s_delay_alu instid0(VALU_DEP_1) | instskip(NEXT) | instid1(VALU_DEP_1)
	v_fma_f64 v[214:215], v[214:215], v[216:217], v[214:215]
	v_fma_f64 v[216:217], -v[212:213], v[214:215], 1.0
	s_delay_alu instid0(VALU_DEP_1) | instskip(NEXT) | instid1(VALU_DEP_1)
	v_fma_f64 v[214:215], v[214:215], v[216:217], v[214:215]
	v_mul_f64 v[216:217], v[218:219], v[214:215]
	s_delay_alu instid0(VALU_DEP_1) | instskip(NEXT) | instid1(VALU_DEP_1)
	v_fma_f64 v[212:213], -v[212:213], v[216:217], v[218:219]
	v_div_fmas_f64 v[212:213], v[212:213], v[214:215], v[216:217]
	s_delay_alu instid0(VALU_DEP_1) | instskip(NEXT) | instid1(VALU_DEP_1)
	v_div_fixup_f64 v[212:213], v[212:213], v[240:241], v[242:243]
	v_fma_f64 v[214:215], v[242:243], v[212:213], v[240:241]
	s_delay_alu instid0(VALU_DEP_1) | instskip(NEXT) | instid1(VALU_DEP_1)
	v_div_scale_f64 v[216:217], null, v[214:215], v[214:215], 1.0
	v_rcp_f64_e32 v[218:219], v[216:217]
	s_waitcnt_depctr 0xfff
	v_fma_f64 v[220:221], -v[216:217], v[218:219], 1.0
	s_delay_alu instid0(VALU_DEP_1) | instskip(NEXT) | instid1(VALU_DEP_1)
	v_fma_f64 v[218:219], v[218:219], v[220:221], v[218:219]
	v_fma_f64 v[220:221], -v[216:217], v[218:219], 1.0
	s_delay_alu instid0(VALU_DEP_1) | instskip(SKIP_1) | instid1(VALU_DEP_1)
	v_fma_f64 v[218:219], v[218:219], v[220:221], v[218:219]
	v_div_scale_f64 v[220:221], vcc_lo, 1.0, v[214:215], 1.0
	v_mul_f64 v[222:223], v[220:221], v[218:219]
	s_delay_alu instid0(VALU_DEP_1) | instskip(NEXT) | instid1(VALU_DEP_1)
	v_fma_f64 v[216:217], -v[216:217], v[222:223], v[220:221]
	v_div_fmas_f64 v[216:217], v[216:217], v[218:219], v[222:223]
	s_delay_alu instid0(VALU_DEP_1) | instskip(NEXT) | instid1(VALU_DEP_1)
	v_div_fixup_f64 v[240:241], v[216:217], v[214:215], 1.0
	v_mul_f64 v[242:243], v[212:213], -v[240:241]
.LBB118_1164:
	s_or_b32 exec_lo, exec_lo, s3
.LBB118_1165:
	s_delay_alu instid0(SALU_CYCLE_1) | instskip(NEXT) | instid1(SALU_CYCLE_1)
	s_or_b32 exec_lo, exec_lo, s2
	s_mov_b32 s2, exec_lo
	v_cmpx_ne_u32_e64 v255, v248
	s_xor_b32 s2, exec_lo, s2
	s_cbranch_execz .LBB118_1171
; %bb.1166:
	s_mov_b32 s3, exec_lo
	v_cmpx_eq_u32_e32 55, v255
	s_cbranch_execz .LBB118_1170
; %bb.1167:
	v_cmp_ne_u32_e32 vcc_lo, 55, v248
	s_xor_b32 s4, s5, -1
	s_delay_alu instid0(SALU_CYCLE_1) | instskip(NEXT) | instid1(SALU_CYCLE_1)
	s_and_b32 s6, s4, vcc_lo
	s_and_saveexec_b32 s4, s6
	s_cbranch_execz .LBB118_1169
; %bb.1168:
	scratch_load_b64 v[208:209], off, off offset:16 ; 8-byte Folded Reload
	v_ashrrev_i32_e32 v249, 31, v248
	s_delay_alu instid0(VALU_DEP_1) | instskip(SKIP_1) | instid1(VALU_DEP_1)
	v_lshlrev_b64 v[212:213], 2, v[248:249]
	s_waitcnt vmcnt(0)
	v_add_co_u32 v212, vcc_lo, v208, v212
	s_delay_alu instid0(VALU_DEP_2)
	v_add_co_ci_u32_e32 v213, vcc_lo, v209, v213, vcc_lo
	s_clause 0x1
	flat_load_b32 v214, v[212:213]
	flat_load_b32 v215, v[208:209] offset:220
	s_waitcnt vmcnt(1) lgkmcnt(1)
	flat_store_b32 v[208:209], v214 offset:220
	s_waitcnt vmcnt(0) lgkmcnt(1)
	flat_store_b32 v[212:213], v215
.LBB118_1169:
	s_or_b32 exec_lo, exec_lo, s4
	v_mov_b32_e32 v255, v248
	v_mov_b32_e32 v244, v248
.LBB118_1170:
	s_or_b32 exec_lo, exec_lo, s3
.LBB118_1171:
	s_and_not1_saveexec_b32 s2, s2
	s_cbranch_execz .LBB118_1173
; %bb.1172:
	v_mov_b32_e32 v255, 55
	ds_store_2addr_b64 v250, v[12:13], v[14:15] offset0:112 offset1:113
	ds_store_2addr_b64 v250, v[236:237], v[238:239] offset0:114 offset1:115
	;; [unrolled: 1-line block ×4, first 2 shown]
.LBB118_1173:
	s_or_b32 exec_lo, exec_lo, s2
	s_delay_alu instid0(SALU_CYCLE_1)
	s_mov_b32 s2, exec_lo
	s_waitcnt lgkmcnt(0)
	s_waitcnt_vscnt null, 0x0
	s_barrier
	buffer_gl0_inv
	v_cmpx_lt_i32_e32 55, v255
	s_cbranch_execz .LBB118_1175
; %bb.1174:
	v_mul_f64 v[212:213], v[240:241], v[18:19]
	v_mul_f64 v[18:19], v[242:243], v[18:19]
	ds_load_2addr_b64 v[232:235], v250 offset0:112 offset1:113
	v_fma_f64 v[212:213], v[242:243], v[16:17], v[212:213]
	v_fma_f64 v[16:17], v[240:241], v[16:17], -v[18:19]
	s_waitcnt lgkmcnt(0)
	s_delay_alu instid0(VALU_DEP_2) | instskip(SKIP_1) | instid1(VALU_DEP_2)
	v_mul_f64 v[18:19], v[234:235], v[212:213]
	v_mul_f64 v[214:215], v[232:233], v[212:213]
	v_fma_f64 v[18:19], v[232:233], v[16:17], -v[18:19]
	s_delay_alu instid0(VALU_DEP_2)
	v_fma_f64 v[214:215], v[234:235], v[16:17], v[214:215]
	ds_load_2addr_b64 v[232:235], v250 offset0:114 offset1:115
	v_add_f64 v[12:13], v[12:13], -v[18:19]
	v_add_f64 v[14:15], v[14:15], -v[214:215]
	s_waitcnt lgkmcnt(0)
	v_mul_f64 v[18:19], v[234:235], v[212:213]
	v_mul_f64 v[214:215], v[232:233], v[212:213]
	s_delay_alu instid0(VALU_DEP_2) | instskip(NEXT) | instid1(VALU_DEP_2)
	v_fma_f64 v[18:19], v[232:233], v[16:17], -v[18:19]
	v_fma_f64 v[214:215], v[234:235], v[16:17], v[214:215]
	ds_load_2addr_b64 v[232:235], v250 offset0:116 offset1:117
	v_add_f64 v[236:237], v[236:237], -v[18:19]
	v_add_f64 v[238:239], v[238:239], -v[214:215]
	s_waitcnt lgkmcnt(0)
	v_mul_f64 v[18:19], v[234:235], v[212:213]
	v_mul_f64 v[214:215], v[232:233], v[212:213]
	s_delay_alu instid0(VALU_DEP_2) | instskip(NEXT) | instid1(VALU_DEP_2)
	v_fma_f64 v[18:19], v[232:233], v[16:17], -v[18:19]
	;; [unrolled: 9-line block ×3, first 2 shown]
	v_fma_f64 v[214:215], v[234:235], v[16:17], v[214:215]
	s_delay_alu instid0(VALU_DEP_2) | instskip(NEXT) | instid1(VALU_DEP_2)
	v_add_f64 v[228:229], v[228:229], -v[18:19]
	v_add_f64 v[230:231], v[230:231], -v[214:215]
	v_dual_mov_b32 v18, v212 :: v_dual_mov_b32 v19, v213
.LBB118_1175:
	s_or_b32 exec_lo, exec_lo, s2
	v_lshl_add_u32 v212, v255, 4, v250
	s_barrier
	buffer_gl0_inv
	v_mov_b32_e32 v248, 56
	ds_store_2addr_b64 v212, v[12:13], v[14:15] offset1:1
	s_waitcnt lgkmcnt(0)
	s_barrier
	buffer_gl0_inv
	ds_load_2addr_b64 v[240:243], v250 offset0:112 offset1:113
	s_cmp_lt_i32 s12, 58
	s_cbranch_scc1 .LBB118_1178
; %bb.1176:
	v_add3_u32 v245, v254, 0, 0x390
	v_mov_b32_e32 v248, 56
	s_mov_b32 s2, 57
	s_set_inst_prefetch_distance 0x1
	.p2align	6
.LBB118_1177:                           ; =>This Inner Loop Header: Depth=1
	s_waitcnt lgkmcnt(0)
	v_cmp_gt_f64_e32 vcc_lo, 0, v[240:241]
	v_xor_b32_e32 v212, 0x80000000, v241
	v_xor_b32_e32 v214, 0x80000000, v243
	ds_load_2addr_b64 v[232:235], v245 offset1:1
	v_add_nc_u32_e32 v245, 16, v245
	s_waitcnt lgkmcnt(0)
	v_xor_b32_e32 v216, 0x80000000, v235
	v_cndmask_b32_e32 v213, v241, v212, vcc_lo
	v_cndmask_b32_e32 v212, v240, v240, vcc_lo
	v_cmp_gt_f64_e32 vcc_lo, 0, v[242:243]
	v_cndmask_b32_e32 v215, v243, v214, vcc_lo
	v_cndmask_b32_e32 v214, v242, v242, vcc_lo
	v_cmp_gt_f64_e32 vcc_lo, 0, v[232:233]
	s_delay_alu instid0(VALU_DEP_2) | instskip(SKIP_1) | instid1(VALU_DEP_1)
	v_add_f64 v[212:213], v[212:213], v[214:215]
	v_xor_b32_e32 v214, 0x80000000, v233
	v_dual_cndmask_b32 v215, v233, v214 :: v_dual_mov_b32 v214, v232
	v_cmp_gt_f64_e32 vcc_lo, 0, v[234:235]
	v_dual_cndmask_b32 v217, v235, v216 :: v_dual_mov_b32 v216, v234
	s_delay_alu instid0(VALU_DEP_1) | instskip(NEXT) | instid1(VALU_DEP_1)
	v_add_f64 v[214:215], v[214:215], v[216:217]
	v_cmp_lt_f64_e32 vcc_lo, v[212:213], v[214:215]
	v_dual_cndmask_b32 v241, v241, v233 :: v_dual_cndmask_b32 v240, v240, v232
	v_dual_cndmask_b32 v243, v243, v235 :: v_dual_cndmask_b32 v242, v242, v234
	v_cndmask_b32_e64 v248, v248, s2, vcc_lo
	s_add_i32 s2, s2, 1
	s_delay_alu instid0(SALU_CYCLE_1)
	s_cmp_lg_u32 s12, s2
	s_cbranch_scc1 .LBB118_1177
.LBB118_1178:
	s_set_inst_prefetch_distance 0x2
	s_waitcnt lgkmcnt(0)
	v_cmp_eq_f64_e32 vcc_lo, 0, v[240:241]
	v_cmp_eq_f64_e64 s2, 0, v[242:243]
	s_delay_alu instid0(VALU_DEP_1) | instskip(NEXT) | instid1(SALU_CYCLE_1)
	s_and_b32 s2, vcc_lo, s2
	s_and_saveexec_b32 s3, s2
	s_delay_alu instid0(SALU_CYCLE_1)
	s_xor_b32 s2, exec_lo, s3
; %bb.1179:
	v_cmp_ne_u32_e32 vcc_lo, 0, v253
	v_cndmask_b32_e32 v253, 57, v253, vcc_lo
; %bb.1180:
	s_and_not1_saveexec_b32 s2, s2
	s_cbranch_execz .LBB118_1186
; %bb.1181:
	v_cmp_gt_f64_e32 vcc_lo, 0, v[240:241]
	v_xor_b32_e32 v212, 0x80000000, v241
	v_xor_b32_e32 v214, 0x80000000, v243
	s_mov_b32 s3, exec_lo
	s_delay_alu instid0(VALU_DEP_2) | instskip(SKIP_4) | instid1(VALU_DEP_1)
	v_cndmask_b32_e32 v213, v241, v212, vcc_lo
	v_cndmask_b32_e32 v212, v240, v240, vcc_lo
	v_cmp_gt_f64_e32 vcc_lo, 0, v[242:243]
	v_cndmask_b32_e32 v215, v243, v214, vcc_lo
	v_cndmask_b32_e32 v214, v242, v242, vcc_lo
	v_cmpx_ngt_f64_e32 v[212:213], v[214:215]
	s_xor_b32 s3, exec_lo, s3
	s_cbranch_execz .LBB118_1183
; %bb.1182:
	v_div_scale_f64 v[212:213], null, v[242:243], v[242:243], v[240:241]
	v_div_scale_f64 v[218:219], vcc_lo, v[240:241], v[242:243], v[240:241]
	s_delay_alu instid0(VALU_DEP_2) | instskip(SKIP_2) | instid1(VALU_DEP_1)
	v_rcp_f64_e32 v[214:215], v[212:213]
	s_waitcnt_depctr 0xfff
	v_fma_f64 v[216:217], -v[212:213], v[214:215], 1.0
	v_fma_f64 v[214:215], v[214:215], v[216:217], v[214:215]
	s_delay_alu instid0(VALU_DEP_1) | instskip(NEXT) | instid1(VALU_DEP_1)
	v_fma_f64 v[216:217], -v[212:213], v[214:215], 1.0
	v_fma_f64 v[214:215], v[214:215], v[216:217], v[214:215]
	s_delay_alu instid0(VALU_DEP_1) | instskip(NEXT) | instid1(VALU_DEP_1)
	v_mul_f64 v[216:217], v[218:219], v[214:215]
	v_fma_f64 v[212:213], -v[212:213], v[216:217], v[218:219]
	s_delay_alu instid0(VALU_DEP_1) | instskip(NEXT) | instid1(VALU_DEP_1)
	v_div_fmas_f64 v[212:213], v[212:213], v[214:215], v[216:217]
	v_div_fixup_f64 v[212:213], v[212:213], v[242:243], v[240:241]
	s_delay_alu instid0(VALU_DEP_1) | instskip(NEXT) | instid1(VALU_DEP_1)
	v_fma_f64 v[214:215], v[240:241], v[212:213], v[242:243]
	v_div_scale_f64 v[216:217], null, v[214:215], v[214:215], 1.0
	s_delay_alu instid0(VALU_DEP_1) | instskip(SKIP_2) | instid1(VALU_DEP_1)
	v_rcp_f64_e32 v[218:219], v[216:217]
	s_waitcnt_depctr 0xfff
	v_fma_f64 v[220:221], -v[216:217], v[218:219], 1.0
	v_fma_f64 v[218:219], v[218:219], v[220:221], v[218:219]
	s_delay_alu instid0(VALU_DEP_1) | instskip(NEXT) | instid1(VALU_DEP_1)
	v_fma_f64 v[220:221], -v[216:217], v[218:219], 1.0
	v_fma_f64 v[218:219], v[218:219], v[220:221], v[218:219]
	v_div_scale_f64 v[220:221], vcc_lo, 1.0, v[214:215], 1.0
	s_delay_alu instid0(VALU_DEP_1) | instskip(NEXT) | instid1(VALU_DEP_1)
	v_mul_f64 v[222:223], v[220:221], v[218:219]
	v_fma_f64 v[216:217], -v[216:217], v[222:223], v[220:221]
	s_delay_alu instid0(VALU_DEP_1) | instskip(NEXT) | instid1(VALU_DEP_1)
	v_div_fmas_f64 v[216:217], v[216:217], v[218:219], v[222:223]
	v_div_fixup_f64 v[242:243], v[216:217], v[214:215], 1.0
	s_delay_alu instid0(VALU_DEP_1)
	v_mul_f64 v[240:241], v[212:213], v[242:243]
	v_xor_b32_e32 v243, 0x80000000, v243
.LBB118_1183:
	s_and_not1_saveexec_b32 s3, s3
	s_cbranch_execz .LBB118_1185
; %bb.1184:
	s_delay_alu instid0(VALU_DEP_1) | instskip(SKIP_1) | instid1(VALU_DEP_2)
	v_div_scale_f64 v[212:213], null, v[240:241], v[240:241], v[242:243]
	v_div_scale_f64 v[218:219], vcc_lo, v[242:243], v[240:241], v[242:243]
	v_rcp_f64_e32 v[214:215], v[212:213]
	s_waitcnt_depctr 0xfff
	v_fma_f64 v[216:217], -v[212:213], v[214:215], 1.0
	s_delay_alu instid0(VALU_DEP_1) | instskip(NEXT) | instid1(VALU_DEP_1)
	v_fma_f64 v[214:215], v[214:215], v[216:217], v[214:215]
	v_fma_f64 v[216:217], -v[212:213], v[214:215], 1.0
	s_delay_alu instid0(VALU_DEP_1) | instskip(NEXT) | instid1(VALU_DEP_1)
	v_fma_f64 v[214:215], v[214:215], v[216:217], v[214:215]
	v_mul_f64 v[216:217], v[218:219], v[214:215]
	s_delay_alu instid0(VALU_DEP_1) | instskip(NEXT) | instid1(VALU_DEP_1)
	v_fma_f64 v[212:213], -v[212:213], v[216:217], v[218:219]
	v_div_fmas_f64 v[212:213], v[212:213], v[214:215], v[216:217]
	s_delay_alu instid0(VALU_DEP_1) | instskip(NEXT) | instid1(VALU_DEP_1)
	v_div_fixup_f64 v[212:213], v[212:213], v[240:241], v[242:243]
	v_fma_f64 v[214:215], v[242:243], v[212:213], v[240:241]
	s_delay_alu instid0(VALU_DEP_1) | instskip(NEXT) | instid1(VALU_DEP_1)
	v_div_scale_f64 v[216:217], null, v[214:215], v[214:215], 1.0
	v_rcp_f64_e32 v[218:219], v[216:217]
	s_waitcnt_depctr 0xfff
	v_fma_f64 v[220:221], -v[216:217], v[218:219], 1.0
	s_delay_alu instid0(VALU_DEP_1) | instskip(NEXT) | instid1(VALU_DEP_1)
	v_fma_f64 v[218:219], v[218:219], v[220:221], v[218:219]
	v_fma_f64 v[220:221], -v[216:217], v[218:219], 1.0
	s_delay_alu instid0(VALU_DEP_1) | instskip(SKIP_1) | instid1(VALU_DEP_1)
	v_fma_f64 v[218:219], v[218:219], v[220:221], v[218:219]
	v_div_scale_f64 v[220:221], vcc_lo, 1.0, v[214:215], 1.0
	v_mul_f64 v[222:223], v[220:221], v[218:219]
	s_delay_alu instid0(VALU_DEP_1) | instskip(NEXT) | instid1(VALU_DEP_1)
	v_fma_f64 v[216:217], -v[216:217], v[222:223], v[220:221]
	v_div_fmas_f64 v[216:217], v[216:217], v[218:219], v[222:223]
	s_delay_alu instid0(VALU_DEP_1) | instskip(NEXT) | instid1(VALU_DEP_1)
	v_div_fixup_f64 v[240:241], v[216:217], v[214:215], 1.0
	v_mul_f64 v[242:243], v[212:213], -v[240:241]
.LBB118_1185:
	s_or_b32 exec_lo, exec_lo, s3
.LBB118_1186:
	s_delay_alu instid0(SALU_CYCLE_1) | instskip(NEXT) | instid1(SALU_CYCLE_1)
	s_or_b32 exec_lo, exec_lo, s2
	s_mov_b32 s2, exec_lo
	v_cmpx_ne_u32_e64 v255, v248
	s_xor_b32 s2, exec_lo, s2
	s_cbranch_execz .LBB118_1192
; %bb.1187:
	s_mov_b32 s3, exec_lo
	v_cmpx_eq_u32_e32 56, v255
	s_cbranch_execz .LBB118_1191
; %bb.1188:
	v_cmp_ne_u32_e32 vcc_lo, 56, v248
	s_xor_b32 s4, s5, -1
	s_delay_alu instid0(SALU_CYCLE_1) | instskip(NEXT) | instid1(SALU_CYCLE_1)
	s_and_b32 s6, s4, vcc_lo
	s_and_saveexec_b32 s4, s6
	s_cbranch_execz .LBB118_1190
; %bb.1189:
	scratch_load_b64 v[208:209], off, off offset:16 ; 8-byte Folded Reload
	v_ashrrev_i32_e32 v249, 31, v248
	s_delay_alu instid0(VALU_DEP_1) | instskip(SKIP_1) | instid1(VALU_DEP_1)
	v_lshlrev_b64 v[212:213], 2, v[248:249]
	s_waitcnt vmcnt(0)
	v_add_co_u32 v212, vcc_lo, v208, v212
	s_delay_alu instid0(VALU_DEP_2)
	v_add_co_ci_u32_e32 v213, vcc_lo, v209, v213, vcc_lo
	s_clause 0x1
	flat_load_b32 v214, v[212:213]
	flat_load_b32 v215, v[208:209] offset:224
	s_waitcnt vmcnt(1) lgkmcnt(1)
	flat_store_b32 v[208:209], v214 offset:224
	s_waitcnt vmcnt(0) lgkmcnt(1)
	flat_store_b32 v[212:213], v215
.LBB118_1190:
	s_or_b32 exec_lo, exec_lo, s4
	v_mov_b32_e32 v255, v248
	v_mov_b32_e32 v244, v248
.LBB118_1191:
	s_or_b32 exec_lo, exec_lo, s3
.LBB118_1192:
	s_and_not1_saveexec_b32 s2, s2
	s_cbranch_execz .LBB118_1194
; %bb.1193:
	v_mov_b32_e32 v255, 56
	ds_store_2addr_b64 v250, v[236:237], v[238:239] offset0:114 offset1:115
	ds_store_2addr_b64 v250, v[224:225], v[226:227] offset0:116 offset1:117
	;; [unrolled: 1-line block ×3, first 2 shown]
.LBB118_1194:
	s_or_b32 exec_lo, exec_lo, s2
	s_delay_alu instid0(SALU_CYCLE_1)
	s_mov_b32 s2, exec_lo
	s_waitcnt lgkmcnt(0)
	s_waitcnt_vscnt null, 0x0
	s_barrier
	buffer_gl0_inv
	v_cmpx_lt_i32_e32 56, v255
	s_cbranch_execz .LBB118_1196
; %bb.1195:
	v_mul_f64 v[212:213], v[240:241], v[14:15]
	v_mul_f64 v[14:15], v[242:243], v[14:15]
	ds_load_2addr_b64 v[232:235], v250 offset0:114 offset1:115
	v_fma_f64 v[212:213], v[242:243], v[12:13], v[212:213]
	v_fma_f64 v[12:13], v[240:241], v[12:13], -v[14:15]
	s_waitcnt lgkmcnt(0)
	s_delay_alu instid0(VALU_DEP_2) | instskip(SKIP_1) | instid1(VALU_DEP_2)
	v_mul_f64 v[14:15], v[234:235], v[212:213]
	v_mul_f64 v[214:215], v[232:233], v[212:213]
	v_fma_f64 v[14:15], v[232:233], v[12:13], -v[14:15]
	s_delay_alu instid0(VALU_DEP_2)
	v_fma_f64 v[214:215], v[234:235], v[12:13], v[214:215]
	ds_load_2addr_b64 v[232:235], v250 offset0:116 offset1:117
	v_add_f64 v[236:237], v[236:237], -v[14:15]
	v_add_f64 v[238:239], v[238:239], -v[214:215]
	s_waitcnt lgkmcnt(0)
	v_mul_f64 v[14:15], v[234:235], v[212:213]
	v_mul_f64 v[214:215], v[232:233], v[212:213]
	s_delay_alu instid0(VALU_DEP_2) | instskip(NEXT) | instid1(VALU_DEP_2)
	v_fma_f64 v[14:15], v[232:233], v[12:13], -v[14:15]
	v_fma_f64 v[214:215], v[234:235], v[12:13], v[214:215]
	ds_load_2addr_b64 v[232:235], v250 offset0:118 offset1:119
	v_add_f64 v[224:225], v[224:225], -v[14:15]
	v_add_f64 v[226:227], v[226:227], -v[214:215]
	s_waitcnt lgkmcnt(0)
	v_mul_f64 v[14:15], v[234:235], v[212:213]
	v_mul_f64 v[214:215], v[232:233], v[212:213]
	s_delay_alu instid0(VALU_DEP_2) | instskip(NEXT) | instid1(VALU_DEP_2)
	v_fma_f64 v[14:15], v[232:233], v[12:13], -v[14:15]
	v_fma_f64 v[214:215], v[234:235], v[12:13], v[214:215]
	s_delay_alu instid0(VALU_DEP_2) | instskip(NEXT) | instid1(VALU_DEP_2)
	v_add_f64 v[228:229], v[228:229], -v[14:15]
	v_add_f64 v[230:231], v[230:231], -v[214:215]
	v_dual_mov_b32 v14, v212 :: v_dual_mov_b32 v15, v213
.LBB118_1196:
	s_or_b32 exec_lo, exec_lo, s2
	v_lshl_add_u32 v212, v255, 4, v250
	s_barrier
	buffer_gl0_inv
	v_mov_b32_e32 v248, 57
	ds_store_2addr_b64 v212, v[236:237], v[238:239] offset1:1
	s_waitcnt lgkmcnt(0)
	s_barrier
	buffer_gl0_inv
	ds_load_2addr_b64 v[240:243], v250 offset0:114 offset1:115
	s_cmp_lt_i32 s12, 59
	s_cbranch_scc1 .LBB118_1199
; %bb.1197:
	v_add3_u32 v245, v254, 0, 0x3a0
	v_mov_b32_e32 v248, 57
	s_mov_b32 s2, 58
	s_set_inst_prefetch_distance 0x1
	.p2align	6
.LBB118_1198:                           ; =>This Inner Loop Header: Depth=1
	s_waitcnt lgkmcnt(0)
	v_cmp_gt_f64_e32 vcc_lo, 0, v[240:241]
	v_xor_b32_e32 v212, 0x80000000, v241
	v_xor_b32_e32 v214, 0x80000000, v243
	ds_load_2addr_b64 v[232:235], v245 offset1:1
	v_add_nc_u32_e32 v245, 16, v245
	s_waitcnt lgkmcnt(0)
	v_xor_b32_e32 v216, 0x80000000, v235
	v_cndmask_b32_e32 v213, v241, v212, vcc_lo
	v_cndmask_b32_e32 v212, v240, v240, vcc_lo
	v_cmp_gt_f64_e32 vcc_lo, 0, v[242:243]
	v_cndmask_b32_e32 v215, v243, v214, vcc_lo
	v_cndmask_b32_e32 v214, v242, v242, vcc_lo
	v_cmp_gt_f64_e32 vcc_lo, 0, v[232:233]
	s_delay_alu instid0(VALU_DEP_2) | instskip(SKIP_1) | instid1(VALU_DEP_1)
	v_add_f64 v[212:213], v[212:213], v[214:215]
	v_xor_b32_e32 v214, 0x80000000, v233
	v_dual_cndmask_b32 v215, v233, v214 :: v_dual_mov_b32 v214, v232
	v_cmp_gt_f64_e32 vcc_lo, 0, v[234:235]
	v_dual_cndmask_b32 v217, v235, v216 :: v_dual_mov_b32 v216, v234
	s_delay_alu instid0(VALU_DEP_1) | instskip(NEXT) | instid1(VALU_DEP_1)
	v_add_f64 v[214:215], v[214:215], v[216:217]
	v_cmp_lt_f64_e32 vcc_lo, v[212:213], v[214:215]
	v_dual_cndmask_b32 v241, v241, v233 :: v_dual_cndmask_b32 v240, v240, v232
	v_dual_cndmask_b32 v243, v243, v235 :: v_dual_cndmask_b32 v242, v242, v234
	v_cndmask_b32_e64 v248, v248, s2, vcc_lo
	s_add_i32 s2, s2, 1
	s_delay_alu instid0(SALU_CYCLE_1)
	s_cmp_lg_u32 s12, s2
	s_cbranch_scc1 .LBB118_1198
.LBB118_1199:
	s_set_inst_prefetch_distance 0x2
	s_waitcnt lgkmcnt(0)
	v_cmp_eq_f64_e32 vcc_lo, 0, v[240:241]
	v_cmp_eq_f64_e64 s2, 0, v[242:243]
	s_delay_alu instid0(VALU_DEP_1) | instskip(NEXT) | instid1(SALU_CYCLE_1)
	s_and_b32 s2, vcc_lo, s2
	s_and_saveexec_b32 s3, s2
	s_delay_alu instid0(SALU_CYCLE_1)
	s_xor_b32 s2, exec_lo, s3
; %bb.1200:
	v_cmp_ne_u32_e32 vcc_lo, 0, v253
	v_cndmask_b32_e32 v253, 58, v253, vcc_lo
; %bb.1201:
	s_and_not1_saveexec_b32 s2, s2
	s_cbranch_execz .LBB118_1207
; %bb.1202:
	v_cmp_gt_f64_e32 vcc_lo, 0, v[240:241]
	v_xor_b32_e32 v212, 0x80000000, v241
	v_xor_b32_e32 v214, 0x80000000, v243
	s_mov_b32 s3, exec_lo
	s_delay_alu instid0(VALU_DEP_2) | instskip(SKIP_4) | instid1(VALU_DEP_1)
	v_cndmask_b32_e32 v213, v241, v212, vcc_lo
	v_cndmask_b32_e32 v212, v240, v240, vcc_lo
	v_cmp_gt_f64_e32 vcc_lo, 0, v[242:243]
	v_cndmask_b32_e32 v215, v243, v214, vcc_lo
	v_cndmask_b32_e32 v214, v242, v242, vcc_lo
	v_cmpx_ngt_f64_e32 v[212:213], v[214:215]
	s_xor_b32 s3, exec_lo, s3
	s_cbranch_execz .LBB118_1204
; %bb.1203:
	v_div_scale_f64 v[212:213], null, v[242:243], v[242:243], v[240:241]
	v_div_scale_f64 v[218:219], vcc_lo, v[240:241], v[242:243], v[240:241]
	s_delay_alu instid0(VALU_DEP_2) | instskip(SKIP_2) | instid1(VALU_DEP_1)
	v_rcp_f64_e32 v[214:215], v[212:213]
	s_waitcnt_depctr 0xfff
	v_fma_f64 v[216:217], -v[212:213], v[214:215], 1.0
	v_fma_f64 v[214:215], v[214:215], v[216:217], v[214:215]
	s_delay_alu instid0(VALU_DEP_1) | instskip(NEXT) | instid1(VALU_DEP_1)
	v_fma_f64 v[216:217], -v[212:213], v[214:215], 1.0
	v_fma_f64 v[214:215], v[214:215], v[216:217], v[214:215]
	s_delay_alu instid0(VALU_DEP_1) | instskip(NEXT) | instid1(VALU_DEP_1)
	v_mul_f64 v[216:217], v[218:219], v[214:215]
	v_fma_f64 v[212:213], -v[212:213], v[216:217], v[218:219]
	s_delay_alu instid0(VALU_DEP_1) | instskip(NEXT) | instid1(VALU_DEP_1)
	v_div_fmas_f64 v[212:213], v[212:213], v[214:215], v[216:217]
	v_div_fixup_f64 v[212:213], v[212:213], v[242:243], v[240:241]
	s_delay_alu instid0(VALU_DEP_1) | instskip(NEXT) | instid1(VALU_DEP_1)
	v_fma_f64 v[214:215], v[240:241], v[212:213], v[242:243]
	v_div_scale_f64 v[216:217], null, v[214:215], v[214:215], 1.0
	s_delay_alu instid0(VALU_DEP_1) | instskip(SKIP_2) | instid1(VALU_DEP_1)
	v_rcp_f64_e32 v[218:219], v[216:217]
	s_waitcnt_depctr 0xfff
	v_fma_f64 v[220:221], -v[216:217], v[218:219], 1.0
	v_fma_f64 v[218:219], v[218:219], v[220:221], v[218:219]
	s_delay_alu instid0(VALU_DEP_1) | instskip(NEXT) | instid1(VALU_DEP_1)
	v_fma_f64 v[220:221], -v[216:217], v[218:219], 1.0
	v_fma_f64 v[218:219], v[218:219], v[220:221], v[218:219]
	v_div_scale_f64 v[220:221], vcc_lo, 1.0, v[214:215], 1.0
	s_delay_alu instid0(VALU_DEP_1) | instskip(NEXT) | instid1(VALU_DEP_1)
	v_mul_f64 v[222:223], v[220:221], v[218:219]
	v_fma_f64 v[216:217], -v[216:217], v[222:223], v[220:221]
	s_delay_alu instid0(VALU_DEP_1) | instskip(NEXT) | instid1(VALU_DEP_1)
	v_div_fmas_f64 v[216:217], v[216:217], v[218:219], v[222:223]
	v_div_fixup_f64 v[242:243], v[216:217], v[214:215], 1.0
	s_delay_alu instid0(VALU_DEP_1)
	v_mul_f64 v[240:241], v[212:213], v[242:243]
	v_xor_b32_e32 v243, 0x80000000, v243
.LBB118_1204:
	s_and_not1_saveexec_b32 s3, s3
	s_cbranch_execz .LBB118_1206
; %bb.1205:
	s_delay_alu instid0(VALU_DEP_1) | instskip(SKIP_1) | instid1(VALU_DEP_2)
	v_div_scale_f64 v[212:213], null, v[240:241], v[240:241], v[242:243]
	v_div_scale_f64 v[218:219], vcc_lo, v[242:243], v[240:241], v[242:243]
	v_rcp_f64_e32 v[214:215], v[212:213]
	s_waitcnt_depctr 0xfff
	v_fma_f64 v[216:217], -v[212:213], v[214:215], 1.0
	s_delay_alu instid0(VALU_DEP_1) | instskip(NEXT) | instid1(VALU_DEP_1)
	v_fma_f64 v[214:215], v[214:215], v[216:217], v[214:215]
	v_fma_f64 v[216:217], -v[212:213], v[214:215], 1.0
	s_delay_alu instid0(VALU_DEP_1) | instskip(NEXT) | instid1(VALU_DEP_1)
	v_fma_f64 v[214:215], v[214:215], v[216:217], v[214:215]
	v_mul_f64 v[216:217], v[218:219], v[214:215]
	s_delay_alu instid0(VALU_DEP_1) | instskip(NEXT) | instid1(VALU_DEP_1)
	v_fma_f64 v[212:213], -v[212:213], v[216:217], v[218:219]
	v_div_fmas_f64 v[212:213], v[212:213], v[214:215], v[216:217]
	s_delay_alu instid0(VALU_DEP_1) | instskip(NEXT) | instid1(VALU_DEP_1)
	v_div_fixup_f64 v[212:213], v[212:213], v[240:241], v[242:243]
	v_fma_f64 v[214:215], v[242:243], v[212:213], v[240:241]
	s_delay_alu instid0(VALU_DEP_1) | instskip(NEXT) | instid1(VALU_DEP_1)
	v_div_scale_f64 v[216:217], null, v[214:215], v[214:215], 1.0
	v_rcp_f64_e32 v[218:219], v[216:217]
	s_waitcnt_depctr 0xfff
	v_fma_f64 v[220:221], -v[216:217], v[218:219], 1.0
	s_delay_alu instid0(VALU_DEP_1) | instskip(NEXT) | instid1(VALU_DEP_1)
	v_fma_f64 v[218:219], v[218:219], v[220:221], v[218:219]
	v_fma_f64 v[220:221], -v[216:217], v[218:219], 1.0
	s_delay_alu instid0(VALU_DEP_1) | instskip(SKIP_1) | instid1(VALU_DEP_1)
	v_fma_f64 v[218:219], v[218:219], v[220:221], v[218:219]
	v_div_scale_f64 v[220:221], vcc_lo, 1.0, v[214:215], 1.0
	v_mul_f64 v[222:223], v[220:221], v[218:219]
	s_delay_alu instid0(VALU_DEP_1) | instskip(NEXT) | instid1(VALU_DEP_1)
	v_fma_f64 v[216:217], -v[216:217], v[222:223], v[220:221]
	v_div_fmas_f64 v[216:217], v[216:217], v[218:219], v[222:223]
	s_delay_alu instid0(VALU_DEP_1) | instskip(NEXT) | instid1(VALU_DEP_1)
	v_div_fixup_f64 v[240:241], v[216:217], v[214:215], 1.0
	v_mul_f64 v[242:243], v[212:213], -v[240:241]
.LBB118_1206:
	s_or_b32 exec_lo, exec_lo, s3
.LBB118_1207:
	s_delay_alu instid0(SALU_CYCLE_1) | instskip(NEXT) | instid1(SALU_CYCLE_1)
	s_or_b32 exec_lo, exec_lo, s2
	s_mov_b32 s2, exec_lo
	v_cmpx_ne_u32_e64 v255, v248
	s_xor_b32 s2, exec_lo, s2
	s_cbranch_execz .LBB118_1213
; %bb.1208:
	s_mov_b32 s3, exec_lo
	v_cmpx_eq_u32_e32 57, v255
	s_cbranch_execz .LBB118_1212
; %bb.1209:
	v_cmp_ne_u32_e32 vcc_lo, 57, v248
	s_xor_b32 s4, s5, -1
	s_delay_alu instid0(SALU_CYCLE_1) | instskip(NEXT) | instid1(SALU_CYCLE_1)
	s_and_b32 s6, s4, vcc_lo
	s_and_saveexec_b32 s4, s6
	s_cbranch_execz .LBB118_1211
; %bb.1210:
	scratch_load_b64 v[208:209], off, off offset:16 ; 8-byte Folded Reload
	v_ashrrev_i32_e32 v249, 31, v248
	s_delay_alu instid0(VALU_DEP_1) | instskip(SKIP_1) | instid1(VALU_DEP_1)
	v_lshlrev_b64 v[212:213], 2, v[248:249]
	s_waitcnt vmcnt(0)
	v_add_co_u32 v212, vcc_lo, v208, v212
	s_delay_alu instid0(VALU_DEP_2)
	v_add_co_ci_u32_e32 v213, vcc_lo, v209, v213, vcc_lo
	s_clause 0x1
	flat_load_b32 v214, v[212:213]
	flat_load_b32 v215, v[208:209] offset:228
	s_waitcnt vmcnt(1) lgkmcnt(1)
	flat_store_b32 v[208:209], v214 offset:228
	s_waitcnt vmcnt(0) lgkmcnt(1)
	flat_store_b32 v[212:213], v215
.LBB118_1211:
	s_or_b32 exec_lo, exec_lo, s4
	v_mov_b32_e32 v255, v248
	v_mov_b32_e32 v244, v248
.LBB118_1212:
	s_or_b32 exec_lo, exec_lo, s3
.LBB118_1213:
	s_and_not1_saveexec_b32 s2, s2
	s_cbranch_execz .LBB118_1215
; %bb.1214:
	v_mov_b32_e32 v255, 57
	ds_store_2addr_b64 v250, v[224:225], v[226:227] offset0:116 offset1:117
	ds_store_2addr_b64 v250, v[228:229], v[230:231] offset0:118 offset1:119
.LBB118_1215:
	s_or_b32 exec_lo, exec_lo, s2
	v_cmp_lt_i32_e32 vcc_lo, 57, v255
	s_waitcnt lgkmcnt(0)
	s_waitcnt_vscnt null, 0x0
	s_barrier
	buffer_gl0_inv
	s_mov_b32 s2, exec_lo
	v_dual_mov_b32 v211, v3 :: v_dual_mov_b32 v210, v2
	v_dual_mov_b32 v209, v1 :: v_dual_mov_b32 v208, v0
	s_and_b32 s3, s2, vcc_lo
	s_delay_alu instid0(SALU_CYCLE_1)
	s_mov_b32 exec_lo, s3
	s_cbranch_execz .LBB118_1217
; %bb.1216:
	v_mul_f64 v[212:213], v[240:241], v[238:239]
	v_dual_mov_b32 v0, v4 :: v_dual_mov_b32 v1, v5
	v_dual_mov_b32 v2, v6 :: v_dual_mov_b32 v3, v7
	;; [unrolled: 1-line block ×4, first 2 shown]
	v_mul_f64 v[10:11], v[242:243], v[238:239]
	ds_load_2addr_b64 v[232:235], v250 offset0:116 offset1:117
	v_fma_f64 v[212:213], v[242:243], v[236:237], v[212:213]
	v_fma_f64 v[236:237], v[240:241], v[236:237], -v[10:11]
	s_waitcnt lgkmcnt(0)
	s_delay_alu instid0(VALU_DEP_2) | instskip(SKIP_2) | instid1(VALU_DEP_3)
	v_mul_f64 v[10:11], v[234:235], v[212:213]
	v_mul_f64 v[214:215], v[232:233], v[212:213]
	v_dual_mov_b32 v239, v213 :: v_dual_mov_b32 v238, v212
	v_fma_f64 v[10:11], v[232:233], v[236:237], -v[10:11]
	s_delay_alu instid0(VALU_DEP_3)
	v_fma_f64 v[214:215], v[234:235], v[236:237], v[214:215]
	ds_load_2addr_b64 v[232:235], v250 offset0:118 offset1:119
	v_add_f64 v[224:225], v[224:225], -v[10:11]
	v_add_f64 v[226:227], v[226:227], -v[214:215]
	s_waitcnt lgkmcnt(0)
	v_mul_f64 v[10:11], v[234:235], v[212:213]
	v_mul_f64 v[214:215], v[232:233], v[212:213]
	s_delay_alu instid0(VALU_DEP_2) | instskip(NEXT) | instid1(VALU_DEP_2)
	v_fma_f64 v[10:11], v[232:233], v[236:237], -v[10:11]
	v_fma_f64 v[214:215], v[234:235], v[236:237], v[214:215]
	s_delay_alu instid0(VALU_DEP_2) | instskip(NEXT) | instid1(VALU_DEP_2)
	v_add_f64 v[228:229], v[228:229], -v[10:11]
	v_add_f64 v[230:231], v[230:231], -v[214:215]
	v_dual_mov_b32 v11, v7 :: v_dual_mov_b32 v10, v6
	v_dual_mov_b32 v9, v5 :: v_dual_mov_b32 v8, v4
	;; [unrolled: 1-line block ×6, first 2 shown]
.LBB118_1217:
	s_or_b32 exec_lo, exec_lo, s2
	v_lshl_add_u32 v212, v255, 4, v250
	s_barrier
	buffer_gl0_inv
	v_mov_b32_e32 v248, 58
	ds_store_2addr_b64 v212, v[224:225], v[226:227] offset1:1
	s_waitcnt lgkmcnt(0)
	s_barrier
	buffer_gl0_inv
	ds_load_2addr_b64 v[240:243], v250 offset0:116 offset1:117
	s_cmp_lt_i32 s12, 60
	s_cbranch_scc1 .LBB118_1220
; %bb.1218:
	v_add3_u32 v245, v254, 0, 0x3b0
	v_mov_b32_e32 v248, 58
	s_mov_b32 s2, 59
	s_set_inst_prefetch_distance 0x1
	.p2align	6
.LBB118_1219:                           ; =>This Inner Loop Header: Depth=1
	s_waitcnt lgkmcnt(0)
	v_cmp_gt_f64_e32 vcc_lo, 0, v[240:241]
	v_xor_b32_e32 v212, 0x80000000, v241
	v_xor_b32_e32 v214, 0x80000000, v243
	ds_load_2addr_b64 v[232:235], v245 offset1:1
	v_add_nc_u32_e32 v245, 16, v245
	s_waitcnt lgkmcnt(0)
	v_xor_b32_e32 v216, 0x80000000, v235
	v_cndmask_b32_e32 v213, v241, v212, vcc_lo
	v_cndmask_b32_e32 v212, v240, v240, vcc_lo
	v_cmp_gt_f64_e32 vcc_lo, 0, v[242:243]
	v_cndmask_b32_e32 v215, v243, v214, vcc_lo
	v_cndmask_b32_e32 v214, v242, v242, vcc_lo
	v_cmp_gt_f64_e32 vcc_lo, 0, v[232:233]
	s_delay_alu instid0(VALU_DEP_2) | instskip(SKIP_1) | instid1(VALU_DEP_1)
	v_add_f64 v[212:213], v[212:213], v[214:215]
	v_xor_b32_e32 v214, 0x80000000, v233
	v_dual_cndmask_b32 v215, v233, v214 :: v_dual_mov_b32 v214, v232
	v_cmp_gt_f64_e32 vcc_lo, 0, v[234:235]
	v_dual_cndmask_b32 v217, v235, v216 :: v_dual_mov_b32 v216, v234
	s_delay_alu instid0(VALU_DEP_1) | instskip(NEXT) | instid1(VALU_DEP_1)
	v_add_f64 v[214:215], v[214:215], v[216:217]
	v_cmp_lt_f64_e32 vcc_lo, v[212:213], v[214:215]
	v_dual_cndmask_b32 v241, v241, v233 :: v_dual_cndmask_b32 v240, v240, v232
	v_dual_cndmask_b32 v243, v243, v235 :: v_dual_cndmask_b32 v242, v242, v234
	v_cndmask_b32_e64 v248, v248, s2, vcc_lo
	s_add_i32 s2, s2, 1
	s_delay_alu instid0(SALU_CYCLE_1)
	s_cmp_lg_u32 s12, s2
	s_cbranch_scc1 .LBB118_1219
.LBB118_1220:
	s_set_inst_prefetch_distance 0x2
	s_waitcnt lgkmcnt(0)
	v_cmp_eq_f64_e32 vcc_lo, 0, v[240:241]
	v_cmp_eq_f64_e64 s2, 0, v[242:243]
	s_delay_alu instid0(VALU_DEP_1) | instskip(NEXT) | instid1(SALU_CYCLE_1)
	s_and_b32 s2, vcc_lo, s2
	s_and_saveexec_b32 s3, s2
	s_delay_alu instid0(SALU_CYCLE_1)
	s_xor_b32 s2, exec_lo, s3
; %bb.1221:
	v_cmp_ne_u32_e32 vcc_lo, 0, v253
	v_cndmask_b32_e32 v253, 59, v253, vcc_lo
; %bb.1222:
	s_and_not1_saveexec_b32 s2, s2
	s_cbranch_execz .LBB118_1228
; %bb.1223:
	v_cmp_gt_f64_e32 vcc_lo, 0, v[240:241]
	v_xor_b32_e32 v212, 0x80000000, v241
	v_xor_b32_e32 v214, 0x80000000, v243
	s_mov_b32 s3, exec_lo
	s_delay_alu instid0(VALU_DEP_2) | instskip(SKIP_4) | instid1(VALU_DEP_1)
	v_cndmask_b32_e32 v213, v241, v212, vcc_lo
	v_cndmask_b32_e32 v212, v240, v240, vcc_lo
	v_cmp_gt_f64_e32 vcc_lo, 0, v[242:243]
	v_cndmask_b32_e32 v215, v243, v214, vcc_lo
	v_cndmask_b32_e32 v214, v242, v242, vcc_lo
	v_cmpx_ngt_f64_e32 v[212:213], v[214:215]
	s_xor_b32 s3, exec_lo, s3
	s_cbranch_execz .LBB118_1225
; %bb.1224:
	v_div_scale_f64 v[212:213], null, v[242:243], v[242:243], v[240:241]
	v_div_scale_f64 v[218:219], vcc_lo, v[240:241], v[242:243], v[240:241]
	s_delay_alu instid0(VALU_DEP_2) | instskip(SKIP_2) | instid1(VALU_DEP_1)
	v_rcp_f64_e32 v[214:215], v[212:213]
	s_waitcnt_depctr 0xfff
	v_fma_f64 v[216:217], -v[212:213], v[214:215], 1.0
	v_fma_f64 v[214:215], v[214:215], v[216:217], v[214:215]
	s_delay_alu instid0(VALU_DEP_1) | instskip(NEXT) | instid1(VALU_DEP_1)
	v_fma_f64 v[216:217], -v[212:213], v[214:215], 1.0
	v_fma_f64 v[214:215], v[214:215], v[216:217], v[214:215]
	s_delay_alu instid0(VALU_DEP_1) | instskip(NEXT) | instid1(VALU_DEP_1)
	v_mul_f64 v[216:217], v[218:219], v[214:215]
	v_fma_f64 v[212:213], -v[212:213], v[216:217], v[218:219]
	s_delay_alu instid0(VALU_DEP_1) | instskip(NEXT) | instid1(VALU_DEP_1)
	v_div_fmas_f64 v[212:213], v[212:213], v[214:215], v[216:217]
	v_div_fixup_f64 v[212:213], v[212:213], v[242:243], v[240:241]
	s_delay_alu instid0(VALU_DEP_1) | instskip(NEXT) | instid1(VALU_DEP_1)
	v_fma_f64 v[214:215], v[240:241], v[212:213], v[242:243]
	v_div_scale_f64 v[216:217], null, v[214:215], v[214:215], 1.0
	s_delay_alu instid0(VALU_DEP_1) | instskip(SKIP_2) | instid1(VALU_DEP_1)
	v_rcp_f64_e32 v[218:219], v[216:217]
	s_waitcnt_depctr 0xfff
	v_fma_f64 v[220:221], -v[216:217], v[218:219], 1.0
	v_fma_f64 v[218:219], v[218:219], v[220:221], v[218:219]
	s_delay_alu instid0(VALU_DEP_1) | instskip(NEXT) | instid1(VALU_DEP_1)
	v_fma_f64 v[220:221], -v[216:217], v[218:219], 1.0
	v_fma_f64 v[218:219], v[218:219], v[220:221], v[218:219]
	v_div_scale_f64 v[220:221], vcc_lo, 1.0, v[214:215], 1.0
	s_delay_alu instid0(VALU_DEP_1) | instskip(NEXT) | instid1(VALU_DEP_1)
	v_mul_f64 v[222:223], v[220:221], v[218:219]
	v_fma_f64 v[216:217], -v[216:217], v[222:223], v[220:221]
	s_delay_alu instid0(VALU_DEP_1) | instskip(NEXT) | instid1(VALU_DEP_1)
	v_div_fmas_f64 v[216:217], v[216:217], v[218:219], v[222:223]
	v_div_fixup_f64 v[242:243], v[216:217], v[214:215], 1.0
	s_delay_alu instid0(VALU_DEP_1)
	v_mul_f64 v[240:241], v[212:213], v[242:243]
	v_xor_b32_e32 v243, 0x80000000, v243
.LBB118_1225:
	s_and_not1_saveexec_b32 s3, s3
	s_cbranch_execz .LBB118_1227
; %bb.1226:
	s_delay_alu instid0(VALU_DEP_1) | instskip(SKIP_1) | instid1(VALU_DEP_2)
	v_div_scale_f64 v[212:213], null, v[240:241], v[240:241], v[242:243]
	v_div_scale_f64 v[218:219], vcc_lo, v[242:243], v[240:241], v[242:243]
	v_rcp_f64_e32 v[214:215], v[212:213]
	s_waitcnt_depctr 0xfff
	v_fma_f64 v[216:217], -v[212:213], v[214:215], 1.0
	s_delay_alu instid0(VALU_DEP_1) | instskip(NEXT) | instid1(VALU_DEP_1)
	v_fma_f64 v[214:215], v[214:215], v[216:217], v[214:215]
	v_fma_f64 v[216:217], -v[212:213], v[214:215], 1.0
	s_delay_alu instid0(VALU_DEP_1) | instskip(NEXT) | instid1(VALU_DEP_1)
	v_fma_f64 v[214:215], v[214:215], v[216:217], v[214:215]
	v_mul_f64 v[216:217], v[218:219], v[214:215]
	s_delay_alu instid0(VALU_DEP_1) | instskip(NEXT) | instid1(VALU_DEP_1)
	v_fma_f64 v[212:213], -v[212:213], v[216:217], v[218:219]
	v_div_fmas_f64 v[212:213], v[212:213], v[214:215], v[216:217]
	s_delay_alu instid0(VALU_DEP_1) | instskip(NEXT) | instid1(VALU_DEP_1)
	v_div_fixup_f64 v[212:213], v[212:213], v[240:241], v[242:243]
	v_fma_f64 v[214:215], v[242:243], v[212:213], v[240:241]
	s_delay_alu instid0(VALU_DEP_1) | instskip(NEXT) | instid1(VALU_DEP_1)
	v_div_scale_f64 v[216:217], null, v[214:215], v[214:215], 1.0
	v_rcp_f64_e32 v[218:219], v[216:217]
	s_waitcnt_depctr 0xfff
	v_fma_f64 v[220:221], -v[216:217], v[218:219], 1.0
	s_delay_alu instid0(VALU_DEP_1) | instskip(NEXT) | instid1(VALU_DEP_1)
	v_fma_f64 v[218:219], v[218:219], v[220:221], v[218:219]
	v_fma_f64 v[220:221], -v[216:217], v[218:219], 1.0
	s_delay_alu instid0(VALU_DEP_1) | instskip(SKIP_1) | instid1(VALU_DEP_1)
	v_fma_f64 v[218:219], v[218:219], v[220:221], v[218:219]
	v_div_scale_f64 v[220:221], vcc_lo, 1.0, v[214:215], 1.0
	v_mul_f64 v[222:223], v[220:221], v[218:219]
	s_delay_alu instid0(VALU_DEP_1) | instskip(NEXT) | instid1(VALU_DEP_1)
	v_fma_f64 v[216:217], -v[216:217], v[222:223], v[220:221]
	v_div_fmas_f64 v[216:217], v[216:217], v[218:219], v[222:223]
	s_delay_alu instid0(VALU_DEP_1) | instskip(NEXT) | instid1(VALU_DEP_1)
	v_div_fixup_f64 v[240:241], v[216:217], v[214:215], 1.0
	v_mul_f64 v[242:243], v[212:213], -v[240:241]
.LBB118_1227:
	s_or_b32 exec_lo, exec_lo, s3
.LBB118_1228:
	s_delay_alu instid0(SALU_CYCLE_1) | instskip(NEXT) | instid1(SALU_CYCLE_1)
	s_or_b32 exec_lo, exec_lo, s2
	s_mov_b32 s2, exec_lo
	v_cmpx_ne_u32_e64 v255, v248
	s_xor_b32 s2, exec_lo, s2
	s_cbranch_execz .LBB118_1234
; %bb.1229:
	s_mov_b32 s3, exec_lo
	v_cmpx_eq_u32_e32 58, v255
	s_cbranch_execz .LBB118_1233
; %bb.1230:
	v_cmp_ne_u32_e32 vcc_lo, 58, v248
	s_xor_b32 s4, s5, -1
	s_delay_alu instid0(SALU_CYCLE_1) | instskip(NEXT) | instid1(SALU_CYCLE_1)
	s_and_b32 s6, s4, vcc_lo
	s_and_saveexec_b32 s4, s6
	s_cbranch_execz .LBB118_1232
; %bb.1231:
	scratch_load_b64 v[216:217], off, off offset:16 ; 8-byte Folded Reload
	v_ashrrev_i32_e32 v249, 31, v248
	s_delay_alu instid0(VALU_DEP_1) | instskip(SKIP_1) | instid1(VALU_DEP_1)
	v_lshlrev_b64 v[212:213], 2, v[248:249]
	s_waitcnt vmcnt(0)
	v_add_co_u32 v212, vcc_lo, v216, v212
	s_delay_alu instid0(VALU_DEP_2)
	v_add_co_ci_u32_e32 v213, vcc_lo, v217, v213, vcc_lo
	s_clause 0x1
	flat_load_b32 v214, v[212:213]
	flat_load_b32 v215, v[216:217] offset:232
	s_waitcnt vmcnt(1) lgkmcnt(1)
	flat_store_b32 v[216:217], v214 offset:232
	s_waitcnt vmcnt(0) lgkmcnt(1)
	flat_store_b32 v[212:213], v215
.LBB118_1232:
	s_or_b32 exec_lo, exec_lo, s4
	v_mov_b32_e32 v255, v248
	v_mov_b32_e32 v244, v248
.LBB118_1233:
	s_or_b32 exec_lo, exec_lo, s3
.LBB118_1234:
	s_and_not1_saveexec_b32 s2, s2
	s_cbranch_execz .LBB118_1236
; %bb.1235:
	v_mov_b32_e32 v255, 58
	ds_store_2addr_b64 v250, v[228:229], v[230:231] offset0:118 offset1:119
.LBB118_1236:
	s_or_b32 exec_lo, exec_lo, s2
	s_delay_alu instid0(SALU_CYCLE_1)
	s_mov_b32 s2, exec_lo
	s_waitcnt lgkmcnt(0)
	s_waitcnt_vscnt null, 0x0
	s_barrier
	buffer_gl0_inv
	v_cmpx_lt_i32_e32 58, v255
	s_cbranch_execz .LBB118_1238
; %bb.1237:
	v_mul_f64 v[212:213], v[240:241], v[226:227]
	v_dual_mov_b32 v0, v4 :: v_dual_mov_b32 v1, v5
	v_dual_mov_b32 v2, v6 :: v_dual_mov_b32 v3, v7
	v_mul_f64 v[6:7], v[242:243], v[226:227]
	ds_load_2addr_b64 v[232:235], v250 offset0:118 offset1:119
	v_fma_f64 v[212:213], v[242:243], v[224:225], v[212:213]
	v_fma_f64 v[224:225], v[240:241], v[224:225], -v[6:7]
	s_waitcnt lgkmcnt(0)
	s_delay_alu instid0(VALU_DEP_2) | instskip(SKIP_2) | instid1(VALU_DEP_3)
	v_mul_f64 v[6:7], v[234:235], v[212:213]
	v_mul_f64 v[214:215], v[232:233], v[212:213]
	v_dual_mov_b32 v227, v213 :: v_dual_mov_b32 v226, v212
	v_fma_f64 v[6:7], v[232:233], v[224:225], -v[6:7]
	s_delay_alu instid0(VALU_DEP_3) | instskip(NEXT) | instid1(VALU_DEP_2)
	v_fma_f64 v[214:215], v[234:235], v[224:225], v[214:215]
	v_add_f64 v[228:229], v[228:229], -v[6:7]
	s_delay_alu instid0(VALU_DEP_2)
	v_add_f64 v[230:231], v[230:231], -v[214:215]
	v_dual_mov_b32 v7, v3 :: v_dual_mov_b32 v6, v2
	v_dual_mov_b32 v5, v1 :: v_dual_mov_b32 v4, v0
	;; [unrolled: 1-line block ×4, first 2 shown]
.LBB118_1238:
	s_or_b32 exec_lo, exec_lo, s2
	v_lshl_add_u32 v212, v255, 4, v250
	s_barrier
	buffer_gl0_inv
	v_mov_b32_e32 v248, 59
	ds_store_2addr_b64 v212, v[228:229], v[230:231] offset1:1
	s_waitcnt lgkmcnt(0)
	s_barrier
	buffer_gl0_inv
	ds_load_2addr_b64 v[240:243], v250 offset0:118 offset1:119
	s_cmp_lt_i32 s12, 61
	s_cbranch_scc1 .LBB118_1241
; %bb.1239:
	v_add3_u32 v245, v254, 0, 0x3c0
	v_mov_b32_e32 v248, 59
	s_mov_b32 s2, 60
	s_set_inst_prefetch_distance 0x1
	.p2align	6
.LBB118_1240:                           ; =>This Inner Loop Header: Depth=1
	s_waitcnt lgkmcnt(0)
	v_cmp_gt_f64_e32 vcc_lo, 0, v[240:241]
	v_xor_b32_e32 v212, 0x80000000, v241
	v_xor_b32_e32 v214, 0x80000000, v243
	ds_load_2addr_b64 v[232:235], v245 offset1:1
	v_add_nc_u32_e32 v245, 16, v245
	s_waitcnt lgkmcnt(0)
	v_xor_b32_e32 v216, 0x80000000, v235
	v_cndmask_b32_e32 v213, v241, v212, vcc_lo
	v_cndmask_b32_e32 v212, v240, v240, vcc_lo
	v_cmp_gt_f64_e32 vcc_lo, 0, v[242:243]
	v_cndmask_b32_e32 v215, v243, v214, vcc_lo
	v_cndmask_b32_e32 v214, v242, v242, vcc_lo
	v_cmp_gt_f64_e32 vcc_lo, 0, v[232:233]
	s_delay_alu instid0(VALU_DEP_2) | instskip(SKIP_1) | instid1(VALU_DEP_1)
	v_add_f64 v[212:213], v[212:213], v[214:215]
	v_xor_b32_e32 v214, 0x80000000, v233
	v_dual_cndmask_b32 v215, v233, v214 :: v_dual_mov_b32 v214, v232
	v_cmp_gt_f64_e32 vcc_lo, 0, v[234:235]
	v_dual_cndmask_b32 v217, v235, v216 :: v_dual_mov_b32 v216, v234
	s_delay_alu instid0(VALU_DEP_1) | instskip(NEXT) | instid1(VALU_DEP_1)
	v_add_f64 v[214:215], v[214:215], v[216:217]
	v_cmp_lt_f64_e32 vcc_lo, v[212:213], v[214:215]
	v_dual_cndmask_b32 v241, v241, v233 :: v_dual_cndmask_b32 v240, v240, v232
	v_dual_cndmask_b32 v243, v243, v235 :: v_dual_cndmask_b32 v242, v242, v234
	v_cndmask_b32_e64 v248, v248, s2, vcc_lo
	s_add_i32 s2, s2, 1
	s_delay_alu instid0(SALU_CYCLE_1)
	s_cmp_lg_u32 s12, s2
	s_cbranch_scc1 .LBB118_1240
.LBB118_1241:
	s_set_inst_prefetch_distance 0x2
	s_waitcnt lgkmcnt(0)
	v_cmp_eq_f64_e32 vcc_lo, 0, v[240:241]
	v_cmp_eq_f64_e64 s2, 0, v[242:243]
	s_delay_alu instid0(VALU_DEP_1) | instskip(NEXT) | instid1(SALU_CYCLE_1)
	s_and_b32 s2, vcc_lo, s2
	s_and_saveexec_b32 s3, s2
	s_delay_alu instid0(SALU_CYCLE_1)
	s_xor_b32 s2, exec_lo, s3
; %bb.1242:
	v_cmp_ne_u32_e32 vcc_lo, 0, v253
	v_cndmask_b32_e32 v253, 60, v253, vcc_lo
; %bb.1243:
	s_and_not1_saveexec_b32 s2, s2
	s_cbranch_execz .LBB118_1249
; %bb.1244:
	v_cmp_gt_f64_e32 vcc_lo, 0, v[240:241]
	v_xor_b32_e32 v212, 0x80000000, v241
	v_xor_b32_e32 v214, 0x80000000, v243
	s_mov_b32 s3, exec_lo
	s_delay_alu instid0(VALU_DEP_2) | instskip(SKIP_4) | instid1(VALU_DEP_1)
	v_cndmask_b32_e32 v213, v241, v212, vcc_lo
	v_cndmask_b32_e32 v212, v240, v240, vcc_lo
	v_cmp_gt_f64_e32 vcc_lo, 0, v[242:243]
	v_cndmask_b32_e32 v215, v243, v214, vcc_lo
	v_cndmask_b32_e32 v214, v242, v242, vcc_lo
	v_cmpx_ngt_f64_e32 v[212:213], v[214:215]
	s_xor_b32 s3, exec_lo, s3
	s_cbranch_execz .LBB118_1246
; %bb.1245:
	v_div_scale_f64 v[212:213], null, v[242:243], v[242:243], v[240:241]
	v_div_scale_f64 v[218:219], vcc_lo, v[240:241], v[242:243], v[240:241]
	s_delay_alu instid0(VALU_DEP_2) | instskip(SKIP_2) | instid1(VALU_DEP_1)
	v_rcp_f64_e32 v[214:215], v[212:213]
	s_waitcnt_depctr 0xfff
	v_fma_f64 v[216:217], -v[212:213], v[214:215], 1.0
	v_fma_f64 v[214:215], v[214:215], v[216:217], v[214:215]
	s_delay_alu instid0(VALU_DEP_1) | instskip(NEXT) | instid1(VALU_DEP_1)
	v_fma_f64 v[216:217], -v[212:213], v[214:215], 1.0
	v_fma_f64 v[214:215], v[214:215], v[216:217], v[214:215]
	s_delay_alu instid0(VALU_DEP_1) | instskip(NEXT) | instid1(VALU_DEP_1)
	v_mul_f64 v[216:217], v[218:219], v[214:215]
	v_fma_f64 v[212:213], -v[212:213], v[216:217], v[218:219]
	s_delay_alu instid0(VALU_DEP_1) | instskip(NEXT) | instid1(VALU_DEP_1)
	v_div_fmas_f64 v[212:213], v[212:213], v[214:215], v[216:217]
	v_div_fixup_f64 v[212:213], v[212:213], v[242:243], v[240:241]
	s_delay_alu instid0(VALU_DEP_1) | instskip(NEXT) | instid1(VALU_DEP_1)
	v_fma_f64 v[214:215], v[240:241], v[212:213], v[242:243]
	v_div_scale_f64 v[216:217], null, v[214:215], v[214:215], 1.0
	s_delay_alu instid0(VALU_DEP_1) | instskip(SKIP_2) | instid1(VALU_DEP_1)
	v_rcp_f64_e32 v[218:219], v[216:217]
	s_waitcnt_depctr 0xfff
	v_fma_f64 v[220:221], -v[216:217], v[218:219], 1.0
	v_fma_f64 v[218:219], v[218:219], v[220:221], v[218:219]
	s_delay_alu instid0(VALU_DEP_1) | instskip(NEXT) | instid1(VALU_DEP_1)
	v_fma_f64 v[220:221], -v[216:217], v[218:219], 1.0
	v_fma_f64 v[218:219], v[218:219], v[220:221], v[218:219]
	v_div_scale_f64 v[220:221], vcc_lo, 1.0, v[214:215], 1.0
	s_delay_alu instid0(VALU_DEP_1) | instskip(NEXT) | instid1(VALU_DEP_1)
	v_mul_f64 v[222:223], v[220:221], v[218:219]
	v_fma_f64 v[216:217], -v[216:217], v[222:223], v[220:221]
	s_delay_alu instid0(VALU_DEP_1) | instskip(NEXT) | instid1(VALU_DEP_1)
	v_div_fmas_f64 v[216:217], v[216:217], v[218:219], v[222:223]
	v_div_fixup_f64 v[242:243], v[216:217], v[214:215], 1.0
	s_delay_alu instid0(VALU_DEP_1)
	v_mul_f64 v[240:241], v[212:213], v[242:243]
	v_xor_b32_e32 v243, 0x80000000, v243
.LBB118_1246:
	s_and_not1_saveexec_b32 s3, s3
	s_cbranch_execz .LBB118_1248
; %bb.1247:
	s_delay_alu instid0(VALU_DEP_1) | instskip(SKIP_1) | instid1(VALU_DEP_2)
	v_div_scale_f64 v[212:213], null, v[240:241], v[240:241], v[242:243]
	v_div_scale_f64 v[218:219], vcc_lo, v[242:243], v[240:241], v[242:243]
	v_rcp_f64_e32 v[214:215], v[212:213]
	s_waitcnt_depctr 0xfff
	v_fma_f64 v[216:217], -v[212:213], v[214:215], 1.0
	s_delay_alu instid0(VALU_DEP_1) | instskip(NEXT) | instid1(VALU_DEP_1)
	v_fma_f64 v[214:215], v[214:215], v[216:217], v[214:215]
	v_fma_f64 v[216:217], -v[212:213], v[214:215], 1.0
	s_delay_alu instid0(VALU_DEP_1) | instskip(NEXT) | instid1(VALU_DEP_1)
	v_fma_f64 v[214:215], v[214:215], v[216:217], v[214:215]
	v_mul_f64 v[216:217], v[218:219], v[214:215]
	s_delay_alu instid0(VALU_DEP_1) | instskip(NEXT) | instid1(VALU_DEP_1)
	v_fma_f64 v[212:213], -v[212:213], v[216:217], v[218:219]
	v_div_fmas_f64 v[212:213], v[212:213], v[214:215], v[216:217]
	s_delay_alu instid0(VALU_DEP_1) | instskip(NEXT) | instid1(VALU_DEP_1)
	v_div_fixup_f64 v[212:213], v[212:213], v[240:241], v[242:243]
	v_fma_f64 v[214:215], v[242:243], v[212:213], v[240:241]
	s_delay_alu instid0(VALU_DEP_1) | instskip(NEXT) | instid1(VALU_DEP_1)
	v_div_scale_f64 v[216:217], null, v[214:215], v[214:215], 1.0
	v_rcp_f64_e32 v[218:219], v[216:217]
	s_waitcnt_depctr 0xfff
	v_fma_f64 v[220:221], -v[216:217], v[218:219], 1.0
	s_delay_alu instid0(VALU_DEP_1) | instskip(NEXT) | instid1(VALU_DEP_1)
	v_fma_f64 v[218:219], v[218:219], v[220:221], v[218:219]
	v_fma_f64 v[220:221], -v[216:217], v[218:219], 1.0
	s_delay_alu instid0(VALU_DEP_1) | instskip(SKIP_1) | instid1(VALU_DEP_1)
	v_fma_f64 v[218:219], v[218:219], v[220:221], v[218:219]
	v_div_scale_f64 v[220:221], vcc_lo, 1.0, v[214:215], 1.0
	v_mul_f64 v[222:223], v[220:221], v[218:219]
	s_delay_alu instid0(VALU_DEP_1) | instskip(NEXT) | instid1(VALU_DEP_1)
	v_fma_f64 v[216:217], -v[216:217], v[222:223], v[220:221]
	v_div_fmas_f64 v[216:217], v[216:217], v[218:219], v[222:223]
	s_delay_alu instid0(VALU_DEP_1) | instskip(NEXT) | instid1(VALU_DEP_1)
	v_div_fixup_f64 v[240:241], v[216:217], v[214:215], 1.0
	v_mul_f64 v[242:243], v[212:213], -v[240:241]
.LBB118_1248:
	s_or_b32 exec_lo, exec_lo, s3
.LBB118_1249:
	s_delay_alu instid0(SALU_CYCLE_1)
	s_or_b32 exec_lo, exec_lo, s2
	v_mov_b32_e32 v249, 59
	s_mov_b32 s2, exec_lo
	v_cmpx_ne_u32_e64 v255, v248
	s_cbranch_execz .LBB118_1255
; %bb.1250:
	s_mov_b32 s3, exec_lo
	v_cmpx_eq_u32_e32 59, v255
	s_cbranch_execz .LBB118_1254
; %bb.1251:
	v_cmp_ne_u32_e32 vcc_lo, 59, v248
	s_xor_b32 s4, s5, -1
	s_delay_alu instid0(SALU_CYCLE_1) | instskip(NEXT) | instid1(SALU_CYCLE_1)
	s_and_b32 s5, s4, vcc_lo
	s_and_saveexec_b32 s4, s5
	s_cbranch_execz .LBB118_1253
; %bb.1252:
	scratch_load_b64 v[216:217], off, off offset:16 ; 8-byte Folded Reload
	v_ashrrev_i32_e32 v249, 31, v248
	s_delay_alu instid0(VALU_DEP_1) | instskip(SKIP_1) | instid1(VALU_DEP_1)
	v_lshlrev_b64 v[212:213], 2, v[248:249]
	s_waitcnt vmcnt(0)
	v_add_co_u32 v212, vcc_lo, v216, v212
	s_delay_alu instid0(VALU_DEP_2)
	v_add_co_ci_u32_e32 v213, vcc_lo, v217, v213, vcc_lo
	s_clause 0x1
	flat_load_b32 v214, v[212:213]
	flat_load_b32 v215, v[216:217] offset:236
	s_waitcnt vmcnt(1) lgkmcnt(1)
	flat_store_b32 v[216:217], v214 offset:236
	s_waitcnt vmcnt(0) lgkmcnt(1)
	flat_store_b32 v[212:213], v215
.LBB118_1253:
	s_or_b32 exec_lo, exec_lo, s4
	v_mov_b32_e32 v255, v248
	v_mov_b32_e32 v244, v248
.LBB118_1254:
	s_or_b32 exec_lo, exec_lo, s3
	s_delay_alu instid0(VALU_DEP_2)
	v_mov_b32_e32 v249, v255
.LBB118_1255:
	s_or_b32 exec_lo, exec_lo, s2
	s_delay_alu instid0(SALU_CYCLE_1)
	s_mov_b32 s2, exec_lo
	s_waitcnt lgkmcnt(0)
	s_waitcnt_vscnt null, 0x0
	s_barrier
	buffer_gl0_inv
	v_cmpx_lt_i32_e32 59, v249
; %bb.1256:
	v_mul_f64 v[212:213], v[242:243], v[230:231]
	v_mul_f64 v[2:3], v[240:241], v[230:231]
	s_delay_alu instid0(VALU_DEP_2) | instskip(NEXT) | instid1(VALU_DEP_2)
	v_fma_f64 v[212:213], v[240:241], v[228:229], -v[212:213]
	v_fma_f64 v[230:231], v[242:243], v[228:229], v[2:3]
	v_dual_mov_b32 v0, v208 :: v_dual_mov_b32 v1, v209
	v_dual_mov_b32 v2, v210 :: v_dual_mov_b32 v3, v211
	s_delay_alu instid0(VALU_DEP_4)
	v_dual_mov_b32 v229, v213 :: v_dual_mov_b32 v228, v212
; %bb.1257:
	s_or_b32 exec_lo, exec_lo, s2
	s_load_b256 s[0:7], s[0:1], 0x28
	v_ashrrev_i32_e32 v250, 31, v249
	s_mov_b32 s9, exec_lo
	s_waitcnt lgkmcnt(0)
	s_barrier
	buffer_gl0_inv
	v_cmpx_gt_i32_e32 60, v249
	s_cbranch_execz .LBB118_1259
; %bb.1258:
	v_mul_lo_u32 v214, v247, s4
	v_mul_lo_u32 v215, v246, s5
	v_mad_u64_u32 v[212:213], null, v246, s4, 0
	s_lshl_b64 s[2:3], s[2:3], 2
	s_delay_alu instid0(SALU_CYCLE_1) | instskip(SKIP_1) | instid1(VALU_DEP_1)
	s_add_u32 s0, s2, s0
	s_addc_u32 s1, s3, s1
	v_add3_u32 v213, v213, v215, v214
	v_lshlrev_b64 v[214:215], 2, v[249:250]
	s_delay_alu instid0(VALU_DEP_2) | instskip(NEXT) | instid1(VALU_DEP_1)
	v_lshlrev_b64 v[212:213], 2, v[212:213]
	v_add_co_u32 v212, vcc_lo, s0, v212
	s_delay_alu instid0(VALU_DEP_2) | instskip(NEXT) | instid1(VALU_DEP_2)
	v_add_co_ci_u32_e32 v213, vcc_lo, s1, v213, vcc_lo
	v_add_co_u32 v212, vcc_lo, v212, v214
	s_delay_alu instid0(VALU_DEP_2)
	v_add_co_ci_u32_e32 v213, vcc_lo, v213, v215, vcc_lo
	v_add3_u32 v214, v244, s13, 1
	global_store_b32 v[212:213], v214, off
.LBB118_1259:
	s_or_b32 exec_lo, exec_lo, s9
	s_delay_alu instid0(SALU_CYCLE_1)
	s_mov_b32 s1, exec_lo
	v_cmpx_eq_u32_e32 0, v249
	s_cbranch_execz .LBB118_1262
; %bb.1260:
	v_lshlrev_b64 v[212:213], 2, v[246:247]
	v_cmp_lt_i32_e64 s0, 0, v253
	s_delay_alu instid0(VALU_DEP_2) | instskip(NEXT) | instid1(VALU_DEP_3)
	v_add_co_u32 v240, vcc_lo, s6, v212
	v_add_co_ci_u32_e32 v241, vcc_lo, s7, v213, vcc_lo
	global_load_b32 v212, v[240:241], off
	s_waitcnt vmcnt(0)
	v_cmp_eq_u32_e32 vcc_lo, 0, v212
	s_and_b32 s0, vcc_lo, s0
	s_delay_alu instid0(SALU_CYCLE_1)
	s_and_b32 exec_lo, exec_lo, s0
	s_cbranch_execz .LBB118_1262
; %bb.1261:
	v_add_nc_u32_e32 v212, s13, v253
	global_store_b32 v[240:241], v212, off
.LBB118_1262:
	s_or_b32 exec_lo, exec_lo, s1
	scratch_load_b128 v[208:211], off, off offset:72 ; 16-byte Folded Reload
	v_lshlrev_b64 v[214:215], 4, v[249:250]
	v_add3_u32 v212, s8, s8, v249
	s_delay_alu instid0(VALU_DEP_1) | instskip(NEXT) | instid1(VALU_DEP_3)
	v_ashrrev_i32_e32 v213, 31, v212
	v_add_co_u32 v214, vcc_lo, v251, v214
	s_delay_alu instid0(VALU_DEP_4) | instskip(SKIP_1) | instid1(VALU_DEP_4)
	v_add_co_ci_u32_e32 v215, vcc_lo, v252, v215, vcc_lo
	v_add_nc_u32_e32 v216, s8, v212
	v_lshlrev_b64 v[212:213], 4, v[212:213]
	s_delay_alu instid0(VALU_DEP_2) | instskip(SKIP_1) | instid1(VALU_DEP_3)
	v_add_nc_u32_e32 v218, s8, v216
	v_ashrrev_i32_e32 v217, 31, v216
	v_add_co_u32 v212, vcc_lo, v251, v212
	s_delay_alu instid0(VALU_DEP_4)
	v_add_co_ci_u32_e32 v213, vcc_lo, v252, v213, vcc_lo
	v_add_co_u32 v220, vcc_lo, v214, s10
	v_add_co_ci_u32_e32 v221, vcc_lo, s11, v215, vcc_lo
	v_ashrrev_i32_e32 v219, 31, v218
	s_waitcnt vmcnt(0)
	global_store_b128 v[214:215], v[208:211], off
	scratch_load_b128 v[208:211], off, off offset:56 ; 16-byte Folded Reload
	v_lshlrev_b64 v[214:215], 4, v[216:217]
	v_add_nc_u32_e32 v216, s8, v218
	s_delay_alu instid0(VALU_DEP_1) | instskip(NEXT) | instid1(VALU_DEP_3)
	v_ashrrev_i32_e32 v217, 31, v216
	v_add_co_u32 v214, vcc_lo, v251, v214
	s_delay_alu instid0(VALU_DEP_4)
	v_add_co_ci_u32_e32 v215, vcc_lo, v252, v215, vcc_lo
	s_waitcnt vmcnt(0)
	global_store_b128 v[220:221], v[208:211], off
	scratch_load_b128 v[208:211], off, off offset:40 ; 16-byte Folded Reload
	s_waitcnt vmcnt(0)
	global_store_b128 v[212:213], v[208:211], off
	scratch_load_b128 v[208:211], off, off offset:24 ; 16-byte Folded Reload
	v_lshlrev_b64 v[212:213], 4, v[218:219]
	v_add_nc_u32_e32 v218, s8, v216
	v_lshlrev_b64 v[216:217], 4, v[216:217]
	s_delay_alu instid0(VALU_DEP_3) | instskip(NEXT) | instid1(VALU_DEP_4)
	v_add_co_u32 v212, vcc_lo, v251, v212
	v_add_co_ci_u32_e32 v213, vcc_lo, v252, v213, vcc_lo
	s_delay_alu instid0(VALU_DEP_4)
	v_ashrrev_i32_e32 v219, 31, v218
	v_add_nc_u32_e32 v220, s8, v218
	s_waitcnt vmcnt(0)
	s_clause 0x1
	global_store_b128 v[214:215], v[208:211], off
	global_store_b128 v[212:213], v[0:3], off
	scratch_load_b128 v[0:3], off, off      ; 16-byte Folded Reload
	v_lshlrev_b64 v[212:213], 4, v[218:219]
	v_add_nc_u32_e32 v218, s8, v220
	v_ashrrev_i32_e32 v221, 31, v220
	v_add_co_u32 v214, vcc_lo, v251, v216
	v_add_co_ci_u32_e32 v215, vcc_lo, v252, v217, vcc_lo
	s_delay_alu instid0(VALU_DEP_4) | instskip(NEXT) | instid1(VALU_DEP_4)
	v_ashrrev_i32_e32 v219, 31, v218
	v_lshlrev_b64 v[216:217], 4, v[220:221]
	v_add_nc_u32_e32 v220, s8, v218
	v_add_co_u32 v212, vcc_lo, v251, v212
	global_store_b128 v[214:215], v[4:7], off
	v_lshlrev_b64 v[214:215], 4, v[218:219]
	v_add_co_ci_u32_e32 v213, vcc_lo, v252, v213, vcc_lo
	v_ashrrev_i32_e32 v221, 31, v220
	v_add_nc_u32_e32 v210, s8, v220
	v_add_co_u32 v216, vcc_lo, v251, v216
	v_add_co_ci_u32_e32 v217, vcc_lo, v252, v217, vcc_lo
	global_store_b128 v[212:213], v[8:11], off
	v_lshlrev_b64 v[208:209], 4, v[220:221]
	v_add_co_u32 v212, vcc_lo, v251, v214
	v_add_nc_u32_e32 v214, s8, v210
	v_ashrrev_i32_e32 v211, 31, v210
	v_add_co_ci_u32_e32 v213, vcc_lo, v252, v215, vcc_lo
	v_add_co_u32 v208, vcc_lo, v251, v208
	s_delay_alu instid0(VALU_DEP_4)
	v_ashrrev_i32_e32 v215, 31, v214
	v_add_co_ci_u32_e32 v209, vcc_lo, v252, v209, vcc_lo
	v_lshlrev_b64 v[210:211], 4, v[210:211]
	s_waitcnt vmcnt(0)
	global_store_b128 v[216:217], v[0:3], off
	v_add_nc_u32_e32 v216, s8, v214
	s_clause 0x1
	global_store_b128 v[212:213], v[204:207], off
	global_store_b128 v[208:209], v[200:203], off
	v_lshlrev_b64 v[200:201], 4, v[214:215]
	v_add_co_u32 v202, vcc_lo, v251, v210
	v_ashrrev_i32_e32 v217, 31, v216
	v_add_co_ci_u32_e32 v203, vcc_lo, v252, v211, vcc_lo
	v_add_nc_u32_e32 v206, s8, v216
	v_add_co_u32 v200, vcc_lo, v251, v200
	s_delay_alu instid0(VALU_DEP_4) | instskip(SKIP_1) | instid1(VALU_DEP_4)
	v_lshlrev_b64 v[204:205], 4, v[216:217]
	v_add_co_ci_u32_e32 v201, vcc_lo, v252, v201, vcc_lo
	v_add_nc_u32_e32 v208, s8, v206
	v_ashrrev_i32_e32 v207, 31, v206
	global_store_b128 v[202:203], v[196:199], off
	v_add_co_u32 v204, vcc_lo, v251, v204
	v_add_co_ci_u32_e32 v205, vcc_lo, v252, v205, vcc_lo
	v_ashrrev_i32_e32 v209, 31, v208
	s_clause 0x1
	global_store_b128 v[200:201], v[192:195], off
	global_store_b128 v[204:205], v[188:191], off
	v_add_nc_u32_e32 v190, s8, v208
	v_lshlrev_b64 v[196:197], 4, v[206:207]
	v_lshlrev_b64 v[188:189], 4, v[208:209]
	s_delay_alu instid0(VALU_DEP_3) | instskip(SKIP_1) | instid1(VALU_DEP_4)
	v_add_nc_u32_e32 v194, s8, v190
	v_ashrrev_i32_e32 v191, 31, v190
	v_add_co_u32 v192, vcc_lo, v251, v196
	v_add_co_ci_u32_e32 v193, vcc_lo, v252, v197, vcc_lo
	s_delay_alu instid0(VALU_DEP_4)
	v_add_nc_u32_e32 v196, s8, v194
	v_add_co_u32 v188, vcc_lo, v251, v188
	v_ashrrev_i32_e32 v195, 31, v194
	v_add_co_ci_u32_e32 v189, vcc_lo, v252, v189, vcc_lo
	v_lshlrev_b64 v[190:191], 4, v[190:191]
	v_ashrrev_i32_e32 v197, 31, v196
	s_clause 0x1
	global_store_b128 v[192:193], v[184:187], off
	global_store_b128 v[188:189], v[180:183], off
	v_lshlrev_b64 v[180:181], 4, v[194:195]
	v_add_nc_u32_e32 v186, s8, v196
	v_add_co_u32 v182, vcc_lo, v251, v190
	v_lshlrev_b64 v[184:185], 4, v[196:197]
	v_add_co_ci_u32_e32 v183, vcc_lo, v252, v191, vcc_lo
	v_add_co_u32 v180, vcc_lo, v251, v180
	v_add_co_ci_u32_e32 v181, vcc_lo, v252, v181, vcc_lo
	s_delay_alu instid0(VALU_DEP_4)
	v_add_co_u32 v184, vcc_lo, v251, v184
	v_add_nc_u32_e32 v188, s8, v186
	v_add_co_ci_u32_e32 v185, vcc_lo, v252, v185, vcc_lo
	v_ashrrev_i32_e32 v187, 31, v186
	global_store_b128 v[182:183], v[176:179], off
	v_ashrrev_i32_e32 v189, 31, v188
	s_clause 0x1
	global_store_b128 v[180:181], v[172:175], off
	global_store_b128 v[184:185], v[168:171], off
	v_add_nc_u32_e32 v170, s8, v188
	v_lshlrev_b64 v[176:177], 4, v[186:187]
	v_lshlrev_b64 v[168:169], 4, v[188:189]
	s_delay_alu instid0(VALU_DEP_3) | instskip(SKIP_1) | instid1(VALU_DEP_4)
	v_add_nc_u32_e32 v174, s8, v170
	v_ashrrev_i32_e32 v171, 31, v170
	v_add_co_u32 v172, vcc_lo, v251, v176
	v_add_co_ci_u32_e32 v173, vcc_lo, v252, v177, vcc_lo
	s_delay_alu instid0(VALU_DEP_4)
	v_add_nc_u32_e32 v176, s8, v174
	v_add_co_u32 v168, vcc_lo, v251, v168
	v_ashrrev_i32_e32 v175, 31, v174
	v_add_co_ci_u32_e32 v169, vcc_lo, v252, v169, vcc_lo
	v_lshlrev_b64 v[170:171], 4, v[170:171]
	v_ashrrev_i32_e32 v177, 31, v176
	s_clause 0x1
	global_store_b128 v[172:173], v[164:167], off
	global_store_b128 v[168:169], v[160:163], off
	v_lshlrev_b64 v[160:161], 4, v[174:175]
	v_add_nc_u32_e32 v166, s8, v176
	v_add_co_u32 v162, vcc_lo, v251, v170
	v_lshlrev_b64 v[164:165], 4, v[176:177]
	v_add_co_ci_u32_e32 v163, vcc_lo, v252, v171, vcc_lo
	v_add_co_u32 v160, vcc_lo, v251, v160
	v_add_co_ci_u32_e32 v161, vcc_lo, v252, v161, vcc_lo
	s_delay_alu instid0(VALU_DEP_4)
	v_add_co_u32 v164, vcc_lo, v251, v164
	v_add_nc_u32_e32 v168, s8, v166
	v_add_co_ci_u32_e32 v165, vcc_lo, v252, v165, vcc_lo
	v_ashrrev_i32_e32 v167, 31, v166
	global_store_b128 v[162:163], v[156:159], off
	;; [unrolled: 35-line block ×7, first 2 shown]
	v_ashrrev_i32_e32 v69, 31, v68
	s_clause 0x1
	global_store_b128 v[60:61], v[52:55], off
	global_store_b128 v[64:65], v[48:51], off
	v_add_nc_u32_e32 v50, s8, v68
	v_lshlrev_b64 v[56:57], 4, v[66:67]
	v_lshlrev_b64 v[48:49], 4, v[68:69]
	s_delay_alu instid0(VALU_DEP_3) | instskip(SKIP_1) | instid1(VALU_DEP_4)
	v_add_nc_u32_e32 v54, s8, v50
	v_ashrrev_i32_e32 v51, 31, v50
	v_add_co_u32 v52, vcc_lo, v251, v56
	v_add_co_ci_u32_e32 v53, vcc_lo, v252, v57, vcc_lo
	s_delay_alu instid0(VALU_DEP_4)
	v_add_nc_u32_e32 v56, s8, v54
	v_add_co_u32 v48, vcc_lo, v251, v48
	v_ashrrev_i32_e32 v55, 31, v54
	v_add_co_ci_u32_e32 v49, vcc_lo, v252, v49, vcc_lo
	v_lshlrev_b64 v[50:51], 4, v[50:51]
	v_ashrrev_i32_e32 v57, 31, v56
	s_clause 0x1
	global_store_b128 v[52:53], v[44:47], off
	global_store_b128 v[48:49], v[40:43], off
	v_lshlrev_b64 v[40:41], 4, v[54:55]
	v_add_nc_u32_e32 v46, s8, v56
	v_add_co_u32 v42, vcc_lo, v251, v50
	v_lshlrev_b64 v[44:45], 4, v[56:57]
	v_add_co_ci_u32_e32 v43, vcc_lo, v252, v51, vcc_lo
	v_add_co_u32 v40, vcc_lo, v251, v40
	v_add_nc_u32_e32 v48, s8, v46
	v_add_co_ci_u32_e32 v41, vcc_lo, v252, v41, vcc_lo
	v_ashrrev_i32_e32 v47, 31, v46
	v_add_co_u32 v44, vcc_lo, v251, v44
	v_add_co_ci_u32_e32 v45, vcc_lo, v252, v45, vcc_lo
	v_ashrrev_i32_e32 v49, 31, v48
	global_store_b128 v[42:43], v[36:39], off
	v_lshlrev_b64 v[36:37], 4, v[46:47]
	s_clause 0x1
	global_store_b128 v[40:41], v[32:35], off
	global_store_b128 v[44:45], v[28:31], off
	v_add_nc_u32_e32 v30, s8, v48
	v_lshlrev_b64 v[28:29], 4, v[48:49]
	v_add_co_u32 v32, vcc_lo, v251, v36
	s_delay_alu instid0(VALU_DEP_3) | instskip(SKIP_1) | instid1(VALU_DEP_4)
	v_add_nc_u32_e32 v34, s8, v30
	v_add_co_ci_u32_e32 v33, vcc_lo, v252, v37, vcc_lo
	v_add_co_u32 v28, vcc_lo, v251, v28
	v_add_co_ci_u32_e32 v29, vcc_lo, v252, v29, vcc_lo
	s_delay_alu instid0(VALU_DEP_4)
	v_add_nc_u32_e32 v36, s8, v34
	v_ashrrev_i32_e32 v31, 31, v30
	s_clause 0x1
	global_store_b128 v[32:33], v[24:27], off
	global_store_b128 v[28:29], v[20:23], off
	v_ashrrev_i32_e32 v35, 31, v34
	v_add_nc_u32_e32 v22, s8, v36
	v_lshlrev_b64 v[24:25], 4, v[30:31]
	v_ashrrev_i32_e32 v37, 31, v36
	s_delay_alu instid0(VALU_DEP_4) | instskip(NEXT) | instid1(VALU_DEP_4)
	v_lshlrev_b64 v[20:21], 4, v[34:35]
	v_add_nc_u32_e32 v28, s8, v22
	v_ashrrev_i32_e32 v23, 31, v22
	v_add_co_u32 v24, vcc_lo, v251, v24
	v_lshlrev_b64 v[26:27], 4, v[36:37]
	s_delay_alu instid0(VALU_DEP_4)
	v_ashrrev_i32_e32 v29, 31, v28
	v_add_co_ci_u32_e32 v25, vcc_lo, v252, v25, vcc_lo
	v_add_co_u32 v20, vcc_lo, v251, v20
	v_lshlrev_b64 v[22:23], 4, v[22:23]
	v_add_co_ci_u32_e32 v21, vcc_lo, v252, v21, vcc_lo
	v_add_co_u32 v26, vcc_lo, v251, v26
	v_lshlrev_b64 v[28:29], 4, v[28:29]
	v_add_co_ci_u32_e32 v27, vcc_lo, v252, v27, vcc_lo
	v_add_co_u32 v22, vcc_lo, v251, v22
	v_add_co_ci_u32_e32 v23, vcc_lo, v252, v23, vcc_lo
	s_delay_alu instid0(VALU_DEP_4)
	v_add_co_u32 v28, vcc_lo, v251, v28
	v_add_co_ci_u32_e32 v29, vcc_lo, v252, v29, vcc_lo
	s_clause 0x4
	global_store_b128 v[24:25], v[16:19], off
	global_store_b128 v[20:21], v[12:15], off
	;; [unrolled: 1-line block ×5, first 2 shown]
.LBB118_1263:
	s_nop 0
	s_sendmsg sendmsg(MSG_DEALLOC_VGPRS)
	s_endpgm
	.section	.rodata,"a",@progbits
	.p2align	6, 0x0
	.amdhsa_kernel _ZN9rocsolver6v33100L18getf2_small_kernelILi60E19rocblas_complex_numIdEiiPKPS3_EEvT1_T3_lS7_lPS7_llPT2_S7_S7_S9_l
		.amdhsa_group_segment_fixed_size 0
		.amdhsa_private_segment_fixed_size 116
		.amdhsa_kernarg_size 352
		.amdhsa_user_sgpr_count 14
		.amdhsa_user_sgpr_dispatch_ptr 0
		.amdhsa_user_sgpr_queue_ptr 0
		.amdhsa_user_sgpr_kernarg_segment_ptr 1
		.amdhsa_user_sgpr_dispatch_id 0
		.amdhsa_user_sgpr_private_segment_size 0
		.amdhsa_wavefront_size32 1
		.amdhsa_uses_dynamic_stack 0
		.amdhsa_enable_private_segment 1
		.amdhsa_system_sgpr_workgroup_id_x 1
		.amdhsa_system_sgpr_workgroup_id_y 1
		.amdhsa_system_sgpr_workgroup_id_z 0
		.amdhsa_system_sgpr_workgroup_info 0
		.amdhsa_system_vgpr_workitem_id 1
		.amdhsa_next_free_vgpr 256
		.amdhsa_next_free_sgpr 18
		.amdhsa_reserve_vcc 1
		.amdhsa_float_round_mode_32 0
		.amdhsa_float_round_mode_16_64 0
		.amdhsa_float_denorm_mode_32 3
		.amdhsa_float_denorm_mode_16_64 3
		.amdhsa_dx10_clamp 1
		.amdhsa_ieee_mode 1
		.amdhsa_fp16_overflow 0
		.amdhsa_workgroup_processor_mode 1
		.amdhsa_memory_ordered 1
		.amdhsa_forward_progress 0
		.amdhsa_shared_vgpr_count 0
		.amdhsa_exception_fp_ieee_invalid_op 0
		.amdhsa_exception_fp_denorm_src 0
		.amdhsa_exception_fp_ieee_div_zero 0
		.amdhsa_exception_fp_ieee_overflow 0
		.amdhsa_exception_fp_ieee_underflow 0
		.amdhsa_exception_fp_ieee_inexact 0
		.amdhsa_exception_int_div_zero 0
	.end_amdhsa_kernel
	.section	.text._ZN9rocsolver6v33100L18getf2_small_kernelILi60E19rocblas_complex_numIdEiiPKPS3_EEvT1_T3_lS7_lPS7_llPT2_S7_S7_S9_l,"axG",@progbits,_ZN9rocsolver6v33100L18getf2_small_kernelILi60E19rocblas_complex_numIdEiiPKPS3_EEvT1_T3_lS7_lPS7_llPT2_S7_S7_S9_l,comdat
.Lfunc_end118:
	.size	_ZN9rocsolver6v33100L18getf2_small_kernelILi60E19rocblas_complex_numIdEiiPKPS3_EEvT1_T3_lS7_lPS7_llPT2_S7_S7_S9_l, .Lfunc_end118-_ZN9rocsolver6v33100L18getf2_small_kernelILi60E19rocblas_complex_numIdEiiPKPS3_EEvT1_T3_lS7_lPS7_llPT2_S7_S7_S9_l
                                        ; -- End function
	.section	.AMDGPU.csdata,"",@progbits
; Kernel info:
; codeLenInByte = 202592
; NumSgprs: 20
; NumVgprs: 256
; ScratchSize: 116
; MemoryBound: 0
; FloatMode: 240
; IeeeMode: 1
; LDSByteSize: 0 bytes/workgroup (compile time only)
; SGPRBlocks: 2
; VGPRBlocks: 31
; NumSGPRsForWavesPerEU: 20
; NumVGPRsForWavesPerEU: 256
; Occupancy: 5
; WaveLimiterHint : 1
; COMPUTE_PGM_RSRC2:SCRATCH_EN: 1
; COMPUTE_PGM_RSRC2:USER_SGPR: 14
; COMPUTE_PGM_RSRC2:TRAP_HANDLER: 0
; COMPUTE_PGM_RSRC2:TGID_X_EN: 1
; COMPUTE_PGM_RSRC2:TGID_Y_EN: 1
; COMPUTE_PGM_RSRC2:TGID_Z_EN: 0
; COMPUTE_PGM_RSRC2:TIDIG_COMP_CNT: 1
	.section	.text._ZN9rocsolver6v33100L23getf2_npvt_small_kernelILi60E19rocblas_complex_numIdEiiPKPS3_EEvT1_T3_lS7_lPT2_S7_S7_,"axG",@progbits,_ZN9rocsolver6v33100L23getf2_npvt_small_kernelILi60E19rocblas_complex_numIdEiiPKPS3_EEvT1_T3_lS7_lPT2_S7_S7_,comdat
	.globl	_ZN9rocsolver6v33100L23getf2_npvt_small_kernelILi60E19rocblas_complex_numIdEiiPKPS3_EEvT1_T3_lS7_lPT2_S7_S7_ ; -- Begin function _ZN9rocsolver6v33100L23getf2_npvt_small_kernelILi60E19rocblas_complex_numIdEiiPKPS3_EEvT1_T3_lS7_lPT2_S7_S7_
	.p2align	8
	.type	_ZN9rocsolver6v33100L23getf2_npvt_small_kernelILi60E19rocblas_complex_numIdEiiPKPS3_EEvT1_T3_lS7_lPT2_S7_S7_,@function
_ZN9rocsolver6v33100L23getf2_npvt_small_kernelILi60E19rocblas_complex_numIdEiiPKPS3_EEvT1_T3_lS7_lPT2_S7_S7_: ; @_ZN9rocsolver6v33100L23getf2_npvt_small_kernelILi60E19rocblas_complex_numIdEiiPKPS3_EEvT1_T3_lS7_lPT2_S7_S7_
; %bb.0:
	s_clause 0x1
	s_load_b32 s2, s[0:1], 0x44
	s_load_b64 s[12:13], s[0:1], 0x30
	v_bfe_u32 v1, v0, 10, 10
	s_waitcnt lgkmcnt(0)
	s_lshr_b32 s8, s2, 16
	s_mov_b32 s2, exec_lo
	s_delay_alu instid0(VALU_DEP_1) | instskip(NEXT) | instid1(VALU_DEP_1)
	v_mad_u64_u32 v[2:3], null, s15, s8, v[1:2]
	v_cmpx_gt_i32_e64 s12, v2
	s_cbranch_execnz .LBB119_1
; %bb.546:
	s_getpc_b64 s[16:17]
.Lpost_getpc27:
	s_add_u32 s16, s16, (.LBB119_545-.Lpost_getpc27)&4294967295
	s_addc_u32 s17, s17, (.LBB119_545-.Lpost_getpc27)>>32
	s_setpc_b64 s[16:17]
.LBB119_1:
	s_clause 0x1
	s_load_b128 s[4:7], s[0:1], 0x8
	s_load_b32 s2, s[0:1], 0x18
	v_ashrrev_i32_e32 v3, 31, v2
	v_and_b32_e32 v251, 0x3ff, v0
	s_mulk_i32 s8, 0x3c0
	v_mad_u32_u24 v250, 0x3c0, v1, 0
	scratch_store_b64 off, v[2:3], off offset:1424 ; 8-byte Folded Spill
	v_lshlrev_b64 v[2:3], 3, v[2:3]
	s_waitcnt lgkmcnt(0)
	s_delay_alu instid0(VALU_DEP_1) | instskip(NEXT) | instid1(VALU_DEP_2)
	v_add_co_u32 v2, vcc_lo, s4, v2
	v_add_co_ci_u32_e32 v3, vcc_lo, s5, v3, vcc_lo
	v_add3_u32 v4, s2, s2, v251
	s_lshl_b64 s[4:5], s[6:7], 4
	s_ashr_i32 s3, s2, 31
	global_load_b64 v[2:3], v[2:3], off
	v_add_nc_u32_e32 v8, s2, v4
	v_ashrrev_i32_e32 v5, 31, v4
	s_delay_alu instid0(VALU_DEP_2) | instskip(SKIP_1) | instid1(VALU_DEP_3)
	v_add_nc_u32_e32 v13, s2, v8
	v_ashrrev_i32_e32 v9, 31, v8
	v_lshlrev_b64 v[6:7], 4, v[4:5]
	s_delay_alu instid0(VALU_DEP_3) | instskip(SKIP_1) | instid1(VALU_DEP_4)
	v_add_nc_u32_e32 v10, s2, v13
	v_ashrrev_i32_e32 v14, 31, v13
	v_lshlrev_b64 v[8:9], 4, v[8:9]
	s_delay_alu instid0(VALU_DEP_3) | instskip(SKIP_1) | instid1(VALU_DEP_4)
	;; [unrolled: 4-line block ×13, first 2 shown]
	v_add_nc_u32_e32 v34, s2, v39
	v_ashrrev_i32_e32 v40, 31, v39
	v_lshlrev_b64 v[32:33], 4, v[32:33]
	s_delay_alu instid0(VALU_DEP_3) | instskip(NEXT) | instid1(VALU_DEP_3)
	v_add_nc_u32_e32 v38, s2, v34
	v_lshlrev_b64 v[28:29], 4, v[39:40]
	v_ashrrev_i32_e32 v35, 31, v34
	s_delay_alu instid0(VALU_DEP_3) | instskip(SKIP_1) | instid1(VALU_DEP_3)
	v_add_nc_u32_e32 v36, s2, v38
	v_ashrrev_i32_e32 v39, 31, v38
	v_lshlrev_b64 v[34:35], 4, v[34:35]
	s_delay_alu instid0(VALU_DEP_3) | instskip(SKIP_1) | instid1(VALU_DEP_4)
	v_add_nc_u32_e32 v47, s2, v36
	v_ashrrev_i32_e32 v37, 31, v36
	v_lshlrev_b64 v[38:39], 4, v[38:39]
	s_delay_alu instid0(VALU_DEP_3) | instskip(SKIP_1) | instid1(VALU_DEP_4)
	v_add_nc_u32_e32 v42, s2, v47
	v_ashrrev_i32_e32 v48, 31, v47
	v_lshlrev_b64 v[40:41], 4, v[36:37]
	s_delay_alu instid0(VALU_DEP_3) | instskip(NEXT) | instid1(VALU_DEP_3)
	v_add_nc_u32_e32 v46, s2, v42
	v_lshlrev_b64 v[36:37], 4, v[47:48]
	v_ashrrev_i32_e32 v43, 31, v42
	s_delay_alu instid0(VALU_DEP_3) | instskip(SKIP_1) | instid1(VALU_DEP_3)
	v_add_nc_u32_e32 v44, s2, v46
	v_ashrrev_i32_e32 v47, 31, v46
	v_lshlrev_b64 v[42:43], 4, v[42:43]
	s_delay_alu instid0(VALU_DEP_3) | instskip(SKIP_1) | instid1(VALU_DEP_4)
	v_add_nc_u32_e32 v50, s2, v44
	v_ashrrev_i32_e32 v45, 31, v44
	v_lshlrev_b64 v[46:47], 4, v[46:47]
	s_delay_alu instid0(VALU_DEP_3) | instskip(SKIP_1) | instid1(VALU_DEP_4)
	;; [unrolled: 4-line block ×3, first 2 shown]
	v_add_nc_u32_e32 v54, s2, v52
	v_ashrrev_i32_e32 v53, 31, v52
	v_lshlrev_b64 v[44:45], 4, v[50:51]
	s_delay_alu instid0(VALU_DEP_3) | instskip(NEXT) | instid1(VALU_DEP_3)
	v_add_nc_u32_e32 v56, s2, v54
	v_lshlrev_b64 v[50:51], 4, v[52:53]
	v_ashrrev_i32_e32 v55, 31, v54
	s_delay_alu instid0(VALU_DEP_3) | instskip(SKIP_1) | instid1(VALU_DEP_3)
	v_add_nc_u32_e32 v58, s2, v56
	v_ashrrev_i32_e32 v57, 31, v56
	v_lshlrev_b64 v[54:55], 4, v[54:55]
	s_delay_alu instid0(VALU_DEP_3) | instskip(SKIP_1) | instid1(VALU_DEP_4)
	v_add_nc_u32_e32 v60, s2, v58
	v_ashrrev_i32_e32 v59, 31, v58
	v_lshlrev_b64 v[56:57], 4, v[56:57]
	s_delay_alu instid0(VALU_DEP_3) | instskip(SKIP_1) | instid1(VALU_DEP_4)
	v_add_nc_u32_e32 v62, s2, v60
	v_ashrrev_i32_e32 v61, 31, v60
	v_lshlrev_b64 v[52:53], 4, v[58:59]
	s_delay_alu instid0(VALU_DEP_3) | instskip(NEXT) | instid1(VALU_DEP_3)
	v_add_nc_u32_e32 v64, s2, v62
	v_lshlrev_b64 v[58:59], 4, v[60:61]
	v_ashrrev_i32_e32 v63, 31, v62
	s_delay_alu instid0(VALU_DEP_3) | instskip(SKIP_1) | instid1(VALU_DEP_3)
	v_add_nc_u32_e32 v66, s2, v64
	v_ashrrev_i32_e32 v65, 31, v64
	v_lshlrev_b64 v[62:63], 4, v[62:63]
	s_delay_alu instid0(VALU_DEP_3) | instskip(SKIP_1) | instid1(VALU_DEP_4)
	v_add_nc_u32_e32 v68, s2, v66
	v_ashrrev_i32_e32 v67, 31, v66
	v_lshlrev_b64 v[64:65], 4, v[64:65]
	s_delay_alu instid0(VALU_DEP_3) | instskip(NEXT) | instid1(VALU_DEP_3)
	v_add_nc_u32_e32 v70, s2, v68
	v_lshlrev_b64 v[60:61], 4, v[66:67]
	v_ashrrev_i32_e32 v69, 31, v68
	s_delay_alu instid0(VALU_DEP_3) | instskip(SKIP_1) | instid1(VALU_DEP_3)
	v_add_nc_u32_e32 v72, s2, v70
	v_ashrrev_i32_e32 v71, 31, v70
	v_lshlrev_b64 v[68:69], 4, v[68:69]
	s_delay_alu instid0(VALU_DEP_3) | instskip(SKIP_1) | instid1(VALU_DEP_4)
	v_add_nc_u32_e32 v74, s2, v72
	v_ashrrev_i32_e32 v73, 31, v72
	v_lshlrev_b64 v[70:71], 4, v[70:71]
	s_delay_alu instid0(VALU_DEP_3) | instskip(SKIP_1) | instid1(VALU_DEP_4)
	;; [unrolled: 4-line block ×16, first 2 shown]
	v_ashrrev_i32_e32 v101, 31, v100
	v_add_nc_u32_e32 v102, s2, v100
	v_lshlrev_b64 v[98:99], 4, v[98:99]
	s_delay_alu instid0(VALU_DEP_2) | instskip(SKIP_4) | instid1(VALU_DEP_3)
	v_ashrrev_i32_e32 v103, 31, v102
	s_waitcnt vmcnt(0)
	v_add_co_u32 v0, vcc_lo, v2, s4
	v_add_co_ci_u32_e32 v104, vcc_lo, s5, v3, vcc_lo
	v_lshlrev_b64 v[2:3], 4, v[100:101]
	v_add_co_u32 v155, vcc_lo, v0, v6
	s_delay_alu instid0(VALU_DEP_3)
	v_add_co_ci_u32_e32 v156, vcc_lo, v104, v7, vcc_lo
	v_add_co_u32 v153, vcc_lo, v0, v8
	v_add_co_ci_u32_e32 v154, vcc_lo, v104, v9, vcc_lo
	v_add_co_u32 v151, vcc_lo, v0, v4
	;; [unrolled: 2-line block ×45, first 2 shown]
	v_add_co_ci_u32_e32 v13, vcc_lo, v104, v95, vcc_lo
	v_add_nc_u32_e32 v4, s2, v102
	v_add_co_u32 v10, vcc_lo, v0, v96
	v_add_co_ci_u32_e32 v11, vcc_lo, v104, v97, vcc_lo
	v_add_co_u32 v14, vcc_lo, v0, v98
	v_lshlrev_b64 v[6:7], 4, v[102:103]
	v_add_nc_u32_e32 v8, s2, v4
	v_add_co_ci_u32_e32 v15, vcc_lo, v104, v99, vcc_lo
	v_ashrrev_i32_e32 v5, 31, v4
	v_add_co_u32 v22, vcc_lo, v0, v2
	v_add_co_ci_u32_e32 v23, vcc_lo, v104, v3, vcc_lo
	v_add_co_u32 v20, vcc_lo, v0, v6
	v_add_nc_u32_e32 v6, s2, v8
	v_lshlrev_b64 v[2:3], 4, v[4:5]
	v_ashrrev_i32_e32 v9, 31, v8
	v_add_co_ci_u32_e32 v21, vcc_lo, v104, v7, vcc_lo
	s_delay_alu instid0(VALU_DEP_4) | instskip(NEXT) | instid1(VALU_DEP_3)
	v_ashrrev_i32_e32 v7, 31, v6
	v_lshlrev_b64 v[4:5], 4, v[8:9]
	v_add_co_u32 v28, vcc_lo, v0, v2
	v_add_co_ci_u32_e32 v29, vcc_lo, v104, v3, vcc_lo
	s_delay_alu instid0(VALU_DEP_4) | instskip(NEXT) | instid1(VALU_DEP_4)
	v_lshlrev_b64 v[2:3], 4, v[6:7]
	v_add_co_u32 v26, vcc_lo, v0, v4
	v_add_co_ci_u32_e32 v27, vcc_lo, v104, v5, vcc_lo
	s_delay_alu instid0(VALU_DEP_3) | instskip(SKIP_2) | instid1(VALU_DEP_2)
	v_add_co_u32 v7, vcc_lo, v0, v2
	v_add_nc_u32_e32 v2, s2, v6
	v_add_co_ci_u32_e32 v8, vcc_lo, v104, v3, vcc_lo
	v_ashrrev_i32_e32 v3, 31, v2
	s_delay_alu instid0(VALU_DEP_1) | instskip(SKIP_1) | instid1(VALU_DEP_2)
	v_lshlrev_b64 v[3:4], 4, v[2:3]
	v_add_nc_u32_e32 v2, s2, v2
	v_add_co_u32 v5, vcc_lo, v0, v3
	s_delay_alu instid0(VALU_DEP_2) | instskip(NEXT) | instid1(VALU_DEP_4)
	v_ashrrev_i32_e32 v3, 31, v2
	v_add_co_ci_u32_e32 v6, vcc_lo, v104, v4, vcc_lo
	s_delay_alu instid0(VALU_DEP_2) | instskip(SKIP_1) | instid1(VALU_DEP_2)
	v_lshlrev_b64 v[3:4], 4, v[2:3]
	v_add_nc_u32_e32 v2, s2, v2
	v_add_co_u32 v212, vcc_lo, v0, v3
	s_delay_alu instid0(VALU_DEP_2) | instskip(NEXT) | instid1(VALU_DEP_4)
	v_ashrrev_i32_e32 v3, 31, v2
	v_add_co_ci_u32_e32 v213, vcc_lo, v104, v4, vcc_lo
	s_delay_alu instid0(VALU_DEP_2) | instskip(SKIP_1) | instid1(VALU_DEP_2)
	v_lshlrev_b64 v[3:4], 4, v[2:3]
	v_add_nc_u32_e32 v2, s2, v2
	v_add_co_u32 v214, vcc_lo, v0, v3
	s_delay_alu instid0(VALU_DEP_2) | instskip(NEXT) | instid1(VALU_DEP_4)
	v_ashrrev_i32_e32 v3, 31, v2
	v_add_co_ci_u32_e32 v215, vcc_lo, v104, v4, vcc_lo
	s_delay_alu instid0(VALU_DEP_2) | instskip(SKIP_2) | instid1(VALU_DEP_2)
	v_lshlrev_b64 v[3:4], 4, v[2:3]
	v_add_nc_u32_e32 v2, s2, v2
	s_lshl_b64 s[2:3], s[2:3], 4
	v_add_co_u32 v216, vcc_lo, v0, v3
	s_delay_alu instid0(VALU_DEP_2) | instskip(NEXT) | instid1(VALU_DEP_4)
	v_ashrrev_i32_e32 v3, 31, v2
	v_add_co_ci_u32_e32 v217, vcc_lo, v104, v4, vcc_lo
	s_delay_alu instid0(VALU_DEP_2) | instskip(NEXT) | instid1(VALU_DEP_1)
	v_lshlrev_b64 v[2:3], 4, v[2:3]
	v_add_co_u32 v218, vcc_lo, v0, v2
	v_lshlrev_b32_e32 v2, 4, v251
	s_delay_alu instid0(VALU_DEP_3) | instskip(NEXT) | instid1(VALU_DEP_2)
	v_add_co_ci_u32_e32 v219, vcc_lo, v104, v3, vcc_lo
	v_add_co_u32 v2, vcc_lo, v0, v2
	v_add_co_ci_u32_e32 v3, vcc_lo, 0, v104, vcc_lo
	v_lshlrev_b32_e32 v0, 4, v1
	s_delay_alu instid0(VALU_DEP_3) | instskip(NEXT) | instid1(VALU_DEP_3)
	v_add_co_u32 v58, vcc_lo, v2, s2
	v_add_co_ci_u32_e32 v59, vcc_lo, s3, v3, vcc_lo
	s_delay_alu instid0(VALU_DEP_3)
	v_add3_u32 v248, 0, s8, v0
	scratch_store_b64 off, v[2:3], off offset:584 ; 8-byte Folded Spill
	global_load_b128 v[0:3], v[2:3], off
	v_cmp_ne_u32_e64 s3, 0, v251
	v_cmp_eq_u32_e64 s2, 0, v251
	s_waitcnt vmcnt(0)
	s_clause 0x1
	scratch_store_b128 off, v[0:3], off offset:112
	scratch_store_b64 off, v[58:59], off offset:592
	global_load_b128 v[0:3], v[58:59], off
	s_waitcnt vmcnt(0)
	s_clause 0x1
	scratch_store_b128 off, v[0:3], off offset:96
	scratch_store_b64 off, v[155:156], off offset:576
	global_load_b128 v[0:3], v[155:156], off
	;; [unrolled: 5-line block ×7, first 2 shown]
	s_waitcnt vmcnt(0)
	s_clause 0x1
	scratch_store_b128 off, v[0:3], off
	scratch_store_b64 off, v[143:144], off offset:528
	s_clause 0x1
	global_load_b128 v[204:207], v[143:144], off
	global_load_b128 v[200:203], v[141:142], off
	s_clause 0x2
	scratch_store_b64 off, v[141:142], off offset:520
	scratch_store_b64 off, v[62:63], off offset:1160
	;; [unrolled: 1-line block ×3, first 2 shown]
	s_clause 0x1
	global_load_b128 v[196:199], v[139:140], off
	global_load_b128 v[192:195], v[137:138], off
	s_clause 0x3
	scratch_store_b64 off, v[137:138], off offset:504
	scratch_store_b64 off, v[135:136], off offset:496
	scratch_store_b64 off, v[133:134], off offset:488
	scratch_store_b64 off, v[131:132], off offset:480
	s_clause 0x3
	global_load_b128 v[188:191], v[135:136], off
	global_load_b128 v[184:187], v[133:134], off
	global_load_b128 v[180:183], v[131:132], off
	global_load_b128 v[176:179], v[129:130], off
	s_clause 0x3
	scratch_store_b64 off, v[129:130], off offset:472
	scratch_store_b64 off, v[127:128], off offset:464
	scratch_store_b64 off, v[125:126], off offset:456
	scratch_store_b64 off, v[123:124], off offset:448
	s_clause 0x3
	global_load_b128 v[172:175], v[127:128], off
	global_load_b128 v[168:171], v[125:126], off
	;; [unrolled: 10-line block ×6, first 2 shown]
	global_load_b128 v[100:103], v[48:49], off
	global_load_b128 v[96:99], v[46:47], off
	;; [unrolled: 1-line block ×4, first 2 shown]
	s_clause 0x3
	scratch_store_b64 off, v[42:43], off offset:296
	scratch_store_b64 off, v[218:219], off offset:304
	;; [unrolled: 1-line block ×4, first 2 shown]
	s_clause 0x1
	global_load_b128 v[84:87], v[40:41], off
	global_load_b128 v[80:83], v[38:39], off
	s_clause 0x3
	scratch_store_b64 off, v[36:37], off offset:256
	scratch_store_b64 off, v[214:215], off offset:264
	;; [unrolled: 1-line block ×4, first 2 shown]
	s_clause 0x1
	global_load_b128 v[76:79], v[36:37], off
	global_load_b128 v[72:75], v[34:35], off
	s_clause 0x2
	scratch_store_b64 off, v[32:33], off offset:232
	scratch_store_b64 off, v[212:213], off offset:240
	;; [unrolled: 1-line block ×3, first 2 shown]
	s_clause 0x1
	global_load_b128 v[68:71], v[32:33], off
	global_load_b128 v[64:67], v[30:31], off
	s_clause 0x3
	scratch_store_b64 off, v[24:25], off offset:192
	scratch_store_b64 off, v[26:27], off offset:200
	;; [unrolled: 1-line block ×4, first 2 shown]
	s_clause 0x1
	global_load_b128 v[60:63], v[24:25], off
	global_load_b128 v[36:39], v[22:23], off
	s_clause 0x2
	scratch_store_b64 off, v[18:19], off offset:160
	scratch_store_b64 off, v[20:21], off offset:168
	;; [unrolled: 1-line block ×3, first 2 shown]
	s_clause 0x3
	global_load_b128 v[56:59], v[18:19], off
	global_load_b128 v[32:35], v[20:21], off
	global_load_b128 v[52:55], v[16:17], off
	global_load_b128 v[40:43], v[14:15], off
	s_clause 0x2
	scratch_store_b64 off, v[12:13], off offset:136
	scratch_store_b64 off, v[14:15], off offset:144
	;; [unrolled: 1-line block ×3, first 2 shown]
	s_clause 0x1
	global_load_b128 v[48:51], v[12:13], off
	global_load_b128 v[44:47], v[10:11], off
	s_clause 0x1
	scratch_store_b64 off, v[10:11], off offset:128
	scratch_store_b64 off, v[22:23], off offset:184
	s_clause 0x3
	global_load_b128 v[28:31], v[28:29], off
	global_load_b128 v[24:27], v[26:27], off
	;; [unrolled: 1-line block ×4, first 2 shown]
	scratch_store_b64 off, v[5:6], off offset:224 ; 8-byte Folded Spill
	s_clause 0x3
	global_load_b128 v[12:15], v[212:213], off
	global_load_b128 v[8:11], v[214:215], off
	global_load_b128 v[4:7], v[216:217], off
	global_load_b128 v[0:3], v[218:219], off
	s_and_saveexec_b32 s5, s2
	s_cbranch_execz .LBB119_8
; %bb.2:
	scratch_load_b128 v[211:214], off, off offset:112 ; 16-byte Folded Reload
	s_waitcnt vmcnt(0)
	ds_store_2addr_b64 v248, v[211:212], v[213:214] offset1:1
	scratch_load_b128 v[211:214], off, off offset:96 ; 16-byte Folded Reload
	s_waitcnt vmcnt(0)
	ds_store_2addr_b64 v250, v[211:212], v[213:214] offset0:2 offset1:3
	scratch_load_b128 v[211:214], off, off offset:80 ; 16-byte Folded Reload
	s_waitcnt vmcnt(0)
	ds_store_2addr_b64 v250, v[211:212], v[213:214] offset0:4 offset1:5
	;; [unrolled: 3-line block ×6, first 2 shown]
	scratch_load_b128 v[211:214], off, off  ; 16-byte Folded Reload
	s_waitcnt vmcnt(0)
	ds_store_2addr_b64 v250, v[211:212], v[213:214] offset0:14 offset1:15
	ds_store_2addr_b64 v250, v[204:205], v[206:207] offset0:16 offset1:17
	;; [unrolled: 1-line block ×53, first 2 shown]
	ds_load_2addr_b64 v[216:219], v248 offset1:1
	s_waitcnt lgkmcnt(0)
	v_cmp_neq_f64_e32 vcc_lo, 0, v[216:217]
	v_cmp_neq_f64_e64 s4, 0, v[218:219]
	s_delay_alu instid0(VALU_DEP_1) | instskip(NEXT) | instid1(SALU_CYCLE_1)
	s_or_b32 s4, vcc_lo, s4
	s_and_b32 exec_lo, exec_lo, s4
	s_cbranch_execz .LBB119_8
; %bb.3:
	v_cmp_gt_f64_e32 vcc_lo, 0, v[216:217]
	v_xor_b32_e32 v212, 0x80000000, v217
	s_mov_b32 s4, exec_lo
                                        ; implicit-def: $vgpr224_vgpr225
	s_delay_alu instid0(VALU_DEP_1) | instskip(SKIP_3) | instid1(VALU_DEP_1)
	v_cndmask_b32_e32 v221, v217, v212, vcc_lo
	v_cndmask_b32_e32 v220, v216, v216, vcc_lo
	v_cmp_gt_f64_e32 vcc_lo, 0, v[218:219]
	v_xor_b32_e32 v212, 0x80000000, v219
	v_dual_cndmask_b32 v222, v218, v218 :: v_dual_cndmask_b32 v223, v219, v212
	s_delay_alu instid0(VALU_DEP_1)
	v_cmpx_ngt_f64_e32 v[220:221], v[222:223]
	s_xor_b32 s4, exec_lo, s4
                                        ; implicit-def: $vgpr220_vgpr221_vgpr222_vgpr223
	s_cbranch_execz .LBB119_5
; %bb.4:
	v_div_scale_f64 v[220:221], null, v[218:219], v[218:219], v[216:217]
	v_div_scale_f64 v[226:227], vcc_lo, v[216:217], v[218:219], v[216:217]
	s_delay_alu instid0(VALU_DEP_2) | instskip(SKIP_2) | instid1(VALU_DEP_1)
	v_rcp_f64_e32 v[222:223], v[220:221]
	s_waitcnt_depctr 0xfff
	v_fma_f64 v[224:225], -v[220:221], v[222:223], 1.0
	v_fma_f64 v[222:223], v[222:223], v[224:225], v[222:223]
	s_delay_alu instid0(VALU_DEP_1) | instskip(NEXT) | instid1(VALU_DEP_1)
	v_fma_f64 v[224:225], -v[220:221], v[222:223], 1.0
	v_fma_f64 v[222:223], v[222:223], v[224:225], v[222:223]
	s_delay_alu instid0(VALU_DEP_1) | instskip(NEXT) | instid1(VALU_DEP_1)
	v_mul_f64 v[224:225], v[226:227], v[222:223]
	v_fma_f64 v[220:221], -v[220:221], v[224:225], v[226:227]
	s_delay_alu instid0(VALU_DEP_1) | instskip(NEXT) | instid1(VALU_DEP_1)
	v_div_fmas_f64 v[220:221], v[220:221], v[222:223], v[224:225]
	v_div_fixup_f64 v[220:221], v[220:221], v[218:219], v[216:217]
	s_delay_alu instid0(VALU_DEP_1) | instskip(NEXT) | instid1(VALU_DEP_1)
	v_fma_f64 v[216:217], v[216:217], v[220:221], v[218:219]
	v_div_scale_f64 v[218:219], null, v[216:217], v[216:217], 1.0
	s_delay_alu instid0(VALU_DEP_1) | instskip(SKIP_2) | instid1(VALU_DEP_1)
	v_rcp_f64_e32 v[222:223], v[218:219]
	s_waitcnt_depctr 0xfff
	v_fma_f64 v[224:225], -v[218:219], v[222:223], 1.0
	v_fma_f64 v[222:223], v[222:223], v[224:225], v[222:223]
	s_delay_alu instid0(VALU_DEP_1) | instskip(NEXT) | instid1(VALU_DEP_1)
	v_fma_f64 v[224:225], -v[218:219], v[222:223], 1.0
	v_fma_f64 v[222:223], v[222:223], v[224:225], v[222:223]
	v_div_scale_f64 v[224:225], vcc_lo, 1.0, v[216:217], 1.0
	s_delay_alu instid0(VALU_DEP_1) | instskip(NEXT) | instid1(VALU_DEP_1)
	v_mul_f64 v[226:227], v[224:225], v[222:223]
	v_fma_f64 v[218:219], -v[218:219], v[226:227], v[224:225]
	s_delay_alu instid0(VALU_DEP_1) | instskip(NEXT) | instid1(VALU_DEP_1)
	v_div_fmas_f64 v[218:219], v[218:219], v[222:223], v[226:227]
	v_div_fixup_f64 v[222:223], v[218:219], v[216:217], 1.0
                                        ; implicit-def: $vgpr216_vgpr217
	s_delay_alu instid0(VALU_DEP_1)
	v_mul_f64 v[224:225], v[220:221], v[222:223]
	v_xor_b32_e32 v223, 0x80000000, v223
.LBB119_5:
	s_and_not1_saveexec_b32 s4, s4
	s_cbranch_execz .LBB119_7
; %bb.6:
	v_div_scale_f64 v[220:221], null, v[216:217], v[216:217], v[218:219]
	v_div_scale_f64 v[226:227], vcc_lo, v[218:219], v[216:217], v[218:219]
	s_delay_alu instid0(VALU_DEP_2) | instskip(SKIP_2) | instid1(VALU_DEP_1)
	v_rcp_f64_e32 v[222:223], v[220:221]
	s_waitcnt_depctr 0xfff
	v_fma_f64 v[224:225], -v[220:221], v[222:223], 1.0
	v_fma_f64 v[222:223], v[222:223], v[224:225], v[222:223]
	s_delay_alu instid0(VALU_DEP_1) | instskip(NEXT) | instid1(VALU_DEP_1)
	v_fma_f64 v[224:225], -v[220:221], v[222:223], 1.0
	v_fma_f64 v[222:223], v[222:223], v[224:225], v[222:223]
	s_delay_alu instid0(VALU_DEP_1) | instskip(NEXT) | instid1(VALU_DEP_1)
	v_mul_f64 v[224:225], v[226:227], v[222:223]
	v_fma_f64 v[220:221], -v[220:221], v[224:225], v[226:227]
	s_delay_alu instid0(VALU_DEP_1) | instskip(NEXT) | instid1(VALU_DEP_1)
	v_div_fmas_f64 v[220:221], v[220:221], v[222:223], v[224:225]
	v_div_fixup_f64 v[220:221], v[220:221], v[216:217], v[218:219]
	s_delay_alu instid0(VALU_DEP_1) | instskip(NEXT) | instid1(VALU_DEP_1)
	v_fma_f64 v[216:217], v[218:219], v[220:221], v[216:217]
	v_div_scale_f64 v[218:219], null, v[216:217], v[216:217], 1.0
	s_delay_alu instid0(VALU_DEP_1) | instskip(SKIP_2) | instid1(VALU_DEP_1)
	v_rcp_f64_e32 v[222:223], v[218:219]
	s_waitcnt_depctr 0xfff
	v_fma_f64 v[224:225], -v[218:219], v[222:223], 1.0
	v_fma_f64 v[222:223], v[222:223], v[224:225], v[222:223]
	s_delay_alu instid0(VALU_DEP_1) | instskip(NEXT) | instid1(VALU_DEP_1)
	v_fma_f64 v[224:225], -v[218:219], v[222:223], 1.0
	v_fma_f64 v[222:223], v[222:223], v[224:225], v[222:223]
	v_div_scale_f64 v[224:225], vcc_lo, 1.0, v[216:217], 1.0
	s_delay_alu instid0(VALU_DEP_1) | instskip(NEXT) | instid1(VALU_DEP_1)
	v_mul_f64 v[226:227], v[224:225], v[222:223]
	v_fma_f64 v[218:219], -v[218:219], v[226:227], v[224:225]
	s_delay_alu instid0(VALU_DEP_1) | instskip(NEXT) | instid1(VALU_DEP_1)
	v_div_fmas_f64 v[218:219], v[218:219], v[222:223], v[226:227]
	v_div_fixup_f64 v[224:225], v[218:219], v[216:217], 1.0
	s_delay_alu instid0(VALU_DEP_1)
	v_mul_f64 v[222:223], v[220:221], -v[224:225]
.LBB119_7:
	s_or_b32 exec_lo, exec_lo, s4
	ds_store_2addr_b64 v248, v[224:225], v[222:223] offset1:1
.LBB119_8:
	s_or_b32 exec_lo, exec_lo, s5
	s_waitcnt vmcnt(0) lgkmcnt(0)
	s_waitcnt_vscnt null, 0x0
	s_barrier
	buffer_gl0_inv
	ds_load_2addr_b64 v[211:214], v248 offset1:1
	s_waitcnt lgkmcnt(0)
	scratch_store_b128 off, v[211:214], off offset:600 ; 16-byte Folded Spill
	s_and_saveexec_b32 s4, s3
	s_cbranch_execz .LBB119_10
; %bb.9:
	s_clause 0x1
	scratch_load_b128 v[222:225], off, off offset:112
	scratch_load_b128 v[211:214], off, off offset:600
	s_waitcnt vmcnt(0)
	v_mul_f64 v[216:217], v[213:214], v[224:225]
	v_mul_f64 v[218:219], v[211:212], v[224:225]
	s_delay_alu instid0(VALU_DEP_2) | instskip(NEXT) | instid1(VALU_DEP_2)
	v_fma_f64 v[216:217], v[211:212], v[222:223], -v[216:217]
	v_fma_f64 v[224:225], v[213:214], v[222:223], v[218:219]
	scratch_load_b128 v[211:214], off, off offset:96 ; 16-byte Folded Reload
	ds_load_2addr_b64 v[218:221], v250 offset0:2 offset1:3
	s_waitcnt lgkmcnt(0)
	v_mul_f64 v[222:223], v[220:221], v[224:225]
	s_delay_alu instid0(VALU_DEP_1) | instskip(SKIP_1) | instid1(VALU_DEP_1)
	v_fma_f64 v[222:223], v[218:219], v[216:217], -v[222:223]
	v_mul_f64 v[218:219], v[218:219], v[224:225]
	v_fma_f64 v[218:219], v[220:221], v[216:217], v[218:219]
	s_waitcnt vmcnt(0)
	s_delay_alu instid0(VALU_DEP_3) | instskip(NEXT) | instid1(VALU_DEP_2)
	v_add_f64 v[211:212], v[211:212], -v[222:223]
	v_add_f64 v[213:214], v[213:214], -v[218:219]
	ds_load_2addr_b64 v[218:221], v250 offset0:4 offset1:5
	s_waitcnt lgkmcnt(0)
	v_mul_f64 v[222:223], v[220:221], v[224:225]
	scratch_store_b128 off, v[211:214], off offset:96 ; 16-byte Folded Spill
	scratch_load_b128 v[211:214], off, off offset:80 ; 16-byte Folded Reload
	v_fma_f64 v[222:223], v[218:219], v[216:217], -v[222:223]
	v_mul_f64 v[218:219], v[218:219], v[224:225]
	s_delay_alu instid0(VALU_DEP_1) | instskip(SKIP_1) | instid1(VALU_DEP_3)
	v_fma_f64 v[218:219], v[220:221], v[216:217], v[218:219]
	s_waitcnt vmcnt(0)
	v_add_f64 v[211:212], v[211:212], -v[222:223]
	s_delay_alu instid0(VALU_DEP_2)
	v_add_f64 v[213:214], v[213:214], -v[218:219]
	ds_load_2addr_b64 v[218:221], v250 offset0:6 offset1:7
	s_waitcnt lgkmcnt(0)
	v_mul_f64 v[222:223], v[220:221], v[224:225]
	scratch_store_b128 off, v[211:214], off offset:80 ; 16-byte Folded Spill
	scratch_load_b128 v[211:214], off, off offset:64 ; 16-byte Folded Reload
	v_fma_f64 v[222:223], v[218:219], v[216:217], -v[222:223]
	v_mul_f64 v[218:219], v[218:219], v[224:225]
	s_delay_alu instid0(VALU_DEP_1) | instskip(SKIP_1) | instid1(VALU_DEP_3)
	v_fma_f64 v[218:219], v[220:221], v[216:217], v[218:219]
	s_waitcnt vmcnt(0)
	v_add_f64 v[211:212], v[211:212], -v[222:223]
	s_delay_alu instid0(VALU_DEP_2)
	;; [unrolled: 13-line block ×5, first 2 shown]
	v_add_f64 v[213:214], v[213:214], -v[218:219]
	ds_load_2addr_b64 v[218:221], v250 offset0:14 offset1:15
	s_waitcnt lgkmcnt(0)
	v_mul_f64 v[222:223], v[220:221], v[224:225]
	scratch_store_b128 off, v[211:214], off offset:16 ; 16-byte Folded Spill
	scratch_load_b128 v[211:214], off, off  ; 16-byte Folded Reload
	v_fma_f64 v[222:223], v[218:219], v[216:217], -v[222:223]
	v_mul_f64 v[218:219], v[218:219], v[224:225]
	s_delay_alu instid0(VALU_DEP_1) | instskip(SKIP_1) | instid1(VALU_DEP_1)
	v_fma_f64 v[218:219], v[220:221], v[216:217], v[218:219]
	s_waitcnt vmcnt(0)
	v_add_f64 v[213:214], v[213:214], -v[218:219]
	ds_load_2addr_b64 v[218:221], v250 offset0:16 offset1:17
	v_add_f64 v[211:212], v[211:212], -v[222:223]
	s_waitcnt lgkmcnt(0)
	v_mul_f64 v[222:223], v[220:221], v[224:225]
	s_delay_alu instid0(VALU_DEP_1) | instskip(SKIP_1) | instid1(VALU_DEP_2)
	v_fma_f64 v[222:223], v[218:219], v[216:217], -v[222:223]
	v_mul_f64 v[218:219], v[218:219], v[224:225]
	v_add_f64 v[204:205], v[204:205], -v[222:223]
	s_delay_alu instid0(VALU_DEP_2) | instskip(NEXT) | instid1(VALU_DEP_1)
	v_fma_f64 v[218:219], v[220:221], v[216:217], v[218:219]
	v_add_f64 v[206:207], v[206:207], -v[218:219]
	ds_load_2addr_b64 v[218:221], v250 offset0:18 offset1:19
	s_waitcnt lgkmcnt(0)
	v_mul_f64 v[222:223], v[220:221], v[224:225]
	s_delay_alu instid0(VALU_DEP_1) | instskip(SKIP_1) | instid1(VALU_DEP_2)
	v_fma_f64 v[222:223], v[218:219], v[216:217], -v[222:223]
	v_mul_f64 v[218:219], v[218:219], v[224:225]
	v_add_f64 v[200:201], v[200:201], -v[222:223]
	s_delay_alu instid0(VALU_DEP_2) | instskip(NEXT) | instid1(VALU_DEP_1)
	v_fma_f64 v[218:219], v[220:221], v[216:217], v[218:219]
	v_add_f64 v[202:203], v[202:203], -v[218:219]
	ds_load_2addr_b64 v[218:221], v250 offset0:20 offset1:21
	;; [unrolled: 10-line block ×51, first 2 shown]
	s_waitcnt lgkmcnt(0)
	v_mul_f64 v[222:223], v[220:221], v[224:225]
	s_delay_alu instid0(VALU_DEP_1) | instskip(SKIP_1) | instid1(VALU_DEP_2)
	v_fma_f64 v[222:223], v[218:219], v[216:217], -v[222:223]
	v_mul_f64 v[218:219], v[218:219], v[224:225]
	v_add_f64 v[0:1], v[0:1], -v[222:223]
	s_delay_alu instid0(VALU_DEP_2)
	v_fma_f64 v[218:219], v[220:221], v[216:217], v[218:219]
	v_dual_mov_b32 v223, v217 :: v_dual_mov_b32 v222, v216
	s_clause 0x1
	scratch_store_b128 off, v[211:214], off
	scratch_store_b128 off, v[222:225], off offset:112
	v_add_f64 v[2:3], v[2:3], -v[218:219]
.LBB119_10:
	s_or_b32 exec_lo, exec_lo, s4
	s_delay_alu instid0(SALU_CYCLE_1)
	s_mov_b32 s4, exec_lo
	s_waitcnt_vscnt null, 0x0
	s_barrier
	buffer_gl0_inv
	v_cmpx_eq_u32_e32 1, v251
	s_cbranch_execz .LBB119_17
; %bb.11:
	scratch_load_b128 v[211:214], off, off offset:96 ; 16-byte Folded Reload
	s_waitcnt vmcnt(0)
	ds_store_2addr_b64 v248, v[211:212], v[213:214] offset1:1
	scratch_load_b128 v[211:214], off, off offset:80 ; 16-byte Folded Reload
	s_waitcnt vmcnt(0)
	ds_store_2addr_b64 v250, v[211:212], v[213:214] offset0:4 offset1:5
	scratch_load_b128 v[211:214], off, off offset:64 ; 16-byte Folded Reload
	s_waitcnt vmcnt(0)
	ds_store_2addr_b64 v250, v[211:212], v[213:214] offset0:6 offset1:7
	;; [unrolled: 3-line block ×5, first 2 shown]
	scratch_load_b128 v[211:214], off, off  ; 16-byte Folded Reload
	s_waitcnt vmcnt(0)
	ds_store_2addr_b64 v250, v[211:212], v[213:214] offset0:14 offset1:15
	ds_store_2addr_b64 v250, v[204:205], v[206:207] offset0:16 offset1:17
	;; [unrolled: 1-line block ×53, first 2 shown]
	ds_load_2addr_b64 v[216:219], v248 offset1:1
	s_waitcnt lgkmcnt(0)
	v_cmp_neq_f64_e32 vcc_lo, 0, v[216:217]
	v_cmp_neq_f64_e64 s3, 0, v[218:219]
	s_delay_alu instid0(VALU_DEP_1) | instskip(NEXT) | instid1(SALU_CYCLE_1)
	s_or_b32 s3, vcc_lo, s3
	s_and_b32 exec_lo, exec_lo, s3
	s_cbranch_execz .LBB119_17
; %bb.12:
	v_cmp_gt_f64_e32 vcc_lo, 0, v[216:217]
	v_xor_b32_e32 v212, 0x80000000, v217
	s_mov_b32 s3, exec_lo
                                        ; implicit-def: $vgpr224_vgpr225
	s_delay_alu instid0(VALU_DEP_1) | instskip(SKIP_3) | instid1(VALU_DEP_1)
	v_cndmask_b32_e32 v221, v217, v212, vcc_lo
	v_cndmask_b32_e32 v220, v216, v216, vcc_lo
	v_cmp_gt_f64_e32 vcc_lo, 0, v[218:219]
	v_xor_b32_e32 v212, 0x80000000, v219
	v_dual_cndmask_b32 v222, v218, v218 :: v_dual_cndmask_b32 v223, v219, v212
	s_delay_alu instid0(VALU_DEP_1)
	v_cmpx_ngt_f64_e32 v[220:221], v[222:223]
	s_xor_b32 s3, exec_lo, s3
                                        ; implicit-def: $vgpr220_vgpr221_vgpr222_vgpr223
	s_cbranch_execz .LBB119_14
; %bb.13:
	v_div_scale_f64 v[220:221], null, v[218:219], v[218:219], v[216:217]
	v_div_scale_f64 v[226:227], vcc_lo, v[216:217], v[218:219], v[216:217]
	s_delay_alu instid0(VALU_DEP_2) | instskip(SKIP_2) | instid1(VALU_DEP_1)
	v_rcp_f64_e32 v[222:223], v[220:221]
	s_waitcnt_depctr 0xfff
	v_fma_f64 v[224:225], -v[220:221], v[222:223], 1.0
	v_fma_f64 v[222:223], v[222:223], v[224:225], v[222:223]
	s_delay_alu instid0(VALU_DEP_1) | instskip(NEXT) | instid1(VALU_DEP_1)
	v_fma_f64 v[224:225], -v[220:221], v[222:223], 1.0
	v_fma_f64 v[222:223], v[222:223], v[224:225], v[222:223]
	s_delay_alu instid0(VALU_DEP_1) | instskip(NEXT) | instid1(VALU_DEP_1)
	v_mul_f64 v[224:225], v[226:227], v[222:223]
	v_fma_f64 v[220:221], -v[220:221], v[224:225], v[226:227]
	s_delay_alu instid0(VALU_DEP_1) | instskip(NEXT) | instid1(VALU_DEP_1)
	v_div_fmas_f64 v[220:221], v[220:221], v[222:223], v[224:225]
	v_div_fixup_f64 v[220:221], v[220:221], v[218:219], v[216:217]
	s_delay_alu instid0(VALU_DEP_1) | instskip(NEXT) | instid1(VALU_DEP_1)
	v_fma_f64 v[216:217], v[216:217], v[220:221], v[218:219]
	v_div_scale_f64 v[218:219], null, v[216:217], v[216:217], 1.0
	s_delay_alu instid0(VALU_DEP_1) | instskip(SKIP_2) | instid1(VALU_DEP_1)
	v_rcp_f64_e32 v[222:223], v[218:219]
	s_waitcnt_depctr 0xfff
	v_fma_f64 v[224:225], -v[218:219], v[222:223], 1.0
	v_fma_f64 v[222:223], v[222:223], v[224:225], v[222:223]
	s_delay_alu instid0(VALU_DEP_1) | instskip(NEXT) | instid1(VALU_DEP_1)
	v_fma_f64 v[224:225], -v[218:219], v[222:223], 1.0
	v_fma_f64 v[222:223], v[222:223], v[224:225], v[222:223]
	v_div_scale_f64 v[224:225], vcc_lo, 1.0, v[216:217], 1.0
	s_delay_alu instid0(VALU_DEP_1) | instskip(NEXT) | instid1(VALU_DEP_1)
	v_mul_f64 v[226:227], v[224:225], v[222:223]
	v_fma_f64 v[218:219], -v[218:219], v[226:227], v[224:225]
	s_delay_alu instid0(VALU_DEP_1) | instskip(NEXT) | instid1(VALU_DEP_1)
	v_div_fmas_f64 v[218:219], v[218:219], v[222:223], v[226:227]
	v_div_fixup_f64 v[222:223], v[218:219], v[216:217], 1.0
                                        ; implicit-def: $vgpr216_vgpr217
	s_delay_alu instid0(VALU_DEP_1)
	v_mul_f64 v[224:225], v[220:221], v[222:223]
	v_xor_b32_e32 v223, 0x80000000, v223
.LBB119_14:
	s_and_not1_saveexec_b32 s3, s3
	s_cbranch_execz .LBB119_16
; %bb.15:
	v_div_scale_f64 v[220:221], null, v[216:217], v[216:217], v[218:219]
	v_div_scale_f64 v[226:227], vcc_lo, v[218:219], v[216:217], v[218:219]
	s_delay_alu instid0(VALU_DEP_2) | instskip(SKIP_2) | instid1(VALU_DEP_1)
	v_rcp_f64_e32 v[222:223], v[220:221]
	s_waitcnt_depctr 0xfff
	v_fma_f64 v[224:225], -v[220:221], v[222:223], 1.0
	v_fma_f64 v[222:223], v[222:223], v[224:225], v[222:223]
	s_delay_alu instid0(VALU_DEP_1) | instskip(NEXT) | instid1(VALU_DEP_1)
	v_fma_f64 v[224:225], -v[220:221], v[222:223], 1.0
	v_fma_f64 v[222:223], v[222:223], v[224:225], v[222:223]
	s_delay_alu instid0(VALU_DEP_1) | instskip(NEXT) | instid1(VALU_DEP_1)
	v_mul_f64 v[224:225], v[226:227], v[222:223]
	v_fma_f64 v[220:221], -v[220:221], v[224:225], v[226:227]
	s_delay_alu instid0(VALU_DEP_1) | instskip(NEXT) | instid1(VALU_DEP_1)
	v_div_fmas_f64 v[220:221], v[220:221], v[222:223], v[224:225]
	v_div_fixup_f64 v[220:221], v[220:221], v[216:217], v[218:219]
	s_delay_alu instid0(VALU_DEP_1) | instskip(NEXT) | instid1(VALU_DEP_1)
	v_fma_f64 v[216:217], v[218:219], v[220:221], v[216:217]
	v_div_scale_f64 v[218:219], null, v[216:217], v[216:217], 1.0
	s_delay_alu instid0(VALU_DEP_1) | instskip(SKIP_2) | instid1(VALU_DEP_1)
	v_rcp_f64_e32 v[222:223], v[218:219]
	s_waitcnt_depctr 0xfff
	v_fma_f64 v[224:225], -v[218:219], v[222:223], 1.0
	v_fma_f64 v[222:223], v[222:223], v[224:225], v[222:223]
	s_delay_alu instid0(VALU_DEP_1) | instskip(NEXT) | instid1(VALU_DEP_1)
	v_fma_f64 v[224:225], -v[218:219], v[222:223], 1.0
	v_fma_f64 v[222:223], v[222:223], v[224:225], v[222:223]
	v_div_scale_f64 v[224:225], vcc_lo, 1.0, v[216:217], 1.0
	s_delay_alu instid0(VALU_DEP_1) | instskip(NEXT) | instid1(VALU_DEP_1)
	v_mul_f64 v[226:227], v[224:225], v[222:223]
	v_fma_f64 v[218:219], -v[218:219], v[226:227], v[224:225]
	s_delay_alu instid0(VALU_DEP_1) | instskip(NEXT) | instid1(VALU_DEP_1)
	v_div_fmas_f64 v[218:219], v[218:219], v[222:223], v[226:227]
	v_div_fixup_f64 v[224:225], v[218:219], v[216:217], 1.0
	s_delay_alu instid0(VALU_DEP_1)
	v_mul_f64 v[222:223], v[220:221], -v[224:225]
.LBB119_16:
	s_or_b32 exec_lo, exec_lo, s3
	ds_store_2addr_b64 v248, v[224:225], v[222:223] offset1:1
.LBB119_17:
	s_or_b32 exec_lo, exec_lo, s4
	s_waitcnt lgkmcnt(0)
	s_barrier
	buffer_gl0_inv
	ds_load_2addr_b64 v[211:214], v248 offset1:1
	s_mov_b32 s3, exec_lo
	s_waitcnt lgkmcnt(0)
	scratch_store_b128 off, v[211:214], off offset:616 ; 16-byte Folded Spill
	v_cmpx_lt_u32_e32 1, v251
	s_cbranch_execz .LBB119_19
; %bb.18:
	s_clause 0x1
	scratch_load_b128 v[222:225], off, off offset:96
	scratch_load_b128 v[211:214], off, off offset:616
	s_waitcnt vmcnt(0)
	v_mul_f64 v[216:217], v[213:214], v[224:225]
	v_mul_f64 v[218:219], v[211:212], v[224:225]
	s_delay_alu instid0(VALU_DEP_2) | instskip(NEXT) | instid1(VALU_DEP_2)
	v_fma_f64 v[216:217], v[211:212], v[222:223], -v[216:217]
	v_fma_f64 v[224:225], v[213:214], v[222:223], v[218:219]
	scratch_load_b128 v[211:214], off, off offset:80 ; 16-byte Folded Reload
	ds_load_2addr_b64 v[218:221], v250 offset0:4 offset1:5
	s_waitcnt lgkmcnt(0)
	v_mul_f64 v[222:223], v[220:221], v[224:225]
	s_delay_alu instid0(VALU_DEP_1) | instskip(SKIP_1) | instid1(VALU_DEP_1)
	v_fma_f64 v[222:223], v[218:219], v[216:217], -v[222:223]
	v_mul_f64 v[218:219], v[218:219], v[224:225]
	v_fma_f64 v[218:219], v[220:221], v[216:217], v[218:219]
	s_waitcnt vmcnt(0)
	s_delay_alu instid0(VALU_DEP_3) | instskip(NEXT) | instid1(VALU_DEP_2)
	v_add_f64 v[211:212], v[211:212], -v[222:223]
	v_add_f64 v[213:214], v[213:214], -v[218:219]
	ds_load_2addr_b64 v[218:221], v250 offset0:6 offset1:7
	s_waitcnt lgkmcnt(0)
	v_mul_f64 v[222:223], v[220:221], v[224:225]
	scratch_store_b128 off, v[211:214], off offset:80 ; 16-byte Folded Spill
	scratch_load_b128 v[211:214], off, off offset:64 ; 16-byte Folded Reload
	v_fma_f64 v[222:223], v[218:219], v[216:217], -v[222:223]
	v_mul_f64 v[218:219], v[218:219], v[224:225]
	s_delay_alu instid0(VALU_DEP_1) | instskip(SKIP_1) | instid1(VALU_DEP_3)
	v_fma_f64 v[218:219], v[220:221], v[216:217], v[218:219]
	s_waitcnt vmcnt(0)
	v_add_f64 v[211:212], v[211:212], -v[222:223]
	s_delay_alu instid0(VALU_DEP_2)
	v_add_f64 v[213:214], v[213:214], -v[218:219]
	ds_load_2addr_b64 v[218:221], v250 offset0:8 offset1:9
	s_waitcnt lgkmcnt(0)
	v_mul_f64 v[222:223], v[220:221], v[224:225]
	scratch_store_b128 off, v[211:214], off offset:64 ; 16-byte Folded Spill
	scratch_load_b128 v[211:214], off, off offset:48 ; 16-byte Folded Reload
	v_fma_f64 v[222:223], v[218:219], v[216:217], -v[222:223]
	v_mul_f64 v[218:219], v[218:219], v[224:225]
	s_delay_alu instid0(VALU_DEP_1) | instskip(SKIP_1) | instid1(VALU_DEP_3)
	v_fma_f64 v[218:219], v[220:221], v[216:217], v[218:219]
	s_waitcnt vmcnt(0)
	v_add_f64 v[211:212], v[211:212], -v[222:223]
	s_delay_alu instid0(VALU_DEP_2)
	;; [unrolled: 13-line block ×4, first 2 shown]
	v_add_f64 v[213:214], v[213:214], -v[218:219]
	ds_load_2addr_b64 v[218:221], v250 offset0:14 offset1:15
	s_waitcnt lgkmcnt(0)
	v_mul_f64 v[222:223], v[220:221], v[224:225]
	scratch_store_b128 off, v[211:214], off offset:16 ; 16-byte Folded Spill
	scratch_load_b128 v[211:214], off, off  ; 16-byte Folded Reload
	v_fma_f64 v[222:223], v[218:219], v[216:217], -v[222:223]
	v_mul_f64 v[218:219], v[218:219], v[224:225]
	s_delay_alu instid0(VALU_DEP_1) | instskip(SKIP_1) | instid1(VALU_DEP_1)
	v_fma_f64 v[218:219], v[220:221], v[216:217], v[218:219]
	s_waitcnt vmcnt(0)
	v_add_f64 v[213:214], v[213:214], -v[218:219]
	ds_load_2addr_b64 v[218:221], v250 offset0:16 offset1:17
	v_add_f64 v[211:212], v[211:212], -v[222:223]
	s_waitcnt lgkmcnt(0)
	v_mul_f64 v[222:223], v[220:221], v[224:225]
	s_delay_alu instid0(VALU_DEP_1) | instskip(SKIP_1) | instid1(VALU_DEP_2)
	v_fma_f64 v[222:223], v[218:219], v[216:217], -v[222:223]
	v_mul_f64 v[218:219], v[218:219], v[224:225]
	v_add_f64 v[204:205], v[204:205], -v[222:223]
	s_delay_alu instid0(VALU_DEP_2) | instskip(NEXT) | instid1(VALU_DEP_1)
	v_fma_f64 v[218:219], v[220:221], v[216:217], v[218:219]
	v_add_f64 v[206:207], v[206:207], -v[218:219]
	ds_load_2addr_b64 v[218:221], v250 offset0:18 offset1:19
	s_waitcnt lgkmcnt(0)
	v_mul_f64 v[222:223], v[220:221], v[224:225]
	s_delay_alu instid0(VALU_DEP_1) | instskip(SKIP_1) | instid1(VALU_DEP_2)
	v_fma_f64 v[222:223], v[218:219], v[216:217], -v[222:223]
	v_mul_f64 v[218:219], v[218:219], v[224:225]
	v_add_f64 v[200:201], v[200:201], -v[222:223]
	s_delay_alu instid0(VALU_DEP_2) | instskip(NEXT) | instid1(VALU_DEP_1)
	v_fma_f64 v[218:219], v[220:221], v[216:217], v[218:219]
	v_add_f64 v[202:203], v[202:203], -v[218:219]
	ds_load_2addr_b64 v[218:221], v250 offset0:20 offset1:21
	;; [unrolled: 10-line block ×51, first 2 shown]
	s_waitcnt lgkmcnt(0)
	v_mul_f64 v[222:223], v[220:221], v[224:225]
	s_delay_alu instid0(VALU_DEP_1) | instskip(SKIP_1) | instid1(VALU_DEP_2)
	v_fma_f64 v[222:223], v[218:219], v[216:217], -v[222:223]
	v_mul_f64 v[218:219], v[218:219], v[224:225]
	v_add_f64 v[0:1], v[0:1], -v[222:223]
	s_delay_alu instid0(VALU_DEP_2)
	v_fma_f64 v[218:219], v[220:221], v[216:217], v[218:219]
	v_dual_mov_b32 v223, v217 :: v_dual_mov_b32 v222, v216
	s_clause 0x1
	scratch_store_b128 off, v[211:214], off
	scratch_store_b128 off, v[222:225], off offset:96
	v_add_f64 v[2:3], v[2:3], -v[218:219]
.LBB119_19:
	s_or_b32 exec_lo, exec_lo, s3
	s_delay_alu instid0(SALU_CYCLE_1)
	s_mov_b32 s4, exec_lo
	s_waitcnt_vscnt null, 0x0
	s_barrier
	buffer_gl0_inv
	v_cmpx_eq_u32_e32 2, v251
	s_cbranch_execz .LBB119_26
; %bb.20:
	scratch_load_b128 v[211:214], off, off offset:80 ; 16-byte Folded Reload
	s_waitcnt vmcnt(0)
	ds_store_2addr_b64 v248, v[211:212], v[213:214] offset1:1
	scratch_load_b128 v[211:214], off, off offset:64 ; 16-byte Folded Reload
	s_waitcnt vmcnt(0)
	ds_store_2addr_b64 v250, v[211:212], v[213:214] offset0:6 offset1:7
	scratch_load_b128 v[211:214], off, off offset:48 ; 16-byte Folded Reload
	s_waitcnt vmcnt(0)
	ds_store_2addr_b64 v250, v[211:212], v[213:214] offset0:8 offset1:9
	scratch_load_b128 v[211:214], off, off offset:32 ; 16-byte Folded Reload
	s_waitcnt vmcnt(0)
	ds_store_2addr_b64 v250, v[211:212], v[213:214] offset0:10 offset1:11
	scratch_load_b128 v[211:214], off, off offset:16 ; 16-byte Folded Reload
	s_waitcnt vmcnt(0)
	ds_store_2addr_b64 v250, v[211:212], v[213:214] offset0:12 offset1:13
	scratch_load_b128 v[211:214], off, off  ; 16-byte Folded Reload
	s_waitcnt vmcnt(0)
	ds_store_2addr_b64 v250, v[211:212], v[213:214] offset0:14 offset1:15
	ds_store_2addr_b64 v250, v[204:205], v[206:207] offset0:16 offset1:17
	;; [unrolled: 1-line block ×53, first 2 shown]
	ds_load_2addr_b64 v[216:219], v248 offset1:1
	s_waitcnt lgkmcnt(0)
	v_cmp_neq_f64_e32 vcc_lo, 0, v[216:217]
	v_cmp_neq_f64_e64 s3, 0, v[218:219]
	s_delay_alu instid0(VALU_DEP_1) | instskip(NEXT) | instid1(SALU_CYCLE_1)
	s_or_b32 s3, vcc_lo, s3
	s_and_b32 exec_lo, exec_lo, s3
	s_cbranch_execz .LBB119_26
; %bb.21:
	v_cmp_gt_f64_e32 vcc_lo, 0, v[216:217]
	v_xor_b32_e32 v212, 0x80000000, v217
	s_mov_b32 s3, exec_lo
                                        ; implicit-def: $vgpr224_vgpr225
	s_delay_alu instid0(VALU_DEP_1) | instskip(SKIP_3) | instid1(VALU_DEP_1)
	v_cndmask_b32_e32 v221, v217, v212, vcc_lo
	v_cndmask_b32_e32 v220, v216, v216, vcc_lo
	v_cmp_gt_f64_e32 vcc_lo, 0, v[218:219]
	v_xor_b32_e32 v212, 0x80000000, v219
	v_dual_cndmask_b32 v222, v218, v218 :: v_dual_cndmask_b32 v223, v219, v212
	s_delay_alu instid0(VALU_DEP_1)
	v_cmpx_ngt_f64_e32 v[220:221], v[222:223]
	s_xor_b32 s3, exec_lo, s3
                                        ; implicit-def: $vgpr220_vgpr221_vgpr222_vgpr223
	s_cbranch_execz .LBB119_23
; %bb.22:
	v_div_scale_f64 v[220:221], null, v[218:219], v[218:219], v[216:217]
	v_div_scale_f64 v[226:227], vcc_lo, v[216:217], v[218:219], v[216:217]
	s_delay_alu instid0(VALU_DEP_2) | instskip(SKIP_2) | instid1(VALU_DEP_1)
	v_rcp_f64_e32 v[222:223], v[220:221]
	s_waitcnt_depctr 0xfff
	v_fma_f64 v[224:225], -v[220:221], v[222:223], 1.0
	v_fma_f64 v[222:223], v[222:223], v[224:225], v[222:223]
	s_delay_alu instid0(VALU_DEP_1) | instskip(NEXT) | instid1(VALU_DEP_1)
	v_fma_f64 v[224:225], -v[220:221], v[222:223], 1.0
	v_fma_f64 v[222:223], v[222:223], v[224:225], v[222:223]
	s_delay_alu instid0(VALU_DEP_1) | instskip(NEXT) | instid1(VALU_DEP_1)
	v_mul_f64 v[224:225], v[226:227], v[222:223]
	v_fma_f64 v[220:221], -v[220:221], v[224:225], v[226:227]
	s_delay_alu instid0(VALU_DEP_1) | instskip(NEXT) | instid1(VALU_DEP_1)
	v_div_fmas_f64 v[220:221], v[220:221], v[222:223], v[224:225]
	v_div_fixup_f64 v[220:221], v[220:221], v[218:219], v[216:217]
	s_delay_alu instid0(VALU_DEP_1) | instskip(NEXT) | instid1(VALU_DEP_1)
	v_fma_f64 v[216:217], v[216:217], v[220:221], v[218:219]
	v_div_scale_f64 v[218:219], null, v[216:217], v[216:217], 1.0
	s_delay_alu instid0(VALU_DEP_1) | instskip(SKIP_2) | instid1(VALU_DEP_1)
	v_rcp_f64_e32 v[222:223], v[218:219]
	s_waitcnt_depctr 0xfff
	v_fma_f64 v[224:225], -v[218:219], v[222:223], 1.0
	v_fma_f64 v[222:223], v[222:223], v[224:225], v[222:223]
	s_delay_alu instid0(VALU_DEP_1) | instskip(NEXT) | instid1(VALU_DEP_1)
	v_fma_f64 v[224:225], -v[218:219], v[222:223], 1.0
	v_fma_f64 v[222:223], v[222:223], v[224:225], v[222:223]
	v_div_scale_f64 v[224:225], vcc_lo, 1.0, v[216:217], 1.0
	s_delay_alu instid0(VALU_DEP_1) | instskip(NEXT) | instid1(VALU_DEP_1)
	v_mul_f64 v[226:227], v[224:225], v[222:223]
	v_fma_f64 v[218:219], -v[218:219], v[226:227], v[224:225]
	s_delay_alu instid0(VALU_DEP_1) | instskip(NEXT) | instid1(VALU_DEP_1)
	v_div_fmas_f64 v[218:219], v[218:219], v[222:223], v[226:227]
	v_div_fixup_f64 v[222:223], v[218:219], v[216:217], 1.0
                                        ; implicit-def: $vgpr216_vgpr217
	s_delay_alu instid0(VALU_DEP_1)
	v_mul_f64 v[224:225], v[220:221], v[222:223]
	v_xor_b32_e32 v223, 0x80000000, v223
.LBB119_23:
	s_and_not1_saveexec_b32 s3, s3
	s_cbranch_execz .LBB119_25
; %bb.24:
	v_div_scale_f64 v[220:221], null, v[216:217], v[216:217], v[218:219]
	v_div_scale_f64 v[226:227], vcc_lo, v[218:219], v[216:217], v[218:219]
	s_delay_alu instid0(VALU_DEP_2) | instskip(SKIP_2) | instid1(VALU_DEP_1)
	v_rcp_f64_e32 v[222:223], v[220:221]
	s_waitcnt_depctr 0xfff
	v_fma_f64 v[224:225], -v[220:221], v[222:223], 1.0
	v_fma_f64 v[222:223], v[222:223], v[224:225], v[222:223]
	s_delay_alu instid0(VALU_DEP_1) | instskip(NEXT) | instid1(VALU_DEP_1)
	v_fma_f64 v[224:225], -v[220:221], v[222:223], 1.0
	v_fma_f64 v[222:223], v[222:223], v[224:225], v[222:223]
	s_delay_alu instid0(VALU_DEP_1) | instskip(NEXT) | instid1(VALU_DEP_1)
	v_mul_f64 v[224:225], v[226:227], v[222:223]
	v_fma_f64 v[220:221], -v[220:221], v[224:225], v[226:227]
	s_delay_alu instid0(VALU_DEP_1) | instskip(NEXT) | instid1(VALU_DEP_1)
	v_div_fmas_f64 v[220:221], v[220:221], v[222:223], v[224:225]
	v_div_fixup_f64 v[220:221], v[220:221], v[216:217], v[218:219]
	s_delay_alu instid0(VALU_DEP_1) | instskip(NEXT) | instid1(VALU_DEP_1)
	v_fma_f64 v[216:217], v[218:219], v[220:221], v[216:217]
	v_div_scale_f64 v[218:219], null, v[216:217], v[216:217], 1.0
	s_delay_alu instid0(VALU_DEP_1) | instskip(SKIP_2) | instid1(VALU_DEP_1)
	v_rcp_f64_e32 v[222:223], v[218:219]
	s_waitcnt_depctr 0xfff
	v_fma_f64 v[224:225], -v[218:219], v[222:223], 1.0
	v_fma_f64 v[222:223], v[222:223], v[224:225], v[222:223]
	s_delay_alu instid0(VALU_DEP_1) | instskip(NEXT) | instid1(VALU_DEP_1)
	v_fma_f64 v[224:225], -v[218:219], v[222:223], 1.0
	v_fma_f64 v[222:223], v[222:223], v[224:225], v[222:223]
	v_div_scale_f64 v[224:225], vcc_lo, 1.0, v[216:217], 1.0
	s_delay_alu instid0(VALU_DEP_1) | instskip(NEXT) | instid1(VALU_DEP_1)
	v_mul_f64 v[226:227], v[224:225], v[222:223]
	v_fma_f64 v[218:219], -v[218:219], v[226:227], v[224:225]
	s_delay_alu instid0(VALU_DEP_1) | instskip(NEXT) | instid1(VALU_DEP_1)
	v_div_fmas_f64 v[218:219], v[218:219], v[222:223], v[226:227]
	v_div_fixup_f64 v[224:225], v[218:219], v[216:217], 1.0
	s_delay_alu instid0(VALU_DEP_1)
	v_mul_f64 v[222:223], v[220:221], -v[224:225]
.LBB119_25:
	s_or_b32 exec_lo, exec_lo, s3
	ds_store_2addr_b64 v248, v[224:225], v[222:223] offset1:1
.LBB119_26:
	s_or_b32 exec_lo, exec_lo, s4
	s_waitcnt lgkmcnt(0)
	s_barrier
	buffer_gl0_inv
	ds_load_2addr_b64 v[211:214], v248 offset1:1
	s_mov_b32 s3, exec_lo
	s_waitcnt lgkmcnt(0)
	scratch_store_b128 off, v[211:214], off offset:632 ; 16-byte Folded Spill
	v_cmpx_lt_u32_e32 2, v251
	s_cbranch_execz .LBB119_28
; %bb.27:
	s_clause 0x1
	scratch_load_b128 v[222:225], off, off offset:80
	scratch_load_b128 v[211:214], off, off offset:632
	s_waitcnt vmcnt(0)
	v_mul_f64 v[216:217], v[213:214], v[224:225]
	v_mul_f64 v[218:219], v[211:212], v[224:225]
	s_delay_alu instid0(VALU_DEP_2) | instskip(NEXT) | instid1(VALU_DEP_2)
	v_fma_f64 v[216:217], v[211:212], v[222:223], -v[216:217]
	v_fma_f64 v[224:225], v[213:214], v[222:223], v[218:219]
	scratch_load_b128 v[211:214], off, off offset:64 ; 16-byte Folded Reload
	ds_load_2addr_b64 v[218:221], v250 offset0:6 offset1:7
	s_waitcnt lgkmcnt(0)
	v_mul_f64 v[222:223], v[220:221], v[224:225]
	s_delay_alu instid0(VALU_DEP_1) | instskip(SKIP_1) | instid1(VALU_DEP_1)
	v_fma_f64 v[222:223], v[218:219], v[216:217], -v[222:223]
	v_mul_f64 v[218:219], v[218:219], v[224:225]
	v_fma_f64 v[218:219], v[220:221], v[216:217], v[218:219]
	s_waitcnt vmcnt(0)
	s_delay_alu instid0(VALU_DEP_3) | instskip(NEXT) | instid1(VALU_DEP_2)
	v_add_f64 v[211:212], v[211:212], -v[222:223]
	v_add_f64 v[213:214], v[213:214], -v[218:219]
	ds_load_2addr_b64 v[218:221], v250 offset0:8 offset1:9
	s_waitcnt lgkmcnt(0)
	v_mul_f64 v[222:223], v[220:221], v[224:225]
	scratch_store_b128 off, v[211:214], off offset:64 ; 16-byte Folded Spill
	scratch_load_b128 v[211:214], off, off offset:48 ; 16-byte Folded Reload
	v_fma_f64 v[222:223], v[218:219], v[216:217], -v[222:223]
	v_mul_f64 v[218:219], v[218:219], v[224:225]
	s_delay_alu instid0(VALU_DEP_1) | instskip(SKIP_1) | instid1(VALU_DEP_3)
	v_fma_f64 v[218:219], v[220:221], v[216:217], v[218:219]
	s_waitcnt vmcnt(0)
	v_add_f64 v[211:212], v[211:212], -v[222:223]
	s_delay_alu instid0(VALU_DEP_2)
	v_add_f64 v[213:214], v[213:214], -v[218:219]
	ds_load_2addr_b64 v[218:221], v250 offset0:10 offset1:11
	s_waitcnt lgkmcnt(0)
	v_mul_f64 v[222:223], v[220:221], v[224:225]
	scratch_store_b128 off, v[211:214], off offset:48 ; 16-byte Folded Spill
	scratch_load_b128 v[211:214], off, off offset:32 ; 16-byte Folded Reload
	v_fma_f64 v[222:223], v[218:219], v[216:217], -v[222:223]
	v_mul_f64 v[218:219], v[218:219], v[224:225]
	s_delay_alu instid0(VALU_DEP_1) | instskip(SKIP_1) | instid1(VALU_DEP_3)
	v_fma_f64 v[218:219], v[220:221], v[216:217], v[218:219]
	s_waitcnt vmcnt(0)
	v_add_f64 v[211:212], v[211:212], -v[222:223]
	s_delay_alu instid0(VALU_DEP_2)
	;; [unrolled: 13-line block ×3, first 2 shown]
	v_add_f64 v[213:214], v[213:214], -v[218:219]
	ds_load_2addr_b64 v[218:221], v250 offset0:14 offset1:15
	s_waitcnt lgkmcnt(0)
	v_mul_f64 v[222:223], v[220:221], v[224:225]
	scratch_store_b128 off, v[211:214], off offset:16 ; 16-byte Folded Spill
	scratch_load_b128 v[211:214], off, off  ; 16-byte Folded Reload
	v_fma_f64 v[222:223], v[218:219], v[216:217], -v[222:223]
	v_mul_f64 v[218:219], v[218:219], v[224:225]
	s_delay_alu instid0(VALU_DEP_1) | instskip(SKIP_1) | instid1(VALU_DEP_1)
	v_fma_f64 v[218:219], v[220:221], v[216:217], v[218:219]
	s_waitcnt vmcnt(0)
	v_add_f64 v[213:214], v[213:214], -v[218:219]
	ds_load_2addr_b64 v[218:221], v250 offset0:16 offset1:17
	v_add_f64 v[211:212], v[211:212], -v[222:223]
	s_waitcnt lgkmcnt(0)
	v_mul_f64 v[222:223], v[220:221], v[224:225]
	s_delay_alu instid0(VALU_DEP_1) | instskip(SKIP_1) | instid1(VALU_DEP_2)
	v_fma_f64 v[222:223], v[218:219], v[216:217], -v[222:223]
	v_mul_f64 v[218:219], v[218:219], v[224:225]
	v_add_f64 v[204:205], v[204:205], -v[222:223]
	s_delay_alu instid0(VALU_DEP_2) | instskip(NEXT) | instid1(VALU_DEP_1)
	v_fma_f64 v[218:219], v[220:221], v[216:217], v[218:219]
	v_add_f64 v[206:207], v[206:207], -v[218:219]
	ds_load_2addr_b64 v[218:221], v250 offset0:18 offset1:19
	s_waitcnt lgkmcnt(0)
	v_mul_f64 v[222:223], v[220:221], v[224:225]
	s_delay_alu instid0(VALU_DEP_1) | instskip(SKIP_1) | instid1(VALU_DEP_2)
	v_fma_f64 v[222:223], v[218:219], v[216:217], -v[222:223]
	v_mul_f64 v[218:219], v[218:219], v[224:225]
	v_add_f64 v[200:201], v[200:201], -v[222:223]
	s_delay_alu instid0(VALU_DEP_2) | instskip(NEXT) | instid1(VALU_DEP_1)
	v_fma_f64 v[218:219], v[220:221], v[216:217], v[218:219]
	v_add_f64 v[202:203], v[202:203], -v[218:219]
	ds_load_2addr_b64 v[218:221], v250 offset0:20 offset1:21
	;; [unrolled: 10-line block ×51, first 2 shown]
	s_waitcnt lgkmcnt(0)
	v_mul_f64 v[222:223], v[220:221], v[224:225]
	s_delay_alu instid0(VALU_DEP_1) | instskip(SKIP_1) | instid1(VALU_DEP_2)
	v_fma_f64 v[222:223], v[218:219], v[216:217], -v[222:223]
	v_mul_f64 v[218:219], v[218:219], v[224:225]
	v_add_f64 v[0:1], v[0:1], -v[222:223]
	s_delay_alu instid0(VALU_DEP_2)
	v_fma_f64 v[218:219], v[220:221], v[216:217], v[218:219]
	v_dual_mov_b32 v223, v217 :: v_dual_mov_b32 v222, v216
	s_clause 0x1
	scratch_store_b128 off, v[211:214], off
	scratch_store_b128 off, v[222:225], off offset:80
	v_add_f64 v[2:3], v[2:3], -v[218:219]
.LBB119_28:
	s_or_b32 exec_lo, exec_lo, s3
	s_delay_alu instid0(SALU_CYCLE_1)
	s_mov_b32 s4, exec_lo
	s_waitcnt_vscnt null, 0x0
	s_barrier
	buffer_gl0_inv
	v_cmpx_eq_u32_e32 3, v251
	s_cbranch_execz .LBB119_35
; %bb.29:
	scratch_load_b128 v[211:214], off, off offset:64 ; 16-byte Folded Reload
	s_waitcnt vmcnt(0)
	ds_store_2addr_b64 v248, v[211:212], v[213:214] offset1:1
	scratch_load_b128 v[211:214], off, off offset:48 ; 16-byte Folded Reload
	s_waitcnt vmcnt(0)
	ds_store_2addr_b64 v250, v[211:212], v[213:214] offset0:8 offset1:9
	scratch_load_b128 v[211:214], off, off offset:32 ; 16-byte Folded Reload
	s_waitcnt vmcnt(0)
	ds_store_2addr_b64 v250, v[211:212], v[213:214] offset0:10 offset1:11
	;; [unrolled: 3-line block ×3, first 2 shown]
	scratch_load_b128 v[211:214], off, off  ; 16-byte Folded Reload
	s_waitcnt vmcnt(0)
	ds_store_2addr_b64 v250, v[211:212], v[213:214] offset0:14 offset1:15
	ds_store_2addr_b64 v250, v[204:205], v[206:207] offset0:16 offset1:17
	;; [unrolled: 1-line block ×53, first 2 shown]
	ds_load_2addr_b64 v[216:219], v248 offset1:1
	s_waitcnt lgkmcnt(0)
	v_cmp_neq_f64_e32 vcc_lo, 0, v[216:217]
	v_cmp_neq_f64_e64 s3, 0, v[218:219]
	s_delay_alu instid0(VALU_DEP_1) | instskip(NEXT) | instid1(SALU_CYCLE_1)
	s_or_b32 s3, vcc_lo, s3
	s_and_b32 exec_lo, exec_lo, s3
	s_cbranch_execz .LBB119_35
; %bb.30:
	v_cmp_gt_f64_e32 vcc_lo, 0, v[216:217]
	v_xor_b32_e32 v212, 0x80000000, v217
	s_mov_b32 s3, exec_lo
                                        ; implicit-def: $vgpr224_vgpr225
	s_delay_alu instid0(VALU_DEP_1) | instskip(SKIP_3) | instid1(VALU_DEP_1)
	v_cndmask_b32_e32 v221, v217, v212, vcc_lo
	v_cndmask_b32_e32 v220, v216, v216, vcc_lo
	v_cmp_gt_f64_e32 vcc_lo, 0, v[218:219]
	v_xor_b32_e32 v212, 0x80000000, v219
	v_dual_cndmask_b32 v222, v218, v218 :: v_dual_cndmask_b32 v223, v219, v212
	s_delay_alu instid0(VALU_DEP_1)
	v_cmpx_ngt_f64_e32 v[220:221], v[222:223]
	s_xor_b32 s3, exec_lo, s3
                                        ; implicit-def: $vgpr220_vgpr221_vgpr222_vgpr223
	s_cbranch_execz .LBB119_32
; %bb.31:
	v_div_scale_f64 v[220:221], null, v[218:219], v[218:219], v[216:217]
	v_div_scale_f64 v[226:227], vcc_lo, v[216:217], v[218:219], v[216:217]
	s_delay_alu instid0(VALU_DEP_2) | instskip(SKIP_2) | instid1(VALU_DEP_1)
	v_rcp_f64_e32 v[222:223], v[220:221]
	s_waitcnt_depctr 0xfff
	v_fma_f64 v[224:225], -v[220:221], v[222:223], 1.0
	v_fma_f64 v[222:223], v[222:223], v[224:225], v[222:223]
	s_delay_alu instid0(VALU_DEP_1) | instskip(NEXT) | instid1(VALU_DEP_1)
	v_fma_f64 v[224:225], -v[220:221], v[222:223], 1.0
	v_fma_f64 v[222:223], v[222:223], v[224:225], v[222:223]
	s_delay_alu instid0(VALU_DEP_1) | instskip(NEXT) | instid1(VALU_DEP_1)
	v_mul_f64 v[224:225], v[226:227], v[222:223]
	v_fma_f64 v[220:221], -v[220:221], v[224:225], v[226:227]
	s_delay_alu instid0(VALU_DEP_1) | instskip(NEXT) | instid1(VALU_DEP_1)
	v_div_fmas_f64 v[220:221], v[220:221], v[222:223], v[224:225]
	v_div_fixup_f64 v[220:221], v[220:221], v[218:219], v[216:217]
	s_delay_alu instid0(VALU_DEP_1) | instskip(NEXT) | instid1(VALU_DEP_1)
	v_fma_f64 v[216:217], v[216:217], v[220:221], v[218:219]
	v_div_scale_f64 v[218:219], null, v[216:217], v[216:217], 1.0
	s_delay_alu instid0(VALU_DEP_1) | instskip(SKIP_2) | instid1(VALU_DEP_1)
	v_rcp_f64_e32 v[222:223], v[218:219]
	s_waitcnt_depctr 0xfff
	v_fma_f64 v[224:225], -v[218:219], v[222:223], 1.0
	v_fma_f64 v[222:223], v[222:223], v[224:225], v[222:223]
	s_delay_alu instid0(VALU_DEP_1) | instskip(NEXT) | instid1(VALU_DEP_1)
	v_fma_f64 v[224:225], -v[218:219], v[222:223], 1.0
	v_fma_f64 v[222:223], v[222:223], v[224:225], v[222:223]
	v_div_scale_f64 v[224:225], vcc_lo, 1.0, v[216:217], 1.0
	s_delay_alu instid0(VALU_DEP_1) | instskip(NEXT) | instid1(VALU_DEP_1)
	v_mul_f64 v[226:227], v[224:225], v[222:223]
	v_fma_f64 v[218:219], -v[218:219], v[226:227], v[224:225]
	s_delay_alu instid0(VALU_DEP_1) | instskip(NEXT) | instid1(VALU_DEP_1)
	v_div_fmas_f64 v[218:219], v[218:219], v[222:223], v[226:227]
	v_div_fixup_f64 v[222:223], v[218:219], v[216:217], 1.0
                                        ; implicit-def: $vgpr216_vgpr217
	s_delay_alu instid0(VALU_DEP_1)
	v_mul_f64 v[224:225], v[220:221], v[222:223]
	v_xor_b32_e32 v223, 0x80000000, v223
.LBB119_32:
	s_and_not1_saveexec_b32 s3, s3
	s_cbranch_execz .LBB119_34
; %bb.33:
	v_div_scale_f64 v[220:221], null, v[216:217], v[216:217], v[218:219]
	v_div_scale_f64 v[226:227], vcc_lo, v[218:219], v[216:217], v[218:219]
	s_delay_alu instid0(VALU_DEP_2) | instskip(SKIP_2) | instid1(VALU_DEP_1)
	v_rcp_f64_e32 v[222:223], v[220:221]
	s_waitcnt_depctr 0xfff
	v_fma_f64 v[224:225], -v[220:221], v[222:223], 1.0
	v_fma_f64 v[222:223], v[222:223], v[224:225], v[222:223]
	s_delay_alu instid0(VALU_DEP_1) | instskip(NEXT) | instid1(VALU_DEP_1)
	v_fma_f64 v[224:225], -v[220:221], v[222:223], 1.0
	v_fma_f64 v[222:223], v[222:223], v[224:225], v[222:223]
	s_delay_alu instid0(VALU_DEP_1) | instskip(NEXT) | instid1(VALU_DEP_1)
	v_mul_f64 v[224:225], v[226:227], v[222:223]
	v_fma_f64 v[220:221], -v[220:221], v[224:225], v[226:227]
	s_delay_alu instid0(VALU_DEP_1) | instskip(NEXT) | instid1(VALU_DEP_1)
	v_div_fmas_f64 v[220:221], v[220:221], v[222:223], v[224:225]
	v_div_fixup_f64 v[220:221], v[220:221], v[216:217], v[218:219]
	s_delay_alu instid0(VALU_DEP_1) | instskip(NEXT) | instid1(VALU_DEP_1)
	v_fma_f64 v[216:217], v[218:219], v[220:221], v[216:217]
	v_div_scale_f64 v[218:219], null, v[216:217], v[216:217], 1.0
	s_delay_alu instid0(VALU_DEP_1) | instskip(SKIP_2) | instid1(VALU_DEP_1)
	v_rcp_f64_e32 v[222:223], v[218:219]
	s_waitcnt_depctr 0xfff
	v_fma_f64 v[224:225], -v[218:219], v[222:223], 1.0
	v_fma_f64 v[222:223], v[222:223], v[224:225], v[222:223]
	s_delay_alu instid0(VALU_DEP_1) | instskip(NEXT) | instid1(VALU_DEP_1)
	v_fma_f64 v[224:225], -v[218:219], v[222:223], 1.0
	v_fma_f64 v[222:223], v[222:223], v[224:225], v[222:223]
	v_div_scale_f64 v[224:225], vcc_lo, 1.0, v[216:217], 1.0
	s_delay_alu instid0(VALU_DEP_1) | instskip(NEXT) | instid1(VALU_DEP_1)
	v_mul_f64 v[226:227], v[224:225], v[222:223]
	v_fma_f64 v[218:219], -v[218:219], v[226:227], v[224:225]
	s_delay_alu instid0(VALU_DEP_1) | instskip(NEXT) | instid1(VALU_DEP_1)
	v_div_fmas_f64 v[218:219], v[218:219], v[222:223], v[226:227]
	v_div_fixup_f64 v[224:225], v[218:219], v[216:217], 1.0
	s_delay_alu instid0(VALU_DEP_1)
	v_mul_f64 v[222:223], v[220:221], -v[224:225]
.LBB119_34:
	s_or_b32 exec_lo, exec_lo, s3
	ds_store_2addr_b64 v248, v[224:225], v[222:223] offset1:1
.LBB119_35:
	s_or_b32 exec_lo, exec_lo, s4
	s_waitcnt lgkmcnt(0)
	s_barrier
	buffer_gl0_inv
	ds_load_2addr_b64 v[211:214], v248 offset1:1
	s_mov_b32 s3, exec_lo
	s_waitcnt lgkmcnt(0)
	scratch_store_b128 off, v[211:214], off offset:648 ; 16-byte Folded Spill
	v_cmpx_lt_u32_e32 3, v251
	s_cbranch_execz .LBB119_37
; %bb.36:
	s_clause 0x1
	scratch_load_b128 v[222:225], off, off offset:64
	scratch_load_b128 v[211:214], off, off offset:648
	s_waitcnt vmcnt(0)
	v_mul_f64 v[216:217], v[213:214], v[224:225]
	v_mul_f64 v[218:219], v[211:212], v[224:225]
	s_delay_alu instid0(VALU_DEP_2) | instskip(NEXT) | instid1(VALU_DEP_2)
	v_fma_f64 v[216:217], v[211:212], v[222:223], -v[216:217]
	v_fma_f64 v[224:225], v[213:214], v[222:223], v[218:219]
	scratch_load_b128 v[211:214], off, off offset:48 ; 16-byte Folded Reload
	ds_load_2addr_b64 v[218:221], v250 offset0:8 offset1:9
	s_waitcnt lgkmcnt(0)
	v_mul_f64 v[222:223], v[220:221], v[224:225]
	s_delay_alu instid0(VALU_DEP_1) | instskip(SKIP_1) | instid1(VALU_DEP_1)
	v_fma_f64 v[222:223], v[218:219], v[216:217], -v[222:223]
	v_mul_f64 v[218:219], v[218:219], v[224:225]
	v_fma_f64 v[218:219], v[220:221], v[216:217], v[218:219]
	s_waitcnt vmcnt(0)
	s_delay_alu instid0(VALU_DEP_3) | instskip(NEXT) | instid1(VALU_DEP_2)
	v_add_f64 v[211:212], v[211:212], -v[222:223]
	v_add_f64 v[213:214], v[213:214], -v[218:219]
	ds_load_2addr_b64 v[218:221], v250 offset0:10 offset1:11
	s_waitcnt lgkmcnt(0)
	v_mul_f64 v[222:223], v[220:221], v[224:225]
	scratch_store_b128 off, v[211:214], off offset:48 ; 16-byte Folded Spill
	scratch_load_b128 v[211:214], off, off offset:32 ; 16-byte Folded Reload
	v_fma_f64 v[222:223], v[218:219], v[216:217], -v[222:223]
	v_mul_f64 v[218:219], v[218:219], v[224:225]
	s_delay_alu instid0(VALU_DEP_1) | instskip(SKIP_1) | instid1(VALU_DEP_3)
	v_fma_f64 v[218:219], v[220:221], v[216:217], v[218:219]
	s_waitcnt vmcnt(0)
	v_add_f64 v[211:212], v[211:212], -v[222:223]
	s_delay_alu instid0(VALU_DEP_2)
	v_add_f64 v[213:214], v[213:214], -v[218:219]
	ds_load_2addr_b64 v[218:221], v250 offset0:12 offset1:13
	s_waitcnt lgkmcnt(0)
	v_mul_f64 v[222:223], v[220:221], v[224:225]
	scratch_store_b128 off, v[211:214], off offset:32 ; 16-byte Folded Spill
	scratch_load_b128 v[211:214], off, off offset:16 ; 16-byte Folded Reload
	v_fma_f64 v[222:223], v[218:219], v[216:217], -v[222:223]
	v_mul_f64 v[218:219], v[218:219], v[224:225]
	s_delay_alu instid0(VALU_DEP_1) | instskip(SKIP_1) | instid1(VALU_DEP_3)
	v_fma_f64 v[218:219], v[220:221], v[216:217], v[218:219]
	s_waitcnt vmcnt(0)
	v_add_f64 v[211:212], v[211:212], -v[222:223]
	s_delay_alu instid0(VALU_DEP_2)
	v_add_f64 v[213:214], v[213:214], -v[218:219]
	ds_load_2addr_b64 v[218:221], v250 offset0:14 offset1:15
	s_waitcnt lgkmcnt(0)
	v_mul_f64 v[222:223], v[220:221], v[224:225]
	scratch_store_b128 off, v[211:214], off offset:16 ; 16-byte Folded Spill
	scratch_load_b128 v[211:214], off, off  ; 16-byte Folded Reload
	v_fma_f64 v[222:223], v[218:219], v[216:217], -v[222:223]
	v_mul_f64 v[218:219], v[218:219], v[224:225]
	s_delay_alu instid0(VALU_DEP_1) | instskip(SKIP_1) | instid1(VALU_DEP_1)
	v_fma_f64 v[218:219], v[220:221], v[216:217], v[218:219]
	s_waitcnt vmcnt(0)
	v_add_f64 v[213:214], v[213:214], -v[218:219]
	ds_load_2addr_b64 v[218:221], v250 offset0:16 offset1:17
	v_add_f64 v[211:212], v[211:212], -v[222:223]
	s_waitcnt lgkmcnt(0)
	v_mul_f64 v[222:223], v[220:221], v[224:225]
	s_delay_alu instid0(VALU_DEP_1) | instskip(SKIP_1) | instid1(VALU_DEP_2)
	v_fma_f64 v[222:223], v[218:219], v[216:217], -v[222:223]
	v_mul_f64 v[218:219], v[218:219], v[224:225]
	v_add_f64 v[204:205], v[204:205], -v[222:223]
	s_delay_alu instid0(VALU_DEP_2) | instskip(NEXT) | instid1(VALU_DEP_1)
	v_fma_f64 v[218:219], v[220:221], v[216:217], v[218:219]
	v_add_f64 v[206:207], v[206:207], -v[218:219]
	ds_load_2addr_b64 v[218:221], v250 offset0:18 offset1:19
	s_waitcnt lgkmcnt(0)
	v_mul_f64 v[222:223], v[220:221], v[224:225]
	s_delay_alu instid0(VALU_DEP_1) | instskip(SKIP_1) | instid1(VALU_DEP_2)
	v_fma_f64 v[222:223], v[218:219], v[216:217], -v[222:223]
	v_mul_f64 v[218:219], v[218:219], v[224:225]
	v_add_f64 v[200:201], v[200:201], -v[222:223]
	s_delay_alu instid0(VALU_DEP_2) | instskip(NEXT) | instid1(VALU_DEP_1)
	v_fma_f64 v[218:219], v[220:221], v[216:217], v[218:219]
	v_add_f64 v[202:203], v[202:203], -v[218:219]
	ds_load_2addr_b64 v[218:221], v250 offset0:20 offset1:21
	;; [unrolled: 10-line block ×51, first 2 shown]
	s_waitcnt lgkmcnt(0)
	v_mul_f64 v[222:223], v[220:221], v[224:225]
	s_delay_alu instid0(VALU_DEP_1) | instskip(SKIP_1) | instid1(VALU_DEP_2)
	v_fma_f64 v[222:223], v[218:219], v[216:217], -v[222:223]
	v_mul_f64 v[218:219], v[218:219], v[224:225]
	v_add_f64 v[0:1], v[0:1], -v[222:223]
	s_delay_alu instid0(VALU_DEP_2)
	v_fma_f64 v[218:219], v[220:221], v[216:217], v[218:219]
	v_dual_mov_b32 v223, v217 :: v_dual_mov_b32 v222, v216
	s_clause 0x1
	scratch_store_b128 off, v[211:214], off
	scratch_store_b128 off, v[222:225], off offset:64
	v_add_f64 v[2:3], v[2:3], -v[218:219]
.LBB119_37:
	s_or_b32 exec_lo, exec_lo, s3
	s_delay_alu instid0(SALU_CYCLE_1)
	s_mov_b32 s4, exec_lo
	s_waitcnt_vscnt null, 0x0
	s_barrier
	buffer_gl0_inv
	v_cmpx_eq_u32_e32 4, v251
	s_cbranch_execz .LBB119_44
; %bb.38:
	scratch_load_b128 v[211:214], off, off offset:48 ; 16-byte Folded Reload
	s_waitcnt vmcnt(0)
	ds_store_2addr_b64 v248, v[211:212], v[213:214] offset1:1
	scratch_load_b128 v[211:214], off, off offset:32 ; 16-byte Folded Reload
	s_waitcnt vmcnt(0)
	ds_store_2addr_b64 v250, v[211:212], v[213:214] offset0:10 offset1:11
	scratch_load_b128 v[211:214], off, off offset:16 ; 16-byte Folded Reload
	s_waitcnt vmcnt(0)
	ds_store_2addr_b64 v250, v[211:212], v[213:214] offset0:12 offset1:13
	scratch_load_b128 v[211:214], off, off  ; 16-byte Folded Reload
	s_waitcnt vmcnt(0)
	ds_store_2addr_b64 v250, v[211:212], v[213:214] offset0:14 offset1:15
	ds_store_2addr_b64 v250, v[204:205], v[206:207] offset0:16 offset1:17
	;; [unrolled: 1-line block ×53, first 2 shown]
	ds_load_2addr_b64 v[216:219], v248 offset1:1
	s_waitcnt lgkmcnt(0)
	v_cmp_neq_f64_e32 vcc_lo, 0, v[216:217]
	v_cmp_neq_f64_e64 s3, 0, v[218:219]
	s_delay_alu instid0(VALU_DEP_1) | instskip(NEXT) | instid1(SALU_CYCLE_1)
	s_or_b32 s3, vcc_lo, s3
	s_and_b32 exec_lo, exec_lo, s3
	s_cbranch_execz .LBB119_44
; %bb.39:
	v_cmp_gt_f64_e32 vcc_lo, 0, v[216:217]
	v_xor_b32_e32 v212, 0x80000000, v217
	s_mov_b32 s3, exec_lo
                                        ; implicit-def: $vgpr224_vgpr225
	s_delay_alu instid0(VALU_DEP_1) | instskip(SKIP_3) | instid1(VALU_DEP_1)
	v_cndmask_b32_e32 v221, v217, v212, vcc_lo
	v_cndmask_b32_e32 v220, v216, v216, vcc_lo
	v_cmp_gt_f64_e32 vcc_lo, 0, v[218:219]
	v_xor_b32_e32 v212, 0x80000000, v219
	v_dual_cndmask_b32 v222, v218, v218 :: v_dual_cndmask_b32 v223, v219, v212
	s_delay_alu instid0(VALU_DEP_1)
	v_cmpx_ngt_f64_e32 v[220:221], v[222:223]
	s_xor_b32 s3, exec_lo, s3
                                        ; implicit-def: $vgpr220_vgpr221_vgpr222_vgpr223
	s_cbranch_execz .LBB119_41
; %bb.40:
	v_div_scale_f64 v[220:221], null, v[218:219], v[218:219], v[216:217]
	v_div_scale_f64 v[226:227], vcc_lo, v[216:217], v[218:219], v[216:217]
	s_delay_alu instid0(VALU_DEP_2) | instskip(SKIP_2) | instid1(VALU_DEP_1)
	v_rcp_f64_e32 v[222:223], v[220:221]
	s_waitcnt_depctr 0xfff
	v_fma_f64 v[224:225], -v[220:221], v[222:223], 1.0
	v_fma_f64 v[222:223], v[222:223], v[224:225], v[222:223]
	s_delay_alu instid0(VALU_DEP_1) | instskip(NEXT) | instid1(VALU_DEP_1)
	v_fma_f64 v[224:225], -v[220:221], v[222:223], 1.0
	v_fma_f64 v[222:223], v[222:223], v[224:225], v[222:223]
	s_delay_alu instid0(VALU_DEP_1) | instskip(NEXT) | instid1(VALU_DEP_1)
	v_mul_f64 v[224:225], v[226:227], v[222:223]
	v_fma_f64 v[220:221], -v[220:221], v[224:225], v[226:227]
	s_delay_alu instid0(VALU_DEP_1) | instskip(NEXT) | instid1(VALU_DEP_1)
	v_div_fmas_f64 v[220:221], v[220:221], v[222:223], v[224:225]
	v_div_fixup_f64 v[220:221], v[220:221], v[218:219], v[216:217]
	s_delay_alu instid0(VALU_DEP_1) | instskip(NEXT) | instid1(VALU_DEP_1)
	v_fma_f64 v[216:217], v[216:217], v[220:221], v[218:219]
	v_div_scale_f64 v[218:219], null, v[216:217], v[216:217], 1.0
	s_delay_alu instid0(VALU_DEP_1) | instskip(SKIP_2) | instid1(VALU_DEP_1)
	v_rcp_f64_e32 v[222:223], v[218:219]
	s_waitcnt_depctr 0xfff
	v_fma_f64 v[224:225], -v[218:219], v[222:223], 1.0
	v_fma_f64 v[222:223], v[222:223], v[224:225], v[222:223]
	s_delay_alu instid0(VALU_DEP_1) | instskip(NEXT) | instid1(VALU_DEP_1)
	v_fma_f64 v[224:225], -v[218:219], v[222:223], 1.0
	v_fma_f64 v[222:223], v[222:223], v[224:225], v[222:223]
	v_div_scale_f64 v[224:225], vcc_lo, 1.0, v[216:217], 1.0
	s_delay_alu instid0(VALU_DEP_1) | instskip(NEXT) | instid1(VALU_DEP_1)
	v_mul_f64 v[226:227], v[224:225], v[222:223]
	v_fma_f64 v[218:219], -v[218:219], v[226:227], v[224:225]
	s_delay_alu instid0(VALU_DEP_1) | instskip(NEXT) | instid1(VALU_DEP_1)
	v_div_fmas_f64 v[218:219], v[218:219], v[222:223], v[226:227]
	v_div_fixup_f64 v[222:223], v[218:219], v[216:217], 1.0
                                        ; implicit-def: $vgpr216_vgpr217
	s_delay_alu instid0(VALU_DEP_1)
	v_mul_f64 v[224:225], v[220:221], v[222:223]
	v_xor_b32_e32 v223, 0x80000000, v223
.LBB119_41:
	s_and_not1_saveexec_b32 s3, s3
	s_cbranch_execz .LBB119_43
; %bb.42:
	v_div_scale_f64 v[220:221], null, v[216:217], v[216:217], v[218:219]
	v_div_scale_f64 v[226:227], vcc_lo, v[218:219], v[216:217], v[218:219]
	s_delay_alu instid0(VALU_DEP_2) | instskip(SKIP_2) | instid1(VALU_DEP_1)
	v_rcp_f64_e32 v[222:223], v[220:221]
	s_waitcnt_depctr 0xfff
	v_fma_f64 v[224:225], -v[220:221], v[222:223], 1.0
	v_fma_f64 v[222:223], v[222:223], v[224:225], v[222:223]
	s_delay_alu instid0(VALU_DEP_1) | instskip(NEXT) | instid1(VALU_DEP_1)
	v_fma_f64 v[224:225], -v[220:221], v[222:223], 1.0
	v_fma_f64 v[222:223], v[222:223], v[224:225], v[222:223]
	s_delay_alu instid0(VALU_DEP_1) | instskip(NEXT) | instid1(VALU_DEP_1)
	v_mul_f64 v[224:225], v[226:227], v[222:223]
	v_fma_f64 v[220:221], -v[220:221], v[224:225], v[226:227]
	s_delay_alu instid0(VALU_DEP_1) | instskip(NEXT) | instid1(VALU_DEP_1)
	v_div_fmas_f64 v[220:221], v[220:221], v[222:223], v[224:225]
	v_div_fixup_f64 v[220:221], v[220:221], v[216:217], v[218:219]
	s_delay_alu instid0(VALU_DEP_1) | instskip(NEXT) | instid1(VALU_DEP_1)
	v_fma_f64 v[216:217], v[218:219], v[220:221], v[216:217]
	v_div_scale_f64 v[218:219], null, v[216:217], v[216:217], 1.0
	s_delay_alu instid0(VALU_DEP_1) | instskip(SKIP_2) | instid1(VALU_DEP_1)
	v_rcp_f64_e32 v[222:223], v[218:219]
	s_waitcnt_depctr 0xfff
	v_fma_f64 v[224:225], -v[218:219], v[222:223], 1.0
	v_fma_f64 v[222:223], v[222:223], v[224:225], v[222:223]
	s_delay_alu instid0(VALU_DEP_1) | instskip(NEXT) | instid1(VALU_DEP_1)
	v_fma_f64 v[224:225], -v[218:219], v[222:223], 1.0
	v_fma_f64 v[222:223], v[222:223], v[224:225], v[222:223]
	v_div_scale_f64 v[224:225], vcc_lo, 1.0, v[216:217], 1.0
	s_delay_alu instid0(VALU_DEP_1) | instskip(NEXT) | instid1(VALU_DEP_1)
	v_mul_f64 v[226:227], v[224:225], v[222:223]
	v_fma_f64 v[218:219], -v[218:219], v[226:227], v[224:225]
	s_delay_alu instid0(VALU_DEP_1) | instskip(NEXT) | instid1(VALU_DEP_1)
	v_div_fmas_f64 v[218:219], v[218:219], v[222:223], v[226:227]
	v_div_fixup_f64 v[224:225], v[218:219], v[216:217], 1.0
	s_delay_alu instid0(VALU_DEP_1)
	v_mul_f64 v[222:223], v[220:221], -v[224:225]
.LBB119_43:
	s_or_b32 exec_lo, exec_lo, s3
	ds_store_2addr_b64 v248, v[224:225], v[222:223] offset1:1
.LBB119_44:
	s_or_b32 exec_lo, exec_lo, s4
	s_waitcnt lgkmcnt(0)
	s_barrier
	buffer_gl0_inv
	ds_load_2addr_b64 v[211:214], v248 offset1:1
	s_mov_b32 s3, exec_lo
	s_waitcnt lgkmcnt(0)
	scratch_store_b128 off, v[211:214], off offset:664 ; 16-byte Folded Spill
	v_cmpx_lt_u32_e32 4, v251
	s_cbranch_execz .LBB119_46
; %bb.45:
	s_clause 0x1
	scratch_load_b128 v[222:225], off, off offset:48
	scratch_load_b128 v[211:214], off, off offset:664
	s_waitcnt vmcnt(0)
	v_mul_f64 v[216:217], v[213:214], v[224:225]
	v_mul_f64 v[218:219], v[211:212], v[224:225]
	s_delay_alu instid0(VALU_DEP_2) | instskip(NEXT) | instid1(VALU_DEP_2)
	v_fma_f64 v[216:217], v[211:212], v[222:223], -v[216:217]
	v_fma_f64 v[224:225], v[213:214], v[222:223], v[218:219]
	scratch_load_b128 v[211:214], off, off offset:32 ; 16-byte Folded Reload
	ds_load_2addr_b64 v[218:221], v250 offset0:10 offset1:11
	s_waitcnt lgkmcnt(0)
	v_mul_f64 v[222:223], v[220:221], v[224:225]
	s_delay_alu instid0(VALU_DEP_1) | instskip(SKIP_1) | instid1(VALU_DEP_1)
	v_fma_f64 v[222:223], v[218:219], v[216:217], -v[222:223]
	v_mul_f64 v[218:219], v[218:219], v[224:225]
	v_fma_f64 v[218:219], v[220:221], v[216:217], v[218:219]
	s_waitcnt vmcnt(0)
	s_delay_alu instid0(VALU_DEP_3) | instskip(NEXT) | instid1(VALU_DEP_2)
	v_add_f64 v[211:212], v[211:212], -v[222:223]
	v_add_f64 v[213:214], v[213:214], -v[218:219]
	ds_load_2addr_b64 v[218:221], v250 offset0:12 offset1:13
	s_waitcnt lgkmcnt(0)
	v_mul_f64 v[222:223], v[220:221], v[224:225]
	scratch_store_b128 off, v[211:214], off offset:32 ; 16-byte Folded Spill
	scratch_load_b128 v[211:214], off, off offset:16 ; 16-byte Folded Reload
	v_fma_f64 v[222:223], v[218:219], v[216:217], -v[222:223]
	v_mul_f64 v[218:219], v[218:219], v[224:225]
	s_delay_alu instid0(VALU_DEP_1) | instskip(SKIP_1) | instid1(VALU_DEP_3)
	v_fma_f64 v[218:219], v[220:221], v[216:217], v[218:219]
	s_waitcnt vmcnt(0)
	v_add_f64 v[211:212], v[211:212], -v[222:223]
	s_delay_alu instid0(VALU_DEP_2)
	v_add_f64 v[213:214], v[213:214], -v[218:219]
	ds_load_2addr_b64 v[218:221], v250 offset0:14 offset1:15
	s_waitcnt lgkmcnt(0)
	v_mul_f64 v[222:223], v[220:221], v[224:225]
	scratch_store_b128 off, v[211:214], off offset:16 ; 16-byte Folded Spill
	scratch_load_b128 v[211:214], off, off  ; 16-byte Folded Reload
	v_fma_f64 v[222:223], v[218:219], v[216:217], -v[222:223]
	v_mul_f64 v[218:219], v[218:219], v[224:225]
	s_delay_alu instid0(VALU_DEP_1) | instskip(SKIP_1) | instid1(VALU_DEP_1)
	v_fma_f64 v[218:219], v[220:221], v[216:217], v[218:219]
	s_waitcnt vmcnt(0)
	v_add_f64 v[213:214], v[213:214], -v[218:219]
	ds_load_2addr_b64 v[218:221], v250 offset0:16 offset1:17
	v_add_f64 v[211:212], v[211:212], -v[222:223]
	s_waitcnt lgkmcnt(0)
	v_mul_f64 v[222:223], v[220:221], v[224:225]
	s_delay_alu instid0(VALU_DEP_1) | instskip(SKIP_1) | instid1(VALU_DEP_2)
	v_fma_f64 v[222:223], v[218:219], v[216:217], -v[222:223]
	v_mul_f64 v[218:219], v[218:219], v[224:225]
	v_add_f64 v[204:205], v[204:205], -v[222:223]
	s_delay_alu instid0(VALU_DEP_2) | instskip(NEXT) | instid1(VALU_DEP_1)
	v_fma_f64 v[218:219], v[220:221], v[216:217], v[218:219]
	v_add_f64 v[206:207], v[206:207], -v[218:219]
	ds_load_2addr_b64 v[218:221], v250 offset0:18 offset1:19
	s_waitcnt lgkmcnt(0)
	v_mul_f64 v[222:223], v[220:221], v[224:225]
	s_delay_alu instid0(VALU_DEP_1) | instskip(SKIP_1) | instid1(VALU_DEP_2)
	v_fma_f64 v[222:223], v[218:219], v[216:217], -v[222:223]
	v_mul_f64 v[218:219], v[218:219], v[224:225]
	v_add_f64 v[200:201], v[200:201], -v[222:223]
	s_delay_alu instid0(VALU_DEP_2) | instskip(NEXT) | instid1(VALU_DEP_1)
	v_fma_f64 v[218:219], v[220:221], v[216:217], v[218:219]
	v_add_f64 v[202:203], v[202:203], -v[218:219]
	ds_load_2addr_b64 v[218:221], v250 offset0:20 offset1:21
	;; [unrolled: 10-line block ×51, first 2 shown]
	s_waitcnt lgkmcnt(0)
	v_mul_f64 v[222:223], v[220:221], v[224:225]
	s_delay_alu instid0(VALU_DEP_1) | instskip(SKIP_1) | instid1(VALU_DEP_2)
	v_fma_f64 v[222:223], v[218:219], v[216:217], -v[222:223]
	v_mul_f64 v[218:219], v[218:219], v[224:225]
	v_add_f64 v[0:1], v[0:1], -v[222:223]
	s_delay_alu instid0(VALU_DEP_2)
	v_fma_f64 v[218:219], v[220:221], v[216:217], v[218:219]
	v_dual_mov_b32 v223, v217 :: v_dual_mov_b32 v222, v216
	s_clause 0x1
	scratch_store_b128 off, v[211:214], off
	scratch_store_b128 off, v[222:225], off offset:48
	v_add_f64 v[2:3], v[2:3], -v[218:219]
.LBB119_46:
	s_or_b32 exec_lo, exec_lo, s3
	s_delay_alu instid0(SALU_CYCLE_1)
	s_mov_b32 s4, exec_lo
	s_waitcnt_vscnt null, 0x0
	s_barrier
	buffer_gl0_inv
	v_cmpx_eq_u32_e32 5, v251
	s_cbranch_execz .LBB119_53
; %bb.47:
	scratch_load_b128 v[211:214], off, off offset:32 ; 16-byte Folded Reload
	s_waitcnt vmcnt(0)
	ds_store_2addr_b64 v248, v[211:212], v[213:214] offset1:1
	scratch_load_b128 v[211:214], off, off offset:16 ; 16-byte Folded Reload
	s_waitcnt vmcnt(0)
	ds_store_2addr_b64 v250, v[211:212], v[213:214] offset0:12 offset1:13
	scratch_load_b128 v[211:214], off, off  ; 16-byte Folded Reload
	s_waitcnt vmcnt(0)
	ds_store_2addr_b64 v250, v[211:212], v[213:214] offset0:14 offset1:15
	ds_store_2addr_b64 v250, v[204:205], v[206:207] offset0:16 offset1:17
	;; [unrolled: 1-line block ×53, first 2 shown]
	ds_load_2addr_b64 v[216:219], v248 offset1:1
	s_waitcnt lgkmcnt(0)
	v_cmp_neq_f64_e32 vcc_lo, 0, v[216:217]
	v_cmp_neq_f64_e64 s3, 0, v[218:219]
	s_delay_alu instid0(VALU_DEP_1) | instskip(NEXT) | instid1(SALU_CYCLE_1)
	s_or_b32 s3, vcc_lo, s3
	s_and_b32 exec_lo, exec_lo, s3
	s_cbranch_execz .LBB119_53
; %bb.48:
	v_cmp_gt_f64_e32 vcc_lo, 0, v[216:217]
	v_xor_b32_e32 v212, 0x80000000, v217
	s_mov_b32 s3, exec_lo
                                        ; implicit-def: $vgpr224_vgpr225
	s_delay_alu instid0(VALU_DEP_1) | instskip(SKIP_3) | instid1(VALU_DEP_1)
	v_cndmask_b32_e32 v221, v217, v212, vcc_lo
	v_cndmask_b32_e32 v220, v216, v216, vcc_lo
	v_cmp_gt_f64_e32 vcc_lo, 0, v[218:219]
	v_xor_b32_e32 v212, 0x80000000, v219
	v_dual_cndmask_b32 v222, v218, v218 :: v_dual_cndmask_b32 v223, v219, v212
	s_delay_alu instid0(VALU_DEP_1)
	v_cmpx_ngt_f64_e32 v[220:221], v[222:223]
	s_xor_b32 s3, exec_lo, s3
                                        ; implicit-def: $vgpr220_vgpr221_vgpr222_vgpr223
	s_cbranch_execz .LBB119_50
; %bb.49:
	v_div_scale_f64 v[220:221], null, v[218:219], v[218:219], v[216:217]
	v_div_scale_f64 v[226:227], vcc_lo, v[216:217], v[218:219], v[216:217]
	s_delay_alu instid0(VALU_DEP_2) | instskip(SKIP_2) | instid1(VALU_DEP_1)
	v_rcp_f64_e32 v[222:223], v[220:221]
	s_waitcnt_depctr 0xfff
	v_fma_f64 v[224:225], -v[220:221], v[222:223], 1.0
	v_fma_f64 v[222:223], v[222:223], v[224:225], v[222:223]
	s_delay_alu instid0(VALU_DEP_1) | instskip(NEXT) | instid1(VALU_DEP_1)
	v_fma_f64 v[224:225], -v[220:221], v[222:223], 1.0
	v_fma_f64 v[222:223], v[222:223], v[224:225], v[222:223]
	s_delay_alu instid0(VALU_DEP_1) | instskip(NEXT) | instid1(VALU_DEP_1)
	v_mul_f64 v[224:225], v[226:227], v[222:223]
	v_fma_f64 v[220:221], -v[220:221], v[224:225], v[226:227]
	s_delay_alu instid0(VALU_DEP_1) | instskip(NEXT) | instid1(VALU_DEP_1)
	v_div_fmas_f64 v[220:221], v[220:221], v[222:223], v[224:225]
	v_div_fixup_f64 v[220:221], v[220:221], v[218:219], v[216:217]
	s_delay_alu instid0(VALU_DEP_1) | instskip(NEXT) | instid1(VALU_DEP_1)
	v_fma_f64 v[216:217], v[216:217], v[220:221], v[218:219]
	v_div_scale_f64 v[218:219], null, v[216:217], v[216:217], 1.0
	s_delay_alu instid0(VALU_DEP_1) | instskip(SKIP_2) | instid1(VALU_DEP_1)
	v_rcp_f64_e32 v[222:223], v[218:219]
	s_waitcnt_depctr 0xfff
	v_fma_f64 v[224:225], -v[218:219], v[222:223], 1.0
	v_fma_f64 v[222:223], v[222:223], v[224:225], v[222:223]
	s_delay_alu instid0(VALU_DEP_1) | instskip(NEXT) | instid1(VALU_DEP_1)
	v_fma_f64 v[224:225], -v[218:219], v[222:223], 1.0
	v_fma_f64 v[222:223], v[222:223], v[224:225], v[222:223]
	v_div_scale_f64 v[224:225], vcc_lo, 1.0, v[216:217], 1.0
	s_delay_alu instid0(VALU_DEP_1) | instskip(NEXT) | instid1(VALU_DEP_1)
	v_mul_f64 v[226:227], v[224:225], v[222:223]
	v_fma_f64 v[218:219], -v[218:219], v[226:227], v[224:225]
	s_delay_alu instid0(VALU_DEP_1) | instskip(NEXT) | instid1(VALU_DEP_1)
	v_div_fmas_f64 v[218:219], v[218:219], v[222:223], v[226:227]
	v_div_fixup_f64 v[222:223], v[218:219], v[216:217], 1.0
                                        ; implicit-def: $vgpr216_vgpr217
	s_delay_alu instid0(VALU_DEP_1)
	v_mul_f64 v[224:225], v[220:221], v[222:223]
	v_xor_b32_e32 v223, 0x80000000, v223
.LBB119_50:
	s_and_not1_saveexec_b32 s3, s3
	s_cbranch_execz .LBB119_52
; %bb.51:
	v_div_scale_f64 v[220:221], null, v[216:217], v[216:217], v[218:219]
	v_div_scale_f64 v[226:227], vcc_lo, v[218:219], v[216:217], v[218:219]
	s_delay_alu instid0(VALU_DEP_2) | instskip(SKIP_2) | instid1(VALU_DEP_1)
	v_rcp_f64_e32 v[222:223], v[220:221]
	s_waitcnt_depctr 0xfff
	v_fma_f64 v[224:225], -v[220:221], v[222:223], 1.0
	v_fma_f64 v[222:223], v[222:223], v[224:225], v[222:223]
	s_delay_alu instid0(VALU_DEP_1) | instskip(NEXT) | instid1(VALU_DEP_1)
	v_fma_f64 v[224:225], -v[220:221], v[222:223], 1.0
	v_fma_f64 v[222:223], v[222:223], v[224:225], v[222:223]
	s_delay_alu instid0(VALU_DEP_1) | instskip(NEXT) | instid1(VALU_DEP_1)
	v_mul_f64 v[224:225], v[226:227], v[222:223]
	v_fma_f64 v[220:221], -v[220:221], v[224:225], v[226:227]
	s_delay_alu instid0(VALU_DEP_1) | instskip(NEXT) | instid1(VALU_DEP_1)
	v_div_fmas_f64 v[220:221], v[220:221], v[222:223], v[224:225]
	v_div_fixup_f64 v[220:221], v[220:221], v[216:217], v[218:219]
	s_delay_alu instid0(VALU_DEP_1) | instskip(NEXT) | instid1(VALU_DEP_1)
	v_fma_f64 v[216:217], v[218:219], v[220:221], v[216:217]
	v_div_scale_f64 v[218:219], null, v[216:217], v[216:217], 1.0
	s_delay_alu instid0(VALU_DEP_1) | instskip(SKIP_2) | instid1(VALU_DEP_1)
	v_rcp_f64_e32 v[222:223], v[218:219]
	s_waitcnt_depctr 0xfff
	v_fma_f64 v[224:225], -v[218:219], v[222:223], 1.0
	v_fma_f64 v[222:223], v[222:223], v[224:225], v[222:223]
	s_delay_alu instid0(VALU_DEP_1) | instskip(NEXT) | instid1(VALU_DEP_1)
	v_fma_f64 v[224:225], -v[218:219], v[222:223], 1.0
	v_fma_f64 v[222:223], v[222:223], v[224:225], v[222:223]
	v_div_scale_f64 v[224:225], vcc_lo, 1.0, v[216:217], 1.0
	s_delay_alu instid0(VALU_DEP_1) | instskip(NEXT) | instid1(VALU_DEP_1)
	v_mul_f64 v[226:227], v[224:225], v[222:223]
	v_fma_f64 v[218:219], -v[218:219], v[226:227], v[224:225]
	s_delay_alu instid0(VALU_DEP_1) | instskip(NEXT) | instid1(VALU_DEP_1)
	v_div_fmas_f64 v[218:219], v[218:219], v[222:223], v[226:227]
	v_div_fixup_f64 v[224:225], v[218:219], v[216:217], 1.0
	s_delay_alu instid0(VALU_DEP_1)
	v_mul_f64 v[222:223], v[220:221], -v[224:225]
.LBB119_52:
	s_or_b32 exec_lo, exec_lo, s3
	ds_store_2addr_b64 v248, v[224:225], v[222:223] offset1:1
.LBB119_53:
	s_or_b32 exec_lo, exec_lo, s4
	s_waitcnt lgkmcnt(0)
	s_barrier
	buffer_gl0_inv
	ds_load_2addr_b64 v[211:214], v248 offset1:1
	s_mov_b32 s3, exec_lo
	s_waitcnt lgkmcnt(0)
	scratch_store_b128 off, v[211:214], off offset:680 ; 16-byte Folded Spill
	v_cmpx_lt_u32_e32 5, v251
	s_cbranch_execz .LBB119_55
; %bb.54:
	s_clause 0x1
	scratch_load_b128 v[222:225], off, off offset:32
	scratch_load_b128 v[211:214], off, off offset:680
	s_waitcnt vmcnt(0)
	v_mul_f64 v[216:217], v[213:214], v[224:225]
	v_mul_f64 v[218:219], v[211:212], v[224:225]
	s_delay_alu instid0(VALU_DEP_2) | instskip(NEXT) | instid1(VALU_DEP_2)
	v_fma_f64 v[216:217], v[211:212], v[222:223], -v[216:217]
	v_fma_f64 v[224:225], v[213:214], v[222:223], v[218:219]
	scratch_load_b128 v[211:214], off, off offset:16 ; 16-byte Folded Reload
	ds_load_2addr_b64 v[218:221], v250 offset0:12 offset1:13
	s_waitcnt lgkmcnt(0)
	v_mul_f64 v[222:223], v[220:221], v[224:225]
	s_delay_alu instid0(VALU_DEP_1) | instskip(SKIP_1) | instid1(VALU_DEP_1)
	v_fma_f64 v[222:223], v[218:219], v[216:217], -v[222:223]
	v_mul_f64 v[218:219], v[218:219], v[224:225]
	v_fma_f64 v[218:219], v[220:221], v[216:217], v[218:219]
	s_waitcnt vmcnt(0)
	s_delay_alu instid0(VALU_DEP_3) | instskip(NEXT) | instid1(VALU_DEP_2)
	v_add_f64 v[211:212], v[211:212], -v[222:223]
	v_add_f64 v[213:214], v[213:214], -v[218:219]
	ds_load_2addr_b64 v[218:221], v250 offset0:14 offset1:15
	s_waitcnt lgkmcnt(0)
	v_mul_f64 v[222:223], v[220:221], v[224:225]
	scratch_store_b128 off, v[211:214], off offset:16 ; 16-byte Folded Spill
	scratch_load_b128 v[211:214], off, off  ; 16-byte Folded Reload
	v_fma_f64 v[222:223], v[218:219], v[216:217], -v[222:223]
	v_mul_f64 v[218:219], v[218:219], v[224:225]
	s_delay_alu instid0(VALU_DEP_1) | instskip(SKIP_1) | instid1(VALU_DEP_1)
	v_fma_f64 v[218:219], v[220:221], v[216:217], v[218:219]
	s_waitcnt vmcnt(0)
	v_add_f64 v[213:214], v[213:214], -v[218:219]
	ds_load_2addr_b64 v[218:221], v250 offset0:16 offset1:17
	v_add_f64 v[211:212], v[211:212], -v[222:223]
	s_waitcnt lgkmcnt(0)
	v_mul_f64 v[222:223], v[220:221], v[224:225]
	s_delay_alu instid0(VALU_DEP_1) | instskip(SKIP_1) | instid1(VALU_DEP_2)
	v_fma_f64 v[222:223], v[218:219], v[216:217], -v[222:223]
	v_mul_f64 v[218:219], v[218:219], v[224:225]
	v_add_f64 v[204:205], v[204:205], -v[222:223]
	s_delay_alu instid0(VALU_DEP_2) | instskip(NEXT) | instid1(VALU_DEP_1)
	v_fma_f64 v[218:219], v[220:221], v[216:217], v[218:219]
	v_add_f64 v[206:207], v[206:207], -v[218:219]
	ds_load_2addr_b64 v[218:221], v250 offset0:18 offset1:19
	s_waitcnt lgkmcnt(0)
	v_mul_f64 v[222:223], v[220:221], v[224:225]
	s_delay_alu instid0(VALU_DEP_1) | instskip(SKIP_1) | instid1(VALU_DEP_2)
	v_fma_f64 v[222:223], v[218:219], v[216:217], -v[222:223]
	v_mul_f64 v[218:219], v[218:219], v[224:225]
	v_add_f64 v[200:201], v[200:201], -v[222:223]
	s_delay_alu instid0(VALU_DEP_2) | instskip(NEXT) | instid1(VALU_DEP_1)
	v_fma_f64 v[218:219], v[220:221], v[216:217], v[218:219]
	v_add_f64 v[202:203], v[202:203], -v[218:219]
	ds_load_2addr_b64 v[218:221], v250 offset0:20 offset1:21
	;; [unrolled: 10-line block ×51, first 2 shown]
	s_waitcnt lgkmcnt(0)
	v_mul_f64 v[222:223], v[220:221], v[224:225]
	s_delay_alu instid0(VALU_DEP_1) | instskip(SKIP_1) | instid1(VALU_DEP_2)
	v_fma_f64 v[222:223], v[218:219], v[216:217], -v[222:223]
	v_mul_f64 v[218:219], v[218:219], v[224:225]
	v_add_f64 v[0:1], v[0:1], -v[222:223]
	s_delay_alu instid0(VALU_DEP_2)
	v_fma_f64 v[218:219], v[220:221], v[216:217], v[218:219]
	v_dual_mov_b32 v223, v217 :: v_dual_mov_b32 v222, v216
	s_clause 0x1
	scratch_store_b128 off, v[211:214], off
	scratch_store_b128 off, v[222:225], off offset:32
	v_add_f64 v[2:3], v[2:3], -v[218:219]
.LBB119_55:
	s_or_b32 exec_lo, exec_lo, s3
	s_delay_alu instid0(SALU_CYCLE_1)
	s_mov_b32 s4, exec_lo
	s_waitcnt_vscnt null, 0x0
	s_barrier
	buffer_gl0_inv
	v_cmpx_eq_u32_e32 6, v251
	s_cbranch_execz .LBB119_62
; %bb.56:
	scratch_load_b128 v[211:214], off, off offset:16 ; 16-byte Folded Reload
	s_waitcnt vmcnt(0)
	ds_store_2addr_b64 v248, v[211:212], v[213:214] offset1:1
	scratch_load_b128 v[211:214], off, off  ; 16-byte Folded Reload
	s_waitcnt vmcnt(0)
	ds_store_2addr_b64 v250, v[211:212], v[213:214] offset0:14 offset1:15
	ds_store_2addr_b64 v250, v[204:205], v[206:207] offset0:16 offset1:17
	ds_store_2addr_b64 v250, v[200:201], v[202:203] offset0:18 offset1:19
	ds_store_2addr_b64 v250, v[196:197], v[198:199] offset0:20 offset1:21
	ds_store_2addr_b64 v250, v[192:193], v[194:195] offset0:22 offset1:23
	ds_store_2addr_b64 v250, v[188:189], v[190:191] offset0:24 offset1:25
	ds_store_2addr_b64 v250, v[184:185], v[186:187] offset0:26 offset1:27
	ds_store_2addr_b64 v250, v[180:181], v[182:183] offset0:28 offset1:29
	ds_store_2addr_b64 v250, v[176:177], v[178:179] offset0:30 offset1:31
	ds_store_2addr_b64 v250, v[172:173], v[174:175] offset0:32 offset1:33
	ds_store_2addr_b64 v250, v[168:169], v[170:171] offset0:34 offset1:35
	ds_store_2addr_b64 v250, v[164:165], v[166:167] offset0:36 offset1:37
	ds_store_2addr_b64 v250, v[160:161], v[162:163] offset0:38 offset1:39
	ds_store_2addr_b64 v250, v[156:157], v[158:159] offset0:40 offset1:41
	ds_store_2addr_b64 v250, v[152:153], v[154:155] offset0:42 offset1:43
	ds_store_2addr_b64 v250, v[148:149], v[150:151] offset0:44 offset1:45
	ds_store_2addr_b64 v250, v[144:145], v[146:147] offset0:46 offset1:47
	ds_store_2addr_b64 v250, v[140:141], v[142:143] offset0:48 offset1:49
	ds_store_2addr_b64 v250, v[136:137], v[138:139] offset0:50 offset1:51
	ds_store_2addr_b64 v250, v[132:133], v[134:135] offset0:52 offset1:53
	ds_store_2addr_b64 v250, v[128:129], v[130:131] offset0:54 offset1:55
	ds_store_2addr_b64 v250, v[124:125], v[126:127] offset0:56 offset1:57
	ds_store_2addr_b64 v250, v[120:121], v[122:123] offset0:58 offset1:59
	ds_store_2addr_b64 v250, v[116:117], v[118:119] offset0:60 offset1:61
	ds_store_2addr_b64 v250, v[112:113], v[114:115] offset0:62 offset1:63
	ds_store_2addr_b64 v250, v[108:109], v[110:111] offset0:64 offset1:65
	ds_store_2addr_b64 v250, v[104:105], v[106:107] offset0:66 offset1:67
	ds_store_2addr_b64 v250, v[100:101], v[102:103] offset0:68 offset1:69
	ds_store_2addr_b64 v250, v[96:97], v[98:99] offset0:70 offset1:71
	ds_store_2addr_b64 v250, v[92:93], v[94:95] offset0:72 offset1:73
	ds_store_2addr_b64 v250, v[88:89], v[90:91] offset0:74 offset1:75
	ds_store_2addr_b64 v250, v[84:85], v[86:87] offset0:76 offset1:77
	ds_store_2addr_b64 v250, v[80:81], v[82:83] offset0:78 offset1:79
	ds_store_2addr_b64 v250, v[76:77], v[78:79] offset0:80 offset1:81
	ds_store_2addr_b64 v250, v[72:73], v[74:75] offset0:82 offset1:83
	ds_store_2addr_b64 v250, v[68:69], v[70:71] offset0:84 offset1:85
	ds_store_2addr_b64 v250, v[64:65], v[66:67] offset0:86 offset1:87
	ds_store_2addr_b64 v250, v[60:61], v[62:63] offset0:88 offset1:89
	ds_store_2addr_b64 v250, v[56:57], v[58:59] offset0:90 offset1:91
	ds_store_2addr_b64 v250, v[52:53], v[54:55] offset0:92 offset1:93
	ds_store_2addr_b64 v250, v[48:49], v[50:51] offset0:94 offset1:95
	ds_store_2addr_b64 v250, v[44:45], v[46:47] offset0:96 offset1:97
	ds_store_2addr_b64 v250, v[40:41], v[42:43] offset0:98 offset1:99
	ds_store_2addr_b64 v250, v[36:37], v[38:39] offset0:100 offset1:101
	ds_store_2addr_b64 v250, v[32:33], v[34:35] offset0:102 offset1:103
	ds_store_2addr_b64 v250, v[28:29], v[30:31] offset0:104 offset1:105
	ds_store_2addr_b64 v250, v[24:25], v[26:27] offset0:106 offset1:107
	ds_store_2addr_b64 v250, v[20:21], v[22:23] offset0:108 offset1:109
	ds_store_2addr_b64 v250, v[16:17], v[18:19] offset0:110 offset1:111
	ds_store_2addr_b64 v250, v[12:13], v[14:15] offset0:112 offset1:113
	ds_store_2addr_b64 v250, v[8:9], v[10:11] offset0:114 offset1:115
	ds_store_2addr_b64 v250, v[4:5], v[6:7] offset0:116 offset1:117
	ds_store_2addr_b64 v250, v[0:1], v[2:3] offset0:118 offset1:119
	ds_load_2addr_b64 v[216:219], v248 offset1:1
	s_waitcnt lgkmcnt(0)
	v_cmp_neq_f64_e32 vcc_lo, 0, v[216:217]
	v_cmp_neq_f64_e64 s3, 0, v[218:219]
	s_delay_alu instid0(VALU_DEP_1) | instskip(NEXT) | instid1(SALU_CYCLE_1)
	s_or_b32 s3, vcc_lo, s3
	s_and_b32 exec_lo, exec_lo, s3
	s_cbranch_execz .LBB119_62
; %bb.57:
	v_cmp_gt_f64_e32 vcc_lo, 0, v[216:217]
	v_xor_b32_e32 v212, 0x80000000, v217
	s_mov_b32 s3, exec_lo
                                        ; implicit-def: $vgpr224_vgpr225
	s_delay_alu instid0(VALU_DEP_1) | instskip(SKIP_3) | instid1(VALU_DEP_1)
	v_cndmask_b32_e32 v221, v217, v212, vcc_lo
	v_cndmask_b32_e32 v220, v216, v216, vcc_lo
	v_cmp_gt_f64_e32 vcc_lo, 0, v[218:219]
	v_xor_b32_e32 v212, 0x80000000, v219
	v_dual_cndmask_b32 v222, v218, v218 :: v_dual_cndmask_b32 v223, v219, v212
	s_delay_alu instid0(VALU_DEP_1)
	v_cmpx_ngt_f64_e32 v[220:221], v[222:223]
	s_xor_b32 s3, exec_lo, s3
                                        ; implicit-def: $vgpr220_vgpr221_vgpr222_vgpr223
	s_cbranch_execz .LBB119_59
; %bb.58:
	v_div_scale_f64 v[220:221], null, v[218:219], v[218:219], v[216:217]
	v_div_scale_f64 v[226:227], vcc_lo, v[216:217], v[218:219], v[216:217]
	s_delay_alu instid0(VALU_DEP_2) | instskip(SKIP_2) | instid1(VALU_DEP_1)
	v_rcp_f64_e32 v[222:223], v[220:221]
	s_waitcnt_depctr 0xfff
	v_fma_f64 v[224:225], -v[220:221], v[222:223], 1.0
	v_fma_f64 v[222:223], v[222:223], v[224:225], v[222:223]
	s_delay_alu instid0(VALU_DEP_1) | instskip(NEXT) | instid1(VALU_DEP_1)
	v_fma_f64 v[224:225], -v[220:221], v[222:223], 1.0
	v_fma_f64 v[222:223], v[222:223], v[224:225], v[222:223]
	s_delay_alu instid0(VALU_DEP_1) | instskip(NEXT) | instid1(VALU_DEP_1)
	v_mul_f64 v[224:225], v[226:227], v[222:223]
	v_fma_f64 v[220:221], -v[220:221], v[224:225], v[226:227]
	s_delay_alu instid0(VALU_DEP_1) | instskip(NEXT) | instid1(VALU_DEP_1)
	v_div_fmas_f64 v[220:221], v[220:221], v[222:223], v[224:225]
	v_div_fixup_f64 v[220:221], v[220:221], v[218:219], v[216:217]
	s_delay_alu instid0(VALU_DEP_1) | instskip(NEXT) | instid1(VALU_DEP_1)
	v_fma_f64 v[216:217], v[216:217], v[220:221], v[218:219]
	v_div_scale_f64 v[218:219], null, v[216:217], v[216:217], 1.0
	s_delay_alu instid0(VALU_DEP_1) | instskip(SKIP_2) | instid1(VALU_DEP_1)
	v_rcp_f64_e32 v[222:223], v[218:219]
	s_waitcnt_depctr 0xfff
	v_fma_f64 v[224:225], -v[218:219], v[222:223], 1.0
	v_fma_f64 v[222:223], v[222:223], v[224:225], v[222:223]
	s_delay_alu instid0(VALU_DEP_1) | instskip(NEXT) | instid1(VALU_DEP_1)
	v_fma_f64 v[224:225], -v[218:219], v[222:223], 1.0
	v_fma_f64 v[222:223], v[222:223], v[224:225], v[222:223]
	v_div_scale_f64 v[224:225], vcc_lo, 1.0, v[216:217], 1.0
	s_delay_alu instid0(VALU_DEP_1) | instskip(NEXT) | instid1(VALU_DEP_1)
	v_mul_f64 v[226:227], v[224:225], v[222:223]
	v_fma_f64 v[218:219], -v[218:219], v[226:227], v[224:225]
	s_delay_alu instid0(VALU_DEP_1) | instskip(NEXT) | instid1(VALU_DEP_1)
	v_div_fmas_f64 v[218:219], v[218:219], v[222:223], v[226:227]
	v_div_fixup_f64 v[222:223], v[218:219], v[216:217], 1.0
                                        ; implicit-def: $vgpr216_vgpr217
	s_delay_alu instid0(VALU_DEP_1)
	v_mul_f64 v[224:225], v[220:221], v[222:223]
	v_xor_b32_e32 v223, 0x80000000, v223
.LBB119_59:
	s_and_not1_saveexec_b32 s3, s3
	s_cbranch_execz .LBB119_61
; %bb.60:
	v_div_scale_f64 v[220:221], null, v[216:217], v[216:217], v[218:219]
	v_div_scale_f64 v[226:227], vcc_lo, v[218:219], v[216:217], v[218:219]
	s_delay_alu instid0(VALU_DEP_2) | instskip(SKIP_2) | instid1(VALU_DEP_1)
	v_rcp_f64_e32 v[222:223], v[220:221]
	s_waitcnt_depctr 0xfff
	v_fma_f64 v[224:225], -v[220:221], v[222:223], 1.0
	v_fma_f64 v[222:223], v[222:223], v[224:225], v[222:223]
	s_delay_alu instid0(VALU_DEP_1) | instskip(NEXT) | instid1(VALU_DEP_1)
	v_fma_f64 v[224:225], -v[220:221], v[222:223], 1.0
	v_fma_f64 v[222:223], v[222:223], v[224:225], v[222:223]
	s_delay_alu instid0(VALU_DEP_1) | instskip(NEXT) | instid1(VALU_DEP_1)
	v_mul_f64 v[224:225], v[226:227], v[222:223]
	v_fma_f64 v[220:221], -v[220:221], v[224:225], v[226:227]
	s_delay_alu instid0(VALU_DEP_1) | instskip(NEXT) | instid1(VALU_DEP_1)
	v_div_fmas_f64 v[220:221], v[220:221], v[222:223], v[224:225]
	v_div_fixup_f64 v[220:221], v[220:221], v[216:217], v[218:219]
	s_delay_alu instid0(VALU_DEP_1) | instskip(NEXT) | instid1(VALU_DEP_1)
	v_fma_f64 v[216:217], v[218:219], v[220:221], v[216:217]
	v_div_scale_f64 v[218:219], null, v[216:217], v[216:217], 1.0
	s_delay_alu instid0(VALU_DEP_1) | instskip(SKIP_2) | instid1(VALU_DEP_1)
	v_rcp_f64_e32 v[222:223], v[218:219]
	s_waitcnt_depctr 0xfff
	v_fma_f64 v[224:225], -v[218:219], v[222:223], 1.0
	v_fma_f64 v[222:223], v[222:223], v[224:225], v[222:223]
	s_delay_alu instid0(VALU_DEP_1) | instskip(NEXT) | instid1(VALU_DEP_1)
	v_fma_f64 v[224:225], -v[218:219], v[222:223], 1.0
	v_fma_f64 v[222:223], v[222:223], v[224:225], v[222:223]
	v_div_scale_f64 v[224:225], vcc_lo, 1.0, v[216:217], 1.0
	s_delay_alu instid0(VALU_DEP_1) | instskip(NEXT) | instid1(VALU_DEP_1)
	v_mul_f64 v[226:227], v[224:225], v[222:223]
	v_fma_f64 v[218:219], -v[218:219], v[226:227], v[224:225]
	s_delay_alu instid0(VALU_DEP_1) | instskip(NEXT) | instid1(VALU_DEP_1)
	v_div_fmas_f64 v[218:219], v[218:219], v[222:223], v[226:227]
	v_div_fixup_f64 v[224:225], v[218:219], v[216:217], 1.0
	s_delay_alu instid0(VALU_DEP_1)
	v_mul_f64 v[222:223], v[220:221], -v[224:225]
.LBB119_61:
	s_or_b32 exec_lo, exec_lo, s3
	ds_store_2addr_b64 v248, v[224:225], v[222:223] offset1:1
.LBB119_62:
	s_or_b32 exec_lo, exec_lo, s4
	s_waitcnt lgkmcnt(0)
	s_barrier
	buffer_gl0_inv
	ds_load_2addr_b64 v[211:214], v248 offset1:1
	s_mov_b32 s3, exec_lo
	s_waitcnt lgkmcnt(0)
	scratch_store_b128 off, v[211:214], off offset:696 ; 16-byte Folded Spill
	v_cmpx_lt_u32_e32 6, v251
	s_cbranch_execz .LBB119_64
; %bb.63:
	s_clause 0x1
	scratch_load_b128 v[212:215], off, off offset:16
	scratch_load_b128 v[218:221], off, off offset:696
	s_waitcnt vmcnt(0)
	v_mul_f64 v[216:217], v[220:221], v[214:215]
	v_mul_f64 v[214:215], v[218:219], v[214:215]
	s_delay_alu instid0(VALU_DEP_2) | instskip(NEXT) | instid1(VALU_DEP_2)
	v_fma_f64 v[216:217], v[218:219], v[212:213], -v[216:217]
	v_fma_f64 v[214:215], v[220:221], v[212:213], v[214:215]
	ds_load_2addr_b64 v[218:221], v250 offset0:14 offset1:15
	s_waitcnt lgkmcnt(0)
	v_mul_f64 v[212:213], v[220:221], v[214:215]
	s_delay_alu instid0(VALU_DEP_1) | instskip(SKIP_1) | instid1(VALU_DEP_1)
	v_fma_f64 v[212:213], v[218:219], v[216:217], -v[212:213]
	v_mul_f64 v[218:219], v[218:219], v[214:215]
	v_fma_f64 v[218:219], v[220:221], v[216:217], v[218:219]
	scratch_load_b128 v[220:223], off, off  ; 16-byte Folded Reload
	s_waitcnt vmcnt(0)
	v_add_f64 v[220:221], v[220:221], -v[212:213]
	v_add_f64 v[222:223], v[222:223], -v[218:219]
	scratch_store_b128 off, v[220:223], off ; 16-byte Folded Spill
	ds_load_2addr_b64 v[218:221], v250 offset0:16 offset1:17
	s_waitcnt lgkmcnt(0)
	v_mul_f64 v[212:213], v[220:221], v[214:215]
	s_delay_alu instid0(VALU_DEP_1) | instskip(SKIP_1) | instid1(VALU_DEP_2)
	v_fma_f64 v[212:213], v[218:219], v[216:217], -v[212:213]
	v_mul_f64 v[218:219], v[218:219], v[214:215]
	v_add_f64 v[204:205], v[204:205], -v[212:213]
	s_delay_alu instid0(VALU_DEP_2) | instskip(NEXT) | instid1(VALU_DEP_1)
	v_fma_f64 v[218:219], v[220:221], v[216:217], v[218:219]
	v_add_f64 v[206:207], v[206:207], -v[218:219]
	ds_load_2addr_b64 v[218:221], v250 offset0:18 offset1:19
	s_waitcnt lgkmcnt(0)
	v_mul_f64 v[212:213], v[220:221], v[214:215]
	s_delay_alu instid0(VALU_DEP_1) | instskip(SKIP_1) | instid1(VALU_DEP_2)
	v_fma_f64 v[212:213], v[218:219], v[216:217], -v[212:213]
	v_mul_f64 v[218:219], v[218:219], v[214:215]
	v_add_f64 v[200:201], v[200:201], -v[212:213]
	s_delay_alu instid0(VALU_DEP_2) | instskip(NEXT) | instid1(VALU_DEP_1)
	v_fma_f64 v[218:219], v[220:221], v[216:217], v[218:219]
	v_add_f64 v[202:203], v[202:203], -v[218:219]
	;; [unrolled: 10-line block ×51, first 2 shown]
	ds_load_2addr_b64 v[218:221], v250 offset0:118 offset1:119
	s_waitcnt lgkmcnt(0)
	v_mul_f64 v[212:213], v[220:221], v[214:215]
	s_delay_alu instid0(VALU_DEP_1) | instskip(SKIP_1) | instid1(VALU_DEP_2)
	v_fma_f64 v[212:213], v[218:219], v[216:217], -v[212:213]
	v_mul_f64 v[218:219], v[218:219], v[214:215]
	v_add_f64 v[0:1], v[0:1], -v[212:213]
	s_delay_alu instid0(VALU_DEP_2)
	v_fma_f64 v[218:219], v[220:221], v[216:217], v[218:219]
	v_dual_mov_b32 v212, v216 :: v_dual_mov_b32 v213, v217
	scratch_store_b128 off, v[212:215], off offset:16 ; 16-byte Folded Spill
	v_add_f64 v[2:3], v[2:3], -v[218:219]
.LBB119_64:
	s_or_b32 exec_lo, exec_lo, s3
	s_delay_alu instid0(SALU_CYCLE_1)
	s_mov_b32 s4, exec_lo
	s_waitcnt_vscnt null, 0x0
	s_barrier
	buffer_gl0_inv
	v_cmpx_eq_u32_e32 7, v251
	s_cbranch_execz .LBB119_71
; %bb.65:
	scratch_load_b128 v[211:214], off, off  ; 16-byte Folded Reload
	s_waitcnt vmcnt(0)
	ds_store_2addr_b64 v248, v[211:212], v[213:214] offset1:1
	ds_store_2addr_b64 v250, v[204:205], v[206:207] offset0:16 offset1:17
	ds_store_2addr_b64 v250, v[200:201], v[202:203] offset0:18 offset1:19
	ds_store_2addr_b64 v250, v[196:197], v[198:199] offset0:20 offset1:21
	ds_store_2addr_b64 v250, v[192:193], v[194:195] offset0:22 offset1:23
	ds_store_2addr_b64 v250, v[188:189], v[190:191] offset0:24 offset1:25
	ds_store_2addr_b64 v250, v[184:185], v[186:187] offset0:26 offset1:27
	ds_store_2addr_b64 v250, v[180:181], v[182:183] offset0:28 offset1:29
	ds_store_2addr_b64 v250, v[176:177], v[178:179] offset0:30 offset1:31
	ds_store_2addr_b64 v250, v[172:173], v[174:175] offset0:32 offset1:33
	ds_store_2addr_b64 v250, v[168:169], v[170:171] offset0:34 offset1:35
	ds_store_2addr_b64 v250, v[164:165], v[166:167] offset0:36 offset1:37
	ds_store_2addr_b64 v250, v[160:161], v[162:163] offset0:38 offset1:39
	ds_store_2addr_b64 v250, v[156:157], v[158:159] offset0:40 offset1:41
	ds_store_2addr_b64 v250, v[152:153], v[154:155] offset0:42 offset1:43
	ds_store_2addr_b64 v250, v[148:149], v[150:151] offset0:44 offset1:45
	ds_store_2addr_b64 v250, v[144:145], v[146:147] offset0:46 offset1:47
	ds_store_2addr_b64 v250, v[140:141], v[142:143] offset0:48 offset1:49
	ds_store_2addr_b64 v250, v[136:137], v[138:139] offset0:50 offset1:51
	ds_store_2addr_b64 v250, v[132:133], v[134:135] offset0:52 offset1:53
	ds_store_2addr_b64 v250, v[128:129], v[130:131] offset0:54 offset1:55
	ds_store_2addr_b64 v250, v[124:125], v[126:127] offset0:56 offset1:57
	ds_store_2addr_b64 v250, v[120:121], v[122:123] offset0:58 offset1:59
	ds_store_2addr_b64 v250, v[116:117], v[118:119] offset0:60 offset1:61
	ds_store_2addr_b64 v250, v[112:113], v[114:115] offset0:62 offset1:63
	ds_store_2addr_b64 v250, v[108:109], v[110:111] offset0:64 offset1:65
	ds_store_2addr_b64 v250, v[104:105], v[106:107] offset0:66 offset1:67
	ds_store_2addr_b64 v250, v[100:101], v[102:103] offset0:68 offset1:69
	ds_store_2addr_b64 v250, v[96:97], v[98:99] offset0:70 offset1:71
	ds_store_2addr_b64 v250, v[92:93], v[94:95] offset0:72 offset1:73
	ds_store_2addr_b64 v250, v[88:89], v[90:91] offset0:74 offset1:75
	ds_store_2addr_b64 v250, v[84:85], v[86:87] offset0:76 offset1:77
	ds_store_2addr_b64 v250, v[80:81], v[82:83] offset0:78 offset1:79
	ds_store_2addr_b64 v250, v[76:77], v[78:79] offset0:80 offset1:81
	ds_store_2addr_b64 v250, v[72:73], v[74:75] offset0:82 offset1:83
	ds_store_2addr_b64 v250, v[68:69], v[70:71] offset0:84 offset1:85
	ds_store_2addr_b64 v250, v[64:65], v[66:67] offset0:86 offset1:87
	ds_store_2addr_b64 v250, v[60:61], v[62:63] offset0:88 offset1:89
	ds_store_2addr_b64 v250, v[56:57], v[58:59] offset0:90 offset1:91
	ds_store_2addr_b64 v250, v[52:53], v[54:55] offset0:92 offset1:93
	ds_store_2addr_b64 v250, v[48:49], v[50:51] offset0:94 offset1:95
	ds_store_2addr_b64 v250, v[44:45], v[46:47] offset0:96 offset1:97
	ds_store_2addr_b64 v250, v[40:41], v[42:43] offset0:98 offset1:99
	ds_store_2addr_b64 v250, v[36:37], v[38:39] offset0:100 offset1:101
	ds_store_2addr_b64 v250, v[32:33], v[34:35] offset0:102 offset1:103
	ds_store_2addr_b64 v250, v[28:29], v[30:31] offset0:104 offset1:105
	ds_store_2addr_b64 v250, v[24:25], v[26:27] offset0:106 offset1:107
	ds_store_2addr_b64 v250, v[20:21], v[22:23] offset0:108 offset1:109
	ds_store_2addr_b64 v250, v[16:17], v[18:19] offset0:110 offset1:111
	ds_store_2addr_b64 v250, v[12:13], v[14:15] offset0:112 offset1:113
	ds_store_2addr_b64 v250, v[8:9], v[10:11] offset0:114 offset1:115
	ds_store_2addr_b64 v250, v[4:5], v[6:7] offset0:116 offset1:117
	ds_store_2addr_b64 v250, v[0:1], v[2:3] offset0:118 offset1:119
	ds_load_2addr_b64 v[216:219], v248 offset1:1
	s_waitcnt lgkmcnt(0)
	v_cmp_neq_f64_e32 vcc_lo, 0, v[216:217]
	v_cmp_neq_f64_e64 s3, 0, v[218:219]
	s_delay_alu instid0(VALU_DEP_1) | instskip(NEXT) | instid1(SALU_CYCLE_1)
	s_or_b32 s3, vcc_lo, s3
	s_and_b32 exec_lo, exec_lo, s3
	s_cbranch_execz .LBB119_71
; %bb.66:
	v_cmp_gt_f64_e32 vcc_lo, 0, v[216:217]
	v_xor_b32_e32 v212, 0x80000000, v217
	s_mov_b32 s3, exec_lo
                                        ; implicit-def: $vgpr224_vgpr225
	s_delay_alu instid0(VALU_DEP_1) | instskip(SKIP_3) | instid1(VALU_DEP_1)
	v_cndmask_b32_e32 v221, v217, v212, vcc_lo
	v_cndmask_b32_e32 v220, v216, v216, vcc_lo
	v_cmp_gt_f64_e32 vcc_lo, 0, v[218:219]
	v_xor_b32_e32 v212, 0x80000000, v219
	v_dual_cndmask_b32 v222, v218, v218 :: v_dual_cndmask_b32 v223, v219, v212
	s_delay_alu instid0(VALU_DEP_1)
	v_cmpx_ngt_f64_e32 v[220:221], v[222:223]
	s_xor_b32 s3, exec_lo, s3
                                        ; implicit-def: $vgpr220_vgpr221_vgpr222_vgpr223
	s_cbranch_execz .LBB119_68
; %bb.67:
	v_div_scale_f64 v[220:221], null, v[218:219], v[218:219], v[216:217]
	v_div_scale_f64 v[226:227], vcc_lo, v[216:217], v[218:219], v[216:217]
	s_delay_alu instid0(VALU_DEP_2) | instskip(SKIP_2) | instid1(VALU_DEP_1)
	v_rcp_f64_e32 v[222:223], v[220:221]
	s_waitcnt_depctr 0xfff
	v_fma_f64 v[224:225], -v[220:221], v[222:223], 1.0
	v_fma_f64 v[222:223], v[222:223], v[224:225], v[222:223]
	s_delay_alu instid0(VALU_DEP_1) | instskip(NEXT) | instid1(VALU_DEP_1)
	v_fma_f64 v[224:225], -v[220:221], v[222:223], 1.0
	v_fma_f64 v[222:223], v[222:223], v[224:225], v[222:223]
	s_delay_alu instid0(VALU_DEP_1) | instskip(NEXT) | instid1(VALU_DEP_1)
	v_mul_f64 v[224:225], v[226:227], v[222:223]
	v_fma_f64 v[220:221], -v[220:221], v[224:225], v[226:227]
	s_delay_alu instid0(VALU_DEP_1) | instskip(NEXT) | instid1(VALU_DEP_1)
	v_div_fmas_f64 v[220:221], v[220:221], v[222:223], v[224:225]
	v_div_fixup_f64 v[220:221], v[220:221], v[218:219], v[216:217]
	s_delay_alu instid0(VALU_DEP_1) | instskip(NEXT) | instid1(VALU_DEP_1)
	v_fma_f64 v[216:217], v[216:217], v[220:221], v[218:219]
	v_div_scale_f64 v[218:219], null, v[216:217], v[216:217], 1.0
	s_delay_alu instid0(VALU_DEP_1) | instskip(SKIP_2) | instid1(VALU_DEP_1)
	v_rcp_f64_e32 v[222:223], v[218:219]
	s_waitcnt_depctr 0xfff
	v_fma_f64 v[224:225], -v[218:219], v[222:223], 1.0
	v_fma_f64 v[222:223], v[222:223], v[224:225], v[222:223]
	s_delay_alu instid0(VALU_DEP_1) | instskip(NEXT) | instid1(VALU_DEP_1)
	v_fma_f64 v[224:225], -v[218:219], v[222:223], 1.0
	v_fma_f64 v[222:223], v[222:223], v[224:225], v[222:223]
	v_div_scale_f64 v[224:225], vcc_lo, 1.0, v[216:217], 1.0
	s_delay_alu instid0(VALU_DEP_1) | instskip(NEXT) | instid1(VALU_DEP_1)
	v_mul_f64 v[226:227], v[224:225], v[222:223]
	v_fma_f64 v[218:219], -v[218:219], v[226:227], v[224:225]
	s_delay_alu instid0(VALU_DEP_1) | instskip(NEXT) | instid1(VALU_DEP_1)
	v_div_fmas_f64 v[218:219], v[218:219], v[222:223], v[226:227]
	v_div_fixup_f64 v[222:223], v[218:219], v[216:217], 1.0
                                        ; implicit-def: $vgpr216_vgpr217
	s_delay_alu instid0(VALU_DEP_1)
	v_mul_f64 v[224:225], v[220:221], v[222:223]
	v_xor_b32_e32 v223, 0x80000000, v223
.LBB119_68:
	s_and_not1_saveexec_b32 s3, s3
	s_cbranch_execz .LBB119_70
; %bb.69:
	v_div_scale_f64 v[220:221], null, v[216:217], v[216:217], v[218:219]
	v_div_scale_f64 v[226:227], vcc_lo, v[218:219], v[216:217], v[218:219]
	s_delay_alu instid0(VALU_DEP_2) | instskip(SKIP_2) | instid1(VALU_DEP_1)
	v_rcp_f64_e32 v[222:223], v[220:221]
	s_waitcnt_depctr 0xfff
	v_fma_f64 v[224:225], -v[220:221], v[222:223], 1.0
	v_fma_f64 v[222:223], v[222:223], v[224:225], v[222:223]
	s_delay_alu instid0(VALU_DEP_1) | instskip(NEXT) | instid1(VALU_DEP_1)
	v_fma_f64 v[224:225], -v[220:221], v[222:223], 1.0
	v_fma_f64 v[222:223], v[222:223], v[224:225], v[222:223]
	s_delay_alu instid0(VALU_DEP_1) | instskip(NEXT) | instid1(VALU_DEP_1)
	v_mul_f64 v[224:225], v[226:227], v[222:223]
	v_fma_f64 v[220:221], -v[220:221], v[224:225], v[226:227]
	s_delay_alu instid0(VALU_DEP_1) | instskip(NEXT) | instid1(VALU_DEP_1)
	v_div_fmas_f64 v[220:221], v[220:221], v[222:223], v[224:225]
	v_div_fixup_f64 v[220:221], v[220:221], v[216:217], v[218:219]
	s_delay_alu instid0(VALU_DEP_1) | instskip(NEXT) | instid1(VALU_DEP_1)
	v_fma_f64 v[216:217], v[218:219], v[220:221], v[216:217]
	v_div_scale_f64 v[218:219], null, v[216:217], v[216:217], 1.0
	s_delay_alu instid0(VALU_DEP_1) | instskip(SKIP_2) | instid1(VALU_DEP_1)
	v_rcp_f64_e32 v[222:223], v[218:219]
	s_waitcnt_depctr 0xfff
	v_fma_f64 v[224:225], -v[218:219], v[222:223], 1.0
	v_fma_f64 v[222:223], v[222:223], v[224:225], v[222:223]
	s_delay_alu instid0(VALU_DEP_1) | instskip(NEXT) | instid1(VALU_DEP_1)
	v_fma_f64 v[224:225], -v[218:219], v[222:223], 1.0
	v_fma_f64 v[222:223], v[222:223], v[224:225], v[222:223]
	v_div_scale_f64 v[224:225], vcc_lo, 1.0, v[216:217], 1.0
	s_delay_alu instid0(VALU_DEP_1) | instskip(NEXT) | instid1(VALU_DEP_1)
	v_mul_f64 v[226:227], v[224:225], v[222:223]
	v_fma_f64 v[218:219], -v[218:219], v[226:227], v[224:225]
	s_delay_alu instid0(VALU_DEP_1) | instskip(NEXT) | instid1(VALU_DEP_1)
	v_div_fmas_f64 v[218:219], v[218:219], v[222:223], v[226:227]
	v_div_fixup_f64 v[224:225], v[218:219], v[216:217], 1.0
	s_delay_alu instid0(VALU_DEP_1)
	v_mul_f64 v[222:223], v[220:221], -v[224:225]
.LBB119_70:
	s_or_b32 exec_lo, exec_lo, s3
	ds_store_2addr_b64 v248, v[224:225], v[222:223] offset1:1
.LBB119_71:
	s_or_b32 exec_lo, exec_lo, s4
	s_waitcnt lgkmcnt(0)
	s_barrier
	buffer_gl0_inv
	ds_load_2addr_b64 v[211:214], v248 offset1:1
	s_mov_b32 s3, exec_lo
	s_waitcnt lgkmcnt(0)
	scratch_store_b128 off, v[211:214], off offset:712 ; 16-byte Folded Spill
	v_cmpx_lt_u32_e32 7, v251
	s_cbranch_execz .LBB119_73
; %bb.72:
	s_clause 0x1
	scratch_load_b128 v[220:223], off, off
	scratch_load_b128 v[224:227], off, off offset:712
	s_waitcnt vmcnt(0)
	v_mul_f64 v[210:211], v[224:225], v[222:223]
	v_mul_f64 v[216:217], v[226:227], v[222:223]
	s_delay_alu instid0(VALU_DEP_2) | instskip(NEXT) | instid1(VALU_DEP_2)
	v_fma_f64 v[222:223], v[226:227], v[220:221], v[210:211]
	v_fma_f64 v[216:217], v[224:225], v[220:221], -v[216:217]
	ds_load_2addr_b64 v[218:221], v250 offset0:16 offset1:17
	s_waitcnt lgkmcnt(0)
	v_mul_f64 v[208:209], v[220:221], v[222:223]
	s_delay_alu instid0(VALU_DEP_1) | instskip(SKIP_1) | instid1(VALU_DEP_2)
	v_fma_f64 v[208:209], v[218:219], v[216:217], -v[208:209]
	v_mul_f64 v[218:219], v[218:219], v[222:223]
	v_add_f64 v[204:205], v[204:205], -v[208:209]
	s_delay_alu instid0(VALU_DEP_2) | instskip(NEXT) | instid1(VALU_DEP_1)
	v_fma_f64 v[218:219], v[220:221], v[216:217], v[218:219]
	v_add_f64 v[206:207], v[206:207], -v[218:219]
	ds_load_2addr_b64 v[218:221], v250 offset0:18 offset1:19
	s_waitcnt lgkmcnt(0)
	v_mul_f64 v[208:209], v[220:221], v[222:223]
	s_delay_alu instid0(VALU_DEP_1) | instskip(SKIP_1) | instid1(VALU_DEP_2)
	v_fma_f64 v[208:209], v[218:219], v[216:217], -v[208:209]
	v_mul_f64 v[218:219], v[218:219], v[222:223]
	v_add_f64 v[200:201], v[200:201], -v[208:209]
	s_delay_alu instid0(VALU_DEP_2) | instskip(NEXT) | instid1(VALU_DEP_1)
	v_fma_f64 v[218:219], v[220:221], v[216:217], v[218:219]
	v_add_f64 v[202:203], v[202:203], -v[218:219]
	;; [unrolled: 10-line block ×51, first 2 shown]
	ds_load_2addr_b64 v[218:221], v250 offset0:118 offset1:119
	s_waitcnt lgkmcnt(0)
	v_mul_f64 v[208:209], v[220:221], v[222:223]
	s_delay_alu instid0(VALU_DEP_1) | instskip(SKIP_1) | instid1(VALU_DEP_2)
	v_fma_f64 v[208:209], v[218:219], v[216:217], -v[208:209]
	v_mul_f64 v[218:219], v[218:219], v[222:223]
	v_add_f64 v[0:1], v[0:1], -v[208:209]
	s_delay_alu instid0(VALU_DEP_2)
	v_fma_f64 v[218:219], v[220:221], v[216:217], v[218:219]
	v_dual_mov_b32 v221, v217 :: v_dual_mov_b32 v220, v216
	scratch_store_b128 off, v[220:223], off ; 16-byte Folded Spill
	v_add_f64 v[2:3], v[2:3], -v[218:219]
.LBB119_73:
	s_or_b32 exec_lo, exec_lo, s3
	s_delay_alu instid0(SALU_CYCLE_1)
	s_mov_b32 s4, exec_lo
	s_waitcnt_vscnt null, 0x0
	s_barrier
	buffer_gl0_inv
	v_cmpx_eq_u32_e32 8, v251
	s_cbranch_execz .LBB119_80
; %bb.74:
	ds_store_2addr_b64 v248, v[204:205], v[206:207] offset1:1
	ds_store_2addr_b64 v250, v[200:201], v[202:203] offset0:18 offset1:19
	ds_store_2addr_b64 v250, v[196:197], v[198:199] offset0:20 offset1:21
	;; [unrolled: 1-line block ×51, first 2 shown]
	ds_load_2addr_b64 v[216:219], v248 offset1:1
	s_waitcnt lgkmcnt(0)
	v_cmp_neq_f64_e32 vcc_lo, 0, v[216:217]
	v_cmp_neq_f64_e64 s3, 0, v[218:219]
	s_delay_alu instid0(VALU_DEP_1) | instskip(NEXT) | instid1(SALU_CYCLE_1)
	s_or_b32 s3, vcc_lo, s3
	s_and_b32 exec_lo, exec_lo, s3
	s_cbranch_execz .LBB119_80
; %bb.75:
	v_cmp_gt_f64_e32 vcc_lo, 0, v[216:217]
	v_xor_b32_e32 v212, 0x80000000, v217
	s_mov_b32 s3, exec_lo
                                        ; implicit-def: $vgpr224_vgpr225
	s_delay_alu instid0(VALU_DEP_1) | instskip(SKIP_3) | instid1(VALU_DEP_1)
	v_cndmask_b32_e32 v221, v217, v212, vcc_lo
	v_cndmask_b32_e32 v220, v216, v216, vcc_lo
	v_cmp_gt_f64_e32 vcc_lo, 0, v[218:219]
	v_xor_b32_e32 v212, 0x80000000, v219
	v_dual_cndmask_b32 v222, v218, v218 :: v_dual_cndmask_b32 v223, v219, v212
	s_delay_alu instid0(VALU_DEP_1)
	v_cmpx_ngt_f64_e32 v[220:221], v[222:223]
	s_xor_b32 s3, exec_lo, s3
                                        ; implicit-def: $vgpr220_vgpr221_vgpr222_vgpr223
	s_cbranch_execz .LBB119_77
; %bb.76:
	v_div_scale_f64 v[220:221], null, v[218:219], v[218:219], v[216:217]
	v_div_scale_f64 v[226:227], vcc_lo, v[216:217], v[218:219], v[216:217]
	s_delay_alu instid0(VALU_DEP_2) | instskip(SKIP_2) | instid1(VALU_DEP_1)
	v_rcp_f64_e32 v[222:223], v[220:221]
	s_waitcnt_depctr 0xfff
	v_fma_f64 v[224:225], -v[220:221], v[222:223], 1.0
	v_fma_f64 v[222:223], v[222:223], v[224:225], v[222:223]
	s_delay_alu instid0(VALU_DEP_1) | instskip(NEXT) | instid1(VALU_DEP_1)
	v_fma_f64 v[224:225], -v[220:221], v[222:223], 1.0
	v_fma_f64 v[222:223], v[222:223], v[224:225], v[222:223]
	s_delay_alu instid0(VALU_DEP_1) | instskip(NEXT) | instid1(VALU_DEP_1)
	v_mul_f64 v[224:225], v[226:227], v[222:223]
	v_fma_f64 v[220:221], -v[220:221], v[224:225], v[226:227]
	s_delay_alu instid0(VALU_DEP_1) | instskip(NEXT) | instid1(VALU_DEP_1)
	v_div_fmas_f64 v[220:221], v[220:221], v[222:223], v[224:225]
	v_div_fixup_f64 v[220:221], v[220:221], v[218:219], v[216:217]
	s_delay_alu instid0(VALU_DEP_1) | instskip(NEXT) | instid1(VALU_DEP_1)
	v_fma_f64 v[216:217], v[216:217], v[220:221], v[218:219]
	v_div_scale_f64 v[218:219], null, v[216:217], v[216:217], 1.0
	s_delay_alu instid0(VALU_DEP_1) | instskip(SKIP_2) | instid1(VALU_DEP_1)
	v_rcp_f64_e32 v[222:223], v[218:219]
	s_waitcnt_depctr 0xfff
	v_fma_f64 v[224:225], -v[218:219], v[222:223], 1.0
	v_fma_f64 v[222:223], v[222:223], v[224:225], v[222:223]
	s_delay_alu instid0(VALU_DEP_1) | instskip(NEXT) | instid1(VALU_DEP_1)
	v_fma_f64 v[224:225], -v[218:219], v[222:223], 1.0
	v_fma_f64 v[222:223], v[222:223], v[224:225], v[222:223]
	v_div_scale_f64 v[224:225], vcc_lo, 1.0, v[216:217], 1.0
	s_delay_alu instid0(VALU_DEP_1) | instskip(NEXT) | instid1(VALU_DEP_1)
	v_mul_f64 v[226:227], v[224:225], v[222:223]
	v_fma_f64 v[218:219], -v[218:219], v[226:227], v[224:225]
	s_delay_alu instid0(VALU_DEP_1) | instskip(NEXT) | instid1(VALU_DEP_1)
	v_div_fmas_f64 v[218:219], v[218:219], v[222:223], v[226:227]
	v_div_fixup_f64 v[222:223], v[218:219], v[216:217], 1.0
                                        ; implicit-def: $vgpr216_vgpr217
	s_delay_alu instid0(VALU_DEP_1)
	v_mul_f64 v[224:225], v[220:221], v[222:223]
	v_xor_b32_e32 v223, 0x80000000, v223
.LBB119_77:
	s_and_not1_saveexec_b32 s3, s3
	s_cbranch_execz .LBB119_79
; %bb.78:
	v_div_scale_f64 v[220:221], null, v[216:217], v[216:217], v[218:219]
	v_div_scale_f64 v[226:227], vcc_lo, v[218:219], v[216:217], v[218:219]
	s_delay_alu instid0(VALU_DEP_2) | instskip(SKIP_2) | instid1(VALU_DEP_1)
	v_rcp_f64_e32 v[222:223], v[220:221]
	s_waitcnt_depctr 0xfff
	v_fma_f64 v[224:225], -v[220:221], v[222:223], 1.0
	v_fma_f64 v[222:223], v[222:223], v[224:225], v[222:223]
	s_delay_alu instid0(VALU_DEP_1) | instskip(NEXT) | instid1(VALU_DEP_1)
	v_fma_f64 v[224:225], -v[220:221], v[222:223], 1.0
	v_fma_f64 v[222:223], v[222:223], v[224:225], v[222:223]
	s_delay_alu instid0(VALU_DEP_1) | instskip(NEXT) | instid1(VALU_DEP_1)
	v_mul_f64 v[224:225], v[226:227], v[222:223]
	v_fma_f64 v[220:221], -v[220:221], v[224:225], v[226:227]
	s_delay_alu instid0(VALU_DEP_1) | instskip(NEXT) | instid1(VALU_DEP_1)
	v_div_fmas_f64 v[220:221], v[220:221], v[222:223], v[224:225]
	v_div_fixup_f64 v[220:221], v[220:221], v[216:217], v[218:219]
	s_delay_alu instid0(VALU_DEP_1) | instskip(NEXT) | instid1(VALU_DEP_1)
	v_fma_f64 v[216:217], v[218:219], v[220:221], v[216:217]
	v_div_scale_f64 v[218:219], null, v[216:217], v[216:217], 1.0
	s_delay_alu instid0(VALU_DEP_1) | instskip(SKIP_2) | instid1(VALU_DEP_1)
	v_rcp_f64_e32 v[222:223], v[218:219]
	s_waitcnt_depctr 0xfff
	v_fma_f64 v[224:225], -v[218:219], v[222:223], 1.0
	v_fma_f64 v[222:223], v[222:223], v[224:225], v[222:223]
	s_delay_alu instid0(VALU_DEP_1) | instskip(NEXT) | instid1(VALU_DEP_1)
	v_fma_f64 v[224:225], -v[218:219], v[222:223], 1.0
	v_fma_f64 v[222:223], v[222:223], v[224:225], v[222:223]
	v_div_scale_f64 v[224:225], vcc_lo, 1.0, v[216:217], 1.0
	s_delay_alu instid0(VALU_DEP_1) | instskip(NEXT) | instid1(VALU_DEP_1)
	v_mul_f64 v[226:227], v[224:225], v[222:223]
	v_fma_f64 v[218:219], -v[218:219], v[226:227], v[224:225]
	s_delay_alu instid0(VALU_DEP_1) | instskip(NEXT) | instid1(VALU_DEP_1)
	v_div_fmas_f64 v[218:219], v[218:219], v[222:223], v[226:227]
	v_div_fixup_f64 v[224:225], v[218:219], v[216:217], 1.0
	s_delay_alu instid0(VALU_DEP_1)
	v_mul_f64 v[222:223], v[220:221], -v[224:225]
.LBB119_79:
	s_or_b32 exec_lo, exec_lo, s3
	ds_store_2addr_b64 v248, v[224:225], v[222:223] offset1:1
.LBB119_80:
	s_or_b32 exec_lo, exec_lo, s4
	s_waitcnt lgkmcnt(0)
	s_barrier
	buffer_gl0_inv
	ds_load_2addr_b64 v[211:214], v248 offset1:1
	s_mov_b32 s3, exec_lo
	s_waitcnt lgkmcnt(0)
	scratch_store_b128 off, v[211:214], off offset:728 ; 16-byte Folded Spill
	v_cmpx_lt_u32_e32 8, v251
	s_cbranch_execz .LBB119_82
; %bb.81:
	scratch_load_b128 v[211:214], off, off offset:728 ; 16-byte Folded Reload
	ds_load_2addr_b64 v[218:221], v250 offset0:18 offset1:19
	s_waitcnt vmcnt(0)
	v_mul_f64 v[216:217], v[213:214], v[206:207]
	v_mul_f64 v[206:207], v[211:212], v[206:207]
	s_delay_alu instid0(VALU_DEP_2) | instskip(NEXT) | instid1(VALU_DEP_2)
	v_fma_f64 v[216:217], v[211:212], v[204:205], -v[216:217]
	v_fma_f64 v[206:207], v[213:214], v[204:205], v[206:207]
	s_waitcnt lgkmcnt(0)
	s_delay_alu instid0(VALU_DEP_1) | instskip(NEXT) | instid1(VALU_DEP_1)
	v_mul_f64 v[204:205], v[220:221], v[206:207]
	v_fma_f64 v[204:205], v[218:219], v[216:217], -v[204:205]
	v_mul_f64 v[218:219], v[218:219], v[206:207]
	s_delay_alu instid0(VALU_DEP_2) | instskip(NEXT) | instid1(VALU_DEP_2)
	v_add_f64 v[200:201], v[200:201], -v[204:205]
	v_fma_f64 v[218:219], v[220:221], v[216:217], v[218:219]
	s_delay_alu instid0(VALU_DEP_1) | instskip(SKIP_3) | instid1(VALU_DEP_1)
	v_add_f64 v[202:203], v[202:203], -v[218:219]
	ds_load_2addr_b64 v[218:221], v250 offset0:20 offset1:21
	s_waitcnt lgkmcnt(0)
	v_mul_f64 v[204:205], v[220:221], v[206:207]
	v_fma_f64 v[204:205], v[218:219], v[216:217], -v[204:205]
	v_mul_f64 v[218:219], v[218:219], v[206:207]
	s_delay_alu instid0(VALU_DEP_2) | instskip(NEXT) | instid1(VALU_DEP_2)
	v_add_f64 v[196:197], v[196:197], -v[204:205]
	v_fma_f64 v[218:219], v[220:221], v[216:217], v[218:219]
	s_delay_alu instid0(VALU_DEP_1) | instskip(SKIP_3) | instid1(VALU_DEP_1)
	v_add_f64 v[198:199], v[198:199], -v[218:219]
	ds_load_2addr_b64 v[218:221], v250 offset0:22 offset1:23
	s_waitcnt lgkmcnt(0)
	;; [unrolled: 10-line block ×50, first 2 shown]
	v_mul_f64 v[204:205], v[220:221], v[206:207]
	v_fma_f64 v[204:205], v[218:219], v[216:217], -v[204:205]
	v_mul_f64 v[218:219], v[218:219], v[206:207]
	s_delay_alu instid0(VALU_DEP_2) | instskip(NEXT) | instid1(VALU_DEP_2)
	v_add_f64 v[0:1], v[0:1], -v[204:205]
	v_fma_f64 v[218:219], v[220:221], v[216:217], v[218:219]
	v_dual_mov_b32 v204, v216 :: v_dual_mov_b32 v205, v217
	s_delay_alu instid0(VALU_DEP_2)
	v_add_f64 v[2:3], v[2:3], -v[218:219]
.LBB119_82:
	s_or_b32 exec_lo, exec_lo, s3
	s_delay_alu instid0(SALU_CYCLE_1)
	s_mov_b32 s4, exec_lo
	s_waitcnt_vscnt null, 0x0
	s_barrier
	buffer_gl0_inv
	v_cmpx_eq_u32_e32 9, v251
	s_cbranch_execz .LBB119_89
; %bb.83:
	ds_store_2addr_b64 v248, v[200:201], v[202:203] offset1:1
	ds_store_2addr_b64 v250, v[196:197], v[198:199] offset0:20 offset1:21
	ds_store_2addr_b64 v250, v[192:193], v[194:195] offset0:22 offset1:23
	;; [unrolled: 1-line block ×50, first 2 shown]
	ds_load_2addr_b64 v[216:219], v248 offset1:1
	s_waitcnt lgkmcnt(0)
	v_cmp_neq_f64_e32 vcc_lo, 0, v[216:217]
	v_cmp_neq_f64_e64 s3, 0, v[218:219]
	s_delay_alu instid0(VALU_DEP_1) | instskip(NEXT) | instid1(SALU_CYCLE_1)
	s_or_b32 s3, vcc_lo, s3
	s_and_b32 exec_lo, exec_lo, s3
	s_cbranch_execz .LBB119_89
; %bb.84:
	v_cmp_gt_f64_e32 vcc_lo, 0, v[216:217]
	v_xor_b32_e32 v212, 0x80000000, v217
	s_mov_b32 s3, exec_lo
                                        ; implicit-def: $vgpr224_vgpr225
	s_delay_alu instid0(VALU_DEP_1) | instskip(SKIP_3) | instid1(VALU_DEP_1)
	v_cndmask_b32_e32 v221, v217, v212, vcc_lo
	v_cndmask_b32_e32 v220, v216, v216, vcc_lo
	v_cmp_gt_f64_e32 vcc_lo, 0, v[218:219]
	v_xor_b32_e32 v212, 0x80000000, v219
	v_dual_cndmask_b32 v222, v218, v218 :: v_dual_cndmask_b32 v223, v219, v212
	s_delay_alu instid0(VALU_DEP_1)
	v_cmpx_ngt_f64_e32 v[220:221], v[222:223]
	s_xor_b32 s3, exec_lo, s3
                                        ; implicit-def: $vgpr220_vgpr221_vgpr222_vgpr223
	s_cbranch_execz .LBB119_86
; %bb.85:
	v_div_scale_f64 v[220:221], null, v[218:219], v[218:219], v[216:217]
	v_div_scale_f64 v[226:227], vcc_lo, v[216:217], v[218:219], v[216:217]
	s_delay_alu instid0(VALU_DEP_2) | instskip(SKIP_2) | instid1(VALU_DEP_1)
	v_rcp_f64_e32 v[222:223], v[220:221]
	s_waitcnt_depctr 0xfff
	v_fma_f64 v[224:225], -v[220:221], v[222:223], 1.0
	v_fma_f64 v[222:223], v[222:223], v[224:225], v[222:223]
	s_delay_alu instid0(VALU_DEP_1) | instskip(NEXT) | instid1(VALU_DEP_1)
	v_fma_f64 v[224:225], -v[220:221], v[222:223], 1.0
	v_fma_f64 v[222:223], v[222:223], v[224:225], v[222:223]
	s_delay_alu instid0(VALU_DEP_1) | instskip(NEXT) | instid1(VALU_DEP_1)
	v_mul_f64 v[224:225], v[226:227], v[222:223]
	v_fma_f64 v[220:221], -v[220:221], v[224:225], v[226:227]
	s_delay_alu instid0(VALU_DEP_1) | instskip(NEXT) | instid1(VALU_DEP_1)
	v_div_fmas_f64 v[220:221], v[220:221], v[222:223], v[224:225]
	v_div_fixup_f64 v[220:221], v[220:221], v[218:219], v[216:217]
	s_delay_alu instid0(VALU_DEP_1) | instskip(NEXT) | instid1(VALU_DEP_1)
	v_fma_f64 v[216:217], v[216:217], v[220:221], v[218:219]
	v_div_scale_f64 v[218:219], null, v[216:217], v[216:217], 1.0
	s_delay_alu instid0(VALU_DEP_1) | instskip(SKIP_2) | instid1(VALU_DEP_1)
	v_rcp_f64_e32 v[222:223], v[218:219]
	s_waitcnt_depctr 0xfff
	v_fma_f64 v[224:225], -v[218:219], v[222:223], 1.0
	v_fma_f64 v[222:223], v[222:223], v[224:225], v[222:223]
	s_delay_alu instid0(VALU_DEP_1) | instskip(NEXT) | instid1(VALU_DEP_1)
	v_fma_f64 v[224:225], -v[218:219], v[222:223], 1.0
	v_fma_f64 v[222:223], v[222:223], v[224:225], v[222:223]
	v_div_scale_f64 v[224:225], vcc_lo, 1.0, v[216:217], 1.0
	s_delay_alu instid0(VALU_DEP_1) | instskip(NEXT) | instid1(VALU_DEP_1)
	v_mul_f64 v[226:227], v[224:225], v[222:223]
	v_fma_f64 v[218:219], -v[218:219], v[226:227], v[224:225]
	s_delay_alu instid0(VALU_DEP_1) | instskip(NEXT) | instid1(VALU_DEP_1)
	v_div_fmas_f64 v[218:219], v[218:219], v[222:223], v[226:227]
	v_div_fixup_f64 v[222:223], v[218:219], v[216:217], 1.0
                                        ; implicit-def: $vgpr216_vgpr217
	s_delay_alu instid0(VALU_DEP_1)
	v_mul_f64 v[224:225], v[220:221], v[222:223]
	v_xor_b32_e32 v223, 0x80000000, v223
.LBB119_86:
	s_and_not1_saveexec_b32 s3, s3
	s_cbranch_execz .LBB119_88
; %bb.87:
	v_div_scale_f64 v[220:221], null, v[216:217], v[216:217], v[218:219]
	v_div_scale_f64 v[226:227], vcc_lo, v[218:219], v[216:217], v[218:219]
	s_delay_alu instid0(VALU_DEP_2) | instskip(SKIP_2) | instid1(VALU_DEP_1)
	v_rcp_f64_e32 v[222:223], v[220:221]
	s_waitcnt_depctr 0xfff
	v_fma_f64 v[224:225], -v[220:221], v[222:223], 1.0
	v_fma_f64 v[222:223], v[222:223], v[224:225], v[222:223]
	s_delay_alu instid0(VALU_DEP_1) | instskip(NEXT) | instid1(VALU_DEP_1)
	v_fma_f64 v[224:225], -v[220:221], v[222:223], 1.0
	v_fma_f64 v[222:223], v[222:223], v[224:225], v[222:223]
	s_delay_alu instid0(VALU_DEP_1) | instskip(NEXT) | instid1(VALU_DEP_1)
	v_mul_f64 v[224:225], v[226:227], v[222:223]
	v_fma_f64 v[220:221], -v[220:221], v[224:225], v[226:227]
	s_delay_alu instid0(VALU_DEP_1) | instskip(NEXT) | instid1(VALU_DEP_1)
	v_div_fmas_f64 v[220:221], v[220:221], v[222:223], v[224:225]
	v_div_fixup_f64 v[220:221], v[220:221], v[216:217], v[218:219]
	s_delay_alu instid0(VALU_DEP_1) | instskip(NEXT) | instid1(VALU_DEP_1)
	v_fma_f64 v[216:217], v[218:219], v[220:221], v[216:217]
	v_div_scale_f64 v[218:219], null, v[216:217], v[216:217], 1.0
	s_delay_alu instid0(VALU_DEP_1) | instskip(SKIP_2) | instid1(VALU_DEP_1)
	v_rcp_f64_e32 v[222:223], v[218:219]
	s_waitcnt_depctr 0xfff
	v_fma_f64 v[224:225], -v[218:219], v[222:223], 1.0
	v_fma_f64 v[222:223], v[222:223], v[224:225], v[222:223]
	s_delay_alu instid0(VALU_DEP_1) | instskip(NEXT) | instid1(VALU_DEP_1)
	v_fma_f64 v[224:225], -v[218:219], v[222:223], 1.0
	v_fma_f64 v[222:223], v[222:223], v[224:225], v[222:223]
	v_div_scale_f64 v[224:225], vcc_lo, 1.0, v[216:217], 1.0
	s_delay_alu instid0(VALU_DEP_1) | instskip(NEXT) | instid1(VALU_DEP_1)
	v_mul_f64 v[226:227], v[224:225], v[222:223]
	v_fma_f64 v[218:219], -v[218:219], v[226:227], v[224:225]
	s_delay_alu instid0(VALU_DEP_1) | instskip(NEXT) | instid1(VALU_DEP_1)
	v_div_fmas_f64 v[218:219], v[218:219], v[222:223], v[226:227]
	v_div_fixup_f64 v[224:225], v[218:219], v[216:217], 1.0
	s_delay_alu instid0(VALU_DEP_1)
	v_mul_f64 v[222:223], v[220:221], -v[224:225]
.LBB119_88:
	s_or_b32 exec_lo, exec_lo, s3
	ds_store_2addr_b64 v248, v[224:225], v[222:223] offset1:1
.LBB119_89:
	s_or_b32 exec_lo, exec_lo, s4
	s_waitcnt lgkmcnt(0)
	s_barrier
	buffer_gl0_inv
	ds_load_2addr_b64 v[211:214], v248 offset1:1
	s_mov_b32 s3, exec_lo
	s_waitcnt lgkmcnt(0)
	scratch_store_b128 off, v[211:214], off offset:744 ; 16-byte Folded Spill
	v_cmpx_lt_u32_e32 9, v251
	s_cbranch_execz .LBB119_91
; %bb.90:
	scratch_load_b128 v[211:214], off, off offset:744 ; 16-byte Folded Reload
	ds_load_2addr_b64 v[218:221], v250 offset0:20 offset1:21
	s_waitcnt vmcnt(0)
	v_mul_f64 v[216:217], v[213:214], v[202:203]
	v_mul_f64 v[202:203], v[211:212], v[202:203]
	s_delay_alu instid0(VALU_DEP_2) | instskip(NEXT) | instid1(VALU_DEP_2)
	v_fma_f64 v[216:217], v[211:212], v[200:201], -v[216:217]
	v_fma_f64 v[202:203], v[213:214], v[200:201], v[202:203]
	s_waitcnt lgkmcnt(0)
	s_delay_alu instid0(VALU_DEP_1) | instskip(NEXT) | instid1(VALU_DEP_1)
	v_mul_f64 v[200:201], v[220:221], v[202:203]
	v_fma_f64 v[200:201], v[218:219], v[216:217], -v[200:201]
	v_mul_f64 v[218:219], v[218:219], v[202:203]
	s_delay_alu instid0(VALU_DEP_2) | instskip(NEXT) | instid1(VALU_DEP_2)
	v_add_f64 v[196:197], v[196:197], -v[200:201]
	v_fma_f64 v[218:219], v[220:221], v[216:217], v[218:219]
	s_delay_alu instid0(VALU_DEP_1) | instskip(SKIP_3) | instid1(VALU_DEP_1)
	v_add_f64 v[198:199], v[198:199], -v[218:219]
	ds_load_2addr_b64 v[218:221], v250 offset0:22 offset1:23
	s_waitcnt lgkmcnt(0)
	v_mul_f64 v[200:201], v[220:221], v[202:203]
	v_fma_f64 v[200:201], v[218:219], v[216:217], -v[200:201]
	v_mul_f64 v[218:219], v[218:219], v[202:203]
	s_delay_alu instid0(VALU_DEP_2) | instskip(NEXT) | instid1(VALU_DEP_2)
	v_add_f64 v[192:193], v[192:193], -v[200:201]
	v_fma_f64 v[218:219], v[220:221], v[216:217], v[218:219]
	s_delay_alu instid0(VALU_DEP_1) | instskip(SKIP_3) | instid1(VALU_DEP_1)
	v_add_f64 v[194:195], v[194:195], -v[218:219]
	ds_load_2addr_b64 v[218:221], v250 offset0:24 offset1:25
	s_waitcnt lgkmcnt(0)
	;; [unrolled: 10-line block ×49, first 2 shown]
	v_mul_f64 v[200:201], v[220:221], v[202:203]
	v_fma_f64 v[200:201], v[218:219], v[216:217], -v[200:201]
	v_mul_f64 v[218:219], v[218:219], v[202:203]
	s_delay_alu instid0(VALU_DEP_2) | instskip(NEXT) | instid1(VALU_DEP_2)
	v_add_f64 v[0:1], v[0:1], -v[200:201]
	v_fma_f64 v[218:219], v[220:221], v[216:217], v[218:219]
	v_dual_mov_b32 v200, v216 :: v_dual_mov_b32 v201, v217
	s_delay_alu instid0(VALU_DEP_2)
	v_add_f64 v[2:3], v[2:3], -v[218:219]
.LBB119_91:
	s_or_b32 exec_lo, exec_lo, s3
	s_delay_alu instid0(SALU_CYCLE_1)
	s_mov_b32 s4, exec_lo
	s_waitcnt_vscnt null, 0x0
	s_barrier
	buffer_gl0_inv
	v_cmpx_eq_u32_e32 10, v251
	s_cbranch_execz .LBB119_98
; %bb.92:
	ds_store_2addr_b64 v248, v[196:197], v[198:199] offset1:1
	ds_store_2addr_b64 v250, v[192:193], v[194:195] offset0:22 offset1:23
	ds_store_2addr_b64 v250, v[188:189], v[190:191] offset0:24 offset1:25
	;; [unrolled: 1-line block ×49, first 2 shown]
	ds_load_2addr_b64 v[216:219], v248 offset1:1
	s_waitcnt lgkmcnt(0)
	v_cmp_neq_f64_e32 vcc_lo, 0, v[216:217]
	v_cmp_neq_f64_e64 s3, 0, v[218:219]
	s_delay_alu instid0(VALU_DEP_1) | instskip(NEXT) | instid1(SALU_CYCLE_1)
	s_or_b32 s3, vcc_lo, s3
	s_and_b32 exec_lo, exec_lo, s3
	s_cbranch_execz .LBB119_98
; %bb.93:
	v_cmp_gt_f64_e32 vcc_lo, 0, v[216:217]
	v_xor_b32_e32 v212, 0x80000000, v217
	s_mov_b32 s3, exec_lo
                                        ; implicit-def: $vgpr224_vgpr225
	s_delay_alu instid0(VALU_DEP_1) | instskip(SKIP_3) | instid1(VALU_DEP_1)
	v_cndmask_b32_e32 v221, v217, v212, vcc_lo
	v_cndmask_b32_e32 v220, v216, v216, vcc_lo
	v_cmp_gt_f64_e32 vcc_lo, 0, v[218:219]
	v_xor_b32_e32 v212, 0x80000000, v219
	v_dual_cndmask_b32 v222, v218, v218 :: v_dual_cndmask_b32 v223, v219, v212
	s_delay_alu instid0(VALU_DEP_1)
	v_cmpx_ngt_f64_e32 v[220:221], v[222:223]
	s_xor_b32 s3, exec_lo, s3
                                        ; implicit-def: $vgpr220_vgpr221_vgpr222_vgpr223
	s_cbranch_execz .LBB119_95
; %bb.94:
	v_div_scale_f64 v[220:221], null, v[218:219], v[218:219], v[216:217]
	v_div_scale_f64 v[226:227], vcc_lo, v[216:217], v[218:219], v[216:217]
	s_delay_alu instid0(VALU_DEP_2) | instskip(SKIP_2) | instid1(VALU_DEP_1)
	v_rcp_f64_e32 v[222:223], v[220:221]
	s_waitcnt_depctr 0xfff
	v_fma_f64 v[224:225], -v[220:221], v[222:223], 1.0
	v_fma_f64 v[222:223], v[222:223], v[224:225], v[222:223]
	s_delay_alu instid0(VALU_DEP_1) | instskip(NEXT) | instid1(VALU_DEP_1)
	v_fma_f64 v[224:225], -v[220:221], v[222:223], 1.0
	v_fma_f64 v[222:223], v[222:223], v[224:225], v[222:223]
	s_delay_alu instid0(VALU_DEP_1) | instskip(NEXT) | instid1(VALU_DEP_1)
	v_mul_f64 v[224:225], v[226:227], v[222:223]
	v_fma_f64 v[220:221], -v[220:221], v[224:225], v[226:227]
	s_delay_alu instid0(VALU_DEP_1) | instskip(NEXT) | instid1(VALU_DEP_1)
	v_div_fmas_f64 v[220:221], v[220:221], v[222:223], v[224:225]
	v_div_fixup_f64 v[220:221], v[220:221], v[218:219], v[216:217]
	s_delay_alu instid0(VALU_DEP_1) | instskip(NEXT) | instid1(VALU_DEP_1)
	v_fma_f64 v[216:217], v[216:217], v[220:221], v[218:219]
	v_div_scale_f64 v[218:219], null, v[216:217], v[216:217], 1.0
	s_delay_alu instid0(VALU_DEP_1) | instskip(SKIP_2) | instid1(VALU_DEP_1)
	v_rcp_f64_e32 v[222:223], v[218:219]
	s_waitcnt_depctr 0xfff
	v_fma_f64 v[224:225], -v[218:219], v[222:223], 1.0
	v_fma_f64 v[222:223], v[222:223], v[224:225], v[222:223]
	s_delay_alu instid0(VALU_DEP_1) | instskip(NEXT) | instid1(VALU_DEP_1)
	v_fma_f64 v[224:225], -v[218:219], v[222:223], 1.0
	v_fma_f64 v[222:223], v[222:223], v[224:225], v[222:223]
	v_div_scale_f64 v[224:225], vcc_lo, 1.0, v[216:217], 1.0
	s_delay_alu instid0(VALU_DEP_1) | instskip(NEXT) | instid1(VALU_DEP_1)
	v_mul_f64 v[226:227], v[224:225], v[222:223]
	v_fma_f64 v[218:219], -v[218:219], v[226:227], v[224:225]
	s_delay_alu instid0(VALU_DEP_1) | instskip(NEXT) | instid1(VALU_DEP_1)
	v_div_fmas_f64 v[218:219], v[218:219], v[222:223], v[226:227]
	v_div_fixup_f64 v[222:223], v[218:219], v[216:217], 1.0
                                        ; implicit-def: $vgpr216_vgpr217
	s_delay_alu instid0(VALU_DEP_1)
	v_mul_f64 v[224:225], v[220:221], v[222:223]
	v_xor_b32_e32 v223, 0x80000000, v223
.LBB119_95:
	s_and_not1_saveexec_b32 s3, s3
	s_cbranch_execz .LBB119_97
; %bb.96:
	v_div_scale_f64 v[220:221], null, v[216:217], v[216:217], v[218:219]
	v_div_scale_f64 v[226:227], vcc_lo, v[218:219], v[216:217], v[218:219]
	s_delay_alu instid0(VALU_DEP_2) | instskip(SKIP_2) | instid1(VALU_DEP_1)
	v_rcp_f64_e32 v[222:223], v[220:221]
	s_waitcnt_depctr 0xfff
	v_fma_f64 v[224:225], -v[220:221], v[222:223], 1.0
	v_fma_f64 v[222:223], v[222:223], v[224:225], v[222:223]
	s_delay_alu instid0(VALU_DEP_1) | instskip(NEXT) | instid1(VALU_DEP_1)
	v_fma_f64 v[224:225], -v[220:221], v[222:223], 1.0
	v_fma_f64 v[222:223], v[222:223], v[224:225], v[222:223]
	s_delay_alu instid0(VALU_DEP_1) | instskip(NEXT) | instid1(VALU_DEP_1)
	v_mul_f64 v[224:225], v[226:227], v[222:223]
	v_fma_f64 v[220:221], -v[220:221], v[224:225], v[226:227]
	s_delay_alu instid0(VALU_DEP_1) | instskip(NEXT) | instid1(VALU_DEP_1)
	v_div_fmas_f64 v[220:221], v[220:221], v[222:223], v[224:225]
	v_div_fixup_f64 v[220:221], v[220:221], v[216:217], v[218:219]
	s_delay_alu instid0(VALU_DEP_1) | instskip(NEXT) | instid1(VALU_DEP_1)
	v_fma_f64 v[216:217], v[218:219], v[220:221], v[216:217]
	v_div_scale_f64 v[218:219], null, v[216:217], v[216:217], 1.0
	s_delay_alu instid0(VALU_DEP_1) | instskip(SKIP_2) | instid1(VALU_DEP_1)
	v_rcp_f64_e32 v[222:223], v[218:219]
	s_waitcnt_depctr 0xfff
	v_fma_f64 v[224:225], -v[218:219], v[222:223], 1.0
	v_fma_f64 v[222:223], v[222:223], v[224:225], v[222:223]
	s_delay_alu instid0(VALU_DEP_1) | instskip(NEXT) | instid1(VALU_DEP_1)
	v_fma_f64 v[224:225], -v[218:219], v[222:223], 1.0
	v_fma_f64 v[222:223], v[222:223], v[224:225], v[222:223]
	v_div_scale_f64 v[224:225], vcc_lo, 1.0, v[216:217], 1.0
	s_delay_alu instid0(VALU_DEP_1) | instskip(NEXT) | instid1(VALU_DEP_1)
	v_mul_f64 v[226:227], v[224:225], v[222:223]
	v_fma_f64 v[218:219], -v[218:219], v[226:227], v[224:225]
	s_delay_alu instid0(VALU_DEP_1) | instskip(NEXT) | instid1(VALU_DEP_1)
	v_div_fmas_f64 v[218:219], v[218:219], v[222:223], v[226:227]
	v_div_fixup_f64 v[224:225], v[218:219], v[216:217], 1.0
	s_delay_alu instid0(VALU_DEP_1)
	v_mul_f64 v[222:223], v[220:221], -v[224:225]
.LBB119_97:
	s_or_b32 exec_lo, exec_lo, s3
	ds_store_2addr_b64 v248, v[224:225], v[222:223] offset1:1
.LBB119_98:
	s_or_b32 exec_lo, exec_lo, s4
	s_waitcnt lgkmcnt(0)
	s_barrier
	buffer_gl0_inv
	ds_load_2addr_b64 v[211:214], v248 offset1:1
	s_mov_b32 s3, exec_lo
	s_waitcnt lgkmcnt(0)
	scratch_store_b128 off, v[211:214], off offset:760 ; 16-byte Folded Spill
	v_cmpx_lt_u32_e32 10, v251
	s_cbranch_execz .LBB119_100
; %bb.99:
	scratch_load_b128 v[211:214], off, off offset:760 ; 16-byte Folded Reload
	ds_load_2addr_b64 v[218:221], v250 offset0:22 offset1:23
	s_waitcnt vmcnt(0)
	v_mul_f64 v[216:217], v[213:214], v[198:199]
	v_mul_f64 v[198:199], v[211:212], v[198:199]
	s_delay_alu instid0(VALU_DEP_2) | instskip(NEXT) | instid1(VALU_DEP_2)
	v_fma_f64 v[216:217], v[211:212], v[196:197], -v[216:217]
	v_fma_f64 v[198:199], v[213:214], v[196:197], v[198:199]
	s_waitcnt lgkmcnt(0)
	s_delay_alu instid0(VALU_DEP_1) | instskip(NEXT) | instid1(VALU_DEP_1)
	v_mul_f64 v[196:197], v[220:221], v[198:199]
	v_fma_f64 v[196:197], v[218:219], v[216:217], -v[196:197]
	v_mul_f64 v[218:219], v[218:219], v[198:199]
	s_delay_alu instid0(VALU_DEP_2) | instskip(NEXT) | instid1(VALU_DEP_2)
	v_add_f64 v[192:193], v[192:193], -v[196:197]
	v_fma_f64 v[218:219], v[220:221], v[216:217], v[218:219]
	s_delay_alu instid0(VALU_DEP_1) | instskip(SKIP_3) | instid1(VALU_DEP_1)
	v_add_f64 v[194:195], v[194:195], -v[218:219]
	ds_load_2addr_b64 v[218:221], v250 offset0:24 offset1:25
	s_waitcnt lgkmcnt(0)
	v_mul_f64 v[196:197], v[220:221], v[198:199]
	v_fma_f64 v[196:197], v[218:219], v[216:217], -v[196:197]
	v_mul_f64 v[218:219], v[218:219], v[198:199]
	s_delay_alu instid0(VALU_DEP_2) | instskip(NEXT) | instid1(VALU_DEP_2)
	v_add_f64 v[188:189], v[188:189], -v[196:197]
	v_fma_f64 v[218:219], v[220:221], v[216:217], v[218:219]
	s_delay_alu instid0(VALU_DEP_1) | instskip(SKIP_3) | instid1(VALU_DEP_1)
	v_add_f64 v[190:191], v[190:191], -v[218:219]
	ds_load_2addr_b64 v[218:221], v250 offset0:26 offset1:27
	s_waitcnt lgkmcnt(0)
	;; [unrolled: 10-line block ×48, first 2 shown]
	v_mul_f64 v[196:197], v[220:221], v[198:199]
	v_fma_f64 v[196:197], v[218:219], v[216:217], -v[196:197]
	v_mul_f64 v[218:219], v[218:219], v[198:199]
	s_delay_alu instid0(VALU_DEP_2) | instskip(NEXT) | instid1(VALU_DEP_2)
	v_add_f64 v[0:1], v[0:1], -v[196:197]
	v_fma_f64 v[218:219], v[220:221], v[216:217], v[218:219]
	v_dual_mov_b32 v196, v216 :: v_dual_mov_b32 v197, v217
	s_delay_alu instid0(VALU_DEP_2)
	v_add_f64 v[2:3], v[2:3], -v[218:219]
.LBB119_100:
	s_or_b32 exec_lo, exec_lo, s3
	s_delay_alu instid0(SALU_CYCLE_1)
	s_mov_b32 s4, exec_lo
	s_waitcnt_vscnt null, 0x0
	s_barrier
	buffer_gl0_inv
	v_cmpx_eq_u32_e32 11, v251
	s_cbranch_execz .LBB119_107
; %bb.101:
	ds_store_2addr_b64 v248, v[192:193], v[194:195] offset1:1
	ds_store_2addr_b64 v250, v[188:189], v[190:191] offset0:24 offset1:25
	ds_store_2addr_b64 v250, v[184:185], v[186:187] offset0:26 offset1:27
	;; [unrolled: 1-line block ×48, first 2 shown]
	ds_load_2addr_b64 v[216:219], v248 offset1:1
	s_waitcnt lgkmcnt(0)
	v_cmp_neq_f64_e32 vcc_lo, 0, v[216:217]
	v_cmp_neq_f64_e64 s3, 0, v[218:219]
	s_delay_alu instid0(VALU_DEP_1) | instskip(NEXT) | instid1(SALU_CYCLE_1)
	s_or_b32 s3, vcc_lo, s3
	s_and_b32 exec_lo, exec_lo, s3
	s_cbranch_execz .LBB119_107
; %bb.102:
	v_cmp_gt_f64_e32 vcc_lo, 0, v[216:217]
	v_xor_b32_e32 v212, 0x80000000, v217
	s_mov_b32 s3, exec_lo
                                        ; implicit-def: $vgpr224_vgpr225
	s_delay_alu instid0(VALU_DEP_1) | instskip(SKIP_3) | instid1(VALU_DEP_1)
	v_cndmask_b32_e32 v221, v217, v212, vcc_lo
	v_cndmask_b32_e32 v220, v216, v216, vcc_lo
	v_cmp_gt_f64_e32 vcc_lo, 0, v[218:219]
	v_xor_b32_e32 v212, 0x80000000, v219
	v_dual_cndmask_b32 v222, v218, v218 :: v_dual_cndmask_b32 v223, v219, v212
	s_delay_alu instid0(VALU_DEP_1)
	v_cmpx_ngt_f64_e32 v[220:221], v[222:223]
	s_xor_b32 s3, exec_lo, s3
                                        ; implicit-def: $vgpr220_vgpr221_vgpr222_vgpr223
	s_cbranch_execz .LBB119_104
; %bb.103:
	v_div_scale_f64 v[220:221], null, v[218:219], v[218:219], v[216:217]
	v_div_scale_f64 v[226:227], vcc_lo, v[216:217], v[218:219], v[216:217]
	s_delay_alu instid0(VALU_DEP_2) | instskip(SKIP_2) | instid1(VALU_DEP_1)
	v_rcp_f64_e32 v[222:223], v[220:221]
	s_waitcnt_depctr 0xfff
	v_fma_f64 v[224:225], -v[220:221], v[222:223], 1.0
	v_fma_f64 v[222:223], v[222:223], v[224:225], v[222:223]
	s_delay_alu instid0(VALU_DEP_1) | instskip(NEXT) | instid1(VALU_DEP_1)
	v_fma_f64 v[224:225], -v[220:221], v[222:223], 1.0
	v_fma_f64 v[222:223], v[222:223], v[224:225], v[222:223]
	s_delay_alu instid0(VALU_DEP_1) | instskip(NEXT) | instid1(VALU_DEP_1)
	v_mul_f64 v[224:225], v[226:227], v[222:223]
	v_fma_f64 v[220:221], -v[220:221], v[224:225], v[226:227]
	s_delay_alu instid0(VALU_DEP_1) | instskip(NEXT) | instid1(VALU_DEP_1)
	v_div_fmas_f64 v[220:221], v[220:221], v[222:223], v[224:225]
	v_div_fixup_f64 v[220:221], v[220:221], v[218:219], v[216:217]
	s_delay_alu instid0(VALU_DEP_1) | instskip(NEXT) | instid1(VALU_DEP_1)
	v_fma_f64 v[216:217], v[216:217], v[220:221], v[218:219]
	v_div_scale_f64 v[218:219], null, v[216:217], v[216:217], 1.0
	s_delay_alu instid0(VALU_DEP_1) | instskip(SKIP_2) | instid1(VALU_DEP_1)
	v_rcp_f64_e32 v[222:223], v[218:219]
	s_waitcnt_depctr 0xfff
	v_fma_f64 v[224:225], -v[218:219], v[222:223], 1.0
	v_fma_f64 v[222:223], v[222:223], v[224:225], v[222:223]
	s_delay_alu instid0(VALU_DEP_1) | instskip(NEXT) | instid1(VALU_DEP_1)
	v_fma_f64 v[224:225], -v[218:219], v[222:223], 1.0
	v_fma_f64 v[222:223], v[222:223], v[224:225], v[222:223]
	v_div_scale_f64 v[224:225], vcc_lo, 1.0, v[216:217], 1.0
	s_delay_alu instid0(VALU_DEP_1) | instskip(NEXT) | instid1(VALU_DEP_1)
	v_mul_f64 v[226:227], v[224:225], v[222:223]
	v_fma_f64 v[218:219], -v[218:219], v[226:227], v[224:225]
	s_delay_alu instid0(VALU_DEP_1) | instskip(NEXT) | instid1(VALU_DEP_1)
	v_div_fmas_f64 v[218:219], v[218:219], v[222:223], v[226:227]
	v_div_fixup_f64 v[222:223], v[218:219], v[216:217], 1.0
                                        ; implicit-def: $vgpr216_vgpr217
	s_delay_alu instid0(VALU_DEP_1)
	v_mul_f64 v[224:225], v[220:221], v[222:223]
	v_xor_b32_e32 v223, 0x80000000, v223
.LBB119_104:
	s_and_not1_saveexec_b32 s3, s3
	s_cbranch_execz .LBB119_106
; %bb.105:
	v_div_scale_f64 v[220:221], null, v[216:217], v[216:217], v[218:219]
	v_div_scale_f64 v[226:227], vcc_lo, v[218:219], v[216:217], v[218:219]
	s_delay_alu instid0(VALU_DEP_2) | instskip(SKIP_2) | instid1(VALU_DEP_1)
	v_rcp_f64_e32 v[222:223], v[220:221]
	s_waitcnt_depctr 0xfff
	v_fma_f64 v[224:225], -v[220:221], v[222:223], 1.0
	v_fma_f64 v[222:223], v[222:223], v[224:225], v[222:223]
	s_delay_alu instid0(VALU_DEP_1) | instskip(NEXT) | instid1(VALU_DEP_1)
	v_fma_f64 v[224:225], -v[220:221], v[222:223], 1.0
	v_fma_f64 v[222:223], v[222:223], v[224:225], v[222:223]
	s_delay_alu instid0(VALU_DEP_1) | instskip(NEXT) | instid1(VALU_DEP_1)
	v_mul_f64 v[224:225], v[226:227], v[222:223]
	v_fma_f64 v[220:221], -v[220:221], v[224:225], v[226:227]
	s_delay_alu instid0(VALU_DEP_1) | instskip(NEXT) | instid1(VALU_DEP_1)
	v_div_fmas_f64 v[220:221], v[220:221], v[222:223], v[224:225]
	v_div_fixup_f64 v[220:221], v[220:221], v[216:217], v[218:219]
	s_delay_alu instid0(VALU_DEP_1) | instskip(NEXT) | instid1(VALU_DEP_1)
	v_fma_f64 v[216:217], v[218:219], v[220:221], v[216:217]
	v_div_scale_f64 v[218:219], null, v[216:217], v[216:217], 1.0
	s_delay_alu instid0(VALU_DEP_1) | instskip(SKIP_2) | instid1(VALU_DEP_1)
	v_rcp_f64_e32 v[222:223], v[218:219]
	s_waitcnt_depctr 0xfff
	v_fma_f64 v[224:225], -v[218:219], v[222:223], 1.0
	v_fma_f64 v[222:223], v[222:223], v[224:225], v[222:223]
	s_delay_alu instid0(VALU_DEP_1) | instskip(NEXT) | instid1(VALU_DEP_1)
	v_fma_f64 v[224:225], -v[218:219], v[222:223], 1.0
	v_fma_f64 v[222:223], v[222:223], v[224:225], v[222:223]
	v_div_scale_f64 v[224:225], vcc_lo, 1.0, v[216:217], 1.0
	s_delay_alu instid0(VALU_DEP_1) | instskip(NEXT) | instid1(VALU_DEP_1)
	v_mul_f64 v[226:227], v[224:225], v[222:223]
	v_fma_f64 v[218:219], -v[218:219], v[226:227], v[224:225]
	s_delay_alu instid0(VALU_DEP_1) | instskip(NEXT) | instid1(VALU_DEP_1)
	v_div_fmas_f64 v[218:219], v[218:219], v[222:223], v[226:227]
	v_div_fixup_f64 v[224:225], v[218:219], v[216:217], 1.0
	s_delay_alu instid0(VALU_DEP_1)
	v_mul_f64 v[222:223], v[220:221], -v[224:225]
.LBB119_106:
	s_or_b32 exec_lo, exec_lo, s3
	ds_store_2addr_b64 v248, v[224:225], v[222:223] offset1:1
.LBB119_107:
	s_or_b32 exec_lo, exec_lo, s4
	s_waitcnt lgkmcnt(0)
	s_barrier
	buffer_gl0_inv
	ds_load_2addr_b64 v[211:214], v248 offset1:1
	s_mov_b32 s3, exec_lo
	s_waitcnt lgkmcnt(0)
	scratch_store_b128 off, v[211:214], off offset:776 ; 16-byte Folded Spill
	v_cmpx_lt_u32_e32 11, v251
	s_cbranch_execz .LBB119_109
; %bb.108:
	scratch_load_b128 v[211:214], off, off offset:776 ; 16-byte Folded Reload
	ds_load_2addr_b64 v[218:221], v250 offset0:24 offset1:25
	s_waitcnt vmcnt(0)
	v_mul_f64 v[216:217], v[213:214], v[194:195]
	v_mul_f64 v[194:195], v[211:212], v[194:195]
	s_delay_alu instid0(VALU_DEP_2) | instskip(NEXT) | instid1(VALU_DEP_2)
	v_fma_f64 v[216:217], v[211:212], v[192:193], -v[216:217]
	v_fma_f64 v[194:195], v[213:214], v[192:193], v[194:195]
	s_waitcnt lgkmcnt(0)
	s_delay_alu instid0(VALU_DEP_1) | instskip(NEXT) | instid1(VALU_DEP_1)
	v_mul_f64 v[192:193], v[220:221], v[194:195]
	v_fma_f64 v[192:193], v[218:219], v[216:217], -v[192:193]
	v_mul_f64 v[218:219], v[218:219], v[194:195]
	s_delay_alu instid0(VALU_DEP_2) | instskip(NEXT) | instid1(VALU_DEP_2)
	v_add_f64 v[188:189], v[188:189], -v[192:193]
	v_fma_f64 v[218:219], v[220:221], v[216:217], v[218:219]
	s_delay_alu instid0(VALU_DEP_1) | instskip(SKIP_3) | instid1(VALU_DEP_1)
	v_add_f64 v[190:191], v[190:191], -v[218:219]
	ds_load_2addr_b64 v[218:221], v250 offset0:26 offset1:27
	s_waitcnt lgkmcnt(0)
	v_mul_f64 v[192:193], v[220:221], v[194:195]
	v_fma_f64 v[192:193], v[218:219], v[216:217], -v[192:193]
	v_mul_f64 v[218:219], v[218:219], v[194:195]
	s_delay_alu instid0(VALU_DEP_2) | instskip(NEXT) | instid1(VALU_DEP_2)
	v_add_f64 v[184:185], v[184:185], -v[192:193]
	v_fma_f64 v[218:219], v[220:221], v[216:217], v[218:219]
	s_delay_alu instid0(VALU_DEP_1) | instskip(SKIP_3) | instid1(VALU_DEP_1)
	v_add_f64 v[186:187], v[186:187], -v[218:219]
	ds_load_2addr_b64 v[218:221], v250 offset0:28 offset1:29
	s_waitcnt lgkmcnt(0)
	;; [unrolled: 10-line block ×47, first 2 shown]
	v_mul_f64 v[192:193], v[220:221], v[194:195]
	v_fma_f64 v[192:193], v[218:219], v[216:217], -v[192:193]
	v_mul_f64 v[218:219], v[218:219], v[194:195]
	s_delay_alu instid0(VALU_DEP_2) | instskip(NEXT) | instid1(VALU_DEP_2)
	v_add_f64 v[0:1], v[0:1], -v[192:193]
	v_fma_f64 v[218:219], v[220:221], v[216:217], v[218:219]
	v_dual_mov_b32 v192, v216 :: v_dual_mov_b32 v193, v217
	s_delay_alu instid0(VALU_DEP_2)
	v_add_f64 v[2:3], v[2:3], -v[218:219]
.LBB119_109:
	s_or_b32 exec_lo, exec_lo, s3
	s_delay_alu instid0(SALU_CYCLE_1)
	s_mov_b32 s4, exec_lo
	s_waitcnt_vscnt null, 0x0
	s_barrier
	buffer_gl0_inv
	v_cmpx_eq_u32_e32 12, v251
	s_cbranch_execz .LBB119_116
; %bb.110:
	ds_store_2addr_b64 v248, v[188:189], v[190:191] offset1:1
	ds_store_2addr_b64 v250, v[184:185], v[186:187] offset0:26 offset1:27
	ds_store_2addr_b64 v250, v[180:181], v[182:183] offset0:28 offset1:29
	ds_store_2addr_b64 v250, v[176:177], v[178:179] offset0:30 offset1:31
	ds_store_2addr_b64 v250, v[172:173], v[174:175] offset0:32 offset1:33
	ds_store_2addr_b64 v250, v[168:169], v[170:171] offset0:34 offset1:35
	ds_store_2addr_b64 v250, v[164:165], v[166:167] offset0:36 offset1:37
	ds_store_2addr_b64 v250, v[160:161], v[162:163] offset0:38 offset1:39
	ds_store_2addr_b64 v250, v[156:157], v[158:159] offset0:40 offset1:41
	ds_store_2addr_b64 v250, v[152:153], v[154:155] offset0:42 offset1:43
	ds_store_2addr_b64 v250, v[148:149], v[150:151] offset0:44 offset1:45
	ds_store_2addr_b64 v250, v[144:145], v[146:147] offset0:46 offset1:47
	ds_store_2addr_b64 v250, v[140:141], v[142:143] offset0:48 offset1:49
	ds_store_2addr_b64 v250, v[136:137], v[138:139] offset0:50 offset1:51
	ds_store_2addr_b64 v250, v[132:133], v[134:135] offset0:52 offset1:53
	ds_store_2addr_b64 v250, v[128:129], v[130:131] offset0:54 offset1:55
	ds_store_2addr_b64 v250, v[124:125], v[126:127] offset0:56 offset1:57
	ds_store_2addr_b64 v250, v[120:121], v[122:123] offset0:58 offset1:59
	ds_store_2addr_b64 v250, v[116:117], v[118:119] offset0:60 offset1:61
	ds_store_2addr_b64 v250, v[112:113], v[114:115] offset0:62 offset1:63
	ds_store_2addr_b64 v250, v[108:109], v[110:111] offset0:64 offset1:65
	ds_store_2addr_b64 v250, v[104:105], v[106:107] offset0:66 offset1:67
	ds_store_2addr_b64 v250, v[100:101], v[102:103] offset0:68 offset1:69
	ds_store_2addr_b64 v250, v[96:97], v[98:99] offset0:70 offset1:71
	ds_store_2addr_b64 v250, v[92:93], v[94:95] offset0:72 offset1:73
	ds_store_2addr_b64 v250, v[88:89], v[90:91] offset0:74 offset1:75
	ds_store_2addr_b64 v250, v[84:85], v[86:87] offset0:76 offset1:77
	ds_store_2addr_b64 v250, v[80:81], v[82:83] offset0:78 offset1:79
	ds_store_2addr_b64 v250, v[76:77], v[78:79] offset0:80 offset1:81
	ds_store_2addr_b64 v250, v[72:73], v[74:75] offset0:82 offset1:83
	ds_store_2addr_b64 v250, v[68:69], v[70:71] offset0:84 offset1:85
	ds_store_2addr_b64 v250, v[64:65], v[66:67] offset0:86 offset1:87
	ds_store_2addr_b64 v250, v[60:61], v[62:63] offset0:88 offset1:89
	ds_store_2addr_b64 v250, v[56:57], v[58:59] offset0:90 offset1:91
	ds_store_2addr_b64 v250, v[52:53], v[54:55] offset0:92 offset1:93
	ds_store_2addr_b64 v250, v[48:49], v[50:51] offset0:94 offset1:95
	ds_store_2addr_b64 v250, v[44:45], v[46:47] offset0:96 offset1:97
	ds_store_2addr_b64 v250, v[40:41], v[42:43] offset0:98 offset1:99
	ds_store_2addr_b64 v250, v[36:37], v[38:39] offset0:100 offset1:101
	ds_store_2addr_b64 v250, v[32:33], v[34:35] offset0:102 offset1:103
	ds_store_2addr_b64 v250, v[28:29], v[30:31] offset0:104 offset1:105
	ds_store_2addr_b64 v250, v[24:25], v[26:27] offset0:106 offset1:107
	ds_store_2addr_b64 v250, v[20:21], v[22:23] offset0:108 offset1:109
	ds_store_2addr_b64 v250, v[16:17], v[18:19] offset0:110 offset1:111
	ds_store_2addr_b64 v250, v[12:13], v[14:15] offset0:112 offset1:113
	ds_store_2addr_b64 v250, v[8:9], v[10:11] offset0:114 offset1:115
	ds_store_2addr_b64 v250, v[4:5], v[6:7] offset0:116 offset1:117
	ds_store_2addr_b64 v250, v[0:1], v[2:3] offset0:118 offset1:119
	ds_load_2addr_b64 v[216:219], v248 offset1:1
	s_waitcnt lgkmcnt(0)
	v_cmp_neq_f64_e32 vcc_lo, 0, v[216:217]
	v_cmp_neq_f64_e64 s3, 0, v[218:219]
	s_delay_alu instid0(VALU_DEP_1) | instskip(NEXT) | instid1(SALU_CYCLE_1)
	s_or_b32 s3, vcc_lo, s3
	s_and_b32 exec_lo, exec_lo, s3
	s_cbranch_execz .LBB119_116
; %bb.111:
	v_cmp_gt_f64_e32 vcc_lo, 0, v[216:217]
	v_xor_b32_e32 v212, 0x80000000, v217
	s_mov_b32 s3, exec_lo
                                        ; implicit-def: $vgpr224_vgpr225
	s_delay_alu instid0(VALU_DEP_1) | instskip(SKIP_3) | instid1(VALU_DEP_1)
	v_cndmask_b32_e32 v221, v217, v212, vcc_lo
	v_cndmask_b32_e32 v220, v216, v216, vcc_lo
	v_cmp_gt_f64_e32 vcc_lo, 0, v[218:219]
	v_xor_b32_e32 v212, 0x80000000, v219
	v_dual_cndmask_b32 v222, v218, v218 :: v_dual_cndmask_b32 v223, v219, v212
	s_delay_alu instid0(VALU_DEP_1)
	v_cmpx_ngt_f64_e32 v[220:221], v[222:223]
	s_xor_b32 s3, exec_lo, s3
                                        ; implicit-def: $vgpr220_vgpr221_vgpr222_vgpr223
	s_cbranch_execz .LBB119_113
; %bb.112:
	v_div_scale_f64 v[220:221], null, v[218:219], v[218:219], v[216:217]
	v_div_scale_f64 v[226:227], vcc_lo, v[216:217], v[218:219], v[216:217]
	s_delay_alu instid0(VALU_DEP_2) | instskip(SKIP_2) | instid1(VALU_DEP_1)
	v_rcp_f64_e32 v[222:223], v[220:221]
	s_waitcnt_depctr 0xfff
	v_fma_f64 v[224:225], -v[220:221], v[222:223], 1.0
	v_fma_f64 v[222:223], v[222:223], v[224:225], v[222:223]
	s_delay_alu instid0(VALU_DEP_1) | instskip(NEXT) | instid1(VALU_DEP_1)
	v_fma_f64 v[224:225], -v[220:221], v[222:223], 1.0
	v_fma_f64 v[222:223], v[222:223], v[224:225], v[222:223]
	s_delay_alu instid0(VALU_DEP_1) | instskip(NEXT) | instid1(VALU_DEP_1)
	v_mul_f64 v[224:225], v[226:227], v[222:223]
	v_fma_f64 v[220:221], -v[220:221], v[224:225], v[226:227]
	s_delay_alu instid0(VALU_DEP_1) | instskip(NEXT) | instid1(VALU_DEP_1)
	v_div_fmas_f64 v[220:221], v[220:221], v[222:223], v[224:225]
	v_div_fixup_f64 v[220:221], v[220:221], v[218:219], v[216:217]
	s_delay_alu instid0(VALU_DEP_1) | instskip(NEXT) | instid1(VALU_DEP_1)
	v_fma_f64 v[216:217], v[216:217], v[220:221], v[218:219]
	v_div_scale_f64 v[218:219], null, v[216:217], v[216:217], 1.0
	s_delay_alu instid0(VALU_DEP_1) | instskip(SKIP_2) | instid1(VALU_DEP_1)
	v_rcp_f64_e32 v[222:223], v[218:219]
	s_waitcnt_depctr 0xfff
	v_fma_f64 v[224:225], -v[218:219], v[222:223], 1.0
	v_fma_f64 v[222:223], v[222:223], v[224:225], v[222:223]
	s_delay_alu instid0(VALU_DEP_1) | instskip(NEXT) | instid1(VALU_DEP_1)
	v_fma_f64 v[224:225], -v[218:219], v[222:223], 1.0
	v_fma_f64 v[222:223], v[222:223], v[224:225], v[222:223]
	v_div_scale_f64 v[224:225], vcc_lo, 1.0, v[216:217], 1.0
	s_delay_alu instid0(VALU_DEP_1) | instskip(NEXT) | instid1(VALU_DEP_1)
	v_mul_f64 v[226:227], v[224:225], v[222:223]
	v_fma_f64 v[218:219], -v[218:219], v[226:227], v[224:225]
	s_delay_alu instid0(VALU_DEP_1) | instskip(NEXT) | instid1(VALU_DEP_1)
	v_div_fmas_f64 v[218:219], v[218:219], v[222:223], v[226:227]
	v_div_fixup_f64 v[222:223], v[218:219], v[216:217], 1.0
                                        ; implicit-def: $vgpr216_vgpr217
	s_delay_alu instid0(VALU_DEP_1)
	v_mul_f64 v[224:225], v[220:221], v[222:223]
	v_xor_b32_e32 v223, 0x80000000, v223
.LBB119_113:
	s_and_not1_saveexec_b32 s3, s3
	s_cbranch_execz .LBB119_115
; %bb.114:
	v_div_scale_f64 v[220:221], null, v[216:217], v[216:217], v[218:219]
	v_div_scale_f64 v[226:227], vcc_lo, v[218:219], v[216:217], v[218:219]
	s_delay_alu instid0(VALU_DEP_2) | instskip(SKIP_2) | instid1(VALU_DEP_1)
	v_rcp_f64_e32 v[222:223], v[220:221]
	s_waitcnt_depctr 0xfff
	v_fma_f64 v[224:225], -v[220:221], v[222:223], 1.0
	v_fma_f64 v[222:223], v[222:223], v[224:225], v[222:223]
	s_delay_alu instid0(VALU_DEP_1) | instskip(NEXT) | instid1(VALU_DEP_1)
	v_fma_f64 v[224:225], -v[220:221], v[222:223], 1.0
	v_fma_f64 v[222:223], v[222:223], v[224:225], v[222:223]
	s_delay_alu instid0(VALU_DEP_1) | instskip(NEXT) | instid1(VALU_DEP_1)
	v_mul_f64 v[224:225], v[226:227], v[222:223]
	v_fma_f64 v[220:221], -v[220:221], v[224:225], v[226:227]
	s_delay_alu instid0(VALU_DEP_1) | instskip(NEXT) | instid1(VALU_DEP_1)
	v_div_fmas_f64 v[220:221], v[220:221], v[222:223], v[224:225]
	v_div_fixup_f64 v[220:221], v[220:221], v[216:217], v[218:219]
	s_delay_alu instid0(VALU_DEP_1) | instskip(NEXT) | instid1(VALU_DEP_1)
	v_fma_f64 v[216:217], v[218:219], v[220:221], v[216:217]
	v_div_scale_f64 v[218:219], null, v[216:217], v[216:217], 1.0
	s_delay_alu instid0(VALU_DEP_1) | instskip(SKIP_2) | instid1(VALU_DEP_1)
	v_rcp_f64_e32 v[222:223], v[218:219]
	s_waitcnt_depctr 0xfff
	v_fma_f64 v[224:225], -v[218:219], v[222:223], 1.0
	v_fma_f64 v[222:223], v[222:223], v[224:225], v[222:223]
	s_delay_alu instid0(VALU_DEP_1) | instskip(NEXT) | instid1(VALU_DEP_1)
	v_fma_f64 v[224:225], -v[218:219], v[222:223], 1.0
	v_fma_f64 v[222:223], v[222:223], v[224:225], v[222:223]
	v_div_scale_f64 v[224:225], vcc_lo, 1.0, v[216:217], 1.0
	s_delay_alu instid0(VALU_DEP_1) | instskip(NEXT) | instid1(VALU_DEP_1)
	v_mul_f64 v[226:227], v[224:225], v[222:223]
	v_fma_f64 v[218:219], -v[218:219], v[226:227], v[224:225]
	s_delay_alu instid0(VALU_DEP_1) | instskip(NEXT) | instid1(VALU_DEP_1)
	v_div_fmas_f64 v[218:219], v[218:219], v[222:223], v[226:227]
	v_div_fixup_f64 v[224:225], v[218:219], v[216:217], 1.0
	s_delay_alu instid0(VALU_DEP_1)
	v_mul_f64 v[222:223], v[220:221], -v[224:225]
.LBB119_115:
	s_or_b32 exec_lo, exec_lo, s3
	ds_store_2addr_b64 v248, v[224:225], v[222:223] offset1:1
.LBB119_116:
	s_or_b32 exec_lo, exec_lo, s4
	s_waitcnt lgkmcnt(0)
	s_barrier
	buffer_gl0_inv
	ds_load_2addr_b64 v[211:214], v248 offset1:1
	s_mov_b32 s3, exec_lo
	s_waitcnt lgkmcnt(0)
	scratch_store_b128 off, v[211:214], off offset:792 ; 16-byte Folded Spill
	v_cmpx_lt_u32_e32 12, v251
	s_cbranch_execz .LBB119_118
; %bb.117:
	scratch_load_b128 v[211:214], off, off offset:792 ; 16-byte Folded Reload
	ds_load_2addr_b64 v[218:221], v250 offset0:26 offset1:27
	s_waitcnt vmcnt(0)
	v_mul_f64 v[216:217], v[213:214], v[190:191]
	v_mul_f64 v[190:191], v[211:212], v[190:191]
	s_delay_alu instid0(VALU_DEP_2) | instskip(NEXT) | instid1(VALU_DEP_2)
	v_fma_f64 v[216:217], v[211:212], v[188:189], -v[216:217]
	v_fma_f64 v[190:191], v[213:214], v[188:189], v[190:191]
	s_waitcnt lgkmcnt(0)
	s_delay_alu instid0(VALU_DEP_1) | instskip(NEXT) | instid1(VALU_DEP_1)
	v_mul_f64 v[188:189], v[220:221], v[190:191]
	v_fma_f64 v[188:189], v[218:219], v[216:217], -v[188:189]
	v_mul_f64 v[218:219], v[218:219], v[190:191]
	s_delay_alu instid0(VALU_DEP_2) | instskip(NEXT) | instid1(VALU_DEP_2)
	v_add_f64 v[184:185], v[184:185], -v[188:189]
	v_fma_f64 v[218:219], v[220:221], v[216:217], v[218:219]
	s_delay_alu instid0(VALU_DEP_1) | instskip(SKIP_3) | instid1(VALU_DEP_1)
	v_add_f64 v[186:187], v[186:187], -v[218:219]
	ds_load_2addr_b64 v[218:221], v250 offset0:28 offset1:29
	s_waitcnt lgkmcnt(0)
	v_mul_f64 v[188:189], v[220:221], v[190:191]
	v_fma_f64 v[188:189], v[218:219], v[216:217], -v[188:189]
	v_mul_f64 v[218:219], v[218:219], v[190:191]
	s_delay_alu instid0(VALU_DEP_2) | instskip(NEXT) | instid1(VALU_DEP_2)
	v_add_f64 v[180:181], v[180:181], -v[188:189]
	v_fma_f64 v[218:219], v[220:221], v[216:217], v[218:219]
	s_delay_alu instid0(VALU_DEP_1) | instskip(SKIP_3) | instid1(VALU_DEP_1)
	v_add_f64 v[182:183], v[182:183], -v[218:219]
	ds_load_2addr_b64 v[218:221], v250 offset0:30 offset1:31
	s_waitcnt lgkmcnt(0)
	;; [unrolled: 10-line block ×46, first 2 shown]
	v_mul_f64 v[188:189], v[220:221], v[190:191]
	v_fma_f64 v[188:189], v[218:219], v[216:217], -v[188:189]
	v_mul_f64 v[218:219], v[218:219], v[190:191]
	s_delay_alu instid0(VALU_DEP_2) | instskip(NEXT) | instid1(VALU_DEP_2)
	v_add_f64 v[0:1], v[0:1], -v[188:189]
	v_fma_f64 v[218:219], v[220:221], v[216:217], v[218:219]
	v_dual_mov_b32 v188, v216 :: v_dual_mov_b32 v189, v217
	s_delay_alu instid0(VALU_DEP_2)
	v_add_f64 v[2:3], v[2:3], -v[218:219]
.LBB119_118:
	s_or_b32 exec_lo, exec_lo, s3
	s_delay_alu instid0(SALU_CYCLE_1)
	s_mov_b32 s4, exec_lo
	s_waitcnt_vscnt null, 0x0
	s_barrier
	buffer_gl0_inv
	v_cmpx_eq_u32_e32 13, v251
	s_cbranch_execz .LBB119_125
; %bb.119:
	ds_store_2addr_b64 v248, v[184:185], v[186:187] offset1:1
	ds_store_2addr_b64 v250, v[180:181], v[182:183] offset0:28 offset1:29
	ds_store_2addr_b64 v250, v[176:177], v[178:179] offset0:30 offset1:31
	;; [unrolled: 1-line block ×46, first 2 shown]
	ds_load_2addr_b64 v[216:219], v248 offset1:1
	s_waitcnt lgkmcnt(0)
	v_cmp_neq_f64_e32 vcc_lo, 0, v[216:217]
	v_cmp_neq_f64_e64 s3, 0, v[218:219]
	s_delay_alu instid0(VALU_DEP_1) | instskip(NEXT) | instid1(SALU_CYCLE_1)
	s_or_b32 s3, vcc_lo, s3
	s_and_b32 exec_lo, exec_lo, s3
	s_cbranch_execz .LBB119_125
; %bb.120:
	v_cmp_gt_f64_e32 vcc_lo, 0, v[216:217]
	v_xor_b32_e32 v212, 0x80000000, v217
	s_mov_b32 s3, exec_lo
                                        ; implicit-def: $vgpr224_vgpr225
	s_delay_alu instid0(VALU_DEP_1) | instskip(SKIP_3) | instid1(VALU_DEP_1)
	v_cndmask_b32_e32 v221, v217, v212, vcc_lo
	v_cndmask_b32_e32 v220, v216, v216, vcc_lo
	v_cmp_gt_f64_e32 vcc_lo, 0, v[218:219]
	v_xor_b32_e32 v212, 0x80000000, v219
	v_dual_cndmask_b32 v222, v218, v218 :: v_dual_cndmask_b32 v223, v219, v212
	s_delay_alu instid0(VALU_DEP_1)
	v_cmpx_ngt_f64_e32 v[220:221], v[222:223]
	s_xor_b32 s3, exec_lo, s3
                                        ; implicit-def: $vgpr220_vgpr221_vgpr222_vgpr223
	s_cbranch_execz .LBB119_122
; %bb.121:
	v_div_scale_f64 v[220:221], null, v[218:219], v[218:219], v[216:217]
	v_div_scale_f64 v[226:227], vcc_lo, v[216:217], v[218:219], v[216:217]
	s_delay_alu instid0(VALU_DEP_2) | instskip(SKIP_2) | instid1(VALU_DEP_1)
	v_rcp_f64_e32 v[222:223], v[220:221]
	s_waitcnt_depctr 0xfff
	v_fma_f64 v[224:225], -v[220:221], v[222:223], 1.0
	v_fma_f64 v[222:223], v[222:223], v[224:225], v[222:223]
	s_delay_alu instid0(VALU_DEP_1) | instskip(NEXT) | instid1(VALU_DEP_1)
	v_fma_f64 v[224:225], -v[220:221], v[222:223], 1.0
	v_fma_f64 v[222:223], v[222:223], v[224:225], v[222:223]
	s_delay_alu instid0(VALU_DEP_1) | instskip(NEXT) | instid1(VALU_DEP_1)
	v_mul_f64 v[224:225], v[226:227], v[222:223]
	v_fma_f64 v[220:221], -v[220:221], v[224:225], v[226:227]
	s_delay_alu instid0(VALU_DEP_1) | instskip(NEXT) | instid1(VALU_DEP_1)
	v_div_fmas_f64 v[220:221], v[220:221], v[222:223], v[224:225]
	v_div_fixup_f64 v[220:221], v[220:221], v[218:219], v[216:217]
	s_delay_alu instid0(VALU_DEP_1) | instskip(NEXT) | instid1(VALU_DEP_1)
	v_fma_f64 v[216:217], v[216:217], v[220:221], v[218:219]
	v_div_scale_f64 v[218:219], null, v[216:217], v[216:217], 1.0
	s_delay_alu instid0(VALU_DEP_1) | instskip(SKIP_2) | instid1(VALU_DEP_1)
	v_rcp_f64_e32 v[222:223], v[218:219]
	s_waitcnt_depctr 0xfff
	v_fma_f64 v[224:225], -v[218:219], v[222:223], 1.0
	v_fma_f64 v[222:223], v[222:223], v[224:225], v[222:223]
	s_delay_alu instid0(VALU_DEP_1) | instskip(NEXT) | instid1(VALU_DEP_1)
	v_fma_f64 v[224:225], -v[218:219], v[222:223], 1.0
	v_fma_f64 v[222:223], v[222:223], v[224:225], v[222:223]
	v_div_scale_f64 v[224:225], vcc_lo, 1.0, v[216:217], 1.0
	s_delay_alu instid0(VALU_DEP_1) | instskip(NEXT) | instid1(VALU_DEP_1)
	v_mul_f64 v[226:227], v[224:225], v[222:223]
	v_fma_f64 v[218:219], -v[218:219], v[226:227], v[224:225]
	s_delay_alu instid0(VALU_DEP_1) | instskip(NEXT) | instid1(VALU_DEP_1)
	v_div_fmas_f64 v[218:219], v[218:219], v[222:223], v[226:227]
	v_div_fixup_f64 v[222:223], v[218:219], v[216:217], 1.0
                                        ; implicit-def: $vgpr216_vgpr217
	s_delay_alu instid0(VALU_DEP_1)
	v_mul_f64 v[224:225], v[220:221], v[222:223]
	v_xor_b32_e32 v223, 0x80000000, v223
.LBB119_122:
	s_and_not1_saveexec_b32 s3, s3
	s_cbranch_execz .LBB119_124
; %bb.123:
	v_div_scale_f64 v[220:221], null, v[216:217], v[216:217], v[218:219]
	v_div_scale_f64 v[226:227], vcc_lo, v[218:219], v[216:217], v[218:219]
	s_delay_alu instid0(VALU_DEP_2) | instskip(SKIP_2) | instid1(VALU_DEP_1)
	v_rcp_f64_e32 v[222:223], v[220:221]
	s_waitcnt_depctr 0xfff
	v_fma_f64 v[224:225], -v[220:221], v[222:223], 1.0
	v_fma_f64 v[222:223], v[222:223], v[224:225], v[222:223]
	s_delay_alu instid0(VALU_DEP_1) | instskip(NEXT) | instid1(VALU_DEP_1)
	v_fma_f64 v[224:225], -v[220:221], v[222:223], 1.0
	v_fma_f64 v[222:223], v[222:223], v[224:225], v[222:223]
	s_delay_alu instid0(VALU_DEP_1) | instskip(NEXT) | instid1(VALU_DEP_1)
	v_mul_f64 v[224:225], v[226:227], v[222:223]
	v_fma_f64 v[220:221], -v[220:221], v[224:225], v[226:227]
	s_delay_alu instid0(VALU_DEP_1) | instskip(NEXT) | instid1(VALU_DEP_1)
	v_div_fmas_f64 v[220:221], v[220:221], v[222:223], v[224:225]
	v_div_fixup_f64 v[220:221], v[220:221], v[216:217], v[218:219]
	s_delay_alu instid0(VALU_DEP_1) | instskip(NEXT) | instid1(VALU_DEP_1)
	v_fma_f64 v[216:217], v[218:219], v[220:221], v[216:217]
	v_div_scale_f64 v[218:219], null, v[216:217], v[216:217], 1.0
	s_delay_alu instid0(VALU_DEP_1) | instskip(SKIP_2) | instid1(VALU_DEP_1)
	v_rcp_f64_e32 v[222:223], v[218:219]
	s_waitcnt_depctr 0xfff
	v_fma_f64 v[224:225], -v[218:219], v[222:223], 1.0
	v_fma_f64 v[222:223], v[222:223], v[224:225], v[222:223]
	s_delay_alu instid0(VALU_DEP_1) | instskip(NEXT) | instid1(VALU_DEP_1)
	v_fma_f64 v[224:225], -v[218:219], v[222:223], 1.0
	v_fma_f64 v[222:223], v[222:223], v[224:225], v[222:223]
	v_div_scale_f64 v[224:225], vcc_lo, 1.0, v[216:217], 1.0
	s_delay_alu instid0(VALU_DEP_1) | instskip(NEXT) | instid1(VALU_DEP_1)
	v_mul_f64 v[226:227], v[224:225], v[222:223]
	v_fma_f64 v[218:219], -v[218:219], v[226:227], v[224:225]
	s_delay_alu instid0(VALU_DEP_1) | instskip(NEXT) | instid1(VALU_DEP_1)
	v_div_fmas_f64 v[218:219], v[218:219], v[222:223], v[226:227]
	v_div_fixup_f64 v[224:225], v[218:219], v[216:217], 1.0
	s_delay_alu instid0(VALU_DEP_1)
	v_mul_f64 v[222:223], v[220:221], -v[224:225]
.LBB119_124:
	s_or_b32 exec_lo, exec_lo, s3
	ds_store_2addr_b64 v248, v[224:225], v[222:223] offset1:1
.LBB119_125:
	s_or_b32 exec_lo, exec_lo, s4
	s_waitcnt lgkmcnt(0)
	s_barrier
	buffer_gl0_inv
	ds_load_2addr_b64 v[211:214], v248 offset1:1
	s_mov_b32 s3, exec_lo
	s_waitcnt lgkmcnt(0)
	scratch_store_b128 off, v[211:214], off offset:808 ; 16-byte Folded Spill
	v_cmpx_lt_u32_e32 13, v251
	s_cbranch_execz .LBB119_127
; %bb.126:
	scratch_load_b128 v[211:214], off, off offset:808 ; 16-byte Folded Reload
	ds_load_2addr_b64 v[218:221], v250 offset0:28 offset1:29
	s_waitcnt vmcnt(0)
	v_mul_f64 v[216:217], v[213:214], v[186:187]
	v_mul_f64 v[186:187], v[211:212], v[186:187]
	s_delay_alu instid0(VALU_DEP_2) | instskip(NEXT) | instid1(VALU_DEP_2)
	v_fma_f64 v[216:217], v[211:212], v[184:185], -v[216:217]
	v_fma_f64 v[186:187], v[213:214], v[184:185], v[186:187]
	s_waitcnt lgkmcnt(0)
	s_delay_alu instid0(VALU_DEP_1) | instskip(NEXT) | instid1(VALU_DEP_1)
	v_mul_f64 v[184:185], v[220:221], v[186:187]
	v_fma_f64 v[184:185], v[218:219], v[216:217], -v[184:185]
	v_mul_f64 v[218:219], v[218:219], v[186:187]
	s_delay_alu instid0(VALU_DEP_2) | instskip(NEXT) | instid1(VALU_DEP_2)
	v_add_f64 v[180:181], v[180:181], -v[184:185]
	v_fma_f64 v[218:219], v[220:221], v[216:217], v[218:219]
	s_delay_alu instid0(VALU_DEP_1) | instskip(SKIP_3) | instid1(VALU_DEP_1)
	v_add_f64 v[182:183], v[182:183], -v[218:219]
	ds_load_2addr_b64 v[218:221], v250 offset0:30 offset1:31
	s_waitcnt lgkmcnt(0)
	v_mul_f64 v[184:185], v[220:221], v[186:187]
	v_fma_f64 v[184:185], v[218:219], v[216:217], -v[184:185]
	v_mul_f64 v[218:219], v[218:219], v[186:187]
	s_delay_alu instid0(VALU_DEP_2) | instskip(NEXT) | instid1(VALU_DEP_2)
	v_add_f64 v[176:177], v[176:177], -v[184:185]
	v_fma_f64 v[218:219], v[220:221], v[216:217], v[218:219]
	s_delay_alu instid0(VALU_DEP_1) | instskip(SKIP_3) | instid1(VALU_DEP_1)
	v_add_f64 v[178:179], v[178:179], -v[218:219]
	ds_load_2addr_b64 v[218:221], v250 offset0:32 offset1:33
	s_waitcnt lgkmcnt(0)
	;; [unrolled: 10-line block ×45, first 2 shown]
	v_mul_f64 v[184:185], v[220:221], v[186:187]
	v_fma_f64 v[184:185], v[218:219], v[216:217], -v[184:185]
	v_mul_f64 v[218:219], v[218:219], v[186:187]
	s_delay_alu instid0(VALU_DEP_2) | instskip(NEXT) | instid1(VALU_DEP_2)
	v_add_f64 v[0:1], v[0:1], -v[184:185]
	v_fma_f64 v[218:219], v[220:221], v[216:217], v[218:219]
	v_dual_mov_b32 v184, v216 :: v_dual_mov_b32 v185, v217
	s_delay_alu instid0(VALU_DEP_2)
	v_add_f64 v[2:3], v[2:3], -v[218:219]
.LBB119_127:
	s_or_b32 exec_lo, exec_lo, s3
	s_delay_alu instid0(SALU_CYCLE_1)
	s_mov_b32 s4, exec_lo
	s_waitcnt_vscnt null, 0x0
	s_barrier
	buffer_gl0_inv
	v_cmpx_eq_u32_e32 14, v251
	s_cbranch_execz .LBB119_134
; %bb.128:
	ds_store_2addr_b64 v248, v[180:181], v[182:183] offset1:1
	ds_store_2addr_b64 v250, v[176:177], v[178:179] offset0:30 offset1:31
	ds_store_2addr_b64 v250, v[172:173], v[174:175] offset0:32 offset1:33
	ds_store_2addr_b64 v250, v[168:169], v[170:171] offset0:34 offset1:35
	ds_store_2addr_b64 v250, v[164:165], v[166:167] offset0:36 offset1:37
	ds_store_2addr_b64 v250, v[160:161], v[162:163] offset0:38 offset1:39
	ds_store_2addr_b64 v250, v[156:157], v[158:159] offset0:40 offset1:41
	ds_store_2addr_b64 v250, v[152:153], v[154:155] offset0:42 offset1:43
	ds_store_2addr_b64 v250, v[148:149], v[150:151] offset0:44 offset1:45
	ds_store_2addr_b64 v250, v[144:145], v[146:147] offset0:46 offset1:47
	ds_store_2addr_b64 v250, v[140:141], v[142:143] offset0:48 offset1:49
	ds_store_2addr_b64 v250, v[136:137], v[138:139] offset0:50 offset1:51
	ds_store_2addr_b64 v250, v[132:133], v[134:135] offset0:52 offset1:53
	ds_store_2addr_b64 v250, v[128:129], v[130:131] offset0:54 offset1:55
	ds_store_2addr_b64 v250, v[124:125], v[126:127] offset0:56 offset1:57
	ds_store_2addr_b64 v250, v[120:121], v[122:123] offset0:58 offset1:59
	ds_store_2addr_b64 v250, v[116:117], v[118:119] offset0:60 offset1:61
	ds_store_2addr_b64 v250, v[112:113], v[114:115] offset0:62 offset1:63
	ds_store_2addr_b64 v250, v[108:109], v[110:111] offset0:64 offset1:65
	ds_store_2addr_b64 v250, v[104:105], v[106:107] offset0:66 offset1:67
	ds_store_2addr_b64 v250, v[100:101], v[102:103] offset0:68 offset1:69
	ds_store_2addr_b64 v250, v[96:97], v[98:99] offset0:70 offset1:71
	ds_store_2addr_b64 v250, v[92:93], v[94:95] offset0:72 offset1:73
	ds_store_2addr_b64 v250, v[88:89], v[90:91] offset0:74 offset1:75
	ds_store_2addr_b64 v250, v[84:85], v[86:87] offset0:76 offset1:77
	ds_store_2addr_b64 v250, v[80:81], v[82:83] offset0:78 offset1:79
	ds_store_2addr_b64 v250, v[76:77], v[78:79] offset0:80 offset1:81
	ds_store_2addr_b64 v250, v[72:73], v[74:75] offset0:82 offset1:83
	ds_store_2addr_b64 v250, v[68:69], v[70:71] offset0:84 offset1:85
	ds_store_2addr_b64 v250, v[64:65], v[66:67] offset0:86 offset1:87
	ds_store_2addr_b64 v250, v[60:61], v[62:63] offset0:88 offset1:89
	ds_store_2addr_b64 v250, v[56:57], v[58:59] offset0:90 offset1:91
	ds_store_2addr_b64 v250, v[52:53], v[54:55] offset0:92 offset1:93
	ds_store_2addr_b64 v250, v[48:49], v[50:51] offset0:94 offset1:95
	ds_store_2addr_b64 v250, v[44:45], v[46:47] offset0:96 offset1:97
	ds_store_2addr_b64 v250, v[40:41], v[42:43] offset0:98 offset1:99
	ds_store_2addr_b64 v250, v[36:37], v[38:39] offset0:100 offset1:101
	ds_store_2addr_b64 v250, v[32:33], v[34:35] offset0:102 offset1:103
	ds_store_2addr_b64 v250, v[28:29], v[30:31] offset0:104 offset1:105
	ds_store_2addr_b64 v250, v[24:25], v[26:27] offset0:106 offset1:107
	ds_store_2addr_b64 v250, v[20:21], v[22:23] offset0:108 offset1:109
	ds_store_2addr_b64 v250, v[16:17], v[18:19] offset0:110 offset1:111
	ds_store_2addr_b64 v250, v[12:13], v[14:15] offset0:112 offset1:113
	ds_store_2addr_b64 v250, v[8:9], v[10:11] offset0:114 offset1:115
	ds_store_2addr_b64 v250, v[4:5], v[6:7] offset0:116 offset1:117
	ds_store_2addr_b64 v250, v[0:1], v[2:3] offset0:118 offset1:119
	ds_load_2addr_b64 v[216:219], v248 offset1:1
	s_waitcnt lgkmcnt(0)
	v_cmp_neq_f64_e32 vcc_lo, 0, v[216:217]
	v_cmp_neq_f64_e64 s3, 0, v[218:219]
	s_delay_alu instid0(VALU_DEP_1) | instskip(NEXT) | instid1(SALU_CYCLE_1)
	s_or_b32 s3, vcc_lo, s3
	s_and_b32 exec_lo, exec_lo, s3
	s_cbranch_execz .LBB119_134
; %bb.129:
	v_cmp_gt_f64_e32 vcc_lo, 0, v[216:217]
	v_xor_b32_e32 v212, 0x80000000, v217
	s_mov_b32 s3, exec_lo
                                        ; implicit-def: $vgpr224_vgpr225
	s_delay_alu instid0(VALU_DEP_1) | instskip(SKIP_3) | instid1(VALU_DEP_1)
	v_cndmask_b32_e32 v221, v217, v212, vcc_lo
	v_cndmask_b32_e32 v220, v216, v216, vcc_lo
	v_cmp_gt_f64_e32 vcc_lo, 0, v[218:219]
	v_xor_b32_e32 v212, 0x80000000, v219
	v_dual_cndmask_b32 v222, v218, v218 :: v_dual_cndmask_b32 v223, v219, v212
	s_delay_alu instid0(VALU_DEP_1)
	v_cmpx_ngt_f64_e32 v[220:221], v[222:223]
	s_xor_b32 s3, exec_lo, s3
                                        ; implicit-def: $vgpr220_vgpr221_vgpr222_vgpr223
	s_cbranch_execz .LBB119_131
; %bb.130:
	v_div_scale_f64 v[220:221], null, v[218:219], v[218:219], v[216:217]
	v_div_scale_f64 v[226:227], vcc_lo, v[216:217], v[218:219], v[216:217]
	s_delay_alu instid0(VALU_DEP_2) | instskip(SKIP_2) | instid1(VALU_DEP_1)
	v_rcp_f64_e32 v[222:223], v[220:221]
	s_waitcnt_depctr 0xfff
	v_fma_f64 v[224:225], -v[220:221], v[222:223], 1.0
	v_fma_f64 v[222:223], v[222:223], v[224:225], v[222:223]
	s_delay_alu instid0(VALU_DEP_1) | instskip(NEXT) | instid1(VALU_DEP_1)
	v_fma_f64 v[224:225], -v[220:221], v[222:223], 1.0
	v_fma_f64 v[222:223], v[222:223], v[224:225], v[222:223]
	s_delay_alu instid0(VALU_DEP_1) | instskip(NEXT) | instid1(VALU_DEP_1)
	v_mul_f64 v[224:225], v[226:227], v[222:223]
	v_fma_f64 v[220:221], -v[220:221], v[224:225], v[226:227]
	s_delay_alu instid0(VALU_DEP_1) | instskip(NEXT) | instid1(VALU_DEP_1)
	v_div_fmas_f64 v[220:221], v[220:221], v[222:223], v[224:225]
	v_div_fixup_f64 v[220:221], v[220:221], v[218:219], v[216:217]
	s_delay_alu instid0(VALU_DEP_1) | instskip(NEXT) | instid1(VALU_DEP_1)
	v_fma_f64 v[216:217], v[216:217], v[220:221], v[218:219]
	v_div_scale_f64 v[218:219], null, v[216:217], v[216:217], 1.0
	s_delay_alu instid0(VALU_DEP_1) | instskip(SKIP_2) | instid1(VALU_DEP_1)
	v_rcp_f64_e32 v[222:223], v[218:219]
	s_waitcnt_depctr 0xfff
	v_fma_f64 v[224:225], -v[218:219], v[222:223], 1.0
	v_fma_f64 v[222:223], v[222:223], v[224:225], v[222:223]
	s_delay_alu instid0(VALU_DEP_1) | instskip(NEXT) | instid1(VALU_DEP_1)
	v_fma_f64 v[224:225], -v[218:219], v[222:223], 1.0
	v_fma_f64 v[222:223], v[222:223], v[224:225], v[222:223]
	v_div_scale_f64 v[224:225], vcc_lo, 1.0, v[216:217], 1.0
	s_delay_alu instid0(VALU_DEP_1) | instskip(NEXT) | instid1(VALU_DEP_1)
	v_mul_f64 v[226:227], v[224:225], v[222:223]
	v_fma_f64 v[218:219], -v[218:219], v[226:227], v[224:225]
	s_delay_alu instid0(VALU_DEP_1) | instskip(NEXT) | instid1(VALU_DEP_1)
	v_div_fmas_f64 v[218:219], v[218:219], v[222:223], v[226:227]
	v_div_fixup_f64 v[222:223], v[218:219], v[216:217], 1.0
                                        ; implicit-def: $vgpr216_vgpr217
	s_delay_alu instid0(VALU_DEP_1)
	v_mul_f64 v[224:225], v[220:221], v[222:223]
	v_xor_b32_e32 v223, 0x80000000, v223
.LBB119_131:
	s_and_not1_saveexec_b32 s3, s3
	s_cbranch_execz .LBB119_133
; %bb.132:
	v_div_scale_f64 v[220:221], null, v[216:217], v[216:217], v[218:219]
	v_div_scale_f64 v[226:227], vcc_lo, v[218:219], v[216:217], v[218:219]
	s_delay_alu instid0(VALU_DEP_2) | instskip(SKIP_2) | instid1(VALU_DEP_1)
	v_rcp_f64_e32 v[222:223], v[220:221]
	s_waitcnt_depctr 0xfff
	v_fma_f64 v[224:225], -v[220:221], v[222:223], 1.0
	v_fma_f64 v[222:223], v[222:223], v[224:225], v[222:223]
	s_delay_alu instid0(VALU_DEP_1) | instskip(NEXT) | instid1(VALU_DEP_1)
	v_fma_f64 v[224:225], -v[220:221], v[222:223], 1.0
	v_fma_f64 v[222:223], v[222:223], v[224:225], v[222:223]
	s_delay_alu instid0(VALU_DEP_1) | instskip(NEXT) | instid1(VALU_DEP_1)
	v_mul_f64 v[224:225], v[226:227], v[222:223]
	v_fma_f64 v[220:221], -v[220:221], v[224:225], v[226:227]
	s_delay_alu instid0(VALU_DEP_1) | instskip(NEXT) | instid1(VALU_DEP_1)
	v_div_fmas_f64 v[220:221], v[220:221], v[222:223], v[224:225]
	v_div_fixup_f64 v[220:221], v[220:221], v[216:217], v[218:219]
	s_delay_alu instid0(VALU_DEP_1) | instskip(NEXT) | instid1(VALU_DEP_1)
	v_fma_f64 v[216:217], v[218:219], v[220:221], v[216:217]
	v_div_scale_f64 v[218:219], null, v[216:217], v[216:217], 1.0
	s_delay_alu instid0(VALU_DEP_1) | instskip(SKIP_2) | instid1(VALU_DEP_1)
	v_rcp_f64_e32 v[222:223], v[218:219]
	s_waitcnt_depctr 0xfff
	v_fma_f64 v[224:225], -v[218:219], v[222:223], 1.0
	v_fma_f64 v[222:223], v[222:223], v[224:225], v[222:223]
	s_delay_alu instid0(VALU_DEP_1) | instskip(NEXT) | instid1(VALU_DEP_1)
	v_fma_f64 v[224:225], -v[218:219], v[222:223], 1.0
	v_fma_f64 v[222:223], v[222:223], v[224:225], v[222:223]
	v_div_scale_f64 v[224:225], vcc_lo, 1.0, v[216:217], 1.0
	s_delay_alu instid0(VALU_DEP_1) | instskip(NEXT) | instid1(VALU_DEP_1)
	v_mul_f64 v[226:227], v[224:225], v[222:223]
	v_fma_f64 v[218:219], -v[218:219], v[226:227], v[224:225]
	s_delay_alu instid0(VALU_DEP_1) | instskip(NEXT) | instid1(VALU_DEP_1)
	v_div_fmas_f64 v[218:219], v[218:219], v[222:223], v[226:227]
	v_div_fixup_f64 v[224:225], v[218:219], v[216:217], 1.0
	s_delay_alu instid0(VALU_DEP_1)
	v_mul_f64 v[222:223], v[220:221], -v[224:225]
.LBB119_133:
	s_or_b32 exec_lo, exec_lo, s3
	ds_store_2addr_b64 v248, v[224:225], v[222:223] offset1:1
.LBB119_134:
	s_or_b32 exec_lo, exec_lo, s4
	s_waitcnt lgkmcnt(0)
	s_barrier
	buffer_gl0_inv
	ds_load_2addr_b64 v[211:214], v248 offset1:1
	s_mov_b32 s3, exec_lo
	s_waitcnt lgkmcnt(0)
	scratch_store_b128 off, v[211:214], off offset:824 ; 16-byte Folded Spill
	v_cmpx_lt_u32_e32 14, v251
	s_cbranch_execz .LBB119_136
; %bb.135:
	scratch_load_b128 v[211:214], off, off offset:824 ; 16-byte Folded Reload
	ds_load_2addr_b64 v[218:221], v250 offset0:30 offset1:31
	s_waitcnt vmcnt(0)
	v_mul_f64 v[216:217], v[213:214], v[182:183]
	v_mul_f64 v[182:183], v[211:212], v[182:183]
	s_delay_alu instid0(VALU_DEP_2) | instskip(NEXT) | instid1(VALU_DEP_2)
	v_fma_f64 v[216:217], v[211:212], v[180:181], -v[216:217]
	v_fma_f64 v[182:183], v[213:214], v[180:181], v[182:183]
	s_waitcnt lgkmcnt(0)
	s_delay_alu instid0(VALU_DEP_1) | instskip(NEXT) | instid1(VALU_DEP_1)
	v_mul_f64 v[180:181], v[220:221], v[182:183]
	v_fma_f64 v[180:181], v[218:219], v[216:217], -v[180:181]
	v_mul_f64 v[218:219], v[218:219], v[182:183]
	s_delay_alu instid0(VALU_DEP_2) | instskip(NEXT) | instid1(VALU_DEP_2)
	v_add_f64 v[176:177], v[176:177], -v[180:181]
	v_fma_f64 v[218:219], v[220:221], v[216:217], v[218:219]
	s_delay_alu instid0(VALU_DEP_1) | instskip(SKIP_3) | instid1(VALU_DEP_1)
	v_add_f64 v[178:179], v[178:179], -v[218:219]
	ds_load_2addr_b64 v[218:221], v250 offset0:32 offset1:33
	s_waitcnt lgkmcnt(0)
	v_mul_f64 v[180:181], v[220:221], v[182:183]
	v_fma_f64 v[180:181], v[218:219], v[216:217], -v[180:181]
	v_mul_f64 v[218:219], v[218:219], v[182:183]
	s_delay_alu instid0(VALU_DEP_2) | instskip(NEXT) | instid1(VALU_DEP_2)
	v_add_f64 v[172:173], v[172:173], -v[180:181]
	v_fma_f64 v[218:219], v[220:221], v[216:217], v[218:219]
	s_delay_alu instid0(VALU_DEP_1) | instskip(SKIP_3) | instid1(VALU_DEP_1)
	v_add_f64 v[174:175], v[174:175], -v[218:219]
	ds_load_2addr_b64 v[218:221], v250 offset0:34 offset1:35
	s_waitcnt lgkmcnt(0)
	;; [unrolled: 10-line block ×44, first 2 shown]
	v_mul_f64 v[180:181], v[220:221], v[182:183]
	v_fma_f64 v[180:181], v[218:219], v[216:217], -v[180:181]
	v_mul_f64 v[218:219], v[218:219], v[182:183]
	s_delay_alu instid0(VALU_DEP_2) | instskip(NEXT) | instid1(VALU_DEP_2)
	v_add_f64 v[0:1], v[0:1], -v[180:181]
	v_fma_f64 v[218:219], v[220:221], v[216:217], v[218:219]
	v_dual_mov_b32 v180, v216 :: v_dual_mov_b32 v181, v217
	s_delay_alu instid0(VALU_DEP_2)
	v_add_f64 v[2:3], v[2:3], -v[218:219]
.LBB119_136:
	s_or_b32 exec_lo, exec_lo, s3
	s_delay_alu instid0(SALU_CYCLE_1)
	s_mov_b32 s4, exec_lo
	s_waitcnt_vscnt null, 0x0
	s_barrier
	buffer_gl0_inv
	v_cmpx_eq_u32_e32 15, v251
	s_cbranch_execz .LBB119_143
; %bb.137:
	ds_store_2addr_b64 v248, v[176:177], v[178:179] offset1:1
	ds_store_2addr_b64 v250, v[172:173], v[174:175] offset0:32 offset1:33
	ds_store_2addr_b64 v250, v[168:169], v[170:171] offset0:34 offset1:35
	;; [unrolled: 1-line block ×44, first 2 shown]
	ds_load_2addr_b64 v[216:219], v248 offset1:1
	s_waitcnt lgkmcnt(0)
	v_cmp_neq_f64_e32 vcc_lo, 0, v[216:217]
	v_cmp_neq_f64_e64 s3, 0, v[218:219]
	s_delay_alu instid0(VALU_DEP_1) | instskip(NEXT) | instid1(SALU_CYCLE_1)
	s_or_b32 s3, vcc_lo, s3
	s_and_b32 exec_lo, exec_lo, s3
	s_cbranch_execz .LBB119_143
; %bb.138:
	v_cmp_gt_f64_e32 vcc_lo, 0, v[216:217]
	v_xor_b32_e32 v212, 0x80000000, v217
	s_mov_b32 s3, exec_lo
                                        ; implicit-def: $vgpr224_vgpr225
	s_delay_alu instid0(VALU_DEP_1) | instskip(SKIP_3) | instid1(VALU_DEP_1)
	v_cndmask_b32_e32 v221, v217, v212, vcc_lo
	v_cndmask_b32_e32 v220, v216, v216, vcc_lo
	v_cmp_gt_f64_e32 vcc_lo, 0, v[218:219]
	v_xor_b32_e32 v212, 0x80000000, v219
	v_dual_cndmask_b32 v222, v218, v218 :: v_dual_cndmask_b32 v223, v219, v212
	s_delay_alu instid0(VALU_DEP_1)
	v_cmpx_ngt_f64_e32 v[220:221], v[222:223]
	s_xor_b32 s3, exec_lo, s3
                                        ; implicit-def: $vgpr220_vgpr221_vgpr222_vgpr223
	s_cbranch_execz .LBB119_140
; %bb.139:
	v_div_scale_f64 v[220:221], null, v[218:219], v[218:219], v[216:217]
	v_div_scale_f64 v[226:227], vcc_lo, v[216:217], v[218:219], v[216:217]
	s_delay_alu instid0(VALU_DEP_2) | instskip(SKIP_2) | instid1(VALU_DEP_1)
	v_rcp_f64_e32 v[222:223], v[220:221]
	s_waitcnt_depctr 0xfff
	v_fma_f64 v[224:225], -v[220:221], v[222:223], 1.0
	v_fma_f64 v[222:223], v[222:223], v[224:225], v[222:223]
	s_delay_alu instid0(VALU_DEP_1) | instskip(NEXT) | instid1(VALU_DEP_1)
	v_fma_f64 v[224:225], -v[220:221], v[222:223], 1.0
	v_fma_f64 v[222:223], v[222:223], v[224:225], v[222:223]
	s_delay_alu instid0(VALU_DEP_1) | instskip(NEXT) | instid1(VALU_DEP_1)
	v_mul_f64 v[224:225], v[226:227], v[222:223]
	v_fma_f64 v[220:221], -v[220:221], v[224:225], v[226:227]
	s_delay_alu instid0(VALU_DEP_1) | instskip(NEXT) | instid1(VALU_DEP_1)
	v_div_fmas_f64 v[220:221], v[220:221], v[222:223], v[224:225]
	v_div_fixup_f64 v[220:221], v[220:221], v[218:219], v[216:217]
	s_delay_alu instid0(VALU_DEP_1) | instskip(NEXT) | instid1(VALU_DEP_1)
	v_fma_f64 v[216:217], v[216:217], v[220:221], v[218:219]
	v_div_scale_f64 v[218:219], null, v[216:217], v[216:217], 1.0
	s_delay_alu instid0(VALU_DEP_1) | instskip(SKIP_2) | instid1(VALU_DEP_1)
	v_rcp_f64_e32 v[222:223], v[218:219]
	s_waitcnt_depctr 0xfff
	v_fma_f64 v[224:225], -v[218:219], v[222:223], 1.0
	v_fma_f64 v[222:223], v[222:223], v[224:225], v[222:223]
	s_delay_alu instid0(VALU_DEP_1) | instskip(NEXT) | instid1(VALU_DEP_1)
	v_fma_f64 v[224:225], -v[218:219], v[222:223], 1.0
	v_fma_f64 v[222:223], v[222:223], v[224:225], v[222:223]
	v_div_scale_f64 v[224:225], vcc_lo, 1.0, v[216:217], 1.0
	s_delay_alu instid0(VALU_DEP_1) | instskip(NEXT) | instid1(VALU_DEP_1)
	v_mul_f64 v[226:227], v[224:225], v[222:223]
	v_fma_f64 v[218:219], -v[218:219], v[226:227], v[224:225]
	s_delay_alu instid0(VALU_DEP_1) | instskip(NEXT) | instid1(VALU_DEP_1)
	v_div_fmas_f64 v[218:219], v[218:219], v[222:223], v[226:227]
	v_div_fixup_f64 v[222:223], v[218:219], v[216:217], 1.0
                                        ; implicit-def: $vgpr216_vgpr217
	s_delay_alu instid0(VALU_DEP_1)
	v_mul_f64 v[224:225], v[220:221], v[222:223]
	v_xor_b32_e32 v223, 0x80000000, v223
.LBB119_140:
	s_and_not1_saveexec_b32 s3, s3
	s_cbranch_execz .LBB119_142
; %bb.141:
	v_div_scale_f64 v[220:221], null, v[216:217], v[216:217], v[218:219]
	v_div_scale_f64 v[226:227], vcc_lo, v[218:219], v[216:217], v[218:219]
	s_delay_alu instid0(VALU_DEP_2) | instskip(SKIP_2) | instid1(VALU_DEP_1)
	v_rcp_f64_e32 v[222:223], v[220:221]
	s_waitcnt_depctr 0xfff
	v_fma_f64 v[224:225], -v[220:221], v[222:223], 1.0
	v_fma_f64 v[222:223], v[222:223], v[224:225], v[222:223]
	s_delay_alu instid0(VALU_DEP_1) | instskip(NEXT) | instid1(VALU_DEP_1)
	v_fma_f64 v[224:225], -v[220:221], v[222:223], 1.0
	v_fma_f64 v[222:223], v[222:223], v[224:225], v[222:223]
	s_delay_alu instid0(VALU_DEP_1) | instskip(NEXT) | instid1(VALU_DEP_1)
	v_mul_f64 v[224:225], v[226:227], v[222:223]
	v_fma_f64 v[220:221], -v[220:221], v[224:225], v[226:227]
	s_delay_alu instid0(VALU_DEP_1) | instskip(NEXT) | instid1(VALU_DEP_1)
	v_div_fmas_f64 v[220:221], v[220:221], v[222:223], v[224:225]
	v_div_fixup_f64 v[220:221], v[220:221], v[216:217], v[218:219]
	s_delay_alu instid0(VALU_DEP_1) | instskip(NEXT) | instid1(VALU_DEP_1)
	v_fma_f64 v[216:217], v[218:219], v[220:221], v[216:217]
	v_div_scale_f64 v[218:219], null, v[216:217], v[216:217], 1.0
	s_delay_alu instid0(VALU_DEP_1) | instskip(SKIP_2) | instid1(VALU_DEP_1)
	v_rcp_f64_e32 v[222:223], v[218:219]
	s_waitcnt_depctr 0xfff
	v_fma_f64 v[224:225], -v[218:219], v[222:223], 1.0
	v_fma_f64 v[222:223], v[222:223], v[224:225], v[222:223]
	s_delay_alu instid0(VALU_DEP_1) | instskip(NEXT) | instid1(VALU_DEP_1)
	v_fma_f64 v[224:225], -v[218:219], v[222:223], 1.0
	v_fma_f64 v[222:223], v[222:223], v[224:225], v[222:223]
	v_div_scale_f64 v[224:225], vcc_lo, 1.0, v[216:217], 1.0
	s_delay_alu instid0(VALU_DEP_1) | instskip(NEXT) | instid1(VALU_DEP_1)
	v_mul_f64 v[226:227], v[224:225], v[222:223]
	v_fma_f64 v[218:219], -v[218:219], v[226:227], v[224:225]
	s_delay_alu instid0(VALU_DEP_1) | instskip(NEXT) | instid1(VALU_DEP_1)
	v_div_fmas_f64 v[218:219], v[218:219], v[222:223], v[226:227]
	v_div_fixup_f64 v[224:225], v[218:219], v[216:217], 1.0
	s_delay_alu instid0(VALU_DEP_1)
	v_mul_f64 v[222:223], v[220:221], -v[224:225]
.LBB119_142:
	s_or_b32 exec_lo, exec_lo, s3
	ds_store_2addr_b64 v248, v[224:225], v[222:223] offset1:1
.LBB119_143:
	s_or_b32 exec_lo, exec_lo, s4
	s_waitcnt lgkmcnt(0)
	s_barrier
	buffer_gl0_inv
	ds_load_2addr_b64 v[211:214], v248 offset1:1
	s_mov_b32 s3, exec_lo
	s_waitcnt lgkmcnt(0)
	scratch_store_b128 off, v[211:214], off offset:840 ; 16-byte Folded Spill
	v_cmpx_lt_u32_e32 15, v251
	s_cbranch_execz .LBB119_145
; %bb.144:
	scratch_load_b128 v[211:214], off, off offset:840 ; 16-byte Folded Reload
	ds_load_2addr_b64 v[218:221], v250 offset0:32 offset1:33
	s_waitcnt vmcnt(0)
	v_mul_f64 v[216:217], v[213:214], v[178:179]
	v_mul_f64 v[178:179], v[211:212], v[178:179]
	s_delay_alu instid0(VALU_DEP_2) | instskip(NEXT) | instid1(VALU_DEP_2)
	v_fma_f64 v[216:217], v[211:212], v[176:177], -v[216:217]
	v_fma_f64 v[178:179], v[213:214], v[176:177], v[178:179]
	s_waitcnt lgkmcnt(0)
	s_delay_alu instid0(VALU_DEP_1) | instskip(NEXT) | instid1(VALU_DEP_1)
	v_mul_f64 v[176:177], v[220:221], v[178:179]
	v_fma_f64 v[176:177], v[218:219], v[216:217], -v[176:177]
	v_mul_f64 v[218:219], v[218:219], v[178:179]
	s_delay_alu instid0(VALU_DEP_2) | instskip(NEXT) | instid1(VALU_DEP_2)
	v_add_f64 v[172:173], v[172:173], -v[176:177]
	v_fma_f64 v[218:219], v[220:221], v[216:217], v[218:219]
	s_delay_alu instid0(VALU_DEP_1) | instskip(SKIP_3) | instid1(VALU_DEP_1)
	v_add_f64 v[174:175], v[174:175], -v[218:219]
	ds_load_2addr_b64 v[218:221], v250 offset0:34 offset1:35
	s_waitcnt lgkmcnt(0)
	v_mul_f64 v[176:177], v[220:221], v[178:179]
	v_fma_f64 v[176:177], v[218:219], v[216:217], -v[176:177]
	v_mul_f64 v[218:219], v[218:219], v[178:179]
	s_delay_alu instid0(VALU_DEP_2) | instskip(NEXT) | instid1(VALU_DEP_2)
	v_add_f64 v[168:169], v[168:169], -v[176:177]
	v_fma_f64 v[218:219], v[220:221], v[216:217], v[218:219]
	s_delay_alu instid0(VALU_DEP_1) | instskip(SKIP_3) | instid1(VALU_DEP_1)
	v_add_f64 v[170:171], v[170:171], -v[218:219]
	ds_load_2addr_b64 v[218:221], v250 offset0:36 offset1:37
	s_waitcnt lgkmcnt(0)
	;; [unrolled: 10-line block ×43, first 2 shown]
	v_mul_f64 v[176:177], v[220:221], v[178:179]
	v_fma_f64 v[176:177], v[218:219], v[216:217], -v[176:177]
	v_mul_f64 v[218:219], v[218:219], v[178:179]
	s_delay_alu instid0(VALU_DEP_2) | instskip(NEXT) | instid1(VALU_DEP_2)
	v_add_f64 v[0:1], v[0:1], -v[176:177]
	v_fma_f64 v[218:219], v[220:221], v[216:217], v[218:219]
	v_dual_mov_b32 v176, v216 :: v_dual_mov_b32 v177, v217
	s_delay_alu instid0(VALU_DEP_2)
	v_add_f64 v[2:3], v[2:3], -v[218:219]
.LBB119_145:
	s_or_b32 exec_lo, exec_lo, s3
	s_delay_alu instid0(SALU_CYCLE_1)
	s_mov_b32 s4, exec_lo
	s_waitcnt_vscnt null, 0x0
	s_barrier
	buffer_gl0_inv
	v_cmpx_eq_u32_e32 16, v251
	s_cbranch_execz .LBB119_152
; %bb.146:
	ds_store_2addr_b64 v248, v[172:173], v[174:175] offset1:1
	ds_store_2addr_b64 v250, v[168:169], v[170:171] offset0:34 offset1:35
	ds_store_2addr_b64 v250, v[164:165], v[166:167] offset0:36 offset1:37
	;; [unrolled: 1-line block ×43, first 2 shown]
	ds_load_2addr_b64 v[216:219], v248 offset1:1
	s_waitcnt lgkmcnt(0)
	v_cmp_neq_f64_e32 vcc_lo, 0, v[216:217]
	v_cmp_neq_f64_e64 s3, 0, v[218:219]
	s_delay_alu instid0(VALU_DEP_1) | instskip(NEXT) | instid1(SALU_CYCLE_1)
	s_or_b32 s3, vcc_lo, s3
	s_and_b32 exec_lo, exec_lo, s3
	s_cbranch_execz .LBB119_152
; %bb.147:
	v_cmp_gt_f64_e32 vcc_lo, 0, v[216:217]
	v_xor_b32_e32 v212, 0x80000000, v217
	s_mov_b32 s3, exec_lo
                                        ; implicit-def: $vgpr224_vgpr225
	s_delay_alu instid0(VALU_DEP_1) | instskip(SKIP_3) | instid1(VALU_DEP_1)
	v_cndmask_b32_e32 v221, v217, v212, vcc_lo
	v_cndmask_b32_e32 v220, v216, v216, vcc_lo
	v_cmp_gt_f64_e32 vcc_lo, 0, v[218:219]
	v_xor_b32_e32 v212, 0x80000000, v219
	v_dual_cndmask_b32 v222, v218, v218 :: v_dual_cndmask_b32 v223, v219, v212
	s_delay_alu instid0(VALU_DEP_1)
	v_cmpx_ngt_f64_e32 v[220:221], v[222:223]
	s_xor_b32 s3, exec_lo, s3
                                        ; implicit-def: $vgpr220_vgpr221_vgpr222_vgpr223
	s_cbranch_execz .LBB119_149
; %bb.148:
	v_div_scale_f64 v[220:221], null, v[218:219], v[218:219], v[216:217]
	v_div_scale_f64 v[226:227], vcc_lo, v[216:217], v[218:219], v[216:217]
	s_delay_alu instid0(VALU_DEP_2) | instskip(SKIP_2) | instid1(VALU_DEP_1)
	v_rcp_f64_e32 v[222:223], v[220:221]
	s_waitcnt_depctr 0xfff
	v_fma_f64 v[224:225], -v[220:221], v[222:223], 1.0
	v_fma_f64 v[222:223], v[222:223], v[224:225], v[222:223]
	s_delay_alu instid0(VALU_DEP_1) | instskip(NEXT) | instid1(VALU_DEP_1)
	v_fma_f64 v[224:225], -v[220:221], v[222:223], 1.0
	v_fma_f64 v[222:223], v[222:223], v[224:225], v[222:223]
	s_delay_alu instid0(VALU_DEP_1) | instskip(NEXT) | instid1(VALU_DEP_1)
	v_mul_f64 v[224:225], v[226:227], v[222:223]
	v_fma_f64 v[220:221], -v[220:221], v[224:225], v[226:227]
	s_delay_alu instid0(VALU_DEP_1) | instskip(NEXT) | instid1(VALU_DEP_1)
	v_div_fmas_f64 v[220:221], v[220:221], v[222:223], v[224:225]
	v_div_fixup_f64 v[220:221], v[220:221], v[218:219], v[216:217]
	s_delay_alu instid0(VALU_DEP_1) | instskip(NEXT) | instid1(VALU_DEP_1)
	v_fma_f64 v[216:217], v[216:217], v[220:221], v[218:219]
	v_div_scale_f64 v[218:219], null, v[216:217], v[216:217], 1.0
	s_delay_alu instid0(VALU_DEP_1) | instskip(SKIP_2) | instid1(VALU_DEP_1)
	v_rcp_f64_e32 v[222:223], v[218:219]
	s_waitcnt_depctr 0xfff
	v_fma_f64 v[224:225], -v[218:219], v[222:223], 1.0
	v_fma_f64 v[222:223], v[222:223], v[224:225], v[222:223]
	s_delay_alu instid0(VALU_DEP_1) | instskip(NEXT) | instid1(VALU_DEP_1)
	v_fma_f64 v[224:225], -v[218:219], v[222:223], 1.0
	v_fma_f64 v[222:223], v[222:223], v[224:225], v[222:223]
	v_div_scale_f64 v[224:225], vcc_lo, 1.0, v[216:217], 1.0
	s_delay_alu instid0(VALU_DEP_1) | instskip(NEXT) | instid1(VALU_DEP_1)
	v_mul_f64 v[226:227], v[224:225], v[222:223]
	v_fma_f64 v[218:219], -v[218:219], v[226:227], v[224:225]
	s_delay_alu instid0(VALU_DEP_1) | instskip(NEXT) | instid1(VALU_DEP_1)
	v_div_fmas_f64 v[218:219], v[218:219], v[222:223], v[226:227]
	v_div_fixup_f64 v[222:223], v[218:219], v[216:217], 1.0
                                        ; implicit-def: $vgpr216_vgpr217
	s_delay_alu instid0(VALU_DEP_1)
	v_mul_f64 v[224:225], v[220:221], v[222:223]
	v_xor_b32_e32 v223, 0x80000000, v223
.LBB119_149:
	s_and_not1_saveexec_b32 s3, s3
	s_cbranch_execz .LBB119_151
; %bb.150:
	v_div_scale_f64 v[220:221], null, v[216:217], v[216:217], v[218:219]
	v_div_scale_f64 v[226:227], vcc_lo, v[218:219], v[216:217], v[218:219]
	s_delay_alu instid0(VALU_DEP_2) | instskip(SKIP_2) | instid1(VALU_DEP_1)
	v_rcp_f64_e32 v[222:223], v[220:221]
	s_waitcnt_depctr 0xfff
	v_fma_f64 v[224:225], -v[220:221], v[222:223], 1.0
	v_fma_f64 v[222:223], v[222:223], v[224:225], v[222:223]
	s_delay_alu instid0(VALU_DEP_1) | instskip(NEXT) | instid1(VALU_DEP_1)
	v_fma_f64 v[224:225], -v[220:221], v[222:223], 1.0
	v_fma_f64 v[222:223], v[222:223], v[224:225], v[222:223]
	s_delay_alu instid0(VALU_DEP_1) | instskip(NEXT) | instid1(VALU_DEP_1)
	v_mul_f64 v[224:225], v[226:227], v[222:223]
	v_fma_f64 v[220:221], -v[220:221], v[224:225], v[226:227]
	s_delay_alu instid0(VALU_DEP_1) | instskip(NEXT) | instid1(VALU_DEP_1)
	v_div_fmas_f64 v[220:221], v[220:221], v[222:223], v[224:225]
	v_div_fixup_f64 v[220:221], v[220:221], v[216:217], v[218:219]
	s_delay_alu instid0(VALU_DEP_1) | instskip(NEXT) | instid1(VALU_DEP_1)
	v_fma_f64 v[216:217], v[218:219], v[220:221], v[216:217]
	v_div_scale_f64 v[218:219], null, v[216:217], v[216:217], 1.0
	s_delay_alu instid0(VALU_DEP_1) | instskip(SKIP_2) | instid1(VALU_DEP_1)
	v_rcp_f64_e32 v[222:223], v[218:219]
	s_waitcnt_depctr 0xfff
	v_fma_f64 v[224:225], -v[218:219], v[222:223], 1.0
	v_fma_f64 v[222:223], v[222:223], v[224:225], v[222:223]
	s_delay_alu instid0(VALU_DEP_1) | instskip(NEXT) | instid1(VALU_DEP_1)
	v_fma_f64 v[224:225], -v[218:219], v[222:223], 1.0
	v_fma_f64 v[222:223], v[222:223], v[224:225], v[222:223]
	v_div_scale_f64 v[224:225], vcc_lo, 1.0, v[216:217], 1.0
	s_delay_alu instid0(VALU_DEP_1) | instskip(NEXT) | instid1(VALU_DEP_1)
	v_mul_f64 v[226:227], v[224:225], v[222:223]
	v_fma_f64 v[218:219], -v[218:219], v[226:227], v[224:225]
	s_delay_alu instid0(VALU_DEP_1) | instskip(NEXT) | instid1(VALU_DEP_1)
	v_div_fmas_f64 v[218:219], v[218:219], v[222:223], v[226:227]
	v_div_fixup_f64 v[224:225], v[218:219], v[216:217], 1.0
	s_delay_alu instid0(VALU_DEP_1)
	v_mul_f64 v[222:223], v[220:221], -v[224:225]
.LBB119_151:
	s_or_b32 exec_lo, exec_lo, s3
	ds_store_2addr_b64 v248, v[224:225], v[222:223] offset1:1
.LBB119_152:
	s_or_b32 exec_lo, exec_lo, s4
	s_waitcnt lgkmcnt(0)
	s_barrier
	buffer_gl0_inv
	ds_load_2addr_b64 v[211:214], v248 offset1:1
	s_mov_b32 s3, exec_lo
	s_waitcnt lgkmcnt(0)
	scratch_store_b128 off, v[211:214], off offset:856 ; 16-byte Folded Spill
	v_cmpx_lt_u32_e32 16, v251
	s_cbranch_execz .LBB119_154
; %bb.153:
	scratch_load_b128 v[211:214], off, off offset:856 ; 16-byte Folded Reload
	ds_load_2addr_b64 v[218:221], v250 offset0:34 offset1:35
	s_waitcnt vmcnt(0)
	v_mul_f64 v[216:217], v[213:214], v[174:175]
	v_mul_f64 v[174:175], v[211:212], v[174:175]
	s_delay_alu instid0(VALU_DEP_2) | instskip(NEXT) | instid1(VALU_DEP_2)
	v_fma_f64 v[216:217], v[211:212], v[172:173], -v[216:217]
	v_fma_f64 v[174:175], v[213:214], v[172:173], v[174:175]
	s_waitcnt lgkmcnt(0)
	s_delay_alu instid0(VALU_DEP_1) | instskip(NEXT) | instid1(VALU_DEP_1)
	v_mul_f64 v[172:173], v[220:221], v[174:175]
	v_fma_f64 v[172:173], v[218:219], v[216:217], -v[172:173]
	v_mul_f64 v[218:219], v[218:219], v[174:175]
	s_delay_alu instid0(VALU_DEP_2) | instskip(NEXT) | instid1(VALU_DEP_2)
	v_add_f64 v[168:169], v[168:169], -v[172:173]
	v_fma_f64 v[218:219], v[220:221], v[216:217], v[218:219]
	s_delay_alu instid0(VALU_DEP_1) | instskip(SKIP_3) | instid1(VALU_DEP_1)
	v_add_f64 v[170:171], v[170:171], -v[218:219]
	ds_load_2addr_b64 v[218:221], v250 offset0:36 offset1:37
	s_waitcnt lgkmcnt(0)
	v_mul_f64 v[172:173], v[220:221], v[174:175]
	v_fma_f64 v[172:173], v[218:219], v[216:217], -v[172:173]
	v_mul_f64 v[218:219], v[218:219], v[174:175]
	s_delay_alu instid0(VALU_DEP_2) | instskip(NEXT) | instid1(VALU_DEP_2)
	v_add_f64 v[164:165], v[164:165], -v[172:173]
	v_fma_f64 v[218:219], v[220:221], v[216:217], v[218:219]
	s_delay_alu instid0(VALU_DEP_1) | instskip(SKIP_3) | instid1(VALU_DEP_1)
	v_add_f64 v[166:167], v[166:167], -v[218:219]
	ds_load_2addr_b64 v[218:221], v250 offset0:38 offset1:39
	s_waitcnt lgkmcnt(0)
	;; [unrolled: 10-line block ×42, first 2 shown]
	v_mul_f64 v[172:173], v[220:221], v[174:175]
	v_fma_f64 v[172:173], v[218:219], v[216:217], -v[172:173]
	v_mul_f64 v[218:219], v[218:219], v[174:175]
	s_delay_alu instid0(VALU_DEP_2) | instskip(NEXT) | instid1(VALU_DEP_2)
	v_add_f64 v[0:1], v[0:1], -v[172:173]
	v_fma_f64 v[218:219], v[220:221], v[216:217], v[218:219]
	v_dual_mov_b32 v172, v216 :: v_dual_mov_b32 v173, v217
	s_delay_alu instid0(VALU_DEP_2)
	v_add_f64 v[2:3], v[2:3], -v[218:219]
.LBB119_154:
	s_or_b32 exec_lo, exec_lo, s3
	s_delay_alu instid0(SALU_CYCLE_1)
	s_mov_b32 s4, exec_lo
	s_waitcnt_vscnt null, 0x0
	s_barrier
	buffer_gl0_inv
	v_cmpx_eq_u32_e32 17, v251
	s_cbranch_execz .LBB119_161
; %bb.155:
	ds_store_2addr_b64 v248, v[168:169], v[170:171] offset1:1
	ds_store_2addr_b64 v250, v[164:165], v[166:167] offset0:36 offset1:37
	ds_store_2addr_b64 v250, v[160:161], v[162:163] offset0:38 offset1:39
	;; [unrolled: 1-line block ×42, first 2 shown]
	ds_load_2addr_b64 v[216:219], v248 offset1:1
	s_waitcnt lgkmcnt(0)
	v_cmp_neq_f64_e32 vcc_lo, 0, v[216:217]
	v_cmp_neq_f64_e64 s3, 0, v[218:219]
	s_delay_alu instid0(VALU_DEP_1) | instskip(NEXT) | instid1(SALU_CYCLE_1)
	s_or_b32 s3, vcc_lo, s3
	s_and_b32 exec_lo, exec_lo, s3
	s_cbranch_execz .LBB119_161
; %bb.156:
	v_cmp_gt_f64_e32 vcc_lo, 0, v[216:217]
	v_xor_b32_e32 v212, 0x80000000, v217
	s_mov_b32 s3, exec_lo
                                        ; implicit-def: $vgpr224_vgpr225
	s_delay_alu instid0(VALU_DEP_1) | instskip(SKIP_3) | instid1(VALU_DEP_1)
	v_cndmask_b32_e32 v221, v217, v212, vcc_lo
	v_cndmask_b32_e32 v220, v216, v216, vcc_lo
	v_cmp_gt_f64_e32 vcc_lo, 0, v[218:219]
	v_xor_b32_e32 v212, 0x80000000, v219
	v_dual_cndmask_b32 v222, v218, v218 :: v_dual_cndmask_b32 v223, v219, v212
	s_delay_alu instid0(VALU_DEP_1)
	v_cmpx_ngt_f64_e32 v[220:221], v[222:223]
	s_xor_b32 s3, exec_lo, s3
                                        ; implicit-def: $vgpr220_vgpr221_vgpr222_vgpr223
	s_cbranch_execz .LBB119_158
; %bb.157:
	v_div_scale_f64 v[220:221], null, v[218:219], v[218:219], v[216:217]
	v_div_scale_f64 v[226:227], vcc_lo, v[216:217], v[218:219], v[216:217]
	s_delay_alu instid0(VALU_DEP_2) | instskip(SKIP_2) | instid1(VALU_DEP_1)
	v_rcp_f64_e32 v[222:223], v[220:221]
	s_waitcnt_depctr 0xfff
	v_fma_f64 v[224:225], -v[220:221], v[222:223], 1.0
	v_fma_f64 v[222:223], v[222:223], v[224:225], v[222:223]
	s_delay_alu instid0(VALU_DEP_1) | instskip(NEXT) | instid1(VALU_DEP_1)
	v_fma_f64 v[224:225], -v[220:221], v[222:223], 1.0
	v_fma_f64 v[222:223], v[222:223], v[224:225], v[222:223]
	s_delay_alu instid0(VALU_DEP_1) | instskip(NEXT) | instid1(VALU_DEP_1)
	v_mul_f64 v[224:225], v[226:227], v[222:223]
	v_fma_f64 v[220:221], -v[220:221], v[224:225], v[226:227]
	s_delay_alu instid0(VALU_DEP_1) | instskip(NEXT) | instid1(VALU_DEP_1)
	v_div_fmas_f64 v[220:221], v[220:221], v[222:223], v[224:225]
	v_div_fixup_f64 v[220:221], v[220:221], v[218:219], v[216:217]
	s_delay_alu instid0(VALU_DEP_1) | instskip(NEXT) | instid1(VALU_DEP_1)
	v_fma_f64 v[216:217], v[216:217], v[220:221], v[218:219]
	v_div_scale_f64 v[218:219], null, v[216:217], v[216:217], 1.0
	s_delay_alu instid0(VALU_DEP_1) | instskip(SKIP_2) | instid1(VALU_DEP_1)
	v_rcp_f64_e32 v[222:223], v[218:219]
	s_waitcnt_depctr 0xfff
	v_fma_f64 v[224:225], -v[218:219], v[222:223], 1.0
	v_fma_f64 v[222:223], v[222:223], v[224:225], v[222:223]
	s_delay_alu instid0(VALU_DEP_1) | instskip(NEXT) | instid1(VALU_DEP_1)
	v_fma_f64 v[224:225], -v[218:219], v[222:223], 1.0
	v_fma_f64 v[222:223], v[222:223], v[224:225], v[222:223]
	v_div_scale_f64 v[224:225], vcc_lo, 1.0, v[216:217], 1.0
	s_delay_alu instid0(VALU_DEP_1) | instskip(NEXT) | instid1(VALU_DEP_1)
	v_mul_f64 v[226:227], v[224:225], v[222:223]
	v_fma_f64 v[218:219], -v[218:219], v[226:227], v[224:225]
	s_delay_alu instid0(VALU_DEP_1) | instskip(NEXT) | instid1(VALU_DEP_1)
	v_div_fmas_f64 v[218:219], v[218:219], v[222:223], v[226:227]
	v_div_fixup_f64 v[222:223], v[218:219], v[216:217], 1.0
                                        ; implicit-def: $vgpr216_vgpr217
	s_delay_alu instid0(VALU_DEP_1)
	v_mul_f64 v[224:225], v[220:221], v[222:223]
	v_xor_b32_e32 v223, 0x80000000, v223
.LBB119_158:
	s_and_not1_saveexec_b32 s3, s3
	s_cbranch_execz .LBB119_160
; %bb.159:
	v_div_scale_f64 v[220:221], null, v[216:217], v[216:217], v[218:219]
	v_div_scale_f64 v[226:227], vcc_lo, v[218:219], v[216:217], v[218:219]
	s_delay_alu instid0(VALU_DEP_2) | instskip(SKIP_2) | instid1(VALU_DEP_1)
	v_rcp_f64_e32 v[222:223], v[220:221]
	s_waitcnt_depctr 0xfff
	v_fma_f64 v[224:225], -v[220:221], v[222:223], 1.0
	v_fma_f64 v[222:223], v[222:223], v[224:225], v[222:223]
	s_delay_alu instid0(VALU_DEP_1) | instskip(NEXT) | instid1(VALU_DEP_1)
	v_fma_f64 v[224:225], -v[220:221], v[222:223], 1.0
	v_fma_f64 v[222:223], v[222:223], v[224:225], v[222:223]
	s_delay_alu instid0(VALU_DEP_1) | instskip(NEXT) | instid1(VALU_DEP_1)
	v_mul_f64 v[224:225], v[226:227], v[222:223]
	v_fma_f64 v[220:221], -v[220:221], v[224:225], v[226:227]
	s_delay_alu instid0(VALU_DEP_1) | instskip(NEXT) | instid1(VALU_DEP_1)
	v_div_fmas_f64 v[220:221], v[220:221], v[222:223], v[224:225]
	v_div_fixup_f64 v[220:221], v[220:221], v[216:217], v[218:219]
	s_delay_alu instid0(VALU_DEP_1) | instskip(NEXT) | instid1(VALU_DEP_1)
	v_fma_f64 v[216:217], v[218:219], v[220:221], v[216:217]
	v_div_scale_f64 v[218:219], null, v[216:217], v[216:217], 1.0
	s_delay_alu instid0(VALU_DEP_1) | instskip(SKIP_2) | instid1(VALU_DEP_1)
	v_rcp_f64_e32 v[222:223], v[218:219]
	s_waitcnt_depctr 0xfff
	v_fma_f64 v[224:225], -v[218:219], v[222:223], 1.0
	v_fma_f64 v[222:223], v[222:223], v[224:225], v[222:223]
	s_delay_alu instid0(VALU_DEP_1) | instskip(NEXT) | instid1(VALU_DEP_1)
	v_fma_f64 v[224:225], -v[218:219], v[222:223], 1.0
	v_fma_f64 v[222:223], v[222:223], v[224:225], v[222:223]
	v_div_scale_f64 v[224:225], vcc_lo, 1.0, v[216:217], 1.0
	s_delay_alu instid0(VALU_DEP_1) | instskip(NEXT) | instid1(VALU_DEP_1)
	v_mul_f64 v[226:227], v[224:225], v[222:223]
	v_fma_f64 v[218:219], -v[218:219], v[226:227], v[224:225]
	s_delay_alu instid0(VALU_DEP_1) | instskip(NEXT) | instid1(VALU_DEP_1)
	v_div_fmas_f64 v[218:219], v[218:219], v[222:223], v[226:227]
	v_div_fixup_f64 v[224:225], v[218:219], v[216:217], 1.0
	s_delay_alu instid0(VALU_DEP_1)
	v_mul_f64 v[222:223], v[220:221], -v[224:225]
.LBB119_160:
	s_or_b32 exec_lo, exec_lo, s3
	ds_store_2addr_b64 v248, v[224:225], v[222:223] offset1:1
.LBB119_161:
	s_or_b32 exec_lo, exec_lo, s4
	s_waitcnt lgkmcnt(0)
	s_barrier
	buffer_gl0_inv
	ds_load_2addr_b64 v[211:214], v248 offset1:1
	s_mov_b32 s3, exec_lo
	s_waitcnt lgkmcnt(0)
	scratch_store_b128 off, v[211:214], off offset:872 ; 16-byte Folded Spill
	v_cmpx_lt_u32_e32 17, v251
	s_cbranch_execz .LBB119_163
; %bb.162:
	scratch_load_b128 v[211:214], off, off offset:872 ; 16-byte Folded Reload
	ds_load_2addr_b64 v[218:221], v250 offset0:36 offset1:37
	s_waitcnt vmcnt(0)
	v_mul_f64 v[216:217], v[213:214], v[170:171]
	v_mul_f64 v[170:171], v[211:212], v[170:171]
	s_delay_alu instid0(VALU_DEP_2) | instskip(NEXT) | instid1(VALU_DEP_2)
	v_fma_f64 v[216:217], v[211:212], v[168:169], -v[216:217]
	v_fma_f64 v[170:171], v[213:214], v[168:169], v[170:171]
	s_waitcnt lgkmcnt(0)
	s_delay_alu instid0(VALU_DEP_1) | instskip(NEXT) | instid1(VALU_DEP_1)
	v_mul_f64 v[168:169], v[220:221], v[170:171]
	v_fma_f64 v[168:169], v[218:219], v[216:217], -v[168:169]
	v_mul_f64 v[218:219], v[218:219], v[170:171]
	s_delay_alu instid0(VALU_DEP_2) | instskip(NEXT) | instid1(VALU_DEP_2)
	v_add_f64 v[164:165], v[164:165], -v[168:169]
	v_fma_f64 v[218:219], v[220:221], v[216:217], v[218:219]
	s_delay_alu instid0(VALU_DEP_1) | instskip(SKIP_3) | instid1(VALU_DEP_1)
	v_add_f64 v[166:167], v[166:167], -v[218:219]
	ds_load_2addr_b64 v[218:221], v250 offset0:38 offset1:39
	s_waitcnt lgkmcnt(0)
	v_mul_f64 v[168:169], v[220:221], v[170:171]
	v_fma_f64 v[168:169], v[218:219], v[216:217], -v[168:169]
	v_mul_f64 v[218:219], v[218:219], v[170:171]
	s_delay_alu instid0(VALU_DEP_2) | instskip(NEXT) | instid1(VALU_DEP_2)
	v_add_f64 v[160:161], v[160:161], -v[168:169]
	v_fma_f64 v[218:219], v[220:221], v[216:217], v[218:219]
	s_delay_alu instid0(VALU_DEP_1) | instskip(SKIP_3) | instid1(VALU_DEP_1)
	v_add_f64 v[162:163], v[162:163], -v[218:219]
	ds_load_2addr_b64 v[218:221], v250 offset0:40 offset1:41
	s_waitcnt lgkmcnt(0)
	;; [unrolled: 10-line block ×41, first 2 shown]
	v_mul_f64 v[168:169], v[220:221], v[170:171]
	v_fma_f64 v[168:169], v[218:219], v[216:217], -v[168:169]
	v_mul_f64 v[218:219], v[218:219], v[170:171]
	s_delay_alu instid0(VALU_DEP_2) | instskip(NEXT) | instid1(VALU_DEP_2)
	v_add_f64 v[0:1], v[0:1], -v[168:169]
	v_fma_f64 v[218:219], v[220:221], v[216:217], v[218:219]
	v_dual_mov_b32 v168, v216 :: v_dual_mov_b32 v169, v217
	s_delay_alu instid0(VALU_DEP_2)
	v_add_f64 v[2:3], v[2:3], -v[218:219]
.LBB119_163:
	s_or_b32 exec_lo, exec_lo, s3
	s_delay_alu instid0(SALU_CYCLE_1)
	s_mov_b32 s4, exec_lo
	s_waitcnt_vscnt null, 0x0
	s_barrier
	buffer_gl0_inv
	v_cmpx_eq_u32_e32 18, v251
	s_cbranch_execz .LBB119_170
; %bb.164:
	ds_store_2addr_b64 v248, v[164:165], v[166:167] offset1:1
	ds_store_2addr_b64 v250, v[160:161], v[162:163] offset0:38 offset1:39
	ds_store_2addr_b64 v250, v[156:157], v[158:159] offset0:40 offset1:41
	;; [unrolled: 1-line block ×41, first 2 shown]
	ds_load_2addr_b64 v[216:219], v248 offset1:1
	s_waitcnt lgkmcnt(0)
	v_cmp_neq_f64_e32 vcc_lo, 0, v[216:217]
	v_cmp_neq_f64_e64 s3, 0, v[218:219]
	s_delay_alu instid0(VALU_DEP_1) | instskip(NEXT) | instid1(SALU_CYCLE_1)
	s_or_b32 s3, vcc_lo, s3
	s_and_b32 exec_lo, exec_lo, s3
	s_cbranch_execz .LBB119_170
; %bb.165:
	v_cmp_gt_f64_e32 vcc_lo, 0, v[216:217]
	v_xor_b32_e32 v212, 0x80000000, v217
	s_mov_b32 s3, exec_lo
                                        ; implicit-def: $vgpr224_vgpr225
	s_delay_alu instid0(VALU_DEP_1) | instskip(SKIP_3) | instid1(VALU_DEP_1)
	v_cndmask_b32_e32 v221, v217, v212, vcc_lo
	v_cndmask_b32_e32 v220, v216, v216, vcc_lo
	v_cmp_gt_f64_e32 vcc_lo, 0, v[218:219]
	v_xor_b32_e32 v212, 0x80000000, v219
	v_dual_cndmask_b32 v222, v218, v218 :: v_dual_cndmask_b32 v223, v219, v212
	s_delay_alu instid0(VALU_DEP_1)
	v_cmpx_ngt_f64_e32 v[220:221], v[222:223]
	s_xor_b32 s3, exec_lo, s3
                                        ; implicit-def: $vgpr220_vgpr221_vgpr222_vgpr223
	s_cbranch_execz .LBB119_167
; %bb.166:
	v_div_scale_f64 v[220:221], null, v[218:219], v[218:219], v[216:217]
	v_div_scale_f64 v[226:227], vcc_lo, v[216:217], v[218:219], v[216:217]
	s_delay_alu instid0(VALU_DEP_2) | instskip(SKIP_2) | instid1(VALU_DEP_1)
	v_rcp_f64_e32 v[222:223], v[220:221]
	s_waitcnt_depctr 0xfff
	v_fma_f64 v[224:225], -v[220:221], v[222:223], 1.0
	v_fma_f64 v[222:223], v[222:223], v[224:225], v[222:223]
	s_delay_alu instid0(VALU_DEP_1) | instskip(NEXT) | instid1(VALU_DEP_1)
	v_fma_f64 v[224:225], -v[220:221], v[222:223], 1.0
	v_fma_f64 v[222:223], v[222:223], v[224:225], v[222:223]
	s_delay_alu instid0(VALU_DEP_1) | instskip(NEXT) | instid1(VALU_DEP_1)
	v_mul_f64 v[224:225], v[226:227], v[222:223]
	v_fma_f64 v[220:221], -v[220:221], v[224:225], v[226:227]
	s_delay_alu instid0(VALU_DEP_1) | instskip(NEXT) | instid1(VALU_DEP_1)
	v_div_fmas_f64 v[220:221], v[220:221], v[222:223], v[224:225]
	v_div_fixup_f64 v[220:221], v[220:221], v[218:219], v[216:217]
	s_delay_alu instid0(VALU_DEP_1) | instskip(NEXT) | instid1(VALU_DEP_1)
	v_fma_f64 v[216:217], v[216:217], v[220:221], v[218:219]
	v_div_scale_f64 v[218:219], null, v[216:217], v[216:217], 1.0
	s_delay_alu instid0(VALU_DEP_1) | instskip(SKIP_2) | instid1(VALU_DEP_1)
	v_rcp_f64_e32 v[222:223], v[218:219]
	s_waitcnt_depctr 0xfff
	v_fma_f64 v[224:225], -v[218:219], v[222:223], 1.0
	v_fma_f64 v[222:223], v[222:223], v[224:225], v[222:223]
	s_delay_alu instid0(VALU_DEP_1) | instskip(NEXT) | instid1(VALU_DEP_1)
	v_fma_f64 v[224:225], -v[218:219], v[222:223], 1.0
	v_fma_f64 v[222:223], v[222:223], v[224:225], v[222:223]
	v_div_scale_f64 v[224:225], vcc_lo, 1.0, v[216:217], 1.0
	s_delay_alu instid0(VALU_DEP_1) | instskip(NEXT) | instid1(VALU_DEP_1)
	v_mul_f64 v[226:227], v[224:225], v[222:223]
	v_fma_f64 v[218:219], -v[218:219], v[226:227], v[224:225]
	s_delay_alu instid0(VALU_DEP_1) | instskip(NEXT) | instid1(VALU_DEP_1)
	v_div_fmas_f64 v[218:219], v[218:219], v[222:223], v[226:227]
	v_div_fixup_f64 v[222:223], v[218:219], v[216:217], 1.0
                                        ; implicit-def: $vgpr216_vgpr217
	s_delay_alu instid0(VALU_DEP_1)
	v_mul_f64 v[224:225], v[220:221], v[222:223]
	v_xor_b32_e32 v223, 0x80000000, v223
.LBB119_167:
	s_and_not1_saveexec_b32 s3, s3
	s_cbranch_execz .LBB119_169
; %bb.168:
	v_div_scale_f64 v[220:221], null, v[216:217], v[216:217], v[218:219]
	v_div_scale_f64 v[226:227], vcc_lo, v[218:219], v[216:217], v[218:219]
	s_delay_alu instid0(VALU_DEP_2) | instskip(SKIP_2) | instid1(VALU_DEP_1)
	v_rcp_f64_e32 v[222:223], v[220:221]
	s_waitcnt_depctr 0xfff
	v_fma_f64 v[224:225], -v[220:221], v[222:223], 1.0
	v_fma_f64 v[222:223], v[222:223], v[224:225], v[222:223]
	s_delay_alu instid0(VALU_DEP_1) | instskip(NEXT) | instid1(VALU_DEP_1)
	v_fma_f64 v[224:225], -v[220:221], v[222:223], 1.0
	v_fma_f64 v[222:223], v[222:223], v[224:225], v[222:223]
	s_delay_alu instid0(VALU_DEP_1) | instskip(NEXT) | instid1(VALU_DEP_1)
	v_mul_f64 v[224:225], v[226:227], v[222:223]
	v_fma_f64 v[220:221], -v[220:221], v[224:225], v[226:227]
	s_delay_alu instid0(VALU_DEP_1) | instskip(NEXT) | instid1(VALU_DEP_1)
	v_div_fmas_f64 v[220:221], v[220:221], v[222:223], v[224:225]
	v_div_fixup_f64 v[220:221], v[220:221], v[216:217], v[218:219]
	s_delay_alu instid0(VALU_DEP_1) | instskip(NEXT) | instid1(VALU_DEP_1)
	v_fma_f64 v[216:217], v[218:219], v[220:221], v[216:217]
	v_div_scale_f64 v[218:219], null, v[216:217], v[216:217], 1.0
	s_delay_alu instid0(VALU_DEP_1) | instskip(SKIP_2) | instid1(VALU_DEP_1)
	v_rcp_f64_e32 v[222:223], v[218:219]
	s_waitcnt_depctr 0xfff
	v_fma_f64 v[224:225], -v[218:219], v[222:223], 1.0
	v_fma_f64 v[222:223], v[222:223], v[224:225], v[222:223]
	s_delay_alu instid0(VALU_DEP_1) | instskip(NEXT) | instid1(VALU_DEP_1)
	v_fma_f64 v[224:225], -v[218:219], v[222:223], 1.0
	v_fma_f64 v[222:223], v[222:223], v[224:225], v[222:223]
	v_div_scale_f64 v[224:225], vcc_lo, 1.0, v[216:217], 1.0
	s_delay_alu instid0(VALU_DEP_1) | instskip(NEXT) | instid1(VALU_DEP_1)
	v_mul_f64 v[226:227], v[224:225], v[222:223]
	v_fma_f64 v[218:219], -v[218:219], v[226:227], v[224:225]
	s_delay_alu instid0(VALU_DEP_1) | instskip(NEXT) | instid1(VALU_DEP_1)
	v_div_fmas_f64 v[218:219], v[218:219], v[222:223], v[226:227]
	v_div_fixup_f64 v[224:225], v[218:219], v[216:217], 1.0
	s_delay_alu instid0(VALU_DEP_1)
	v_mul_f64 v[222:223], v[220:221], -v[224:225]
.LBB119_169:
	s_or_b32 exec_lo, exec_lo, s3
	ds_store_2addr_b64 v248, v[224:225], v[222:223] offset1:1
.LBB119_170:
	s_or_b32 exec_lo, exec_lo, s4
	s_waitcnt lgkmcnt(0)
	s_barrier
	buffer_gl0_inv
	ds_load_2addr_b64 v[211:214], v248 offset1:1
	s_mov_b32 s3, exec_lo
	s_waitcnt lgkmcnt(0)
	scratch_store_b128 off, v[211:214], off offset:888 ; 16-byte Folded Spill
	v_cmpx_lt_u32_e32 18, v251
	s_cbranch_execz .LBB119_172
; %bb.171:
	scratch_load_b128 v[211:214], off, off offset:888 ; 16-byte Folded Reload
	ds_load_2addr_b64 v[218:221], v250 offset0:38 offset1:39
	s_waitcnt vmcnt(0)
	v_mul_f64 v[216:217], v[213:214], v[166:167]
	v_mul_f64 v[166:167], v[211:212], v[166:167]
	s_delay_alu instid0(VALU_DEP_2) | instskip(NEXT) | instid1(VALU_DEP_2)
	v_fma_f64 v[216:217], v[211:212], v[164:165], -v[216:217]
	v_fma_f64 v[166:167], v[213:214], v[164:165], v[166:167]
	s_waitcnt lgkmcnt(0)
	s_delay_alu instid0(VALU_DEP_1) | instskip(NEXT) | instid1(VALU_DEP_1)
	v_mul_f64 v[164:165], v[220:221], v[166:167]
	v_fma_f64 v[164:165], v[218:219], v[216:217], -v[164:165]
	v_mul_f64 v[218:219], v[218:219], v[166:167]
	s_delay_alu instid0(VALU_DEP_2) | instskip(NEXT) | instid1(VALU_DEP_2)
	v_add_f64 v[160:161], v[160:161], -v[164:165]
	v_fma_f64 v[218:219], v[220:221], v[216:217], v[218:219]
	s_delay_alu instid0(VALU_DEP_1) | instskip(SKIP_3) | instid1(VALU_DEP_1)
	v_add_f64 v[162:163], v[162:163], -v[218:219]
	ds_load_2addr_b64 v[218:221], v250 offset0:40 offset1:41
	s_waitcnt lgkmcnt(0)
	v_mul_f64 v[164:165], v[220:221], v[166:167]
	v_fma_f64 v[164:165], v[218:219], v[216:217], -v[164:165]
	v_mul_f64 v[218:219], v[218:219], v[166:167]
	s_delay_alu instid0(VALU_DEP_2) | instskip(NEXT) | instid1(VALU_DEP_2)
	v_add_f64 v[156:157], v[156:157], -v[164:165]
	v_fma_f64 v[218:219], v[220:221], v[216:217], v[218:219]
	s_delay_alu instid0(VALU_DEP_1) | instskip(SKIP_3) | instid1(VALU_DEP_1)
	v_add_f64 v[158:159], v[158:159], -v[218:219]
	ds_load_2addr_b64 v[218:221], v250 offset0:42 offset1:43
	s_waitcnt lgkmcnt(0)
	;; [unrolled: 10-line block ×40, first 2 shown]
	v_mul_f64 v[164:165], v[220:221], v[166:167]
	v_fma_f64 v[164:165], v[218:219], v[216:217], -v[164:165]
	v_mul_f64 v[218:219], v[218:219], v[166:167]
	s_delay_alu instid0(VALU_DEP_2) | instskip(NEXT) | instid1(VALU_DEP_2)
	v_add_f64 v[0:1], v[0:1], -v[164:165]
	v_fma_f64 v[218:219], v[220:221], v[216:217], v[218:219]
	v_dual_mov_b32 v164, v216 :: v_dual_mov_b32 v165, v217
	s_delay_alu instid0(VALU_DEP_2)
	v_add_f64 v[2:3], v[2:3], -v[218:219]
.LBB119_172:
	s_or_b32 exec_lo, exec_lo, s3
	s_delay_alu instid0(SALU_CYCLE_1)
	s_mov_b32 s4, exec_lo
	s_waitcnt_vscnt null, 0x0
	s_barrier
	buffer_gl0_inv
	v_cmpx_eq_u32_e32 19, v251
	s_cbranch_execz .LBB119_179
; %bb.173:
	ds_store_2addr_b64 v248, v[160:161], v[162:163] offset1:1
	ds_store_2addr_b64 v250, v[156:157], v[158:159] offset0:40 offset1:41
	ds_store_2addr_b64 v250, v[152:153], v[154:155] offset0:42 offset1:43
	;; [unrolled: 1-line block ×40, first 2 shown]
	ds_load_2addr_b64 v[216:219], v248 offset1:1
	s_waitcnt lgkmcnt(0)
	v_cmp_neq_f64_e32 vcc_lo, 0, v[216:217]
	v_cmp_neq_f64_e64 s3, 0, v[218:219]
	s_delay_alu instid0(VALU_DEP_1) | instskip(NEXT) | instid1(SALU_CYCLE_1)
	s_or_b32 s3, vcc_lo, s3
	s_and_b32 exec_lo, exec_lo, s3
	s_cbranch_execz .LBB119_179
; %bb.174:
	v_cmp_gt_f64_e32 vcc_lo, 0, v[216:217]
	v_xor_b32_e32 v212, 0x80000000, v217
	s_mov_b32 s3, exec_lo
                                        ; implicit-def: $vgpr224_vgpr225
	s_delay_alu instid0(VALU_DEP_1) | instskip(SKIP_3) | instid1(VALU_DEP_1)
	v_cndmask_b32_e32 v221, v217, v212, vcc_lo
	v_cndmask_b32_e32 v220, v216, v216, vcc_lo
	v_cmp_gt_f64_e32 vcc_lo, 0, v[218:219]
	v_xor_b32_e32 v212, 0x80000000, v219
	v_dual_cndmask_b32 v222, v218, v218 :: v_dual_cndmask_b32 v223, v219, v212
	s_delay_alu instid0(VALU_DEP_1)
	v_cmpx_ngt_f64_e32 v[220:221], v[222:223]
	s_xor_b32 s3, exec_lo, s3
                                        ; implicit-def: $vgpr220_vgpr221_vgpr222_vgpr223
	s_cbranch_execz .LBB119_176
; %bb.175:
	v_div_scale_f64 v[220:221], null, v[218:219], v[218:219], v[216:217]
	v_div_scale_f64 v[226:227], vcc_lo, v[216:217], v[218:219], v[216:217]
	s_delay_alu instid0(VALU_DEP_2) | instskip(SKIP_2) | instid1(VALU_DEP_1)
	v_rcp_f64_e32 v[222:223], v[220:221]
	s_waitcnt_depctr 0xfff
	v_fma_f64 v[224:225], -v[220:221], v[222:223], 1.0
	v_fma_f64 v[222:223], v[222:223], v[224:225], v[222:223]
	s_delay_alu instid0(VALU_DEP_1) | instskip(NEXT) | instid1(VALU_DEP_1)
	v_fma_f64 v[224:225], -v[220:221], v[222:223], 1.0
	v_fma_f64 v[222:223], v[222:223], v[224:225], v[222:223]
	s_delay_alu instid0(VALU_DEP_1) | instskip(NEXT) | instid1(VALU_DEP_1)
	v_mul_f64 v[224:225], v[226:227], v[222:223]
	v_fma_f64 v[220:221], -v[220:221], v[224:225], v[226:227]
	s_delay_alu instid0(VALU_DEP_1) | instskip(NEXT) | instid1(VALU_DEP_1)
	v_div_fmas_f64 v[220:221], v[220:221], v[222:223], v[224:225]
	v_div_fixup_f64 v[220:221], v[220:221], v[218:219], v[216:217]
	s_delay_alu instid0(VALU_DEP_1) | instskip(NEXT) | instid1(VALU_DEP_1)
	v_fma_f64 v[216:217], v[216:217], v[220:221], v[218:219]
	v_div_scale_f64 v[218:219], null, v[216:217], v[216:217], 1.0
	s_delay_alu instid0(VALU_DEP_1) | instskip(SKIP_2) | instid1(VALU_DEP_1)
	v_rcp_f64_e32 v[222:223], v[218:219]
	s_waitcnt_depctr 0xfff
	v_fma_f64 v[224:225], -v[218:219], v[222:223], 1.0
	v_fma_f64 v[222:223], v[222:223], v[224:225], v[222:223]
	s_delay_alu instid0(VALU_DEP_1) | instskip(NEXT) | instid1(VALU_DEP_1)
	v_fma_f64 v[224:225], -v[218:219], v[222:223], 1.0
	v_fma_f64 v[222:223], v[222:223], v[224:225], v[222:223]
	v_div_scale_f64 v[224:225], vcc_lo, 1.0, v[216:217], 1.0
	s_delay_alu instid0(VALU_DEP_1) | instskip(NEXT) | instid1(VALU_DEP_1)
	v_mul_f64 v[226:227], v[224:225], v[222:223]
	v_fma_f64 v[218:219], -v[218:219], v[226:227], v[224:225]
	s_delay_alu instid0(VALU_DEP_1) | instskip(NEXT) | instid1(VALU_DEP_1)
	v_div_fmas_f64 v[218:219], v[218:219], v[222:223], v[226:227]
	v_div_fixup_f64 v[222:223], v[218:219], v[216:217], 1.0
                                        ; implicit-def: $vgpr216_vgpr217
	s_delay_alu instid0(VALU_DEP_1)
	v_mul_f64 v[224:225], v[220:221], v[222:223]
	v_xor_b32_e32 v223, 0x80000000, v223
.LBB119_176:
	s_and_not1_saveexec_b32 s3, s3
	s_cbranch_execz .LBB119_178
; %bb.177:
	v_div_scale_f64 v[220:221], null, v[216:217], v[216:217], v[218:219]
	v_div_scale_f64 v[226:227], vcc_lo, v[218:219], v[216:217], v[218:219]
	s_delay_alu instid0(VALU_DEP_2) | instskip(SKIP_2) | instid1(VALU_DEP_1)
	v_rcp_f64_e32 v[222:223], v[220:221]
	s_waitcnt_depctr 0xfff
	v_fma_f64 v[224:225], -v[220:221], v[222:223], 1.0
	v_fma_f64 v[222:223], v[222:223], v[224:225], v[222:223]
	s_delay_alu instid0(VALU_DEP_1) | instskip(NEXT) | instid1(VALU_DEP_1)
	v_fma_f64 v[224:225], -v[220:221], v[222:223], 1.0
	v_fma_f64 v[222:223], v[222:223], v[224:225], v[222:223]
	s_delay_alu instid0(VALU_DEP_1) | instskip(NEXT) | instid1(VALU_DEP_1)
	v_mul_f64 v[224:225], v[226:227], v[222:223]
	v_fma_f64 v[220:221], -v[220:221], v[224:225], v[226:227]
	s_delay_alu instid0(VALU_DEP_1) | instskip(NEXT) | instid1(VALU_DEP_1)
	v_div_fmas_f64 v[220:221], v[220:221], v[222:223], v[224:225]
	v_div_fixup_f64 v[220:221], v[220:221], v[216:217], v[218:219]
	s_delay_alu instid0(VALU_DEP_1) | instskip(NEXT) | instid1(VALU_DEP_1)
	v_fma_f64 v[216:217], v[218:219], v[220:221], v[216:217]
	v_div_scale_f64 v[218:219], null, v[216:217], v[216:217], 1.0
	s_delay_alu instid0(VALU_DEP_1) | instskip(SKIP_2) | instid1(VALU_DEP_1)
	v_rcp_f64_e32 v[222:223], v[218:219]
	s_waitcnt_depctr 0xfff
	v_fma_f64 v[224:225], -v[218:219], v[222:223], 1.0
	v_fma_f64 v[222:223], v[222:223], v[224:225], v[222:223]
	s_delay_alu instid0(VALU_DEP_1) | instskip(NEXT) | instid1(VALU_DEP_1)
	v_fma_f64 v[224:225], -v[218:219], v[222:223], 1.0
	v_fma_f64 v[222:223], v[222:223], v[224:225], v[222:223]
	v_div_scale_f64 v[224:225], vcc_lo, 1.0, v[216:217], 1.0
	s_delay_alu instid0(VALU_DEP_1) | instskip(NEXT) | instid1(VALU_DEP_1)
	v_mul_f64 v[226:227], v[224:225], v[222:223]
	v_fma_f64 v[218:219], -v[218:219], v[226:227], v[224:225]
	s_delay_alu instid0(VALU_DEP_1) | instskip(NEXT) | instid1(VALU_DEP_1)
	v_div_fmas_f64 v[218:219], v[218:219], v[222:223], v[226:227]
	v_div_fixup_f64 v[224:225], v[218:219], v[216:217], 1.0
	s_delay_alu instid0(VALU_DEP_1)
	v_mul_f64 v[222:223], v[220:221], -v[224:225]
.LBB119_178:
	s_or_b32 exec_lo, exec_lo, s3
	ds_store_2addr_b64 v248, v[224:225], v[222:223] offset1:1
.LBB119_179:
	s_or_b32 exec_lo, exec_lo, s4
	s_waitcnt lgkmcnt(0)
	s_barrier
	buffer_gl0_inv
	ds_load_2addr_b64 v[211:214], v248 offset1:1
	s_mov_b32 s3, exec_lo
	s_waitcnt lgkmcnt(0)
	scratch_store_b128 off, v[211:214], off offset:904 ; 16-byte Folded Spill
	v_cmpx_lt_u32_e32 19, v251
	s_cbranch_execz .LBB119_181
; %bb.180:
	scratch_load_b128 v[211:214], off, off offset:904 ; 16-byte Folded Reload
	ds_load_2addr_b64 v[218:221], v250 offset0:40 offset1:41
	s_waitcnt vmcnt(0)
	v_mul_f64 v[216:217], v[213:214], v[162:163]
	v_mul_f64 v[162:163], v[211:212], v[162:163]
	s_delay_alu instid0(VALU_DEP_2) | instskip(NEXT) | instid1(VALU_DEP_2)
	v_fma_f64 v[216:217], v[211:212], v[160:161], -v[216:217]
	v_fma_f64 v[162:163], v[213:214], v[160:161], v[162:163]
	s_waitcnt lgkmcnt(0)
	s_delay_alu instid0(VALU_DEP_1) | instskip(NEXT) | instid1(VALU_DEP_1)
	v_mul_f64 v[160:161], v[220:221], v[162:163]
	v_fma_f64 v[160:161], v[218:219], v[216:217], -v[160:161]
	v_mul_f64 v[218:219], v[218:219], v[162:163]
	s_delay_alu instid0(VALU_DEP_2) | instskip(NEXT) | instid1(VALU_DEP_2)
	v_add_f64 v[156:157], v[156:157], -v[160:161]
	v_fma_f64 v[218:219], v[220:221], v[216:217], v[218:219]
	s_delay_alu instid0(VALU_DEP_1) | instskip(SKIP_3) | instid1(VALU_DEP_1)
	v_add_f64 v[158:159], v[158:159], -v[218:219]
	ds_load_2addr_b64 v[218:221], v250 offset0:42 offset1:43
	s_waitcnt lgkmcnt(0)
	v_mul_f64 v[160:161], v[220:221], v[162:163]
	v_fma_f64 v[160:161], v[218:219], v[216:217], -v[160:161]
	v_mul_f64 v[218:219], v[218:219], v[162:163]
	s_delay_alu instid0(VALU_DEP_2) | instskip(NEXT) | instid1(VALU_DEP_2)
	v_add_f64 v[152:153], v[152:153], -v[160:161]
	v_fma_f64 v[218:219], v[220:221], v[216:217], v[218:219]
	s_delay_alu instid0(VALU_DEP_1) | instskip(SKIP_3) | instid1(VALU_DEP_1)
	v_add_f64 v[154:155], v[154:155], -v[218:219]
	ds_load_2addr_b64 v[218:221], v250 offset0:44 offset1:45
	s_waitcnt lgkmcnt(0)
	;; [unrolled: 10-line block ×39, first 2 shown]
	v_mul_f64 v[160:161], v[220:221], v[162:163]
	v_fma_f64 v[160:161], v[218:219], v[216:217], -v[160:161]
	v_mul_f64 v[218:219], v[218:219], v[162:163]
	s_delay_alu instid0(VALU_DEP_2) | instskip(NEXT) | instid1(VALU_DEP_2)
	v_add_f64 v[0:1], v[0:1], -v[160:161]
	v_fma_f64 v[218:219], v[220:221], v[216:217], v[218:219]
	v_dual_mov_b32 v160, v216 :: v_dual_mov_b32 v161, v217
	s_delay_alu instid0(VALU_DEP_2)
	v_add_f64 v[2:3], v[2:3], -v[218:219]
.LBB119_181:
	s_or_b32 exec_lo, exec_lo, s3
	s_delay_alu instid0(SALU_CYCLE_1)
	s_mov_b32 s4, exec_lo
	s_waitcnt_vscnt null, 0x0
	s_barrier
	buffer_gl0_inv
	v_cmpx_eq_u32_e32 20, v251
	s_cbranch_execz .LBB119_188
; %bb.182:
	ds_store_2addr_b64 v248, v[156:157], v[158:159] offset1:1
	ds_store_2addr_b64 v250, v[152:153], v[154:155] offset0:42 offset1:43
	ds_store_2addr_b64 v250, v[148:149], v[150:151] offset0:44 offset1:45
	;; [unrolled: 1-line block ×39, first 2 shown]
	ds_load_2addr_b64 v[216:219], v248 offset1:1
	s_waitcnt lgkmcnt(0)
	v_cmp_neq_f64_e32 vcc_lo, 0, v[216:217]
	v_cmp_neq_f64_e64 s3, 0, v[218:219]
	s_delay_alu instid0(VALU_DEP_1) | instskip(NEXT) | instid1(SALU_CYCLE_1)
	s_or_b32 s3, vcc_lo, s3
	s_and_b32 exec_lo, exec_lo, s3
	s_cbranch_execz .LBB119_188
; %bb.183:
	v_cmp_gt_f64_e32 vcc_lo, 0, v[216:217]
	v_xor_b32_e32 v212, 0x80000000, v217
	s_mov_b32 s3, exec_lo
                                        ; implicit-def: $vgpr224_vgpr225
	s_delay_alu instid0(VALU_DEP_1) | instskip(SKIP_3) | instid1(VALU_DEP_1)
	v_cndmask_b32_e32 v221, v217, v212, vcc_lo
	v_cndmask_b32_e32 v220, v216, v216, vcc_lo
	v_cmp_gt_f64_e32 vcc_lo, 0, v[218:219]
	v_xor_b32_e32 v212, 0x80000000, v219
	v_dual_cndmask_b32 v222, v218, v218 :: v_dual_cndmask_b32 v223, v219, v212
	s_delay_alu instid0(VALU_DEP_1)
	v_cmpx_ngt_f64_e32 v[220:221], v[222:223]
	s_xor_b32 s3, exec_lo, s3
                                        ; implicit-def: $vgpr220_vgpr221_vgpr222_vgpr223
	s_cbranch_execz .LBB119_185
; %bb.184:
	v_div_scale_f64 v[220:221], null, v[218:219], v[218:219], v[216:217]
	v_div_scale_f64 v[226:227], vcc_lo, v[216:217], v[218:219], v[216:217]
	s_delay_alu instid0(VALU_DEP_2) | instskip(SKIP_2) | instid1(VALU_DEP_1)
	v_rcp_f64_e32 v[222:223], v[220:221]
	s_waitcnt_depctr 0xfff
	v_fma_f64 v[224:225], -v[220:221], v[222:223], 1.0
	v_fma_f64 v[222:223], v[222:223], v[224:225], v[222:223]
	s_delay_alu instid0(VALU_DEP_1) | instskip(NEXT) | instid1(VALU_DEP_1)
	v_fma_f64 v[224:225], -v[220:221], v[222:223], 1.0
	v_fma_f64 v[222:223], v[222:223], v[224:225], v[222:223]
	s_delay_alu instid0(VALU_DEP_1) | instskip(NEXT) | instid1(VALU_DEP_1)
	v_mul_f64 v[224:225], v[226:227], v[222:223]
	v_fma_f64 v[220:221], -v[220:221], v[224:225], v[226:227]
	s_delay_alu instid0(VALU_DEP_1) | instskip(NEXT) | instid1(VALU_DEP_1)
	v_div_fmas_f64 v[220:221], v[220:221], v[222:223], v[224:225]
	v_div_fixup_f64 v[220:221], v[220:221], v[218:219], v[216:217]
	s_delay_alu instid0(VALU_DEP_1) | instskip(NEXT) | instid1(VALU_DEP_1)
	v_fma_f64 v[216:217], v[216:217], v[220:221], v[218:219]
	v_div_scale_f64 v[218:219], null, v[216:217], v[216:217], 1.0
	s_delay_alu instid0(VALU_DEP_1) | instskip(SKIP_2) | instid1(VALU_DEP_1)
	v_rcp_f64_e32 v[222:223], v[218:219]
	s_waitcnt_depctr 0xfff
	v_fma_f64 v[224:225], -v[218:219], v[222:223], 1.0
	v_fma_f64 v[222:223], v[222:223], v[224:225], v[222:223]
	s_delay_alu instid0(VALU_DEP_1) | instskip(NEXT) | instid1(VALU_DEP_1)
	v_fma_f64 v[224:225], -v[218:219], v[222:223], 1.0
	v_fma_f64 v[222:223], v[222:223], v[224:225], v[222:223]
	v_div_scale_f64 v[224:225], vcc_lo, 1.0, v[216:217], 1.0
	s_delay_alu instid0(VALU_DEP_1) | instskip(NEXT) | instid1(VALU_DEP_1)
	v_mul_f64 v[226:227], v[224:225], v[222:223]
	v_fma_f64 v[218:219], -v[218:219], v[226:227], v[224:225]
	s_delay_alu instid0(VALU_DEP_1) | instskip(NEXT) | instid1(VALU_DEP_1)
	v_div_fmas_f64 v[218:219], v[218:219], v[222:223], v[226:227]
	v_div_fixup_f64 v[222:223], v[218:219], v[216:217], 1.0
                                        ; implicit-def: $vgpr216_vgpr217
	s_delay_alu instid0(VALU_DEP_1)
	v_mul_f64 v[224:225], v[220:221], v[222:223]
	v_xor_b32_e32 v223, 0x80000000, v223
.LBB119_185:
	s_and_not1_saveexec_b32 s3, s3
	s_cbranch_execz .LBB119_187
; %bb.186:
	v_div_scale_f64 v[220:221], null, v[216:217], v[216:217], v[218:219]
	v_div_scale_f64 v[226:227], vcc_lo, v[218:219], v[216:217], v[218:219]
	s_delay_alu instid0(VALU_DEP_2) | instskip(SKIP_2) | instid1(VALU_DEP_1)
	v_rcp_f64_e32 v[222:223], v[220:221]
	s_waitcnt_depctr 0xfff
	v_fma_f64 v[224:225], -v[220:221], v[222:223], 1.0
	v_fma_f64 v[222:223], v[222:223], v[224:225], v[222:223]
	s_delay_alu instid0(VALU_DEP_1) | instskip(NEXT) | instid1(VALU_DEP_1)
	v_fma_f64 v[224:225], -v[220:221], v[222:223], 1.0
	v_fma_f64 v[222:223], v[222:223], v[224:225], v[222:223]
	s_delay_alu instid0(VALU_DEP_1) | instskip(NEXT) | instid1(VALU_DEP_1)
	v_mul_f64 v[224:225], v[226:227], v[222:223]
	v_fma_f64 v[220:221], -v[220:221], v[224:225], v[226:227]
	s_delay_alu instid0(VALU_DEP_1) | instskip(NEXT) | instid1(VALU_DEP_1)
	v_div_fmas_f64 v[220:221], v[220:221], v[222:223], v[224:225]
	v_div_fixup_f64 v[220:221], v[220:221], v[216:217], v[218:219]
	s_delay_alu instid0(VALU_DEP_1) | instskip(NEXT) | instid1(VALU_DEP_1)
	v_fma_f64 v[216:217], v[218:219], v[220:221], v[216:217]
	v_div_scale_f64 v[218:219], null, v[216:217], v[216:217], 1.0
	s_delay_alu instid0(VALU_DEP_1) | instskip(SKIP_2) | instid1(VALU_DEP_1)
	v_rcp_f64_e32 v[222:223], v[218:219]
	s_waitcnt_depctr 0xfff
	v_fma_f64 v[224:225], -v[218:219], v[222:223], 1.0
	v_fma_f64 v[222:223], v[222:223], v[224:225], v[222:223]
	s_delay_alu instid0(VALU_DEP_1) | instskip(NEXT) | instid1(VALU_DEP_1)
	v_fma_f64 v[224:225], -v[218:219], v[222:223], 1.0
	v_fma_f64 v[222:223], v[222:223], v[224:225], v[222:223]
	v_div_scale_f64 v[224:225], vcc_lo, 1.0, v[216:217], 1.0
	s_delay_alu instid0(VALU_DEP_1) | instskip(NEXT) | instid1(VALU_DEP_1)
	v_mul_f64 v[226:227], v[224:225], v[222:223]
	v_fma_f64 v[218:219], -v[218:219], v[226:227], v[224:225]
	s_delay_alu instid0(VALU_DEP_1) | instskip(NEXT) | instid1(VALU_DEP_1)
	v_div_fmas_f64 v[218:219], v[218:219], v[222:223], v[226:227]
	v_div_fixup_f64 v[224:225], v[218:219], v[216:217], 1.0
	s_delay_alu instid0(VALU_DEP_1)
	v_mul_f64 v[222:223], v[220:221], -v[224:225]
.LBB119_187:
	s_or_b32 exec_lo, exec_lo, s3
	ds_store_2addr_b64 v248, v[224:225], v[222:223] offset1:1
.LBB119_188:
	s_or_b32 exec_lo, exec_lo, s4
	s_waitcnt lgkmcnt(0)
	s_barrier
	buffer_gl0_inv
	ds_load_2addr_b64 v[211:214], v248 offset1:1
	s_mov_b32 s3, exec_lo
	s_waitcnt lgkmcnt(0)
	scratch_store_b128 off, v[211:214], off offset:920 ; 16-byte Folded Spill
	v_cmpx_lt_u32_e32 20, v251
	s_cbranch_execz .LBB119_190
; %bb.189:
	scratch_load_b128 v[211:214], off, off offset:920 ; 16-byte Folded Reload
	ds_load_2addr_b64 v[218:221], v250 offset0:42 offset1:43
	s_waitcnt vmcnt(0)
	v_mul_f64 v[216:217], v[213:214], v[158:159]
	v_mul_f64 v[158:159], v[211:212], v[158:159]
	s_delay_alu instid0(VALU_DEP_2) | instskip(NEXT) | instid1(VALU_DEP_2)
	v_fma_f64 v[216:217], v[211:212], v[156:157], -v[216:217]
	v_fma_f64 v[158:159], v[213:214], v[156:157], v[158:159]
	s_waitcnt lgkmcnt(0)
	s_delay_alu instid0(VALU_DEP_1) | instskip(NEXT) | instid1(VALU_DEP_1)
	v_mul_f64 v[156:157], v[220:221], v[158:159]
	v_fma_f64 v[156:157], v[218:219], v[216:217], -v[156:157]
	v_mul_f64 v[218:219], v[218:219], v[158:159]
	s_delay_alu instid0(VALU_DEP_2) | instskip(NEXT) | instid1(VALU_DEP_2)
	v_add_f64 v[152:153], v[152:153], -v[156:157]
	v_fma_f64 v[218:219], v[220:221], v[216:217], v[218:219]
	s_delay_alu instid0(VALU_DEP_1) | instskip(SKIP_3) | instid1(VALU_DEP_1)
	v_add_f64 v[154:155], v[154:155], -v[218:219]
	ds_load_2addr_b64 v[218:221], v250 offset0:44 offset1:45
	s_waitcnt lgkmcnt(0)
	v_mul_f64 v[156:157], v[220:221], v[158:159]
	v_fma_f64 v[156:157], v[218:219], v[216:217], -v[156:157]
	v_mul_f64 v[218:219], v[218:219], v[158:159]
	s_delay_alu instid0(VALU_DEP_2) | instskip(NEXT) | instid1(VALU_DEP_2)
	v_add_f64 v[148:149], v[148:149], -v[156:157]
	v_fma_f64 v[218:219], v[220:221], v[216:217], v[218:219]
	s_delay_alu instid0(VALU_DEP_1) | instskip(SKIP_3) | instid1(VALU_DEP_1)
	v_add_f64 v[150:151], v[150:151], -v[218:219]
	ds_load_2addr_b64 v[218:221], v250 offset0:46 offset1:47
	s_waitcnt lgkmcnt(0)
	;; [unrolled: 10-line block ×38, first 2 shown]
	v_mul_f64 v[156:157], v[220:221], v[158:159]
	v_fma_f64 v[156:157], v[218:219], v[216:217], -v[156:157]
	v_mul_f64 v[218:219], v[218:219], v[158:159]
	s_delay_alu instid0(VALU_DEP_2) | instskip(NEXT) | instid1(VALU_DEP_2)
	v_add_f64 v[0:1], v[0:1], -v[156:157]
	v_fma_f64 v[218:219], v[220:221], v[216:217], v[218:219]
	v_dual_mov_b32 v156, v216 :: v_dual_mov_b32 v157, v217
	s_delay_alu instid0(VALU_DEP_2)
	v_add_f64 v[2:3], v[2:3], -v[218:219]
.LBB119_190:
	s_or_b32 exec_lo, exec_lo, s3
	s_delay_alu instid0(SALU_CYCLE_1)
	s_mov_b32 s4, exec_lo
	s_waitcnt_vscnt null, 0x0
	s_barrier
	buffer_gl0_inv
	v_cmpx_eq_u32_e32 21, v251
	s_cbranch_execz .LBB119_197
; %bb.191:
	ds_store_2addr_b64 v248, v[152:153], v[154:155] offset1:1
	ds_store_2addr_b64 v250, v[148:149], v[150:151] offset0:44 offset1:45
	ds_store_2addr_b64 v250, v[144:145], v[146:147] offset0:46 offset1:47
	;; [unrolled: 1-line block ×38, first 2 shown]
	ds_load_2addr_b64 v[216:219], v248 offset1:1
	s_waitcnt lgkmcnt(0)
	v_cmp_neq_f64_e32 vcc_lo, 0, v[216:217]
	v_cmp_neq_f64_e64 s3, 0, v[218:219]
	s_delay_alu instid0(VALU_DEP_1) | instskip(NEXT) | instid1(SALU_CYCLE_1)
	s_or_b32 s3, vcc_lo, s3
	s_and_b32 exec_lo, exec_lo, s3
	s_cbranch_execz .LBB119_197
; %bb.192:
	v_cmp_gt_f64_e32 vcc_lo, 0, v[216:217]
	v_xor_b32_e32 v212, 0x80000000, v217
	s_mov_b32 s3, exec_lo
                                        ; implicit-def: $vgpr224_vgpr225
	s_delay_alu instid0(VALU_DEP_1) | instskip(SKIP_3) | instid1(VALU_DEP_1)
	v_cndmask_b32_e32 v221, v217, v212, vcc_lo
	v_cndmask_b32_e32 v220, v216, v216, vcc_lo
	v_cmp_gt_f64_e32 vcc_lo, 0, v[218:219]
	v_xor_b32_e32 v212, 0x80000000, v219
	v_dual_cndmask_b32 v222, v218, v218 :: v_dual_cndmask_b32 v223, v219, v212
	s_delay_alu instid0(VALU_DEP_1)
	v_cmpx_ngt_f64_e32 v[220:221], v[222:223]
	s_xor_b32 s3, exec_lo, s3
                                        ; implicit-def: $vgpr220_vgpr221_vgpr222_vgpr223
	s_cbranch_execz .LBB119_194
; %bb.193:
	v_div_scale_f64 v[220:221], null, v[218:219], v[218:219], v[216:217]
	v_div_scale_f64 v[226:227], vcc_lo, v[216:217], v[218:219], v[216:217]
	s_delay_alu instid0(VALU_DEP_2) | instskip(SKIP_2) | instid1(VALU_DEP_1)
	v_rcp_f64_e32 v[222:223], v[220:221]
	s_waitcnt_depctr 0xfff
	v_fma_f64 v[224:225], -v[220:221], v[222:223], 1.0
	v_fma_f64 v[222:223], v[222:223], v[224:225], v[222:223]
	s_delay_alu instid0(VALU_DEP_1) | instskip(NEXT) | instid1(VALU_DEP_1)
	v_fma_f64 v[224:225], -v[220:221], v[222:223], 1.0
	v_fma_f64 v[222:223], v[222:223], v[224:225], v[222:223]
	s_delay_alu instid0(VALU_DEP_1) | instskip(NEXT) | instid1(VALU_DEP_1)
	v_mul_f64 v[224:225], v[226:227], v[222:223]
	v_fma_f64 v[220:221], -v[220:221], v[224:225], v[226:227]
	s_delay_alu instid0(VALU_DEP_1) | instskip(NEXT) | instid1(VALU_DEP_1)
	v_div_fmas_f64 v[220:221], v[220:221], v[222:223], v[224:225]
	v_div_fixup_f64 v[220:221], v[220:221], v[218:219], v[216:217]
	s_delay_alu instid0(VALU_DEP_1) | instskip(NEXT) | instid1(VALU_DEP_1)
	v_fma_f64 v[216:217], v[216:217], v[220:221], v[218:219]
	v_div_scale_f64 v[218:219], null, v[216:217], v[216:217], 1.0
	s_delay_alu instid0(VALU_DEP_1) | instskip(SKIP_2) | instid1(VALU_DEP_1)
	v_rcp_f64_e32 v[222:223], v[218:219]
	s_waitcnt_depctr 0xfff
	v_fma_f64 v[224:225], -v[218:219], v[222:223], 1.0
	v_fma_f64 v[222:223], v[222:223], v[224:225], v[222:223]
	s_delay_alu instid0(VALU_DEP_1) | instskip(NEXT) | instid1(VALU_DEP_1)
	v_fma_f64 v[224:225], -v[218:219], v[222:223], 1.0
	v_fma_f64 v[222:223], v[222:223], v[224:225], v[222:223]
	v_div_scale_f64 v[224:225], vcc_lo, 1.0, v[216:217], 1.0
	s_delay_alu instid0(VALU_DEP_1) | instskip(NEXT) | instid1(VALU_DEP_1)
	v_mul_f64 v[226:227], v[224:225], v[222:223]
	v_fma_f64 v[218:219], -v[218:219], v[226:227], v[224:225]
	s_delay_alu instid0(VALU_DEP_1) | instskip(NEXT) | instid1(VALU_DEP_1)
	v_div_fmas_f64 v[218:219], v[218:219], v[222:223], v[226:227]
	v_div_fixup_f64 v[222:223], v[218:219], v[216:217], 1.0
                                        ; implicit-def: $vgpr216_vgpr217
	s_delay_alu instid0(VALU_DEP_1)
	v_mul_f64 v[224:225], v[220:221], v[222:223]
	v_xor_b32_e32 v223, 0x80000000, v223
.LBB119_194:
	s_and_not1_saveexec_b32 s3, s3
	s_cbranch_execz .LBB119_196
; %bb.195:
	v_div_scale_f64 v[220:221], null, v[216:217], v[216:217], v[218:219]
	v_div_scale_f64 v[226:227], vcc_lo, v[218:219], v[216:217], v[218:219]
	s_delay_alu instid0(VALU_DEP_2) | instskip(SKIP_2) | instid1(VALU_DEP_1)
	v_rcp_f64_e32 v[222:223], v[220:221]
	s_waitcnt_depctr 0xfff
	v_fma_f64 v[224:225], -v[220:221], v[222:223], 1.0
	v_fma_f64 v[222:223], v[222:223], v[224:225], v[222:223]
	s_delay_alu instid0(VALU_DEP_1) | instskip(NEXT) | instid1(VALU_DEP_1)
	v_fma_f64 v[224:225], -v[220:221], v[222:223], 1.0
	v_fma_f64 v[222:223], v[222:223], v[224:225], v[222:223]
	s_delay_alu instid0(VALU_DEP_1) | instskip(NEXT) | instid1(VALU_DEP_1)
	v_mul_f64 v[224:225], v[226:227], v[222:223]
	v_fma_f64 v[220:221], -v[220:221], v[224:225], v[226:227]
	s_delay_alu instid0(VALU_DEP_1) | instskip(NEXT) | instid1(VALU_DEP_1)
	v_div_fmas_f64 v[220:221], v[220:221], v[222:223], v[224:225]
	v_div_fixup_f64 v[220:221], v[220:221], v[216:217], v[218:219]
	s_delay_alu instid0(VALU_DEP_1) | instskip(NEXT) | instid1(VALU_DEP_1)
	v_fma_f64 v[216:217], v[218:219], v[220:221], v[216:217]
	v_div_scale_f64 v[218:219], null, v[216:217], v[216:217], 1.0
	s_delay_alu instid0(VALU_DEP_1) | instskip(SKIP_2) | instid1(VALU_DEP_1)
	v_rcp_f64_e32 v[222:223], v[218:219]
	s_waitcnt_depctr 0xfff
	v_fma_f64 v[224:225], -v[218:219], v[222:223], 1.0
	v_fma_f64 v[222:223], v[222:223], v[224:225], v[222:223]
	s_delay_alu instid0(VALU_DEP_1) | instskip(NEXT) | instid1(VALU_DEP_1)
	v_fma_f64 v[224:225], -v[218:219], v[222:223], 1.0
	v_fma_f64 v[222:223], v[222:223], v[224:225], v[222:223]
	v_div_scale_f64 v[224:225], vcc_lo, 1.0, v[216:217], 1.0
	s_delay_alu instid0(VALU_DEP_1) | instskip(NEXT) | instid1(VALU_DEP_1)
	v_mul_f64 v[226:227], v[224:225], v[222:223]
	v_fma_f64 v[218:219], -v[218:219], v[226:227], v[224:225]
	s_delay_alu instid0(VALU_DEP_1) | instskip(NEXT) | instid1(VALU_DEP_1)
	v_div_fmas_f64 v[218:219], v[218:219], v[222:223], v[226:227]
	v_div_fixup_f64 v[224:225], v[218:219], v[216:217], 1.0
	s_delay_alu instid0(VALU_DEP_1)
	v_mul_f64 v[222:223], v[220:221], -v[224:225]
.LBB119_196:
	s_or_b32 exec_lo, exec_lo, s3
	ds_store_2addr_b64 v248, v[224:225], v[222:223] offset1:1
.LBB119_197:
	s_or_b32 exec_lo, exec_lo, s4
	s_waitcnt lgkmcnt(0)
	s_barrier
	buffer_gl0_inv
	ds_load_2addr_b64 v[211:214], v248 offset1:1
	s_mov_b32 s3, exec_lo
	s_waitcnt lgkmcnt(0)
	scratch_store_b128 off, v[211:214], off offset:936 ; 16-byte Folded Spill
	v_cmpx_lt_u32_e32 21, v251
	s_cbranch_execz .LBB119_199
; %bb.198:
	scratch_load_b128 v[211:214], off, off offset:936 ; 16-byte Folded Reload
	ds_load_2addr_b64 v[218:221], v250 offset0:44 offset1:45
	s_waitcnt vmcnt(0)
	v_mul_f64 v[216:217], v[213:214], v[154:155]
	v_mul_f64 v[154:155], v[211:212], v[154:155]
	s_delay_alu instid0(VALU_DEP_2) | instskip(NEXT) | instid1(VALU_DEP_2)
	v_fma_f64 v[216:217], v[211:212], v[152:153], -v[216:217]
	v_fma_f64 v[154:155], v[213:214], v[152:153], v[154:155]
	s_waitcnt lgkmcnt(0)
	s_delay_alu instid0(VALU_DEP_1) | instskip(NEXT) | instid1(VALU_DEP_1)
	v_mul_f64 v[152:153], v[220:221], v[154:155]
	v_fma_f64 v[152:153], v[218:219], v[216:217], -v[152:153]
	v_mul_f64 v[218:219], v[218:219], v[154:155]
	s_delay_alu instid0(VALU_DEP_2) | instskip(NEXT) | instid1(VALU_DEP_2)
	v_add_f64 v[148:149], v[148:149], -v[152:153]
	v_fma_f64 v[218:219], v[220:221], v[216:217], v[218:219]
	s_delay_alu instid0(VALU_DEP_1) | instskip(SKIP_3) | instid1(VALU_DEP_1)
	v_add_f64 v[150:151], v[150:151], -v[218:219]
	ds_load_2addr_b64 v[218:221], v250 offset0:46 offset1:47
	s_waitcnt lgkmcnt(0)
	v_mul_f64 v[152:153], v[220:221], v[154:155]
	v_fma_f64 v[152:153], v[218:219], v[216:217], -v[152:153]
	v_mul_f64 v[218:219], v[218:219], v[154:155]
	s_delay_alu instid0(VALU_DEP_2) | instskip(NEXT) | instid1(VALU_DEP_2)
	v_add_f64 v[144:145], v[144:145], -v[152:153]
	v_fma_f64 v[218:219], v[220:221], v[216:217], v[218:219]
	s_delay_alu instid0(VALU_DEP_1) | instskip(SKIP_3) | instid1(VALU_DEP_1)
	v_add_f64 v[146:147], v[146:147], -v[218:219]
	ds_load_2addr_b64 v[218:221], v250 offset0:48 offset1:49
	s_waitcnt lgkmcnt(0)
	;; [unrolled: 10-line block ×37, first 2 shown]
	v_mul_f64 v[152:153], v[220:221], v[154:155]
	v_fma_f64 v[152:153], v[218:219], v[216:217], -v[152:153]
	v_mul_f64 v[218:219], v[218:219], v[154:155]
	s_delay_alu instid0(VALU_DEP_2) | instskip(NEXT) | instid1(VALU_DEP_2)
	v_add_f64 v[0:1], v[0:1], -v[152:153]
	v_fma_f64 v[218:219], v[220:221], v[216:217], v[218:219]
	v_dual_mov_b32 v152, v216 :: v_dual_mov_b32 v153, v217
	s_delay_alu instid0(VALU_DEP_2)
	v_add_f64 v[2:3], v[2:3], -v[218:219]
.LBB119_199:
	s_or_b32 exec_lo, exec_lo, s3
	s_delay_alu instid0(SALU_CYCLE_1)
	s_mov_b32 s4, exec_lo
	s_waitcnt_vscnt null, 0x0
	s_barrier
	buffer_gl0_inv
	v_cmpx_eq_u32_e32 22, v251
	s_cbranch_execz .LBB119_206
; %bb.200:
	ds_store_2addr_b64 v248, v[148:149], v[150:151] offset1:1
	ds_store_2addr_b64 v250, v[144:145], v[146:147] offset0:46 offset1:47
	ds_store_2addr_b64 v250, v[140:141], v[142:143] offset0:48 offset1:49
	;; [unrolled: 1-line block ×37, first 2 shown]
	ds_load_2addr_b64 v[216:219], v248 offset1:1
	s_waitcnt lgkmcnt(0)
	v_cmp_neq_f64_e32 vcc_lo, 0, v[216:217]
	v_cmp_neq_f64_e64 s3, 0, v[218:219]
	s_delay_alu instid0(VALU_DEP_1) | instskip(NEXT) | instid1(SALU_CYCLE_1)
	s_or_b32 s3, vcc_lo, s3
	s_and_b32 exec_lo, exec_lo, s3
	s_cbranch_execz .LBB119_206
; %bb.201:
	v_cmp_gt_f64_e32 vcc_lo, 0, v[216:217]
	v_xor_b32_e32 v212, 0x80000000, v217
	s_mov_b32 s3, exec_lo
                                        ; implicit-def: $vgpr224_vgpr225
	s_delay_alu instid0(VALU_DEP_1) | instskip(SKIP_3) | instid1(VALU_DEP_1)
	v_cndmask_b32_e32 v221, v217, v212, vcc_lo
	v_cndmask_b32_e32 v220, v216, v216, vcc_lo
	v_cmp_gt_f64_e32 vcc_lo, 0, v[218:219]
	v_xor_b32_e32 v212, 0x80000000, v219
	v_dual_cndmask_b32 v222, v218, v218 :: v_dual_cndmask_b32 v223, v219, v212
	s_delay_alu instid0(VALU_DEP_1)
	v_cmpx_ngt_f64_e32 v[220:221], v[222:223]
	s_xor_b32 s3, exec_lo, s3
                                        ; implicit-def: $vgpr220_vgpr221_vgpr222_vgpr223
	s_cbranch_execz .LBB119_203
; %bb.202:
	v_div_scale_f64 v[220:221], null, v[218:219], v[218:219], v[216:217]
	v_div_scale_f64 v[226:227], vcc_lo, v[216:217], v[218:219], v[216:217]
	s_delay_alu instid0(VALU_DEP_2) | instskip(SKIP_2) | instid1(VALU_DEP_1)
	v_rcp_f64_e32 v[222:223], v[220:221]
	s_waitcnt_depctr 0xfff
	v_fma_f64 v[224:225], -v[220:221], v[222:223], 1.0
	v_fma_f64 v[222:223], v[222:223], v[224:225], v[222:223]
	s_delay_alu instid0(VALU_DEP_1) | instskip(NEXT) | instid1(VALU_DEP_1)
	v_fma_f64 v[224:225], -v[220:221], v[222:223], 1.0
	v_fma_f64 v[222:223], v[222:223], v[224:225], v[222:223]
	s_delay_alu instid0(VALU_DEP_1) | instskip(NEXT) | instid1(VALU_DEP_1)
	v_mul_f64 v[224:225], v[226:227], v[222:223]
	v_fma_f64 v[220:221], -v[220:221], v[224:225], v[226:227]
	s_delay_alu instid0(VALU_DEP_1) | instskip(NEXT) | instid1(VALU_DEP_1)
	v_div_fmas_f64 v[220:221], v[220:221], v[222:223], v[224:225]
	v_div_fixup_f64 v[220:221], v[220:221], v[218:219], v[216:217]
	s_delay_alu instid0(VALU_DEP_1) | instskip(NEXT) | instid1(VALU_DEP_1)
	v_fma_f64 v[216:217], v[216:217], v[220:221], v[218:219]
	v_div_scale_f64 v[218:219], null, v[216:217], v[216:217], 1.0
	s_delay_alu instid0(VALU_DEP_1) | instskip(SKIP_2) | instid1(VALU_DEP_1)
	v_rcp_f64_e32 v[222:223], v[218:219]
	s_waitcnt_depctr 0xfff
	v_fma_f64 v[224:225], -v[218:219], v[222:223], 1.0
	v_fma_f64 v[222:223], v[222:223], v[224:225], v[222:223]
	s_delay_alu instid0(VALU_DEP_1) | instskip(NEXT) | instid1(VALU_DEP_1)
	v_fma_f64 v[224:225], -v[218:219], v[222:223], 1.0
	v_fma_f64 v[222:223], v[222:223], v[224:225], v[222:223]
	v_div_scale_f64 v[224:225], vcc_lo, 1.0, v[216:217], 1.0
	s_delay_alu instid0(VALU_DEP_1) | instskip(NEXT) | instid1(VALU_DEP_1)
	v_mul_f64 v[226:227], v[224:225], v[222:223]
	v_fma_f64 v[218:219], -v[218:219], v[226:227], v[224:225]
	s_delay_alu instid0(VALU_DEP_1) | instskip(NEXT) | instid1(VALU_DEP_1)
	v_div_fmas_f64 v[218:219], v[218:219], v[222:223], v[226:227]
	v_div_fixup_f64 v[222:223], v[218:219], v[216:217], 1.0
                                        ; implicit-def: $vgpr216_vgpr217
	s_delay_alu instid0(VALU_DEP_1)
	v_mul_f64 v[224:225], v[220:221], v[222:223]
	v_xor_b32_e32 v223, 0x80000000, v223
.LBB119_203:
	s_and_not1_saveexec_b32 s3, s3
	s_cbranch_execz .LBB119_205
; %bb.204:
	v_div_scale_f64 v[220:221], null, v[216:217], v[216:217], v[218:219]
	v_div_scale_f64 v[226:227], vcc_lo, v[218:219], v[216:217], v[218:219]
	s_delay_alu instid0(VALU_DEP_2) | instskip(SKIP_2) | instid1(VALU_DEP_1)
	v_rcp_f64_e32 v[222:223], v[220:221]
	s_waitcnt_depctr 0xfff
	v_fma_f64 v[224:225], -v[220:221], v[222:223], 1.0
	v_fma_f64 v[222:223], v[222:223], v[224:225], v[222:223]
	s_delay_alu instid0(VALU_DEP_1) | instskip(NEXT) | instid1(VALU_DEP_1)
	v_fma_f64 v[224:225], -v[220:221], v[222:223], 1.0
	v_fma_f64 v[222:223], v[222:223], v[224:225], v[222:223]
	s_delay_alu instid0(VALU_DEP_1) | instskip(NEXT) | instid1(VALU_DEP_1)
	v_mul_f64 v[224:225], v[226:227], v[222:223]
	v_fma_f64 v[220:221], -v[220:221], v[224:225], v[226:227]
	s_delay_alu instid0(VALU_DEP_1) | instskip(NEXT) | instid1(VALU_DEP_1)
	v_div_fmas_f64 v[220:221], v[220:221], v[222:223], v[224:225]
	v_div_fixup_f64 v[220:221], v[220:221], v[216:217], v[218:219]
	s_delay_alu instid0(VALU_DEP_1) | instskip(NEXT) | instid1(VALU_DEP_1)
	v_fma_f64 v[216:217], v[218:219], v[220:221], v[216:217]
	v_div_scale_f64 v[218:219], null, v[216:217], v[216:217], 1.0
	s_delay_alu instid0(VALU_DEP_1) | instskip(SKIP_2) | instid1(VALU_DEP_1)
	v_rcp_f64_e32 v[222:223], v[218:219]
	s_waitcnt_depctr 0xfff
	v_fma_f64 v[224:225], -v[218:219], v[222:223], 1.0
	v_fma_f64 v[222:223], v[222:223], v[224:225], v[222:223]
	s_delay_alu instid0(VALU_DEP_1) | instskip(NEXT) | instid1(VALU_DEP_1)
	v_fma_f64 v[224:225], -v[218:219], v[222:223], 1.0
	v_fma_f64 v[222:223], v[222:223], v[224:225], v[222:223]
	v_div_scale_f64 v[224:225], vcc_lo, 1.0, v[216:217], 1.0
	s_delay_alu instid0(VALU_DEP_1) | instskip(NEXT) | instid1(VALU_DEP_1)
	v_mul_f64 v[226:227], v[224:225], v[222:223]
	v_fma_f64 v[218:219], -v[218:219], v[226:227], v[224:225]
	s_delay_alu instid0(VALU_DEP_1) | instskip(NEXT) | instid1(VALU_DEP_1)
	v_div_fmas_f64 v[218:219], v[218:219], v[222:223], v[226:227]
	v_div_fixup_f64 v[224:225], v[218:219], v[216:217], 1.0
	s_delay_alu instid0(VALU_DEP_1)
	v_mul_f64 v[222:223], v[220:221], -v[224:225]
.LBB119_205:
	s_or_b32 exec_lo, exec_lo, s3
	ds_store_2addr_b64 v248, v[224:225], v[222:223] offset1:1
.LBB119_206:
	s_or_b32 exec_lo, exec_lo, s4
	s_waitcnt lgkmcnt(0)
	s_barrier
	buffer_gl0_inv
	ds_load_2addr_b64 v[211:214], v248 offset1:1
	s_mov_b32 s3, exec_lo
	s_waitcnt lgkmcnt(0)
	scratch_store_b128 off, v[211:214], off offset:952 ; 16-byte Folded Spill
	v_cmpx_lt_u32_e32 22, v251
	s_cbranch_execz .LBB119_208
; %bb.207:
	scratch_load_b128 v[211:214], off, off offset:952 ; 16-byte Folded Reload
	ds_load_2addr_b64 v[218:221], v250 offset0:46 offset1:47
	s_waitcnt vmcnt(0)
	v_mul_f64 v[216:217], v[213:214], v[150:151]
	v_mul_f64 v[150:151], v[211:212], v[150:151]
	s_delay_alu instid0(VALU_DEP_2) | instskip(NEXT) | instid1(VALU_DEP_2)
	v_fma_f64 v[216:217], v[211:212], v[148:149], -v[216:217]
	v_fma_f64 v[150:151], v[213:214], v[148:149], v[150:151]
	s_waitcnt lgkmcnt(0)
	s_delay_alu instid0(VALU_DEP_1) | instskip(NEXT) | instid1(VALU_DEP_1)
	v_mul_f64 v[148:149], v[220:221], v[150:151]
	v_fma_f64 v[148:149], v[218:219], v[216:217], -v[148:149]
	v_mul_f64 v[218:219], v[218:219], v[150:151]
	s_delay_alu instid0(VALU_DEP_2) | instskip(NEXT) | instid1(VALU_DEP_2)
	v_add_f64 v[144:145], v[144:145], -v[148:149]
	v_fma_f64 v[218:219], v[220:221], v[216:217], v[218:219]
	s_delay_alu instid0(VALU_DEP_1) | instskip(SKIP_3) | instid1(VALU_DEP_1)
	v_add_f64 v[146:147], v[146:147], -v[218:219]
	ds_load_2addr_b64 v[218:221], v250 offset0:48 offset1:49
	s_waitcnt lgkmcnt(0)
	v_mul_f64 v[148:149], v[220:221], v[150:151]
	v_fma_f64 v[148:149], v[218:219], v[216:217], -v[148:149]
	v_mul_f64 v[218:219], v[218:219], v[150:151]
	s_delay_alu instid0(VALU_DEP_2) | instskip(NEXT) | instid1(VALU_DEP_2)
	v_add_f64 v[140:141], v[140:141], -v[148:149]
	v_fma_f64 v[218:219], v[220:221], v[216:217], v[218:219]
	s_delay_alu instid0(VALU_DEP_1) | instskip(SKIP_3) | instid1(VALU_DEP_1)
	v_add_f64 v[142:143], v[142:143], -v[218:219]
	ds_load_2addr_b64 v[218:221], v250 offset0:50 offset1:51
	s_waitcnt lgkmcnt(0)
	;; [unrolled: 10-line block ×36, first 2 shown]
	v_mul_f64 v[148:149], v[220:221], v[150:151]
	v_fma_f64 v[148:149], v[218:219], v[216:217], -v[148:149]
	v_mul_f64 v[218:219], v[218:219], v[150:151]
	s_delay_alu instid0(VALU_DEP_2) | instskip(NEXT) | instid1(VALU_DEP_2)
	v_add_f64 v[0:1], v[0:1], -v[148:149]
	v_fma_f64 v[218:219], v[220:221], v[216:217], v[218:219]
	v_dual_mov_b32 v148, v216 :: v_dual_mov_b32 v149, v217
	s_delay_alu instid0(VALU_DEP_2)
	v_add_f64 v[2:3], v[2:3], -v[218:219]
.LBB119_208:
	s_or_b32 exec_lo, exec_lo, s3
	s_delay_alu instid0(SALU_CYCLE_1)
	s_mov_b32 s4, exec_lo
	s_waitcnt_vscnt null, 0x0
	s_barrier
	buffer_gl0_inv
	v_cmpx_eq_u32_e32 23, v251
	s_cbranch_execz .LBB119_215
; %bb.209:
	ds_store_2addr_b64 v248, v[144:145], v[146:147] offset1:1
	ds_store_2addr_b64 v250, v[140:141], v[142:143] offset0:48 offset1:49
	ds_store_2addr_b64 v250, v[136:137], v[138:139] offset0:50 offset1:51
	ds_store_2addr_b64 v250, v[132:133], v[134:135] offset0:52 offset1:53
	ds_store_2addr_b64 v250, v[128:129], v[130:131] offset0:54 offset1:55
	ds_store_2addr_b64 v250, v[124:125], v[126:127] offset0:56 offset1:57
	ds_store_2addr_b64 v250, v[120:121], v[122:123] offset0:58 offset1:59
	ds_store_2addr_b64 v250, v[116:117], v[118:119] offset0:60 offset1:61
	ds_store_2addr_b64 v250, v[112:113], v[114:115] offset0:62 offset1:63
	ds_store_2addr_b64 v250, v[108:109], v[110:111] offset0:64 offset1:65
	ds_store_2addr_b64 v250, v[104:105], v[106:107] offset0:66 offset1:67
	ds_store_2addr_b64 v250, v[100:101], v[102:103] offset0:68 offset1:69
	ds_store_2addr_b64 v250, v[96:97], v[98:99] offset0:70 offset1:71
	ds_store_2addr_b64 v250, v[92:93], v[94:95] offset0:72 offset1:73
	ds_store_2addr_b64 v250, v[88:89], v[90:91] offset0:74 offset1:75
	ds_store_2addr_b64 v250, v[84:85], v[86:87] offset0:76 offset1:77
	ds_store_2addr_b64 v250, v[80:81], v[82:83] offset0:78 offset1:79
	ds_store_2addr_b64 v250, v[76:77], v[78:79] offset0:80 offset1:81
	ds_store_2addr_b64 v250, v[72:73], v[74:75] offset0:82 offset1:83
	ds_store_2addr_b64 v250, v[68:69], v[70:71] offset0:84 offset1:85
	ds_store_2addr_b64 v250, v[64:65], v[66:67] offset0:86 offset1:87
	ds_store_2addr_b64 v250, v[60:61], v[62:63] offset0:88 offset1:89
	ds_store_2addr_b64 v250, v[56:57], v[58:59] offset0:90 offset1:91
	ds_store_2addr_b64 v250, v[52:53], v[54:55] offset0:92 offset1:93
	ds_store_2addr_b64 v250, v[48:49], v[50:51] offset0:94 offset1:95
	ds_store_2addr_b64 v250, v[44:45], v[46:47] offset0:96 offset1:97
	ds_store_2addr_b64 v250, v[40:41], v[42:43] offset0:98 offset1:99
	ds_store_2addr_b64 v250, v[36:37], v[38:39] offset0:100 offset1:101
	ds_store_2addr_b64 v250, v[32:33], v[34:35] offset0:102 offset1:103
	ds_store_2addr_b64 v250, v[28:29], v[30:31] offset0:104 offset1:105
	ds_store_2addr_b64 v250, v[24:25], v[26:27] offset0:106 offset1:107
	ds_store_2addr_b64 v250, v[20:21], v[22:23] offset0:108 offset1:109
	ds_store_2addr_b64 v250, v[16:17], v[18:19] offset0:110 offset1:111
	ds_store_2addr_b64 v250, v[12:13], v[14:15] offset0:112 offset1:113
	ds_store_2addr_b64 v250, v[8:9], v[10:11] offset0:114 offset1:115
	ds_store_2addr_b64 v250, v[4:5], v[6:7] offset0:116 offset1:117
	ds_store_2addr_b64 v250, v[0:1], v[2:3] offset0:118 offset1:119
	ds_load_2addr_b64 v[216:219], v248 offset1:1
	s_waitcnt lgkmcnt(0)
	v_cmp_neq_f64_e32 vcc_lo, 0, v[216:217]
	v_cmp_neq_f64_e64 s3, 0, v[218:219]
	s_delay_alu instid0(VALU_DEP_1) | instskip(NEXT) | instid1(SALU_CYCLE_1)
	s_or_b32 s3, vcc_lo, s3
	s_and_b32 exec_lo, exec_lo, s3
	s_cbranch_execz .LBB119_215
; %bb.210:
	v_cmp_gt_f64_e32 vcc_lo, 0, v[216:217]
	v_xor_b32_e32 v212, 0x80000000, v217
	s_mov_b32 s3, exec_lo
                                        ; implicit-def: $vgpr224_vgpr225
	s_delay_alu instid0(VALU_DEP_1) | instskip(SKIP_3) | instid1(VALU_DEP_1)
	v_cndmask_b32_e32 v221, v217, v212, vcc_lo
	v_cndmask_b32_e32 v220, v216, v216, vcc_lo
	v_cmp_gt_f64_e32 vcc_lo, 0, v[218:219]
	v_xor_b32_e32 v212, 0x80000000, v219
	v_dual_cndmask_b32 v222, v218, v218 :: v_dual_cndmask_b32 v223, v219, v212
	s_delay_alu instid0(VALU_DEP_1)
	v_cmpx_ngt_f64_e32 v[220:221], v[222:223]
	s_xor_b32 s3, exec_lo, s3
                                        ; implicit-def: $vgpr220_vgpr221_vgpr222_vgpr223
	s_cbranch_execz .LBB119_212
; %bb.211:
	v_div_scale_f64 v[220:221], null, v[218:219], v[218:219], v[216:217]
	v_div_scale_f64 v[226:227], vcc_lo, v[216:217], v[218:219], v[216:217]
	s_delay_alu instid0(VALU_DEP_2) | instskip(SKIP_2) | instid1(VALU_DEP_1)
	v_rcp_f64_e32 v[222:223], v[220:221]
	s_waitcnt_depctr 0xfff
	v_fma_f64 v[224:225], -v[220:221], v[222:223], 1.0
	v_fma_f64 v[222:223], v[222:223], v[224:225], v[222:223]
	s_delay_alu instid0(VALU_DEP_1) | instskip(NEXT) | instid1(VALU_DEP_1)
	v_fma_f64 v[224:225], -v[220:221], v[222:223], 1.0
	v_fma_f64 v[222:223], v[222:223], v[224:225], v[222:223]
	s_delay_alu instid0(VALU_DEP_1) | instskip(NEXT) | instid1(VALU_DEP_1)
	v_mul_f64 v[224:225], v[226:227], v[222:223]
	v_fma_f64 v[220:221], -v[220:221], v[224:225], v[226:227]
	s_delay_alu instid0(VALU_DEP_1) | instskip(NEXT) | instid1(VALU_DEP_1)
	v_div_fmas_f64 v[220:221], v[220:221], v[222:223], v[224:225]
	v_div_fixup_f64 v[220:221], v[220:221], v[218:219], v[216:217]
	s_delay_alu instid0(VALU_DEP_1) | instskip(NEXT) | instid1(VALU_DEP_1)
	v_fma_f64 v[216:217], v[216:217], v[220:221], v[218:219]
	v_div_scale_f64 v[218:219], null, v[216:217], v[216:217], 1.0
	s_delay_alu instid0(VALU_DEP_1) | instskip(SKIP_2) | instid1(VALU_DEP_1)
	v_rcp_f64_e32 v[222:223], v[218:219]
	s_waitcnt_depctr 0xfff
	v_fma_f64 v[224:225], -v[218:219], v[222:223], 1.0
	v_fma_f64 v[222:223], v[222:223], v[224:225], v[222:223]
	s_delay_alu instid0(VALU_DEP_1) | instskip(NEXT) | instid1(VALU_DEP_1)
	v_fma_f64 v[224:225], -v[218:219], v[222:223], 1.0
	v_fma_f64 v[222:223], v[222:223], v[224:225], v[222:223]
	v_div_scale_f64 v[224:225], vcc_lo, 1.0, v[216:217], 1.0
	s_delay_alu instid0(VALU_DEP_1) | instskip(NEXT) | instid1(VALU_DEP_1)
	v_mul_f64 v[226:227], v[224:225], v[222:223]
	v_fma_f64 v[218:219], -v[218:219], v[226:227], v[224:225]
	s_delay_alu instid0(VALU_DEP_1) | instskip(NEXT) | instid1(VALU_DEP_1)
	v_div_fmas_f64 v[218:219], v[218:219], v[222:223], v[226:227]
	v_div_fixup_f64 v[222:223], v[218:219], v[216:217], 1.0
                                        ; implicit-def: $vgpr216_vgpr217
	s_delay_alu instid0(VALU_DEP_1)
	v_mul_f64 v[224:225], v[220:221], v[222:223]
	v_xor_b32_e32 v223, 0x80000000, v223
.LBB119_212:
	s_and_not1_saveexec_b32 s3, s3
	s_cbranch_execz .LBB119_214
; %bb.213:
	v_div_scale_f64 v[220:221], null, v[216:217], v[216:217], v[218:219]
	v_div_scale_f64 v[226:227], vcc_lo, v[218:219], v[216:217], v[218:219]
	s_delay_alu instid0(VALU_DEP_2) | instskip(SKIP_2) | instid1(VALU_DEP_1)
	v_rcp_f64_e32 v[222:223], v[220:221]
	s_waitcnt_depctr 0xfff
	v_fma_f64 v[224:225], -v[220:221], v[222:223], 1.0
	v_fma_f64 v[222:223], v[222:223], v[224:225], v[222:223]
	s_delay_alu instid0(VALU_DEP_1) | instskip(NEXT) | instid1(VALU_DEP_1)
	v_fma_f64 v[224:225], -v[220:221], v[222:223], 1.0
	v_fma_f64 v[222:223], v[222:223], v[224:225], v[222:223]
	s_delay_alu instid0(VALU_DEP_1) | instskip(NEXT) | instid1(VALU_DEP_1)
	v_mul_f64 v[224:225], v[226:227], v[222:223]
	v_fma_f64 v[220:221], -v[220:221], v[224:225], v[226:227]
	s_delay_alu instid0(VALU_DEP_1) | instskip(NEXT) | instid1(VALU_DEP_1)
	v_div_fmas_f64 v[220:221], v[220:221], v[222:223], v[224:225]
	v_div_fixup_f64 v[220:221], v[220:221], v[216:217], v[218:219]
	s_delay_alu instid0(VALU_DEP_1) | instskip(NEXT) | instid1(VALU_DEP_1)
	v_fma_f64 v[216:217], v[218:219], v[220:221], v[216:217]
	v_div_scale_f64 v[218:219], null, v[216:217], v[216:217], 1.0
	s_delay_alu instid0(VALU_DEP_1) | instskip(SKIP_2) | instid1(VALU_DEP_1)
	v_rcp_f64_e32 v[222:223], v[218:219]
	s_waitcnt_depctr 0xfff
	v_fma_f64 v[224:225], -v[218:219], v[222:223], 1.0
	v_fma_f64 v[222:223], v[222:223], v[224:225], v[222:223]
	s_delay_alu instid0(VALU_DEP_1) | instskip(NEXT) | instid1(VALU_DEP_1)
	v_fma_f64 v[224:225], -v[218:219], v[222:223], 1.0
	v_fma_f64 v[222:223], v[222:223], v[224:225], v[222:223]
	v_div_scale_f64 v[224:225], vcc_lo, 1.0, v[216:217], 1.0
	s_delay_alu instid0(VALU_DEP_1) | instskip(NEXT) | instid1(VALU_DEP_1)
	v_mul_f64 v[226:227], v[224:225], v[222:223]
	v_fma_f64 v[218:219], -v[218:219], v[226:227], v[224:225]
	s_delay_alu instid0(VALU_DEP_1) | instskip(NEXT) | instid1(VALU_DEP_1)
	v_div_fmas_f64 v[218:219], v[218:219], v[222:223], v[226:227]
	v_div_fixup_f64 v[224:225], v[218:219], v[216:217], 1.0
	s_delay_alu instid0(VALU_DEP_1)
	v_mul_f64 v[222:223], v[220:221], -v[224:225]
.LBB119_214:
	s_or_b32 exec_lo, exec_lo, s3
	ds_store_2addr_b64 v248, v[224:225], v[222:223] offset1:1
.LBB119_215:
	s_or_b32 exec_lo, exec_lo, s4
	s_waitcnt lgkmcnt(0)
	s_barrier
	buffer_gl0_inv
	ds_load_2addr_b64 v[211:214], v248 offset1:1
	s_mov_b32 s3, exec_lo
	s_waitcnt lgkmcnt(0)
	scratch_store_b128 off, v[211:214], off offset:968 ; 16-byte Folded Spill
	v_cmpx_lt_u32_e32 23, v251
	s_cbranch_execz .LBB119_217
; %bb.216:
	scratch_load_b128 v[211:214], off, off offset:968 ; 16-byte Folded Reload
	ds_load_2addr_b64 v[218:221], v250 offset0:48 offset1:49
	s_waitcnt vmcnt(0)
	v_mul_f64 v[216:217], v[213:214], v[146:147]
	v_mul_f64 v[146:147], v[211:212], v[146:147]
	s_delay_alu instid0(VALU_DEP_2) | instskip(NEXT) | instid1(VALU_DEP_2)
	v_fma_f64 v[216:217], v[211:212], v[144:145], -v[216:217]
	v_fma_f64 v[146:147], v[213:214], v[144:145], v[146:147]
	s_waitcnt lgkmcnt(0)
	s_delay_alu instid0(VALU_DEP_1) | instskip(NEXT) | instid1(VALU_DEP_1)
	v_mul_f64 v[144:145], v[220:221], v[146:147]
	v_fma_f64 v[144:145], v[218:219], v[216:217], -v[144:145]
	v_mul_f64 v[218:219], v[218:219], v[146:147]
	s_delay_alu instid0(VALU_DEP_2) | instskip(NEXT) | instid1(VALU_DEP_2)
	v_add_f64 v[140:141], v[140:141], -v[144:145]
	v_fma_f64 v[218:219], v[220:221], v[216:217], v[218:219]
	s_delay_alu instid0(VALU_DEP_1) | instskip(SKIP_3) | instid1(VALU_DEP_1)
	v_add_f64 v[142:143], v[142:143], -v[218:219]
	ds_load_2addr_b64 v[218:221], v250 offset0:50 offset1:51
	s_waitcnt lgkmcnt(0)
	v_mul_f64 v[144:145], v[220:221], v[146:147]
	v_fma_f64 v[144:145], v[218:219], v[216:217], -v[144:145]
	v_mul_f64 v[218:219], v[218:219], v[146:147]
	s_delay_alu instid0(VALU_DEP_2) | instskip(NEXT) | instid1(VALU_DEP_2)
	v_add_f64 v[136:137], v[136:137], -v[144:145]
	v_fma_f64 v[218:219], v[220:221], v[216:217], v[218:219]
	s_delay_alu instid0(VALU_DEP_1) | instskip(SKIP_3) | instid1(VALU_DEP_1)
	v_add_f64 v[138:139], v[138:139], -v[218:219]
	ds_load_2addr_b64 v[218:221], v250 offset0:52 offset1:53
	s_waitcnt lgkmcnt(0)
	;; [unrolled: 10-line block ×35, first 2 shown]
	v_mul_f64 v[144:145], v[220:221], v[146:147]
	v_fma_f64 v[144:145], v[218:219], v[216:217], -v[144:145]
	v_mul_f64 v[218:219], v[218:219], v[146:147]
	s_delay_alu instid0(VALU_DEP_2) | instskip(NEXT) | instid1(VALU_DEP_2)
	v_add_f64 v[0:1], v[0:1], -v[144:145]
	v_fma_f64 v[218:219], v[220:221], v[216:217], v[218:219]
	v_dual_mov_b32 v144, v216 :: v_dual_mov_b32 v145, v217
	s_delay_alu instid0(VALU_DEP_2)
	v_add_f64 v[2:3], v[2:3], -v[218:219]
.LBB119_217:
	s_or_b32 exec_lo, exec_lo, s3
	s_delay_alu instid0(SALU_CYCLE_1)
	s_mov_b32 s4, exec_lo
	s_waitcnt_vscnt null, 0x0
	s_barrier
	buffer_gl0_inv
	v_cmpx_eq_u32_e32 24, v251
	s_cbranch_execz .LBB119_224
; %bb.218:
	ds_store_2addr_b64 v248, v[140:141], v[142:143] offset1:1
	ds_store_2addr_b64 v250, v[136:137], v[138:139] offset0:50 offset1:51
	ds_store_2addr_b64 v250, v[132:133], v[134:135] offset0:52 offset1:53
	;; [unrolled: 1-line block ×35, first 2 shown]
	ds_load_2addr_b64 v[216:219], v248 offset1:1
	s_waitcnt lgkmcnt(0)
	v_cmp_neq_f64_e32 vcc_lo, 0, v[216:217]
	v_cmp_neq_f64_e64 s3, 0, v[218:219]
	s_delay_alu instid0(VALU_DEP_1) | instskip(NEXT) | instid1(SALU_CYCLE_1)
	s_or_b32 s3, vcc_lo, s3
	s_and_b32 exec_lo, exec_lo, s3
	s_cbranch_execz .LBB119_224
; %bb.219:
	v_cmp_gt_f64_e32 vcc_lo, 0, v[216:217]
	v_xor_b32_e32 v212, 0x80000000, v217
	s_mov_b32 s3, exec_lo
                                        ; implicit-def: $vgpr224_vgpr225
	s_delay_alu instid0(VALU_DEP_1) | instskip(SKIP_3) | instid1(VALU_DEP_1)
	v_cndmask_b32_e32 v221, v217, v212, vcc_lo
	v_cndmask_b32_e32 v220, v216, v216, vcc_lo
	v_cmp_gt_f64_e32 vcc_lo, 0, v[218:219]
	v_xor_b32_e32 v212, 0x80000000, v219
	v_dual_cndmask_b32 v222, v218, v218 :: v_dual_cndmask_b32 v223, v219, v212
	s_delay_alu instid0(VALU_DEP_1)
	v_cmpx_ngt_f64_e32 v[220:221], v[222:223]
	s_xor_b32 s3, exec_lo, s3
                                        ; implicit-def: $vgpr220_vgpr221_vgpr222_vgpr223
	s_cbranch_execz .LBB119_221
; %bb.220:
	v_div_scale_f64 v[220:221], null, v[218:219], v[218:219], v[216:217]
	v_div_scale_f64 v[226:227], vcc_lo, v[216:217], v[218:219], v[216:217]
	s_delay_alu instid0(VALU_DEP_2) | instskip(SKIP_2) | instid1(VALU_DEP_1)
	v_rcp_f64_e32 v[222:223], v[220:221]
	s_waitcnt_depctr 0xfff
	v_fma_f64 v[224:225], -v[220:221], v[222:223], 1.0
	v_fma_f64 v[222:223], v[222:223], v[224:225], v[222:223]
	s_delay_alu instid0(VALU_DEP_1) | instskip(NEXT) | instid1(VALU_DEP_1)
	v_fma_f64 v[224:225], -v[220:221], v[222:223], 1.0
	v_fma_f64 v[222:223], v[222:223], v[224:225], v[222:223]
	s_delay_alu instid0(VALU_DEP_1) | instskip(NEXT) | instid1(VALU_DEP_1)
	v_mul_f64 v[224:225], v[226:227], v[222:223]
	v_fma_f64 v[220:221], -v[220:221], v[224:225], v[226:227]
	s_delay_alu instid0(VALU_DEP_1) | instskip(NEXT) | instid1(VALU_DEP_1)
	v_div_fmas_f64 v[220:221], v[220:221], v[222:223], v[224:225]
	v_div_fixup_f64 v[220:221], v[220:221], v[218:219], v[216:217]
	s_delay_alu instid0(VALU_DEP_1) | instskip(NEXT) | instid1(VALU_DEP_1)
	v_fma_f64 v[216:217], v[216:217], v[220:221], v[218:219]
	v_div_scale_f64 v[218:219], null, v[216:217], v[216:217], 1.0
	s_delay_alu instid0(VALU_DEP_1) | instskip(SKIP_2) | instid1(VALU_DEP_1)
	v_rcp_f64_e32 v[222:223], v[218:219]
	s_waitcnt_depctr 0xfff
	v_fma_f64 v[224:225], -v[218:219], v[222:223], 1.0
	v_fma_f64 v[222:223], v[222:223], v[224:225], v[222:223]
	s_delay_alu instid0(VALU_DEP_1) | instskip(NEXT) | instid1(VALU_DEP_1)
	v_fma_f64 v[224:225], -v[218:219], v[222:223], 1.0
	v_fma_f64 v[222:223], v[222:223], v[224:225], v[222:223]
	v_div_scale_f64 v[224:225], vcc_lo, 1.0, v[216:217], 1.0
	s_delay_alu instid0(VALU_DEP_1) | instskip(NEXT) | instid1(VALU_DEP_1)
	v_mul_f64 v[226:227], v[224:225], v[222:223]
	v_fma_f64 v[218:219], -v[218:219], v[226:227], v[224:225]
	s_delay_alu instid0(VALU_DEP_1) | instskip(NEXT) | instid1(VALU_DEP_1)
	v_div_fmas_f64 v[218:219], v[218:219], v[222:223], v[226:227]
	v_div_fixup_f64 v[222:223], v[218:219], v[216:217], 1.0
                                        ; implicit-def: $vgpr216_vgpr217
	s_delay_alu instid0(VALU_DEP_1)
	v_mul_f64 v[224:225], v[220:221], v[222:223]
	v_xor_b32_e32 v223, 0x80000000, v223
.LBB119_221:
	s_and_not1_saveexec_b32 s3, s3
	s_cbranch_execz .LBB119_223
; %bb.222:
	v_div_scale_f64 v[220:221], null, v[216:217], v[216:217], v[218:219]
	v_div_scale_f64 v[226:227], vcc_lo, v[218:219], v[216:217], v[218:219]
	s_delay_alu instid0(VALU_DEP_2) | instskip(SKIP_2) | instid1(VALU_DEP_1)
	v_rcp_f64_e32 v[222:223], v[220:221]
	s_waitcnt_depctr 0xfff
	v_fma_f64 v[224:225], -v[220:221], v[222:223], 1.0
	v_fma_f64 v[222:223], v[222:223], v[224:225], v[222:223]
	s_delay_alu instid0(VALU_DEP_1) | instskip(NEXT) | instid1(VALU_DEP_1)
	v_fma_f64 v[224:225], -v[220:221], v[222:223], 1.0
	v_fma_f64 v[222:223], v[222:223], v[224:225], v[222:223]
	s_delay_alu instid0(VALU_DEP_1) | instskip(NEXT) | instid1(VALU_DEP_1)
	v_mul_f64 v[224:225], v[226:227], v[222:223]
	v_fma_f64 v[220:221], -v[220:221], v[224:225], v[226:227]
	s_delay_alu instid0(VALU_DEP_1) | instskip(NEXT) | instid1(VALU_DEP_1)
	v_div_fmas_f64 v[220:221], v[220:221], v[222:223], v[224:225]
	v_div_fixup_f64 v[220:221], v[220:221], v[216:217], v[218:219]
	s_delay_alu instid0(VALU_DEP_1) | instskip(NEXT) | instid1(VALU_DEP_1)
	v_fma_f64 v[216:217], v[218:219], v[220:221], v[216:217]
	v_div_scale_f64 v[218:219], null, v[216:217], v[216:217], 1.0
	s_delay_alu instid0(VALU_DEP_1) | instskip(SKIP_2) | instid1(VALU_DEP_1)
	v_rcp_f64_e32 v[222:223], v[218:219]
	s_waitcnt_depctr 0xfff
	v_fma_f64 v[224:225], -v[218:219], v[222:223], 1.0
	v_fma_f64 v[222:223], v[222:223], v[224:225], v[222:223]
	s_delay_alu instid0(VALU_DEP_1) | instskip(NEXT) | instid1(VALU_DEP_1)
	v_fma_f64 v[224:225], -v[218:219], v[222:223], 1.0
	v_fma_f64 v[222:223], v[222:223], v[224:225], v[222:223]
	v_div_scale_f64 v[224:225], vcc_lo, 1.0, v[216:217], 1.0
	s_delay_alu instid0(VALU_DEP_1) | instskip(NEXT) | instid1(VALU_DEP_1)
	v_mul_f64 v[226:227], v[224:225], v[222:223]
	v_fma_f64 v[218:219], -v[218:219], v[226:227], v[224:225]
	s_delay_alu instid0(VALU_DEP_1) | instskip(NEXT) | instid1(VALU_DEP_1)
	v_div_fmas_f64 v[218:219], v[218:219], v[222:223], v[226:227]
	v_div_fixup_f64 v[224:225], v[218:219], v[216:217], 1.0
	s_delay_alu instid0(VALU_DEP_1)
	v_mul_f64 v[222:223], v[220:221], -v[224:225]
.LBB119_223:
	s_or_b32 exec_lo, exec_lo, s3
	ds_store_2addr_b64 v248, v[224:225], v[222:223] offset1:1
.LBB119_224:
	s_or_b32 exec_lo, exec_lo, s4
	s_waitcnt lgkmcnt(0)
	s_barrier
	buffer_gl0_inv
	ds_load_2addr_b64 v[211:214], v248 offset1:1
	s_mov_b32 s3, exec_lo
	s_waitcnt lgkmcnt(0)
	scratch_store_b128 off, v[211:214], off offset:984 ; 16-byte Folded Spill
	v_cmpx_lt_u32_e32 24, v251
	s_cbranch_execz .LBB119_226
; %bb.225:
	scratch_load_b128 v[211:214], off, off offset:984 ; 16-byte Folded Reload
	ds_load_2addr_b64 v[218:221], v250 offset0:50 offset1:51
	s_waitcnt vmcnt(0)
	v_mul_f64 v[216:217], v[213:214], v[142:143]
	v_mul_f64 v[142:143], v[211:212], v[142:143]
	s_delay_alu instid0(VALU_DEP_2) | instskip(NEXT) | instid1(VALU_DEP_2)
	v_fma_f64 v[216:217], v[211:212], v[140:141], -v[216:217]
	v_fma_f64 v[142:143], v[213:214], v[140:141], v[142:143]
	s_waitcnt lgkmcnt(0)
	s_delay_alu instid0(VALU_DEP_1) | instskip(NEXT) | instid1(VALU_DEP_1)
	v_mul_f64 v[140:141], v[220:221], v[142:143]
	v_fma_f64 v[140:141], v[218:219], v[216:217], -v[140:141]
	v_mul_f64 v[218:219], v[218:219], v[142:143]
	s_delay_alu instid0(VALU_DEP_2) | instskip(NEXT) | instid1(VALU_DEP_2)
	v_add_f64 v[136:137], v[136:137], -v[140:141]
	v_fma_f64 v[218:219], v[220:221], v[216:217], v[218:219]
	s_delay_alu instid0(VALU_DEP_1) | instskip(SKIP_3) | instid1(VALU_DEP_1)
	v_add_f64 v[138:139], v[138:139], -v[218:219]
	ds_load_2addr_b64 v[218:221], v250 offset0:52 offset1:53
	s_waitcnt lgkmcnt(0)
	v_mul_f64 v[140:141], v[220:221], v[142:143]
	v_fma_f64 v[140:141], v[218:219], v[216:217], -v[140:141]
	v_mul_f64 v[218:219], v[218:219], v[142:143]
	s_delay_alu instid0(VALU_DEP_2) | instskip(NEXT) | instid1(VALU_DEP_2)
	v_add_f64 v[132:133], v[132:133], -v[140:141]
	v_fma_f64 v[218:219], v[220:221], v[216:217], v[218:219]
	s_delay_alu instid0(VALU_DEP_1) | instskip(SKIP_3) | instid1(VALU_DEP_1)
	v_add_f64 v[134:135], v[134:135], -v[218:219]
	ds_load_2addr_b64 v[218:221], v250 offset0:54 offset1:55
	s_waitcnt lgkmcnt(0)
	;; [unrolled: 10-line block ×34, first 2 shown]
	v_mul_f64 v[140:141], v[220:221], v[142:143]
	v_fma_f64 v[140:141], v[218:219], v[216:217], -v[140:141]
	v_mul_f64 v[218:219], v[218:219], v[142:143]
	s_delay_alu instid0(VALU_DEP_2) | instskip(NEXT) | instid1(VALU_DEP_2)
	v_add_f64 v[0:1], v[0:1], -v[140:141]
	v_fma_f64 v[218:219], v[220:221], v[216:217], v[218:219]
	v_dual_mov_b32 v140, v216 :: v_dual_mov_b32 v141, v217
	s_delay_alu instid0(VALU_DEP_2)
	v_add_f64 v[2:3], v[2:3], -v[218:219]
.LBB119_226:
	s_or_b32 exec_lo, exec_lo, s3
	s_delay_alu instid0(SALU_CYCLE_1)
	s_mov_b32 s4, exec_lo
	s_waitcnt_vscnt null, 0x0
	s_barrier
	buffer_gl0_inv
	v_cmpx_eq_u32_e32 25, v251
	s_cbranch_execz .LBB119_233
; %bb.227:
	ds_store_2addr_b64 v248, v[136:137], v[138:139] offset1:1
	ds_store_2addr_b64 v250, v[132:133], v[134:135] offset0:52 offset1:53
	ds_store_2addr_b64 v250, v[128:129], v[130:131] offset0:54 offset1:55
	;; [unrolled: 1-line block ×34, first 2 shown]
	ds_load_2addr_b64 v[216:219], v248 offset1:1
	s_waitcnt lgkmcnt(0)
	v_cmp_neq_f64_e32 vcc_lo, 0, v[216:217]
	v_cmp_neq_f64_e64 s3, 0, v[218:219]
	s_delay_alu instid0(VALU_DEP_1) | instskip(NEXT) | instid1(SALU_CYCLE_1)
	s_or_b32 s3, vcc_lo, s3
	s_and_b32 exec_lo, exec_lo, s3
	s_cbranch_execz .LBB119_233
; %bb.228:
	v_cmp_gt_f64_e32 vcc_lo, 0, v[216:217]
	v_xor_b32_e32 v212, 0x80000000, v217
	s_mov_b32 s3, exec_lo
                                        ; implicit-def: $vgpr224_vgpr225
	s_delay_alu instid0(VALU_DEP_1) | instskip(SKIP_3) | instid1(VALU_DEP_1)
	v_cndmask_b32_e32 v221, v217, v212, vcc_lo
	v_cndmask_b32_e32 v220, v216, v216, vcc_lo
	v_cmp_gt_f64_e32 vcc_lo, 0, v[218:219]
	v_xor_b32_e32 v212, 0x80000000, v219
	v_dual_cndmask_b32 v222, v218, v218 :: v_dual_cndmask_b32 v223, v219, v212
	s_delay_alu instid0(VALU_DEP_1)
	v_cmpx_ngt_f64_e32 v[220:221], v[222:223]
	s_xor_b32 s3, exec_lo, s3
                                        ; implicit-def: $vgpr220_vgpr221_vgpr222_vgpr223
	s_cbranch_execz .LBB119_230
; %bb.229:
	v_div_scale_f64 v[220:221], null, v[218:219], v[218:219], v[216:217]
	v_div_scale_f64 v[226:227], vcc_lo, v[216:217], v[218:219], v[216:217]
	s_delay_alu instid0(VALU_DEP_2) | instskip(SKIP_2) | instid1(VALU_DEP_1)
	v_rcp_f64_e32 v[222:223], v[220:221]
	s_waitcnt_depctr 0xfff
	v_fma_f64 v[224:225], -v[220:221], v[222:223], 1.0
	v_fma_f64 v[222:223], v[222:223], v[224:225], v[222:223]
	s_delay_alu instid0(VALU_DEP_1) | instskip(NEXT) | instid1(VALU_DEP_1)
	v_fma_f64 v[224:225], -v[220:221], v[222:223], 1.0
	v_fma_f64 v[222:223], v[222:223], v[224:225], v[222:223]
	s_delay_alu instid0(VALU_DEP_1) | instskip(NEXT) | instid1(VALU_DEP_1)
	v_mul_f64 v[224:225], v[226:227], v[222:223]
	v_fma_f64 v[220:221], -v[220:221], v[224:225], v[226:227]
	s_delay_alu instid0(VALU_DEP_1) | instskip(NEXT) | instid1(VALU_DEP_1)
	v_div_fmas_f64 v[220:221], v[220:221], v[222:223], v[224:225]
	v_div_fixup_f64 v[220:221], v[220:221], v[218:219], v[216:217]
	s_delay_alu instid0(VALU_DEP_1) | instskip(NEXT) | instid1(VALU_DEP_1)
	v_fma_f64 v[216:217], v[216:217], v[220:221], v[218:219]
	v_div_scale_f64 v[218:219], null, v[216:217], v[216:217], 1.0
	s_delay_alu instid0(VALU_DEP_1) | instskip(SKIP_2) | instid1(VALU_DEP_1)
	v_rcp_f64_e32 v[222:223], v[218:219]
	s_waitcnt_depctr 0xfff
	v_fma_f64 v[224:225], -v[218:219], v[222:223], 1.0
	v_fma_f64 v[222:223], v[222:223], v[224:225], v[222:223]
	s_delay_alu instid0(VALU_DEP_1) | instskip(NEXT) | instid1(VALU_DEP_1)
	v_fma_f64 v[224:225], -v[218:219], v[222:223], 1.0
	v_fma_f64 v[222:223], v[222:223], v[224:225], v[222:223]
	v_div_scale_f64 v[224:225], vcc_lo, 1.0, v[216:217], 1.0
	s_delay_alu instid0(VALU_DEP_1) | instskip(NEXT) | instid1(VALU_DEP_1)
	v_mul_f64 v[226:227], v[224:225], v[222:223]
	v_fma_f64 v[218:219], -v[218:219], v[226:227], v[224:225]
	s_delay_alu instid0(VALU_DEP_1) | instskip(NEXT) | instid1(VALU_DEP_1)
	v_div_fmas_f64 v[218:219], v[218:219], v[222:223], v[226:227]
	v_div_fixup_f64 v[222:223], v[218:219], v[216:217], 1.0
                                        ; implicit-def: $vgpr216_vgpr217
	s_delay_alu instid0(VALU_DEP_1)
	v_mul_f64 v[224:225], v[220:221], v[222:223]
	v_xor_b32_e32 v223, 0x80000000, v223
.LBB119_230:
	s_and_not1_saveexec_b32 s3, s3
	s_cbranch_execz .LBB119_232
; %bb.231:
	v_div_scale_f64 v[220:221], null, v[216:217], v[216:217], v[218:219]
	v_div_scale_f64 v[226:227], vcc_lo, v[218:219], v[216:217], v[218:219]
	s_delay_alu instid0(VALU_DEP_2) | instskip(SKIP_2) | instid1(VALU_DEP_1)
	v_rcp_f64_e32 v[222:223], v[220:221]
	s_waitcnt_depctr 0xfff
	v_fma_f64 v[224:225], -v[220:221], v[222:223], 1.0
	v_fma_f64 v[222:223], v[222:223], v[224:225], v[222:223]
	s_delay_alu instid0(VALU_DEP_1) | instskip(NEXT) | instid1(VALU_DEP_1)
	v_fma_f64 v[224:225], -v[220:221], v[222:223], 1.0
	v_fma_f64 v[222:223], v[222:223], v[224:225], v[222:223]
	s_delay_alu instid0(VALU_DEP_1) | instskip(NEXT) | instid1(VALU_DEP_1)
	v_mul_f64 v[224:225], v[226:227], v[222:223]
	v_fma_f64 v[220:221], -v[220:221], v[224:225], v[226:227]
	s_delay_alu instid0(VALU_DEP_1) | instskip(NEXT) | instid1(VALU_DEP_1)
	v_div_fmas_f64 v[220:221], v[220:221], v[222:223], v[224:225]
	v_div_fixup_f64 v[220:221], v[220:221], v[216:217], v[218:219]
	s_delay_alu instid0(VALU_DEP_1) | instskip(NEXT) | instid1(VALU_DEP_1)
	v_fma_f64 v[216:217], v[218:219], v[220:221], v[216:217]
	v_div_scale_f64 v[218:219], null, v[216:217], v[216:217], 1.0
	s_delay_alu instid0(VALU_DEP_1) | instskip(SKIP_2) | instid1(VALU_DEP_1)
	v_rcp_f64_e32 v[222:223], v[218:219]
	s_waitcnt_depctr 0xfff
	v_fma_f64 v[224:225], -v[218:219], v[222:223], 1.0
	v_fma_f64 v[222:223], v[222:223], v[224:225], v[222:223]
	s_delay_alu instid0(VALU_DEP_1) | instskip(NEXT) | instid1(VALU_DEP_1)
	v_fma_f64 v[224:225], -v[218:219], v[222:223], 1.0
	v_fma_f64 v[222:223], v[222:223], v[224:225], v[222:223]
	v_div_scale_f64 v[224:225], vcc_lo, 1.0, v[216:217], 1.0
	s_delay_alu instid0(VALU_DEP_1) | instskip(NEXT) | instid1(VALU_DEP_1)
	v_mul_f64 v[226:227], v[224:225], v[222:223]
	v_fma_f64 v[218:219], -v[218:219], v[226:227], v[224:225]
	s_delay_alu instid0(VALU_DEP_1) | instskip(NEXT) | instid1(VALU_DEP_1)
	v_div_fmas_f64 v[218:219], v[218:219], v[222:223], v[226:227]
	v_div_fixup_f64 v[224:225], v[218:219], v[216:217], 1.0
	s_delay_alu instid0(VALU_DEP_1)
	v_mul_f64 v[222:223], v[220:221], -v[224:225]
.LBB119_232:
	s_or_b32 exec_lo, exec_lo, s3
	ds_store_2addr_b64 v248, v[224:225], v[222:223] offset1:1
.LBB119_233:
	s_or_b32 exec_lo, exec_lo, s4
	s_waitcnt lgkmcnt(0)
	s_barrier
	buffer_gl0_inv
	ds_load_2addr_b64 v[211:214], v248 offset1:1
	s_mov_b32 s3, exec_lo
	s_waitcnt lgkmcnt(0)
	scratch_store_b128 off, v[211:214], off offset:1000 ; 16-byte Folded Spill
	v_cmpx_lt_u32_e32 25, v251
	s_cbranch_execz .LBB119_235
; %bb.234:
	scratch_load_b128 v[211:214], off, off offset:1000 ; 16-byte Folded Reload
	ds_load_2addr_b64 v[218:221], v250 offset0:52 offset1:53
	s_waitcnt vmcnt(0)
	v_mul_f64 v[216:217], v[213:214], v[138:139]
	v_mul_f64 v[138:139], v[211:212], v[138:139]
	s_delay_alu instid0(VALU_DEP_2) | instskip(NEXT) | instid1(VALU_DEP_2)
	v_fma_f64 v[216:217], v[211:212], v[136:137], -v[216:217]
	v_fma_f64 v[138:139], v[213:214], v[136:137], v[138:139]
	s_waitcnt lgkmcnt(0)
	s_delay_alu instid0(VALU_DEP_1) | instskip(NEXT) | instid1(VALU_DEP_1)
	v_mul_f64 v[136:137], v[220:221], v[138:139]
	v_fma_f64 v[136:137], v[218:219], v[216:217], -v[136:137]
	v_mul_f64 v[218:219], v[218:219], v[138:139]
	s_delay_alu instid0(VALU_DEP_2) | instskip(NEXT) | instid1(VALU_DEP_2)
	v_add_f64 v[132:133], v[132:133], -v[136:137]
	v_fma_f64 v[218:219], v[220:221], v[216:217], v[218:219]
	s_delay_alu instid0(VALU_DEP_1) | instskip(SKIP_3) | instid1(VALU_DEP_1)
	v_add_f64 v[134:135], v[134:135], -v[218:219]
	ds_load_2addr_b64 v[218:221], v250 offset0:54 offset1:55
	s_waitcnt lgkmcnt(0)
	v_mul_f64 v[136:137], v[220:221], v[138:139]
	v_fma_f64 v[136:137], v[218:219], v[216:217], -v[136:137]
	v_mul_f64 v[218:219], v[218:219], v[138:139]
	s_delay_alu instid0(VALU_DEP_2) | instskip(NEXT) | instid1(VALU_DEP_2)
	v_add_f64 v[128:129], v[128:129], -v[136:137]
	v_fma_f64 v[218:219], v[220:221], v[216:217], v[218:219]
	s_delay_alu instid0(VALU_DEP_1) | instskip(SKIP_3) | instid1(VALU_DEP_1)
	v_add_f64 v[130:131], v[130:131], -v[218:219]
	ds_load_2addr_b64 v[218:221], v250 offset0:56 offset1:57
	s_waitcnt lgkmcnt(0)
	;; [unrolled: 10-line block ×33, first 2 shown]
	v_mul_f64 v[136:137], v[220:221], v[138:139]
	v_fma_f64 v[136:137], v[218:219], v[216:217], -v[136:137]
	v_mul_f64 v[218:219], v[218:219], v[138:139]
	s_delay_alu instid0(VALU_DEP_2) | instskip(NEXT) | instid1(VALU_DEP_2)
	v_add_f64 v[0:1], v[0:1], -v[136:137]
	v_fma_f64 v[218:219], v[220:221], v[216:217], v[218:219]
	v_dual_mov_b32 v136, v216 :: v_dual_mov_b32 v137, v217
	s_delay_alu instid0(VALU_DEP_2)
	v_add_f64 v[2:3], v[2:3], -v[218:219]
.LBB119_235:
	s_or_b32 exec_lo, exec_lo, s3
	s_delay_alu instid0(SALU_CYCLE_1)
	s_mov_b32 s4, exec_lo
	s_waitcnt_vscnt null, 0x0
	s_barrier
	buffer_gl0_inv
	v_cmpx_eq_u32_e32 26, v251
	s_cbranch_execz .LBB119_242
; %bb.236:
	ds_store_2addr_b64 v248, v[132:133], v[134:135] offset1:1
	ds_store_2addr_b64 v250, v[128:129], v[130:131] offset0:54 offset1:55
	ds_store_2addr_b64 v250, v[124:125], v[126:127] offset0:56 offset1:57
	ds_store_2addr_b64 v250, v[120:121], v[122:123] offset0:58 offset1:59
	ds_store_2addr_b64 v250, v[116:117], v[118:119] offset0:60 offset1:61
	ds_store_2addr_b64 v250, v[112:113], v[114:115] offset0:62 offset1:63
	ds_store_2addr_b64 v250, v[108:109], v[110:111] offset0:64 offset1:65
	ds_store_2addr_b64 v250, v[104:105], v[106:107] offset0:66 offset1:67
	ds_store_2addr_b64 v250, v[100:101], v[102:103] offset0:68 offset1:69
	ds_store_2addr_b64 v250, v[96:97], v[98:99] offset0:70 offset1:71
	ds_store_2addr_b64 v250, v[92:93], v[94:95] offset0:72 offset1:73
	ds_store_2addr_b64 v250, v[88:89], v[90:91] offset0:74 offset1:75
	ds_store_2addr_b64 v250, v[84:85], v[86:87] offset0:76 offset1:77
	ds_store_2addr_b64 v250, v[80:81], v[82:83] offset0:78 offset1:79
	ds_store_2addr_b64 v250, v[76:77], v[78:79] offset0:80 offset1:81
	ds_store_2addr_b64 v250, v[72:73], v[74:75] offset0:82 offset1:83
	ds_store_2addr_b64 v250, v[68:69], v[70:71] offset0:84 offset1:85
	ds_store_2addr_b64 v250, v[64:65], v[66:67] offset0:86 offset1:87
	ds_store_2addr_b64 v250, v[60:61], v[62:63] offset0:88 offset1:89
	ds_store_2addr_b64 v250, v[56:57], v[58:59] offset0:90 offset1:91
	ds_store_2addr_b64 v250, v[52:53], v[54:55] offset0:92 offset1:93
	ds_store_2addr_b64 v250, v[48:49], v[50:51] offset0:94 offset1:95
	ds_store_2addr_b64 v250, v[44:45], v[46:47] offset0:96 offset1:97
	ds_store_2addr_b64 v250, v[40:41], v[42:43] offset0:98 offset1:99
	ds_store_2addr_b64 v250, v[36:37], v[38:39] offset0:100 offset1:101
	ds_store_2addr_b64 v250, v[32:33], v[34:35] offset0:102 offset1:103
	ds_store_2addr_b64 v250, v[28:29], v[30:31] offset0:104 offset1:105
	ds_store_2addr_b64 v250, v[24:25], v[26:27] offset0:106 offset1:107
	ds_store_2addr_b64 v250, v[20:21], v[22:23] offset0:108 offset1:109
	ds_store_2addr_b64 v250, v[16:17], v[18:19] offset0:110 offset1:111
	ds_store_2addr_b64 v250, v[12:13], v[14:15] offset0:112 offset1:113
	ds_store_2addr_b64 v250, v[8:9], v[10:11] offset0:114 offset1:115
	ds_store_2addr_b64 v250, v[4:5], v[6:7] offset0:116 offset1:117
	ds_store_2addr_b64 v250, v[0:1], v[2:3] offset0:118 offset1:119
	ds_load_2addr_b64 v[216:219], v248 offset1:1
	s_waitcnt lgkmcnt(0)
	v_cmp_neq_f64_e32 vcc_lo, 0, v[216:217]
	v_cmp_neq_f64_e64 s3, 0, v[218:219]
	s_delay_alu instid0(VALU_DEP_1) | instskip(NEXT) | instid1(SALU_CYCLE_1)
	s_or_b32 s3, vcc_lo, s3
	s_and_b32 exec_lo, exec_lo, s3
	s_cbranch_execz .LBB119_242
; %bb.237:
	v_cmp_gt_f64_e32 vcc_lo, 0, v[216:217]
	v_xor_b32_e32 v212, 0x80000000, v217
	s_mov_b32 s3, exec_lo
                                        ; implicit-def: $vgpr224_vgpr225
	s_delay_alu instid0(VALU_DEP_1) | instskip(SKIP_3) | instid1(VALU_DEP_1)
	v_cndmask_b32_e32 v221, v217, v212, vcc_lo
	v_cndmask_b32_e32 v220, v216, v216, vcc_lo
	v_cmp_gt_f64_e32 vcc_lo, 0, v[218:219]
	v_xor_b32_e32 v212, 0x80000000, v219
	v_dual_cndmask_b32 v222, v218, v218 :: v_dual_cndmask_b32 v223, v219, v212
	s_delay_alu instid0(VALU_DEP_1)
	v_cmpx_ngt_f64_e32 v[220:221], v[222:223]
	s_xor_b32 s3, exec_lo, s3
                                        ; implicit-def: $vgpr220_vgpr221_vgpr222_vgpr223
	s_cbranch_execz .LBB119_239
; %bb.238:
	v_div_scale_f64 v[220:221], null, v[218:219], v[218:219], v[216:217]
	v_div_scale_f64 v[226:227], vcc_lo, v[216:217], v[218:219], v[216:217]
	s_delay_alu instid0(VALU_DEP_2) | instskip(SKIP_2) | instid1(VALU_DEP_1)
	v_rcp_f64_e32 v[222:223], v[220:221]
	s_waitcnt_depctr 0xfff
	v_fma_f64 v[224:225], -v[220:221], v[222:223], 1.0
	v_fma_f64 v[222:223], v[222:223], v[224:225], v[222:223]
	s_delay_alu instid0(VALU_DEP_1) | instskip(NEXT) | instid1(VALU_DEP_1)
	v_fma_f64 v[224:225], -v[220:221], v[222:223], 1.0
	v_fma_f64 v[222:223], v[222:223], v[224:225], v[222:223]
	s_delay_alu instid0(VALU_DEP_1) | instskip(NEXT) | instid1(VALU_DEP_1)
	v_mul_f64 v[224:225], v[226:227], v[222:223]
	v_fma_f64 v[220:221], -v[220:221], v[224:225], v[226:227]
	s_delay_alu instid0(VALU_DEP_1) | instskip(NEXT) | instid1(VALU_DEP_1)
	v_div_fmas_f64 v[220:221], v[220:221], v[222:223], v[224:225]
	v_div_fixup_f64 v[220:221], v[220:221], v[218:219], v[216:217]
	s_delay_alu instid0(VALU_DEP_1) | instskip(NEXT) | instid1(VALU_DEP_1)
	v_fma_f64 v[216:217], v[216:217], v[220:221], v[218:219]
	v_div_scale_f64 v[218:219], null, v[216:217], v[216:217], 1.0
	s_delay_alu instid0(VALU_DEP_1) | instskip(SKIP_2) | instid1(VALU_DEP_1)
	v_rcp_f64_e32 v[222:223], v[218:219]
	s_waitcnt_depctr 0xfff
	v_fma_f64 v[224:225], -v[218:219], v[222:223], 1.0
	v_fma_f64 v[222:223], v[222:223], v[224:225], v[222:223]
	s_delay_alu instid0(VALU_DEP_1) | instskip(NEXT) | instid1(VALU_DEP_1)
	v_fma_f64 v[224:225], -v[218:219], v[222:223], 1.0
	v_fma_f64 v[222:223], v[222:223], v[224:225], v[222:223]
	v_div_scale_f64 v[224:225], vcc_lo, 1.0, v[216:217], 1.0
	s_delay_alu instid0(VALU_DEP_1) | instskip(NEXT) | instid1(VALU_DEP_1)
	v_mul_f64 v[226:227], v[224:225], v[222:223]
	v_fma_f64 v[218:219], -v[218:219], v[226:227], v[224:225]
	s_delay_alu instid0(VALU_DEP_1) | instskip(NEXT) | instid1(VALU_DEP_1)
	v_div_fmas_f64 v[218:219], v[218:219], v[222:223], v[226:227]
	v_div_fixup_f64 v[222:223], v[218:219], v[216:217], 1.0
                                        ; implicit-def: $vgpr216_vgpr217
	s_delay_alu instid0(VALU_DEP_1)
	v_mul_f64 v[224:225], v[220:221], v[222:223]
	v_xor_b32_e32 v223, 0x80000000, v223
.LBB119_239:
	s_and_not1_saveexec_b32 s3, s3
	s_cbranch_execz .LBB119_241
; %bb.240:
	v_div_scale_f64 v[220:221], null, v[216:217], v[216:217], v[218:219]
	v_div_scale_f64 v[226:227], vcc_lo, v[218:219], v[216:217], v[218:219]
	s_delay_alu instid0(VALU_DEP_2) | instskip(SKIP_2) | instid1(VALU_DEP_1)
	v_rcp_f64_e32 v[222:223], v[220:221]
	s_waitcnt_depctr 0xfff
	v_fma_f64 v[224:225], -v[220:221], v[222:223], 1.0
	v_fma_f64 v[222:223], v[222:223], v[224:225], v[222:223]
	s_delay_alu instid0(VALU_DEP_1) | instskip(NEXT) | instid1(VALU_DEP_1)
	v_fma_f64 v[224:225], -v[220:221], v[222:223], 1.0
	v_fma_f64 v[222:223], v[222:223], v[224:225], v[222:223]
	s_delay_alu instid0(VALU_DEP_1) | instskip(NEXT) | instid1(VALU_DEP_1)
	v_mul_f64 v[224:225], v[226:227], v[222:223]
	v_fma_f64 v[220:221], -v[220:221], v[224:225], v[226:227]
	s_delay_alu instid0(VALU_DEP_1) | instskip(NEXT) | instid1(VALU_DEP_1)
	v_div_fmas_f64 v[220:221], v[220:221], v[222:223], v[224:225]
	v_div_fixup_f64 v[220:221], v[220:221], v[216:217], v[218:219]
	s_delay_alu instid0(VALU_DEP_1) | instskip(NEXT) | instid1(VALU_DEP_1)
	v_fma_f64 v[216:217], v[218:219], v[220:221], v[216:217]
	v_div_scale_f64 v[218:219], null, v[216:217], v[216:217], 1.0
	s_delay_alu instid0(VALU_DEP_1) | instskip(SKIP_2) | instid1(VALU_DEP_1)
	v_rcp_f64_e32 v[222:223], v[218:219]
	s_waitcnt_depctr 0xfff
	v_fma_f64 v[224:225], -v[218:219], v[222:223], 1.0
	v_fma_f64 v[222:223], v[222:223], v[224:225], v[222:223]
	s_delay_alu instid0(VALU_DEP_1) | instskip(NEXT) | instid1(VALU_DEP_1)
	v_fma_f64 v[224:225], -v[218:219], v[222:223], 1.0
	v_fma_f64 v[222:223], v[222:223], v[224:225], v[222:223]
	v_div_scale_f64 v[224:225], vcc_lo, 1.0, v[216:217], 1.0
	s_delay_alu instid0(VALU_DEP_1) | instskip(NEXT) | instid1(VALU_DEP_1)
	v_mul_f64 v[226:227], v[224:225], v[222:223]
	v_fma_f64 v[218:219], -v[218:219], v[226:227], v[224:225]
	s_delay_alu instid0(VALU_DEP_1) | instskip(NEXT) | instid1(VALU_DEP_1)
	v_div_fmas_f64 v[218:219], v[218:219], v[222:223], v[226:227]
	v_div_fixup_f64 v[224:225], v[218:219], v[216:217], 1.0
	s_delay_alu instid0(VALU_DEP_1)
	v_mul_f64 v[222:223], v[220:221], -v[224:225]
.LBB119_241:
	s_or_b32 exec_lo, exec_lo, s3
	ds_store_2addr_b64 v248, v[224:225], v[222:223] offset1:1
.LBB119_242:
	s_or_b32 exec_lo, exec_lo, s4
	s_waitcnt lgkmcnt(0)
	s_barrier
	buffer_gl0_inv
	ds_load_2addr_b64 v[211:214], v248 offset1:1
	s_mov_b32 s3, exec_lo
	s_waitcnt lgkmcnt(0)
	scratch_store_b128 off, v[211:214], off offset:1016 ; 16-byte Folded Spill
	v_cmpx_lt_u32_e32 26, v251
	s_cbranch_execz .LBB119_244
; %bb.243:
	scratch_load_b128 v[211:214], off, off offset:1016 ; 16-byte Folded Reload
	ds_load_2addr_b64 v[218:221], v250 offset0:54 offset1:55
	s_waitcnt vmcnt(0)
	v_mul_f64 v[216:217], v[213:214], v[134:135]
	v_mul_f64 v[134:135], v[211:212], v[134:135]
	s_delay_alu instid0(VALU_DEP_2) | instskip(NEXT) | instid1(VALU_DEP_2)
	v_fma_f64 v[216:217], v[211:212], v[132:133], -v[216:217]
	v_fma_f64 v[134:135], v[213:214], v[132:133], v[134:135]
	s_waitcnt lgkmcnt(0)
	s_delay_alu instid0(VALU_DEP_1) | instskip(NEXT) | instid1(VALU_DEP_1)
	v_mul_f64 v[132:133], v[220:221], v[134:135]
	v_fma_f64 v[132:133], v[218:219], v[216:217], -v[132:133]
	v_mul_f64 v[218:219], v[218:219], v[134:135]
	s_delay_alu instid0(VALU_DEP_2) | instskip(NEXT) | instid1(VALU_DEP_2)
	v_add_f64 v[128:129], v[128:129], -v[132:133]
	v_fma_f64 v[218:219], v[220:221], v[216:217], v[218:219]
	s_delay_alu instid0(VALU_DEP_1) | instskip(SKIP_3) | instid1(VALU_DEP_1)
	v_add_f64 v[130:131], v[130:131], -v[218:219]
	ds_load_2addr_b64 v[218:221], v250 offset0:56 offset1:57
	s_waitcnt lgkmcnt(0)
	v_mul_f64 v[132:133], v[220:221], v[134:135]
	v_fma_f64 v[132:133], v[218:219], v[216:217], -v[132:133]
	v_mul_f64 v[218:219], v[218:219], v[134:135]
	s_delay_alu instid0(VALU_DEP_2) | instskip(NEXT) | instid1(VALU_DEP_2)
	v_add_f64 v[124:125], v[124:125], -v[132:133]
	v_fma_f64 v[218:219], v[220:221], v[216:217], v[218:219]
	s_delay_alu instid0(VALU_DEP_1) | instskip(SKIP_3) | instid1(VALU_DEP_1)
	v_add_f64 v[126:127], v[126:127], -v[218:219]
	ds_load_2addr_b64 v[218:221], v250 offset0:58 offset1:59
	s_waitcnt lgkmcnt(0)
	;; [unrolled: 10-line block ×32, first 2 shown]
	v_mul_f64 v[132:133], v[220:221], v[134:135]
	v_fma_f64 v[132:133], v[218:219], v[216:217], -v[132:133]
	v_mul_f64 v[218:219], v[218:219], v[134:135]
	s_delay_alu instid0(VALU_DEP_2) | instskip(NEXT) | instid1(VALU_DEP_2)
	v_add_f64 v[0:1], v[0:1], -v[132:133]
	v_fma_f64 v[218:219], v[220:221], v[216:217], v[218:219]
	v_dual_mov_b32 v132, v216 :: v_dual_mov_b32 v133, v217
	s_delay_alu instid0(VALU_DEP_2)
	v_add_f64 v[2:3], v[2:3], -v[218:219]
.LBB119_244:
	s_or_b32 exec_lo, exec_lo, s3
	s_delay_alu instid0(SALU_CYCLE_1)
	s_mov_b32 s4, exec_lo
	s_waitcnt_vscnt null, 0x0
	s_barrier
	buffer_gl0_inv
	v_cmpx_eq_u32_e32 27, v251
	s_cbranch_execz .LBB119_251
; %bb.245:
	ds_store_2addr_b64 v248, v[128:129], v[130:131] offset1:1
	ds_store_2addr_b64 v250, v[124:125], v[126:127] offset0:56 offset1:57
	ds_store_2addr_b64 v250, v[120:121], v[122:123] offset0:58 offset1:59
	;; [unrolled: 1-line block ×32, first 2 shown]
	ds_load_2addr_b64 v[216:219], v248 offset1:1
	s_waitcnt lgkmcnt(0)
	v_cmp_neq_f64_e32 vcc_lo, 0, v[216:217]
	v_cmp_neq_f64_e64 s3, 0, v[218:219]
	s_delay_alu instid0(VALU_DEP_1) | instskip(NEXT) | instid1(SALU_CYCLE_1)
	s_or_b32 s3, vcc_lo, s3
	s_and_b32 exec_lo, exec_lo, s3
	s_cbranch_execz .LBB119_251
; %bb.246:
	v_cmp_gt_f64_e32 vcc_lo, 0, v[216:217]
	v_xor_b32_e32 v212, 0x80000000, v217
	s_mov_b32 s3, exec_lo
                                        ; implicit-def: $vgpr224_vgpr225
	s_delay_alu instid0(VALU_DEP_1) | instskip(SKIP_3) | instid1(VALU_DEP_1)
	v_cndmask_b32_e32 v221, v217, v212, vcc_lo
	v_cndmask_b32_e32 v220, v216, v216, vcc_lo
	v_cmp_gt_f64_e32 vcc_lo, 0, v[218:219]
	v_xor_b32_e32 v212, 0x80000000, v219
	v_dual_cndmask_b32 v222, v218, v218 :: v_dual_cndmask_b32 v223, v219, v212
	s_delay_alu instid0(VALU_DEP_1)
	v_cmpx_ngt_f64_e32 v[220:221], v[222:223]
	s_xor_b32 s3, exec_lo, s3
                                        ; implicit-def: $vgpr220_vgpr221_vgpr222_vgpr223
	s_cbranch_execz .LBB119_248
; %bb.247:
	v_div_scale_f64 v[220:221], null, v[218:219], v[218:219], v[216:217]
	v_div_scale_f64 v[226:227], vcc_lo, v[216:217], v[218:219], v[216:217]
	s_delay_alu instid0(VALU_DEP_2) | instskip(SKIP_2) | instid1(VALU_DEP_1)
	v_rcp_f64_e32 v[222:223], v[220:221]
	s_waitcnt_depctr 0xfff
	v_fma_f64 v[224:225], -v[220:221], v[222:223], 1.0
	v_fma_f64 v[222:223], v[222:223], v[224:225], v[222:223]
	s_delay_alu instid0(VALU_DEP_1) | instskip(NEXT) | instid1(VALU_DEP_1)
	v_fma_f64 v[224:225], -v[220:221], v[222:223], 1.0
	v_fma_f64 v[222:223], v[222:223], v[224:225], v[222:223]
	s_delay_alu instid0(VALU_DEP_1) | instskip(NEXT) | instid1(VALU_DEP_1)
	v_mul_f64 v[224:225], v[226:227], v[222:223]
	v_fma_f64 v[220:221], -v[220:221], v[224:225], v[226:227]
	s_delay_alu instid0(VALU_DEP_1) | instskip(NEXT) | instid1(VALU_DEP_1)
	v_div_fmas_f64 v[220:221], v[220:221], v[222:223], v[224:225]
	v_div_fixup_f64 v[220:221], v[220:221], v[218:219], v[216:217]
	s_delay_alu instid0(VALU_DEP_1) | instskip(NEXT) | instid1(VALU_DEP_1)
	v_fma_f64 v[216:217], v[216:217], v[220:221], v[218:219]
	v_div_scale_f64 v[218:219], null, v[216:217], v[216:217], 1.0
	s_delay_alu instid0(VALU_DEP_1) | instskip(SKIP_2) | instid1(VALU_DEP_1)
	v_rcp_f64_e32 v[222:223], v[218:219]
	s_waitcnt_depctr 0xfff
	v_fma_f64 v[224:225], -v[218:219], v[222:223], 1.0
	v_fma_f64 v[222:223], v[222:223], v[224:225], v[222:223]
	s_delay_alu instid0(VALU_DEP_1) | instskip(NEXT) | instid1(VALU_DEP_1)
	v_fma_f64 v[224:225], -v[218:219], v[222:223], 1.0
	v_fma_f64 v[222:223], v[222:223], v[224:225], v[222:223]
	v_div_scale_f64 v[224:225], vcc_lo, 1.0, v[216:217], 1.0
	s_delay_alu instid0(VALU_DEP_1) | instskip(NEXT) | instid1(VALU_DEP_1)
	v_mul_f64 v[226:227], v[224:225], v[222:223]
	v_fma_f64 v[218:219], -v[218:219], v[226:227], v[224:225]
	s_delay_alu instid0(VALU_DEP_1) | instskip(NEXT) | instid1(VALU_DEP_1)
	v_div_fmas_f64 v[218:219], v[218:219], v[222:223], v[226:227]
	v_div_fixup_f64 v[222:223], v[218:219], v[216:217], 1.0
                                        ; implicit-def: $vgpr216_vgpr217
	s_delay_alu instid0(VALU_DEP_1)
	v_mul_f64 v[224:225], v[220:221], v[222:223]
	v_xor_b32_e32 v223, 0x80000000, v223
.LBB119_248:
	s_and_not1_saveexec_b32 s3, s3
	s_cbranch_execz .LBB119_250
; %bb.249:
	v_div_scale_f64 v[220:221], null, v[216:217], v[216:217], v[218:219]
	v_div_scale_f64 v[226:227], vcc_lo, v[218:219], v[216:217], v[218:219]
	s_delay_alu instid0(VALU_DEP_2) | instskip(SKIP_2) | instid1(VALU_DEP_1)
	v_rcp_f64_e32 v[222:223], v[220:221]
	s_waitcnt_depctr 0xfff
	v_fma_f64 v[224:225], -v[220:221], v[222:223], 1.0
	v_fma_f64 v[222:223], v[222:223], v[224:225], v[222:223]
	s_delay_alu instid0(VALU_DEP_1) | instskip(NEXT) | instid1(VALU_DEP_1)
	v_fma_f64 v[224:225], -v[220:221], v[222:223], 1.0
	v_fma_f64 v[222:223], v[222:223], v[224:225], v[222:223]
	s_delay_alu instid0(VALU_DEP_1) | instskip(NEXT) | instid1(VALU_DEP_1)
	v_mul_f64 v[224:225], v[226:227], v[222:223]
	v_fma_f64 v[220:221], -v[220:221], v[224:225], v[226:227]
	s_delay_alu instid0(VALU_DEP_1) | instskip(NEXT) | instid1(VALU_DEP_1)
	v_div_fmas_f64 v[220:221], v[220:221], v[222:223], v[224:225]
	v_div_fixup_f64 v[220:221], v[220:221], v[216:217], v[218:219]
	s_delay_alu instid0(VALU_DEP_1) | instskip(NEXT) | instid1(VALU_DEP_1)
	v_fma_f64 v[216:217], v[218:219], v[220:221], v[216:217]
	v_div_scale_f64 v[218:219], null, v[216:217], v[216:217], 1.0
	s_delay_alu instid0(VALU_DEP_1) | instskip(SKIP_2) | instid1(VALU_DEP_1)
	v_rcp_f64_e32 v[222:223], v[218:219]
	s_waitcnt_depctr 0xfff
	v_fma_f64 v[224:225], -v[218:219], v[222:223], 1.0
	v_fma_f64 v[222:223], v[222:223], v[224:225], v[222:223]
	s_delay_alu instid0(VALU_DEP_1) | instskip(NEXT) | instid1(VALU_DEP_1)
	v_fma_f64 v[224:225], -v[218:219], v[222:223], 1.0
	v_fma_f64 v[222:223], v[222:223], v[224:225], v[222:223]
	v_div_scale_f64 v[224:225], vcc_lo, 1.0, v[216:217], 1.0
	s_delay_alu instid0(VALU_DEP_1) | instskip(NEXT) | instid1(VALU_DEP_1)
	v_mul_f64 v[226:227], v[224:225], v[222:223]
	v_fma_f64 v[218:219], -v[218:219], v[226:227], v[224:225]
	s_delay_alu instid0(VALU_DEP_1) | instskip(NEXT) | instid1(VALU_DEP_1)
	v_div_fmas_f64 v[218:219], v[218:219], v[222:223], v[226:227]
	v_div_fixup_f64 v[224:225], v[218:219], v[216:217], 1.0
	s_delay_alu instid0(VALU_DEP_1)
	v_mul_f64 v[222:223], v[220:221], -v[224:225]
.LBB119_250:
	s_or_b32 exec_lo, exec_lo, s3
	ds_store_2addr_b64 v248, v[224:225], v[222:223] offset1:1
.LBB119_251:
	s_or_b32 exec_lo, exec_lo, s4
	s_waitcnt lgkmcnt(0)
	s_barrier
	buffer_gl0_inv
	ds_load_2addr_b64 v[211:214], v248 offset1:1
	s_mov_b32 s3, exec_lo
	s_waitcnt lgkmcnt(0)
	scratch_store_b128 off, v[211:214], off offset:1032 ; 16-byte Folded Spill
	v_cmpx_lt_u32_e32 27, v251
	s_cbranch_execz .LBB119_253
; %bb.252:
	scratch_load_b128 v[211:214], off, off offset:1032 ; 16-byte Folded Reload
	ds_load_2addr_b64 v[218:221], v250 offset0:56 offset1:57
	s_waitcnt vmcnt(0)
	v_mul_f64 v[216:217], v[213:214], v[130:131]
	v_mul_f64 v[130:131], v[211:212], v[130:131]
	s_delay_alu instid0(VALU_DEP_2) | instskip(NEXT) | instid1(VALU_DEP_2)
	v_fma_f64 v[216:217], v[211:212], v[128:129], -v[216:217]
	v_fma_f64 v[130:131], v[213:214], v[128:129], v[130:131]
	s_waitcnt lgkmcnt(0)
	s_delay_alu instid0(VALU_DEP_1) | instskip(NEXT) | instid1(VALU_DEP_1)
	v_mul_f64 v[128:129], v[220:221], v[130:131]
	v_fma_f64 v[128:129], v[218:219], v[216:217], -v[128:129]
	v_mul_f64 v[218:219], v[218:219], v[130:131]
	s_delay_alu instid0(VALU_DEP_2) | instskip(NEXT) | instid1(VALU_DEP_2)
	v_add_f64 v[124:125], v[124:125], -v[128:129]
	v_fma_f64 v[218:219], v[220:221], v[216:217], v[218:219]
	s_delay_alu instid0(VALU_DEP_1) | instskip(SKIP_3) | instid1(VALU_DEP_1)
	v_add_f64 v[126:127], v[126:127], -v[218:219]
	ds_load_2addr_b64 v[218:221], v250 offset0:58 offset1:59
	s_waitcnt lgkmcnt(0)
	v_mul_f64 v[128:129], v[220:221], v[130:131]
	v_fma_f64 v[128:129], v[218:219], v[216:217], -v[128:129]
	v_mul_f64 v[218:219], v[218:219], v[130:131]
	s_delay_alu instid0(VALU_DEP_2) | instskip(NEXT) | instid1(VALU_DEP_2)
	v_add_f64 v[120:121], v[120:121], -v[128:129]
	v_fma_f64 v[218:219], v[220:221], v[216:217], v[218:219]
	s_delay_alu instid0(VALU_DEP_1) | instskip(SKIP_3) | instid1(VALU_DEP_1)
	v_add_f64 v[122:123], v[122:123], -v[218:219]
	ds_load_2addr_b64 v[218:221], v250 offset0:60 offset1:61
	s_waitcnt lgkmcnt(0)
	;; [unrolled: 10-line block ×31, first 2 shown]
	v_mul_f64 v[128:129], v[220:221], v[130:131]
	v_fma_f64 v[128:129], v[218:219], v[216:217], -v[128:129]
	v_mul_f64 v[218:219], v[218:219], v[130:131]
	s_delay_alu instid0(VALU_DEP_2) | instskip(NEXT) | instid1(VALU_DEP_2)
	v_add_f64 v[0:1], v[0:1], -v[128:129]
	v_fma_f64 v[218:219], v[220:221], v[216:217], v[218:219]
	v_dual_mov_b32 v128, v216 :: v_dual_mov_b32 v129, v217
	s_delay_alu instid0(VALU_DEP_2)
	v_add_f64 v[2:3], v[2:3], -v[218:219]
.LBB119_253:
	s_or_b32 exec_lo, exec_lo, s3
	s_delay_alu instid0(SALU_CYCLE_1)
	s_mov_b32 s4, exec_lo
	s_waitcnt_vscnt null, 0x0
	s_barrier
	buffer_gl0_inv
	v_cmpx_eq_u32_e32 28, v251
	s_cbranch_execz .LBB119_260
; %bb.254:
	ds_store_2addr_b64 v248, v[124:125], v[126:127] offset1:1
	ds_store_2addr_b64 v250, v[120:121], v[122:123] offset0:58 offset1:59
	ds_store_2addr_b64 v250, v[116:117], v[118:119] offset0:60 offset1:61
	;; [unrolled: 1-line block ×31, first 2 shown]
	ds_load_2addr_b64 v[216:219], v248 offset1:1
	s_waitcnt lgkmcnt(0)
	v_cmp_neq_f64_e32 vcc_lo, 0, v[216:217]
	v_cmp_neq_f64_e64 s3, 0, v[218:219]
	s_delay_alu instid0(VALU_DEP_1) | instskip(NEXT) | instid1(SALU_CYCLE_1)
	s_or_b32 s3, vcc_lo, s3
	s_and_b32 exec_lo, exec_lo, s3
	s_cbranch_execz .LBB119_260
; %bb.255:
	v_cmp_gt_f64_e32 vcc_lo, 0, v[216:217]
	v_xor_b32_e32 v212, 0x80000000, v217
	s_mov_b32 s3, exec_lo
                                        ; implicit-def: $vgpr224_vgpr225
	s_delay_alu instid0(VALU_DEP_1) | instskip(SKIP_3) | instid1(VALU_DEP_1)
	v_cndmask_b32_e32 v221, v217, v212, vcc_lo
	v_cndmask_b32_e32 v220, v216, v216, vcc_lo
	v_cmp_gt_f64_e32 vcc_lo, 0, v[218:219]
	v_xor_b32_e32 v212, 0x80000000, v219
	v_dual_cndmask_b32 v222, v218, v218 :: v_dual_cndmask_b32 v223, v219, v212
	s_delay_alu instid0(VALU_DEP_1)
	v_cmpx_ngt_f64_e32 v[220:221], v[222:223]
	s_xor_b32 s3, exec_lo, s3
                                        ; implicit-def: $vgpr220_vgpr221_vgpr222_vgpr223
	s_cbranch_execz .LBB119_257
; %bb.256:
	v_div_scale_f64 v[220:221], null, v[218:219], v[218:219], v[216:217]
	v_div_scale_f64 v[226:227], vcc_lo, v[216:217], v[218:219], v[216:217]
	s_delay_alu instid0(VALU_DEP_2) | instskip(SKIP_2) | instid1(VALU_DEP_1)
	v_rcp_f64_e32 v[222:223], v[220:221]
	s_waitcnt_depctr 0xfff
	v_fma_f64 v[224:225], -v[220:221], v[222:223], 1.0
	v_fma_f64 v[222:223], v[222:223], v[224:225], v[222:223]
	s_delay_alu instid0(VALU_DEP_1) | instskip(NEXT) | instid1(VALU_DEP_1)
	v_fma_f64 v[224:225], -v[220:221], v[222:223], 1.0
	v_fma_f64 v[222:223], v[222:223], v[224:225], v[222:223]
	s_delay_alu instid0(VALU_DEP_1) | instskip(NEXT) | instid1(VALU_DEP_1)
	v_mul_f64 v[224:225], v[226:227], v[222:223]
	v_fma_f64 v[220:221], -v[220:221], v[224:225], v[226:227]
	s_delay_alu instid0(VALU_DEP_1) | instskip(NEXT) | instid1(VALU_DEP_1)
	v_div_fmas_f64 v[220:221], v[220:221], v[222:223], v[224:225]
	v_div_fixup_f64 v[220:221], v[220:221], v[218:219], v[216:217]
	s_delay_alu instid0(VALU_DEP_1) | instskip(NEXT) | instid1(VALU_DEP_1)
	v_fma_f64 v[216:217], v[216:217], v[220:221], v[218:219]
	v_div_scale_f64 v[218:219], null, v[216:217], v[216:217], 1.0
	s_delay_alu instid0(VALU_DEP_1) | instskip(SKIP_2) | instid1(VALU_DEP_1)
	v_rcp_f64_e32 v[222:223], v[218:219]
	s_waitcnt_depctr 0xfff
	v_fma_f64 v[224:225], -v[218:219], v[222:223], 1.0
	v_fma_f64 v[222:223], v[222:223], v[224:225], v[222:223]
	s_delay_alu instid0(VALU_DEP_1) | instskip(NEXT) | instid1(VALU_DEP_1)
	v_fma_f64 v[224:225], -v[218:219], v[222:223], 1.0
	v_fma_f64 v[222:223], v[222:223], v[224:225], v[222:223]
	v_div_scale_f64 v[224:225], vcc_lo, 1.0, v[216:217], 1.0
	s_delay_alu instid0(VALU_DEP_1) | instskip(NEXT) | instid1(VALU_DEP_1)
	v_mul_f64 v[226:227], v[224:225], v[222:223]
	v_fma_f64 v[218:219], -v[218:219], v[226:227], v[224:225]
	s_delay_alu instid0(VALU_DEP_1) | instskip(NEXT) | instid1(VALU_DEP_1)
	v_div_fmas_f64 v[218:219], v[218:219], v[222:223], v[226:227]
	v_div_fixup_f64 v[222:223], v[218:219], v[216:217], 1.0
                                        ; implicit-def: $vgpr216_vgpr217
	s_delay_alu instid0(VALU_DEP_1)
	v_mul_f64 v[224:225], v[220:221], v[222:223]
	v_xor_b32_e32 v223, 0x80000000, v223
.LBB119_257:
	s_and_not1_saveexec_b32 s3, s3
	s_cbranch_execz .LBB119_259
; %bb.258:
	v_div_scale_f64 v[220:221], null, v[216:217], v[216:217], v[218:219]
	v_div_scale_f64 v[226:227], vcc_lo, v[218:219], v[216:217], v[218:219]
	s_delay_alu instid0(VALU_DEP_2) | instskip(SKIP_2) | instid1(VALU_DEP_1)
	v_rcp_f64_e32 v[222:223], v[220:221]
	s_waitcnt_depctr 0xfff
	v_fma_f64 v[224:225], -v[220:221], v[222:223], 1.0
	v_fma_f64 v[222:223], v[222:223], v[224:225], v[222:223]
	s_delay_alu instid0(VALU_DEP_1) | instskip(NEXT) | instid1(VALU_DEP_1)
	v_fma_f64 v[224:225], -v[220:221], v[222:223], 1.0
	v_fma_f64 v[222:223], v[222:223], v[224:225], v[222:223]
	s_delay_alu instid0(VALU_DEP_1) | instskip(NEXT) | instid1(VALU_DEP_1)
	v_mul_f64 v[224:225], v[226:227], v[222:223]
	v_fma_f64 v[220:221], -v[220:221], v[224:225], v[226:227]
	s_delay_alu instid0(VALU_DEP_1) | instskip(NEXT) | instid1(VALU_DEP_1)
	v_div_fmas_f64 v[220:221], v[220:221], v[222:223], v[224:225]
	v_div_fixup_f64 v[220:221], v[220:221], v[216:217], v[218:219]
	s_delay_alu instid0(VALU_DEP_1) | instskip(NEXT) | instid1(VALU_DEP_1)
	v_fma_f64 v[216:217], v[218:219], v[220:221], v[216:217]
	v_div_scale_f64 v[218:219], null, v[216:217], v[216:217], 1.0
	s_delay_alu instid0(VALU_DEP_1) | instskip(SKIP_2) | instid1(VALU_DEP_1)
	v_rcp_f64_e32 v[222:223], v[218:219]
	s_waitcnt_depctr 0xfff
	v_fma_f64 v[224:225], -v[218:219], v[222:223], 1.0
	v_fma_f64 v[222:223], v[222:223], v[224:225], v[222:223]
	s_delay_alu instid0(VALU_DEP_1) | instskip(NEXT) | instid1(VALU_DEP_1)
	v_fma_f64 v[224:225], -v[218:219], v[222:223], 1.0
	v_fma_f64 v[222:223], v[222:223], v[224:225], v[222:223]
	v_div_scale_f64 v[224:225], vcc_lo, 1.0, v[216:217], 1.0
	s_delay_alu instid0(VALU_DEP_1) | instskip(NEXT) | instid1(VALU_DEP_1)
	v_mul_f64 v[226:227], v[224:225], v[222:223]
	v_fma_f64 v[218:219], -v[218:219], v[226:227], v[224:225]
	s_delay_alu instid0(VALU_DEP_1) | instskip(NEXT) | instid1(VALU_DEP_1)
	v_div_fmas_f64 v[218:219], v[218:219], v[222:223], v[226:227]
	v_div_fixup_f64 v[224:225], v[218:219], v[216:217], 1.0
	s_delay_alu instid0(VALU_DEP_1)
	v_mul_f64 v[222:223], v[220:221], -v[224:225]
.LBB119_259:
	s_or_b32 exec_lo, exec_lo, s3
	ds_store_2addr_b64 v248, v[224:225], v[222:223] offset1:1
.LBB119_260:
	s_or_b32 exec_lo, exec_lo, s4
	s_waitcnt lgkmcnt(0)
	s_barrier
	buffer_gl0_inv
	ds_load_2addr_b64 v[211:214], v248 offset1:1
	s_mov_b32 s3, exec_lo
	s_waitcnt lgkmcnt(0)
	scratch_store_b128 off, v[211:214], off offset:1048 ; 16-byte Folded Spill
	v_cmpx_lt_u32_e32 28, v251
	s_cbranch_execz .LBB119_262
; %bb.261:
	scratch_load_b128 v[211:214], off, off offset:1048 ; 16-byte Folded Reload
	ds_load_2addr_b64 v[218:221], v250 offset0:58 offset1:59
	s_waitcnt vmcnt(0)
	v_mul_f64 v[216:217], v[213:214], v[126:127]
	v_mul_f64 v[126:127], v[211:212], v[126:127]
	s_delay_alu instid0(VALU_DEP_2) | instskip(NEXT) | instid1(VALU_DEP_2)
	v_fma_f64 v[216:217], v[211:212], v[124:125], -v[216:217]
	v_fma_f64 v[126:127], v[213:214], v[124:125], v[126:127]
	s_waitcnt lgkmcnt(0)
	s_delay_alu instid0(VALU_DEP_1) | instskip(NEXT) | instid1(VALU_DEP_1)
	v_mul_f64 v[124:125], v[220:221], v[126:127]
	v_fma_f64 v[124:125], v[218:219], v[216:217], -v[124:125]
	v_mul_f64 v[218:219], v[218:219], v[126:127]
	s_delay_alu instid0(VALU_DEP_2) | instskip(NEXT) | instid1(VALU_DEP_2)
	v_add_f64 v[120:121], v[120:121], -v[124:125]
	v_fma_f64 v[218:219], v[220:221], v[216:217], v[218:219]
	s_delay_alu instid0(VALU_DEP_1) | instskip(SKIP_3) | instid1(VALU_DEP_1)
	v_add_f64 v[122:123], v[122:123], -v[218:219]
	ds_load_2addr_b64 v[218:221], v250 offset0:60 offset1:61
	s_waitcnt lgkmcnt(0)
	v_mul_f64 v[124:125], v[220:221], v[126:127]
	v_fma_f64 v[124:125], v[218:219], v[216:217], -v[124:125]
	v_mul_f64 v[218:219], v[218:219], v[126:127]
	s_delay_alu instid0(VALU_DEP_2) | instskip(NEXT) | instid1(VALU_DEP_2)
	v_add_f64 v[116:117], v[116:117], -v[124:125]
	v_fma_f64 v[218:219], v[220:221], v[216:217], v[218:219]
	s_delay_alu instid0(VALU_DEP_1) | instskip(SKIP_3) | instid1(VALU_DEP_1)
	v_add_f64 v[118:119], v[118:119], -v[218:219]
	ds_load_2addr_b64 v[218:221], v250 offset0:62 offset1:63
	s_waitcnt lgkmcnt(0)
	;; [unrolled: 10-line block ×30, first 2 shown]
	v_mul_f64 v[124:125], v[220:221], v[126:127]
	v_fma_f64 v[124:125], v[218:219], v[216:217], -v[124:125]
	v_mul_f64 v[218:219], v[218:219], v[126:127]
	s_delay_alu instid0(VALU_DEP_2) | instskip(NEXT) | instid1(VALU_DEP_2)
	v_add_f64 v[0:1], v[0:1], -v[124:125]
	v_fma_f64 v[218:219], v[220:221], v[216:217], v[218:219]
	v_dual_mov_b32 v124, v216 :: v_dual_mov_b32 v125, v217
	s_delay_alu instid0(VALU_DEP_2)
	v_add_f64 v[2:3], v[2:3], -v[218:219]
.LBB119_262:
	s_or_b32 exec_lo, exec_lo, s3
	s_delay_alu instid0(SALU_CYCLE_1)
	s_mov_b32 s4, exec_lo
	s_waitcnt_vscnt null, 0x0
	s_barrier
	buffer_gl0_inv
	v_cmpx_eq_u32_e32 29, v251
	s_cbranch_execz .LBB119_269
; %bb.263:
	ds_store_2addr_b64 v248, v[120:121], v[122:123] offset1:1
	ds_store_2addr_b64 v250, v[116:117], v[118:119] offset0:60 offset1:61
	ds_store_2addr_b64 v250, v[112:113], v[114:115] offset0:62 offset1:63
	;; [unrolled: 1-line block ×30, first 2 shown]
	ds_load_2addr_b64 v[216:219], v248 offset1:1
	s_waitcnt lgkmcnt(0)
	v_cmp_neq_f64_e32 vcc_lo, 0, v[216:217]
	v_cmp_neq_f64_e64 s3, 0, v[218:219]
	s_delay_alu instid0(VALU_DEP_1) | instskip(NEXT) | instid1(SALU_CYCLE_1)
	s_or_b32 s3, vcc_lo, s3
	s_and_b32 exec_lo, exec_lo, s3
	s_cbranch_execz .LBB119_269
; %bb.264:
	v_cmp_gt_f64_e32 vcc_lo, 0, v[216:217]
	v_xor_b32_e32 v212, 0x80000000, v217
	s_mov_b32 s3, exec_lo
                                        ; implicit-def: $vgpr224_vgpr225
	s_delay_alu instid0(VALU_DEP_1) | instskip(SKIP_3) | instid1(VALU_DEP_1)
	v_cndmask_b32_e32 v221, v217, v212, vcc_lo
	v_cndmask_b32_e32 v220, v216, v216, vcc_lo
	v_cmp_gt_f64_e32 vcc_lo, 0, v[218:219]
	v_xor_b32_e32 v212, 0x80000000, v219
	v_dual_cndmask_b32 v222, v218, v218 :: v_dual_cndmask_b32 v223, v219, v212
	s_delay_alu instid0(VALU_DEP_1)
	v_cmpx_ngt_f64_e32 v[220:221], v[222:223]
	s_xor_b32 s3, exec_lo, s3
                                        ; implicit-def: $vgpr220_vgpr221_vgpr222_vgpr223
	s_cbranch_execz .LBB119_266
; %bb.265:
	v_div_scale_f64 v[220:221], null, v[218:219], v[218:219], v[216:217]
	v_div_scale_f64 v[226:227], vcc_lo, v[216:217], v[218:219], v[216:217]
	s_delay_alu instid0(VALU_DEP_2) | instskip(SKIP_2) | instid1(VALU_DEP_1)
	v_rcp_f64_e32 v[222:223], v[220:221]
	s_waitcnt_depctr 0xfff
	v_fma_f64 v[224:225], -v[220:221], v[222:223], 1.0
	v_fma_f64 v[222:223], v[222:223], v[224:225], v[222:223]
	s_delay_alu instid0(VALU_DEP_1) | instskip(NEXT) | instid1(VALU_DEP_1)
	v_fma_f64 v[224:225], -v[220:221], v[222:223], 1.0
	v_fma_f64 v[222:223], v[222:223], v[224:225], v[222:223]
	s_delay_alu instid0(VALU_DEP_1) | instskip(NEXT) | instid1(VALU_DEP_1)
	v_mul_f64 v[224:225], v[226:227], v[222:223]
	v_fma_f64 v[220:221], -v[220:221], v[224:225], v[226:227]
	s_delay_alu instid0(VALU_DEP_1) | instskip(NEXT) | instid1(VALU_DEP_1)
	v_div_fmas_f64 v[220:221], v[220:221], v[222:223], v[224:225]
	v_div_fixup_f64 v[220:221], v[220:221], v[218:219], v[216:217]
	s_delay_alu instid0(VALU_DEP_1) | instskip(NEXT) | instid1(VALU_DEP_1)
	v_fma_f64 v[216:217], v[216:217], v[220:221], v[218:219]
	v_div_scale_f64 v[218:219], null, v[216:217], v[216:217], 1.0
	s_delay_alu instid0(VALU_DEP_1) | instskip(SKIP_2) | instid1(VALU_DEP_1)
	v_rcp_f64_e32 v[222:223], v[218:219]
	s_waitcnt_depctr 0xfff
	v_fma_f64 v[224:225], -v[218:219], v[222:223], 1.0
	v_fma_f64 v[222:223], v[222:223], v[224:225], v[222:223]
	s_delay_alu instid0(VALU_DEP_1) | instskip(NEXT) | instid1(VALU_DEP_1)
	v_fma_f64 v[224:225], -v[218:219], v[222:223], 1.0
	v_fma_f64 v[222:223], v[222:223], v[224:225], v[222:223]
	v_div_scale_f64 v[224:225], vcc_lo, 1.0, v[216:217], 1.0
	s_delay_alu instid0(VALU_DEP_1) | instskip(NEXT) | instid1(VALU_DEP_1)
	v_mul_f64 v[226:227], v[224:225], v[222:223]
	v_fma_f64 v[218:219], -v[218:219], v[226:227], v[224:225]
	s_delay_alu instid0(VALU_DEP_1) | instskip(NEXT) | instid1(VALU_DEP_1)
	v_div_fmas_f64 v[218:219], v[218:219], v[222:223], v[226:227]
	v_div_fixup_f64 v[222:223], v[218:219], v[216:217], 1.0
                                        ; implicit-def: $vgpr216_vgpr217
	s_delay_alu instid0(VALU_DEP_1)
	v_mul_f64 v[224:225], v[220:221], v[222:223]
	v_xor_b32_e32 v223, 0x80000000, v223
.LBB119_266:
	s_and_not1_saveexec_b32 s3, s3
	s_cbranch_execz .LBB119_268
; %bb.267:
	v_div_scale_f64 v[220:221], null, v[216:217], v[216:217], v[218:219]
	v_div_scale_f64 v[226:227], vcc_lo, v[218:219], v[216:217], v[218:219]
	s_delay_alu instid0(VALU_DEP_2) | instskip(SKIP_2) | instid1(VALU_DEP_1)
	v_rcp_f64_e32 v[222:223], v[220:221]
	s_waitcnt_depctr 0xfff
	v_fma_f64 v[224:225], -v[220:221], v[222:223], 1.0
	v_fma_f64 v[222:223], v[222:223], v[224:225], v[222:223]
	s_delay_alu instid0(VALU_DEP_1) | instskip(NEXT) | instid1(VALU_DEP_1)
	v_fma_f64 v[224:225], -v[220:221], v[222:223], 1.0
	v_fma_f64 v[222:223], v[222:223], v[224:225], v[222:223]
	s_delay_alu instid0(VALU_DEP_1) | instskip(NEXT) | instid1(VALU_DEP_1)
	v_mul_f64 v[224:225], v[226:227], v[222:223]
	v_fma_f64 v[220:221], -v[220:221], v[224:225], v[226:227]
	s_delay_alu instid0(VALU_DEP_1) | instskip(NEXT) | instid1(VALU_DEP_1)
	v_div_fmas_f64 v[220:221], v[220:221], v[222:223], v[224:225]
	v_div_fixup_f64 v[220:221], v[220:221], v[216:217], v[218:219]
	s_delay_alu instid0(VALU_DEP_1) | instskip(NEXT) | instid1(VALU_DEP_1)
	v_fma_f64 v[216:217], v[218:219], v[220:221], v[216:217]
	v_div_scale_f64 v[218:219], null, v[216:217], v[216:217], 1.0
	s_delay_alu instid0(VALU_DEP_1) | instskip(SKIP_2) | instid1(VALU_DEP_1)
	v_rcp_f64_e32 v[222:223], v[218:219]
	s_waitcnt_depctr 0xfff
	v_fma_f64 v[224:225], -v[218:219], v[222:223], 1.0
	v_fma_f64 v[222:223], v[222:223], v[224:225], v[222:223]
	s_delay_alu instid0(VALU_DEP_1) | instskip(NEXT) | instid1(VALU_DEP_1)
	v_fma_f64 v[224:225], -v[218:219], v[222:223], 1.0
	v_fma_f64 v[222:223], v[222:223], v[224:225], v[222:223]
	v_div_scale_f64 v[224:225], vcc_lo, 1.0, v[216:217], 1.0
	s_delay_alu instid0(VALU_DEP_1) | instskip(NEXT) | instid1(VALU_DEP_1)
	v_mul_f64 v[226:227], v[224:225], v[222:223]
	v_fma_f64 v[218:219], -v[218:219], v[226:227], v[224:225]
	s_delay_alu instid0(VALU_DEP_1) | instskip(NEXT) | instid1(VALU_DEP_1)
	v_div_fmas_f64 v[218:219], v[218:219], v[222:223], v[226:227]
	v_div_fixup_f64 v[224:225], v[218:219], v[216:217], 1.0
	s_delay_alu instid0(VALU_DEP_1)
	v_mul_f64 v[222:223], v[220:221], -v[224:225]
.LBB119_268:
	s_or_b32 exec_lo, exec_lo, s3
	ds_store_2addr_b64 v248, v[224:225], v[222:223] offset1:1
.LBB119_269:
	s_or_b32 exec_lo, exec_lo, s4
	s_waitcnt lgkmcnt(0)
	s_barrier
	buffer_gl0_inv
	ds_load_2addr_b64 v[211:214], v248 offset1:1
	s_mov_b32 s3, exec_lo
	s_waitcnt lgkmcnt(0)
	scratch_store_b128 off, v[211:214], off offset:1064 ; 16-byte Folded Spill
	v_cmpx_lt_u32_e32 29, v251
	s_cbranch_execz .LBB119_271
; %bb.270:
	scratch_load_b128 v[211:214], off, off offset:1064 ; 16-byte Folded Reload
	ds_load_2addr_b64 v[218:221], v250 offset0:60 offset1:61
	s_waitcnt vmcnt(0)
	v_mul_f64 v[216:217], v[213:214], v[122:123]
	v_mul_f64 v[122:123], v[211:212], v[122:123]
	s_delay_alu instid0(VALU_DEP_2) | instskip(NEXT) | instid1(VALU_DEP_2)
	v_fma_f64 v[216:217], v[211:212], v[120:121], -v[216:217]
	v_fma_f64 v[122:123], v[213:214], v[120:121], v[122:123]
	s_waitcnt lgkmcnt(0)
	s_delay_alu instid0(VALU_DEP_1) | instskip(NEXT) | instid1(VALU_DEP_1)
	v_mul_f64 v[120:121], v[220:221], v[122:123]
	v_fma_f64 v[120:121], v[218:219], v[216:217], -v[120:121]
	v_mul_f64 v[218:219], v[218:219], v[122:123]
	s_delay_alu instid0(VALU_DEP_2) | instskip(NEXT) | instid1(VALU_DEP_2)
	v_add_f64 v[116:117], v[116:117], -v[120:121]
	v_fma_f64 v[218:219], v[220:221], v[216:217], v[218:219]
	s_delay_alu instid0(VALU_DEP_1) | instskip(SKIP_3) | instid1(VALU_DEP_1)
	v_add_f64 v[118:119], v[118:119], -v[218:219]
	ds_load_2addr_b64 v[218:221], v250 offset0:62 offset1:63
	s_waitcnt lgkmcnt(0)
	v_mul_f64 v[120:121], v[220:221], v[122:123]
	v_fma_f64 v[120:121], v[218:219], v[216:217], -v[120:121]
	v_mul_f64 v[218:219], v[218:219], v[122:123]
	s_delay_alu instid0(VALU_DEP_2) | instskip(NEXT) | instid1(VALU_DEP_2)
	v_add_f64 v[112:113], v[112:113], -v[120:121]
	v_fma_f64 v[218:219], v[220:221], v[216:217], v[218:219]
	s_delay_alu instid0(VALU_DEP_1) | instskip(SKIP_3) | instid1(VALU_DEP_1)
	v_add_f64 v[114:115], v[114:115], -v[218:219]
	ds_load_2addr_b64 v[218:221], v250 offset0:64 offset1:65
	s_waitcnt lgkmcnt(0)
	;; [unrolled: 10-line block ×29, first 2 shown]
	v_mul_f64 v[120:121], v[220:221], v[122:123]
	v_fma_f64 v[120:121], v[218:219], v[216:217], -v[120:121]
	v_mul_f64 v[218:219], v[218:219], v[122:123]
	s_delay_alu instid0(VALU_DEP_2) | instskip(NEXT) | instid1(VALU_DEP_2)
	v_add_f64 v[0:1], v[0:1], -v[120:121]
	v_fma_f64 v[218:219], v[220:221], v[216:217], v[218:219]
	v_dual_mov_b32 v120, v216 :: v_dual_mov_b32 v121, v217
	s_delay_alu instid0(VALU_DEP_2)
	v_add_f64 v[2:3], v[2:3], -v[218:219]
.LBB119_271:
	s_or_b32 exec_lo, exec_lo, s3
	s_delay_alu instid0(SALU_CYCLE_1)
	s_mov_b32 s4, exec_lo
	s_waitcnt_vscnt null, 0x0
	s_barrier
	buffer_gl0_inv
	v_cmpx_eq_u32_e32 30, v251
	s_cbranch_execz .LBB119_278
; %bb.272:
	ds_store_2addr_b64 v248, v[116:117], v[118:119] offset1:1
	ds_store_2addr_b64 v250, v[112:113], v[114:115] offset0:62 offset1:63
	ds_store_2addr_b64 v250, v[108:109], v[110:111] offset0:64 offset1:65
	;; [unrolled: 1-line block ×29, first 2 shown]
	ds_load_2addr_b64 v[216:219], v248 offset1:1
	s_waitcnt lgkmcnt(0)
	v_cmp_neq_f64_e32 vcc_lo, 0, v[216:217]
	v_cmp_neq_f64_e64 s3, 0, v[218:219]
	s_delay_alu instid0(VALU_DEP_1) | instskip(NEXT) | instid1(SALU_CYCLE_1)
	s_or_b32 s3, vcc_lo, s3
	s_and_b32 exec_lo, exec_lo, s3
	s_cbranch_execz .LBB119_278
; %bb.273:
	v_cmp_gt_f64_e32 vcc_lo, 0, v[216:217]
	v_xor_b32_e32 v212, 0x80000000, v217
	s_mov_b32 s3, exec_lo
                                        ; implicit-def: $vgpr224_vgpr225
	s_delay_alu instid0(VALU_DEP_1) | instskip(SKIP_3) | instid1(VALU_DEP_1)
	v_cndmask_b32_e32 v221, v217, v212, vcc_lo
	v_cndmask_b32_e32 v220, v216, v216, vcc_lo
	v_cmp_gt_f64_e32 vcc_lo, 0, v[218:219]
	v_xor_b32_e32 v212, 0x80000000, v219
	v_dual_cndmask_b32 v222, v218, v218 :: v_dual_cndmask_b32 v223, v219, v212
	s_delay_alu instid0(VALU_DEP_1)
	v_cmpx_ngt_f64_e32 v[220:221], v[222:223]
	s_xor_b32 s3, exec_lo, s3
                                        ; implicit-def: $vgpr220_vgpr221_vgpr222_vgpr223
	s_cbranch_execz .LBB119_275
; %bb.274:
	v_div_scale_f64 v[220:221], null, v[218:219], v[218:219], v[216:217]
	v_div_scale_f64 v[226:227], vcc_lo, v[216:217], v[218:219], v[216:217]
	s_delay_alu instid0(VALU_DEP_2) | instskip(SKIP_2) | instid1(VALU_DEP_1)
	v_rcp_f64_e32 v[222:223], v[220:221]
	s_waitcnt_depctr 0xfff
	v_fma_f64 v[224:225], -v[220:221], v[222:223], 1.0
	v_fma_f64 v[222:223], v[222:223], v[224:225], v[222:223]
	s_delay_alu instid0(VALU_DEP_1) | instskip(NEXT) | instid1(VALU_DEP_1)
	v_fma_f64 v[224:225], -v[220:221], v[222:223], 1.0
	v_fma_f64 v[222:223], v[222:223], v[224:225], v[222:223]
	s_delay_alu instid0(VALU_DEP_1) | instskip(NEXT) | instid1(VALU_DEP_1)
	v_mul_f64 v[224:225], v[226:227], v[222:223]
	v_fma_f64 v[220:221], -v[220:221], v[224:225], v[226:227]
	s_delay_alu instid0(VALU_DEP_1) | instskip(NEXT) | instid1(VALU_DEP_1)
	v_div_fmas_f64 v[220:221], v[220:221], v[222:223], v[224:225]
	v_div_fixup_f64 v[220:221], v[220:221], v[218:219], v[216:217]
	s_delay_alu instid0(VALU_DEP_1) | instskip(NEXT) | instid1(VALU_DEP_1)
	v_fma_f64 v[216:217], v[216:217], v[220:221], v[218:219]
	v_div_scale_f64 v[218:219], null, v[216:217], v[216:217], 1.0
	s_delay_alu instid0(VALU_DEP_1) | instskip(SKIP_2) | instid1(VALU_DEP_1)
	v_rcp_f64_e32 v[222:223], v[218:219]
	s_waitcnt_depctr 0xfff
	v_fma_f64 v[224:225], -v[218:219], v[222:223], 1.0
	v_fma_f64 v[222:223], v[222:223], v[224:225], v[222:223]
	s_delay_alu instid0(VALU_DEP_1) | instskip(NEXT) | instid1(VALU_DEP_1)
	v_fma_f64 v[224:225], -v[218:219], v[222:223], 1.0
	v_fma_f64 v[222:223], v[222:223], v[224:225], v[222:223]
	v_div_scale_f64 v[224:225], vcc_lo, 1.0, v[216:217], 1.0
	s_delay_alu instid0(VALU_DEP_1) | instskip(NEXT) | instid1(VALU_DEP_1)
	v_mul_f64 v[226:227], v[224:225], v[222:223]
	v_fma_f64 v[218:219], -v[218:219], v[226:227], v[224:225]
	s_delay_alu instid0(VALU_DEP_1) | instskip(NEXT) | instid1(VALU_DEP_1)
	v_div_fmas_f64 v[218:219], v[218:219], v[222:223], v[226:227]
	v_div_fixup_f64 v[222:223], v[218:219], v[216:217], 1.0
                                        ; implicit-def: $vgpr216_vgpr217
	s_delay_alu instid0(VALU_DEP_1)
	v_mul_f64 v[224:225], v[220:221], v[222:223]
	v_xor_b32_e32 v223, 0x80000000, v223
.LBB119_275:
	s_and_not1_saveexec_b32 s3, s3
	s_cbranch_execz .LBB119_277
; %bb.276:
	v_div_scale_f64 v[220:221], null, v[216:217], v[216:217], v[218:219]
	v_div_scale_f64 v[226:227], vcc_lo, v[218:219], v[216:217], v[218:219]
	s_delay_alu instid0(VALU_DEP_2) | instskip(SKIP_2) | instid1(VALU_DEP_1)
	v_rcp_f64_e32 v[222:223], v[220:221]
	s_waitcnt_depctr 0xfff
	v_fma_f64 v[224:225], -v[220:221], v[222:223], 1.0
	v_fma_f64 v[222:223], v[222:223], v[224:225], v[222:223]
	s_delay_alu instid0(VALU_DEP_1) | instskip(NEXT) | instid1(VALU_DEP_1)
	v_fma_f64 v[224:225], -v[220:221], v[222:223], 1.0
	v_fma_f64 v[222:223], v[222:223], v[224:225], v[222:223]
	s_delay_alu instid0(VALU_DEP_1) | instskip(NEXT) | instid1(VALU_DEP_1)
	v_mul_f64 v[224:225], v[226:227], v[222:223]
	v_fma_f64 v[220:221], -v[220:221], v[224:225], v[226:227]
	s_delay_alu instid0(VALU_DEP_1) | instskip(NEXT) | instid1(VALU_DEP_1)
	v_div_fmas_f64 v[220:221], v[220:221], v[222:223], v[224:225]
	v_div_fixup_f64 v[220:221], v[220:221], v[216:217], v[218:219]
	s_delay_alu instid0(VALU_DEP_1) | instskip(NEXT) | instid1(VALU_DEP_1)
	v_fma_f64 v[216:217], v[218:219], v[220:221], v[216:217]
	v_div_scale_f64 v[218:219], null, v[216:217], v[216:217], 1.0
	s_delay_alu instid0(VALU_DEP_1) | instskip(SKIP_2) | instid1(VALU_DEP_1)
	v_rcp_f64_e32 v[222:223], v[218:219]
	s_waitcnt_depctr 0xfff
	v_fma_f64 v[224:225], -v[218:219], v[222:223], 1.0
	v_fma_f64 v[222:223], v[222:223], v[224:225], v[222:223]
	s_delay_alu instid0(VALU_DEP_1) | instskip(NEXT) | instid1(VALU_DEP_1)
	v_fma_f64 v[224:225], -v[218:219], v[222:223], 1.0
	v_fma_f64 v[222:223], v[222:223], v[224:225], v[222:223]
	v_div_scale_f64 v[224:225], vcc_lo, 1.0, v[216:217], 1.0
	s_delay_alu instid0(VALU_DEP_1) | instskip(NEXT) | instid1(VALU_DEP_1)
	v_mul_f64 v[226:227], v[224:225], v[222:223]
	v_fma_f64 v[218:219], -v[218:219], v[226:227], v[224:225]
	s_delay_alu instid0(VALU_DEP_1) | instskip(NEXT) | instid1(VALU_DEP_1)
	v_div_fmas_f64 v[218:219], v[218:219], v[222:223], v[226:227]
	v_div_fixup_f64 v[224:225], v[218:219], v[216:217], 1.0
	s_delay_alu instid0(VALU_DEP_1)
	v_mul_f64 v[222:223], v[220:221], -v[224:225]
.LBB119_277:
	s_or_b32 exec_lo, exec_lo, s3
	ds_store_2addr_b64 v248, v[224:225], v[222:223] offset1:1
.LBB119_278:
	s_or_b32 exec_lo, exec_lo, s4
	s_waitcnt lgkmcnt(0)
	s_barrier
	buffer_gl0_inv
	ds_load_2addr_b64 v[211:214], v248 offset1:1
	s_mov_b32 s3, exec_lo
	s_waitcnt lgkmcnt(0)
	scratch_store_b128 off, v[211:214], off offset:1080 ; 16-byte Folded Spill
	v_cmpx_lt_u32_e32 30, v251
	s_cbranch_execz .LBB119_280
; %bb.279:
	scratch_load_b128 v[211:214], off, off offset:1080 ; 16-byte Folded Reload
	ds_load_2addr_b64 v[218:221], v250 offset0:62 offset1:63
	s_waitcnt vmcnt(0)
	v_mul_f64 v[216:217], v[213:214], v[118:119]
	v_mul_f64 v[118:119], v[211:212], v[118:119]
	s_delay_alu instid0(VALU_DEP_2) | instskip(NEXT) | instid1(VALU_DEP_2)
	v_fma_f64 v[216:217], v[211:212], v[116:117], -v[216:217]
	v_fma_f64 v[118:119], v[213:214], v[116:117], v[118:119]
	s_waitcnt lgkmcnt(0)
	s_delay_alu instid0(VALU_DEP_1) | instskip(NEXT) | instid1(VALU_DEP_1)
	v_mul_f64 v[116:117], v[220:221], v[118:119]
	v_fma_f64 v[116:117], v[218:219], v[216:217], -v[116:117]
	v_mul_f64 v[218:219], v[218:219], v[118:119]
	s_delay_alu instid0(VALU_DEP_2) | instskip(NEXT) | instid1(VALU_DEP_2)
	v_add_f64 v[112:113], v[112:113], -v[116:117]
	v_fma_f64 v[218:219], v[220:221], v[216:217], v[218:219]
	s_delay_alu instid0(VALU_DEP_1) | instskip(SKIP_3) | instid1(VALU_DEP_1)
	v_add_f64 v[114:115], v[114:115], -v[218:219]
	ds_load_2addr_b64 v[218:221], v250 offset0:64 offset1:65
	s_waitcnt lgkmcnt(0)
	v_mul_f64 v[116:117], v[220:221], v[118:119]
	v_fma_f64 v[116:117], v[218:219], v[216:217], -v[116:117]
	v_mul_f64 v[218:219], v[218:219], v[118:119]
	s_delay_alu instid0(VALU_DEP_2) | instskip(NEXT) | instid1(VALU_DEP_2)
	v_add_f64 v[108:109], v[108:109], -v[116:117]
	v_fma_f64 v[218:219], v[220:221], v[216:217], v[218:219]
	s_delay_alu instid0(VALU_DEP_1) | instskip(SKIP_3) | instid1(VALU_DEP_1)
	v_add_f64 v[110:111], v[110:111], -v[218:219]
	ds_load_2addr_b64 v[218:221], v250 offset0:66 offset1:67
	s_waitcnt lgkmcnt(0)
	v_mul_f64 v[116:117], v[220:221], v[118:119]
	v_fma_f64 v[116:117], v[218:219], v[216:217], -v[116:117]
	v_mul_f64 v[218:219], v[218:219], v[118:119]
	s_delay_alu instid0(VALU_DEP_2) | instskip(NEXT) | instid1(VALU_DEP_2)
	v_add_f64 v[104:105], v[104:105], -v[116:117]
	v_fma_f64 v[218:219], v[220:221], v[216:217], v[218:219]
	s_delay_alu instid0(VALU_DEP_1) | instskip(SKIP_3) | instid1(VALU_DEP_1)
	v_add_f64 v[106:107], v[106:107], -v[218:219]
	ds_load_2addr_b64 v[218:221], v250 offset0:68 offset1:69
	s_waitcnt lgkmcnt(0)
	v_mul_f64 v[116:117], v[220:221], v[118:119]
	v_fma_f64 v[116:117], v[218:219], v[216:217], -v[116:117]
	v_mul_f64 v[218:219], v[218:219], v[118:119]
	s_delay_alu instid0(VALU_DEP_2) | instskip(NEXT) | instid1(VALU_DEP_2)
	v_add_f64 v[100:101], v[100:101], -v[116:117]
	v_fma_f64 v[218:219], v[220:221], v[216:217], v[218:219]
	s_delay_alu instid0(VALU_DEP_1) | instskip(SKIP_3) | instid1(VALU_DEP_1)
	v_add_f64 v[102:103], v[102:103], -v[218:219]
	ds_load_2addr_b64 v[218:221], v250 offset0:70 offset1:71
	s_waitcnt lgkmcnt(0)
	v_mul_f64 v[116:117], v[220:221], v[118:119]
	v_fma_f64 v[116:117], v[218:219], v[216:217], -v[116:117]
	v_mul_f64 v[218:219], v[218:219], v[118:119]
	s_delay_alu instid0(VALU_DEP_2) | instskip(NEXT) | instid1(VALU_DEP_2)
	v_add_f64 v[96:97], v[96:97], -v[116:117]
	v_fma_f64 v[218:219], v[220:221], v[216:217], v[218:219]
	s_delay_alu instid0(VALU_DEP_1) | instskip(SKIP_3) | instid1(VALU_DEP_1)
	v_add_f64 v[98:99], v[98:99], -v[218:219]
	ds_load_2addr_b64 v[218:221], v250 offset0:72 offset1:73
	s_waitcnt lgkmcnt(0)
	v_mul_f64 v[116:117], v[220:221], v[118:119]
	v_fma_f64 v[116:117], v[218:219], v[216:217], -v[116:117]
	v_mul_f64 v[218:219], v[218:219], v[118:119]
	s_delay_alu instid0(VALU_DEP_2) | instskip(NEXT) | instid1(VALU_DEP_2)
	v_add_f64 v[92:93], v[92:93], -v[116:117]
	v_fma_f64 v[218:219], v[220:221], v[216:217], v[218:219]
	s_delay_alu instid0(VALU_DEP_1) | instskip(SKIP_3) | instid1(VALU_DEP_1)
	v_add_f64 v[94:95], v[94:95], -v[218:219]
	ds_load_2addr_b64 v[218:221], v250 offset0:74 offset1:75
	s_waitcnt lgkmcnt(0)
	v_mul_f64 v[116:117], v[220:221], v[118:119]
	v_fma_f64 v[116:117], v[218:219], v[216:217], -v[116:117]
	v_mul_f64 v[218:219], v[218:219], v[118:119]
	s_delay_alu instid0(VALU_DEP_2) | instskip(NEXT) | instid1(VALU_DEP_2)
	v_add_f64 v[88:89], v[88:89], -v[116:117]
	v_fma_f64 v[218:219], v[220:221], v[216:217], v[218:219]
	s_delay_alu instid0(VALU_DEP_1) | instskip(SKIP_3) | instid1(VALU_DEP_1)
	v_add_f64 v[90:91], v[90:91], -v[218:219]
	ds_load_2addr_b64 v[218:221], v250 offset0:76 offset1:77
	s_waitcnt lgkmcnt(0)
	v_mul_f64 v[116:117], v[220:221], v[118:119]
	v_fma_f64 v[116:117], v[218:219], v[216:217], -v[116:117]
	v_mul_f64 v[218:219], v[218:219], v[118:119]
	s_delay_alu instid0(VALU_DEP_2) | instskip(NEXT) | instid1(VALU_DEP_2)
	v_add_f64 v[84:85], v[84:85], -v[116:117]
	v_fma_f64 v[218:219], v[220:221], v[216:217], v[218:219]
	s_delay_alu instid0(VALU_DEP_1) | instskip(SKIP_3) | instid1(VALU_DEP_1)
	v_add_f64 v[86:87], v[86:87], -v[218:219]
	ds_load_2addr_b64 v[218:221], v250 offset0:78 offset1:79
	s_waitcnt lgkmcnt(0)
	v_mul_f64 v[116:117], v[220:221], v[118:119]
	v_fma_f64 v[116:117], v[218:219], v[216:217], -v[116:117]
	v_mul_f64 v[218:219], v[218:219], v[118:119]
	s_delay_alu instid0(VALU_DEP_2) | instskip(NEXT) | instid1(VALU_DEP_2)
	v_add_f64 v[80:81], v[80:81], -v[116:117]
	v_fma_f64 v[218:219], v[220:221], v[216:217], v[218:219]
	s_delay_alu instid0(VALU_DEP_1) | instskip(SKIP_3) | instid1(VALU_DEP_1)
	v_add_f64 v[82:83], v[82:83], -v[218:219]
	ds_load_2addr_b64 v[218:221], v250 offset0:80 offset1:81
	s_waitcnt lgkmcnt(0)
	v_mul_f64 v[116:117], v[220:221], v[118:119]
	v_fma_f64 v[116:117], v[218:219], v[216:217], -v[116:117]
	v_mul_f64 v[218:219], v[218:219], v[118:119]
	s_delay_alu instid0(VALU_DEP_2) | instskip(NEXT) | instid1(VALU_DEP_2)
	v_add_f64 v[76:77], v[76:77], -v[116:117]
	v_fma_f64 v[218:219], v[220:221], v[216:217], v[218:219]
	s_delay_alu instid0(VALU_DEP_1) | instskip(SKIP_3) | instid1(VALU_DEP_1)
	v_add_f64 v[78:79], v[78:79], -v[218:219]
	ds_load_2addr_b64 v[218:221], v250 offset0:82 offset1:83
	s_waitcnt lgkmcnt(0)
	v_mul_f64 v[116:117], v[220:221], v[118:119]
	v_fma_f64 v[116:117], v[218:219], v[216:217], -v[116:117]
	v_mul_f64 v[218:219], v[218:219], v[118:119]
	s_delay_alu instid0(VALU_DEP_2) | instskip(NEXT) | instid1(VALU_DEP_2)
	v_add_f64 v[72:73], v[72:73], -v[116:117]
	v_fma_f64 v[218:219], v[220:221], v[216:217], v[218:219]
	s_delay_alu instid0(VALU_DEP_1) | instskip(SKIP_3) | instid1(VALU_DEP_1)
	v_add_f64 v[74:75], v[74:75], -v[218:219]
	ds_load_2addr_b64 v[218:221], v250 offset0:84 offset1:85
	s_waitcnt lgkmcnt(0)
	v_mul_f64 v[116:117], v[220:221], v[118:119]
	v_fma_f64 v[116:117], v[218:219], v[216:217], -v[116:117]
	v_mul_f64 v[218:219], v[218:219], v[118:119]
	s_delay_alu instid0(VALU_DEP_2) | instskip(NEXT) | instid1(VALU_DEP_2)
	v_add_f64 v[68:69], v[68:69], -v[116:117]
	v_fma_f64 v[218:219], v[220:221], v[216:217], v[218:219]
	s_delay_alu instid0(VALU_DEP_1) | instskip(SKIP_3) | instid1(VALU_DEP_1)
	v_add_f64 v[70:71], v[70:71], -v[218:219]
	ds_load_2addr_b64 v[218:221], v250 offset0:86 offset1:87
	s_waitcnt lgkmcnt(0)
	v_mul_f64 v[116:117], v[220:221], v[118:119]
	v_fma_f64 v[116:117], v[218:219], v[216:217], -v[116:117]
	v_mul_f64 v[218:219], v[218:219], v[118:119]
	s_delay_alu instid0(VALU_DEP_2) | instskip(NEXT) | instid1(VALU_DEP_2)
	v_add_f64 v[64:65], v[64:65], -v[116:117]
	v_fma_f64 v[218:219], v[220:221], v[216:217], v[218:219]
	s_delay_alu instid0(VALU_DEP_1) | instskip(SKIP_3) | instid1(VALU_DEP_1)
	v_add_f64 v[66:67], v[66:67], -v[218:219]
	ds_load_2addr_b64 v[218:221], v250 offset0:88 offset1:89
	s_waitcnt lgkmcnt(0)
	v_mul_f64 v[116:117], v[220:221], v[118:119]
	v_fma_f64 v[116:117], v[218:219], v[216:217], -v[116:117]
	v_mul_f64 v[218:219], v[218:219], v[118:119]
	s_delay_alu instid0(VALU_DEP_2) | instskip(NEXT) | instid1(VALU_DEP_2)
	v_add_f64 v[60:61], v[60:61], -v[116:117]
	v_fma_f64 v[218:219], v[220:221], v[216:217], v[218:219]
	s_delay_alu instid0(VALU_DEP_1) | instskip(SKIP_3) | instid1(VALU_DEP_1)
	v_add_f64 v[62:63], v[62:63], -v[218:219]
	ds_load_2addr_b64 v[218:221], v250 offset0:90 offset1:91
	s_waitcnt lgkmcnt(0)
	v_mul_f64 v[116:117], v[220:221], v[118:119]
	v_fma_f64 v[116:117], v[218:219], v[216:217], -v[116:117]
	v_mul_f64 v[218:219], v[218:219], v[118:119]
	s_delay_alu instid0(VALU_DEP_2) | instskip(NEXT) | instid1(VALU_DEP_2)
	v_add_f64 v[56:57], v[56:57], -v[116:117]
	v_fma_f64 v[218:219], v[220:221], v[216:217], v[218:219]
	s_delay_alu instid0(VALU_DEP_1) | instskip(SKIP_3) | instid1(VALU_DEP_1)
	v_add_f64 v[58:59], v[58:59], -v[218:219]
	ds_load_2addr_b64 v[218:221], v250 offset0:92 offset1:93
	s_waitcnt lgkmcnt(0)
	v_mul_f64 v[116:117], v[220:221], v[118:119]
	v_fma_f64 v[116:117], v[218:219], v[216:217], -v[116:117]
	v_mul_f64 v[218:219], v[218:219], v[118:119]
	s_delay_alu instid0(VALU_DEP_2) | instskip(NEXT) | instid1(VALU_DEP_2)
	v_add_f64 v[52:53], v[52:53], -v[116:117]
	v_fma_f64 v[218:219], v[220:221], v[216:217], v[218:219]
	s_delay_alu instid0(VALU_DEP_1) | instskip(SKIP_3) | instid1(VALU_DEP_1)
	v_add_f64 v[54:55], v[54:55], -v[218:219]
	ds_load_2addr_b64 v[218:221], v250 offset0:94 offset1:95
	s_waitcnt lgkmcnt(0)
	v_mul_f64 v[116:117], v[220:221], v[118:119]
	v_fma_f64 v[116:117], v[218:219], v[216:217], -v[116:117]
	v_mul_f64 v[218:219], v[218:219], v[118:119]
	s_delay_alu instid0(VALU_DEP_2) | instskip(NEXT) | instid1(VALU_DEP_2)
	v_add_f64 v[48:49], v[48:49], -v[116:117]
	v_fma_f64 v[218:219], v[220:221], v[216:217], v[218:219]
	s_delay_alu instid0(VALU_DEP_1) | instskip(SKIP_3) | instid1(VALU_DEP_1)
	v_add_f64 v[50:51], v[50:51], -v[218:219]
	ds_load_2addr_b64 v[218:221], v250 offset0:96 offset1:97
	s_waitcnt lgkmcnt(0)
	v_mul_f64 v[116:117], v[220:221], v[118:119]
	v_fma_f64 v[116:117], v[218:219], v[216:217], -v[116:117]
	v_mul_f64 v[218:219], v[218:219], v[118:119]
	s_delay_alu instid0(VALU_DEP_2) | instskip(NEXT) | instid1(VALU_DEP_2)
	v_add_f64 v[44:45], v[44:45], -v[116:117]
	v_fma_f64 v[218:219], v[220:221], v[216:217], v[218:219]
	s_delay_alu instid0(VALU_DEP_1) | instskip(SKIP_3) | instid1(VALU_DEP_1)
	v_add_f64 v[46:47], v[46:47], -v[218:219]
	ds_load_2addr_b64 v[218:221], v250 offset0:98 offset1:99
	s_waitcnt lgkmcnt(0)
	v_mul_f64 v[116:117], v[220:221], v[118:119]
	v_fma_f64 v[116:117], v[218:219], v[216:217], -v[116:117]
	v_mul_f64 v[218:219], v[218:219], v[118:119]
	s_delay_alu instid0(VALU_DEP_2) | instskip(NEXT) | instid1(VALU_DEP_2)
	v_add_f64 v[40:41], v[40:41], -v[116:117]
	v_fma_f64 v[218:219], v[220:221], v[216:217], v[218:219]
	s_delay_alu instid0(VALU_DEP_1) | instskip(SKIP_3) | instid1(VALU_DEP_1)
	v_add_f64 v[42:43], v[42:43], -v[218:219]
	ds_load_2addr_b64 v[218:221], v250 offset0:100 offset1:101
	s_waitcnt lgkmcnt(0)
	v_mul_f64 v[116:117], v[220:221], v[118:119]
	v_fma_f64 v[116:117], v[218:219], v[216:217], -v[116:117]
	v_mul_f64 v[218:219], v[218:219], v[118:119]
	s_delay_alu instid0(VALU_DEP_2) | instskip(NEXT) | instid1(VALU_DEP_2)
	v_add_f64 v[36:37], v[36:37], -v[116:117]
	v_fma_f64 v[218:219], v[220:221], v[216:217], v[218:219]
	s_delay_alu instid0(VALU_DEP_1) | instskip(SKIP_3) | instid1(VALU_DEP_1)
	v_add_f64 v[38:39], v[38:39], -v[218:219]
	ds_load_2addr_b64 v[218:221], v250 offset0:102 offset1:103
	s_waitcnt lgkmcnt(0)
	v_mul_f64 v[116:117], v[220:221], v[118:119]
	v_fma_f64 v[116:117], v[218:219], v[216:217], -v[116:117]
	v_mul_f64 v[218:219], v[218:219], v[118:119]
	s_delay_alu instid0(VALU_DEP_2) | instskip(NEXT) | instid1(VALU_DEP_2)
	v_add_f64 v[32:33], v[32:33], -v[116:117]
	v_fma_f64 v[218:219], v[220:221], v[216:217], v[218:219]
	s_delay_alu instid0(VALU_DEP_1) | instskip(SKIP_3) | instid1(VALU_DEP_1)
	v_add_f64 v[34:35], v[34:35], -v[218:219]
	ds_load_2addr_b64 v[218:221], v250 offset0:104 offset1:105
	s_waitcnt lgkmcnt(0)
	v_mul_f64 v[116:117], v[220:221], v[118:119]
	v_fma_f64 v[116:117], v[218:219], v[216:217], -v[116:117]
	v_mul_f64 v[218:219], v[218:219], v[118:119]
	s_delay_alu instid0(VALU_DEP_2) | instskip(NEXT) | instid1(VALU_DEP_2)
	v_add_f64 v[28:29], v[28:29], -v[116:117]
	v_fma_f64 v[218:219], v[220:221], v[216:217], v[218:219]
	s_delay_alu instid0(VALU_DEP_1) | instskip(SKIP_3) | instid1(VALU_DEP_1)
	v_add_f64 v[30:31], v[30:31], -v[218:219]
	ds_load_2addr_b64 v[218:221], v250 offset0:106 offset1:107
	s_waitcnt lgkmcnt(0)
	v_mul_f64 v[116:117], v[220:221], v[118:119]
	v_fma_f64 v[116:117], v[218:219], v[216:217], -v[116:117]
	v_mul_f64 v[218:219], v[218:219], v[118:119]
	s_delay_alu instid0(VALU_DEP_2) | instskip(NEXT) | instid1(VALU_DEP_2)
	v_add_f64 v[24:25], v[24:25], -v[116:117]
	v_fma_f64 v[218:219], v[220:221], v[216:217], v[218:219]
	s_delay_alu instid0(VALU_DEP_1) | instskip(SKIP_3) | instid1(VALU_DEP_1)
	v_add_f64 v[26:27], v[26:27], -v[218:219]
	ds_load_2addr_b64 v[218:221], v250 offset0:108 offset1:109
	s_waitcnt lgkmcnt(0)
	v_mul_f64 v[116:117], v[220:221], v[118:119]
	v_fma_f64 v[116:117], v[218:219], v[216:217], -v[116:117]
	v_mul_f64 v[218:219], v[218:219], v[118:119]
	s_delay_alu instid0(VALU_DEP_2) | instskip(NEXT) | instid1(VALU_DEP_2)
	v_add_f64 v[20:21], v[20:21], -v[116:117]
	v_fma_f64 v[218:219], v[220:221], v[216:217], v[218:219]
	s_delay_alu instid0(VALU_DEP_1) | instskip(SKIP_3) | instid1(VALU_DEP_1)
	v_add_f64 v[22:23], v[22:23], -v[218:219]
	ds_load_2addr_b64 v[218:221], v250 offset0:110 offset1:111
	s_waitcnt lgkmcnt(0)
	v_mul_f64 v[116:117], v[220:221], v[118:119]
	v_fma_f64 v[116:117], v[218:219], v[216:217], -v[116:117]
	v_mul_f64 v[218:219], v[218:219], v[118:119]
	s_delay_alu instid0(VALU_DEP_2) | instskip(NEXT) | instid1(VALU_DEP_2)
	v_add_f64 v[16:17], v[16:17], -v[116:117]
	v_fma_f64 v[218:219], v[220:221], v[216:217], v[218:219]
	s_delay_alu instid0(VALU_DEP_1) | instskip(SKIP_3) | instid1(VALU_DEP_1)
	v_add_f64 v[18:19], v[18:19], -v[218:219]
	ds_load_2addr_b64 v[218:221], v250 offset0:112 offset1:113
	s_waitcnt lgkmcnt(0)
	v_mul_f64 v[116:117], v[220:221], v[118:119]
	v_fma_f64 v[116:117], v[218:219], v[216:217], -v[116:117]
	v_mul_f64 v[218:219], v[218:219], v[118:119]
	s_delay_alu instid0(VALU_DEP_2) | instskip(NEXT) | instid1(VALU_DEP_2)
	v_add_f64 v[12:13], v[12:13], -v[116:117]
	v_fma_f64 v[218:219], v[220:221], v[216:217], v[218:219]
	s_delay_alu instid0(VALU_DEP_1) | instskip(SKIP_3) | instid1(VALU_DEP_1)
	v_add_f64 v[14:15], v[14:15], -v[218:219]
	ds_load_2addr_b64 v[218:221], v250 offset0:114 offset1:115
	s_waitcnt lgkmcnt(0)
	v_mul_f64 v[116:117], v[220:221], v[118:119]
	v_fma_f64 v[116:117], v[218:219], v[216:217], -v[116:117]
	v_mul_f64 v[218:219], v[218:219], v[118:119]
	s_delay_alu instid0(VALU_DEP_2) | instskip(NEXT) | instid1(VALU_DEP_2)
	v_add_f64 v[8:9], v[8:9], -v[116:117]
	v_fma_f64 v[218:219], v[220:221], v[216:217], v[218:219]
	s_delay_alu instid0(VALU_DEP_1) | instskip(SKIP_3) | instid1(VALU_DEP_1)
	v_add_f64 v[10:11], v[10:11], -v[218:219]
	ds_load_2addr_b64 v[218:221], v250 offset0:116 offset1:117
	s_waitcnt lgkmcnt(0)
	v_mul_f64 v[116:117], v[220:221], v[118:119]
	v_fma_f64 v[116:117], v[218:219], v[216:217], -v[116:117]
	v_mul_f64 v[218:219], v[218:219], v[118:119]
	s_delay_alu instid0(VALU_DEP_2) | instskip(NEXT) | instid1(VALU_DEP_2)
	v_add_f64 v[4:5], v[4:5], -v[116:117]
	v_fma_f64 v[218:219], v[220:221], v[216:217], v[218:219]
	s_delay_alu instid0(VALU_DEP_1) | instskip(SKIP_3) | instid1(VALU_DEP_1)
	v_add_f64 v[6:7], v[6:7], -v[218:219]
	ds_load_2addr_b64 v[218:221], v250 offset0:118 offset1:119
	s_waitcnt lgkmcnt(0)
	v_mul_f64 v[116:117], v[220:221], v[118:119]
	v_fma_f64 v[116:117], v[218:219], v[216:217], -v[116:117]
	v_mul_f64 v[218:219], v[218:219], v[118:119]
	s_delay_alu instid0(VALU_DEP_2) | instskip(NEXT) | instid1(VALU_DEP_2)
	v_add_f64 v[0:1], v[0:1], -v[116:117]
	v_fma_f64 v[218:219], v[220:221], v[216:217], v[218:219]
	v_dual_mov_b32 v116, v216 :: v_dual_mov_b32 v117, v217
	s_delay_alu instid0(VALU_DEP_2)
	v_add_f64 v[2:3], v[2:3], -v[218:219]
.LBB119_280:
	s_or_b32 exec_lo, exec_lo, s3
	s_delay_alu instid0(SALU_CYCLE_1)
	s_mov_b32 s4, exec_lo
	s_waitcnt_vscnt null, 0x0
	s_barrier
	buffer_gl0_inv
	v_cmpx_eq_u32_e32 31, v251
	s_cbranch_execz .LBB119_287
; %bb.281:
	ds_store_2addr_b64 v248, v[112:113], v[114:115] offset1:1
	ds_store_2addr_b64 v250, v[108:109], v[110:111] offset0:64 offset1:65
	ds_store_2addr_b64 v250, v[104:105], v[106:107] offset0:66 offset1:67
	;; [unrolled: 1-line block ×28, first 2 shown]
	ds_load_2addr_b64 v[216:219], v248 offset1:1
	s_waitcnt lgkmcnt(0)
	v_cmp_neq_f64_e32 vcc_lo, 0, v[216:217]
	v_cmp_neq_f64_e64 s3, 0, v[218:219]
	s_delay_alu instid0(VALU_DEP_1) | instskip(NEXT) | instid1(SALU_CYCLE_1)
	s_or_b32 s3, vcc_lo, s3
	s_and_b32 exec_lo, exec_lo, s3
	s_cbranch_execz .LBB119_287
; %bb.282:
	v_cmp_gt_f64_e32 vcc_lo, 0, v[216:217]
	v_xor_b32_e32 v212, 0x80000000, v217
	s_mov_b32 s3, exec_lo
                                        ; implicit-def: $vgpr224_vgpr225
	s_delay_alu instid0(VALU_DEP_1) | instskip(SKIP_3) | instid1(VALU_DEP_1)
	v_cndmask_b32_e32 v221, v217, v212, vcc_lo
	v_cndmask_b32_e32 v220, v216, v216, vcc_lo
	v_cmp_gt_f64_e32 vcc_lo, 0, v[218:219]
	v_xor_b32_e32 v212, 0x80000000, v219
	v_dual_cndmask_b32 v222, v218, v218 :: v_dual_cndmask_b32 v223, v219, v212
	s_delay_alu instid0(VALU_DEP_1)
	v_cmpx_ngt_f64_e32 v[220:221], v[222:223]
	s_xor_b32 s3, exec_lo, s3
                                        ; implicit-def: $vgpr220_vgpr221_vgpr222_vgpr223
	s_cbranch_execz .LBB119_284
; %bb.283:
	v_div_scale_f64 v[220:221], null, v[218:219], v[218:219], v[216:217]
	v_div_scale_f64 v[226:227], vcc_lo, v[216:217], v[218:219], v[216:217]
	s_delay_alu instid0(VALU_DEP_2) | instskip(SKIP_2) | instid1(VALU_DEP_1)
	v_rcp_f64_e32 v[222:223], v[220:221]
	s_waitcnt_depctr 0xfff
	v_fma_f64 v[224:225], -v[220:221], v[222:223], 1.0
	v_fma_f64 v[222:223], v[222:223], v[224:225], v[222:223]
	s_delay_alu instid0(VALU_DEP_1) | instskip(NEXT) | instid1(VALU_DEP_1)
	v_fma_f64 v[224:225], -v[220:221], v[222:223], 1.0
	v_fma_f64 v[222:223], v[222:223], v[224:225], v[222:223]
	s_delay_alu instid0(VALU_DEP_1) | instskip(NEXT) | instid1(VALU_DEP_1)
	v_mul_f64 v[224:225], v[226:227], v[222:223]
	v_fma_f64 v[220:221], -v[220:221], v[224:225], v[226:227]
	s_delay_alu instid0(VALU_DEP_1) | instskip(NEXT) | instid1(VALU_DEP_1)
	v_div_fmas_f64 v[220:221], v[220:221], v[222:223], v[224:225]
	v_div_fixup_f64 v[220:221], v[220:221], v[218:219], v[216:217]
	s_delay_alu instid0(VALU_DEP_1) | instskip(NEXT) | instid1(VALU_DEP_1)
	v_fma_f64 v[216:217], v[216:217], v[220:221], v[218:219]
	v_div_scale_f64 v[218:219], null, v[216:217], v[216:217], 1.0
	s_delay_alu instid0(VALU_DEP_1) | instskip(SKIP_2) | instid1(VALU_DEP_1)
	v_rcp_f64_e32 v[222:223], v[218:219]
	s_waitcnt_depctr 0xfff
	v_fma_f64 v[224:225], -v[218:219], v[222:223], 1.0
	v_fma_f64 v[222:223], v[222:223], v[224:225], v[222:223]
	s_delay_alu instid0(VALU_DEP_1) | instskip(NEXT) | instid1(VALU_DEP_1)
	v_fma_f64 v[224:225], -v[218:219], v[222:223], 1.0
	v_fma_f64 v[222:223], v[222:223], v[224:225], v[222:223]
	v_div_scale_f64 v[224:225], vcc_lo, 1.0, v[216:217], 1.0
	s_delay_alu instid0(VALU_DEP_1) | instskip(NEXT) | instid1(VALU_DEP_1)
	v_mul_f64 v[226:227], v[224:225], v[222:223]
	v_fma_f64 v[218:219], -v[218:219], v[226:227], v[224:225]
	s_delay_alu instid0(VALU_DEP_1) | instskip(NEXT) | instid1(VALU_DEP_1)
	v_div_fmas_f64 v[218:219], v[218:219], v[222:223], v[226:227]
	v_div_fixup_f64 v[222:223], v[218:219], v[216:217], 1.0
                                        ; implicit-def: $vgpr216_vgpr217
	s_delay_alu instid0(VALU_DEP_1)
	v_mul_f64 v[224:225], v[220:221], v[222:223]
	v_xor_b32_e32 v223, 0x80000000, v223
.LBB119_284:
	s_and_not1_saveexec_b32 s3, s3
	s_cbranch_execz .LBB119_286
; %bb.285:
	v_div_scale_f64 v[220:221], null, v[216:217], v[216:217], v[218:219]
	v_div_scale_f64 v[226:227], vcc_lo, v[218:219], v[216:217], v[218:219]
	s_delay_alu instid0(VALU_DEP_2) | instskip(SKIP_2) | instid1(VALU_DEP_1)
	v_rcp_f64_e32 v[222:223], v[220:221]
	s_waitcnt_depctr 0xfff
	v_fma_f64 v[224:225], -v[220:221], v[222:223], 1.0
	v_fma_f64 v[222:223], v[222:223], v[224:225], v[222:223]
	s_delay_alu instid0(VALU_DEP_1) | instskip(NEXT) | instid1(VALU_DEP_1)
	v_fma_f64 v[224:225], -v[220:221], v[222:223], 1.0
	v_fma_f64 v[222:223], v[222:223], v[224:225], v[222:223]
	s_delay_alu instid0(VALU_DEP_1) | instskip(NEXT) | instid1(VALU_DEP_1)
	v_mul_f64 v[224:225], v[226:227], v[222:223]
	v_fma_f64 v[220:221], -v[220:221], v[224:225], v[226:227]
	s_delay_alu instid0(VALU_DEP_1) | instskip(NEXT) | instid1(VALU_DEP_1)
	v_div_fmas_f64 v[220:221], v[220:221], v[222:223], v[224:225]
	v_div_fixup_f64 v[220:221], v[220:221], v[216:217], v[218:219]
	s_delay_alu instid0(VALU_DEP_1) | instskip(NEXT) | instid1(VALU_DEP_1)
	v_fma_f64 v[216:217], v[218:219], v[220:221], v[216:217]
	v_div_scale_f64 v[218:219], null, v[216:217], v[216:217], 1.0
	s_delay_alu instid0(VALU_DEP_1) | instskip(SKIP_2) | instid1(VALU_DEP_1)
	v_rcp_f64_e32 v[222:223], v[218:219]
	s_waitcnt_depctr 0xfff
	v_fma_f64 v[224:225], -v[218:219], v[222:223], 1.0
	v_fma_f64 v[222:223], v[222:223], v[224:225], v[222:223]
	s_delay_alu instid0(VALU_DEP_1) | instskip(NEXT) | instid1(VALU_DEP_1)
	v_fma_f64 v[224:225], -v[218:219], v[222:223], 1.0
	v_fma_f64 v[222:223], v[222:223], v[224:225], v[222:223]
	v_div_scale_f64 v[224:225], vcc_lo, 1.0, v[216:217], 1.0
	s_delay_alu instid0(VALU_DEP_1) | instskip(NEXT) | instid1(VALU_DEP_1)
	v_mul_f64 v[226:227], v[224:225], v[222:223]
	v_fma_f64 v[218:219], -v[218:219], v[226:227], v[224:225]
	s_delay_alu instid0(VALU_DEP_1) | instskip(NEXT) | instid1(VALU_DEP_1)
	v_div_fmas_f64 v[218:219], v[218:219], v[222:223], v[226:227]
	v_div_fixup_f64 v[224:225], v[218:219], v[216:217], 1.0
	s_delay_alu instid0(VALU_DEP_1)
	v_mul_f64 v[222:223], v[220:221], -v[224:225]
.LBB119_286:
	s_or_b32 exec_lo, exec_lo, s3
	ds_store_2addr_b64 v248, v[224:225], v[222:223] offset1:1
.LBB119_287:
	s_or_b32 exec_lo, exec_lo, s4
	s_waitcnt lgkmcnt(0)
	s_barrier
	buffer_gl0_inv
	ds_load_2addr_b64 v[211:214], v248 offset1:1
	s_mov_b32 s3, exec_lo
	s_waitcnt lgkmcnt(0)
	scratch_store_b128 off, v[211:214], off offset:1096 ; 16-byte Folded Spill
	v_cmpx_lt_u32_e32 31, v251
	s_cbranch_execz .LBB119_289
; %bb.288:
	scratch_load_b128 v[211:214], off, off offset:1096 ; 16-byte Folded Reload
	ds_load_2addr_b64 v[218:221], v250 offset0:64 offset1:65
	s_waitcnt vmcnt(0)
	v_mul_f64 v[216:217], v[213:214], v[114:115]
	v_mul_f64 v[114:115], v[211:212], v[114:115]
	s_delay_alu instid0(VALU_DEP_2) | instskip(NEXT) | instid1(VALU_DEP_2)
	v_fma_f64 v[216:217], v[211:212], v[112:113], -v[216:217]
	v_fma_f64 v[114:115], v[213:214], v[112:113], v[114:115]
	s_waitcnt lgkmcnt(0)
	s_delay_alu instid0(VALU_DEP_1) | instskip(NEXT) | instid1(VALU_DEP_1)
	v_mul_f64 v[112:113], v[220:221], v[114:115]
	v_fma_f64 v[112:113], v[218:219], v[216:217], -v[112:113]
	v_mul_f64 v[218:219], v[218:219], v[114:115]
	s_delay_alu instid0(VALU_DEP_2) | instskip(NEXT) | instid1(VALU_DEP_2)
	v_add_f64 v[108:109], v[108:109], -v[112:113]
	v_fma_f64 v[218:219], v[220:221], v[216:217], v[218:219]
	s_delay_alu instid0(VALU_DEP_1) | instskip(SKIP_3) | instid1(VALU_DEP_1)
	v_add_f64 v[110:111], v[110:111], -v[218:219]
	ds_load_2addr_b64 v[218:221], v250 offset0:66 offset1:67
	s_waitcnt lgkmcnt(0)
	v_mul_f64 v[112:113], v[220:221], v[114:115]
	v_fma_f64 v[112:113], v[218:219], v[216:217], -v[112:113]
	v_mul_f64 v[218:219], v[218:219], v[114:115]
	s_delay_alu instid0(VALU_DEP_2) | instskip(NEXT) | instid1(VALU_DEP_2)
	v_add_f64 v[104:105], v[104:105], -v[112:113]
	v_fma_f64 v[218:219], v[220:221], v[216:217], v[218:219]
	s_delay_alu instid0(VALU_DEP_1) | instskip(SKIP_3) | instid1(VALU_DEP_1)
	v_add_f64 v[106:107], v[106:107], -v[218:219]
	ds_load_2addr_b64 v[218:221], v250 offset0:68 offset1:69
	s_waitcnt lgkmcnt(0)
	;; [unrolled: 10-line block ×27, first 2 shown]
	v_mul_f64 v[112:113], v[220:221], v[114:115]
	v_fma_f64 v[112:113], v[218:219], v[216:217], -v[112:113]
	v_mul_f64 v[218:219], v[218:219], v[114:115]
	s_delay_alu instid0(VALU_DEP_2) | instskip(NEXT) | instid1(VALU_DEP_2)
	v_add_f64 v[0:1], v[0:1], -v[112:113]
	v_fma_f64 v[218:219], v[220:221], v[216:217], v[218:219]
	v_dual_mov_b32 v112, v216 :: v_dual_mov_b32 v113, v217
	s_delay_alu instid0(VALU_DEP_2)
	v_add_f64 v[2:3], v[2:3], -v[218:219]
.LBB119_289:
	s_or_b32 exec_lo, exec_lo, s3
	s_delay_alu instid0(SALU_CYCLE_1)
	s_mov_b32 s4, exec_lo
	s_waitcnt_vscnt null, 0x0
	s_barrier
	buffer_gl0_inv
	v_cmpx_eq_u32_e32 32, v251
	s_cbranch_execz .LBB119_296
; %bb.290:
	ds_store_2addr_b64 v248, v[108:109], v[110:111] offset1:1
	ds_store_2addr_b64 v250, v[104:105], v[106:107] offset0:66 offset1:67
	ds_store_2addr_b64 v250, v[100:101], v[102:103] offset0:68 offset1:69
	ds_store_2addr_b64 v250, v[96:97], v[98:99] offset0:70 offset1:71
	ds_store_2addr_b64 v250, v[92:93], v[94:95] offset0:72 offset1:73
	ds_store_2addr_b64 v250, v[88:89], v[90:91] offset0:74 offset1:75
	ds_store_2addr_b64 v250, v[84:85], v[86:87] offset0:76 offset1:77
	ds_store_2addr_b64 v250, v[80:81], v[82:83] offset0:78 offset1:79
	ds_store_2addr_b64 v250, v[76:77], v[78:79] offset0:80 offset1:81
	ds_store_2addr_b64 v250, v[72:73], v[74:75] offset0:82 offset1:83
	ds_store_2addr_b64 v250, v[68:69], v[70:71] offset0:84 offset1:85
	ds_store_2addr_b64 v250, v[64:65], v[66:67] offset0:86 offset1:87
	ds_store_2addr_b64 v250, v[60:61], v[62:63] offset0:88 offset1:89
	ds_store_2addr_b64 v250, v[56:57], v[58:59] offset0:90 offset1:91
	ds_store_2addr_b64 v250, v[52:53], v[54:55] offset0:92 offset1:93
	ds_store_2addr_b64 v250, v[48:49], v[50:51] offset0:94 offset1:95
	ds_store_2addr_b64 v250, v[44:45], v[46:47] offset0:96 offset1:97
	ds_store_2addr_b64 v250, v[40:41], v[42:43] offset0:98 offset1:99
	ds_store_2addr_b64 v250, v[36:37], v[38:39] offset0:100 offset1:101
	ds_store_2addr_b64 v250, v[32:33], v[34:35] offset0:102 offset1:103
	ds_store_2addr_b64 v250, v[28:29], v[30:31] offset0:104 offset1:105
	ds_store_2addr_b64 v250, v[24:25], v[26:27] offset0:106 offset1:107
	ds_store_2addr_b64 v250, v[20:21], v[22:23] offset0:108 offset1:109
	ds_store_2addr_b64 v250, v[16:17], v[18:19] offset0:110 offset1:111
	ds_store_2addr_b64 v250, v[12:13], v[14:15] offset0:112 offset1:113
	ds_store_2addr_b64 v250, v[8:9], v[10:11] offset0:114 offset1:115
	ds_store_2addr_b64 v250, v[4:5], v[6:7] offset0:116 offset1:117
	ds_store_2addr_b64 v250, v[0:1], v[2:3] offset0:118 offset1:119
	ds_load_2addr_b64 v[216:219], v248 offset1:1
	s_waitcnt lgkmcnt(0)
	v_cmp_neq_f64_e32 vcc_lo, 0, v[216:217]
	v_cmp_neq_f64_e64 s3, 0, v[218:219]
	s_delay_alu instid0(VALU_DEP_1) | instskip(NEXT) | instid1(SALU_CYCLE_1)
	s_or_b32 s3, vcc_lo, s3
	s_and_b32 exec_lo, exec_lo, s3
	s_cbranch_execz .LBB119_296
; %bb.291:
	v_cmp_gt_f64_e32 vcc_lo, 0, v[216:217]
	v_xor_b32_e32 v212, 0x80000000, v217
	s_mov_b32 s3, exec_lo
                                        ; implicit-def: $vgpr224_vgpr225
	s_delay_alu instid0(VALU_DEP_1) | instskip(SKIP_3) | instid1(VALU_DEP_1)
	v_cndmask_b32_e32 v221, v217, v212, vcc_lo
	v_cndmask_b32_e32 v220, v216, v216, vcc_lo
	v_cmp_gt_f64_e32 vcc_lo, 0, v[218:219]
	v_xor_b32_e32 v212, 0x80000000, v219
	v_dual_cndmask_b32 v222, v218, v218 :: v_dual_cndmask_b32 v223, v219, v212
	s_delay_alu instid0(VALU_DEP_1)
	v_cmpx_ngt_f64_e32 v[220:221], v[222:223]
	s_xor_b32 s3, exec_lo, s3
                                        ; implicit-def: $vgpr220_vgpr221_vgpr222_vgpr223
	s_cbranch_execz .LBB119_293
; %bb.292:
	v_div_scale_f64 v[220:221], null, v[218:219], v[218:219], v[216:217]
	v_div_scale_f64 v[226:227], vcc_lo, v[216:217], v[218:219], v[216:217]
	s_delay_alu instid0(VALU_DEP_2) | instskip(SKIP_2) | instid1(VALU_DEP_1)
	v_rcp_f64_e32 v[222:223], v[220:221]
	s_waitcnt_depctr 0xfff
	v_fma_f64 v[224:225], -v[220:221], v[222:223], 1.0
	v_fma_f64 v[222:223], v[222:223], v[224:225], v[222:223]
	s_delay_alu instid0(VALU_DEP_1) | instskip(NEXT) | instid1(VALU_DEP_1)
	v_fma_f64 v[224:225], -v[220:221], v[222:223], 1.0
	v_fma_f64 v[222:223], v[222:223], v[224:225], v[222:223]
	s_delay_alu instid0(VALU_DEP_1) | instskip(NEXT) | instid1(VALU_DEP_1)
	v_mul_f64 v[224:225], v[226:227], v[222:223]
	v_fma_f64 v[220:221], -v[220:221], v[224:225], v[226:227]
	s_delay_alu instid0(VALU_DEP_1) | instskip(NEXT) | instid1(VALU_DEP_1)
	v_div_fmas_f64 v[220:221], v[220:221], v[222:223], v[224:225]
	v_div_fixup_f64 v[220:221], v[220:221], v[218:219], v[216:217]
	s_delay_alu instid0(VALU_DEP_1) | instskip(NEXT) | instid1(VALU_DEP_1)
	v_fma_f64 v[216:217], v[216:217], v[220:221], v[218:219]
	v_div_scale_f64 v[218:219], null, v[216:217], v[216:217], 1.0
	s_delay_alu instid0(VALU_DEP_1) | instskip(SKIP_2) | instid1(VALU_DEP_1)
	v_rcp_f64_e32 v[222:223], v[218:219]
	s_waitcnt_depctr 0xfff
	v_fma_f64 v[224:225], -v[218:219], v[222:223], 1.0
	v_fma_f64 v[222:223], v[222:223], v[224:225], v[222:223]
	s_delay_alu instid0(VALU_DEP_1) | instskip(NEXT) | instid1(VALU_DEP_1)
	v_fma_f64 v[224:225], -v[218:219], v[222:223], 1.0
	v_fma_f64 v[222:223], v[222:223], v[224:225], v[222:223]
	v_div_scale_f64 v[224:225], vcc_lo, 1.0, v[216:217], 1.0
	s_delay_alu instid0(VALU_DEP_1) | instskip(NEXT) | instid1(VALU_DEP_1)
	v_mul_f64 v[226:227], v[224:225], v[222:223]
	v_fma_f64 v[218:219], -v[218:219], v[226:227], v[224:225]
	s_delay_alu instid0(VALU_DEP_1) | instskip(NEXT) | instid1(VALU_DEP_1)
	v_div_fmas_f64 v[218:219], v[218:219], v[222:223], v[226:227]
	v_div_fixup_f64 v[222:223], v[218:219], v[216:217], 1.0
                                        ; implicit-def: $vgpr216_vgpr217
	s_delay_alu instid0(VALU_DEP_1)
	v_mul_f64 v[224:225], v[220:221], v[222:223]
	v_xor_b32_e32 v223, 0x80000000, v223
.LBB119_293:
	s_and_not1_saveexec_b32 s3, s3
	s_cbranch_execz .LBB119_295
; %bb.294:
	v_div_scale_f64 v[220:221], null, v[216:217], v[216:217], v[218:219]
	v_div_scale_f64 v[226:227], vcc_lo, v[218:219], v[216:217], v[218:219]
	s_delay_alu instid0(VALU_DEP_2) | instskip(SKIP_2) | instid1(VALU_DEP_1)
	v_rcp_f64_e32 v[222:223], v[220:221]
	s_waitcnt_depctr 0xfff
	v_fma_f64 v[224:225], -v[220:221], v[222:223], 1.0
	v_fma_f64 v[222:223], v[222:223], v[224:225], v[222:223]
	s_delay_alu instid0(VALU_DEP_1) | instskip(NEXT) | instid1(VALU_DEP_1)
	v_fma_f64 v[224:225], -v[220:221], v[222:223], 1.0
	v_fma_f64 v[222:223], v[222:223], v[224:225], v[222:223]
	s_delay_alu instid0(VALU_DEP_1) | instskip(NEXT) | instid1(VALU_DEP_1)
	v_mul_f64 v[224:225], v[226:227], v[222:223]
	v_fma_f64 v[220:221], -v[220:221], v[224:225], v[226:227]
	s_delay_alu instid0(VALU_DEP_1) | instskip(NEXT) | instid1(VALU_DEP_1)
	v_div_fmas_f64 v[220:221], v[220:221], v[222:223], v[224:225]
	v_div_fixup_f64 v[220:221], v[220:221], v[216:217], v[218:219]
	s_delay_alu instid0(VALU_DEP_1) | instskip(NEXT) | instid1(VALU_DEP_1)
	v_fma_f64 v[216:217], v[218:219], v[220:221], v[216:217]
	v_div_scale_f64 v[218:219], null, v[216:217], v[216:217], 1.0
	s_delay_alu instid0(VALU_DEP_1) | instskip(SKIP_2) | instid1(VALU_DEP_1)
	v_rcp_f64_e32 v[222:223], v[218:219]
	s_waitcnt_depctr 0xfff
	v_fma_f64 v[224:225], -v[218:219], v[222:223], 1.0
	v_fma_f64 v[222:223], v[222:223], v[224:225], v[222:223]
	s_delay_alu instid0(VALU_DEP_1) | instskip(NEXT) | instid1(VALU_DEP_1)
	v_fma_f64 v[224:225], -v[218:219], v[222:223], 1.0
	v_fma_f64 v[222:223], v[222:223], v[224:225], v[222:223]
	v_div_scale_f64 v[224:225], vcc_lo, 1.0, v[216:217], 1.0
	s_delay_alu instid0(VALU_DEP_1) | instskip(NEXT) | instid1(VALU_DEP_1)
	v_mul_f64 v[226:227], v[224:225], v[222:223]
	v_fma_f64 v[218:219], -v[218:219], v[226:227], v[224:225]
	s_delay_alu instid0(VALU_DEP_1) | instskip(NEXT) | instid1(VALU_DEP_1)
	v_div_fmas_f64 v[218:219], v[218:219], v[222:223], v[226:227]
	v_div_fixup_f64 v[224:225], v[218:219], v[216:217], 1.0
	s_delay_alu instid0(VALU_DEP_1)
	v_mul_f64 v[222:223], v[220:221], -v[224:225]
.LBB119_295:
	s_or_b32 exec_lo, exec_lo, s3
	ds_store_2addr_b64 v248, v[224:225], v[222:223] offset1:1
.LBB119_296:
	s_or_b32 exec_lo, exec_lo, s4
	s_waitcnt lgkmcnt(0)
	s_barrier
	buffer_gl0_inv
	ds_load_2addr_b64 v[211:214], v248 offset1:1
	s_mov_b32 s3, exec_lo
	s_waitcnt lgkmcnt(0)
	scratch_store_b128 off, v[211:214], off offset:1112 ; 16-byte Folded Spill
	v_cmpx_lt_u32_e32 32, v251
	s_cbranch_execz .LBB119_298
; %bb.297:
	scratch_load_b128 v[211:214], off, off offset:1112 ; 16-byte Folded Reload
	ds_load_2addr_b64 v[218:221], v250 offset0:66 offset1:67
	s_waitcnt vmcnt(0)
	v_mul_f64 v[216:217], v[213:214], v[110:111]
	v_mul_f64 v[110:111], v[211:212], v[110:111]
	s_delay_alu instid0(VALU_DEP_2) | instskip(NEXT) | instid1(VALU_DEP_2)
	v_fma_f64 v[216:217], v[211:212], v[108:109], -v[216:217]
	v_fma_f64 v[110:111], v[213:214], v[108:109], v[110:111]
	s_waitcnt lgkmcnt(0)
	s_delay_alu instid0(VALU_DEP_1) | instskip(NEXT) | instid1(VALU_DEP_1)
	v_mul_f64 v[108:109], v[220:221], v[110:111]
	v_fma_f64 v[108:109], v[218:219], v[216:217], -v[108:109]
	v_mul_f64 v[218:219], v[218:219], v[110:111]
	s_delay_alu instid0(VALU_DEP_2) | instskip(NEXT) | instid1(VALU_DEP_2)
	v_add_f64 v[104:105], v[104:105], -v[108:109]
	v_fma_f64 v[218:219], v[220:221], v[216:217], v[218:219]
	s_delay_alu instid0(VALU_DEP_1) | instskip(SKIP_3) | instid1(VALU_DEP_1)
	v_add_f64 v[106:107], v[106:107], -v[218:219]
	ds_load_2addr_b64 v[218:221], v250 offset0:68 offset1:69
	s_waitcnt lgkmcnt(0)
	v_mul_f64 v[108:109], v[220:221], v[110:111]
	v_fma_f64 v[108:109], v[218:219], v[216:217], -v[108:109]
	v_mul_f64 v[218:219], v[218:219], v[110:111]
	s_delay_alu instid0(VALU_DEP_2) | instskip(NEXT) | instid1(VALU_DEP_2)
	v_add_f64 v[100:101], v[100:101], -v[108:109]
	v_fma_f64 v[218:219], v[220:221], v[216:217], v[218:219]
	s_delay_alu instid0(VALU_DEP_1) | instskip(SKIP_3) | instid1(VALU_DEP_1)
	v_add_f64 v[102:103], v[102:103], -v[218:219]
	ds_load_2addr_b64 v[218:221], v250 offset0:70 offset1:71
	s_waitcnt lgkmcnt(0)
	;; [unrolled: 10-line block ×26, first 2 shown]
	v_mul_f64 v[108:109], v[220:221], v[110:111]
	v_fma_f64 v[108:109], v[218:219], v[216:217], -v[108:109]
	v_mul_f64 v[218:219], v[218:219], v[110:111]
	s_delay_alu instid0(VALU_DEP_2) | instskip(NEXT) | instid1(VALU_DEP_2)
	v_add_f64 v[0:1], v[0:1], -v[108:109]
	v_fma_f64 v[218:219], v[220:221], v[216:217], v[218:219]
	v_dual_mov_b32 v108, v216 :: v_dual_mov_b32 v109, v217
	s_delay_alu instid0(VALU_DEP_2)
	v_add_f64 v[2:3], v[2:3], -v[218:219]
.LBB119_298:
	s_or_b32 exec_lo, exec_lo, s3
	s_delay_alu instid0(SALU_CYCLE_1)
	s_mov_b32 s4, exec_lo
	s_waitcnt_vscnt null, 0x0
	s_barrier
	buffer_gl0_inv
	v_cmpx_eq_u32_e32 33, v251
	s_cbranch_execz .LBB119_305
; %bb.299:
	ds_store_2addr_b64 v248, v[104:105], v[106:107] offset1:1
	ds_store_2addr_b64 v250, v[100:101], v[102:103] offset0:68 offset1:69
	ds_store_2addr_b64 v250, v[96:97], v[98:99] offset0:70 offset1:71
	;; [unrolled: 1-line block ×26, first 2 shown]
	ds_load_2addr_b64 v[216:219], v248 offset1:1
	s_waitcnt lgkmcnt(0)
	v_cmp_neq_f64_e32 vcc_lo, 0, v[216:217]
	v_cmp_neq_f64_e64 s3, 0, v[218:219]
	s_delay_alu instid0(VALU_DEP_1) | instskip(NEXT) | instid1(SALU_CYCLE_1)
	s_or_b32 s3, vcc_lo, s3
	s_and_b32 exec_lo, exec_lo, s3
	s_cbranch_execz .LBB119_305
; %bb.300:
	v_cmp_gt_f64_e32 vcc_lo, 0, v[216:217]
	v_xor_b32_e32 v212, 0x80000000, v217
	s_mov_b32 s3, exec_lo
                                        ; implicit-def: $vgpr224_vgpr225
	s_delay_alu instid0(VALU_DEP_1) | instskip(SKIP_3) | instid1(VALU_DEP_1)
	v_cndmask_b32_e32 v221, v217, v212, vcc_lo
	v_cndmask_b32_e32 v220, v216, v216, vcc_lo
	v_cmp_gt_f64_e32 vcc_lo, 0, v[218:219]
	v_xor_b32_e32 v212, 0x80000000, v219
	v_dual_cndmask_b32 v222, v218, v218 :: v_dual_cndmask_b32 v223, v219, v212
	s_delay_alu instid0(VALU_DEP_1)
	v_cmpx_ngt_f64_e32 v[220:221], v[222:223]
	s_xor_b32 s3, exec_lo, s3
                                        ; implicit-def: $vgpr220_vgpr221_vgpr222_vgpr223
	s_cbranch_execz .LBB119_302
; %bb.301:
	v_div_scale_f64 v[220:221], null, v[218:219], v[218:219], v[216:217]
	v_div_scale_f64 v[226:227], vcc_lo, v[216:217], v[218:219], v[216:217]
	s_delay_alu instid0(VALU_DEP_2) | instskip(SKIP_2) | instid1(VALU_DEP_1)
	v_rcp_f64_e32 v[222:223], v[220:221]
	s_waitcnt_depctr 0xfff
	v_fma_f64 v[224:225], -v[220:221], v[222:223], 1.0
	v_fma_f64 v[222:223], v[222:223], v[224:225], v[222:223]
	s_delay_alu instid0(VALU_DEP_1) | instskip(NEXT) | instid1(VALU_DEP_1)
	v_fma_f64 v[224:225], -v[220:221], v[222:223], 1.0
	v_fma_f64 v[222:223], v[222:223], v[224:225], v[222:223]
	s_delay_alu instid0(VALU_DEP_1) | instskip(NEXT) | instid1(VALU_DEP_1)
	v_mul_f64 v[224:225], v[226:227], v[222:223]
	v_fma_f64 v[220:221], -v[220:221], v[224:225], v[226:227]
	s_delay_alu instid0(VALU_DEP_1) | instskip(NEXT) | instid1(VALU_DEP_1)
	v_div_fmas_f64 v[220:221], v[220:221], v[222:223], v[224:225]
	v_div_fixup_f64 v[220:221], v[220:221], v[218:219], v[216:217]
	s_delay_alu instid0(VALU_DEP_1) | instskip(NEXT) | instid1(VALU_DEP_1)
	v_fma_f64 v[216:217], v[216:217], v[220:221], v[218:219]
	v_div_scale_f64 v[218:219], null, v[216:217], v[216:217], 1.0
	s_delay_alu instid0(VALU_DEP_1) | instskip(SKIP_2) | instid1(VALU_DEP_1)
	v_rcp_f64_e32 v[222:223], v[218:219]
	s_waitcnt_depctr 0xfff
	v_fma_f64 v[224:225], -v[218:219], v[222:223], 1.0
	v_fma_f64 v[222:223], v[222:223], v[224:225], v[222:223]
	s_delay_alu instid0(VALU_DEP_1) | instskip(NEXT) | instid1(VALU_DEP_1)
	v_fma_f64 v[224:225], -v[218:219], v[222:223], 1.0
	v_fma_f64 v[222:223], v[222:223], v[224:225], v[222:223]
	v_div_scale_f64 v[224:225], vcc_lo, 1.0, v[216:217], 1.0
	s_delay_alu instid0(VALU_DEP_1) | instskip(NEXT) | instid1(VALU_DEP_1)
	v_mul_f64 v[226:227], v[224:225], v[222:223]
	v_fma_f64 v[218:219], -v[218:219], v[226:227], v[224:225]
	s_delay_alu instid0(VALU_DEP_1) | instskip(NEXT) | instid1(VALU_DEP_1)
	v_div_fmas_f64 v[218:219], v[218:219], v[222:223], v[226:227]
	v_div_fixup_f64 v[222:223], v[218:219], v[216:217], 1.0
                                        ; implicit-def: $vgpr216_vgpr217
	s_delay_alu instid0(VALU_DEP_1)
	v_mul_f64 v[224:225], v[220:221], v[222:223]
	v_xor_b32_e32 v223, 0x80000000, v223
.LBB119_302:
	s_and_not1_saveexec_b32 s3, s3
	s_cbranch_execz .LBB119_304
; %bb.303:
	v_div_scale_f64 v[220:221], null, v[216:217], v[216:217], v[218:219]
	v_div_scale_f64 v[226:227], vcc_lo, v[218:219], v[216:217], v[218:219]
	s_delay_alu instid0(VALU_DEP_2) | instskip(SKIP_2) | instid1(VALU_DEP_1)
	v_rcp_f64_e32 v[222:223], v[220:221]
	s_waitcnt_depctr 0xfff
	v_fma_f64 v[224:225], -v[220:221], v[222:223], 1.0
	v_fma_f64 v[222:223], v[222:223], v[224:225], v[222:223]
	s_delay_alu instid0(VALU_DEP_1) | instskip(NEXT) | instid1(VALU_DEP_1)
	v_fma_f64 v[224:225], -v[220:221], v[222:223], 1.0
	v_fma_f64 v[222:223], v[222:223], v[224:225], v[222:223]
	s_delay_alu instid0(VALU_DEP_1) | instskip(NEXT) | instid1(VALU_DEP_1)
	v_mul_f64 v[224:225], v[226:227], v[222:223]
	v_fma_f64 v[220:221], -v[220:221], v[224:225], v[226:227]
	s_delay_alu instid0(VALU_DEP_1) | instskip(NEXT) | instid1(VALU_DEP_1)
	v_div_fmas_f64 v[220:221], v[220:221], v[222:223], v[224:225]
	v_div_fixup_f64 v[220:221], v[220:221], v[216:217], v[218:219]
	s_delay_alu instid0(VALU_DEP_1) | instskip(NEXT) | instid1(VALU_DEP_1)
	v_fma_f64 v[216:217], v[218:219], v[220:221], v[216:217]
	v_div_scale_f64 v[218:219], null, v[216:217], v[216:217], 1.0
	s_delay_alu instid0(VALU_DEP_1) | instskip(SKIP_2) | instid1(VALU_DEP_1)
	v_rcp_f64_e32 v[222:223], v[218:219]
	s_waitcnt_depctr 0xfff
	v_fma_f64 v[224:225], -v[218:219], v[222:223], 1.0
	v_fma_f64 v[222:223], v[222:223], v[224:225], v[222:223]
	s_delay_alu instid0(VALU_DEP_1) | instskip(NEXT) | instid1(VALU_DEP_1)
	v_fma_f64 v[224:225], -v[218:219], v[222:223], 1.0
	v_fma_f64 v[222:223], v[222:223], v[224:225], v[222:223]
	v_div_scale_f64 v[224:225], vcc_lo, 1.0, v[216:217], 1.0
	s_delay_alu instid0(VALU_DEP_1) | instskip(NEXT) | instid1(VALU_DEP_1)
	v_mul_f64 v[226:227], v[224:225], v[222:223]
	v_fma_f64 v[218:219], -v[218:219], v[226:227], v[224:225]
	s_delay_alu instid0(VALU_DEP_1) | instskip(NEXT) | instid1(VALU_DEP_1)
	v_div_fmas_f64 v[218:219], v[218:219], v[222:223], v[226:227]
	v_div_fixup_f64 v[224:225], v[218:219], v[216:217], 1.0
	s_delay_alu instid0(VALU_DEP_1)
	v_mul_f64 v[222:223], v[220:221], -v[224:225]
.LBB119_304:
	s_or_b32 exec_lo, exec_lo, s3
	ds_store_2addr_b64 v248, v[224:225], v[222:223] offset1:1
.LBB119_305:
	s_or_b32 exec_lo, exec_lo, s4
	s_waitcnt lgkmcnt(0)
	s_barrier
	buffer_gl0_inv
	ds_load_2addr_b64 v[211:214], v248 offset1:1
	s_mov_b32 s3, exec_lo
	s_waitcnt lgkmcnt(0)
	scratch_store_b128 off, v[211:214], off offset:1128 ; 16-byte Folded Spill
	v_cmpx_lt_u32_e32 33, v251
	s_cbranch_execz .LBB119_307
; %bb.306:
	scratch_load_b128 v[211:214], off, off offset:1128 ; 16-byte Folded Reload
	ds_load_2addr_b64 v[218:221], v250 offset0:68 offset1:69
	s_waitcnt vmcnt(0)
	v_mul_f64 v[216:217], v[213:214], v[106:107]
	v_mul_f64 v[106:107], v[211:212], v[106:107]
	s_delay_alu instid0(VALU_DEP_2) | instskip(NEXT) | instid1(VALU_DEP_2)
	v_fma_f64 v[216:217], v[211:212], v[104:105], -v[216:217]
	v_fma_f64 v[106:107], v[213:214], v[104:105], v[106:107]
	s_waitcnt lgkmcnt(0)
	s_delay_alu instid0(VALU_DEP_1) | instskip(NEXT) | instid1(VALU_DEP_1)
	v_mul_f64 v[104:105], v[220:221], v[106:107]
	v_fma_f64 v[104:105], v[218:219], v[216:217], -v[104:105]
	v_mul_f64 v[218:219], v[218:219], v[106:107]
	s_delay_alu instid0(VALU_DEP_2) | instskip(NEXT) | instid1(VALU_DEP_2)
	v_add_f64 v[100:101], v[100:101], -v[104:105]
	v_fma_f64 v[218:219], v[220:221], v[216:217], v[218:219]
	s_delay_alu instid0(VALU_DEP_1) | instskip(SKIP_3) | instid1(VALU_DEP_1)
	v_add_f64 v[102:103], v[102:103], -v[218:219]
	ds_load_2addr_b64 v[218:221], v250 offset0:70 offset1:71
	s_waitcnt lgkmcnt(0)
	v_mul_f64 v[104:105], v[220:221], v[106:107]
	v_fma_f64 v[104:105], v[218:219], v[216:217], -v[104:105]
	v_mul_f64 v[218:219], v[218:219], v[106:107]
	s_delay_alu instid0(VALU_DEP_2) | instskip(NEXT) | instid1(VALU_DEP_2)
	v_add_f64 v[96:97], v[96:97], -v[104:105]
	v_fma_f64 v[218:219], v[220:221], v[216:217], v[218:219]
	s_delay_alu instid0(VALU_DEP_1) | instskip(SKIP_3) | instid1(VALU_DEP_1)
	v_add_f64 v[98:99], v[98:99], -v[218:219]
	ds_load_2addr_b64 v[218:221], v250 offset0:72 offset1:73
	s_waitcnt lgkmcnt(0)
	;; [unrolled: 10-line block ×25, first 2 shown]
	v_mul_f64 v[104:105], v[220:221], v[106:107]
	v_fma_f64 v[104:105], v[218:219], v[216:217], -v[104:105]
	v_mul_f64 v[218:219], v[218:219], v[106:107]
	s_delay_alu instid0(VALU_DEP_2) | instskip(NEXT) | instid1(VALU_DEP_2)
	v_add_f64 v[0:1], v[0:1], -v[104:105]
	v_fma_f64 v[218:219], v[220:221], v[216:217], v[218:219]
	v_dual_mov_b32 v104, v216 :: v_dual_mov_b32 v105, v217
	s_delay_alu instid0(VALU_DEP_2)
	v_add_f64 v[2:3], v[2:3], -v[218:219]
.LBB119_307:
	s_or_b32 exec_lo, exec_lo, s3
	s_delay_alu instid0(SALU_CYCLE_1)
	s_mov_b32 s4, exec_lo
	s_waitcnt_vscnt null, 0x0
	s_barrier
	buffer_gl0_inv
	v_cmpx_eq_u32_e32 34, v251
	s_cbranch_execz .LBB119_314
; %bb.308:
	ds_store_2addr_b64 v248, v[100:101], v[102:103] offset1:1
	ds_store_2addr_b64 v250, v[96:97], v[98:99] offset0:70 offset1:71
	ds_store_2addr_b64 v250, v[92:93], v[94:95] offset0:72 offset1:73
	;; [unrolled: 1-line block ×25, first 2 shown]
	ds_load_2addr_b64 v[216:219], v248 offset1:1
	s_waitcnt lgkmcnt(0)
	v_cmp_neq_f64_e32 vcc_lo, 0, v[216:217]
	v_cmp_neq_f64_e64 s3, 0, v[218:219]
	s_delay_alu instid0(VALU_DEP_1) | instskip(NEXT) | instid1(SALU_CYCLE_1)
	s_or_b32 s3, vcc_lo, s3
	s_and_b32 exec_lo, exec_lo, s3
	s_cbranch_execz .LBB119_314
; %bb.309:
	v_cmp_gt_f64_e32 vcc_lo, 0, v[216:217]
	v_xor_b32_e32 v212, 0x80000000, v217
	s_mov_b32 s3, exec_lo
                                        ; implicit-def: $vgpr224_vgpr225
	s_delay_alu instid0(VALU_DEP_1) | instskip(SKIP_3) | instid1(VALU_DEP_1)
	v_cndmask_b32_e32 v221, v217, v212, vcc_lo
	v_cndmask_b32_e32 v220, v216, v216, vcc_lo
	v_cmp_gt_f64_e32 vcc_lo, 0, v[218:219]
	v_xor_b32_e32 v212, 0x80000000, v219
	v_dual_cndmask_b32 v222, v218, v218 :: v_dual_cndmask_b32 v223, v219, v212
	s_delay_alu instid0(VALU_DEP_1)
	v_cmpx_ngt_f64_e32 v[220:221], v[222:223]
	s_xor_b32 s3, exec_lo, s3
                                        ; implicit-def: $vgpr220_vgpr221_vgpr222_vgpr223
	s_cbranch_execz .LBB119_311
; %bb.310:
	v_div_scale_f64 v[220:221], null, v[218:219], v[218:219], v[216:217]
	v_div_scale_f64 v[226:227], vcc_lo, v[216:217], v[218:219], v[216:217]
	s_delay_alu instid0(VALU_DEP_2) | instskip(SKIP_2) | instid1(VALU_DEP_1)
	v_rcp_f64_e32 v[222:223], v[220:221]
	s_waitcnt_depctr 0xfff
	v_fma_f64 v[224:225], -v[220:221], v[222:223], 1.0
	v_fma_f64 v[222:223], v[222:223], v[224:225], v[222:223]
	s_delay_alu instid0(VALU_DEP_1) | instskip(NEXT) | instid1(VALU_DEP_1)
	v_fma_f64 v[224:225], -v[220:221], v[222:223], 1.0
	v_fma_f64 v[222:223], v[222:223], v[224:225], v[222:223]
	s_delay_alu instid0(VALU_DEP_1) | instskip(NEXT) | instid1(VALU_DEP_1)
	v_mul_f64 v[224:225], v[226:227], v[222:223]
	v_fma_f64 v[220:221], -v[220:221], v[224:225], v[226:227]
	s_delay_alu instid0(VALU_DEP_1) | instskip(NEXT) | instid1(VALU_DEP_1)
	v_div_fmas_f64 v[220:221], v[220:221], v[222:223], v[224:225]
	v_div_fixup_f64 v[220:221], v[220:221], v[218:219], v[216:217]
	s_delay_alu instid0(VALU_DEP_1) | instskip(NEXT) | instid1(VALU_DEP_1)
	v_fma_f64 v[216:217], v[216:217], v[220:221], v[218:219]
	v_div_scale_f64 v[218:219], null, v[216:217], v[216:217], 1.0
	s_delay_alu instid0(VALU_DEP_1) | instskip(SKIP_2) | instid1(VALU_DEP_1)
	v_rcp_f64_e32 v[222:223], v[218:219]
	s_waitcnt_depctr 0xfff
	v_fma_f64 v[224:225], -v[218:219], v[222:223], 1.0
	v_fma_f64 v[222:223], v[222:223], v[224:225], v[222:223]
	s_delay_alu instid0(VALU_DEP_1) | instskip(NEXT) | instid1(VALU_DEP_1)
	v_fma_f64 v[224:225], -v[218:219], v[222:223], 1.0
	v_fma_f64 v[222:223], v[222:223], v[224:225], v[222:223]
	v_div_scale_f64 v[224:225], vcc_lo, 1.0, v[216:217], 1.0
	s_delay_alu instid0(VALU_DEP_1) | instskip(NEXT) | instid1(VALU_DEP_1)
	v_mul_f64 v[226:227], v[224:225], v[222:223]
	v_fma_f64 v[218:219], -v[218:219], v[226:227], v[224:225]
	s_delay_alu instid0(VALU_DEP_1) | instskip(NEXT) | instid1(VALU_DEP_1)
	v_div_fmas_f64 v[218:219], v[218:219], v[222:223], v[226:227]
	v_div_fixup_f64 v[222:223], v[218:219], v[216:217], 1.0
                                        ; implicit-def: $vgpr216_vgpr217
	s_delay_alu instid0(VALU_DEP_1)
	v_mul_f64 v[224:225], v[220:221], v[222:223]
	v_xor_b32_e32 v223, 0x80000000, v223
.LBB119_311:
	s_and_not1_saveexec_b32 s3, s3
	s_cbranch_execz .LBB119_313
; %bb.312:
	v_div_scale_f64 v[220:221], null, v[216:217], v[216:217], v[218:219]
	v_div_scale_f64 v[226:227], vcc_lo, v[218:219], v[216:217], v[218:219]
	s_delay_alu instid0(VALU_DEP_2) | instskip(SKIP_2) | instid1(VALU_DEP_1)
	v_rcp_f64_e32 v[222:223], v[220:221]
	s_waitcnt_depctr 0xfff
	v_fma_f64 v[224:225], -v[220:221], v[222:223], 1.0
	v_fma_f64 v[222:223], v[222:223], v[224:225], v[222:223]
	s_delay_alu instid0(VALU_DEP_1) | instskip(NEXT) | instid1(VALU_DEP_1)
	v_fma_f64 v[224:225], -v[220:221], v[222:223], 1.0
	v_fma_f64 v[222:223], v[222:223], v[224:225], v[222:223]
	s_delay_alu instid0(VALU_DEP_1) | instskip(NEXT) | instid1(VALU_DEP_1)
	v_mul_f64 v[224:225], v[226:227], v[222:223]
	v_fma_f64 v[220:221], -v[220:221], v[224:225], v[226:227]
	s_delay_alu instid0(VALU_DEP_1) | instskip(NEXT) | instid1(VALU_DEP_1)
	v_div_fmas_f64 v[220:221], v[220:221], v[222:223], v[224:225]
	v_div_fixup_f64 v[220:221], v[220:221], v[216:217], v[218:219]
	s_delay_alu instid0(VALU_DEP_1) | instskip(NEXT) | instid1(VALU_DEP_1)
	v_fma_f64 v[216:217], v[218:219], v[220:221], v[216:217]
	v_div_scale_f64 v[218:219], null, v[216:217], v[216:217], 1.0
	s_delay_alu instid0(VALU_DEP_1) | instskip(SKIP_2) | instid1(VALU_DEP_1)
	v_rcp_f64_e32 v[222:223], v[218:219]
	s_waitcnt_depctr 0xfff
	v_fma_f64 v[224:225], -v[218:219], v[222:223], 1.0
	v_fma_f64 v[222:223], v[222:223], v[224:225], v[222:223]
	s_delay_alu instid0(VALU_DEP_1) | instskip(NEXT) | instid1(VALU_DEP_1)
	v_fma_f64 v[224:225], -v[218:219], v[222:223], 1.0
	v_fma_f64 v[222:223], v[222:223], v[224:225], v[222:223]
	v_div_scale_f64 v[224:225], vcc_lo, 1.0, v[216:217], 1.0
	s_delay_alu instid0(VALU_DEP_1) | instskip(NEXT) | instid1(VALU_DEP_1)
	v_mul_f64 v[226:227], v[224:225], v[222:223]
	v_fma_f64 v[218:219], -v[218:219], v[226:227], v[224:225]
	s_delay_alu instid0(VALU_DEP_1) | instskip(NEXT) | instid1(VALU_DEP_1)
	v_div_fmas_f64 v[218:219], v[218:219], v[222:223], v[226:227]
	v_div_fixup_f64 v[224:225], v[218:219], v[216:217], 1.0
	s_delay_alu instid0(VALU_DEP_1)
	v_mul_f64 v[222:223], v[220:221], -v[224:225]
.LBB119_313:
	s_or_b32 exec_lo, exec_lo, s3
	ds_store_2addr_b64 v248, v[224:225], v[222:223] offset1:1
.LBB119_314:
	s_or_b32 exec_lo, exec_lo, s4
	s_waitcnt lgkmcnt(0)
	s_barrier
	buffer_gl0_inv
	ds_load_2addr_b64 v[211:214], v248 offset1:1
	s_mov_b32 s3, exec_lo
	s_waitcnt lgkmcnt(0)
	scratch_store_b128 off, v[211:214], off offset:1144 ; 16-byte Folded Spill
	v_cmpx_lt_u32_e32 34, v251
	s_cbranch_execz .LBB119_316
; %bb.315:
	scratch_load_b128 v[211:214], off, off offset:1144 ; 16-byte Folded Reload
	ds_load_2addr_b64 v[218:221], v250 offset0:70 offset1:71
	s_waitcnt vmcnt(0)
	v_mul_f64 v[216:217], v[213:214], v[102:103]
	v_mul_f64 v[102:103], v[211:212], v[102:103]
	s_delay_alu instid0(VALU_DEP_2) | instskip(NEXT) | instid1(VALU_DEP_2)
	v_fma_f64 v[216:217], v[211:212], v[100:101], -v[216:217]
	v_fma_f64 v[102:103], v[213:214], v[100:101], v[102:103]
	s_waitcnt lgkmcnt(0)
	s_delay_alu instid0(VALU_DEP_1) | instskip(NEXT) | instid1(VALU_DEP_1)
	v_mul_f64 v[100:101], v[220:221], v[102:103]
	v_fma_f64 v[100:101], v[218:219], v[216:217], -v[100:101]
	v_mul_f64 v[218:219], v[218:219], v[102:103]
	s_delay_alu instid0(VALU_DEP_2) | instskip(NEXT) | instid1(VALU_DEP_2)
	v_add_f64 v[96:97], v[96:97], -v[100:101]
	v_fma_f64 v[218:219], v[220:221], v[216:217], v[218:219]
	s_delay_alu instid0(VALU_DEP_1) | instskip(SKIP_3) | instid1(VALU_DEP_1)
	v_add_f64 v[98:99], v[98:99], -v[218:219]
	ds_load_2addr_b64 v[218:221], v250 offset0:72 offset1:73
	s_waitcnt lgkmcnt(0)
	v_mul_f64 v[100:101], v[220:221], v[102:103]
	v_fma_f64 v[100:101], v[218:219], v[216:217], -v[100:101]
	v_mul_f64 v[218:219], v[218:219], v[102:103]
	s_delay_alu instid0(VALU_DEP_2) | instskip(NEXT) | instid1(VALU_DEP_2)
	v_add_f64 v[92:93], v[92:93], -v[100:101]
	v_fma_f64 v[218:219], v[220:221], v[216:217], v[218:219]
	s_delay_alu instid0(VALU_DEP_1) | instskip(SKIP_3) | instid1(VALU_DEP_1)
	v_add_f64 v[94:95], v[94:95], -v[218:219]
	ds_load_2addr_b64 v[218:221], v250 offset0:74 offset1:75
	s_waitcnt lgkmcnt(0)
	;; [unrolled: 10-line block ×24, first 2 shown]
	v_mul_f64 v[100:101], v[220:221], v[102:103]
	v_fma_f64 v[100:101], v[218:219], v[216:217], -v[100:101]
	v_mul_f64 v[218:219], v[218:219], v[102:103]
	s_delay_alu instid0(VALU_DEP_2) | instskip(NEXT) | instid1(VALU_DEP_2)
	v_add_f64 v[0:1], v[0:1], -v[100:101]
	v_fma_f64 v[218:219], v[220:221], v[216:217], v[218:219]
	v_dual_mov_b32 v100, v216 :: v_dual_mov_b32 v101, v217
	s_delay_alu instid0(VALU_DEP_2)
	v_add_f64 v[2:3], v[2:3], -v[218:219]
.LBB119_316:
	s_or_b32 exec_lo, exec_lo, s3
	s_delay_alu instid0(SALU_CYCLE_1)
	s_mov_b32 s4, exec_lo
	s_waitcnt_vscnt null, 0x0
	s_barrier
	buffer_gl0_inv
	v_cmpx_eq_u32_e32 35, v251
	s_cbranch_execz .LBB119_323
; %bb.317:
	ds_store_2addr_b64 v248, v[96:97], v[98:99] offset1:1
	ds_store_2addr_b64 v250, v[92:93], v[94:95] offset0:72 offset1:73
	ds_store_2addr_b64 v250, v[88:89], v[90:91] offset0:74 offset1:75
	;; [unrolled: 1-line block ×24, first 2 shown]
	ds_load_2addr_b64 v[216:219], v248 offset1:1
	s_waitcnt lgkmcnt(0)
	v_cmp_neq_f64_e32 vcc_lo, 0, v[216:217]
	v_cmp_neq_f64_e64 s3, 0, v[218:219]
	s_delay_alu instid0(VALU_DEP_1) | instskip(NEXT) | instid1(SALU_CYCLE_1)
	s_or_b32 s3, vcc_lo, s3
	s_and_b32 exec_lo, exec_lo, s3
	s_cbranch_execz .LBB119_323
; %bb.318:
	v_cmp_gt_f64_e32 vcc_lo, 0, v[216:217]
	v_xor_b32_e32 v212, 0x80000000, v217
	s_mov_b32 s3, exec_lo
                                        ; implicit-def: $vgpr224_vgpr225
	s_delay_alu instid0(VALU_DEP_1) | instskip(SKIP_3) | instid1(VALU_DEP_1)
	v_cndmask_b32_e32 v221, v217, v212, vcc_lo
	v_cndmask_b32_e32 v220, v216, v216, vcc_lo
	v_cmp_gt_f64_e32 vcc_lo, 0, v[218:219]
	v_xor_b32_e32 v212, 0x80000000, v219
	v_dual_cndmask_b32 v222, v218, v218 :: v_dual_cndmask_b32 v223, v219, v212
	s_delay_alu instid0(VALU_DEP_1)
	v_cmpx_ngt_f64_e32 v[220:221], v[222:223]
	s_xor_b32 s3, exec_lo, s3
                                        ; implicit-def: $vgpr220_vgpr221_vgpr222_vgpr223
	s_cbranch_execz .LBB119_320
; %bb.319:
	v_div_scale_f64 v[220:221], null, v[218:219], v[218:219], v[216:217]
	v_div_scale_f64 v[226:227], vcc_lo, v[216:217], v[218:219], v[216:217]
	s_delay_alu instid0(VALU_DEP_2) | instskip(SKIP_2) | instid1(VALU_DEP_1)
	v_rcp_f64_e32 v[222:223], v[220:221]
	s_waitcnt_depctr 0xfff
	v_fma_f64 v[224:225], -v[220:221], v[222:223], 1.0
	v_fma_f64 v[222:223], v[222:223], v[224:225], v[222:223]
	s_delay_alu instid0(VALU_DEP_1) | instskip(NEXT) | instid1(VALU_DEP_1)
	v_fma_f64 v[224:225], -v[220:221], v[222:223], 1.0
	v_fma_f64 v[222:223], v[222:223], v[224:225], v[222:223]
	s_delay_alu instid0(VALU_DEP_1) | instskip(NEXT) | instid1(VALU_DEP_1)
	v_mul_f64 v[224:225], v[226:227], v[222:223]
	v_fma_f64 v[220:221], -v[220:221], v[224:225], v[226:227]
	s_delay_alu instid0(VALU_DEP_1) | instskip(NEXT) | instid1(VALU_DEP_1)
	v_div_fmas_f64 v[220:221], v[220:221], v[222:223], v[224:225]
	v_div_fixup_f64 v[220:221], v[220:221], v[218:219], v[216:217]
	s_delay_alu instid0(VALU_DEP_1) | instskip(NEXT) | instid1(VALU_DEP_1)
	v_fma_f64 v[216:217], v[216:217], v[220:221], v[218:219]
	v_div_scale_f64 v[218:219], null, v[216:217], v[216:217], 1.0
	s_delay_alu instid0(VALU_DEP_1) | instskip(SKIP_2) | instid1(VALU_DEP_1)
	v_rcp_f64_e32 v[222:223], v[218:219]
	s_waitcnt_depctr 0xfff
	v_fma_f64 v[224:225], -v[218:219], v[222:223], 1.0
	v_fma_f64 v[222:223], v[222:223], v[224:225], v[222:223]
	s_delay_alu instid0(VALU_DEP_1) | instskip(NEXT) | instid1(VALU_DEP_1)
	v_fma_f64 v[224:225], -v[218:219], v[222:223], 1.0
	v_fma_f64 v[222:223], v[222:223], v[224:225], v[222:223]
	v_div_scale_f64 v[224:225], vcc_lo, 1.0, v[216:217], 1.0
	s_delay_alu instid0(VALU_DEP_1) | instskip(NEXT) | instid1(VALU_DEP_1)
	v_mul_f64 v[226:227], v[224:225], v[222:223]
	v_fma_f64 v[218:219], -v[218:219], v[226:227], v[224:225]
	s_delay_alu instid0(VALU_DEP_1) | instskip(NEXT) | instid1(VALU_DEP_1)
	v_div_fmas_f64 v[218:219], v[218:219], v[222:223], v[226:227]
	v_div_fixup_f64 v[222:223], v[218:219], v[216:217], 1.0
                                        ; implicit-def: $vgpr216_vgpr217
	s_delay_alu instid0(VALU_DEP_1)
	v_mul_f64 v[224:225], v[220:221], v[222:223]
	v_xor_b32_e32 v223, 0x80000000, v223
.LBB119_320:
	s_and_not1_saveexec_b32 s3, s3
	s_cbranch_execz .LBB119_322
; %bb.321:
	v_div_scale_f64 v[220:221], null, v[216:217], v[216:217], v[218:219]
	v_div_scale_f64 v[226:227], vcc_lo, v[218:219], v[216:217], v[218:219]
	s_delay_alu instid0(VALU_DEP_2) | instskip(SKIP_2) | instid1(VALU_DEP_1)
	v_rcp_f64_e32 v[222:223], v[220:221]
	s_waitcnt_depctr 0xfff
	v_fma_f64 v[224:225], -v[220:221], v[222:223], 1.0
	v_fma_f64 v[222:223], v[222:223], v[224:225], v[222:223]
	s_delay_alu instid0(VALU_DEP_1) | instskip(NEXT) | instid1(VALU_DEP_1)
	v_fma_f64 v[224:225], -v[220:221], v[222:223], 1.0
	v_fma_f64 v[222:223], v[222:223], v[224:225], v[222:223]
	s_delay_alu instid0(VALU_DEP_1) | instskip(NEXT) | instid1(VALU_DEP_1)
	v_mul_f64 v[224:225], v[226:227], v[222:223]
	v_fma_f64 v[220:221], -v[220:221], v[224:225], v[226:227]
	s_delay_alu instid0(VALU_DEP_1) | instskip(NEXT) | instid1(VALU_DEP_1)
	v_div_fmas_f64 v[220:221], v[220:221], v[222:223], v[224:225]
	v_div_fixup_f64 v[220:221], v[220:221], v[216:217], v[218:219]
	s_delay_alu instid0(VALU_DEP_1) | instskip(NEXT) | instid1(VALU_DEP_1)
	v_fma_f64 v[216:217], v[218:219], v[220:221], v[216:217]
	v_div_scale_f64 v[218:219], null, v[216:217], v[216:217], 1.0
	s_delay_alu instid0(VALU_DEP_1) | instskip(SKIP_2) | instid1(VALU_DEP_1)
	v_rcp_f64_e32 v[222:223], v[218:219]
	s_waitcnt_depctr 0xfff
	v_fma_f64 v[224:225], -v[218:219], v[222:223], 1.0
	v_fma_f64 v[222:223], v[222:223], v[224:225], v[222:223]
	s_delay_alu instid0(VALU_DEP_1) | instskip(NEXT) | instid1(VALU_DEP_1)
	v_fma_f64 v[224:225], -v[218:219], v[222:223], 1.0
	v_fma_f64 v[222:223], v[222:223], v[224:225], v[222:223]
	v_div_scale_f64 v[224:225], vcc_lo, 1.0, v[216:217], 1.0
	s_delay_alu instid0(VALU_DEP_1) | instskip(NEXT) | instid1(VALU_DEP_1)
	v_mul_f64 v[226:227], v[224:225], v[222:223]
	v_fma_f64 v[218:219], -v[218:219], v[226:227], v[224:225]
	s_delay_alu instid0(VALU_DEP_1) | instskip(NEXT) | instid1(VALU_DEP_1)
	v_div_fmas_f64 v[218:219], v[218:219], v[222:223], v[226:227]
	v_div_fixup_f64 v[224:225], v[218:219], v[216:217], 1.0
	s_delay_alu instid0(VALU_DEP_1)
	v_mul_f64 v[222:223], v[220:221], -v[224:225]
.LBB119_322:
	s_or_b32 exec_lo, exec_lo, s3
	ds_store_2addr_b64 v248, v[224:225], v[222:223] offset1:1
.LBB119_323:
	s_or_b32 exec_lo, exec_lo, s4
	s_waitcnt lgkmcnt(0)
	s_barrier
	buffer_gl0_inv
	ds_load_2addr_b64 v[208:211], v248 offset1:1
	s_mov_b32 s3, exec_lo
	s_waitcnt lgkmcnt(0)
	scratch_store_b128 off, v[208:211], off offset:1168 ; 16-byte Folded Spill
	v_cmpx_lt_u32_e32 35, v251
	s_cbranch_execz .LBB119_325
; %bb.324:
	scratch_load_b128 v[208:211], off, off offset:1168 ; 16-byte Folded Reload
	ds_load_2addr_b64 v[218:221], v250 offset0:72 offset1:73
	s_waitcnt vmcnt(0)
	v_mul_f64 v[216:217], v[210:211], v[98:99]
	v_mul_f64 v[98:99], v[208:209], v[98:99]
	s_delay_alu instid0(VALU_DEP_2) | instskip(NEXT) | instid1(VALU_DEP_2)
	v_fma_f64 v[216:217], v[208:209], v[96:97], -v[216:217]
	v_fma_f64 v[98:99], v[210:211], v[96:97], v[98:99]
	s_waitcnt lgkmcnt(0)
	s_delay_alu instid0(VALU_DEP_1) | instskip(NEXT) | instid1(VALU_DEP_1)
	v_mul_f64 v[96:97], v[220:221], v[98:99]
	v_fma_f64 v[96:97], v[218:219], v[216:217], -v[96:97]
	v_mul_f64 v[218:219], v[218:219], v[98:99]
	s_delay_alu instid0(VALU_DEP_2) | instskip(NEXT) | instid1(VALU_DEP_2)
	v_add_f64 v[92:93], v[92:93], -v[96:97]
	v_fma_f64 v[218:219], v[220:221], v[216:217], v[218:219]
	s_delay_alu instid0(VALU_DEP_1) | instskip(SKIP_3) | instid1(VALU_DEP_1)
	v_add_f64 v[94:95], v[94:95], -v[218:219]
	ds_load_2addr_b64 v[218:221], v250 offset0:74 offset1:75
	s_waitcnt lgkmcnt(0)
	v_mul_f64 v[96:97], v[220:221], v[98:99]
	v_fma_f64 v[96:97], v[218:219], v[216:217], -v[96:97]
	v_mul_f64 v[218:219], v[218:219], v[98:99]
	s_delay_alu instid0(VALU_DEP_2) | instskip(NEXT) | instid1(VALU_DEP_2)
	v_add_f64 v[88:89], v[88:89], -v[96:97]
	v_fma_f64 v[218:219], v[220:221], v[216:217], v[218:219]
	s_delay_alu instid0(VALU_DEP_1) | instskip(SKIP_3) | instid1(VALU_DEP_1)
	v_add_f64 v[90:91], v[90:91], -v[218:219]
	ds_load_2addr_b64 v[218:221], v250 offset0:76 offset1:77
	s_waitcnt lgkmcnt(0)
	v_mul_f64 v[96:97], v[220:221], v[98:99]
	v_fma_f64 v[96:97], v[218:219], v[216:217], -v[96:97]
	v_mul_f64 v[218:219], v[218:219], v[98:99]
	s_delay_alu instid0(VALU_DEP_2) | instskip(NEXT) | instid1(VALU_DEP_2)
	v_add_f64 v[84:85], v[84:85], -v[96:97]
	v_fma_f64 v[218:219], v[220:221], v[216:217], v[218:219]
	s_delay_alu instid0(VALU_DEP_1) | instskip(SKIP_3) | instid1(VALU_DEP_1)
	v_add_f64 v[86:87], v[86:87], -v[218:219]
	ds_load_2addr_b64 v[218:221], v250 offset0:78 offset1:79
	s_waitcnt lgkmcnt(0)
	v_mul_f64 v[96:97], v[220:221], v[98:99]
	v_fma_f64 v[96:97], v[218:219], v[216:217], -v[96:97]
	v_mul_f64 v[218:219], v[218:219], v[98:99]
	s_delay_alu instid0(VALU_DEP_2) | instskip(NEXT) | instid1(VALU_DEP_2)
	v_add_f64 v[80:81], v[80:81], -v[96:97]
	v_fma_f64 v[218:219], v[220:221], v[216:217], v[218:219]
	s_delay_alu instid0(VALU_DEP_1) | instskip(SKIP_3) | instid1(VALU_DEP_1)
	v_add_f64 v[82:83], v[82:83], -v[218:219]
	ds_load_2addr_b64 v[218:221], v250 offset0:80 offset1:81
	s_waitcnt lgkmcnt(0)
	v_mul_f64 v[96:97], v[220:221], v[98:99]
	v_fma_f64 v[96:97], v[218:219], v[216:217], -v[96:97]
	v_mul_f64 v[218:219], v[218:219], v[98:99]
	s_delay_alu instid0(VALU_DEP_2) | instskip(NEXT) | instid1(VALU_DEP_2)
	v_add_f64 v[76:77], v[76:77], -v[96:97]
	v_fma_f64 v[218:219], v[220:221], v[216:217], v[218:219]
	s_delay_alu instid0(VALU_DEP_1) | instskip(SKIP_3) | instid1(VALU_DEP_1)
	v_add_f64 v[78:79], v[78:79], -v[218:219]
	ds_load_2addr_b64 v[218:221], v250 offset0:82 offset1:83
	s_waitcnt lgkmcnt(0)
	v_mul_f64 v[96:97], v[220:221], v[98:99]
	v_fma_f64 v[96:97], v[218:219], v[216:217], -v[96:97]
	v_mul_f64 v[218:219], v[218:219], v[98:99]
	s_delay_alu instid0(VALU_DEP_2) | instskip(NEXT) | instid1(VALU_DEP_2)
	v_add_f64 v[72:73], v[72:73], -v[96:97]
	v_fma_f64 v[218:219], v[220:221], v[216:217], v[218:219]
	s_delay_alu instid0(VALU_DEP_1) | instskip(SKIP_3) | instid1(VALU_DEP_1)
	v_add_f64 v[74:75], v[74:75], -v[218:219]
	ds_load_2addr_b64 v[218:221], v250 offset0:84 offset1:85
	s_waitcnt lgkmcnt(0)
	v_mul_f64 v[96:97], v[220:221], v[98:99]
	v_fma_f64 v[96:97], v[218:219], v[216:217], -v[96:97]
	v_mul_f64 v[218:219], v[218:219], v[98:99]
	s_delay_alu instid0(VALU_DEP_2) | instskip(NEXT) | instid1(VALU_DEP_2)
	v_add_f64 v[68:69], v[68:69], -v[96:97]
	v_fma_f64 v[218:219], v[220:221], v[216:217], v[218:219]
	s_delay_alu instid0(VALU_DEP_1) | instskip(SKIP_3) | instid1(VALU_DEP_1)
	v_add_f64 v[70:71], v[70:71], -v[218:219]
	ds_load_2addr_b64 v[218:221], v250 offset0:86 offset1:87
	s_waitcnt lgkmcnt(0)
	v_mul_f64 v[96:97], v[220:221], v[98:99]
	v_fma_f64 v[96:97], v[218:219], v[216:217], -v[96:97]
	v_mul_f64 v[218:219], v[218:219], v[98:99]
	s_delay_alu instid0(VALU_DEP_2) | instskip(NEXT) | instid1(VALU_DEP_2)
	v_add_f64 v[64:65], v[64:65], -v[96:97]
	v_fma_f64 v[218:219], v[220:221], v[216:217], v[218:219]
	s_delay_alu instid0(VALU_DEP_1) | instskip(SKIP_3) | instid1(VALU_DEP_1)
	v_add_f64 v[66:67], v[66:67], -v[218:219]
	ds_load_2addr_b64 v[218:221], v250 offset0:88 offset1:89
	s_waitcnt lgkmcnt(0)
	v_mul_f64 v[96:97], v[220:221], v[98:99]
	v_fma_f64 v[96:97], v[218:219], v[216:217], -v[96:97]
	v_mul_f64 v[218:219], v[218:219], v[98:99]
	s_delay_alu instid0(VALU_DEP_2) | instskip(NEXT) | instid1(VALU_DEP_2)
	v_add_f64 v[60:61], v[60:61], -v[96:97]
	v_fma_f64 v[218:219], v[220:221], v[216:217], v[218:219]
	s_delay_alu instid0(VALU_DEP_1) | instskip(SKIP_3) | instid1(VALU_DEP_1)
	v_add_f64 v[62:63], v[62:63], -v[218:219]
	ds_load_2addr_b64 v[218:221], v250 offset0:90 offset1:91
	s_waitcnt lgkmcnt(0)
	v_mul_f64 v[96:97], v[220:221], v[98:99]
	v_fma_f64 v[96:97], v[218:219], v[216:217], -v[96:97]
	v_mul_f64 v[218:219], v[218:219], v[98:99]
	s_delay_alu instid0(VALU_DEP_2) | instskip(NEXT) | instid1(VALU_DEP_2)
	v_add_f64 v[56:57], v[56:57], -v[96:97]
	v_fma_f64 v[218:219], v[220:221], v[216:217], v[218:219]
	s_delay_alu instid0(VALU_DEP_1) | instskip(SKIP_3) | instid1(VALU_DEP_1)
	v_add_f64 v[58:59], v[58:59], -v[218:219]
	ds_load_2addr_b64 v[218:221], v250 offset0:92 offset1:93
	s_waitcnt lgkmcnt(0)
	v_mul_f64 v[96:97], v[220:221], v[98:99]
	v_fma_f64 v[96:97], v[218:219], v[216:217], -v[96:97]
	v_mul_f64 v[218:219], v[218:219], v[98:99]
	s_delay_alu instid0(VALU_DEP_2) | instskip(NEXT) | instid1(VALU_DEP_2)
	v_add_f64 v[52:53], v[52:53], -v[96:97]
	v_fma_f64 v[218:219], v[220:221], v[216:217], v[218:219]
	s_delay_alu instid0(VALU_DEP_1) | instskip(SKIP_3) | instid1(VALU_DEP_1)
	v_add_f64 v[54:55], v[54:55], -v[218:219]
	ds_load_2addr_b64 v[218:221], v250 offset0:94 offset1:95
	s_waitcnt lgkmcnt(0)
	v_mul_f64 v[96:97], v[220:221], v[98:99]
	v_fma_f64 v[96:97], v[218:219], v[216:217], -v[96:97]
	v_mul_f64 v[218:219], v[218:219], v[98:99]
	s_delay_alu instid0(VALU_DEP_2) | instskip(NEXT) | instid1(VALU_DEP_2)
	v_add_f64 v[48:49], v[48:49], -v[96:97]
	v_fma_f64 v[218:219], v[220:221], v[216:217], v[218:219]
	s_delay_alu instid0(VALU_DEP_1) | instskip(SKIP_3) | instid1(VALU_DEP_1)
	v_add_f64 v[50:51], v[50:51], -v[218:219]
	ds_load_2addr_b64 v[218:221], v250 offset0:96 offset1:97
	s_waitcnt lgkmcnt(0)
	v_mul_f64 v[96:97], v[220:221], v[98:99]
	v_fma_f64 v[96:97], v[218:219], v[216:217], -v[96:97]
	v_mul_f64 v[218:219], v[218:219], v[98:99]
	s_delay_alu instid0(VALU_DEP_2) | instskip(NEXT) | instid1(VALU_DEP_2)
	v_add_f64 v[44:45], v[44:45], -v[96:97]
	v_fma_f64 v[218:219], v[220:221], v[216:217], v[218:219]
	s_delay_alu instid0(VALU_DEP_1) | instskip(SKIP_3) | instid1(VALU_DEP_1)
	v_add_f64 v[46:47], v[46:47], -v[218:219]
	ds_load_2addr_b64 v[218:221], v250 offset0:98 offset1:99
	s_waitcnt lgkmcnt(0)
	v_mul_f64 v[96:97], v[220:221], v[98:99]
	v_fma_f64 v[96:97], v[218:219], v[216:217], -v[96:97]
	v_mul_f64 v[218:219], v[218:219], v[98:99]
	s_delay_alu instid0(VALU_DEP_2) | instskip(NEXT) | instid1(VALU_DEP_2)
	v_add_f64 v[40:41], v[40:41], -v[96:97]
	v_fma_f64 v[218:219], v[220:221], v[216:217], v[218:219]
	s_delay_alu instid0(VALU_DEP_1) | instskip(SKIP_3) | instid1(VALU_DEP_1)
	v_add_f64 v[42:43], v[42:43], -v[218:219]
	ds_load_2addr_b64 v[218:221], v250 offset0:100 offset1:101
	s_waitcnt lgkmcnt(0)
	v_mul_f64 v[96:97], v[220:221], v[98:99]
	v_fma_f64 v[96:97], v[218:219], v[216:217], -v[96:97]
	v_mul_f64 v[218:219], v[218:219], v[98:99]
	s_delay_alu instid0(VALU_DEP_2) | instskip(NEXT) | instid1(VALU_DEP_2)
	v_add_f64 v[36:37], v[36:37], -v[96:97]
	v_fma_f64 v[218:219], v[220:221], v[216:217], v[218:219]
	s_delay_alu instid0(VALU_DEP_1) | instskip(SKIP_3) | instid1(VALU_DEP_1)
	v_add_f64 v[38:39], v[38:39], -v[218:219]
	ds_load_2addr_b64 v[218:221], v250 offset0:102 offset1:103
	s_waitcnt lgkmcnt(0)
	v_mul_f64 v[96:97], v[220:221], v[98:99]
	v_fma_f64 v[96:97], v[218:219], v[216:217], -v[96:97]
	v_mul_f64 v[218:219], v[218:219], v[98:99]
	s_delay_alu instid0(VALU_DEP_2) | instskip(NEXT) | instid1(VALU_DEP_2)
	v_add_f64 v[32:33], v[32:33], -v[96:97]
	v_fma_f64 v[218:219], v[220:221], v[216:217], v[218:219]
	s_delay_alu instid0(VALU_DEP_1) | instskip(SKIP_3) | instid1(VALU_DEP_1)
	v_add_f64 v[34:35], v[34:35], -v[218:219]
	ds_load_2addr_b64 v[218:221], v250 offset0:104 offset1:105
	s_waitcnt lgkmcnt(0)
	v_mul_f64 v[96:97], v[220:221], v[98:99]
	v_fma_f64 v[96:97], v[218:219], v[216:217], -v[96:97]
	v_mul_f64 v[218:219], v[218:219], v[98:99]
	s_delay_alu instid0(VALU_DEP_2) | instskip(NEXT) | instid1(VALU_DEP_2)
	v_add_f64 v[28:29], v[28:29], -v[96:97]
	v_fma_f64 v[218:219], v[220:221], v[216:217], v[218:219]
	s_delay_alu instid0(VALU_DEP_1) | instskip(SKIP_3) | instid1(VALU_DEP_1)
	v_add_f64 v[30:31], v[30:31], -v[218:219]
	ds_load_2addr_b64 v[218:221], v250 offset0:106 offset1:107
	s_waitcnt lgkmcnt(0)
	v_mul_f64 v[96:97], v[220:221], v[98:99]
	v_fma_f64 v[96:97], v[218:219], v[216:217], -v[96:97]
	v_mul_f64 v[218:219], v[218:219], v[98:99]
	s_delay_alu instid0(VALU_DEP_2) | instskip(NEXT) | instid1(VALU_DEP_2)
	v_add_f64 v[24:25], v[24:25], -v[96:97]
	v_fma_f64 v[218:219], v[220:221], v[216:217], v[218:219]
	s_delay_alu instid0(VALU_DEP_1) | instskip(SKIP_3) | instid1(VALU_DEP_1)
	v_add_f64 v[26:27], v[26:27], -v[218:219]
	ds_load_2addr_b64 v[218:221], v250 offset0:108 offset1:109
	s_waitcnt lgkmcnt(0)
	v_mul_f64 v[96:97], v[220:221], v[98:99]
	v_fma_f64 v[96:97], v[218:219], v[216:217], -v[96:97]
	v_mul_f64 v[218:219], v[218:219], v[98:99]
	s_delay_alu instid0(VALU_DEP_2) | instskip(NEXT) | instid1(VALU_DEP_2)
	v_add_f64 v[20:21], v[20:21], -v[96:97]
	v_fma_f64 v[218:219], v[220:221], v[216:217], v[218:219]
	s_delay_alu instid0(VALU_DEP_1) | instskip(SKIP_3) | instid1(VALU_DEP_1)
	v_add_f64 v[22:23], v[22:23], -v[218:219]
	ds_load_2addr_b64 v[218:221], v250 offset0:110 offset1:111
	s_waitcnt lgkmcnt(0)
	v_mul_f64 v[96:97], v[220:221], v[98:99]
	v_fma_f64 v[96:97], v[218:219], v[216:217], -v[96:97]
	v_mul_f64 v[218:219], v[218:219], v[98:99]
	s_delay_alu instid0(VALU_DEP_2) | instskip(NEXT) | instid1(VALU_DEP_2)
	v_add_f64 v[16:17], v[16:17], -v[96:97]
	v_fma_f64 v[218:219], v[220:221], v[216:217], v[218:219]
	s_delay_alu instid0(VALU_DEP_1) | instskip(SKIP_3) | instid1(VALU_DEP_1)
	v_add_f64 v[18:19], v[18:19], -v[218:219]
	ds_load_2addr_b64 v[218:221], v250 offset0:112 offset1:113
	s_waitcnt lgkmcnt(0)
	v_mul_f64 v[96:97], v[220:221], v[98:99]
	v_fma_f64 v[96:97], v[218:219], v[216:217], -v[96:97]
	v_mul_f64 v[218:219], v[218:219], v[98:99]
	s_delay_alu instid0(VALU_DEP_2) | instskip(NEXT) | instid1(VALU_DEP_2)
	v_add_f64 v[12:13], v[12:13], -v[96:97]
	v_fma_f64 v[218:219], v[220:221], v[216:217], v[218:219]
	s_delay_alu instid0(VALU_DEP_1) | instskip(SKIP_3) | instid1(VALU_DEP_1)
	v_add_f64 v[14:15], v[14:15], -v[218:219]
	ds_load_2addr_b64 v[218:221], v250 offset0:114 offset1:115
	s_waitcnt lgkmcnt(0)
	v_mul_f64 v[96:97], v[220:221], v[98:99]
	v_fma_f64 v[96:97], v[218:219], v[216:217], -v[96:97]
	v_mul_f64 v[218:219], v[218:219], v[98:99]
	s_delay_alu instid0(VALU_DEP_2) | instskip(NEXT) | instid1(VALU_DEP_2)
	v_add_f64 v[8:9], v[8:9], -v[96:97]
	v_fma_f64 v[218:219], v[220:221], v[216:217], v[218:219]
	s_delay_alu instid0(VALU_DEP_1) | instskip(SKIP_3) | instid1(VALU_DEP_1)
	v_add_f64 v[10:11], v[10:11], -v[218:219]
	ds_load_2addr_b64 v[218:221], v250 offset0:116 offset1:117
	s_waitcnt lgkmcnt(0)
	v_mul_f64 v[96:97], v[220:221], v[98:99]
	v_fma_f64 v[96:97], v[218:219], v[216:217], -v[96:97]
	v_mul_f64 v[218:219], v[218:219], v[98:99]
	s_delay_alu instid0(VALU_DEP_2) | instskip(NEXT) | instid1(VALU_DEP_2)
	v_add_f64 v[4:5], v[4:5], -v[96:97]
	v_fma_f64 v[218:219], v[220:221], v[216:217], v[218:219]
	s_delay_alu instid0(VALU_DEP_1) | instskip(SKIP_3) | instid1(VALU_DEP_1)
	v_add_f64 v[6:7], v[6:7], -v[218:219]
	ds_load_2addr_b64 v[218:221], v250 offset0:118 offset1:119
	s_waitcnt lgkmcnt(0)
	v_mul_f64 v[96:97], v[220:221], v[98:99]
	v_fma_f64 v[96:97], v[218:219], v[216:217], -v[96:97]
	v_mul_f64 v[218:219], v[218:219], v[98:99]
	s_delay_alu instid0(VALU_DEP_2) | instskip(NEXT) | instid1(VALU_DEP_2)
	v_add_f64 v[0:1], v[0:1], -v[96:97]
	v_fma_f64 v[218:219], v[220:221], v[216:217], v[218:219]
	v_dual_mov_b32 v96, v216 :: v_dual_mov_b32 v97, v217
	s_delay_alu instid0(VALU_DEP_2)
	v_add_f64 v[2:3], v[2:3], -v[218:219]
.LBB119_325:
	s_or_b32 exec_lo, exec_lo, s3
	s_delay_alu instid0(SALU_CYCLE_1)
	s_mov_b32 s4, exec_lo
	s_waitcnt_vscnt null, 0x0
	s_barrier
	buffer_gl0_inv
	v_cmpx_eq_u32_e32 36, v251
	s_cbranch_execz .LBB119_332
; %bb.326:
	ds_store_2addr_b64 v248, v[92:93], v[94:95] offset1:1
	ds_store_2addr_b64 v250, v[88:89], v[90:91] offset0:74 offset1:75
	ds_store_2addr_b64 v250, v[84:85], v[86:87] offset0:76 offset1:77
	;; [unrolled: 1-line block ×23, first 2 shown]
	ds_load_2addr_b64 v[216:219], v248 offset1:1
	s_waitcnt lgkmcnt(0)
	v_cmp_neq_f64_e32 vcc_lo, 0, v[216:217]
	v_cmp_neq_f64_e64 s3, 0, v[218:219]
	s_delay_alu instid0(VALU_DEP_1) | instskip(NEXT) | instid1(SALU_CYCLE_1)
	s_or_b32 s3, vcc_lo, s3
	s_and_b32 exec_lo, exec_lo, s3
	s_cbranch_execz .LBB119_332
; %bb.327:
	v_cmp_gt_f64_e32 vcc_lo, 0, v[216:217]
	v_xor_b32_e32 v212, 0x80000000, v217
	s_mov_b32 s3, exec_lo
                                        ; implicit-def: $vgpr224_vgpr225
	s_delay_alu instid0(VALU_DEP_1) | instskip(SKIP_3) | instid1(VALU_DEP_1)
	v_cndmask_b32_e32 v221, v217, v212, vcc_lo
	v_cndmask_b32_e32 v220, v216, v216, vcc_lo
	v_cmp_gt_f64_e32 vcc_lo, 0, v[218:219]
	v_xor_b32_e32 v212, 0x80000000, v219
	v_dual_cndmask_b32 v222, v218, v218 :: v_dual_cndmask_b32 v223, v219, v212
	s_delay_alu instid0(VALU_DEP_1)
	v_cmpx_ngt_f64_e32 v[220:221], v[222:223]
	s_xor_b32 s3, exec_lo, s3
                                        ; implicit-def: $vgpr220_vgpr221_vgpr222_vgpr223
	s_cbranch_execz .LBB119_329
; %bb.328:
	v_div_scale_f64 v[220:221], null, v[218:219], v[218:219], v[216:217]
	v_div_scale_f64 v[226:227], vcc_lo, v[216:217], v[218:219], v[216:217]
	s_delay_alu instid0(VALU_DEP_2) | instskip(SKIP_2) | instid1(VALU_DEP_1)
	v_rcp_f64_e32 v[222:223], v[220:221]
	s_waitcnt_depctr 0xfff
	v_fma_f64 v[224:225], -v[220:221], v[222:223], 1.0
	v_fma_f64 v[222:223], v[222:223], v[224:225], v[222:223]
	s_delay_alu instid0(VALU_DEP_1) | instskip(NEXT) | instid1(VALU_DEP_1)
	v_fma_f64 v[224:225], -v[220:221], v[222:223], 1.0
	v_fma_f64 v[222:223], v[222:223], v[224:225], v[222:223]
	s_delay_alu instid0(VALU_DEP_1) | instskip(NEXT) | instid1(VALU_DEP_1)
	v_mul_f64 v[224:225], v[226:227], v[222:223]
	v_fma_f64 v[220:221], -v[220:221], v[224:225], v[226:227]
	s_delay_alu instid0(VALU_DEP_1) | instskip(NEXT) | instid1(VALU_DEP_1)
	v_div_fmas_f64 v[220:221], v[220:221], v[222:223], v[224:225]
	v_div_fixup_f64 v[220:221], v[220:221], v[218:219], v[216:217]
	s_delay_alu instid0(VALU_DEP_1) | instskip(NEXT) | instid1(VALU_DEP_1)
	v_fma_f64 v[216:217], v[216:217], v[220:221], v[218:219]
	v_div_scale_f64 v[218:219], null, v[216:217], v[216:217], 1.0
	s_delay_alu instid0(VALU_DEP_1) | instskip(SKIP_2) | instid1(VALU_DEP_1)
	v_rcp_f64_e32 v[222:223], v[218:219]
	s_waitcnt_depctr 0xfff
	v_fma_f64 v[224:225], -v[218:219], v[222:223], 1.0
	v_fma_f64 v[222:223], v[222:223], v[224:225], v[222:223]
	s_delay_alu instid0(VALU_DEP_1) | instskip(NEXT) | instid1(VALU_DEP_1)
	v_fma_f64 v[224:225], -v[218:219], v[222:223], 1.0
	v_fma_f64 v[222:223], v[222:223], v[224:225], v[222:223]
	v_div_scale_f64 v[224:225], vcc_lo, 1.0, v[216:217], 1.0
	s_delay_alu instid0(VALU_DEP_1) | instskip(NEXT) | instid1(VALU_DEP_1)
	v_mul_f64 v[226:227], v[224:225], v[222:223]
	v_fma_f64 v[218:219], -v[218:219], v[226:227], v[224:225]
	s_delay_alu instid0(VALU_DEP_1) | instskip(NEXT) | instid1(VALU_DEP_1)
	v_div_fmas_f64 v[218:219], v[218:219], v[222:223], v[226:227]
	v_div_fixup_f64 v[222:223], v[218:219], v[216:217], 1.0
                                        ; implicit-def: $vgpr216_vgpr217
	s_delay_alu instid0(VALU_DEP_1)
	v_mul_f64 v[224:225], v[220:221], v[222:223]
	v_xor_b32_e32 v223, 0x80000000, v223
.LBB119_329:
	s_and_not1_saveexec_b32 s3, s3
	s_cbranch_execz .LBB119_331
; %bb.330:
	v_div_scale_f64 v[220:221], null, v[216:217], v[216:217], v[218:219]
	v_div_scale_f64 v[226:227], vcc_lo, v[218:219], v[216:217], v[218:219]
	s_delay_alu instid0(VALU_DEP_2) | instskip(SKIP_2) | instid1(VALU_DEP_1)
	v_rcp_f64_e32 v[222:223], v[220:221]
	s_waitcnt_depctr 0xfff
	v_fma_f64 v[224:225], -v[220:221], v[222:223], 1.0
	v_fma_f64 v[222:223], v[222:223], v[224:225], v[222:223]
	s_delay_alu instid0(VALU_DEP_1) | instskip(NEXT) | instid1(VALU_DEP_1)
	v_fma_f64 v[224:225], -v[220:221], v[222:223], 1.0
	v_fma_f64 v[222:223], v[222:223], v[224:225], v[222:223]
	s_delay_alu instid0(VALU_DEP_1) | instskip(NEXT) | instid1(VALU_DEP_1)
	v_mul_f64 v[224:225], v[226:227], v[222:223]
	v_fma_f64 v[220:221], -v[220:221], v[224:225], v[226:227]
	s_delay_alu instid0(VALU_DEP_1) | instskip(NEXT) | instid1(VALU_DEP_1)
	v_div_fmas_f64 v[220:221], v[220:221], v[222:223], v[224:225]
	v_div_fixup_f64 v[220:221], v[220:221], v[216:217], v[218:219]
	s_delay_alu instid0(VALU_DEP_1) | instskip(NEXT) | instid1(VALU_DEP_1)
	v_fma_f64 v[216:217], v[218:219], v[220:221], v[216:217]
	v_div_scale_f64 v[218:219], null, v[216:217], v[216:217], 1.0
	s_delay_alu instid0(VALU_DEP_1) | instskip(SKIP_2) | instid1(VALU_DEP_1)
	v_rcp_f64_e32 v[222:223], v[218:219]
	s_waitcnt_depctr 0xfff
	v_fma_f64 v[224:225], -v[218:219], v[222:223], 1.0
	v_fma_f64 v[222:223], v[222:223], v[224:225], v[222:223]
	s_delay_alu instid0(VALU_DEP_1) | instskip(NEXT) | instid1(VALU_DEP_1)
	v_fma_f64 v[224:225], -v[218:219], v[222:223], 1.0
	v_fma_f64 v[222:223], v[222:223], v[224:225], v[222:223]
	v_div_scale_f64 v[224:225], vcc_lo, 1.0, v[216:217], 1.0
	s_delay_alu instid0(VALU_DEP_1) | instskip(NEXT) | instid1(VALU_DEP_1)
	v_mul_f64 v[226:227], v[224:225], v[222:223]
	v_fma_f64 v[218:219], -v[218:219], v[226:227], v[224:225]
	s_delay_alu instid0(VALU_DEP_1) | instskip(NEXT) | instid1(VALU_DEP_1)
	v_div_fmas_f64 v[218:219], v[218:219], v[222:223], v[226:227]
	v_div_fixup_f64 v[224:225], v[218:219], v[216:217], 1.0
	s_delay_alu instid0(VALU_DEP_1)
	v_mul_f64 v[222:223], v[220:221], -v[224:225]
.LBB119_331:
	s_or_b32 exec_lo, exec_lo, s3
	ds_store_2addr_b64 v248, v[224:225], v[222:223] offset1:1
.LBB119_332:
	s_or_b32 exec_lo, exec_lo, s4
	s_waitcnt lgkmcnt(0)
	s_barrier
	buffer_gl0_inv
	ds_load_2addr_b64 v[208:211], v248 offset1:1
	s_mov_b32 s3, exec_lo
	s_waitcnt lgkmcnt(0)
	scratch_store_b128 off, v[208:211], off offset:1184 ; 16-byte Folded Spill
	v_cmpx_lt_u32_e32 36, v251
	s_cbranch_execz .LBB119_334
; %bb.333:
	scratch_load_b128 v[208:211], off, off offset:1184 ; 16-byte Folded Reload
	ds_load_2addr_b64 v[218:221], v250 offset0:74 offset1:75
	s_waitcnt vmcnt(0)
	v_mul_f64 v[216:217], v[210:211], v[94:95]
	v_mul_f64 v[94:95], v[208:209], v[94:95]
	s_delay_alu instid0(VALU_DEP_2) | instskip(NEXT) | instid1(VALU_DEP_2)
	v_fma_f64 v[216:217], v[208:209], v[92:93], -v[216:217]
	v_fma_f64 v[94:95], v[210:211], v[92:93], v[94:95]
	s_waitcnt lgkmcnt(0)
	s_delay_alu instid0(VALU_DEP_1) | instskip(NEXT) | instid1(VALU_DEP_1)
	v_mul_f64 v[92:93], v[220:221], v[94:95]
	v_fma_f64 v[92:93], v[218:219], v[216:217], -v[92:93]
	v_mul_f64 v[218:219], v[218:219], v[94:95]
	s_delay_alu instid0(VALU_DEP_2) | instskip(NEXT) | instid1(VALU_DEP_2)
	v_add_f64 v[88:89], v[88:89], -v[92:93]
	v_fma_f64 v[218:219], v[220:221], v[216:217], v[218:219]
	s_delay_alu instid0(VALU_DEP_1) | instskip(SKIP_3) | instid1(VALU_DEP_1)
	v_add_f64 v[90:91], v[90:91], -v[218:219]
	ds_load_2addr_b64 v[218:221], v250 offset0:76 offset1:77
	s_waitcnt lgkmcnt(0)
	v_mul_f64 v[92:93], v[220:221], v[94:95]
	v_fma_f64 v[92:93], v[218:219], v[216:217], -v[92:93]
	v_mul_f64 v[218:219], v[218:219], v[94:95]
	s_delay_alu instid0(VALU_DEP_2) | instskip(NEXT) | instid1(VALU_DEP_2)
	v_add_f64 v[84:85], v[84:85], -v[92:93]
	v_fma_f64 v[218:219], v[220:221], v[216:217], v[218:219]
	s_delay_alu instid0(VALU_DEP_1) | instskip(SKIP_3) | instid1(VALU_DEP_1)
	v_add_f64 v[86:87], v[86:87], -v[218:219]
	ds_load_2addr_b64 v[218:221], v250 offset0:78 offset1:79
	s_waitcnt lgkmcnt(0)
	;; [unrolled: 10-line block ×22, first 2 shown]
	v_mul_f64 v[92:93], v[220:221], v[94:95]
	v_fma_f64 v[92:93], v[218:219], v[216:217], -v[92:93]
	v_mul_f64 v[218:219], v[218:219], v[94:95]
	s_delay_alu instid0(VALU_DEP_2) | instskip(NEXT) | instid1(VALU_DEP_2)
	v_add_f64 v[0:1], v[0:1], -v[92:93]
	v_fma_f64 v[218:219], v[220:221], v[216:217], v[218:219]
	v_dual_mov_b32 v92, v216 :: v_dual_mov_b32 v93, v217
	s_delay_alu instid0(VALU_DEP_2)
	v_add_f64 v[2:3], v[2:3], -v[218:219]
.LBB119_334:
	s_or_b32 exec_lo, exec_lo, s3
	s_delay_alu instid0(SALU_CYCLE_1)
	s_mov_b32 s4, exec_lo
	s_waitcnt_vscnt null, 0x0
	s_barrier
	buffer_gl0_inv
	v_cmpx_eq_u32_e32 37, v251
	s_cbranch_execz .LBB119_341
; %bb.335:
	ds_store_2addr_b64 v248, v[88:89], v[90:91] offset1:1
	ds_store_2addr_b64 v250, v[84:85], v[86:87] offset0:76 offset1:77
	ds_store_2addr_b64 v250, v[80:81], v[82:83] offset0:78 offset1:79
	;; [unrolled: 1-line block ×22, first 2 shown]
	ds_load_2addr_b64 v[216:219], v248 offset1:1
	s_waitcnt lgkmcnt(0)
	v_cmp_neq_f64_e32 vcc_lo, 0, v[216:217]
	v_cmp_neq_f64_e64 s3, 0, v[218:219]
	s_delay_alu instid0(VALU_DEP_1) | instskip(NEXT) | instid1(SALU_CYCLE_1)
	s_or_b32 s3, vcc_lo, s3
	s_and_b32 exec_lo, exec_lo, s3
	s_cbranch_execz .LBB119_341
; %bb.336:
	v_cmp_gt_f64_e32 vcc_lo, 0, v[216:217]
	v_xor_b32_e32 v212, 0x80000000, v217
	s_mov_b32 s3, exec_lo
                                        ; implicit-def: $vgpr224_vgpr225
	s_delay_alu instid0(VALU_DEP_1) | instskip(SKIP_3) | instid1(VALU_DEP_1)
	v_cndmask_b32_e32 v221, v217, v212, vcc_lo
	v_cndmask_b32_e32 v220, v216, v216, vcc_lo
	v_cmp_gt_f64_e32 vcc_lo, 0, v[218:219]
	v_xor_b32_e32 v212, 0x80000000, v219
	v_dual_cndmask_b32 v222, v218, v218 :: v_dual_cndmask_b32 v223, v219, v212
	s_delay_alu instid0(VALU_DEP_1)
	v_cmpx_ngt_f64_e32 v[220:221], v[222:223]
	s_xor_b32 s3, exec_lo, s3
                                        ; implicit-def: $vgpr220_vgpr221_vgpr222_vgpr223
	s_cbranch_execz .LBB119_338
; %bb.337:
	v_div_scale_f64 v[220:221], null, v[218:219], v[218:219], v[216:217]
	v_div_scale_f64 v[226:227], vcc_lo, v[216:217], v[218:219], v[216:217]
	s_delay_alu instid0(VALU_DEP_2) | instskip(SKIP_2) | instid1(VALU_DEP_1)
	v_rcp_f64_e32 v[222:223], v[220:221]
	s_waitcnt_depctr 0xfff
	v_fma_f64 v[224:225], -v[220:221], v[222:223], 1.0
	v_fma_f64 v[222:223], v[222:223], v[224:225], v[222:223]
	s_delay_alu instid0(VALU_DEP_1) | instskip(NEXT) | instid1(VALU_DEP_1)
	v_fma_f64 v[224:225], -v[220:221], v[222:223], 1.0
	v_fma_f64 v[222:223], v[222:223], v[224:225], v[222:223]
	s_delay_alu instid0(VALU_DEP_1) | instskip(NEXT) | instid1(VALU_DEP_1)
	v_mul_f64 v[224:225], v[226:227], v[222:223]
	v_fma_f64 v[220:221], -v[220:221], v[224:225], v[226:227]
	s_delay_alu instid0(VALU_DEP_1) | instskip(NEXT) | instid1(VALU_DEP_1)
	v_div_fmas_f64 v[220:221], v[220:221], v[222:223], v[224:225]
	v_div_fixup_f64 v[220:221], v[220:221], v[218:219], v[216:217]
	s_delay_alu instid0(VALU_DEP_1) | instskip(NEXT) | instid1(VALU_DEP_1)
	v_fma_f64 v[216:217], v[216:217], v[220:221], v[218:219]
	v_div_scale_f64 v[218:219], null, v[216:217], v[216:217], 1.0
	s_delay_alu instid0(VALU_DEP_1) | instskip(SKIP_2) | instid1(VALU_DEP_1)
	v_rcp_f64_e32 v[222:223], v[218:219]
	s_waitcnt_depctr 0xfff
	v_fma_f64 v[224:225], -v[218:219], v[222:223], 1.0
	v_fma_f64 v[222:223], v[222:223], v[224:225], v[222:223]
	s_delay_alu instid0(VALU_DEP_1) | instskip(NEXT) | instid1(VALU_DEP_1)
	v_fma_f64 v[224:225], -v[218:219], v[222:223], 1.0
	v_fma_f64 v[222:223], v[222:223], v[224:225], v[222:223]
	v_div_scale_f64 v[224:225], vcc_lo, 1.0, v[216:217], 1.0
	s_delay_alu instid0(VALU_DEP_1) | instskip(NEXT) | instid1(VALU_DEP_1)
	v_mul_f64 v[226:227], v[224:225], v[222:223]
	v_fma_f64 v[218:219], -v[218:219], v[226:227], v[224:225]
	s_delay_alu instid0(VALU_DEP_1) | instskip(NEXT) | instid1(VALU_DEP_1)
	v_div_fmas_f64 v[218:219], v[218:219], v[222:223], v[226:227]
	v_div_fixup_f64 v[222:223], v[218:219], v[216:217], 1.0
                                        ; implicit-def: $vgpr216_vgpr217
	s_delay_alu instid0(VALU_DEP_1)
	v_mul_f64 v[224:225], v[220:221], v[222:223]
	v_xor_b32_e32 v223, 0x80000000, v223
.LBB119_338:
	s_and_not1_saveexec_b32 s3, s3
	s_cbranch_execz .LBB119_340
; %bb.339:
	v_div_scale_f64 v[220:221], null, v[216:217], v[216:217], v[218:219]
	v_div_scale_f64 v[226:227], vcc_lo, v[218:219], v[216:217], v[218:219]
	s_delay_alu instid0(VALU_DEP_2) | instskip(SKIP_2) | instid1(VALU_DEP_1)
	v_rcp_f64_e32 v[222:223], v[220:221]
	s_waitcnt_depctr 0xfff
	v_fma_f64 v[224:225], -v[220:221], v[222:223], 1.0
	v_fma_f64 v[222:223], v[222:223], v[224:225], v[222:223]
	s_delay_alu instid0(VALU_DEP_1) | instskip(NEXT) | instid1(VALU_DEP_1)
	v_fma_f64 v[224:225], -v[220:221], v[222:223], 1.0
	v_fma_f64 v[222:223], v[222:223], v[224:225], v[222:223]
	s_delay_alu instid0(VALU_DEP_1) | instskip(NEXT) | instid1(VALU_DEP_1)
	v_mul_f64 v[224:225], v[226:227], v[222:223]
	v_fma_f64 v[220:221], -v[220:221], v[224:225], v[226:227]
	s_delay_alu instid0(VALU_DEP_1) | instskip(NEXT) | instid1(VALU_DEP_1)
	v_div_fmas_f64 v[220:221], v[220:221], v[222:223], v[224:225]
	v_div_fixup_f64 v[220:221], v[220:221], v[216:217], v[218:219]
	s_delay_alu instid0(VALU_DEP_1) | instskip(NEXT) | instid1(VALU_DEP_1)
	v_fma_f64 v[216:217], v[218:219], v[220:221], v[216:217]
	v_div_scale_f64 v[218:219], null, v[216:217], v[216:217], 1.0
	s_delay_alu instid0(VALU_DEP_1) | instskip(SKIP_2) | instid1(VALU_DEP_1)
	v_rcp_f64_e32 v[222:223], v[218:219]
	s_waitcnt_depctr 0xfff
	v_fma_f64 v[224:225], -v[218:219], v[222:223], 1.0
	v_fma_f64 v[222:223], v[222:223], v[224:225], v[222:223]
	s_delay_alu instid0(VALU_DEP_1) | instskip(NEXT) | instid1(VALU_DEP_1)
	v_fma_f64 v[224:225], -v[218:219], v[222:223], 1.0
	v_fma_f64 v[222:223], v[222:223], v[224:225], v[222:223]
	v_div_scale_f64 v[224:225], vcc_lo, 1.0, v[216:217], 1.0
	s_delay_alu instid0(VALU_DEP_1) | instskip(NEXT) | instid1(VALU_DEP_1)
	v_mul_f64 v[226:227], v[224:225], v[222:223]
	v_fma_f64 v[218:219], -v[218:219], v[226:227], v[224:225]
	s_delay_alu instid0(VALU_DEP_1) | instskip(NEXT) | instid1(VALU_DEP_1)
	v_div_fmas_f64 v[218:219], v[218:219], v[222:223], v[226:227]
	v_div_fixup_f64 v[224:225], v[218:219], v[216:217], 1.0
	s_delay_alu instid0(VALU_DEP_1)
	v_mul_f64 v[222:223], v[220:221], -v[224:225]
.LBB119_340:
	s_or_b32 exec_lo, exec_lo, s3
	ds_store_2addr_b64 v248, v[224:225], v[222:223] offset1:1
.LBB119_341:
	s_or_b32 exec_lo, exec_lo, s4
	s_waitcnt lgkmcnt(0)
	s_barrier
	buffer_gl0_inv
	ds_load_2addr_b64 v[208:211], v248 offset1:1
	s_mov_b32 s3, exec_lo
	s_waitcnt lgkmcnt(0)
	scratch_store_b128 off, v[208:211], off offset:1200 ; 16-byte Folded Spill
	v_cmpx_lt_u32_e32 37, v251
	s_cbranch_execz .LBB119_343
; %bb.342:
	scratch_load_b128 v[208:211], off, off offset:1200 ; 16-byte Folded Reload
	ds_load_2addr_b64 v[218:221], v250 offset0:76 offset1:77
	s_waitcnt vmcnt(0)
	v_mul_f64 v[216:217], v[210:211], v[90:91]
	v_mul_f64 v[90:91], v[208:209], v[90:91]
	s_delay_alu instid0(VALU_DEP_2) | instskip(NEXT) | instid1(VALU_DEP_2)
	v_fma_f64 v[216:217], v[208:209], v[88:89], -v[216:217]
	v_fma_f64 v[90:91], v[210:211], v[88:89], v[90:91]
	s_waitcnt lgkmcnt(0)
	s_delay_alu instid0(VALU_DEP_1) | instskip(NEXT) | instid1(VALU_DEP_1)
	v_mul_f64 v[88:89], v[220:221], v[90:91]
	v_fma_f64 v[88:89], v[218:219], v[216:217], -v[88:89]
	v_mul_f64 v[218:219], v[218:219], v[90:91]
	s_delay_alu instid0(VALU_DEP_2) | instskip(NEXT) | instid1(VALU_DEP_2)
	v_add_f64 v[84:85], v[84:85], -v[88:89]
	v_fma_f64 v[218:219], v[220:221], v[216:217], v[218:219]
	s_delay_alu instid0(VALU_DEP_1) | instskip(SKIP_3) | instid1(VALU_DEP_1)
	v_add_f64 v[86:87], v[86:87], -v[218:219]
	ds_load_2addr_b64 v[218:221], v250 offset0:78 offset1:79
	s_waitcnt lgkmcnt(0)
	v_mul_f64 v[88:89], v[220:221], v[90:91]
	v_fma_f64 v[88:89], v[218:219], v[216:217], -v[88:89]
	v_mul_f64 v[218:219], v[218:219], v[90:91]
	s_delay_alu instid0(VALU_DEP_2) | instskip(NEXT) | instid1(VALU_DEP_2)
	v_add_f64 v[80:81], v[80:81], -v[88:89]
	v_fma_f64 v[218:219], v[220:221], v[216:217], v[218:219]
	s_delay_alu instid0(VALU_DEP_1) | instskip(SKIP_3) | instid1(VALU_DEP_1)
	v_add_f64 v[82:83], v[82:83], -v[218:219]
	ds_load_2addr_b64 v[218:221], v250 offset0:80 offset1:81
	s_waitcnt lgkmcnt(0)
	;; [unrolled: 10-line block ×21, first 2 shown]
	v_mul_f64 v[88:89], v[220:221], v[90:91]
	v_fma_f64 v[88:89], v[218:219], v[216:217], -v[88:89]
	v_mul_f64 v[218:219], v[218:219], v[90:91]
	s_delay_alu instid0(VALU_DEP_2) | instskip(NEXT) | instid1(VALU_DEP_2)
	v_add_f64 v[0:1], v[0:1], -v[88:89]
	v_fma_f64 v[218:219], v[220:221], v[216:217], v[218:219]
	v_dual_mov_b32 v88, v216 :: v_dual_mov_b32 v89, v217
	s_delay_alu instid0(VALU_DEP_2)
	v_add_f64 v[2:3], v[2:3], -v[218:219]
.LBB119_343:
	s_or_b32 exec_lo, exec_lo, s3
	s_delay_alu instid0(SALU_CYCLE_1)
	s_mov_b32 s4, exec_lo
	s_waitcnt_vscnt null, 0x0
	s_barrier
	buffer_gl0_inv
	v_cmpx_eq_u32_e32 38, v251
	s_cbranch_execz .LBB119_350
; %bb.344:
	ds_store_2addr_b64 v248, v[84:85], v[86:87] offset1:1
	ds_store_2addr_b64 v250, v[80:81], v[82:83] offset0:78 offset1:79
	ds_store_2addr_b64 v250, v[76:77], v[78:79] offset0:80 offset1:81
	;; [unrolled: 1-line block ×21, first 2 shown]
	ds_load_2addr_b64 v[216:219], v248 offset1:1
	s_waitcnt lgkmcnt(0)
	v_cmp_neq_f64_e32 vcc_lo, 0, v[216:217]
	v_cmp_neq_f64_e64 s3, 0, v[218:219]
	s_delay_alu instid0(VALU_DEP_1) | instskip(NEXT) | instid1(SALU_CYCLE_1)
	s_or_b32 s3, vcc_lo, s3
	s_and_b32 exec_lo, exec_lo, s3
	s_cbranch_execz .LBB119_350
; %bb.345:
	v_cmp_gt_f64_e32 vcc_lo, 0, v[216:217]
	v_xor_b32_e32 v212, 0x80000000, v217
	s_mov_b32 s3, exec_lo
                                        ; implicit-def: $vgpr224_vgpr225
	s_delay_alu instid0(VALU_DEP_1) | instskip(SKIP_3) | instid1(VALU_DEP_1)
	v_cndmask_b32_e32 v221, v217, v212, vcc_lo
	v_cndmask_b32_e32 v220, v216, v216, vcc_lo
	v_cmp_gt_f64_e32 vcc_lo, 0, v[218:219]
	v_xor_b32_e32 v212, 0x80000000, v219
	v_dual_cndmask_b32 v222, v218, v218 :: v_dual_cndmask_b32 v223, v219, v212
	s_delay_alu instid0(VALU_DEP_1)
	v_cmpx_ngt_f64_e32 v[220:221], v[222:223]
	s_xor_b32 s3, exec_lo, s3
                                        ; implicit-def: $vgpr220_vgpr221_vgpr222_vgpr223
	s_cbranch_execz .LBB119_347
; %bb.346:
	v_div_scale_f64 v[220:221], null, v[218:219], v[218:219], v[216:217]
	v_div_scale_f64 v[226:227], vcc_lo, v[216:217], v[218:219], v[216:217]
	s_delay_alu instid0(VALU_DEP_2) | instskip(SKIP_2) | instid1(VALU_DEP_1)
	v_rcp_f64_e32 v[222:223], v[220:221]
	s_waitcnt_depctr 0xfff
	v_fma_f64 v[224:225], -v[220:221], v[222:223], 1.0
	v_fma_f64 v[222:223], v[222:223], v[224:225], v[222:223]
	s_delay_alu instid0(VALU_DEP_1) | instskip(NEXT) | instid1(VALU_DEP_1)
	v_fma_f64 v[224:225], -v[220:221], v[222:223], 1.0
	v_fma_f64 v[222:223], v[222:223], v[224:225], v[222:223]
	s_delay_alu instid0(VALU_DEP_1) | instskip(NEXT) | instid1(VALU_DEP_1)
	v_mul_f64 v[224:225], v[226:227], v[222:223]
	v_fma_f64 v[220:221], -v[220:221], v[224:225], v[226:227]
	s_delay_alu instid0(VALU_DEP_1) | instskip(NEXT) | instid1(VALU_DEP_1)
	v_div_fmas_f64 v[220:221], v[220:221], v[222:223], v[224:225]
	v_div_fixup_f64 v[220:221], v[220:221], v[218:219], v[216:217]
	s_delay_alu instid0(VALU_DEP_1) | instskip(NEXT) | instid1(VALU_DEP_1)
	v_fma_f64 v[216:217], v[216:217], v[220:221], v[218:219]
	v_div_scale_f64 v[218:219], null, v[216:217], v[216:217], 1.0
	s_delay_alu instid0(VALU_DEP_1) | instskip(SKIP_2) | instid1(VALU_DEP_1)
	v_rcp_f64_e32 v[222:223], v[218:219]
	s_waitcnt_depctr 0xfff
	v_fma_f64 v[224:225], -v[218:219], v[222:223], 1.0
	v_fma_f64 v[222:223], v[222:223], v[224:225], v[222:223]
	s_delay_alu instid0(VALU_DEP_1) | instskip(NEXT) | instid1(VALU_DEP_1)
	v_fma_f64 v[224:225], -v[218:219], v[222:223], 1.0
	v_fma_f64 v[222:223], v[222:223], v[224:225], v[222:223]
	v_div_scale_f64 v[224:225], vcc_lo, 1.0, v[216:217], 1.0
	s_delay_alu instid0(VALU_DEP_1) | instskip(NEXT) | instid1(VALU_DEP_1)
	v_mul_f64 v[226:227], v[224:225], v[222:223]
	v_fma_f64 v[218:219], -v[218:219], v[226:227], v[224:225]
	s_delay_alu instid0(VALU_DEP_1) | instskip(NEXT) | instid1(VALU_DEP_1)
	v_div_fmas_f64 v[218:219], v[218:219], v[222:223], v[226:227]
	v_div_fixup_f64 v[222:223], v[218:219], v[216:217], 1.0
                                        ; implicit-def: $vgpr216_vgpr217
	s_delay_alu instid0(VALU_DEP_1)
	v_mul_f64 v[224:225], v[220:221], v[222:223]
	v_xor_b32_e32 v223, 0x80000000, v223
.LBB119_347:
	s_and_not1_saveexec_b32 s3, s3
	s_cbranch_execz .LBB119_349
; %bb.348:
	v_div_scale_f64 v[220:221], null, v[216:217], v[216:217], v[218:219]
	v_div_scale_f64 v[226:227], vcc_lo, v[218:219], v[216:217], v[218:219]
	s_delay_alu instid0(VALU_DEP_2) | instskip(SKIP_2) | instid1(VALU_DEP_1)
	v_rcp_f64_e32 v[222:223], v[220:221]
	s_waitcnt_depctr 0xfff
	v_fma_f64 v[224:225], -v[220:221], v[222:223], 1.0
	v_fma_f64 v[222:223], v[222:223], v[224:225], v[222:223]
	s_delay_alu instid0(VALU_DEP_1) | instskip(NEXT) | instid1(VALU_DEP_1)
	v_fma_f64 v[224:225], -v[220:221], v[222:223], 1.0
	v_fma_f64 v[222:223], v[222:223], v[224:225], v[222:223]
	s_delay_alu instid0(VALU_DEP_1) | instskip(NEXT) | instid1(VALU_DEP_1)
	v_mul_f64 v[224:225], v[226:227], v[222:223]
	v_fma_f64 v[220:221], -v[220:221], v[224:225], v[226:227]
	s_delay_alu instid0(VALU_DEP_1) | instskip(NEXT) | instid1(VALU_DEP_1)
	v_div_fmas_f64 v[220:221], v[220:221], v[222:223], v[224:225]
	v_div_fixup_f64 v[220:221], v[220:221], v[216:217], v[218:219]
	s_delay_alu instid0(VALU_DEP_1) | instskip(NEXT) | instid1(VALU_DEP_1)
	v_fma_f64 v[216:217], v[218:219], v[220:221], v[216:217]
	v_div_scale_f64 v[218:219], null, v[216:217], v[216:217], 1.0
	s_delay_alu instid0(VALU_DEP_1) | instskip(SKIP_2) | instid1(VALU_DEP_1)
	v_rcp_f64_e32 v[222:223], v[218:219]
	s_waitcnt_depctr 0xfff
	v_fma_f64 v[224:225], -v[218:219], v[222:223], 1.0
	v_fma_f64 v[222:223], v[222:223], v[224:225], v[222:223]
	s_delay_alu instid0(VALU_DEP_1) | instskip(NEXT) | instid1(VALU_DEP_1)
	v_fma_f64 v[224:225], -v[218:219], v[222:223], 1.0
	v_fma_f64 v[222:223], v[222:223], v[224:225], v[222:223]
	v_div_scale_f64 v[224:225], vcc_lo, 1.0, v[216:217], 1.0
	s_delay_alu instid0(VALU_DEP_1) | instskip(NEXT) | instid1(VALU_DEP_1)
	v_mul_f64 v[226:227], v[224:225], v[222:223]
	v_fma_f64 v[218:219], -v[218:219], v[226:227], v[224:225]
	s_delay_alu instid0(VALU_DEP_1) | instskip(NEXT) | instid1(VALU_DEP_1)
	v_div_fmas_f64 v[218:219], v[218:219], v[222:223], v[226:227]
	v_div_fixup_f64 v[224:225], v[218:219], v[216:217], 1.0
	s_delay_alu instid0(VALU_DEP_1)
	v_mul_f64 v[222:223], v[220:221], -v[224:225]
.LBB119_349:
	s_or_b32 exec_lo, exec_lo, s3
	ds_store_2addr_b64 v248, v[224:225], v[222:223] offset1:1
.LBB119_350:
	s_or_b32 exec_lo, exec_lo, s4
	s_waitcnt lgkmcnt(0)
	s_barrier
	buffer_gl0_inv
	ds_load_2addr_b64 v[208:211], v248 offset1:1
	s_mov_b32 s3, exec_lo
	s_waitcnt lgkmcnt(0)
	scratch_store_b128 off, v[208:211], off offset:1216 ; 16-byte Folded Spill
	v_cmpx_lt_u32_e32 38, v251
	s_cbranch_execz .LBB119_352
; %bb.351:
	scratch_load_b128 v[208:211], off, off offset:1216 ; 16-byte Folded Reload
	ds_load_2addr_b64 v[218:221], v250 offset0:78 offset1:79
	s_waitcnt vmcnt(0)
	v_mul_f64 v[216:217], v[210:211], v[86:87]
	v_mul_f64 v[86:87], v[208:209], v[86:87]
	s_delay_alu instid0(VALU_DEP_2) | instskip(NEXT) | instid1(VALU_DEP_2)
	v_fma_f64 v[216:217], v[208:209], v[84:85], -v[216:217]
	v_fma_f64 v[86:87], v[210:211], v[84:85], v[86:87]
	s_waitcnt lgkmcnt(0)
	s_delay_alu instid0(VALU_DEP_1) | instskip(NEXT) | instid1(VALU_DEP_1)
	v_mul_f64 v[84:85], v[220:221], v[86:87]
	v_fma_f64 v[84:85], v[218:219], v[216:217], -v[84:85]
	v_mul_f64 v[218:219], v[218:219], v[86:87]
	s_delay_alu instid0(VALU_DEP_2) | instskip(NEXT) | instid1(VALU_DEP_2)
	v_add_f64 v[80:81], v[80:81], -v[84:85]
	v_fma_f64 v[218:219], v[220:221], v[216:217], v[218:219]
	s_delay_alu instid0(VALU_DEP_1) | instskip(SKIP_3) | instid1(VALU_DEP_1)
	v_add_f64 v[82:83], v[82:83], -v[218:219]
	ds_load_2addr_b64 v[218:221], v250 offset0:80 offset1:81
	s_waitcnt lgkmcnt(0)
	v_mul_f64 v[84:85], v[220:221], v[86:87]
	v_fma_f64 v[84:85], v[218:219], v[216:217], -v[84:85]
	v_mul_f64 v[218:219], v[218:219], v[86:87]
	s_delay_alu instid0(VALU_DEP_2) | instskip(NEXT) | instid1(VALU_DEP_2)
	v_add_f64 v[76:77], v[76:77], -v[84:85]
	v_fma_f64 v[218:219], v[220:221], v[216:217], v[218:219]
	s_delay_alu instid0(VALU_DEP_1) | instskip(SKIP_3) | instid1(VALU_DEP_1)
	v_add_f64 v[78:79], v[78:79], -v[218:219]
	ds_load_2addr_b64 v[218:221], v250 offset0:82 offset1:83
	s_waitcnt lgkmcnt(0)
	;; [unrolled: 10-line block ×20, first 2 shown]
	v_mul_f64 v[84:85], v[220:221], v[86:87]
	v_fma_f64 v[84:85], v[218:219], v[216:217], -v[84:85]
	v_mul_f64 v[218:219], v[218:219], v[86:87]
	s_delay_alu instid0(VALU_DEP_2) | instskip(NEXT) | instid1(VALU_DEP_2)
	v_add_f64 v[0:1], v[0:1], -v[84:85]
	v_fma_f64 v[218:219], v[220:221], v[216:217], v[218:219]
	v_dual_mov_b32 v84, v216 :: v_dual_mov_b32 v85, v217
	s_delay_alu instid0(VALU_DEP_2)
	v_add_f64 v[2:3], v[2:3], -v[218:219]
.LBB119_352:
	s_or_b32 exec_lo, exec_lo, s3
	s_delay_alu instid0(SALU_CYCLE_1)
	s_mov_b32 s4, exec_lo
	s_waitcnt_vscnt null, 0x0
	s_barrier
	buffer_gl0_inv
	v_cmpx_eq_u32_e32 39, v251
	s_cbranch_execz .LBB119_359
; %bb.353:
	ds_store_2addr_b64 v248, v[80:81], v[82:83] offset1:1
	ds_store_2addr_b64 v250, v[76:77], v[78:79] offset0:80 offset1:81
	ds_store_2addr_b64 v250, v[72:73], v[74:75] offset0:82 offset1:83
	;; [unrolled: 1-line block ×20, first 2 shown]
	ds_load_2addr_b64 v[216:219], v248 offset1:1
	s_waitcnt lgkmcnt(0)
	v_cmp_neq_f64_e32 vcc_lo, 0, v[216:217]
	v_cmp_neq_f64_e64 s3, 0, v[218:219]
	s_delay_alu instid0(VALU_DEP_1) | instskip(NEXT) | instid1(SALU_CYCLE_1)
	s_or_b32 s3, vcc_lo, s3
	s_and_b32 exec_lo, exec_lo, s3
	s_cbranch_execz .LBB119_359
; %bb.354:
	v_cmp_gt_f64_e32 vcc_lo, 0, v[216:217]
	v_xor_b32_e32 v212, 0x80000000, v217
	s_mov_b32 s3, exec_lo
                                        ; implicit-def: $vgpr224_vgpr225
	s_delay_alu instid0(VALU_DEP_1) | instskip(SKIP_3) | instid1(VALU_DEP_1)
	v_cndmask_b32_e32 v221, v217, v212, vcc_lo
	v_cndmask_b32_e32 v220, v216, v216, vcc_lo
	v_cmp_gt_f64_e32 vcc_lo, 0, v[218:219]
	v_xor_b32_e32 v212, 0x80000000, v219
	v_dual_cndmask_b32 v222, v218, v218 :: v_dual_cndmask_b32 v223, v219, v212
	s_delay_alu instid0(VALU_DEP_1)
	v_cmpx_ngt_f64_e32 v[220:221], v[222:223]
	s_xor_b32 s3, exec_lo, s3
                                        ; implicit-def: $vgpr220_vgpr221_vgpr222_vgpr223
	s_cbranch_execz .LBB119_356
; %bb.355:
	v_div_scale_f64 v[220:221], null, v[218:219], v[218:219], v[216:217]
	v_div_scale_f64 v[226:227], vcc_lo, v[216:217], v[218:219], v[216:217]
	s_delay_alu instid0(VALU_DEP_2) | instskip(SKIP_2) | instid1(VALU_DEP_1)
	v_rcp_f64_e32 v[222:223], v[220:221]
	s_waitcnt_depctr 0xfff
	v_fma_f64 v[224:225], -v[220:221], v[222:223], 1.0
	v_fma_f64 v[222:223], v[222:223], v[224:225], v[222:223]
	s_delay_alu instid0(VALU_DEP_1) | instskip(NEXT) | instid1(VALU_DEP_1)
	v_fma_f64 v[224:225], -v[220:221], v[222:223], 1.0
	v_fma_f64 v[222:223], v[222:223], v[224:225], v[222:223]
	s_delay_alu instid0(VALU_DEP_1) | instskip(NEXT) | instid1(VALU_DEP_1)
	v_mul_f64 v[224:225], v[226:227], v[222:223]
	v_fma_f64 v[220:221], -v[220:221], v[224:225], v[226:227]
	s_delay_alu instid0(VALU_DEP_1) | instskip(NEXT) | instid1(VALU_DEP_1)
	v_div_fmas_f64 v[220:221], v[220:221], v[222:223], v[224:225]
	v_div_fixup_f64 v[220:221], v[220:221], v[218:219], v[216:217]
	s_delay_alu instid0(VALU_DEP_1) | instskip(NEXT) | instid1(VALU_DEP_1)
	v_fma_f64 v[216:217], v[216:217], v[220:221], v[218:219]
	v_div_scale_f64 v[218:219], null, v[216:217], v[216:217], 1.0
	s_delay_alu instid0(VALU_DEP_1) | instskip(SKIP_2) | instid1(VALU_DEP_1)
	v_rcp_f64_e32 v[222:223], v[218:219]
	s_waitcnt_depctr 0xfff
	v_fma_f64 v[224:225], -v[218:219], v[222:223], 1.0
	v_fma_f64 v[222:223], v[222:223], v[224:225], v[222:223]
	s_delay_alu instid0(VALU_DEP_1) | instskip(NEXT) | instid1(VALU_DEP_1)
	v_fma_f64 v[224:225], -v[218:219], v[222:223], 1.0
	v_fma_f64 v[222:223], v[222:223], v[224:225], v[222:223]
	v_div_scale_f64 v[224:225], vcc_lo, 1.0, v[216:217], 1.0
	s_delay_alu instid0(VALU_DEP_1) | instskip(NEXT) | instid1(VALU_DEP_1)
	v_mul_f64 v[226:227], v[224:225], v[222:223]
	v_fma_f64 v[218:219], -v[218:219], v[226:227], v[224:225]
	s_delay_alu instid0(VALU_DEP_1) | instskip(NEXT) | instid1(VALU_DEP_1)
	v_div_fmas_f64 v[218:219], v[218:219], v[222:223], v[226:227]
	v_div_fixup_f64 v[222:223], v[218:219], v[216:217], 1.0
                                        ; implicit-def: $vgpr216_vgpr217
	s_delay_alu instid0(VALU_DEP_1)
	v_mul_f64 v[224:225], v[220:221], v[222:223]
	v_xor_b32_e32 v223, 0x80000000, v223
.LBB119_356:
	s_and_not1_saveexec_b32 s3, s3
	s_cbranch_execz .LBB119_358
; %bb.357:
	v_div_scale_f64 v[220:221], null, v[216:217], v[216:217], v[218:219]
	v_div_scale_f64 v[226:227], vcc_lo, v[218:219], v[216:217], v[218:219]
	s_delay_alu instid0(VALU_DEP_2) | instskip(SKIP_2) | instid1(VALU_DEP_1)
	v_rcp_f64_e32 v[222:223], v[220:221]
	s_waitcnt_depctr 0xfff
	v_fma_f64 v[224:225], -v[220:221], v[222:223], 1.0
	v_fma_f64 v[222:223], v[222:223], v[224:225], v[222:223]
	s_delay_alu instid0(VALU_DEP_1) | instskip(NEXT) | instid1(VALU_DEP_1)
	v_fma_f64 v[224:225], -v[220:221], v[222:223], 1.0
	v_fma_f64 v[222:223], v[222:223], v[224:225], v[222:223]
	s_delay_alu instid0(VALU_DEP_1) | instskip(NEXT) | instid1(VALU_DEP_1)
	v_mul_f64 v[224:225], v[226:227], v[222:223]
	v_fma_f64 v[220:221], -v[220:221], v[224:225], v[226:227]
	s_delay_alu instid0(VALU_DEP_1) | instskip(NEXT) | instid1(VALU_DEP_1)
	v_div_fmas_f64 v[220:221], v[220:221], v[222:223], v[224:225]
	v_div_fixup_f64 v[220:221], v[220:221], v[216:217], v[218:219]
	s_delay_alu instid0(VALU_DEP_1) | instskip(NEXT) | instid1(VALU_DEP_1)
	v_fma_f64 v[216:217], v[218:219], v[220:221], v[216:217]
	v_div_scale_f64 v[218:219], null, v[216:217], v[216:217], 1.0
	s_delay_alu instid0(VALU_DEP_1) | instskip(SKIP_2) | instid1(VALU_DEP_1)
	v_rcp_f64_e32 v[222:223], v[218:219]
	s_waitcnt_depctr 0xfff
	v_fma_f64 v[224:225], -v[218:219], v[222:223], 1.0
	v_fma_f64 v[222:223], v[222:223], v[224:225], v[222:223]
	s_delay_alu instid0(VALU_DEP_1) | instskip(NEXT) | instid1(VALU_DEP_1)
	v_fma_f64 v[224:225], -v[218:219], v[222:223], 1.0
	v_fma_f64 v[222:223], v[222:223], v[224:225], v[222:223]
	v_div_scale_f64 v[224:225], vcc_lo, 1.0, v[216:217], 1.0
	s_delay_alu instid0(VALU_DEP_1) | instskip(NEXT) | instid1(VALU_DEP_1)
	v_mul_f64 v[226:227], v[224:225], v[222:223]
	v_fma_f64 v[218:219], -v[218:219], v[226:227], v[224:225]
	s_delay_alu instid0(VALU_DEP_1) | instskip(NEXT) | instid1(VALU_DEP_1)
	v_div_fmas_f64 v[218:219], v[218:219], v[222:223], v[226:227]
	v_div_fixup_f64 v[224:225], v[218:219], v[216:217], 1.0
	s_delay_alu instid0(VALU_DEP_1)
	v_mul_f64 v[222:223], v[220:221], -v[224:225]
.LBB119_358:
	s_or_b32 exec_lo, exec_lo, s3
	ds_store_2addr_b64 v248, v[224:225], v[222:223] offset1:1
.LBB119_359:
	s_or_b32 exec_lo, exec_lo, s4
	s_waitcnt lgkmcnt(0)
	s_barrier
	buffer_gl0_inv
	ds_load_2addr_b64 v[208:211], v248 offset1:1
	s_mov_b32 s3, exec_lo
	s_waitcnt lgkmcnt(0)
	scratch_store_b128 off, v[208:211], off offset:1232 ; 16-byte Folded Spill
	v_cmpx_lt_u32_e32 39, v251
	s_cbranch_execz .LBB119_361
; %bb.360:
	scratch_load_b128 v[208:211], off, off offset:1232 ; 16-byte Folded Reload
	ds_load_2addr_b64 v[218:221], v250 offset0:80 offset1:81
	s_waitcnt vmcnt(0)
	v_mul_f64 v[216:217], v[210:211], v[82:83]
	v_mul_f64 v[82:83], v[208:209], v[82:83]
	s_delay_alu instid0(VALU_DEP_2) | instskip(NEXT) | instid1(VALU_DEP_2)
	v_fma_f64 v[216:217], v[208:209], v[80:81], -v[216:217]
	v_fma_f64 v[82:83], v[210:211], v[80:81], v[82:83]
	s_waitcnt lgkmcnt(0)
	s_delay_alu instid0(VALU_DEP_1) | instskip(NEXT) | instid1(VALU_DEP_1)
	v_mul_f64 v[80:81], v[220:221], v[82:83]
	v_fma_f64 v[80:81], v[218:219], v[216:217], -v[80:81]
	v_mul_f64 v[218:219], v[218:219], v[82:83]
	s_delay_alu instid0(VALU_DEP_2) | instskip(NEXT) | instid1(VALU_DEP_2)
	v_add_f64 v[76:77], v[76:77], -v[80:81]
	v_fma_f64 v[218:219], v[220:221], v[216:217], v[218:219]
	s_delay_alu instid0(VALU_DEP_1) | instskip(SKIP_3) | instid1(VALU_DEP_1)
	v_add_f64 v[78:79], v[78:79], -v[218:219]
	ds_load_2addr_b64 v[218:221], v250 offset0:82 offset1:83
	s_waitcnt lgkmcnt(0)
	v_mul_f64 v[80:81], v[220:221], v[82:83]
	v_fma_f64 v[80:81], v[218:219], v[216:217], -v[80:81]
	v_mul_f64 v[218:219], v[218:219], v[82:83]
	s_delay_alu instid0(VALU_DEP_2) | instskip(NEXT) | instid1(VALU_DEP_2)
	v_add_f64 v[72:73], v[72:73], -v[80:81]
	v_fma_f64 v[218:219], v[220:221], v[216:217], v[218:219]
	s_delay_alu instid0(VALU_DEP_1) | instskip(SKIP_3) | instid1(VALU_DEP_1)
	v_add_f64 v[74:75], v[74:75], -v[218:219]
	ds_load_2addr_b64 v[218:221], v250 offset0:84 offset1:85
	s_waitcnt lgkmcnt(0)
	;; [unrolled: 10-line block ×19, first 2 shown]
	v_mul_f64 v[80:81], v[220:221], v[82:83]
	v_fma_f64 v[80:81], v[218:219], v[216:217], -v[80:81]
	v_mul_f64 v[218:219], v[218:219], v[82:83]
	s_delay_alu instid0(VALU_DEP_2) | instskip(NEXT) | instid1(VALU_DEP_2)
	v_add_f64 v[0:1], v[0:1], -v[80:81]
	v_fma_f64 v[218:219], v[220:221], v[216:217], v[218:219]
	v_dual_mov_b32 v80, v216 :: v_dual_mov_b32 v81, v217
	s_delay_alu instid0(VALU_DEP_2)
	v_add_f64 v[2:3], v[2:3], -v[218:219]
.LBB119_361:
	s_or_b32 exec_lo, exec_lo, s3
	s_delay_alu instid0(SALU_CYCLE_1)
	s_mov_b32 s4, exec_lo
	s_waitcnt_vscnt null, 0x0
	s_barrier
	buffer_gl0_inv
	v_cmpx_eq_u32_e32 40, v251
	s_cbranch_execz .LBB119_368
; %bb.362:
	ds_store_2addr_b64 v248, v[76:77], v[78:79] offset1:1
	ds_store_2addr_b64 v250, v[72:73], v[74:75] offset0:82 offset1:83
	ds_store_2addr_b64 v250, v[68:69], v[70:71] offset0:84 offset1:85
	;; [unrolled: 1-line block ×19, first 2 shown]
	ds_load_2addr_b64 v[216:219], v248 offset1:1
	s_waitcnt lgkmcnt(0)
	v_cmp_neq_f64_e32 vcc_lo, 0, v[216:217]
	v_cmp_neq_f64_e64 s3, 0, v[218:219]
	s_delay_alu instid0(VALU_DEP_1) | instskip(NEXT) | instid1(SALU_CYCLE_1)
	s_or_b32 s3, vcc_lo, s3
	s_and_b32 exec_lo, exec_lo, s3
	s_cbranch_execz .LBB119_368
; %bb.363:
	v_cmp_gt_f64_e32 vcc_lo, 0, v[216:217]
	v_xor_b32_e32 v212, 0x80000000, v217
	s_mov_b32 s3, exec_lo
                                        ; implicit-def: $vgpr224_vgpr225
	s_delay_alu instid0(VALU_DEP_1) | instskip(SKIP_3) | instid1(VALU_DEP_1)
	v_cndmask_b32_e32 v221, v217, v212, vcc_lo
	v_cndmask_b32_e32 v220, v216, v216, vcc_lo
	v_cmp_gt_f64_e32 vcc_lo, 0, v[218:219]
	v_xor_b32_e32 v212, 0x80000000, v219
	v_dual_cndmask_b32 v222, v218, v218 :: v_dual_cndmask_b32 v223, v219, v212
	s_delay_alu instid0(VALU_DEP_1)
	v_cmpx_ngt_f64_e32 v[220:221], v[222:223]
	s_xor_b32 s3, exec_lo, s3
                                        ; implicit-def: $vgpr220_vgpr221_vgpr222_vgpr223
	s_cbranch_execz .LBB119_365
; %bb.364:
	v_div_scale_f64 v[220:221], null, v[218:219], v[218:219], v[216:217]
	v_div_scale_f64 v[226:227], vcc_lo, v[216:217], v[218:219], v[216:217]
	s_delay_alu instid0(VALU_DEP_2) | instskip(SKIP_2) | instid1(VALU_DEP_1)
	v_rcp_f64_e32 v[222:223], v[220:221]
	s_waitcnt_depctr 0xfff
	v_fma_f64 v[224:225], -v[220:221], v[222:223], 1.0
	v_fma_f64 v[222:223], v[222:223], v[224:225], v[222:223]
	s_delay_alu instid0(VALU_DEP_1) | instskip(NEXT) | instid1(VALU_DEP_1)
	v_fma_f64 v[224:225], -v[220:221], v[222:223], 1.0
	v_fma_f64 v[222:223], v[222:223], v[224:225], v[222:223]
	s_delay_alu instid0(VALU_DEP_1) | instskip(NEXT) | instid1(VALU_DEP_1)
	v_mul_f64 v[224:225], v[226:227], v[222:223]
	v_fma_f64 v[220:221], -v[220:221], v[224:225], v[226:227]
	s_delay_alu instid0(VALU_DEP_1) | instskip(NEXT) | instid1(VALU_DEP_1)
	v_div_fmas_f64 v[220:221], v[220:221], v[222:223], v[224:225]
	v_div_fixup_f64 v[220:221], v[220:221], v[218:219], v[216:217]
	s_delay_alu instid0(VALU_DEP_1) | instskip(NEXT) | instid1(VALU_DEP_1)
	v_fma_f64 v[216:217], v[216:217], v[220:221], v[218:219]
	v_div_scale_f64 v[218:219], null, v[216:217], v[216:217], 1.0
	s_delay_alu instid0(VALU_DEP_1) | instskip(SKIP_2) | instid1(VALU_DEP_1)
	v_rcp_f64_e32 v[222:223], v[218:219]
	s_waitcnt_depctr 0xfff
	v_fma_f64 v[224:225], -v[218:219], v[222:223], 1.0
	v_fma_f64 v[222:223], v[222:223], v[224:225], v[222:223]
	s_delay_alu instid0(VALU_DEP_1) | instskip(NEXT) | instid1(VALU_DEP_1)
	v_fma_f64 v[224:225], -v[218:219], v[222:223], 1.0
	v_fma_f64 v[222:223], v[222:223], v[224:225], v[222:223]
	v_div_scale_f64 v[224:225], vcc_lo, 1.0, v[216:217], 1.0
	s_delay_alu instid0(VALU_DEP_1) | instskip(NEXT) | instid1(VALU_DEP_1)
	v_mul_f64 v[226:227], v[224:225], v[222:223]
	v_fma_f64 v[218:219], -v[218:219], v[226:227], v[224:225]
	s_delay_alu instid0(VALU_DEP_1) | instskip(NEXT) | instid1(VALU_DEP_1)
	v_div_fmas_f64 v[218:219], v[218:219], v[222:223], v[226:227]
	v_div_fixup_f64 v[222:223], v[218:219], v[216:217], 1.0
                                        ; implicit-def: $vgpr216_vgpr217
	s_delay_alu instid0(VALU_DEP_1)
	v_mul_f64 v[224:225], v[220:221], v[222:223]
	v_xor_b32_e32 v223, 0x80000000, v223
.LBB119_365:
	s_and_not1_saveexec_b32 s3, s3
	s_cbranch_execz .LBB119_367
; %bb.366:
	v_div_scale_f64 v[220:221], null, v[216:217], v[216:217], v[218:219]
	v_div_scale_f64 v[226:227], vcc_lo, v[218:219], v[216:217], v[218:219]
	s_delay_alu instid0(VALU_DEP_2) | instskip(SKIP_2) | instid1(VALU_DEP_1)
	v_rcp_f64_e32 v[222:223], v[220:221]
	s_waitcnt_depctr 0xfff
	v_fma_f64 v[224:225], -v[220:221], v[222:223], 1.0
	v_fma_f64 v[222:223], v[222:223], v[224:225], v[222:223]
	s_delay_alu instid0(VALU_DEP_1) | instskip(NEXT) | instid1(VALU_DEP_1)
	v_fma_f64 v[224:225], -v[220:221], v[222:223], 1.0
	v_fma_f64 v[222:223], v[222:223], v[224:225], v[222:223]
	s_delay_alu instid0(VALU_DEP_1) | instskip(NEXT) | instid1(VALU_DEP_1)
	v_mul_f64 v[224:225], v[226:227], v[222:223]
	v_fma_f64 v[220:221], -v[220:221], v[224:225], v[226:227]
	s_delay_alu instid0(VALU_DEP_1) | instskip(NEXT) | instid1(VALU_DEP_1)
	v_div_fmas_f64 v[220:221], v[220:221], v[222:223], v[224:225]
	v_div_fixup_f64 v[220:221], v[220:221], v[216:217], v[218:219]
	s_delay_alu instid0(VALU_DEP_1) | instskip(NEXT) | instid1(VALU_DEP_1)
	v_fma_f64 v[216:217], v[218:219], v[220:221], v[216:217]
	v_div_scale_f64 v[218:219], null, v[216:217], v[216:217], 1.0
	s_delay_alu instid0(VALU_DEP_1) | instskip(SKIP_2) | instid1(VALU_DEP_1)
	v_rcp_f64_e32 v[222:223], v[218:219]
	s_waitcnt_depctr 0xfff
	v_fma_f64 v[224:225], -v[218:219], v[222:223], 1.0
	v_fma_f64 v[222:223], v[222:223], v[224:225], v[222:223]
	s_delay_alu instid0(VALU_DEP_1) | instskip(NEXT) | instid1(VALU_DEP_1)
	v_fma_f64 v[224:225], -v[218:219], v[222:223], 1.0
	v_fma_f64 v[222:223], v[222:223], v[224:225], v[222:223]
	v_div_scale_f64 v[224:225], vcc_lo, 1.0, v[216:217], 1.0
	s_delay_alu instid0(VALU_DEP_1) | instskip(NEXT) | instid1(VALU_DEP_1)
	v_mul_f64 v[226:227], v[224:225], v[222:223]
	v_fma_f64 v[218:219], -v[218:219], v[226:227], v[224:225]
	s_delay_alu instid0(VALU_DEP_1) | instskip(NEXT) | instid1(VALU_DEP_1)
	v_div_fmas_f64 v[218:219], v[218:219], v[222:223], v[226:227]
	v_div_fixup_f64 v[224:225], v[218:219], v[216:217], 1.0
	s_delay_alu instid0(VALU_DEP_1)
	v_mul_f64 v[222:223], v[220:221], -v[224:225]
.LBB119_367:
	s_or_b32 exec_lo, exec_lo, s3
	ds_store_2addr_b64 v248, v[224:225], v[222:223] offset1:1
.LBB119_368:
	s_or_b32 exec_lo, exec_lo, s4
	s_waitcnt lgkmcnt(0)
	s_barrier
	buffer_gl0_inv
	ds_load_2addr_b64 v[208:211], v248 offset1:1
	s_mov_b32 s3, exec_lo
	s_waitcnt lgkmcnt(0)
	scratch_store_b128 off, v[208:211], off offset:1248 ; 16-byte Folded Spill
	v_cmpx_lt_u32_e32 40, v251
	s_cbranch_execz .LBB119_370
; %bb.369:
	scratch_load_b128 v[208:211], off, off offset:1248 ; 16-byte Folded Reload
	ds_load_2addr_b64 v[218:221], v250 offset0:82 offset1:83
	s_waitcnt vmcnt(0)
	v_mul_f64 v[216:217], v[210:211], v[78:79]
	v_mul_f64 v[78:79], v[208:209], v[78:79]
	s_delay_alu instid0(VALU_DEP_2) | instskip(NEXT) | instid1(VALU_DEP_2)
	v_fma_f64 v[216:217], v[208:209], v[76:77], -v[216:217]
	v_fma_f64 v[78:79], v[210:211], v[76:77], v[78:79]
	s_waitcnt lgkmcnt(0)
	s_delay_alu instid0(VALU_DEP_1) | instskip(NEXT) | instid1(VALU_DEP_1)
	v_mul_f64 v[76:77], v[220:221], v[78:79]
	v_fma_f64 v[76:77], v[218:219], v[216:217], -v[76:77]
	v_mul_f64 v[218:219], v[218:219], v[78:79]
	s_delay_alu instid0(VALU_DEP_2) | instskip(NEXT) | instid1(VALU_DEP_2)
	v_add_f64 v[72:73], v[72:73], -v[76:77]
	v_fma_f64 v[218:219], v[220:221], v[216:217], v[218:219]
	s_delay_alu instid0(VALU_DEP_1) | instskip(SKIP_3) | instid1(VALU_DEP_1)
	v_add_f64 v[74:75], v[74:75], -v[218:219]
	ds_load_2addr_b64 v[218:221], v250 offset0:84 offset1:85
	s_waitcnt lgkmcnt(0)
	v_mul_f64 v[76:77], v[220:221], v[78:79]
	v_fma_f64 v[76:77], v[218:219], v[216:217], -v[76:77]
	v_mul_f64 v[218:219], v[218:219], v[78:79]
	s_delay_alu instid0(VALU_DEP_2) | instskip(NEXT) | instid1(VALU_DEP_2)
	v_add_f64 v[68:69], v[68:69], -v[76:77]
	v_fma_f64 v[218:219], v[220:221], v[216:217], v[218:219]
	s_delay_alu instid0(VALU_DEP_1) | instskip(SKIP_3) | instid1(VALU_DEP_1)
	v_add_f64 v[70:71], v[70:71], -v[218:219]
	ds_load_2addr_b64 v[218:221], v250 offset0:86 offset1:87
	s_waitcnt lgkmcnt(0)
	v_mul_f64 v[76:77], v[220:221], v[78:79]
	v_fma_f64 v[76:77], v[218:219], v[216:217], -v[76:77]
	v_mul_f64 v[218:219], v[218:219], v[78:79]
	s_delay_alu instid0(VALU_DEP_2) | instskip(NEXT) | instid1(VALU_DEP_2)
	v_add_f64 v[64:65], v[64:65], -v[76:77]
	v_fma_f64 v[218:219], v[220:221], v[216:217], v[218:219]
	s_delay_alu instid0(VALU_DEP_1) | instskip(SKIP_3) | instid1(VALU_DEP_1)
	v_add_f64 v[66:67], v[66:67], -v[218:219]
	ds_load_2addr_b64 v[218:221], v250 offset0:88 offset1:89
	s_waitcnt lgkmcnt(0)
	v_mul_f64 v[76:77], v[220:221], v[78:79]
	v_fma_f64 v[76:77], v[218:219], v[216:217], -v[76:77]
	v_mul_f64 v[218:219], v[218:219], v[78:79]
	s_delay_alu instid0(VALU_DEP_2) | instskip(NEXT) | instid1(VALU_DEP_2)
	v_add_f64 v[60:61], v[60:61], -v[76:77]
	v_fma_f64 v[218:219], v[220:221], v[216:217], v[218:219]
	s_delay_alu instid0(VALU_DEP_1) | instskip(SKIP_3) | instid1(VALU_DEP_1)
	v_add_f64 v[62:63], v[62:63], -v[218:219]
	ds_load_2addr_b64 v[218:221], v250 offset0:90 offset1:91
	s_waitcnt lgkmcnt(0)
	v_mul_f64 v[76:77], v[220:221], v[78:79]
	v_fma_f64 v[76:77], v[218:219], v[216:217], -v[76:77]
	v_mul_f64 v[218:219], v[218:219], v[78:79]
	s_delay_alu instid0(VALU_DEP_2) | instskip(NEXT) | instid1(VALU_DEP_2)
	v_add_f64 v[56:57], v[56:57], -v[76:77]
	v_fma_f64 v[218:219], v[220:221], v[216:217], v[218:219]
	s_delay_alu instid0(VALU_DEP_1) | instskip(SKIP_3) | instid1(VALU_DEP_1)
	v_add_f64 v[58:59], v[58:59], -v[218:219]
	ds_load_2addr_b64 v[218:221], v250 offset0:92 offset1:93
	s_waitcnt lgkmcnt(0)
	v_mul_f64 v[76:77], v[220:221], v[78:79]
	v_fma_f64 v[76:77], v[218:219], v[216:217], -v[76:77]
	v_mul_f64 v[218:219], v[218:219], v[78:79]
	s_delay_alu instid0(VALU_DEP_2) | instskip(NEXT) | instid1(VALU_DEP_2)
	v_add_f64 v[52:53], v[52:53], -v[76:77]
	v_fma_f64 v[218:219], v[220:221], v[216:217], v[218:219]
	s_delay_alu instid0(VALU_DEP_1) | instskip(SKIP_3) | instid1(VALU_DEP_1)
	v_add_f64 v[54:55], v[54:55], -v[218:219]
	ds_load_2addr_b64 v[218:221], v250 offset0:94 offset1:95
	s_waitcnt lgkmcnt(0)
	v_mul_f64 v[76:77], v[220:221], v[78:79]
	v_fma_f64 v[76:77], v[218:219], v[216:217], -v[76:77]
	v_mul_f64 v[218:219], v[218:219], v[78:79]
	s_delay_alu instid0(VALU_DEP_2) | instskip(NEXT) | instid1(VALU_DEP_2)
	v_add_f64 v[48:49], v[48:49], -v[76:77]
	v_fma_f64 v[218:219], v[220:221], v[216:217], v[218:219]
	s_delay_alu instid0(VALU_DEP_1) | instskip(SKIP_3) | instid1(VALU_DEP_1)
	v_add_f64 v[50:51], v[50:51], -v[218:219]
	ds_load_2addr_b64 v[218:221], v250 offset0:96 offset1:97
	s_waitcnt lgkmcnt(0)
	v_mul_f64 v[76:77], v[220:221], v[78:79]
	v_fma_f64 v[76:77], v[218:219], v[216:217], -v[76:77]
	v_mul_f64 v[218:219], v[218:219], v[78:79]
	s_delay_alu instid0(VALU_DEP_2) | instskip(NEXT) | instid1(VALU_DEP_2)
	v_add_f64 v[44:45], v[44:45], -v[76:77]
	v_fma_f64 v[218:219], v[220:221], v[216:217], v[218:219]
	s_delay_alu instid0(VALU_DEP_1) | instskip(SKIP_3) | instid1(VALU_DEP_1)
	v_add_f64 v[46:47], v[46:47], -v[218:219]
	ds_load_2addr_b64 v[218:221], v250 offset0:98 offset1:99
	s_waitcnt lgkmcnt(0)
	v_mul_f64 v[76:77], v[220:221], v[78:79]
	v_fma_f64 v[76:77], v[218:219], v[216:217], -v[76:77]
	v_mul_f64 v[218:219], v[218:219], v[78:79]
	s_delay_alu instid0(VALU_DEP_2) | instskip(NEXT) | instid1(VALU_DEP_2)
	v_add_f64 v[40:41], v[40:41], -v[76:77]
	v_fma_f64 v[218:219], v[220:221], v[216:217], v[218:219]
	s_delay_alu instid0(VALU_DEP_1) | instskip(SKIP_3) | instid1(VALU_DEP_1)
	v_add_f64 v[42:43], v[42:43], -v[218:219]
	ds_load_2addr_b64 v[218:221], v250 offset0:100 offset1:101
	s_waitcnt lgkmcnt(0)
	v_mul_f64 v[76:77], v[220:221], v[78:79]
	v_fma_f64 v[76:77], v[218:219], v[216:217], -v[76:77]
	v_mul_f64 v[218:219], v[218:219], v[78:79]
	s_delay_alu instid0(VALU_DEP_2) | instskip(NEXT) | instid1(VALU_DEP_2)
	v_add_f64 v[36:37], v[36:37], -v[76:77]
	v_fma_f64 v[218:219], v[220:221], v[216:217], v[218:219]
	s_delay_alu instid0(VALU_DEP_1) | instskip(SKIP_3) | instid1(VALU_DEP_1)
	v_add_f64 v[38:39], v[38:39], -v[218:219]
	ds_load_2addr_b64 v[218:221], v250 offset0:102 offset1:103
	s_waitcnt lgkmcnt(0)
	v_mul_f64 v[76:77], v[220:221], v[78:79]
	v_fma_f64 v[76:77], v[218:219], v[216:217], -v[76:77]
	v_mul_f64 v[218:219], v[218:219], v[78:79]
	s_delay_alu instid0(VALU_DEP_2) | instskip(NEXT) | instid1(VALU_DEP_2)
	v_add_f64 v[32:33], v[32:33], -v[76:77]
	v_fma_f64 v[218:219], v[220:221], v[216:217], v[218:219]
	s_delay_alu instid0(VALU_DEP_1) | instskip(SKIP_3) | instid1(VALU_DEP_1)
	v_add_f64 v[34:35], v[34:35], -v[218:219]
	ds_load_2addr_b64 v[218:221], v250 offset0:104 offset1:105
	s_waitcnt lgkmcnt(0)
	v_mul_f64 v[76:77], v[220:221], v[78:79]
	v_fma_f64 v[76:77], v[218:219], v[216:217], -v[76:77]
	v_mul_f64 v[218:219], v[218:219], v[78:79]
	s_delay_alu instid0(VALU_DEP_2) | instskip(NEXT) | instid1(VALU_DEP_2)
	v_add_f64 v[28:29], v[28:29], -v[76:77]
	v_fma_f64 v[218:219], v[220:221], v[216:217], v[218:219]
	s_delay_alu instid0(VALU_DEP_1) | instskip(SKIP_3) | instid1(VALU_DEP_1)
	v_add_f64 v[30:31], v[30:31], -v[218:219]
	ds_load_2addr_b64 v[218:221], v250 offset0:106 offset1:107
	s_waitcnt lgkmcnt(0)
	v_mul_f64 v[76:77], v[220:221], v[78:79]
	v_fma_f64 v[76:77], v[218:219], v[216:217], -v[76:77]
	v_mul_f64 v[218:219], v[218:219], v[78:79]
	s_delay_alu instid0(VALU_DEP_2) | instskip(NEXT) | instid1(VALU_DEP_2)
	v_add_f64 v[24:25], v[24:25], -v[76:77]
	v_fma_f64 v[218:219], v[220:221], v[216:217], v[218:219]
	s_delay_alu instid0(VALU_DEP_1) | instskip(SKIP_3) | instid1(VALU_DEP_1)
	v_add_f64 v[26:27], v[26:27], -v[218:219]
	ds_load_2addr_b64 v[218:221], v250 offset0:108 offset1:109
	s_waitcnt lgkmcnt(0)
	v_mul_f64 v[76:77], v[220:221], v[78:79]
	v_fma_f64 v[76:77], v[218:219], v[216:217], -v[76:77]
	v_mul_f64 v[218:219], v[218:219], v[78:79]
	s_delay_alu instid0(VALU_DEP_2) | instskip(NEXT) | instid1(VALU_DEP_2)
	v_add_f64 v[20:21], v[20:21], -v[76:77]
	v_fma_f64 v[218:219], v[220:221], v[216:217], v[218:219]
	s_delay_alu instid0(VALU_DEP_1) | instskip(SKIP_3) | instid1(VALU_DEP_1)
	v_add_f64 v[22:23], v[22:23], -v[218:219]
	ds_load_2addr_b64 v[218:221], v250 offset0:110 offset1:111
	s_waitcnt lgkmcnt(0)
	v_mul_f64 v[76:77], v[220:221], v[78:79]
	v_fma_f64 v[76:77], v[218:219], v[216:217], -v[76:77]
	v_mul_f64 v[218:219], v[218:219], v[78:79]
	s_delay_alu instid0(VALU_DEP_2) | instskip(NEXT) | instid1(VALU_DEP_2)
	v_add_f64 v[16:17], v[16:17], -v[76:77]
	v_fma_f64 v[218:219], v[220:221], v[216:217], v[218:219]
	s_delay_alu instid0(VALU_DEP_1) | instskip(SKIP_3) | instid1(VALU_DEP_1)
	v_add_f64 v[18:19], v[18:19], -v[218:219]
	ds_load_2addr_b64 v[218:221], v250 offset0:112 offset1:113
	s_waitcnt lgkmcnt(0)
	v_mul_f64 v[76:77], v[220:221], v[78:79]
	v_fma_f64 v[76:77], v[218:219], v[216:217], -v[76:77]
	v_mul_f64 v[218:219], v[218:219], v[78:79]
	s_delay_alu instid0(VALU_DEP_2) | instskip(NEXT) | instid1(VALU_DEP_2)
	v_add_f64 v[12:13], v[12:13], -v[76:77]
	v_fma_f64 v[218:219], v[220:221], v[216:217], v[218:219]
	s_delay_alu instid0(VALU_DEP_1) | instskip(SKIP_3) | instid1(VALU_DEP_1)
	v_add_f64 v[14:15], v[14:15], -v[218:219]
	ds_load_2addr_b64 v[218:221], v250 offset0:114 offset1:115
	s_waitcnt lgkmcnt(0)
	v_mul_f64 v[76:77], v[220:221], v[78:79]
	v_fma_f64 v[76:77], v[218:219], v[216:217], -v[76:77]
	v_mul_f64 v[218:219], v[218:219], v[78:79]
	s_delay_alu instid0(VALU_DEP_2) | instskip(NEXT) | instid1(VALU_DEP_2)
	v_add_f64 v[8:9], v[8:9], -v[76:77]
	v_fma_f64 v[218:219], v[220:221], v[216:217], v[218:219]
	s_delay_alu instid0(VALU_DEP_1) | instskip(SKIP_3) | instid1(VALU_DEP_1)
	v_add_f64 v[10:11], v[10:11], -v[218:219]
	ds_load_2addr_b64 v[218:221], v250 offset0:116 offset1:117
	s_waitcnt lgkmcnt(0)
	v_mul_f64 v[76:77], v[220:221], v[78:79]
	v_fma_f64 v[76:77], v[218:219], v[216:217], -v[76:77]
	v_mul_f64 v[218:219], v[218:219], v[78:79]
	s_delay_alu instid0(VALU_DEP_2) | instskip(NEXT) | instid1(VALU_DEP_2)
	v_add_f64 v[4:5], v[4:5], -v[76:77]
	v_fma_f64 v[218:219], v[220:221], v[216:217], v[218:219]
	s_delay_alu instid0(VALU_DEP_1) | instskip(SKIP_3) | instid1(VALU_DEP_1)
	v_add_f64 v[6:7], v[6:7], -v[218:219]
	ds_load_2addr_b64 v[218:221], v250 offset0:118 offset1:119
	s_waitcnt lgkmcnt(0)
	v_mul_f64 v[76:77], v[220:221], v[78:79]
	v_fma_f64 v[76:77], v[218:219], v[216:217], -v[76:77]
	v_mul_f64 v[218:219], v[218:219], v[78:79]
	s_delay_alu instid0(VALU_DEP_2) | instskip(NEXT) | instid1(VALU_DEP_2)
	v_add_f64 v[0:1], v[0:1], -v[76:77]
	v_fma_f64 v[218:219], v[220:221], v[216:217], v[218:219]
	v_dual_mov_b32 v76, v216 :: v_dual_mov_b32 v77, v217
	s_delay_alu instid0(VALU_DEP_2)
	v_add_f64 v[2:3], v[2:3], -v[218:219]
.LBB119_370:
	s_or_b32 exec_lo, exec_lo, s3
	s_delay_alu instid0(SALU_CYCLE_1)
	s_mov_b32 s4, exec_lo
	s_waitcnt_vscnt null, 0x0
	s_barrier
	buffer_gl0_inv
	v_cmpx_eq_u32_e32 41, v251
	s_cbranch_execz .LBB119_377
; %bb.371:
	ds_store_2addr_b64 v248, v[72:73], v[74:75] offset1:1
	ds_store_2addr_b64 v250, v[68:69], v[70:71] offset0:84 offset1:85
	ds_store_2addr_b64 v250, v[64:65], v[66:67] offset0:86 offset1:87
	;; [unrolled: 1-line block ×18, first 2 shown]
	ds_load_2addr_b64 v[216:219], v248 offset1:1
	s_waitcnt lgkmcnt(0)
	v_cmp_neq_f64_e32 vcc_lo, 0, v[216:217]
	v_cmp_neq_f64_e64 s3, 0, v[218:219]
	s_delay_alu instid0(VALU_DEP_1) | instskip(NEXT) | instid1(SALU_CYCLE_1)
	s_or_b32 s3, vcc_lo, s3
	s_and_b32 exec_lo, exec_lo, s3
	s_cbranch_execz .LBB119_377
; %bb.372:
	v_cmp_gt_f64_e32 vcc_lo, 0, v[216:217]
	v_xor_b32_e32 v212, 0x80000000, v217
	s_mov_b32 s3, exec_lo
                                        ; implicit-def: $vgpr224_vgpr225
	s_delay_alu instid0(VALU_DEP_1) | instskip(SKIP_3) | instid1(VALU_DEP_1)
	v_cndmask_b32_e32 v221, v217, v212, vcc_lo
	v_cndmask_b32_e32 v220, v216, v216, vcc_lo
	v_cmp_gt_f64_e32 vcc_lo, 0, v[218:219]
	v_xor_b32_e32 v212, 0x80000000, v219
	v_dual_cndmask_b32 v222, v218, v218 :: v_dual_cndmask_b32 v223, v219, v212
	s_delay_alu instid0(VALU_DEP_1)
	v_cmpx_ngt_f64_e32 v[220:221], v[222:223]
	s_xor_b32 s3, exec_lo, s3
                                        ; implicit-def: $vgpr220_vgpr221_vgpr222_vgpr223
	s_cbranch_execz .LBB119_374
; %bb.373:
	v_div_scale_f64 v[220:221], null, v[218:219], v[218:219], v[216:217]
	v_div_scale_f64 v[226:227], vcc_lo, v[216:217], v[218:219], v[216:217]
	s_delay_alu instid0(VALU_DEP_2) | instskip(SKIP_2) | instid1(VALU_DEP_1)
	v_rcp_f64_e32 v[222:223], v[220:221]
	s_waitcnt_depctr 0xfff
	v_fma_f64 v[224:225], -v[220:221], v[222:223], 1.0
	v_fma_f64 v[222:223], v[222:223], v[224:225], v[222:223]
	s_delay_alu instid0(VALU_DEP_1) | instskip(NEXT) | instid1(VALU_DEP_1)
	v_fma_f64 v[224:225], -v[220:221], v[222:223], 1.0
	v_fma_f64 v[222:223], v[222:223], v[224:225], v[222:223]
	s_delay_alu instid0(VALU_DEP_1) | instskip(NEXT) | instid1(VALU_DEP_1)
	v_mul_f64 v[224:225], v[226:227], v[222:223]
	v_fma_f64 v[220:221], -v[220:221], v[224:225], v[226:227]
	s_delay_alu instid0(VALU_DEP_1) | instskip(NEXT) | instid1(VALU_DEP_1)
	v_div_fmas_f64 v[220:221], v[220:221], v[222:223], v[224:225]
	v_div_fixup_f64 v[220:221], v[220:221], v[218:219], v[216:217]
	s_delay_alu instid0(VALU_DEP_1) | instskip(NEXT) | instid1(VALU_DEP_1)
	v_fma_f64 v[216:217], v[216:217], v[220:221], v[218:219]
	v_div_scale_f64 v[218:219], null, v[216:217], v[216:217], 1.0
	s_delay_alu instid0(VALU_DEP_1) | instskip(SKIP_2) | instid1(VALU_DEP_1)
	v_rcp_f64_e32 v[222:223], v[218:219]
	s_waitcnt_depctr 0xfff
	v_fma_f64 v[224:225], -v[218:219], v[222:223], 1.0
	v_fma_f64 v[222:223], v[222:223], v[224:225], v[222:223]
	s_delay_alu instid0(VALU_DEP_1) | instskip(NEXT) | instid1(VALU_DEP_1)
	v_fma_f64 v[224:225], -v[218:219], v[222:223], 1.0
	v_fma_f64 v[222:223], v[222:223], v[224:225], v[222:223]
	v_div_scale_f64 v[224:225], vcc_lo, 1.0, v[216:217], 1.0
	s_delay_alu instid0(VALU_DEP_1) | instskip(NEXT) | instid1(VALU_DEP_1)
	v_mul_f64 v[226:227], v[224:225], v[222:223]
	v_fma_f64 v[218:219], -v[218:219], v[226:227], v[224:225]
	s_delay_alu instid0(VALU_DEP_1) | instskip(NEXT) | instid1(VALU_DEP_1)
	v_div_fmas_f64 v[218:219], v[218:219], v[222:223], v[226:227]
	v_div_fixup_f64 v[222:223], v[218:219], v[216:217], 1.0
                                        ; implicit-def: $vgpr216_vgpr217
	s_delay_alu instid0(VALU_DEP_1)
	v_mul_f64 v[224:225], v[220:221], v[222:223]
	v_xor_b32_e32 v223, 0x80000000, v223
.LBB119_374:
	s_and_not1_saveexec_b32 s3, s3
	s_cbranch_execz .LBB119_376
; %bb.375:
	v_div_scale_f64 v[220:221], null, v[216:217], v[216:217], v[218:219]
	v_div_scale_f64 v[226:227], vcc_lo, v[218:219], v[216:217], v[218:219]
	s_delay_alu instid0(VALU_DEP_2) | instskip(SKIP_2) | instid1(VALU_DEP_1)
	v_rcp_f64_e32 v[222:223], v[220:221]
	s_waitcnt_depctr 0xfff
	v_fma_f64 v[224:225], -v[220:221], v[222:223], 1.0
	v_fma_f64 v[222:223], v[222:223], v[224:225], v[222:223]
	s_delay_alu instid0(VALU_DEP_1) | instskip(NEXT) | instid1(VALU_DEP_1)
	v_fma_f64 v[224:225], -v[220:221], v[222:223], 1.0
	v_fma_f64 v[222:223], v[222:223], v[224:225], v[222:223]
	s_delay_alu instid0(VALU_DEP_1) | instskip(NEXT) | instid1(VALU_DEP_1)
	v_mul_f64 v[224:225], v[226:227], v[222:223]
	v_fma_f64 v[220:221], -v[220:221], v[224:225], v[226:227]
	s_delay_alu instid0(VALU_DEP_1) | instskip(NEXT) | instid1(VALU_DEP_1)
	v_div_fmas_f64 v[220:221], v[220:221], v[222:223], v[224:225]
	v_div_fixup_f64 v[220:221], v[220:221], v[216:217], v[218:219]
	s_delay_alu instid0(VALU_DEP_1) | instskip(NEXT) | instid1(VALU_DEP_1)
	v_fma_f64 v[216:217], v[218:219], v[220:221], v[216:217]
	v_div_scale_f64 v[218:219], null, v[216:217], v[216:217], 1.0
	s_delay_alu instid0(VALU_DEP_1) | instskip(SKIP_2) | instid1(VALU_DEP_1)
	v_rcp_f64_e32 v[222:223], v[218:219]
	s_waitcnt_depctr 0xfff
	v_fma_f64 v[224:225], -v[218:219], v[222:223], 1.0
	v_fma_f64 v[222:223], v[222:223], v[224:225], v[222:223]
	s_delay_alu instid0(VALU_DEP_1) | instskip(NEXT) | instid1(VALU_DEP_1)
	v_fma_f64 v[224:225], -v[218:219], v[222:223], 1.0
	v_fma_f64 v[222:223], v[222:223], v[224:225], v[222:223]
	v_div_scale_f64 v[224:225], vcc_lo, 1.0, v[216:217], 1.0
	s_delay_alu instid0(VALU_DEP_1) | instskip(NEXT) | instid1(VALU_DEP_1)
	v_mul_f64 v[226:227], v[224:225], v[222:223]
	v_fma_f64 v[218:219], -v[218:219], v[226:227], v[224:225]
	s_delay_alu instid0(VALU_DEP_1) | instskip(NEXT) | instid1(VALU_DEP_1)
	v_div_fmas_f64 v[218:219], v[218:219], v[222:223], v[226:227]
	v_div_fixup_f64 v[224:225], v[218:219], v[216:217], 1.0
	s_delay_alu instid0(VALU_DEP_1)
	v_mul_f64 v[222:223], v[220:221], -v[224:225]
.LBB119_376:
	s_or_b32 exec_lo, exec_lo, s3
	ds_store_2addr_b64 v248, v[224:225], v[222:223] offset1:1
.LBB119_377:
	s_or_b32 exec_lo, exec_lo, s4
	s_waitcnt lgkmcnt(0)
	s_barrier
	buffer_gl0_inv
	ds_load_2addr_b64 v[208:211], v248 offset1:1
	s_mov_b32 s3, exec_lo
	s_waitcnt lgkmcnt(0)
	scratch_store_b128 off, v[208:211], off offset:1264 ; 16-byte Folded Spill
	v_cmpx_lt_u32_e32 41, v251
	s_cbranch_execz .LBB119_379
; %bb.378:
	scratch_load_b128 v[208:211], off, off offset:1264 ; 16-byte Folded Reload
	ds_load_2addr_b64 v[218:221], v250 offset0:84 offset1:85
	s_waitcnt vmcnt(0)
	v_mul_f64 v[216:217], v[210:211], v[74:75]
	v_mul_f64 v[74:75], v[208:209], v[74:75]
	s_delay_alu instid0(VALU_DEP_2) | instskip(NEXT) | instid1(VALU_DEP_2)
	v_fma_f64 v[216:217], v[208:209], v[72:73], -v[216:217]
	v_fma_f64 v[74:75], v[210:211], v[72:73], v[74:75]
	s_waitcnt lgkmcnt(0)
	s_delay_alu instid0(VALU_DEP_1) | instskip(NEXT) | instid1(VALU_DEP_1)
	v_mul_f64 v[72:73], v[220:221], v[74:75]
	v_fma_f64 v[72:73], v[218:219], v[216:217], -v[72:73]
	v_mul_f64 v[218:219], v[218:219], v[74:75]
	s_delay_alu instid0(VALU_DEP_2) | instskip(NEXT) | instid1(VALU_DEP_2)
	v_add_f64 v[68:69], v[68:69], -v[72:73]
	v_fma_f64 v[218:219], v[220:221], v[216:217], v[218:219]
	s_delay_alu instid0(VALU_DEP_1) | instskip(SKIP_3) | instid1(VALU_DEP_1)
	v_add_f64 v[70:71], v[70:71], -v[218:219]
	ds_load_2addr_b64 v[218:221], v250 offset0:86 offset1:87
	s_waitcnt lgkmcnt(0)
	v_mul_f64 v[72:73], v[220:221], v[74:75]
	v_fma_f64 v[72:73], v[218:219], v[216:217], -v[72:73]
	v_mul_f64 v[218:219], v[218:219], v[74:75]
	s_delay_alu instid0(VALU_DEP_2) | instskip(NEXT) | instid1(VALU_DEP_2)
	v_add_f64 v[64:65], v[64:65], -v[72:73]
	v_fma_f64 v[218:219], v[220:221], v[216:217], v[218:219]
	s_delay_alu instid0(VALU_DEP_1) | instskip(SKIP_3) | instid1(VALU_DEP_1)
	v_add_f64 v[66:67], v[66:67], -v[218:219]
	ds_load_2addr_b64 v[218:221], v250 offset0:88 offset1:89
	s_waitcnt lgkmcnt(0)
	;; [unrolled: 10-line block ×17, first 2 shown]
	v_mul_f64 v[72:73], v[220:221], v[74:75]
	v_fma_f64 v[72:73], v[218:219], v[216:217], -v[72:73]
	v_mul_f64 v[218:219], v[218:219], v[74:75]
	s_delay_alu instid0(VALU_DEP_2) | instskip(NEXT) | instid1(VALU_DEP_2)
	v_add_f64 v[0:1], v[0:1], -v[72:73]
	v_fma_f64 v[218:219], v[220:221], v[216:217], v[218:219]
	v_dual_mov_b32 v72, v216 :: v_dual_mov_b32 v73, v217
	s_delay_alu instid0(VALU_DEP_2)
	v_add_f64 v[2:3], v[2:3], -v[218:219]
.LBB119_379:
	s_or_b32 exec_lo, exec_lo, s3
	s_delay_alu instid0(SALU_CYCLE_1)
	s_mov_b32 s4, exec_lo
	s_waitcnt_vscnt null, 0x0
	s_barrier
	buffer_gl0_inv
	v_cmpx_eq_u32_e32 42, v251
	s_cbranch_execz .LBB119_386
; %bb.380:
	ds_store_2addr_b64 v248, v[68:69], v[70:71] offset1:1
	ds_store_2addr_b64 v250, v[64:65], v[66:67] offset0:86 offset1:87
	ds_store_2addr_b64 v250, v[60:61], v[62:63] offset0:88 offset1:89
	;; [unrolled: 1-line block ×17, first 2 shown]
	ds_load_2addr_b64 v[216:219], v248 offset1:1
	s_waitcnt lgkmcnt(0)
	v_cmp_neq_f64_e32 vcc_lo, 0, v[216:217]
	v_cmp_neq_f64_e64 s3, 0, v[218:219]
	s_delay_alu instid0(VALU_DEP_1) | instskip(NEXT) | instid1(SALU_CYCLE_1)
	s_or_b32 s3, vcc_lo, s3
	s_and_b32 exec_lo, exec_lo, s3
	s_cbranch_execz .LBB119_386
; %bb.381:
	v_cmp_gt_f64_e32 vcc_lo, 0, v[216:217]
	v_xor_b32_e32 v212, 0x80000000, v217
	s_mov_b32 s3, exec_lo
                                        ; implicit-def: $vgpr224_vgpr225
	s_delay_alu instid0(VALU_DEP_1) | instskip(SKIP_3) | instid1(VALU_DEP_1)
	v_cndmask_b32_e32 v221, v217, v212, vcc_lo
	v_cndmask_b32_e32 v220, v216, v216, vcc_lo
	v_cmp_gt_f64_e32 vcc_lo, 0, v[218:219]
	v_xor_b32_e32 v212, 0x80000000, v219
	v_dual_cndmask_b32 v222, v218, v218 :: v_dual_cndmask_b32 v223, v219, v212
	s_delay_alu instid0(VALU_DEP_1)
	v_cmpx_ngt_f64_e32 v[220:221], v[222:223]
	s_xor_b32 s3, exec_lo, s3
                                        ; implicit-def: $vgpr220_vgpr221_vgpr222_vgpr223
	s_cbranch_execz .LBB119_383
; %bb.382:
	v_div_scale_f64 v[220:221], null, v[218:219], v[218:219], v[216:217]
	v_div_scale_f64 v[226:227], vcc_lo, v[216:217], v[218:219], v[216:217]
	s_delay_alu instid0(VALU_DEP_2) | instskip(SKIP_2) | instid1(VALU_DEP_1)
	v_rcp_f64_e32 v[222:223], v[220:221]
	s_waitcnt_depctr 0xfff
	v_fma_f64 v[224:225], -v[220:221], v[222:223], 1.0
	v_fma_f64 v[222:223], v[222:223], v[224:225], v[222:223]
	s_delay_alu instid0(VALU_DEP_1) | instskip(NEXT) | instid1(VALU_DEP_1)
	v_fma_f64 v[224:225], -v[220:221], v[222:223], 1.0
	v_fma_f64 v[222:223], v[222:223], v[224:225], v[222:223]
	s_delay_alu instid0(VALU_DEP_1) | instskip(NEXT) | instid1(VALU_DEP_1)
	v_mul_f64 v[224:225], v[226:227], v[222:223]
	v_fma_f64 v[220:221], -v[220:221], v[224:225], v[226:227]
	s_delay_alu instid0(VALU_DEP_1) | instskip(NEXT) | instid1(VALU_DEP_1)
	v_div_fmas_f64 v[220:221], v[220:221], v[222:223], v[224:225]
	v_div_fixup_f64 v[220:221], v[220:221], v[218:219], v[216:217]
	s_delay_alu instid0(VALU_DEP_1) | instskip(NEXT) | instid1(VALU_DEP_1)
	v_fma_f64 v[216:217], v[216:217], v[220:221], v[218:219]
	v_div_scale_f64 v[218:219], null, v[216:217], v[216:217], 1.0
	s_delay_alu instid0(VALU_DEP_1) | instskip(SKIP_2) | instid1(VALU_DEP_1)
	v_rcp_f64_e32 v[222:223], v[218:219]
	s_waitcnt_depctr 0xfff
	v_fma_f64 v[224:225], -v[218:219], v[222:223], 1.0
	v_fma_f64 v[222:223], v[222:223], v[224:225], v[222:223]
	s_delay_alu instid0(VALU_DEP_1) | instskip(NEXT) | instid1(VALU_DEP_1)
	v_fma_f64 v[224:225], -v[218:219], v[222:223], 1.0
	v_fma_f64 v[222:223], v[222:223], v[224:225], v[222:223]
	v_div_scale_f64 v[224:225], vcc_lo, 1.0, v[216:217], 1.0
	s_delay_alu instid0(VALU_DEP_1) | instskip(NEXT) | instid1(VALU_DEP_1)
	v_mul_f64 v[226:227], v[224:225], v[222:223]
	v_fma_f64 v[218:219], -v[218:219], v[226:227], v[224:225]
	s_delay_alu instid0(VALU_DEP_1) | instskip(NEXT) | instid1(VALU_DEP_1)
	v_div_fmas_f64 v[218:219], v[218:219], v[222:223], v[226:227]
	v_div_fixup_f64 v[222:223], v[218:219], v[216:217], 1.0
                                        ; implicit-def: $vgpr216_vgpr217
	s_delay_alu instid0(VALU_DEP_1)
	v_mul_f64 v[224:225], v[220:221], v[222:223]
	v_xor_b32_e32 v223, 0x80000000, v223
.LBB119_383:
	s_and_not1_saveexec_b32 s3, s3
	s_cbranch_execz .LBB119_385
; %bb.384:
	v_div_scale_f64 v[220:221], null, v[216:217], v[216:217], v[218:219]
	v_div_scale_f64 v[226:227], vcc_lo, v[218:219], v[216:217], v[218:219]
	s_delay_alu instid0(VALU_DEP_2) | instskip(SKIP_2) | instid1(VALU_DEP_1)
	v_rcp_f64_e32 v[222:223], v[220:221]
	s_waitcnt_depctr 0xfff
	v_fma_f64 v[224:225], -v[220:221], v[222:223], 1.0
	v_fma_f64 v[222:223], v[222:223], v[224:225], v[222:223]
	s_delay_alu instid0(VALU_DEP_1) | instskip(NEXT) | instid1(VALU_DEP_1)
	v_fma_f64 v[224:225], -v[220:221], v[222:223], 1.0
	v_fma_f64 v[222:223], v[222:223], v[224:225], v[222:223]
	s_delay_alu instid0(VALU_DEP_1) | instskip(NEXT) | instid1(VALU_DEP_1)
	v_mul_f64 v[224:225], v[226:227], v[222:223]
	v_fma_f64 v[220:221], -v[220:221], v[224:225], v[226:227]
	s_delay_alu instid0(VALU_DEP_1) | instskip(NEXT) | instid1(VALU_DEP_1)
	v_div_fmas_f64 v[220:221], v[220:221], v[222:223], v[224:225]
	v_div_fixup_f64 v[220:221], v[220:221], v[216:217], v[218:219]
	s_delay_alu instid0(VALU_DEP_1) | instskip(NEXT) | instid1(VALU_DEP_1)
	v_fma_f64 v[216:217], v[218:219], v[220:221], v[216:217]
	v_div_scale_f64 v[218:219], null, v[216:217], v[216:217], 1.0
	s_delay_alu instid0(VALU_DEP_1) | instskip(SKIP_2) | instid1(VALU_DEP_1)
	v_rcp_f64_e32 v[222:223], v[218:219]
	s_waitcnt_depctr 0xfff
	v_fma_f64 v[224:225], -v[218:219], v[222:223], 1.0
	v_fma_f64 v[222:223], v[222:223], v[224:225], v[222:223]
	s_delay_alu instid0(VALU_DEP_1) | instskip(NEXT) | instid1(VALU_DEP_1)
	v_fma_f64 v[224:225], -v[218:219], v[222:223], 1.0
	v_fma_f64 v[222:223], v[222:223], v[224:225], v[222:223]
	v_div_scale_f64 v[224:225], vcc_lo, 1.0, v[216:217], 1.0
	s_delay_alu instid0(VALU_DEP_1) | instskip(NEXT) | instid1(VALU_DEP_1)
	v_mul_f64 v[226:227], v[224:225], v[222:223]
	v_fma_f64 v[218:219], -v[218:219], v[226:227], v[224:225]
	s_delay_alu instid0(VALU_DEP_1) | instskip(NEXT) | instid1(VALU_DEP_1)
	v_div_fmas_f64 v[218:219], v[218:219], v[222:223], v[226:227]
	v_div_fixup_f64 v[224:225], v[218:219], v[216:217], 1.0
	s_delay_alu instid0(VALU_DEP_1)
	v_mul_f64 v[222:223], v[220:221], -v[224:225]
.LBB119_385:
	s_or_b32 exec_lo, exec_lo, s3
	ds_store_2addr_b64 v248, v[224:225], v[222:223] offset1:1
.LBB119_386:
	s_or_b32 exec_lo, exec_lo, s4
	s_waitcnt lgkmcnt(0)
	s_barrier
	buffer_gl0_inv
	ds_load_2addr_b64 v[208:211], v248 offset1:1
	s_mov_b32 s3, exec_lo
	s_waitcnt lgkmcnt(0)
	scratch_store_b128 off, v[208:211], off offset:1280 ; 16-byte Folded Spill
	v_cmpx_lt_u32_e32 42, v251
	s_cbranch_execz .LBB119_388
; %bb.387:
	scratch_load_b128 v[208:211], off, off offset:1280 ; 16-byte Folded Reload
	ds_load_2addr_b64 v[218:221], v250 offset0:86 offset1:87
	s_waitcnt vmcnt(0)
	v_mul_f64 v[216:217], v[210:211], v[70:71]
	v_mul_f64 v[70:71], v[208:209], v[70:71]
	s_delay_alu instid0(VALU_DEP_2) | instskip(NEXT) | instid1(VALU_DEP_2)
	v_fma_f64 v[216:217], v[208:209], v[68:69], -v[216:217]
	v_fma_f64 v[70:71], v[210:211], v[68:69], v[70:71]
	s_waitcnt lgkmcnt(0)
	s_delay_alu instid0(VALU_DEP_1) | instskip(NEXT) | instid1(VALU_DEP_1)
	v_mul_f64 v[68:69], v[220:221], v[70:71]
	v_fma_f64 v[68:69], v[218:219], v[216:217], -v[68:69]
	v_mul_f64 v[218:219], v[218:219], v[70:71]
	s_delay_alu instid0(VALU_DEP_2) | instskip(NEXT) | instid1(VALU_DEP_2)
	v_add_f64 v[64:65], v[64:65], -v[68:69]
	v_fma_f64 v[218:219], v[220:221], v[216:217], v[218:219]
	s_delay_alu instid0(VALU_DEP_1) | instskip(SKIP_3) | instid1(VALU_DEP_1)
	v_add_f64 v[66:67], v[66:67], -v[218:219]
	ds_load_2addr_b64 v[218:221], v250 offset0:88 offset1:89
	s_waitcnt lgkmcnt(0)
	v_mul_f64 v[68:69], v[220:221], v[70:71]
	v_fma_f64 v[68:69], v[218:219], v[216:217], -v[68:69]
	v_mul_f64 v[218:219], v[218:219], v[70:71]
	s_delay_alu instid0(VALU_DEP_2) | instskip(NEXT) | instid1(VALU_DEP_2)
	v_add_f64 v[60:61], v[60:61], -v[68:69]
	v_fma_f64 v[218:219], v[220:221], v[216:217], v[218:219]
	s_delay_alu instid0(VALU_DEP_1) | instskip(SKIP_3) | instid1(VALU_DEP_1)
	v_add_f64 v[62:63], v[62:63], -v[218:219]
	ds_load_2addr_b64 v[218:221], v250 offset0:90 offset1:91
	s_waitcnt lgkmcnt(0)
	;; [unrolled: 10-line block ×16, first 2 shown]
	v_mul_f64 v[68:69], v[220:221], v[70:71]
	v_fma_f64 v[68:69], v[218:219], v[216:217], -v[68:69]
	v_mul_f64 v[218:219], v[218:219], v[70:71]
	s_delay_alu instid0(VALU_DEP_2) | instskip(NEXT) | instid1(VALU_DEP_2)
	v_add_f64 v[0:1], v[0:1], -v[68:69]
	v_fma_f64 v[218:219], v[220:221], v[216:217], v[218:219]
	v_dual_mov_b32 v68, v216 :: v_dual_mov_b32 v69, v217
	s_delay_alu instid0(VALU_DEP_2)
	v_add_f64 v[2:3], v[2:3], -v[218:219]
.LBB119_388:
	s_or_b32 exec_lo, exec_lo, s3
	s_delay_alu instid0(SALU_CYCLE_1)
	s_mov_b32 s4, exec_lo
	s_waitcnt_vscnt null, 0x0
	s_barrier
	buffer_gl0_inv
	v_cmpx_eq_u32_e32 43, v251
	s_cbranch_execz .LBB119_395
; %bb.389:
	ds_store_2addr_b64 v248, v[64:65], v[66:67] offset1:1
	ds_store_2addr_b64 v250, v[60:61], v[62:63] offset0:88 offset1:89
	ds_store_2addr_b64 v250, v[56:57], v[58:59] offset0:90 offset1:91
	;; [unrolled: 1-line block ×16, first 2 shown]
	ds_load_2addr_b64 v[216:219], v248 offset1:1
	s_waitcnt lgkmcnt(0)
	v_cmp_neq_f64_e32 vcc_lo, 0, v[216:217]
	v_cmp_neq_f64_e64 s3, 0, v[218:219]
	s_delay_alu instid0(VALU_DEP_1) | instskip(NEXT) | instid1(SALU_CYCLE_1)
	s_or_b32 s3, vcc_lo, s3
	s_and_b32 exec_lo, exec_lo, s3
	s_cbranch_execz .LBB119_395
; %bb.390:
	v_cmp_gt_f64_e32 vcc_lo, 0, v[216:217]
	v_xor_b32_e32 v212, 0x80000000, v217
	s_mov_b32 s3, exec_lo
                                        ; implicit-def: $vgpr224_vgpr225
	s_delay_alu instid0(VALU_DEP_1) | instskip(SKIP_3) | instid1(VALU_DEP_1)
	v_cndmask_b32_e32 v221, v217, v212, vcc_lo
	v_cndmask_b32_e32 v220, v216, v216, vcc_lo
	v_cmp_gt_f64_e32 vcc_lo, 0, v[218:219]
	v_xor_b32_e32 v212, 0x80000000, v219
	v_dual_cndmask_b32 v222, v218, v218 :: v_dual_cndmask_b32 v223, v219, v212
	s_delay_alu instid0(VALU_DEP_1)
	v_cmpx_ngt_f64_e32 v[220:221], v[222:223]
	s_xor_b32 s3, exec_lo, s3
                                        ; implicit-def: $vgpr220_vgpr221_vgpr222_vgpr223
	s_cbranch_execz .LBB119_392
; %bb.391:
	v_div_scale_f64 v[220:221], null, v[218:219], v[218:219], v[216:217]
	v_div_scale_f64 v[226:227], vcc_lo, v[216:217], v[218:219], v[216:217]
	s_delay_alu instid0(VALU_DEP_2) | instskip(SKIP_2) | instid1(VALU_DEP_1)
	v_rcp_f64_e32 v[222:223], v[220:221]
	s_waitcnt_depctr 0xfff
	v_fma_f64 v[224:225], -v[220:221], v[222:223], 1.0
	v_fma_f64 v[222:223], v[222:223], v[224:225], v[222:223]
	s_delay_alu instid0(VALU_DEP_1) | instskip(NEXT) | instid1(VALU_DEP_1)
	v_fma_f64 v[224:225], -v[220:221], v[222:223], 1.0
	v_fma_f64 v[222:223], v[222:223], v[224:225], v[222:223]
	s_delay_alu instid0(VALU_DEP_1) | instskip(NEXT) | instid1(VALU_DEP_1)
	v_mul_f64 v[224:225], v[226:227], v[222:223]
	v_fma_f64 v[220:221], -v[220:221], v[224:225], v[226:227]
	s_delay_alu instid0(VALU_DEP_1) | instskip(NEXT) | instid1(VALU_DEP_1)
	v_div_fmas_f64 v[220:221], v[220:221], v[222:223], v[224:225]
	v_div_fixup_f64 v[220:221], v[220:221], v[218:219], v[216:217]
	s_delay_alu instid0(VALU_DEP_1) | instskip(NEXT) | instid1(VALU_DEP_1)
	v_fma_f64 v[216:217], v[216:217], v[220:221], v[218:219]
	v_div_scale_f64 v[218:219], null, v[216:217], v[216:217], 1.0
	s_delay_alu instid0(VALU_DEP_1) | instskip(SKIP_2) | instid1(VALU_DEP_1)
	v_rcp_f64_e32 v[222:223], v[218:219]
	s_waitcnt_depctr 0xfff
	v_fma_f64 v[224:225], -v[218:219], v[222:223], 1.0
	v_fma_f64 v[222:223], v[222:223], v[224:225], v[222:223]
	s_delay_alu instid0(VALU_DEP_1) | instskip(NEXT) | instid1(VALU_DEP_1)
	v_fma_f64 v[224:225], -v[218:219], v[222:223], 1.0
	v_fma_f64 v[222:223], v[222:223], v[224:225], v[222:223]
	v_div_scale_f64 v[224:225], vcc_lo, 1.0, v[216:217], 1.0
	s_delay_alu instid0(VALU_DEP_1) | instskip(NEXT) | instid1(VALU_DEP_1)
	v_mul_f64 v[226:227], v[224:225], v[222:223]
	v_fma_f64 v[218:219], -v[218:219], v[226:227], v[224:225]
	s_delay_alu instid0(VALU_DEP_1) | instskip(NEXT) | instid1(VALU_DEP_1)
	v_div_fmas_f64 v[218:219], v[218:219], v[222:223], v[226:227]
	v_div_fixup_f64 v[222:223], v[218:219], v[216:217], 1.0
                                        ; implicit-def: $vgpr216_vgpr217
	s_delay_alu instid0(VALU_DEP_1)
	v_mul_f64 v[224:225], v[220:221], v[222:223]
	v_xor_b32_e32 v223, 0x80000000, v223
.LBB119_392:
	s_and_not1_saveexec_b32 s3, s3
	s_cbranch_execz .LBB119_394
; %bb.393:
	v_div_scale_f64 v[220:221], null, v[216:217], v[216:217], v[218:219]
	v_div_scale_f64 v[226:227], vcc_lo, v[218:219], v[216:217], v[218:219]
	s_delay_alu instid0(VALU_DEP_2) | instskip(SKIP_2) | instid1(VALU_DEP_1)
	v_rcp_f64_e32 v[222:223], v[220:221]
	s_waitcnt_depctr 0xfff
	v_fma_f64 v[224:225], -v[220:221], v[222:223], 1.0
	v_fma_f64 v[222:223], v[222:223], v[224:225], v[222:223]
	s_delay_alu instid0(VALU_DEP_1) | instskip(NEXT) | instid1(VALU_DEP_1)
	v_fma_f64 v[224:225], -v[220:221], v[222:223], 1.0
	v_fma_f64 v[222:223], v[222:223], v[224:225], v[222:223]
	s_delay_alu instid0(VALU_DEP_1) | instskip(NEXT) | instid1(VALU_DEP_1)
	v_mul_f64 v[224:225], v[226:227], v[222:223]
	v_fma_f64 v[220:221], -v[220:221], v[224:225], v[226:227]
	s_delay_alu instid0(VALU_DEP_1) | instskip(NEXT) | instid1(VALU_DEP_1)
	v_div_fmas_f64 v[220:221], v[220:221], v[222:223], v[224:225]
	v_div_fixup_f64 v[220:221], v[220:221], v[216:217], v[218:219]
	s_delay_alu instid0(VALU_DEP_1) | instskip(NEXT) | instid1(VALU_DEP_1)
	v_fma_f64 v[216:217], v[218:219], v[220:221], v[216:217]
	v_div_scale_f64 v[218:219], null, v[216:217], v[216:217], 1.0
	s_delay_alu instid0(VALU_DEP_1) | instskip(SKIP_2) | instid1(VALU_DEP_1)
	v_rcp_f64_e32 v[222:223], v[218:219]
	s_waitcnt_depctr 0xfff
	v_fma_f64 v[224:225], -v[218:219], v[222:223], 1.0
	v_fma_f64 v[222:223], v[222:223], v[224:225], v[222:223]
	s_delay_alu instid0(VALU_DEP_1) | instskip(NEXT) | instid1(VALU_DEP_1)
	v_fma_f64 v[224:225], -v[218:219], v[222:223], 1.0
	v_fma_f64 v[222:223], v[222:223], v[224:225], v[222:223]
	v_div_scale_f64 v[224:225], vcc_lo, 1.0, v[216:217], 1.0
	s_delay_alu instid0(VALU_DEP_1) | instskip(NEXT) | instid1(VALU_DEP_1)
	v_mul_f64 v[226:227], v[224:225], v[222:223]
	v_fma_f64 v[218:219], -v[218:219], v[226:227], v[224:225]
	s_delay_alu instid0(VALU_DEP_1) | instskip(NEXT) | instid1(VALU_DEP_1)
	v_div_fmas_f64 v[218:219], v[218:219], v[222:223], v[226:227]
	v_div_fixup_f64 v[224:225], v[218:219], v[216:217], 1.0
	s_delay_alu instid0(VALU_DEP_1)
	v_mul_f64 v[222:223], v[220:221], -v[224:225]
.LBB119_394:
	s_or_b32 exec_lo, exec_lo, s3
	ds_store_2addr_b64 v248, v[224:225], v[222:223] offset1:1
.LBB119_395:
	s_or_b32 exec_lo, exec_lo, s4
	s_waitcnt lgkmcnt(0)
	s_barrier
	buffer_gl0_inv
	ds_load_2addr_b64 v[208:211], v248 offset1:1
	s_mov_b32 s3, exec_lo
	s_waitcnt lgkmcnt(0)
	scratch_store_b128 off, v[208:211], off offset:1296 ; 16-byte Folded Spill
	v_cmpx_lt_u32_e32 43, v251
	s_cbranch_execz .LBB119_397
; %bb.396:
	scratch_load_b128 v[208:211], off, off offset:1296 ; 16-byte Folded Reload
	ds_load_2addr_b64 v[218:221], v250 offset0:88 offset1:89
	s_waitcnt vmcnt(0)
	v_mul_f64 v[216:217], v[208:209], v[66:67]
	v_mul_f64 v[66:67], v[210:211], v[66:67]
	s_delay_alu instid0(VALU_DEP_2) | instskip(NEXT) | instid1(VALU_DEP_2)
	v_fma_f64 v[216:217], v[210:211], v[64:65], v[216:217]
	v_fma_f64 v[64:65], v[208:209], v[64:65], -v[66:67]
	s_waitcnt lgkmcnt(0)
	s_delay_alu instid0(VALU_DEP_2) | instskip(NEXT) | instid1(VALU_DEP_1)
	v_mul_f64 v[66:67], v[220:221], v[216:217]
	v_fma_f64 v[66:67], v[218:219], v[64:65], -v[66:67]
	v_mul_f64 v[218:219], v[218:219], v[216:217]
	s_delay_alu instid0(VALU_DEP_2) | instskip(NEXT) | instid1(VALU_DEP_2)
	v_add_f64 v[60:61], v[60:61], -v[66:67]
	v_fma_f64 v[218:219], v[220:221], v[64:65], v[218:219]
	s_delay_alu instid0(VALU_DEP_1) | instskip(SKIP_3) | instid1(VALU_DEP_1)
	v_add_f64 v[62:63], v[62:63], -v[218:219]
	ds_load_2addr_b64 v[218:221], v250 offset0:90 offset1:91
	s_waitcnt lgkmcnt(0)
	v_mul_f64 v[66:67], v[220:221], v[216:217]
	v_fma_f64 v[66:67], v[218:219], v[64:65], -v[66:67]
	v_mul_f64 v[218:219], v[218:219], v[216:217]
	s_delay_alu instid0(VALU_DEP_2) | instskip(NEXT) | instid1(VALU_DEP_2)
	v_add_f64 v[56:57], v[56:57], -v[66:67]
	v_fma_f64 v[218:219], v[220:221], v[64:65], v[218:219]
	s_delay_alu instid0(VALU_DEP_1) | instskip(SKIP_3) | instid1(VALU_DEP_1)
	v_add_f64 v[58:59], v[58:59], -v[218:219]
	ds_load_2addr_b64 v[218:221], v250 offset0:92 offset1:93
	s_waitcnt lgkmcnt(0)
	;; [unrolled: 10-line block ×15, first 2 shown]
	v_mul_f64 v[66:67], v[220:221], v[216:217]
	v_fma_f64 v[66:67], v[218:219], v[64:65], -v[66:67]
	v_mul_f64 v[218:219], v[218:219], v[216:217]
	s_delay_alu instid0(VALU_DEP_2) | instskip(NEXT) | instid1(VALU_DEP_2)
	v_add_f64 v[0:1], v[0:1], -v[66:67]
	v_fma_f64 v[218:219], v[220:221], v[64:65], v[218:219]
	v_dual_mov_b32 v66, v216 :: v_dual_mov_b32 v67, v217
	s_delay_alu instid0(VALU_DEP_2)
	v_add_f64 v[2:3], v[2:3], -v[218:219]
.LBB119_397:
	s_or_b32 exec_lo, exec_lo, s3
	s_delay_alu instid0(SALU_CYCLE_1)
	s_mov_b32 s4, exec_lo
	s_waitcnt_vscnt null, 0x0
	s_barrier
	buffer_gl0_inv
	v_cmpx_eq_u32_e32 44, v251
	s_cbranch_execz .LBB119_404
; %bb.398:
	ds_store_2addr_b64 v248, v[60:61], v[62:63] offset1:1
	ds_store_2addr_b64 v250, v[56:57], v[58:59] offset0:90 offset1:91
	ds_store_2addr_b64 v250, v[52:53], v[54:55] offset0:92 offset1:93
	;; [unrolled: 1-line block ×15, first 2 shown]
	ds_load_2addr_b64 v[216:219], v248 offset1:1
	s_waitcnt lgkmcnt(0)
	v_cmp_neq_f64_e32 vcc_lo, 0, v[216:217]
	v_cmp_neq_f64_e64 s3, 0, v[218:219]
	s_delay_alu instid0(VALU_DEP_1) | instskip(NEXT) | instid1(SALU_CYCLE_1)
	s_or_b32 s3, vcc_lo, s3
	s_and_b32 exec_lo, exec_lo, s3
	s_cbranch_execz .LBB119_404
; %bb.399:
	v_cmp_gt_f64_e32 vcc_lo, 0, v[216:217]
	v_xor_b32_e32 v212, 0x80000000, v217
	s_mov_b32 s3, exec_lo
                                        ; implicit-def: $vgpr224_vgpr225
	s_delay_alu instid0(VALU_DEP_1) | instskip(SKIP_3) | instid1(VALU_DEP_1)
	v_cndmask_b32_e32 v221, v217, v212, vcc_lo
	v_cndmask_b32_e32 v220, v216, v216, vcc_lo
	v_cmp_gt_f64_e32 vcc_lo, 0, v[218:219]
	v_xor_b32_e32 v212, 0x80000000, v219
	v_dual_cndmask_b32 v222, v218, v218 :: v_dual_cndmask_b32 v223, v219, v212
	s_delay_alu instid0(VALU_DEP_1)
	v_cmpx_ngt_f64_e32 v[220:221], v[222:223]
	s_xor_b32 s3, exec_lo, s3
                                        ; implicit-def: $vgpr220_vgpr221_vgpr222_vgpr223
	s_cbranch_execz .LBB119_401
; %bb.400:
	v_div_scale_f64 v[220:221], null, v[218:219], v[218:219], v[216:217]
	v_div_scale_f64 v[226:227], vcc_lo, v[216:217], v[218:219], v[216:217]
	s_delay_alu instid0(VALU_DEP_2) | instskip(SKIP_2) | instid1(VALU_DEP_1)
	v_rcp_f64_e32 v[222:223], v[220:221]
	s_waitcnt_depctr 0xfff
	v_fma_f64 v[224:225], -v[220:221], v[222:223], 1.0
	v_fma_f64 v[222:223], v[222:223], v[224:225], v[222:223]
	s_delay_alu instid0(VALU_DEP_1) | instskip(NEXT) | instid1(VALU_DEP_1)
	v_fma_f64 v[224:225], -v[220:221], v[222:223], 1.0
	v_fma_f64 v[222:223], v[222:223], v[224:225], v[222:223]
	s_delay_alu instid0(VALU_DEP_1) | instskip(NEXT) | instid1(VALU_DEP_1)
	v_mul_f64 v[224:225], v[226:227], v[222:223]
	v_fma_f64 v[220:221], -v[220:221], v[224:225], v[226:227]
	s_delay_alu instid0(VALU_DEP_1) | instskip(NEXT) | instid1(VALU_DEP_1)
	v_div_fmas_f64 v[220:221], v[220:221], v[222:223], v[224:225]
	v_div_fixup_f64 v[220:221], v[220:221], v[218:219], v[216:217]
	s_delay_alu instid0(VALU_DEP_1) | instskip(NEXT) | instid1(VALU_DEP_1)
	v_fma_f64 v[216:217], v[216:217], v[220:221], v[218:219]
	v_div_scale_f64 v[218:219], null, v[216:217], v[216:217], 1.0
	s_delay_alu instid0(VALU_DEP_1) | instskip(SKIP_2) | instid1(VALU_DEP_1)
	v_rcp_f64_e32 v[222:223], v[218:219]
	s_waitcnt_depctr 0xfff
	v_fma_f64 v[224:225], -v[218:219], v[222:223], 1.0
	v_fma_f64 v[222:223], v[222:223], v[224:225], v[222:223]
	s_delay_alu instid0(VALU_DEP_1) | instskip(NEXT) | instid1(VALU_DEP_1)
	v_fma_f64 v[224:225], -v[218:219], v[222:223], 1.0
	v_fma_f64 v[222:223], v[222:223], v[224:225], v[222:223]
	v_div_scale_f64 v[224:225], vcc_lo, 1.0, v[216:217], 1.0
	s_delay_alu instid0(VALU_DEP_1) | instskip(NEXT) | instid1(VALU_DEP_1)
	v_mul_f64 v[226:227], v[224:225], v[222:223]
	v_fma_f64 v[218:219], -v[218:219], v[226:227], v[224:225]
	s_delay_alu instid0(VALU_DEP_1) | instskip(NEXT) | instid1(VALU_DEP_1)
	v_div_fmas_f64 v[218:219], v[218:219], v[222:223], v[226:227]
	v_div_fixup_f64 v[222:223], v[218:219], v[216:217], 1.0
                                        ; implicit-def: $vgpr216_vgpr217
	s_delay_alu instid0(VALU_DEP_1)
	v_mul_f64 v[224:225], v[220:221], v[222:223]
	v_xor_b32_e32 v223, 0x80000000, v223
.LBB119_401:
	s_and_not1_saveexec_b32 s3, s3
	s_cbranch_execz .LBB119_403
; %bb.402:
	v_div_scale_f64 v[220:221], null, v[216:217], v[216:217], v[218:219]
	v_div_scale_f64 v[226:227], vcc_lo, v[218:219], v[216:217], v[218:219]
	s_delay_alu instid0(VALU_DEP_2) | instskip(SKIP_2) | instid1(VALU_DEP_1)
	v_rcp_f64_e32 v[222:223], v[220:221]
	s_waitcnt_depctr 0xfff
	v_fma_f64 v[224:225], -v[220:221], v[222:223], 1.0
	v_fma_f64 v[222:223], v[222:223], v[224:225], v[222:223]
	s_delay_alu instid0(VALU_DEP_1) | instskip(NEXT) | instid1(VALU_DEP_1)
	v_fma_f64 v[224:225], -v[220:221], v[222:223], 1.0
	v_fma_f64 v[222:223], v[222:223], v[224:225], v[222:223]
	s_delay_alu instid0(VALU_DEP_1) | instskip(NEXT) | instid1(VALU_DEP_1)
	v_mul_f64 v[224:225], v[226:227], v[222:223]
	v_fma_f64 v[220:221], -v[220:221], v[224:225], v[226:227]
	s_delay_alu instid0(VALU_DEP_1) | instskip(NEXT) | instid1(VALU_DEP_1)
	v_div_fmas_f64 v[220:221], v[220:221], v[222:223], v[224:225]
	v_div_fixup_f64 v[220:221], v[220:221], v[216:217], v[218:219]
	s_delay_alu instid0(VALU_DEP_1) | instskip(NEXT) | instid1(VALU_DEP_1)
	v_fma_f64 v[216:217], v[218:219], v[220:221], v[216:217]
	v_div_scale_f64 v[218:219], null, v[216:217], v[216:217], 1.0
	s_delay_alu instid0(VALU_DEP_1) | instskip(SKIP_2) | instid1(VALU_DEP_1)
	v_rcp_f64_e32 v[222:223], v[218:219]
	s_waitcnt_depctr 0xfff
	v_fma_f64 v[224:225], -v[218:219], v[222:223], 1.0
	v_fma_f64 v[222:223], v[222:223], v[224:225], v[222:223]
	s_delay_alu instid0(VALU_DEP_1) | instskip(NEXT) | instid1(VALU_DEP_1)
	v_fma_f64 v[224:225], -v[218:219], v[222:223], 1.0
	v_fma_f64 v[222:223], v[222:223], v[224:225], v[222:223]
	v_div_scale_f64 v[224:225], vcc_lo, 1.0, v[216:217], 1.0
	s_delay_alu instid0(VALU_DEP_1) | instskip(NEXT) | instid1(VALU_DEP_1)
	v_mul_f64 v[226:227], v[224:225], v[222:223]
	v_fma_f64 v[218:219], -v[218:219], v[226:227], v[224:225]
	s_delay_alu instid0(VALU_DEP_1) | instskip(NEXT) | instid1(VALU_DEP_1)
	v_div_fmas_f64 v[218:219], v[218:219], v[222:223], v[226:227]
	v_div_fixup_f64 v[224:225], v[218:219], v[216:217], 1.0
	s_delay_alu instid0(VALU_DEP_1)
	v_mul_f64 v[222:223], v[220:221], -v[224:225]
.LBB119_403:
	s_or_b32 exec_lo, exec_lo, s3
	ds_store_2addr_b64 v248, v[224:225], v[222:223] offset1:1
.LBB119_404:
	s_or_b32 exec_lo, exec_lo, s4
	s_waitcnt lgkmcnt(0)
	s_barrier
	buffer_gl0_inv
	ds_load_2addr_b64 v[208:211], v248 offset1:1
	s_mov_b32 s3, exec_lo
	s_waitcnt lgkmcnt(0)
	scratch_store_b128 off, v[208:211], off offset:1312 ; 16-byte Folded Spill
	v_cmpx_lt_u32_e32 44, v251
	s_cbranch_execz .LBB119_406
; %bb.405:
	scratch_load_b128 v[208:211], off, off offset:1312 ; 16-byte Folded Reload
	ds_load_2addr_b64 v[218:221], v250 offset0:90 offset1:91
	s_waitcnt vmcnt(0)
	v_mul_f64 v[216:217], v[208:209], v[62:63]
	v_mul_f64 v[62:63], v[210:211], v[62:63]
	s_delay_alu instid0(VALU_DEP_2) | instskip(NEXT) | instid1(VALU_DEP_2)
	v_fma_f64 v[216:217], v[210:211], v[60:61], v[216:217]
	v_fma_f64 v[60:61], v[208:209], v[60:61], -v[62:63]
	s_waitcnt lgkmcnt(0)
	s_delay_alu instid0(VALU_DEP_2) | instskip(NEXT) | instid1(VALU_DEP_1)
	v_mul_f64 v[62:63], v[220:221], v[216:217]
	v_fma_f64 v[62:63], v[218:219], v[60:61], -v[62:63]
	v_mul_f64 v[218:219], v[218:219], v[216:217]
	s_delay_alu instid0(VALU_DEP_2) | instskip(NEXT) | instid1(VALU_DEP_2)
	v_add_f64 v[56:57], v[56:57], -v[62:63]
	v_fma_f64 v[218:219], v[220:221], v[60:61], v[218:219]
	s_delay_alu instid0(VALU_DEP_1) | instskip(SKIP_3) | instid1(VALU_DEP_1)
	v_add_f64 v[58:59], v[58:59], -v[218:219]
	ds_load_2addr_b64 v[218:221], v250 offset0:92 offset1:93
	s_waitcnt lgkmcnt(0)
	v_mul_f64 v[62:63], v[220:221], v[216:217]
	v_fma_f64 v[62:63], v[218:219], v[60:61], -v[62:63]
	v_mul_f64 v[218:219], v[218:219], v[216:217]
	s_delay_alu instid0(VALU_DEP_2) | instskip(NEXT) | instid1(VALU_DEP_2)
	v_add_f64 v[52:53], v[52:53], -v[62:63]
	v_fma_f64 v[218:219], v[220:221], v[60:61], v[218:219]
	s_delay_alu instid0(VALU_DEP_1) | instskip(SKIP_3) | instid1(VALU_DEP_1)
	v_add_f64 v[54:55], v[54:55], -v[218:219]
	ds_load_2addr_b64 v[218:221], v250 offset0:94 offset1:95
	s_waitcnt lgkmcnt(0)
	;; [unrolled: 10-line block ×14, first 2 shown]
	v_mul_f64 v[62:63], v[220:221], v[216:217]
	v_fma_f64 v[62:63], v[218:219], v[60:61], -v[62:63]
	v_mul_f64 v[218:219], v[218:219], v[216:217]
	s_delay_alu instid0(VALU_DEP_2) | instskip(NEXT) | instid1(VALU_DEP_2)
	v_add_f64 v[0:1], v[0:1], -v[62:63]
	v_fma_f64 v[218:219], v[220:221], v[60:61], v[218:219]
	v_dual_mov_b32 v62, v216 :: v_dual_mov_b32 v63, v217
	s_delay_alu instid0(VALU_DEP_2)
	v_add_f64 v[2:3], v[2:3], -v[218:219]
.LBB119_406:
	s_or_b32 exec_lo, exec_lo, s3
	s_delay_alu instid0(SALU_CYCLE_1)
	s_mov_b32 s4, exec_lo
	s_waitcnt_vscnt null, 0x0
	s_barrier
	buffer_gl0_inv
	v_cmpx_eq_u32_e32 45, v251
	s_cbranch_execz .LBB119_413
; %bb.407:
	ds_store_2addr_b64 v248, v[56:57], v[58:59] offset1:1
	ds_store_2addr_b64 v250, v[52:53], v[54:55] offset0:92 offset1:93
	ds_store_2addr_b64 v250, v[48:49], v[50:51] offset0:94 offset1:95
	;; [unrolled: 1-line block ×14, first 2 shown]
	ds_load_2addr_b64 v[216:219], v248 offset1:1
	s_waitcnt lgkmcnt(0)
	v_cmp_neq_f64_e32 vcc_lo, 0, v[216:217]
	v_cmp_neq_f64_e64 s3, 0, v[218:219]
	s_delay_alu instid0(VALU_DEP_1) | instskip(NEXT) | instid1(SALU_CYCLE_1)
	s_or_b32 s3, vcc_lo, s3
	s_and_b32 exec_lo, exec_lo, s3
	s_cbranch_execz .LBB119_413
; %bb.408:
	v_cmp_gt_f64_e32 vcc_lo, 0, v[216:217]
	v_xor_b32_e32 v212, 0x80000000, v217
	s_mov_b32 s3, exec_lo
                                        ; implicit-def: $vgpr224_vgpr225
	s_delay_alu instid0(VALU_DEP_1) | instskip(SKIP_3) | instid1(VALU_DEP_1)
	v_cndmask_b32_e32 v221, v217, v212, vcc_lo
	v_cndmask_b32_e32 v220, v216, v216, vcc_lo
	v_cmp_gt_f64_e32 vcc_lo, 0, v[218:219]
	v_xor_b32_e32 v212, 0x80000000, v219
	v_dual_cndmask_b32 v222, v218, v218 :: v_dual_cndmask_b32 v223, v219, v212
	s_delay_alu instid0(VALU_DEP_1)
	v_cmpx_ngt_f64_e32 v[220:221], v[222:223]
	s_xor_b32 s3, exec_lo, s3
                                        ; implicit-def: $vgpr220_vgpr221_vgpr222_vgpr223
	s_cbranch_execz .LBB119_410
; %bb.409:
	v_div_scale_f64 v[220:221], null, v[218:219], v[218:219], v[216:217]
	v_div_scale_f64 v[226:227], vcc_lo, v[216:217], v[218:219], v[216:217]
	s_delay_alu instid0(VALU_DEP_2) | instskip(SKIP_2) | instid1(VALU_DEP_1)
	v_rcp_f64_e32 v[222:223], v[220:221]
	s_waitcnt_depctr 0xfff
	v_fma_f64 v[224:225], -v[220:221], v[222:223], 1.0
	v_fma_f64 v[222:223], v[222:223], v[224:225], v[222:223]
	s_delay_alu instid0(VALU_DEP_1) | instskip(NEXT) | instid1(VALU_DEP_1)
	v_fma_f64 v[224:225], -v[220:221], v[222:223], 1.0
	v_fma_f64 v[222:223], v[222:223], v[224:225], v[222:223]
	s_delay_alu instid0(VALU_DEP_1) | instskip(NEXT) | instid1(VALU_DEP_1)
	v_mul_f64 v[224:225], v[226:227], v[222:223]
	v_fma_f64 v[220:221], -v[220:221], v[224:225], v[226:227]
	s_delay_alu instid0(VALU_DEP_1) | instskip(NEXT) | instid1(VALU_DEP_1)
	v_div_fmas_f64 v[220:221], v[220:221], v[222:223], v[224:225]
	v_div_fixup_f64 v[220:221], v[220:221], v[218:219], v[216:217]
	s_delay_alu instid0(VALU_DEP_1) | instskip(NEXT) | instid1(VALU_DEP_1)
	v_fma_f64 v[216:217], v[216:217], v[220:221], v[218:219]
	v_div_scale_f64 v[218:219], null, v[216:217], v[216:217], 1.0
	s_delay_alu instid0(VALU_DEP_1) | instskip(SKIP_2) | instid1(VALU_DEP_1)
	v_rcp_f64_e32 v[222:223], v[218:219]
	s_waitcnt_depctr 0xfff
	v_fma_f64 v[224:225], -v[218:219], v[222:223], 1.0
	v_fma_f64 v[222:223], v[222:223], v[224:225], v[222:223]
	s_delay_alu instid0(VALU_DEP_1) | instskip(NEXT) | instid1(VALU_DEP_1)
	v_fma_f64 v[224:225], -v[218:219], v[222:223], 1.0
	v_fma_f64 v[222:223], v[222:223], v[224:225], v[222:223]
	v_div_scale_f64 v[224:225], vcc_lo, 1.0, v[216:217], 1.0
	s_delay_alu instid0(VALU_DEP_1) | instskip(NEXT) | instid1(VALU_DEP_1)
	v_mul_f64 v[226:227], v[224:225], v[222:223]
	v_fma_f64 v[218:219], -v[218:219], v[226:227], v[224:225]
	s_delay_alu instid0(VALU_DEP_1) | instskip(NEXT) | instid1(VALU_DEP_1)
	v_div_fmas_f64 v[218:219], v[218:219], v[222:223], v[226:227]
	v_div_fixup_f64 v[222:223], v[218:219], v[216:217], 1.0
                                        ; implicit-def: $vgpr216_vgpr217
	s_delay_alu instid0(VALU_DEP_1)
	v_mul_f64 v[224:225], v[220:221], v[222:223]
	v_xor_b32_e32 v223, 0x80000000, v223
.LBB119_410:
	s_and_not1_saveexec_b32 s3, s3
	s_cbranch_execz .LBB119_412
; %bb.411:
	v_div_scale_f64 v[220:221], null, v[216:217], v[216:217], v[218:219]
	v_div_scale_f64 v[226:227], vcc_lo, v[218:219], v[216:217], v[218:219]
	s_delay_alu instid0(VALU_DEP_2) | instskip(SKIP_2) | instid1(VALU_DEP_1)
	v_rcp_f64_e32 v[222:223], v[220:221]
	s_waitcnt_depctr 0xfff
	v_fma_f64 v[224:225], -v[220:221], v[222:223], 1.0
	v_fma_f64 v[222:223], v[222:223], v[224:225], v[222:223]
	s_delay_alu instid0(VALU_DEP_1) | instskip(NEXT) | instid1(VALU_DEP_1)
	v_fma_f64 v[224:225], -v[220:221], v[222:223], 1.0
	v_fma_f64 v[222:223], v[222:223], v[224:225], v[222:223]
	s_delay_alu instid0(VALU_DEP_1) | instskip(NEXT) | instid1(VALU_DEP_1)
	v_mul_f64 v[224:225], v[226:227], v[222:223]
	v_fma_f64 v[220:221], -v[220:221], v[224:225], v[226:227]
	s_delay_alu instid0(VALU_DEP_1) | instskip(NEXT) | instid1(VALU_DEP_1)
	v_div_fmas_f64 v[220:221], v[220:221], v[222:223], v[224:225]
	v_div_fixup_f64 v[220:221], v[220:221], v[216:217], v[218:219]
	s_delay_alu instid0(VALU_DEP_1) | instskip(NEXT) | instid1(VALU_DEP_1)
	v_fma_f64 v[216:217], v[218:219], v[220:221], v[216:217]
	v_div_scale_f64 v[218:219], null, v[216:217], v[216:217], 1.0
	s_delay_alu instid0(VALU_DEP_1) | instskip(SKIP_2) | instid1(VALU_DEP_1)
	v_rcp_f64_e32 v[222:223], v[218:219]
	s_waitcnt_depctr 0xfff
	v_fma_f64 v[224:225], -v[218:219], v[222:223], 1.0
	v_fma_f64 v[222:223], v[222:223], v[224:225], v[222:223]
	s_delay_alu instid0(VALU_DEP_1) | instskip(NEXT) | instid1(VALU_DEP_1)
	v_fma_f64 v[224:225], -v[218:219], v[222:223], 1.0
	v_fma_f64 v[222:223], v[222:223], v[224:225], v[222:223]
	v_div_scale_f64 v[224:225], vcc_lo, 1.0, v[216:217], 1.0
	s_delay_alu instid0(VALU_DEP_1) | instskip(NEXT) | instid1(VALU_DEP_1)
	v_mul_f64 v[226:227], v[224:225], v[222:223]
	v_fma_f64 v[218:219], -v[218:219], v[226:227], v[224:225]
	s_delay_alu instid0(VALU_DEP_1) | instskip(NEXT) | instid1(VALU_DEP_1)
	v_div_fmas_f64 v[218:219], v[218:219], v[222:223], v[226:227]
	v_div_fixup_f64 v[224:225], v[218:219], v[216:217], 1.0
	s_delay_alu instid0(VALU_DEP_1)
	v_mul_f64 v[222:223], v[220:221], -v[224:225]
.LBB119_412:
	s_or_b32 exec_lo, exec_lo, s3
	ds_store_2addr_b64 v248, v[224:225], v[222:223] offset1:1
.LBB119_413:
	s_or_b32 exec_lo, exec_lo, s4
	s_waitcnt lgkmcnt(0)
	s_barrier
	buffer_gl0_inv
	ds_load_2addr_b64 v[208:211], v248 offset1:1
	s_mov_b32 s3, exec_lo
	s_waitcnt lgkmcnt(0)
	scratch_store_b128 off, v[208:211], off offset:1328 ; 16-byte Folded Spill
	v_cmpx_lt_u32_e32 45, v251
	s_cbranch_execz .LBB119_415
; %bb.414:
	scratch_load_b128 v[208:211], off, off offset:1328 ; 16-byte Folded Reload
	ds_load_2addr_b64 v[218:221], v250 offset0:92 offset1:93
	s_waitcnt vmcnt(0)
	v_mul_f64 v[216:217], v[208:209], v[58:59]
	v_mul_f64 v[58:59], v[210:211], v[58:59]
	s_delay_alu instid0(VALU_DEP_2) | instskip(NEXT) | instid1(VALU_DEP_2)
	v_fma_f64 v[216:217], v[210:211], v[56:57], v[216:217]
	v_fma_f64 v[56:57], v[208:209], v[56:57], -v[58:59]
	s_waitcnt lgkmcnt(0)
	s_delay_alu instid0(VALU_DEP_2) | instskip(NEXT) | instid1(VALU_DEP_1)
	v_mul_f64 v[58:59], v[220:221], v[216:217]
	v_fma_f64 v[58:59], v[218:219], v[56:57], -v[58:59]
	v_mul_f64 v[218:219], v[218:219], v[216:217]
	s_delay_alu instid0(VALU_DEP_2) | instskip(NEXT) | instid1(VALU_DEP_2)
	v_add_f64 v[52:53], v[52:53], -v[58:59]
	v_fma_f64 v[218:219], v[220:221], v[56:57], v[218:219]
	s_delay_alu instid0(VALU_DEP_1) | instskip(SKIP_3) | instid1(VALU_DEP_1)
	v_add_f64 v[54:55], v[54:55], -v[218:219]
	ds_load_2addr_b64 v[218:221], v250 offset0:94 offset1:95
	s_waitcnt lgkmcnt(0)
	v_mul_f64 v[58:59], v[220:221], v[216:217]
	v_fma_f64 v[58:59], v[218:219], v[56:57], -v[58:59]
	v_mul_f64 v[218:219], v[218:219], v[216:217]
	s_delay_alu instid0(VALU_DEP_2) | instskip(NEXT) | instid1(VALU_DEP_2)
	v_add_f64 v[48:49], v[48:49], -v[58:59]
	v_fma_f64 v[218:219], v[220:221], v[56:57], v[218:219]
	s_delay_alu instid0(VALU_DEP_1) | instskip(SKIP_3) | instid1(VALU_DEP_1)
	v_add_f64 v[50:51], v[50:51], -v[218:219]
	ds_load_2addr_b64 v[218:221], v250 offset0:96 offset1:97
	s_waitcnt lgkmcnt(0)
	;; [unrolled: 10-line block ×13, first 2 shown]
	v_mul_f64 v[58:59], v[220:221], v[216:217]
	v_fma_f64 v[58:59], v[218:219], v[56:57], -v[58:59]
	v_mul_f64 v[218:219], v[218:219], v[216:217]
	s_delay_alu instid0(VALU_DEP_2) | instskip(NEXT) | instid1(VALU_DEP_2)
	v_add_f64 v[0:1], v[0:1], -v[58:59]
	v_fma_f64 v[218:219], v[220:221], v[56:57], v[218:219]
	v_dual_mov_b32 v58, v216 :: v_dual_mov_b32 v59, v217
	s_delay_alu instid0(VALU_DEP_2)
	v_add_f64 v[2:3], v[2:3], -v[218:219]
.LBB119_415:
	s_or_b32 exec_lo, exec_lo, s3
	s_delay_alu instid0(SALU_CYCLE_1)
	s_mov_b32 s4, exec_lo
	s_waitcnt_vscnt null, 0x0
	s_barrier
	buffer_gl0_inv
	v_cmpx_eq_u32_e32 46, v251
	s_cbranch_execz .LBB119_422
; %bb.416:
	ds_store_2addr_b64 v248, v[52:53], v[54:55] offset1:1
	ds_store_2addr_b64 v250, v[48:49], v[50:51] offset0:94 offset1:95
	ds_store_2addr_b64 v250, v[44:45], v[46:47] offset0:96 offset1:97
	;; [unrolled: 1-line block ×13, first 2 shown]
	ds_load_2addr_b64 v[216:219], v248 offset1:1
	s_waitcnt lgkmcnt(0)
	v_cmp_neq_f64_e32 vcc_lo, 0, v[216:217]
	v_cmp_neq_f64_e64 s3, 0, v[218:219]
	s_delay_alu instid0(VALU_DEP_1) | instskip(NEXT) | instid1(SALU_CYCLE_1)
	s_or_b32 s3, vcc_lo, s3
	s_and_b32 exec_lo, exec_lo, s3
	s_cbranch_execz .LBB119_422
; %bb.417:
	v_cmp_gt_f64_e32 vcc_lo, 0, v[216:217]
	v_xor_b32_e32 v212, 0x80000000, v217
	s_mov_b32 s3, exec_lo
                                        ; implicit-def: $vgpr224_vgpr225
	s_delay_alu instid0(VALU_DEP_1) | instskip(SKIP_3) | instid1(VALU_DEP_1)
	v_cndmask_b32_e32 v221, v217, v212, vcc_lo
	v_cndmask_b32_e32 v220, v216, v216, vcc_lo
	v_cmp_gt_f64_e32 vcc_lo, 0, v[218:219]
	v_xor_b32_e32 v212, 0x80000000, v219
	v_dual_cndmask_b32 v222, v218, v218 :: v_dual_cndmask_b32 v223, v219, v212
	s_delay_alu instid0(VALU_DEP_1)
	v_cmpx_ngt_f64_e32 v[220:221], v[222:223]
	s_xor_b32 s3, exec_lo, s3
                                        ; implicit-def: $vgpr220_vgpr221_vgpr222_vgpr223
	s_cbranch_execz .LBB119_419
; %bb.418:
	v_div_scale_f64 v[220:221], null, v[218:219], v[218:219], v[216:217]
	v_div_scale_f64 v[226:227], vcc_lo, v[216:217], v[218:219], v[216:217]
	s_delay_alu instid0(VALU_DEP_2) | instskip(SKIP_2) | instid1(VALU_DEP_1)
	v_rcp_f64_e32 v[222:223], v[220:221]
	s_waitcnt_depctr 0xfff
	v_fma_f64 v[224:225], -v[220:221], v[222:223], 1.0
	v_fma_f64 v[222:223], v[222:223], v[224:225], v[222:223]
	s_delay_alu instid0(VALU_DEP_1) | instskip(NEXT) | instid1(VALU_DEP_1)
	v_fma_f64 v[224:225], -v[220:221], v[222:223], 1.0
	v_fma_f64 v[222:223], v[222:223], v[224:225], v[222:223]
	s_delay_alu instid0(VALU_DEP_1) | instskip(NEXT) | instid1(VALU_DEP_1)
	v_mul_f64 v[224:225], v[226:227], v[222:223]
	v_fma_f64 v[220:221], -v[220:221], v[224:225], v[226:227]
	s_delay_alu instid0(VALU_DEP_1) | instskip(NEXT) | instid1(VALU_DEP_1)
	v_div_fmas_f64 v[220:221], v[220:221], v[222:223], v[224:225]
	v_div_fixup_f64 v[220:221], v[220:221], v[218:219], v[216:217]
	s_delay_alu instid0(VALU_DEP_1) | instskip(NEXT) | instid1(VALU_DEP_1)
	v_fma_f64 v[216:217], v[216:217], v[220:221], v[218:219]
	v_div_scale_f64 v[218:219], null, v[216:217], v[216:217], 1.0
	s_delay_alu instid0(VALU_DEP_1) | instskip(SKIP_2) | instid1(VALU_DEP_1)
	v_rcp_f64_e32 v[222:223], v[218:219]
	s_waitcnt_depctr 0xfff
	v_fma_f64 v[224:225], -v[218:219], v[222:223], 1.0
	v_fma_f64 v[222:223], v[222:223], v[224:225], v[222:223]
	s_delay_alu instid0(VALU_DEP_1) | instskip(NEXT) | instid1(VALU_DEP_1)
	v_fma_f64 v[224:225], -v[218:219], v[222:223], 1.0
	v_fma_f64 v[222:223], v[222:223], v[224:225], v[222:223]
	v_div_scale_f64 v[224:225], vcc_lo, 1.0, v[216:217], 1.0
	s_delay_alu instid0(VALU_DEP_1) | instskip(NEXT) | instid1(VALU_DEP_1)
	v_mul_f64 v[226:227], v[224:225], v[222:223]
	v_fma_f64 v[218:219], -v[218:219], v[226:227], v[224:225]
	s_delay_alu instid0(VALU_DEP_1) | instskip(NEXT) | instid1(VALU_DEP_1)
	v_div_fmas_f64 v[218:219], v[218:219], v[222:223], v[226:227]
	v_div_fixup_f64 v[222:223], v[218:219], v[216:217], 1.0
                                        ; implicit-def: $vgpr216_vgpr217
	s_delay_alu instid0(VALU_DEP_1)
	v_mul_f64 v[224:225], v[220:221], v[222:223]
	v_xor_b32_e32 v223, 0x80000000, v223
.LBB119_419:
	s_and_not1_saveexec_b32 s3, s3
	s_cbranch_execz .LBB119_421
; %bb.420:
	v_div_scale_f64 v[220:221], null, v[216:217], v[216:217], v[218:219]
	v_div_scale_f64 v[226:227], vcc_lo, v[218:219], v[216:217], v[218:219]
	s_delay_alu instid0(VALU_DEP_2) | instskip(SKIP_2) | instid1(VALU_DEP_1)
	v_rcp_f64_e32 v[222:223], v[220:221]
	s_waitcnt_depctr 0xfff
	v_fma_f64 v[224:225], -v[220:221], v[222:223], 1.0
	v_fma_f64 v[222:223], v[222:223], v[224:225], v[222:223]
	s_delay_alu instid0(VALU_DEP_1) | instskip(NEXT) | instid1(VALU_DEP_1)
	v_fma_f64 v[224:225], -v[220:221], v[222:223], 1.0
	v_fma_f64 v[222:223], v[222:223], v[224:225], v[222:223]
	s_delay_alu instid0(VALU_DEP_1) | instskip(NEXT) | instid1(VALU_DEP_1)
	v_mul_f64 v[224:225], v[226:227], v[222:223]
	v_fma_f64 v[220:221], -v[220:221], v[224:225], v[226:227]
	s_delay_alu instid0(VALU_DEP_1) | instskip(NEXT) | instid1(VALU_DEP_1)
	v_div_fmas_f64 v[220:221], v[220:221], v[222:223], v[224:225]
	v_div_fixup_f64 v[220:221], v[220:221], v[216:217], v[218:219]
	s_delay_alu instid0(VALU_DEP_1) | instskip(NEXT) | instid1(VALU_DEP_1)
	v_fma_f64 v[216:217], v[218:219], v[220:221], v[216:217]
	v_div_scale_f64 v[218:219], null, v[216:217], v[216:217], 1.0
	s_delay_alu instid0(VALU_DEP_1) | instskip(SKIP_2) | instid1(VALU_DEP_1)
	v_rcp_f64_e32 v[222:223], v[218:219]
	s_waitcnt_depctr 0xfff
	v_fma_f64 v[224:225], -v[218:219], v[222:223], 1.0
	v_fma_f64 v[222:223], v[222:223], v[224:225], v[222:223]
	s_delay_alu instid0(VALU_DEP_1) | instskip(NEXT) | instid1(VALU_DEP_1)
	v_fma_f64 v[224:225], -v[218:219], v[222:223], 1.0
	v_fma_f64 v[222:223], v[222:223], v[224:225], v[222:223]
	v_div_scale_f64 v[224:225], vcc_lo, 1.0, v[216:217], 1.0
	s_delay_alu instid0(VALU_DEP_1) | instskip(NEXT) | instid1(VALU_DEP_1)
	v_mul_f64 v[226:227], v[224:225], v[222:223]
	v_fma_f64 v[218:219], -v[218:219], v[226:227], v[224:225]
	s_delay_alu instid0(VALU_DEP_1) | instskip(NEXT) | instid1(VALU_DEP_1)
	v_div_fmas_f64 v[218:219], v[218:219], v[222:223], v[226:227]
	v_div_fixup_f64 v[224:225], v[218:219], v[216:217], 1.0
	s_delay_alu instid0(VALU_DEP_1)
	v_mul_f64 v[222:223], v[220:221], -v[224:225]
.LBB119_421:
	s_or_b32 exec_lo, exec_lo, s3
	ds_store_2addr_b64 v248, v[224:225], v[222:223] offset1:1
.LBB119_422:
	s_or_b32 exec_lo, exec_lo, s4
	s_waitcnt lgkmcnt(0)
	s_barrier
	buffer_gl0_inv
	ds_load_2addr_b64 v[208:211], v248 offset1:1
	s_mov_b32 s3, exec_lo
	s_waitcnt lgkmcnt(0)
	scratch_store_b128 off, v[208:211], off offset:1344 ; 16-byte Folded Spill
	v_cmpx_lt_u32_e32 46, v251
	s_cbranch_execz .LBB119_424
; %bb.423:
	scratch_load_b128 v[208:211], off, off offset:1344 ; 16-byte Folded Reload
	ds_load_2addr_b64 v[218:221], v250 offset0:94 offset1:95
	s_waitcnt vmcnt(0)
	v_mul_f64 v[216:217], v[208:209], v[54:55]
	v_mul_f64 v[54:55], v[210:211], v[54:55]
	s_delay_alu instid0(VALU_DEP_2) | instskip(NEXT) | instid1(VALU_DEP_2)
	v_fma_f64 v[216:217], v[210:211], v[52:53], v[216:217]
	v_fma_f64 v[52:53], v[208:209], v[52:53], -v[54:55]
	s_waitcnt lgkmcnt(0)
	s_delay_alu instid0(VALU_DEP_2) | instskip(NEXT) | instid1(VALU_DEP_1)
	v_mul_f64 v[54:55], v[220:221], v[216:217]
	v_fma_f64 v[54:55], v[218:219], v[52:53], -v[54:55]
	v_mul_f64 v[218:219], v[218:219], v[216:217]
	s_delay_alu instid0(VALU_DEP_2) | instskip(NEXT) | instid1(VALU_DEP_2)
	v_add_f64 v[48:49], v[48:49], -v[54:55]
	v_fma_f64 v[218:219], v[220:221], v[52:53], v[218:219]
	s_delay_alu instid0(VALU_DEP_1) | instskip(SKIP_3) | instid1(VALU_DEP_1)
	v_add_f64 v[50:51], v[50:51], -v[218:219]
	ds_load_2addr_b64 v[218:221], v250 offset0:96 offset1:97
	s_waitcnt lgkmcnt(0)
	v_mul_f64 v[54:55], v[220:221], v[216:217]
	v_fma_f64 v[54:55], v[218:219], v[52:53], -v[54:55]
	v_mul_f64 v[218:219], v[218:219], v[216:217]
	s_delay_alu instid0(VALU_DEP_2) | instskip(NEXT) | instid1(VALU_DEP_2)
	v_add_f64 v[44:45], v[44:45], -v[54:55]
	v_fma_f64 v[218:219], v[220:221], v[52:53], v[218:219]
	s_delay_alu instid0(VALU_DEP_1) | instskip(SKIP_3) | instid1(VALU_DEP_1)
	v_add_f64 v[46:47], v[46:47], -v[218:219]
	ds_load_2addr_b64 v[218:221], v250 offset0:98 offset1:99
	s_waitcnt lgkmcnt(0)
	;; [unrolled: 10-line block ×12, first 2 shown]
	v_mul_f64 v[54:55], v[220:221], v[216:217]
	v_fma_f64 v[54:55], v[218:219], v[52:53], -v[54:55]
	v_mul_f64 v[218:219], v[218:219], v[216:217]
	s_delay_alu instid0(VALU_DEP_2) | instskip(NEXT) | instid1(VALU_DEP_2)
	v_add_f64 v[0:1], v[0:1], -v[54:55]
	v_fma_f64 v[218:219], v[220:221], v[52:53], v[218:219]
	v_dual_mov_b32 v54, v216 :: v_dual_mov_b32 v55, v217
	s_delay_alu instid0(VALU_DEP_2)
	v_add_f64 v[2:3], v[2:3], -v[218:219]
.LBB119_424:
	s_or_b32 exec_lo, exec_lo, s3
	s_delay_alu instid0(SALU_CYCLE_1)
	s_mov_b32 s4, exec_lo
	s_waitcnt_vscnt null, 0x0
	s_barrier
	buffer_gl0_inv
	v_cmpx_eq_u32_e32 47, v251
	s_cbranch_execz .LBB119_431
; %bb.425:
	ds_store_2addr_b64 v248, v[48:49], v[50:51] offset1:1
	ds_store_2addr_b64 v250, v[44:45], v[46:47] offset0:96 offset1:97
	ds_store_2addr_b64 v250, v[40:41], v[42:43] offset0:98 offset1:99
	;; [unrolled: 1-line block ×12, first 2 shown]
	ds_load_2addr_b64 v[216:219], v248 offset1:1
	s_waitcnt lgkmcnt(0)
	v_cmp_neq_f64_e32 vcc_lo, 0, v[216:217]
	v_cmp_neq_f64_e64 s3, 0, v[218:219]
	s_delay_alu instid0(VALU_DEP_1) | instskip(NEXT) | instid1(SALU_CYCLE_1)
	s_or_b32 s3, vcc_lo, s3
	s_and_b32 exec_lo, exec_lo, s3
	s_cbranch_execz .LBB119_431
; %bb.426:
	v_cmp_gt_f64_e32 vcc_lo, 0, v[216:217]
	v_xor_b32_e32 v212, 0x80000000, v217
	s_mov_b32 s3, exec_lo
                                        ; implicit-def: $vgpr224_vgpr225
	s_delay_alu instid0(VALU_DEP_1) | instskip(SKIP_3) | instid1(VALU_DEP_1)
	v_cndmask_b32_e32 v221, v217, v212, vcc_lo
	v_cndmask_b32_e32 v220, v216, v216, vcc_lo
	v_cmp_gt_f64_e32 vcc_lo, 0, v[218:219]
	v_xor_b32_e32 v212, 0x80000000, v219
	v_dual_cndmask_b32 v222, v218, v218 :: v_dual_cndmask_b32 v223, v219, v212
	s_delay_alu instid0(VALU_DEP_1)
	v_cmpx_ngt_f64_e32 v[220:221], v[222:223]
	s_xor_b32 s3, exec_lo, s3
                                        ; implicit-def: $vgpr220_vgpr221_vgpr222_vgpr223
	s_cbranch_execz .LBB119_428
; %bb.427:
	v_div_scale_f64 v[220:221], null, v[218:219], v[218:219], v[216:217]
	v_div_scale_f64 v[226:227], vcc_lo, v[216:217], v[218:219], v[216:217]
	s_delay_alu instid0(VALU_DEP_2) | instskip(SKIP_2) | instid1(VALU_DEP_1)
	v_rcp_f64_e32 v[222:223], v[220:221]
	s_waitcnt_depctr 0xfff
	v_fma_f64 v[224:225], -v[220:221], v[222:223], 1.0
	v_fma_f64 v[222:223], v[222:223], v[224:225], v[222:223]
	s_delay_alu instid0(VALU_DEP_1) | instskip(NEXT) | instid1(VALU_DEP_1)
	v_fma_f64 v[224:225], -v[220:221], v[222:223], 1.0
	v_fma_f64 v[222:223], v[222:223], v[224:225], v[222:223]
	s_delay_alu instid0(VALU_DEP_1) | instskip(NEXT) | instid1(VALU_DEP_1)
	v_mul_f64 v[224:225], v[226:227], v[222:223]
	v_fma_f64 v[220:221], -v[220:221], v[224:225], v[226:227]
	s_delay_alu instid0(VALU_DEP_1) | instskip(NEXT) | instid1(VALU_DEP_1)
	v_div_fmas_f64 v[220:221], v[220:221], v[222:223], v[224:225]
	v_div_fixup_f64 v[220:221], v[220:221], v[218:219], v[216:217]
	s_delay_alu instid0(VALU_DEP_1) | instskip(NEXT) | instid1(VALU_DEP_1)
	v_fma_f64 v[216:217], v[216:217], v[220:221], v[218:219]
	v_div_scale_f64 v[218:219], null, v[216:217], v[216:217], 1.0
	s_delay_alu instid0(VALU_DEP_1) | instskip(SKIP_2) | instid1(VALU_DEP_1)
	v_rcp_f64_e32 v[222:223], v[218:219]
	s_waitcnt_depctr 0xfff
	v_fma_f64 v[224:225], -v[218:219], v[222:223], 1.0
	v_fma_f64 v[222:223], v[222:223], v[224:225], v[222:223]
	s_delay_alu instid0(VALU_DEP_1) | instskip(NEXT) | instid1(VALU_DEP_1)
	v_fma_f64 v[224:225], -v[218:219], v[222:223], 1.0
	v_fma_f64 v[222:223], v[222:223], v[224:225], v[222:223]
	v_div_scale_f64 v[224:225], vcc_lo, 1.0, v[216:217], 1.0
	s_delay_alu instid0(VALU_DEP_1) | instskip(NEXT) | instid1(VALU_DEP_1)
	v_mul_f64 v[226:227], v[224:225], v[222:223]
	v_fma_f64 v[218:219], -v[218:219], v[226:227], v[224:225]
	s_delay_alu instid0(VALU_DEP_1) | instskip(NEXT) | instid1(VALU_DEP_1)
	v_div_fmas_f64 v[218:219], v[218:219], v[222:223], v[226:227]
	v_div_fixup_f64 v[222:223], v[218:219], v[216:217], 1.0
                                        ; implicit-def: $vgpr216_vgpr217
	s_delay_alu instid0(VALU_DEP_1)
	v_mul_f64 v[224:225], v[220:221], v[222:223]
	v_xor_b32_e32 v223, 0x80000000, v223
.LBB119_428:
	s_and_not1_saveexec_b32 s3, s3
	s_cbranch_execz .LBB119_430
; %bb.429:
	v_div_scale_f64 v[220:221], null, v[216:217], v[216:217], v[218:219]
	v_div_scale_f64 v[226:227], vcc_lo, v[218:219], v[216:217], v[218:219]
	s_delay_alu instid0(VALU_DEP_2) | instskip(SKIP_2) | instid1(VALU_DEP_1)
	v_rcp_f64_e32 v[222:223], v[220:221]
	s_waitcnt_depctr 0xfff
	v_fma_f64 v[224:225], -v[220:221], v[222:223], 1.0
	v_fma_f64 v[222:223], v[222:223], v[224:225], v[222:223]
	s_delay_alu instid0(VALU_DEP_1) | instskip(NEXT) | instid1(VALU_DEP_1)
	v_fma_f64 v[224:225], -v[220:221], v[222:223], 1.0
	v_fma_f64 v[222:223], v[222:223], v[224:225], v[222:223]
	s_delay_alu instid0(VALU_DEP_1) | instskip(NEXT) | instid1(VALU_DEP_1)
	v_mul_f64 v[224:225], v[226:227], v[222:223]
	v_fma_f64 v[220:221], -v[220:221], v[224:225], v[226:227]
	s_delay_alu instid0(VALU_DEP_1) | instskip(NEXT) | instid1(VALU_DEP_1)
	v_div_fmas_f64 v[220:221], v[220:221], v[222:223], v[224:225]
	v_div_fixup_f64 v[220:221], v[220:221], v[216:217], v[218:219]
	s_delay_alu instid0(VALU_DEP_1) | instskip(NEXT) | instid1(VALU_DEP_1)
	v_fma_f64 v[216:217], v[218:219], v[220:221], v[216:217]
	v_div_scale_f64 v[218:219], null, v[216:217], v[216:217], 1.0
	s_delay_alu instid0(VALU_DEP_1) | instskip(SKIP_2) | instid1(VALU_DEP_1)
	v_rcp_f64_e32 v[222:223], v[218:219]
	s_waitcnt_depctr 0xfff
	v_fma_f64 v[224:225], -v[218:219], v[222:223], 1.0
	v_fma_f64 v[222:223], v[222:223], v[224:225], v[222:223]
	s_delay_alu instid0(VALU_DEP_1) | instskip(NEXT) | instid1(VALU_DEP_1)
	v_fma_f64 v[224:225], -v[218:219], v[222:223], 1.0
	v_fma_f64 v[222:223], v[222:223], v[224:225], v[222:223]
	v_div_scale_f64 v[224:225], vcc_lo, 1.0, v[216:217], 1.0
	s_delay_alu instid0(VALU_DEP_1) | instskip(NEXT) | instid1(VALU_DEP_1)
	v_mul_f64 v[226:227], v[224:225], v[222:223]
	v_fma_f64 v[218:219], -v[218:219], v[226:227], v[224:225]
	s_delay_alu instid0(VALU_DEP_1) | instskip(NEXT) | instid1(VALU_DEP_1)
	v_div_fmas_f64 v[218:219], v[218:219], v[222:223], v[226:227]
	v_div_fixup_f64 v[224:225], v[218:219], v[216:217], 1.0
	s_delay_alu instid0(VALU_DEP_1)
	v_mul_f64 v[222:223], v[220:221], -v[224:225]
.LBB119_430:
	s_or_b32 exec_lo, exec_lo, s3
	ds_store_2addr_b64 v248, v[224:225], v[222:223] offset1:1
.LBB119_431:
	s_or_b32 exec_lo, exec_lo, s4
	s_waitcnt lgkmcnt(0)
	s_barrier
	buffer_gl0_inv
	ds_load_2addr_b64 v[208:211], v248 offset1:1
	s_mov_b32 s3, exec_lo
	s_waitcnt lgkmcnt(0)
	scratch_store_b128 off, v[208:211], off offset:1360 ; 16-byte Folded Spill
	v_cmpx_lt_u32_e32 47, v251
	s_cbranch_execz .LBB119_433
; %bb.432:
	scratch_load_b128 v[208:211], off, off offset:1360 ; 16-byte Folded Reload
	ds_load_2addr_b64 v[218:221], v250 offset0:96 offset1:97
	s_waitcnt vmcnt(0)
	v_mul_f64 v[216:217], v[208:209], v[50:51]
	v_mul_f64 v[50:51], v[210:211], v[50:51]
	s_delay_alu instid0(VALU_DEP_2) | instskip(NEXT) | instid1(VALU_DEP_2)
	v_fma_f64 v[216:217], v[210:211], v[48:49], v[216:217]
	v_fma_f64 v[48:49], v[208:209], v[48:49], -v[50:51]
	s_waitcnt lgkmcnt(0)
	s_delay_alu instid0(VALU_DEP_2) | instskip(NEXT) | instid1(VALU_DEP_1)
	v_mul_f64 v[50:51], v[220:221], v[216:217]
	v_fma_f64 v[50:51], v[218:219], v[48:49], -v[50:51]
	v_mul_f64 v[218:219], v[218:219], v[216:217]
	s_delay_alu instid0(VALU_DEP_2) | instskip(NEXT) | instid1(VALU_DEP_2)
	v_add_f64 v[44:45], v[44:45], -v[50:51]
	v_fma_f64 v[218:219], v[220:221], v[48:49], v[218:219]
	s_delay_alu instid0(VALU_DEP_1) | instskip(SKIP_3) | instid1(VALU_DEP_1)
	v_add_f64 v[46:47], v[46:47], -v[218:219]
	ds_load_2addr_b64 v[218:221], v250 offset0:98 offset1:99
	s_waitcnt lgkmcnt(0)
	v_mul_f64 v[50:51], v[220:221], v[216:217]
	v_fma_f64 v[50:51], v[218:219], v[48:49], -v[50:51]
	v_mul_f64 v[218:219], v[218:219], v[216:217]
	s_delay_alu instid0(VALU_DEP_2) | instskip(NEXT) | instid1(VALU_DEP_2)
	v_add_f64 v[40:41], v[40:41], -v[50:51]
	v_fma_f64 v[218:219], v[220:221], v[48:49], v[218:219]
	s_delay_alu instid0(VALU_DEP_1) | instskip(SKIP_3) | instid1(VALU_DEP_1)
	v_add_f64 v[42:43], v[42:43], -v[218:219]
	ds_load_2addr_b64 v[218:221], v250 offset0:100 offset1:101
	s_waitcnt lgkmcnt(0)
	;; [unrolled: 10-line block ×11, first 2 shown]
	v_mul_f64 v[50:51], v[220:221], v[216:217]
	v_fma_f64 v[50:51], v[218:219], v[48:49], -v[50:51]
	v_mul_f64 v[218:219], v[218:219], v[216:217]
	s_delay_alu instid0(VALU_DEP_2) | instskip(NEXT) | instid1(VALU_DEP_2)
	v_add_f64 v[0:1], v[0:1], -v[50:51]
	v_fma_f64 v[218:219], v[220:221], v[48:49], v[218:219]
	v_dual_mov_b32 v50, v216 :: v_dual_mov_b32 v51, v217
	s_delay_alu instid0(VALU_DEP_2)
	v_add_f64 v[2:3], v[2:3], -v[218:219]
.LBB119_433:
	s_or_b32 exec_lo, exec_lo, s3
	s_delay_alu instid0(SALU_CYCLE_1)
	s_mov_b32 s4, exec_lo
	s_waitcnt_vscnt null, 0x0
	s_barrier
	buffer_gl0_inv
	v_cmpx_eq_u32_e32 48, v251
	s_cbranch_execz .LBB119_440
; %bb.434:
	ds_store_2addr_b64 v248, v[44:45], v[46:47] offset1:1
	ds_store_2addr_b64 v250, v[40:41], v[42:43] offset0:98 offset1:99
	ds_store_2addr_b64 v250, v[36:37], v[38:39] offset0:100 offset1:101
	ds_store_2addr_b64 v250, v[32:33], v[34:35] offset0:102 offset1:103
	ds_store_2addr_b64 v250, v[28:29], v[30:31] offset0:104 offset1:105
	ds_store_2addr_b64 v250, v[24:25], v[26:27] offset0:106 offset1:107
	ds_store_2addr_b64 v250, v[20:21], v[22:23] offset0:108 offset1:109
	ds_store_2addr_b64 v250, v[16:17], v[18:19] offset0:110 offset1:111
	ds_store_2addr_b64 v250, v[12:13], v[14:15] offset0:112 offset1:113
	ds_store_2addr_b64 v250, v[8:9], v[10:11] offset0:114 offset1:115
	ds_store_2addr_b64 v250, v[4:5], v[6:7] offset0:116 offset1:117
	ds_store_2addr_b64 v250, v[0:1], v[2:3] offset0:118 offset1:119
	ds_load_2addr_b64 v[216:219], v248 offset1:1
	s_waitcnt lgkmcnt(0)
	v_cmp_neq_f64_e32 vcc_lo, 0, v[216:217]
	v_cmp_neq_f64_e64 s3, 0, v[218:219]
	s_delay_alu instid0(VALU_DEP_1) | instskip(NEXT) | instid1(SALU_CYCLE_1)
	s_or_b32 s3, vcc_lo, s3
	s_and_b32 exec_lo, exec_lo, s3
	s_cbranch_execz .LBB119_440
; %bb.435:
	v_cmp_gt_f64_e32 vcc_lo, 0, v[216:217]
	v_xor_b32_e32 v212, 0x80000000, v217
	s_mov_b32 s3, exec_lo
                                        ; implicit-def: $vgpr224_vgpr225
	s_delay_alu instid0(VALU_DEP_1) | instskip(SKIP_3) | instid1(VALU_DEP_1)
	v_cndmask_b32_e32 v221, v217, v212, vcc_lo
	v_cndmask_b32_e32 v220, v216, v216, vcc_lo
	v_cmp_gt_f64_e32 vcc_lo, 0, v[218:219]
	v_xor_b32_e32 v212, 0x80000000, v219
	v_dual_cndmask_b32 v222, v218, v218 :: v_dual_cndmask_b32 v223, v219, v212
	s_delay_alu instid0(VALU_DEP_1)
	v_cmpx_ngt_f64_e32 v[220:221], v[222:223]
	s_xor_b32 s3, exec_lo, s3
                                        ; implicit-def: $vgpr220_vgpr221_vgpr222_vgpr223
	s_cbranch_execz .LBB119_437
; %bb.436:
	v_div_scale_f64 v[220:221], null, v[218:219], v[218:219], v[216:217]
	v_div_scale_f64 v[226:227], vcc_lo, v[216:217], v[218:219], v[216:217]
	s_delay_alu instid0(VALU_DEP_2) | instskip(SKIP_2) | instid1(VALU_DEP_1)
	v_rcp_f64_e32 v[222:223], v[220:221]
	s_waitcnt_depctr 0xfff
	v_fma_f64 v[224:225], -v[220:221], v[222:223], 1.0
	v_fma_f64 v[222:223], v[222:223], v[224:225], v[222:223]
	s_delay_alu instid0(VALU_DEP_1) | instskip(NEXT) | instid1(VALU_DEP_1)
	v_fma_f64 v[224:225], -v[220:221], v[222:223], 1.0
	v_fma_f64 v[222:223], v[222:223], v[224:225], v[222:223]
	s_delay_alu instid0(VALU_DEP_1) | instskip(NEXT) | instid1(VALU_DEP_1)
	v_mul_f64 v[224:225], v[226:227], v[222:223]
	v_fma_f64 v[220:221], -v[220:221], v[224:225], v[226:227]
	s_delay_alu instid0(VALU_DEP_1) | instskip(NEXT) | instid1(VALU_DEP_1)
	v_div_fmas_f64 v[220:221], v[220:221], v[222:223], v[224:225]
	v_div_fixup_f64 v[220:221], v[220:221], v[218:219], v[216:217]
	s_delay_alu instid0(VALU_DEP_1) | instskip(NEXT) | instid1(VALU_DEP_1)
	v_fma_f64 v[216:217], v[216:217], v[220:221], v[218:219]
	v_div_scale_f64 v[218:219], null, v[216:217], v[216:217], 1.0
	s_delay_alu instid0(VALU_DEP_1) | instskip(SKIP_2) | instid1(VALU_DEP_1)
	v_rcp_f64_e32 v[222:223], v[218:219]
	s_waitcnt_depctr 0xfff
	v_fma_f64 v[224:225], -v[218:219], v[222:223], 1.0
	v_fma_f64 v[222:223], v[222:223], v[224:225], v[222:223]
	s_delay_alu instid0(VALU_DEP_1) | instskip(NEXT) | instid1(VALU_DEP_1)
	v_fma_f64 v[224:225], -v[218:219], v[222:223], 1.0
	v_fma_f64 v[222:223], v[222:223], v[224:225], v[222:223]
	v_div_scale_f64 v[224:225], vcc_lo, 1.0, v[216:217], 1.0
	s_delay_alu instid0(VALU_DEP_1) | instskip(NEXT) | instid1(VALU_DEP_1)
	v_mul_f64 v[226:227], v[224:225], v[222:223]
	v_fma_f64 v[218:219], -v[218:219], v[226:227], v[224:225]
	s_delay_alu instid0(VALU_DEP_1) | instskip(NEXT) | instid1(VALU_DEP_1)
	v_div_fmas_f64 v[218:219], v[218:219], v[222:223], v[226:227]
	v_div_fixup_f64 v[222:223], v[218:219], v[216:217], 1.0
                                        ; implicit-def: $vgpr216_vgpr217
	s_delay_alu instid0(VALU_DEP_1)
	v_mul_f64 v[224:225], v[220:221], v[222:223]
	v_xor_b32_e32 v223, 0x80000000, v223
.LBB119_437:
	s_and_not1_saveexec_b32 s3, s3
	s_cbranch_execz .LBB119_439
; %bb.438:
	v_div_scale_f64 v[220:221], null, v[216:217], v[216:217], v[218:219]
	v_div_scale_f64 v[226:227], vcc_lo, v[218:219], v[216:217], v[218:219]
	s_delay_alu instid0(VALU_DEP_2) | instskip(SKIP_2) | instid1(VALU_DEP_1)
	v_rcp_f64_e32 v[222:223], v[220:221]
	s_waitcnt_depctr 0xfff
	v_fma_f64 v[224:225], -v[220:221], v[222:223], 1.0
	v_fma_f64 v[222:223], v[222:223], v[224:225], v[222:223]
	s_delay_alu instid0(VALU_DEP_1) | instskip(NEXT) | instid1(VALU_DEP_1)
	v_fma_f64 v[224:225], -v[220:221], v[222:223], 1.0
	v_fma_f64 v[222:223], v[222:223], v[224:225], v[222:223]
	s_delay_alu instid0(VALU_DEP_1) | instskip(NEXT) | instid1(VALU_DEP_1)
	v_mul_f64 v[224:225], v[226:227], v[222:223]
	v_fma_f64 v[220:221], -v[220:221], v[224:225], v[226:227]
	s_delay_alu instid0(VALU_DEP_1) | instskip(NEXT) | instid1(VALU_DEP_1)
	v_div_fmas_f64 v[220:221], v[220:221], v[222:223], v[224:225]
	v_div_fixup_f64 v[220:221], v[220:221], v[216:217], v[218:219]
	s_delay_alu instid0(VALU_DEP_1) | instskip(NEXT) | instid1(VALU_DEP_1)
	v_fma_f64 v[216:217], v[218:219], v[220:221], v[216:217]
	v_div_scale_f64 v[218:219], null, v[216:217], v[216:217], 1.0
	s_delay_alu instid0(VALU_DEP_1) | instskip(SKIP_2) | instid1(VALU_DEP_1)
	v_rcp_f64_e32 v[222:223], v[218:219]
	s_waitcnt_depctr 0xfff
	v_fma_f64 v[224:225], -v[218:219], v[222:223], 1.0
	v_fma_f64 v[222:223], v[222:223], v[224:225], v[222:223]
	s_delay_alu instid0(VALU_DEP_1) | instskip(NEXT) | instid1(VALU_DEP_1)
	v_fma_f64 v[224:225], -v[218:219], v[222:223], 1.0
	v_fma_f64 v[222:223], v[222:223], v[224:225], v[222:223]
	v_div_scale_f64 v[224:225], vcc_lo, 1.0, v[216:217], 1.0
	s_delay_alu instid0(VALU_DEP_1) | instskip(NEXT) | instid1(VALU_DEP_1)
	v_mul_f64 v[226:227], v[224:225], v[222:223]
	v_fma_f64 v[218:219], -v[218:219], v[226:227], v[224:225]
	s_delay_alu instid0(VALU_DEP_1) | instskip(NEXT) | instid1(VALU_DEP_1)
	v_div_fmas_f64 v[218:219], v[218:219], v[222:223], v[226:227]
	v_div_fixup_f64 v[224:225], v[218:219], v[216:217], 1.0
	s_delay_alu instid0(VALU_DEP_1)
	v_mul_f64 v[222:223], v[220:221], -v[224:225]
.LBB119_439:
	s_or_b32 exec_lo, exec_lo, s3
	ds_store_2addr_b64 v248, v[224:225], v[222:223] offset1:1
.LBB119_440:
	s_or_b32 exec_lo, exec_lo, s4
	s_waitcnt lgkmcnt(0)
	s_barrier
	buffer_gl0_inv
	ds_load_2addr_b64 v[208:211], v248 offset1:1
	s_mov_b32 s3, exec_lo
	s_waitcnt lgkmcnt(0)
	scratch_store_b128 off, v[208:211], off offset:1376 ; 16-byte Folded Spill
	v_cmpx_lt_u32_e32 48, v251
	s_cbranch_execz .LBB119_442
; %bb.441:
	scratch_load_b128 v[208:211], off, off offset:1376 ; 16-byte Folded Reload
	ds_load_2addr_b64 v[218:221], v250 offset0:98 offset1:99
	s_waitcnt vmcnt(0)
	v_mul_f64 v[216:217], v[208:209], v[46:47]
	v_mul_f64 v[46:47], v[210:211], v[46:47]
	s_delay_alu instid0(VALU_DEP_2) | instskip(NEXT) | instid1(VALU_DEP_2)
	v_fma_f64 v[216:217], v[210:211], v[44:45], v[216:217]
	v_fma_f64 v[44:45], v[208:209], v[44:45], -v[46:47]
	s_waitcnt lgkmcnt(0)
	s_delay_alu instid0(VALU_DEP_2) | instskip(NEXT) | instid1(VALU_DEP_1)
	v_mul_f64 v[46:47], v[220:221], v[216:217]
	v_fma_f64 v[46:47], v[218:219], v[44:45], -v[46:47]
	v_mul_f64 v[218:219], v[218:219], v[216:217]
	s_delay_alu instid0(VALU_DEP_2) | instskip(NEXT) | instid1(VALU_DEP_2)
	v_add_f64 v[40:41], v[40:41], -v[46:47]
	v_fma_f64 v[218:219], v[220:221], v[44:45], v[218:219]
	s_delay_alu instid0(VALU_DEP_1) | instskip(SKIP_3) | instid1(VALU_DEP_1)
	v_add_f64 v[42:43], v[42:43], -v[218:219]
	ds_load_2addr_b64 v[218:221], v250 offset0:100 offset1:101
	s_waitcnt lgkmcnt(0)
	v_mul_f64 v[46:47], v[220:221], v[216:217]
	v_fma_f64 v[46:47], v[218:219], v[44:45], -v[46:47]
	v_mul_f64 v[218:219], v[218:219], v[216:217]
	s_delay_alu instid0(VALU_DEP_2) | instskip(NEXT) | instid1(VALU_DEP_2)
	v_add_f64 v[36:37], v[36:37], -v[46:47]
	v_fma_f64 v[218:219], v[220:221], v[44:45], v[218:219]
	s_delay_alu instid0(VALU_DEP_1) | instskip(SKIP_3) | instid1(VALU_DEP_1)
	v_add_f64 v[38:39], v[38:39], -v[218:219]
	ds_load_2addr_b64 v[218:221], v250 offset0:102 offset1:103
	s_waitcnt lgkmcnt(0)
	;; [unrolled: 10-line block ×10, first 2 shown]
	v_mul_f64 v[46:47], v[220:221], v[216:217]
	v_fma_f64 v[46:47], v[218:219], v[44:45], -v[46:47]
	v_mul_f64 v[218:219], v[218:219], v[216:217]
	s_delay_alu instid0(VALU_DEP_2) | instskip(NEXT) | instid1(VALU_DEP_2)
	v_add_f64 v[0:1], v[0:1], -v[46:47]
	v_fma_f64 v[218:219], v[220:221], v[44:45], v[218:219]
	v_dual_mov_b32 v46, v216 :: v_dual_mov_b32 v47, v217
	s_delay_alu instid0(VALU_DEP_2)
	v_add_f64 v[2:3], v[2:3], -v[218:219]
.LBB119_442:
	s_or_b32 exec_lo, exec_lo, s3
	s_delay_alu instid0(SALU_CYCLE_1)
	s_mov_b32 s4, exec_lo
	s_waitcnt_vscnt null, 0x0
	s_barrier
	buffer_gl0_inv
	v_cmpx_eq_u32_e32 49, v251
	s_cbranch_execz .LBB119_449
; %bb.443:
	ds_store_2addr_b64 v248, v[40:41], v[42:43] offset1:1
	ds_store_2addr_b64 v250, v[36:37], v[38:39] offset0:100 offset1:101
	ds_store_2addr_b64 v250, v[32:33], v[34:35] offset0:102 offset1:103
	;; [unrolled: 1-line block ×10, first 2 shown]
	ds_load_2addr_b64 v[216:219], v248 offset1:1
	s_waitcnt lgkmcnt(0)
	v_cmp_neq_f64_e32 vcc_lo, 0, v[216:217]
	v_cmp_neq_f64_e64 s3, 0, v[218:219]
	s_delay_alu instid0(VALU_DEP_1) | instskip(NEXT) | instid1(SALU_CYCLE_1)
	s_or_b32 s3, vcc_lo, s3
	s_and_b32 exec_lo, exec_lo, s3
	s_cbranch_execz .LBB119_449
; %bb.444:
	v_cmp_gt_f64_e32 vcc_lo, 0, v[216:217]
	v_xor_b32_e32 v212, 0x80000000, v217
	s_mov_b32 s3, exec_lo
                                        ; implicit-def: $vgpr224_vgpr225
	s_delay_alu instid0(VALU_DEP_1) | instskip(SKIP_3) | instid1(VALU_DEP_1)
	v_cndmask_b32_e32 v221, v217, v212, vcc_lo
	v_cndmask_b32_e32 v220, v216, v216, vcc_lo
	v_cmp_gt_f64_e32 vcc_lo, 0, v[218:219]
	v_xor_b32_e32 v212, 0x80000000, v219
	v_dual_cndmask_b32 v222, v218, v218 :: v_dual_cndmask_b32 v223, v219, v212
	s_delay_alu instid0(VALU_DEP_1)
	v_cmpx_ngt_f64_e32 v[220:221], v[222:223]
	s_xor_b32 s3, exec_lo, s3
                                        ; implicit-def: $vgpr220_vgpr221_vgpr222_vgpr223
	s_cbranch_execz .LBB119_446
; %bb.445:
	v_div_scale_f64 v[220:221], null, v[218:219], v[218:219], v[216:217]
	v_div_scale_f64 v[226:227], vcc_lo, v[216:217], v[218:219], v[216:217]
	s_delay_alu instid0(VALU_DEP_2) | instskip(SKIP_2) | instid1(VALU_DEP_1)
	v_rcp_f64_e32 v[222:223], v[220:221]
	s_waitcnt_depctr 0xfff
	v_fma_f64 v[224:225], -v[220:221], v[222:223], 1.0
	v_fma_f64 v[222:223], v[222:223], v[224:225], v[222:223]
	s_delay_alu instid0(VALU_DEP_1) | instskip(NEXT) | instid1(VALU_DEP_1)
	v_fma_f64 v[224:225], -v[220:221], v[222:223], 1.0
	v_fma_f64 v[222:223], v[222:223], v[224:225], v[222:223]
	s_delay_alu instid0(VALU_DEP_1) | instskip(NEXT) | instid1(VALU_DEP_1)
	v_mul_f64 v[224:225], v[226:227], v[222:223]
	v_fma_f64 v[220:221], -v[220:221], v[224:225], v[226:227]
	s_delay_alu instid0(VALU_DEP_1) | instskip(NEXT) | instid1(VALU_DEP_1)
	v_div_fmas_f64 v[220:221], v[220:221], v[222:223], v[224:225]
	v_div_fixup_f64 v[220:221], v[220:221], v[218:219], v[216:217]
	s_delay_alu instid0(VALU_DEP_1) | instskip(NEXT) | instid1(VALU_DEP_1)
	v_fma_f64 v[216:217], v[216:217], v[220:221], v[218:219]
	v_div_scale_f64 v[218:219], null, v[216:217], v[216:217], 1.0
	s_delay_alu instid0(VALU_DEP_1) | instskip(SKIP_2) | instid1(VALU_DEP_1)
	v_rcp_f64_e32 v[222:223], v[218:219]
	s_waitcnt_depctr 0xfff
	v_fma_f64 v[224:225], -v[218:219], v[222:223], 1.0
	v_fma_f64 v[222:223], v[222:223], v[224:225], v[222:223]
	s_delay_alu instid0(VALU_DEP_1) | instskip(NEXT) | instid1(VALU_DEP_1)
	v_fma_f64 v[224:225], -v[218:219], v[222:223], 1.0
	v_fma_f64 v[222:223], v[222:223], v[224:225], v[222:223]
	v_div_scale_f64 v[224:225], vcc_lo, 1.0, v[216:217], 1.0
	s_delay_alu instid0(VALU_DEP_1) | instskip(NEXT) | instid1(VALU_DEP_1)
	v_mul_f64 v[226:227], v[224:225], v[222:223]
	v_fma_f64 v[218:219], -v[218:219], v[226:227], v[224:225]
	s_delay_alu instid0(VALU_DEP_1) | instskip(NEXT) | instid1(VALU_DEP_1)
	v_div_fmas_f64 v[218:219], v[218:219], v[222:223], v[226:227]
	v_div_fixup_f64 v[222:223], v[218:219], v[216:217], 1.0
                                        ; implicit-def: $vgpr216_vgpr217
	s_delay_alu instid0(VALU_DEP_1)
	v_mul_f64 v[224:225], v[220:221], v[222:223]
	v_xor_b32_e32 v223, 0x80000000, v223
.LBB119_446:
	s_and_not1_saveexec_b32 s3, s3
	s_cbranch_execz .LBB119_448
; %bb.447:
	v_div_scale_f64 v[220:221], null, v[216:217], v[216:217], v[218:219]
	v_div_scale_f64 v[226:227], vcc_lo, v[218:219], v[216:217], v[218:219]
	s_delay_alu instid0(VALU_DEP_2) | instskip(SKIP_2) | instid1(VALU_DEP_1)
	v_rcp_f64_e32 v[222:223], v[220:221]
	s_waitcnt_depctr 0xfff
	v_fma_f64 v[224:225], -v[220:221], v[222:223], 1.0
	v_fma_f64 v[222:223], v[222:223], v[224:225], v[222:223]
	s_delay_alu instid0(VALU_DEP_1) | instskip(NEXT) | instid1(VALU_DEP_1)
	v_fma_f64 v[224:225], -v[220:221], v[222:223], 1.0
	v_fma_f64 v[222:223], v[222:223], v[224:225], v[222:223]
	s_delay_alu instid0(VALU_DEP_1) | instskip(NEXT) | instid1(VALU_DEP_1)
	v_mul_f64 v[224:225], v[226:227], v[222:223]
	v_fma_f64 v[220:221], -v[220:221], v[224:225], v[226:227]
	s_delay_alu instid0(VALU_DEP_1) | instskip(NEXT) | instid1(VALU_DEP_1)
	v_div_fmas_f64 v[220:221], v[220:221], v[222:223], v[224:225]
	v_div_fixup_f64 v[220:221], v[220:221], v[216:217], v[218:219]
	s_delay_alu instid0(VALU_DEP_1) | instskip(NEXT) | instid1(VALU_DEP_1)
	v_fma_f64 v[216:217], v[218:219], v[220:221], v[216:217]
	v_div_scale_f64 v[218:219], null, v[216:217], v[216:217], 1.0
	s_delay_alu instid0(VALU_DEP_1) | instskip(SKIP_2) | instid1(VALU_DEP_1)
	v_rcp_f64_e32 v[222:223], v[218:219]
	s_waitcnt_depctr 0xfff
	v_fma_f64 v[224:225], -v[218:219], v[222:223], 1.0
	v_fma_f64 v[222:223], v[222:223], v[224:225], v[222:223]
	s_delay_alu instid0(VALU_DEP_1) | instskip(NEXT) | instid1(VALU_DEP_1)
	v_fma_f64 v[224:225], -v[218:219], v[222:223], 1.0
	v_fma_f64 v[222:223], v[222:223], v[224:225], v[222:223]
	v_div_scale_f64 v[224:225], vcc_lo, 1.0, v[216:217], 1.0
	s_delay_alu instid0(VALU_DEP_1) | instskip(NEXT) | instid1(VALU_DEP_1)
	v_mul_f64 v[226:227], v[224:225], v[222:223]
	v_fma_f64 v[218:219], -v[218:219], v[226:227], v[224:225]
	s_delay_alu instid0(VALU_DEP_1) | instskip(NEXT) | instid1(VALU_DEP_1)
	v_div_fmas_f64 v[218:219], v[218:219], v[222:223], v[226:227]
	v_div_fixup_f64 v[224:225], v[218:219], v[216:217], 1.0
	s_delay_alu instid0(VALU_DEP_1)
	v_mul_f64 v[222:223], v[220:221], -v[224:225]
.LBB119_448:
	s_or_b32 exec_lo, exec_lo, s3
	ds_store_2addr_b64 v248, v[224:225], v[222:223] offset1:1
.LBB119_449:
	s_or_b32 exec_lo, exec_lo, s4
	s_waitcnt lgkmcnt(0)
	s_barrier
	buffer_gl0_inv
	ds_load_2addr_b64 v[208:211], v248 offset1:1
	s_mov_b32 s3, exec_lo
	s_waitcnt lgkmcnt(0)
	scratch_store_b128 off, v[208:211], off offset:1392 ; 16-byte Folded Spill
	v_cmpx_lt_u32_e32 49, v251
	s_cbranch_execz .LBB119_451
; %bb.450:
	scratch_load_b128 v[208:211], off, off offset:1392 ; 16-byte Folded Reload
	s_waitcnt vmcnt(0)
	v_mul_f64 v[216:217], v[208:209], v[42:43]
	v_mul_f64 v[42:43], v[210:211], v[42:43]
	s_delay_alu instid0(VALU_DEP_2) | instskip(SKIP_4) | instid1(VALU_DEP_1)
	v_fma_f64 v[220:221], v[210:211], v[40:41], v[216:217]
	ds_load_2addr_b64 v[216:219], v250 offset0:100 offset1:101
	v_fma_f64 v[40:41], v[208:209], v[40:41], -v[42:43]
	s_waitcnt lgkmcnt(0)
	v_mul_f64 v[42:43], v[218:219], v[220:221]
	v_fma_f64 v[42:43], v[216:217], v[40:41], -v[42:43]
	v_mul_f64 v[216:217], v[216:217], v[220:221]
	s_delay_alu instid0(VALU_DEP_2) | instskip(NEXT) | instid1(VALU_DEP_2)
	v_add_f64 v[36:37], v[36:37], -v[42:43]
	v_fma_f64 v[216:217], v[218:219], v[40:41], v[216:217]
	s_delay_alu instid0(VALU_DEP_1) | instskip(SKIP_3) | instid1(VALU_DEP_1)
	v_add_f64 v[38:39], v[38:39], -v[216:217]
	ds_load_2addr_b64 v[216:219], v250 offset0:102 offset1:103
	s_waitcnt lgkmcnt(0)
	v_mul_f64 v[42:43], v[218:219], v[220:221]
	v_fma_f64 v[42:43], v[216:217], v[40:41], -v[42:43]
	v_mul_f64 v[216:217], v[216:217], v[220:221]
	s_delay_alu instid0(VALU_DEP_2) | instskip(NEXT) | instid1(VALU_DEP_2)
	v_add_f64 v[32:33], v[32:33], -v[42:43]
	v_fma_f64 v[216:217], v[218:219], v[40:41], v[216:217]
	s_delay_alu instid0(VALU_DEP_1) | instskip(SKIP_3) | instid1(VALU_DEP_1)
	v_add_f64 v[34:35], v[34:35], -v[216:217]
	ds_load_2addr_b64 v[216:219], v250 offset0:104 offset1:105
	;; [unrolled: 10-line block ×9, first 2 shown]
	s_waitcnt lgkmcnt(0)
	v_mul_f64 v[42:43], v[218:219], v[220:221]
	v_fma_f64 v[42:43], v[216:217], v[40:41], -v[42:43]
	v_mul_f64 v[216:217], v[216:217], v[220:221]
	s_delay_alu instid0(VALU_DEP_2) | instskip(NEXT) | instid1(VALU_DEP_2)
	v_add_f64 v[0:1], v[0:1], -v[42:43]
	v_fma_f64 v[216:217], v[218:219], v[40:41], v[216:217]
	v_dual_mov_b32 v42, v220 :: v_dual_mov_b32 v43, v221
	s_delay_alu instid0(VALU_DEP_2)
	v_add_f64 v[2:3], v[2:3], -v[216:217]
.LBB119_451:
	s_or_b32 exec_lo, exec_lo, s3
	s_delay_alu instid0(SALU_CYCLE_1)
	s_mov_b32 s4, exec_lo
	s_waitcnt_vscnt null, 0x0
	s_barrier
	buffer_gl0_inv
	v_cmpx_eq_u32_e32 50, v251
	s_cbranch_execz .LBB119_458
; %bb.452:
	ds_store_2addr_b64 v248, v[36:37], v[38:39] offset1:1
	ds_store_2addr_b64 v250, v[32:33], v[34:35] offset0:102 offset1:103
	ds_store_2addr_b64 v250, v[28:29], v[30:31] offset0:104 offset1:105
	;; [unrolled: 1-line block ×9, first 2 shown]
	ds_load_2addr_b64 v[216:219], v248 offset1:1
	s_waitcnt lgkmcnt(0)
	v_cmp_neq_f64_e32 vcc_lo, 0, v[216:217]
	v_cmp_neq_f64_e64 s3, 0, v[218:219]
	s_delay_alu instid0(VALU_DEP_1) | instskip(NEXT) | instid1(SALU_CYCLE_1)
	s_or_b32 s3, vcc_lo, s3
	s_and_b32 exec_lo, exec_lo, s3
	s_cbranch_execz .LBB119_458
; %bb.453:
	v_cmp_gt_f64_e32 vcc_lo, 0, v[216:217]
	v_xor_b32_e32 v212, 0x80000000, v217
	s_mov_b32 s3, exec_lo
                                        ; implicit-def: $vgpr224_vgpr225
	s_delay_alu instid0(VALU_DEP_1) | instskip(SKIP_3) | instid1(VALU_DEP_1)
	v_cndmask_b32_e32 v221, v217, v212, vcc_lo
	v_cndmask_b32_e32 v220, v216, v216, vcc_lo
	v_cmp_gt_f64_e32 vcc_lo, 0, v[218:219]
	v_xor_b32_e32 v212, 0x80000000, v219
	v_dual_cndmask_b32 v222, v218, v218 :: v_dual_cndmask_b32 v223, v219, v212
	s_delay_alu instid0(VALU_DEP_1)
	v_cmpx_ngt_f64_e32 v[220:221], v[222:223]
	s_xor_b32 s3, exec_lo, s3
                                        ; implicit-def: $vgpr220_vgpr221_vgpr222_vgpr223
	s_cbranch_execz .LBB119_455
; %bb.454:
	v_div_scale_f64 v[220:221], null, v[218:219], v[218:219], v[216:217]
	v_div_scale_f64 v[226:227], vcc_lo, v[216:217], v[218:219], v[216:217]
	s_delay_alu instid0(VALU_DEP_2) | instskip(SKIP_2) | instid1(VALU_DEP_1)
	v_rcp_f64_e32 v[222:223], v[220:221]
	s_waitcnt_depctr 0xfff
	v_fma_f64 v[224:225], -v[220:221], v[222:223], 1.0
	v_fma_f64 v[222:223], v[222:223], v[224:225], v[222:223]
	s_delay_alu instid0(VALU_DEP_1) | instskip(NEXT) | instid1(VALU_DEP_1)
	v_fma_f64 v[224:225], -v[220:221], v[222:223], 1.0
	v_fma_f64 v[222:223], v[222:223], v[224:225], v[222:223]
	s_delay_alu instid0(VALU_DEP_1) | instskip(NEXT) | instid1(VALU_DEP_1)
	v_mul_f64 v[224:225], v[226:227], v[222:223]
	v_fma_f64 v[220:221], -v[220:221], v[224:225], v[226:227]
	s_delay_alu instid0(VALU_DEP_1) | instskip(NEXT) | instid1(VALU_DEP_1)
	v_div_fmas_f64 v[220:221], v[220:221], v[222:223], v[224:225]
	v_div_fixup_f64 v[220:221], v[220:221], v[218:219], v[216:217]
	s_delay_alu instid0(VALU_DEP_1) | instskip(NEXT) | instid1(VALU_DEP_1)
	v_fma_f64 v[216:217], v[216:217], v[220:221], v[218:219]
	v_div_scale_f64 v[218:219], null, v[216:217], v[216:217], 1.0
	s_delay_alu instid0(VALU_DEP_1) | instskip(SKIP_2) | instid1(VALU_DEP_1)
	v_rcp_f64_e32 v[222:223], v[218:219]
	s_waitcnt_depctr 0xfff
	v_fma_f64 v[224:225], -v[218:219], v[222:223], 1.0
	v_fma_f64 v[222:223], v[222:223], v[224:225], v[222:223]
	s_delay_alu instid0(VALU_DEP_1) | instskip(NEXT) | instid1(VALU_DEP_1)
	v_fma_f64 v[224:225], -v[218:219], v[222:223], 1.0
	v_fma_f64 v[222:223], v[222:223], v[224:225], v[222:223]
	v_div_scale_f64 v[224:225], vcc_lo, 1.0, v[216:217], 1.0
	s_delay_alu instid0(VALU_DEP_1) | instskip(NEXT) | instid1(VALU_DEP_1)
	v_mul_f64 v[226:227], v[224:225], v[222:223]
	v_fma_f64 v[218:219], -v[218:219], v[226:227], v[224:225]
	s_delay_alu instid0(VALU_DEP_1) | instskip(NEXT) | instid1(VALU_DEP_1)
	v_div_fmas_f64 v[218:219], v[218:219], v[222:223], v[226:227]
	v_div_fixup_f64 v[222:223], v[218:219], v[216:217], 1.0
                                        ; implicit-def: $vgpr216_vgpr217
	s_delay_alu instid0(VALU_DEP_1)
	v_mul_f64 v[224:225], v[220:221], v[222:223]
	v_xor_b32_e32 v223, 0x80000000, v223
.LBB119_455:
	s_and_not1_saveexec_b32 s3, s3
	s_cbranch_execz .LBB119_457
; %bb.456:
	v_div_scale_f64 v[220:221], null, v[216:217], v[216:217], v[218:219]
	v_div_scale_f64 v[226:227], vcc_lo, v[218:219], v[216:217], v[218:219]
	s_delay_alu instid0(VALU_DEP_2) | instskip(SKIP_2) | instid1(VALU_DEP_1)
	v_rcp_f64_e32 v[222:223], v[220:221]
	s_waitcnt_depctr 0xfff
	v_fma_f64 v[224:225], -v[220:221], v[222:223], 1.0
	v_fma_f64 v[222:223], v[222:223], v[224:225], v[222:223]
	s_delay_alu instid0(VALU_DEP_1) | instskip(NEXT) | instid1(VALU_DEP_1)
	v_fma_f64 v[224:225], -v[220:221], v[222:223], 1.0
	v_fma_f64 v[222:223], v[222:223], v[224:225], v[222:223]
	s_delay_alu instid0(VALU_DEP_1) | instskip(NEXT) | instid1(VALU_DEP_1)
	v_mul_f64 v[224:225], v[226:227], v[222:223]
	v_fma_f64 v[220:221], -v[220:221], v[224:225], v[226:227]
	s_delay_alu instid0(VALU_DEP_1) | instskip(NEXT) | instid1(VALU_DEP_1)
	v_div_fmas_f64 v[220:221], v[220:221], v[222:223], v[224:225]
	v_div_fixup_f64 v[220:221], v[220:221], v[216:217], v[218:219]
	s_delay_alu instid0(VALU_DEP_1) | instskip(NEXT) | instid1(VALU_DEP_1)
	v_fma_f64 v[216:217], v[218:219], v[220:221], v[216:217]
	v_div_scale_f64 v[218:219], null, v[216:217], v[216:217], 1.0
	s_delay_alu instid0(VALU_DEP_1) | instskip(SKIP_2) | instid1(VALU_DEP_1)
	v_rcp_f64_e32 v[222:223], v[218:219]
	s_waitcnt_depctr 0xfff
	v_fma_f64 v[224:225], -v[218:219], v[222:223], 1.0
	v_fma_f64 v[222:223], v[222:223], v[224:225], v[222:223]
	s_delay_alu instid0(VALU_DEP_1) | instskip(NEXT) | instid1(VALU_DEP_1)
	v_fma_f64 v[224:225], -v[218:219], v[222:223], 1.0
	v_fma_f64 v[222:223], v[222:223], v[224:225], v[222:223]
	v_div_scale_f64 v[224:225], vcc_lo, 1.0, v[216:217], 1.0
	s_delay_alu instid0(VALU_DEP_1) | instskip(NEXT) | instid1(VALU_DEP_1)
	v_mul_f64 v[226:227], v[224:225], v[222:223]
	v_fma_f64 v[218:219], -v[218:219], v[226:227], v[224:225]
	s_delay_alu instid0(VALU_DEP_1) | instskip(NEXT) | instid1(VALU_DEP_1)
	v_div_fmas_f64 v[218:219], v[218:219], v[222:223], v[226:227]
	v_div_fixup_f64 v[224:225], v[218:219], v[216:217], 1.0
	s_delay_alu instid0(VALU_DEP_1)
	v_mul_f64 v[222:223], v[220:221], -v[224:225]
.LBB119_457:
	s_or_b32 exec_lo, exec_lo, s3
	ds_store_2addr_b64 v248, v[224:225], v[222:223] offset1:1
.LBB119_458:
	s_or_b32 exec_lo, exec_lo, s4
	s_waitcnt lgkmcnt(0)
	s_barrier
	buffer_gl0_inv
	ds_load_2addr_b64 v[208:211], v248 offset1:1
	s_mov_b32 s3, exec_lo
	s_waitcnt lgkmcnt(0)
	scratch_store_b128 off, v[208:211], off offset:1408 ; 16-byte Folded Spill
	v_cmpx_lt_u32_e32 50, v251
	s_cbranch_execz .LBB119_460
; %bb.459:
	scratch_load_b128 v[208:211], off, off offset:1408 ; 16-byte Folded Reload
	s_waitcnt vmcnt(0)
	v_mul_f64 v[216:217], v[208:209], v[38:39]
	v_mul_f64 v[38:39], v[210:211], v[38:39]
	s_delay_alu instid0(VALU_DEP_2) | instskip(SKIP_4) | instid1(VALU_DEP_1)
	v_fma_f64 v[220:221], v[210:211], v[36:37], v[216:217]
	ds_load_2addr_b64 v[216:219], v250 offset0:102 offset1:103
	v_fma_f64 v[36:37], v[208:209], v[36:37], -v[38:39]
	s_waitcnt lgkmcnt(0)
	v_mul_f64 v[38:39], v[218:219], v[220:221]
	v_fma_f64 v[38:39], v[216:217], v[36:37], -v[38:39]
	v_mul_f64 v[216:217], v[216:217], v[220:221]
	s_delay_alu instid0(VALU_DEP_2) | instskip(NEXT) | instid1(VALU_DEP_2)
	v_add_f64 v[32:33], v[32:33], -v[38:39]
	v_fma_f64 v[216:217], v[218:219], v[36:37], v[216:217]
	s_delay_alu instid0(VALU_DEP_1) | instskip(SKIP_3) | instid1(VALU_DEP_1)
	v_add_f64 v[34:35], v[34:35], -v[216:217]
	ds_load_2addr_b64 v[216:219], v250 offset0:104 offset1:105
	s_waitcnt lgkmcnt(0)
	v_mul_f64 v[38:39], v[218:219], v[220:221]
	v_fma_f64 v[38:39], v[216:217], v[36:37], -v[38:39]
	v_mul_f64 v[216:217], v[216:217], v[220:221]
	s_delay_alu instid0(VALU_DEP_2) | instskip(NEXT) | instid1(VALU_DEP_2)
	v_add_f64 v[28:29], v[28:29], -v[38:39]
	v_fma_f64 v[216:217], v[218:219], v[36:37], v[216:217]
	s_delay_alu instid0(VALU_DEP_1) | instskip(SKIP_3) | instid1(VALU_DEP_1)
	v_add_f64 v[30:31], v[30:31], -v[216:217]
	ds_load_2addr_b64 v[216:219], v250 offset0:106 offset1:107
	;; [unrolled: 10-line block ×8, first 2 shown]
	s_waitcnt lgkmcnt(0)
	v_mul_f64 v[38:39], v[218:219], v[220:221]
	v_fma_f64 v[38:39], v[216:217], v[36:37], -v[38:39]
	v_mul_f64 v[216:217], v[216:217], v[220:221]
	s_delay_alu instid0(VALU_DEP_2) | instskip(NEXT) | instid1(VALU_DEP_2)
	v_add_f64 v[0:1], v[0:1], -v[38:39]
	v_fma_f64 v[216:217], v[218:219], v[36:37], v[216:217]
	v_dual_mov_b32 v38, v220 :: v_dual_mov_b32 v39, v221
	s_delay_alu instid0(VALU_DEP_2)
	v_add_f64 v[2:3], v[2:3], -v[216:217]
.LBB119_460:
	s_or_b32 exec_lo, exec_lo, s3
	s_delay_alu instid0(SALU_CYCLE_1)
	s_mov_b32 s4, exec_lo
	s_waitcnt_vscnt null, 0x0
	s_barrier
	buffer_gl0_inv
	v_cmpx_eq_u32_e32 51, v251
	s_cbranch_execz .LBB119_467
; %bb.461:
	ds_store_2addr_b64 v248, v[32:33], v[34:35] offset1:1
	ds_store_2addr_b64 v250, v[28:29], v[30:31] offset0:104 offset1:105
	ds_store_2addr_b64 v250, v[24:25], v[26:27] offset0:106 offset1:107
	;; [unrolled: 1-line block ×8, first 2 shown]
	ds_load_2addr_b64 v[216:219], v248 offset1:1
	s_waitcnt lgkmcnt(0)
	v_cmp_neq_f64_e32 vcc_lo, 0, v[216:217]
	v_cmp_neq_f64_e64 s3, 0, v[218:219]
	s_delay_alu instid0(VALU_DEP_1) | instskip(NEXT) | instid1(SALU_CYCLE_1)
	s_or_b32 s3, vcc_lo, s3
	s_and_b32 exec_lo, exec_lo, s3
	s_cbranch_execz .LBB119_467
; %bb.462:
	v_cmp_gt_f64_e32 vcc_lo, 0, v[216:217]
	v_xor_b32_e32 v212, 0x80000000, v217
	s_mov_b32 s3, exec_lo
                                        ; implicit-def: $vgpr224_vgpr225
	s_delay_alu instid0(VALU_DEP_1) | instskip(SKIP_3) | instid1(VALU_DEP_1)
	v_cndmask_b32_e32 v221, v217, v212, vcc_lo
	v_cndmask_b32_e32 v220, v216, v216, vcc_lo
	v_cmp_gt_f64_e32 vcc_lo, 0, v[218:219]
	v_xor_b32_e32 v212, 0x80000000, v219
	v_dual_cndmask_b32 v222, v218, v218 :: v_dual_cndmask_b32 v223, v219, v212
	s_delay_alu instid0(VALU_DEP_1)
	v_cmpx_ngt_f64_e32 v[220:221], v[222:223]
	s_xor_b32 s3, exec_lo, s3
                                        ; implicit-def: $vgpr220_vgpr221_vgpr222_vgpr223
	s_cbranch_execz .LBB119_464
; %bb.463:
	v_div_scale_f64 v[220:221], null, v[218:219], v[218:219], v[216:217]
	v_div_scale_f64 v[226:227], vcc_lo, v[216:217], v[218:219], v[216:217]
	s_delay_alu instid0(VALU_DEP_2) | instskip(SKIP_2) | instid1(VALU_DEP_1)
	v_rcp_f64_e32 v[222:223], v[220:221]
	s_waitcnt_depctr 0xfff
	v_fma_f64 v[224:225], -v[220:221], v[222:223], 1.0
	v_fma_f64 v[222:223], v[222:223], v[224:225], v[222:223]
	s_delay_alu instid0(VALU_DEP_1) | instskip(NEXT) | instid1(VALU_DEP_1)
	v_fma_f64 v[224:225], -v[220:221], v[222:223], 1.0
	v_fma_f64 v[222:223], v[222:223], v[224:225], v[222:223]
	s_delay_alu instid0(VALU_DEP_1) | instskip(NEXT) | instid1(VALU_DEP_1)
	v_mul_f64 v[224:225], v[226:227], v[222:223]
	v_fma_f64 v[220:221], -v[220:221], v[224:225], v[226:227]
	s_delay_alu instid0(VALU_DEP_1) | instskip(NEXT) | instid1(VALU_DEP_1)
	v_div_fmas_f64 v[220:221], v[220:221], v[222:223], v[224:225]
	v_div_fixup_f64 v[220:221], v[220:221], v[218:219], v[216:217]
	s_delay_alu instid0(VALU_DEP_1) | instskip(NEXT) | instid1(VALU_DEP_1)
	v_fma_f64 v[216:217], v[216:217], v[220:221], v[218:219]
	v_div_scale_f64 v[218:219], null, v[216:217], v[216:217], 1.0
	s_delay_alu instid0(VALU_DEP_1) | instskip(SKIP_2) | instid1(VALU_DEP_1)
	v_rcp_f64_e32 v[222:223], v[218:219]
	s_waitcnt_depctr 0xfff
	v_fma_f64 v[224:225], -v[218:219], v[222:223], 1.0
	v_fma_f64 v[222:223], v[222:223], v[224:225], v[222:223]
	s_delay_alu instid0(VALU_DEP_1) | instskip(NEXT) | instid1(VALU_DEP_1)
	v_fma_f64 v[224:225], -v[218:219], v[222:223], 1.0
	v_fma_f64 v[222:223], v[222:223], v[224:225], v[222:223]
	v_div_scale_f64 v[224:225], vcc_lo, 1.0, v[216:217], 1.0
	s_delay_alu instid0(VALU_DEP_1) | instskip(NEXT) | instid1(VALU_DEP_1)
	v_mul_f64 v[226:227], v[224:225], v[222:223]
	v_fma_f64 v[218:219], -v[218:219], v[226:227], v[224:225]
	s_delay_alu instid0(VALU_DEP_1) | instskip(NEXT) | instid1(VALU_DEP_1)
	v_div_fmas_f64 v[218:219], v[218:219], v[222:223], v[226:227]
	v_div_fixup_f64 v[222:223], v[218:219], v[216:217], 1.0
                                        ; implicit-def: $vgpr216_vgpr217
	s_delay_alu instid0(VALU_DEP_1)
	v_mul_f64 v[224:225], v[220:221], v[222:223]
	v_xor_b32_e32 v223, 0x80000000, v223
.LBB119_464:
	s_and_not1_saveexec_b32 s3, s3
	s_cbranch_execz .LBB119_466
; %bb.465:
	v_div_scale_f64 v[220:221], null, v[216:217], v[216:217], v[218:219]
	v_div_scale_f64 v[226:227], vcc_lo, v[218:219], v[216:217], v[218:219]
	s_delay_alu instid0(VALU_DEP_2) | instskip(SKIP_2) | instid1(VALU_DEP_1)
	v_rcp_f64_e32 v[222:223], v[220:221]
	s_waitcnt_depctr 0xfff
	v_fma_f64 v[224:225], -v[220:221], v[222:223], 1.0
	v_fma_f64 v[222:223], v[222:223], v[224:225], v[222:223]
	s_delay_alu instid0(VALU_DEP_1) | instskip(NEXT) | instid1(VALU_DEP_1)
	v_fma_f64 v[224:225], -v[220:221], v[222:223], 1.0
	v_fma_f64 v[222:223], v[222:223], v[224:225], v[222:223]
	s_delay_alu instid0(VALU_DEP_1) | instskip(NEXT) | instid1(VALU_DEP_1)
	v_mul_f64 v[224:225], v[226:227], v[222:223]
	v_fma_f64 v[220:221], -v[220:221], v[224:225], v[226:227]
	s_delay_alu instid0(VALU_DEP_1) | instskip(NEXT) | instid1(VALU_DEP_1)
	v_div_fmas_f64 v[220:221], v[220:221], v[222:223], v[224:225]
	v_div_fixup_f64 v[220:221], v[220:221], v[216:217], v[218:219]
	s_delay_alu instid0(VALU_DEP_1) | instskip(NEXT) | instid1(VALU_DEP_1)
	v_fma_f64 v[216:217], v[218:219], v[220:221], v[216:217]
	v_div_scale_f64 v[218:219], null, v[216:217], v[216:217], 1.0
	s_delay_alu instid0(VALU_DEP_1) | instskip(SKIP_2) | instid1(VALU_DEP_1)
	v_rcp_f64_e32 v[222:223], v[218:219]
	s_waitcnt_depctr 0xfff
	v_fma_f64 v[224:225], -v[218:219], v[222:223], 1.0
	v_fma_f64 v[222:223], v[222:223], v[224:225], v[222:223]
	s_delay_alu instid0(VALU_DEP_1) | instskip(NEXT) | instid1(VALU_DEP_1)
	v_fma_f64 v[224:225], -v[218:219], v[222:223], 1.0
	v_fma_f64 v[222:223], v[222:223], v[224:225], v[222:223]
	v_div_scale_f64 v[224:225], vcc_lo, 1.0, v[216:217], 1.0
	s_delay_alu instid0(VALU_DEP_1) | instskip(NEXT) | instid1(VALU_DEP_1)
	v_mul_f64 v[226:227], v[224:225], v[222:223]
	v_fma_f64 v[218:219], -v[218:219], v[226:227], v[224:225]
	s_delay_alu instid0(VALU_DEP_1) | instskip(NEXT) | instid1(VALU_DEP_1)
	v_div_fmas_f64 v[218:219], v[218:219], v[222:223], v[226:227]
	v_div_fixup_f64 v[224:225], v[218:219], v[216:217], 1.0
	s_delay_alu instid0(VALU_DEP_1)
	v_mul_f64 v[222:223], v[220:221], -v[224:225]
.LBB119_466:
	s_or_b32 exec_lo, exec_lo, s3
	ds_store_2addr_b64 v248, v[224:225], v[222:223] offset1:1
.LBB119_467:
	s_or_b32 exec_lo, exec_lo, s4
	s_waitcnt lgkmcnt(0)
	s_barrier
	buffer_gl0_inv
	ds_load_2addr_b64 v[252:255], v248 offset1:1
	s_mov_b32 s3, exec_lo
	v_cmpx_lt_u32_e32 51, v251
	s_cbranch_execz .LBB119_469
; %bb.468:
	s_waitcnt lgkmcnt(0)
	v_mul_f64 v[216:217], v[252:253], v[34:35]
	v_mul_f64 v[34:35], v[254:255], v[34:35]
	s_delay_alu instid0(VALU_DEP_2) | instskip(SKIP_4) | instid1(VALU_DEP_1)
	v_fma_f64 v[220:221], v[254:255], v[32:33], v[216:217]
	ds_load_2addr_b64 v[216:219], v250 offset0:104 offset1:105
	v_fma_f64 v[32:33], v[252:253], v[32:33], -v[34:35]
	s_waitcnt lgkmcnt(0)
	v_mul_f64 v[34:35], v[218:219], v[220:221]
	v_fma_f64 v[34:35], v[216:217], v[32:33], -v[34:35]
	v_mul_f64 v[216:217], v[216:217], v[220:221]
	s_delay_alu instid0(VALU_DEP_2) | instskip(NEXT) | instid1(VALU_DEP_2)
	v_add_f64 v[28:29], v[28:29], -v[34:35]
	v_fma_f64 v[216:217], v[218:219], v[32:33], v[216:217]
	s_delay_alu instid0(VALU_DEP_1) | instskip(SKIP_3) | instid1(VALU_DEP_1)
	v_add_f64 v[30:31], v[30:31], -v[216:217]
	ds_load_2addr_b64 v[216:219], v250 offset0:106 offset1:107
	s_waitcnt lgkmcnt(0)
	v_mul_f64 v[34:35], v[218:219], v[220:221]
	v_fma_f64 v[34:35], v[216:217], v[32:33], -v[34:35]
	v_mul_f64 v[216:217], v[216:217], v[220:221]
	s_delay_alu instid0(VALU_DEP_2) | instskip(NEXT) | instid1(VALU_DEP_2)
	v_add_f64 v[24:25], v[24:25], -v[34:35]
	v_fma_f64 v[216:217], v[218:219], v[32:33], v[216:217]
	s_delay_alu instid0(VALU_DEP_1) | instskip(SKIP_3) | instid1(VALU_DEP_1)
	v_add_f64 v[26:27], v[26:27], -v[216:217]
	ds_load_2addr_b64 v[216:219], v250 offset0:108 offset1:109
	;; [unrolled: 10-line block ×7, first 2 shown]
	s_waitcnt lgkmcnt(0)
	v_mul_f64 v[34:35], v[218:219], v[220:221]
	v_fma_f64 v[34:35], v[216:217], v[32:33], -v[34:35]
	v_mul_f64 v[216:217], v[216:217], v[220:221]
	s_delay_alu instid0(VALU_DEP_2) | instskip(NEXT) | instid1(VALU_DEP_2)
	v_add_f64 v[0:1], v[0:1], -v[34:35]
	v_fma_f64 v[216:217], v[218:219], v[32:33], v[216:217]
	v_dual_mov_b32 v34, v220 :: v_dual_mov_b32 v35, v221
	s_delay_alu instid0(VALU_DEP_2)
	v_add_f64 v[2:3], v[2:3], -v[216:217]
.LBB119_469:
	s_or_b32 exec_lo, exec_lo, s3
	s_delay_alu instid0(SALU_CYCLE_1)
	s_mov_b32 s4, exec_lo
	s_waitcnt lgkmcnt(0)
	s_barrier
	buffer_gl0_inv
	v_cmpx_eq_u32_e32 52, v251
	s_cbranch_execz .LBB119_476
; %bb.470:
	ds_store_2addr_b64 v248, v[28:29], v[30:31] offset1:1
	ds_store_2addr_b64 v250, v[24:25], v[26:27] offset0:106 offset1:107
	ds_store_2addr_b64 v250, v[20:21], v[22:23] offset0:108 offset1:109
	;; [unrolled: 1-line block ×7, first 2 shown]
	ds_load_2addr_b64 v[216:219], v248 offset1:1
	s_waitcnt lgkmcnt(0)
	v_cmp_neq_f64_e32 vcc_lo, 0, v[216:217]
	v_cmp_neq_f64_e64 s3, 0, v[218:219]
	s_delay_alu instid0(VALU_DEP_1) | instskip(NEXT) | instid1(SALU_CYCLE_1)
	s_or_b32 s3, vcc_lo, s3
	s_and_b32 exec_lo, exec_lo, s3
	s_cbranch_execz .LBB119_476
; %bb.471:
	v_cmp_gt_f64_e32 vcc_lo, 0, v[216:217]
	v_xor_b32_e32 v212, 0x80000000, v217
	s_mov_b32 s3, exec_lo
                                        ; implicit-def: $vgpr224_vgpr225
	s_delay_alu instid0(VALU_DEP_1) | instskip(SKIP_3) | instid1(VALU_DEP_1)
	v_cndmask_b32_e32 v221, v217, v212, vcc_lo
	v_cndmask_b32_e32 v220, v216, v216, vcc_lo
	v_cmp_gt_f64_e32 vcc_lo, 0, v[218:219]
	v_xor_b32_e32 v212, 0x80000000, v219
	v_dual_cndmask_b32 v222, v218, v218 :: v_dual_cndmask_b32 v223, v219, v212
	s_delay_alu instid0(VALU_DEP_1)
	v_cmpx_ngt_f64_e32 v[220:221], v[222:223]
	s_xor_b32 s3, exec_lo, s3
                                        ; implicit-def: $vgpr220_vgpr221_vgpr222_vgpr223
	s_cbranch_execz .LBB119_473
; %bb.472:
	v_div_scale_f64 v[220:221], null, v[218:219], v[218:219], v[216:217]
	v_div_scale_f64 v[226:227], vcc_lo, v[216:217], v[218:219], v[216:217]
	s_delay_alu instid0(VALU_DEP_2) | instskip(SKIP_2) | instid1(VALU_DEP_1)
	v_rcp_f64_e32 v[222:223], v[220:221]
	s_waitcnt_depctr 0xfff
	v_fma_f64 v[224:225], -v[220:221], v[222:223], 1.0
	v_fma_f64 v[222:223], v[222:223], v[224:225], v[222:223]
	s_delay_alu instid0(VALU_DEP_1) | instskip(NEXT) | instid1(VALU_DEP_1)
	v_fma_f64 v[224:225], -v[220:221], v[222:223], 1.0
	v_fma_f64 v[222:223], v[222:223], v[224:225], v[222:223]
	s_delay_alu instid0(VALU_DEP_1) | instskip(NEXT) | instid1(VALU_DEP_1)
	v_mul_f64 v[224:225], v[226:227], v[222:223]
	v_fma_f64 v[220:221], -v[220:221], v[224:225], v[226:227]
	s_delay_alu instid0(VALU_DEP_1) | instskip(NEXT) | instid1(VALU_DEP_1)
	v_div_fmas_f64 v[220:221], v[220:221], v[222:223], v[224:225]
	v_div_fixup_f64 v[220:221], v[220:221], v[218:219], v[216:217]
	s_delay_alu instid0(VALU_DEP_1) | instskip(NEXT) | instid1(VALU_DEP_1)
	v_fma_f64 v[216:217], v[216:217], v[220:221], v[218:219]
	v_div_scale_f64 v[218:219], null, v[216:217], v[216:217], 1.0
	s_delay_alu instid0(VALU_DEP_1) | instskip(SKIP_2) | instid1(VALU_DEP_1)
	v_rcp_f64_e32 v[222:223], v[218:219]
	s_waitcnt_depctr 0xfff
	v_fma_f64 v[224:225], -v[218:219], v[222:223], 1.0
	v_fma_f64 v[222:223], v[222:223], v[224:225], v[222:223]
	s_delay_alu instid0(VALU_DEP_1) | instskip(NEXT) | instid1(VALU_DEP_1)
	v_fma_f64 v[224:225], -v[218:219], v[222:223], 1.0
	v_fma_f64 v[222:223], v[222:223], v[224:225], v[222:223]
	v_div_scale_f64 v[224:225], vcc_lo, 1.0, v[216:217], 1.0
	s_delay_alu instid0(VALU_DEP_1) | instskip(NEXT) | instid1(VALU_DEP_1)
	v_mul_f64 v[226:227], v[224:225], v[222:223]
	v_fma_f64 v[218:219], -v[218:219], v[226:227], v[224:225]
	s_delay_alu instid0(VALU_DEP_1) | instskip(NEXT) | instid1(VALU_DEP_1)
	v_div_fmas_f64 v[218:219], v[218:219], v[222:223], v[226:227]
	v_div_fixup_f64 v[222:223], v[218:219], v[216:217], 1.0
                                        ; implicit-def: $vgpr216_vgpr217
	s_delay_alu instid0(VALU_DEP_1)
	v_mul_f64 v[224:225], v[220:221], v[222:223]
	v_xor_b32_e32 v223, 0x80000000, v223
.LBB119_473:
	s_and_not1_saveexec_b32 s3, s3
	s_cbranch_execz .LBB119_475
; %bb.474:
	v_div_scale_f64 v[220:221], null, v[216:217], v[216:217], v[218:219]
	v_div_scale_f64 v[226:227], vcc_lo, v[218:219], v[216:217], v[218:219]
	s_delay_alu instid0(VALU_DEP_2) | instskip(SKIP_2) | instid1(VALU_DEP_1)
	v_rcp_f64_e32 v[222:223], v[220:221]
	s_waitcnt_depctr 0xfff
	v_fma_f64 v[224:225], -v[220:221], v[222:223], 1.0
	v_fma_f64 v[222:223], v[222:223], v[224:225], v[222:223]
	s_delay_alu instid0(VALU_DEP_1) | instskip(NEXT) | instid1(VALU_DEP_1)
	v_fma_f64 v[224:225], -v[220:221], v[222:223], 1.0
	v_fma_f64 v[222:223], v[222:223], v[224:225], v[222:223]
	s_delay_alu instid0(VALU_DEP_1) | instskip(NEXT) | instid1(VALU_DEP_1)
	v_mul_f64 v[224:225], v[226:227], v[222:223]
	v_fma_f64 v[220:221], -v[220:221], v[224:225], v[226:227]
	s_delay_alu instid0(VALU_DEP_1) | instskip(NEXT) | instid1(VALU_DEP_1)
	v_div_fmas_f64 v[220:221], v[220:221], v[222:223], v[224:225]
	v_div_fixup_f64 v[220:221], v[220:221], v[216:217], v[218:219]
	s_delay_alu instid0(VALU_DEP_1) | instskip(NEXT) | instid1(VALU_DEP_1)
	v_fma_f64 v[216:217], v[218:219], v[220:221], v[216:217]
	v_div_scale_f64 v[218:219], null, v[216:217], v[216:217], 1.0
	s_delay_alu instid0(VALU_DEP_1) | instskip(SKIP_2) | instid1(VALU_DEP_1)
	v_rcp_f64_e32 v[222:223], v[218:219]
	s_waitcnt_depctr 0xfff
	v_fma_f64 v[224:225], -v[218:219], v[222:223], 1.0
	v_fma_f64 v[222:223], v[222:223], v[224:225], v[222:223]
	s_delay_alu instid0(VALU_DEP_1) | instskip(NEXT) | instid1(VALU_DEP_1)
	v_fma_f64 v[224:225], -v[218:219], v[222:223], 1.0
	v_fma_f64 v[222:223], v[222:223], v[224:225], v[222:223]
	v_div_scale_f64 v[224:225], vcc_lo, 1.0, v[216:217], 1.0
	s_delay_alu instid0(VALU_DEP_1) | instskip(NEXT) | instid1(VALU_DEP_1)
	v_mul_f64 v[226:227], v[224:225], v[222:223]
	v_fma_f64 v[218:219], -v[218:219], v[226:227], v[224:225]
	s_delay_alu instid0(VALU_DEP_1) | instskip(NEXT) | instid1(VALU_DEP_1)
	v_div_fmas_f64 v[218:219], v[218:219], v[222:223], v[226:227]
	v_div_fixup_f64 v[224:225], v[218:219], v[216:217], 1.0
	s_delay_alu instid0(VALU_DEP_1)
	v_mul_f64 v[222:223], v[220:221], -v[224:225]
.LBB119_475:
	s_or_b32 exec_lo, exec_lo, s3
	ds_store_2addr_b64 v248, v[224:225], v[222:223] offset1:1
.LBB119_476:
	s_or_b32 exec_lo, exec_lo, s4
	s_waitcnt lgkmcnt(0)
	s_barrier
	buffer_gl0_inv
	ds_load_2addr_b64 v[240:243], v248 offset1:1
	s_mov_b32 s3, exec_lo
	v_cmpx_lt_u32_e32 52, v251
	s_cbranch_execz .LBB119_478
; %bb.477:
	s_waitcnt lgkmcnt(0)
	v_mul_f64 v[216:217], v[240:241], v[30:31]
	v_mul_f64 v[30:31], v[242:243], v[30:31]
	s_delay_alu instid0(VALU_DEP_2) | instskip(SKIP_4) | instid1(VALU_DEP_1)
	v_fma_f64 v[220:221], v[242:243], v[28:29], v[216:217]
	ds_load_2addr_b64 v[216:219], v250 offset0:106 offset1:107
	v_fma_f64 v[28:29], v[240:241], v[28:29], -v[30:31]
	s_waitcnt lgkmcnt(0)
	v_mul_f64 v[30:31], v[218:219], v[220:221]
	v_fma_f64 v[30:31], v[216:217], v[28:29], -v[30:31]
	v_mul_f64 v[216:217], v[216:217], v[220:221]
	s_delay_alu instid0(VALU_DEP_2) | instskip(NEXT) | instid1(VALU_DEP_2)
	v_add_f64 v[24:25], v[24:25], -v[30:31]
	v_fma_f64 v[216:217], v[218:219], v[28:29], v[216:217]
	s_delay_alu instid0(VALU_DEP_1) | instskip(SKIP_3) | instid1(VALU_DEP_1)
	v_add_f64 v[26:27], v[26:27], -v[216:217]
	ds_load_2addr_b64 v[216:219], v250 offset0:108 offset1:109
	s_waitcnt lgkmcnt(0)
	v_mul_f64 v[30:31], v[218:219], v[220:221]
	v_fma_f64 v[30:31], v[216:217], v[28:29], -v[30:31]
	v_mul_f64 v[216:217], v[216:217], v[220:221]
	s_delay_alu instid0(VALU_DEP_2) | instskip(NEXT) | instid1(VALU_DEP_2)
	v_add_f64 v[20:21], v[20:21], -v[30:31]
	v_fma_f64 v[216:217], v[218:219], v[28:29], v[216:217]
	s_delay_alu instid0(VALU_DEP_1) | instskip(SKIP_3) | instid1(VALU_DEP_1)
	v_add_f64 v[22:23], v[22:23], -v[216:217]
	ds_load_2addr_b64 v[216:219], v250 offset0:110 offset1:111
	;; [unrolled: 10-line block ×6, first 2 shown]
	s_waitcnt lgkmcnt(0)
	v_mul_f64 v[30:31], v[218:219], v[220:221]
	v_fma_f64 v[30:31], v[216:217], v[28:29], -v[30:31]
	v_mul_f64 v[216:217], v[216:217], v[220:221]
	s_delay_alu instid0(VALU_DEP_2) | instskip(NEXT) | instid1(VALU_DEP_2)
	v_add_f64 v[0:1], v[0:1], -v[30:31]
	v_fma_f64 v[216:217], v[218:219], v[28:29], v[216:217]
	v_dual_mov_b32 v30, v220 :: v_dual_mov_b32 v31, v221
	s_delay_alu instid0(VALU_DEP_2)
	v_add_f64 v[2:3], v[2:3], -v[216:217]
.LBB119_478:
	s_or_b32 exec_lo, exec_lo, s3
	s_delay_alu instid0(SALU_CYCLE_1)
	s_mov_b32 s4, exec_lo
	s_waitcnt lgkmcnt(0)
	s_barrier
	buffer_gl0_inv
	v_cmpx_eq_u32_e32 53, v251
	s_cbranch_execz .LBB119_485
; %bb.479:
	ds_store_2addr_b64 v248, v[24:25], v[26:27] offset1:1
	ds_store_2addr_b64 v250, v[20:21], v[22:23] offset0:108 offset1:109
	ds_store_2addr_b64 v250, v[16:17], v[18:19] offset0:110 offset1:111
	;; [unrolled: 1-line block ×6, first 2 shown]
	ds_load_2addr_b64 v[216:219], v248 offset1:1
	s_waitcnt lgkmcnt(0)
	v_cmp_neq_f64_e32 vcc_lo, 0, v[216:217]
	v_cmp_neq_f64_e64 s3, 0, v[218:219]
	s_delay_alu instid0(VALU_DEP_1) | instskip(NEXT) | instid1(SALU_CYCLE_1)
	s_or_b32 s3, vcc_lo, s3
	s_and_b32 exec_lo, exec_lo, s3
	s_cbranch_execz .LBB119_485
; %bb.480:
	v_cmp_gt_f64_e32 vcc_lo, 0, v[216:217]
	v_xor_b32_e32 v212, 0x80000000, v217
	s_mov_b32 s3, exec_lo
                                        ; implicit-def: $vgpr224_vgpr225
	s_delay_alu instid0(VALU_DEP_1) | instskip(SKIP_3) | instid1(VALU_DEP_1)
	v_cndmask_b32_e32 v221, v217, v212, vcc_lo
	v_cndmask_b32_e32 v220, v216, v216, vcc_lo
	v_cmp_gt_f64_e32 vcc_lo, 0, v[218:219]
	v_xor_b32_e32 v212, 0x80000000, v219
	v_dual_cndmask_b32 v222, v218, v218 :: v_dual_cndmask_b32 v223, v219, v212
	s_delay_alu instid0(VALU_DEP_1)
	v_cmpx_ngt_f64_e32 v[220:221], v[222:223]
	s_xor_b32 s3, exec_lo, s3
                                        ; implicit-def: $vgpr220_vgpr221_vgpr222_vgpr223
	s_cbranch_execz .LBB119_482
; %bb.481:
	v_div_scale_f64 v[220:221], null, v[218:219], v[218:219], v[216:217]
	v_div_scale_f64 v[226:227], vcc_lo, v[216:217], v[218:219], v[216:217]
	s_delay_alu instid0(VALU_DEP_2) | instskip(SKIP_2) | instid1(VALU_DEP_1)
	v_rcp_f64_e32 v[222:223], v[220:221]
	s_waitcnt_depctr 0xfff
	v_fma_f64 v[224:225], -v[220:221], v[222:223], 1.0
	v_fma_f64 v[222:223], v[222:223], v[224:225], v[222:223]
	s_delay_alu instid0(VALU_DEP_1) | instskip(NEXT) | instid1(VALU_DEP_1)
	v_fma_f64 v[224:225], -v[220:221], v[222:223], 1.0
	v_fma_f64 v[222:223], v[222:223], v[224:225], v[222:223]
	s_delay_alu instid0(VALU_DEP_1) | instskip(NEXT) | instid1(VALU_DEP_1)
	v_mul_f64 v[224:225], v[226:227], v[222:223]
	v_fma_f64 v[220:221], -v[220:221], v[224:225], v[226:227]
	s_delay_alu instid0(VALU_DEP_1) | instskip(NEXT) | instid1(VALU_DEP_1)
	v_div_fmas_f64 v[220:221], v[220:221], v[222:223], v[224:225]
	v_div_fixup_f64 v[220:221], v[220:221], v[218:219], v[216:217]
	s_delay_alu instid0(VALU_DEP_1) | instskip(NEXT) | instid1(VALU_DEP_1)
	v_fma_f64 v[216:217], v[216:217], v[220:221], v[218:219]
	v_div_scale_f64 v[218:219], null, v[216:217], v[216:217], 1.0
	s_delay_alu instid0(VALU_DEP_1) | instskip(SKIP_2) | instid1(VALU_DEP_1)
	v_rcp_f64_e32 v[222:223], v[218:219]
	s_waitcnt_depctr 0xfff
	v_fma_f64 v[224:225], -v[218:219], v[222:223], 1.0
	v_fma_f64 v[222:223], v[222:223], v[224:225], v[222:223]
	s_delay_alu instid0(VALU_DEP_1) | instskip(NEXT) | instid1(VALU_DEP_1)
	v_fma_f64 v[224:225], -v[218:219], v[222:223], 1.0
	v_fma_f64 v[222:223], v[222:223], v[224:225], v[222:223]
	v_div_scale_f64 v[224:225], vcc_lo, 1.0, v[216:217], 1.0
	s_delay_alu instid0(VALU_DEP_1) | instskip(NEXT) | instid1(VALU_DEP_1)
	v_mul_f64 v[226:227], v[224:225], v[222:223]
	v_fma_f64 v[218:219], -v[218:219], v[226:227], v[224:225]
	s_delay_alu instid0(VALU_DEP_1) | instskip(NEXT) | instid1(VALU_DEP_1)
	v_div_fmas_f64 v[218:219], v[218:219], v[222:223], v[226:227]
	v_div_fixup_f64 v[222:223], v[218:219], v[216:217], 1.0
                                        ; implicit-def: $vgpr216_vgpr217
	s_delay_alu instid0(VALU_DEP_1)
	v_mul_f64 v[224:225], v[220:221], v[222:223]
	v_xor_b32_e32 v223, 0x80000000, v223
.LBB119_482:
	s_and_not1_saveexec_b32 s3, s3
	s_cbranch_execz .LBB119_484
; %bb.483:
	v_div_scale_f64 v[220:221], null, v[216:217], v[216:217], v[218:219]
	v_div_scale_f64 v[226:227], vcc_lo, v[218:219], v[216:217], v[218:219]
	s_delay_alu instid0(VALU_DEP_2) | instskip(SKIP_2) | instid1(VALU_DEP_1)
	v_rcp_f64_e32 v[222:223], v[220:221]
	s_waitcnt_depctr 0xfff
	v_fma_f64 v[224:225], -v[220:221], v[222:223], 1.0
	v_fma_f64 v[222:223], v[222:223], v[224:225], v[222:223]
	s_delay_alu instid0(VALU_DEP_1) | instskip(NEXT) | instid1(VALU_DEP_1)
	v_fma_f64 v[224:225], -v[220:221], v[222:223], 1.0
	v_fma_f64 v[222:223], v[222:223], v[224:225], v[222:223]
	s_delay_alu instid0(VALU_DEP_1) | instskip(NEXT) | instid1(VALU_DEP_1)
	v_mul_f64 v[224:225], v[226:227], v[222:223]
	v_fma_f64 v[220:221], -v[220:221], v[224:225], v[226:227]
	s_delay_alu instid0(VALU_DEP_1) | instskip(NEXT) | instid1(VALU_DEP_1)
	v_div_fmas_f64 v[220:221], v[220:221], v[222:223], v[224:225]
	v_div_fixup_f64 v[220:221], v[220:221], v[216:217], v[218:219]
	s_delay_alu instid0(VALU_DEP_1) | instskip(NEXT) | instid1(VALU_DEP_1)
	v_fma_f64 v[216:217], v[218:219], v[220:221], v[216:217]
	v_div_scale_f64 v[218:219], null, v[216:217], v[216:217], 1.0
	s_delay_alu instid0(VALU_DEP_1) | instskip(SKIP_2) | instid1(VALU_DEP_1)
	v_rcp_f64_e32 v[222:223], v[218:219]
	s_waitcnt_depctr 0xfff
	v_fma_f64 v[224:225], -v[218:219], v[222:223], 1.0
	v_fma_f64 v[222:223], v[222:223], v[224:225], v[222:223]
	s_delay_alu instid0(VALU_DEP_1) | instskip(NEXT) | instid1(VALU_DEP_1)
	v_fma_f64 v[224:225], -v[218:219], v[222:223], 1.0
	v_fma_f64 v[222:223], v[222:223], v[224:225], v[222:223]
	v_div_scale_f64 v[224:225], vcc_lo, 1.0, v[216:217], 1.0
	s_delay_alu instid0(VALU_DEP_1) | instskip(NEXT) | instid1(VALU_DEP_1)
	v_mul_f64 v[226:227], v[224:225], v[222:223]
	v_fma_f64 v[218:219], -v[218:219], v[226:227], v[224:225]
	s_delay_alu instid0(VALU_DEP_1) | instskip(NEXT) | instid1(VALU_DEP_1)
	v_div_fmas_f64 v[218:219], v[218:219], v[222:223], v[226:227]
	v_div_fixup_f64 v[224:225], v[218:219], v[216:217], 1.0
	s_delay_alu instid0(VALU_DEP_1)
	v_mul_f64 v[222:223], v[220:221], -v[224:225]
.LBB119_484:
	s_or_b32 exec_lo, exec_lo, s3
	ds_store_2addr_b64 v248, v[224:225], v[222:223] offset1:1
.LBB119_485:
	s_or_b32 exec_lo, exec_lo, s4
	s_waitcnt lgkmcnt(0)
	s_barrier
	buffer_gl0_inv
	ds_load_2addr_b64 v[244:247], v248 offset1:1
	s_mov_b32 s3, exec_lo
	v_cmpx_lt_u32_e32 53, v251
	s_cbranch_execz .LBB119_487
; %bb.486:
	s_waitcnt lgkmcnt(0)
	v_mul_f64 v[216:217], v[244:245], v[26:27]
	v_mul_f64 v[26:27], v[246:247], v[26:27]
	s_delay_alu instid0(VALU_DEP_2) | instskip(SKIP_4) | instid1(VALU_DEP_1)
	v_fma_f64 v[220:221], v[246:247], v[24:25], v[216:217]
	ds_load_2addr_b64 v[216:219], v250 offset0:108 offset1:109
	v_fma_f64 v[24:25], v[244:245], v[24:25], -v[26:27]
	s_waitcnt lgkmcnt(0)
	v_mul_f64 v[26:27], v[218:219], v[220:221]
	v_fma_f64 v[26:27], v[216:217], v[24:25], -v[26:27]
	v_mul_f64 v[216:217], v[216:217], v[220:221]
	s_delay_alu instid0(VALU_DEP_2) | instskip(NEXT) | instid1(VALU_DEP_2)
	v_add_f64 v[20:21], v[20:21], -v[26:27]
	v_fma_f64 v[216:217], v[218:219], v[24:25], v[216:217]
	s_delay_alu instid0(VALU_DEP_1) | instskip(SKIP_3) | instid1(VALU_DEP_1)
	v_add_f64 v[22:23], v[22:23], -v[216:217]
	ds_load_2addr_b64 v[216:219], v250 offset0:110 offset1:111
	s_waitcnt lgkmcnt(0)
	v_mul_f64 v[26:27], v[218:219], v[220:221]
	v_fma_f64 v[26:27], v[216:217], v[24:25], -v[26:27]
	v_mul_f64 v[216:217], v[216:217], v[220:221]
	s_delay_alu instid0(VALU_DEP_2) | instskip(NEXT) | instid1(VALU_DEP_2)
	v_add_f64 v[16:17], v[16:17], -v[26:27]
	v_fma_f64 v[216:217], v[218:219], v[24:25], v[216:217]
	s_delay_alu instid0(VALU_DEP_1) | instskip(SKIP_3) | instid1(VALU_DEP_1)
	v_add_f64 v[18:19], v[18:19], -v[216:217]
	ds_load_2addr_b64 v[216:219], v250 offset0:112 offset1:113
	;; [unrolled: 10-line block ×5, first 2 shown]
	s_waitcnt lgkmcnt(0)
	v_mul_f64 v[26:27], v[218:219], v[220:221]
	v_fma_f64 v[26:27], v[216:217], v[24:25], -v[26:27]
	v_mul_f64 v[216:217], v[216:217], v[220:221]
	s_delay_alu instid0(VALU_DEP_2) | instskip(NEXT) | instid1(VALU_DEP_2)
	v_add_f64 v[0:1], v[0:1], -v[26:27]
	v_fma_f64 v[216:217], v[218:219], v[24:25], v[216:217]
	v_dual_mov_b32 v26, v220 :: v_dual_mov_b32 v27, v221
	s_delay_alu instid0(VALU_DEP_2)
	v_add_f64 v[2:3], v[2:3], -v[216:217]
.LBB119_487:
	s_or_b32 exec_lo, exec_lo, s3
	s_delay_alu instid0(SALU_CYCLE_1)
	s_mov_b32 s4, exec_lo
	s_waitcnt lgkmcnt(0)
	s_barrier
	buffer_gl0_inv
	v_cmpx_eq_u32_e32 54, v251
	s_cbranch_execz .LBB119_494
; %bb.488:
	ds_store_2addr_b64 v248, v[20:21], v[22:23] offset1:1
	ds_store_2addr_b64 v250, v[16:17], v[18:19] offset0:110 offset1:111
	ds_store_2addr_b64 v250, v[12:13], v[14:15] offset0:112 offset1:113
	;; [unrolled: 1-line block ×5, first 2 shown]
	ds_load_2addr_b64 v[216:219], v248 offset1:1
	s_waitcnt lgkmcnt(0)
	v_cmp_neq_f64_e32 vcc_lo, 0, v[216:217]
	v_cmp_neq_f64_e64 s3, 0, v[218:219]
	s_delay_alu instid0(VALU_DEP_1) | instskip(NEXT) | instid1(SALU_CYCLE_1)
	s_or_b32 s3, vcc_lo, s3
	s_and_b32 exec_lo, exec_lo, s3
	s_cbranch_execz .LBB119_494
; %bb.489:
	v_cmp_gt_f64_e32 vcc_lo, 0, v[216:217]
	v_xor_b32_e32 v212, 0x80000000, v217
	s_mov_b32 s3, exec_lo
                                        ; implicit-def: $vgpr224_vgpr225
	s_delay_alu instid0(VALU_DEP_1) | instskip(SKIP_3) | instid1(VALU_DEP_1)
	v_cndmask_b32_e32 v221, v217, v212, vcc_lo
	v_cndmask_b32_e32 v220, v216, v216, vcc_lo
	v_cmp_gt_f64_e32 vcc_lo, 0, v[218:219]
	v_xor_b32_e32 v212, 0x80000000, v219
	v_dual_cndmask_b32 v222, v218, v218 :: v_dual_cndmask_b32 v223, v219, v212
	s_delay_alu instid0(VALU_DEP_1)
	v_cmpx_ngt_f64_e32 v[220:221], v[222:223]
	s_xor_b32 s3, exec_lo, s3
                                        ; implicit-def: $vgpr220_vgpr221_vgpr222_vgpr223
	s_cbranch_execz .LBB119_491
; %bb.490:
	v_div_scale_f64 v[220:221], null, v[218:219], v[218:219], v[216:217]
	v_div_scale_f64 v[226:227], vcc_lo, v[216:217], v[218:219], v[216:217]
	s_delay_alu instid0(VALU_DEP_2) | instskip(SKIP_2) | instid1(VALU_DEP_1)
	v_rcp_f64_e32 v[222:223], v[220:221]
	s_waitcnt_depctr 0xfff
	v_fma_f64 v[224:225], -v[220:221], v[222:223], 1.0
	v_fma_f64 v[222:223], v[222:223], v[224:225], v[222:223]
	s_delay_alu instid0(VALU_DEP_1) | instskip(NEXT) | instid1(VALU_DEP_1)
	v_fma_f64 v[224:225], -v[220:221], v[222:223], 1.0
	v_fma_f64 v[222:223], v[222:223], v[224:225], v[222:223]
	s_delay_alu instid0(VALU_DEP_1) | instskip(NEXT) | instid1(VALU_DEP_1)
	v_mul_f64 v[224:225], v[226:227], v[222:223]
	v_fma_f64 v[220:221], -v[220:221], v[224:225], v[226:227]
	s_delay_alu instid0(VALU_DEP_1) | instskip(NEXT) | instid1(VALU_DEP_1)
	v_div_fmas_f64 v[220:221], v[220:221], v[222:223], v[224:225]
	v_div_fixup_f64 v[220:221], v[220:221], v[218:219], v[216:217]
	s_delay_alu instid0(VALU_DEP_1) | instskip(NEXT) | instid1(VALU_DEP_1)
	v_fma_f64 v[216:217], v[216:217], v[220:221], v[218:219]
	v_div_scale_f64 v[218:219], null, v[216:217], v[216:217], 1.0
	s_delay_alu instid0(VALU_DEP_1) | instskip(SKIP_2) | instid1(VALU_DEP_1)
	v_rcp_f64_e32 v[222:223], v[218:219]
	s_waitcnt_depctr 0xfff
	v_fma_f64 v[224:225], -v[218:219], v[222:223], 1.0
	v_fma_f64 v[222:223], v[222:223], v[224:225], v[222:223]
	s_delay_alu instid0(VALU_DEP_1) | instskip(NEXT) | instid1(VALU_DEP_1)
	v_fma_f64 v[224:225], -v[218:219], v[222:223], 1.0
	v_fma_f64 v[222:223], v[222:223], v[224:225], v[222:223]
	v_div_scale_f64 v[224:225], vcc_lo, 1.0, v[216:217], 1.0
	s_delay_alu instid0(VALU_DEP_1) | instskip(NEXT) | instid1(VALU_DEP_1)
	v_mul_f64 v[226:227], v[224:225], v[222:223]
	v_fma_f64 v[218:219], -v[218:219], v[226:227], v[224:225]
	s_delay_alu instid0(VALU_DEP_1) | instskip(NEXT) | instid1(VALU_DEP_1)
	v_div_fmas_f64 v[218:219], v[218:219], v[222:223], v[226:227]
	v_div_fixup_f64 v[222:223], v[218:219], v[216:217], 1.0
                                        ; implicit-def: $vgpr216_vgpr217
	s_delay_alu instid0(VALU_DEP_1)
	v_mul_f64 v[224:225], v[220:221], v[222:223]
	v_xor_b32_e32 v223, 0x80000000, v223
.LBB119_491:
	s_and_not1_saveexec_b32 s3, s3
	s_cbranch_execz .LBB119_493
; %bb.492:
	v_div_scale_f64 v[220:221], null, v[216:217], v[216:217], v[218:219]
	v_div_scale_f64 v[226:227], vcc_lo, v[218:219], v[216:217], v[218:219]
	s_delay_alu instid0(VALU_DEP_2) | instskip(SKIP_2) | instid1(VALU_DEP_1)
	v_rcp_f64_e32 v[222:223], v[220:221]
	s_waitcnt_depctr 0xfff
	v_fma_f64 v[224:225], -v[220:221], v[222:223], 1.0
	v_fma_f64 v[222:223], v[222:223], v[224:225], v[222:223]
	s_delay_alu instid0(VALU_DEP_1) | instskip(NEXT) | instid1(VALU_DEP_1)
	v_fma_f64 v[224:225], -v[220:221], v[222:223], 1.0
	v_fma_f64 v[222:223], v[222:223], v[224:225], v[222:223]
	s_delay_alu instid0(VALU_DEP_1) | instskip(NEXT) | instid1(VALU_DEP_1)
	v_mul_f64 v[224:225], v[226:227], v[222:223]
	v_fma_f64 v[220:221], -v[220:221], v[224:225], v[226:227]
	s_delay_alu instid0(VALU_DEP_1) | instskip(NEXT) | instid1(VALU_DEP_1)
	v_div_fmas_f64 v[220:221], v[220:221], v[222:223], v[224:225]
	v_div_fixup_f64 v[220:221], v[220:221], v[216:217], v[218:219]
	s_delay_alu instid0(VALU_DEP_1) | instskip(NEXT) | instid1(VALU_DEP_1)
	v_fma_f64 v[216:217], v[218:219], v[220:221], v[216:217]
	v_div_scale_f64 v[218:219], null, v[216:217], v[216:217], 1.0
	s_delay_alu instid0(VALU_DEP_1) | instskip(SKIP_2) | instid1(VALU_DEP_1)
	v_rcp_f64_e32 v[222:223], v[218:219]
	s_waitcnt_depctr 0xfff
	v_fma_f64 v[224:225], -v[218:219], v[222:223], 1.0
	v_fma_f64 v[222:223], v[222:223], v[224:225], v[222:223]
	s_delay_alu instid0(VALU_DEP_1) | instskip(NEXT) | instid1(VALU_DEP_1)
	v_fma_f64 v[224:225], -v[218:219], v[222:223], 1.0
	v_fma_f64 v[222:223], v[222:223], v[224:225], v[222:223]
	v_div_scale_f64 v[224:225], vcc_lo, 1.0, v[216:217], 1.0
	s_delay_alu instid0(VALU_DEP_1) | instskip(NEXT) | instid1(VALU_DEP_1)
	v_mul_f64 v[226:227], v[224:225], v[222:223]
	v_fma_f64 v[218:219], -v[218:219], v[226:227], v[224:225]
	s_delay_alu instid0(VALU_DEP_1) | instskip(NEXT) | instid1(VALU_DEP_1)
	v_div_fmas_f64 v[218:219], v[218:219], v[222:223], v[226:227]
	v_div_fixup_f64 v[224:225], v[218:219], v[216:217], 1.0
	s_delay_alu instid0(VALU_DEP_1)
	v_mul_f64 v[222:223], v[220:221], -v[224:225]
.LBB119_493:
	s_or_b32 exec_lo, exec_lo, s3
	ds_store_2addr_b64 v248, v[224:225], v[222:223] offset1:1
.LBB119_494:
	s_or_b32 exec_lo, exec_lo, s4
	s_waitcnt lgkmcnt(0)
	s_barrier
	buffer_gl0_inv
	ds_load_2addr_b64 v[236:239], v248 offset1:1
	s_mov_b32 s3, exec_lo
	v_cmpx_lt_u32_e32 54, v251
	s_cbranch_execz .LBB119_496
; %bb.495:
	s_waitcnt lgkmcnt(0)
	v_mul_f64 v[216:217], v[236:237], v[22:23]
	v_mul_f64 v[22:23], v[238:239], v[22:23]
	s_delay_alu instid0(VALU_DEP_2) | instskip(SKIP_4) | instid1(VALU_DEP_1)
	v_fma_f64 v[220:221], v[238:239], v[20:21], v[216:217]
	ds_load_2addr_b64 v[216:219], v250 offset0:110 offset1:111
	v_fma_f64 v[20:21], v[236:237], v[20:21], -v[22:23]
	s_waitcnt lgkmcnt(0)
	v_mul_f64 v[22:23], v[218:219], v[220:221]
	v_fma_f64 v[22:23], v[216:217], v[20:21], -v[22:23]
	v_mul_f64 v[216:217], v[216:217], v[220:221]
	s_delay_alu instid0(VALU_DEP_2) | instskip(NEXT) | instid1(VALU_DEP_2)
	v_add_f64 v[16:17], v[16:17], -v[22:23]
	v_fma_f64 v[216:217], v[218:219], v[20:21], v[216:217]
	s_delay_alu instid0(VALU_DEP_1) | instskip(SKIP_3) | instid1(VALU_DEP_1)
	v_add_f64 v[18:19], v[18:19], -v[216:217]
	ds_load_2addr_b64 v[216:219], v250 offset0:112 offset1:113
	s_waitcnt lgkmcnt(0)
	v_mul_f64 v[22:23], v[218:219], v[220:221]
	v_fma_f64 v[22:23], v[216:217], v[20:21], -v[22:23]
	v_mul_f64 v[216:217], v[216:217], v[220:221]
	s_delay_alu instid0(VALU_DEP_2) | instskip(NEXT) | instid1(VALU_DEP_2)
	v_add_f64 v[12:13], v[12:13], -v[22:23]
	v_fma_f64 v[216:217], v[218:219], v[20:21], v[216:217]
	s_delay_alu instid0(VALU_DEP_1) | instskip(SKIP_3) | instid1(VALU_DEP_1)
	v_add_f64 v[14:15], v[14:15], -v[216:217]
	ds_load_2addr_b64 v[216:219], v250 offset0:114 offset1:115
	;; [unrolled: 10-line block ×4, first 2 shown]
	s_waitcnt lgkmcnt(0)
	v_mul_f64 v[22:23], v[218:219], v[220:221]
	v_fma_f64 v[22:23], v[216:217], v[20:21], -v[22:23]
	v_mul_f64 v[216:217], v[216:217], v[220:221]
	s_delay_alu instid0(VALU_DEP_2) | instskip(NEXT) | instid1(VALU_DEP_2)
	v_add_f64 v[0:1], v[0:1], -v[22:23]
	v_fma_f64 v[216:217], v[218:219], v[20:21], v[216:217]
	v_dual_mov_b32 v22, v220 :: v_dual_mov_b32 v23, v221
	s_delay_alu instid0(VALU_DEP_2)
	v_add_f64 v[2:3], v[2:3], -v[216:217]
.LBB119_496:
	s_or_b32 exec_lo, exec_lo, s3
	s_delay_alu instid0(SALU_CYCLE_1)
	s_mov_b32 s4, exec_lo
	s_waitcnt lgkmcnt(0)
	s_barrier
	buffer_gl0_inv
	v_cmpx_eq_u32_e32 55, v251
	s_cbranch_execz .LBB119_503
; %bb.497:
	ds_store_2addr_b64 v248, v[16:17], v[18:19] offset1:1
	ds_store_2addr_b64 v250, v[12:13], v[14:15] offset0:112 offset1:113
	ds_store_2addr_b64 v250, v[8:9], v[10:11] offset0:114 offset1:115
	;; [unrolled: 1-line block ×4, first 2 shown]
	ds_load_2addr_b64 v[216:219], v248 offset1:1
	s_waitcnt lgkmcnt(0)
	v_cmp_neq_f64_e32 vcc_lo, 0, v[216:217]
	v_cmp_neq_f64_e64 s3, 0, v[218:219]
	s_delay_alu instid0(VALU_DEP_1) | instskip(NEXT) | instid1(SALU_CYCLE_1)
	s_or_b32 s3, vcc_lo, s3
	s_and_b32 exec_lo, exec_lo, s3
	s_cbranch_execz .LBB119_503
; %bb.498:
	v_cmp_gt_f64_e32 vcc_lo, 0, v[216:217]
	v_xor_b32_e32 v212, 0x80000000, v217
	s_mov_b32 s3, exec_lo
                                        ; implicit-def: $vgpr224_vgpr225
	s_delay_alu instid0(VALU_DEP_1) | instskip(SKIP_3) | instid1(VALU_DEP_1)
	v_cndmask_b32_e32 v221, v217, v212, vcc_lo
	v_cndmask_b32_e32 v220, v216, v216, vcc_lo
	v_cmp_gt_f64_e32 vcc_lo, 0, v[218:219]
	v_xor_b32_e32 v212, 0x80000000, v219
	v_dual_cndmask_b32 v222, v218, v218 :: v_dual_cndmask_b32 v223, v219, v212
	s_delay_alu instid0(VALU_DEP_1)
	v_cmpx_ngt_f64_e32 v[220:221], v[222:223]
	s_xor_b32 s3, exec_lo, s3
                                        ; implicit-def: $vgpr220_vgpr221_vgpr222_vgpr223
	s_cbranch_execz .LBB119_500
; %bb.499:
	v_div_scale_f64 v[220:221], null, v[218:219], v[218:219], v[216:217]
	v_div_scale_f64 v[226:227], vcc_lo, v[216:217], v[218:219], v[216:217]
	s_delay_alu instid0(VALU_DEP_2) | instskip(SKIP_2) | instid1(VALU_DEP_1)
	v_rcp_f64_e32 v[222:223], v[220:221]
	s_waitcnt_depctr 0xfff
	v_fma_f64 v[224:225], -v[220:221], v[222:223], 1.0
	v_fma_f64 v[222:223], v[222:223], v[224:225], v[222:223]
	s_delay_alu instid0(VALU_DEP_1) | instskip(NEXT) | instid1(VALU_DEP_1)
	v_fma_f64 v[224:225], -v[220:221], v[222:223], 1.0
	v_fma_f64 v[222:223], v[222:223], v[224:225], v[222:223]
	s_delay_alu instid0(VALU_DEP_1) | instskip(NEXT) | instid1(VALU_DEP_1)
	v_mul_f64 v[224:225], v[226:227], v[222:223]
	v_fma_f64 v[220:221], -v[220:221], v[224:225], v[226:227]
	s_delay_alu instid0(VALU_DEP_1) | instskip(NEXT) | instid1(VALU_DEP_1)
	v_div_fmas_f64 v[220:221], v[220:221], v[222:223], v[224:225]
	v_div_fixup_f64 v[220:221], v[220:221], v[218:219], v[216:217]
	s_delay_alu instid0(VALU_DEP_1) | instskip(NEXT) | instid1(VALU_DEP_1)
	v_fma_f64 v[216:217], v[216:217], v[220:221], v[218:219]
	v_div_scale_f64 v[218:219], null, v[216:217], v[216:217], 1.0
	s_delay_alu instid0(VALU_DEP_1) | instskip(SKIP_2) | instid1(VALU_DEP_1)
	v_rcp_f64_e32 v[222:223], v[218:219]
	s_waitcnt_depctr 0xfff
	v_fma_f64 v[224:225], -v[218:219], v[222:223], 1.0
	v_fma_f64 v[222:223], v[222:223], v[224:225], v[222:223]
	s_delay_alu instid0(VALU_DEP_1) | instskip(NEXT) | instid1(VALU_DEP_1)
	v_fma_f64 v[224:225], -v[218:219], v[222:223], 1.0
	v_fma_f64 v[222:223], v[222:223], v[224:225], v[222:223]
	v_div_scale_f64 v[224:225], vcc_lo, 1.0, v[216:217], 1.0
	s_delay_alu instid0(VALU_DEP_1) | instskip(NEXT) | instid1(VALU_DEP_1)
	v_mul_f64 v[226:227], v[224:225], v[222:223]
	v_fma_f64 v[218:219], -v[218:219], v[226:227], v[224:225]
	s_delay_alu instid0(VALU_DEP_1) | instskip(NEXT) | instid1(VALU_DEP_1)
	v_div_fmas_f64 v[218:219], v[218:219], v[222:223], v[226:227]
	v_div_fixup_f64 v[222:223], v[218:219], v[216:217], 1.0
                                        ; implicit-def: $vgpr216_vgpr217
	s_delay_alu instid0(VALU_DEP_1)
	v_mul_f64 v[224:225], v[220:221], v[222:223]
	v_xor_b32_e32 v223, 0x80000000, v223
.LBB119_500:
	s_and_not1_saveexec_b32 s3, s3
	s_cbranch_execz .LBB119_502
; %bb.501:
	v_div_scale_f64 v[220:221], null, v[216:217], v[216:217], v[218:219]
	v_div_scale_f64 v[226:227], vcc_lo, v[218:219], v[216:217], v[218:219]
	s_delay_alu instid0(VALU_DEP_2) | instskip(SKIP_2) | instid1(VALU_DEP_1)
	v_rcp_f64_e32 v[222:223], v[220:221]
	s_waitcnt_depctr 0xfff
	v_fma_f64 v[224:225], -v[220:221], v[222:223], 1.0
	v_fma_f64 v[222:223], v[222:223], v[224:225], v[222:223]
	s_delay_alu instid0(VALU_DEP_1) | instskip(NEXT) | instid1(VALU_DEP_1)
	v_fma_f64 v[224:225], -v[220:221], v[222:223], 1.0
	v_fma_f64 v[222:223], v[222:223], v[224:225], v[222:223]
	s_delay_alu instid0(VALU_DEP_1) | instskip(NEXT) | instid1(VALU_DEP_1)
	v_mul_f64 v[224:225], v[226:227], v[222:223]
	v_fma_f64 v[220:221], -v[220:221], v[224:225], v[226:227]
	s_delay_alu instid0(VALU_DEP_1) | instskip(NEXT) | instid1(VALU_DEP_1)
	v_div_fmas_f64 v[220:221], v[220:221], v[222:223], v[224:225]
	v_div_fixup_f64 v[220:221], v[220:221], v[216:217], v[218:219]
	s_delay_alu instid0(VALU_DEP_1) | instskip(NEXT) | instid1(VALU_DEP_1)
	v_fma_f64 v[216:217], v[218:219], v[220:221], v[216:217]
	v_div_scale_f64 v[218:219], null, v[216:217], v[216:217], 1.0
	s_delay_alu instid0(VALU_DEP_1) | instskip(SKIP_2) | instid1(VALU_DEP_1)
	v_rcp_f64_e32 v[222:223], v[218:219]
	s_waitcnt_depctr 0xfff
	v_fma_f64 v[224:225], -v[218:219], v[222:223], 1.0
	v_fma_f64 v[222:223], v[222:223], v[224:225], v[222:223]
	s_delay_alu instid0(VALU_DEP_1) | instskip(NEXT) | instid1(VALU_DEP_1)
	v_fma_f64 v[224:225], -v[218:219], v[222:223], 1.0
	v_fma_f64 v[222:223], v[222:223], v[224:225], v[222:223]
	v_div_scale_f64 v[224:225], vcc_lo, 1.0, v[216:217], 1.0
	s_delay_alu instid0(VALU_DEP_1) | instskip(NEXT) | instid1(VALU_DEP_1)
	v_mul_f64 v[226:227], v[224:225], v[222:223]
	v_fma_f64 v[218:219], -v[218:219], v[226:227], v[224:225]
	s_delay_alu instid0(VALU_DEP_1) | instskip(NEXT) | instid1(VALU_DEP_1)
	v_div_fmas_f64 v[218:219], v[218:219], v[222:223], v[226:227]
	v_div_fixup_f64 v[224:225], v[218:219], v[216:217], 1.0
	s_delay_alu instid0(VALU_DEP_1)
	v_mul_f64 v[222:223], v[220:221], -v[224:225]
.LBB119_502:
	s_or_b32 exec_lo, exec_lo, s3
	ds_store_2addr_b64 v248, v[224:225], v[222:223] offset1:1
.LBB119_503:
	s_or_b32 exec_lo, exec_lo, s4
	s_waitcnt lgkmcnt(0)
	s_barrier
	buffer_gl0_inv
	ds_load_2addr_b64 v[232:235], v248 offset1:1
	s_mov_b32 s3, exec_lo
	v_cmpx_lt_u32_e32 55, v251
	s_cbranch_execz .LBB119_505
; %bb.504:
	s_waitcnt lgkmcnt(0)
	v_mul_f64 v[216:217], v[232:233], v[18:19]
	v_mul_f64 v[18:19], v[234:235], v[18:19]
	s_delay_alu instid0(VALU_DEP_2) | instskip(SKIP_4) | instid1(VALU_DEP_1)
	v_fma_f64 v[220:221], v[234:235], v[16:17], v[216:217]
	ds_load_2addr_b64 v[216:219], v250 offset0:112 offset1:113
	v_fma_f64 v[16:17], v[232:233], v[16:17], -v[18:19]
	s_waitcnt lgkmcnt(0)
	v_mul_f64 v[18:19], v[218:219], v[220:221]
	v_fma_f64 v[18:19], v[216:217], v[16:17], -v[18:19]
	v_mul_f64 v[216:217], v[216:217], v[220:221]
	s_delay_alu instid0(VALU_DEP_2) | instskip(NEXT) | instid1(VALU_DEP_2)
	v_add_f64 v[12:13], v[12:13], -v[18:19]
	v_fma_f64 v[216:217], v[218:219], v[16:17], v[216:217]
	s_delay_alu instid0(VALU_DEP_1) | instskip(SKIP_3) | instid1(VALU_DEP_1)
	v_add_f64 v[14:15], v[14:15], -v[216:217]
	ds_load_2addr_b64 v[216:219], v250 offset0:114 offset1:115
	s_waitcnt lgkmcnt(0)
	v_mul_f64 v[18:19], v[218:219], v[220:221]
	v_fma_f64 v[18:19], v[216:217], v[16:17], -v[18:19]
	v_mul_f64 v[216:217], v[216:217], v[220:221]
	s_delay_alu instid0(VALU_DEP_2) | instskip(NEXT) | instid1(VALU_DEP_2)
	v_add_f64 v[8:9], v[8:9], -v[18:19]
	v_fma_f64 v[216:217], v[218:219], v[16:17], v[216:217]
	s_delay_alu instid0(VALU_DEP_1) | instskip(SKIP_3) | instid1(VALU_DEP_1)
	v_add_f64 v[10:11], v[10:11], -v[216:217]
	ds_load_2addr_b64 v[216:219], v250 offset0:116 offset1:117
	;; [unrolled: 10-line block ×3, first 2 shown]
	s_waitcnt lgkmcnt(0)
	v_mul_f64 v[18:19], v[218:219], v[220:221]
	v_fma_f64 v[18:19], v[216:217], v[16:17], -v[18:19]
	v_mul_f64 v[216:217], v[216:217], v[220:221]
	s_delay_alu instid0(VALU_DEP_2) | instskip(NEXT) | instid1(VALU_DEP_2)
	v_add_f64 v[0:1], v[0:1], -v[18:19]
	v_fma_f64 v[216:217], v[218:219], v[16:17], v[216:217]
	v_dual_mov_b32 v18, v220 :: v_dual_mov_b32 v19, v221
	s_delay_alu instid0(VALU_DEP_2)
	v_add_f64 v[2:3], v[2:3], -v[216:217]
.LBB119_505:
	s_or_b32 exec_lo, exec_lo, s3
	s_delay_alu instid0(SALU_CYCLE_1)
	s_mov_b32 s4, exec_lo
	s_waitcnt lgkmcnt(0)
	s_barrier
	buffer_gl0_inv
	v_cmpx_eq_u32_e32 56, v251
	s_cbranch_execz .LBB119_512
; %bb.506:
	ds_store_2addr_b64 v248, v[12:13], v[14:15] offset1:1
	ds_store_2addr_b64 v250, v[8:9], v[10:11] offset0:114 offset1:115
	ds_store_2addr_b64 v250, v[4:5], v[6:7] offset0:116 offset1:117
	;; [unrolled: 1-line block ×3, first 2 shown]
	ds_load_2addr_b64 v[216:219], v248 offset1:1
	s_waitcnt lgkmcnt(0)
	v_cmp_neq_f64_e32 vcc_lo, 0, v[216:217]
	v_cmp_neq_f64_e64 s3, 0, v[218:219]
	s_delay_alu instid0(VALU_DEP_1) | instskip(NEXT) | instid1(SALU_CYCLE_1)
	s_or_b32 s3, vcc_lo, s3
	s_and_b32 exec_lo, exec_lo, s3
	s_cbranch_execz .LBB119_512
; %bb.507:
	v_cmp_gt_f64_e32 vcc_lo, 0, v[216:217]
	v_xor_b32_e32 v212, 0x80000000, v217
	s_mov_b32 s3, exec_lo
                                        ; implicit-def: $vgpr224_vgpr225
	s_delay_alu instid0(VALU_DEP_1) | instskip(SKIP_3) | instid1(VALU_DEP_1)
	v_cndmask_b32_e32 v221, v217, v212, vcc_lo
	v_cndmask_b32_e32 v220, v216, v216, vcc_lo
	v_cmp_gt_f64_e32 vcc_lo, 0, v[218:219]
	v_xor_b32_e32 v212, 0x80000000, v219
	v_dual_cndmask_b32 v222, v218, v218 :: v_dual_cndmask_b32 v223, v219, v212
	s_delay_alu instid0(VALU_DEP_1)
	v_cmpx_ngt_f64_e32 v[220:221], v[222:223]
	s_xor_b32 s3, exec_lo, s3
                                        ; implicit-def: $vgpr220_vgpr221_vgpr222_vgpr223
	s_cbranch_execz .LBB119_509
; %bb.508:
	v_div_scale_f64 v[220:221], null, v[218:219], v[218:219], v[216:217]
	v_div_scale_f64 v[226:227], vcc_lo, v[216:217], v[218:219], v[216:217]
	s_delay_alu instid0(VALU_DEP_2) | instskip(SKIP_2) | instid1(VALU_DEP_1)
	v_rcp_f64_e32 v[222:223], v[220:221]
	s_waitcnt_depctr 0xfff
	v_fma_f64 v[224:225], -v[220:221], v[222:223], 1.0
	v_fma_f64 v[222:223], v[222:223], v[224:225], v[222:223]
	s_delay_alu instid0(VALU_DEP_1) | instskip(NEXT) | instid1(VALU_DEP_1)
	v_fma_f64 v[224:225], -v[220:221], v[222:223], 1.0
	v_fma_f64 v[222:223], v[222:223], v[224:225], v[222:223]
	s_delay_alu instid0(VALU_DEP_1) | instskip(NEXT) | instid1(VALU_DEP_1)
	v_mul_f64 v[224:225], v[226:227], v[222:223]
	v_fma_f64 v[220:221], -v[220:221], v[224:225], v[226:227]
	s_delay_alu instid0(VALU_DEP_1) | instskip(NEXT) | instid1(VALU_DEP_1)
	v_div_fmas_f64 v[220:221], v[220:221], v[222:223], v[224:225]
	v_div_fixup_f64 v[220:221], v[220:221], v[218:219], v[216:217]
	s_delay_alu instid0(VALU_DEP_1) | instskip(NEXT) | instid1(VALU_DEP_1)
	v_fma_f64 v[216:217], v[216:217], v[220:221], v[218:219]
	v_div_scale_f64 v[218:219], null, v[216:217], v[216:217], 1.0
	s_delay_alu instid0(VALU_DEP_1) | instskip(SKIP_2) | instid1(VALU_DEP_1)
	v_rcp_f64_e32 v[222:223], v[218:219]
	s_waitcnt_depctr 0xfff
	v_fma_f64 v[224:225], -v[218:219], v[222:223], 1.0
	v_fma_f64 v[222:223], v[222:223], v[224:225], v[222:223]
	s_delay_alu instid0(VALU_DEP_1) | instskip(NEXT) | instid1(VALU_DEP_1)
	v_fma_f64 v[224:225], -v[218:219], v[222:223], 1.0
	v_fma_f64 v[222:223], v[222:223], v[224:225], v[222:223]
	v_div_scale_f64 v[224:225], vcc_lo, 1.0, v[216:217], 1.0
	s_delay_alu instid0(VALU_DEP_1) | instskip(NEXT) | instid1(VALU_DEP_1)
	v_mul_f64 v[226:227], v[224:225], v[222:223]
	v_fma_f64 v[218:219], -v[218:219], v[226:227], v[224:225]
	s_delay_alu instid0(VALU_DEP_1) | instskip(NEXT) | instid1(VALU_DEP_1)
	v_div_fmas_f64 v[218:219], v[218:219], v[222:223], v[226:227]
	v_div_fixup_f64 v[222:223], v[218:219], v[216:217], 1.0
                                        ; implicit-def: $vgpr216_vgpr217
	s_delay_alu instid0(VALU_DEP_1)
	v_mul_f64 v[224:225], v[220:221], v[222:223]
	v_xor_b32_e32 v223, 0x80000000, v223
.LBB119_509:
	s_and_not1_saveexec_b32 s3, s3
	s_cbranch_execz .LBB119_511
; %bb.510:
	v_div_scale_f64 v[220:221], null, v[216:217], v[216:217], v[218:219]
	v_div_scale_f64 v[226:227], vcc_lo, v[218:219], v[216:217], v[218:219]
	s_delay_alu instid0(VALU_DEP_2) | instskip(SKIP_2) | instid1(VALU_DEP_1)
	v_rcp_f64_e32 v[222:223], v[220:221]
	s_waitcnt_depctr 0xfff
	v_fma_f64 v[224:225], -v[220:221], v[222:223], 1.0
	v_fma_f64 v[222:223], v[222:223], v[224:225], v[222:223]
	s_delay_alu instid0(VALU_DEP_1) | instskip(NEXT) | instid1(VALU_DEP_1)
	v_fma_f64 v[224:225], -v[220:221], v[222:223], 1.0
	v_fma_f64 v[222:223], v[222:223], v[224:225], v[222:223]
	s_delay_alu instid0(VALU_DEP_1) | instskip(NEXT) | instid1(VALU_DEP_1)
	v_mul_f64 v[224:225], v[226:227], v[222:223]
	v_fma_f64 v[220:221], -v[220:221], v[224:225], v[226:227]
	s_delay_alu instid0(VALU_DEP_1) | instskip(NEXT) | instid1(VALU_DEP_1)
	v_div_fmas_f64 v[220:221], v[220:221], v[222:223], v[224:225]
	v_div_fixup_f64 v[220:221], v[220:221], v[216:217], v[218:219]
	s_delay_alu instid0(VALU_DEP_1) | instskip(NEXT) | instid1(VALU_DEP_1)
	v_fma_f64 v[216:217], v[218:219], v[220:221], v[216:217]
	v_div_scale_f64 v[218:219], null, v[216:217], v[216:217], 1.0
	s_delay_alu instid0(VALU_DEP_1) | instskip(SKIP_2) | instid1(VALU_DEP_1)
	v_rcp_f64_e32 v[222:223], v[218:219]
	s_waitcnt_depctr 0xfff
	v_fma_f64 v[224:225], -v[218:219], v[222:223], 1.0
	v_fma_f64 v[222:223], v[222:223], v[224:225], v[222:223]
	s_delay_alu instid0(VALU_DEP_1) | instskip(NEXT) | instid1(VALU_DEP_1)
	v_fma_f64 v[224:225], -v[218:219], v[222:223], 1.0
	v_fma_f64 v[222:223], v[222:223], v[224:225], v[222:223]
	v_div_scale_f64 v[224:225], vcc_lo, 1.0, v[216:217], 1.0
	s_delay_alu instid0(VALU_DEP_1) | instskip(NEXT) | instid1(VALU_DEP_1)
	v_mul_f64 v[226:227], v[224:225], v[222:223]
	v_fma_f64 v[218:219], -v[218:219], v[226:227], v[224:225]
	s_delay_alu instid0(VALU_DEP_1) | instskip(NEXT) | instid1(VALU_DEP_1)
	v_div_fmas_f64 v[218:219], v[218:219], v[222:223], v[226:227]
	v_div_fixup_f64 v[224:225], v[218:219], v[216:217], 1.0
	s_delay_alu instid0(VALU_DEP_1)
	v_mul_f64 v[222:223], v[220:221], -v[224:225]
.LBB119_511:
	s_or_b32 exec_lo, exec_lo, s3
	ds_store_2addr_b64 v248, v[224:225], v[222:223] offset1:1
.LBB119_512:
	s_or_b32 exec_lo, exec_lo, s4
	s_waitcnt lgkmcnt(0)
	s_barrier
	buffer_gl0_inv
	ds_load_2addr_b64 v[228:231], v248 offset1:1
	s_mov_b32 s3, exec_lo
	v_cmpx_lt_u32_e32 56, v251
	s_cbranch_execz .LBB119_514
; %bb.513:
	s_waitcnt lgkmcnt(0)
	v_mul_f64 v[216:217], v[228:229], v[14:15]
	v_mul_f64 v[14:15], v[230:231], v[14:15]
	s_delay_alu instid0(VALU_DEP_2) | instskip(SKIP_4) | instid1(VALU_DEP_1)
	v_fma_f64 v[220:221], v[230:231], v[12:13], v[216:217]
	ds_load_2addr_b64 v[216:219], v250 offset0:114 offset1:115
	v_fma_f64 v[12:13], v[228:229], v[12:13], -v[14:15]
	s_waitcnt lgkmcnt(0)
	v_mul_f64 v[14:15], v[218:219], v[220:221]
	v_fma_f64 v[14:15], v[216:217], v[12:13], -v[14:15]
	v_mul_f64 v[216:217], v[216:217], v[220:221]
	s_delay_alu instid0(VALU_DEP_2) | instskip(NEXT) | instid1(VALU_DEP_2)
	v_add_f64 v[8:9], v[8:9], -v[14:15]
	v_fma_f64 v[216:217], v[218:219], v[12:13], v[216:217]
	s_delay_alu instid0(VALU_DEP_1) | instskip(SKIP_3) | instid1(VALU_DEP_1)
	v_add_f64 v[10:11], v[10:11], -v[216:217]
	ds_load_2addr_b64 v[216:219], v250 offset0:116 offset1:117
	s_waitcnt lgkmcnt(0)
	v_mul_f64 v[14:15], v[218:219], v[220:221]
	v_fma_f64 v[14:15], v[216:217], v[12:13], -v[14:15]
	v_mul_f64 v[216:217], v[216:217], v[220:221]
	s_delay_alu instid0(VALU_DEP_2) | instskip(NEXT) | instid1(VALU_DEP_2)
	v_add_f64 v[4:5], v[4:5], -v[14:15]
	v_fma_f64 v[216:217], v[218:219], v[12:13], v[216:217]
	s_delay_alu instid0(VALU_DEP_1) | instskip(SKIP_3) | instid1(VALU_DEP_1)
	v_add_f64 v[6:7], v[6:7], -v[216:217]
	ds_load_2addr_b64 v[216:219], v250 offset0:118 offset1:119
	s_waitcnt lgkmcnt(0)
	v_mul_f64 v[14:15], v[218:219], v[220:221]
	v_fma_f64 v[14:15], v[216:217], v[12:13], -v[14:15]
	v_mul_f64 v[216:217], v[216:217], v[220:221]
	s_delay_alu instid0(VALU_DEP_2) | instskip(NEXT) | instid1(VALU_DEP_2)
	v_add_f64 v[0:1], v[0:1], -v[14:15]
	v_fma_f64 v[216:217], v[218:219], v[12:13], v[216:217]
	v_dual_mov_b32 v14, v220 :: v_dual_mov_b32 v15, v221
	s_delay_alu instid0(VALU_DEP_2)
	v_add_f64 v[2:3], v[2:3], -v[216:217]
.LBB119_514:
	s_or_b32 exec_lo, exec_lo, s3
	s_delay_alu instid0(SALU_CYCLE_1)
	s_mov_b32 s4, exec_lo
	s_waitcnt lgkmcnt(0)
	s_barrier
	buffer_gl0_inv
	v_cmpx_eq_u32_e32 57, v251
	s_cbranch_execz .LBB119_521
; %bb.515:
	ds_store_2addr_b64 v248, v[8:9], v[10:11] offset1:1
	ds_store_2addr_b64 v250, v[4:5], v[6:7] offset0:116 offset1:117
	ds_store_2addr_b64 v250, v[0:1], v[2:3] offset0:118 offset1:119
	ds_load_2addr_b64 v[216:219], v248 offset1:1
	s_waitcnt lgkmcnt(0)
	v_cmp_neq_f64_e32 vcc_lo, 0, v[216:217]
	v_cmp_neq_f64_e64 s3, 0, v[218:219]
	s_delay_alu instid0(VALU_DEP_1) | instskip(NEXT) | instid1(SALU_CYCLE_1)
	s_or_b32 s3, vcc_lo, s3
	s_and_b32 exec_lo, exec_lo, s3
	s_cbranch_execz .LBB119_521
; %bb.516:
	v_cmp_gt_f64_e32 vcc_lo, 0, v[216:217]
	v_xor_b32_e32 v212, 0x80000000, v217
	s_mov_b32 s3, exec_lo
                                        ; implicit-def: $vgpr224_vgpr225
	s_delay_alu instid0(VALU_DEP_1) | instskip(SKIP_3) | instid1(VALU_DEP_1)
	v_cndmask_b32_e32 v221, v217, v212, vcc_lo
	v_cndmask_b32_e32 v220, v216, v216, vcc_lo
	v_cmp_gt_f64_e32 vcc_lo, 0, v[218:219]
	v_xor_b32_e32 v212, 0x80000000, v219
	v_dual_cndmask_b32 v222, v218, v218 :: v_dual_cndmask_b32 v223, v219, v212
	s_delay_alu instid0(VALU_DEP_1)
	v_cmpx_ngt_f64_e32 v[220:221], v[222:223]
	s_xor_b32 s3, exec_lo, s3
                                        ; implicit-def: $vgpr220_vgpr221_vgpr222_vgpr223
	s_cbranch_execz .LBB119_518
; %bb.517:
	v_div_scale_f64 v[220:221], null, v[218:219], v[218:219], v[216:217]
	v_div_scale_f64 v[226:227], vcc_lo, v[216:217], v[218:219], v[216:217]
	s_delay_alu instid0(VALU_DEP_2) | instskip(SKIP_2) | instid1(VALU_DEP_1)
	v_rcp_f64_e32 v[222:223], v[220:221]
	s_waitcnt_depctr 0xfff
	v_fma_f64 v[224:225], -v[220:221], v[222:223], 1.0
	v_fma_f64 v[222:223], v[222:223], v[224:225], v[222:223]
	s_delay_alu instid0(VALU_DEP_1) | instskip(NEXT) | instid1(VALU_DEP_1)
	v_fma_f64 v[224:225], -v[220:221], v[222:223], 1.0
	v_fma_f64 v[222:223], v[222:223], v[224:225], v[222:223]
	s_delay_alu instid0(VALU_DEP_1) | instskip(NEXT) | instid1(VALU_DEP_1)
	v_mul_f64 v[224:225], v[226:227], v[222:223]
	v_fma_f64 v[220:221], -v[220:221], v[224:225], v[226:227]
	s_delay_alu instid0(VALU_DEP_1) | instskip(NEXT) | instid1(VALU_DEP_1)
	v_div_fmas_f64 v[220:221], v[220:221], v[222:223], v[224:225]
	v_div_fixup_f64 v[220:221], v[220:221], v[218:219], v[216:217]
	s_delay_alu instid0(VALU_DEP_1) | instskip(NEXT) | instid1(VALU_DEP_1)
	v_fma_f64 v[216:217], v[216:217], v[220:221], v[218:219]
	v_div_scale_f64 v[218:219], null, v[216:217], v[216:217], 1.0
	s_delay_alu instid0(VALU_DEP_1) | instskip(SKIP_2) | instid1(VALU_DEP_1)
	v_rcp_f64_e32 v[222:223], v[218:219]
	s_waitcnt_depctr 0xfff
	v_fma_f64 v[224:225], -v[218:219], v[222:223], 1.0
	v_fma_f64 v[222:223], v[222:223], v[224:225], v[222:223]
	s_delay_alu instid0(VALU_DEP_1) | instskip(NEXT) | instid1(VALU_DEP_1)
	v_fma_f64 v[224:225], -v[218:219], v[222:223], 1.0
	v_fma_f64 v[222:223], v[222:223], v[224:225], v[222:223]
	v_div_scale_f64 v[224:225], vcc_lo, 1.0, v[216:217], 1.0
	s_delay_alu instid0(VALU_DEP_1) | instskip(NEXT) | instid1(VALU_DEP_1)
	v_mul_f64 v[226:227], v[224:225], v[222:223]
	v_fma_f64 v[218:219], -v[218:219], v[226:227], v[224:225]
	s_delay_alu instid0(VALU_DEP_1) | instskip(NEXT) | instid1(VALU_DEP_1)
	v_div_fmas_f64 v[218:219], v[218:219], v[222:223], v[226:227]
	v_div_fixup_f64 v[222:223], v[218:219], v[216:217], 1.0
                                        ; implicit-def: $vgpr216_vgpr217
	s_delay_alu instid0(VALU_DEP_1)
	v_mul_f64 v[224:225], v[220:221], v[222:223]
	v_xor_b32_e32 v223, 0x80000000, v223
.LBB119_518:
	s_and_not1_saveexec_b32 s3, s3
	s_cbranch_execz .LBB119_520
; %bb.519:
	v_div_scale_f64 v[220:221], null, v[216:217], v[216:217], v[218:219]
	v_div_scale_f64 v[226:227], vcc_lo, v[218:219], v[216:217], v[218:219]
	s_delay_alu instid0(VALU_DEP_2) | instskip(SKIP_2) | instid1(VALU_DEP_1)
	v_rcp_f64_e32 v[222:223], v[220:221]
	s_waitcnt_depctr 0xfff
	v_fma_f64 v[224:225], -v[220:221], v[222:223], 1.0
	v_fma_f64 v[222:223], v[222:223], v[224:225], v[222:223]
	s_delay_alu instid0(VALU_DEP_1) | instskip(NEXT) | instid1(VALU_DEP_1)
	v_fma_f64 v[224:225], -v[220:221], v[222:223], 1.0
	v_fma_f64 v[222:223], v[222:223], v[224:225], v[222:223]
	s_delay_alu instid0(VALU_DEP_1) | instskip(NEXT) | instid1(VALU_DEP_1)
	v_mul_f64 v[224:225], v[226:227], v[222:223]
	v_fma_f64 v[220:221], -v[220:221], v[224:225], v[226:227]
	s_delay_alu instid0(VALU_DEP_1) | instskip(NEXT) | instid1(VALU_DEP_1)
	v_div_fmas_f64 v[220:221], v[220:221], v[222:223], v[224:225]
	v_div_fixup_f64 v[220:221], v[220:221], v[216:217], v[218:219]
	s_delay_alu instid0(VALU_DEP_1) | instskip(NEXT) | instid1(VALU_DEP_1)
	v_fma_f64 v[216:217], v[218:219], v[220:221], v[216:217]
	v_div_scale_f64 v[218:219], null, v[216:217], v[216:217], 1.0
	s_delay_alu instid0(VALU_DEP_1) | instskip(SKIP_2) | instid1(VALU_DEP_1)
	v_rcp_f64_e32 v[222:223], v[218:219]
	s_waitcnt_depctr 0xfff
	v_fma_f64 v[224:225], -v[218:219], v[222:223], 1.0
	v_fma_f64 v[222:223], v[222:223], v[224:225], v[222:223]
	s_delay_alu instid0(VALU_DEP_1) | instskip(NEXT) | instid1(VALU_DEP_1)
	v_fma_f64 v[224:225], -v[218:219], v[222:223], 1.0
	v_fma_f64 v[222:223], v[222:223], v[224:225], v[222:223]
	v_div_scale_f64 v[224:225], vcc_lo, 1.0, v[216:217], 1.0
	s_delay_alu instid0(VALU_DEP_1) | instskip(NEXT) | instid1(VALU_DEP_1)
	v_mul_f64 v[226:227], v[224:225], v[222:223]
	v_fma_f64 v[218:219], -v[218:219], v[226:227], v[224:225]
	s_delay_alu instid0(VALU_DEP_1) | instskip(NEXT) | instid1(VALU_DEP_1)
	v_div_fmas_f64 v[218:219], v[218:219], v[222:223], v[226:227]
	v_div_fixup_f64 v[224:225], v[218:219], v[216:217], 1.0
	s_delay_alu instid0(VALU_DEP_1)
	v_mul_f64 v[222:223], v[220:221], -v[224:225]
.LBB119_520:
	s_or_b32 exec_lo, exec_lo, s3
	ds_store_2addr_b64 v248, v[224:225], v[222:223] offset1:1
.LBB119_521:
	s_or_b32 exec_lo, exec_lo, s4
	s_waitcnt lgkmcnt(0)
	s_barrier
	buffer_gl0_inv
	ds_load_2addr_b64 v[224:227], v248 offset1:1
	s_mov_b32 s3, exec_lo
	v_cmpx_lt_u32_e32 57, v251
	s_cbranch_execz .LBB119_523
; %bb.522:
	s_waitcnt lgkmcnt(0)
	v_mul_f64 v[216:217], v[224:225], v[10:11]
	v_mul_f64 v[10:11], v[226:227], v[10:11]
	s_delay_alu instid0(VALU_DEP_2) | instskip(SKIP_4) | instid1(VALU_DEP_1)
	v_fma_f64 v[220:221], v[226:227], v[8:9], v[216:217]
	ds_load_2addr_b64 v[216:219], v250 offset0:116 offset1:117
	v_fma_f64 v[8:9], v[224:225], v[8:9], -v[10:11]
	s_waitcnt lgkmcnt(0)
	v_mul_f64 v[10:11], v[218:219], v[220:221]
	v_fma_f64 v[10:11], v[216:217], v[8:9], -v[10:11]
	v_mul_f64 v[216:217], v[216:217], v[220:221]
	s_delay_alu instid0(VALU_DEP_2) | instskip(NEXT) | instid1(VALU_DEP_2)
	v_add_f64 v[4:5], v[4:5], -v[10:11]
	v_fma_f64 v[216:217], v[218:219], v[8:9], v[216:217]
	s_delay_alu instid0(VALU_DEP_1) | instskip(SKIP_3) | instid1(VALU_DEP_1)
	v_add_f64 v[6:7], v[6:7], -v[216:217]
	ds_load_2addr_b64 v[216:219], v250 offset0:118 offset1:119
	s_waitcnt lgkmcnt(0)
	v_mul_f64 v[10:11], v[218:219], v[220:221]
	v_fma_f64 v[10:11], v[216:217], v[8:9], -v[10:11]
	v_mul_f64 v[216:217], v[216:217], v[220:221]
	s_delay_alu instid0(VALU_DEP_2) | instskip(NEXT) | instid1(VALU_DEP_2)
	v_add_f64 v[0:1], v[0:1], -v[10:11]
	v_fma_f64 v[216:217], v[218:219], v[8:9], v[216:217]
	v_dual_mov_b32 v10, v220 :: v_dual_mov_b32 v11, v221
	s_delay_alu instid0(VALU_DEP_2)
	v_add_f64 v[2:3], v[2:3], -v[216:217]
.LBB119_523:
	s_or_b32 exec_lo, exec_lo, s3
	s_delay_alu instid0(SALU_CYCLE_1)
	s_mov_b32 s4, exec_lo
	s_waitcnt lgkmcnt(0)
	s_barrier
	buffer_gl0_inv
	v_cmpx_eq_u32_e32 58, v251
	s_cbranch_execz .LBB119_530
; %bb.524:
	ds_store_2addr_b64 v248, v[4:5], v[6:7] offset1:1
	ds_store_2addr_b64 v250, v[0:1], v[2:3] offset0:118 offset1:119
	ds_load_2addr_b64 v[216:219], v248 offset1:1
	s_waitcnt lgkmcnt(0)
	v_cmp_neq_f64_e32 vcc_lo, 0, v[216:217]
	v_cmp_neq_f64_e64 s3, 0, v[218:219]
	s_delay_alu instid0(VALU_DEP_1) | instskip(NEXT) | instid1(SALU_CYCLE_1)
	s_or_b32 s3, vcc_lo, s3
	s_and_b32 exec_lo, exec_lo, s3
	s_cbranch_execz .LBB119_530
; %bb.525:
	v_cmp_gt_f64_e32 vcc_lo, 0, v[216:217]
	v_xor_b32_e32 v212, 0x80000000, v217
	v_mov_b32_e32 v208, v248
	s_mov_b32 s3, exec_lo
                                        ; implicit-def: $vgpr248_vgpr249
	s_delay_alu instid0(VALU_DEP_2) | instskip(SKIP_3) | instid1(VALU_DEP_1)
	v_cndmask_b32_e32 v221, v217, v212, vcc_lo
	v_cndmask_b32_e32 v220, v216, v216, vcc_lo
	v_cmp_gt_f64_e32 vcc_lo, 0, v[218:219]
	v_xor_b32_e32 v212, 0x80000000, v219
	v_dual_cndmask_b32 v223, v219, v212 :: v_dual_cndmask_b32 v222, v218, v218
	s_delay_alu instid0(VALU_DEP_1)
	v_cmpx_ngt_f64_e32 v[220:221], v[222:223]
	s_xor_b32 s3, exec_lo, s3
                                        ; implicit-def: $vgpr220_vgpr221_vgpr222_vgpr223
	s_cbranch_execz .LBB119_527
; %bb.526:
	v_div_scale_f64 v[220:221], null, v[218:219], v[218:219], v[216:217]
	v_div_scale_f64 v[212:213], vcc_lo, v[216:217], v[218:219], v[216:217]
	s_delay_alu instid0(VALU_DEP_2) | instskip(SKIP_2) | instid1(VALU_DEP_1)
	v_rcp_f64_e32 v[222:223], v[220:221]
	s_waitcnt_depctr 0xfff
	v_fma_f64 v[248:249], -v[220:221], v[222:223], 1.0
	v_fma_f64 v[222:223], v[222:223], v[248:249], v[222:223]
	s_delay_alu instid0(VALU_DEP_1) | instskip(NEXT) | instid1(VALU_DEP_1)
	v_fma_f64 v[248:249], -v[220:221], v[222:223], 1.0
	v_fma_f64 v[214:215], v[222:223], v[248:249], v[222:223]
	s_delay_alu instid0(VALU_DEP_1) | instskip(NEXT) | instid1(VALU_DEP_1)
	v_mul_f64 v[222:223], v[212:213], v[214:215]
	v_fma_f64 v[212:213], -v[220:221], v[222:223], v[212:213]
	s_delay_alu instid0(VALU_DEP_1) | instskip(NEXT) | instid1(VALU_DEP_1)
	v_div_fmas_f64 v[212:213], v[212:213], v[214:215], v[222:223]
	v_div_fixup_f64 v[212:213], v[212:213], v[218:219], v[216:217]
	s_delay_alu instid0(VALU_DEP_1) | instskip(NEXT) | instid1(VALU_DEP_1)
	v_fma_f64 v[214:215], v[216:217], v[212:213], v[218:219]
	v_div_scale_f64 v[216:217], null, v[214:215], v[214:215], 1.0
	s_delay_alu instid0(VALU_DEP_1) | instskip(SKIP_2) | instid1(VALU_DEP_1)
	v_rcp_f64_e32 v[218:219], v[216:217]
	s_waitcnt_depctr 0xfff
	v_fma_f64 v[220:221], -v[216:217], v[218:219], 1.0
	v_fma_f64 v[218:219], v[218:219], v[220:221], v[218:219]
	s_delay_alu instid0(VALU_DEP_1) | instskip(NEXT) | instid1(VALU_DEP_1)
	v_fma_f64 v[220:221], -v[216:217], v[218:219], 1.0
	v_fma_f64 v[218:219], v[218:219], v[220:221], v[218:219]
	v_div_scale_f64 v[220:221], vcc_lo, 1.0, v[214:215], 1.0
	s_delay_alu instid0(VALU_DEP_1) | instskip(NEXT) | instid1(VALU_DEP_1)
	v_mul_f64 v[222:223], v[220:221], v[218:219]
	v_fma_f64 v[216:217], -v[216:217], v[222:223], v[220:221]
	s_delay_alu instid0(VALU_DEP_1) | instskip(NEXT) | instid1(VALU_DEP_1)
	v_div_fmas_f64 v[216:217], v[216:217], v[218:219], v[222:223]
	v_div_fixup_f64 v[222:223], v[216:217], v[214:215], 1.0
                                        ; implicit-def: $vgpr216_vgpr217
	s_delay_alu instid0(VALU_DEP_1)
	v_mul_f64 v[248:249], v[212:213], v[222:223]
	v_xor_b32_e32 v223, 0x80000000, v223
.LBB119_527:
	s_and_not1_saveexec_b32 s3, s3
	s_cbranch_execz .LBB119_529
; %bb.528:
	v_div_scale_f64 v[212:213], null, v[216:217], v[216:217], v[218:219]
	v_div_scale_f64 v[222:223], vcc_lo, v[218:219], v[216:217], v[218:219]
	s_delay_alu instid0(VALU_DEP_2) | instskip(SKIP_2) | instid1(VALU_DEP_1)
	v_rcp_f64_e32 v[214:215], v[212:213]
	s_waitcnt_depctr 0xfff
	v_fma_f64 v[220:221], -v[212:213], v[214:215], 1.0
	v_fma_f64 v[214:215], v[214:215], v[220:221], v[214:215]
	s_delay_alu instid0(VALU_DEP_1) | instskip(NEXT) | instid1(VALU_DEP_1)
	v_fma_f64 v[220:221], -v[212:213], v[214:215], 1.0
	v_fma_f64 v[214:215], v[214:215], v[220:221], v[214:215]
	s_delay_alu instid0(VALU_DEP_1) | instskip(NEXT) | instid1(VALU_DEP_1)
	v_mul_f64 v[220:221], v[222:223], v[214:215]
	v_fma_f64 v[212:213], -v[212:213], v[220:221], v[222:223]
	s_delay_alu instid0(VALU_DEP_1) | instskip(NEXT) | instid1(VALU_DEP_1)
	v_div_fmas_f64 v[212:213], v[212:213], v[214:215], v[220:221]
	v_div_fixup_f64 v[212:213], v[212:213], v[216:217], v[218:219]
	s_delay_alu instid0(VALU_DEP_1) | instskip(NEXT) | instid1(VALU_DEP_1)
	v_fma_f64 v[214:215], v[218:219], v[212:213], v[216:217]
	v_div_scale_f64 v[216:217], null, v[214:215], v[214:215], 1.0
	s_delay_alu instid0(VALU_DEP_1) | instskip(SKIP_2) | instid1(VALU_DEP_1)
	v_rcp_f64_e32 v[218:219], v[216:217]
	s_waitcnt_depctr 0xfff
	v_fma_f64 v[220:221], -v[216:217], v[218:219], 1.0
	v_fma_f64 v[218:219], v[218:219], v[220:221], v[218:219]
	s_delay_alu instid0(VALU_DEP_1) | instskip(NEXT) | instid1(VALU_DEP_1)
	v_fma_f64 v[220:221], -v[216:217], v[218:219], 1.0
	v_fma_f64 v[218:219], v[218:219], v[220:221], v[218:219]
	v_div_scale_f64 v[220:221], vcc_lo, 1.0, v[214:215], 1.0
	s_delay_alu instid0(VALU_DEP_1) | instskip(NEXT) | instid1(VALU_DEP_1)
	v_mul_f64 v[222:223], v[220:221], v[218:219]
	v_fma_f64 v[216:217], -v[216:217], v[222:223], v[220:221]
	s_delay_alu instid0(VALU_DEP_1) | instskip(NEXT) | instid1(VALU_DEP_1)
	v_div_fmas_f64 v[216:217], v[216:217], v[218:219], v[222:223]
	v_div_fixup_f64 v[248:249], v[216:217], v[214:215], 1.0
	s_delay_alu instid0(VALU_DEP_1)
	v_mul_f64 v[222:223], v[212:213], -v[248:249]
.LBB119_529:
	s_or_b32 exec_lo, exec_lo, s3
	ds_store_2addr_b64 v208, v[248:249], v[222:223] offset1:1
	v_mov_b32_e32 v248, v208
.LBB119_530:
	s_or_b32 exec_lo, exec_lo, s4
	s_waitcnt lgkmcnt(0)
	s_barrier
	buffer_gl0_inv
	ds_load_2addr_b64 v[220:223], v248 offset1:1
	s_mov_b32 s3, exec_lo
	v_cmpx_lt_u32_e32 58, v251
	s_cbranch_execz .LBB119_532
; %bb.531:
	s_waitcnt lgkmcnt(0)
	v_mul_f64 v[212:213], v[220:221], v[6:7]
	v_mul_f64 v[6:7], v[222:223], v[6:7]
	ds_load_2addr_b64 v[216:219], v250 offset0:118 offset1:119
	v_fma_f64 v[212:213], v[222:223], v[4:5], v[212:213]
	v_fma_f64 v[4:5], v[220:221], v[4:5], -v[6:7]
	s_waitcnt lgkmcnt(0)
	s_delay_alu instid0(VALU_DEP_2) | instskip(SKIP_1) | instid1(VALU_DEP_2)
	v_mul_f64 v[6:7], v[218:219], v[212:213]
	v_mul_f64 v[214:215], v[216:217], v[212:213]
	v_fma_f64 v[6:7], v[216:217], v[4:5], -v[6:7]
	s_delay_alu instid0(VALU_DEP_2) | instskip(NEXT) | instid1(VALU_DEP_2)
	v_fma_f64 v[214:215], v[218:219], v[4:5], v[214:215]
	v_add_f64 v[0:1], v[0:1], -v[6:7]
	s_delay_alu instid0(VALU_DEP_2)
	v_add_f64 v[2:3], v[2:3], -v[214:215]
	v_dual_mov_b32 v6, v212 :: v_dual_mov_b32 v7, v213
.LBB119_532:
	s_or_b32 exec_lo, exec_lo, s3
	s_delay_alu instid0(SALU_CYCLE_1)
	s_mov_b32 s4, exec_lo
	s_waitcnt lgkmcnt(0)
	s_barrier
	buffer_gl0_inv
	v_cmpx_eq_u32_e32 59, v251
	s_cbranch_execz .LBB119_539
; %bb.533:
	v_cmp_neq_f64_e32 vcc_lo, 0, v[0:1]
	v_cmp_neq_f64_e64 s3, 0, v[2:3]
	ds_store_2addr_b64 v248, v[0:1], v[2:3] offset1:1
	s_or_b32 s3, vcc_lo, s3
	s_delay_alu instid0(SALU_CYCLE_1)
	s_and_b32 exec_lo, exec_lo, s3
	s_cbranch_execz .LBB119_539
; %bb.534:
	v_cmp_gt_f64_e32 vcc_lo, 0, v[0:1]
	v_xor_b32_e32 v212, 0x80000000, v1
	v_xor_b32_e32 v214, 0x80000000, v3
	s_mov_b32 s3, exec_lo
	s_delay_alu instid0(VALU_DEP_2)
	v_cndmask_b32_e32 v213, v1, v212, vcc_lo
	v_cndmask_b32_e32 v212, v0, v0, vcc_lo
	v_cmp_gt_f64_e32 vcc_lo, 0, v[2:3]
	v_mov_b32_e32 v211, v248
                                        ; implicit-def: $vgpr248_vgpr249
	v_cndmask_b32_e32 v215, v3, v214, vcc_lo
	v_cndmask_b32_e32 v214, v2, v2, vcc_lo
	s_delay_alu instid0(VALU_DEP_1)
	v_cmpx_ngt_f64_e32 v[212:213], v[214:215]
	s_xor_b32 s3, exec_lo, s3
                                        ; implicit-def: $vgpr216_vgpr217_vgpr218_vgpr219
	s_cbranch_execz .LBB119_536
; %bb.535:
	v_div_scale_f64 v[212:213], null, v[2:3], v[2:3], v[0:1]
	v_div_scale_f64 v[218:219], vcc_lo, v[0:1], v[2:3], v[0:1]
	v_mov_b32_e32 v208, v251
	s_delay_alu instid0(VALU_DEP_3) | instskip(SKIP_2) | instid1(VALU_DEP_1)
	v_rcp_f64_e32 v[214:215], v[212:213]
	s_waitcnt_depctr 0xfff
	v_fma_f64 v[216:217], -v[212:213], v[214:215], 1.0
	v_fma_f64 v[214:215], v[214:215], v[216:217], v[214:215]
	s_delay_alu instid0(VALU_DEP_1) | instskip(NEXT) | instid1(VALU_DEP_1)
	v_fma_f64 v[216:217], -v[212:213], v[214:215], 1.0
	v_fma_f64 v[214:215], v[214:215], v[216:217], v[214:215]
	s_delay_alu instid0(VALU_DEP_1) | instskip(NEXT) | instid1(VALU_DEP_1)
	v_mul_f64 v[216:217], v[218:219], v[214:215]
	v_fma_f64 v[212:213], -v[212:213], v[216:217], v[218:219]
	s_delay_alu instid0(VALU_DEP_1) | instskip(NEXT) | instid1(VALU_DEP_1)
	v_div_fmas_f64 v[212:213], v[212:213], v[214:215], v[216:217]
	v_div_fixup_f64 v[212:213], v[212:213], v[2:3], v[0:1]
	s_delay_alu instid0(VALU_DEP_1) | instskip(NEXT) | instid1(VALU_DEP_1)
	v_fma_f64 v[214:215], v[0:1], v[212:213], v[2:3]
	v_div_scale_f64 v[216:217], null, v[214:215], v[214:215], 1.0
	s_delay_alu instid0(VALU_DEP_1) | instskip(SKIP_2) | instid1(VALU_DEP_1)
	v_rcp_f64_e32 v[218:219], v[216:217]
	s_waitcnt_depctr 0xfff
	v_fma_f64 v[248:249], -v[216:217], v[218:219], 1.0
	v_fma_f64 v[218:219], v[218:219], v[248:249], v[218:219]
	s_delay_alu instid0(VALU_DEP_1) | instskip(NEXT) | instid1(VALU_DEP_1)
	v_fma_f64 v[248:249], -v[216:217], v[218:219], 1.0
	v_fma_f64 v[218:219], v[218:219], v[248:249], v[218:219]
	v_div_scale_f64 v[248:249], vcc_lo, 1.0, v[214:215], 1.0
	s_delay_alu instid0(VALU_DEP_1) | instskip(NEXT) | instid1(VALU_DEP_1)
	v_mul_f64 v[250:251], v[248:249], v[218:219]
	v_fma_f64 v[216:217], -v[216:217], v[250:251], v[248:249]
	s_delay_alu instid0(VALU_DEP_1) | instskip(SKIP_1) | instid1(VALU_DEP_2)
	v_div_fmas_f64 v[216:217], v[216:217], v[218:219], v[250:251]
	v_mov_b32_e32 v251, v208
	v_div_fixup_f64 v[218:219], v[216:217], v[214:215], 1.0
	s_delay_alu instid0(VALU_DEP_1)
	v_mul_f64 v[248:249], v[212:213], v[218:219]
	v_xor_b32_e32 v219, 0x80000000, v219
.LBB119_536:
	s_and_not1_saveexec_b32 s3, s3
	s_cbranch_execz .LBB119_538
; %bb.537:
	v_div_scale_f64 v[212:213], null, v[0:1], v[0:1], v[2:3]
	v_div_scale_f64 v[218:219], vcc_lo, v[2:3], v[0:1], v[2:3]
	v_mov_b32_e32 v208, v251
	s_delay_alu instid0(VALU_DEP_3) | instskip(SKIP_2) | instid1(VALU_DEP_1)
	v_rcp_f64_e32 v[214:215], v[212:213]
	s_waitcnt_depctr 0xfff
	v_fma_f64 v[216:217], -v[212:213], v[214:215], 1.0
	v_fma_f64 v[214:215], v[214:215], v[216:217], v[214:215]
	s_delay_alu instid0(VALU_DEP_1) | instskip(NEXT) | instid1(VALU_DEP_1)
	v_fma_f64 v[216:217], -v[212:213], v[214:215], 1.0
	v_fma_f64 v[214:215], v[214:215], v[216:217], v[214:215]
	s_delay_alu instid0(VALU_DEP_1) | instskip(NEXT) | instid1(VALU_DEP_1)
	v_mul_f64 v[216:217], v[218:219], v[214:215]
	v_fma_f64 v[212:213], -v[212:213], v[216:217], v[218:219]
	s_delay_alu instid0(VALU_DEP_1) | instskip(NEXT) | instid1(VALU_DEP_1)
	v_div_fmas_f64 v[212:213], v[212:213], v[214:215], v[216:217]
	v_div_fixup_f64 v[212:213], v[212:213], v[0:1], v[2:3]
	s_delay_alu instid0(VALU_DEP_1) | instskip(NEXT) | instid1(VALU_DEP_1)
	v_fma_f64 v[214:215], v[2:3], v[212:213], v[0:1]
	v_div_scale_f64 v[216:217], null, v[214:215], v[214:215], 1.0
	s_delay_alu instid0(VALU_DEP_1) | instskip(SKIP_2) | instid1(VALU_DEP_1)
	v_rcp_f64_e32 v[218:219], v[216:217]
	s_waitcnt_depctr 0xfff
	v_fma_f64 v[248:249], -v[216:217], v[218:219], 1.0
	v_fma_f64 v[218:219], v[218:219], v[248:249], v[218:219]
	s_delay_alu instid0(VALU_DEP_1) | instskip(NEXT) | instid1(VALU_DEP_1)
	v_fma_f64 v[248:249], -v[216:217], v[218:219], 1.0
	v_fma_f64 v[218:219], v[218:219], v[248:249], v[218:219]
	v_div_scale_f64 v[248:249], vcc_lo, 1.0, v[214:215], 1.0
	s_delay_alu instid0(VALU_DEP_1) | instskip(NEXT) | instid1(VALU_DEP_1)
	v_mul_f64 v[250:251], v[248:249], v[218:219]
	v_fma_f64 v[216:217], -v[216:217], v[250:251], v[248:249]
	s_delay_alu instid0(VALU_DEP_1) | instskip(SKIP_1) | instid1(VALU_DEP_2)
	v_div_fmas_f64 v[216:217], v[216:217], v[218:219], v[250:251]
	v_mov_b32_e32 v251, v208
	v_div_fixup_f64 v[248:249], v[216:217], v[214:215], 1.0
	s_delay_alu instid0(VALU_DEP_1)
	v_mul_f64 v[218:219], v[212:213], -v[248:249]
.LBB119_538:
	s_or_b32 exec_lo, exec_lo, s3
	ds_store_2addr_b64 v211, v[248:249], v[218:219] offset1:1
	v_mov_b32_e32 v248, v211
.LBB119_539:
	s_or_b32 exec_lo, exec_lo, s4
	s_waitcnt lgkmcnt(0)
	s_barrier
	buffer_gl0_inv
	ds_load_2addr_b64 v[216:219], v248 offset1:1
	s_mov_b32 s3, exec_lo
	v_cmpx_lt_u32_e32 59, v251
	s_cbranch_execz .LBB119_541
; %bb.540:
	s_waitcnt lgkmcnt(0)
	v_mul_f64 v[212:213], v[218:219], v[2:3]
	v_mul_f64 v[2:3], v[216:217], v[2:3]
	s_delay_alu instid0(VALU_DEP_2) | instskip(NEXT) | instid1(VALU_DEP_2)
	v_fma_f64 v[212:213], v[216:217], v[0:1], -v[212:213]
	v_fma_f64 v[2:3], v[218:219], v[0:1], v[2:3]
	s_delay_alu instid0(VALU_DEP_2)
	v_dual_mov_b32 v0, v212 :: v_dual_mov_b32 v1, v213
.LBB119_541:
	s_or_b32 exec_lo, exec_lo, s3
	s_waitcnt lgkmcnt(0)
	s_barrier
	buffer_gl0_inv
	s_and_saveexec_b32 s14, s2
	s_cbranch_execz .LBB119_544
; %bb.542:
	s_clause 0x1
	scratch_load_b128 v[211:214], off, off offset:600
	scratch_load_b128 v[248:251], off, off offset:680
	s_waitcnt vmcnt(1)
	v_cmp_eq_f64_e32 vcc_lo, 0, v[211:212]
	v_cmp_eq_f64_e64 s2, 0, v[213:214]
	scratch_load_b128 v[211:214], off, off offset:616 ; 16-byte Folded Reload
	s_and_b32 s2, vcc_lo, s2
	s_waitcnt vmcnt(0)
	v_cmp_neq_f64_e64 s3, 0, v[211:212]
	v_cmp_neq_f64_e64 s4, 0, v[213:214]
	scratch_load_b128 v[211:214], off, off offset:632 ; 16-byte Folded Reload
	s_or_b32 s3, s3, s4
	s_delay_alu instid0(SALU_CYCLE_1)
	s_or_b32 vcc_lo, s3, s2
	s_waitcnt vmcnt(0)
	v_cmp_eq_f64_e64 s5, 0, v[211:212]
	v_cmp_eq_f64_e64 s6, 0, v[213:214]
	scratch_load_b128 v[211:214], off, off offset:648 ; 16-byte Folded Reload
	s_and_b32 s4, s5, s6
	s_waitcnt vmcnt(0)
	v_cmp_eq_f64_e64 s7, 0, v[211:212]
	v_cmp_eq_f64_e64 s8, 0, v[213:214]
	scratch_load_b128 v[211:214], off, off offset:664 ; 16-byte Folded Reload
	s_and_b32 s6, s7, s8
	s_waitcnt vmcnt(0)
	v_cmp_eq_f64_e64 s9, 0, v[211:212]
	v_cndmask_b32_e64 v212, 0, 1, s2
	v_cmp_eq_f64_e64 s2, 0, v[250:251]
	scratch_load_b128 v[208:211], off, off offset:1144 ; 16-byte Folded Reload
	v_cmp_eq_f64_e64 s10, 0, v[213:214]
	v_cndmask_b32_e32 v212, 2, v212, vcc_lo
	v_cmp_eq_f64_e32 vcc_lo, 0, v[248:249]
	scratch_load_b128 v[248:251], off, off offset:696 ; 16-byte Folded Reload
	v_cmp_eq_u32_e64 s3, 0, v212
	s_delay_alu instid0(VALU_DEP_1) | instskip(NEXT) | instid1(SALU_CYCLE_1)
	s_and_b32 s3, s4, s3
	v_cndmask_b32_e64 v212, v212, 3, s3
	s_delay_alu instid0(VALU_DEP_1) | instskip(NEXT) | instid1(VALU_DEP_1)
	v_cmp_eq_u32_e64 s5, 0, v212
	s_and_b32 s5, s6, s5
	s_delay_alu instid0(SALU_CYCLE_1) | instskip(NEXT) | instid1(VALU_DEP_1)
	v_cndmask_b32_e64 v212, v212, 4, s5
	v_cmp_eq_u32_e64 s7, 0, v212
	s_and_b32 s8, s9, s10
	s_delay_alu instid0(VALU_DEP_1) | instid1(SALU_CYCLE_1)
	s_and_b32 s7, s8, s7
	s_and_b32 s2, vcc_lo, s2
	v_cndmask_b32_e64 v212, v212, 5, s7
	s_delay_alu instid0(VALU_DEP_1) | instskip(NEXT) | instid1(VALU_DEP_1)
	v_cmp_eq_u32_e64 s9, 0, v212
	s_and_b32 s2, s2, s9
	s_delay_alu instid0(SALU_CYCLE_1) | instskip(NEXT) | instid1(VALU_DEP_1)
	v_cndmask_b32_e64 v212, v212, 6, s2
	v_cmp_eq_u32_e64 s9, 0, v212
	s_waitcnt vmcnt(0)
	v_cmp_eq_f64_e64 s3, 0, v[248:249]
	v_cmp_eq_f64_e64 s4, 0, v[250:251]
	scratch_load_b128 v[248:251], off, off offset:712 ; 16-byte Folded Reload
	s_and_b32 s3, s3, s4
	s_delay_alu instid0(SALU_CYCLE_1) | instskip(NEXT) | instid1(SALU_CYCLE_1)
	s_and_b32 s3, s3, s9
	v_cndmask_b32_e64 v212, v212, 7, s3
	s_delay_alu instid0(VALU_DEP_1)
	v_cmp_eq_u32_e64 s9, 0, v212
	s_waitcnt vmcnt(0)
	v_cmp_eq_f64_e64 s5, 0, v[248:249]
	v_cmp_eq_f64_e64 s6, 0, v[250:251]
	scratch_load_b128 v[248:251], off, off offset:728 ; 16-byte Folded Reload
	s_and_b32 s5, s5, s6
	s_delay_alu instid0(SALU_CYCLE_1) | instskip(NEXT) | instid1(SALU_CYCLE_1)
	s_and_b32 s5, s5, s9
	v_cndmask_b32_e64 v212, v212, 8, s5
	s_delay_alu instid0(VALU_DEP_1)
	v_cmp_eq_u32_e64 s9, 0, v212
	s_waitcnt vmcnt(0)
	v_cmp_eq_f64_e64 s7, 0, v[248:249]
	v_cmp_eq_f64_e64 s8, 0, v[250:251]
	scratch_load_b128 v[248:251], off, off offset:744 ; 16-byte Folded Reload
	s_and_b32 s7, s7, s8
	s_delay_alu instid0(SALU_CYCLE_1) | instskip(NEXT) | instid1(SALU_CYCLE_1)
	s_and_b32 s7, s7, s9
	v_cndmask_b32_e64 v212, v212, 9, s7
	s_delay_alu instid0(VALU_DEP_1)
	v_cmp_eq_u32_e64 s9, 0, v212
	s_waitcnt vmcnt(0)
	v_cmp_eq_f64_e32 vcc_lo, 0, v[248:249]
	v_cmp_eq_f64_e64 s2, 0, v[250:251]
	scratch_load_b128 v[248:251], off, off offset:760 ; 16-byte Folded Reload
	s_and_b32 s2, vcc_lo, s2
	s_delay_alu instid0(SALU_CYCLE_1) | instskip(NEXT) | instid1(SALU_CYCLE_1)
	s_and_b32 s2, s2, s9
	v_cndmask_b32_e64 v212, v212, 10, s2
	s_delay_alu instid0(VALU_DEP_1)
	v_cmp_eq_u32_e64 s9, 0, v212
	s_waitcnt vmcnt(0)
	v_cmp_eq_f64_e64 s3, 0, v[248:249]
	v_cmp_eq_f64_e64 s4, 0, v[250:251]
	scratch_load_b128 v[248:251], off, off offset:776 ; 16-byte Folded Reload
	s_and_b32 s3, s3, s4
	s_delay_alu instid0(SALU_CYCLE_1) | instskip(NEXT) | instid1(SALU_CYCLE_1)
	s_and_b32 s3, s3, s9
	v_cndmask_b32_e64 v212, v212, 11, s3
	s_delay_alu instid0(VALU_DEP_1)
	v_cmp_eq_u32_e64 s9, 0, v212
	s_waitcnt vmcnt(0)
	v_cmp_eq_f64_e64 s5, 0, v[248:249]
	v_cmp_eq_f64_e64 s6, 0, v[250:251]
	scratch_load_b128 v[248:251], off, off offset:792 ; 16-byte Folded Reload
	s_and_b32 s5, s5, s6
	s_delay_alu instid0(SALU_CYCLE_1) | instskip(NEXT) | instid1(SALU_CYCLE_1)
	s_and_b32 s5, s5, s9
	v_cndmask_b32_e64 v212, v212, 12, s5
	s_delay_alu instid0(VALU_DEP_1)
	v_cmp_eq_u32_e64 s9, 0, v212
	s_waitcnt vmcnt(0)
	v_cmp_eq_f64_e64 s7, 0, v[248:249]
	v_cmp_eq_f64_e64 s8, 0, v[250:251]
	scratch_load_b128 v[248:251], off, off offset:808 ; 16-byte Folded Reload
	s_and_b32 s7, s7, s8
	s_delay_alu instid0(SALU_CYCLE_1) | instskip(NEXT) | instid1(SALU_CYCLE_1)
	s_and_b32 s7, s7, s9
	v_cndmask_b32_e64 v212, v212, 13, s7
	s_delay_alu instid0(VALU_DEP_1)
	v_cmp_eq_u32_e64 s9, 0, v212
	s_waitcnt vmcnt(0)
	v_cmp_eq_f64_e32 vcc_lo, 0, v[248:249]
	v_cmp_eq_f64_e64 s2, 0, v[250:251]
	scratch_load_b128 v[248:251], off, off offset:824 ; 16-byte Folded Reload
	s_and_b32 s2, vcc_lo, s2
	s_delay_alu instid0(SALU_CYCLE_1) | instskip(NEXT) | instid1(SALU_CYCLE_1)
	s_and_b32 s2, s2, s9
	v_cndmask_b32_e64 v212, v212, 14, s2
	s_delay_alu instid0(VALU_DEP_1)
	;; [unrolled: 40-line block ×5, first 2 shown]
	v_cmp_eq_u32_e32 vcc_lo, 0, v212
	s_waitcnt vmcnt(0)
	v_cmp_eq_f64_e64 s3, 0, v[248:249]
	v_cmp_eq_f64_e64 s4, 0, v[250:251]
	scratch_load_b128 v[248:251], off, off offset:1032 ; 16-byte Folded Reload
	s_and_b32 s2, s3, s4
	s_delay_alu instid0(SALU_CYCLE_1) | instskip(NEXT) | instid1(SALU_CYCLE_1)
	s_and_b32 s2, s2, vcc_lo
	v_cndmask_b32_e64 v212, v212, 27, s2
	s_delay_alu instid0(VALU_DEP_1)
	v_cmp_eq_u32_e32 vcc_lo, 0, v212
	s_waitcnt vmcnt(0)
	v_cmp_eq_f64_e64 s5, 0, v[248:249]
	v_cmp_eq_f64_e64 s6, 0, v[250:251]
	scratch_load_b128 v[248:251], off, off offset:1048 ; 16-byte Folded Reload
	s_and_b32 s2, s5, s6
	s_delay_alu instid0(SALU_CYCLE_1) | instskip(NEXT) | instid1(SALU_CYCLE_1)
	s_and_b32 s2, s2, vcc_lo
	v_cndmask_b32_e64 v212, v212, 28, s2
	s_delay_alu instid0(VALU_DEP_1)
	v_cmp_eq_u32_e64 s3, 0, v212
	s_waitcnt vmcnt(0)
	v_cmp_eq_f64_e64 s7, 0, v[248:249]
	v_cmp_eq_f64_e64 s8, 0, v[250:251]
	scratch_load_b128 v[248:251], off, off offset:1064 ; 16-byte Folded Reload
	s_and_b32 s4, s7, s8
	s_load_b64 s[6:7], s[0:1], 0x28
	s_and_b32 s0, s4, s3
	s_delay_alu instid0(SALU_CYCLE_1) | instskip(NEXT) | instid1(VALU_DEP_1)
	v_cndmask_b32_e64 v212, v212, 29, s0
	v_cmp_eq_u32_e64 s3, 0, v212
	s_waitcnt vmcnt(0)
	v_cmp_eq_f64_e64 s9, 0, v[248:249]
	v_cmp_eq_f64_e64 s10, 0, v[250:251]
	scratch_load_b128 v[248:251], off, off offset:1080 ; 16-byte Folded Reload
	s_and_b32 s4, s9, s10
	s_delay_alu instid0(SALU_CYCLE_1) | instskip(NEXT) | instid1(SALU_CYCLE_1)
	s_and_b32 s3, s4, s3
	v_cndmask_b32_e64 v214, v212, 30, s3
	scratch_load_b64 v[212:213], off, off offset:1424 ; 8-byte Folded Reload
	v_cmp_eq_u32_e64 s5, 0, v214
	s_waitcnt vmcnt(1)
	v_cmp_eq_f64_e64 s11, 0, v[248:249]
	v_cmp_eq_f64_e64 s12, 0, v[250:251]
	scratch_load_b128 v[248:251], off, off offset:1096 ; 16-byte Folded Reload
	s_and_b32 s8, s11, s12
	s_delay_alu instid0(SALU_CYCLE_1)
	s_and_b32 s5, s8, s5
	s_waitcnt vmcnt(1)
	v_lshlrev_b64 v[212:213], 2, v[212:213]
	s_waitcnt vmcnt(0)
	v_cmp_eq_f64_e32 vcc_lo, 0, v[248:249]
	v_cmp_eq_f64_e64 s2, 0, v[250:251]
	scratch_load_b128 v[248:251], off, off offset:1112 ; 16-byte Folded Reload
	s_and_b32 s2, vcc_lo, s2
	s_waitcnt vmcnt(0)
	v_cmp_eq_f64_e64 s0, 0, v[248:249]
	v_cmp_eq_f64_e64 s1, 0, v[250:251]
	scratch_load_b128 v[248:251], off, off offset:1128 ; 16-byte Folded Reload
	s_and_b32 s0, s0, s1
	s_waitcnt vmcnt(0)
	v_cmp_eq_f64_e64 s3, 0, v[248:249]
	s_waitcnt lgkmcnt(0)
	v_add_co_u32 v248, s6, s6, v212
	s_delay_alu instid0(VALU_DEP_1)
	v_add_co_ci_u32_e64 v249, s6, s7, v213, s6
	v_cndmask_b32_e64 v212, v214, 31, s5
	v_cmp_eq_f64_e64 s5, 0, v[208:209]
	v_cmp_eq_f64_e64 s6, 0, v[210:211]
	scratch_load_b128 v[208:211], off, off offset:1168 ; 16-byte Folded Reload
	v_cmp_eq_f64_e64 s4, 0, v[250:251]
	v_cmp_eq_u32_e64 s7, 0, v212
	global_load_b32 v213, v[248:249], off
	s_and_b32 s2, s2, s7
	s_delay_alu instid0(SALU_CYCLE_1) | instskip(NEXT) | instid1(VALU_DEP_1)
	v_cndmask_b32_e64 v212, v212, 32, s2
	v_cmp_eq_u32_e64 s7, 0, v212
	s_delay_alu instid0(VALU_DEP_1) | instskip(NEXT) | instid1(SALU_CYCLE_1)
	s_and_b32 s0, s0, s7
	v_cndmask_b32_e64 v212, v212, 33, s0
	s_delay_alu instid0(VALU_DEP_1)
	v_cmp_eq_u32_e64 s7, 0, v212
	s_and_b32 s5, s5, s6
	s_and_b32 s3, s3, s4
	s_delay_alu instid0(VALU_DEP_1) | instid1(SALU_CYCLE_1)
	s_and_b32 s3, s3, s7
	s_delay_alu instid0(SALU_CYCLE_1) | instskip(NEXT) | instid1(VALU_DEP_1)
	v_cndmask_b32_e64 v212, v212, 34, s3
	v_cmp_eq_u32_e64 s7, 0, v212
	s_delay_alu instid0(VALU_DEP_1) | instskip(NEXT) | instid1(SALU_CYCLE_1)
	s_and_b32 s5, s5, s7
	v_cndmask_b32_e64 v212, v212, 35, s5
	s_delay_alu instid0(VALU_DEP_1)
	v_cmp_eq_u32_e64 s7, 0, v212
	s_waitcnt vmcnt(1)
	v_cmp_eq_f64_e32 vcc_lo, 0, v[208:209]
	v_cmp_eq_f64_e64 s2, 0, v[210:211]
	scratch_load_b128 v[208:211], off, off offset:1184 ; 16-byte Folded Reload
	s_and_b32 s2, vcc_lo, s2
	s_delay_alu instid0(SALU_CYCLE_1) | instskip(NEXT) | instid1(SALU_CYCLE_1)
	s_and_b32 s2, s2, s7
	v_cndmask_b32_e64 v212, v212, 36, s2
	s_delay_alu instid0(VALU_DEP_1)
	v_cmp_eq_u32_e64 s7, 0, v212
	s_waitcnt vmcnt(0)
	v_cmp_eq_f64_e64 s0, 0, v[208:209]
	v_cmp_eq_f64_e64 s1, 0, v[210:211]
	scratch_load_b128 v[208:211], off, off offset:1200 ; 16-byte Folded Reload
	s_and_b32 s0, s0, s1
	s_delay_alu instid0(SALU_CYCLE_1) | instskip(NEXT) | instid1(SALU_CYCLE_1)
	s_and_b32 s0, s0, s7
	v_cndmask_b32_e64 v212, v212, 37, s0
	s_delay_alu instid0(VALU_DEP_1)
	v_cmp_eq_u32_e64 s7, 0, v212
	s_waitcnt vmcnt(0)
	v_cmp_eq_f64_e64 s3, 0, v[208:209]
	v_cmp_eq_f64_e64 s4, 0, v[210:211]
	scratch_load_b128 v[208:211], off, off offset:1216 ; 16-byte Folded Reload
	s_and_b32 s3, s3, s4
	s_delay_alu instid0(SALU_CYCLE_1) | instskip(NEXT) | instid1(SALU_CYCLE_1)
	s_and_b32 s3, s3, s7
	v_cndmask_b32_e64 v212, v212, 38, s3
	s_delay_alu instid0(VALU_DEP_1)
	v_cmp_eq_u32_e64 s7, 0, v212
	s_waitcnt vmcnt(0)
	v_cmp_eq_f64_e64 s5, 0, v[208:209]
	v_cmp_eq_f64_e64 s6, 0, v[210:211]
	scratch_load_b128 v[208:211], off, off offset:1232 ; 16-byte Folded Reload
	s_and_b32 s5, s5, s6
	s_delay_alu instid0(SALU_CYCLE_1) | instskip(NEXT) | instid1(SALU_CYCLE_1)
	s_and_b32 s5, s5, s7
	v_cndmask_b32_e64 v212, v212, 39, s5
	s_delay_alu instid0(VALU_DEP_1)
	v_cmp_eq_u32_e64 s7, 0, v212
	s_waitcnt vmcnt(0)
	v_cmp_eq_f64_e32 vcc_lo, 0, v[208:209]
	v_cmp_eq_f64_e64 s2, 0, v[210:211]
	scratch_load_b128 v[208:211], off, off offset:1248 ; 16-byte Folded Reload
	s_and_b32 s2, vcc_lo, s2
	s_delay_alu instid0(SALU_CYCLE_1) | instskip(NEXT) | instid1(SALU_CYCLE_1)
	s_and_b32 s2, s2, s7
	v_cndmask_b32_e64 v212, v212, 40, s2
	s_delay_alu instid0(VALU_DEP_1)
	v_cmp_eq_u32_e64 s7, 0, v212
	s_waitcnt vmcnt(0)
	v_cmp_eq_f64_e64 s0, 0, v[208:209]
	v_cmp_eq_f64_e64 s1, 0, v[210:211]
	scratch_load_b128 v[208:211], off, off offset:1264 ; 16-byte Folded Reload
	s_and_b32 s0, s0, s1
	s_delay_alu instid0(SALU_CYCLE_1) | instskip(NEXT) | instid1(SALU_CYCLE_1)
	s_and_b32 s0, s0, s7
	v_cndmask_b32_e64 v212, v212, 41, s0
	s_delay_alu instid0(VALU_DEP_1)
	v_cmp_eq_u32_e64 s7, 0, v212
	s_waitcnt vmcnt(0)
	v_cmp_eq_f64_e64 s3, 0, v[208:209]
	v_cmp_eq_f64_e64 s4, 0, v[210:211]
	scratch_load_b128 v[208:211], off, off offset:1280 ; 16-byte Folded Reload
	s_and_b32 s3, s3, s4
	s_delay_alu instid0(SALU_CYCLE_1) | instskip(NEXT) | instid1(SALU_CYCLE_1)
	s_and_b32 s3, s3, s7
	v_cndmask_b32_e64 v212, v212, 42, s3
	s_delay_alu instid0(VALU_DEP_1)
	v_cmp_eq_u32_e64 s7, 0, v212
	s_waitcnt vmcnt(0)
	v_cmp_eq_f64_e64 s5, 0, v[208:209]
	v_cmp_eq_f64_e64 s6, 0, v[210:211]
	scratch_load_b128 v[208:211], off, off offset:1296 ; 16-byte Folded Reload
	s_and_b32 s5, s5, s6
	s_delay_alu instid0(SALU_CYCLE_1) | instskip(NEXT) | instid1(SALU_CYCLE_1)
	;; [unrolled: 40-line block ×3, first 2 shown]
	s_and_b32 s5, s5, s7
	v_cndmask_b32_e64 v212, v212, 47, s5
	s_delay_alu instid0(VALU_DEP_1)
	v_cmp_eq_u32_e64 s7, 0, v212
	s_waitcnt vmcnt(0)
	v_cmp_eq_f64_e32 vcc_lo, 0, v[208:209]
	v_cmp_eq_f64_e64 s2, 0, v[210:211]
	scratch_load_b128 v[208:211], off, off offset:1376 ; 16-byte Folded Reload
	s_and_b32 s2, vcc_lo, s2
	v_cmp_eq_f64_e32 vcc_lo, 0, v[252:253]
	s_and_b32 s2, s2, s7
	s_delay_alu instid0(SALU_CYCLE_1) | instskip(SKIP_1) | instid1(VALU_DEP_2)
	v_cndmask_b32_e64 v212, v212, 48, s2
	v_cmp_eq_f64_e64 s2, 0, v[254:255]
	v_cmp_eq_u32_e64 s7, 0, v212
	s_delay_alu instid0(VALU_DEP_2)
	s_and_b32 s2, vcc_lo, s2
	v_cmp_eq_f64_e32 vcc_lo, 0, v[232:233]
	s_waitcnt vmcnt(0)
	v_cmp_eq_f64_e64 s0, 0, v[208:209]
	v_cmp_eq_f64_e64 s1, 0, v[210:211]
	scratch_load_b128 v[208:211], off, off offset:1392 ; 16-byte Folded Reload
	s_and_b32 s0, s0, s1
	v_cmp_eq_f64_e64 s1, 0, v[242:243]
	s_and_b32 s0, s0, s7
	s_delay_alu instid0(SALU_CYCLE_1) | instskip(SKIP_1) | instid1(VALU_DEP_2)
	v_cndmask_b32_e64 v212, v212, 49, s0
	v_cmp_eq_f64_e64 s0, 0, v[240:241]
	v_cmp_eq_u32_e64 s7, 0, v212
	s_delay_alu instid0(VALU_DEP_2)
	s_and_b32 s0, s0, s1
	v_cmp_eq_f64_e64 s1, 0, v[230:231]
	s_waitcnt vmcnt(0)
	v_cmp_eq_f64_e64 s3, 0, v[208:209]
	v_cmp_eq_f64_e64 s4, 0, v[210:211]
	scratch_load_b128 v[208:211], off, off offset:1408 ; 16-byte Folded Reload
	s_and_b32 s3, s3, s4
	v_cmp_eq_f64_e64 s4, 0, v[246:247]
	s_and_b32 s3, s3, s7
	s_delay_alu instid0(SALU_CYCLE_1) | instskip(SKIP_1) | instid1(VALU_DEP_2)
	v_cndmask_b32_e64 v212, v212, 50, s3
	v_cmp_eq_f64_e64 s3, 0, v[244:245]
	v_cmp_eq_u32_e64 s7, 0, v212
	s_delay_alu instid0(VALU_DEP_2) | instskip(SKIP_4) | instid1(VALU_DEP_1)
	s_and_b32 s3, s3, s4
	v_cmp_eq_f64_e64 s4, 0, v[226:227]
	s_waitcnt vmcnt(0)
	v_cmp_eq_f64_e64 s5, 0, v[208:209]
	v_cmp_eq_f64_e64 s6, 0, v[210:211]
	s_and_b32 s5, s5, s6
	v_cmp_eq_f64_e64 s6, 0, v[238:239]
	s_and_b32 s5, s5, s7
	s_delay_alu instid0(SALU_CYCLE_1) | instskip(SKIP_1) | instid1(VALU_DEP_2)
	v_cndmask_b32_e64 v212, v212, 51, s5
	v_cmp_eq_f64_e64 s5, 0, v[236:237]
	v_cmp_eq_u32_e64 s7, 0, v212
	s_delay_alu instid0(VALU_DEP_1) | instskip(NEXT) | instid1(SALU_CYCLE_1)
	s_and_b32 s2, s2, s7
	v_cndmask_b32_e64 v212, v212, 52, s2
	v_cmp_eq_f64_e64 s2, 0, v[234:235]
	s_delay_alu instid0(VALU_DEP_2) | instskip(NEXT) | instid1(VALU_DEP_1)
	v_cmp_eq_u32_e64 s7, 0, v212
	s_and_b32 s0, s0, s7
	s_delay_alu instid0(SALU_CYCLE_1) | instskip(SKIP_1) | instid1(VALU_DEP_2)
	v_cndmask_b32_e64 v212, v212, 53, s0
	v_cmp_eq_f64_e64 s0, 0, v[228:229]
	v_cmp_eq_u32_e64 s7, 0, v212
	s_delay_alu instid0(VALU_DEP_1) | instskip(NEXT) | instid1(SALU_CYCLE_1)
	s_and_b32 s3, s3, s7
	v_cndmask_b32_e64 v212, v212, 54, s3
	v_cmp_eq_f64_e64 s3, 0, v[224:225]
	s_and_b32 s5, s5, s6
	v_cmp_eq_f64_e64 s6, 0, v[222:223]
	s_delay_alu instid0(VALU_DEP_3) | instskip(NEXT) | instid1(VALU_DEP_1)
	v_cmp_eq_u32_e64 s7, 0, v212
	s_and_b32 s5, s5, s7
	s_delay_alu instid0(SALU_CYCLE_1) | instskip(SKIP_3) | instid1(VALU_DEP_3)
	v_cndmask_b32_e64 v212, v212, 55, s5
	v_cmp_eq_f64_e64 s5, 0, v[220:221]
	s_and_b32 s2, vcc_lo, s2
	v_cmp_eq_f64_e32 vcc_lo, 0, v[216:217]
	v_cmp_eq_u32_e64 s7, 0, v212
	s_delay_alu instid0(VALU_DEP_1) | instskip(NEXT) | instid1(SALU_CYCLE_1)
	s_and_b32 s2, s2, s7
	v_cndmask_b32_e64 v212, v212, 56, s2
	v_cmp_eq_f64_e64 s2, 0, v[218:219]
	s_and_b32 s0, s0, s1
	s_delay_alu instid0(VALU_DEP_2) | instskip(NEXT) | instid1(VALU_DEP_1)
	v_cmp_eq_u32_e64 s7, 0, v212
	s_and_b32 s0, s0, s7
	s_delay_alu instid0(SALU_CYCLE_1) | instskip(SKIP_1) | instid1(VALU_DEP_1)
	v_cndmask_b32_e64 v212, v212, 57, s0
	s_and_b32 s1, s3, s4
	v_cmp_eq_u32_e64 s0, 0, v212
	s_delay_alu instid0(VALU_DEP_1) | instskip(NEXT) | instid1(SALU_CYCLE_1)
	s_and_b32 s0, s1, s0
	v_cndmask_b32_e64 v212, v212, 58, s0
	s_and_b32 s1, s5, s6
	s_delay_alu instid0(VALU_DEP_1) | instskip(NEXT) | instid1(VALU_DEP_1)
	v_cmp_eq_u32_e64 s0, 0, v212
	s_and_b32 s0, s1, s0
	s_delay_alu instid0(SALU_CYCLE_1) | instskip(SKIP_2) | instid1(VALU_DEP_2)
	v_cndmask_b32_e64 v212, v212, 59, s0
	s_and_b32 s1, vcc_lo, s2
	v_cmp_eq_u32_e32 vcc_lo, 0, v213
	v_cmp_eq_u32_e64 s0, 0, v212
	s_delay_alu instid0(VALU_DEP_1) | instskip(NEXT) | instid1(SALU_CYCLE_1)
	s_and_b32 s0, s1, s0
	v_cndmask_b32_e64 v216, v212, 60, s0
	s_delay_alu instid0(VALU_DEP_1) | instskip(NEXT) | instid1(VALU_DEP_1)
	v_cmp_ne_u32_e64 s0, 0, v216
	s_and_b32 s0, vcc_lo, s0
	s_delay_alu instid0(SALU_CYCLE_1)
	s_and_b32 exec_lo, exec_lo, s0
	s_cbranch_execz .LBB119_544
; %bb.543:
	v_add_nc_u32_e32 v212, s13, v216
	global_store_b32 v[248:249], v212, off
.LBB119_544:
	s_or_b32 exec_lo, exec_lo, s14
	s_clause 0x1
	scratch_load_b64 v[211:212], off, off offset:584
	scratch_load_b128 v[213:216], off, off offset:112
	s_waitcnt vmcnt(0)
	global_store_b128 v[211:212], v[213:216], off
	s_clause 0x1
	scratch_load_b64 v[211:212], off, off offset:592
	scratch_load_b128 v[213:216], off, off offset:96
	s_waitcnt vmcnt(0)
	global_store_b128 v[211:212], v[213:216], off
	;; [unrolled: 5-line block ×7, first 2 shown]
	s_clause 0x1
	scratch_load_b64 v[211:212], off, off offset:536
	scratch_load_b128 v[213:216], off, off
	s_waitcnt vmcnt(0)
	global_store_b128 v[211:212], v[213:216], off
	scratch_load_b64 v[211:212], off, off offset:528 ; 8-byte Folded Reload
	s_waitcnt vmcnt(0)
	global_store_b128 v[211:212], v[204:207], off
	scratch_load_b64 v[204:205], off, off offset:520 ; 8-byte Folded Reload
	;; [unrolled: 3-line block ×52, first 2 shown]
	s_waitcnt vmcnt(0)
	global_store_b128 v[4:5], v[0:3], off
.LBB119_545:
	s_nop 0
	s_sendmsg sendmsg(MSG_DEALLOC_VGPRS)
	s_endpgm
	.section	.rodata,"a",@progbits
	.p2align	6, 0x0
	.amdhsa_kernel _ZN9rocsolver6v33100L23getf2_npvt_small_kernelILi60E19rocblas_complex_numIdEiiPKPS3_EEvT1_T3_lS7_lPT2_S7_S7_
		.amdhsa_group_segment_fixed_size 0
		.amdhsa_private_segment_fixed_size 1436
		.amdhsa_kernarg_size 312
		.amdhsa_user_sgpr_count 14
		.amdhsa_user_sgpr_dispatch_ptr 0
		.amdhsa_user_sgpr_queue_ptr 0
		.amdhsa_user_sgpr_kernarg_segment_ptr 1
		.amdhsa_user_sgpr_dispatch_id 0
		.amdhsa_user_sgpr_private_segment_size 0
		.amdhsa_wavefront_size32 1
		.amdhsa_uses_dynamic_stack 0
		.amdhsa_enable_private_segment 1
		.amdhsa_system_sgpr_workgroup_id_x 1
		.amdhsa_system_sgpr_workgroup_id_y 1
		.amdhsa_system_sgpr_workgroup_id_z 0
		.amdhsa_system_sgpr_workgroup_info 0
		.amdhsa_system_vgpr_workitem_id 1
		.amdhsa_next_free_vgpr 256
		.amdhsa_next_free_sgpr 18
		.amdhsa_reserve_vcc 1
		.amdhsa_float_round_mode_32 0
		.amdhsa_float_round_mode_16_64 0
		.amdhsa_float_denorm_mode_32 3
		.amdhsa_float_denorm_mode_16_64 3
		.amdhsa_dx10_clamp 1
		.amdhsa_ieee_mode 1
		.amdhsa_fp16_overflow 0
		.amdhsa_workgroup_processor_mode 1
		.amdhsa_memory_ordered 1
		.amdhsa_forward_progress 0
		.amdhsa_shared_vgpr_count 0
		.amdhsa_exception_fp_ieee_invalid_op 0
		.amdhsa_exception_fp_denorm_src 0
		.amdhsa_exception_fp_ieee_div_zero 0
		.amdhsa_exception_fp_ieee_overflow 0
		.amdhsa_exception_fp_ieee_underflow 0
		.amdhsa_exception_fp_ieee_inexact 0
		.amdhsa_exception_int_div_zero 0
	.end_amdhsa_kernel
	.section	.text._ZN9rocsolver6v33100L23getf2_npvt_small_kernelILi60E19rocblas_complex_numIdEiiPKPS3_EEvT1_T3_lS7_lPT2_S7_S7_,"axG",@progbits,_ZN9rocsolver6v33100L23getf2_npvt_small_kernelILi60E19rocblas_complex_numIdEiiPKPS3_EEvT1_T3_lS7_lPT2_S7_S7_,comdat
.Lfunc_end119:
	.size	_ZN9rocsolver6v33100L23getf2_npvt_small_kernelILi60E19rocblas_complex_numIdEiiPKPS3_EEvT1_T3_lS7_lPT2_S7_S7_, .Lfunc_end119-_ZN9rocsolver6v33100L23getf2_npvt_small_kernelILi60E19rocblas_complex_numIdEiiPKPS3_EEvT1_T3_lS7_lPT2_S7_S7_
                                        ; -- End function
	.section	.AMDGPU.csdata,"",@progbits
; Kernel info:
; codeLenInByte = 188668
; NumSgprs: 20
; NumVgprs: 256
; ScratchSize: 1436
; MemoryBound: 1
; FloatMode: 240
; IeeeMode: 1
; LDSByteSize: 0 bytes/workgroup (compile time only)
; SGPRBlocks: 2
; VGPRBlocks: 31
; NumSGPRsForWavesPerEU: 20
; NumVGPRsForWavesPerEU: 256
; Occupancy: 5
; WaveLimiterHint : 1
; COMPUTE_PGM_RSRC2:SCRATCH_EN: 1
; COMPUTE_PGM_RSRC2:USER_SGPR: 14
; COMPUTE_PGM_RSRC2:TRAP_HANDLER: 0
; COMPUTE_PGM_RSRC2:TGID_X_EN: 1
; COMPUTE_PGM_RSRC2:TGID_Y_EN: 1
; COMPUTE_PGM_RSRC2:TGID_Z_EN: 0
; COMPUTE_PGM_RSRC2:TIDIG_COMP_CNT: 1
	.section	.text._ZN9rocsolver6v33100L18getf2_small_kernelILi61E19rocblas_complex_numIdEiiPKPS3_EEvT1_T3_lS7_lPS7_llPT2_S7_S7_S9_l,"axG",@progbits,_ZN9rocsolver6v33100L18getf2_small_kernelILi61E19rocblas_complex_numIdEiiPKPS3_EEvT1_T3_lS7_lPS7_llPT2_S7_S7_S9_l,comdat
	.globl	_ZN9rocsolver6v33100L18getf2_small_kernelILi61E19rocblas_complex_numIdEiiPKPS3_EEvT1_T3_lS7_lPS7_llPT2_S7_S7_S9_l ; -- Begin function _ZN9rocsolver6v33100L18getf2_small_kernelILi61E19rocblas_complex_numIdEiiPKPS3_EEvT1_T3_lS7_lPS7_llPT2_S7_S7_S9_l
	.p2align	8
	.type	_ZN9rocsolver6v33100L18getf2_small_kernelILi61E19rocblas_complex_numIdEiiPKPS3_EEvT1_T3_lS7_lPS7_llPT2_S7_S7_S9_l,@function
_ZN9rocsolver6v33100L18getf2_small_kernelILi61E19rocblas_complex_numIdEiiPKPS3_EEvT1_T3_lS7_lPS7_llPT2_S7_S7_S9_l: ; @_ZN9rocsolver6v33100L18getf2_small_kernelILi61E19rocblas_complex_numIdEiiPKPS3_EEvT1_T3_lS7_lPS7_llPT2_S7_S7_S9_l
; %bb.0:
	s_clause 0x1
	s_load_b32 s2, s[0:1], 0x6c
	s_load_b64 s[12:13], s[0:1], 0x48
	v_bfe_u32 v4, v0, 10, 10
	s_waitcnt lgkmcnt(0)
	s_lshr_b32 s2, s2, 16
	s_delay_alu instid0(VALU_DEP_1) | instid1(SALU_CYCLE_1)
	v_mad_u64_u32 v[16:17], null, s15, s2, v[4:5]
	s_mov_b32 s2, exec_lo
	s_delay_alu instid0(VALU_DEP_1)
	v_cmpx_gt_i32_e64 s12, v16
	s_cbranch_execnz .LBB120_1
; %bb.1408:
	s_getpc_b64 s[68:69]
.Lpost_getpc28:
	s_add_u32 s68, s68, (.LBB120_1407-.Lpost_getpc28)&4294967295
	s_addc_u32 s69, s69, (.LBB120_1407-.Lpost_getpc28)>>32
	s_setpc_b64 s[68:69]
.LBB120_1:
	s_clause 0x1
	s_load_b128 s[4:7], s[0:1], 0x8
	s_load_b128 s[8:11], s[0:1], 0x50
	v_ashrrev_i32_e32 v17, 31, v16
	v_mov_b32_e32 v18, 0
	v_mov_b32_e32 v19, 0
	s_delay_alu instid0(VALU_DEP_3) | instskip(SKIP_1) | instid1(VALU_DEP_1)
	v_lshlrev_b64 v[1:2], 3, v[16:17]
	s_waitcnt lgkmcnt(0)
	v_add_co_u32 v1, vcc_lo, s4, v1
	s_delay_alu instid0(VALU_DEP_2)
	v_add_co_ci_u32_e32 v2, vcc_lo, s5, v2, vcc_lo
	s_cmp_eq_u64 s[8:9], 0
	s_cselect_b32 s4, -1, 0
	global_load_b64 v[1:2], v[1:2], off
	s_and_b32 vcc_lo, exec_lo, s4
	s_cbranch_vccnz .LBB120_3
; %bb.2:
	v_mul_lo_u32 v3, v17, s10
	v_mul_lo_u32 v7, v16, s11
	v_mad_u64_u32 v[5:6], null, v16, s10, 0
	s_delay_alu instid0(VALU_DEP_1) | instskip(NEXT) | instid1(VALU_DEP_1)
	v_add3_u32 v6, v6, v7, v3
	v_lshlrev_b64 v[5:6], 2, v[5:6]
	s_delay_alu instid0(VALU_DEP_1) | instskip(NEXT) | instid1(VALU_DEP_2)
	v_add_co_u32 v18, vcc_lo, s8, v5
	v_add_co_ci_u32_e32 v19, vcc_lo, s9, v6, vcc_lo
.LBB120_3:
	v_and_b32_e32 v5, 0x3ff, v0
	s_lshl_b64 s[2:3], s[6:7], 4
	s_clause 0x1
	s_load_b32 s8, s[0:1], 0x18
	s_load_b32 s5, s[0:1], 0x0
	s_waitcnt vmcnt(0)
	v_add_co_u32 v134, vcc_lo, v1, s2
	v_lshlrev_b32_e32 v15, 4, v5
	v_add_co_ci_u32_e32 v135, vcc_lo, s3, v2, vcc_lo
	s_movk_i32 s6, 0x50
	s_movk_i32 s7, 0x60
	s_delay_alu instid0(VALU_DEP_2) | instskip(NEXT) | instid1(VALU_DEP_2)
	v_add_co_u32 v11, vcc_lo, v134, v15
	v_add_co_ci_u32_e32 v12, vcc_lo, 0, v135, vcc_lo
	s_movk_i32 s12, 0x80
	s_movk_i32 s14, 0x90
	s_clause 0x1
	global_load_b128 v[0:3], v[11:12], off
	global_load_b128 v[7:10], v[11:12], off
	s_movk_i32 s15, 0xa0
	s_movk_i32 s16, 0xb0
	;; [unrolled: 1-line block ×3, first 2 shown]
	s_waitcnt lgkmcnt(0)
	v_add3_u32 v13, s8, s8, v5
	s_ashr_i32 s9, s8, 31
	s_max_i32 s2, s5, 61
	s_lshl_b64 s[10:11], s[8:9], 4
	v_mul_lo_u32 v6, s2, v4
	v_add_nc_u32_e32 v21, s8, v13
	v_ashrrev_i32_e32 v14, 31, v13
	v_add_co_u32 v11, vcc_lo, v11, s10
	v_add_co_ci_u32_e32 v12, vcc_lo, s11, v12, vcc_lo
	s_delay_alu instid0(VALU_DEP_4)
	v_add_nc_u32_e32 v23, s8, v21
	v_ashrrev_i32_e32 v22, 31, v21
	v_lshlrev_b64 v[13:14], 4, v[13:14]
	v_lshl_add_u32 v20, v6, 4, 0
	s_movk_i32 s9, 0x70
	v_add_nc_u32_e32 v25, s8, v23
	v_ashrrev_i32_e32 v24, 31, v23
	v_lshlrev_b64 v[27:28], 4, v[21:22]
	v_add_co_u32 v21, vcc_lo, v134, v13
	s_delay_alu instid0(VALU_DEP_4) | instskip(SKIP_3) | instid1(VALU_DEP_4)
	v_add_nc_u32_e32 v29, s8, v25
	v_ashrrev_i32_e32 v26, 31, v25
	v_lshlrev_b64 v[31:32], 4, v[23:24]
	v_add_co_ci_u32_e32 v22, vcc_lo, v135, v14, vcc_lo
	v_add_nc_u32_e32 v33, s8, v29
	v_ashrrev_i32_e32 v30, 31, v29
	v_add_co_u32 v27, vcc_lo, v134, v27
	v_lshlrev_b64 v[35:36], 4, v[25:26]
	s_delay_alu instid0(VALU_DEP_4) | instskip(SKIP_3) | instid1(VALU_DEP_4)
	v_add_nc_u32_e32 v37, s8, v33
	v_ashrrev_i32_e32 v34, 31, v33
	v_add_co_ci_u32_e32 v28, vcc_lo, v135, v28, vcc_lo
	v_add_co_u32 v31, vcc_lo, v134, v31
	v_add_nc_u32_e32 v41, s8, v37
	v_lshlrev_b64 v[39:40], 4, v[29:30]
	v_ashrrev_i32_e32 v38, 31, v37
	v_add_co_ci_u32_e32 v32, vcc_lo, v135, v32, vcc_lo
	s_delay_alu instid0(VALU_DEP_4) | instskip(SKIP_3) | instid1(VALU_DEP_4)
	v_add_nc_u32_e32 v45, s8, v41
	v_add_co_u32 v35, vcc_lo, v134, v35
	v_lshlrev_b64 v[43:44], 4, v[33:34]
	v_ashrrev_i32_e32 v42, 31, v41
	v_add_nc_u32_e32 v49, s8, v45
	v_add_co_ci_u32_e32 v36, vcc_lo, v135, v36, vcc_lo
	v_add_co_u32 v39, vcc_lo, v134, v39
	s_delay_alu instid0(VALU_DEP_3) | instskip(SKIP_3) | instid1(VALU_DEP_4)
	v_add_nc_u32_e32 v53, s8, v49
	v_lshlrev_b64 v[47:48], 4, v[37:38]
	v_ashrrev_i32_e32 v46, 31, v45
	v_add_co_ci_u32_e32 v40, vcc_lo, v135, v40, vcc_lo
	v_add_nc_u32_e32 v57, s8, v53
	v_add_co_u32 v43, vcc_lo, v134, v43
	v_lshlrev_b64 v[51:52], 4, v[41:42]
	v_ashrrev_i32_e32 v50, 31, v49
	s_delay_alu instid0(VALU_DEP_4) | instskip(SKIP_2) | instid1(VALU_DEP_3)
	v_add_nc_u32_e32 v61, s8, v57
	v_add_co_ci_u32_e32 v44, vcc_lo, v135, v44, vcc_lo
	v_add_co_u32 v47, vcc_lo, v134, v47
	v_add_nc_u32_e32 v65, s8, v61
	v_lshlrev_b64 v[55:56], 4, v[45:46]
	v_ashrrev_i32_e32 v54, 31, v53
	v_add_co_ci_u32_e32 v48, vcc_lo, v135, v48, vcc_lo
	s_delay_alu instid0(VALU_DEP_4) | instskip(SKIP_3) | instid1(VALU_DEP_4)
	v_add_nc_u32_e32 v71, s8, v65
	v_add_co_u32 v51, vcc_lo, v134, v51
	v_lshlrev_b64 v[59:60], 4, v[49:50]
	v_ashrrev_i32_e32 v58, 31, v57
	v_add_nc_u32_e32 v73, s8, v71
	v_add_co_ci_u32_e32 v52, vcc_lo, v135, v52, vcc_lo
	v_add_co_u32 v55, vcc_lo, v134, v55
	s_delay_alu instid0(VALU_DEP_3) | instskip(SKIP_3) | instid1(VALU_DEP_4)
	v_add_nc_u32_e32 v77, s8, v73
	v_lshlrev_b64 v[63:64], 4, v[53:54]
	v_ashrrev_i32_e32 v62, 31, v61
	v_add_co_ci_u32_e32 v56, vcc_lo, v135, v56, vcc_lo
	v_add_nc_u32_e32 v81, s8, v77
	v_add_co_u32 v59, vcc_lo, v134, v59
	v_lshlrev_b64 v[67:68], 4, v[57:58]
	v_ashrrev_i32_e32 v66, 31, v65
	s_delay_alu instid0(VALU_DEP_4) | instskip(SKIP_2) | instid1(VALU_DEP_3)
	v_add_nc_u32_e32 v87, s8, v81
	v_add_co_ci_u32_e32 v60, vcc_lo, v135, v60, vcc_lo
	v_add_co_u32 v63, vcc_lo, v134, v63
	v_add_nc_u32_e32 v91, s8, v87
	v_lshlrev_b64 v[69:70], 4, v[61:62]
	v_ashrrev_i32_e32 v72, 31, v71
	v_add_co_ci_u32_e32 v64, vcc_lo, v135, v64, vcc_lo
	s_delay_alu instid0(VALU_DEP_4) | instskip(SKIP_3) | instid1(VALU_DEP_4)
	v_add_nc_u32_e32 v97, s8, v91
	v_add_co_u32 v67, vcc_lo, v134, v67
	v_lshlrev_b64 v[65:66], 4, v[65:66]
	v_ashrrev_i32_e32 v74, 31, v73
	v_add_nc_u32_e32 v101, s8, v97
	v_add_co_ci_u32_e32 v68, vcc_lo, v135, v68, vcc_lo
	v_add_co_u32 v69, vcc_lo, v134, v69
	s_delay_alu instid0(VALU_DEP_3)
	v_add_nc_u32_e32 v103, s8, v101
	v_lshlrev_b64 v[75:76], 4, v[71:72]
	v_ashrrev_i32_e32 v78, 31, v77
	v_add_co_ci_u32_e32 v70, vcc_lo, v135, v70, vcc_lo
	v_add_co_u32 v79, vcc_lo, v134, v65
	v_lshlrev_b64 v[73:74], 4, v[73:74]
	v_add_nc_u32_e32 v105, s8, v103
	v_add_co_ci_u32_e32 v80, vcc_lo, v135, v66, vcc_lo
	v_add_co_u32 v83, vcc_lo, v134, v75
	v_lshlrev_b64 v[85:86], 4, v[77:78]
	v_ashrrev_i32_e32 v82, 31, v81
	v_add_co_ci_u32_e32 v84, vcc_lo, v135, v76, vcc_lo
	v_add_nc_u32_e32 v111, s8, v105
	v_add_co_u32 v89, vcc_lo, v134, v73
	v_ashrrev_i32_e32 v88, 31, v87
	v_add_co_ci_u32_e32 v90, vcc_lo, v135, v74, vcc_lo
	v_lshlrev_b64 v[93:94], 4, v[81:82]
	v_add_co_u32 v85, vcc_lo, v134, v85
	v_ashrrev_i32_e32 v92, 31, v91
	v_add_nc_u32_e32 v115, s8, v111
	v_add_co_ci_u32_e32 v86, vcc_lo, v135, v86, vcc_lo
	v_lshlrev_b64 v[95:96], 4, v[87:88]
	v_ashrrev_i32_e32 v98, 31, v97
	s_clause 0x11
	global_load_b128 v[11:14], v[11:12], off
	global_load_b128 v[21:24], v[21:22], off
	;; [unrolled: 1-line block ×18, first 2 shown]
	v_add_co_u32 v89, vcc_lo, v134, v93
	v_lshlrev_b64 v[99:100], 4, v[91:92]
	v_add_nc_u32_e32 v117, s8, v115
	v_ashrrev_i32_e32 v102, 31, v101
	v_add_co_ci_u32_e32 v90, vcc_lo, v135, v94, vcc_lo
	v_add_co_u32 v93, vcc_lo, v134, v95
	v_lshlrev_b64 v[97:98], 4, v[97:98]
	v_ashrrev_i32_e32 v104, 31, v103
	v_add_co_ci_u32_e32 v94, vcc_lo, v135, v96, vcc_lo
	v_add_nc_u32_e32 v123, s8, v117
	v_add_co_u32 v99, vcc_lo, v134, v99
	v_lshlrev_b64 v[101:102], 4, v[101:102]
	v_add_co_ci_u32_e32 v100, vcc_lo, v135, v100, vcc_lo
	v_ashrrev_i32_e32 v106, 31, v105
	v_add_co_u32 v107, vcc_lo, v134, v97
	v_lshlrev_b64 v[109:110], 4, v[103:104]
	v_add_nc_u32_e32 v127, s8, v123
	v_add_co_ci_u32_e32 v108, vcc_lo, v135, v98, vcc_lo
	v_add_co_u32 v113, vcc_lo, v134, v101
	v_ashrrev_i32_e32 v112, 31, v111
	v_lshlrev_b64 v[105:106], 4, v[105:106]
	v_add_co_ci_u32_e32 v114, vcc_lo, v135, v102, vcc_lo
	v_add_co_u32 v109, vcc_lo, v134, v109
	v_add_nc_u32_e32 v131, s8, v127
	v_ashrrev_i32_e32 v116, 31, v115
	v_add_co_ci_u32_e32 v110, vcc_lo, v135, v110, vcc_lo
	v_lshlrev_b64 v[119:120], 4, v[111:112]
	v_add_co_u32 v121, vcc_lo, v134, v105
	v_ashrrev_i32_e32 v118, 31, v117
	v_add_nc_u32_e32 v136, s8, v131
	s_clause 0x3
	global_load_b128 v[89:92], v[89:90], off
	global_load_b128 v[93:96], v[93:94], off
	;; [unrolled: 1-line block ×4, first 2 shown]
	v_add_co_ci_u32_e32 v122, vcc_lo, v135, v106, vcc_lo
	s_clause 0x1
	global_load_b128 v[105:108], v[113:114], off
	global_load_b128 v[109:112], v[109:110], off
	v_lshlrev_b64 v[113:114], 4, v[115:116]
	v_add_co_u32 v119, vcc_lo, v134, v119
	v_ashrrev_i32_e32 v124, 31, v123
	v_add_co_ci_u32_e32 v120, vcc_lo, v135, v120, vcc_lo
	v_lshlrev_b64 v[125:126], 4, v[117:118]
	v_add_nc_u32_e32 v142, s8, v136
	v_add_co_u32 v129, vcc_lo, v134, v113
	v_ashrrev_i32_e32 v128, 31, v127
	v_add_co_ci_u32_e32 v130, vcc_lo, v135, v114, vcc_lo
	s_clause 0x1
	global_load_b128 v[113:116], v[121:122], off
	global_load_b128 v[117:120], v[119:120], off
	v_lshlrev_b64 v[121:122], 4, v[123:124]
	v_add_nc_u32_e32 v146, s8, v142
	v_add_co_u32 v125, vcc_lo, v134, v125
	v_ashrrev_i32_e32 v132, 31, v131
	v_add_co_ci_u32_e32 v126, vcc_lo, v135, v126, vcc_lo
	v_lshlrev_b64 v[138:139], 4, v[127:128]
	v_add_co_u32 v140, vcc_lo, v134, v121
	v_add_nc_u32_e32 v150, s8, v146
	v_add_co_ci_u32_e32 v141, vcc_lo, v135, v122, vcc_lo
	s_clause 0x1
	global_load_b128 v[121:124], v[129:130], off
	global_load_b128 v[125:128], v[125:126], off
	v_ashrrev_i32_e32 v137, 31, v136
	v_lshlrev_b64 v[129:130], 4, v[131:132]
	v_add_co_u32 v138, vcc_lo, v134, v138
	v_ashrrev_i32_e32 v143, 31, v142
	v_add_nc_u32_e32 v152, s8, v150
	v_add_co_ci_u32_e32 v139, vcc_lo, v135, v139, vcc_lo
	v_lshlrev_b64 v[144:145], 4, v[136:137]
	v_add_co_u32 v148, vcc_lo, v134, v129
	v_ashrrev_i32_e32 v147, 31, v146
	v_add_co_ci_u32_e32 v149, vcc_lo, v135, v130, vcc_lo
	s_clause 0x1
	global_load_b128 v[129:132], v[140:141], off
	global_load_b128 v[136:139], v[138:139], off
	v_lshlrev_b64 v[140:141], 4, v[142:143]
	v_add_nc_u32_e32 v158, s8, v152
	v_add_co_u32 v144, vcc_lo, v134, v144
	v_lshlrev_b64 v[154:155], 4, v[146:147]
	v_ashrrev_i32_e32 v151, 31, v150
	v_add_co_ci_u32_e32 v145, vcc_lo, v135, v145, vcc_lo
	v_add_nc_u32_e32 v164, s8, v158
	v_add_co_u32 v156, vcc_lo, v134, v140
	v_ashrrev_i32_e32 v153, 31, v152
	v_add_co_ci_u32_e32 v157, vcc_lo, v135, v141, vcc_lo
	v_lshlrev_b64 v[160:161], 4, v[150:151]
	v_add_co_u32 v154, vcc_lo, v134, v154
	v_ashrrev_i32_e32 v159, 31, v158
	v_add_nc_u32_e32 v166, s8, v164
	v_add_co_ci_u32_e32 v155, vcc_lo, v135, v155, vcc_lo
	v_lshlrev_b64 v[162:163], 4, v[152:153]
	v_ashrrev_i32_e32 v165, 31, v164
	s_clause 0x3
	global_load_b128 v[140:143], v[148:149], off
	global_load_b128 v[144:147], v[144:145], off
	;; [unrolled: 1-line block ×4, first 2 shown]
	v_add_co_u32 v156, vcc_lo, v134, v160
	v_lshlrev_b64 v[158:159], 4, v[158:159]
	v_add_nc_u32_e32 v168, s8, v166
	v_add_co_ci_u32_e32 v157, vcc_lo, v135, v161, vcc_lo
	v_ashrrev_i32_e32 v167, 31, v166
	v_add_co_u32 v160, vcc_lo, v134, v162
	v_lshlrev_b64 v[164:165], 4, v[164:165]
	v_add_co_ci_u32_e32 v161, vcc_lo, v135, v163, vcc_lo
	v_add_nc_u32_e32 v172, s8, v168
	v_add_co_u32 v170, vcc_lo, v134, v158
	v_lshlrev_b64 v[166:167], 4, v[166:167]
	v_add_co_ci_u32_e32 v171, vcc_lo, v135, v159, vcc_lo
	v_ashrrev_i32_e32 v169, 31, v168
	v_add_co_u32 v174, vcc_lo, v134, v164
	v_add_nc_u32_e32 v4, v20, v15
	v_add_nc_u32_e32 v176, s8, v172
	v_add_co_ci_u32_e32 v175, vcc_lo, v135, v165, vcc_lo
	v_add_co_u32 v180, vcc_lo, v134, v166
	v_lshlrev_b64 v[178:179], 4, v[168:169]
	s_clause 0x1
	global_load_b128 v[156:159], v[156:157], off
	global_load_b128 v[160:163], v[160:161], off
	v_ashrrev_i32_e32 v173, 31, v172
	v_add_co_ci_u32_e32 v181, vcc_lo, v135, v167, vcc_lo
	s_clause 0x1
	global_load_b128 v[164:167], v[170:171], off
	global_load_b128 v[168:171], v[174:175], off
	v_ashrrev_i32_e32 v177, 31, v176
	s_movk_i32 s18, 0xd0
	s_movk_i32 s19, 0xe0
	;; [unrolled: 1-line block ×4, first 2 shown]
	v_lshlrev_b64 v[174:175], 4, v[176:177]
	s_movk_i32 s22, 0x110
	s_movk_i32 s23, 0x120
	s_movk_i32 s24, 0x130
	s_movk_i32 s25, 0x140
	s_movk_i32 s26, 0x150
	s_movk_i32 s27, 0x160
	s_movk_i32 s28, 0x170
	s_movk_i32 s29, 0x180
	s_waitcnt vmcnt(38)
	ds_store_2addr_b64 v4, v[7:8], v[9:10] offset1:1
	v_add_nc_u32_e32 v9, s8, v176
	v_lshlrev_b64 v[7:8], 4, v[172:173]
	v_add_co_u32 v172, vcc_lo, v134, v178
	v_add_co_ci_u32_e32 v173, vcc_lo, v135, v179, vcc_lo
	s_delay_alu instid0(VALU_DEP_4) | instskip(SKIP_3) | instid1(VALU_DEP_4)
	v_add_nc_u32_e32 v178, s8, v9
	v_ashrrev_i32_e32 v10, 31, v9
	v_add_co_u32 v176, vcc_lo, v134, v7
	v_add_co_ci_u32_e32 v177, vcc_lo, v135, v8, vcc_lo
	v_add_nc_u32_e32 v182, s8, v178
	v_ashrrev_i32_e32 v179, 31, v178
	v_lshlrev_b64 v[186:187], 4, v[9:10]
	v_add_co_u32 v184, vcc_lo, v134, v174
	s_delay_alu instid0(VALU_DEP_4) | instskip(NEXT) | instid1(VALU_DEP_4)
	v_add_nc_u32_e32 v188, s8, v182
	v_lshlrev_b64 v[178:179], 4, v[178:179]
	v_ashrrev_i32_e32 v183, 31, v182
	v_add_co_ci_u32_e32 v185, vcc_lo, v135, v175, vcc_lo
	s_delay_alu instid0(VALU_DEP_4) | instskip(SKIP_3) | instid1(VALU_DEP_4)
	v_add_nc_u32_e32 v192, s8, v188
	v_add_co_u32 v186, vcc_lo, v134, v186
	v_ashrrev_i32_e32 v189, 31, v188
	v_add_co_ci_u32_e32 v187, vcc_lo, v135, v187, vcc_lo
	v_add_nc_u32_e32 v196, s8, v192
	v_lshlrev_b64 v[194:195], 4, v[182:183]
	v_add_co_u32 v190, vcc_lo, v134, v178
	v_ashrrev_i32_e32 v193, 31, v192
	s_delay_alu instid0(VALU_DEP_4)
	v_add_nc_u32_e32 v200, s8, v196
	s_clause 0x1
	global_load_b128 v[7:10], v[180:181], off
	global_load_b128 v[172:175], v[172:173], off
	v_add_co_ci_u32_e32 v191, vcc_lo, v135, v179, vcc_lo
	s_clause 0x1
	global_load_b128 v[176:179], v[176:177], off
	global_load_b128 v[180:183], v[184:185], off
	v_add_nc_u32_e32 v202, s8, v200
	v_lshlrev_b64 v[184:185], 4, v[188:189]
	v_ashrrev_i32_e32 v197, 31, v196
	v_add_co_u32 v194, vcc_lo, v134, v194
	s_delay_alu instid0(VALU_DEP_4) | instskip(SKIP_3) | instid1(VALU_DEP_4)
	v_add_nc_u32_e32 v208, s8, v202
	v_lshlrev_b64 v[192:193], 4, v[192:193]
	v_ashrrev_i32_e32 v201, 31, v200
	v_add_co_ci_u32_e32 v195, vcc_lo, v135, v195, vcc_lo
	v_add_nc_u32_e32 v210, s8, v208
	v_add_co_u32 v198, vcc_lo, v134, v184
	v_lshlrev_b64 v[196:197], 4, v[196:197]
	v_ashrrev_i32_e32 v203, 31, v202
	s_delay_alu instid0(VALU_DEP_4) | instskip(SKIP_2) | instid1(VALU_DEP_3)
	v_add_nc_u32_e32 v216, s8, v210
	v_add_co_ci_u32_e32 v199, vcc_lo, v135, v185, vcc_lo
	v_add_co_u32 v204, vcc_lo, v134, v192
	v_add_nc_u32_e32 v218, s8, v216
	v_lshlrev_b64 v[200:201], 4, v[200:201]
	v_ashrrev_i32_e32 v209, 31, v208
	v_add_co_ci_u32_e32 v205, vcc_lo, v135, v193, vcc_lo
	s_delay_alu instid0(VALU_DEP_4)
	v_add_nc_u32_e32 v224, s8, v218
	v_add_co_u32 v206, vcc_lo, v134, v196
	v_lshlrev_b64 v[202:203], 4, v[202:203]
	v_ashrrev_i32_e32 v211, 31, v210
	v_add_co_ci_u32_e32 v207, vcc_lo, v135, v197, vcc_lo
	v_add_nc_u32_e32 v226, s8, v224
	v_add_co_u32 v212, vcc_lo, v134, v200
	v_lshlrev_b64 v[208:209], 4, v[208:209]
	v_ashrrev_i32_e32 v217, 31, v216
	v_add_co_ci_u32_e32 v213, vcc_lo, v135, v201, vcc_lo
	v_add_co_u32 v214, vcc_lo, v134, v202
	v_lshlrev_b64 v[210:211], 4, v[210:211]
	v_ashrrev_i32_e32 v219, 31, v218
	v_add_nc_u32_e32 v232, s8, v226
	v_add_co_ci_u32_e32 v215, vcc_lo, v135, v203, vcc_lo
	v_add_co_u32 v220, vcc_lo, v134, v208
	v_lshlrev_b64 v[216:217], 4, v[216:217]
	v_ashrrev_i32_e32 v225, 31, v224
	v_add_co_ci_u32_e32 v221, vcc_lo, v135, v209, vcc_lo
	v_add_co_u32 v222, vcc_lo, v134, v210
	v_lshlrev_b64 v[218:219], 4, v[218:219]
	v_add_nc_u32_e32 v234, s8, v232
	v_ashrrev_i32_e32 v227, 31, v226
	v_add_co_ci_u32_e32 v223, vcc_lo, v135, v211, vcc_lo
	v_add_co_u32 v228, vcc_lo, v134, v216
	v_lshlrev_b64 v[224:225], 4, v[224:225]
	v_ashrrev_i32_e32 v233, 31, v232
	v_add_co_ci_u32_e32 v229, vcc_lo, v135, v217, vcc_lo
	v_add_nc_u32_e32 v240, s8, v234
	v_add_co_u32 v230, vcc_lo, v134, v218
	v_lshlrev_b64 v[226:227], 4, v[226:227]
	v_ashrrev_i32_e32 v235, 31, v234
	v_add_co_ci_u32_e32 v231, vcc_lo, v135, v219, vcc_lo
	v_add_co_u32 v236, vcc_lo, v134, v224
	v_lshlrev_b64 v[232:233], 4, v[232:233]
	v_add_nc_u32_e32 v242, s8, v240
	v_add_co_ci_u32_e32 v237, vcc_lo, v135, v225, vcc_lo
	v_add_co_u32 v238, vcc_lo, v134, v226
	v_lshlrev_b64 v[234:235], 4, v[234:235]
	v_ashrrev_i32_e32 v241, 31, v240
	v_add_co_ci_u32_e32 v239, vcc_lo, v135, v227, vcc_lo
	v_add_co_u32 v244, vcc_lo, v134, v232
	v_ashrrev_i32_e32 v243, 31, v242
	v_add_co_ci_u32_e32 v245, vcc_lo, v135, v233, vcc_lo
	v_lshlrev_b64 v[232:233], 4, v[240:241]
	v_add_co_u32 v246, vcc_lo, v134, v234
	v_add_co_ci_u32_e32 v247, vcc_lo, v135, v235, vcc_lo
	v_lshlrev_b64 v[234:235], 4, v[242:243]
	s_delay_alu instid0(VALU_DEP_4)
	v_add_co_u32 v248, vcc_lo, v134, v232
	v_add_co_ci_u32_e32 v249, vcc_lo, v135, v233, vcc_lo
	s_clause 0x1
	global_load_b128 v[184:187], v[186:187], off
	global_load_b128 v[188:191], v[190:191], off
	v_add_co_u32 v252, vcc_lo, v134, v234
	v_add_co_ci_u32_e32 v253, vcc_lo, v135, v235, vcc_lo
	s_clause 0xf
	global_load_b128 v[192:195], v[194:195], off
	global_load_b128 v[196:199], v[198:199], off
	;; [unrolled: 1-line block ×16, first 2 shown]
	v_mov_b32_e32 v4, 0
	s_movk_i32 s30, 0x190
	s_movk_i32 s31, 0x1a0
	;; [unrolled: 1-line block ×35, first 2 shown]
	s_cmp_lt_i32 s5, 2
	s_movk_i32 s66, 0x3c0
	scratch_store_b128 off, v[0:3], off
	s_waitcnt vmcnt(59)
	scratch_store_b128 off, v[11:14], off offset:16
	s_waitcnt vmcnt(58)
	scratch_store_b128 off, v[21:24], off offset:32
	;; [unrolled: 2-line block ×60, first 2 shown]
	s_waitcnt lgkmcnt(0)
	s_waitcnt_vscnt null, 0x0
	s_barrier
	buffer_gl0_inv
	ds_load_2addr_b64 v[0:3], v20 offset1:1
	v_lshlrev_b32_e32 v36, 4, v6
	s_cbranch_scc1 .LBB120_6
; %bb.4:
	s_delay_alu instid0(VALU_DEP_1)
	v_add3_u32 v6, v36, 0, 16
	v_mov_b32_e32 v4, 0
	s_mov_b32 s67, 1
	s_set_inst_prefetch_distance 0x1
	.p2align	6
.LBB120_5:                              ; =>This Inner Loop Header: Depth=1
	ds_load_2addr_b64 v[7:10], v6 offset1:1
	s_waitcnt lgkmcnt(1)
	v_cmp_gt_f64_e32 vcc_lo, 0, v[0:1]
	v_xor_b32_e32 v11, 0x80000000, v1
	v_cmp_gt_f64_e64 s2, 0, v[2:3]
	v_xor_b32_e32 v13, 0x80000000, v3
	v_add_nc_u32_e32 v6, 16, v6
	s_waitcnt lgkmcnt(0)
	v_cmp_gt_f64_e64 s3, 0, v[7:8]
	v_mov_b32_e32 v21, v7
	v_mov_b32_e32 v23, v9
	v_cndmask_b32_e32 v12, v1, v11, vcc_lo
	v_xor_b32_e32 v11, 0x80000000, v8
	v_cndmask_b32_e64 v14, v3, v13, s2
	v_xor_b32_e32 v13, 0x80000000, v10
	s_delay_alu instid0(VALU_DEP_3) | instskip(SKIP_2) | instid1(VALU_DEP_2)
	v_cndmask_b32_e64 v22, v8, v11, s3
	v_cmp_gt_f64_e64 s3, 0, v[9:10]
	v_cndmask_b32_e32 v11, v0, v0, vcc_lo
	v_cndmask_b32_e64 v24, v10, v13, s3
	v_cndmask_b32_e64 v13, v2, v2, s2
	s_delay_alu instid0(VALU_DEP_2) | instskip(NEXT) | instid1(VALU_DEP_2)
	v_add_f64 v[21:22], v[21:22], v[23:24]
	v_add_f64 v[11:12], v[11:12], v[13:14]
	s_delay_alu instid0(VALU_DEP_1) | instskip(SKIP_4) | instid1(SALU_CYCLE_1)
	v_cmp_lt_f64_e32 vcc_lo, v[11:12], v[21:22]
	v_dual_cndmask_b32 v2, v2, v9 :: v_dual_cndmask_b32 v1, v1, v8
	v_dual_cndmask_b32 v0, v0, v7 :: v_dual_cndmask_b32 v3, v3, v10
	v_cndmask_b32_e64 v4, v4, s67, vcc_lo
	s_add_i32 s67, s67, 1
	s_cmp_eq_u32 s5, s67
	s_cbranch_scc0 .LBB120_5
.LBB120_6:
	s_set_inst_prefetch_distance 0x2
	s_waitcnt lgkmcnt(0)
	v_cmp_neq_f64_e32 vcc_lo, 0, v[0:1]
	v_cmp_neq_f64_e64 s2, 0, v[2:3]
	v_add_nc_u32_e64 v31, 0, 16
	v_add_nc_u32_e64 v30, 0, 32
	;; [unrolled: 1-line block ×60, first 2 shown]
	v_dual_mov_b32 v35, 1 :: v_dual_mov_b32 v6, 1
	s_or_b32 s2, vcc_lo, s2
	s_delay_alu instid0(SALU_CYCLE_1)
	s_and_saveexec_b32 s3, s2
	s_cbranch_execz .LBB120_12
; %bb.7:
	v_cmp_gt_f64_e32 vcc_lo, 0, v[0:1]
	v_cmp_gt_f64_e64 s2, 0, v[2:3]
	v_xor_b32_e32 v6, 0x80000000, v1
	v_xor_b32_e32 v8, 0x80000000, v3
                                        ; implicit-def: $sgpr6
                                        ; implicit-def: $sgpr7
	s_delay_alu instid0(VALU_DEP_2) | instskip(NEXT) | instid1(VALU_DEP_2)
	v_dual_cndmask_b32 v7, v1, v6 :: v_dual_cndmask_b32 v6, v0, v0
	v_cndmask_b32_e64 v9, v3, v8, s2
	v_cndmask_b32_e64 v8, v2, v2, s2
	s_mov_b32 s2, exec_lo
	s_delay_alu instid0(VALU_DEP_1)
	v_cmpx_ngt_f64_e32 v[6:7], v[8:9]
	s_xor_b32 s2, exec_lo, s2
	s_cbranch_execz .LBB120_9
; %bb.8:
	v_div_scale_f64 v[6:7], null, v[2:3], v[2:3], v[0:1]
	v_div_scale_f64 v[12:13], vcc_lo, v[0:1], v[2:3], v[0:1]
	s_mov_b32 s7, 2
	s_mov_b32 s6, 0
	s_delay_alu instid0(VALU_DEP_2) | instskip(SKIP_2) | instid1(VALU_DEP_1)
	v_rcp_f64_e32 v[8:9], v[6:7]
	s_waitcnt_depctr 0xfff
	v_fma_f64 v[10:11], -v[6:7], v[8:9], 1.0
	v_fma_f64 v[8:9], v[8:9], v[10:11], v[8:9]
	s_delay_alu instid0(VALU_DEP_1) | instskip(NEXT) | instid1(VALU_DEP_1)
	v_fma_f64 v[10:11], -v[6:7], v[8:9], 1.0
	v_fma_f64 v[8:9], v[8:9], v[10:11], v[8:9]
	s_delay_alu instid0(VALU_DEP_1) | instskip(NEXT) | instid1(VALU_DEP_1)
	v_mul_f64 v[10:11], v[12:13], v[8:9]
	v_fma_f64 v[6:7], -v[6:7], v[10:11], v[12:13]
	s_delay_alu instid0(VALU_DEP_1) | instskip(NEXT) | instid1(VALU_DEP_1)
	v_div_fmas_f64 v[6:7], v[6:7], v[8:9], v[10:11]
	v_div_fixup_f64 v[6:7], v[6:7], v[2:3], v[0:1]
	s_delay_alu instid0(VALU_DEP_1) | instskip(NEXT) | instid1(VALU_DEP_1)
	v_fma_f64 v[0:1], v[0:1], v[6:7], v[2:3]
	v_div_scale_f64 v[2:3], null, v[0:1], v[0:1], 1.0
	s_delay_alu instid0(VALU_DEP_1) | instskip(SKIP_2) | instid1(VALU_DEP_1)
	v_rcp_f64_e32 v[8:9], v[2:3]
	s_waitcnt_depctr 0xfff
	v_fma_f64 v[10:11], -v[2:3], v[8:9], 1.0
	v_fma_f64 v[8:9], v[8:9], v[10:11], v[8:9]
	s_delay_alu instid0(VALU_DEP_1) | instskip(NEXT) | instid1(VALU_DEP_1)
	v_fma_f64 v[10:11], -v[2:3], v[8:9], 1.0
	v_fma_f64 v[8:9], v[8:9], v[10:11], v[8:9]
	v_div_scale_f64 v[10:11], vcc_lo, 1.0, v[0:1], 1.0
	s_delay_alu instid0(VALU_DEP_1) | instskip(NEXT) | instid1(VALU_DEP_1)
	v_mul_f64 v[12:13], v[10:11], v[8:9]
	v_fma_f64 v[2:3], -v[2:3], v[12:13], v[10:11]
	s_delay_alu instid0(VALU_DEP_1) | instskip(NEXT) | instid1(VALU_DEP_1)
	v_div_fmas_f64 v[2:3], v[2:3], v[8:9], v[12:13]
	v_div_fixup_f64 v[2:3], v[2:3], v[0:1], 1.0
	s_delay_alu instid0(VALU_DEP_1)
	v_mul_f64 v[0:1], v[6:7], v[2:3]
	v_xor_b32_e32 v3, 0x80000000, v3
.LBB120_9:
	s_or_saveexec_b32 s2, s2
	v_dual_mov_b32 v6, s6 :: v_dual_mov_b32 v35, s7
	s_xor_b32 exec_lo, exec_lo, s2
	s_cbranch_execz .LBB120_11
; %bb.10:
	s_delay_alu instid0(VALU_DEP_3) | instskip(SKIP_2) | instid1(VALU_DEP_3)
	v_div_scale_f64 v[6:7], null, v[0:1], v[0:1], v[2:3]
	v_div_scale_f64 v[12:13], vcc_lo, v[2:3], v[0:1], v[2:3]
	v_mov_b32_e32 v35, 2
	v_rcp_f64_e32 v[8:9], v[6:7]
	s_waitcnt_depctr 0xfff
	v_fma_f64 v[10:11], -v[6:7], v[8:9], 1.0
	s_delay_alu instid0(VALU_DEP_1) | instskip(NEXT) | instid1(VALU_DEP_1)
	v_fma_f64 v[8:9], v[8:9], v[10:11], v[8:9]
	v_fma_f64 v[10:11], -v[6:7], v[8:9], 1.0
	s_delay_alu instid0(VALU_DEP_1) | instskip(NEXT) | instid1(VALU_DEP_1)
	v_fma_f64 v[8:9], v[8:9], v[10:11], v[8:9]
	v_mul_f64 v[10:11], v[12:13], v[8:9]
	s_delay_alu instid0(VALU_DEP_1) | instskip(NEXT) | instid1(VALU_DEP_1)
	v_fma_f64 v[6:7], -v[6:7], v[10:11], v[12:13]
	v_div_fmas_f64 v[6:7], v[6:7], v[8:9], v[10:11]
	s_delay_alu instid0(VALU_DEP_1) | instskip(NEXT) | instid1(VALU_DEP_1)
	v_div_fixup_f64 v[6:7], v[6:7], v[0:1], v[2:3]
	v_fma_f64 v[0:1], v[2:3], v[6:7], v[0:1]
	s_delay_alu instid0(VALU_DEP_1) | instskip(NEXT) | instid1(VALU_DEP_1)
	v_div_scale_f64 v[2:3], null, v[0:1], v[0:1], 1.0
	v_rcp_f64_e32 v[8:9], v[2:3]
	s_waitcnt_depctr 0xfff
	v_fma_f64 v[10:11], -v[2:3], v[8:9], 1.0
	s_delay_alu instid0(VALU_DEP_1) | instskip(NEXT) | instid1(VALU_DEP_1)
	v_fma_f64 v[8:9], v[8:9], v[10:11], v[8:9]
	v_fma_f64 v[10:11], -v[2:3], v[8:9], 1.0
	s_delay_alu instid0(VALU_DEP_1) | instskip(SKIP_1) | instid1(VALU_DEP_1)
	v_fma_f64 v[8:9], v[8:9], v[10:11], v[8:9]
	v_div_scale_f64 v[10:11], vcc_lo, 1.0, v[0:1], 1.0
	v_mul_f64 v[12:13], v[10:11], v[8:9]
	s_delay_alu instid0(VALU_DEP_1) | instskip(NEXT) | instid1(VALU_DEP_1)
	v_fma_f64 v[2:3], -v[2:3], v[12:13], v[10:11]
	v_div_fmas_f64 v[2:3], v[2:3], v[8:9], v[12:13]
	s_delay_alu instid0(VALU_DEP_1) | instskip(NEXT) | instid1(VALU_DEP_1)
	v_div_fixup_f64 v[0:1], v[2:3], v[0:1], 1.0
	v_mul_f64 v[2:3], v[6:7], -v[0:1]
	v_mov_b32_e32 v6, 0
.LBB120_11:
	s_or_b32 exec_lo, exec_lo, s2
.LBB120_12:
	s_delay_alu instid0(SALU_CYCLE_1) | instskip(NEXT) | instid1(SALU_CYCLE_1)
	s_or_b32 exec_lo, exec_lo, s3
	s_mov_b32 s2, exec_lo
                                        ; implicit-def: $vgpr38
	v_cmpx_ne_u32_e64 v5, v4
	s_xor_b32 s2, exec_lo, s2
	s_cbranch_execz .LBB120_18
; %bb.13:
	s_mov_b32 s3, exec_lo
	v_cmpx_eq_u32_e32 0, v5
	s_cbranch_execz .LBB120_17
; %bb.14:
	v_cmp_ne_u32_e32 vcc_lo, 0, v4
	s_xor_b32 s6, s4, -1
	s_delay_alu instid0(SALU_CYCLE_1) | instskip(NEXT) | instid1(SALU_CYCLE_1)
	s_and_b32 s7, s6, vcc_lo
	s_and_saveexec_b32 s6, s7
	s_cbranch_execz .LBB120_16
; %bb.15:
	v_ashrrev_i32_e32 v5, 31, v4
	s_delay_alu instid0(VALU_DEP_1) | instskip(NEXT) | instid1(VALU_DEP_1)
	v_lshlrev_b64 v[7:8], 2, v[4:5]
	v_add_co_u32 v7, vcc_lo, v18, v7
	s_delay_alu instid0(VALU_DEP_2)
	v_add_co_ci_u32_e32 v8, vcc_lo, v19, v8, vcc_lo
	s_clause 0x1
	flat_load_b32 v5, v[7:8]
	flat_load_b32 v9, v[18:19]
	s_waitcnt vmcnt(1) lgkmcnt(1)
	flat_store_b32 v[18:19], v5
	s_waitcnt vmcnt(0) lgkmcnt(1)
	flat_store_b32 v[7:8], v9
.LBB120_16:
	s_or_b32 exec_lo, exec_lo, s6
	v_mov_b32_e32 v5, v4
.LBB120_17:
	s_or_b32 exec_lo, exec_lo, s3
	s_delay_alu instid0(VALU_DEP_1)
	v_mov_b32_e32 v38, v5
                                        ; implicit-def: $vgpr5
.LBB120_18:
	s_or_saveexec_b32 s2, s2
	s_delay_alu instid0(VALU_DEP_1)
	v_mov_b32_e32 v37, v38
	s_xor_b32 exec_lo, exec_lo, s2
	s_cbranch_execz .LBB120_22
; %bb.19:
	v_add3_u32 v4, v36, 0, 16
	v_mov_b32_e32 v7, 0
	s_mov_b32 s3, 0
.LBB120_20:                             ; =>This Inner Loop Header: Depth=1
	s_delay_alu instid0(VALU_DEP_1) | instskip(NEXT) | instid1(VALU_DEP_3)
	v_readfirstlane_b32 s6, v7
	v_add_nc_u32_e32 v37, s3, v4
	s_delay_alu instid0(VALU_DEP_2)
	s_add_i32 s6, s6, s3
	s_addk_i32 s3, 0xf0
	s_add_i32 s7, s6, 16
	s_add_i32 s9, s6, 32
	;; [unrolled: 1-line block ×14, first 2 shown]
	s_addk_i32 s6, 0xf0
	s_clause 0xe
	scratch_load_b128 v[8:11], off, s7
	scratch_load_b128 v[12:15], off, s9
	;; [unrolled: 1-line block ×15, first 2 shown]
	s_cmpk_eq_i32 s3, 0x3c0
	s_waitcnt vmcnt(14)
	ds_store_2addr_b64 v37, v[8:9], v[10:11] offset1:1
	s_waitcnt vmcnt(13)
	ds_store_2addr_b64 v37, v[12:13], v[14:15] offset0:2 offset1:3
	s_waitcnt vmcnt(12)
	ds_store_2addr_b64 v37, v[41:42], v[43:44] offset0:4 offset1:5
	;; [unrolled: 2-line block ×14, first 2 shown]
	s_cbranch_scc0 .LBB120_20
; %bb.21:
	v_dual_mov_b32 v38, 0 :: v_dual_mov_b32 v37, v5
.LBB120_22:
	s_or_b32 exec_lo, exec_lo, s2
	s_mov_b32 s2, 0
	s_mov_b32 s3, exec_lo
	s_waitcnt lgkmcnt(0)
	s_waitcnt_vscnt null, 0x0
	s_barrier
	buffer_gl0_inv
	v_cmpx_lt_i32_e32 0, v38
	s_cbranch_execz .LBB120_25
; %bb.23:
	scratch_load_b128 v[7:10], off, off
	s_waitcnt vmcnt(0)
	v_mul_f64 v[4:5], v[2:3], v[9:10]
	v_mul_f64 v[9:10], v[0:1], v[9:10]
	s_delay_alu instid0(VALU_DEP_2) | instskip(NEXT) | instid1(VALU_DEP_2)
	v_fma_f64 v[0:1], v[0:1], v[7:8], -v[4:5]
	v_fma_f64 v[2:3], v[2:3], v[7:8], v[9:10]
	v_add3_u32 v4, v36, 0, 16
	v_mov_b32_e32 v5, 0
	scratch_store_b128 off, v[0:3], off
.LBB120_24:                             ; =>This Inner Loop Header: Depth=1
	v_readfirstlane_b32 s6, v5
	v_add_nc_u32_e32 v15, s2, v4
	s_delay_alu instid0(VALU_DEP_2)
	s_add_i32 s7, s6, s2
	s_addk_i32 s2, 0x60
	s_add_i32 s6, s7, 16
	s_add_i32 s9, s7, 32
	;; [unrolled: 1-line block ×5, first 2 shown]
	s_addk_i32 s7, 0x60
	s_clause 0x5
	scratch_load_b128 v[7:10], off, s6
	scratch_load_b128 v[11:14], off, s9
	;; [unrolled: 1-line block ×6, first 2 shown]
	ds_load_2addr_b64 v[73:76], v15 offset1:1
	ds_load_2addr_b64 v[129:132], v15 offset0:2 offset1:3
	ds_load_2addr_b64 v[164:167], v15 offset0:4 offset1:5
	;; [unrolled: 1-line block ×5, first 2 shown]
	s_cmpk_lg_i32 s2, 0x3c0
	s_waitcnt lgkmcnt(5)
	v_mul_f64 v[49:50], v[75:76], v[2:3]
	v_mul_f64 v[53:54], v[73:74], v[2:3]
	s_waitcnt lgkmcnt(4)
	v_mul_f64 v[65:66], v[131:132], v[2:3]
	v_mul_f64 v[69:70], v[129:130], v[2:3]
	;; [unrolled: 3-line block ×6, first 2 shown]
	v_fma_f64 v[49:50], v[73:74], v[0:1], -v[49:50]
	v_fma_f64 v[53:54], v[75:76], v[0:1], v[53:54]
	v_fma_f64 v[65:66], v[129:130], v[0:1], -v[65:66]
	v_fma_f64 v[69:70], v[131:132], v[0:1], v[69:70]
	;; [unrolled: 2-line block ×6, first 2 shown]
	s_waitcnt vmcnt(5)
	v_add_f64 v[7:8], v[7:8], -v[49:50]
	v_add_f64 v[9:10], v[9:10], -v[53:54]
	s_waitcnt vmcnt(4)
	v_add_f64 v[11:12], v[11:12], -v[65:66]
	v_add_f64 v[13:14], v[13:14], -v[69:70]
	;; [unrolled: 3-line block ×6, first 2 shown]
	s_clause 0x5
	scratch_store_b128 off, v[7:10], s6
	scratch_store_b128 off, v[11:14], s9
	;; [unrolled: 1-line block ×6, first 2 shown]
	s_cbranch_scc1 .LBB120_24
.LBB120_25:
	s_or_b32 exec_lo, exec_lo, s3
	s_waitcnt_vscnt null, 0x0
	s_barrier
	buffer_gl0_inv
	scratch_load_b128 v[0:3], v31, off
	v_lshl_add_u32 v4, v38, 4, v20
	s_cmp_lt_i32 s5, 3
	s_waitcnt vmcnt(0)
	ds_store_2addr_b64 v4, v[0:1], v[2:3] offset1:1
	s_waitcnt lgkmcnt(0)
	s_barrier
	buffer_gl0_inv
	ds_load_2addr_b64 v[0:3], v20 offset0:2 offset1:3
	v_mov_b32_e32 v4, 1
	s_cbranch_scc1 .LBB120_28
; %bb.26:
	v_add3_u32 v5, v36, 0, 32
	v_mov_b32_e32 v4, 1
	s_mov_b32 s6, 2
	s_set_inst_prefetch_distance 0x1
	.p2align	6
.LBB120_27:                             ; =>This Inner Loop Header: Depth=1
	ds_load_2addr_b64 v[7:10], v5 offset1:1
	s_waitcnt lgkmcnt(1)
	v_cmp_gt_f64_e32 vcc_lo, 0, v[0:1]
	v_xor_b32_e32 v11, 0x80000000, v1
	v_cmp_gt_f64_e64 s2, 0, v[2:3]
	v_xor_b32_e32 v13, 0x80000000, v3
	v_add_nc_u32_e32 v5, 16, v5
	s_waitcnt lgkmcnt(0)
	v_cmp_gt_f64_e64 s3, 0, v[7:8]
	v_mov_b32_e32 v43, v9
	v_dual_mov_b32 v41, v7 :: v_dual_cndmask_b32 v12, v1, v11
	v_xor_b32_e32 v11, 0x80000000, v8
	v_cndmask_b32_e64 v14, v3, v13, s2
	v_xor_b32_e32 v13, 0x80000000, v10
	s_delay_alu instid0(VALU_DEP_3) | instskip(SKIP_2) | instid1(VALU_DEP_2)
	v_cndmask_b32_e64 v42, v8, v11, s3
	v_cmp_gt_f64_e64 s3, 0, v[9:10]
	v_cndmask_b32_e32 v11, v0, v0, vcc_lo
	v_cndmask_b32_e64 v44, v10, v13, s3
	v_cndmask_b32_e64 v13, v2, v2, s2
	s_delay_alu instid0(VALU_DEP_2) | instskip(NEXT) | instid1(VALU_DEP_2)
	v_add_f64 v[41:42], v[41:42], v[43:44]
	v_add_f64 v[11:12], v[11:12], v[13:14]
	s_delay_alu instid0(VALU_DEP_1) | instskip(SKIP_4) | instid1(SALU_CYCLE_1)
	v_cmp_lt_f64_e32 vcc_lo, v[11:12], v[41:42]
	v_dual_cndmask_b32 v2, v2, v9 :: v_dual_cndmask_b32 v1, v1, v8
	v_dual_cndmask_b32 v0, v0, v7 :: v_dual_cndmask_b32 v3, v3, v10
	v_cndmask_b32_e64 v4, v4, s6, vcc_lo
	s_add_i32 s6, s6, 1
	s_cmp_lg_u32 s5, s6
	s_cbranch_scc1 .LBB120_27
.LBB120_28:
	s_set_inst_prefetch_distance 0x2
	s_waitcnt lgkmcnt(0)
	v_cmp_neq_f64_e32 vcc_lo, 0, v[0:1]
	v_cmp_neq_f64_e64 s2, 0, v[2:3]
	s_delay_alu instid0(VALU_DEP_1) | instskip(NEXT) | instid1(SALU_CYCLE_1)
	s_or_b32 s2, vcc_lo, s2
	s_and_saveexec_b32 s3, s2
	s_cbranch_execz .LBB120_34
; %bb.29:
	v_cmp_gt_f64_e32 vcc_lo, 0, v[0:1]
	v_cmp_gt_f64_e64 s2, 0, v[2:3]
	v_xor_b32_e32 v5, 0x80000000, v1
	v_xor_b32_e32 v7, 0x80000000, v3
	s_delay_alu instid0(VALU_DEP_2) | instskip(NEXT) | instid1(VALU_DEP_2)
	v_cndmask_b32_e32 v8, v1, v5, vcc_lo
	v_cndmask_b32_e64 v10, v3, v7, s2
	v_cndmask_b32_e32 v7, v0, v0, vcc_lo
	v_cndmask_b32_e64 v9, v2, v2, s2
	s_mov_b32 s2, exec_lo
	s_delay_alu instid0(VALU_DEP_1)
	v_cmpx_ngt_f64_e32 v[7:8], v[9:10]
	s_xor_b32 s2, exec_lo, s2
	s_cbranch_execz .LBB120_31
; %bb.30:
	v_div_scale_f64 v[7:8], null, v[2:3], v[2:3], v[0:1]
	v_div_scale_f64 v[13:14], vcc_lo, v[0:1], v[2:3], v[0:1]
	s_delay_alu instid0(VALU_DEP_2) | instskip(SKIP_2) | instid1(VALU_DEP_1)
	v_rcp_f64_e32 v[9:10], v[7:8]
	s_waitcnt_depctr 0xfff
	v_fma_f64 v[11:12], -v[7:8], v[9:10], 1.0
	v_fma_f64 v[9:10], v[9:10], v[11:12], v[9:10]
	s_delay_alu instid0(VALU_DEP_1) | instskip(NEXT) | instid1(VALU_DEP_1)
	v_fma_f64 v[11:12], -v[7:8], v[9:10], 1.0
	v_fma_f64 v[9:10], v[9:10], v[11:12], v[9:10]
	s_delay_alu instid0(VALU_DEP_1) | instskip(NEXT) | instid1(VALU_DEP_1)
	v_mul_f64 v[11:12], v[13:14], v[9:10]
	v_fma_f64 v[7:8], -v[7:8], v[11:12], v[13:14]
	s_delay_alu instid0(VALU_DEP_1) | instskip(NEXT) | instid1(VALU_DEP_1)
	v_div_fmas_f64 v[7:8], v[7:8], v[9:10], v[11:12]
	v_div_fixup_f64 v[7:8], v[7:8], v[2:3], v[0:1]
	s_delay_alu instid0(VALU_DEP_1) | instskip(NEXT) | instid1(VALU_DEP_1)
	v_fma_f64 v[0:1], v[0:1], v[7:8], v[2:3]
	v_div_scale_f64 v[2:3], null, v[0:1], v[0:1], 1.0
	s_delay_alu instid0(VALU_DEP_1) | instskip(SKIP_2) | instid1(VALU_DEP_1)
	v_rcp_f64_e32 v[9:10], v[2:3]
	s_waitcnt_depctr 0xfff
	v_fma_f64 v[11:12], -v[2:3], v[9:10], 1.0
	v_fma_f64 v[9:10], v[9:10], v[11:12], v[9:10]
	s_delay_alu instid0(VALU_DEP_1) | instskip(NEXT) | instid1(VALU_DEP_1)
	v_fma_f64 v[11:12], -v[2:3], v[9:10], 1.0
	v_fma_f64 v[9:10], v[9:10], v[11:12], v[9:10]
	v_div_scale_f64 v[11:12], vcc_lo, 1.0, v[0:1], 1.0
	s_delay_alu instid0(VALU_DEP_1) | instskip(NEXT) | instid1(VALU_DEP_1)
	v_mul_f64 v[13:14], v[11:12], v[9:10]
	v_fma_f64 v[2:3], -v[2:3], v[13:14], v[11:12]
	s_delay_alu instid0(VALU_DEP_1) | instskip(NEXT) | instid1(VALU_DEP_1)
	v_div_fmas_f64 v[2:3], v[2:3], v[9:10], v[13:14]
	v_div_fixup_f64 v[2:3], v[2:3], v[0:1], 1.0
	s_delay_alu instid0(VALU_DEP_1)
	v_mul_f64 v[0:1], v[7:8], v[2:3]
	v_xor_b32_e32 v3, 0x80000000, v3
.LBB120_31:
	s_and_not1_saveexec_b32 s2, s2
	s_cbranch_execz .LBB120_33
; %bb.32:
	s_delay_alu instid0(VALU_DEP_1) | instskip(SKIP_1) | instid1(VALU_DEP_2)
	v_div_scale_f64 v[7:8], null, v[0:1], v[0:1], v[2:3]
	v_div_scale_f64 v[13:14], vcc_lo, v[2:3], v[0:1], v[2:3]
	v_rcp_f64_e32 v[9:10], v[7:8]
	s_waitcnt_depctr 0xfff
	v_fma_f64 v[11:12], -v[7:8], v[9:10], 1.0
	s_delay_alu instid0(VALU_DEP_1) | instskip(NEXT) | instid1(VALU_DEP_1)
	v_fma_f64 v[9:10], v[9:10], v[11:12], v[9:10]
	v_fma_f64 v[11:12], -v[7:8], v[9:10], 1.0
	s_delay_alu instid0(VALU_DEP_1) | instskip(NEXT) | instid1(VALU_DEP_1)
	v_fma_f64 v[9:10], v[9:10], v[11:12], v[9:10]
	v_mul_f64 v[11:12], v[13:14], v[9:10]
	s_delay_alu instid0(VALU_DEP_1) | instskip(NEXT) | instid1(VALU_DEP_1)
	v_fma_f64 v[7:8], -v[7:8], v[11:12], v[13:14]
	v_div_fmas_f64 v[7:8], v[7:8], v[9:10], v[11:12]
	s_delay_alu instid0(VALU_DEP_1) | instskip(NEXT) | instid1(VALU_DEP_1)
	v_div_fixup_f64 v[7:8], v[7:8], v[0:1], v[2:3]
	v_fma_f64 v[0:1], v[2:3], v[7:8], v[0:1]
	s_delay_alu instid0(VALU_DEP_1) | instskip(NEXT) | instid1(VALU_DEP_1)
	v_div_scale_f64 v[2:3], null, v[0:1], v[0:1], 1.0
	v_rcp_f64_e32 v[9:10], v[2:3]
	s_waitcnt_depctr 0xfff
	v_fma_f64 v[11:12], -v[2:3], v[9:10], 1.0
	s_delay_alu instid0(VALU_DEP_1) | instskip(NEXT) | instid1(VALU_DEP_1)
	v_fma_f64 v[9:10], v[9:10], v[11:12], v[9:10]
	v_fma_f64 v[11:12], -v[2:3], v[9:10], 1.0
	s_delay_alu instid0(VALU_DEP_1) | instskip(SKIP_1) | instid1(VALU_DEP_1)
	v_fma_f64 v[9:10], v[9:10], v[11:12], v[9:10]
	v_div_scale_f64 v[11:12], vcc_lo, 1.0, v[0:1], 1.0
	v_mul_f64 v[13:14], v[11:12], v[9:10]
	s_delay_alu instid0(VALU_DEP_1) | instskip(NEXT) | instid1(VALU_DEP_1)
	v_fma_f64 v[2:3], -v[2:3], v[13:14], v[11:12]
	v_div_fmas_f64 v[2:3], v[2:3], v[9:10], v[13:14]
	s_delay_alu instid0(VALU_DEP_1) | instskip(NEXT) | instid1(VALU_DEP_1)
	v_div_fixup_f64 v[0:1], v[2:3], v[0:1], 1.0
	v_mul_f64 v[2:3], v[7:8], -v[0:1]
.LBB120_33:
	s_or_b32 exec_lo, exec_lo, s2
	v_mov_b32_e32 v35, v6
.LBB120_34:
	s_or_b32 exec_lo, exec_lo, s3
	s_delay_alu instid0(SALU_CYCLE_1)
	s_mov_b32 s2, exec_lo
	v_cmpx_ne_u32_e64 v38, v4
	s_xor_b32 s2, exec_lo, s2
	s_cbranch_execz .LBB120_40
; %bb.35:
	s_mov_b32 s3, exec_lo
	v_cmpx_eq_u32_e32 1, v38
	s_cbranch_execz .LBB120_39
; %bb.36:
	v_cmp_ne_u32_e32 vcc_lo, 1, v4
	s_xor_b32 s6, s4, -1
	s_delay_alu instid0(SALU_CYCLE_1) | instskip(NEXT) | instid1(SALU_CYCLE_1)
	s_and_b32 s7, s6, vcc_lo
	s_and_saveexec_b32 s6, s7
	s_cbranch_execz .LBB120_38
; %bb.37:
	v_ashrrev_i32_e32 v5, 31, v4
	s_delay_alu instid0(VALU_DEP_1) | instskip(NEXT) | instid1(VALU_DEP_1)
	v_lshlrev_b64 v[5:6], 2, v[4:5]
	v_add_co_u32 v5, vcc_lo, v18, v5
	s_delay_alu instid0(VALU_DEP_2)
	v_add_co_ci_u32_e32 v6, vcc_lo, v19, v6, vcc_lo
	s_clause 0x1
	flat_load_b32 v7, v[5:6]
	flat_load_b32 v8, v[18:19] offset:4
	s_waitcnt vmcnt(1) lgkmcnt(1)
	flat_store_b32 v[18:19], v7 offset:4
	s_waitcnt vmcnt(0) lgkmcnt(1)
	flat_store_b32 v[5:6], v8
.LBB120_38:
	s_or_b32 exec_lo, exec_lo, s6
	v_mov_b32_e32 v38, v4
	v_mov_b32_e32 v37, v4
.LBB120_39:
	s_or_b32 exec_lo, exec_lo, s3
.LBB120_40:
	s_and_not1_saveexec_b32 s2, s2
	s_cbranch_execz .LBB120_46
; %bb.41:
	v_add3_u32 v4, v36, 0, 32
	v_mov_b32_e32 v5, 0
	s_mov_b32 s3, 0
	s_branch .LBB120_43
.LBB120_42:                             ;   in Loop: Header=BB120_43 Depth=1
	s_and_not1_b32 vcc_lo, exec_lo, s7
	s_cbranch_vccz .LBB120_45
.LBB120_43:                             ; =>This Inner Loop Header: Depth=1
	s_delay_alu instid0(VALU_DEP_1) | instskip(SKIP_1) | instid1(VALU_DEP_2)
	v_readfirstlane_b32 s6, v5
	v_add_nc_u32_e32 v6, s3, v4
	s_add_i32 s6, s6, s3
	s_delay_alu instid0(SALU_CYCLE_1)
	s_add_i32 s7, s6, 32
	s_add_i32 s9, s6, 48
	;; [unrolled: 1-line block ×3, first 2 shown]
	s_clause 0x2
	scratch_load_b128 v[7:10], off, s7
	scratch_load_b128 v[11:14], off, s9
	scratch_load_b128 v[41:44], off, s12
	s_mov_b32 s7, -1
	s_cmpk_eq_i32 s3, 0x380
	s_waitcnt vmcnt(2)
	ds_store_2addr_b64 v6, v[7:8], v[9:10] offset1:1
	s_waitcnt vmcnt(1)
	ds_store_2addr_b64 v6, v[11:12], v[13:14] offset0:2 offset1:3
	s_waitcnt vmcnt(0)
	ds_store_2addr_b64 v6, v[41:42], v[43:44] offset0:4 offset1:5
	s_cbranch_scc1 .LBB120_42
; %bb.44:                               ;   in Loop: Header=BB120_43 Depth=1
	s_add_i32 s7, s6, 0x50
	s_add_i32 s9, s6, 0x60
	s_clause 0x1
	scratch_load_b128 v[7:10], off, s7
	scratch_load_b128 v[11:14], off, s9
	s_add_i32 s7, s6, 0x70
	s_add_i32 s9, s6, 0x80
	s_addk_i32 s6, 0x90
	s_clause 0x2
	scratch_load_b128 v[41:44], off, s7
	scratch_load_b128 v[45:48], off, s9
	;; [unrolled: 1-line block ×3, first 2 shown]
	s_addk_i32 s3, 0x80
	s_mov_b32 s7, 0
	s_waitcnt vmcnt(4)
	ds_store_2addr_b64 v6, v[7:8], v[9:10] offset0:6 offset1:7
	s_waitcnt vmcnt(3)
	ds_store_2addr_b64 v6, v[11:12], v[13:14] offset0:8 offset1:9
	;; [unrolled: 2-line block ×5, first 2 shown]
	s_branch .LBB120_42
.LBB120_45:
	v_mov_b32_e32 v38, 1
.LBB120_46:
	s_or_b32 exec_lo, exec_lo, s2
	s_delay_alu instid0(SALU_CYCLE_1)
	s_mov_b32 s2, exec_lo
	s_waitcnt lgkmcnt(0)
	s_waitcnt_vscnt null, 0x0
	s_barrier
	buffer_gl0_inv
	v_cmpx_lt_i32_e32 1, v38
	s_cbranch_execz .LBB120_51
; %bb.47:
	scratch_load_b128 v[4:7], off, off offset:16
	s_mov_b32 s3, 0
	s_waitcnt vmcnt(0)
	v_mul_f64 v[8:9], v[2:3], v[6:7]
	v_mul_f64 v[6:7], v[0:1], v[6:7]
	s_delay_alu instid0(VALU_DEP_2) | instskip(NEXT) | instid1(VALU_DEP_2)
	v_fma_f64 v[0:1], v[0:1], v[4:5], -v[8:9]
	v_fma_f64 v[2:3], v[2:3], v[4:5], v[6:7]
	v_add3_u32 v4, v36, 0, 32
	v_mov_b32_e32 v5, 0
	scratch_store_b128 off, v[0:3], off offset:16
	s_branch .LBB120_49
.LBB120_48:                             ;   in Loop: Header=BB120_49 Depth=1
	s_and_not1_b32 vcc_lo, exec_lo, s7
	s_cbranch_vccz .LBB120_51
.LBB120_49:                             ; =>This Inner Loop Header: Depth=1
	v_readfirstlane_b32 s6, v5
	v_add_nc_u32_e32 v6, s3, v4
	s_mov_b32 s7, -1
	s_delay_alu instid0(VALU_DEP_2) | instskip(NEXT) | instid1(SALU_CYCLE_1)
	s_add_i32 s6, s6, s3
	s_add_i32 s9, s6, 32
	;; [unrolled: 1-line block ×3, first 2 shown]
	scratch_load_b128 v[7:10], off, s9
	s_add_i32 s14, s6, 64
	s_clause 0x1
	scratch_load_b128 v[11:14], off, s12
	scratch_load_b128 v[41:44], off, s14
	ds_load_2addr_b64 v[45:48], v6 offset1:1
	ds_load_2addr_b64 v[57:60], v6 offset0:2 offset1:3
	ds_load_2addr_b64 v[61:64], v6 offset0:4 offset1:5
	s_cmpk_eq_i32 s3, 0x380
	s_waitcnt lgkmcnt(2)
	v_mul_f64 v[49:50], v[47:48], v[2:3]
	v_mul_f64 v[53:54], v[45:46], v[2:3]
	s_waitcnt lgkmcnt(1)
	v_mul_f64 v[65:66], v[59:60], v[2:3]
	v_mul_f64 v[69:70], v[57:58], v[2:3]
	;; [unrolled: 3-line block ×3, first 2 shown]
	v_fma_f64 v[45:46], v[45:46], v[0:1], -v[49:50]
	v_fma_f64 v[47:48], v[47:48], v[0:1], v[53:54]
	v_fma_f64 v[49:50], v[57:58], v[0:1], -v[65:66]
	v_fma_f64 v[53:54], v[59:60], v[0:1], v[69:70]
	v_fma_f64 v[57:58], v[61:62], v[0:1], -v[73:74]
	v_fma_f64 v[59:60], v[63:64], v[0:1], v[75:76]
	s_waitcnt vmcnt(2)
	v_add_f64 v[7:8], v[7:8], -v[45:46]
	v_add_f64 v[9:10], v[9:10], -v[47:48]
	s_waitcnt vmcnt(1)
	v_add_f64 v[11:12], v[11:12], -v[49:50]
	v_add_f64 v[13:14], v[13:14], -v[53:54]
	;; [unrolled: 3-line block ×3, first 2 shown]
	s_clause 0x2
	scratch_store_b128 off, v[7:10], s9
	scratch_store_b128 off, v[11:14], s12
	;; [unrolled: 1-line block ×3, first 2 shown]
	s_cbranch_scc1 .LBB120_48
; %bb.50:                               ;   in Loop: Header=BB120_49 Depth=1
	s_addk_i32 s6, 0x50
	ds_load_2addr_b64 v[11:14], v6 offset0:6 offset1:7
	scratch_load_b128 v[7:10], off, s6
	s_add_i32 s3, s3, 64
	s_mov_b32 s7, 0
	s_waitcnt lgkmcnt(0)
	v_mul_f64 v[41:42], v[13:14], v[2:3]
	v_mul_f64 v[43:44], v[11:12], v[2:3]
	s_delay_alu instid0(VALU_DEP_2) | instskip(NEXT) | instid1(VALU_DEP_2)
	v_fma_f64 v[11:12], v[11:12], v[0:1], -v[41:42]
	v_fma_f64 v[13:14], v[13:14], v[0:1], v[43:44]
	s_waitcnt vmcnt(0)
	s_delay_alu instid0(VALU_DEP_2) | instskip(NEXT) | instid1(VALU_DEP_2)
	v_add_f64 v[6:7], v[7:8], -v[11:12]
	v_add_f64 v[8:9], v[9:10], -v[13:14]
	scratch_store_b128 off, v[6:9], s6
	s_branch .LBB120_48
.LBB120_51:
	s_or_b32 exec_lo, exec_lo, s2
	s_waitcnt_vscnt null, 0x0
	s_barrier
	buffer_gl0_inv
	scratch_load_b128 v[0:3], v30, off
	v_lshl_add_u32 v4, v38, 4, v20
	s_cmp_lt_i32 s5, 4
	s_waitcnt vmcnt(0)
	ds_store_2addr_b64 v4, v[0:1], v[2:3] offset1:1
	s_waitcnt lgkmcnt(0)
	s_barrier
	buffer_gl0_inv
	ds_load_2addr_b64 v[0:3], v20 offset0:4 offset1:5
	v_mov_b32_e32 v4, 2
	s_cbranch_scc1 .LBB120_54
; %bb.52:
	v_add3_u32 v5, v36, 0, 48
	v_mov_b32_e32 v4, 2
	s_mov_b32 s6, 3
	s_set_inst_prefetch_distance 0x1
	.p2align	6
.LBB120_53:                             ; =>This Inner Loop Header: Depth=1
	ds_load_2addr_b64 v[6:9], v5 offset1:1
	s_waitcnt lgkmcnt(1)
	v_cmp_gt_f64_e32 vcc_lo, 0, v[0:1]
	v_xor_b32_e32 v10, 0x80000000, v1
	v_cmp_gt_f64_e64 s2, 0, v[2:3]
	v_xor_b32_e32 v12, 0x80000000, v3
	v_add_nc_u32_e32 v5, 16, v5
	s_waitcnt lgkmcnt(0)
	v_cmp_gt_f64_e64 s3, 0, v[6:7]
	v_dual_mov_b32 v41, v8 :: v_dual_mov_b32 v14, v6
	v_cndmask_b32_e32 v11, v1, v10, vcc_lo
	v_xor_b32_e32 v10, 0x80000000, v7
	v_cndmask_b32_e64 v13, v3, v12, s2
	v_xor_b32_e32 v12, 0x80000000, v9
	s_delay_alu instid0(VALU_DEP_3) | instskip(SKIP_2) | instid1(VALU_DEP_2)
	v_cndmask_b32_e64 v15, v7, v10, s3
	v_cmp_gt_f64_e64 s3, 0, v[8:9]
	v_cndmask_b32_e32 v10, v0, v0, vcc_lo
	v_cndmask_b32_e64 v42, v9, v12, s3
	v_cndmask_b32_e64 v12, v2, v2, s2
	s_delay_alu instid0(VALU_DEP_2) | instskip(NEXT) | instid1(VALU_DEP_2)
	v_add_f64 v[14:15], v[14:15], v[41:42]
	v_add_f64 v[10:11], v[10:11], v[12:13]
	s_delay_alu instid0(VALU_DEP_1) | instskip(SKIP_4) | instid1(SALU_CYCLE_1)
	v_cmp_lt_f64_e32 vcc_lo, v[10:11], v[14:15]
	v_dual_cndmask_b32 v1, v1, v7 :: v_dual_cndmask_b32 v0, v0, v6
	v_dual_cndmask_b32 v3, v3, v9 :: v_dual_cndmask_b32 v2, v2, v8
	v_cndmask_b32_e64 v4, v4, s6, vcc_lo
	s_add_i32 s6, s6, 1
	s_cmp_lg_u32 s5, s6
	s_cbranch_scc1 .LBB120_53
.LBB120_54:
	s_set_inst_prefetch_distance 0x2
	s_waitcnt lgkmcnt(0)
	v_cmp_eq_f64_e32 vcc_lo, 0, v[0:1]
	v_cmp_eq_f64_e64 s2, 0, v[2:3]
	s_delay_alu instid0(VALU_DEP_1) | instskip(NEXT) | instid1(SALU_CYCLE_1)
	s_and_b32 s2, vcc_lo, s2
	s_and_saveexec_b32 s3, s2
	s_delay_alu instid0(SALU_CYCLE_1)
	s_xor_b32 s2, exec_lo, s3
; %bb.55:
	v_cmp_ne_u32_e32 vcc_lo, 0, v35
	v_cndmask_b32_e32 v35, 3, v35, vcc_lo
; %bb.56:
	s_and_not1_saveexec_b32 s3, s2
	s_cbranch_execz .LBB120_62
; %bb.57:
	v_cmp_gt_f64_e32 vcc_lo, 0, v[0:1]
	v_cmp_gt_f64_e64 s2, 0, v[2:3]
	v_xor_b32_e32 v5, 0x80000000, v1
	v_xor_b32_e32 v7, 0x80000000, v3
	s_delay_alu instid0(VALU_DEP_2) | instskip(NEXT) | instid1(VALU_DEP_2)
	v_dual_cndmask_b32 v6, v1, v5 :: v_dual_cndmask_b32 v5, v0, v0
	v_cndmask_b32_e64 v8, v3, v7, s2
	v_cndmask_b32_e64 v7, v2, v2, s2
	s_mov_b32 s2, exec_lo
	s_delay_alu instid0(VALU_DEP_1)
	v_cmpx_ngt_f64_e32 v[5:6], v[7:8]
	s_xor_b32 s2, exec_lo, s2
	s_cbranch_execz .LBB120_59
; %bb.58:
	v_div_scale_f64 v[5:6], null, v[2:3], v[2:3], v[0:1]
	v_div_scale_f64 v[11:12], vcc_lo, v[0:1], v[2:3], v[0:1]
	s_delay_alu instid0(VALU_DEP_2) | instskip(SKIP_2) | instid1(VALU_DEP_1)
	v_rcp_f64_e32 v[7:8], v[5:6]
	s_waitcnt_depctr 0xfff
	v_fma_f64 v[9:10], -v[5:6], v[7:8], 1.0
	v_fma_f64 v[7:8], v[7:8], v[9:10], v[7:8]
	s_delay_alu instid0(VALU_DEP_1) | instskip(NEXT) | instid1(VALU_DEP_1)
	v_fma_f64 v[9:10], -v[5:6], v[7:8], 1.0
	v_fma_f64 v[7:8], v[7:8], v[9:10], v[7:8]
	s_delay_alu instid0(VALU_DEP_1) | instskip(NEXT) | instid1(VALU_DEP_1)
	v_mul_f64 v[9:10], v[11:12], v[7:8]
	v_fma_f64 v[5:6], -v[5:6], v[9:10], v[11:12]
	s_delay_alu instid0(VALU_DEP_1) | instskip(NEXT) | instid1(VALU_DEP_1)
	v_div_fmas_f64 v[5:6], v[5:6], v[7:8], v[9:10]
	v_div_fixup_f64 v[5:6], v[5:6], v[2:3], v[0:1]
	s_delay_alu instid0(VALU_DEP_1) | instskip(NEXT) | instid1(VALU_DEP_1)
	v_fma_f64 v[0:1], v[0:1], v[5:6], v[2:3]
	v_div_scale_f64 v[2:3], null, v[0:1], v[0:1], 1.0
	s_delay_alu instid0(VALU_DEP_1) | instskip(SKIP_2) | instid1(VALU_DEP_1)
	v_rcp_f64_e32 v[7:8], v[2:3]
	s_waitcnt_depctr 0xfff
	v_fma_f64 v[9:10], -v[2:3], v[7:8], 1.0
	v_fma_f64 v[7:8], v[7:8], v[9:10], v[7:8]
	s_delay_alu instid0(VALU_DEP_1) | instskip(NEXT) | instid1(VALU_DEP_1)
	v_fma_f64 v[9:10], -v[2:3], v[7:8], 1.0
	v_fma_f64 v[7:8], v[7:8], v[9:10], v[7:8]
	v_div_scale_f64 v[9:10], vcc_lo, 1.0, v[0:1], 1.0
	s_delay_alu instid0(VALU_DEP_1) | instskip(NEXT) | instid1(VALU_DEP_1)
	v_mul_f64 v[11:12], v[9:10], v[7:8]
	v_fma_f64 v[2:3], -v[2:3], v[11:12], v[9:10]
	s_delay_alu instid0(VALU_DEP_1) | instskip(NEXT) | instid1(VALU_DEP_1)
	v_div_fmas_f64 v[2:3], v[2:3], v[7:8], v[11:12]
	v_div_fixup_f64 v[2:3], v[2:3], v[0:1], 1.0
	s_delay_alu instid0(VALU_DEP_1)
	v_mul_f64 v[0:1], v[5:6], v[2:3]
	v_xor_b32_e32 v3, 0x80000000, v3
.LBB120_59:
	s_and_not1_saveexec_b32 s2, s2
	s_cbranch_execz .LBB120_61
; %bb.60:
	s_delay_alu instid0(VALU_DEP_1) | instskip(SKIP_1) | instid1(VALU_DEP_2)
	v_div_scale_f64 v[5:6], null, v[0:1], v[0:1], v[2:3]
	v_div_scale_f64 v[11:12], vcc_lo, v[2:3], v[0:1], v[2:3]
	v_rcp_f64_e32 v[7:8], v[5:6]
	s_waitcnt_depctr 0xfff
	v_fma_f64 v[9:10], -v[5:6], v[7:8], 1.0
	s_delay_alu instid0(VALU_DEP_1) | instskip(NEXT) | instid1(VALU_DEP_1)
	v_fma_f64 v[7:8], v[7:8], v[9:10], v[7:8]
	v_fma_f64 v[9:10], -v[5:6], v[7:8], 1.0
	s_delay_alu instid0(VALU_DEP_1) | instskip(NEXT) | instid1(VALU_DEP_1)
	v_fma_f64 v[7:8], v[7:8], v[9:10], v[7:8]
	v_mul_f64 v[9:10], v[11:12], v[7:8]
	s_delay_alu instid0(VALU_DEP_1) | instskip(NEXT) | instid1(VALU_DEP_1)
	v_fma_f64 v[5:6], -v[5:6], v[9:10], v[11:12]
	v_div_fmas_f64 v[5:6], v[5:6], v[7:8], v[9:10]
	s_delay_alu instid0(VALU_DEP_1) | instskip(NEXT) | instid1(VALU_DEP_1)
	v_div_fixup_f64 v[5:6], v[5:6], v[0:1], v[2:3]
	v_fma_f64 v[0:1], v[2:3], v[5:6], v[0:1]
	s_delay_alu instid0(VALU_DEP_1) | instskip(NEXT) | instid1(VALU_DEP_1)
	v_div_scale_f64 v[2:3], null, v[0:1], v[0:1], 1.0
	v_rcp_f64_e32 v[7:8], v[2:3]
	s_waitcnt_depctr 0xfff
	v_fma_f64 v[9:10], -v[2:3], v[7:8], 1.0
	s_delay_alu instid0(VALU_DEP_1) | instskip(NEXT) | instid1(VALU_DEP_1)
	v_fma_f64 v[7:8], v[7:8], v[9:10], v[7:8]
	v_fma_f64 v[9:10], -v[2:3], v[7:8], 1.0
	s_delay_alu instid0(VALU_DEP_1) | instskip(SKIP_1) | instid1(VALU_DEP_1)
	v_fma_f64 v[7:8], v[7:8], v[9:10], v[7:8]
	v_div_scale_f64 v[9:10], vcc_lo, 1.0, v[0:1], 1.0
	v_mul_f64 v[11:12], v[9:10], v[7:8]
	s_delay_alu instid0(VALU_DEP_1) | instskip(NEXT) | instid1(VALU_DEP_1)
	v_fma_f64 v[2:3], -v[2:3], v[11:12], v[9:10]
	v_div_fmas_f64 v[2:3], v[2:3], v[7:8], v[11:12]
	s_delay_alu instid0(VALU_DEP_1) | instskip(NEXT) | instid1(VALU_DEP_1)
	v_div_fixup_f64 v[0:1], v[2:3], v[0:1], 1.0
	v_mul_f64 v[2:3], v[5:6], -v[0:1]
.LBB120_61:
	s_or_b32 exec_lo, exec_lo, s2
.LBB120_62:
	s_delay_alu instid0(SALU_CYCLE_1) | instskip(NEXT) | instid1(SALU_CYCLE_1)
	s_or_b32 exec_lo, exec_lo, s3
	s_mov_b32 s2, exec_lo
	v_cmpx_ne_u32_e64 v38, v4
	s_xor_b32 s2, exec_lo, s2
	s_cbranch_execz .LBB120_68
; %bb.63:
	s_mov_b32 s3, exec_lo
	v_cmpx_eq_u32_e32 2, v38
	s_cbranch_execz .LBB120_67
; %bb.64:
	v_cmp_ne_u32_e32 vcc_lo, 2, v4
	s_xor_b32 s6, s4, -1
	s_delay_alu instid0(SALU_CYCLE_1) | instskip(NEXT) | instid1(SALU_CYCLE_1)
	s_and_b32 s7, s6, vcc_lo
	s_and_saveexec_b32 s6, s7
	s_cbranch_execz .LBB120_66
; %bb.65:
	v_ashrrev_i32_e32 v5, 31, v4
	s_delay_alu instid0(VALU_DEP_1) | instskip(NEXT) | instid1(VALU_DEP_1)
	v_lshlrev_b64 v[5:6], 2, v[4:5]
	v_add_co_u32 v5, vcc_lo, v18, v5
	s_delay_alu instid0(VALU_DEP_2)
	v_add_co_ci_u32_e32 v6, vcc_lo, v19, v6, vcc_lo
	s_clause 0x1
	flat_load_b32 v7, v[5:6]
	flat_load_b32 v8, v[18:19] offset:8
	s_waitcnt vmcnt(1) lgkmcnt(1)
	flat_store_b32 v[18:19], v7 offset:8
	s_waitcnt vmcnt(0) lgkmcnt(1)
	flat_store_b32 v[5:6], v8
.LBB120_66:
	s_or_b32 exec_lo, exec_lo, s6
	v_mov_b32_e32 v38, v4
	v_mov_b32_e32 v37, v4
.LBB120_67:
	s_or_b32 exec_lo, exec_lo, s3
.LBB120_68:
	s_and_not1_saveexec_b32 s2, s2
	s_cbranch_execz .LBB120_72
; %bb.69:
	v_add3_u32 v4, v36, 0, 48
	s_mov_b32 s3, 0
.LBB120_70:                             ; =>This Inner Loop Header: Depth=1
	s_delay_alu instid0(SALU_CYCLE_1) | instskip(NEXT) | instid1(VALU_DEP_2)
	v_add_nc_u32_e64 v5, s3, 0
	v_add_nc_u32_e32 v13, s3, v4
	s_add_i32 s3, s3, 32
	s_delay_alu instid0(SALU_CYCLE_1) | instskip(NEXT) | instid1(VALU_DEP_2)
	s_cmpk_eq_i32 s3, 0x3a0
	v_add_nc_u32_e32 v6, 48, v5
	v_add_nc_u32_e32 v9, 64, v5
	s_clause 0x1
	scratch_load_b128 v[5:8], v6, off
	scratch_load_b128 v[9:12], v9, off
	s_waitcnt vmcnt(1)
	ds_store_2addr_b64 v13, v[5:6], v[7:8] offset1:1
	s_waitcnt vmcnt(0)
	ds_store_2addr_b64 v13, v[9:10], v[11:12] offset0:2 offset1:3
	s_cbranch_scc0 .LBB120_70
; %bb.71:
	v_mov_b32_e32 v38, 2
.LBB120_72:
	s_or_b32 exec_lo, exec_lo, s2
	s_delay_alu instid0(SALU_CYCLE_1)
	s_mov_b32 s2, exec_lo
	s_waitcnt lgkmcnt(0)
	s_waitcnt_vscnt null, 0x0
	s_barrier
	buffer_gl0_inv
	v_cmpx_lt_i32_e32 2, v38
	s_cbranch_execz .LBB120_75
; %bb.73:
	scratch_load_b128 v[4:7], off, off offset:32
	s_mov_b32 s3, 0
	s_waitcnt vmcnt(0)
	v_mul_f64 v[8:9], v[2:3], v[6:7]
	v_mul_f64 v[6:7], v[0:1], v[6:7]
	s_delay_alu instid0(VALU_DEP_2) | instskip(NEXT) | instid1(VALU_DEP_2)
	v_fma_f64 v[0:1], v[0:1], v[4:5], -v[8:9]
	v_fma_f64 v[2:3], v[2:3], v[4:5], v[6:7]
	v_add3_u32 v4, v36, 0, 48
	scratch_store_b128 off, v[0:3], off offset:32
	s_set_inst_prefetch_distance 0x1
	.p2align	6
.LBB120_74:                             ; =>This Inner Loop Header: Depth=1
	v_add_nc_u32_e64 v5, s3, 0
	v_add_nc_u32_e32 v13, s3, v4
	s_add_i32 s3, s3, 32
	s_delay_alu instid0(SALU_CYCLE_1) | instskip(NEXT) | instid1(VALU_DEP_2)
	s_cmpk_lg_i32 s3, 0x3a0
	v_add_nc_u32_e32 v15, 48, v5
	v_add_nc_u32_e32 v39, 64, v5
	s_clause 0x1
	scratch_load_b128 v[5:8], v15, off
	scratch_load_b128 v[9:12], v39, off
	ds_load_2addr_b64 v[41:44], v13 offset1:1
	ds_load_2addr_b64 v[45:48], v13 offset0:2 offset1:3
	s_waitcnt lgkmcnt(1)
	v_mul_f64 v[13:14], v[43:44], v[2:3]
	v_mul_f64 v[49:50], v[41:42], v[2:3]
	s_waitcnt lgkmcnt(0)
	v_mul_f64 v[53:54], v[47:48], v[2:3]
	v_mul_f64 v[57:58], v[45:46], v[2:3]
	s_delay_alu instid0(VALU_DEP_4) | instskip(NEXT) | instid1(VALU_DEP_4)
	v_fma_f64 v[13:14], v[41:42], v[0:1], -v[13:14]
	v_fma_f64 v[41:42], v[43:44], v[0:1], v[49:50]
	s_delay_alu instid0(VALU_DEP_4) | instskip(NEXT) | instid1(VALU_DEP_4)
	v_fma_f64 v[43:44], v[45:46], v[0:1], -v[53:54]
	v_fma_f64 v[45:46], v[47:48], v[0:1], v[57:58]
	s_waitcnt vmcnt(1)
	s_delay_alu instid0(VALU_DEP_4) | instskip(NEXT) | instid1(VALU_DEP_4)
	v_add_f64 v[5:6], v[5:6], -v[13:14]
	v_add_f64 v[7:8], v[7:8], -v[41:42]
	s_waitcnt vmcnt(0)
	s_delay_alu instid0(VALU_DEP_4) | instskip(NEXT) | instid1(VALU_DEP_4)
	v_add_f64 v[9:10], v[9:10], -v[43:44]
	v_add_f64 v[11:12], v[11:12], -v[45:46]
	s_clause 0x1
	scratch_store_b128 v15, v[5:8], off
	scratch_store_b128 v39, v[9:12], off
	s_cbranch_scc1 .LBB120_74
.LBB120_75:
	s_set_inst_prefetch_distance 0x2
	s_or_b32 exec_lo, exec_lo, s2
	s_waitcnt_vscnt null, 0x0
	s_barrier
	buffer_gl0_inv
	scratch_load_b128 v[0:3], v29, off
	v_lshl_add_u32 v4, v38, 4, v20
	s_cmp_lt_i32 s5, 5
	s_mov_b32 s6, 4
	s_waitcnt vmcnt(0)
	ds_store_2addr_b64 v4, v[0:1], v[2:3] offset1:1
	s_waitcnt lgkmcnt(0)
	s_barrier
	buffer_gl0_inv
	ds_load_2addr_b64 v[0:3], v20 offset0:6 offset1:7
	v_mov_b32_e32 v4, 3
	s_cbranch_scc1 .LBB120_78
; %bb.76:
	v_add3_u32 v5, v36, 0, 64
	v_mov_b32_e32 v4, 3
	s_set_inst_prefetch_distance 0x1
	.p2align	6
.LBB120_77:                             ; =>This Inner Loop Header: Depth=1
	ds_load_2addr_b64 v[6:9], v5 offset1:1
	s_waitcnt lgkmcnt(1)
	v_cmp_gt_f64_e32 vcc_lo, 0, v[0:1]
	v_xor_b32_e32 v10, 0x80000000, v1
	v_cmp_gt_f64_e64 s2, 0, v[2:3]
	v_xor_b32_e32 v12, 0x80000000, v3
	v_add_nc_u32_e32 v5, 16, v5
	s_waitcnt lgkmcnt(0)
	v_cmp_gt_f64_e64 s3, 0, v[6:7]
	v_dual_mov_b32 v41, v8 :: v_dual_mov_b32 v14, v6
	v_cndmask_b32_e32 v11, v1, v10, vcc_lo
	v_xor_b32_e32 v10, 0x80000000, v7
	v_cndmask_b32_e64 v13, v3, v12, s2
	v_xor_b32_e32 v12, 0x80000000, v9
	s_delay_alu instid0(VALU_DEP_3) | instskip(SKIP_2) | instid1(VALU_DEP_2)
	v_cndmask_b32_e64 v15, v7, v10, s3
	v_cmp_gt_f64_e64 s3, 0, v[8:9]
	v_cndmask_b32_e32 v10, v0, v0, vcc_lo
	v_cndmask_b32_e64 v42, v9, v12, s3
	v_cndmask_b32_e64 v12, v2, v2, s2
	s_delay_alu instid0(VALU_DEP_2) | instskip(NEXT) | instid1(VALU_DEP_2)
	v_add_f64 v[14:15], v[14:15], v[41:42]
	v_add_f64 v[10:11], v[10:11], v[12:13]
	s_delay_alu instid0(VALU_DEP_1) | instskip(SKIP_4) | instid1(SALU_CYCLE_1)
	v_cmp_lt_f64_e32 vcc_lo, v[10:11], v[14:15]
	v_dual_cndmask_b32 v1, v1, v7 :: v_dual_cndmask_b32 v0, v0, v6
	v_dual_cndmask_b32 v3, v3, v9 :: v_dual_cndmask_b32 v2, v2, v8
	v_cndmask_b32_e64 v4, v4, s6, vcc_lo
	s_add_i32 s6, s6, 1
	s_cmp_lg_u32 s5, s6
	s_cbranch_scc1 .LBB120_77
.LBB120_78:
	s_set_inst_prefetch_distance 0x2
	s_waitcnt lgkmcnt(0)
	v_cmp_eq_f64_e32 vcc_lo, 0, v[0:1]
	v_cmp_eq_f64_e64 s2, 0, v[2:3]
	s_delay_alu instid0(VALU_DEP_1) | instskip(NEXT) | instid1(SALU_CYCLE_1)
	s_and_b32 s2, vcc_lo, s2
	s_and_saveexec_b32 s3, s2
	s_delay_alu instid0(SALU_CYCLE_1)
	s_xor_b32 s2, exec_lo, s3
; %bb.79:
	v_cmp_ne_u32_e32 vcc_lo, 0, v35
	v_cndmask_b32_e32 v35, 4, v35, vcc_lo
; %bb.80:
	s_and_not1_saveexec_b32 s3, s2
	s_cbranch_execz .LBB120_86
; %bb.81:
	v_cmp_gt_f64_e32 vcc_lo, 0, v[0:1]
	v_cmp_gt_f64_e64 s2, 0, v[2:3]
	v_xor_b32_e32 v5, 0x80000000, v1
	v_xor_b32_e32 v7, 0x80000000, v3
	s_delay_alu instid0(VALU_DEP_2) | instskip(NEXT) | instid1(VALU_DEP_2)
	v_dual_cndmask_b32 v6, v1, v5 :: v_dual_cndmask_b32 v5, v0, v0
	v_cndmask_b32_e64 v8, v3, v7, s2
	v_cndmask_b32_e64 v7, v2, v2, s2
	s_mov_b32 s2, exec_lo
	s_delay_alu instid0(VALU_DEP_1)
	v_cmpx_ngt_f64_e32 v[5:6], v[7:8]
	s_xor_b32 s2, exec_lo, s2
	s_cbranch_execz .LBB120_83
; %bb.82:
	v_div_scale_f64 v[5:6], null, v[2:3], v[2:3], v[0:1]
	v_div_scale_f64 v[11:12], vcc_lo, v[0:1], v[2:3], v[0:1]
	s_delay_alu instid0(VALU_DEP_2) | instskip(SKIP_2) | instid1(VALU_DEP_1)
	v_rcp_f64_e32 v[7:8], v[5:6]
	s_waitcnt_depctr 0xfff
	v_fma_f64 v[9:10], -v[5:6], v[7:8], 1.0
	v_fma_f64 v[7:8], v[7:8], v[9:10], v[7:8]
	s_delay_alu instid0(VALU_DEP_1) | instskip(NEXT) | instid1(VALU_DEP_1)
	v_fma_f64 v[9:10], -v[5:6], v[7:8], 1.0
	v_fma_f64 v[7:8], v[7:8], v[9:10], v[7:8]
	s_delay_alu instid0(VALU_DEP_1) | instskip(NEXT) | instid1(VALU_DEP_1)
	v_mul_f64 v[9:10], v[11:12], v[7:8]
	v_fma_f64 v[5:6], -v[5:6], v[9:10], v[11:12]
	s_delay_alu instid0(VALU_DEP_1) | instskip(NEXT) | instid1(VALU_DEP_1)
	v_div_fmas_f64 v[5:6], v[5:6], v[7:8], v[9:10]
	v_div_fixup_f64 v[5:6], v[5:6], v[2:3], v[0:1]
	s_delay_alu instid0(VALU_DEP_1) | instskip(NEXT) | instid1(VALU_DEP_1)
	v_fma_f64 v[0:1], v[0:1], v[5:6], v[2:3]
	v_div_scale_f64 v[2:3], null, v[0:1], v[0:1], 1.0
	s_delay_alu instid0(VALU_DEP_1) | instskip(SKIP_2) | instid1(VALU_DEP_1)
	v_rcp_f64_e32 v[7:8], v[2:3]
	s_waitcnt_depctr 0xfff
	v_fma_f64 v[9:10], -v[2:3], v[7:8], 1.0
	v_fma_f64 v[7:8], v[7:8], v[9:10], v[7:8]
	s_delay_alu instid0(VALU_DEP_1) | instskip(NEXT) | instid1(VALU_DEP_1)
	v_fma_f64 v[9:10], -v[2:3], v[7:8], 1.0
	v_fma_f64 v[7:8], v[7:8], v[9:10], v[7:8]
	v_div_scale_f64 v[9:10], vcc_lo, 1.0, v[0:1], 1.0
	s_delay_alu instid0(VALU_DEP_1) | instskip(NEXT) | instid1(VALU_DEP_1)
	v_mul_f64 v[11:12], v[9:10], v[7:8]
	v_fma_f64 v[2:3], -v[2:3], v[11:12], v[9:10]
	s_delay_alu instid0(VALU_DEP_1) | instskip(NEXT) | instid1(VALU_DEP_1)
	v_div_fmas_f64 v[2:3], v[2:3], v[7:8], v[11:12]
	v_div_fixup_f64 v[2:3], v[2:3], v[0:1], 1.0
	s_delay_alu instid0(VALU_DEP_1)
	v_mul_f64 v[0:1], v[5:6], v[2:3]
	v_xor_b32_e32 v3, 0x80000000, v3
.LBB120_83:
	s_and_not1_saveexec_b32 s2, s2
	s_cbranch_execz .LBB120_85
; %bb.84:
	s_delay_alu instid0(VALU_DEP_1) | instskip(SKIP_1) | instid1(VALU_DEP_2)
	v_div_scale_f64 v[5:6], null, v[0:1], v[0:1], v[2:3]
	v_div_scale_f64 v[11:12], vcc_lo, v[2:3], v[0:1], v[2:3]
	v_rcp_f64_e32 v[7:8], v[5:6]
	s_waitcnt_depctr 0xfff
	v_fma_f64 v[9:10], -v[5:6], v[7:8], 1.0
	s_delay_alu instid0(VALU_DEP_1) | instskip(NEXT) | instid1(VALU_DEP_1)
	v_fma_f64 v[7:8], v[7:8], v[9:10], v[7:8]
	v_fma_f64 v[9:10], -v[5:6], v[7:8], 1.0
	s_delay_alu instid0(VALU_DEP_1) | instskip(NEXT) | instid1(VALU_DEP_1)
	v_fma_f64 v[7:8], v[7:8], v[9:10], v[7:8]
	v_mul_f64 v[9:10], v[11:12], v[7:8]
	s_delay_alu instid0(VALU_DEP_1) | instskip(NEXT) | instid1(VALU_DEP_1)
	v_fma_f64 v[5:6], -v[5:6], v[9:10], v[11:12]
	v_div_fmas_f64 v[5:6], v[5:6], v[7:8], v[9:10]
	s_delay_alu instid0(VALU_DEP_1) | instskip(NEXT) | instid1(VALU_DEP_1)
	v_div_fixup_f64 v[5:6], v[5:6], v[0:1], v[2:3]
	v_fma_f64 v[0:1], v[2:3], v[5:6], v[0:1]
	s_delay_alu instid0(VALU_DEP_1) | instskip(NEXT) | instid1(VALU_DEP_1)
	v_div_scale_f64 v[2:3], null, v[0:1], v[0:1], 1.0
	v_rcp_f64_e32 v[7:8], v[2:3]
	s_waitcnt_depctr 0xfff
	v_fma_f64 v[9:10], -v[2:3], v[7:8], 1.0
	s_delay_alu instid0(VALU_DEP_1) | instskip(NEXT) | instid1(VALU_DEP_1)
	v_fma_f64 v[7:8], v[7:8], v[9:10], v[7:8]
	v_fma_f64 v[9:10], -v[2:3], v[7:8], 1.0
	s_delay_alu instid0(VALU_DEP_1) | instskip(SKIP_1) | instid1(VALU_DEP_1)
	v_fma_f64 v[7:8], v[7:8], v[9:10], v[7:8]
	v_div_scale_f64 v[9:10], vcc_lo, 1.0, v[0:1], 1.0
	v_mul_f64 v[11:12], v[9:10], v[7:8]
	s_delay_alu instid0(VALU_DEP_1) | instskip(NEXT) | instid1(VALU_DEP_1)
	v_fma_f64 v[2:3], -v[2:3], v[11:12], v[9:10]
	v_div_fmas_f64 v[2:3], v[2:3], v[7:8], v[11:12]
	s_delay_alu instid0(VALU_DEP_1) | instskip(NEXT) | instid1(VALU_DEP_1)
	v_div_fixup_f64 v[0:1], v[2:3], v[0:1], 1.0
	v_mul_f64 v[2:3], v[5:6], -v[0:1]
.LBB120_85:
	s_or_b32 exec_lo, exec_lo, s2
.LBB120_86:
	s_delay_alu instid0(SALU_CYCLE_1) | instskip(NEXT) | instid1(SALU_CYCLE_1)
	s_or_b32 exec_lo, exec_lo, s3
	s_mov_b32 s2, exec_lo
	v_cmpx_ne_u32_e64 v38, v4
	s_xor_b32 s2, exec_lo, s2
	s_cbranch_execz .LBB120_92
; %bb.87:
	s_mov_b32 s3, exec_lo
	v_cmpx_eq_u32_e32 3, v38
	s_cbranch_execz .LBB120_91
; %bb.88:
	v_cmp_ne_u32_e32 vcc_lo, 3, v4
	s_xor_b32 s6, s4, -1
	s_delay_alu instid0(SALU_CYCLE_1) | instskip(NEXT) | instid1(SALU_CYCLE_1)
	s_and_b32 s7, s6, vcc_lo
	s_and_saveexec_b32 s6, s7
	s_cbranch_execz .LBB120_90
; %bb.89:
	v_ashrrev_i32_e32 v5, 31, v4
	s_delay_alu instid0(VALU_DEP_1) | instskip(NEXT) | instid1(VALU_DEP_1)
	v_lshlrev_b64 v[5:6], 2, v[4:5]
	v_add_co_u32 v5, vcc_lo, v18, v5
	s_delay_alu instid0(VALU_DEP_2)
	v_add_co_ci_u32_e32 v6, vcc_lo, v19, v6, vcc_lo
	s_clause 0x1
	flat_load_b32 v7, v[5:6]
	flat_load_b32 v8, v[18:19] offset:12
	s_waitcnt vmcnt(1) lgkmcnt(1)
	flat_store_b32 v[18:19], v7 offset:12
	s_waitcnt vmcnt(0) lgkmcnt(1)
	flat_store_b32 v[5:6], v8
.LBB120_90:
	s_or_b32 exec_lo, exec_lo, s6
	v_mov_b32_e32 v38, v4
	v_mov_b32_e32 v37, v4
.LBB120_91:
	s_or_b32 exec_lo, exec_lo, s3
.LBB120_92:
	s_and_not1_saveexec_b32 s2, s2
	s_cbranch_execz .LBB120_96
; %bb.93:
	v_add3_u32 v4, v36, 0, 64
	v_mov_b32_e32 v5, 0
	s_mov_b32 s3, 0
	.p2align	6
.LBB120_94:                             ; =>This Inner Loop Header: Depth=1
	s_delay_alu instid0(VALU_DEP_1) | instskip(NEXT) | instid1(VALU_DEP_3)
	v_readfirstlane_b32 s6, v5
	v_add_nc_u32_e32 v14, s3, v4
	s_delay_alu instid0(VALU_DEP_2)
	s_add_i32 s6, s6, s3
	s_add_i32 s3, s3, 48
	;; [unrolled: 1-line block ×4, first 2 shown]
	s_addk_i32 s6, 0x60
	s_clause 0x2
	scratch_load_b128 v[6:9], off, s7
	scratch_load_b128 v[10:13], off, s9
	;; [unrolled: 1-line block ×3, first 2 shown]
	s_cmpk_eq_i32 s3, 0x390
	s_waitcnt vmcnt(2)
	ds_store_2addr_b64 v14, v[6:7], v[8:9] offset1:1
	s_waitcnt vmcnt(1)
	ds_store_2addr_b64 v14, v[10:11], v[12:13] offset0:2 offset1:3
	s_waitcnt vmcnt(0)
	ds_store_2addr_b64 v14, v[41:42], v[43:44] offset0:4 offset1:5
	s_cbranch_scc0 .LBB120_94
; %bb.95:
	v_mov_b32_e32 v38, 3
.LBB120_96:
	s_or_b32 exec_lo, exec_lo, s2
	s_delay_alu instid0(SALU_CYCLE_1)
	s_mov_b32 s2, exec_lo
	s_waitcnt lgkmcnt(0)
	s_waitcnt_vscnt null, 0x0
	s_barrier
	buffer_gl0_inv
	v_cmpx_lt_i32_e32 3, v38
	s_cbranch_execz .LBB120_99
; %bb.97:
	scratch_load_b128 v[4:7], off, off offset:48
	s_mov_b32 s3, 0
	s_waitcnt vmcnt(0)
	v_mul_f64 v[8:9], v[2:3], v[6:7]
	v_mul_f64 v[6:7], v[0:1], v[6:7]
	s_delay_alu instid0(VALU_DEP_2) | instskip(NEXT) | instid1(VALU_DEP_2)
	v_fma_f64 v[0:1], v[0:1], v[4:5], -v[8:9]
	v_fma_f64 v[2:3], v[2:3], v[4:5], v[6:7]
	v_add3_u32 v4, v36, 0, 64
	v_mov_b32_e32 v5, 0
	scratch_store_b128 off, v[0:3], off offset:48
.LBB120_98:                             ; =>This Inner Loop Header: Depth=1
	v_readfirstlane_b32 s6, v5
	v_add_nc_u32_e32 v14, s3, v4
	s_delay_alu instid0(VALU_DEP_2)
	s_add_i32 s6, s6, s3
	s_add_i32 s3, s3, 48
	;; [unrolled: 1-line block ×4, first 2 shown]
	s_addk_i32 s6, 0x60
	s_clause 0x2
	scratch_load_b128 v[6:9], off, s7
	scratch_load_b128 v[10:13], off, s9
	;; [unrolled: 1-line block ×3, first 2 shown]
	ds_load_2addr_b64 v[45:48], v14 offset1:1
	ds_load_2addr_b64 v[57:60], v14 offset0:2 offset1:3
	ds_load_2addr_b64 v[61:64], v14 offset0:4 offset1:5
	s_cmpk_lg_i32 s3, 0x390
	s_waitcnt lgkmcnt(2)
	v_mul_f64 v[14:15], v[47:48], v[2:3]
	v_mul_f64 v[49:50], v[45:46], v[2:3]
	s_waitcnt lgkmcnt(1)
	v_mul_f64 v[53:54], v[59:60], v[2:3]
	v_mul_f64 v[65:66], v[57:58], v[2:3]
	;; [unrolled: 3-line block ×3, first 2 shown]
	v_fma_f64 v[14:15], v[45:46], v[0:1], -v[14:15]
	v_fma_f64 v[45:46], v[47:48], v[0:1], v[49:50]
	v_fma_f64 v[47:48], v[57:58], v[0:1], -v[53:54]
	v_fma_f64 v[49:50], v[59:60], v[0:1], v[65:66]
	;; [unrolled: 2-line block ×3, first 2 shown]
	s_waitcnt vmcnt(2)
	v_add_f64 v[6:7], v[6:7], -v[14:15]
	v_add_f64 v[8:9], v[8:9], -v[45:46]
	s_waitcnt vmcnt(1)
	v_add_f64 v[10:11], v[10:11], -v[47:48]
	v_add_f64 v[12:13], v[12:13], -v[49:50]
	;; [unrolled: 3-line block ×3, first 2 shown]
	s_clause 0x2
	scratch_store_b128 off, v[6:9], s7
	scratch_store_b128 off, v[10:13], s9
	;; [unrolled: 1-line block ×3, first 2 shown]
	s_cbranch_scc1 .LBB120_98
.LBB120_99:
	s_or_b32 exec_lo, exec_lo, s2
	s_waitcnt_vscnt null, 0x0
	s_barrier
	buffer_gl0_inv
	scratch_load_b128 v[0:3], v28, off
	v_lshl_add_u32 v4, v38, 4, v20
	s_cmp_lt_i32 s5, 6
	s_waitcnt vmcnt(0)
	ds_store_2addr_b64 v4, v[0:1], v[2:3] offset1:1
	s_waitcnt lgkmcnt(0)
	s_barrier
	buffer_gl0_inv
	ds_load_2addr_b64 v[0:3], v20 offset0:8 offset1:9
	v_mov_b32_e32 v4, 4
	s_cbranch_scc1 .LBB120_102
; %bb.100:
	v_add3_u32 v5, v36, 0, 0x50
	v_mov_b32_e32 v4, 4
	s_mov_b32 s6, 5
	s_set_inst_prefetch_distance 0x1
	.p2align	6
.LBB120_101:                            ; =>This Inner Loop Header: Depth=1
	ds_load_2addr_b64 v[6:9], v5 offset1:1
	s_waitcnt lgkmcnt(1)
	v_cmp_gt_f64_e32 vcc_lo, 0, v[0:1]
	v_xor_b32_e32 v10, 0x80000000, v1
	v_cmp_gt_f64_e64 s2, 0, v[2:3]
	v_xor_b32_e32 v12, 0x80000000, v3
	v_add_nc_u32_e32 v5, 16, v5
	s_waitcnt lgkmcnt(0)
	v_cmp_gt_f64_e64 s3, 0, v[6:7]
	v_dual_mov_b32 v41, v8 :: v_dual_mov_b32 v14, v6
	v_cndmask_b32_e32 v11, v1, v10, vcc_lo
	v_xor_b32_e32 v10, 0x80000000, v7
	v_cndmask_b32_e64 v13, v3, v12, s2
	v_xor_b32_e32 v12, 0x80000000, v9
	s_delay_alu instid0(VALU_DEP_3) | instskip(SKIP_2) | instid1(VALU_DEP_2)
	v_cndmask_b32_e64 v15, v7, v10, s3
	v_cmp_gt_f64_e64 s3, 0, v[8:9]
	v_cndmask_b32_e32 v10, v0, v0, vcc_lo
	v_cndmask_b32_e64 v42, v9, v12, s3
	v_cndmask_b32_e64 v12, v2, v2, s2
	s_delay_alu instid0(VALU_DEP_2) | instskip(NEXT) | instid1(VALU_DEP_2)
	v_add_f64 v[14:15], v[14:15], v[41:42]
	v_add_f64 v[10:11], v[10:11], v[12:13]
	s_delay_alu instid0(VALU_DEP_1) | instskip(SKIP_4) | instid1(SALU_CYCLE_1)
	v_cmp_lt_f64_e32 vcc_lo, v[10:11], v[14:15]
	v_dual_cndmask_b32 v1, v1, v7 :: v_dual_cndmask_b32 v0, v0, v6
	v_dual_cndmask_b32 v3, v3, v9 :: v_dual_cndmask_b32 v2, v2, v8
	v_cndmask_b32_e64 v4, v4, s6, vcc_lo
	s_add_i32 s6, s6, 1
	s_cmp_lg_u32 s5, s6
	s_cbranch_scc1 .LBB120_101
.LBB120_102:
	s_set_inst_prefetch_distance 0x2
	s_waitcnt lgkmcnt(0)
	v_cmp_eq_f64_e32 vcc_lo, 0, v[0:1]
	v_cmp_eq_f64_e64 s2, 0, v[2:3]
	s_delay_alu instid0(VALU_DEP_1) | instskip(NEXT) | instid1(SALU_CYCLE_1)
	s_and_b32 s2, vcc_lo, s2
	s_and_saveexec_b32 s3, s2
	s_delay_alu instid0(SALU_CYCLE_1)
	s_xor_b32 s2, exec_lo, s3
; %bb.103:
	v_cmp_ne_u32_e32 vcc_lo, 0, v35
	v_cndmask_b32_e32 v35, 5, v35, vcc_lo
; %bb.104:
	s_and_not1_saveexec_b32 s3, s2
	s_cbranch_execz .LBB120_110
; %bb.105:
	v_cmp_gt_f64_e32 vcc_lo, 0, v[0:1]
	v_cmp_gt_f64_e64 s2, 0, v[2:3]
	v_xor_b32_e32 v5, 0x80000000, v1
	v_xor_b32_e32 v7, 0x80000000, v3
	s_delay_alu instid0(VALU_DEP_2) | instskip(NEXT) | instid1(VALU_DEP_2)
	v_dual_cndmask_b32 v6, v1, v5 :: v_dual_cndmask_b32 v5, v0, v0
	v_cndmask_b32_e64 v8, v3, v7, s2
	v_cndmask_b32_e64 v7, v2, v2, s2
	s_mov_b32 s2, exec_lo
	s_delay_alu instid0(VALU_DEP_1)
	v_cmpx_ngt_f64_e32 v[5:6], v[7:8]
	s_xor_b32 s2, exec_lo, s2
	s_cbranch_execz .LBB120_107
; %bb.106:
	v_div_scale_f64 v[5:6], null, v[2:3], v[2:3], v[0:1]
	v_div_scale_f64 v[11:12], vcc_lo, v[0:1], v[2:3], v[0:1]
	s_delay_alu instid0(VALU_DEP_2) | instskip(SKIP_2) | instid1(VALU_DEP_1)
	v_rcp_f64_e32 v[7:8], v[5:6]
	s_waitcnt_depctr 0xfff
	v_fma_f64 v[9:10], -v[5:6], v[7:8], 1.0
	v_fma_f64 v[7:8], v[7:8], v[9:10], v[7:8]
	s_delay_alu instid0(VALU_DEP_1) | instskip(NEXT) | instid1(VALU_DEP_1)
	v_fma_f64 v[9:10], -v[5:6], v[7:8], 1.0
	v_fma_f64 v[7:8], v[7:8], v[9:10], v[7:8]
	s_delay_alu instid0(VALU_DEP_1) | instskip(NEXT) | instid1(VALU_DEP_1)
	v_mul_f64 v[9:10], v[11:12], v[7:8]
	v_fma_f64 v[5:6], -v[5:6], v[9:10], v[11:12]
	s_delay_alu instid0(VALU_DEP_1) | instskip(NEXT) | instid1(VALU_DEP_1)
	v_div_fmas_f64 v[5:6], v[5:6], v[7:8], v[9:10]
	v_div_fixup_f64 v[5:6], v[5:6], v[2:3], v[0:1]
	s_delay_alu instid0(VALU_DEP_1) | instskip(NEXT) | instid1(VALU_DEP_1)
	v_fma_f64 v[0:1], v[0:1], v[5:6], v[2:3]
	v_div_scale_f64 v[2:3], null, v[0:1], v[0:1], 1.0
	s_delay_alu instid0(VALU_DEP_1) | instskip(SKIP_2) | instid1(VALU_DEP_1)
	v_rcp_f64_e32 v[7:8], v[2:3]
	s_waitcnt_depctr 0xfff
	v_fma_f64 v[9:10], -v[2:3], v[7:8], 1.0
	v_fma_f64 v[7:8], v[7:8], v[9:10], v[7:8]
	s_delay_alu instid0(VALU_DEP_1) | instskip(NEXT) | instid1(VALU_DEP_1)
	v_fma_f64 v[9:10], -v[2:3], v[7:8], 1.0
	v_fma_f64 v[7:8], v[7:8], v[9:10], v[7:8]
	v_div_scale_f64 v[9:10], vcc_lo, 1.0, v[0:1], 1.0
	s_delay_alu instid0(VALU_DEP_1) | instskip(NEXT) | instid1(VALU_DEP_1)
	v_mul_f64 v[11:12], v[9:10], v[7:8]
	v_fma_f64 v[2:3], -v[2:3], v[11:12], v[9:10]
	s_delay_alu instid0(VALU_DEP_1) | instskip(NEXT) | instid1(VALU_DEP_1)
	v_div_fmas_f64 v[2:3], v[2:3], v[7:8], v[11:12]
	v_div_fixup_f64 v[2:3], v[2:3], v[0:1], 1.0
	s_delay_alu instid0(VALU_DEP_1)
	v_mul_f64 v[0:1], v[5:6], v[2:3]
	v_xor_b32_e32 v3, 0x80000000, v3
.LBB120_107:
	s_and_not1_saveexec_b32 s2, s2
	s_cbranch_execz .LBB120_109
; %bb.108:
	s_delay_alu instid0(VALU_DEP_1) | instskip(SKIP_1) | instid1(VALU_DEP_2)
	v_div_scale_f64 v[5:6], null, v[0:1], v[0:1], v[2:3]
	v_div_scale_f64 v[11:12], vcc_lo, v[2:3], v[0:1], v[2:3]
	v_rcp_f64_e32 v[7:8], v[5:6]
	s_waitcnt_depctr 0xfff
	v_fma_f64 v[9:10], -v[5:6], v[7:8], 1.0
	s_delay_alu instid0(VALU_DEP_1) | instskip(NEXT) | instid1(VALU_DEP_1)
	v_fma_f64 v[7:8], v[7:8], v[9:10], v[7:8]
	v_fma_f64 v[9:10], -v[5:6], v[7:8], 1.0
	s_delay_alu instid0(VALU_DEP_1) | instskip(NEXT) | instid1(VALU_DEP_1)
	v_fma_f64 v[7:8], v[7:8], v[9:10], v[7:8]
	v_mul_f64 v[9:10], v[11:12], v[7:8]
	s_delay_alu instid0(VALU_DEP_1) | instskip(NEXT) | instid1(VALU_DEP_1)
	v_fma_f64 v[5:6], -v[5:6], v[9:10], v[11:12]
	v_div_fmas_f64 v[5:6], v[5:6], v[7:8], v[9:10]
	s_delay_alu instid0(VALU_DEP_1) | instskip(NEXT) | instid1(VALU_DEP_1)
	v_div_fixup_f64 v[5:6], v[5:6], v[0:1], v[2:3]
	v_fma_f64 v[0:1], v[2:3], v[5:6], v[0:1]
	s_delay_alu instid0(VALU_DEP_1) | instskip(NEXT) | instid1(VALU_DEP_1)
	v_div_scale_f64 v[2:3], null, v[0:1], v[0:1], 1.0
	v_rcp_f64_e32 v[7:8], v[2:3]
	s_waitcnt_depctr 0xfff
	v_fma_f64 v[9:10], -v[2:3], v[7:8], 1.0
	s_delay_alu instid0(VALU_DEP_1) | instskip(NEXT) | instid1(VALU_DEP_1)
	v_fma_f64 v[7:8], v[7:8], v[9:10], v[7:8]
	v_fma_f64 v[9:10], -v[2:3], v[7:8], 1.0
	s_delay_alu instid0(VALU_DEP_1) | instskip(SKIP_1) | instid1(VALU_DEP_1)
	v_fma_f64 v[7:8], v[7:8], v[9:10], v[7:8]
	v_div_scale_f64 v[9:10], vcc_lo, 1.0, v[0:1], 1.0
	v_mul_f64 v[11:12], v[9:10], v[7:8]
	s_delay_alu instid0(VALU_DEP_1) | instskip(NEXT) | instid1(VALU_DEP_1)
	v_fma_f64 v[2:3], -v[2:3], v[11:12], v[9:10]
	v_div_fmas_f64 v[2:3], v[2:3], v[7:8], v[11:12]
	s_delay_alu instid0(VALU_DEP_1) | instskip(NEXT) | instid1(VALU_DEP_1)
	v_div_fixup_f64 v[0:1], v[2:3], v[0:1], 1.0
	v_mul_f64 v[2:3], v[5:6], -v[0:1]
.LBB120_109:
	s_or_b32 exec_lo, exec_lo, s2
.LBB120_110:
	s_delay_alu instid0(SALU_CYCLE_1) | instskip(NEXT) | instid1(SALU_CYCLE_1)
	s_or_b32 exec_lo, exec_lo, s3
	s_mov_b32 s2, exec_lo
	v_cmpx_ne_u32_e64 v38, v4
	s_xor_b32 s2, exec_lo, s2
	s_cbranch_execz .LBB120_116
; %bb.111:
	s_mov_b32 s3, exec_lo
	v_cmpx_eq_u32_e32 4, v38
	s_cbranch_execz .LBB120_115
; %bb.112:
	v_cmp_ne_u32_e32 vcc_lo, 4, v4
	s_xor_b32 s6, s4, -1
	s_delay_alu instid0(SALU_CYCLE_1) | instskip(NEXT) | instid1(SALU_CYCLE_1)
	s_and_b32 s7, s6, vcc_lo
	s_and_saveexec_b32 s6, s7
	s_cbranch_execz .LBB120_114
; %bb.113:
	v_ashrrev_i32_e32 v5, 31, v4
	s_delay_alu instid0(VALU_DEP_1) | instskip(NEXT) | instid1(VALU_DEP_1)
	v_lshlrev_b64 v[5:6], 2, v[4:5]
	v_add_co_u32 v5, vcc_lo, v18, v5
	s_delay_alu instid0(VALU_DEP_2)
	v_add_co_ci_u32_e32 v6, vcc_lo, v19, v6, vcc_lo
	s_clause 0x1
	flat_load_b32 v7, v[5:6]
	flat_load_b32 v8, v[18:19] offset:16
	s_waitcnt vmcnt(1) lgkmcnt(1)
	flat_store_b32 v[18:19], v7 offset:16
	s_waitcnt vmcnt(0) lgkmcnt(1)
	flat_store_b32 v[5:6], v8
.LBB120_114:
	s_or_b32 exec_lo, exec_lo, s6
	v_mov_b32_e32 v38, v4
	v_mov_b32_e32 v37, v4
.LBB120_115:
	s_or_b32 exec_lo, exec_lo, s3
.LBB120_116:
	s_and_not1_saveexec_b32 s2, s2
	s_cbranch_execz .LBB120_120
; %bb.117:
	v_add3_u32 v4, v36, 0, 0x50
	v_mov_b32_e32 v5, 0
	s_mov_b32 s3, 0
.LBB120_118:                            ; =>This Inner Loop Header: Depth=1
	s_delay_alu instid0(VALU_DEP_1) | instskip(NEXT) | instid1(VALU_DEP_3)
	v_readfirstlane_b32 s6, v5
	v_add_nc_u32_e32 v14, s3, v4
	s_delay_alu instid0(VALU_DEP_2)
	s_add_i32 s6, s6, s3
	s_addk_i32 s3, 0xe0
	s_add_i32 s7, s6, 0x50
	s_add_i32 s9, s6, 0x60
	;; [unrolled: 1-line block ×13, first 2 shown]
	s_addk_i32 s6, 0x120
	s_clause 0xd
	scratch_load_b128 v[6:9], off, s7
	scratch_load_b128 v[10:13], off, s9
	;; [unrolled: 1-line block ×14, first 2 shown]
	s_cmpk_eq_i32 s3, 0x380
	s_waitcnt vmcnt(13)
	ds_store_2addr_b64 v14, v[6:7], v[8:9] offset1:1
	s_waitcnt vmcnt(12)
	ds_store_2addr_b64 v14, v[10:11], v[12:13] offset0:2 offset1:3
	s_waitcnt vmcnt(11)
	ds_store_2addr_b64 v14, v[41:42], v[43:44] offset0:4 offset1:5
	s_waitcnt vmcnt(10)
	ds_store_2addr_b64 v14, v[45:46], v[47:48] offset0:6 offset1:7
	s_waitcnt vmcnt(9)
	ds_store_2addr_b64 v14, v[57:58], v[59:60] offset0:8 offset1:9
	s_waitcnt vmcnt(8)
	ds_store_2addr_b64 v14, v[61:62], v[63:64] offset0:10 offset1:11
	s_waitcnt vmcnt(7)
	ds_store_2addr_b64 v14, v[73:74], v[75:76] offset0:12 offset1:13
	s_waitcnt vmcnt(6)
	ds_store_2addr_b64 v14, v[129:130], v[131:132] offset0:14 offset1:15
	s_waitcnt vmcnt(5)
	ds_store_2addr_b64 v14, v[164:165], v[166:167] offset0:16 offset1:17
	s_waitcnt vmcnt(4)
	ds_store_2addr_b64 v14, v[168:169], v[170:171] offset0:18 offset1:19
	s_waitcnt vmcnt(3)
	ds_store_2addr_b64 v14, v[172:173], v[174:175] offset0:20 offset1:21
	s_waitcnt vmcnt(2)
	ds_store_2addr_b64 v14, v[176:177], v[178:179] offset0:22 offset1:23
	s_waitcnt vmcnt(1)
	ds_store_2addr_b64 v14, v[180:181], v[182:183] offset0:24 offset1:25
	s_waitcnt vmcnt(0)
	ds_store_2addr_b64 v14, v[184:185], v[186:187] offset0:26 offset1:27
	s_cbranch_scc0 .LBB120_118
; %bb.119:
	v_mov_b32_e32 v38, 4
.LBB120_120:
	s_or_b32 exec_lo, exec_lo, s2
	s_delay_alu instid0(SALU_CYCLE_1)
	s_mov_b32 s2, exec_lo
	s_waitcnt lgkmcnt(0)
	s_waitcnt_vscnt null, 0x0
	s_barrier
	buffer_gl0_inv
	v_cmpx_lt_i32_e32 4, v38
	s_cbranch_execz .LBB120_123
; %bb.121:
	scratch_load_b128 v[4:7], off, off offset:64
	s_mov_b32 s3, 0
	s_waitcnt vmcnt(0)
	v_mul_f64 v[8:9], v[2:3], v[6:7]
	v_mul_f64 v[6:7], v[0:1], v[6:7]
	s_delay_alu instid0(VALU_DEP_2) | instskip(NEXT) | instid1(VALU_DEP_2)
	v_fma_f64 v[0:1], v[0:1], v[4:5], -v[8:9]
	v_fma_f64 v[2:3], v[2:3], v[4:5], v[6:7]
	v_add3_u32 v4, v36, 0, 0x50
	v_mov_b32_e32 v5, 0
	scratch_store_b128 off, v[0:3], off offset:64
.LBB120_122:                            ; =>This Inner Loop Header: Depth=1
	v_readfirstlane_b32 s6, v5
	v_add_nc_u32_e32 v14, s3, v4
	s_delay_alu instid0(VALU_DEP_2)
	s_add_i32 s12, s6, s3
	s_addk_i32 s3, 0x70
	s_add_i32 s6, s12, 0x50
	s_add_i32 s7, s12, 0x60
	;; [unrolled: 1-line block ×6, first 2 shown]
	s_addk_i32 s12, 0xb0
	s_clause 0x6
	scratch_load_b128 v[6:9], off, s6
	scratch_load_b128 v[10:13], off, s7
	;; [unrolled: 1-line block ×7, first 2 shown]
	ds_load_2addr_b64 v[129:132], v14 offset1:1
	ds_load_2addr_b64 v[164:167], v14 offset0:2 offset1:3
	ds_load_2addr_b64 v[168:171], v14 offset0:4 offset1:5
	;; [unrolled: 1-line block ×6, first 2 shown]
	s_cmpk_lg_i32 s3, 0x380
	s_waitcnt lgkmcnt(6)
	v_mul_f64 v[14:15], v[131:132], v[2:3]
	v_mul_f64 v[49:50], v[129:130], v[2:3]
	s_waitcnt lgkmcnt(5)
	v_mul_f64 v[53:54], v[166:167], v[2:3]
	v_mul_f64 v[65:66], v[164:165], v[2:3]
	;; [unrolled: 3-line block ×7, first 2 shown]
	v_fma_f64 v[14:15], v[129:130], v[0:1], -v[14:15]
	v_fma_f64 v[49:50], v[131:132], v[0:1], v[49:50]
	v_fma_f64 v[53:54], v[164:165], v[0:1], -v[53:54]
	v_fma_f64 v[65:66], v[166:167], v[0:1], v[65:66]
	;; [unrolled: 2-line block ×7, first 2 shown]
	s_waitcnt vmcnt(6)
	v_add_f64 v[6:7], v[6:7], -v[14:15]
	v_add_f64 v[8:9], v[8:9], -v[49:50]
	s_waitcnt vmcnt(5)
	v_add_f64 v[10:11], v[10:11], -v[53:54]
	v_add_f64 v[12:13], v[12:13], -v[65:66]
	;; [unrolled: 3-line block ×7, first 2 shown]
	s_clause 0x6
	scratch_store_b128 off, v[6:9], s6
	scratch_store_b128 off, v[10:13], s7
	;; [unrolled: 1-line block ×7, first 2 shown]
	s_cbranch_scc1 .LBB120_122
.LBB120_123:
	s_or_b32 exec_lo, exec_lo, s2
	s_waitcnt_vscnt null, 0x0
	s_barrier
	buffer_gl0_inv
	scratch_load_b128 v[0:3], v23, off
	v_lshl_add_u32 v4, v38, 4, v20
	s_cmp_lt_i32 s5, 7
	s_waitcnt vmcnt(0)
	ds_store_2addr_b64 v4, v[0:1], v[2:3] offset1:1
	s_waitcnt lgkmcnt(0)
	s_barrier
	buffer_gl0_inv
	ds_load_2addr_b64 v[0:3], v20 offset0:10 offset1:11
	v_mov_b32_e32 v4, 5
	s_cbranch_scc1 .LBB120_126
; %bb.124:
	v_add3_u32 v5, v36, 0, 0x60
	v_mov_b32_e32 v4, 5
	s_mov_b32 s6, 6
	s_set_inst_prefetch_distance 0x1
	.p2align	6
.LBB120_125:                            ; =>This Inner Loop Header: Depth=1
	ds_load_2addr_b64 v[6:9], v5 offset1:1
	s_waitcnt lgkmcnt(1)
	v_cmp_gt_f64_e32 vcc_lo, 0, v[0:1]
	v_xor_b32_e32 v10, 0x80000000, v1
	v_cmp_gt_f64_e64 s2, 0, v[2:3]
	v_xor_b32_e32 v12, 0x80000000, v3
	v_add_nc_u32_e32 v5, 16, v5
	s_waitcnt lgkmcnt(0)
	v_cmp_gt_f64_e64 s3, 0, v[6:7]
	v_dual_mov_b32 v41, v8 :: v_dual_mov_b32 v14, v6
	v_cndmask_b32_e32 v11, v1, v10, vcc_lo
	v_xor_b32_e32 v10, 0x80000000, v7
	v_cndmask_b32_e64 v13, v3, v12, s2
	v_xor_b32_e32 v12, 0x80000000, v9
	s_delay_alu instid0(VALU_DEP_3) | instskip(SKIP_2) | instid1(VALU_DEP_2)
	v_cndmask_b32_e64 v15, v7, v10, s3
	v_cmp_gt_f64_e64 s3, 0, v[8:9]
	v_cndmask_b32_e32 v10, v0, v0, vcc_lo
	v_cndmask_b32_e64 v42, v9, v12, s3
	v_cndmask_b32_e64 v12, v2, v2, s2
	s_delay_alu instid0(VALU_DEP_2) | instskip(NEXT) | instid1(VALU_DEP_2)
	v_add_f64 v[14:15], v[14:15], v[41:42]
	v_add_f64 v[10:11], v[10:11], v[12:13]
	s_delay_alu instid0(VALU_DEP_1) | instskip(SKIP_4) | instid1(SALU_CYCLE_1)
	v_cmp_lt_f64_e32 vcc_lo, v[10:11], v[14:15]
	v_dual_cndmask_b32 v1, v1, v7 :: v_dual_cndmask_b32 v0, v0, v6
	v_dual_cndmask_b32 v3, v3, v9 :: v_dual_cndmask_b32 v2, v2, v8
	v_cndmask_b32_e64 v4, v4, s6, vcc_lo
	s_add_i32 s6, s6, 1
	s_cmp_lg_u32 s5, s6
	s_cbranch_scc1 .LBB120_125
.LBB120_126:
	s_set_inst_prefetch_distance 0x2
	s_waitcnt lgkmcnt(0)
	v_cmp_eq_f64_e32 vcc_lo, 0, v[0:1]
	v_cmp_eq_f64_e64 s2, 0, v[2:3]
	s_delay_alu instid0(VALU_DEP_1) | instskip(NEXT) | instid1(SALU_CYCLE_1)
	s_and_b32 s2, vcc_lo, s2
	s_and_saveexec_b32 s3, s2
	s_delay_alu instid0(SALU_CYCLE_1)
	s_xor_b32 s2, exec_lo, s3
; %bb.127:
	v_cmp_ne_u32_e32 vcc_lo, 0, v35
	v_cndmask_b32_e32 v35, 6, v35, vcc_lo
; %bb.128:
	s_and_not1_saveexec_b32 s3, s2
	s_cbranch_execz .LBB120_134
; %bb.129:
	v_cmp_gt_f64_e32 vcc_lo, 0, v[0:1]
	v_cmp_gt_f64_e64 s2, 0, v[2:3]
	v_xor_b32_e32 v5, 0x80000000, v1
	v_xor_b32_e32 v7, 0x80000000, v3
	s_delay_alu instid0(VALU_DEP_2) | instskip(NEXT) | instid1(VALU_DEP_2)
	v_dual_cndmask_b32 v6, v1, v5 :: v_dual_cndmask_b32 v5, v0, v0
	v_cndmask_b32_e64 v8, v3, v7, s2
	v_cndmask_b32_e64 v7, v2, v2, s2
	s_mov_b32 s2, exec_lo
	s_delay_alu instid0(VALU_DEP_1)
	v_cmpx_ngt_f64_e32 v[5:6], v[7:8]
	s_xor_b32 s2, exec_lo, s2
	s_cbranch_execz .LBB120_131
; %bb.130:
	v_div_scale_f64 v[5:6], null, v[2:3], v[2:3], v[0:1]
	v_div_scale_f64 v[11:12], vcc_lo, v[0:1], v[2:3], v[0:1]
	s_delay_alu instid0(VALU_DEP_2) | instskip(SKIP_2) | instid1(VALU_DEP_1)
	v_rcp_f64_e32 v[7:8], v[5:6]
	s_waitcnt_depctr 0xfff
	v_fma_f64 v[9:10], -v[5:6], v[7:8], 1.0
	v_fma_f64 v[7:8], v[7:8], v[9:10], v[7:8]
	s_delay_alu instid0(VALU_DEP_1) | instskip(NEXT) | instid1(VALU_DEP_1)
	v_fma_f64 v[9:10], -v[5:6], v[7:8], 1.0
	v_fma_f64 v[7:8], v[7:8], v[9:10], v[7:8]
	s_delay_alu instid0(VALU_DEP_1) | instskip(NEXT) | instid1(VALU_DEP_1)
	v_mul_f64 v[9:10], v[11:12], v[7:8]
	v_fma_f64 v[5:6], -v[5:6], v[9:10], v[11:12]
	s_delay_alu instid0(VALU_DEP_1) | instskip(NEXT) | instid1(VALU_DEP_1)
	v_div_fmas_f64 v[5:6], v[5:6], v[7:8], v[9:10]
	v_div_fixup_f64 v[5:6], v[5:6], v[2:3], v[0:1]
	s_delay_alu instid0(VALU_DEP_1) | instskip(NEXT) | instid1(VALU_DEP_1)
	v_fma_f64 v[0:1], v[0:1], v[5:6], v[2:3]
	v_div_scale_f64 v[2:3], null, v[0:1], v[0:1], 1.0
	s_delay_alu instid0(VALU_DEP_1) | instskip(SKIP_2) | instid1(VALU_DEP_1)
	v_rcp_f64_e32 v[7:8], v[2:3]
	s_waitcnt_depctr 0xfff
	v_fma_f64 v[9:10], -v[2:3], v[7:8], 1.0
	v_fma_f64 v[7:8], v[7:8], v[9:10], v[7:8]
	s_delay_alu instid0(VALU_DEP_1) | instskip(NEXT) | instid1(VALU_DEP_1)
	v_fma_f64 v[9:10], -v[2:3], v[7:8], 1.0
	v_fma_f64 v[7:8], v[7:8], v[9:10], v[7:8]
	v_div_scale_f64 v[9:10], vcc_lo, 1.0, v[0:1], 1.0
	s_delay_alu instid0(VALU_DEP_1) | instskip(NEXT) | instid1(VALU_DEP_1)
	v_mul_f64 v[11:12], v[9:10], v[7:8]
	v_fma_f64 v[2:3], -v[2:3], v[11:12], v[9:10]
	s_delay_alu instid0(VALU_DEP_1) | instskip(NEXT) | instid1(VALU_DEP_1)
	v_div_fmas_f64 v[2:3], v[2:3], v[7:8], v[11:12]
	v_div_fixup_f64 v[2:3], v[2:3], v[0:1], 1.0
	s_delay_alu instid0(VALU_DEP_1)
	v_mul_f64 v[0:1], v[5:6], v[2:3]
	v_xor_b32_e32 v3, 0x80000000, v3
.LBB120_131:
	s_and_not1_saveexec_b32 s2, s2
	s_cbranch_execz .LBB120_133
; %bb.132:
	s_delay_alu instid0(VALU_DEP_1) | instskip(SKIP_1) | instid1(VALU_DEP_2)
	v_div_scale_f64 v[5:6], null, v[0:1], v[0:1], v[2:3]
	v_div_scale_f64 v[11:12], vcc_lo, v[2:3], v[0:1], v[2:3]
	v_rcp_f64_e32 v[7:8], v[5:6]
	s_waitcnt_depctr 0xfff
	v_fma_f64 v[9:10], -v[5:6], v[7:8], 1.0
	s_delay_alu instid0(VALU_DEP_1) | instskip(NEXT) | instid1(VALU_DEP_1)
	v_fma_f64 v[7:8], v[7:8], v[9:10], v[7:8]
	v_fma_f64 v[9:10], -v[5:6], v[7:8], 1.0
	s_delay_alu instid0(VALU_DEP_1) | instskip(NEXT) | instid1(VALU_DEP_1)
	v_fma_f64 v[7:8], v[7:8], v[9:10], v[7:8]
	v_mul_f64 v[9:10], v[11:12], v[7:8]
	s_delay_alu instid0(VALU_DEP_1) | instskip(NEXT) | instid1(VALU_DEP_1)
	v_fma_f64 v[5:6], -v[5:6], v[9:10], v[11:12]
	v_div_fmas_f64 v[5:6], v[5:6], v[7:8], v[9:10]
	s_delay_alu instid0(VALU_DEP_1) | instskip(NEXT) | instid1(VALU_DEP_1)
	v_div_fixup_f64 v[5:6], v[5:6], v[0:1], v[2:3]
	v_fma_f64 v[0:1], v[2:3], v[5:6], v[0:1]
	s_delay_alu instid0(VALU_DEP_1) | instskip(NEXT) | instid1(VALU_DEP_1)
	v_div_scale_f64 v[2:3], null, v[0:1], v[0:1], 1.0
	v_rcp_f64_e32 v[7:8], v[2:3]
	s_waitcnt_depctr 0xfff
	v_fma_f64 v[9:10], -v[2:3], v[7:8], 1.0
	s_delay_alu instid0(VALU_DEP_1) | instskip(NEXT) | instid1(VALU_DEP_1)
	v_fma_f64 v[7:8], v[7:8], v[9:10], v[7:8]
	v_fma_f64 v[9:10], -v[2:3], v[7:8], 1.0
	s_delay_alu instid0(VALU_DEP_1) | instskip(SKIP_1) | instid1(VALU_DEP_1)
	v_fma_f64 v[7:8], v[7:8], v[9:10], v[7:8]
	v_div_scale_f64 v[9:10], vcc_lo, 1.0, v[0:1], 1.0
	v_mul_f64 v[11:12], v[9:10], v[7:8]
	s_delay_alu instid0(VALU_DEP_1) | instskip(NEXT) | instid1(VALU_DEP_1)
	v_fma_f64 v[2:3], -v[2:3], v[11:12], v[9:10]
	v_div_fmas_f64 v[2:3], v[2:3], v[7:8], v[11:12]
	s_delay_alu instid0(VALU_DEP_1) | instskip(NEXT) | instid1(VALU_DEP_1)
	v_div_fixup_f64 v[0:1], v[2:3], v[0:1], 1.0
	v_mul_f64 v[2:3], v[5:6], -v[0:1]
.LBB120_133:
	s_or_b32 exec_lo, exec_lo, s2
.LBB120_134:
	s_delay_alu instid0(SALU_CYCLE_1) | instskip(NEXT) | instid1(SALU_CYCLE_1)
	s_or_b32 exec_lo, exec_lo, s3
	s_mov_b32 s2, exec_lo
	v_cmpx_ne_u32_e64 v38, v4
	s_xor_b32 s2, exec_lo, s2
	s_cbranch_execz .LBB120_140
; %bb.135:
	s_mov_b32 s3, exec_lo
	v_cmpx_eq_u32_e32 5, v38
	s_cbranch_execz .LBB120_139
; %bb.136:
	v_cmp_ne_u32_e32 vcc_lo, 5, v4
	s_xor_b32 s6, s4, -1
	s_delay_alu instid0(SALU_CYCLE_1) | instskip(NEXT) | instid1(SALU_CYCLE_1)
	s_and_b32 s7, s6, vcc_lo
	s_and_saveexec_b32 s6, s7
	s_cbranch_execz .LBB120_138
; %bb.137:
	v_ashrrev_i32_e32 v5, 31, v4
	s_delay_alu instid0(VALU_DEP_1) | instskip(NEXT) | instid1(VALU_DEP_1)
	v_lshlrev_b64 v[5:6], 2, v[4:5]
	v_add_co_u32 v5, vcc_lo, v18, v5
	s_delay_alu instid0(VALU_DEP_2)
	v_add_co_ci_u32_e32 v6, vcc_lo, v19, v6, vcc_lo
	s_clause 0x1
	flat_load_b32 v7, v[5:6]
	flat_load_b32 v8, v[18:19] offset:20
	s_waitcnt vmcnt(1) lgkmcnt(1)
	flat_store_b32 v[18:19], v7 offset:20
	s_waitcnt vmcnt(0) lgkmcnt(1)
	flat_store_b32 v[5:6], v8
.LBB120_138:
	s_or_b32 exec_lo, exec_lo, s6
	v_mov_b32_e32 v38, v4
	v_mov_b32_e32 v37, v4
.LBB120_139:
	s_or_b32 exec_lo, exec_lo, s3
.LBB120_140:
	s_and_not1_saveexec_b32 s2, s2
	s_cbranch_execz .LBB120_144
; %bb.141:
	v_add3_u32 v4, v36, 0, 0x60
	v_mov_b32_e32 v5, 0
	s_mov_b32 s3, 0
.LBB120_142:                            ; =>This Inner Loop Header: Depth=1
	s_delay_alu instid0(VALU_DEP_1) | instskip(NEXT) | instid1(VALU_DEP_3)
	v_readfirstlane_b32 s6, v5
	v_add_nc_u32_e32 v14, s3, v4
	s_delay_alu instid0(VALU_DEP_2)
	s_add_i32 s6, s6, s3
	s_addk_i32 s3, 0xb0
	s_add_i32 s7, s6, 0x60
	s_add_i32 s9, s6, 0x70
	;; [unrolled: 1-line block ×10, first 2 shown]
	s_addk_i32 s6, 0x100
	s_clause 0xa
	scratch_load_b128 v[6:9], off, s7
	scratch_load_b128 v[10:13], off, s9
	;; [unrolled: 1-line block ×11, first 2 shown]
	s_cmpk_eq_i32 s3, 0x370
	s_waitcnt vmcnt(10)
	ds_store_2addr_b64 v14, v[6:7], v[8:9] offset1:1
	s_waitcnt vmcnt(9)
	ds_store_2addr_b64 v14, v[10:11], v[12:13] offset0:2 offset1:3
	s_waitcnt vmcnt(8)
	ds_store_2addr_b64 v14, v[41:42], v[43:44] offset0:4 offset1:5
	;; [unrolled: 2-line block ×10, first 2 shown]
	s_cbranch_scc0 .LBB120_142
; %bb.143:
	v_mov_b32_e32 v38, 5
.LBB120_144:
	s_or_b32 exec_lo, exec_lo, s2
	s_delay_alu instid0(SALU_CYCLE_1)
	s_mov_b32 s2, exec_lo
	s_waitcnt lgkmcnt(0)
	s_waitcnt_vscnt null, 0x0
	s_barrier
	buffer_gl0_inv
	v_cmpx_lt_i32_e32 5, v38
	s_cbranch_execz .LBB120_147
; %bb.145:
	scratch_load_b128 v[4:7], off, off offset:80
	s_mov_b32 s3, 0
	s_waitcnt vmcnt(0)
	v_mul_f64 v[8:9], v[2:3], v[6:7]
	v_mul_f64 v[6:7], v[0:1], v[6:7]
	s_delay_alu instid0(VALU_DEP_2) | instskip(NEXT) | instid1(VALU_DEP_2)
	v_fma_f64 v[0:1], v[0:1], v[4:5], -v[8:9]
	v_fma_f64 v[2:3], v[2:3], v[4:5], v[6:7]
	v_add3_u32 v4, v36, 0, 0x60
	v_mov_b32_e32 v5, 0
	scratch_store_b128 off, v[0:3], off offset:80
.LBB120_146:                            ; =>This Inner Loop Header: Depth=1
	v_readfirstlane_b32 s6, v5
	v_add_nc_u32_e32 v14, s3, v4
	s_delay_alu instid0(VALU_DEP_2)
	s_add_i32 s6, s6, s3
	s_addk_i32 s3, 0x50
	s_add_i32 s7, s6, 0x60
	s_add_i32 s9, s6, 0x70
	;; [unrolled: 1-line block ×4, first 2 shown]
	s_addk_i32 s6, 0xa0
	s_clause 0x4
	scratch_load_b128 v[6:9], off, s7
	scratch_load_b128 v[10:13], off, s9
	scratch_load_b128 v[41:44], off, s12
	scratch_load_b128 v[45:48], off, s14
	scratch_load_b128 v[57:60], off, s6
	ds_load_2addr_b64 v[61:64], v14 offset1:1
	ds_load_2addr_b64 v[73:76], v14 offset0:2 offset1:3
	ds_load_2addr_b64 v[129:132], v14 offset0:4 offset1:5
	;; [unrolled: 1-line block ×4, first 2 shown]
	s_cmpk_lg_i32 s3, 0x370
	s_waitcnt lgkmcnt(4)
	v_mul_f64 v[14:15], v[63:64], v[2:3]
	v_mul_f64 v[49:50], v[61:62], v[2:3]
	s_waitcnt lgkmcnt(3)
	v_mul_f64 v[53:54], v[75:76], v[2:3]
	v_mul_f64 v[65:66], v[73:74], v[2:3]
	;; [unrolled: 3-line block ×5, first 2 shown]
	v_fma_f64 v[14:15], v[61:62], v[0:1], -v[14:15]
	v_fma_f64 v[49:50], v[63:64], v[0:1], v[49:50]
	v_fma_f64 v[53:54], v[73:74], v[0:1], -v[53:54]
	v_fma_f64 v[61:62], v[75:76], v[0:1], v[65:66]
	v_fma_f64 v[63:64], v[129:130], v[0:1], -v[69:70]
	v_fma_f64 v[65:66], v[131:132], v[0:1], v[77:78]
	v_fma_f64 v[69:70], v[164:165], v[0:1], -v[81:82]
	v_fma_f64 v[73:74], v[166:167], v[0:1], v[83:84]
	v_fma_f64 v[75:76], v[168:169], v[0:1], -v[85:86]
	v_fma_f64 v[77:78], v[170:171], v[0:1], v[87:88]
	s_waitcnt vmcnt(4)
	v_add_f64 v[6:7], v[6:7], -v[14:15]
	v_add_f64 v[8:9], v[8:9], -v[49:50]
	s_waitcnt vmcnt(3)
	v_add_f64 v[10:11], v[10:11], -v[53:54]
	v_add_f64 v[12:13], v[12:13], -v[61:62]
	;; [unrolled: 3-line block ×5, first 2 shown]
	s_clause 0x4
	scratch_store_b128 off, v[6:9], s7
	scratch_store_b128 off, v[10:13], s9
	;; [unrolled: 1-line block ×5, first 2 shown]
	s_cbranch_scc1 .LBB120_146
.LBB120_147:
	s_or_b32 exec_lo, exec_lo, s2
	s_waitcnt_vscnt null, 0x0
	s_barrier
	buffer_gl0_inv
	scratch_load_b128 v[0:3], v22, off
	v_lshl_add_u32 v4, v38, 4, v20
	s_cmp_lt_i32 s5, 8
	s_waitcnt vmcnt(0)
	ds_store_2addr_b64 v4, v[0:1], v[2:3] offset1:1
	s_waitcnt lgkmcnt(0)
	s_barrier
	buffer_gl0_inv
	ds_load_2addr_b64 v[0:3], v20 offset0:12 offset1:13
	v_mov_b32_e32 v4, 6
	s_cbranch_scc1 .LBB120_150
; %bb.148:
	v_add3_u32 v5, v36, 0, 0x70
	v_mov_b32_e32 v4, 6
	s_mov_b32 s6, 7
	s_set_inst_prefetch_distance 0x1
	.p2align	6
.LBB120_149:                            ; =>This Inner Loop Header: Depth=1
	ds_load_2addr_b64 v[6:9], v5 offset1:1
	s_waitcnt lgkmcnt(1)
	v_cmp_gt_f64_e32 vcc_lo, 0, v[0:1]
	v_xor_b32_e32 v10, 0x80000000, v1
	v_cmp_gt_f64_e64 s2, 0, v[2:3]
	v_xor_b32_e32 v12, 0x80000000, v3
	v_add_nc_u32_e32 v5, 16, v5
	s_waitcnt lgkmcnt(0)
	v_cmp_gt_f64_e64 s3, 0, v[6:7]
	v_dual_mov_b32 v41, v8 :: v_dual_mov_b32 v14, v6
	v_cndmask_b32_e32 v11, v1, v10, vcc_lo
	v_xor_b32_e32 v10, 0x80000000, v7
	v_cndmask_b32_e64 v13, v3, v12, s2
	v_xor_b32_e32 v12, 0x80000000, v9
	s_delay_alu instid0(VALU_DEP_3) | instskip(SKIP_2) | instid1(VALU_DEP_2)
	v_cndmask_b32_e64 v15, v7, v10, s3
	v_cmp_gt_f64_e64 s3, 0, v[8:9]
	v_cndmask_b32_e32 v10, v0, v0, vcc_lo
	v_cndmask_b32_e64 v42, v9, v12, s3
	v_cndmask_b32_e64 v12, v2, v2, s2
	s_delay_alu instid0(VALU_DEP_2) | instskip(NEXT) | instid1(VALU_DEP_2)
	v_add_f64 v[14:15], v[14:15], v[41:42]
	v_add_f64 v[10:11], v[10:11], v[12:13]
	s_delay_alu instid0(VALU_DEP_1) | instskip(SKIP_4) | instid1(SALU_CYCLE_1)
	v_cmp_lt_f64_e32 vcc_lo, v[10:11], v[14:15]
	v_dual_cndmask_b32 v1, v1, v7 :: v_dual_cndmask_b32 v0, v0, v6
	v_dual_cndmask_b32 v3, v3, v9 :: v_dual_cndmask_b32 v2, v2, v8
	v_cndmask_b32_e64 v4, v4, s6, vcc_lo
	s_add_i32 s6, s6, 1
	s_cmp_lg_u32 s5, s6
	s_cbranch_scc1 .LBB120_149
.LBB120_150:
	s_set_inst_prefetch_distance 0x2
	s_waitcnt lgkmcnt(0)
	v_cmp_eq_f64_e32 vcc_lo, 0, v[0:1]
	v_cmp_eq_f64_e64 s2, 0, v[2:3]
	s_delay_alu instid0(VALU_DEP_1) | instskip(NEXT) | instid1(SALU_CYCLE_1)
	s_and_b32 s2, vcc_lo, s2
	s_and_saveexec_b32 s3, s2
	s_delay_alu instid0(SALU_CYCLE_1)
	s_xor_b32 s2, exec_lo, s3
; %bb.151:
	v_cmp_ne_u32_e32 vcc_lo, 0, v35
	v_cndmask_b32_e32 v35, 7, v35, vcc_lo
; %bb.152:
	s_and_not1_saveexec_b32 s3, s2
	s_cbranch_execz .LBB120_158
; %bb.153:
	v_cmp_gt_f64_e32 vcc_lo, 0, v[0:1]
	v_cmp_gt_f64_e64 s2, 0, v[2:3]
	v_xor_b32_e32 v5, 0x80000000, v1
	v_xor_b32_e32 v7, 0x80000000, v3
	s_delay_alu instid0(VALU_DEP_2) | instskip(NEXT) | instid1(VALU_DEP_2)
	v_dual_cndmask_b32 v6, v1, v5 :: v_dual_cndmask_b32 v5, v0, v0
	v_cndmask_b32_e64 v8, v3, v7, s2
	v_cndmask_b32_e64 v7, v2, v2, s2
	s_mov_b32 s2, exec_lo
	s_delay_alu instid0(VALU_DEP_1)
	v_cmpx_ngt_f64_e32 v[5:6], v[7:8]
	s_xor_b32 s2, exec_lo, s2
	s_cbranch_execz .LBB120_155
; %bb.154:
	v_div_scale_f64 v[5:6], null, v[2:3], v[2:3], v[0:1]
	v_div_scale_f64 v[11:12], vcc_lo, v[0:1], v[2:3], v[0:1]
	s_delay_alu instid0(VALU_DEP_2) | instskip(SKIP_2) | instid1(VALU_DEP_1)
	v_rcp_f64_e32 v[7:8], v[5:6]
	s_waitcnt_depctr 0xfff
	v_fma_f64 v[9:10], -v[5:6], v[7:8], 1.0
	v_fma_f64 v[7:8], v[7:8], v[9:10], v[7:8]
	s_delay_alu instid0(VALU_DEP_1) | instskip(NEXT) | instid1(VALU_DEP_1)
	v_fma_f64 v[9:10], -v[5:6], v[7:8], 1.0
	v_fma_f64 v[7:8], v[7:8], v[9:10], v[7:8]
	s_delay_alu instid0(VALU_DEP_1) | instskip(NEXT) | instid1(VALU_DEP_1)
	v_mul_f64 v[9:10], v[11:12], v[7:8]
	v_fma_f64 v[5:6], -v[5:6], v[9:10], v[11:12]
	s_delay_alu instid0(VALU_DEP_1) | instskip(NEXT) | instid1(VALU_DEP_1)
	v_div_fmas_f64 v[5:6], v[5:6], v[7:8], v[9:10]
	v_div_fixup_f64 v[5:6], v[5:6], v[2:3], v[0:1]
	s_delay_alu instid0(VALU_DEP_1) | instskip(NEXT) | instid1(VALU_DEP_1)
	v_fma_f64 v[0:1], v[0:1], v[5:6], v[2:3]
	v_div_scale_f64 v[2:3], null, v[0:1], v[0:1], 1.0
	s_delay_alu instid0(VALU_DEP_1) | instskip(SKIP_2) | instid1(VALU_DEP_1)
	v_rcp_f64_e32 v[7:8], v[2:3]
	s_waitcnt_depctr 0xfff
	v_fma_f64 v[9:10], -v[2:3], v[7:8], 1.0
	v_fma_f64 v[7:8], v[7:8], v[9:10], v[7:8]
	s_delay_alu instid0(VALU_DEP_1) | instskip(NEXT) | instid1(VALU_DEP_1)
	v_fma_f64 v[9:10], -v[2:3], v[7:8], 1.0
	v_fma_f64 v[7:8], v[7:8], v[9:10], v[7:8]
	v_div_scale_f64 v[9:10], vcc_lo, 1.0, v[0:1], 1.0
	s_delay_alu instid0(VALU_DEP_1) | instskip(NEXT) | instid1(VALU_DEP_1)
	v_mul_f64 v[11:12], v[9:10], v[7:8]
	v_fma_f64 v[2:3], -v[2:3], v[11:12], v[9:10]
	s_delay_alu instid0(VALU_DEP_1) | instskip(NEXT) | instid1(VALU_DEP_1)
	v_div_fmas_f64 v[2:3], v[2:3], v[7:8], v[11:12]
	v_div_fixup_f64 v[2:3], v[2:3], v[0:1], 1.0
	s_delay_alu instid0(VALU_DEP_1)
	v_mul_f64 v[0:1], v[5:6], v[2:3]
	v_xor_b32_e32 v3, 0x80000000, v3
.LBB120_155:
	s_and_not1_saveexec_b32 s2, s2
	s_cbranch_execz .LBB120_157
; %bb.156:
	s_delay_alu instid0(VALU_DEP_1) | instskip(SKIP_1) | instid1(VALU_DEP_2)
	v_div_scale_f64 v[5:6], null, v[0:1], v[0:1], v[2:3]
	v_div_scale_f64 v[11:12], vcc_lo, v[2:3], v[0:1], v[2:3]
	v_rcp_f64_e32 v[7:8], v[5:6]
	s_waitcnt_depctr 0xfff
	v_fma_f64 v[9:10], -v[5:6], v[7:8], 1.0
	s_delay_alu instid0(VALU_DEP_1) | instskip(NEXT) | instid1(VALU_DEP_1)
	v_fma_f64 v[7:8], v[7:8], v[9:10], v[7:8]
	v_fma_f64 v[9:10], -v[5:6], v[7:8], 1.0
	s_delay_alu instid0(VALU_DEP_1) | instskip(NEXT) | instid1(VALU_DEP_1)
	v_fma_f64 v[7:8], v[7:8], v[9:10], v[7:8]
	v_mul_f64 v[9:10], v[11:12], v[7:8]
	s_delay_alu instid0(VALU_DEP_1) | instskip(NEXT) | instid1(VALU_DEP_1)
	v_fma_f64 v[5:6], -v[5:6], v[9:10], v[11:12]
	v_div_fmas_f64 v[5:6], v[5:6], v[7:8], v[9:10]
	s_delay_alu instid0(VALU_DEP_1) | instskip(NEXT) | instid1(VALU_DEP_1)
	v_div_fixup_f64 v[5:6], v[5:6], v[0:1], v[2:3]
	v_fma_f64 v[0:1], v[2:3], v[5:6], v[0:1]
	s_delay_alu instid0(VALU_DEP_1) | instskip(NEXT) | instid1(VALU_DEP_1)
	v_div_scale_f64 v[2:3], null, v[0:1], v[0:1], 1.0
	v_rcp_f64_e32 v[7:8], v[2:3]
	s_waitcnt_depctr 0xfff
	v_fma_f64 v[9:10], -v[2:3], v[7:8], 1.0
	s_delay_alu instid0(VALU_DEP_1) | instskip(NEXT) | instid1(VALU_DEP_1)
	v_fma_f64 v[7:8], v[7:8], v[9:10], v[7:8]
	v_fma_f64 v[9:10], -v[2:3], v[7:8], 1.0
	s_delay_alu instid0(VALU_DEP_1) | instskip(SKIP_1) | instid1(VALU_DEP_1)
	v_fma_f64 v[7:8], v[7:8], v[9:10], v[7:8]
	v_div_scale_f64 v[9:10], vcc_lo, 1.0, v[0:1], 1.0
	v_mul_f64 v[11:12], v[9:10], v[7:8]
	s_delay_alu instid0(VALU_DEP_1) | instskip(NEXT) | instid1(VALU_DEP_1)
	v_fma_f64 v[2:3], -v[2:3], v[11:12], v[9:10]
	v_div_fmas_f64 v[2:3], v[2:3], v[7:8], v[11:12]
	s_delay_alu instid0(VALU_DEP_1) | instskip(NEXT) | instid1(VALU_DEP_1)
	v_div_fixup_f64 v[0:1], v[2:3], v[0:1], 1.0
	v_mul_f64 v[2:3], v[5:6], -v[0:1]
.LBB120_157:
	s_or_b32 exec_lo, exec_lo, s2
.LBB120_158:
	s_delay_alu instid0(SALU_CYCLE_1) | instskip(NEXT) | instid1(SALU_CYCLE_1)
	s_or_b32 exec_lo, exec_lo, s3
	s_mov_b32 s2, exec_lo
	v_cmpx_ne_u32_e64 v38, v4
	s_xor_b32 s2, exec_lo, s2
	s_cbranch_execz .LBB120_164
; %bb.159:
	s_mov_b32 s3, exec_lo
	v_cmpx_eq_u32_e32 6, v38
	s_cbranch_execz .LBB120_163
; %bb.160:
	v_cmp_ne_u32_e32 vcc_lo, 6, v4
	s_xor_b32 s6, s4, -1
	s_delay_alu instid0(SALU_CYCLE_1) | instskip(NEXT) | instid1(SALU_CYCLE_1)
	s_and_b32 s7, s6, vcc_lo
	s_and_saveexec_b32 s6, s7
	s_cbranch_execz .LBB120_162
; %bb.161:
	v_ashrrev_i32_e32 v5, 31, v4
	s_delay_alu instid0(VALU_DEP_1) | instskip(NEXT) | instid1(VALU_DEP_1)
	v_lshlrev_b64 v[5:6], 2, v[4:5]
	v_add_co_u32 v5, vcc_lo, v18, v5
	s_delay_alu instid0(VALU_DEP_2)
	v_add_co_ci_u32_e32 v6, vcc_lo, v19, v6, vcc_lo
	s_clause 0x1
	flat_load_b32 v7, v[5:6]
	flat_load_b32 v8, v[18:19] offset:24
	s_waitcnt vmcnt(1) lgkmcnt(1)
	flat_store_b32 v[18:19], v7 offset:24
	s_waitcnt vmcnt(0) lgkmcnt(1)
	flat_store_b32 v[5:6], v8
.LBB120_162:
	s_or_b32 exec_lo, exec_lo, s6
	v_mov_b32_e32 v38, v4
	v_mov_b32_e32 v37, v4
.LBB120_163:
	s_or_b32 exec_lo, exec_lo, s3
.LBB120_164:
	s_and_not1_saveexec_b32 s2, s2
	s_cbranch_execz .LBB120_168
; %bb.165:
	v_add3_u32 v4, v36, 0, 0x70
	v_mov_b32_e32 v5, 0
	s_mov_b32 s3, 0
.LBB120_166:                            ; =>This Inner Loop Header: Depth=1
	s_delay_alu instid0(VALU_DEP_1) | instskip(NEXT) | instid1(VALU_DEP_3)
	v_readfirstlane_b32 s6, v5
	v_add_nc_u32_e32 v14, s3, v4
	s_delay_alu instid0(VALU_DEP_2)
	s_add_i32 s6, s6, s3
	s_addk_i32 s3, 0x120
	s_add_i32 s7, s6, 0x70
	s_add_i32 s9, s6, 0x80
	;; [unrolled: 1-line block ×17, first 2 shown]
	s_addk_i32 s6, 0x180
	s_clause 0x11
	scratch_load_b128 v[6:9], off, s7
	scratch_load_b128 v[10:13], off, s9
	;; [unrolled: 1-line block ×18, first 2 shown]
	s_cmpk_eq_i32 s3, 0x360
	s_waitcnt vmcnt(17)
	ds_store_2addr_b64 v14, v[6:7], v[8:9] offset1:1
	s_waitcnt vmcnt(16)
	ds_store_2addr_b64 v14, v[10:11], v[12:13] offset0:2 offset1:3
	s_waitcnt vmcnt(15)
	ds_store_2addr_b64 v14, v[41:42], v[43:44] offset0:4 offset1:5
	;; [unrolled: 2-line block ×17, first 2 shown]
	s_cbranch_scc0 .LBB120_166
; %bb.167:
	v_mov_b32_e32 v38, 6
.LBB120_168:
	s_or_b32 exec_lo, exec_lo, s2
	s_delay_alu instid0(SALU_CYCLE_1)
	s_mov_b32 s2, exec_lo
	s_waitcnt lgkmcnt(0)
	s_waitcnt_vscnt null, 0x0
	s_barrier
	buffer_gl0_inv
	v_cmpx_lt_i32_e32 6, v38
	s_cbranch_execz .LBB120_171
; %bb.169:
	scratch_load_b128 v[4:7], off, off offset:96
	s_mov_b32 s3, 0
	s_waitcnt vmcnt(0)
	v_mul_f64 v[8:9], v[2:3], v[6:7]
	v_mul_f64 v[6:7], v[0:1], v[6:7]
	s_delay_alu instid0(VALU_DEP_2) | instskip(NEXT) | instid1(VALU_DEP_2)
	v_fma_f64 v[0:1], v[0:1], v[4:5], -v[8:9]
	v_fma_f64 v[2:3], v[2:3], v[4:5], v[6:7]
	v_add3_u32 v4, v36, 0, 0x70
	v_mov_b32_e32 v5, 0
	scratch_store_b128 off, v[0:3], off offset:96
.LBB120_170:                            ; =>This Inner Loop Header: Depth=1
	v_readfirstlane_b32 s6, v5
	v_add_nc_u32_e32 v14, s3, v4
	s_delay_alu instid0(VALU_DEP_2)
	s_add_i32 s7, s6, s3
	s_addk_i32 s3, 0x60
	s_add_i32 s6, s7, 0x70
	s_add_i32 s9, s7, 0x80
	;; [unrolled: 1-line block ×5, first 2 shown]
	s_addk_i32 s7, 0xc0
	s_clause 0x5
	scratch_load_b128 v[6:9], off, s6
	scratch_load_b128 v[10:13], off, s9
	;; [unrolled: 1-line block ×6, first 2 shown]
	ds_load_2addr_b64 v[73:76], v14 offset1:1
	ds_load_2addr_b64 v[129:132], v14 offset0:2 offset1:3
	ds_load_2addr_b64 v[164:167], v14 offset0:4 offset1:5
	;; [unrolled: 1-line block ×5, first 2 shown]
	s_cmpk_lg_i32 s3, 0x360
	s_waitcnt lgkmcnt(5)
	v_mul_f64 v[14:15], v[75:76], v[2:3]
	v_mul_f64 v[49:50], v[73:74], v[2:3]
	s_waitcnt lgkmcnt(4)
	v_mul_f64 v[53:54], v[131:132], v[2:3]
	v_mul_f64 v[65:66], v[129:130], v[2:3]
	;; [unrolled: 3-line block ×6, first 2 shown]
	v_fma_f64 v[14:15], v[73:74], v[0:1], -v[14:15]
	v_fma_f64 v[49:50], v[75:76], v[0:1], v[49:50]
	v_fma_f64 v[53:54], v[129:130], v[0:1], -v[53:54]
	v_fma_f64 v[65:66], v[131:132], v[0:1], v[65:66]
	;; [unrolled: 2-line block ×6, first 2 shown]
	s_waitcnt vmcnt(5)
	v_add_f64 v[6:7], v[6:7], -v[14:15]
	v_add_f64 v[8:9], v[8:9], -v[49:50]
	s_waitcnt vmcnt(4)
	v_add_f64 v[10:11], v[10:11], -v[53:54]
	v_add_f64 v[12:13], v[12:13], -v[65:66]
	;; [unrolled: 3-line block ×6, first 2 shown]
	s_clause 0x5
	scratch_store_b128 off, v[6:9], s6
	scratch_store_b128 off, v[10:13], s9
	;; [unrolled: 1-line block ×6, first 2 shown]
	s_cbranch_scc1 .LBB120_170
.LBB120_171:
	s_or_b32 exec_lo, exec_lo, s2
	s_waitcnt_vscnt null, 0x0
	s_barrier
	buffer_gl0_inv
	scratch_load_b128 v[0:3], v21, off
	v_lshl_add_u32 v4, v38, 4, v20
	s_cmp_lt_i32 s5, 9
	s_waitcnt vmcnt(0)
	ds_store_2addr_b64 v4, v[0:1], v[2:3] offset1:1
	s_waitcnt lgkmcnt(0)
	s_barrier
	buffer_gl0_inv
	ds_load_2addr_b64 v[0:3], v20 offset0:14 offset1:15
	v_mov_b32_e32 v4, 7
	s_cbranch_scc1 .LBB120_174
; %bb.172:
	v_add3_u32 v5, v36, 0, 0x80
	v_mov_b32_e32 v4, 7
	s_mov_b32 s6, 8
	s_set_inst_prefetch_distance 0x1
	.p2align	6
.LBB120_173:                            ; =>This Inner Loop Header: Depth=1
	ds_load_2addr_b64 v[6:9], v5 offset1:1
	s_waitcnt lgkmcnt(1)
	v_cmp_gt_f64_e32 vcc_lo, 0, v[0:1]
	v_xor_b32_e32 v10, 0x80000000, v1
	v_cmp_gt_f64_e64 s2, 0, v[2:3]
	v_xor_b32_e32 v12, 0x80000000, v3
	v_add_nc_u32_e32 v5, 16, v5
	s_waitcnt lgkmcnt(0)
	v_cmp_gt_f64_e64 s3, 0, v[6:7]
	v_dual_mov_b32 v41, v8 :: v_dual_mov_b32 v14, v6
	v_cndmask_b32_e32 v11, v1, v10, vcc_lo
	v_xor_b32_e32 v10, 0x80000000, v7
	v_cndmask_b32_e64 v13, v3, v12, s2
	v_xor_b32_e32 v12, 0x80000000, v9
	s_delay_alu instid0(VALU_DEP_3) | instskip(SKIP_2) | instid1(VALU_DEP_2)
	v_cndmask_b32_e64 v15, v7, v10, s3
	v_cmp_gt_f64_e64 s3, 0, v[8:9]
	v_cndmask_b32_e32 v10, v0, v0, vcc_lo
	v_cndmask_b32_e64 v42, v9, v12, s3
	v_cndmask_b32_e64 v12, v2, v2, s2
	s_delay_alu instid0(VALU_DEP_2) | instskip(NEXT) | instid1(VALU_DEP_2)
	v_add_f64 v[14:15], v[14:15], v[41:42]
	v_add_f64 v[10:11], v[10:11], v[12:13]
	s_delay_alu instid0(VALU_DEP_1) | instskip(SKIP_4) | instid1(SALU_CYCLE_1)
	v_cmp_lt_f64_e32 vcc_lo, v[10:11], v[14:15]
	v_dual_cndmask_b32 v1, v1, v7 :: v_dual_cndmask_b32 v0, v0, v6
	v_dual_cndmask_b32 v3, v3, v9 :: v_dual_cndmask_b32 v2, v2, v8
	v_cndmask_b32_e64 v4, v4, s6, vcc_lo
	s_add_i32 s6, s6, 1
	s_cmp_lg_u32 s5, s6
	s_cbranch_scc1 .LBB120_173
.LBB120_174:
	s_set_inst_prefetch_distance 0x2
	s_waitcnt lgkmcnt(0)
	v_cmp_eq_f64_e32 vcc_lo, 0, v[0:1]
	v_cmp_eq_f64_e64 s2, 0, v[2:3]
	s_delay_alu instid0(VALU_DEP_1) | instskip(NEXT) | instid1(SALU_CYCLE_1)
	s_and_b32 s2, vcc_lo, s2
	s_and_saveexec_b32 s3, s2
	s_delay_alu instid0(SALU_CYCLE_1)
	s_xor_b32 s2, exec_lo, s3
; %bb.175:
	v_cmp_ne_u32_e32 vcc_lo, 0, v35
	v_cndmask_b32_e32 v35, 8, v35, vcc_lo
; %bb.176:
	s_and_not1_saveexec_b32 s3, s2
	s_cbranch_execz .LBB120_182
; %bb.177:
	v_cmp_gt_f64_e32 vcc_lo, 0, v[0:1]
	v_cmp_gt_f64_e64 s2, 0, v[2:3]
	v_xor_b32_e32 v5, 0x80000000, v1
	v_xor_b32_e32 v7, 0x80000000, v3
	s_delay_alu instid0(VALU_DEP_2) | instskip(NEXT) | instid1(VALU_DEP_2)
	v_dual_cndmask_b32 v6, v1, v5 :: v_dual_cndmask_b32 v5, v0, v0
	v_cndmask_b32_e64 v8, v3, v7, s2
	v_cndmask_b32_e64 v7, v2, v2, s2
	s_mov_b32 s2, exec_lo
	s_delay_alu instid0(VALU_DEP_1)
	v_cmpx_ngt_f64_e32 v[5:6], v[7:8]
	s_xor_b32 s2, exec_lo, s2
	s_cbranch_execz .LBB120_179
; %bb.178:
	v_div_scale_f64 v[5:6], null, v[2:3], v[2:3], v[0:1]
	v_div_scale_f64 v[11:12], vcc_lo, v[0:1], v[2:3], v[0:1]
	s_delay_alu instid0(VALU_DEP_2) | instskip(SKIP_2) | instid1(VALU_DEP_1)
	v_rcp_f64_e32 v[7:8], v[5:6]
	s_waitcnt_depctr 0xfff
	v_fma_f64 v[9:10], -v[5:6], v[7:8], 1.0
	v_fma_f64 v[7:8], v[7:8], v[9:10], v[7:8]
	s_delay_alu instid0(VALU_DEP_1) | instskip(NEXT) | instid1(VALU_DEP_1)
	v_fma_f64 v[9:10], -v[5:6], v[7:8], 1.0
	v_fma_f64 v[7:8], v[7:8], v[9:10], v[7:8]
	s_delay_alu instid0(VALU_DEP_1) | instskip(NEXT) | instid1(VALU_DEP_1)
	v_mul_f64 v[9:10], v[11:12], v[7:8]
	v_fma_f64 v[5:6], -v[5:6], v[9:10], v[11:12]
	s_delay_alu instid0(VALU_DEP_1) | instskip(NEXT) | instid1(VALU_DEP_1)
	v_div_fmas_f64 v[5:6], v[5:6], v[7:8], v[9:10]
	v_div_fixup_f64 v[5:6], v[5:6], v[2:3], v[0:1]
	s_delay_alu instid0(VALU_DEP_1) | instskip(NEXT) | instid1(VALU_DEP_1)
	v_fma_f64 v[0:1], v[0:1], v[5:6], v[2:3]
	v_div_scale_f64 v[2:3], null, v[0:1], v[0:1], 1.0
	s_delay_alu instid0(VALU_DEP_1) | instskip(SKIP_2) | instid1(VALU_DEP_1)
	v_rcp_f64_e32 v[7:8], v[2:3]
	s_waitcnt_depctr 0xfff
	v_fma_f64 v[9:10], -v[2:3], v[7:8], 1.0
	v_fma_f64 v[7:8], v[7:8], v[9:10], v[7:8]
	s_delay_alu instid0(VALU_DEP_1) | instskip(NEXT) | instid1(VALU_DEP_1)
	v_fma_f64 v[9:10], -v[2:3], v[7:8], 1.0
	v_fma_f64 v[7:8], v[7:8], v[9:10], v[7:8]
	v_div_scale_f64 v[9:10], vcc_lo, 1.0, v[0:1], 1.0
	s_delay_alu instid0(VALU_DEP_1) | instskip(NEXT) | instid1(VALU_DEP_1)
	v_mul_f64 v[11:12], v[9:10], v[7:8]
	v_fma_f64 v[2:3], -v[2:3], v[11:12], v[9:10]
	s_delay_alu instid0(VALU_DEP_1) | instskip(NEXT) | instid1(VALU_DEP_1)
	v_div_fmas_f64 v[2:3], v[2:3], v[7:8], v[11:12]
	v_div_fixup_f64 v[2:3], v[2:3], v[0:1], 1.0
	s_delay_alu instid0(VALU_DEP_1)
	v_mul_f64 v[0:1], v[5:6], v[2:3]
	v_xor_b32_e32 v3, 0x80000000, v3
.LBB120_179:
	s_and_not1_saveexec_b32 s2, s2
	s_cbranch_execz .LBB120_181
; %bb.180:
	s_delay_alu instid0(VALU_DEP_1) | instskip(SKIP_1) | instid1(VALU_DEP_2)
	v_div_scale_f64 v[5:6], null, v[0:1], v[0:1], v[2:3]
	v_div_scale_f64 v[11:12], vcc_lo, v[2:3], v[0:1], v[2:3]
	v_rcp_f64_e32 v[7:8], v[5:6]
	s_waitcnt_depctr 0xfff
	v_fma_f64 v[9:10], -v[5:6], v[7:8], 1.0
	s_delay_alu instid0(VALU_DEP_1) | instskip(NEXT) | instid1(VALU_DEP_1)
	v_fma_f64 v[7:8], v[7:8], v[9:10], v[7:8]
	v_fma_f64 v[9:10], -v[5:6], v[7:8], 1.0
	s_delay_alu instid0(VALU_DEP_1) | instskip(NEXT) | instid1(VALU_DEP_1)
	v_fma_f64 v[7:8], v[7:8], v[9:10], v[7:8]
	v_mul_f64 v[9:10], v[11:12], v[7:8]
	s_delay_alu instid0(VALU_DEP_1) | instskip(NEXT) | instid1(VALU_DEP_1)
	v_fma_f64 v[5:6], -v[5:6], v[9:10], v[11:12]
	v_div_fmas_f64 v[5:6], v[5:6], v[7:8], v[9:10]
	s_delay_alu instid0(VALU_DEP_1) | instskip(NEXT) | instid1(VALU_DEP_1)
	v_div_fixup_f64 v[5:6], v[5:6], v[0:1], v[2:3]
	v_fma_f64 v[0:1], v[2:3], v[5:6], v[0:1]
	s_delay_alu instid0(VALU_DEP_1) | instskip(NEXT) | instid1(VALU_DEP_1)
	v_div_scale_f64 v[2:3], null, v[0:1], v[0:1], 1.0
	v_rcp_f64_e32 v[7:8], v[2:3]
	s_waitcnt_depctr 0xfff
	v_fma_f64 v[9:10], -v[2:3], v[7:8], 1.0
	s_delay_alu instid0(VALU_DEP_1) | instskip(NEXT) | instid1(VALU_DEP_1)
	v_fma_f64 v[7:8], v[7:8], v[9:10], v[7:8]
	v_fma_f64 v[9:10], -v[2:3], v[7:8], 1.0
	s_delay_alu instid0(VALU_DEP_1) | instskip(SKIP_1) | instid1(VALU_DEP_1)
	v_fma_f64 v[7:8], v[7:8], v[9:10], v[7:8]
	v_div_scale_f64 v[9:10], vcc_lo, 1.0, v[0:1], 1.0
	v_mul_f64 v[11:12], v[9:10], v[7:8]
	s_delay_alu instid0(VALU_DEP_1) | instskip(NEXT) | instid1(VALU_DEP_1)
	v_fma_f64 v[2:3], -v[2:3], v[11:12], v[9:10]
	v_div_fmas_f64 v[2:3], v[2:3], v[7:8], v[11:12]
	s_delay_alu instid0(VALU_DEP_1) | instskip(NEXT) | instid1(VALU_DEP_1)
	v_div_fixup_f64 v[0:1], v[2:3], v[0:1], 1.0
	v_mul_f64 v[2:3], v[5:6], -v[0:1]
.LBB120_181:
	s_or_b32 exec_lo, exec_lo, s2
.LBB120_182:
	s_delay_alu instid0(SALU_CYCLE_1) | instskip(NEXT) | instid1(SALU_CYCLE_1)
	s_or_b32 exec_lo, exec_lo, s3
	s_mov_b32 s2, exec_lo
	v_cmpx_ne_u32_e64 v38, v4
	s_xor_b32 s2, exec_lo, s2
	s_cbranch_execz .LBB120_188
; %bb.183:
	s_mov_b32 s3, exec_lo
	v_cmpx_eq_u32_e32 7, v38
	s_cbranch_execz .LBB120_187
; %bb.184:
	v_cmp_ne_u32_e32 vcc_lo, 7, v4
	s_xor_b32 s6, s4, -1
	s_delay_alu instid0(SALU_CYCLE_1) | instskip(NEXT) | instid1(SALU_CYCLE_1)
	s_and_b32 s7, s6, vcc_lo
	s_and_saveexec_b32 s6, s7
	s_cbranch_execz .LBB120_186
; %bb.185:
	v_ashrrev_i32_e32 v5, 31, v4
	s_delay_alu instid0(VALU_DEP_1) | instskip(NEXT) | instid1(VALU_DEP_1)
	v_lshlrev_b64 v[5:6], 2, v[4:5]
	v_add_co_u32 v5, vcc_lo, v18, v5
	s_delay_alu instid0(VALU_DEP_2)
	v_add_co_ci_u32_e32 v6, vcc_lo, v19, v6, vcc_lo
	s_clause 0x1
	flat_load_b32 v7, v[5:6]
	flat_load_b32 v8, v[18:19] offset:28
	s_waitcnt vmcnt(1) lgkmcnt(1)
	flat_store_b32 v[18:19], v7 offset:28
	s_waitcnt vmcnt(0) lgkmcnt(1)
	flat_store_b32 v[5:6], v8
.LBB120_186:
	s_or_b32 exec_lo, exec_lo, s6
	v_mov_b32_e32 v38, v4
	v_mov_b32_e32 v37, v4
.LBB120_187:
	s_or_b32 exec_lo, exec_lo, s3
.LBB120_188:
	s_and_not1_saveexec_b32 s2, s2
	s_cbranch_execz .LBB120_194
; %bb.189:
	v_add3_u32 v4, v36, 0, 0x80
	v_mov_b32_e32 v5, 0
	s_mov_b32 s3, 0
	s_branch .LBB120_191
.LBB120_190:                            ;   in Loop: Header=BB120_191 Depth=1
	s_and_not1_b32 vcc_lo, exec_lo, s7
	s_cbranch_vccz .LBB120_193
.LBB120_191:                            ; =>This Inner Loop Header: Depth=1
	s_delay_alu instid0(VALU_DEP_1) | instskip(SKIP_1) | instid1(VALU_DEP_2)
	v_readfirstlane_b32 s6, v5
	v_add_nc_u32_e32 v6, s3, v4
	s_add_i32 s6, s6, s3
	s_delay_alu instid0(SALU_CYCLE_1)
	s_add_i32 s7, s6, 0x80
	s_add_i32 s9, s6, 0x90
	;; [unrolled: 1-line block ×5, first 2 shown]
	s_clause 0x4
	scratch_load_b128 v[7:10], off, s7
	scratch_load_b128 v[11:14], off, s9
	;; [unrolled: 1-line block ×5, first 2 shown]
	s_mov_b32 s7, -1
	s_cmpk_eq_i32 s3, 0x300
	s_waitcnt vmcnt(4)
	ds_store_2addr_b64 v6, v[7:8], v[9:10] offset1:1
	s_waitcnt vmcnt(3)
	ds_store_2addr_b64 v6, v[11:12], v[13:14] offset0:2 offset1:3
	s_waitcnt vmcnt(2)
	ds_store_2addr_b64 v6, v[41:42], v[43:44] offset0:4 offset1:5
	;; [unrolled: 2-line block ×4, first 2 shown]
	s_cbranch_scc1 .LBB120_190
; %bb.192:                              ;   in Loop: Header=BB120_191 Depth=1
	s_add_i32 s7, s6, 0xd0
	s_add_i32 s9, s6, 0xe0
	s_addk_i32 s6, 0xf0
	s_clause 0x2
	scratch_load_b128 v[7:10], off, s7
	scratch_load_b128 v[11:14], off, s9
	;; [unrolled: 1-line block ×3, first 2 shown]
	s_addk_i32 s3, 0x80
	s_mov_b32 s7, 0
	s_waitcnt vmcnt(2)
	ds_store_2addr_b64 v6, v[7:8], v[9:10] offset0:10 offset1:11
	s_waitcnt vmcnt(1)
	ds_store_2addr_b64 v6, v[11:12], v[13:14] offset0:12 offset1:13
	;; [unrolled: 2-line block ×3, first 2 shown]
	s_branch .LBB120_190
.LBB120_193:
	v_mov_b32_e32 v38, 7
.LBB120_194:
	s_or_b32 exec_lo, exec_lo, s2
	s_delay_alu instid0(SALU_CYCLE_1)
	s_mov_b32 s2, exec_lo
	s_waitcnt lgkmcnt(0)
	s_waitcnt_vscnt null, 0x0
	s_barrier
	buffer_gl0_inv
	v_cmpx_lt_i32_e32 7, v38
	s_cbranch_execz .LBB120_199
; %bb.195:
	scratch_load_b128 v[4:7], off, off offset:112
	s_mov_b32 s3, 0
	s_waitcnt vmcnt(0)
	v_mul_f64 v[8:9], v[2:3], v[6:7]
	v_mul_f64 v[6:7], v[0:1], v[6:7]
	s_delay_alu instid0(VALU_DEP_2) | instskip(NEXT) | instid1(VALU_DEP_2)
	v_fma_f64 v[0:1], v[0:1], v[4:5], -v[8:9]
	v_fma_f64 v[2:3], v[2:3], v[4:5], v[6:7]
	v_add3_u32 v4, v36, 0, 0x80
	v_mov_b32_e32 v5, 0
	scratch_store_b128 off, v[0:3], off offset:112
	s_branch .LBB120_197
.LBB120_196:                            ;   in Loop: Header=BB120_197 Depth=1
	s_and_not1_b32 vcc_lo, exec_lo, s7
	s_cbranch_vccz .LBB120_199
.LBB120_197:                            ; =>This Inner Loop Header: Depth=1
	v_readfirstlane_b32 s6, v5
	v_add_nc_u32_e32 v6, s3, v4
	s_mov_b32 s7, -1
	s_delay_alu instid0(VALU_DEP_2)
	s_add_i32 s6, s6, s3
	ds_load_2addr_b64 v[11:14], v6 offset1:1
	s_add_i32 s9, s6, 0x80
	s_cmpk_eq_i32 s3, 0x340
	scratch_load_b128 v[7:10], off, s9
	s_waitcnt lgkmcnt(0)
	v_mul_f64 v[41:42], v[13:14], v[2:3]
	v_mul_f64 v[43:44], v[11:12], v[2:3]
	s_delay_alu instid0(VALU_DEP_2) | instskip(NEXT) | instid1(VALU_DEP_2)
	v_fma_f64 v[11:12], v[11:12], v[0:1], -v[41:42]
	v_fma_f64 v[13:14], v[13:14], v[0:1], v[43:44]
	s_waitcnt vmcnt(0)
	s_delay_alu instid0(VALU_DEP_2) | instskip(NEXT) | instid1(VALU_DEP_2)
	v_add_f64 v[7:8], v[7:8], -v[11:12]
	v_add_f64 v[9:10], v[9:10], -v[13:14]
	scratch_store_b128 off, v[7:10], s9
	s_cbranch_scc1 .LBB120_196
; %bb.198:                              ;   in Loop: Header=BB120_197 Depth=1
	s_add_i32 s9, s6, 0x90
	s_add_i32 s12, s6, 0xa0
	scratch_load_b128 v[7:10], off, s9
	s_addk_i32 s6, 0xb0
	s_clause 0x1
	scratch_load_b128 v[11:14], off, s12
	scratch_load_b128 v[41:44], off, s6
	ds_load_2addr_b64 v[45:48], v6 offset0:2 offset1:3
	ds_load_2addr_b64 v[57:60], v6 offset0:4 offset1:5
	;; [unrolled: 1-line block ×3, first 2 shown]
	s_add_i32 s3, s3, 64
	s_mov_b32 s7, 0
	s_waitcnt lgkmcnt(2)
	v_mul_f64 v[49:50], v[47:48], v[2:3]
	v_mul_f64 v[53:54], v[45:46], v[2:3]
	s_waitcnt lgkmcnt(1)
	v_mul_f64 v[65:66], v[59:60], v[2:3]
	v_mul_f64 v[69:70], v[57:58], v[2:3]
	;; [unrolled: 3-line block ×3, first 2 shown]
	v_fma_f64 v[45:46], v[45:46], v[0:1], -v[49:50]
	v_fma_f64 v[47:48], v[47:48], v[0:1], v[53:54]
	v_fma_f64 v[49:50], v[57:58], v[0:1], -v[65:66]
	v_fma_f64 v[53:54], v[59:60], v[0:1], v[69:70]
	;; [unrolled: 2-line block ×3, first 2 shown]
	s_waitcnt vmcnt(2)
	v_add_f64 v[6:7], v[7:8], -v[45:46]
	v_add_f64 v[8:9], v[9:10], -v[47:48]
	s_waitcnt vmcnt(1)
	v_add_f64 v[10:11], v[11:12], -v[49:50]
	v_add_f64 v[12:13], v[13:14], -v[53:54]
	;; [unrolled: 3-line block ×3, first 2 shown]
	s_clause 0x2
	scratch_store_b128 off, v[6:9], s9
	scratch_store_b128 off, v[10:13], s12
	scratch_store_b128 off, v[41:44], s6
	s_branch .LBB120_196
.LBB120_199:
	s_or_b32 exec_lo, exec_lo, s2
	s_waitcnt_vscnt null, 0x0
	s_barrier
	buffer_gl0_inv
	scratch_load_b128 v[0:3], v34, off
	v_lshl_add_u32 v4, v38, 4, v20
	s_cmp_lt_i32 s5, 10
	s_waitcnt vmcnt(0)
	ds_store_2addr_b64 v4, v[0:1], v[2:3] offset1:1
	s_waitcnt lgkmcnt(0)
	s_barrier
	buffer_gl0_inv
	ds_load_2addr_b64 v[0:3], v20 offset0:16 offset1:17
	v_mov_b32_e32 v4, 8
	s_cbranch_scc1 .LBB120_202
; %bb.200:
	v_add3_u32 v5, v36, 0, 0x90
	v_mov_b32_e32 v4, 8
	s_mov_b32 s6, 9
	s_set_inst_prefetch_distance 0x1
	.p2align	6
.LBB120_201:                            ; =>This Inner Loop Header: Depth=1
	ds_load_2addr_b64 v[6:9], v5 offset1:1
	s_waitcnt lgkmcnt(1)
	v_cmp_gt_f64_e32 vcc_lo, 0, v[0:1]
	v_xor_b32_e32 v10, 0x80000000, v1
	v_cmp_gt_f64_e64 s2, 0, v[2:3]
	v_xor_b32_e32 v12, 0x80000000, v3
	v_add_nc_u32_e32 v5, 16, v5
	s_waitcnt lgkmcnt(0)
	v_cmp_gt_f64_e64 s3, 0, v[6:7]
	v_dual_mov_b32 v41, v8 :: v_dual_mov_b32 v14, v6
	v_cndmask_b32_e32 v11, v1, v10, vcc_lo
	v_xor_b32_e32 v10, 0x80000000, v7
	v_cndmask_b32_e64 v13, v3, v12, s2
	v_xor_b32_e32 v12, 0x80000000, v9
	s_delay_alu instid0(VALU_DEP_3) | instskip(SKIP_2) | instid1(VALU_DEP_2)
	v_cndmask_b32_e64 v15, v7, v10, s3
	v_cmp_gt_f64_e64 s3, 0, v[8:9]
	v_cndmask_b32_e32 v10, v0, v0, vcc_lo
	v_cndmask_b32_e64 v42, v9, v12, s3
	v_cndmask_b32_e64 v12, v2, v2, s2
	s_delay_alu instid0(VALU_DEP_2) | instskip(NEXT) | instid1(VALU_DEP_2)
	v_add_f64 v[14:15], v[14:15], v[41:42]
	v_add_f64 v[10:11], v[10:11], v[12:13]
	s_delay_alu instid0(VALU_DEP_1) | instskip(SKIP_4) | instid1(SALU_CYCLE_1)
	v_cmp_lt_f64_e32 vcc_lo, v[10:11], v[14:15]
	v_dual_cndmask_b32 v1, v1, v7 :: v_dual_cndmask_b32 v0, v0, v6
	v_dual_cndmask_b32 v3, v3, v9 :: v_dual_cndmask_b32 v2, v2, v8
	v_cndmask_b32_e64 v4, v4, s6, vcc_lo
	s_add_i32 s6, s6, 1
	s_cmp_lg_u32 s5, s6
	s_cbranch_scc1 .LBB120_201
.LBB120_202:
	s_set_inst_prefetch_distance 0x2
	s_waitcnt lgkmcnt(0)
	v_cmp_eq_f64_e32 vcc_lo, 0, v[0:1]
	v_cmp_eq_f64_e64 s2, 0, v[2:3]
	s_delay_alu instid0(VALU_DEP_1) | instskip(NEXT) | instid1(SALU_CYCLE_1)
	s_and_b32 s2, vcc_lo, s2
	s_and_saveexec_b32 s3, s2
	s_delay_alu instid0(SALU_CYCLE_1)
	s_xor_b32 s2, exec_lo, s3
; %bb.203:
	v_cmp_ne_u32_e32 vcc_lo, 0, v35
	v_cndmask_b32_e32 v35, 9, v35, vcc_lo
; %bb.204:
	s_and_not1_saveexec_b32 s3, s2
	s_cbranch_execz .LBB120_210
; %bb.205:
	v_cmp_gt_f64_e32 vcc_lo, 0, v[0:1]
	v_cmp_gt_f64_e64 s2, 0, v[2:3]
	v_xor_b32_e32 v5, 0x80000000, v1
	v_xor_b32_e32 v7, 0x80000000, v3
	s_delay_alu instid0(VALU_DEP_2) | instskip(NEXT) | instid1(VALU_DEP_2)
	v_dual_cndmask_b32 v6, v1, v5 :: v_dual_cndmask_b32 v5, v0, v0
	v_cndmask_b32_e64 v8, v3, v7, s2
	v_cndmask_b32_e64 v7, v2, v2, s2
	s_mov_b32 s2, exec_lo
	s_delay_alu instid0(VALU_DEP_1)
	v_cmpx_ngt_f64_e32 v[5:6], v[7:8]
	s_xor_b32 s2, exec_lo, s2
	s_cbranch_execz .LBB120_207
; %bb.206:
	v_div_scale_f64 v[5:6], null, v[2:3], v[2:3], v[0:1]
	v_div_scale_f64 v[11:12], vcc_lo, v[0:1], v[2:3], v[0:1]
	s_delay_alu instid0(VALU_DEP_2) | instskip(SKIP_2) | instid1(VALU_DEP_1)
	v_rcp_f64_e32 v[7:8], v[5:6]
	s_waitcnt_depctr 0xfff
	v_fma_f64 v[9:10], -v[5:6], v[7:8], 1.0
	v_fma_f64 v[7:8], v[7:8], v[9:10], v[7:8]
	s_delay_alu instid0(VALU_DEP_1) | instskip(NEXT) | instid1(VALU_DEP_1)
	v_fma_f64 v[9:10], -v[5:6], v[7:8], 1.0
	v_fma_f64 v[7:8], v[7:8], v[9:10], v[7:8]
	s_delay_alu instid0(VALU_DEP_1) | instskip(NEXT) | instid1(VALU_DEP_1)
	v_mul_f64 v[9:10], v[11:12], v[7:8]
	v_fma_f64 v[5:6], -v[5:6], v[9:10], v[11:12]
	s_delay_alu instid0(VALU_DEP_1) | instskip(NEXT) | instid1(VALU_DEP_1)
	v_div_fmas_f64 v[5:6], v[5:6], v[7:8], v[9:10]
	v_div_fixup_f64 v[5:6], v[5:6], v[2:3], v[0:1]
	s_delay_alu instid0(VALU_DEP_1) | instskip(NEXT) | instid1(VALU_DEP_1)
	v_fma_f64 v[0:1], v[0:1], v[5:6], v[2:3]
	v_div_scale_f64 v[2:3], null, v[0:1], v[0:1], 1.0
	s_delay_alu instid0(VALU_DEP_1) | instskip(SKIP_2) | instid1(VALU_DEP_1)
	v_rcp_f64_e32 v[7:8], v[2:3]
	s_waitcnt_depctr 0xfff
	v_fma_f64 v[9:10], -v[2:3], v[7:8], 1.0
	v_fma_f64 v[7:8], v[7:8], v[9:10], v[7:8]
	s_delay_alu instid0(VALU_DEP_1) | instskip(NEXT) | instid1(VALU_DEP_1)
	v_fma_f64 v[9:10], -v[2:3], v[7:8], 1.0
	v_fma_f64 v[7:8], v[7:8], v[9:10], v[7:8]
	v_div_scale_f64 v[9:10], vcc_lo, 1.0, v[0:1], 1.0
	s_delay_alu instid0(VALU_DEP_1) | instskip(NEXT) | instid1(VALU_DEP_1)
	v_mul_f64 v[11:12], v[9:10], v[7:8]
	v_fma_f64 v[2:3], -v[2:3], v[11:12], v[9:10]
	s_delay_alu instid0(VALU_DEP_1) | instskip(NEXT) | instid1(VALU_DEP_1)
	v_div_fmas_f64 v[2:3], v[2:3], v[7:8], v[11:12]
	v_div_fixup_f64 v[2:3], v[2:3], v[0:1], 1.0
	s_delay_alu instid0(VALU_DEP_1)
	v_mul_f64 v[0:1], v[5:6], v[2:3]
	v_xor_b32_e32 v3, 0x80000000, v3
.LBB120_207:
	s_and_not1_saveexec_b32 s2, s2
	s_cbranch_execz .LBB120_209
; %bb.208:
	s_delay_alu instid0(VALU_DEP_1) | instskip(SKIP_1) | instid1(VALU_DEP_2)
	v_div_scale_f64 v[5:6], null, v[0:1], v[0:1], v[2:3]
	v_div_scale_f64 v[11:12], vcc_lo, v[2:3], v[0:1], v[2:3]
	v_rcp_f64_e32 v[7:8], v[5:6]
	s_waitcnt_depctr 0xfff
	v_fma_f64 v[9:10], -v[5:6], v[7:8], 1.0
	s_delay_alu instid0(VALU_DEP_1) | instskip(NEXT) | instid1(VALU_DEP_1)
	v_fma_f64 v[7:8], v[7:8], v[9:10], v[7:8]
	v_fma_f64 v[9:10], -v[5:6], v[7:8], 1.0
	s_delay_alu instid0(VALU_DEP_1) | instskip(NEXT) | instid1(VALU_DEP_1)
	v_fma_f64 v[7:8], v[7:8], v[9:10], v[7:8]
	v_mul_f64 v[9:10], v[11:12], v[7:8]
	s_delay_alu instid0(VALU_DEP_1) | instskip(NEXT) | instid1(VALU_DEP_1)
	v_fma_f64 v[5:6], -v[5:6], v[9:10], v[11:12]
	v_div_fmas_f64 v[5:6], v[5:6], v[7:8], v[9:10]
	s_delay_alu instid0(VALU_DEP_1) | instskip(NEXT) | instid1(VALU_DEP_1)
	v_div_fixup_f64 v[5:6], v[5:6], v[0:1], v[2:3]
	v_fma_f64 v[0:1], v[2:3], v[5:6], v[0:1]
	s_delay_alu instid0(VALU_DEP_1) | instskip(NEXT) | instid1(VALU_DEP_1)
	v_div_scale_f64 v[2:3], null, v[0:1], v[0:1], 1.0
	v_rcp_f64_e32 v[7:8], v[2:3]
	s_waitcnt_depctr 0xfff
	v_fma_f64 v[9:10], -v[2:3], v[7:8], 1.0
	s_delay_alu instid0(VALU_DEP_1) | instskip(NEXT) | instid1(VALU_DEP_1)
	v_fma_f64 v[7:8], v[7:8], v[9:10], v[7:8]
	v_fma_f64 v[9:10], -v[2:3], v[7:8], 1.0
	s_delay_alu instid0(VALU_DEP_1) | instskip(SKIP_1) | instid1(VALU_DEP_1)
	v_fma_f64 v[7:8], v[7:8], v[9:10], v[7:8]
	v_div_scale_f64 v[9:10], vcc_lo, 1.0, v[0:1], 1.0
	v_mul_f64 v[11:12], v[9:10], v[7:8]
	s_delay_alu instid0(VALU_DEP_1) | instskip(NEXT) | instid1(VALU_DEP_1)
	v_fma_f64 v[2:3], -v[2:3], v[11:12], v[9:10]
	v_div_fmas_f64 v[2:3], v[2:3], v[7:8], v[11:12]
	s_delay_alu instid0(VALU_DEP_1) | instskip(NEXT) | instid1(VALU_DEP_1)
	v_div_fixup_f64 v[0:1], v[2:3], v[0:1], 1.0
	v_mul_f64 v[2:3], v[5:6], -v[0:1]
.LBB120_209:
	s_or_b32 exec_lo, exec_lo, s2
.LBB120_210:
	s_delay_alu instid0(SALU_CYCLE_1) | instskip(NEXT) | instid1(SALU_CYCLE_1)
	s_or_b32 exec_lo, exec_lo, s3
	s_mov_b32 s2, exec_lo
	v_cmpx_ne_u32_e64 v38, v4
	s_xor_b32 s2, exec_lo, s2
	s_cbranch_execz .LBB120_216
; %bb.211:
	s_mov_b32 s3, exec_lo
	v_cmpx_eq_u32_e32 8, v38
	s_cbranch_execz .LBB120_215
; %bb.212:
	v_cmp_ne_u32_e32 vcc_lo, 8, v4
	s_xor_b32 s6, s4, -1
	s_delay_alu instid0(SALU_CYCLE_1) | instskip(NEXT) | instid1(SALU_CYCLE_1)
	s_and_b32 s7, s6, vcc_lo
	s_and_saveexec_b32 s6, s7
	s_cbranch_execz .LBB120_214
; %bb.213:
	v_ashrrev_i32_e32 v5, 31, v4
	s_delay_alu instid0(VALU_DEP_1) | instskip(NEXT) | instid1(VALU_DEP_1)
	v_lshlrev_b64 v[5:6], 2, v[4:5]
	v_add_co_u32 v5, vcc_lo, v18, v5
	s_delay_alu instid0(VALU_DEP_2)
	v_add_co_ci_u32_e32 v6, vcc_lo, v19, v6, vcc_lo
	s_clause 0x1
	flat_load_b32 v7, v[5:6]
	flat_load_b32 v8, v[18:19] offset:32
	s_waitcnt vmcnt(1) lgkmcnt(1)
	flat_store_b32 v[18:19], v7 offset:32
	s_waitcnt vmcnt(0) lgkmcnt(1)
	flat_store_b32 v[5:6], v8
.LBB120_214:
	s_or_b32 exec_lo, exec_lo, s6
	v_mov_b32_e32 v38, v4
	v_mov_b32_e32 v37, v4
.LBB120_215:
	s_or_b32 exec_lo, exec_lo, s3
.LBB120_216:
	s_and_not1_saveexec_b32 s2, s2
	s_cbranch_execz .LBB120_220
; %bb.217:
	v_add3_u32 v4, v36, 0, 0x90
	v_mov_b32_e32 v5, 0
	s_mov_b32 s3, 0
.LBB120_218:                            ; =>This Inner Loop Header: Depth=1
	s_delay_alu instid0(VALU_DEP_1) | instskip(NEXT) | instid1(VALU_DEP_3)
	v_readfirstlane_b32 s6, v5
	v_add_nc_u32_e32 v14, s3, v4
	s_delay_alu instid0(VALU_DEP_2)
	s_add_i32 s6, s6, s3
	s_addk_i32 s3, 0xd0
	s_add_i32 s7, s6, 0x90
	s_add_i32 s9, s6, 0xa0
	;; [unrolled: 1-line block ×12, first 2 shown]
	s_addk_i32 s6, 0x150
	s_clause 0xc
	scratch_load_b128 v[6:9], off, s7
	scratch_load_b128 v[10:13], off, s9
	scratch_load_b128 v[41:44], off, s12
	scratch_load_b128 v[45:48], off, s14
	scratch_load_b128 v[57:60], off, s15
	scratch_load_b128 v[61:64], off, s16
	scratch_load_b128 v[73:76], off, s17
	scratch_load_b128 v[129:132], off, s18
	scratch_load_b128 v[164:167], off, s19
	scratch_load_b128 v[168:171], off, s20
	scratch_load_b128 v[172:175], off, s21
	scratch_load_b128 v[176:179], off, s22
	scratch_load_b128 v[180:183], off, s6
	s_cmpk_eq_i32 s3, 0x340
	s_waitcnt vmcnt(12)
	ds_store_2addr_b64 v14, v[6:7], v[8:9] offset1:1
	s_waitcnt vmcnt(11)
	ds_store_2addr_b64 v14, v[10:11], v[12:13] offset0:2 offset1:3
	s_waitcnt vmcnt(10)
	ds_store_2addr_b64 v14, v[41:42], v[43:44] offset0:4 offset1:5
	;; [unrolled: 2-line block ×12, first 2 shown]
	s_cbranch_scc0 .LBB120_218
; %bb.219:
	v_mov_b32_e32 v38, 8
.LBB120_220:
	s_or_b32 exec_lo, exec_lo, s2
	s_delay_alu instid0(SALU_CYCLE_1)
	s_mov_b32 s2, exec_lo
	s_waitcnt lgkmcnt(0)
	s_waitcnt_vscnt null, 0x0
	s_barrier
	buffer_gl0_inv
	v_cmpx_lt_i32_e32 8, v38
	s_cbranch_execz .LBB120_223
; %bb.221:
	scratch_load_b128 v[4:7], off, off offset:128
	s_mov_b32 s3, 0
	s_waitcnt vmcnt(0)
	v_mul_f64 v[8:9], v[2:3], v[6:7]
	v_mul_f64 v[6:7], v[0:1], v[6:7]
	s_delay_alu instid0(VALU_DEP_2) | instskip(NEXT) | instid1(VALU_DEP_2)
	v_fma_f64 v[0:1], v[0:1], v[4:5], -v[8:9]
	v_fma_f64 v[2:3], v[2:3], v[4:5], v[6:7]
	v_add3_u32 v4, v36, 0, 0x90
	v_mov_b32_e32 v5, 0
	scratch_store_b128 off, v[0:3], off offset:128
.LBB120_222:                            ; =>This Inner Loop Header: Depth=1
	v_readfirstlane_b32 s6, v5
	v_add_nc_u32_e32 v14, s3, v4
	s_delay_alu instid0(VALU_DEP_2)
	s_add_i32 s6, s6, s3
	s_add_i32 s3, s3, 64
	;; [unrolled: 1-line block ×5, first 2 shown]
	s_addk_i32 s6, 0xc0
	s_clause 0x3
	scratch_load_b128 v[6:9], off, s7
	scratch_load_b128 v[10:13], off, s9
	;; [unrolled: 1-line block ×4, first 2 shown]
	ds_load_2addr_b64 v[57:60], v14 offset1:1
	ds_load_2addr_b64 v[61:64], v14 offset0:2 offset1:3
	ds_load_2addr_b64 v[73:76], v14 offset0:4 offset1:5
	;; [unrolled: 1-line block ×3, first 2 shown]
	s_cmpk_lg_i32 s3, 0x340
	s_waitcnt lgkmcnt(3)
	v_mul_f64 v[14:15], v[59:60], v[2:3]
	v_mul_f64 v[49:50], v[57:58], v[2:3]
	s_waitcnt lgkmcnt(2)
	v_mul_f64 v[53:54], v[63:64], v[2:3]
	v_mul_f64 v[65:66], v[61:62], v[2:3]
	;; [unrolled: 3-line block ×4, first 2 shown]
	v_fma_f64 v[14:15], v[57:58], v[0:1], -v[14:15]
	v_fma_f64 v[49:50], v[59:60], v[0:1], v[49:50]
	v_fma_f64 v[53:54], v[61:62], v[0:1], -v[53:54]
	v_fma_f64 v[57:58], v[63:64], v[0:1], v[65:66]
	;; [unrolled: 2-line block ×4, first 2 shown]
	s_waitcnt vmcnt(3)
	v_add_f64 v[6:7], v[6:7], -v[14:15]
	v_add_f64 v[8:9], v[8:9], -v[49:50]
	s_waitcnt vmcnt(2)
	v_add_f64 v[10:11], v[10:11], -v[53:54]
	v_add_f64 v[12:13], v[12:13], -v[57:58]
	;; [unrolled: 3-line block ×4, first 2 shown]
	s_clause 0x3
	scratch_store_b128 off, v[6:9], s7
	scratch_store_b128 off, v[10:13], s9
	scratch_store_b128 off, v[41:44], s12
	scratch_store_b128 off, v[45:48], s6
	s_cbranch_scc1 .LBB120_222
.LBB120_223:
	s_or_b32 exec_lo, exec_lo, s2
	s_waitcnt_vscnt null, 0x0
	s_barrier
	buffer_gl0_inv
	scratch_load_b128 v[0:3], v33, off
	v_lshl_add_u32 v4, v38, 4, v20
	s_cmp_lt_i32 s5, 11
	s_waitcnt vmcnt(0)
	ds_store_2addr_b64 v4, v[0:1], v[2:3] offset1:1
	s_waitcnt lgkmcnt(0)
	s_barrier
	buffer_gl0_inv
	ds_load_2addr_b64 v[0:3], v20 offset0:18 offset1:19
	v_mov_b32_e32 v4, 9
	s_cbranch_scc1 .LBB120_226
; %bb.224:
	v_add3_u32 v5, v36, 0, 0xa0
	v_mov_b32_e32 v4, 9
	s_mov_b32 s6, 10
	s_set_inst_prefetch_distance 0x1
	.p2align	6
.LBB120_225:                            ; =>This Inner Loop Header: Depth=1
	ds_load_2addr_b64 v[6:9], v5 offset1:1
	s_waitcnt lgkmcnt(1)
	v_cmp_gt_f64_e32 vcc_lo, 0, v[0:1]
	v_xor_b32_e32 v10, 0x80000000, v1
	v_cmp_gt_f64_e64 s2, 0, v[2:3]
	v_xor_b32_e32 v12, 0x80000000, v3
	v_add_nc_u32_e32 v5, 16, v5
	s_waitcnt lgkmcnt(0)
	v_cmp_gt_f64_e64 s3, 0, v[6:7]
	v_dual_mov_b32 v41, v8 :: v_dual_mov_b32 v14, v6
	v_cndmask_b32_e32 v11, v1, v10, vcc_lo
	v_xor_b32_e32 v10, 0x80000000, v7
	v_cndmask_b32_e64 v13, v3, v12, s2
	v_xor_b32_e32 v12, 0x80000000, v9
	s_delay_alu instid0(VALU_DEP_3) | instskip(SKIP_2) | instid1(VALU_DEP_2)
	v_cndmask_b32_e64 v15, v7, v10, s3
	v_cmp_gt_f64_e64 s3, 0, v[8:9]
	v_cndmask_b32_e32 v10, v0, v0, vcc_lo
	v_cndmask_b32_e64 v42, v9, v12, s3
	v_cndmask_b32_e64 v12, v2, v2, s2
	s_delay_alu instid0(VALU_DEP_2) | instskip(NEXT) | instid1(VALU_DEP_2)
	v_add_f64 v[14:15], v[14:15], v[41:42]
	v_add_f64 v[10:11], v[10:11], v[12:13]
	s_delay_alu instid0(VALU_DEP_1) | instskip(SKIP_4) | instid1(SALU_CYCLE_1)
	v_cmp_lt_f64_e32 vcc_lo, v[10:11], v[14:15]
	v_dual_cndmask_b32 v1, v1, v7 :: v_dual_cndmask_b32 v0, v0, v6
	v_dual_cndmask_b32 v3, v3, v9 :: v_dual_cndmask_b32 v2, v2, v8
	v_cndmask_b32_e64 v4, v4, s6, vcc_lo
	s_add_i32 s6, s6, 1
	s_cmp_lg_u32 s5, s6
	s_cbranch_scc1 .LBB120_225
.LBB120_226:
	s_set_inst_prefetch_distance 0x2
	s_waitcnt lgkmcnt(0)
	v_cmp_eq_f64_e32 vcc_lo, 0, v[0:1]
	v_cmp_eq_f64_e64 s2, 0, v[2:3]
	s_delay_alu instid0(VALU_DEP_1) | instskip(NEXT) | instid1(SALU_CYCLE_1)
	s_and_b32 s2, vcc_lo, s2
	s_and_saveexec_b32 s3, s2
	s_delay_alu instid0(SALU_CYCLE_1)
	s_xor_b32 s2, exec_lo, s3
; %bb.227:
	v_cmp_ne_u32_e32 vcc_lo, 0, v35
	v_cndmask_b32_e32 v35, 10, v35, vcc_lo
; %bb.228:
	s_and_not1_saveexec_b32 s3, s2
	s_cbranch_execz .LBB120_234
; %bb.229:
	v_cmp_gt_f64_e32 vcc_lo, 0, v[0:1]
	v_cmp_gt_f64_e64 s2, 0, v[2:3]
	v_xor_b32_e32 v5, 0x80000000, v1
	v_xor_b32_e32 v7, 0x80000000, v3
	s_delay_alu instid0(VALU_DEP_2) | instskip(NEXT) | instid1(VALU_DEP_2)
	v_dual_cndmask_b32 v6, v1, v5 :: v_dual_cndmask_b32 v5, v0, v0
	v_cndmask_b32_e64 v8, v3, v7, s2
	v_cndmask_b32_e64 v7, v2, v2, s2
	s_mov_b32 s2, exec_lo
	s_delay_alu instid0(VALU_DEP_1)
	v_cmpx_ngt_f64_e32 v[5:6], v[7:8]
	s_xor_b32 s2, exec_lo, s2
	s_cbranch_execz .LBB120_231
; %bb.230:
	v_div_scale_f64 v[5:6], null, v[2:3], v[2:3], v[0:1]
	v_div_scale_f64 v[11:12], vcc_lo, v[0:1], v[2:3], v[0:1]
	s_delay_alu instid0(VALU_DEP_2) | instskip(SKIP_2) | instid1(VALU_DEP_1)
	v_rcp_f64_e32 v[7:8], v[5:6]
	s_waitcnt_depctr 0xfff
	v_fma_f64 v[9:10], -v[5:6], v[7:8], 1.0
	v_fma_f64 v[7:8], v[7:8], v[9:10], v[7:8]
	s_delay_alu instid0(VALU_DEP_1) | instskip(NEXT) | instid1(VALU_DEP_1)
	v_fma_f64 v[9:10], -v[5:6], v[7:8], 1.0
	v_fma_f64 v[7:8], v[7:8], v[9:10], v[7:8]
	s_delay_alu instid0(VALU_DEP_1) | instskip(NEXT) | instid1(VALU_DEP_1)
	v_mul_f64 v[9:10], v[11:12], v[7:8]
	v_fma_f64 v[5:6], -v[5:6], v[9:10], v[11:12]
	s_delay_alu instid0(VALU_DEP_1) | instskip(NEXT) | instid1(VALU_DEP_1)
	v_div_fmas_f64 v[5:6], v[5:6], v[7:8], v[9:10]
	v_div_fixup_f64 v[5:6], v[5:6], v[2:3], v[0:1]
	s_delay_alu instid0(VALU_DEP_1) | instskip(NEXT) | instid1(VALU_DEP_1)
	v_fma_f64 v[0:1], v[0:1], v[5:6], v[2:3]
	v_div_scale_f64 v[2:3], null, v[0:1], v[0:1], 1.0
	s_delay_alu instid0(VALU_DEP_1) | instskip(SKIP_2) | instid1(VALU_DEP_1)
	v_rcp_f64_e32 v[7:8], v[2:3]
	s_waitcnt_depctr 0xfff
	v_fma_f64 v[9:10], -v[2:3], v[7:8], 1.0
	v_fma_f64 v[7:8], v[7:8], v[9:10], v[7:8]
	s_delay_alu instid0(VALU_DEP_1) | instskip(NEXT) | instid1(VALU_DEP_1)
	v_fma_f64 v[9:10], -v[2:3], v[7:8], 1.0
	v_fma_f64 v[7:8], v[7:8], v[9:10], v[7:8]
	v_div_scale_f64 v[9:10], vcc_lo, 1.0, v[0:1], 1.0
	s_delay_alu instid0(VALU_DEP_1) | instskip(NEXT) | instid1(VALU_DEP_1)
	v_mul_f64 v[11:12], v[9:10], v[7:8]
	v_fma_f64 v[2:3], -v[2:3], v[11:12], v[9:10]
	s_delay_alu instid0(VALU_DEP_1) | instskip(NEXT) | instid1(VALU_DEP_1)
	v_div_fmas_f64 v[2:3], v[2:3], v[7:8], v[11:12]
	v_div_fixup_f64 v[2:3], v[2:3], v[0:1], 1.0
	s_delay_alu instid0(VALU_DEP_1)
	v_mul_f64 v[0:1], v[5:6], v[2:3]
	v_xor_b32_e32 v3, 0x80000000, v3
.LBB120_231:
	s_and_not1_saveexec_b32 s2, s2
	s_cbranch_execz .LBB120_233
; %bb.232:
	s_delay_alu instid0(VALU_DEP_1) | instskip(SKIP_1) | instid1(VALU_DEP_2)
	v_div_scale_f64 v[5:6], null, v[0:1], v[0:1], v[2:3]
	v_div_scale_f64 v[11:12], vcc_lo, v[2:3], v[0:1], v[2:3]
	v_rcp_f64_e32 v[7:8], v[5:6]
	s_waitcnt_depctr 0xfff
	v_fma_f64 v[9:10], -v[5:6], v[7:8], 1.0
	s_delay_alu instid0(VALU_DEP_1) | instskip(NEXT) | instid1(VALU_DEP_1)
	v_fma_f64 v[7:8], v[7:8], v[9:10], v[7:8]
	v_fma_f64 v[9:10], -v[5:6], v[7:8], 1.0
	s_delay_alu instid0(VALU_DEP_1) | instskip(NEXT) | instid1(VALU_DEP_1)
	v_fma_f64 v[7:8], v[7:8], v[9:10], v[7:8]
	v_mul_f64 v[9:10], v[11:12], v[7:8]
	s_delay_alu instid0(VALU_DEP_1) | instskip(NEXT) | instid1(VALU_DEP_1)
	v_fma_f64 v[5:6], -v[5:6], v[9:10], v[11:12]
	v_div_fmas_f64 v[5:6], v[5:6], v[7:8], v[9:10]
	s_delay_alu instid0(VALU_DEP_1) | instskip(NEXT) | instid1(VALU_DEP_1)
	v_div_fixup_f64 v[5:6], v[5:6], v[0:1], v[2:3]
	v_fma_f64 v[0:1], v[2:3], v[5:6], v[0:1]
	s_delay_alu instid0(VALU_DEP_1) | instskip(NEXT) | instid1(VALU_DEP_1)
	v_div_scale_f64 v[2:3], null, v[0:1], v[0:1], 1.0
	v_rcp_f64_e32 v[7:8], v[2:3]
	s_waitcnt_depctr 0xfff
	v_fma_f64 v[9:10], -v[2:3], v[7:8], 1.0
	s_delay_alu instid0(VALU_DEP_1) | instskip(NEXT) | instid1(VALU_DEP_1)
	v_fma_f64 v[7:8], v[7:8], v[9:10], v[7:8]
	v_fma_f64 v[9:10], -v[2:3], v[7:8], 1.0
	s_delay_alu instid0(VALU_DEP_1) | instskip(SKIP_1) | instid1(VALU_DEP_1)
	v_fma_f64 v[7:8], v[7:8], v[9:10], v[7:8]
	v_div_scale_f64 v[9:10], vcc_lo, 1.0, v[0:1], 1.0
	v_mul_f64 v[11:12], v[9:10], v[7:8]
	s_delay_alu instid0(VALU_DEP_1) | instskip(NEXT) | instid1(VALU_DEP_1)
	v_fma_f64 v[2:3], -v[2:3], v[11:12], v[9:10]
	v_div_fmas_f64 v[2:3], v[2:3], v[7:8], v[11:12]
	s_delay_alu instid0(VALU_DEP_1) | instskip(NEXT) | instid1(VALU_DEP_1)
	v_div_fixup_f64 v[0:1], v[2:3], v[0:1], 1.0
	v_mul_f64 v[2:3], v[5:6], -v[0:1]
.LBB120_233:
	s_or_b32 exec_lo, exec_lo, s2
.LBB120_234:
	s_delay_alu instid0(SALU_CYCLE_1) | instskip(NEXT) | instid1(SALU_CYCLE_1)
	s_or_b32 exec_lo, exec_lo, s3
	s_mov_b32 s2, exec_lo
	v_cmpx_ne_u32_e64 v38, v4
	s_xor_b32 s2, exec_lo, s2
	s_cbranch_execz .LBB120_240
; %bb.235:
	s_mov_b32 s3, exec_lo
	v_cmpx_eq_u32_e32 9, v38
	s_cbranch_execz .LBB120_239
; %bb.236:
	v_cmp_ne_u32_e32 vcc_lo, 9, v4
	s_xor_b32 s6, s4, -1
	s_delay_alu instid0(SALU_CYCLE_1) | instskip(NEXT) | instid1(SALU_CYCLE_1)
	s_and_b32 s7, s6, vcc_lo
	s_and_saveexec_b32 s6, s7
	s_cbranch_execz .LBB120_238
; %bb.237:
	v_ashrrev_i32_e32 v5, 31, v4
	s_delay_alu instid0(VALU_DEP_1) | instskip(NEXT) | instid1(VALU_DEP_1)
	v_lshlrev_b64 v[5:6], 2, v[4:5]
	v_add_co_u32 v5, vcc_lo, v18, v5
	s_delay_alu instid0(VALU_DEP_2)
	v_add_co_ci_u32_e32 v6, vcc_lo, v19, v6, vcc_lo
	s_clause 0x1
	flat_load_b32 v7, v[5:6]
	flat_load_b32 v8, v[18:19] offset:36
	s_waitcnt vmcnt(1) lgkmcnt(1)
	flat_store_b32 v[18:19], v7 offset:36
	s_waitcnt vmcnt(0) lgkmcnt(1)
	flat_store_b32 v[5:6], v8
.LBB120_238:
	s_or_b32 exec_lo, exec_lo, s6
	v_mov_b32_e32 v38, v4
	v_mov_b32_e32 v37, v4
.LBB120_239:
	s_or_b32 exec_lo, exec_lo, s3
.LBB120_240:
	s_and_not1_saveexec_b32 s2, s2
	s_cbranch_execz .LBB120_244
; %bb.241:
	v_add3_u32 v4, v36, 0, 0xa0
	v_mov_b32_e32 v5, 0
	s_mov_b32 s3, 0
.LBB120_242:                            ; =>This Inner Loop Header: Depth=1
	s_delay_alu instid0(VALU_DEP_1) | instskip(NEXT) | instid1(VALU_DEP_3)
	v_readfirstlane_b32 s6, v5
	v_add_nc_u32_e32 v14, s3, v4
	s_delay_alu instid0(VALU_DEP_2)
	s_add_i32 s6, s6, s3
	s_addk_i32 s3, 0x110
	s_add_i32 s7, s6, 0xa0
	s_add_i32 s9, s6, 0xb0
	;; [unrolled: 1-line block ×16, first 2 shown]
	s_addk_i32 s6, 0x1a0
	s_clause 0x10
	scratch_load_b128 v[6:9], off, s7
	scratch_load_b128 v[10:13], off, s9
	;; [unrolled: 1-line block ×17, first 2 shown]
	s_cmpk_eq_i32 s3, 0x330
	s_waitcnt vmcnt(16)
	ds_store_2addr_b64 v14, v[6:7], v[8:9] offset1:1
	s_waitcnt vmcnt(15)
	ds_store_2addr_b64 v14, v[10:11], v[12:13] offset0:2 offset1:3
	s_waitcnt vmcnt(14)
	ds_store_2addr_b64 v14, v[41:42], v[43:44] offset0:4 offset1:5
	;; [unrolled: 2-line block ×16, first 2 shown]
	s_cbranch_scc0 .LBB120_242
; %bb.243:
	v_mov_b32_e32 v38, 9
.LBB120_244:
	s_or_b32 exec_lo, exec_lo, s2
	s_delay_alu instid0(SALU_CYCLE_1)
	s_mov_b32 s2, exec_lo
	s_waitcnt lgkmcnt(0)
	s_waitcnt_vscnt null, 0x0
	s_barrier
	buffer_gl0_inv
	v_cmpx_lt_i32_e32 9, v38
	s_cbranch_execz .LBB120_247
; %bb.245:
	scratch_load_b128 v[4:7], off, off offset:144
	s_mov_b32 s3, 0
	s_waitcnt vmcnt(0)
	v_mul_f64 v[8:9], v[2:3], v[6:7]
	v_mul_f64 v[6:7], v[0:1], v[6:7]
	s_delay_alu instid0(VALU_DEP_2) | instskip(NEXT) | instid1(VALU_DEP_2)
	v_fma_f64 v[0:1], v[0:1], v[4:5], -v[8:9]
	v_fma_f64 v[2:3], v[2:3], v[4:5], v[6:7]
	v_add3_u32 v4, v36, 0, 0xa0
	v_mov_b32_e32 v5, 0
	scratch_store_b128 off, v[0:3], off offset:144
.LBB120_246:                            ; =>This Inner Loop Header: Depth=1
	v_readfirstlane_b32 s6, v5
	v_add_nc_u32_e32 v14, s3, v4
	s_delay_alu instid0(VALU_DEP_2)
	s_add_i32 s6, s6, s3
	s_add_i32 s3, s3, 48
	;; [unrolled: 1-line block ×4, first 2 shown]
	s_addk_i32 s6, 0xc0
	s_clause 0x2
	scratch_load_b128 v[6:9], off, s7
	scratch_load_b128 v[10:13], off, s9
	;; [unrolled: 1-line block ×3, first 2 shown]
	ds_load_2addr_b64 v[45:48], v14 offset1:1
	ds_load_2addr_b64 v[57:60], v14 offset0:2 offset1:3
	ds_load_2addr_b64 v[61:64], v14 offset0:4 offset1:5
	s_cmpk_lg_i32 s3, 0x330
	s_waitcnt lgkmcnt(2)
	v_mul_f64 v[14:15], v[47:48], v[2:3]
	v_mul_f64 v[49:50], v[45:46], v[2:3]
	s_waitcnt lgkmcnt(1)
	v_mul_f64 v[53:54], v[59:60], v[2:3]
	v_mul_f64 v[65:66], v[57:58], v[2:3]
	;; [unrolled: 3-line block ×3, first 2 shown]
	v_fma_f64 v[14:15], v[45:46], v[0:1], -v[14:15]
	v_fma_f64 v[45:46], v[47:48], v[0:1], v[49:50]
	v_fma_f64 v[47:48], v[57:58], v[0:1], -v[53:54]
	v_fma_f64 v[49:50], v[59:60], v[0:1], v[65:66]
	;; [unrolled: 2-line block ×3, first 2 shown]
	s_waitcnt vmcnt(2)
	v_add_f64 v[6:7], v[6:7], -v[14:15]
	v_add_f64 v[8:9], v[8:9], -v[45:46]
	s_waitcnt vmcnt(1)
	v_add_f64 v[10:11], v[10:11], -v[47:48]
	v_add_f64 v[12:13], v[12:13], -v[49:50]
	;; [unrolled: 3-line block ×3, first 2 shown]
	s_clause 0x2
	scratch_store_b128 off, v[6:9], s7
	scratch_store_b128 off, v[10:13], s9
	;; [unrolled: 1-line block ×3, first 2 shown]
	s_cbranch_scc1 .LBB120_246
.LBB120_247:
	s_or_b32 exec_lo, exec_lo, s2
	s_waitcnt_vscnt null, 0x0
	s_barrier
	buffer_gl0_inv
	scratch_load_b128 v[0:3], v27, off
	v_lshl_add_u32 v4, v38, 4, v20
	s_cmp_lt_i32 s5, 12
	s_waitcnt vmcnt(0)
	ds_store_2addr_b64 v4, v[0:1], v[2:3] offset1:1
	s_waitcnt lgkmcnt(0)
	s_barrier
	buffer_gl0_inv
	ds_load_2addr_b64 v[0:3], v20 offset0:20 offset1:21
	v_mov_b32_e32 v4, 10
	s_cbranch_scc1 .LBB120_250
; %bb.248:
	v_add3_u32 v5, v36, 0, 0xb0
	v_mov_b32_e32 v4, 10
	s_mov_b32 s6, 11
	s_set_inst_prefetch_distance 0x1
	.p2align	6
.LBB120_249:                            ; =>This Inner Loop Header: Depth=1
	ds_load_2addr_b64 v[6:9], v5 offset1:1
	s_waitcnt lgkmcnt(1)
	v_cmp_gt_f64_e32 vcc_lo, 0, v[0:1]
	v_xor_b32_e32 v10, 0x80000000, v1
	v_cmp_gt_f64_e64 s2, 0, v[2:3]
	v_xor_b32_e32 v12, 0x80000000, v3
	v_add_nc_u32_e32 v5, 16, v5
	s_waitcnt lgkmcnt(0)
	v_cmp_gt_f64_e64 s3, 0, v[6:7]
	v_dual_mov_b32 v41, v8 :: v_dual_mov_b32 v14, v6
	v_cndmask_b32_e32 v11, v1, v10, vcc_lo
	v_xor_b32_e32 v10, 0x80000000, v7
	v_cndmask_b32_e64 v13, v3, v12, s2
	v_xor_b32_e32 v12, 0x80000000, v9
	s_delay_alu instid0(VALU_DEP_3) | instskip(SKIP_2) | instid1(VALU_DEP_2)
	v_cndmask_b32_e64 v15, v7, v10, s3
	v_cmp_gt_f64_e64 s3, 0, v[8:9]
	v_cndmask_b32_e32 v10, v0, v0, vcc_lo
	v_cndmask_b32_e64 v42, v9, v12, s3
	v_cndmask_b32_e64 v12, v2, v2, s2
	s_delay_alu instid0(VALU_DEP_2) | instskip(NEXT) | instid1(VALU_DEP_2)
	v_add_f64 v[14:15], v[14:15], v[41:42]
	v_add_f64 v[10:11], v[10:11], v[12:13]
	s_delay_alu instid0(VALU_DEP_1) | instskip(SKIP_4) | instid1(SALU_CYCLE_1)
	v_cmp_lt_f64_e32 vcc_lo, v[10:11], v[14:15]
	v_dual_cndmask_b32 v1, v1, v7 :: v_dual_cndmask_b32 v0, v0, v6
	v_dual_cndmask_b32 v3, v3, v9 :: v_dual_cndmask_b32 v2, v2, v8
	v_cndmask_b32_e64 v4, v4, s6, vcc_lo
	s_add_i32 s6, s6, 1
	s_cmp_lg_u32 s5, s6
	s_cbranch_scc1 .LBB120_249
.LBB120_250:
	s_set_inst_prefetch_distance 0x2
	s_waitcnt lgkmcnt(0)
	v_cmp_eq_f64_e32 vcc_lo, 0, v[0:1]
	v_cmp_eq_f64_e64 s2, 0, v[2:3]
	s_delay_alu instid0(VALU_DEP_1) | instskip(NEXT) | instid1(SALU_CYCLE_1)
	s_and_b32 s2, vcc_lo, s2
	s_and_saveexec_b32 s3, s2
	s_delay_alu instid0(SALU_CYCLE_1)
	s_xor_b32 s2, exec_lo, s3
; %bb.251:
	v_cmp_ne_u32_e32 vcc_lo, 0, v35
	v_cndmask_b32_e32 v35, 11, v35, vcc_lo
; %bb.252:
	s_and_not1_saveexec_b32 s3, s2
	s_cbranch_execz .LBB120_258
; %bb.253:
	v_cmp_gt_f64_e32 vcc_lo, 0, v[0:1]
	v_cmp_gt_f64_e64 s2, 0, v[2:3]
	v_xor_b32_e32 v5, 0x80000000, v1
	v_xor_b32_e32 v7, 0x80000000, v3
	s_delay_alu instid0(VALU_DEP_2) | instskip(NEXT) | instid1(VALU_DEP_2)
	v_dual_cndmask_b32 v6, v1, v5 :: v_dual_cndmask_b32 v5, v0, v0
	v_cndmask_b32_e64 v8, v3, v7, s2
	v_cndmask_b32_e64 v7, v2, v2, s2
	s_mov_b32 s2, exec_lo
	s_delay_alu instid0(VALU_DEP_1)
	v_cmpx_ngt_f64_e32 v[5:6], v[7:8]
	s_xor_b32 s2, exec_lo, s2
	s_cbranch_execz .LBB120_255
; %bb.254:
	v_div_scale_f64 v[5:6], null, v[2:3], v[2:3], v[0:1]
	v_div_scale_f64 v[11:12], vcc_lo, v[0:1], v[2:3], v[0:1]
	s_delay_alu instid0(VALU_DEP_2) | instskip(SKIP_2) | instid1(VALU_DEP_1)
	v_rcp_f64_e32 v[7:8], v[5:6]
	s_waitcnt_depctr 0xfff
	v_fma_f64 v[9:10], -v[5:6], v[7:8], 1.0
	v_fma_f64 v[7:8], v[7:8], v[9:10], v[7:8]
	s_delay_alu instid0(VALU_DEP_1) | instskip(NEXT) | instid1(VALU_DEP_1)
	v_fma_f64 v[9:10], -v[5:6], v[7:8], 1.0
	v_fma_f64 v[7:8], v[7:8], v[9:10], v[7:8]
	s_delay_alu instid0(VALU_DEP_1) | instskip(NEXT) | instid1(VALU_DEP_1)
	v_mul_f64 v[9:10], v[11:12], v[7:8]
	v_fma_f64 v[5:6], -v[5:6], v[9:10], v[11:12]
	s_delay_alu instid0(VALU_DEP_1) | instskip(NEXT) | instid1(VALU_DEP_1)
	v_div_fmas_f64 v[5:6], v[5:6], v[7:8], v[9:10]
	v_div_fixup_f64 v[5:6], v[5:6], v[2:3], v[0:1]
	s_delay_alu instid0(VALU_DEP_1) | instskip(NEXT) | instid1(VALU_DEP_1)
	v_fma_f64 v[0:1], v[0:1], v[5:6], v[2:3]
	v_div_scale_f64 v[2:3], null, v[0:1], v[0:1], 1.0
	s_delay_alu instid0(VALU_DEP_1) | instskip(SKIP_2) | instid1(VALU_DEP_1)
	v_rcp_f64_e32 v[7:8], v[2:3]
	s_waitcnt_depctr 0xfff
	v_fma_f64 v[9:10], -v[2:3], v[7:8], 1.0
	v_fma_f64 v[7:8], v[7:8], v[9:10], v[7:8]
	s_delay_alu instid0(VALU_DEP_1) | instskip(NEXT) | instid1(VALU_DEP_1)
	v_fma_f64 v[9:10], -v[2:3], v[7:8], 1.0
	v_fma_f64 v[7:8], v[7:8], v[9:10], v[7:8]
	v_div_scale_f64 v[9:10], vcc_lo, 1.0, v[0:1], 1.0
	s_delay_alu instid0(VALU_DEP_1) | instskip(NEXT) | instid1(VALU_DEP_1)
	v_mul_f64 v[11:12], v[9:10], v[7:8]
	v_fma_f64 v[2:3], -v[2:3], v[11:12], v[9:10]
	s_delay_alu instid0(VALU_DEP_1) | instskip(NEXT) | instid1(VALU_DEP_1)
	v_div_fmas_f64 v[2:3], v[2:3], v[7:8], v[11:12]
	v_div_fixup_f64 v[2:3], v[2:3], v[0:1], 1.0
	s_delay_alu instid0(VALU_DEP_1)
	v_mul_f64 v[0:1], v[5:6], v[2:3]
	v_xor_b32_e32 v3, 0x80000000, v3
.LBB120_255:
	s_and_not1_saveexec_b32 s2, s2
	s_cbranch_execz .LBB120_257
; %bb.256:
	s_delay_alu instid0(VALU_DEP_1) | instskip(SKIP_1) | instid1(VALU_DEP_2)
	v_div_scale_f64 v[5:6], null, v[0:1], v[0:1], v[2:3]
	v_div_scale_f64 v[11:12], vcc_lo, v[2:3], v[0:1], v[2:3]
	v_rcp_f64_e32 v[7:8], v[5:6]
	s_waitcnt_depctr 0xfff
	v_fma_f64 v[9:10], -v[5:6], v[7:8], 1.0
	s_delay_alu instid0(VALU_DEP_1) | instskip(NEXT) | instid1(VALU_DEP_1)
	v_fma_f64 v[7:8], v[7:8], v[9:10], v[7:8]
	v_fma_f64 v[9:10], -v[5:6], v[7:8], 1.0
	s_delay_alu instid0(VALU_DEP_1) | instskip(NEXT) | instid1(VALU_DEP_1)
	v_fma_f64 v[7:8], v[7:8], v[9:10], v[7:8]
	v_mul_f64 v[9:10], v[11:12], v[7:8]
	s_delay_alu instid0(VALU_DEP_1) | instskip(NEXT) | instid1(VALU_DEP_1)
	v_fma_f64 v[5:6], -v[5:6], v[9:10], v[11:12]
	v_div_fmas_f64 v[5:6], v[5:6], v[7:8], v[9:10]
	s_delay_alu instid0(VALU_DEP_1) | instskip(NEXT) | instid1(VALU_DEP_1)
	v_div_fixup_f64 v[5:6], v[5:6], v[0:1], v[2:3]
	v_fma_f64 v[0:1], v[2:3], v[5:6], v[0:1]
	s_delay_alu instid0(VALU_DEP_1) | instskip(NEXT) | instid1(VALU_DEP_1)
	v_div_scale_f64 v[2:3], null, v[0:1], v[0:1], 1.0
	v_rcp_f64_e32 v[7:8], v[2:3]
	s_waitcnt_depctr 0xfff
	v_fma_f64 v[9:10], -v[2:3], v[7:8], 1.0
	s_delay_alu instid0(VALU_DEP_1) | instskip(NEXT) | instid1(VALU_DEP_1)
	v_fma_f64 v[7:8], v[7:8], v[9:10], v[7:8]
	v_fma_f64 v[9:10], -v[2:3], v[7:8], 1.0
	s_delay_alu instid0(VALU_DEP_1) | instskip(SKIP_1) | instid1(VALU_DEP_1)
	v_fma_f64 v[7:8], v[7:8], v[9:10], v[7:8]
	v_div_scale_f64 v[9:10], vcc_lo, 1.0, v[0:1], 1.0
	v_mul_f64 v[11:12], v[9:10], v[7:8]
	s_delay_alu instid0(VALU_DEP_1) | instskip(NEXT) | instid1(VALU_DEP_1)
	v_fma_f64 v[2:3], -v[2:3], v[11:12], v[9:10]
	v_div_fmas_f64 v[2:3], v[2:3], v[7:8], v[11:12]
	s_delay_alu instid0(VALU_DEP_1) | instskip(NEXT) | instid1(VALU_DEP_1)
	v_div_fixup_f64 v[0:1], v[2:3], v[0:1], 1.0
	v_mul_f64 v[2:3], v[5:6], -v[0:1]
.LBB120_257:
	s_or_b32 exec_lo, exec_lo, s2
.LBB120_258:
	s_delay_alu instid0(SALU_CYCLE_1) | instskip(NEXT) | instid1(SALU_CYCLE_1)
	s_or_b32 exec_lo, exec_lo, s3
	s_mov_b32 s2, exec_lo
	v_cmpx_ne_u32_e64 v38, v4
	s_xor_b32 s2, exec_lo, s2
	s_cbranch_execz .LBB120_264
; %bb.259:
	s_mov_b32 s3, exec_lo
	v_cmpx_eq_u32_e32 10, v38
	s_cbranch_execz .LBB120_263
; %bb.260:
	v_cmp_ne_u32_e32 vcc_lo, 10, v4
	s_xor_b32 s6, s4, -1
	s_delay_alu instid0(SALU_CYCLE_1) | instskip(NEXT) | instid1(SALU_CYCLE_1)
	s_and_b32 s7, s6, vcc_lo
	s_and_saveexec_b32 s6, s7
	s_cbranch_execz .LBB120_262
; %bb.261:
	v_ashrrev_i32_e32 v5, 31, v4
	s_delay_alu instid0(VALU_DEP_1) | instskip(NEXT) | instid1(VALU_DEP_1)
	v_lshlrev_b64 v[5:6], 2, v[4:5]
	v_add_co_u32 v5, vcc_lo, v18, v5
	s_delay_alu instid0(VALU_DEP_2)
	v_add_co_ci_u32_e32 v6, vcc_lo, v19, v6, vcc_lo
	s_clause 0x1
	flat_load_b32 v7, v[5:6]
	flat_load_b32 v8, v[18:19] offset:40
	s_waitcnt vmcnt(1) lgkmcnt(1)
	flat_store_b32 v[18:19], v7 offset:40
	s_waitcnt vmcnt(0) lgkmcnt(1)
	flat_store_b32 v[5:6], v8
.LBB120_262:
	s_or_b32 exec_lo, exec_lo, s6
	v_mov_b32_e32 v38, v4
	v_mov_b32_e32 v37, v4
.LBB120_263:
	s_or_b32 exec_lo, exec_lo, s3
.LBB120_264:
	s_and_not1_saveexec_b32 s2, s2
	s_cbranch_execz .LBB120_268
; %bb.265:
	v_add3_u32 v4, v36, 0, 0xb0
	v_mov_b32_e32 v5, 0
	s_mov_b32 s3, 0
.LBB120_266:                            ; =>This Inner Loop Header: Depth=1
	s_delay_alu instid0(VALU_DEP_1) | instskip(NEXT) | instid1(VALU_DEP_3)
	v_readfirstlane_b32 s6, v5
	v_add_nc_u32_e32 v14, s3, v4
	s_delay_alu instid0(VALU_DEP_2)
	s_add_i32 s6, s6, s3
	s_addk_i32 s3, 0xa0
	s_add_i32 s7, s6, 0xb0
	s_add_i32 s9, s6, 0xc0
	;; [unrolled: 1-line block ×9, first 2 shown]
	s_addk_i32 s6, 0x140
	s_clause 0x9
	scratch_load_b128 v[6:9], off, s7
	scratch_load_b128 v[10:13], off, s9
	;; [unrolled: 1-line block ×10, first 2 shown]
	s_cmpk_eq_i32 s3, 0x320
	s_waitcnt vmcnt(9)
	ds_store_2addr_b64 v14, v[6:7], v[8:9] offset1:1
	s_waitcnt vmcnt(8)
	ds_store_2addr_b64 v14, v[10:11], v[12:13] offset0:2 offset1:3
	s_waitcnt vmcnt(7)
	ds_store_2addr_b64 v14, v[41:42], v[43:44] offset0:4 offset1:5
	;; [unrolled: 2-line block ×9, first 2 shown]
	s_cbranch_scc0 .LBB120_266
; %bb.267:
	v_mov_b32_e32 v38, 10
.LBB120_268:
	s_or_b32 exec_lo, exec_lo, s2
	s_delay_alu instid0(SALU_CYCLE_1)
	s_mov_b32 s2, exec_lo
	s_waitcnt lgkmcnt(0)
	s_waitcnt_vscnt null, 0x0
	s_barrier
	buffer_gl0_inv
	v_cmpx_lt_i32_e32 10, v38
	s_cbranch_execz .LBB120_271
; %bb.269:
	scratch_load_b128 v[4:7], off, off offset:160
	s_mov_b32 s3, 0
	s_waitcnt vmcnt(0)
	v_mul_f64 v[8:9], v[2:3], v[6:7]
	v_mul_f64 v[6:7], v[0:1], v[6:7]
	s_delay_alu instid0(VALU_DEP_2) | instskip(NEXT) | instid1(VALU_DEP_2)
	v_fma_f64 v[0:1], v[0:1], v[4:5], -v[8:9]
	v_fma_f64 v[2:3], v[2:3], v[4:5], v[6:7]
	v_add3_u32 v4, v36, 0, 0xb0
	v_mov_b32_e32 v5, 0
	scratch_store_b128 off, v[0:3], off offset:160
.LBB120_270:                            ; =>This Inner Loop Header: Depth=1
	v_readfirstlane_b32 s6, v5
	v_add_nc_u32_e32 v14, s3, v4
	s_delay_alu instid0(VALU_DEP_2)
	s_add_i32 s6, s6, s3
	s_addk_i32 s3, 0x50
	s_add_i32 s7, s6, 0xb0
	s_add_i32 s9, s6, 0xc0
	;; [unrolled: 1-line block ×4, first 2 shown]
	s_addk_i32 s6, 0xf0
	s_clause 0x4
	scratch_load_b128 v[6:9], off, s7
	scratch_load_b128 v[10:13], off, s9
	;; [unrolled: 1-line block ×5, first 2 shown]
	ds_load_2addr_b64 v[61:64], v14 offset1:1
	ds_load_2addr_b64 v[73:76], v14 offset0:2 offset1:3
	ds_load_2addr_b64 v[129:132], v14 offset0:4 offset1:5
	;; [unrolled: 1-line block ×4, first 2 shown]
	s_cmpk_lg_i32 s3, 0x320
	s_waitcnt lgkmcnt(4)
	v_mul_f64 v[14:15], v[63:64], v[2:3]
	v_mul_f64 v[49:50], v[61:62], v[2:3]
	s_waitcnt lgkmcnt(3)
	v_mul_f64 v[53:54], v[75:76], v[2:3]
	v_mul_f64 v[65:66], v[73:74], v[2:3]
	;; [unrolled: 3-line block ×5, first 2 shown]
	v_fma_f64 v[14:15], v[61:62], v[0:1], -v[14:15]
	v_fma_f64 v[49:50], v[63:64], v[0:1], v[49:50]
	v_fma_f64 v[53:54], v[73:74], v[0:1], -v[53:54]
	v_fma_f64 v[61:62], v[75:76], v[0:1], v[65:66]
	;; [unrolled: 2-line block ×5, first 2 shown]
	s_waitcnt vmcnt(4)
	v_add_f64 v[6:7], v[6:7], -v[14:15]
	v_add_f64 v[8:9], v[8:9], -v[49:50]
	s_waitcnt vmcnt(3)
	v_add_f64 v[10:11], v[10:11], -v[53:54]
	v_add_f64 v[12:13], v[12:13], -v[61:62]
	;; [unrolled: 3-line block ×5, first 2 shown]
	s_clause 0x4
	scratch_store_b128 off, v[6:9], s7
	scratch_store_b128 off, v[10:13], s9
	;; [unrolled: 1-line block ×5, first 2 shown]
	s_cbranch_scc1 .LBB120_270
.LBB120_271:
	s_or_b32 exec_lo, exec_lo, s2
	s_waitcnt_vscnt null, 0x0
	s_barrier
	buffer_gl0_inv
	scratch_load_b128 v[0:3], v26, off
	v_lshl_add_u32 v4, v38, 4, v20
	s_cmp_lt_i32 s5, 13
	s_waitcnt vmcnt(0)
	ds_store_2addr_b64 v4, v[0:1], v[2:3] offset1:1
	s_waitcnt lgkmcnt(0)
	s_barrier
	buffer_gl0_inv
	ds_load_2addr_b64 v[0:3], v20 offset0:22 offset1:23
	v_mov_b32_e32 v4, 11
	s_cbranch_scc1 .LBB120_274
; %bb.272:
	v_add3_u32 v5, v36, 0, 0xc0
	v_mov_b32_e32 v4, 11
	s_mov_b32 s6, 12
	s_set_inst_prefetch_distance 0x1
	.p2align	6
.LBB120_273:                            ; =>This Inner Loop Header: Depth=1
	ds_load_2addr_b64 v[6:9], v5 offset1:1
	s_waitcnt lgkmcnt(1)
	v_cmp_gt_f64_e32 vcc_lo, 0, v[0:1]
	v_xor_b32_e32 v10, 0x80000000, v1
	v_cmp_gt_f64_e64 s2, 0, v[2:3]
	v_xor_b32_e32 v12, 0x80000000, v3
	v_add_nc_u32_e32 v5, 16, v5
	s_waitcnt lgkmcnt(0)
	v_cmp_gt_f64_e64 s3, 0, v[6:7]
	v_dual_mov_b32 v41, v8 :: v_dual_mov_b32 v14, v6
	v_cndmask_b32_e32 v11, v1, v10, vcc_lo
	v_xor_b32_e32 v10, 0x80000000, v7
	v_cndmask_b32_e64 v13, v3, v12, s2
	v_xor_b32_e32 v12, 0x80000000, v9
	s_delay_alu instid0(VALU_DEP_3) | instskip(SKIP_2) | instid1(VALU_DEP_2)
	v_cndmask_b32_e64 v15, v7, v10, s3
	v_cmp_gt_f64_e64 s3, 0, v[8:9]
	v_cndmask_b32_e32 v10, v0, v0, vcc_lo
	v_cndmask_b32_e64 v42, v9, v12, s3
	v_cndmask_b32_e64 v12, v2, v2, s2
	s_delay_alu instid0(VALU_DEP_2) | instskip(NEXT) | instid1(VALU_DEP_2)
	v_add_f64 v[14:15], v[14:15], v[41:42]
	v_add_f64 v[10:11], v[10:11], v[12:13]
	s_delay_alu instid0(VALU_DEP_1) | instskip(SKIP_4) | instid1(SALU_CYCLE_1)
	v_cmp_lt_f64_e32 vcc_lo, v[10:11], v[14:15]
	v_dual_cndmask_b32 v1, v1, v7 :: v_dual_cndmask_b32 v0, v0, v6
	v_dual_cndmask_b32 v3, v3, v9 :: v_dual_cndmask_b32 v2, v2, v8
	v_cndmask_b32_e64 v4, v4, s6, vcc_lo
	s_add_i32 s6, s6, 1
	s_cmp_lg_u32 s5, s6
	s_cbranch_scc1 .LBB120_273
.LBB120_274:
	s_set_inst_prefetch_distance 0x2
	s_waitcnt lgkmcnt(0)
	v_cmp_eq_f64_e32 vcc_lo, 0, v[0:1]
	v_cmp_eq_f64_e64 s2, 0, v[2:3]
	s_delay_alu instid0(VALU_DEP_1) | instskip(NEXT) | instid1(SALU_CYCLE_1)
	s_and_b32 s2, vcc_lo, s2
	s_and_saveexec_b32 s3, s2
	s_delay_alu instid0(SALU_CYCLE_1)
	s_xor_b32 s2, exec_lo, s3
; %bb.275:
	v_cmp_ne_u32_e32 vcc_lo, 0, v35
	v_cndmask_b32_e32 v35, 12, v35, vcc_lo
; %bb.276:
	s_and_not1_saveexec_b32 s3, s2
	s_cbranch_execz .LBB120_282
; %bb.277:
	v_cmp_gt_f64_e32 vcc_lo, 0, v[0:1]
	v_cmp_gt_f64_e64 s2, 0, v[2:3]
	v_xor_b32_e32 v5, 0x80000000, v1
	v_xor_b32_e32 v7, 0x80000000, v3
	s_delay_alu instid0(VALU_DEP_2) | instskip(NEXT) | instid1(VALU_DEP_2)
	v_dual_cndmask_b32 v6, v1, v5 :: v_dual_cndmask_b32 v5, v0, v0
	v_cndmask_b32_e64 v8, v3, v7, s2
	v_cndmask_b32_e64 v7, v2, v2, s2
	s_mov_b32 s2, exec_lo
	s_delay_alu instid0(VALU_DEP_1)
	v_cmpx_ngt_f64_e32 v[5:6], v[7:8]
	s_xor_b32 s2, exec_lo, s2
	s_cbranch_execz .LBB120_279
; %bb.278:
	v_div_scale_f64 v[5:6], null, v[2:3], v[2:3], v[0:1]
	v_div_scale_f64 v[11:12], vcc_lo, v[0:1], v[2:3], v[0:1]
	s_delay_alu instid0(VALU_DEP_2) | instskip(SKIP_2) | instid1(VALU_DEP_1)
	v_rcp_f64_e32 v[7:8], v[5:6]
	s_waitcnt_depctr 0xfff
	v_fma_f64 v[9:10], -v[5:6], v[7:8], 1.0
	v_fma_f64 v[7:8], v[7:8], v[9:10], v[7:8]
	s_delay_alu instid0(VALU_DEP_1) | instskip(NEXT) | instid1(VALU_DEP_1)
	v_fma_f64 v[9:10], -v[5:6], v[7:8], 1.0
	v_fma_f64 v[7:8], v[7:8], v[9:10], v[7:8]
	s_delay_alu instid0(VALU_DEP_1) | instskip(NEXT) | instid1(VALU_DEP_1)
	v_mul_f64 v[9:10], v[11:12], v[7:8]
	v_fma_f64 v[5:6], -v[5:6], v[9:10], v[11:12]
	s_delay_alu instid0(VALU_DEP_1) | instskip(NEXT) | instid1(VALU_DEP_1)
	v_div_fmas_f64 v[5:6], v[5:6], v[7:8], v[9:10]
	v_div_fixup_f64 v[5:6], v[5:6], v[2:3], v[0:1]
	s_delay_alu instid0(VALU_DEP_1) | instskip(NEXT) | instid1(VALU_DEP_1)
	v_fma_f64 v[0:1], v[0:1], v[5:6], v[2:3]
	v_div_scale_f64 v[2:3], null, v[0:1], v[0:1], 1.0
	s_delay_alu instid0(VALU_DEP_1) | instskip(SKIP_2) | instid1(VALU_DEP_1)
	v_rcp_f64_e32 v[7:8], v[2:3]
	s_waitcnt_depctr 0xfff
	v_fma_f64 v[9:10], -v[2:3], v[7:8], 1.0
	v_fma_f64 v[7:8], v[7:8], v[9:10], v[7:8]
	s_delay_alu instid0(VALU_DEP_1) | instskip(NEXT) | instid1(VALU_DEP_1)
	v_fma_f64 v[9:10], -v[2:3], v[7:8], 1.0
	v_fma_f64 v[7:8], v[7:8], v[9:10], v[7:8]
	v_div_scale_f64 v[9:10], vcc_lo, 1.0, v[0:1], 1.0
	s_delay_alu instid0(VALU_DEP_1) | instskip(NEXT) | instid1(VALU_DEP_1)
	v_mul_f64 v[11:12], v[9:10], v[7:8]
	v_fma_f64 v[2:3], -v[2:3], v[11:12], v[9:10]
	s_delay_alu instid0(VALU_DEP_1) | instskip(NEXT) | instid1(VALU_DEP_1)
	v_div_fmas_f64 v[2:3], v[2:3], v[7:8], v[11:12]
	v_div_fixup_f64 v[2:3], v[2:3], v[0:1], 1.0
	s_delay_alu instid0(VALU_DEP_1)
	v_mul_f64 v[0:1], v[5:6], v[2:3]
	v_xor_b32_e32 v3, 0x80000000, v3
.LBB120_279:
	s_and_not1_saveexec_b32 s2, s2
	s_cbranch_execz .LBB120_281
; %bb.280:
	s_delay_alu instid0(VALU_DEP_1) | instskip(SKIP_1) | instid1(VALU_DEP_2)
	v_div_scale_f64 v[5:6], null, v[0:1], v[0:1], v[2:3]
	v_div_scale_f64 v[11:12], vcc_lo, v[2:3], v[0:1], v[2:3]
	v_rcp_f64_e32 v[7:8], v[5:6]
	s_waitcnt_depctr 0xfff
	v_fma_f64 v[9:10], -v[5:6], v[7:8], 1.0
	s_delay_alu instid0(VALU_DEP_1) | instskip(NEXT) | instid1(VALU_DEP_1)
	v_fma_f64 v[7:8], v[7:8], v[9:10], v[7:8]
	v_fma_f64 v[9:10], -v[5:6], v[7:8], 1.0
	s_delay_alu instid0(VALU_DEP_1) | instskip(NEXT) | instid1(VALU_DEP_1)
	v_fma_f64 v[7:8], v[7:8], v[9:10], v[7:8]
	v_mul_f64 v[9:10], v[11:12], v[7:8]
	s_delay_alu instid0(VALU_DEP_1) | instskip(NEXT) | instid1(VALU_DEP_1)
	v_fma_f64 v[5:6], -v[5:6], v[9:10], v[11:12]
	v_div_fmas_f64 v[5:6], v[5:6], v[7:8], v[9:10]
	s_delay_alu instid0(VALU_DEP_1) | instskip(NEXT) | instid1(VALU_DEP_1)
	v_div_fixup_f64 v[5:6], v[5:6], v[0:1], v[2:3]
	v_fma_f64 v[0:1], v[2:3], v[5:6], v[0:1]
	s_delay_alu instid0(VALU_DEP_1) | instskip(NEXT) | instid1(VALU_DEP_1)
	v_div_scale_f64 v[2:3], null, v[0:1], v[0:1], 1.0
	v_rcp_f64_e32 v[7:8], v[2:3]
	s_waitcnt_depctr 0xfff
	v_fma_f64 v[9:10], -v[2:3], v[7:8], 1.0
	s_delay_alu instid0(VALU_DEP_1) | instskip(NEXT) | instid1(VALU_DEP_1)
	v_fma_f64 v[7:8], v[7:8], v[9:10], v[7:8]
	v_fma_f64 v[9:10], -v[2:3], v[7:8], 1.0
	s_delay_alu instid0(VALU_DEP_1) | instskip(SKIP_1) | instid1(VALU_DEP_1)
	v_fma_f64 v[7:8], v[7:8], v[9:10], v[7:8]
	v_div_scale_f64 v[9:10], vcc_lo, 1.0, v[0:1], 1.0
	v_mul_f64 v[11:12], v[9:10], v[7:8]
	s_delay_alu instid0(VALU_DEP_1) | instskip(NEXT) | instid1(VALU_DEP_1)
	v_fma_f64 v[2:3], -v[2:3], v[11:12], v[9:10]
	v_div_fmas_f64 v[2:3], v[2:3], v[7:8], v[11:12]
	s_delay_alu instid0(VALU_DEP_1) | instskip(NEXT) | instid1(VALU_DEP_1)
	v_div_fixup_f64 v[0:1], v[2:3], v[0:1], 1.0
	v_mul_f64 v[2:3], v[5:6], -v[0:1]
.LBB120_281:
	s_or_b32 exec_lo, exec_lo, s2
.LBB120_282:
	s_delay_alu instid0(SALU_CYCLE_1) | instskip(NEXT) | instid1(SALU_CYCLE_1)
	s_or_b32 exec_lo, exec_lo, s3
	s_mov_b32 s2, exec_lo
	v_cmpx_ne_u32_e64 v38, v4
	s_xor_b32 s2, exec_lo, s2
	s_cbranch_execz .LBB120_288
; %bb.283:
	s_mov_b32 s3, exec_lo
	v_cmpx_eq_u32_e32 11, v38
	s_cbranch_execz .LBB120_287
; %bb.284:
	v_cmp_ne_u32_e32 vcc_lo, 11, v4
	s_xor_b32 s6, s4, -1
	s_delay_alu instid0(SALU_CYCLE_1) | instskip(NEXT) | instid1(SALU_CYCLE_1)
	s_and_b32 s7, s6, vcc_lo
	s_and_saveexec_b32 s6, s7
	s_cbranch_execz .LBB120_286
; %bb.285:
	v_ashrrev_i32_e32 v5, 31, v4
	s_delay_alu instid0(VALU_DEP_1) | instskip(NEXT) | instid1(VALU_DEP_1)
	v_lshlrev_b64 v[5:6], 2, v[4:5]
	v_add_co_u32 v5, vcc_lo, v18, v5
	s_delay_alu instid0(VALU_DEP_2)
	v_add_co_ci_u32_e32 v6, vcc_lo, v19, v6, vcc_lo
	s_clause 0x1
	flat_load_b32 v7, v[5:6]
	flat_load_b32 v8, v[18:19] offset:44
	s_waitcnt vmcnt(1) lgkmcnt(1)
	flat_store_b32 v[18:19], v7 offset:44
	s_waitcnt vmcnt(0) lgkmcnt(1)
	flat_store_b32 v[5:6], v8
.LBB120_286:
	s_or_b32 exec_lo, exec_lo, s6
	v_mov_b32_e32 v38, v4
	v_mov_b32_e32 v37, v4
.LBB120_287:
	s_or_b32 exec_lo, exec_lo, s3
.LBB120_288:
	s_and_not1_saveexec_b32 s2, s2
	s_cbranch_execz .LBB120_292
; %bb.289:
	v_add3_u32 v4, v36, 0, 0xc0
	v_mov_b32_e32 v5, 0
	s_mov_b32 s3, 0
	s_set_inst_prefetch_distance 0x1
	.p2align	6
.LBB120_290:                            ; =>This Inner Loop Header: Depth=1
	s_delay_alu instid0(VALU_DEP_1) | instskip(SKIP_1) | instid1(VALU_DEP_2)
	v_readfirstlane_b32 s6, v5
	v_add_nc_u32_e32 v14, s3, v4
	s_add_i32 s6, s6, s3
	s_addk_i32 s3, 0x70
	s_add_i32 s7, s6, 0xc0
	s_add_i32 s9, s6, 0xd0
	;; [unrolled: 1-line block ×6, first 2 shown]
	s_addk_i32 s6, 0x120
	s_clause 0x6
	scratch_load_b128 v[6:9], off, s7
	scratch_load_b128 v[10:13], off, s9
	;; [unrolled: 1-line block ×7, first 2 shown]
	s_cmpk_eq_i32 s3, 0x310
	s_waitcnt vmcnt(6)
	ds_store_2addr_b64 v14, v[6:7], v[8:9] offset1:1
	s_waitcnt vmcnt(5)
	ds_store_2addr_b64 v14, v[10:11], v[12:13] offset0:2 offset1:3
	s_waitcnt vmcnt(4)
	ds_store_2addr_b64 v14, v[41:42], v[43:44] offset0:4 offset1:5
	;; [unrolled: 2-line block ×6, first 2 shown]
	s_cbranch_scc0 .LBB120_290
; %bb.291:
	s_set_inst_prefetch_distance 0x2
	v_mov_b32_e32 v38, 11
.LBB120_292:
	s_or_b32 exec_lo, exec_lo, s2
	s_delay_alu instid0(SALU_CYCLE_1)
	s_mov_b32 s2, exec_lo
	s_waitcnt lgkmcnt(0)
	s_waitcnt_vscnt null, 0x0
	s_barrier
	buffer_gl0_inv
	v_cmpx_lt_i32_e32 11, v38
	s_cbranch_execz .LBB120_295
; %bb.293:
	scratch_load_b128 v[4:7], off, off offset:176
	s_mov_b32 s3, 0
	s_waitcnt vmcnt(0)
	v_mul_f64 v[8:9], v[2:3], v[6:7]
	v_mul_f64 v[6:7], v[0:1], v[6:7]
	s_delay_alu instid0(VALU_DEP_2) | instskip(NEXT) | instid1(VALU_DEP_2)
	v_fma_f64 v[0:1], v[0:1], v[4:5], -v[8:9]
	v_fma_f64 v[2:3], v[2:3], v[4:5], v[6:7]
	v_add3_u32 v4, v36, 0, 0xc0
	v_mov_b32_e32 v5, 0
	scratch_store_b128 off, v[0:3], off offset:176
.LBB120_294:                            ; =>This Inner Loop Header: Depth=1
	v_add_nc_u32_e32 v39, s3, v4
	v_readfirstlane_b32 s6, v5
	ds_load_2addr_b64 v[6:9], v39 offset1:1
	ds_load_2addr_b64 v[10:13], v39 offset0:2 offset1:3
	ds_load_2addr_b64 v[41:44], v39 offset0:4 offset1:5
	;; [unrolled: 1-line block ×5, first 2 shown]
	s_add_i32 s6, s6, s3
	s_addk_i32 s3, 0x70
	s_add_i32 s7, s6, 0xc0
	s_add_i32 s9, s6, 0xd0
	;; [unrolled: 1-line block ×6, first 2 shown]
	s_addk_i32 s6, 0x120
	s_cmpk_lg_i32 s3, 0x310
	s_waitcnt lgkmcnt(5)
	v_mul_f64 v[14:15], v[8:9], v[2:3]
	v_mul_f64 v[49:50], v[6:7], v[2:3]
	s_waitcnt lgkmcnt(4)
	v_mul_f64 v[53:54], v[12:13], v[2:3]
	v_mul_f64 v[65:66], v[10:11], v[2:3]
	;; [unrolled: 3-line block ×6, first 2 shown]
	v_fma_f64 v[14:15], v[6:7], v[0:1], -v[14:15]
	v_fma_f64 v[49:50], v[8:9], v[0:1], v[49:50]
	v_fma_f64 v[53:54], v[10:11], v[0:1], -v[53:54]
	v_fma_f64 v[65:66], v[12:13], v[0:1], v[65:66]
	;; [unrolled: 2-line block ×6, first 2 shown]
	scratch_load_b128 v[0:3], off, off offset:176
	s_clause 0x6
	scratch_load_b128 v[6:9], off, s7
	scratch_load_b128 v[10:13], off, s9
	scratch_load_b128 v[41:44], off, s12
	scratch_load_b128 v[45:48], off, s14
	scratch_load_b128 v[57:60], off, s15
	scratch_load_b128 v[61:64], off, s16
	scratch_load_b128 v[73:76], off, s6
	ds_load_2addr_b64 v[129:132], v39 offset0:12 offset1:13
	s_waitcnt vmcnt(6)
	v_add_f64 v[6:7], v[6:7], -v[14:15]
	v_add_f64 v[8:9], v[8:9], -v[49:50]
	s_waitcnt vmcnt(5)
	v_add_f64 v[10:11], v[10:11], -v[53:54]
	v_add_f64 v[12:13], v[12:13], -v[65:66]
	s_waitcnt vmcnt(4)
	v_add_f64 v[41:42], v[41:42], -v[69:70]
	s_waitcnt lgkmcnt(0)
	v_mul_f64 v[93:94], v[131:132], v[2:3]
	v_mul_f64 v[95:96], v[129:130], v[2:3]
	v_add_f64 v[43:44], v[43:44], -v[87:88]
	s_waitcnt vmcnt(3)
	v_add_f64 v[45:46], v[45:46], -v[89:90]
	v_add_f64 v[47:48], v[47:48], -v[77:78]
	s_waitcnt vmcnt(2)
	v_add_f64 v[57:58], v[57:58], -v[81:82]
	;; [unrolled: 3-line block ×3, first 2 shown]
	v_add_f64 v[63:64], v[63:64], -v[91:92]
	v_fma_f64 v[93:94], v[129:130], v[0:1], -v[93:94]
	v_fma_f64 v[95:96], v[131:132], v[0:1], v[95:96]
	s_waitcnt vmcnt(0)
	s_delay_alu instid0(VALU_DEP_2) | instskip(NEXT) | instid1(VALU_DEP_2)
	v_add_f64 v[73:74], v[73:74], -v[93:94]
	v_add_f64 v[75:76], v[75:76], -v[95:96]
	s_clause 0x6
	scratch_store_b128 off, v[6:9], s7
	scratch_store_b128 off, v[10:13], s9
	;; [unrolled: 1-line block ×7, first 2 shown]
	s_cbranch_scc1 .LBB120_294
.LBB120_295:
	s_or_b32 exec_lo, exec_lo, s2
	s_waitcnt_vscnt null, 0x0
	s_barrier
	buffer_gl0_inv
	scratch_load_b128 v[0:3], v25, off
	v_lshl_add_u32 v4, v38, 4, v20
	s_cmp_lt_i32 s5, 14
	s_waitcnt vmcnt(0)
	ds_store_2addr_b64 v4, v[0:1], v[2:3] offset1:1
	s_waitcnt lgkmcnt(0)
	s_barrier
	buffer_gl0_inv
	ds_load_2addr_b64 v[0:3], v20 offset0:24 offset1:25
	v_mov_b32_e32 v4, 12
	s_cbranch_scc1 .LBB120_298
; %bb.296:
	v_add3_u32 v5, v36, 0, 0xd0
	v_mov_b32_e32 v4, 12
	s_mov_b32 s6, 13
	s_set_inst_prefetch_distance 0x1
	.p2align	6
.LBB120_297:                            ; =>This Inner Loop Header: Depth=1
	ds_load_2addr_b64 v[6:9], v5 offset1:1
	s_waitcnt lgkmcnt(1)
	v_cmp_gt_f64_e32 vcc_lo, 0, v[0:1]
	v_xor_b32_e32 v10, 0x80000000, v1
	v_cmp_gt_f64_e64 s2, 0, v[2:3]
	v_xor_b32_e32 v12, 0x80000000, v3
	v_add_nc_u32_e32 v5, 16, v5
	s_waitcnt lgkmcnt(0)
	v_cmp_gt_f64_e64 s3, 0, v[6:7]
	v_dual_mov_b32 v41, v8 :: v_dual_mov_b32 v14, v6
	v_cndmask_b32_e32 v11, v1, v10, vcc_lo
	v_xor_b32_e32 v10, 0x80000000, v7
	v_cndmask_b32_e64 v13, v3, v12, s2
	v_xor_b32_e32 v12, 0x80000000, v9
	s_delay_alu instid0(VALU_DEP_3) | instskip(SKIP_2) | instid1(VALU_DEP_2)
	v_cndmask_b32_e64 v15, v7, v10, s3
	v_cmp_gt_f64_e64 s3, 0, v[8:9]
	v_cndmask_b32_e32 v10, v0, v0, vcc_lo
	v_cndmask_b32_e64 v42, v9, v12, s3
	v_cndmask_b32_e64 v12, v2, v2, s2
	s_delay_alu instid0(VALU_DEP_2) | instskip(NEXT) | instid1(VALU_DEP_2)
	v_add_f64 v[14:15], v[14:15], v[41:42]
	v_add_f64 v[10:11], v[10:11], v[12:13]
	s_delay_alu instid0(VALU_DEP_1) | instskip(SKIP_4) | instid1(SALU_CYCLE_1)
	v_cmp_lt_f64_e32 vcc_lo, v[10:11], v[14:15]
	v_dual_cndmask_b32 v1, v1, v7 :: v_dual_cndmask_b32 v0, v0, v6
	v_dual_cndmask_b32 v3, v3, v9 :: v_dual_cndmask_b32 v2, v2, v8
	v_cndmask_b32_e64 v4, v4, s6, vcc_lo
	s_add_i32 s6, s6, 1
	s_cmp_lg_u32 s5, s6
	s_cbranch_scc1 .LBB120_297
.LBB120_298:
	s_set_inst_prefetch_distance 0x2
	s_waitcnt lgkmcnt(0)
	v_cmp_eq_f64_e32 vcc_lo, 0, v[0:1]
	v_cmp_eq_f64_e64 s2, 0, v[2:3]
	s_delay_alu instid0(VALU_DEP_1) | instskip(NEXT) | instid1(SALU_CYCLE_1)
	s_and_b32 s2, vcc_lo, s2
	s_and_saveexec_b32 s3, s2
	s_delay_alu instid0(SALU_CYCLE_1)
	s_xor_b32 s2, exec_lo, s3
; %bb.299:
	v_cmp_ne_u32_e32 vcc_lo, 0, v35
	v_cndmask_b32_e32 v35, 13, v35, vcc_lo
; %bb.300:
	s_and_not1_saveexec_b32 s3, s2
	s_cbranch_execz .LBB120_306
; %bb.301:
	v_cmp_gt_f64_e32 vcc_lo, 0, v[0:1]
	v_cmp_gt_f64_e64 s2, 0, v[2:3]
	v_xor_b32_e32 v5, 0x80000000, v1
	v_xor_b32_e32 v7, 0x80000000, v3
	s_delay_alu instid0(VALU_DEP_2) | instskip(NEXT) | instid1(VALU_DEP_2)
	v_dual_cndmask_b32 v6, v1, v5 :: v_dual_cndmask_b32 v5, v0, v0
	v_cndmask_b32_e64 v8, v3, v7, s2
	v_cndmask_b32_e64 v7, v2, v2, s2
	s_mov_b32 s2, exec_lo
	s_delay_alu instid0(VALU_DEP_1)
	v_cmpx_ngt_f64_e32 v[5:6], v[7:8]
	s_xor_b32 s2, exec_lo, s2
	s_cbranch_execz .LBB120_303
; %bb.302:
	v_div_scale_f64 v[5:6], null, v[2:3], v[2:3], v[0:1]
	v_div_scale_f64 v[11:12], vcc_lo, v[0:1], v[2:3], v[0:1]
	s_delay_alu instid0(VALU_DEP_2) | instskip(SKIP_2) | instid1(VALU_DEP_1)
	v_rcp_f64_e32 v[7:8], v[5:6]
	s_waitcnt_depctr 0xfff
	v_fma_f64 v[9:10], -v[5:6], v[7:8], 1.0
	v_fma_f64 v[7:8], v[7:8], v[9:10], v[7:8]
	s_delay_alu instid0(VALU_DEP_1) | instskip(NEXT) | instid1(VALU_DEP_1)
	v_fma_f64 v[9:10], -v[5:6], v[7:8], 1.0
	v_fma_f64 v[7:8], v[7:8], v[9:10], v[7:8]
	s_delay_alu instid0(VALU_DEP_1) | instskip(NEXT) | instid1(VALU_DEP_1)
	v_mul_f64 v[9:10], v[11:12], v[7:8]
	v_fma_f64 v[5:6], -v[5:6], v[9:10], v[11:12]
	s_delay_alu instid0(VALU_DEP_1) | instskip(NEXT) | instid1(VALU_DEP_1)
	v_div_fmas_f64 v[5:6], v[5:6], v[7:8], v[9:10]
	v_div_fixup_f64 v[5:6], v[5:6], v[2:3], v[0:1]
	s_delay_alu instid0(VALU_DEP_1) | instskip(NEXT) | instid1(VALU_DEP_1)
	v_fma_f64 v[0:1], v[0:1], v[5:6], v[2:3]
	v_div_scale_f64 v[2:3], null, v[0:1], v[0:1], 1.0
	s_delay_alu instid0(VALU_DEP_1) | instskip(SKIP_2) | instid1(VALU_DEP_1)
	v_rcp_f64_e32 v[7:8], v[2:3]
	s_waitcnt_depctr 0xfff
	v_fma_f64 v[9:10], -v[2:3], v[7:8], 1.0
	v_fma_f64 v[7:8], v[7:8], v[9:10], v[7:8]
	s_delay_alu instid0(VALU_DEP_1) | instskip(NEXT) | instid1(VALU_DEP_1)
	v_fma_f64 v[9:10], -v[2:3], v[7:8], 1.0
	v_fma_f64 v[7:8], v[7:8], v[9:10], v[7:8]
	v_div_scale_f64 v[9:10], vcc_lo, 1.0, v[0:1], 1.0
	s_delay_alu instid0(VALU_DEP_1) | instskip(NEXT) | instid1(VALU_DEP_1)
	v_mul_f64 v[11:12], v[9:10], v[7:8]
	v_fma_f64 v[2:3], -v[2:3], v[11:12], v[9:10]
	s_delay_alu instid0(VALU_DEP_1) | instskip(NEXT) | instid1(VALU_DEP_1)
	v_div_fmas_f64 v[2:3], v[2:3], v[7:8], v[11:12]
	v_div_fixup_f64 v[2:3], v[2:3], v[0:1], 1.0
	s_delay_alu instid0(VALU_DEP_1)
	v_mul_f64 v[0:1], v[5:6], v[2:3]
	v_xor_b32_e32 v3, 0x80000000, v3
.LBB120_303:
	s_and_not1_saveexec_b32 s2, s2
	s_cbranch_execz .LBB120_305
; %bb.304:
	s_delay_alu instid0(VALU_DEP_1) | instskip(SKIP_1) | instid1(VALU_DEP_2)
	v_div_scale_f64 v[5:6], null, v[0:1], v[0:1], v[2:3]
	v_div_scale_f64 v[11:12], vcc_lo, v[2:3], v[0:1], v[2:3]
	v_rcp_f64_e32 v[7:8], v[5:6]
	s_waitcnt_depctr 0xfff
	v_fma_f64 v[9:10], -v[5:6], v[7:8], 1.0
	s_delay_alu instid0(VALU_DEP_1) | instskip(NEXT) | instid1(VALU_DEP_1)
	v_fma_f64 v[7:8], v[7:8], v[9:10], v[7:8]
	v_fma_f64 v[9:10], -v[5:6], v[7:8], 1.0
	s_delay_alu instid0(VALU_DEP_1) | instskip(NEXT) | instid1(VALU_DEP_1)
	v_fma_f64 v[7:8], v[7:8], v[9:10], v[7:8]
	v_mul_f64 v[9:10], v[11:12], v[7:8]
	s_delay_alu instid0(VALU_DEP_1) | instskip(NEXT) | instid1(VALU_DEP_1)
	v_fma_f64 v[5:6], -v[5:6], v[9:10], v[11:12]
	v_div_fmas_f64 v[5:6], v[5:6], v[7:8], v[9:10]
	s_delay_alu instid0(VALU_DEP_1) | instskip(NEXT) | instid1(VALU_DEP_1)
	v_div_fixup_f64 v[5:6], v[5:6], v[0:1], v[2:3]
	v_fma_f64 v[0:1], v[2:3], v[5:6], v[0:1]
	s_delay_alu instid0(VALU_DEP_1) | instskip(NEXT) | instid1(VALU_DEP_1)
	v_div_scale_f64 v[2:3], null, v[0:1], v[0:1], 1.0
	v_rcp_f64_e32 v[7:8], v[2:3]
	s_waitcnt_depctr 0xfff
	v_fma_f64 v[9:10], -v[2:3], v[7:8], 1.0
	s_delay_alu instid0(VALU_DEP_1) | instskip(NEXT) | instid1(VALU_DEP_1)
	v_fma_f64 v[7:8], v[7:8], v[9:10], v[7:8]
	v_fma_f64 v[9:10], -v[2:3], v[7:8], 1.0
	s_delay_alu instid0(VALU_DEP_1) | instskip(SKIP_1) | instid1(VALU_DEP_1)
	v_fma_f64 v[7:8], v[7:8], v[9:10], v[7:8]
	v_div_scale_f64 v[9:10], vcc_lo, 1.0, v[0:1], 1.0
	v_mul_f64 v[11:12], v[9:10], v[7:8]
	s_delay_alu instid0(VALU_DEP_1) | instskip(NEXT) | instid1(VALU_DEP_1)
	v_fma_f64 v[2:3], -v[2:3], v[11:12], v[9:10]
	v_div_fmas_f64 v[2:3], v[2:3], v[7:8], v[11:12]
	s_delay_alu instid0(VALU_DEP_1) | instskip(NEXT) | instid1(VALU_DEP_1)
	v_div_fixup_f64 v[0:1], v[2:3], v[0:1], 1.0
	v_mul_f64 v[2:3], v[5:6], -v[0:1]
.LBB120_305:
	s_or_b32 exec_lo, exec_lo, s2
.LBB120_306:
	s_delay_alu instid0(SALU_CYCLE_1) | instskip(NEXT) | instid1(SALU_CYCLE_1)
	s_or_b32 exec_lo, exec_lo, s3
	s_mov_b32 s2, exec_lo
	v_cmpx_ne_u32_e64 v38, v4
	s_xor_b32 s2, exec_lo, s2
	s_cbranch_execz .LBB120_312
; %bb.307:
	s_mov_b32 s3, exec_lo
	v_cmpx_eq_u32_e32 12, v38
	s_cbranch_execz .LBB120_311
; %bb.308:
	v_cmp_ne_u32_e32 vcc_lo, 12, v4
	s_xor_b32 s6, s4, -1
	s_delay_alu instid0(SALU_CYCLE_1) | instskip(NEXT) | instid1(SALU_CYCLE_1)
	s_and_b32 s7, s6, vcc_lo
	s_and_saveexec_b32 s6, s7
	s_cbranch_execz .LBB120_310
; %bb.309:
	v_ashrrev_i32_e32 v5, 31, v4
	s_delay_alu instid0(VALU_DEP_1) | instskip(NEXT) | instid1(VALU_DEP_1)
	v_lshlrev_b64 v[5:6], 2, v[4:5]
	v_add_co_u32 v5, vcc_lo, v18, v5
	s_delay_alu instid0(VALU_DEP_2)
	v_add_co_ci_u32_e32 v6, vcc_lo, v19, v6, vcc_lo
	s_clause 0x1
	flat_load_b32 v7, v[5:6]
	flat_load_b32 v8, v[18:19] offset:48
	s_waitcnt vmcnt(1) lgkmcnt(1)
	flat_store_b32 v[18:19], v7 offset:48
	s_waitcnt vmcnt(0) lgkmcnt(1)
	flat_store_b32 v[5:6], v8
.LBB120_310:
	s_or_b32 exec_lo, exec_lo, s6
	v_mov_b32_e32 v38, v4
	v_mov_b32_e32 v37, v4
.LBB120_311:
	s_or_b32 exec_lo, exec_lo, s3
.LBB120_312:
	s_and_not1_saveexec_b32 s2, s2
	s_cbranch_execz .LBB120_316
; %bb.313:
	v_add3_u32 v4, v36, 0, 0xd0
	v_mov_b32_e32 v5, 0
	s_mov_b32 s3, 0
.LBB120_314:                            ; =>This Inner Loop Header: Depth=1
	s_delay_alu instid0(VALU_DEP_1) | instskip(NEXT) | instid1(VALU_DEP_3)
	v_readfirstlane_b32 s6, v5
	v_add_nc_u32_e32 v14, s3, v4
	s_delay_alu instid0(VALU_DEP_2)
	s_add_i32 s6, s6, s3
	s_addk_i32 s3, 0x100
	s_add_i32 s7, s6, 0xd0
	s_add_i32 s9, s6, 0xe0
	;; [unrolled: 1-line block ×15, first 2 shown]
	s_addk_i32 s6, 0x1c0
	s_clause 0xf
	scratch_load_b128 v[6:9], off, s7
	scratch_load_b128 v[10:13], off, s9
	;; [unrolled: 1-line block ×16, first 2 shown]
	s_cmpk_eq_i32 s3, 0x300
	s_waitcnt vmcnt(15)
	ds_store_2addr_b64 v14, v[6:7], v[8:9] offset1:1
	s_waitcnt vmcnt(14)
	ds_store_2addr_b64 v14, v[10:11], v[12:13] offset0:2 offset1:3
	s_waitcnt vmcnt(13)
	ds_store_2addr_b64 v14, v[41:42], v[43:44] offset0:4 offset1:5
	s_waitcnt vmcnt(12)
	ds_store_2addr_b64 v14, v[45:46], v[47:48] offset0:6 offset1:7
	s_waitcnt vmcnt(11)
	ds_store_2addr_b64 v14, v[57:58], v[59:60] offset0:8 offset1:9
	s_waitcnt vmcnt(10)
	ds_store_2addr_b64 v14, v[61:62], v[63:64] offset0:10 offset1:11
	s_waitcnt vmcnt(9)
	ds_store_2addr_b64 v14, v[73:74], v[75:76] offset0:12 offset1:13
	s_waitcnt vmcnt(8)
	ds_store_2addr_b64 v14, v[129:130], v[131:132] offset0:14 offset1:15
	s_waitcnt vmcnt(7)
	ds_store_2addr_b64 v14, v[164:165], v[166:167] offset0:16 offset1:17
	s_waitcnt vmcnt(6)
	ds_store_2addr_b64 v14, v[168:169], v[170:171] offset0:18 offset1:19
	s_waitcnt vmcnt(5)
	ds_store_2addr_b64 v14, v[172:173], v[174:175] offset0:20 offset1:21
	s_waitcnt vmcnt(4)
	ds_store_2addr_b64 v14, v[176:177], v[178:179] offset0:22 offset1:23
	s_waitcnt vmcnt(3)
	ds_store_2addr_b64 v14, v[180:181], v[182:183] offset0:24 offset1:25
	s_waitcnt vmcnt(2)
	ds_store_2addr_b64 v14, v[184:185], v[186:187] offset0:26 offset1:27
	s_waitcnt vmcnt(1)
	ds_store_2addr_b64 v14, v[188:189], v[190:191] offset0:28 offset1:29
	s_waitcnt vmcnt(0)
	ds_store_2addr_b64 v14, v[192:193], v[194:195] offset0:30 offset1:31
	s_cbranch_scc0 .LBB120_314
; %bb.315:
	v_mov_b32_e32 v38, 12
.LBB120_316:
	s_or_b32 exec_lo, exec_lo, s2
	s_delay_alu instid0(SALU_CYCLE_1)
	s_mov_b32 s2, exec_lo
	s_waitcnt lgkmcnt(0)
	s_waitcnt_vscnt null, 0x0
	s_barrier
	buffer_gl0_inv
	v_cmpx_lt_i32_e32 12, v38
	s_cbranch_execz .LBB120_319
; %bb.317:
	scratch_load_b128 v[4:7], off, off offset:192
	s_mov_b32 s3, 0
	s_waitcnt vmcnt(0)
	v_mul_f64 v[8:9], v[2:3], v[6:7]
	v_mul_f64 v[6:7], v[0:1], v[6:7]
	s_delay_alu instid0(VALU_DEP_2) | instskip(NEXT) | instid1(VALU_DEP_2)
	v_fma_f64 v[0:1], v[0:1], v[4:5], -v[8:9]
	v_fma_f64 v[2:3], v[2:3], v[4:5], v[6:7]
	v_add3_u32 v4, v36, 0, 0xd0
	v_mov_b32_e32 v5, 0
	scratch_store_b128 off, v[0:3], off offset:192
.LBB120_318:                            ; =>This Inner Loop Header: Depth=1
	v_readfirstlane_b32 s6, v5
	v_add_nc_u32_e32 v14, s3, v4
	s_delay_alu instid0(VALU_DEP_2)
	s_add_i32 s7, s6, s3
	s_addk_i32 s3, 0x60
	s_add_i32 s6, s7, 0xd0
	s_add_i32 s9, s7, 0xe0
	;; [unrolled: 1-line block ×5, first 2 shown]
	s_addk_i32 s7, 0x120
	s_clause 0x5
	scratch_load_b128 v[6:9], off, s6
	scratch_load_b128 v[10:13], off, s9
	scratch_load_b128 v[41:44], off, s12
	scratch_load_b128 v[45:48], off, s14
	scratch_load_b128 v[57:60], off, s15
	scratch_load_b128 v[61:64], off, s7
	ds_load_2addr_b64 v[73:76], v14 offset1:1
	ds_load_2addr_b64 v[129:132], v14 offset0:2 offset1:3
	ds_load_2addr_b64 v[164:167], v14 offset0:4 offset1:5
	;; [unrolled: 1-line block ×5, first 2 shown]
	s_cmpk_lg_i32 s3, 0x300
	s_waitcnt lgkmcnt(5)
	v_mul_f64 v[14:15], v[75:76], v[2:3]
	v_mul_f64 v[49:50], v[73:74], v[2:3]
	s_waitcnt lgkmcnt(4)
	v_mul_f64 v[53:54], v[131:132], v[2:3]
	v_mul_f64 v[65:66], v[129:130], v[2:3]
	s_waitcnt lgkmcnt(3)
	v_mul_f64 v[69:70], v[166:167], v[2:3]
	v_mul_f64 v[77:78], v[164:165], v[2:3]
	s_waitcnt lgkmcnt(2)
	v_mul_f64 v[81:82], v[170:171], v[2:3]
	v_mul_f64 v[83:84], v[168:169], v[2:3]
	s_waitcnt lgkmcnt(1)
	v_mul_f64 v[85:86], v[174:175], v[2:3]
	v_mul_f64 v[87:88], v[172:173], v[2:3]
	s_waitcnt lgkmcnt(0)
	v_mul_f64 v[89:90], v[178:179], v[2:3]
	v_mul_f64 v[91:92], v[176:177], v[2:3]
	v_fma_f64 v[14:15], v[73:74], v[0:1], -v[14:15]
	v_fma_f64 v[49:50], v[75:76], v[0:1], v[49:50]
	v_fma_f64 v[53:54], v[129:130], v[0:1], -v[53:54]
	v_fma_f64 v[65:66], v[131:132], v[0:1], v[65:66]
	;; [unrolled: 2-line block ×6, first 2 shown]
	s_waitcnt vmcnt(5)
	v_add_f64 v[6:7], v[6:7], -v[14:15]
	v_add_f64 v[8:9], v[8:9], -v[49:50]
	s_waitcnt vmcnt(4)
	v_add_f64 v[10:11], v[10:11], -v[53:54]
	v_add_f64 v[12:13], v[12:13], -v[65:66]
	;; [unrolled: 3-line block ×6, first 2 shown]
	s_clause 0x5
	scratch_store_b128 off, v[6:9], s6
	scratch_store_b128 off, v[10:13], s9
	;; [unrolled: 1-line block ×6, first 2 shown]
	s_cbranch_scc1 .LBB120_318
.LBB120_319:
	s_or_b32 exec_lo, exec_lo, s2
	s_waitcnt_vscnt null, 0x0
	s_barrier
	buffer_gl0_inv
	scratch_load_b128 v[0:3], v24, off
	v_lshl_add_u32 v4, v38, 4, v20
	s_cmp_lt_i32 s5, 15
	s_waitcnt vmcnt(0)
	ds_store_2addr_b64 v4, v[0:1], v[2:3] offset1:1
	s_waitcnt lgkmcnt(0)
	s_barrier
	buffer_gl0_inv
	ds_load_2addr_b64 v[0:3], v20 offset0:26 offset1:27
	v_mov_b32_e32 v4, 13
	s_cbranch_scc1 .LBB120_322
; %bb.320:
	v_add3_u32 v5, v36, 0, 0xe0
	v_mov_b32_e32 v4, 13
	s_mov_b32 s6, 14
	s_set_inst_prefetch_distance 0x1
	.p2align	6
.LBB120_321:                            ; =>This Inner Loop Header: Depth=1
	ds_load_2addr_b64 v[6:9], v5 offset1:1
	s_waitcnt lgkmcnt(1)
	v_cmp_gt_f64_e32 vcc_lo, 0, v[0:1]
	v_xor_b32_e32 v10, 0x80000000, v1
	v_cmp_gt_f64_e64 s2, 0, v[2:3]
	v_xor_b32_e32 v12, 0x80000000, v3
	v_add_nc_u32_e32 v5, 16, v5
	s_waitcnt lgkmcnt(0)
	v_cmp_gt_f64_e64 s3, 0, v[6:7]
	v_dual_mov_b32 v41, v8 :: v_dual_mov_b32 v14, v6
	v_cndmask_b32_e32 v11, v1, v10, vcc_lo
	v_xor_b32_e32 v10, 0x80000000, v7
	v_cndmask_b32_e64 v13, v3, v12, s2
	v_xor_b32_e32 v12, 0x80000000, v9
	s_delay_alu instid0(VALU_DEP_3) | instskip(SKIP_2) | instid1(VALU_DEP_2)
	v_cndmask_b32_e64 v15, v7, v10, s3
	v_cmp_gt_f64_e64 s3, 0, v[8:9]
	v_cndmask_b32_e32 v10, v0, v0, vcc_lo
	v_cndmask_b32_e64 v42, v9, v12, s3
	v_cndmask_b32_e64 v12, v2, v2, s2
	s_delay_alu instid0(VALU_DEP_2) | instskip(NEXT) | instid1(VALU_DEP_2)
	v_add_f64 v[14:15], v[14:15], v[41:42]
	v_add_f64 v[10:11], v[10:11], v[12:13]
	s_delay_alu instid0(VALU_DEP_1) | instskip(SKIP_4) | instid1(SALU_CYCLE_1)
	v_cmp_lt_f64_e32 vcc_lo, v[10:11], v[14:15]
	v_dual_cndmask_b32 v1, v1, v7 :: v_dual_cndmask_b32 v0, v0, v6
	v_dual_cndmask_b32 v3, v3, v9 :: v_dual_cndmask_b32 v2, v2, v8
	v_cndmask_b32_e64 v4, v4, s6, vcc_lo
	s_add_i32 s6, s6, 1
	s_cmp_lg_u32 s5, s6
	s_cbranch_scc1 .LBB120_321
.LBB120_322:
	s_set_inst_prefetch_distance 0x2
	s_waitcnt lgkmcnt(0)
	v_cmp_eq_f64_e32 vcc_lo, 0, v[0:1]
	v_cmp_eq_f64_e64 s2, 0, v[2:3]
	s_delay_alu instid0(VALU_DEP_1) | instskip(NEXT) | instid1(SALU_CYCLE_1)
	s_and_b32 s2, vcc_lo, s2
	s_and_saveexec_b32 s3, s2
	s_delay_alu instid0(SALU_CYCLE_1)
	s_xor_b32 s2, exec_lo, s3
; %bb.323:
	v_cmp_ne_u32_e32 vcc_lo, 0, v35
	v_cndmask_b32_e32 v35, 14, v35, vcc_lo
; %bb.324:
	s_and_not1_saveexec_b32 s3, s2
	s_cbranch_execz .LBB120_330
; %bb.325:
	v_cmp_gt_f64_e32 vcc_lo, 0, v[0:1]
	v_cmp_gt_f64_e64 s2, 0, v[2:3]
	v_xor_b32_e32 v5, 0x80000000, v1
	v_xor_b32_e32 v7, 0x80000000, v3
	s_delay_alu instid0(VALU_DEP_2) | instskip(NEXT) | instid1(VALU_DEP_2)
	v_dual_cndmask_b32 v6, v1, v5 :: v_dual_cndmask_b32 v5, v0, v0
	v_cndmask_b32_e64 v8, v3, v7, s2
	v_cndmask_b32_e64 v7, v2, v2, s2
	s_mov_b32 s2, exec_lo
	s_delay_alu instid0(VALU_DEP_1)
	v_cmpx_ngt_f64_e32 v[5:6], v[7:8]
	s_xor_b32 s2, exec_lo, s2
	s_cbranch_execz .LBB120_327
; %bb.326:
	v_div_scale_f64 v[5:6], null, v[2:3], v[2:3], v[0:1]
	v_div_scale_f64 v[11:12], vcc_lo, v[0:1], v[2:3], v[0:1]
	s_delay_alu instid0(VALU_DEP_2) | instskip(SKIP_2) | instid1(VALU_DEP_1)
	v_rcp_f64_e32 v[7:8], v[5:6]
	s_waitcnt_depctr 0xfff
	v_fma_f64 v[9:10], -v[5:6], v[7:8], 1.0
	v_fma_f64 v[7:8], v[7:8], v[9:10], v[7:8]
	s_delay_alu instid0(VALU_DEP_1) | instskip(NEXT) | instid1(VALU_DEP_1)
	v_fma_f64 v[9:10], -v[5:6], v[7:8], 1.0
	v_fma_f64 v[7:8], v[7:8], v[9:10], v[7:8]
	s_delay_alu instid0(VALU_DEP_1) | instskip(NEXT) | instid1(VALU_DEP_1)
	v_mul_f64 v[9:10], v[11:12], v[7:8]
	v_fma_f64 v[5:6], -v[5:6], v[9:10], v[11:12]
	s_delay_alu instid0(VALU_DEP_1) | instskip(NEXT) | instid1(VALU_DEP_1)
	v_div_fmas_f64 v[5:6], v[5:6], v[7:8], v[9:10]
	v_div_fixup_f64 v[5:6], v[5:6], v[2:3], v[0:1]
	s_delay_alu instid0(VALU_DEP_1) | instskip(NEXT) | instid1(VALU_DEP_1)
	v_fma_f64 v[0:1], v[0:1], v[5:6], v[2:3]
	v_div_scale_f64 v[2:3], null, v[0:1], v[0:1], 1.0
	s_delay_alu instid0(VALU_DEP_1) | instskip(SKIP_2) | instid1(VALU_DEP_1)
	v_rcp_f64_e32 v[7:8], v[2:3]
	s_waitcnt_depctr 0xfff
	v_fma_f64 v[9:10], -v[2:3], v[7:8], 1.0
	v_fma_f64 v[7:8], v[7:8], v[9:10], v[7:8]
	s_delay_alu instid0(VALU_DEP_1) | instskip(NEXT) | instid1(VALU_DEP_1)
	v_fma_f64 v[9:10], -v[2:3], v[7:8], 1.0
	v_fma_f64 v[7:8], v[7:8], v[9:10], v[7:8]
	v_div_scale_f64 v[9:10], vcc_lo, 1.0, v[0:1], 1.0
	s_delay_alu instid0(VALU_DEP_1) | instskip(NEXT) | instid1(VALU_DEP_1)
	v_mul_f64 v[11:12], v[9:10], v[7:8]
	v_fma_f64 v[2:3], -v[2:3], v[11:12], v[9:10]
	s_delay_alu instid0(VALU_DEP_1) | instskip(NEXT) | instid1(VALU_DEP_1)
	v_div_fmas_f64 v[2:3], v[2:3], v[7:8], v[11:12]
	v_div_fixup_f64 v[2:3], v[2:3], v[0:1], 1.0
	s_delay_alu instid0(VALU_DEP_1)
	v_mul_f64 v[0:1], v[5:6], v[2:3]
	v_xor_b32_e32 v3, 0x80000000, v3
.LBB120_327:
	s_and_not1_saveexec_b32 s2, s2
	s_cbranch_execz .LBB120_329
; %bb.328:
	s_delay_alu instid0(VALU_DEP_1) | instskip(SKIP_1) | instid1(VALU_DEP_2)
	v_div_scale_f64 v[5:6], null, v[0:1], v[0:1], v[2:3]
	v_div_scale_f64 v[11:12], vcc_lo, v[2:3], v[0:1], v[2:3]
	v_rcp_f64_e32 v[7:8], v[5:6]
	s_waitcnt_depctr 0xfff
	v_fma_f64 v[9:10], -v[5:6], v[7:8], 1.0
	s_delay_alu instid0(VALU_DEP_1) | instskip(NEXT) | instid1(VALU_DEP_1)
	v_fma_f64 v[7:8], v[7:8], v[9:10], v[7:8]
	v_fma_f64 v[9:10], -v[5:6], v[7:8], 1.0
	s_delay_alu instid0(VALU_DEP_1) | instskip(NEXT) | instid1(VALU_DEP_1)
	v_fma_f64 v[7:8], v[7:8], v[9:10], v[7:8]
	v_mul_f64 v[9:10], v[11:12], v[7:8]
	s_delay_alu instid0(VALU_DEP_1) | instskip(NEXT) | instid1(VALU_DEP_1)
	v_fma_f64 v[5:6], -v[5:6], v[9:10], v[11:12]
	v_div_fmas_f64 v[5:6], v[5:6], v[7:8], v[9:10]
	s_delay_alu instid0(VALU_DEP_1) | instskip(NEXT) | instid1(VALU_DEP_1)
	v_div_fixup_f64 v[5:6], v[5:6], v[0:1], v[2:3]
	v_fma_f64 v[0:1], v[2:3], v[5:6], v[0:1]
	s_delay_alu instid0(VALU_DEP_1) | instskip(NEXT) | instid1(VALU_DEP_1)
	v_div_scale_f64 v[2:3], null, v[0:1], v[0:1], 1.0
	v_rcp_f64_e32 v[7:8], v[2:3]
	s_waitcnt_depctr 0xfff
	v_fma_f64 v[9:10], -v[2:3], v[7:8], 1.0
	s_delay_alu instid0(VALU_DEP_1) | instskip(NEXT) | instid1(VALU_DEP_1)
	v_fma_f64 v[7:8], v[7:8], v[9:10], v[7:8]
	v_fma_f64 v[9:10], -v[2:3], v[7:8], 1.0
	s_delay_alu instid0(VALU_DEP_1) | instskip(SKIP_1) | instid1(VALU_DEP_1)
	v_fma_f64 v[7:8], v[7:8], v[9:10], v[7:8]
	v_div_scale_f64 v[9:10], vcc_lo, 1.0, v[0:1], 1.0
	v_mul_f64 v[11:12], v[9:10], v[7:8]
	s_delay_alu instid0(VALU_DEP_1) | instskip(NEXT) | instid1(VALU_DEP_1)
	v_fma_f64 v[2:3], -v[2:3], v[11:12], v[9:10]
	v_div_fmas_f64 v[2:3], v[2:3], v[7:8], v[11:12]
	s_delay_alu instid0(VALU_DEP_1) | instskip(NEXT) | instid1(VALU_DEP_1)
	v_div_fixup_f64 v[0:1], v[2:3], v[0:1], 1.0
	v_mul_f64 v[2:3], v[5:6], -v[0:1]
.LBB120_329:
	s_or_b32 exec_lo, exec_lo, s2
.LBB120_330:
	s_delay_alu instid0(SALU_CYCLE_1) | instskip(NEXT) | instid1(SALU_CYCLE_1)
	s_or_b32 exec_lo, exec_lo, s3
	s_mov_b32 s2, exec_lo
	v_cmpx_ne_u32_e64 v38, v4
	s_xor_b32 s2, exec_lo, s2
	s_cbranch_execz .LBB120_336
; %bb.331:
	s_mov_b32 s3, exec_lo
	v_cmpx_eq_u32_e32 13, v38
	s_cbranch_execz .LBB120_335
; %bb.332:
	v_cmp_ne_u32_e32 vcc_lo, 13, v4
	s_xor_b32 s6, s4, -1
	s_delay_alu instid0(SALU_CYCLE_1) | instskip(NEXT) | instid1(SALU_CYCLE_1)
	s_and_b32 s7, s6, vcc_lo
	s_and_saveexec_b32 s6, s7
	s_cbranch_execz .LBB120_334
; %bb.333:
	v_ashrrev_i32_e32 v5, 31, v4
	s_delay_alu instid0(VALU_DEP_1) | instskip(NEXT) | instid1(VALU_DEP_1)
	v_lshlrev_b64 v[5:6], 2, v[4:5]
	v_add_co_u32 v5, vcc_lo, v18, v5
	s_delay_alu instid0(VALU_DEP_2)
	v_add_co_ci_u32_e32 v6, vcc_lo, v19, v6, vcc_lo
	s_clause 0x1
	flat_load_b32 v7, v[5:6]
	flat_load_b32 v8, v[18:19] offset:52
	s_waitcnt vmcnt(1) lgkmcnt(1)
	flat_store_b32 v[18:19], v7 offset:52
	s_waitcnt vmcnt(0) lgkmcnt(1)
	flat_store_b32 v[5:6], v8
.LBB120_334:
	s_or_b32 exec_lo, exec_lo, s6
	v_mov_b32_e32 v38, v4
	v_mov_b32_e32 v37, v4
.LBB120_335:
	s_or_b32 exec_lo, exec_lo, s3
.LBB120_336:
	s_and_not1_saveexec_b32 s2, s2
	s_cbranch_execz .LBB120_342
; %bb.337:
	v_add3_u32 v4, v36, 0, 0xe0
	v_mov_b32_e32 v5, 0
	s_mov_b32 s3, 0
	s_branch .LBB120_339
.LBB120_338:                            ;   in Loop: Header=BB120_339 Depth=1
	s_and_not1_b32 vcc_lo, exec_lo, s7
	s_cbranch_vccz .LBB120_341
.LBB120_339:                            ; =>This Inner Loop Header: Depth=1
	s_delay_alu instid0(VALU_DEP_1) | instskip(SKIP_1) | instid1(VALU_DEP_2)
	v_readfirstlane_b32 s6, v5
	v_add_nc_u32_e32 v6, s3, v4
	s_add_i32 s6, s6, s3
	s_delay_alu instid0(SALU_CYCLE_1)
	s_add_i32 s7, s6, 0xe0
	s_add_i32 s9, s6, 0xf0
	;; [unrolled: 1-line block ×7, first 2 shown]
	s_clause 0x6
	scratch_load_b128 v[7:10], off, s7
	scratch_load_b128 v[11:14], off, s9
	;; [unrolled: 1-line block ×7, first 2 shown]
	s_mov_b32 s7, -1
	s_cmpk_eq_i32 s3, 0x280
	s_waitcnt vmcnt(6)
	ds_store_2addr_b64 v6, v[7:8], v[9:10] offset1:1
	s_waitcnt vmcnt(5)
	ds_store_2addr_b64 v6, v[11:12], v[13:14] offset0:2 offset1:3
	s_waitcnt vmcnt(4)
	ds_store_2addr_b64 v6, v[41:42], v[43:44] offset0:4 offset1:5
	s_waitcnt vmcnt(3)
	ds_store_2addr_b64 v6, v[45:46], v[47:48] offset0:6 offset1:7
	s_waitcnt vmcnt(2)
	ds_store_2addr_b64 v6, v[57:58], v[59:60] offset0:8 offset1:9
	s_waitcnt vmcnt(1)
	ds_store_2addr_b64 v6, v[61:62], v[63:64] offset0:10 offset1:11
	s_waitcnt vmcnt(0)
	ds_store_2addr_b64 v6, v[73:74], v[75:76] offset0:12 offset1:13
	s_cbranch_scc1 .LBB120_338
; %bb.340:                              ;   in Loop: Header=BB120_339 Depth=1
	s_addk_i32 s6, 0x150
	s_addk_i32 s3, 0x80
	scratch_load_b128 v[7:10], off, s6
	s_mov_b32 s7, 0
	s_waitcnt vmcnt(0)
	ds_store_2addr_b64 v6, v[7:8], v[9:10] offset0:14 offset1:15
	s_branch .LBB120_338
.LBB120_341:
	v_mov_b32_e32 v38, 13
.LBB120_342:
	s_or_b32 exec_lo, exec_lo, s2
	s_delay_alu instid0(SALU_CYCLE_1)
	s_mov_b32 s2, exec_lo
	s_waitcnt lgkmcnt(0)
	s_waitcnt_vscnt null, 0x0
	s_barrier
	buffer_gl0_inv
	v_cmpx_lt_i32_e32 13, v38
	s_cbranch_execz .LBB120_347
; %bb.343:
	scratch_load_b128 v[4:7], off, off offset:208
	s_mov_b32 s3, 0
	s_waitcnt vmcnt(0)
	v_mul_f64 v[8:9], v[2:3], v[6:7]
	v_mul_f64 v[6:7], v[0:1], v[6:7]
	s_delay_alu instid0(VALU_DEP_2) | instskip(NEXT) | instid1(VALU_DEP_2)
	v_fma_f64 v[0:1], v[0:1], v[4:5], -v[8:9]
	v_fma_f64 v[2:3], v[2:3], v[4:5], v[6:7]
	v_add3_u32 v4, v36, 0, 0xe0
	v_mov_b32_e32 v5, 0
	scratch_store_b128 off, v[0:3], off offset:208
	s_branch .LBB120_345
.LBB120_344:                            ;   in Loop: Header=BB120_345 Depth=1
	s_and_not1_b32 vcc_lo, exec_lo, s7
	s_cbranch_vccz .LBB120_347
.LBB120_345:                            ; =>This Inner Loop Header: Depth=1
	v_readfirstlane_b32 s6, v5
	v_add_nc_u32_e32 v6, s3, v4
	s_mov_b32 s7, -1
	s_delay_alu instid0(VALU_DEP_2) | instskip(NEXT) | instid1(SALU_CYCLE_1)
	s_add_i32 s6, s6, s3
	s_add_i32 s9, s6, 0xe0
	;; [unrolled: 1-line block ×3, first 2 shown]
	scratch_load_b128 v[7:10], off, s9
	s_add_i32 s14, s6, 0x100
	s_clause 0x1
	scratch_load_b128 v[11:14], off, s12
	scratch_load_b128 v[41:44], off, s14
	ds_load_2addr_b64 v[45:48], v6 offset1:1
	ds_load_2addr_b64 v[57:60], v6 offset0:2 offset1:3
	ds_load_2addr_b64 v[61:64], v6 offset0:4 offset1:5
	s_cmpk_eq_i32 s3, 0x2c0
	s_waitcnt lgkmcnt(2)
	v_mul_f64 v[49:50], v[47:48], v[2:3]
	v_mul_f64 v[53:54], v[45:46], v[2:3]
	s_waitcnt lgkmcnt(1)
	v_mul_f64 v[65:66], v[59:60], v[2:3]
	v_mul_f64 v[69:70], v[57:58], v[2:3]
	;; [unrolled: 3-line block ×3, first 2 shown]
	v_fma_f64 v[45:46], v[45:46], v[0:1], -v[49:50]
	v_fma_f64 v[47:48], v[47:48], v[0:1], v[53:54]
	v_fma_f64 v[49:50], v[57:58], v[0:1], -v[65:66]
	v_fma_f64 v[53:54], v[59:60], v[0:1], v[69:70]
	;; [unrolled: 2-line block ×3, first 2 shown]
	s_waitcnt vmcnt(2)
	v_add_f64 v[7:8], v[7:8], -v[45:46]
	v_add_f64 v[9:10], v[9:10], -v[47:48]
	s_waitcnt vmcnt(1)
	v_add_f64 v[11:12], v[11:12], -v[49:50]
	v_add_f64 v[13:14], v[13:14], -v[53:54]
	;; [unrolled: 3-line block ×3, first 2 shown]
	s_clause 0x2
	scratch_store_b128 off, v[7:10], s9
	scratch_store_b128 off, v[11:14], s12
	;; [unrolled: 1-line block ×3, first 2 shown]
	s_cbranch_scc1 .LBB120_344
; %bb.346:                              ;   in Loop: Header=BB120_345 Depth=1
	s_addk_i32 s6, 0x110
	ds_load_2addr_b64 v[11:14], v6 offset0:6 offset1:7
	scratch_load_b128 v[7:10], off, s6
	s_add_i32 s3, s3, 64
	s_mov_b32 s7, 0
	s_waitcnt lgkmcnt(0)
	v_mul_f64 v[41:42], v[13:14], v[2:3]
	v_mul_f64 v[43:44], v[11:12], v[2:3]
	s_delay_alu instid0(VALU_DEP_2) | instskip(NEXT) | instid1(VALU_DEP_2)
	v_fma_f64 v[11:12], v[11:12], v[0:1], -v[41:42]
	v_fma_f64 v[13:14], v[13:14], v[0:1], v[43:44]
	s_waitcnt vmcnt(0)
	s_delay_alu instid0(VALU_DEP_2) | instskip(NEXT) | instid1(VALU_DEP_2)
	v_add_f64 v[6:7], v[7:8], -v[11:12]
	v_add_f64 v[8:9], v[9:10], -v[13:14]
	scratch_store_b128 off, v[6:9], s6
	s_branch .LBB120_344
.LBB120_347:
	s_or_b32 exec_lo, exec_lo, s2
	s_waitcnt_vscnt null, 0x0
	s_barrier
	buffer_gl0_inv
	scratch_load_b128 v[0:3], v32, off
	v_lshl_add_u32 v4, v38, 4, v20
	s_cmp_lt_i32 s5, 16
	s_waitcnt vmcnt(0)
	ds_store_2addr_b64 v4, v[0:1], v[2:3] offset1:1
	s_waitcnt lgkmcnt(0)
	s_barrier
	buffer_gl0_inv
	ds_load_2addr_b64 v[0:3], v20 offset0:28 offset1:29
	v_mov_b32_e32 v4, 14
	s_cbranch_scc1 .LBB120_350
; %bb.348:
	v_add3_u32 v5, v36, 0, 0xf0
	v_mov_b32_e32 v4, 14
	s_mov_b32 s6, 15
	s_set_inst_prefetch_distance 0x1
	.p2align	6
.LBB120_349:                            ; =>This Inner Loop Header: Depth=1
	ds_load_2addr_b64 v[6:9], v5 offset1:1
	s_waitcnt lgkmcnt(1)
	v_cmp_gt_f64_e32 vcc_lo, 0, v[0:1]
	v_xor_b32_e32 v10, 0x80000000, v1
	v_cmp_gt_f64_e64 s2, 0, v[2:3]
	v_xor_b32_e32 v12, 0x80000000, v3
	v_add_nc_u32_e32 v5, 16, v5
	s_waitcnt lgkmcnt(0)
	v_cmp_gt_f64_e64 s3, 0, v[6:7]
	v_dual_mov_b32 v41, v8 :: v_dual_mov_b32 v14, v6
	v_cndmask_b32_e32 v11, v1, v10, vcc_lo
	v_xor_b32_e32 v10, 0x80000000, v7
	v_cndmask_b32_e64 v13, v3, v12, s2
	v_xor_b32_e32 v12, 0x80000000, v9
	s_delay_alu instid0(VALU_DEP_3) | instskip(SKIP_2) | instid1(VALU_DEP_2)
	v_cndmask_b32_e64 v15, v7, v10, s3
	v_cmp_gt_f64_e64 s3, 0, v[8:9]
	v_cndmask_b32_e32 v10, v0, v0, vcc_lo
	v_cndmask_b32_e64 v42, v9, v12, s3
	v_cndmask_b32_e64 v12, v2, v2, s2
	s_delay_alu instid0(VALU_DEP_2) | instskip(NEXT) | instid1(VALU_DEP_2)
	v_add_f64 v[14:15], v[14:15], v[41:42]
	v_add_f64 v[10:11], v[10:11], v[12:13]
	s_delay_alu instid0(VALU_DEP_1) | instskip(SKIP_4) | instid1(SALU_CYCLE_1)
	v_cmp_lt_f64_e32 vcc_lo, v[10:11], v[14:15]
	v_dual_cndmask_b32 v1, v1, v7 :: v_dual_cndmask_b32 v0, v0, v6
	v_dual_cndmask_b32 v3, v3, v9 :: v_dual_cndmask_b32 v2, v2, v8
	v_cndmask_b32_e64 v4, v4, s6, vcc_lo
	s_add_i32 s6, s6, 1
	s_cmp_lg_u32 s5, s6
	s_cbranch_scc1 .LBB120_349
.LBB120_350:
	s_set_inst_prefetch_distance 0x2
	s_waitcnt lgkmcnt(0)
	v_cmp_eq_f64_e32 vcc_lo, 0, v[0:1]
	v_cmp_eq_f64_e64 s2, 0, v[2:3]
	s_delay_alu instid0(VALU_DEP_1) | instskip(NEXT) | instid1(SALU_CYCLE_1)
	s_and_b32 s2, vcc_lo, s2
	s_and_saveexec_b32 s3, s2
	s_delay_alu instid0(SALU_CYCLE_1)
	s_xor_b32 s2, exec_lo, s3
; %bb.351:
	v_cmp_ne_u32_e32 vcc_lo, 0, v35
	v_cndmask_b32_e32 v35, 15, v35, vcc_lo
; %bb.352:
	s_and_not1_saveexec_b32 s3, s2
	s_cbranch_execz .LBB120_358
; %bb.353:
	v_cmp_gt_f64_e32 vcc_lo, 0, v[0:1]
	v_cmp_gt_f64_e64 s2, 0, v[2:3]
	v_xor_b32_e32 v5, 0x80000000, v1
	v_xor_b32_e32 v7, 0x80000000, v3
	s_delay_alu instid0(VALU_DEP_2) | instskip(NEXT) | instid1(VALU_DEP_2)
	v_dual_cndmask_b32 v6, v1, v5 :: v_dual_cndmask_b32 v5, v0, v0
	v_cndmask_b32_e64 v8, v3, v7, s2
	v_cndmask_b32_e64 v7, v2, v2, s2
	s_mov_b32 s2, exec_lo
	s_delay_alu instid0(VALU_DEP_1)
	v_cmpx_ngt_f64_e32 v[5:6], v[7:8]
	s_xor_b32 s2, exec_lo, s2
	s_cbranch_execz .LBB120_355
; %bb.354:
	v_div_scale_f64 v[5:6], null, v[2:3], v[2:3], v[0:1]
	v_div_scale_f64 v[11:12], vcc_lo, v[0:1], v[2:3], v[0:1]
	s_delay_alu instid0(VALU_DEP_2) | instskip(SKIP_2) | instid1(VALU_DEP_1)
	v_rcp_f64_e32 v[7:8], v[5:6]
	s_waitcnt_depctr 0xfff
	v_fma_f64 v[9:10], -v[5:6], v[7:8], 1.0
	v_fma_f64 v[7:8], v[7:8], v[9:10], v[7:8]
	s_delay_alu instid0(VALU_DEP_1) | instskip(NEXT) | instid1(VALU_DEP_1)
	v_fma_f64 v[9:10], -v[5:6], v[7:8], 1.0
	v_fma_f64 v[7:8], v[7:8], v[9:10], v[7:8]
	s_delay_alu instid0(VALU_DEP_1) | instskip(NEXT) | instid1(VALU_DEP_1)
	v_mul_f64 v[9:10], v[11:12], v[7:8]
	v_fma_f64 v[5:6], -v[5:6], v[9:10], v[11:12]
	s_delay_alu instid0(VALU_DEP_1) | instskip(NEXT) | instid1(VALU_DEP_1)
	v_div_fmas_f64 v[5:6], v[5:6], v[7:8], v[9:10]
	v_div_fixup_f64 v[5:6], v[5:6], v[2:3], v[0:1]
	s_delay_alu instid0(VALU_DEP_1) | instskip(NEXT) | instid1(VALU_DEP_1)
	v_fma_f64 v[0:1], v[0:1], v[5:6], v[2:3]
	v_div_scale_f64 v[2:3], null, v[0:1], v[0:1], 1.0
	s_delay_alu instid0(VALU_DEP_1) | instskip(SKIP_2) | instid1(VALU_DEP_1)
	v_rcp_f64_e32 v[7:8], v[2:3]
	s_waitcnt_depctr 0xfff
	v_fma_f64 v[9:10], -v[2:3], v[7:8], 1.0
	v_fma_f64 v[7:8], v[7:8], v[9:10], v[7:8]
	s_delay_alu instid0(VALU_DEP_1) | instskip(NEXT) | instid1(VALU_DEP_1)
	v_fma_f64 v[9:10], -v[2:3], v[7:8], 1.0
	v_fma_f64 v[7:8], v[7:8], v[9:10], v[7:8]
	v_div_scale_f64 v[9:10], vcc_lo, 1.0, v[0:1], 1.0
	s_delay_alu instid0(VALU_DEP_1) | instskip(NEXT) | instid1(VALU_DEP_1)
	v_mul_f64 v[11:12], v[9:10], v[7:8]
	v_fma_f64 v[2:3], -v[2:3], v[11:12], v[9:10]
	s_delay_alu instid0(VALU_DEP_1) | instskip(NEXT) | instid1(VALU_DEP_1)
	v_div_fmas_f64 v[2:3], v[2:3], v[7:8], v[11:12]
	v_div_fixup_f64 v[2:3], v[2:3], v[0:1], 1.0
	s_delay_alu instid0(VALU_DEP_1)
	v_mul_f64 v[0:1], v[5:6], v[2:3]
	v_xor_b32_e32 v3, 0x80000000, v3
.LBB120_355:
	s_and_not1_saveexec_b32 s2, s2
	s_cbranch_execz .LBB120_357
; %bb.356:
	s_delay_alu instid0(VALU_DEP_1) | instskip(SKIP_1) | instid1(VALU_DEP_2)
	v_div_scale_f64 v[5:6], null, v[0:1], v[0:1], v[2:3]
	v_div_scale_f64 v[11:12], vcc_lo, v[2:3], v[0:1], v[2:3]
	v_rcp_f64_e32 v[7:8], v[5:6]
	s_waitcnt_depctr 0xfff
	v_fma_f64 v[9:10], -v[5:6], v[7:8], 1.0
	s_delay_alu instid0(VALU_DEP_1) | instskip(NEXT) | instid1(VALU_DEP_1)
	v_fma_f64 v[7:8], v[7:8], v[9:10], v[7:8]
	v_fma_f64 v[9:10], -v[5:6], v[7:8], 1.0
	s_delay_alu instid0(VALU_DEP_1) | instskip(NEXT) | instid1(VALU_DEP_1)
	v_fma_f64 v[7:8], v[7:8], v[9:10], v[7:8]
	v_mul_f64 v[9:10], v[11:12], v[7:8]
	s_delay_alu instid0(VALU_DEP_1) | instskip(NEXT) | instid1(VALU_DEP_1)
	v_fma_f64 v[5:6], -v[5:6], v[9:10], v[11:12]
	v_div_fmas_f64 v[5:6], v[5:6], v[7:8], v[9:10]
	s_delay_alu instid0(VALU_DEP_1) | instskip(NEXT) | instid1(VALU_DEP_1)
	v_div_fixup_f64 v[5:6], v[5:6], v[0:1], v[2:3]
	v_fma_f64 v[0:1], v[2:3], v[5:6], v[0:1]
	s_delay_alu instid0(VALU_DEP_1) | instskip(NEXT) | instid1(VALU_DEP_1)
	v_div_scale_f64 v[2:3], null, v[0:1], v[0:1], 1.0
	v_rcp_f64_e32 v[7:8], v[2:3]
	s_waitcnt_depctr 0xfff
	v_fma_f64 v[9:10], -v[2:3], v[7:8], 1.0
	s_delay_alu instid0(VALU_DEP_1) | instskip(NEXT) | instid1(VALU_DEP_1)
	v_fma_f64 v[7:8], v[7:8], v[9:10], v[7:8]
	v_fma_f64 v[9:10], -v[2:3], v[7:8], 1.0
	s_delay_alu instid0(VALU_DEP_1) | instskip(SKIP_1) | instid1(VALU_DEP_1)
	v_fma_f64 v[7:8], v[7:8], v[9:10], v[7:8]
	v_div_scale_f64 v[9:10], vcc_lo, 1.0, v[0:1], 1.0
	v_mul_f64 v[11:12], v[9:10], v[7:8]
	s_delay_alu instid0(VALU_DEP_1) | instskip(NEXT) | instid1(VALU_DEP_1)
	v_fma_f64 v[2:3], -v[2:3], v[11:12], v[9:10]
	v_div_fmas_f64 v[2:3], v[2:3], v[7:8], v[11:12]
	s_delay_alu instid0(VALU_DEP_1) | instskip(NEXT) | instid1(VALU_DEP_1)
	v_div_fixup_f64 v[0:1], v[2:3], v[0:1], 1.0
	v_mul_f64 v[2:3], v[5:6], -v[0:1]
.LBB120_357:
	s_or_b32 exec_lo, exec_lo, s2
.LBB120_358:
	s_delay_alu instid0(SALU_CYCLE_1) | instskip(NEXT) | instid1(SALU_CYCLE_1)
	s_or_b32 exec_lo, exec_lo, s3
	s_mov_b32 s2, exec_lo
	v_cmpx_ne_u32_e64 v38, v4
	s_xor_b32 s2, exec_lo, s2
	s_cbranch_execz .LBB120_364
; %bb.359:
	s_mov_b32 s3, exec_lo
	v_cmpx_eq_u32_e32 14, v38
	s_cbranch_execz .LBB120_363
; %bb.360:
	v_cmp_ne_u32_e32 vcc_lo, 14, v4
	s_xor_b32 s6, s4, -1
	s_delay_alu instid0(SALU_CYCLE_1) | instskip(NEXT) | instid1(SALU_CYCLE_1)
	s_and_b32 s7, s6, vcc_lo
	s_and_saveexec_b32 s6, s7
	s_cbranch_execz .LBB120_362
; %bb.361:
	v_ashrrev_i32_e32 v5, 31, v4
	s_delay_alu instid0(VALU_DEP_1) | instskip(NEXT) | instid1(VALU_DEP_1)
	v_lshlrev_b64 v[5:6], 2, v[4:5]
	v_add_co_u32 v5, vcc_lo, v18, v5
	s_delay_alu instid0(VALU_DEP_2)
	v_add_co_ci_u32_e32 v6, vcc_lo, v19, v6, vcc_lo
	s_clause 0x1
	flat_load_b32 v7, v[5:6]
	flat_load_b32 v8, v[18:19] offset:56
	s_waitcnt vmcnt(1) lgkmcnt(1)
	flat_store_b32 v[18:19], v7 offset:56
	s_waitcnt vmcnt(0) lgkmcnt(1)
	flat_store_b32 v[5:6], v8
.LBB120_362:
	s_or_b32 exec_lo, exec_lo, s6
	v_mov_b32_e32 v38, v4
	v_mov_b32_e32 v37, v4
.LBB120_363:
	s_or_b32 exec_lo, exec_lo, s3
.LBB120_364:
	s_and_not1_saveexec_b32 s2, s2
	s_cbranch_execz .LBB120_368
; %bb.365:
	v_add3_u32 v4, v36, 0, 0xf0
	s_mov_b32 s3, 0
	.p2align	6
.LBB120_366:                            ; =>This Inner Loop Header: Depth=1
	s_delay_alu instid0(SALU_CYCLE_1) | instskip(NEXT) | instid1(VALU_DEP_2)
	v_add_nc_u32_e64 v5, s3, 0
	v_add_nc_u32_e32 v13, s3, v4
	s_add_i32 s3, s3, 32
	s_delay_alu instid0(SALU_CYCLE_1) | instskip(NEXT) | instid1(VALU_DEP_2)
	s_cmpk_eq_i32 s3, 0x2e0
	v_add_nc_u32_e32 v6, 0xf0, v5
	v_add_nc_u32_e32 v9, 0x100, v5
	s_clause 0x1
	scratch_load_b128 v[5:8], v6, off
	scratch_load_b128 v[9:12], v9, off
	s_waitcnt vmcnt(1)
	ds_store_2addr_b64 v13, v[5:6], v[7:8] offset1:1
	s_waitcnt vmcnt(0)
	ds_store_2addr_b64 v13, v[9:10], v[11:12] offset0:2 offset1:3
	s_cbranch_scc0 .LBB120_366
; %bb.367:
	v_mov_b32_e32 v38, 14
.LBB120_368:
	s_or_b32 exec_lo, exec_lo, s2
	s_delay_alu instid0(SALU_CYCLE_1)
	s_mov_b32 s2, exec_lo
	s_waitcnt lgkmcnt(0)
	s_waitcnt_vscnt null, 0x0
	s_barrier
	buffer_gl0_inv
	v_cmpx_lt_i32_e32 14, v38
	s_cbranch_execz .LBB120_371
; %bb.369:
	scratch_load_b128 v[4:7], off, off offset:224
	s_mov_b32 s3, 0
	s_waitcnt vmcnt(0)
	v_mul_f64 v[8:9], v[2:3], v[6:7]
	v_mul_f64 v[6:7], v[0:1], v[6:7]
	s_delay_alu instid0(VALU_DEP_2) | instskip(NEXT) | instid1(VALU_DEP_2)
	v_fma_f64 v[0:1], v[0:1], v[4:5], -v[8:9]
	v_fma_f64 v[2:3], v[2:3], v[4:5], v[6:7]
	v_add3_u32 v4, v36, 0, 0xf0
	scratch_store_b128 off, v[0:3], off offset:224
	s_set_inst_prefetch_distance 0x1
	.p2align	6
.LBB120_370:                            ; =>This Inner Loop Header: Depth=1
	v_add_nc_u32_e64 v5, s3, 0
	v_add_nc_u32_e32 v13, s3, v4
	s_add_i32 s3, s3, 32
	s_delay_alu instid0(SALU_CYCLE_1) | instskip(NEXT) | instid1(VALU_DEP_2)
	s_cmpk_lg_i32 s3, 0x2e0
	v_add_nc_u32_e32 v15, 0xf0, v5
	v_add_nc_u32_e32 v39, 0x100, v5
	s_clause 0x1
	scratch_load_b128 v[5:8], v15, off
	scratch_load_b128 v[9:12], v39, off
	ds_load_2addr_b64 v[41:44], v13 offset1:1
	ds_load_2addr_b64 v[45:48], v13 offset0:2 offset1:3
	s_waitcnt lgkmcnt(1)
	v_mul_f64 v[13:14], v[43:44], v[2:3]
	v_mul_f64 v[49:50], v[41:42], v[2:3]
	s_waitcnt lgkmcnt(0)
	v_mul_f64 v[53:54], v[47:48], v[2:3]
	v_mul_f64 v[57:58], v[45:46], v[2:3]
	s_delay_alu instid0(VALU_DEP_4) | instskip(NEXT) | instid1(VALU_DEP_4)
	v_fma_f64 v[13:14], v[41:42], v[0:1], -v[13:14]
	v_fma_f64 v[41:42], v[43:44], v[0:1], v[49:50]
	s_delay_alu instid0(VALU_DEP_4) | instskip(NEXT) | instid1(VALU_DEP_4)
	v_fma_f64 v[43:44], v[45:46], v[0:1], -v[53:54]
	v_fma_f64 v[45:46], v[47:48], v[0:1], v[57:58]
	s_waitcnt vmcnt(1)
	s_delay_alu instid0(VALU_DEP_4) | instskip(NEXT) | instid1(VALU_DEP_4)
	v_add_f64 v[5:6], v[5:6], -v[13:14]
	v_add_f64 v[7:8], v[7:8], -v[41:42]
	s_waitcnt vmcnt(0)
	s_delay_alu instid0(VALU_DEP_4) | instskip(NEXT) | instid1(VALU_DEP_4)
	v_add_f64 v[9:10], v[9:10], -v[43:44]
	v_add_f64 v[11:12], v[11:12], -v[45:46]
	s_clause 0x1
	scratch_store_b128 v15, v[5:8], off
	scratch_store_b128 v39, v[9:12], off
	s_cbranch_scc1 .LBB120_370
.LBB120_371:
	s_set_inst_prefetch_distance 0x2
	s_or_b32 exec_lo, exec_lo, s2
	s_waitcnt_vscnt null, 0x0
	s_barrier
	buffer_gl0_inv
	scratch_load_b128 v[0:3], v40, off
	v_lshl_add_u32 v4, v38, 4, v20
	s_cmp_lt_i32 s5, 17
	s_waitcnt vmcnt(0)
	ds_store_2addr_b64 v4, v[0:1], v[2:3] offset1:1
	s_waitcnt lgkmcnt(0)
	s_barrier
	buffer_gl0_inv
	ds_load_2addr_b64 v[0:3], v20 offset0:30 offset1:31
	v_mov_b32_e32 v4, 15
	s_cbranch_scc1 .LBB120_374
; %bb.372:
	v_add3_u32 v5, v36, 0, 0x100
	v_mov_b32_e32 v4, 15
	s_mov_b32 s6, 16
	s_set_inst_prefetch_distance 0x1
	.p2align	6
.LBB120_373:                            ; =>This Inner Loop Header: Depth=1
	ds_load_2addr_b64 v[6:9], v5 offset1:1
	s_waitcnt lgkmcnt(1)
	v_cmp_gt_f64_e32 vcc_lo, 0, v[0:1]
	v_xor_b32_e32 v10, 0x80000000, v1
	v_cmp_gt_f64_e64 s2, 0, v[2:3]
	v_xor_b32_e32 v12, 0x80000000, v3
	v_add_nc_u32_e32 v5, 16, v5
	s_waitcnt lgkmcnt(0)
	v_cmp_gt_f64_e64 s3, 0, v[6:7]
	v_dual_mov_b32 v41, v8 :: v_dual_mov_b32 v14, v6
	v_cndmask_b32_e32 v11, v1, v10, vcc_lo
	v_xor_b32_e32 v10, 0x80000000, v7
	v_cndmask_b32_e64 v13, v3, v12, s2
	v_xor_b32_e32 v12, 0x80000000, v9
	s_delay_alu instid0(VALU_DEP_3) | instskip(SKIP_2) | instid1(VALU_DEP_2)
	v_cndmask_b32_e64 v15, v7, v10, s3
	v_cmp_gt_f64_e64 s3, 0, v[8:9]
	v_cndmask_b32_e32 v10, v0, v0, vcc_lo
	v_cndmask_b32_e64 v42, v9, v12, s3
	v_cndmask_b32_e64 v12, v2, v2, s2
	s_delay_alu instid0(VALU_DEP_2) | instskip(NEXT) | instid1(VALU_DEP_2)
	v_add_f64 v[14:15], v[14:15], v[41:42]
	v_add_f64 v[10:11], v[10:11], v[12:13]
	s_delay_alu instid0(VALU_DEP_1) | instskip(SKIP_4) | instid1(SALU_CYCLE_1)
	v_cmp_lt_f64_e32 vcc_lo, v[10:11], v[14:15]
	v_dual_cndmask_b32 v1, v1, v7 :: v_dual_cndmask_b32 v0, v0, v6
	v_dual_cndmask_b32 v3, v3, v9 :: v_dual_cndmask_b32 v2, v2, v8
	v_cndmask_b32_e64 v4, v4, s6, vcc_lo
	s_add_i32 s6, s6, 1
	s_cmp_lg_u32 s5, s6
	s_cbranch_scc1 .LBB120_373
.LBB120_374:
	s_set_inst_prefetch_distance 0x2
	s_waitcnt lgkmcnt(0)
	v_cmp_eq_f64_e32 vcc_lo, 0, v[0:1]
	v_cmp_eq_f64_e64 s2, 0, v[2:3]
	s_delay_alu instid0(VALU_DEP_1) | instskip(NEXT) | instid1(SALU_CYCLE_1)
	s_and_b32 s2, vcc_lo, s2
	s_and_saveexec_b32 s3, s2
	s_delay_alu instid0(SALU_CYCLE_1)
	s_xor_b32 s2, exec_lo, s3
; %bb.375:
	v_cmp_ne_u32_e32 vcc_lo, 0, v35
	v_cndmask_b32_e32 v35, 16, v35, vcc_lo
; %bb.376:
	s_and_not1_saveexec_b32 s3, s2
	s_cbranch_execz .LBB120_382
; %bb.377:
	v_cmp_gt_f64_e32 vcc_lo, 0, v[0:1]
	v_cmp_gt_f64_e64 s2, 0, v[2:3]
	v_xor_b32_e32 v5, 0x80000000, v1
	v_xor_b32_e32 v7, 0x80000000, v3
	s_delay_alu instid0(VALU_DEP_2) | instskip(NEXT) | instid1(VALU_DEP_2)
	v_dual_cndmask_b32 v6, v1, v5 :: v_dual_cndmask_b32 v5, v0, v0
	v_cndmask_b32_e64 v8, v3, v7, s2
	v_cndmask_b32_e64 v7, v2, v2, s2
	s_mov_b32 s2, exec_lo
	s_delay_alu instid0(VALU_DEP_1)
	v_cmpx_ngt_f64_e32 v[5:6], v[7:8]
	s_xor_b32 s2, exec_lo, s2
	s_cbranch_execz .LBB120_379
; %bb.378:
	v_div_scale_f64 v[5:6], null, v[2:3], v[2:3], v[0:1]
	v_div_scale_f64 v[11:12], vcc_lo, v[0:1], v[2:3], v[0:1]
	s_delay_alu instid0(VALU_DEP_2) | instskip(SKIP_2) | instid1(VALU_DEP_1)
	v_rcp_f64_e32 v[7:8], v[5:6]
	s_waitcnt_depctr 0xfff
	v_fma_f64 v[9:10], -v[5:6], v[7:8], 1.0
	v_fma_f64 v[7:8], v[7:8], v[9:10], v[7:8]
	s_delay_alu instid0(VALU_DEP_1) | instskip(NEXT) | instid1(VALU_DEP_1)
	v_fma_f64 v[9:10], -v[5:6], v[7:8], 1.0
	v_fma_f64 v[7:8], v[7:8], v[9:10], v[7:8]
	s_delay_alu instid0(VALU_DEP_1) | instskip(NEXT) | instid1(VALU_DEP_1)
	v_mul_f64 v[9:10], v[11:12], v[7:8]
	v_fma_f64 v[5:6], -v[5:6], v[9:10], v[11:12]
	s_delay_alu instid0(VALU_DEP_1) | instskip(NEXT) | instid1(VALU_DEP_1)
	v_div_fmas_f64 v[5:6], v[5:6], v[7:8], v[9:10]
	v_div_fixup_f64 v[5:6], v[5:6], v[2:3], v[0:1]
	s_delay_alu instid0(VALU_DEP_1) | instskip(NEXT) | instid1(VALU_DEP_1)
	v_fma_f64 v[0:1], v[0:1], v[5:6], v[2:3]
	v_div_scale_f64 v[2:3], null, v[0:1], v[0:1], 1.0
	s_delay_alu instid0(VALU_DEP_1) | instskip(SKIP_2) | instid1(VALU_DEP_1)
	v_rcp_f64_e32 v[7:8], v[2:3]
	s_waitcnt_depctr 0xfff
	v_fma_f64 v[9:10], -v[2:3], v[7:8], 1.0
	v_fma_f64 v[7:8], v[7:8], v[9:10], v[7:8]
	s_delay_alu instid0(VALU_DEP_1) | instskip(NEXT) | instid1(VALU_DEP_1)
	v_fma_f64 v[9:10], -v[2:3], v[7:8], 1.0
	v_fma_f64 v[7:8], v[7:8], v[9:10], v[7:8]
	v_div_scale_f64 v[9:10], vcc_lo, 1.0, v[0:1], 1.0
	s_delay_alu instid0(VALU_DEP_1) | instskip(NEXT) | instid1(VALU_DEP_1)
	v_mul_f64 v[11:12], v[9:10], v[7:8]
	v_fma_f64 v[2:3], -v[2:3], v[11:12], v[9:10]
	s_delay_alu instid0(VALU_DEP_1) | instskip(NEXT) | instid1(VALU_DEP_1)
	v_div_fmas_f64 v[2:3], v[2:3], v[7:8], v[11:12]
	v_div_fixup_f64 v[2:3], v[2:3], v[0:1], 1.0
	s_delay_alu instid0(VALU_DEP_1)
	v_mul_f64 v[0:1], v[5:6], v[2:3]
	v_xor_b32_e32 v3, 0x80000000, v3
.LBB120_379:
	s_and_not1_saveexec_b32 s2, s2
	s_cbranch_execz .LBB120_381
; %bb.380:
	s_delay_alu instid0(VALU_DEP_1) | instskip(SKIP_1) | instid1(VALU_DEP_2)
	v_div_scale_f64 v[5:6], null, v[0:1], v[0:1], v[2:3]
	v_div_scale_f64 v[11:12], vcc_lo, v[2:3], v[0:1], v[2:3]
	v_rcp_f64_e32 v[7:8], v[5:6]
	s_waitcnt_depctr 0xfff
	v_fma_f64 v[9:10], -v[5:6], v[7:8], 1.0
	s_delay_alu instid0(VALU_DEP_1) | instskip(NEXT) | instid1(VALU_DEP_1)
	v_fma_f64 v[7:8], v[7:8], v[9:10], v[7:8]
	v_fma_f64 v[9:10], -v[5:6], v[7:8], 1.0
	s_delay_alu instid0(VALU_DEP_1) | instskip(NEXT) | instid1(VALU_DEP_1)
	v_fma_f64 v[7:8], v[7:8], v[9:10], v[7:8]
	v_mul_f64 v[9:10], v[11:12], v[7:8]
	s_delay_alu instid0(VALU_DEP_1) | instskip(NEXT) | instid1(VALU_DEP_1)
	v_fma_f64 v[5:6], -v[5:6], v[9:10], v[11:12]
	v_div_fmas_f64 v[5:6], v[5:6], v[7:8], v[9:10]
	s_delay_alu instid0(VALU_DEP_1) | instskip(NEXT) | instid1(VALU_DEP_1)
	v_div_fixup_f64 v[5:6], v[5:6], v[0:1], v[2:3]
	v_fma_f64 v[0:1], v[2:3], v[5:6], v[0:1]
	s_delay_alu instid0(VALU_DEP_1) | instskip(NEXT) | instid1(VALU_DEP_1)
	v_div_scale_f64 v[2:3], null, v[0:1], v[0:1], 1.0
	v_rcp_f64_e32 v[7:8], v[2:3]
	s_waitcnt_depctr 0xfff
	v_fma_f64 v[9:10], -v[2:3], v[7:8], 1.0
	s_delay_alu instid0(VALU_DEP_1) | instskip(NEXT) | instid1(VALU_DEP_1)
	v_fma_f64 v[7:8], v[7:8], v[9:10], v[7:8]
	v_fma_f64 v[9:10], -v[2:3], v[7:8], 1.0
	s_delay_alu instid0(VALU_DEP_1) | instskip(SKIP_1) | instid1(VALU_DEP_1)
	v_fma_f64 v[7:8], v[7:8], v[9:10], v[7:8]
	v_div_scale_f64 v[9:10], vcc_lo, 1.0, v[0:1], 1.0
	v_mul_f64 v[11:12], v[9:10], v[7:8]
	s_delay_alu instid0(VALU_DEP_1) | instskip(NEXT) | instid1(VALU_DEP_1)
	v_fma_f64 v[2:3], -v[2:3], v[11:12], v[9:10]
	v_div_fmas_f64 v[2:3], v[2:3], v[7:8], v[11:12]
	s_delay_alu instid0(VALU_DEP_1) | instskip(NEXT) | instid1(VALU_DEP_1)
	v_div_fixup_f64 v[0:1], v[2:3], v[0:1], 1.0
	v_mul_f64 v[2:3], v[5:6], -v[0:1]
.LBB120_381:
	s_or_b32 exec_lo, exec_lo, s2
.LBB120_382:
	s_delay_alu instid0(SALU_CYCLE_1) | instskip(NEXT) | instid1(SALU_CYCLE_1)
	s_or_b32 exec_lo, exec_lo, s3
	s_mov_b32 s2, exec_lo
	v_cmpx_ne_u32_e64 v38, v4
	s_xor_b32 s2, exec_lo, s2
	s_cbranch_execz .LBB120_388
; %bb.383:
	s_mov_b32 s3, exec_lo
	v_cmpx_eq_u32_e32 15, v38
	s_cbranch_execz .LBB120_387
; %bb.384:
	v_cmp_ne_u32_e32 vcc_lo, 15, v4
	s_xor_b32 s6, s4, -1
	s_delay_alu instid0(SALU_CYCLE_1) | instskip(NEXT) | instid1(SALU_CYCLE_1)
	s_and_b32 s7, s6, vcc_lo
	s_and_saveexec_b32 s6, s7
	s_cbranch_execz .LBB120_386
; %bb.385:
	v_ashrrev_i32_e32 v5, 31, v4
	s_delay_alu instid0(VALU_DEP_1) | instskip(NEXT) | instid1(VALU_DEP_1)
	v_lshlrev_b64 v[5:6], 2, v[4:5]
	v_add_co_u32 v5, vcc_lo, v18, v5
	s_delay_alu instid0(VALU_DEP_2)
	v_add_co_ci_u32_e32 v6, vcc_lo, v19, v6, vcc_lo
	s_clause 0x1
	flat_load_b32 v7, v[5:6]
	flat_load_b32 v8, v[18:19] offset:60
	s_waitcnt vmcnt(1) lgkmcnt(1)
	flat_store_b32 v[18:19], v7 offset:60
	s_waitcnt vmcnt(0) lgkmcnt(1)
	flat_store_b32 v[5:6], v8
.LBB120_386:
	s_or_b32 exec_lo, exec_lo, s6
	v_mov_b32_e32 v38, v4
	v_mov_b32_e32 v37, v4
.LBB120_387:
	s_or_b32 exec_lo, exec_lo, s3
.LBB120_388:
	s_and_not1_saveexec_b32 s2, s2
	s_cbranch_execz .LBB120_392
; %bb.389:
	v_add3_u32 v4, v36, 0, 0x100
	v_mov_b32_e32 v5, 0
	s_mov_b32 s3, 0
.LBB120_390:                            ; =>This Inner Loop Header: Depth=1
	s_delay_alu instid0(VALU_DEP_1) | instskip(NEXT) | instid1(VALU_DEP_3)
	v_readfirstlane_b32 s6, v5
	v_add_nc_u32_e32 v14, s3, v4
	s_delay_alu instid0(VALU_DEP_2)
	s_add_i32 s6, s6, s3
	s_addk_i32 s3, 0xf0
	s_add_i32 s7, s6, 0x100
	s_add_i32 s9, s6, 0x110
	;; [unrolled: 1-line block ×14, first 2 shown]
	s_addk_i32 s6, 0x1e0
	s_clause 0xe
	scratch_load_b128 v[6:9], off, s7
	scratch_load_b128 v[10:13], off, s9
	;; [unrolled: 1-line block ×15, first 2 shown]
	s_cmpk_eq_i32 s3, 0x2d0
	s_waitcnt vmcnt(14)
	ds_store_2addr_b64 v14, v[6:7], v[8:9] offset1:1
	s_waitcnt vmcnt(13)
	ds_store_2addr_b64 v14, v[10:11], v[12:13] offset0:2 offset1:3
	s_waitcnt vmcnt(12)
	ds_store_2addr_b64 v14, v[41:42], v[43:44] offset0:4 offset1:5
	;; [unrolled: 2-line block ×14, first 2 shown]
	s_cbranch_scc0 .LBB120_390
; %bb.391:
	v_mov_b32_e32 v38, 15
.LBB120_392:
	s_or_b32 exec_lo, exec_lo, s2
	s_delay_alu instid0(SALU_CYCLE_1)
	s_mov_b32 s2, exec_lo
	s_waitcnt lgkmcnt(0)
	s_waitcnt_vscnt null, 0x0
	s_barrier
	buffer_gl0_inv
	v_cmpx_lt_i32_e32 15, v38
	s_cbranch_execz .LBB120_395
; %bb.393:
	scratch_load_b128 v[4:7], off, off offset:240
	s_mov_b32 s3, 0
	s_waitcnt vmcnt(0)
	v_mul_f64 v[8:9], v[2:3], v[6:7]
	v_mul_f64 v[6:7], v[0:1], v[6:7]
	s_delay_alu instid0(VALU_DEP_2) | instskip(NEXT) | instid1(VALU_DEP_2)
	v_fma_f64 v[0:1], v[0:1], v[4:5], -v[8:9]
	v_fma_f64 v[2:3], v[2:3], v[4:5], v[6:7]
	v_add3_u32 v4, v36, 0, 0x100
	v_mov_b32_e32 v5, 0
	scratch_store_b128 off, v[0:3], off offset:240
.LBB120_394:                            ; =>This Inner Loop Header: Depth=1
	v_readfirstlane_b32 s6, v5
	v_add_nc_u32_e32 v14, s3, v4
	s_delay_alu instid0(VALU_DEP_2)
	s_add_i32 s6, s6, s3
	s_addk_i32 s3, 0x50
	s_add_i32 s7, s6, 0x100
	s_add_i32 s9, s6, 0x110
	;; [unrolled: 1-line block ×4, first 2 shown]
	s_addk_i32 s6, 0x140
	s_clause 0x4
	scratch_load_b128 v[6:9], off, s7
	scratch_load_b128 v[10:13], off, s9
	scratch_load_b128 v[41:44], off, s12
	scratch_load_b128 v[45:48], off, s14
	scratch_load_b128 v[57:60], off, s6
	ds_load_2addr_b64 v[61:64], v14 offset1:1
	ds_load_2addr_b64 v[73:76], v14 offset0:2 offset1:3
	ds_load_2addr_b64 v[129:132], v14 offset0:4 offset1:5
	;; [unrolled: 1-line block ×4, first 2 shown]
	s_cmpk_lg_i32 s3, 0x2d0
	s_waitcnt lgkmcnt(4)
	v_mul_f64 v[14:15], v[63:64], v[2:3]
	v_mul_f64 v[49:50], v[61:62], v[2:3]
	s_waitcnt lgkmcnt(3)
	v_mul_f64 v[53:54], v[75:76], v[2:3]
	v_mul_f64 v[65:66], v[73:74], v[2:3]
	;; [unrolled: 3-line block ×5, first 2 shown]
	v_fma_f64 v[14:15], v[61:62], v[0:1], -v[14:15]
	v_fma_f64 v[49:50], v[63:64], v[0:1], v[49:50]
	v_fma_f64 v[53:54], v[73:74], v[0:1], -v[53:54]
	v_fma_f64 v[61:62], v[75:76], v[0:1], v[65:66]
	;; [unrolled: 2-line block ×5, first 2 shown]
	s_waitcnt vmcnt(4)
	v_add_f64 v[6:7], v[6:7], -v[14:15]
	v_add_f64 v[8:9], v[8:9], -v[49:50]
	s_waitcnt vmcnt(3)
	v_add_f64 v[10:11], v[10:11], -v[53:54]
	v_add_f64 v[12:13], v[12:13], -v[61:62]
	;; [unrolled: 3-line block ×5, first 2 shown]
	s_clause 0x4
	scratch_store_b128 off, v[6:9], s7
	scratch_store_b128 off, v[10:13], s9
	scratch_store_b128 off, v[41:44], s12
	scratch_store_b128 off, v[45:48], s14
	scratch_store_b128 off, v[57:60], s6
	s_cbranch_scc1 .LBB120_394
.LBB120_395:
	s_or_b32 exec_lo, exec_lo, s2
	s_waitcnt_vscnt null, 0x0
	s_barrier
	buffer_gl0_inv
	scratch_load_b128 v[0:3], v52, off
	v_lshl_add_u32 v4, v38, 4, v20
	s_cmp_lt_i32 s5, 18
	s_waitcnt vmcnt(0)
	ds_store_2addr_b64 v4, v[0:1], v[2:3] offset1:1
	s_waitcnt lgkmcnt(0)
	s_barrier
	buffer_gl0_inv
	ds_load_2addr_b64 v[0:3], v20 offset0:32 offset1:33
	v_mov_b32_e32 v4, 16
	s_cbranch_scc1 .LBB120_398
; %bb.396:
	v_add3_u32 v5, v36, 0, 0x110
	v_mov_b32_e32 v4, 16
	s_mov_b32 s6, 17
	s_set_inst_prefetch_distance 0x1
	.p2align	6
.LBB120_397:                            ; =>This Inner Loop Header: Depth=1
	ds_load_2addr_b64 v[6:9], v5 offset1:1
	s_waitcnt lgkmcnt(1)
	v_cmp_gt_f64_e32 vcc_lo, 0, v[0:1]
	v_xor_b32_e32 v10, 0x80000000, v1
	v_cmp_gt_f64_e64 s2, 0, v[2:3]
	v_xor_b32_e32 v12, 0x80000000, v3
	v_add_nc_u32_e32 v5, 16, v5
	s_waitcnt lgkmcnt(0)
	v_cmp_gt_f64_e64 s3, 0, v[6:7]
	v_dual_mov_b32 v41, v8 :: v_dual_mov_b32 v14, v6
	v_cndmask_b32_e32 v11, v1, v10, vcc_lo
	v_xor_b32_e32 v10, 0x80000000, v7
	v_cndmask_b32_e64 v13, v3, v12, s2
	v_xor_b32_e32 v12, 0x80000000, v9
	s_delay_alu instid0(VALU_DEP_3) | instskip(SKIP_2) | instid1(VALU_DEP_2)
	v_cndmask_b32_e64 v15, v7, v10, s3
	v_cmp_gt_f64_e64 s3, 0, v[8:9]
	v_cndmask_b32_e32 v10, v0, v0, vcc_lo
	v_cndmask_b32_e64 v42, v9, v12, s3
	v_cndmask_b32_e64 v12, v2, v2, s2
	s_delay_alu instid0(VALU_DEP_2) | instskip(NEXT) | instid1(VALU_DEP_2)
	v_add_f64 v[14:15], v[14:15], v[41:42]
	v_add_f64 v[10:11], v[10:11], v[12:13]
	s_delay_alu instid0(VALU_DEP_1) | instskip(SKIP_4) | instid1(SALU_CYCLE_1)
	v_cmp_lt_f64_e32 vcc_lo, v[10:11], v[14:15]
	v_dual_cndmask_b32 v1, v1, v7 :: v_dual_cndmask_b32 v0, v0, v6
	v_dual_cndmask_b32 v3, v3, v9 :: v_dual_cndmask_b32 v2, v2, v8
	v_cndmask_b32_e64 v4, v4, s6, vcc_lo
	s_add_i32 s6, s6, 1
	s_cmp_lg_u32 s5, s6
	s_cbranch_scc1 .LBB120_397
.LBB120_398:
	s_set_inst_prefetch_distance 0x2
	s_waitcnt lgkmcnt(0)
	v_cmp_eq_f64_e32 vcc_lo, 0, v[0:1]
	v_cmp_eq_f64_e64 s2, 0, v[2:3]
	s_delay_alu instid0(VALU_DEP_1) | instskip(NEXT) | instid1(SALU_CYCLE_1)
	s_and_b32 s2, vcc_lo, s2
	s_and_saveexec_b32 s3, s2
	s_delay_alu instid0(SALU_CYCLE_1)
	s_xor_b32 s2, exec_lo, s3
; %bb.399:
	v_cmp_ne_u32_e32 vcc_lo, 0, v35
	v_cndmask_b32_e32 v35, 17, v35, vcc_lo
; %bb.400:
	s_and_not1_saveexec_b32 s3, s2
	s_cbranch_execz .LBB120_406
; %bb.401:
	v_cmp_gt_f64_e32 vcc_lo, 0, v[0:1]
	v_cmp_gt_f64_e64 s2, 0, v[2:3]
	v_xor_b32_e32 v5, 0x80000000, v1
	v_xor_b32_e32 v7, 0x80000000, v3
	s_delay_alu instid0(VALU_DEP_2) | instskip(NEXT) | instid1(VALU_DEP_2)
	v_dual_cndmask_b32 v6, v1, v5 :: v_dual_cndmask_b32 v5, v0, v0
	v_cndmask_b32_e64 v8, v3, v7, s2
	v_cndmask_b32_e64 v7, v2, v2, s2
	s_mov_b32 s2, exec_lo
	s_delay_alu instid0(VALU_DEP_1)
	v_cmpx_ngt_f64_e32 v[5:6], v[7:8]
	s_xor_b32 s2, exec_lo, s2
	s_cbranch_execz .LBB120_403
; %bb.402:
	v_div_scale_f64 v[5:6], null, v[2:3], v[2:3], v[0:1]
	v_div_scale_f64 v[11:12], vcc_lo, v[0:1], v[2:3], v[0:1]
	s_delay_alu instid0(VALU_DEP_2) | instskip(SKIP_2) | instid1(VALU_DEP_1)
	v_rcp_f64_e32 v[7:8], v[5:6]
	s_waitcnt_depctr 0xfff
	v_fma_f64 v[9:10], -v[5:6], v[7:8], 1.0
	v_fma_f64 v[7:8], v[7:8], v[9:10], v[7:8]
	s_delay_alu instid0(VALU_DEP_1) | instskip(NEXT) | instid1(VALU_DEP_1)
	v_fma_f64 v[9:10], -v[5:6], v[7:8], 1.0
	v_fma_f64 v[7:8], v[7:8], v[9:10], v[7:8]
	s_delay_alu instid0(VALU_DEP_1) | instskip(NEXT) | instid1(VALU_DEP_1)
	v_mul_f64 v[9:10], v[11:12], v[7:8]
	v_fma_f64 v[5:6], -v[5:6], v[9:10], v[11:12]
	s_delay_alu instid0(VALU_DEP_1) | instskip(NEXT) | instid1(VALU_DEP_1)
	v_div_fmas_f64 v[5:6], v[5:6], v[7:8], v[9:10]
	v_div_fixup_f64 v[5:6], v[5:6], v[2:3], v[0:1]
	s_delay_alu instid0(VALU_DEP_1) | instskip(NEXT) | instid1(VALU_DEP_1)
	v_fma_f64 v[0:1], v[0:1], v[5:6], v[2:3]
	v_div_scale_f64 v[2:3], null, v[0:1], v[0:1], 1.0
	s_delay_alu instid0(VALU_DEP_1) | instskip(SKIP_2) | instid1(VALU_DEP_1)
	v_rcp_f64_e32 v[7:8], v[2:3]
	s_waitcnt_depctr 0xfff
	v_fma_f64 v[9:10], -v[2:3], v[7:8], 1.0
	v_fma_f64 v[7:8], v[7:8], v[9:10], v[7:8]
	s_delay_alu instid0(VALU_DEP_1) | instskip(NEXT) | instid1(VALU_DEP_1)
	v_fma_f64 v[9:10], -v[2:3], v[7:8], 1.0
	v_fma_f64 v[7:8], v[7:8], v[9:10], v[7:8]
	v_div_scale_f64 v[9:10], vcc_lo, 1.0, v[0:1], 1.0
	s_delay_alu instid0(VALU_DEP_1) | instskip(NEXT) | instid1(VALU_DEP_1)
	v_mul_f64 v[11:12], v[9:10], v[7:8]
	v_fma_f64 v[2:3], -v[2:3], v[11:12], v[9:10]
	s_delay_alu instid0(VALU_DEP_1) | instskip(NEXT) | instid1(VALU_DEP_1)
	v_div_fmas_f64 v[2:3], v[2:3], v[7:8], v[11:12]
	v_div_fixup_f64 v[2:3], v[2:3], v[0:1], 1.0
	s_delay_alu instid0(VALU_DEP_1)
	v_mul_f64 v[0:1], v[5:6], v[2:3]
	v_xor_b32_e32 v3, 0x80000000, v3
.LBB120_403:
	s_and_not1_saveexec_b32 s2, s2
	s_cbranch_execz .LBB120_405
; %bb.404:
	s_delay_alu instid0(VALU_DEP_1) | instskip(SKIP_1) | instid1(VALU_DEP_2)
	v_div_scale_f64 v[5:6], null, v[0:1], v[0:1], v[2:3]
	v_div_scale_f64 v[11:12], vcc_lo, v[2:3], v[0:1], v[2:3]
	v_rcp_f64_e32 v[7:8], v[5:6]
	s_waitcnt_depctr 0xfff
	v_fma_f64 v[9:10], -v[5:6], v[7:8], 1.0
	s_delay_alu instid0(VALU_DEP_1) | instskip(NEXT) | instid1(VALU_DEP_1)
	v_fma_f64 v[7:8], v[7:8], v[9:10], v[7:8]
	v_fma_f64 v[9:10], -v[5:6], v[7:8], 1.0
	s_delay_alu instid0(VALU_DEP_1) | instskip(NEXT) | instid1(VALU_DEP_1)
	v_fma_f64 v[7:8], v[7:8], v[9:10], v[7:8]
	v_mul_f64 v[9:10], v[11:12], v[7:8]
	s_delay_alu instid0(VALU_DEP_1) | instskip(NEXT) | instid1(VALU_DEP_1)
	v_fma_f64 v[5:6], -v[5:6], v[9:10], v[11:12]
	v_div_fmas_f64 v[5:6], v[5:6], v[7:8], v[9:10]
	s_delay_alu instid0(VALU_DEP_1) | instskip(NEXT) | instid1(VALU_DEP_1)
	v_div_fixup_f64 v[5:6], v[5:6], v[0:1], v[2:3]
	v_fma_f64 v[0:1], v[2:3], v[5:6], v[0:1]
	s_delay_alu instid0(VALU_DEP_1) | instskip(NEXT) | instid1(VALU_DEP_1)
	v_div_scale_f64 v[2:3], null, v[0:1], v[0:1], 1.0
	v_rcp_f64_e32 v[7:8], v[2:3]
	s_waitcnt_depctr 0xfff
	v_fma_f64 v[9:10], -v[2:3], v[7:8], 1.0
	s_delay_alu instid0(VALU_DEP_1) | instskip(NEXT) | instid1(VALU_DEP_1)
	v_fma_f64 v[7:8], v[7:8], v[9:10], v[7:8]
	v_fma_f64 v[9:10], -v[2:3], v[7:8], 1.0
	s_delay_alu instid0(VALU_DEP_1) | instskip(SKIP_1) | instid1(VALU_DEP_1)
	v_fma_f64 v[7:8], v[7:8], v[9:10], v[7:8]
	v_div_scale_f64 v[9:10], vcc_lo, 1.0, v[0:1], 1.0
	v_mul_f64 v[11:12], v[9:10], v[7:8]
	s_delay_alu instid0(VALU_DEP_1) | instskip(NEXT) | instid1(VALU_DEP_1)
	v_fma_f64 v[2:3], -v[2:3], v[11:12], v[9:10]
	v_div_fmas_f64 v[2:3], v[2:3], v[7:8], v[11:12]
	s_delay_alu instid0(VALU_DEP_1) | instskip(NEXT) | instid1(VALU_DEP_1)
	v_div_fixup_f64 v[0:1], v[2:3], v[0:1], 1.0
	v_mul_f64 v[2:3], v[5:6], -v[0:1]
.LBB120_405:
	s_or_b32 exec_lo, exec_lo, s2
.LBB120_406:
	s_delay_alu instid0(SALU_CYCLE_1) | instskip(NEXT) | instid1(SALU_CYCLE_1)
	s_or_b32 exec_lo, exec_lo, s3
	s_mov_b32 s2, exec_lo
	v_cmpx_ne_u32_e64 v38, v4
	s_xor_b32 s2, exec_lo, s2
	s_cbranch_execz .LBB120_412
; %bb.407:
	s_mov_b32 s3, exec_lo
	v_cmpx_eq_u32_e32 16, v38
	s_cbranch_execz .LBB120_411
; %bb.408:
	v_cmp_ne_u32_e32 vcc_lo, 16, v4
	s_xor_b32 s6, s4, -1
	s_delay_alu instid0(SALU_CYCLE_1) | instskip(NEXT) | instid1(SALU_CYCLE_1)
	s_and_b32 s7, s6, vcc_lo
	s_and_saveexec_b32 s6, s7
	s_cbranch_execz .LBB120_410
; %bb.409:
	v_ashrrev_i32_e32 v5, 31, v4
	s_delay_alu instid0(VALU_DEP_1) | instskip(NEXT) | instid1(VALU_DEP_1)
	v_lshlrev_b64 v[5:6], 2, v[4:5]
	v_add_co_u32 v5, vcc_lo, v18, v5
	s_delay_alu instid0(VALU_DEP_2)
	v_add_co_ci_u32_e32 v6, vcc_lo, v19, v6, vcc_lo
	s_clause 0x1
	flat_load_b32 v7, v[5:6]
	flat_load_b32 v8, v[18:19] offset:64
	s_waitcnt vmcnt(1) lgkmcnt(1)
	flat_store_b32 v[18:19], v7 offset:64
	s_waitcnt vmcnt(0) lgkmcnt(1)
	flat_store_b32 v[5:6], v8
.LBB120_410:
	s_or_b32 exec_lo, exec_lo, s6
	v_mov_b32_e32 v38, v4
	v_mov_b32_e32 v37, v4
.LBB120_411:
	s_or_b32 exec_lo, exec_lo, s3
.LBB120_412:
	s_and_not1_saveexec_b32 s2, s2
	s_cbranch_execz .LBB120_416
; %bb.413:
	v_add3_u32 v4, v36, 0, 0x110
	v_mov_b32_e32 v5, 0
	s_mov_b32 s3, 0
.LBB120_414:                            ; =>This Inner Loop Header: Depth=1
	s_delay_alu instid0(VALU_DEP_1) | instskip(NEXT) | instid1(VALU_DEP_3)
	v_readfirstlane_b32 s6, v5
	v_add_nc_u32_e32 v14, s3, v4
	s_delay_alu instid0(VALU_DEP_2)
	s_add_i32 s6, s6, s3
	s_addk_i32 s3, 0xb0
	s_add_i32 s7, s6, 0x110
	s_add_i32 s9, s6, 0x120
	;; [unrolled: 1-line block ×10, first 2 shown]
	s_addk_i32 s6, 0x1b0
	s_clause 0xa
	scratch_load_b128 v[6:9], off, s7
	scratch_load_b128 v[10:13], off, s9
	scratch_load_b128 v[41:44], off, s12
	scratch_load_b128 v[45:48], off, s14
	scratch_load_b128 v[57:60], off, s15
	scratch_load_b128 v[61:64], off, s16
	scratch_load_b128 v[73:76], off, s17
	scratch_load_b128 v[129:132], off, s18
	scratch_load_b128 v[164:167], off, s19
	scratch_load_b128 v[168:171], off, s20
	scratch_load_b128 v[172:175], off, s6
	s_cmpk_eq_i32 s3, 0x2c0
	s_waitcnt vmcnt(10)
	ds_store_2addr_b64 v14, v[6:7], v[8:9] offset1:1
	s_waitcnt vmcnt(9)
	ds_store_2addr_b64 v14, v[10:11], v[12:13] offset0:2 offset1:3
	s_waitcnt vmcnt(8)
	ds_store_2addr_b64 v14, v[41:42], v[43:44] offset0:4 offset1:5
	;; [unrolled: 2-line block ×10, first 2 shown]
	s_cbranch_scc0 .LBB120_414
; %bb.415:
	v_mov_b32_e32 v38, 16
.LBB120_416:
	s_or_b32 exec_lo, exec_lo, s2
	s_delay_alu instid0(SALU_CYCLE_1)
	s_mov_b32 s2, exec_lo
	s_waitcnt lgkmcnt(0)
	s_waitcnt_vscnt null, 0x0
	s_barrier
	buffer_gl0_inv
	v_cmpx_lt_i32_e32 16, v38
	s_cbranch_execz .LBB120_419
; %bb.417:
	scratch_load_b128 v[4:7], off, off offset:256
	s_mov_b32 s3, 0
	s_waitcnt vmcnt(0)
	v_mul_f64 v[8:9], v[2:3], v[6:7]
	v_mul_f64 v[6:7], v[0:1], v[6:7]
	s_delay_alu instid0(VALU_DEP_2) | instskip(NEXT) | instid1(VALU_DEP_2)
	v_fma_f64 v[0:1], v[0:1], v[4:5], -v[8:9]
	v_fma_f64 v[2:3], v[2:3], v[4:5], v[6:7]
	v_add3_u32 v4, v36, 0, 0x110
	v_mov_b32_e32 v5, 0
	scratch_store_b128 off, v[0:3], off offset:256
.LBB120_418:                            ; =>This Inner Loop Header: Depth=1
	v_readfirstlane_b32 s6, v5
	v_add_nc_u32_e32 v14, s3, v4
	s_delay_alu instid0(VALU_DEP_2)
	s_add_i32 s6, s6, s3
	s_add_i32 s3, s3, 64
	;; [unrolled: 1-line block ×5, first 2 shown]
	s_addk_i32 s6, 0x140
	s_clause 0x3
	scratch_load_b128 v[6:9], off, s7
	scratch_load_b128 v[10:13], off, s9
	;; [unrolled: 1-line block ×4, first 2 shown]
	ds_load_2addr_b64 v[57:60], v14 offset1:1
	ds_load_2addr_b64 v[61:64], v14 offset0:2 offset1:3
	ds_load_2addr_b64 v[73:76], v14 offset0:4 offset1:5
	;; [unrolled: 1-line block ×3, first 2 shown]
	s_cmpk_lg_i32 s3, 0x2c0
	s_waitcnt lgkmcnt(3)
	v_mul_f64 v[14:15], v[59:60], v[2:3]
	v_mul_f64 v[49:50], v[57:58], v[2:3]
	s_waitcnt lgkmcnt(2)
	v_mul_f64 v[53:54], v[63:64], v[2:3]
	v_mul_f64 v[65:66], v[61:62], v[2:3]
	;; [unrolled: 3-line block ×4, first 2 shown]
	v_fma_f64 v[14:15], v[57:58], v[0:1], -v[14:15]
	v_fma_f64 v[49:50], v[59:60], v[0:1], v[49:50]
	v_fma_f64 v[53:54], v[61:62], v[0:1], -v[53:54]
	v_fma_f64 v[57:58], v[63:64], v[0:1], v[65:66]
	v_fma_f64 v[59:60], v[73:74], v[0:1], -v[69:70]
	v_fma_f64 v[61:62], v[75:76], v[0:1], v[77:78]
	v_fma_f64 v[63:64], v[129:130], v[0:1], -v[81:82]
	v_fma_f64 v[65:66], v[131:132], v[0:1], v[83:84]
	s_waitcnt vmcnt(3)
	v_add_f64 v[6:7], v[6:7], -v[14:15]
	v_add_f64 v[8:9], v[8:9], -v[49:50]
	s_waitcnt vmcnt(2)
	v_add_f64 v[10:11], v[10:11], -v[53:54]
	v_add_f64 v[12:13], v[12:13], -v[57:58]
	;; [unrolled: 3-line block ×4, first 2 shown]
	s_clause 0x3
	scratch_store_b128 off, v[6:9], s7
	scratch_store_b128 off, v[10:13], s9
	;; [unrolled: 1-line block ×4, first 2 shown]
	s_cbranch_scc1 .LBB120_418
.LBB120_419:
	s_or_b32 exec_lo, exec_lo, s2
	s_waitcnt_vscnt null, 0x0
	s_barrier
	buffer_gl0_inv
	scratch_load_b128 v[0:3], v56, off
	v_lshl_add_u32 v4, v38, 4, v20
	s_cmp_lt_i32 s5, 19
	s_waitcnt vmcnt(0)
	ds_store_2addr_b64 v4, v[0:1], v[2:3] offset1:1
	s_waitcnt lgkmcnt(0)
	s_barrier
	buffer_gl0_inv
	ds_load_2addr_b64 v[0:3], v20 offset0:34 offset1:35
	v_mov_b32_e32 v4, 17
	s_cbranch_scc1 .LBB120_422
; %bb.420:
	v_add3_u32 v5, v36, 0, 0x120
	v_mov_b32_e32 v4, 17
	s_mov_b32 s6, 18
	s_set_inst_prefetch_distance 0x1
	.p2align	6
.LBB120_421:                            ; =>This Inner Loop Header: Depth=1
	ds_load_2addr_b64 v[6:9], v5 offset1:1
	s_waitcnt lgkmcnt(1)
	v_cmp_gt_f64_e32 vcc_lo, 0, v[0:1]
	v_xor_b32_e32 v10, 0x80000000, v1
	v_cmp_gt_f64_e64 s2, 0, v[2:3]
	v_xor_b32_e32 v12, 0x80000000, v3
	v_add_nc_u32_e32 v5, 16, v5
	s_waitcnt lgkmcnt(0)
	v_cmp_gt_f64_e64 s3, 0, v[6:7]
	v_dual_mov_b32 v41, v8 :: v_dual_mov_b32 v14, v6
	v_cndmask_b32_e32 v11, v1, v10, vcc_lo
	v_xor_b32_e32 v10, 0x80000000, v7
	v_cndmask_b32_e64 v13, v3, v12, s2
	v_xor_b32_e32 v12, 0x80000000, v9
	s_delay_alu instid0(VALU_DEP_3) | instskip(SKIP_2) | instid1(VALU_DEP_2)
	v_cndmask_b32_e64 v15, v7, v10, s3
	v_cmp_gt_f64_e64 s3, 0, v[8:9]
	v_cndmask_b32_e32 v10, v0, v0, vcc_lo
	v_cndmask_b32_e64 v42, v9, v12, s3
	v_cndmask_b32_e64 v12, v2, v2, s2
	s_delay_alu instid0(VALU_DEP_2) | instskip(NEXT) | instid1(VALU_DEP_2)
	v_add_f64 v[14:15], v[14:15], v[41:42]
	v_add_f64 v[10:11], v[10:11], v[12:13]
	s_delay_alu instid0(VALU_DEP_1) | instskip(SKIP_4) | instid1(SALU_CYCLE_1)
	v_cmp_lt_f64_e32 vcc_lo, v[10:11], v[14:15]
	v_dual_cndmask_b32 v1, v1, v7 :: v_dual_cndmask_b32 v0, v0, v6
	v_dual_cndmask_b32 v3, v3, v9 :: v_dual_cndmask_b32 v2, v2, v8
	v_cndmask_b32_e64 v4, v4, s6, vcc_lo
	s_add_i32 s6, s6, 1
	s_cmp_lg_u32 s5, s6
	s_cbranch_scc1 .LBB120_421
.LBB120_422:
	s_set_inst_prefetch_distance 0x2
	s_waitcnt lgkmcnt(0)
	v_cmp_eq_f64_e32 vcc_lo, 0, v[0:1]
	v_cmp_eq_f64_e64 s2, 0, v[2:3]
	s_delay_alu instid0(VALU_DEP_1) | instskip(NEXT) | instid1(SALU_CYCLE_1)
	s_and_b32 s2, vcc_lo, s2
	s_and_saveexec_b32 s3, s2
	s_delay_alu instid0(SALU_CYCLE_1)
	s_xor_b32 s2, exec_lo, s3
; %bb.423:
	v_cmp_ne_u32_e32 vcc_lo, 0, v35
	v_cndmask_b32_e32 v35, 18, v35, vcc_lo
; %bb.424:
	s_and_not1_saveexec_b32 s3, s2
	s_cbranch_execz .LBB120_430
; %bb.425:
	v_cmp_gt_f64_e32 vcc_lo, 0, v[0:1]
	v_cmp_gt_f64_e64 s2, 0, v[2:3]
	v_xor_b32_e32 v5, 0x80000000, v1
	v_xor_b32_e32 v7, 0x80000000, v3
	s_delay_alu instid0(VALU_DEP_2) | instskip(NEXT) | instid1(VALU_DEP_2)
	v_dual_cndmask_b32 v6, v1, v5 :: v_dual_cndmask_b32 v5, v0, v0
	v_cndmask_b32_e64 v8, v3, v7, s2
	v_cndmask_b32_e64 v7, v2, v2, s2
	s_mov_b32 s2, exec_lo
	s_delay_alu instid0(VALU_DEP_1)
	v_cmpx_ngt_f64_e32 v[5:6], v[7:8]
	s_xor_b32 s2, exec_lo, s2
	s_cbranch_execz .LBB120_427
; %bb.426:
	v_div_scale_f64 v[5:6], null, v[2:3], v[2:3], v[0:1]
	v_div_scale_f64 v[11:12], vcc_lo, v[0:1], v[2:3], v[0:1]
	s_delay_alu instid0(VALU_DEP_2) | instskip(SKIP_2) | instid1(VALU_DEP_1)
	v_rcp_f64_e32 v[7:8], v[5:6]
	s_waitcnt_depctr 0xfff
	v_fma_f64 v[9:10], -v[5:6], v[7:8], 1.0
	v_fma_f64 v[7:8], v[7:8], v[9:10], v[7:8]
	s_delay_alu instid0(VALU_DEP_1) | instskip(NEXT) | instid1(VALU_DEP_1)
	v_fma_f64 v[9:10], -v[5:6], v[7:8], 1.0
	v_fma_f64 v[7:8], v[7:8], v[9:10], v[7:8]
	s_delay_alu instid0(VALU_DEP_1) | instskip(NEXT) | instid1(VALU_DEP_1)
	v_mul_f64 v[9:10], v[11:12], v[7:8]
	v_fma_f64 v[5:6], -v[5:6], v[9:10], v[11:12]
	s_delay_alu instid0(VALU_DEP_1) | instskip(NEXT) | instid1(VALU_DEP_1)
	v_div_fmas_f64 v[5:6], v[5:6], v[7:8], v[9:10]
	v_div_fixup_f64 v[5:6], v[5:6], v[2:3], v[0:1]
	s_delay_alu instid0(VALU_DEP_1) | instskip(NEXT) | instid1(VALU_DEP_1)
	v_fma_f64 v[0:1], v[0:1], v[5:6], v[2:3]
	v_div_scale_f64 v[2:3], null, v[0:1], v[0:1], 1.0
	s_delay_alu instid0(VALU_DEP_1) | instskip(SKIP_2) | instid1(VALU_DEP_1)
	v_rcp_f64_e32 v[7:8], v[2:3]
	s_waitcnt_depctr 0xfff
	v_fma_f64 v[9:10], -v[2:3], v[7:8], 1.0
	v_fma_f64 v[7:8], v[7:8], v[9:10], v[7:8]
	s_delay_alu instid0(VALU_DEP_1) | instskip(NEXT) | instid1(VALU_DEP_1)
	v_fma_f64 v[9:10], -v[2:3], v[7:8], 1.0
	v_fma_f64 v[7:8], v[7:8], v[9:10], v[7:8]
	v_div_scale_f64 v[9:10], vcc_lo, 1.0, v[0:1], 1.0
	s_delay_alu instid0(VALU_DEP_1) | instskip(NEXT) | instid1(VALU_DEP_1)
	v_mul_f64 v[11:12], v[9:10], v[7:8]
	v_fma_f64 v[2:3], -v[2:3], v[11:12], v[9:10]
	s_delay_alu instid0(VALU_DEP_1) | instskip(NEXT) | instid1(VALU_DEP_1)
	v_div_fmas_f64 v[2:3], v[2:3], v[7:8], v[11:12]
	v_div_fixup_f64 v[2:3], v[2:3], v[0:1], 1.0
	s_delay_alu instid0(VALU_DEP_1)
	v_mul_f64 v[0:1], v[5:6], v[2:3]
	v_xor_b32_e32 v3, 0x80000000, v3
.LBB120_427:
	s_and_not1_saveexec_b32 s2, s2
	s_cbranch_execz .LBB120_429
; %bb.428:
	s_delay_alu instid0(VALU_DEP_1) | instskip(SKIP_1) | instid1(VALU_DEP_2)
	v_div_scale_f64 v[5:6], null, v[0:1], v[0:1], v[2:3]
	v_div_scale_f64 v[11:12], vcc_lo, v[2:3], v[0:1], v[2:3]
	v_rcp_f64_e32 v[7:8], v[5:6]
	s_waitcnt_depctr 0xfff
	v_fma_f64 v[9:10], -v[5:6], v[7:8], 1.0
	s_delay_alu instid0(VALU_DEP_1) | instskip(NEXT) | instid1(VALU_DEP_1)
	v_fma_f64 v[7:8], v[7:8], v[9:10], v[7:8]
	v_fma_f64 v[9:10], -v[5:6], v[7:8], 1.0
	s_delay_alu instid0(VALU_DEP_1) | instskip(NEXT) | instid1(VALU_DEP_1)
	v_fma_f64 v[7:8], v[7:8], v[9:10], v[7:8]
	v_mul_f64 v[9:10], v[11:12], v[7:8]
	s_delay_alu instid0(VALU_DEP_1) | instskip(NEXT) | instid1(VALU_DEP_1)
	v_fma_f64 v[5:6], -v[5:6], v[9:10], v[11:12]
	v_div_fmas_f64 v[5:6], v[5:6], v[7:8], v[9:10]
	s_delay_alu instid0(VALU_DEP_1) | instskip(NEXT) | instid1(VALU_DEP_1)
	v_div_fixup_f64 v[5:6], v[5:6], v[0:1], v[2:3]
	v_fma_f64 v[0:1], v[2:3], v[5:6], v[0:1]
	s_delay_alu instid0(VALU_DEP_1) | instskip(NEXT) | instid1(VALU_DEP_1)
	v_div_scale_f64 v[2:3], null, v[0:1], v[0:1], 1.0
	v_rcp_f64_e32 v[7:8], v[2:3]
	s_waitcnt_depctr 0xfff
	v_fma_f64 v[9:10], -v[2:3], v[7:8], 1.0
	s_delay_alu instid0(VALU_DEP_1) | instskip(NEXT) | instid1(VALU_DEP_1)
	v_fma_f64 v[7:8], v[7:8], v[9:10], v[7:8]
	v_fma_f64 v[9:10], -v[2:3], v[7:8], 1.0
	s_delay_alu instid0(VALU_DEP_1) | instskip(SKIP_1) | instid1(VALU_DEP_1)
	v_fma_f64 v[7:8], v[7:8], v[9:10], v[7:8]
	v_div_scale_f64 v[9:10], vcc_lo, 1.0, v[0:1], 1.0
	v_mul_f64 v[11:12], v[9:10], v[7:8]
	s_delay_alu instid0(VALU_DEP_1) | instskip(NEXT) | instid1(VALU_DEP_1)
	v_fma_f64 v[2:3], -v[2:3], v[11:12], v[9:10]
	v_div_fmas_f64 v[2:3], v[2:3], v[7:8], v[11:12]
	s_delay_alu instid0(VALU_DEP_1) | instskip(NEXT) | instid1(VALU_DEP_1)
	v_div_fixup_f64 v[0:1], v[2:3], v[0:1], 1.0
	v_mul_f64 v[2:3], v[5:6], -v[0:1]
.LBB120_429:
	s_or_b32 exec_lo, exec_lo, s2
.LBB120_430:
	s_delay_alu instid0(SALU_CYCLE_1) | instskip(NEXT) | instid1(SALU_CYCLE_1)
	s_or_b32 exec_lo, exec_lo, s3
	s_mov_b32 s2, exec_lo
	v_cmpx_ne_u32_e64 v38, v4
	s_xor_b32 s2, exec_lo, s2
	s_cbranch_execz .LBB120_436
; %bb.431:
	s_mov_b32 s3, exec_lo
	v_cmpx_eq_u32_e32 17, v38
	s_cbranch_execz .LBB120_435
; %bb.432:
	v_cmp_ne_u32_e32 vcc_lo, 17, v4
	s_xor_b32 s6, s4, -1
	s_delay_alu instid0(SALU_CYCLE_1) | instskip(NEXT) | instid1(SALU_CYCLE_1)
	s_and_b32 s7, s6, vcc_lo
	s_and_saveexec_b32 s6, s7
	s_cbranch_execz .LBB120_434
; %bb.433:
	v_ashrrev_i32_e32 v5, 31, v4
	s_delay_alu instid0(VALU_DEP_1) | instskip(NEXT) | instid1(VALU_DEP_1)
	v_lshlrev_b64 v[5:6], 2, v[4:5]
	v_add_co_u32 v5, vcc_lo, v18, v5
	s_delay_alu instid0(VALU_DEP_2)
	v_add_co_ci_u32_e32 v6, vcc_lo, v19, v6, vcc_lo
	s_clause 0x1
	flat_load_b32 v7, v[5:6]
	flat_load_b32 v8, v[18:19] offset:68
	s_waitcnt vmcnt(1) lgkmcnt(1)
	flat_store_b32 v[18:19], v7 offset:68
	s_waitcnt vmcnt(0) lgkmcnt(1)
	flat_store_b32 v[5:6], v8
.LBB120_434:
	s_or_b32 exec_lo, exec_lo, s6
	v_mov_b32_e32 v38, v4
	v_mov_b32_e32 v37, v4
.LBB120_435:
	s_or_b32 exec_lo, exec_lo, s3
.LBB120_436:
	s_and_not1_saveexec_b32 s2, s2
	s_cbranch_execz .LBB120_442
; %bb.437:
	v_add3_u32 v4, v36, 0, 0x120
	v_mov_b32_e32 v5, 0
	s_mov_b32 s3, 0
	s_branch .LBB120_439
.LBB120_438:                            ;   in Loop: Header=BB120_439 Depth=1
	s_and_not1_b32 vcc_lo, exec_lo, s7
	s_cbranch_vccz .LBB120_441
.LBB120_439:                            ; =>This Inner Loop Header: Depth=1
	s_delay_alu instid0(VALU_DEP_1) | instskip(SKIP_1) | instid1(VALU_DEP_2)
	v_readfirstlane_b32 s6, v5
	v_add_nc_u32_e32 v6, s3, v4
	s_add_i32 s6, s6, s3
	s_delay_alu instid0(SALU_CYCLE_1)
	s_add_i32 s7, s6, 0x120
	s_add_i32 s9, s6, 0x130
	;; [unrolled: 1-line block ×3, first 2 shown]
	s_clause 0x2
	scratch_load_b128 v[7:10], off, s7
	scratch_load_b128 v[11:14], off, s9
	;; [unrolled: 1-line block ×3, first 2 shown]
	s_mov_b32 s7, -1
	s_cmpk_eq_i32 s3, 0x280
	s_waitcnt vmcnt(2)
	ds_store_2addr_b64 v6, v[7:8], v[9:10] offset1:1
	s_waitcnt vmcnt(1)
	ds_store_2addr_b64 v6, v[11:12], v[13:14] offset0:2 offset1:3
	s_waitcnt vmcnt(0)
	ds_store_2addr_b64 v6, v[41:42], v[43:44] offset0:4 offset1:5
	s_cbranch_scc1 .LBB120_438
; %bb.440:                              ;   in Loop: Header=BB120_439 Depth=1
	s_add_i32 s7, s6, 0x150
	s_add_i32 s9, s6, 0x160
	s_clause 0x1
	scratch_load_b128 v[7:10], off, s7
	scratch_load_b128 v[11:14], off, s9
	s_add_i32 s7, s6, 0x170
	s_add_i32 s9, s6, 0x180
	s_addk_i32 s6, 0x190
	s_clause 0x2
	scratch_load_b128 v[41:44], off, s7
	scratch_load_b128 v[45:48], off, s9
	;; [unrolled: 1-line block ×3, first 2 shown]
	s_addk_i32 s3, 0x80
	s_mov_b32 s7, 0
	s_waitcnt vmcnt(4)
	ds_store_2addr_b64 v6, v[7:8], v[9:10] offset0:6 offset1:7
	s_waitcnt vmcnt(3)
	ds_store_2addr_b64 v6, v[11:12], v[13:14] offset0:8 offset1:9
	;; [unrolled: 2-line block ×5, first 2 shown]
	s_branch .LBB120_438
.LBB120_441:
	v_mov_b32_e32 v38, 17
.LBB120_442:
	s_or_b32 exec_lo, exec_lo, s2
	s_delay_alu instid0(SALU_CYCLE_1)
	s_mov_b32 s2, exec_lo
	s_waitcnt lgkmcnt(0)
	s_waitcnt_vscnt null, 0x0
	s_barrier
	buffer_gl0_inv
	v_cmpx_lt_i32_e32 17, v38
	s_cbranch_execz .LBB120_447
; %bb.443:
	scratch_load_b128 v[4:7], off, off offset:272
	s_mov_b32 s3, 0
	s_waitcnt vmcnt(0)
	v_mul_f64 v[8:9], v[2:3], v[6:7]
	v_mul_f64 v[6:7], v[0:1], v[6:7]
	s_delay_alu instid0(VALU_DEP_2) | instskip(NEXT) | instid1(VALU_DEP_2)
	v_fma_f64 v[0:1], v[0:1], v[4:5], -v[8:9]
	v_fma_f64 v[2:3], v[2:3], v[4:5], v[6:7]
	v_add3_u32 v4, v36, 0, 0x120
	v_mov_b32_e32 v5, 0
	scratch_store_b128 off, v[0:3], off offset:272
	s_branch .LBB120_445
.LBB120_444:                            ;   in Loop: Header=BB120_445 Depth=1
	s_and_not1_b32 vcc_lo, exec_lo, s7
	s_cbranch_vccz .LBB120_447
.LBB120_445:                            ; =>This Inner Loop Header: Depth=1
	v_readfirstlane_b32 s6, v5
	v_add_nc_u32_e32 v6, s3, v4
	s_mov_b32 s7, -1
	s_delay_alu instid0(VALU_DEP_2) | instskip(NEXT) | instid1(SALU_CYCLE_1)
	s_add_i32 s6, s6, s3
	s_add_i32 s9, s6, 0x120
	;; [unrolled: 1-line block ×3, first 2 shown]
	scratch_load_b128 v[7:10], off, s9
	s_add_i32 s14, s6, 0x140
	s_clause 0x1
	scratch_load_b128 v[11:14], off, s12
	scratch_load_b128 v[41:44], off, s14
	ds_load_2addr_b64 v[45:48], v6 offset1:1
	ds_load_2addr_b64 v[57:60], v6 offset0:2 offset1:3
	ds_load_2addr_b64 v[61:64], v6 offset0:4 offset1:5
	s_cmpk_eq_i32 s3, 0x280
	s_waitcnt lgkmcnt(2)
	v_mul_f64 v[49:50], v[47:48], v[2:3]
	v_mul_f64 v[53:54], v[45:46], v[2:3]
	s_waitcnt lgkmcnt(1)
	v_mul_f64 v[65:66], v[59:60], v[2:3]
	v_mul_f64 v[69:70], v[57:58], v[2:3]
	;; [unrolled: 3-line block ×3, first 2 shown]
	v_fma_f64 v[45:46], v[45:46], v[0:1], -v[49:50]
	v_fma_f64 v[47:48], v[47:48], v[0:1], v[53:54]
	v_fma_f64 v[49:50], v[57:58], v[0:1], -v[65:66]
	v_fma_f64 v[53:54], v[59:60], v[0:1], v[69:70]
	;; [unrolled: 2-line block ×3, first 2 shown]
	s_waitcnt vmcnt(2)
	v_add_f64 v[7:8], v[7:8], -v[45:46]
	v_add_f64 v[9:10], v[9:10], -v[47:48]
	s_waitcnt vmcnt(1)
	v_add_f64 v[11:12], v[11:12], -v[49:50]
	v_add_f64 v[13:14], v[13:14], -v[53:54]
	;; [unrolled: 3-line block ×3, first 2 shown]
	s_clause 0x2
	scratch_store_b128 off, v[7:10], s9
	scratch_store_b128 off, v[11:14], s12
	;; [unrolled: 1-line block ×3, first 2 shown]
	s_cbranch_scc1 .LBB120_444
; %bb.446:                              ;   in Loop: Header=BB120_445 Depth=1
	s_addk_i32 s6, 0x150
	ds_load_2addr_b64 v[11:14], v6 offset0:6 offset1:7
	scratch_load_b128 v[7:10], off, s6
	s_add_i32 s3, s3, 64
	s_mov_b32 s7, 0
	s_waitcnt lgkmcnt(0)
	v_mul_f64 v[41:42], v[13:14], v[2:3]
	v_mul_f64 v[43:44], v[11:12], v[2:3]
	s_delay_alu instid0(VALU_DEP_2) | instskip(NEXT) | instid1(VALU_DEP_2)
	v_fma_f64 v[11:12], v[11:12], v[0:1], -v[41:42]
	v_fma_f64 v[13:14], v[13:14], v[0:1], v[43:44]
	s_waitcnt vmcnt(0)
	s_delay_alu instid0(VALU_DEP_2) | instskip(NEXT) | instid1(VALU_DEP_2)
	v_add_f64 v[6:7], v[7:8], -v[11:12]
	v_add_f64 v[8:9], v[9:10], -v[13:14]
	scratch_store_b128 off, v[6:9], s6
	s_branch .LBB120_444
.LBB120_447:
	s_or_b32 exec_lo, exec_lo, s2
	s_waitcnt_vscnt null, 0x0
	s_barrier
	buffer_gl0_inv
	scratch_load_b128 v[0:3], v68, off
	v_lshl_add_u32 v4, v38, 4, v20
	s_cmp_lt_i32 s5, 20
	s_waitcnt vmcnt(0)
	ds_store_2addr_b64 v4, v[0:1], v[2:3] offset1:1
	s_waitcnt lgkmcnt(0)
	s_barrier
	buffer_gl0_inv
	ds_load_2addr_b64 v[0:3], v20 offset0:36 offset1:37
	v_mov_b32_e32 v4, 18
	s_cbranch_scc1 .LBB120_450
; %bb.448:
	v_add3_u32 v5, v36, 0, 0x130
	v_mov_b32_e32 v4, 18
	s_mov_b32 s6, 19
	s_set_inst_prefetch_distance 0x1
	.p2align	6
.LBB120_449:                            ; =>This Inner Loop Header: Depth=1
	ds_load_2addr_b64 v[6:9], v5 offset1:1
	s_waitcnt lgkmcnt(1)
	v_cmp_gt_f64_e32 vcc_lo, 0, v[0:1]
	v_xor_b32_e32 v10, 0x80000000, v1
	v_cmp_gt_f64_e64 s2, 0, v[2:3]
	v_xor_b32_e32 v12, 0x80000000, v3
	v_add_nc_u32_e32 v5, 16, v5
	s_waitcnt lgkmcnt(0)
	v_cmp_gt_f64_e64 s3, 0, v[6:7]
	v_dual_mov_b32 v41, v8 :: v_dual_mov_b32 v14, v6
	v_cndmask_b32_e32 v11, v1, v10, vcc_lo
	v_xor_b32_e32 v10, 0x80000000, v7
	v_cndmask_b32_e64 v13, v3, v12, s2
	v_xor_b32_e32 v12, 0x80000000, v9
	s_delay_alu instid0(VALU_DEP_3) | instskip(SKIP_2) | instid1(VALU_DEP_2)
	v_cndmask_b32_e64 v15, v7, v10, s3
	v_cmp_gt_f64_e64 s3, 0, v[8:9]
	v_cndmask_b32_e32 v10, v0, v0, vcc_lo
	v_cndmask_b32_e64 v42, v9, v12, s3
	v_cndmask_b32_e64 v12, v2, v2, s2
	s_delay_alu instid0(VALU_DEP_2) | instskip(NEXT) | instid1(VALU_DEP_2)
	v_add_f64 v[14:15], v[14:15], v[41:42]
	v_add_f64 v[10:11], v[10:11], v[12:13]
	s_delay_alu instid0(VALU_DEP_1) | instskip(SKIP_4) | instid1(SALU_CYCLE_1)
	v_cmp_lt_f64_e32 vcc_lo, v[10:11], v[14:15]
	v_dual_cndmask_b32 v1, v1, v7 :: v_dual_cndmask_b32 v0, v0, v6
	v_dual_cndmask_b32 v3, v3, v9 :: v_dual_cndmask_b32 v2, v2, v8
	v_cndmask_b32_e64 v4, v4, s6, vcc_lo
	s_add_i32 s6, s6, 1
	s_cmp_lg_u32 s5, s6
	s_cbranch_scc1 .LBB120_449
.LBB120_450:
	s_set_inst_prefetch_distance 0x2
	s_waitcnt lgkmcnt(0)
	v_cmp_eq_f64_e32 vcc_lo, 0, v[0:1]
	v_cmp_eq_f64_e64 s2, 0, v[2:3]
	s_delay_alu instid0(VALU_DEP_1) | instskip(NEXT) | instid1(SALU_CYCLE_1)
	s_and_b32 s2, vcc_lo, s2
	s_and_saveexec_b32 s3, s2
	s_delay_alu instid0(SALU_CYCLE_1)
	s_xor_b32 s2, exec_lo, s3
; %bb.451:
	v_cmp_ne_u32_e32 vcc_lo, 0, v35
	v_cndmask_b32_e32 v35, 19, v35, vcc_lo
; %bb.452:
	s_and_not1_saveexec_b32 s3, s2
	s_cbranch_execz .LBB120_458
; %bb.453:
	v_cmp_gt_f64_e32 vcc_lo, 0, v[0:1]
	v_cmp_gt_f64_e64 s2, 0, v[2:3]
	v_xor_b32_e32 v5, 0x80000000, v1
	v_xor_b32_e32 v7, 0x80000000, v3
	s_delay_alu instid0(VALU_DEP_2) | instskip(NEXT) | instid1(VALU_DEP_2)
	v_dual_cndmask_b32 v6, v1, v5 :: v_dual_cndmask_b32 v5, v0, v0
	v_cndmask_b32_e64 v8, v3, v7, s2
	v_cndmask_b32_e64 v7, v2, v2, s2
	s_mov_b32 s2, exec_lo
	s_delay_alu instid0(VALU_DEP_1)
	v_cmpx_ngt_f64_e32 v[5:6], v[7:8]
	s_xor_b32 s2, exec_lo, s2
	s_cbranch_execz .LBB120_455
; %bb.454:
	v_div_scale_f64 v[5:6], null, v[2:3], v[2:3], v[0:1]
	v_div_scale_f64 v[11:12], vcc_lo, v[0:1], v[2:3], v[0:1]
	s_delay_alu instid0(VALU_DEP_2) | instskip(SKIP_2) | instid1(VALU_DEP_1)
	v_rcp_f64_e32 v[7:8], v[5:6]
	s_waitcnt_depctr 0xfff
	v_fma_f64 v[9:10], -v[5:6], v[7:8], 1.0
	v_fma_f64 v[7:8], v[7:8], v[9:10], v[7:8]
	s_delay_alu instid0(VALU_DEP_1) | instskip(NEXT) | instid1(VALU_DEP_1)
	v_fma_f64 v[9:10], -v[5:6], v[7:8], 1.0
	v_fma_f64 v[7:8], v[7:8], v[9:10], v[7:8]
	s_delay_alu instid0(VALU_DEP_1) | instskip(NEXT) | instid1(VALU_DEP_1)
	v_mul_f64 v[9:10], v[11:12], v[7:8]
	v_fma_f64 v[5:6], -v[5:6], v[9:10], v[11:12]
	s_delay_alu instid0(VALU_DEP_1) | instskip(NEXT) | instid1(VALU_DEP_1)
	v_div_fmas_f64 v[5:6], v[5:6], v[7:8], v[9:10]
	v_div_fixup_f64 v[5:6], v[5:6], v[2:3], v[0:1]
	s_delay_alu instid0(VALU_DEP_1) | instskip(NEXT) | instid1(VALU_DEP_1)
	v_fma_f64 v[0:1], v[0:1], v[5:6], v[2:3]
	v_div_scale_f64 v[2:3], null, v[0:1], v[0:1], 1.0
	s_delay_alu instid0(VALU_DEP_1) | instskip(SKIP_2) | instid1(VALU_DEP_1)
	v_rcp_f64_e32 v[7:8], v[2:3]
	s_waitcnt_depctr 0xfff
	v_fma_f64 v[9:10], -v[2:3], v[7:8], 1.0
	v_fma_f64 v[7:8], v[7:8], v[9:10], v[7:8]
	s_delay_alu instid0(VALU_DEP_1) | instskip(NEXT) | instid1(VALU_DEP_1)
	v_fma_f64 v[9:10], -v[2:3], v[7:8], 1.0
	v_fma_f64 v[7:8], v[7:8], v[9:10], v[7:8]
	v_div_scale_f64 v[9:10], vcc_lo, 1.0, v[0:1], 1.0
	s_delay_alu instid0(VALU_DEP_1) | instskip(NEXT) | instid1(VALU_DEP_1)
	v_mul_f64 v[11:12], v[9:10], v[7:8]
	v_fma_f64 v[2:3], -v[2:3], v[11:12], v[9:10]
	s_delay_alu instid0(VALU_DEP_1) | instskip(NEXT) | instid1(VALU_DEP_1)
	v_div_fmas_f64 v[2:3], v[2:3], v[7:8], v[11:12]
	v_div_fixup_f64 v[2:3], v[2:3], v[0:1], 1.0
	s_delay_alu instid0(VALU_DEP_1)
	v_mul_f64 v[0:1], v[5:6], v[2:3]
	v_xor_b32_e32 v3, 0x80000000, v3
.LBB120_455:
	s_and_not1_saveexec_b32 s2, s2
	s_cbranch_execz .LBB120_457
; %bb.456:
	s_delay_alu instid0(VALU_DEP_1) | instskip(SKIP_1) | instid1(VALU_DEP_2)
	v_div_scale_f64 v[5:6], null, v[0:1], v[0:1], v[2:3]
	v_div_scale_f64 v[11:12], vcc_lo, v[2:3], v[0:1], v[2:3]
	v_rcp_f64_e32 v[7:8], v[5:6]
	s_waitcnt_depctr 0xfff
	v_fma_f64 v[9:10], -v[5:6], v[7:8], 1.0
	s_delay_alu instid0(VALU_DEP_1) | instskip(NEXT) | instid1(VALU_DEP_1)
	v_fma_f64 v[7:8], v[7:8], v[9:10], v[7:8]
	v_fma_f64 v[9:10], -v[5:6], v[7:8], 1.0
	s_delay_alu instid0(VALU_DEP_1) | instskip(NEXT) | instid1(VALU_DEP_1)
	v_fma_f64 v[7:8], v[7:8], v[9:10], v[7:8]
	v_mul_f64 v[9:10], v[11:12], v[7:8]
	s_delay_alu instid0(VALU_DEP_1) | instskip(NEXT) | instid1(VALU_DEP_1)
	v_fma_f64 v[5:6], -v[5:6], v[9:10], v[11:12]
	v_div_fmas_f64 v[5:6], v[5:6], v[7:8], v[9:10]
	s_delay_alu instid0(VALU_DEP_1) | instskip(NEXT) | instid1(VALU_DEP_1)
	v_div_fixup_f64 v[5:6], v[5:6], v[0:1], v[2:3]
	v_fma_f64 v[0:1], v[2:3], v[5:6], v[0:1]
	s_delay_alu instid0(VALU_DEP_1) | instskip(NEXT) | instid1(VALU_DEP_1)
	v_div_scale_f64 v[2:3], null, v[0:1], v[0:1], 1.0
	v_rcp_f64_e32 v[7:8], v[2:3]
	s_waitcnt_depctr 0xfff
	v_fma_f64 v[9:10], -v[2:3], v[7:8], 1.0
	s_delay_alu instid0(VALU_DEP_1) | instskip(NEXT) | instid1(VALU_DEP_1)
	v_fma_f64 v[7:8], v[7:8], v[9:10], v[7:8]
	v_fma_f64 v[9:10], -v[2:3], v[7:8], 1.0
	s_delay_alu instid0(VALU_DEP_1) | instskip(SKIP_1) | instid1(VALU_DEP_1)
	v_fma_f64 v[7:8], v[7:8], v[9:10], v[7:8]
	v_div_scale_f64 v[9:10], vcc_lo, 1.0, v[0:1], 1.0
	v_mul_f64 v[11:12], v[9:10], v[7:8]
	s_delay_alu instid0(VALU_DEP_1) | instskip(NEXT) | instid1(VALU_DEP_1)
	v_fma_f64 v[2:3], -v[2:3], v[11:12], v[9:10]
	v_div_fmas_f64 v[2:3], v[2:3], v[7:8], v[11:12]
	s_delay_alu instid0(VALU_DEP_1) | instskip(NEXT) | instid1(VALU_DEP_1)
	v_div_fixup_f64 v[0:1], v[2:3], v[0:1], 1.0
	v_mul_f64 v[2:3], v[5:6], -v[0:1]
.LBB120_457:
	s_or_b32 exec_lo, exec_lo, s2
.LBB120_458:
	s_delay_alu instid0(SALU_CYCLE_1) | instskip(NEXT) | instid1(SALU_CYCLE_1)
	s_or_b32 exec_lo, exec_lo, s3
	s_mov_b32 s2, exec_lo
	v_cmpx_ne_u32_e64 v38, v4
	s_xor_b32 s2, exec_lo, s2
	s_cbranch_execz .LBB120_464
; %bb.459:
	s_mov_b32 s3, exec_lo
	v_cmpx_eq_u32_e32 18, v38
	s_cbranch_execz .LBB120_463
; %bb.460:
	v_cmp_ne_u32_e32 vcc_lo, 18, v4
	s_xor_b32 s6, s4, -1
	s_delay_alu instid0(SALU_CYCLE_1) | instskip(NEXT) | instid1(SALU_CYCLE_1)
	s_and_b32 s7, s6, vcc_lo
	s_and_saveexec_b32 s6, s7
	s_cbranch_execz .LBB120_462
; %bb.461:
	v_ashrrev_i32_e32 v5, 31, v4
	s_delay_alu instid0(VALU_DEP_1) | instskip(NEXT) | instid1(VALU_DEP_1)
	v_lshlrev_b64 v[5:6], 2, v[4:5]
	v_add_co_u32 v5, vcc_lo, v18, v5
	s_delay_alu instid0(VALU_DEP_2)
	v_add_co_ci_u32_e32 v6, vcc_lo, v19, v6, vcc_lo
	s_clause 0x1
	flat_load_b32 v7, v[5:6]
	flat_load_b32 v8, v[18:19] offset:72
	s_waitcnt vmcnt(1) lgkmcnt(1)
	flat_store_b32 v[18:19], v7 offset:72
	s_waitcnt vmcnt(0) lgkmcnt(1)
	flat_store_b32 v[5:6], v8
.LBB120_462:
	s_or_b32 exec_lo, exec_lo, s6
	v_mov_b32_e32 v38, v4
	v_mov_b32_e32 v37, v4
.LBB120_463:
	s_or_b32 exec_lo, exec_lo, s3
.LBB120_464:
	s_and_not1_saveexec_b32 s2, s2
	s_cbranch_execz .LBB120_468
; %bb.465:
	v_add3_u32 v4, v36, 0, 0x130
	v_mov_b32_e32 v5, 0
	s_mov_b32 s3, 0
.LBB120_466:                            ; =>This Inner Loop Header: Depth=1
	s_delay_alu instid0(VALU_DEP_1) | instskip(NEXT) | instid1(VALU_DEP_3)
	v_readfirstlane_b32 s6, v5
	v_add_nc_u32_e32 v14, s3, v4
	s_delay_alu instid0(VALU_DEP_2)
	s_add_i32 s6, s6, s3
	s_addk_i32 s3, 0xe0
	s_add_i32 s7, s6, 0x130
	s_add_i32 s9, s6, 0x140
	;; [unrolled: 1-line block ×13, first 2 shown]
	s_addk_i32 s6, 0x200
	s_clause 0xd
	scratch_load_b128 v[6:9], off, s7
	scratch_load_b128 v[10:13], off, s9
	scratch_load_b128 v[41:44], off, s12
	scratch_load_b128 v[45:48], off, s14
	scratch_load_b128 v[57:60], off, s15
	scratch_load_b128 v[61:64], off, s16
	scratch_load_b128 v[73:76], off, s17
	scratch_load_b128 v[129:132], off, s18
	scratch_load_b128 v[164:167], off, s19
	scratch_load_b128 v[168:171], off, s20
	scratch_load_b128 v[172:175], off, s21
	scratch_load_b128 v[176:179], off, s22
	scratch_load_b128 v[180:183], off, s23
	scratch_load_b128 v[184:187], off, s6
	s_cmpk_eq_i32 s3, 0x2a0
	s_waitcnt vmcnt(13)
	ds_store_2addr_b64 v14, v[6:7], v[8:9] offset1:1
	s_waitcnt vmcnt(12)
	ds_store_2addr_b64 v14, v[10:11], v[12:13] offset0:2 offset1:3
	s_waitcnt vmcnt(11)
	ds_store_2addr_b64 v14, v[41:42], v[43:44] offset0:4 offset1:5
	;; [unrolled: 2-line block ×13, first 2 shown]
	s_cbranch_scc0 .LBB120_466
; %bb.467:
	v_mov_b32_e32 v38, 18
.LBB120_468:
	s_or_b32 exec_lo, exec_lo, s2
	s_delay_alu instid0(SALU_CYCLE_1)
	s_mov_b32 s2, exec_lo
	s_waitcnt lgkmcnt(0)
	s_waitcnt_vscnt null, 0x0
	s_barrier
	buffer_gl0_inv
	v_cmpx_lt_i32_e32 18, v38
	s_cbranch_execz .LBB120_471
; %bb.469:
	scratch_load_b128 v[4:7], off, off offset:288
	s_mov_b32 s3, 0
	s_waitcnt vmcnt(0)
	v_mul_f64 v[8:9], v[2:3], v[6:7]
	v_mul_f64 v[6:7], v[0:1], v[6:7]
	s_delay_alu instid0(VALU_DEP_2) | instskip(NEXT) | instid1(VALU_DEP_2)
	v_fma_f64 v[0:1], v[0:1], v[4:5], -v[8:9]
	v_fma_f64 v[2:3], v[2:3], v[4:5], v[6:7]
	v_add3_u32 v4, v36, 0, 0x130
	v_mov_b32_e32 v5, 0
	scratch_store_b128 off, v[0:3], off offset:288
.LBB120_470:                            ; =>This Inner Loop Header: Depth=1
	v_add_nc_u32_e32 v39, s3, v4
	v_readfirstlane_b32 s6, v5
	ds_load_2addr_b64 v[6:9], v39 offset1:1
	ds_load_2addr_b64 v[10:13], v39 offset0:2 offset1:3
	ds_load_2addr_b64 v[41:44], v39 offset0:4 offset1:5
	;; [unrolled: 1-line block ×5, first 2 shown]
	s_add_i32 s6, s6, s3
	s_addk_i32 s3, 0x70
	s_add_i32 s7, s6, 0x130
	s_add_i32 s9, s6, 0x140
	;; [unrolled: 1-line block ×6, first 2 shown]
	s_addk_i32 s6, 0x190
	s_cmpk_lg_i32 s3, 0x2a0
	s_waitcnt lgkmcnt(5)
	v_mul_f64 v[14:15], v[8:9], v[2:3]
	v_mul_f64 v[49:50], v[6:7], v[2:3]
	s_waitcnt lgkmcnt(4)
	v_mul_f64 v[53:54], v[12:13], v[2:3]
	v_mul_f64 v[65:66], v[10:11], v[2:3]
	;; [unrolled: 3-line block ×6, first 2 shown]
	v_fma_f64 v[14:15], v[6:7], v[0:1], -v[14:15]
	v_fma_f64 v[49:50], v[8:9], v[0:1], v[49:50]
	v_fma_f64 v[53:54], v[10:11], v[0:1], -v[53:54]
	v_fma_f64 v[65:66], v[12:13], v[0:1], v[65:66]
	;; [unrolled: 2-line block ×6, first 2 shown]
	scratch_load_b128 v[0:3], off, off offset:288
	s_clause 0x6
	scratch_load_b128 v[6:9], off, s7
	scratch_load_b128 v[10:13], off, s9
	;; [unrolled: 1-line block ×7, first 2 shown]
	ds_load_2addr_b64 v[129:132], v39 offset0:12 offset1:13
	s_waitcnt vmcnt(6)
	v_add_f64 v[6:7], v[6:7], -v[14:15]
	v_add_f64 v[8:9], v[8:9], -v[49:50]
	s_waitcnt vmcnt(5)
	v_add_f64 v[10:11], v[10:11], -v[53:54]
	v_add_f64 v[12:13], v[12:13], -v[65:66]
	s_waitcnt vmcnt(4)
	v_add_f64 v[41:42], v[41:42], -v[69:70]
	s_waitcnt lgkmcnt(0)
	v_mul_f64 v[93:94], v[131:132], v[2:3]
	v_mul_f64 v[95:96], v[129:130], v[2:3]
	v_add_f64 v[43:44], v[43:44], -v[87:88]
	s_waitcnt vmcnt(3)
	v_add_f64 v[45:46], v[45:46], -v[89:90]
	v_add_f64 v[47:48], v[47:48], -v[77:78]
	s_waitcnt vmcnt(2)
	v_add_f64 v[57:58], v[57:58], -v[81:82]
	;; [unrolled: 3-line block ×3, first 2 shown]
	v_add_f64 v[63:64], v[63:64], -v[91:92]
	v_fma_f64 v[93:94], v[129:130], v[0:1], -v[93:94]
	v_fma_f64 v[95:96], v[131:132], v[0:1], v[95:96]
	s_waitcnt vmcnt(0)
	s_delay_alu instid0(VALU_DEP_2) | instskip(NEXT) | instid1(VALU_DEP_2)
	v_add_f64 v[73:74], v[73:74], -v[93:94]
	v_add_f64 v[75:76], v[75:76], -v[95:96]
	s_clause 0x6
	scratch_store_b128 off, v[6:9], s7
	scratch_store_b128 off, v[10:13], s9
	;; [unrolled: 1-line block ×7, first 2 shown]
	s_cbranch_scc1 .LBB120_470
.LBB120_471:
	s_or_b32 exec_lo, exec_lo, s2
	s_waitcnt_vscnt null, 0x0
	s_barrier
	buffer_gl0_inv
	scratch_load_b128 v[0:3], v72, off
	v_lshl_add_u32 v4, v38, 4, v20
	s_cmp_lt_i32 s5, 21
	s_waitcnt vmcnt(0)
	ds_store_2addr_b64 v4, v[0:1], v[2:3] offset1:1
	s_waitcnt lgkmcnt(0)
	s_barrier
	buffer_gl0_inv
	ds_load_2addr_b64 v[0:3], v20 offset0:38 offset1:39
	v_mov_b32_e32 v4, 19
	s_cbranch_scc1 .LBB120_474
; %bb.472:
	v_add3_u32 v5, v36, 0, 0x140
	v_mov_b32_e32 v4, 19
	s_mov_b32 s6, 20
	s_set_inst_prefetch_distance 0x1
	.p2align	6
.LBB120_473:                            ; =>This Inner Loop Header: Depth=1
	ds_load_2addr_b64 v[6:9], v5 offset1:1
	s_waitcnt lgkmcnt(1)
	v_cmp_gt_f64_e32 vcc_lo, 0, v[0:1]
	v_xor_b32_e32 v10, 0x80000000, v1
	v_cmp_gt_f64_e64 s2, 0, v[2:3]
	v_xor_b32_e32 v12, 0x80000000, v3
	v_add_nc_u32_e32 v5, 16, v5
	s_waitcnt lgkmcnt(0)
	v_cmp_gt_f64_e64 s3, 0, v[6:7]
	v_dual_mov_b32 v41, v8 :: v_dual_mov_b32 v14, v6
	v_cndmask_b32_e32 v11, v1, v10, vcc_lo
	v_xor_b32_e32 v10, 0x80000000, v7
	v_cndmask_b32_e64 v13, v3, v12, s2
	v_xor_b32_e32 v12, 0x80000000, v9
	s_delay_alu instid0(VALU_DEP_3) | instskip(SKIP_2) | instid1(VALU_DEP_2)
	v_cndmask_b32_e64 v15, v7, v10, s3
	v_cmp_gt_f64_e64 s3, 0, v[8:9]
	v_cndmask_b32_e32 v10, v0, v0, vcc_lo
	v_cndmask_b32_e64 v42, v9, v12, s3
	v_cndmask_b32_e64 v12, v2, v2, s2
	s_delay_alu instid0(VALU_DEP_2) | instskip(NEXT) | instid1(VALU_DEP_2)
	v_add_f64 v[14:15], v[14:15], v[41:42]
	v_add_f64 v[10:11], v[10:11], v[12:13]
	s_delay_alu instid0(VALU_DEP_1) | instskip(SKIP_4) | instid1(SALU_CYCLE_1)
	v_cmp_lt_f64_e32 vcc_lo, v[10:11], v[14:15]
	v_dual_cndmask_b32 v1, v1, v7 :: v_dual_cndmask_b32 v0, v0, v6
	v_dual_cndmask_b32 v3, v3, v9 :: v_dual_cndmask_b32 v2, v2, v8
	v_cndmask_b32_e64 v4, v4, s6, vcc_lo
	s_add_i32 s6, s6, 1
	s_cmp_lg_u32 s5, s6
	s_cbranch_scc1 .LBB120_473
.LBB120_474:
	s_set_inst_prefetch_distance 0x2
	s_waitcnt lgkmcnt(0)
	v_cmp_eq_f64_e32 vcc_lo, 0, v[0:1]
	v_cmp_eq_f64_e64 s2, 0, v[2:3]
	s_delay_alu instid0(VALU_DEP_1) | instskip(NEXT) | instid1(SALU_CYCLE_1)
	s_and_b32 s2, vcc_lo, s2
	s_and_saveexec_b32 s3, s2
	s_delay_alu instid0(SALU_CYCLE_1)
	s_xor_b32 s2, exec_lo, s3
; %bb.475:
	v_cmp_ne_u32_e32 vcc_lo, 0, v35
	v_cndmask_b32_e32 v35, 20, v35, vcc_lo
; %bb.476:
	s_and_not1_saveexec_b32 s3, s2
	s_cbranch_execz .LBB120_482
; %bb.477:
	v_cmp_gt_f64_e32 vcc_lo, 0, v[0:1]
	v_cmp_gt_f64_e64 s2, 0, v[2:3]
	v_xor_b32_e32 v5, 0x80000000, v1
	v_xor_b32_e32 v7, 0x80000000, v3
	s_delay_alu instid0(VALU_DEP_2) | instskip(NEXT) | instid1(VALU_DEP_2)
	v_dual_cndmask_b32 v6, v1, v5 :: v_dual_cndmask_b32 v5, v0, v0
	v_cndmask_b32_e64 v8, v3, v7, s2
	v_cndmask_b32_e64 v7, v2, v2, s2
	s_mov_b32 s2, exec_lo
	s_delay_alu instid0(VALU_DEP_1)
	v_cmpx_ngt_f64_e32 v[5:6], v[7:8]
	s_xor_b32 s2, exec_lo, s2
	s_cbranch_execz .LBB120_479
; %bb.478:
	v_div_scale_f64 v[5:6], null, v[2:3], v[2:3], v[0:1]
	v_div_scale_f64 v[11:12], vcc_lo, v[0:1], v[2:3], v[0:1]
	s_delay_alu instid0(VALU_DEP_2) | instskip(SKIP_2) | instid1(VALU_DEP_1)
	v_rcp_f64_e32 v[7:8], v[5:6]
	s_waitcnt_depctr 0xfff
	v_fma_f64 v[9:10], -v[5:6], v[7:8], 1.0
	v_fma_f64 v[7:8], v[7:8], v[9:10], v[7:8]
	s_delay_alu instid0(VALU_DEP_1) | instskip(NEXT) | instid1(VALU_DEP_1)
	v_fma_f64 v[9:10], -v[5:6], v[7:8], 1.0
	v_fma_f64 v[7:8], v[7:8], v[9:10], v[7:8]
	s_delay_alu instid0(VALU_DEP_1) | instskip(NEXT) | instid1(VALU_DEP_1)
	v_mul_f64 v[9:10], v[11:12], v[7:8]
	v_fma_f64 v[5:6], -v[5:6], v[9:10], v[11:12]
	s_delay_alu instid0(VALU_DEP_1) | instskip(NEXT) | instid1(VALU_DEP_1)
	v_div_fmas_f64 v[5:6], v[5:6], v[7:8], v[9:10]
	v_div_fixup_f64 v[5:6], v[5:6], v[2:3], v[0:1]
	s_delay_alu instid0(VALU_DEP_1) | instskip(NEXT) | instid1(VALU_DEP_1)
	v_fma_f64 v[0:1], v[0:1], v[5:6], v[2:3]
	v_div_scale_f64 v[2:3], null, v[0:1], v[0:1], 1.0
	s_delay_alu instid0(VALU_DEP_1) | instskip(SKIP_2) | instid1(VALU_DEP_1)
	v_rcp_f64_e32 v[7:8], v[2:3]
	s_waitcnt_depctr 0xfff
	v_fma_f64 v[9:10], -v[2:3], v[7:8], 1.0
	v_fma_f64 v[7:8], v[7:8], v[9:10], v[7:8]
	s_delay_alu instid0(VALU_DEP_1) | instskip(NEXT) | instid1(VALU_DEP_1)
	v_fma_f64 v[9:10], -v[2:3], v[7:8], 1.0
	v_fma_f64 v[7:8], v[7:8], v[9:10], v[7:8]
	v_div_scale_f64 v[9:10], vcc_lo, 1.0, v[0:1], 1.0
	s_delay_alu instid0(VALU_DEP_1) | instskip(NEXT) | instid1(VALU_DEP_1)
	v_mul_f64 v[11:12], v[9:10], v[7:8]
	v_fma_f64 v[2:3], -v[2:3], v[11:12], v[9:10]
	s_delay_alu instid0(VALU_DEP_1) | instskip(NEXT) | instid1(VALU_DEP_1)
	v_div_fmas_f64 v[2:3], v[2:3], v[7:8], v[11:12]
	v_div_fixup_f64 v[2:3], v[2:3], v[0:1], 1.0
	s_delay_alu instid0(VALU_DEP_1)
	v_mul_f64 v[0:1], v[5:6], v[2:3]
	v_xor_b32_e32 v3, 0x80000000, v3
.LBB120_479:
	s_and_not1_saveexec_b32 s2, s2
	s_cbranch_execz .LBB120_481
; %bb.480:
	s_delay_alu instid0(VALU_DEP_1) | instskip(SKIP_1) | instid1(VALU_DEP_2)
	v_div_scale_f64 v[5:6], null, v[0:1], v[0:1], v[2:3]
	v_div_scale_f64 v[11:12], vcc_lo, v[2:3], v[0:1], v[2:3]
	v_rcp_f64_e32 v[7:8], v[5:6]
	s_waitcnt_depctr 0xfff
	v_fma_f64 v[9:10], -v[5:6], v[7:8], 1.0
	s_delay_alu instid0(VALU_DEP_1) | instskip(NEXT) | instid1(VALU_DEP_1)
	v_fma_f64 v[7:8], v[7:8], v[9:10], v[7:8]
	v_fma_f64 v[9:10], -v[5:6], v[7:8], 1.0
	s_delay_alu instid0(VALU_DEP_1) | instskip(NEXT) | instid1(VALU_DEP_1)
	v_fma_f64 v[7:8], v[7:8], v[9:10], v[7:8]
	v_mul_f64 v[9:10], v[11:12], v[7:8]
	s_delay_alu instid0(VALU_DEP_1) | instskip(NEXT) | instid1(VALU_DEP_1)
	v_fma_f64 v[5:6], -v[5:6], v[9:10], v[11:12]
	v_div_fmas_f64 v[5:6], v[5:6], v[7:8], v[9:10]
	s_delay_alu instid0(VALU_DEP_1) | instskip(NEXT) | instid1(VALU_DEP_1)
	v_div_fixup_f64 v[5:6], v[5:6], v[0:1], v[2:3]
	v_fma_f64 v[0:1], v[2:3], v[5:6], v[0:1]
	s_delay_alu instid0(VALU_DEP_1) | instskip(NEXT) | instid1(VALU_DEP_1)
	v_div_scale_f64 v[2:3], null, v[0:1], v[0:1], 1.0
	v_rcp_f64_e32 v[7:8], v[2:3]
	s_waitcnt_depctr 0xfff
	v_fma_f64 v[9:10], -v[2:3], v[7:8], 1.0
	s_delay_alu instid0(VALU_DEP_1) | instskip(NEXT) | instid1(VALU_DEP_1)
	v_fma_f64 v[7:8], v[7:8], v[9:10], v[7:8]
	v_fma_f64 v[9:10], -v[2:3], v[7:8], 1.0
	s_delay_alu instid0(VALU_DEP_1) | instskip(SKIP_1) | instid1(VALU_DEP_1)
	v_fma_f64 v[7:8], v[7:8], v[9:10], v[7:8]
	v_div_scale_f64 v[9:10], vcc_lo, 1.0, v[0:1], 1.0
	v_mul_f64 v[11:12], v[9:10], v[7:8]
	s_delay_alu instid0(VALU_DEP_1) | instskip(NEXT) | instid1(VALU_DEP_1)
	v_fma_f64 v[2:3], -v[2:3], v[11:12], v[9:10]
	v_div_fmas_f64 v[2:3], v[2:3], v[7:8], v[11:12]
	s_delay_alu instid0(VALU_DEP_1) | instskip(NEXT) | instid1(VALU_DEP_1)
	v_div_fixup_f64 v[0:1], v[2:3], v[0:1], 1.0
	v_mul_f64 v[2:3], v[5:6], -v[0:1]
.LBB120_481:
	s_or_b32 exec_lo, exec_lo, s2
.LBB120_482:
	s_delay_alu instid0(SALU_CYCLE_1) | instskip(NEXT) | instid1(SALU_CYCLE_1)
	s_or_b32 exec_lo, exec_lo, s3
	s_mov_b32 s2, exec_lo
	v_cmpx_ne_u32_e64 v38, v4
	s_xor_b32 s2, exec_lo, s2
	s_cbranch_execz .LBB120_488
; %bb.483:
	s_mov_b32 s3, exec_lo
	v_cmpx_eq_u32_e32 19, v38
	s_cbranch_execz .LBB120_487
; %bb.484:
	v_cmp_ne_u32_e32 vcc_lo, 19, v4
	s_xor_b32 s6, s4, -1
	s_delay_alu instid0(SALU_CYCLE_1) | instskip(NEXT) | instid1(SALU_CYCLE_1)
	s_and_b32 s7, s6, vcc_lo
	s_and_saveexec_b32 s6, s7
	s_cbranch_execz .LBB120_486
; %bb.485:
	v_ashrrev_i32_e32 v5, 31, v4
	s_delay_alu instid0(VALU_DEP_1) | instskip(NEXT) | instid1(VALU_DEP_1)
	v_lshlrev_b64 v[5:6], 2, v[4:5]
	v_add_co_u32 v5, vcc_lo, v18, v5
	s_delay_alu instid0(VALU_DEP_2)
	v_add_co_ci_u32_e32 v6, vcc_lo, v19, v6, vcc_lo
	s_clause 0x1
	flat_load_b32 v7, v[5:6]
	flat_load_b32 v8, v[18:19] offset:76
	s_waitcnt vmcnt(1) lgkmcnt(1)
	flat_store_b32 v[18:19], v7 offset:76
	s_waitcnt vmcnt(0) lgkmcnt(1)
	flat_store_b32 v[5:6], v8
.LBB120_486:
	s_or_b32 exec_lo, exec_lo, s6
	v_mov_b32_e32 v38, v4
	v_mov_b32_e32 v37, v4
.LBB120_487:
	s_or_b32 exec_lo, exec_lo, s3
.LBB120_488:
	s_and_not1_saveexec_b32 s2, s2
	s_cbranch_execz .LBB120_494
; %bb.489:
	v_add3_u32 v4, v36, 0, 0x140
	v_mov_b32_e32 v5, 0
	s_mov_b32 s3, 0
	s_branch .LBB120_491
.LBB120_490:                            ;   in Loop: Header=BB120_491 Depth=1
	s_and_not1_b32 vcc_lo, exec_lo, s7
	s_cbranch_vccz .LBB120_493
.LBB120_491:                            ; =>This Inner Loop Header: Depth=1
	s_delay_alu instid0(VALU_DEP_1) | instskip(SKIP_1) | instid1(VALU_DEP_2)
	v_readfirstlane_b32 s6, v5
	v_add_nc_u32_e32 v6, s3, v4
	s_add_i32 s6, s6, s3
	s_delay_alu instid0(SALU_CYCLE_1)
	s_add_i32 s7, s6, 0x140
	s_cmpk_eq_i32 s3, 0x280
	scratch_load_b128 v[7:10], off, s7
	s_mov_b32 s7, -1
	s_waitcnt vmcnt(0)
	ds_store_2addr_b64 v6, v[7:8], v[9:10] offset1:1
	s_cbranch_scc1 .LBB120_490
; %bb.492:                              ;   in Loop: Header=BB120_491 Depth=1
	s_add_i32 s7, s6, 0x150
	s_add_i32 s9, s6, 0x160
	s_clause 0x1
	scratch_load_b128 v[7:10], off, s7
	scratch_load_b128 v[11:14], off, s9
	s_add_i32 s7, s6, 0x170
	s_add_i32 s9, s6, 0x180
	s_clause 0x1
	scratch_load_b128 v[41:44], off, s7
	scratch_load_b128 v[45:48], off, s9
	s_add_i32 s7, s6, 0x190
	s_add_i32 s9, s6, 0x1a0
	s_addk_i32 s6, 0x1b0
	s_clause 0x2
	scratch_load_b128 v[57:60], off, s7
	scratch_load_b128 v[61:64], off, s9
	;; [unrolled: 1-line block ×3, first 2 shown]
	s_addk_i32 s3, 0x80
	s_mov_b32 s7, 0
	s_waitcnt vmcnt(6)
	ds_store_2addr_b64 v6, v[7:8], v[9:10] offset0:2 offset1:3
	s_waitcnt vmcnt(5)
	ds_store_2addr_b64 v6, v[11:12], v[13:14] offset0:4 offset1:5
	;; [unrolled: 2-line block ×7, first 2 shown]
	s_branch .LBB120_490
.LBB120_493:
	v_mov_b32_e32 v38, 19
.LBB120_494:
	s_or_b32 exec_lo, exec_lo, s2
	s_delay_alu instid0(SALU_CYCLE_1)
	s_mov_b32 s2, exec_lo
	s_waitcnt lgkmcnt(0)
	s_waitcnt_vscnt null, 0x0
	s_barrier
	buffer_gl0_inv
	v_cmpx_lt_i32_e32 19, v38
	s_cbranch_execz .LBB120_499
; %bb.495:
	scratch_load_b128 v[4:7], off, off offset:304
	s_mov_b32 s3, 0
	s_waitcnt vmcnt(0)
	v_mul_f64 v[8:9], v[2:3], v[6:7]
	v_mul_f64 v[6:7], v[0:1], v[6:7]
	s_delay_alu instid0(VALU_DEP_2) | instskip(NEXT) | instid1(VALU_DEP_2)
	v_fma_f64 v[0:1], v[0:1], v[4:5], -v[8:9]
	v_fma_f64 v[2:3], v[2:3], v[4:5], v[6:7]
	v_add3_u32 v4, v36, 0, 0x140
	v_mov_b32_e32 v5, 0
	scratch_store_b128 off, v[0:3], off offset:304
	s_branch .LBB120_497
.LBB120_496:                            ;   in Loop: Header=BB120_497 Depth=1
	s_and_not1_b32 vcc_lo, exec_lo, s7
	s_cbranch_vccz .LBB120_499
.LBB120_497:                            ; =>This Inner Loop Header: Depth=1
	v_readfirstlane_b32 s6, v5
	v_add_nc_u32_e32 v6, s3, v4
	s_mov_b32 s7, -1
	s_delay_alu instid0(VALU_DEP_2)
	s_add_i32 s6, s6, s3
	ds_load_2addr_b64 v[11:14], v6 offset1:1
	s_add_i32 s9, s6, 0x140
	s_cmpk_eq_i32 s3, 0x280
	scratch_load_b128 v[7:10], off, s9
	s_waitcnt lgkmcnt(0)
	v_mul_f64 v[41:42], v[13:14], v[2:3]
	v_mul_f64 v[43:44], v[11:12], v[2:3]
	s_delay_alu instid0(VALU_DEP_2) | instskip(NEXT) | instid1(VALU_DEP_2)
	v_fma_f64 v[11:12], v[11:12], v[0:1], -v[41:42]
	v_fma_f64 v[13:14], v[13:14], v[0:1], v[43:44]
	s_waitcnt vmcnt(0)
	s_delay_alu instid0(VALU_DEP_2) | instskip(NEXT) | instid1(VALU_DEP_2)
	v_add_f64 v[7:8], v[7:8], -v[11:12]
	v_add_f64 v[9:10], v[9:10], -v[13:14]
	scratch_store_b128 off, v[7:10], s9
	s_cbranch_scc1 .LBB120_496
; %bb.498:                              ;   in Loop: Header=BB120_497 Depth=1
	s_add_i32 s9, s6, 0x150
	s_add_i32 s12, s6, 0x160
	scratch_load_b128 v[7:10], off, s9
	s_addk_i32 s6, 0x170
	s_clause 0x1
	scratch_load_b128 v[11:14], off, s12
	scratch_load_b128 v[41:44], off, s6
	ds_load_2addr_b64 v[45:48], v6 offset0:2 offset1:3
	ds_load_2addr_b64 v[57:60], v6 offset0:4 offset1:5
	;; [unrolled: 1-line block ×3, first 2 shown]
	s_add_i32 s3, s3, 64
	s_mov_b32 s7, 0
	s_waitcnt lgkmcnt(2)
	v_mul_f64 v[49:50], v[47:48], v[2:3]
	v_mul_f64 v[53:54], v[45:46], v[2:3]
	s_waitcnt lgkmcnt(1)
	v_mul_f64 v[65:66], v[59:60], v[2:3]
	v_mul_f64 v[69:70], v[57:58], v[2:3]
	;; [unrolled: 3-line block ×3, first 2 shown]
	v_fma_f64 v[45:46], v[45:46], v[0:1], -v[49:50]
	v_fma_f64 v[47:48], v[47:48], v[0:1], v[53:54]
	v_fma_f64 v[49:50], v[57:58], v[0:1], -v[65:66]
	v_fma_f64 v[53:54], v[59:60], v[0:1], v[69:70]
	;; [unrolled: 2-line block ×3, first 2 shown]
	s_waitcnt vmcnt(2)
	v_add_f64 v[6:7], v[7:8], -v[45:46]
	v_add_f64 v[8:9], v[9:10], -v[47:48]
	s_waitcnt vmcnt(1)
	v_add_f64 v[10:11], v[11:12], -v[49:50]
	v_add_f64 v[12:13], v[13:14], -v[53:54]
	s_waitcnt vmcnt(0)
	v_add_f64 v[41:42], v[41:42], -v[57:58]
	v_add_f64 v[43:44], v[43:44], -v[59:60]
	s_clause 0x2
	scratch_store_b128 off, v[6:9], s9
	scratch_store_b128 off, v[10:13], s12
	;; [unrolled: 1-line block ×3, first 2 shown]
	s_branch .LBB120_496
.LBB120_499:
	s_or_b32 exec_lo, exec_lo, s2
	s_waitcnt_vscnt null, 0x0
	s_barrier
	buffer_gl0_inv
	scratch_load_b128 v[0:3], v80, off
	v_lshl_add_u32 v4, v38, 4, v20
	s_cmp_lt_i32 s5, 22
	s_waitcnt vmcnt(0)
	ds_store_2addr_b64 v4, v[0:1], v[2:3] offset1:1
	s_waitcnt lgkmcnt(0)
	s_barrier
	buffer_gl0_inv
	ds_load_2addr_b64 v[0:3], v20 offset0:40 offset1:41
	v_mov_b32_e32 v4, 20
	s_cbranch_scc1 .LBB120_502
; %bb.500:
	v_add3_u32 v5, v36, 0, 0x150
	v_mov_b32_e32 v4, 20
	s_mov_b32 s6, 21
	s_set_inst_prefetch_distance 0x1
	.p2align	6
.LBB120_501:                            ; =>This Inner Loop Header: Depth=1
	ds_load_2addr_b64 v[6:9], v5 offset1:1
	s_waitcnt lgkmcnt(1)
	v_cmp_gt_f64_e32 vcc_lo, 0, v[0:1]
	v_xor_b32_e32 v10, 0x80000000, v1
	v_cmp_gt_f64_e64 s2, 0, v[2:3]
	v_xor_b32_e32 v12, 0x80000000, v3
	v_add_nc_u32_e32 v5, 16, v5
	s_waitcnt lgkmcnt(0)
	v_cmp_gt_f64_e64 s3, 0, v[6:7]
	v_dual_mov_b32 v41, v8 :: v_dual_mov_b32 v14, v6
	v_cndmask_b32_e32 v11, v1, v10, vcc_lo
	v_xor_b32_e32 v10, 0x80000000, v7
	v_cndmask_b32_e64 v13, v3, v12, s2
	v_xor_b32_e32 v12, 0x80000000, v9
	s_delay_alu instid0(VALU_DEP_3) | instskip(SKIP_2) | instid1(VALU_DEP_2)
	v_cndmask_b32_e64 v15, v7, v10, s3
	v_cmp_gt_f64_e64 s3, 0, v[8:9]
	v_cndmask_b32_e32 v10, v0, v0, vcc_lo
	v_cndmask_b32_e64 v42, v9, v12, s3
	v_cndmask_b32_e64 v12, v2, v2, s2
	s_delay_alu instid0(VALU_DEP_2) | instskip(NEXT) | instid1(VALU_DEP_2)
	v_add_f64 v[14:15], v[14:15], v[41:42]
	v_add_f64 v[10:11], v[10:11], v[12:13]
	s_delay_alu instid0(VALU_DEP_1) | instskip(SKIP_4) | instid1(SALU_CYCLE_1)
	v_cmp_lt_f64_e32 vcc_lo, v[10:11], v[14:15]
	v_dual_cndmask_b32 v1, v1, v7 :: v_dual_cndmask_b32 v0, v0, v6
	v_dual_cndmask_b32 v3, v3, v9 :: v_dual_cndmask_b32 v2, v2, v8
	v_cndmask_b32_e64 v4, v4, s6, vcc_lo
	s_add_i32 s6, s6, 1
	s_cmp_lg_u32 s5, s6
	s_cbranch_scc1 .LBB120_501
.LBB120_502:
	s_set_inst_prefetch_distance 0x2
	s_waitcnt lgkmcnt(0)
	v_cmp_eq_f64_e32 vcc_lo, 0, v[0:1]
	v_cmp_eq_f64_e64 s2, 0, v[2:3]
	s_delay_alu instid0(VALU_DEP_1) | instskip(NEXT) | instid1(SALU_CYCLE_1)
	s_and_b32 s2, vcc_lo, s2
	s_and_saveexec_b32 s3, s2
	s_delay_alu instid0(SALU_CYCLE_1)
	s_xor_b32 s2, exec_lo, s3
; %bb.503:
	v_cmp_ne_u32_e32 vcc_lo, 0, v35
	v_cndmask_b32_e32 v35, 21, v35, vcc_lo
; %bb.504:
	s_and_not1_saveexec_b32 s3, s2
	s_cbranch_execz .LBB120_510
; %bb.505:
	v_cmp_gt_f64_e32 vcc_lo, 0, v[0:1]
	v_cmp_gt_f64_e64 s2, 0, v[2:3]
	v_xor_b32_e32 v5, 0x80000000, v1
	v_xor_b32_e32 v7, 0x80000000, v3
	s_delay_alu instid0(VALU_DEP_2) | instskip(NEXT) | instid1(VALU_DEP_2)
	v_dual_cndmask_b32 v6, v1, v5 :: v_dual_cndmask_b32 v5, v0, v0
	v_cndmask_b32_e64 v8, v3, v7, s2
	v_cndmask_b32_e64 v7, v2, v2, s2
	s_mov_b32 s2, exec_lo
	s_delay_alu instid0(VALU_DEP_1)
	v_cmpx_ngt_f64_e32 v[5:6], v[7:8]
	s_xor_b32 s2, exec_lo, s2
	s_cbranch_execz .LBB120_507
; %bb.506:
	v_div_scale_f64 v[5:6], null, v[2:3], v[2:3], v[0:1]
	v_div_scale_f64 v[11:12], vcc_lo, v[0:1], v[2:3], v[0:1]
	s_delay_alu instid0(VALU_DEP_2) | instskip(SKIP_2) | instid1(VALU_DEP_1)
	v_rcp_f64_e32 v[7:8], v[5:6]
	s_waitcnt_depctr 0xfff
	v_fma_f64 v[9:10], -v[5:6], v[7:8], 1.0
	v_fma_f64 v[7:8], v[7:8], v[9:10], v[7:8]
	s_delay_alu instid0(VALU_DEP_1) | instskip(NEXT) | instid1(VALU_DEP_1)
	v_fma_f64 v[9:10], -v[5:6], v[7:8], 1.0
	v_fma_f64 v[7:8], v[7:8], v[9:10], v[7:8]
	s_delay_alu instid0(VALU_DEP_1) | instskip(NEXT) | instid1(VALU_DEP_1)
	v_mul_f64 v[9:10], v[11:12], v[7:8]
	v_fma_f64 v[5:6], -v[5:6], v[9:10], v[11:12]
	s_delay_alu instid0(VALU_DEP_1) | instskip(NEXT) | instid1(VALU_DEP_1)
	v_div_fmas_f64 v[5:6], v[5:6], v[7:8], v[9:10]
	v_div_fixup_f64 v[5:6], v[5:6], v[2:3], v[0:1]
	s_delay_alu instid0(VALU_DEP_1) | instskip(NEXT) | instid1(VALU_DEP_1)
	v_fma_f64 v[0:1], v[0:1], v[5:6], v[2:3]
	v_div_scale_f64 v[2:3], null, v[0:1], v[0:1], 1.0
	s_delay_alu instid0(VALU_DEP_1) | instskip(SKIP_2) | instid1(VALU_DEP_1)
	v_rcp_f64_e32 v[7:8], v[2:3]
	s_waitcnt_depctr 0xfff
	v_fma_f64 v[9:10], -v[2:3], v[7:8], 1.0
	v_fma_f64 v[7:8], v[7:8], v[9:10], v[7:8]
	s_delay_alu instid0(VALU_DEP_1) | instskip(NEXT) | instid1(VALU_DEP_1)
	v_fma_f64 v[9:10], -v[2:3], v[7:8], 1.0
	v_fma_f64 v[7:8], v[7:8], v[9:10], v[7:8]
	v_div_scale_f64 v[9:10], vcc_lo, 1.0, v[0:1], 1.0
	s_delay_alu instid0(VALU_DEP_1) | instskip(NEXT) | instid1(VALU_DEP_1)
	v_mul_f64 v[11:12], v[9:10], v[7:8]
	v_fma_f64 v[2:3], -v[2:3], v[11:12], v[9:10]
	s_delay_alu instid0(VALU_DEP_1) | instskip(NEXT) | instid1(VALU_DEP_1)
	v_div_fmas_f64 v[2:3], v[2:3], v[7:8], v[11:12]
	v_div_fixup_f64 v[2:3], v[2:3], v[0:1], 1.0
	s_delay_alu instid0(VALU_DEP_1)
	v_mul_f64 v[0:1], v[5:6], v[2:3]
	v_xor_b32_e32 v3, 0x80000000, v3
.LBB120_507:
	s_and_not1_saveexec_b32 s2, s2
	s_cbranch_execz .LBB120_509
; %bb.508:
	s_delay_alu instid0(VALU_DEP_1) | instskip(SKIP_1) | instid1(VALU_DEP_2)
	v_div_scale_f64 v[5:6], null, v[0:1], v[0:1], v[2:3]
	v_div_scale_f64 v[11:12], vcc_lo, v[2:3], v[0:1], v[2:3]
	v_rcp_f64_e32 v[7:8], v[5:6]
	s_waitcnt_depctr 0xfff
	v_fma_f64 v[9:10], -v[5:6], v[7:8], 1.0
	s_delay_alu instid0(VALU_DEP_1) | instskip(NEXT) | instid1(VALU_DEP_1)
	v_fma_f64 v[7:8], v[7:8], v[9:10], v[7:8]
	v_fma_f64 v[9:10], -v[5:6], v[7:8], 1.0
	s_delay_alu instid0(VALU_DEP_1) | instskip(NEXT) | instid1(VALU_DEP_1)
	v_fma_f64 v[7:8], v[7:8], v[9:10], v[7:8]
	v_mul_f64 v[9:10], v[11:12], v[7:8]
	s_delay_alu instid0(VALU_DEP_1) | instskip(NEXT) | instid1(VALU_DEP_1)
	v_fma_f64 v[5:6], -v[5:6], v[9:10], v[11:12]
	v_div_fmas_f64 v[5:6], v[5:6], v[7:8], v[9:10]
	s_delay_alu instid0(VALU_DEP_1) | instskip(NEXT) | instid1(VALU_DEP_1)
	v_div_fixup_f64 v[5:6], v[5:6], v[0:1], v[2:3]
	v_fma_f64 v[0:1], v[2:3], v[5:6], v[0:1]
	s_delay_alu instid0(VALU_DEP_1) | instskip(NEXT) | instid1(VALU_DEP_1)
	v_div_scale_f64 v[2:3], null, v[0:1], v[0:1], 1.0
	v_rcp_f64_e32 v[7:8], v[2:3]
	s_waitcnt_depctr 0xfff
	v_fma_f64 v[9:10], -v[2:3], v[7:8], 1.0
	s_delay_alu instid0(VALU_DEP_1) | instskip(NEXT) | instid1(VALU_DEP_1)
	v_fma_f64 v[7:8], v[7:8], v[9:10], v[7:8]
	v_fma_f64 v[9:10], -v[2:3], v[7:8], 1.0
	s_delay_alu instid0(VALU_DEP_1) | instskip(SKIP_1) | instid1(VALU_DEP_1)
	v_fma_f64 v[7:8], v[7:8], v[9:10], v[7:8]
	v_div_scale_f64 v[9:10], vcc_lo, 1.0, v[0:1], 1.0
	v_mul_f64 v[11:12], v[9:10], v[7:8]
	s_delay_alu instid0(VALU_DEP_1) | instskip(NEXT) | instid1(VALU_DEP_1)
	v_fma_f64 v[2:3], -v[2:3], v[11:12], v[9:10]
	v_div_fmas_f64 v[2:3], v[2:3], v[7:8], v[11:12]
	s_delay_alu instid0(VALU_DEP_1) | instskip(NEXT) | instid1(VALU_DEP_1)
	v_div_fixup_f64 v[0:1], v[2:3], v[0:1], 1.0
	v_mul_f64 v[2:3], v[5:6], -v[0:1]
.LBB120_509:
	s_or_b32 exec_lo, exec_lo, s2
.LBB120_510:
	s_delay_alu instid0(SALU_CYCLE_1) | instskip(NEXT) | instid1(SALU_CYCLE_1)
	s_or_b32 exec_lo, exec_lo, s3
	s_mov_b32 s2, exec_lo
	v_cmpx_ne_u32_e64 v38, v4
	s_xor_b32 s2, exec_lo, s2
	s_cbranch_execz .LBB120_516
; %bb.511:
	s_mov_b32 s3, exec_lo
	v_cmpx_eq_u32_e32 20, v38
	s_cbranch_execz .LBB120_515
; %bb.512:
	v_cmp_ne_u32_e32 vcc_lo, 20, v4
	s_xor_b32 s6, s4, -1
	s_delay_alu instid0(SALU_CYCLE_1) | instskip(NEXT) | instid1(SALU_CYCLE_1)
	s_and_b32 s7, s6, vcc_lo
	s_and_saveexec_b32 s6, s7
	s_cbranch_execz .LBB120_514
; %bb.513:
	v_ashrrev_i32_e32 v5, 31, v4
	s_delay_alu instid0(VALU_DEP_1) | instskip(NEXT) | instid1(VALU_DEP_1)
	v_lshlrev_b64 v[5:6], 2, v[4:5]
	v_add_co_u32 v5, vcc_lo, v18, v5
	s_delay_alu instid0(VALU_DEP_2)
	v_add_co_ci_u32_e32 v6, vcc_lo, v19, v6, vcc_lo
	s_clause 0x1
	flat_load_b32 v7, v[5:6]
	flat_load_b32 v8, v[18:19] offset:80
	s_waitcnt vmcnt(1) lgkmcnt(1)
	flat_store_b32 v[18:19], v7 offset:80
	s_waitcnt vmcnt(0) lgkmcnt(1)
	flat_store_b32 v[5:6], v8
.LBB120_514:
	s_or_b32 exec_lo, exec_lo, s6
	v_mov_b32_e32 v38, v4
	v_mov_b32_e32 v37, v4
.LBB120_515:
	s_or_b32 exec_lo, exec_lo, s3
.LBB120_516:
	s_and_not1_saveexec_b32 s2, s2
	s_cbranch_execz .LBB120_520
; %bb.517:
	v_add3_u32 v4, v36, 0, 0x150
	v_mov_b32_e32 v5, 0
	s_mov_b32 s3, 0
.LBB120_518:                            ; =>This Inner Loop Header: Depth=1
	s_delay_alu instid0(VALU_DEP_1) | instskip(NEXT) | instid1(VALU_DEP_3)
	v_readfirstlane_b32 s6, v5
	v_add_nc_u32_e32 v14, s3, v4
	s_delay_alu instid0(VALU_DEP_2)
	s_add_i32 s6, s6, s3
	s_addk_i32 s3, 0xa0
	s_add_i32 s7, s6, 0x150
	s_add_i32 s9, s6, 0x160
	;; [unrolled: 1-line block ×9, first 2 shown]
	s_addk_i32 s6, 0x1e0
	s_clause 0x9
	scratch_load_b128 v[6:9], off, s7
	scratch_load_b128 v[10:13], off, s9
	;; [unrolled: 1-line block ×10, first 2 shown]
	s_cmpk_eq_i32 s3, 0x280
	s_waitcnt vmcnt(9)
	ds_store_2addr_b64 v14, v[6:7], v[8:9] offset1:1
	s_waitcnt vmcnt(8)
	ds_store_2addr_b64 v14, v[10:11], v[12:13] offset0:2 offset1:3
	s_waitcnt vmcnt(7)
	ds_store_2addr_b64 v14, v[41:42], v[43:44] offset0:4 offset1:5
	;; [unrolled: 2-line block ×9, first 2 shown]
	s_cbranch_scc0 .LBB120_518
; %bb.519:
	v_mov_b32_e32 v38, 20
.LBB120_520:
	s_or_b32 exec_lo, exec_lo, s2
	s_delay_alu instid0(SALU_CYCLE_1)
	s_mov_b32 s2, exec_lo
	s_waitcnt lgkmcnt(0)
	s_waitcnt_vscnt null, 0x0
	s_barrier
	buffer_gl0_inv
	v_cmpx_lt_i32_e32 20, v38
	s_cbranch_execz .LBB120_523
; %bb.521:
	scratch_load_b128 v[4:7], off, off offset:320
	s_mov_b32 s3, 0
	s_waitcnt vmcnt(0)
	v_mul_f64 v[8:9], v[2:3], v[6:7]
	v_mul_f64 v[6:7], v[0:1], v[6:7]
	s_delay_alu instid0(VALU_DEP_2) | instskip(NEXT) | instid1(VALU_DEP_2)
	v_fma_f64 v[0:1], v[0:1], v[4:5], -v[8:9]
	v_fma_f64 v[2:3], v[2:3], v[4:5], v[6:7]
	v_add3_u32 v4, v36, 0, 0x150
	v_mov_b32_e32 v5, 0
	scratch_store_b128 off, v[0:3], off offset:320
.LBB120_522:                            ; =>This Inner Loop Header: Depth=1
	v_readfirstlane_b32 s6, v5
	v_add_nc_u32_e32 v14, s3, v4
	s_delay_alu instid0(VALU_DEP_2)
	s_add_i32 s6, s6, s3
	s_addk_i32 s3, 0x50
	s_add_i32 s7, s6, 0x150
	s_add_i32 s9, s6, 0x160
	;; [unrolled: 1-line block ×4, first 2 shown]
	s_addk_i32 s6, 0x190
	s_clause 0x4
	scratch_load_b128 v[6:9], off, s7
	scratch_load_b128 v[10:13], off, s9
	;; [unrolled: 1-line block ×5, first 2 shown]
	ds_load_2addr_b64 v[61:64], v14 offset1:1
	ds_load_2addr_b64 v[73:76], v14 offset0:2 offset1:3
	ds_load_2addr_b64 v[129:132], v14 offset0:4 offset1:5
	ds_load_2addr_b64 v[164:167], v14 offset0:6 offset1:7
	ds_load_2addr_b64 v[168:171], v14 offset0:8 offset1:9
	s_cmpk_lg_i32 s3, 0x280
	s_waitcnt lgkmcnt(4)
	v_mul_f64 v[14:15], v[63:64], v[2:3]
	v_mul_f64 v[49:50], v[61:62], v[2:3]
	s_waitcnt lgkmcnt(3)
	v_mul_f64 v[53:54], v[75:76], v[2:3]
	v_mul_f64 v[65:66], v[73:74], v[2:3]
	;; [unrolled: 3-line block ×5, first 2 shown]
	v_fma_f64 v[14:15], v[61:62], v[0:1], -v[14:15]
	v_fma_f64 v[49:50], v[63:64], v[0:1], v[49:50]
	v_fma_f64 v[53:54], v[73:74], v[0:1], -v[53:54]
	v_fma_f64 v[61:62], v[75:76], v[0:1], v[65:66]
	;; [unrolled: 2-line block ×5, first 2 shown]
	s_waitcnt vmcnt(4)
	v_add_f64 v[6:7], v[6:7], -v[14:15]
	v_add_f64 v[8:9], v[8:9], -v[49:50]
	s_waitcnt vmcnt(3)
	v_add_f64 v[10:11], v[10:11], -v[53:54]
	v_add_f64 v[12:13], v[12:13], -v[61:62]
	;; [unrolled: 3-line block ×5, first 2 shown]
	s_clause 0x4
	scratch_store_b128 off, v[6:9], s7
	scratch_store_b128 off, v[10:13], s9
	;; [unrolled: 1-line block ×5, first 2 shown]
	s_cbranch_scc1 .LBB120_522
.LBB120_523:
	s_or_b32 exec_lo, exec_lo, s2
	s_waitcnt_vscnt null, 0x0
	s_barrier
	buffer_gl0_inv
	scratch_load_b128 v[0:3], v101, off
	v_lshl_add_u32 v4, v38, 4, v20
	s_cmp_lt_i32 s5, 23
	s_waitcnt vmcnt(0)
	ds_store_2addr_b64 v4, v[0:1], v[2:3] offset1:1
	s_waitcnt lgkmcnt(0)
	s_barrier
	buffer_gl0_inv
	ds_load_2addr_b64 v[0:3], v20 offset0:42 offset1:43
	v_mov_b32_e32 v4, 21
	s_cbranch_scc1 .LBB120_526
; %bb.524:
	v_add3_u32 v5, v36, 0, 0x160
	v_mov_b32_e32 v4, 21
	s_mov_b32 s6, 22
	s_set_inst_prefetch_distance 0x1
	.p2align	6
.LBB120_525:                            ; =>This Inner Loop Header: Depth=1
	ds_load_2addr_b64 v[6:9], v5 offset1:1
	s_waitcnt lgkmcnt(1)
	v_cmp_gt_f64_e32 vcc_lo, 0, v[0:1]
	v_xor_b32_e32 v10, 0x80000000, v1
	v_cmp_gt_f64_e64 s2, 0, v[2:3]
	v_xor_b32_e32 v12, 0x80000000, v3
	v_add_nc_u32_e32 v5, 16, v5
	s_waitcnt lgkmcnt(0)
	v_cmp_gt_f64_e64 s3, 0, v[6:7]
	v_dual_mov_b32 v41, v8 :: v_dual_mov_b32 v14, v6
	v_cndmask_b32_e32 v11, v1, v10, vcc_lo
	v_xor_b32_e32 v10, 0x80000000, v7
	v_cndmask_b32_e64 v13, v3, v12, s2
	v_xor_b32_e32 v12, 0x80000000, v9
	s_delay_alu instid0(VALU_DEP_3) | instskip(SKIP_2) | instid1(VALU_DEP_2)
	v_cndmask_b32_e64 v15, v7, v10, s3
	v_cmp_gt_f64_e64 s3, 0, v[8:9]
	v_cndmask_b32_e32 v10, v0, v0, vcc_lo
	v_cndmask_b32_e64 v42, v9, v12, s3
	v_cndmask_b32_e64 v12, v2, v2, s2
	s_delay_alu instid0(VALU_DEP_2) | instskip(NEXT) | instid1(VALU_DEP_2)
	v_add_f64 v[14:15], v[14:15], v[41:42]
	v_add_f64 v[10:11], v[10:11], v[12:13]
	s_delay_alu instid0(VALU_DEP_1) | instskip(SKIP_4) | instid1(SALU_CYCLE_1)
	v_cmp_lt_f64_e32 vcc_lo, v[10:11], v[14:15]
	v_dual_cndmask_b32 v1, v1, v7 :: v_dual_cndmask_b32 v0, v0, v6
	v_dual_cndmask_b32 v3, v3, v9 :: v_dual_cndmask_b32 v2, v2, v8
	v_cndmask_b32_e64 v4, v4, s6, vcc_lo
	s_add_i32 s6, s6, 1
	s_cmp_lg_u32 s5, s6
	s_cbranch_scc1 .LBB120_525
.LBB120_526:
	s_set_inst_prefetch_distance 0x2
	s_waitcnt lgkmcnt(0)
	v_cmp_eq_f64_e32 vcc_lo, 0, v[0:1]
	v_cmp_eq_f64_e64 s2, 0, v[2:3]
	s_delay_alu instid0(VALU_DEP_1) | instskip(NEXT) | instid1(SALU_CYCLE_1)
	s_and_b32 s2, vcc_lo, s2
	s_and_saveexec_b32 s3, s2
	s_delay_alu instid0(SALU_CYCLE_1)
	s_xor_b32 s2, exec_lo, s3
; %bb.527:
	v_cmp_ne_u32_e32 vcc_lo, 0, v35
	v_cndmask_b32_e32 v35, 22, v35, vcc_lo
; %bb.528:
	s_and_not1_saveexec_b32 s3, s2
	s_cbranch_execz .LBB120_534
; %bb.529:
	v_cmp_gt_f64_e32 vcc_lo, 0, v[0:1]
	v_cmp_gt_f64_e64 s2, 0, v[2:3]
	v_xor_b32_e32 v5, 0x80000000, v1
	v_xor_b32_e32 v7, 0x80000000, v3
	s_delay_alu instid0(VALU_DEP_2) | instskip(NEXT) | instid1(VALU_DEP_2)
	v_dual_cndmask_b32 v6, v1, v5 :: v_dual_cndmask_b32 v5, v0, v0
	v_cndmask_b32_e64 v8, v3, v7, s2
	v_cndmask_b32_e64 v7, v2, v2, s2
	s_mov_b32 s2, exec_lo
	s_delay_alu instid0(VALU_DEP_1)
	v_cmpx_ngt_f64_e32 v[5:6], v[7:8]
	s_xor_b32 s2, exec_lo, s2
	s_cbranch_execz .LBB120_531
; %bb.530:
	v_div_scale_f64 v[5:6], null, v[2:3], v[2:3], v[0:1]
	v_div_scale_f64 v[11:12], vcc_lo, v[0:1], v[2:3], v[0:1]
	s_delay_alu instid0(VALU_DEP_2) | instskip(SKIP_2) | instid1(VALU_DEP_1)
	v_rcp_f64_e32 v[7:8], v[5:6]
	s_waitcnt_depctr 0xfff
	v_fma_f64 v[9:10], -v[5:6], v[7:8], 1.0
	v_fma_f64 v[7:8], v[7:8], v[9:10], v[7:8]
	s_delay_alu instid0(VALU_DEP_1) | instskip(NEXT) | instid1(VALU_DEP_1)
	v_fma_f64 v[9:10], -v[5:6], v[7:8], 1.0
	v_fma_f64 v[7:8], v[7:8], v[9:10], v[7:8]
	s_delay_alu instid0(VALU_DEP_1) | instskip(NEXT) | instid1(VALU_DEP_1)
	v_mul_f64 v[9:10], v[11:12], v[7:8]
	v_fma_f64 v[5:6], -v[5:6], v[9:10], v[11:12]
	s_delay_alu instid0(VALU_DEP_1) | instskip(NEXT) | instid1(VALU_DEP_1)
	v_div_fmas_f64 v[5:6], v[5:6], v[7:8], v[9:10]
	v_div_fixup_f64 v[5:6], v[5:6], v[2:3], v[0:1]
	s_delay_alu instid0(VALU_DEP_1) | instskip(NEXT) | instid1(VALU_DEP_1)
	v_fma_f64 v[0:1], v[0:1], v[5:6], v[2:3]
	v_div_scale_f64 v[2:3], null, v[0:1], v[0:1], 1.0
	s_delay_alu instid0(VALU_DEP_1) | instskip(SKIP_2) | instid1(VALU_DEP_1)
	v_rcp_f64_e32 v[7:8], v[2:3]
	s_waitcnt_depctr 0xfff
	v_fma_f64 v[9:10], -v[2:3], v[7:8], 1.0
	v_fma_f64 v[7:8], v[7:8], v[9:10], v[7:8]
	s_delay_alu instid0(VALU_DEP_1) | instskip(NEXT) | instid1(VALU_DEP_1)
	v_fma_f64 v[9:10], -v[2:3], v[7:8], 1.0
	v_fma_f64 v[7:8], v[7:8], v[9:10], v[7:8]
	v_div_scale_f64 v[9:10], vcc_lo, 1.0, v[0:1], 1.0
	s_delay_alu instid0(VALU_DEP_1) | instskip(NEXT) | instid1(VALU_DEP_1)
	v_mul_f64 v[11:12], v[9:10], v[7:8]
	v_fma_f64 v[2:3], -v[2:3], v[11:12], v[9:10]
	s_delay_alu instid0(VALU_DEP_1) | instskip(NEXT) | instid1(VALU_DEP_1)
	v_div_fmas_f64 v[2:3], v[2:3], v[7:8], v[11:12]
	v_div_fixup_f64 v[2:3], v[2:3], v[0:1], 1.0
	s_delay_alu instid0(VALU_DEP_1)
	v_mul_f64 v[0:1], v[5:6], v[2:3]
	v_xor_b32_e32 v3, 0x80000000, v3
.LBB120_531:
	s_and_not1_saveexec_b32 s2, s2
	s_cbranch_execz .LBB120_533
; %bb.532:
	s_delay_alu instid0(VALU_DEP_1) | instskip(SKIP_1) | instid1(VALU_DEP_2)
	v_div_scale_f64 v[5:6], null, v[0:1], v[0:1], v[2:3]
	v_div_scale_f64 v[11:12], vcc_lo, v[2:3], v[0:1], v[2:3]
	v_rcp_f64_e32 v[7:8], v[5:6]
	s_waitcnt_depctr 0xfff
	v_fma_f64 v[9:10], -v[5:6], v[7:8], 1.0
	s_delay_alu instid0(VALU_DEP_1) | instskip(NEXT) | instid1(VALU_DEP_1)
	v_fma_f64 v[7:8], v[7:8], v[9:10], v[7:8]
	v_fma_f64 v[9:10], -v[5:6], v[7:8], 1.0
	s_delay_alu instid0(VALU_DEP_1) | instskip(NEXT) | instid1(VALU_DEP_1)
	v_fma_f64 v[7:8], v[7:8], v[9:10], v[7:8]
	v_mul_f64 v[9:10], v[11:12], v[7:8]
	s_delay_alu instid0(VALU_DEP_1) | instskip(NEXT) | instid1(VALU_DEP_1)
	v_fma_f64 v[5:6], -v[5:6], v[9:10], v[11:12]
	v_div_fmas_f64 v[5:6], v[5:6], v[7:8], v[9:10]
	s_delay_alu instid0(VALU_DEP_1) | instskip(NEXT) | instid1(VALU_DEP_1)
	v_div_fixup_f64 v[5:6], v[5:6], v[0:1], v[2:3]
	v_fma_f64 v[0:1], v[2:3], v[5:6], v[0:1]
	s_delay_alu instid0(VALU_DEP_1) | instskip(NEXT) | instid1(VALU_DEP_1)
	v_div_scale_f64 v[2:3], null, v[0:1], v[0:1], 1.0
	v_rcp_f64_e32 v[7:8], v[2:3]
	s_waitcnt_depctr 0xfff
	v_fma_f64 v[9:10], -v[2:3], v[7:8], 1.0
	s_delay_alu instid0(VALU_DEP_1) | instskip(NEXT) | instid1(VALU_DEP_1)
	v_fma_f64 v[7:8], v[7:8], v[9:10], v[7:8]
	v_fma_f64 v[9:10], -v[2:3], v[7:8], 1.0
	s_delay_alu instid0(VALU_DEP_1) | instskip(SKIP_1) | instid1(VALU_DEP_1)
	v_fma_f64 v[7:8], v[7:8], v[9:10], v[7:8]
	v_div_scale_f64 v[9:10], vcc_lo, 1.0, v[0:1], 1.0
	v_mul_f64 v[11:12], v[9:10], v[7:8]
	s_delay_alu instid0(VALU_DEP_1) | instskip(NEXT) | instid1(VALU_DEP_1)
	v_fma_f64 v[2:3], -v[2:3], v[11:12], v[9:10]
	v_div_fmas_f64 v[2:3], v[2:3], v[7:8], v[11:12]
	s_delay_alu instid0(VALU_DEP_1) | instskip(NEXT) | instid1(VALU_DEP_1)
	v_div_fixup_f64 v[0:1], v[2:3], v[0:1], 1.0
	v_mul_f64 v[2:3], v[5:6], -v[0:1]
.LBB120_533:
	s_or_b32 exec_lo, exec_lo, s2
.LBB120_534:
	s_delay_alu instid0(SALU_CYCLE_1) | instskip(NEXT) | instid1(SALU_CYCLE_1)
	s_or_b32 exec_lo, exec_lo, s3
	s_mov_b32 s2, exec_lo
	v_cmpx_ne_u32_e64 v38, v4
	s_xor_b32 s2, exec_lo, s2
	s_cbranch_execz .LBB120_540
; %bb.535:
	s_mov_b32 s3, exec_lo
	v_cmpx_eq_u32_e32 21, v38
	s_cbranch_execz .LBB120_539
; %bb.536:
	v_cmp_ne_u32_e32 vcc_lo, 21, v4
	s_xor_b32 s6, s4, -1
	s_delay_alu instid0(SALU_CYCLE_1) | instskip(NEXT) | instid1(SALU_CYCLE_1)
	s_and_b32 s7, s6, vcc_lo
	s_and_saveexec_b32 s6, s7
	s_cbranch_execz .LBB120_538
; %bb.537:
	v_ashrrev_i32_e32 v5, 31, v4
	s_delay_alu instid0(VALU_DEP_1) | instskip(NEXT) | instid1(VALU_DEP_1)
	v_lshlrev_b64 v[5:6], 2, v[4:5]
	v_add_co_u32 v5, vcc_lo, v18, v5
	s_delay_alu instid0(VALU_DEP_2)
	v_add_co_ci_u32_e32 v6, vcc_lo, v19, v6, vcc_lo
	s_clause 0x1
	flat_load_b32 v7, v[5:6]
	flat_load_b32 v8, v[18:19] offset:84
	s_waitcnt vmcnt(1) lgkmcnt(1)
	flat_store_b32 v[18:19], v7 offset:84
	s_waitcnt vmcnt(0) lgkmcnt(1)
	flat_store_b32 v[5:6], v8
.LBB120_538:
	s_or_b32 exec_lo, exec_lo, s6
	v_mov_b32_e32 v38, v4
	v_mov_b32_e32 v37, v4
.LBB120_539:
	s_or_b32 exec_lo, exec_lo, s3
.LBB120_540:
	s_and_not1_saveexec_b32 s2, s2
	s_cbranch_execz .LBB120_544
; %bb.541:
	v_add3_u32 v4, v36, 0, 0x160
	v_mov_b32_e32 v5, 0
	s_mov_b32 s3, 0
.LBB120_542:                            ; =>This Inner Loop Header: Depth=1
	s_delay_alu instid0(VALU_DEP_1) | instskip(NEXT) | instid1(VALU_DEP_3)
	v_readfirstlane_b32 s6, v5
	v_add_nc_u32_e32 v14, s3, v4
	s_delay_alu instid0(VALU_DEP_2)
	s_add_i32 s6, s6, s3
	s_addk_i32 s3, 0xd0
	s_add_i32 s7, s6, 0x160
	s_add_i32 s9, s6, 0x170
	;; [unrolled: 1-line block ×12, first 2 shown]
	s_addk_i32 s6, 0x220
	s_clause 0xc
	scratch_load_b128 v[6:9], off, s7
	scratch_load_b128 v[10:13], off, s9
	;; [unrolled: 1-line block ×13, first 2 shown]
	s_cmpk_eq_i32 s3, 0x270
	s_waitcnt vmcnt(12)
	ds_store_2addr_b64 v14, v[6:7], v[8:9] offset1:1
	s_waitcnt vmcnt(11)
	ds_store_2addr_b64 v14, v[10:11], v[12:13] offset0:2 offset1:3
	s_waitcnt vmcnt(10)
	ds_store_2addr_b64 v14, v[41:42], v[43:44] offset0:4 offset1:5
	;; [unrolled: 2-line block ×12, first 2 shown]
	s_cbranch_scc0 .LBB120_542
; %bb.543:
	v_mov_b32_e32 v38, 21
.LBB120_544:
	s_or_b32 exec_lo, exec_lo, s2
	s_delay_alu instid0(SALU_CYCLE_1)
	s_mov_b32 s2, exec_lo
	s_waitcnt lgkmcnt(0)
	s_waitcnt_vscnt null, 0x0
	s_barrier
	buffer_gl0_inv
	v_cmpx_lt_i32_e32 21, v38
	s_cbranch_execz .LBB120_547
; %bb.545:
	scratch_load_b128 v[4:7], off, off offset:336
	s_mov_b32 s3, 0
	s_waitcnt vmcnt(0)
	v_mul_f64 v[8:9], v[2:3], v[6:7]
	v_mul_f64 v[6:7], v[0:1], v[6:7]
	s_delay_alu instid0(VALU_DEP_2) | instskip(NEXT) | instid1(VALU_DEP_2)
	v_fma_f64 v[0:1], v[0:1], v[4:5], -v[8:9]
	v_fma_f64 v[2:3], v[2:3], v[4:5], v[6:7]
	v_add3_u32 v4, v36, 0, 0x160
	v_mov_b32_e32 v5, 0
	scratch_store_b128 off, v[0:3], off offset:336
.LBB120_546:                            ; =>This Inner Loop Header: Depth=1
	v_readfirstlane_b32 s6, v5
	v_add_nc_u32_e32 v14, s3, v4
	s_delay_alu instid0(VALU_DEP_2)
	s_add_i32 s6, s6, s3
	s_add_i32 s3, s3, 48
	;; [unrolled: 1-line block ×4, first 2 shown]
	s_addk_i32 s6, 0x180
	s_clause 0x2
	scratch_load_b128 v[6:9], off, s7
	scratch_load_b128 v[10:13], off, s9
	;; [unrolled: 1-line block ×3, first 2 shown]
	ds_load_2addr_b64 v[45:48], v14 offset1:1
	ds_load_2addr_b64 v[57:60], v14 offset0:2 offset1:3
	ds_load_2addr_b64 v[61:64], v14 offset0:4 offset1:5
	s_cmpk_lg_i32 s3, 0x270
	s_waitcnt lgkmcnt(2)
	v_mul_f64 v[14:15], v[47:48], v[2:3]
	v_mul_f64 v[49:50], v[45:46], v[2:3]
	s_waitcnt lgkmcnt(1)
	v_mul_f64 v[53:54], v[59:60], v[2:3]
	v_mul_f64 v[65:66], v[57:58], v[2:3]
	;; [unrolled: 3-line block ×3, first 2 shown]
	v_fma_f64 v[14:15], v[45:46], v[0:1], -v[14:15]
	v_fma_f64 v[45:46], v[47:48], v[0:1], v[49:50]
	v_fma_f64 v[47:48], v[57:58], v[0:1], -v[53:54]
	v_fma_f64 v[49:50], v[59:60], v[0:1], v[65:66]
	v_fma_f64 v[53:54], v[61:62], v[0:1], -v[69:70]
	v_fma_f64 v[57:58], v[63:64], v[0:1], v[73:74]
	s_waitcnt vmcnt(2)
	v_add_f64 v[6:7], v[6:7], -v[14:15]
	v_add_f64 v[8:9], v[8:9], -v[45:46]
	s_waitcnt vmcnt(1)
	v_add_f64 v[10:11], v[10:11], -v[47:48]
	v_add_f64 v[12:13], v[12:13], -v[49:50]
	;; [unrolled: 3-line block ×3, first 2 shown]
	s_clause 0x2
	scratch_store_b128 off, v[6:9], s7
	scratch_store_b128 off, v[10:13], s9
	;; [unrolled: 1-line block ×3, first 2 shown]
	s_cbranch_scc1 .LBB120_546
.LBB120_547:
	s_or_b32 exec_lo, exec_lo, s2
	s_waitcnt_vscnt null, 0x0
	s_barrier
	buffer_gl0_inv
	scratch_load_b128 v[0:3], v99, off
	v_lshl_add_u32 v4, v38, 4, v20
	s_cmp_lt_i32 s5, 24
	s_waitcnt vmcnt(0)
	ds_store_2addr_b64 v4, v[0:1], v[2:3] offset1:1
	s_waitcnt lgkmcnt(0)
	s_barrier
	buffer_gl0_inv
	ds_load_2addr_b64 v[0:3], v20 offset0:44 offset1:45
	v_mov_b32_e32 v4, 22
	s_cbranch_scc1 .LBB120_550
; %bb.548:
	v_add3_u32 v5, v36, 0, 0x170
	v_mov_b32_e32 v4, 22
	s_mov_b32 s6, 23
	s_set_inst_prefetch_distance 0x1
	.p2align	6
.LBB120_549:                            ; =>This Inner Loop Header: Depth=1
	ds_load_2addr_b64 v[6:9], v5 offset1:1
	s_waitcnt lgkmcnt(1)
	v_cmp_gt_f64_e32 vcc_lo, 0, v[0:1]
	v_xor_b32_e32 v10, 0x80000000, v1
	v_cmp_gt_f64_e64 s2, 0, v[2:3]
	v_xor_b32_e32 v12, 0x80000000, v3
	v_add_nc_u32_e32 v5, 16, v5
	s_waitcnt lgkmcnt(0)
	v_cmp_gt_f64_e64 s3, 0, v[6:7]
	v_dual_mov_b32 v41, v8 :: v_dual_mov_b32 v14, v6
	v_cndmask_b32_e32 v11, v1, v10, vcc_lo
	v_xor_b32_e32 v10, 0x80000000, v7
	v_cndmask_b32_e64 v13, v3, v12, s2
	v_xor_b32_e32 v12, 0x80000000, v9
	s_delay_alu instid0(VALU_DEP_3) | instskip(SKIP_2) | instid1(VALU_DEP_2)
	v_cndmask_b32_e64 v15, v7, v10, s3
	v_cmp_gt_f64_e64 s3, 0, v[8:9]
	v_cndmask_b32_e32 v10, v0, v0, vcc_lo
	v_cndmask_b32_e64 v42, v9, v12, s3
	v_cndmask_b32_e64 v12, v2, v2, s2
	s_delay_alu instid0(VALU_DEP_2) | instskip(NEXT) | instid1(VALU_DEP_2)
	v_add_f64 v[14:15], v[14:15], v[41:42]
	v_add_f64 v[10:11], v[10:11], v[12:13]
	s_delay_alu instid0(VALU_DEP_1) | instskip(SKIP_4) | instid1(SALU_CYCLE_1)
	v_cmp_lt_f64_e32 vcc_lo, v[10:11], v[14:15]
	v_dual_cndmask_b32 v1, v1, v7 :: v_dual_cndmask_b32 v0, v0, v6
	v_dual_cndmask_b32 v3, v3, v9 :: v_dual_cndmask_b32 v2, v2, v8
	v_cndmask_b32_e64 v4, v4, s6, vcc_lo
	s_add_i32 s6, s6, 1
	s_cmp_lg_u32 s5, s6
	s_cbranch_scc1 .LBB120_549
.LBB120_550:
	s_set_inst_prefetch_distance 0x2
	s_waitcnt lgkmcnt(0)
	v_cmp_eq_f64_e32 vcc_lo, 0, v[0:1]
	v_cmp_eq_f64_e64 s2, 0, v[2:3]
	s_delay_alu instid0(VALU_DEP_1) | instskip(NEXT) | instid1(SALU_CYCLE_1)
	s_and_b32 s2, vcc_lo, s2
	s_and_saveexec_b32 s3, s2
	s_delay_alu instid0(SALU_CYCLE_1)
	s_xor_b32 s2, exec_lo, s3
; %bb.551:
	v_cmp_ne_u32_e32 vcc_lo, 0, v35
	v_cndmask_b32_e32 v35, 23, v35, vcc_lo
; %bb.552:
	s_and_not1_saveexec_b32 s3, s2
	s_cbranch_execz .LBB120_558
; %bb.553:
	v_cmp_gt_f64_e32 vcc_lo, 0, v[0:1]
	v_cmp_gt_f64_e64 s2, 0, v[2:3]
	v_xor_b32_e32 v5, 0x80000000, v1
	v_xor_b32_e32 v7, 0x80000000, v3
	s_delay_alu instid0(VALU_DEP_2) | instskip(NEXT) | instid1(VALU_DEP_2)
	v_dual_cndmask_b32 v6, v1, v5 :: v_dual_cndmask_b32 v5, v0, v0
	v_cndmask_b32_e64 v8, v3, v7, s2
	v_cndmask_b32_e64 v7, v2, v2, s2
	s_mov_b32 s2, exec_lo
	s_delay_alu instid0(VALU_DEP_1)
	v_cmpx_ngt_f64_e32 v[5:6], v[7:8]
	s_xor_b32 s2, exec_lo, s2
	s_cbranch_execz .LBB120_555
; %bb.554:
	v_div_scale_f64 v[5:6], null, v[2:3], v[2:3], v[0:1]
	v_div_scale_f64 v[11:12], vcc_lo, v[0:1], v[2:3], v[0:1]
	s_delay_alu instid0(VALU_DEP_2) | instskip(SKIP_2) | instid1(VALU_DEP_1)
	v_rcp_f64_e32 v[7:8], v[5:6]
	s_waitcnt_depctr 0xfff
	v_fma_f64 v[9:10], -v[5:6], v[7:8], 1.0
	v_fma_f64 v[7:8], v[7:8], v[9:10], v[7:8]
	s_delay_alu instid0(VALU_DEP_1) | instskip(NEXT) | instid1(VALU_DEP_1)
	v_fma_f64 v[9:10], -v[5:6], v[7:8], 1.0
	v_fma_f64 v[7:8], v[7:8], v[9:10], v[7:8]
	s_delay_alu instid0(VALU_DEP_1) | instskip(NEXT) | instid1(VALU_DEP_1)
	v_mul_f64 v[9:10], v[11:12], v[7:8]
	v_fma_f64 v[5:6], -v[5:6], v[9:10], v[11:12]
	s_delay_alu instid0(VALU_DEP_1) | instskip(NEXT) | instid1(VALU_DEP_1)
	v_div_fmas_f64 v[5:6], v[5:6], v[7:8], v[9:10]
	v_div_fixup_f64 v[5:6], v[5:6], v[2:3], v[0:1]
	s_delay_alu instid0(VALU_DEP_1) | instskip(NEXT) | instid1(VALU_DEP_1)
	v_fma_f64 v[0:1], v[0:1], v[5:6], v[2:3]
	v_div_scale_f64 v[2:3], null, v[0:1], v[0:1], 1.0
	s_delay_alu instid0(VALU_DEP_1) | instskip(SKIP_2) | instid1(VALU_DEP_1)
	v_rcp_f64_e32 v[7:8], v[2:3]
	s_waitcnt_depctr 0xfff
	v_fma_f64 v[9:10], -v[2:3], v[7:8], 1.0
	v_fma_f64 v[7:8], v[7:8], v[9:10], v[7:8]
	s_delay_alu instid0(VALU_DEP_1) | instskip(NEXT) | instid1(VALU_DEP_1)
	v_fma_f64 v[9:10], -v[2:3], v[7:8], 1.0
	v_fma_f64 v[7:8], v[7:8], v[9:10], v[7:8]
	v_div_scale_f64 v[9:10], vcc_lo, 1.0, v[0:1], 1.0
	s_delay_alu instid0(VALU_DEP_1) | instskip(NEXT) | instid1(VALU_DEP_1)
	v_mul_f64 v[11:12], v[9:10], v[7:8]
	v_fma_f64 v[2:3], -v[2:3], v[11:12], v[9:10]
	s_delay_alu instid0(VALU_DEP_1) | instskip(NEXT) | instid1(VALU_DEP_1)
	v_div_fmas_f64 v[2:3], v[2:3], v[7:8], v[11:12]
	v_div_fixup_f64 v[2:3], v[2:3], v[0:1], 1.0
	s_delay_alu instid0(VALU_DEP_1)
	v_mul_f64 v[0:1], v[5:6], v[2:3]
	v_xor_b32_e32 v3, 0x80000000, v3
.LBB120_555:
	s_and_not1_saveexec_b32 s2, s2
	s_cbranch_execz .LBB120_557
; %bb.556:
	s_delay_alu instid0(VALU_DEP_1) | instskip(SKIP_1) | instid1(VALU_DEP_2)
	v_div_scale_f64 v[5:6], null, v[0:1], v[0:1], v[2:3]
	v_div_scale_f64 v[11:12], vcc_lo, v[2:3], v[0:1], v[2:3]
	v_rcp_f64_e32 v[7:8], v[5:6]
	s_waitcnt_depctr 0xfff
	v_fma_f64 v[9:10], -v[5:6], v[7:8], 1.0
	s_delay_alu instid0(VALU_DEP_1) | instskip(NEXT) | instid1(VALU_DEP_1)
	v_fma_f64 v[7:8], v[7:8], v[9:10], v[7:8]
	v_fma_f64 v[9:10], -v[5:6], v[7:8], 1.0
	s_delay_alu instid0(VALU_DEP_1) | instskip(NEXT) | instid1(VALU_DEP_1)
	v_fma_f64 v[7:8], v[7:8], v[9:10], v[7:8]
	v_mul_f64 v[9:10], v[11:12], v[7:8]
	s_delay_alu instid0(VALU_DEP_1) | instskip(NEXT) | instid1(VALU_DEP_1)
	v_fma_f64 v[5:6], -v[5:6], v[9:10], v[11:12]
	v_div_fmas_f64 v[5:6], v[5:6], v[7:8], v[9:10]
	s_delay_alu instid0(VALU_DEP_1) | instskip(NEXT) | instid1(VALU_DEP_1)
	v_div_fixup_f64 v[5:6], v[5:6], v[0:1], v[2:3]
	v_fma_f64 v[0:1], v[2:3], v[5:6], v[0:1]
	s_delay_alu instid0(VALU_DEP_1) | instskip(NEXT) | instid1(VALU_DEP_1)
	v_div_scale_f64 v[2:3], null, v[0:1], v[0:1], 1.0
	v_rcp_f64_e32 v[7:8], v[2:3]
	s_waitcnt_depctr 0xfff
	v_fma_f64 v[9:10], -v[2:3], v[7:8], 1.0
	s_delay_alu instid0(VALU_DEP_1) | instskip(NEXT) | instid1(VALU_DEP_1)
	v_fma_f64 v[7:8], v[7:8], v[9:10], v[7:8]
	v_fma_f64 v[9:10], -v[2:3], v[7:8], 1.0
	s_delay_alu instid0(VALU_DEP_1) | instskip(SKIP_1) | instid1(VALU_DEP_1)
	v_fma_f64 v[7:8], v[7:8], v[9:10], v[7:8]
	v_div_scale_f64 v[9:10], vcc_lo, 1.0, v[0:1], 1.0
	v_mul_f64 v[11:12], v[9:10], v[7:8]
	s_delay_alu instid0(VALU_DEP_1) | instskip(NEXT) | instid1(VALU_DEP_1)
	v_fma_f64 v[2:3], -v[2:3], v[11:12], v[9:10]
	v_div_fmas_f64 v[2:3], v[2:3], v[7:8], v[11:12]
	s_delay_alu instid0(VALU_DEP_1) | instskip(NEXT) | instid1(VALU_DEP_1)
	v_div_fixup_f64 v[0:1], v[2:3], v[0:1], 1.0
	v_mul_f64 v[2:3], v[5:6], -v[0:1]
.LBB120_557:
	s_or_b32 exec_lo, exec_lo, s2
.LBB120_558:
	s_delay_alu instid0(SALU_CYCLE_1) | instskip(NEXT) | instid1(SALU_CYCLE_1)
	s_or_b32 exec_lo, exec_lo, s3
	s_mov_b32 s2, exec_lo
	v_cmpx_ne_u32_e64 v38, v4
	s_xor_b32 s2, exec_lo, s2
	s_cbranch_execz .LBB120_564
; %bb.559:
	s_mov_b32 s3, exec_lo
	v_cmpx_eq_u32_e32 22, v38
	s_cbranch_execz .LBB120_563
; %bb.560:
	v_cmp_ne_u32_e32 vcc_lo, 22, v4
	s_xor_b32 s6, s4, -1
	s_delay_alu instid0(SALU_CYCLE_1) | instskip(NEXT) | instid1(SALU_CYCLE_1)
	s_and_b32 s7, s6, vcc_lo
	s_and_saveexec_b32 s6, s7
	s_cbranch_execz .LBB120_562
; %bb.561:
	v_ashrrev_i32_e32 v5, 31, v4
	s_delay_alu instid0(VALU_DEP_1) | instskip(NEXT) | instid1(VALU_DEP_1)
	v_lshlrev_b64 v[5:6], 2, v[4:5]
	v_add_co_u32 v5, vcc_lo, v18, v5
	s_delay_alu instid0(VALU_DEP_2)
	v_add_co_ci_u32_e32 v6, vcc_lo, v19, v6, vcc_lo
	s_clause 0x1
	flat_load_b32 v7, v[5:6]
	flat_load_b32 v8, v[18:19] offset:88
	s_waitcnt vmcnt(1) lgkmcnt(1)
	flat_store_b32 v[18:19], v7 offset:88
	s_waitcnt vmcnt(0) lgkmcnt(1)
	flat_store_b32 v[5:6], v8
.LBB120_562:
	s_or_b32 exec_lo, exec_lo, s6
	v_mov_b32_e32 v38, v4
	v_mov_b32_e32 v37, v4
.LBB120_563:
	s_or_b32 exec_lo, exec_lo, s3
.LBB120_564:
	s_and_not1_saveexec_b32 s2, s2
	s_cbranch_execz .LBB120_568
; %bb.565:
	v_add3_u32 v4, v36, 0, 0x170
	s_mov_b32 s3, 0
	.p2align	6
.LBB120_566:                            ; =>This Inner Loop Header: Depth=1
	s_delay_alu instid0(SALU_CYCLE_1) | instskip(NEXT) | instid1(VALU_DEP_2)
	v_add_nc_u32_e64 v5, s3, 0
	v_add_nc_u32_e32 v13, s3, v4
	s_add_i32 s3, s3, 32
	s_delay_alu instid0(SALU_CYCLE_1) | instskip(NEXT) | instid1(VALU_DEP_2)
	s_cmpk_eq_i32 s3, 0x260
	v_add_nc_u32_e32 v6, 0x170, v5
	v_add_nc_u32_e32 v9, 0x180, v5
	s_clause 0x1
	scratch_load_b128 v[5:8], v6, off
	scratch_load_b128 v[9:12], v9, off
	s_waitcnt vmcnt(1)
	ds_store_2addr_b64 v13, v[5:6], v[7:8] offset1:1
	s_waitcnt vmcnt(0)
	ds_store_2addr_b64 v13, v[9:10], v[11:12] offset0:2 offset1:3
	s_cbranch_scc0 .LBB120_566
; %bb.567:
	v_mov_b32_e32 v38, 22
.LBB120_568:
	s_or_b32 exec_lo, exec_lo, s2
	s_delay_alu instid0(SALU_CYCLE_1)
	s_mov_b32 s2, exec_lo
	s_waitcnt lgkmcnt(0)
	s_waitcnt_vscnt null, 0x0
	s_barrier
	buffer_gl0_inv
	v_cmpx_lt_i32_e32 22, v38
	s_cbranch_execz .LBB120_571
; %bb.569:
	scratch_load_b128 v[4:7], off, off offset:352
	s_mov_b32 s3, 0
	s_waitcnt vmcnt(0)
	v_mul_f64 v[8:9], v[2:3], v[6:7]
	v_mul_f64 v[6:7], v[0:1], v[6:7]
	s_delay_alu instid0(VALU_DEP_2) | instskip(NEXT) | instid1(VALU_DEP_2)
	v_fma_f64 v[0:1], v[0:1], v[4:5], -v[8:9]
	v_fma_f64 v[2:3], v[2:3], v[4:5], v[6:7]
	v_add3_u32 v4, v36, 0, 0x170
	scratch_store_b128 off, v[0:3], off offset:352
	s_set_inst_prefetch_distance 0x1
	.p2align	6
.LBB120_570:                            ; =>This Inner Loop Header: Depth=1
	v_add_nc_u32_e64 v5, s3, 0
	v_add_nc_u32_e32 v13, s3, v4
	s_add_i32 s3, s3, 32
	s_delay_alu instid0(SALU_CYCLE_1) | instskip(NEXT) | instid1(VALU_DEP_2)
	s_cmpk_lg_i32 s3, 0x260
	v_add_nc_u32_e32 v15, 0x170, v5
	v_add_nc_u32_e32 v39, 0x180, v5
	s_clause 0x1
	scratch_load_b128 v[5:8], v15, off
	scratch_load_b128 v[9:12], v39, off
	ds_load_2addr_b64 v[41:44], v13 offset1:1
	ds_load_2addr_b64 v[45:48], v13 offset0:2 offset1:3
	s_waitcnt lgkmcnt(1)
	v_mul_f64 v[13:14], v[43:44], v[2:3]
	v_mul_f64 v[49:50], v[41:42], v[2:3]
	s_waitcnt lgkmcnt(0)
	v_mul_f64 v[53:54], v[47:48], v[2:3]
	v_mul_f64 v[57:58], v[45:46], v[2:3]
	s_delay_alu instid0(VALU_DEP_4) | instskip(NEXT) | instid1(VALU_DEP_4)
	v_fma_f64 v[13:14], v[41:42], v[0:1], -v[13:14]
	v_fma_f64 v[41:42], v[43:44], v[0:1], v[49:50]
	s_delay_alu instid0(VALU_DEP_4) | instskip(NEXT) | instid1(VALU_DEP_4)
	v_fma_f64 v[43:44], v[45:46], v[0:1], -v[53:54]
	v_fma_f64 v[45:46], v[47:48], v[0:1], v[57:58]
	s_waitcnt vmcnt(1)
	s_delay_alu instid0(VALU_DEP_4) | instskip(NEXT) | instid1(VALU_DEP_4)
	v_add_f64 v[5:6], v[5:6], -v[13:14]
	v_add_f64 v[7:8], v[7:8], -v[41:42]
	s_waitcnt vmcnt(0)
	s_delay_alu instid0(VALU_DEP_4) | instskip(NEXT) | instid1(VALU_DEP_4)
	v_add_f64 v[9:10], v[9:10], -v[43:44]
	v_add_f64 v[11:12], v[11:12], -v[45:46]
	s_clause 0x1
	scratch_store_b128 v15, v[5:8], off
	scratch_store_b128 v39, v[9:12], off
	s_cbranch_scc1 .LBB120_570
.LBB120_571:
	s_set_inst_prefetch_distance 0x2
	s_or_b32 exec_lo, exec_lo, s2
	s_waitcnt_vscnt null, 0x0
	s_barrier
	buffer_gl0_inv
	scratch_load_b128 v[0:3], v98, off
	v_lshl_add_u32 v4, v38, 4, v20
	s_cmp_lt_i32 s5, 25
	s_waitcnt vmcnt(0)
	ds_store_2addr_b64 v4, v[0:1], v[2:3] offset1:1
	s_waitcnt lgkmcnt(0)
	s_barrier
	buffer_gl0_inv
	ds_load_2addr_b64 v[0:3], v20 offset0:46 offset1:47
	v_mov_b32_e32 v4, 23
	s_cbranch_scc1 .LBB120_574
; %bb.572:
	v_add3_u32 v5, v36, 0, 0x180
	v_mov_b32_e32 v4, 23
	s_mov_b32 s6, 24
	s_set_inst_prefetch_distance 0x1
	.p2align	6
.LBB120_573:                            ; =>This Inner Loop Header: Depth=1
	ds_load_2addr_b64 v[6:9], v5 offset1:1
	s_waitcnt lgkmcnt(1)
	v_cmp_gt_f64_e32 vcc_lo, 0, v[0:1]
	v_xor_b32_e32 v10, 0x80000000, v1
	v_cmp_gt_f64_e64 s2, 0, v[2:3]
	v_xor_b32_e32 v12, 0x80000000, v3
	v_add_nc_u32_e32 v5, 16, v5
	s_waitcnt lgkmcnt(0)
	v_cmp_gt_f64_e64 s3, 0, v[6:7]
	v_dual_mov_b32 v41, v8 :: v_dual_mov_b32 v14, v6
	v_cndmask_b32_e32 v11, v1, v10, vcc_lo
	v_xor_b32_e32 v10, 0x80000000, v7
	v_cndmask_b32_e64 v13, v3, v12, s2
	v_xor_b32_e32 v12, 0x80000000, v9
	s_delay_alu instid0(VALU_DEP_3) | instskip(SKIP_2) | instid1(VALU_DEP_2)
	v_cndmask_b32_e64 v15, v7, v10, s3
	v_cmp_gt_f64_e64 s3, 0, v[8:9]
	v_cndmask_b32_e32 v10, v0, v0, vcc_lo
	v_cndmask_b32_e64 v42, v9, v12, s3
	v_cndmask_b32_e64 v12, v2, v2, s2
	s_delay_alu instid0(VALU_DEP_2) | instskip(NEXT) | instid1(VALU_DEP_2)
	v_add_f64 v[14:15], v[14:15], v[41:42]
	v_add_f64 v[10:11], v[10:11], v[12:13]
	s_delay_alu instid0(VALU_DEP_1) | instskip(SKIP_4) | instid1(SALU_CYCLE_1)
	v_cmp_lt_f64_e32 vcc_lo, v[10:11], v[14:15]
	v_dual_cndmask_b32 v1, v1, v7 :: v_dual_cndmask_b32 v0, v0, v6
	v_dual_cndmask_b32 v3, v3, v9 :: v_dual_cndmask_b32 v2, v2, v8
	v_cndmask_b32_e64 v4, v4, s6, vcc_lo
	s_add_i32 s6, s6, 1
	s_cmp_lg_u32 s5, s6
	s_cbranch_scc1 .LBB120_573
.LBB120_574:
	s_set_inst_prefetch_distance 0x2
	s_waitcnt lgkmcnt(0)
	v_cmp_eq_f64_e32 vcc_lo, 0, v[0:1]
	v_cmp_eq_f64_e64 s2, 0, v[2:3]
	s_delay_alu instid0(VALU_DEP_1) | instskip(NEXT) | instid1(SALU_CYCLE_1)
	s_and_b32 s2, vcc_lo, s2
	s_and_saveexec_b32 s3, s2
	s_delay_alu instid0(SALU_CYCLE_1)
	s_xor_b32 s2, exec_lo, s3
; %bb.575:
	v_cmp_ne_u32_e32 vcc_lo, 0, v35
	v_cndmask_b32_e32 v35, 24, v35, vcc_lo
; %bb.576:
	s_and_not1_saveexec_b32 s3, s2
	s_cbranch_execz .LBB120_582
; %bb.577:
	v_cmp_gt_f64_e32 vcc_lo, 0, v[0:1]
	v_cmp_gt_f64_e64 s2, 0, v[2:3]
	v_xor_b32_e32 v5, 0x80000000, v1
	v_xor_b32_e32 v7, 0x80000000, v3
	s_delay_alu instid0(VALU_DEP_2) | instskip(NEXT) | instid1(VALU_DEP_2)
	v_dual_cndmask_b32 v6, v1, v5 :: v_dual_cndmask_b32 v5, v0, v0
	v_cndmask_b32_e64 v8, v3, v7, s2
	v_cndmask_b32_e64 v7, v2, v2, s2
	s_mov_b32 s2, exec_lo
	s_delay_alu instid0(VALU_DEP_1)
	v_cmpx_ngt_f64_e32 v[5:6], v[7:8]
	s_xor_b32 s2, exec_lo, s2
	s_cbranch_execz .LBB120_579
; %bb.578:
	v_div_scale_f64 v[5:6], null, v[2:3], v[2:3], v[0:1]
	v_div_scale_f64 v[11:12], vcc_lo, v[0:1], v[2:3], v[0:1]
	s_delay_alu instid0(VALU_DEP_2) | instskip(SKIP_2) | instid1(VALU_DEP_1)
	v_rcp_f64_e32 v[7:8], v[5:6]
	s_waitcnt_depctr 0xfff
	v_fma_f64 v[9:10], -v[5:6], v[7:8], 1.0
	v_fma_f64 v[7:8], v[7:8], v[9:10], v[7:8]
	s_delay_alu instid0(VALU_DEP_1) | instskip(NEXT) | instid1(VALU_DEP_1)
	v_fma_f64 v[9:10], -v[5:6], v[7:8], 1.0
	v_fma_f64 v[7:8], v[7:8], v[9:10], v[7:8]
	s_delay_alu instid0(VALU_DEP_1) | instskip(NEXT) | instid1(VALU_DEP_1)
	v_mul_f64 v[9:10], v[11:12], v[7:8]
	v_fma_f64 v[5:6], -v[5:6], v[9:10], v[11:12]
	s_delay_alu instid0(VALU_DEP_1) | instskip(NEXT) | instid1(VALU_DEP_1)
	v_div_fmas_f64 v[5:6], v[5:6], v[7:8], v[9:10]
	v_div_fixup_f64 v[5:6], v[5:6], v[2:3], v[0:1]
	s_delay_alu instid0(VALU_DEP_1) | instskip(NEXT) | instid1(VALU_DEP_1)
	v_fma_f64 v[0:1], v[0:1], v[5:6], v[2:3]
	v_div_scale_f64 v[2:3], null, v[0:1], v[0:1], 1.0
	s_delay_alu instid0(VALU_DEP_1) | instskip(SKIP_2) | instid1(VALU_DEP_1)
	v_rcp_f64_e32 v[7:8], v[2:3]
	s_waitcnt_depctr 0xfff
	v_fma_f64 v[9:10], -v[2:3], v[7:8], 1.0
	v_fma_f64 v[7:8], v[7:8], v[9:10], v[7:8]
	s_delay_alu instid0(VALU_DEP_1) | instskip(NEXT) | instid1(VALU_DEP_1)
	v_fma_f64 v[9:10], -v[2:3], v[7:8], 1.0
	v_fma_f64 v[7:8], v[7:8], v[9:10], v[7:8]
	v_div_scale_f64 v[9:10], vcc_lo, 1.0, v[0:1], 1.0
	s_delay_alu instid0(VALU_DEP_1) | instskip(NEXT) | instid1(VALU_DEP_1)
	v_mul_f64 v[11:12], v[9:10], v[7:8]
	v_fma_f64 v[2:3], -v[2:3], v[11:12], v[9:10]
	s_delay_alu instid0(VALU_DEP_1) | instskip(NEXT) | instid1(VALU_DEP_1)
	v_div_fmas_f64 v[2:3], v[2:3], v[7:8], v[11:12]
	v_div_fixup_f64 v[2:3], v[2:3], v[0:1], 1.0
	s_delay_alu instid0(VALU_DEP_1)
	v_mul_f64 v[0:1], v[5:6], v[2:3]
	v_xor_b32_e32 v3, 0x80000000, v3
.LBB120_579:
	s_and_not1_saveexec_b32 s2, s2
	s_cbranch_execz .LBB120_581
; %bb.580:
	s_delay_alu instid0(VALU_DEP_1) | instskip(SKIP_1) | instid1(VALU_DEP_2)
	v_div_scale_f64 v[5:6], null, v[0:1], v[0:1], v[2:3]
	v_div_scale_f64 v[11:12], vcc_lo, v[2:3], v[0:1], v[2:3]
	v_rcp_f64_e32 v[7:8], v[5:6]
	s_waitcnt_depctr 0xfff
	v_fma_f64 v[9:10], -v[5:6], v[7:8], 1.0
	s_delay_alu instid0(VALU_DEP_1) | instskip(NEXT) | instid1(VALU_DEP_1)
	v_fma_f64 v[7:8], v[7:8], v[9:10], v[7:8]
	v_fma_f64 v[9:10], -v[5:6], v[7:8], 1.0
	s_delay_alu instid0(VALU_DEP_1) | instskip(NEXT) | instid1(VALU_DEP_1)
	v_fma_f64 v[7:8], v[7:8], v[9:10], v[7:8]
	v_mul_f64 v[9:10], v[11:12], v[7:8]
	s_delay_alu instid0(VALU_DEP_1) | instskip(NEXT) | instid1(VALU_DEP_1)
	v_fma_f64 v[5:6], -v[5:6], v[9:10], v[11:12]
	v_div_fmas_f64 v[5:6], v[5:6], v[7:8], v[9:10]
	s_delay_alu instid0(VALU_DEP_1) | instskip(NEXT) | instid1(VALU_DEP_1)
	v_div_fixup_f64 v[5:6], v[5:6], v[0:1], v[2:3]
	v_fma_f64 v[0:1], v[2:3], v[5:6], v[0:1]
	s_delay_alu instid0(VALU_DEP_1) | instskip(NEXT) | instid1(VALU_DEP_1)
	v_div_scale_f64 v[2:3], null, v[0:1], v[0:1], 1.0
	v_rcp_f64_e32 v[7:8], v[2:3]
	s_waitcnt_depctr 0xfff
	v_fma_f64 v[9:10], -v[2:3], v[7:8], 1.0
	s_delay_alu instid0(VALU_DEP_1) | instskip(NEXT) | instid1(VALU_DEP_1)
	v_fma_f64 v[7:8], v[7:8], v[9:10], v[7:8]
	v_fma_f64 v[9:10], -v[2:3], v[7:8], 1.0
	s_delay_alu instid0(VALU_DEP_1) | instskip(SKIP_1) | instid1(VALU_DEP_1)
	v_fma_f64 v[7:8], v[7:8], v[9:10], v[7:8]
	v_div_scale_f64 v[9:10], vcc_lo, 1.0, v[0:1], 1.0
	v_mul_f64 v[11:12], v[9:10], v[7:8]
	s_delay_alu instid0(VALU_DEP_1) | instskip(NEXT) | instid1(VALU_DEP_1)
	v_fma_f64 v[2:3], -v[2:3], v[11:12], v[9:10]
	v_div_fmas_f64 v[2:3], v[2:3], v[7:8], v[11:12]
	s_delay_alu instid0(VALU_DEP_1) | instskip(NEXT) | instid1(VALU_DEP_1)
	v_div_fixup_f64 v[0:1], v[2:3], v[0:1], 1.0
	v_mul_f64 v[2:3], v[5:6], -v[0:1]
.LBB120_581:
	s_or_b32 exec_lo, exec_lo, s2
.LBB120_582:
	s_delay_alu instid0(SALU_CYCLE_1) | instskip(NEXT) | instid1(SALU_CYCLE_1)
	s_or_b32 exec_lo, exec_lo, s3
	s_mov_b32 s2, exec_lo
	v_cmpx_ne_u32_e64 v38, v4
	s_xor_b32 s2, exec_lo, s2
	s_cbranch_execz .LBB120_588
; %bb.583:
	s_mov_b32 s3, exec_lo
	v_cmpx_eq_u32_e32 23, v38
	s_cbranch_execz .LBB120_587
; %bb.584:
	v_cmp_ne_u32_e32 vcc_lo, 23, v4
	s_xor_b32 s6, s4, -1
	s_delay_alu instid0(SALU_CYCLE_1) | instskip(NEXT) | instid1(SALU_CYCLE_1)
	s_and_b32 s7, s6, vcc_lo
	s_and_saveexec_b32 s6, s7
	s_cbranch_execz .LBB120_586
; %bb.585:
	v_ashrrev_i32_e32 v5, 31, v4
	s_delay_alu instid0(VALU_DEP_1) | instskip(NEXT) | instid1(VALU_DEP_1)
	v_lshlrev_b64 v[5:6], 2, v[4:5]
	v_add_co_u32 v5, vcc_lo, v18, v5
	s_delay_alu instid0(VALU_DEP_2)
	v_add_co_ci_u32_e32 v6, vcc_lo, v19, v6, vcc_lo
	s_clause 0x1
	flat_load_b32 v7, v[5:6]
	flat_load_b32 v8, v[18:19] offset:92
	s_waitcnt vmcnt(1) lgkmcnt(1)
	flat_store_b32 v[18:19], v7 offset:92
	s_waitcnt vmcnt(0) lgkmcnt(1)
	flat_store_b32 v[5:6], v8
.LBB120_586:
	s_or_b32 exec_lo, exec_lo, s6
	v_mov_b32_e32 v38, v4
	v_mov_b32_e32 v37, v4
.LBB120_587:
	s_or_b32 exec_lo, exec_lo, s3
.LBB120_588:
	s_and_not1_saveexec_b32 s2, s2
	s_cbranch_execz .LBB120_594
; %bb.589:
	v_add3_u32 v4, v36, 0, 0x180
	v_mov_b32_e32 v5, 0
	s_mov_b32 s3, 0
	s_branch .LBB120_591
.LBB120_590:                            ;   in Loop: Header=BB120_591 Depth=1
	s_and_not1_b32 vcc_lo, exec_lo, s7
	s_cbranch_vccz .LBB120_593
.LBB120_591:                            ; =>This Inner Loop Header: Depth=1
	s_delay_alu instid0(VALU_DEP_1) | instskip(SKIP_1) | instid1(VALU_DEP_2)
	v_readfirstlane_b32 s6, v5
	v_add_nc_u32_e32 v6, s3, v4
	s_add_i32 s6, s6, s3
	s_delay_alu instid0(SALU_CYCLE_1)
	s_add_i32 s7, s6, 0x180
	s_add_i32 s9, s6, 0x190
	s_add_i32 s12, s6, 0x1a0
	s_add_i32 s14, s6, 0x1b0
	s_add_i32 s15, s6, 0x1c0
	s_clause 0x4
	scratch_load_b128 v[7:10], off, s7
	scratch_load_b128 v[11:14], off, s9
	;; [unrolled: 1-line block ×5, first 2 shown]
	s_mov_b32 s7, -1
	s_cmpk_eq_i32 s3, 0x200
	s_waitcnt vmcnt(4)
	ds_store_2addr_b64 v6, v[7:8], v[9:10] offset1:1
	s_waitcnt vmcnt(3)
	ds_store_2addr_b64 v6, v[11:12], v[13:14] offset0:2 offset1:3
	s_waitcnt vmcnt(2)
	ds_store_2addr_b64 v6, v[41:42], v[43:44] offset0:4 offset1:5
	;; [unrolled: 2-line block ×4, first 2 shown]
	s_cbranch_scc1 .LBB120_590
; %bb.592:                              ;   in Loop: Header=BB120_591 Depth=1
	s_add_i32 s7, s6, 0x1d0
	s_add_i32 s9, s6, 0x1e0
	s_addk_i32 s6, 0x1f0
	s_clause 0x2
	scratch_load_b128 v[7:10], off, s7
	scratch_load_b128 v[11:14], off, s9
	;; [unrolled: 1-line block ×3, first 2 shown]
	s_addk_i32 s3, 0x80
	s_mov_b32 s7, 0
	s_waitcnt vmcnt(2)
	ds_store_2addr_b64 v6, v[7:8], v[9:10] offset0:10 offset1:11
	s_waitcnt vmcnt(1)
	ds_store_2addr_b64 v6, v[11:12], v[13:14] offset0:12 offset1:13
	;; [unrolled: 2-line block ×3, first 2 shown]
	s_branch .LBB120_590
.LBB120_593:
	v_mov_b32_e32 v38, 23
.LBB120_594:
	s_or_b32 exec_lo, exec_lo, s2
	s_delay_alu instid0(SALU_CYCLE_1)
	s_mov_b32 s2, exec_lo
	s_waitcnt lgkmcnt(0)
	s_waitcnt_vscnt null, 0x0
	s_barrier
	buffer_gl0_inv
	v_cmpx_lt_i32_e32 23, v38
	s_cbranch_execz .LBB120_599
; %bb.595:
	scratch_load_b128 v[4:7], off, off offset:368
	s_mov_b32 s3, 0
	s_waitcnt vmcnt(0)
	v_mul_f64 v[8:9], v[2:3], v[6:7]
	v_mul_f64 v[6:7], v[0:1], v[6:7]
	s_delay_alu instid0(VALU_DEP_2) | instskip(NEXT) | instid1(VALU_DEP_2)
	v_fma_f64 v[0:1], v[0:1], v[4:5], -v[8:9]
	v_fma_f64 v[2:3], v[2:3], v[4:5], v[6:7]
	v_add3_u32 v4, v36, 0, 0x180
	v_mov_b32_e32 v5, 0
	scratch_store_b128 off, v[0:3], off offset:368
	s_branch .LBB120_597
.LBB120_596:                            ;   in Loop: Header=BB120_597 Depth=1
	s_and_not1_b32 vcc_lo, exec_lo, s7
	s_cbranch_vccz .LBB120_599
.LBB120_597:                            ; =>This Inner Loop Header: Depth=1
	v_readfirstlane_b32 s6, v5
	v_add_nc_u32_e32 v6, s3, v4
	s_mov_b32 s7, -1
	s_delay_alu instid0(VALU_DEP_2)
	s_add_i32 s6, s6, s3
	ds_load_2addr_b64 v[11:14], v6 offset1:1
	s_add_i32 s9, s6, 0x180
	s_cmpk_eq_i32 s3, 0x240
	scratch_load_b128 v[7:10], off, s9
	s_waitcnt lgkmcnt(0)
	v_mul_f64 v[41:42], v[13:14], v[2:3]
	v_mul_f64 v[43:44], v[11:12], v[2:3]
	s_delay_alu instid0(VALU_DEP_2) | instskip(NEXT) | instid1(VALU_DEP_2)
	v_fma_f64 v[11:12], v[11:12], v[0:1], -v[41:42]
	v_fma_f64 v[13:14], v[13:14], v[0:1], v[43:44]
	s_waitcnt vmcnt(0)
	s_delay_alu instid0(VALU_DEP_2) | instskip(NEXT) | instid1(VALU_DEP_2)
	v_add_f64 v[7:8], v[7:8], -v[11:12]
	v_add_f64 v[9:10], v[9:10], -v[13:14]
	scratch_store_b128 off, v[7:10], s9
	s_cbranch_scc1 .LBB120_596
; %bb.598:                              ;   in Loop: Header=BB120_597 Depth=1
	s_add_i32 s9, s6, 0x190
	s_add_i32 s12, s6, 0x1a0
	scratch_load_b128 v[7:10], off, s9
	s_addk_i32 s6, 0x1b0
	s_clause 0x1
	scratch_load_b128 v[11:14], off, s12
	scratch_load_b128 v[41:44], off, s6
	ds_load_2addr_b64 v[45:48], v6 offset0:2 offset1:3
	ds_load_2addr_b64 v[57:60], v6 offset0:4 offset1:5
	;; [unrolled: 1-line block ×3, first 2 shown]
	s_add_i32 s3, s3, 64
	s_mov_b32 s7, 0
	s_waitcnt lgkmcnt(2)
	v_mul_f64 v[49:50], v[47:48], v[2:3]
	v_mul_f64 v[53:54], v[45:46], v[2:3]
	s_waitcnt lgkmcnt(1)
	v_mul_f64 v[65:66], v[59:60], v[2:3]
	v_mul_f64 v[69:70], v[57:58], v[2:3]
	;; [unrolled: 3-line block ×3, first 2 shown]
	v_fma_f64 v[45:46], v[45:46], v[0:1], -v[49:50]
	v_fma_f64 v[47:48], v[47:48], v[0:1], v[53:54]
	v_fma_f64 v[49:50], v[57:58], v[0:1], -v[65:66]
	v_fma_f64 v[53:54], v[59:60], v[0:1], v[69:70]
	;; [unrolled: 2-line block ×3, first 2 shown]
	s_waitcnt vmcnt(2)
	v_add_f64 v[6:7], v[7:8], -v[45:46]
	v_add_f64 v[8:9], v[9:10], -v[47:48]
	s_waitcnt vmcnt(1)
	v_add_f64 v[10:11], v[11:12], -v[49:50]
	v_add_f64 v[12:13], v[13:14], -v[53:54]
	;; [unrolled: 3-line block ×3, first 2 shown]
	s_clause 0x2
	scratch_store_b128 off, v[6:9], s9
	scratch_store_b128 off, v[10:13], s12
	;; [unrolled: 1-line block ×3, first 2 shown]
	s_branch .LBB120_596
.LBB120_599:
	s_or_b32 exec_lo, exec_lo, s2
	s_waitcnt_vscnt null, 0x0
	s_barrier
	buffer_gl0_inv
	scratch_load_b128 v[0:3], v97, off
	v_lshl_add_u32 v4, v38, 4, v20
	s_cmp_lt_i32 s5, 26
	s_waitcnt vmcnt(0)
	ds_store_2addr_b64 v4, v[0:1], v[2:3] offset1:1
	s_waitcnt lgkmcnt(0)
	s_barrier
	buffer_gl0_inv
	ds_load_2addr_b64 v[0:3], v20 offset0:48 offset1:49
	v_mov_b32_e32 v4, 24
	s_cbranch_scc1 .LBB120_602
; %bb.600:
	v_add3_u32 v5, v36, 0, 0x190
	v_mov_b32_e32 v4, 24
	s_mov_b32 s6, 25
	s_set_inst_prefetch_distance 0x1
	.p2align	6
.LBB120_601:                            ; =>This Inner Loop Header: Depth=1
	ds_load_2addr_b64 v[6:9], v5 offset1:1
	s_waitcnt lgkmcnt(1)
	v_cmp_gt_f64_e32 vcc_lo, 0, v[0:1]
	v_xor_b32_e32 v10, 0x80000000, v1
	v_cmp_gt_f64_e64 s2, 0, v[2:3]
	v_xor_b32_e32 v12, 0x80000000, v3
	v_add_nc_u32_e32 v5, 16, v5
	s_waitcnt lgkmcnt(0)
	v_cmp_gt_f64_e64 s3, 0, v[6:7]
	v_dual_mov_b32 v41, v8 :: v_dual_mov_b32 v14, v6
	v_cndmask_b32_e32 v11, v1, v10, vcc_lo
	v_xor_b32_e32 v10, 0x80000000, v7
	v_cndmask_b32_e64 v13, v3, v12, s2
	v_xor_b32_e32 v12, 0x80000000, v9
	s_delay_alu instid0(VALU_DEP_3) | instskip(SKIP_2) | instid1(VALU_DEP_2)
	v_cndmask_b32_e64 v15, v7, v10, s3
	v_cmp_gt_f64_e64 s3, 0, v[8:9]
	v_cndmask_b32_e32 v10, v0, v0, vcc_lo
	v_cndmask_b32_e64 v42, v9, v12, s3
	v_cndmask_b32_e64 v12, v2, v2, s2
	s_delay_alu instid0(VALU_DEP_2) | instskip(NEXT) | instid1(VALU_DEP_2)
	v_add_f64 v[14:15], v[14:15], v[41:42]
	v_add_f64 v[10:11], v[10:11], v[12:13]
	s_delay_alu instid0(VALU_DEP_1) | instskip(SKIP_4) | instid1(SALU_CYCLE_1)
	v_cmp_lt_f64_e32 vcc_lo, v[10:11], v[14:15]
	v_dual_cndmask_b32 v1, v1, v7 :: v_dual_cndmask_b32 v0, v0, v6
	v_dual_cndmask_b32 v3, v3, v9 :: v_dual_cndmask_b32 v2, v2, v8
	v_cndmask_b32_e64 v4, v4, s6, vcc_lo
	s_add_i32 s6, s6, 1
	s_cmp_lg_u32 s5, s6
	s_cbranch_scc1 .LBB120_601
.LBB120_602:
	s_set_inst_prefetch_distance 0x2
	s_waitcnt lgkmcnt(0)
	v_cmp_eq_f64_e32 vcc_lo, 0, v[0:1]
	v_cmp_eq_f64_e64 s2, 0, v[2:3]
	s_delay_alu instid0(VALU_DEP_1) | instskip(NEXT) | instid1(SALU_CYCLE_1)
	s_and_b32 s2, vcc_lo, s2
	s_and_saveexec_b32 s3, s2
	s_delay_alu instid0(SALU_CYCLE_1)
	s_xor_b32 s2, exec_lo, s3
; %bb.603:
	v_cmp_ne_u32_e32 vcc_lo, 0, v35
	v_cndmask_b32_e32 v35, 25, v35, vcc_lo
; %bb.604:
	s_and_not1_saveexec_b32 s3, s2
	s_cbranch_execz .LBB120_610
; %bb.605:
	v_cmp_gt_f64_e32 vcc_lo, 0, v[0:1]
	v_cmp_gt_f64_e64 s2, 0, v[2:3]
	v_xor_b32_e32 v5, 0x80000000, v1
	v_xor_b32_e32 v7, 0x80000000, v3
	s_delay_alu instid0(VALU_DEP_2) | instskip(NEXT) | instid1(VALU_DEP_2)
	v_dual_cndmask_b32 v6, v1, v5 :: v_dual_cndmask_b32 v5, v0, v0
	v_cndmask_b32_e64 v8, v3, v7, s2
	v_cndmask_b32_e64 v7, v2, v2, s2
	s_mov_b32 s2, exec_lo
	s_delay_alu instid0(VALU_DEP_1)
	v_cmpx_ngt_f64_e32 v[5:6], v[7:8]
	s_xor_b32 s2, exec_lo, s2
	s_cbranch_execz .LBB120_607
; %bb.606:
	v_div_scale_f64 v[5:6], null, v[2:3], v[2:3], v[0:1]
	v_div_scale_f64 v[11:12], vcc_lo, v[0:1], v[2:3], v[0:1]
	s_delay_alu instid0(VALU_DEP_2) | instskip(SKIP_2) | instid1(VALU_DEP_1)
	v_rcp_f64_e32 v[7:8], v[5:6]
	s_waitcnt_depctr 0xfff
	v_fma_f64 v[9:10], -v[5:6], v[7:8], 1.0
	v_fma_f64 v[7:8], v[7:8], v[9:10], v[7:8]
	s_delay_alu instid0(VALU_DEP_1) | instskip(NEXT) | instid1(VALU_DEP_1)
	v_fma_f64 v[9:10], -v[5:6], v[7:8], 1.0
	v_fma_f64 v[7:8], v[7:8], v[9:10], v[7:8]
	s_delay_alu instid0(VALU_DEP_1) | instskip(NEXT) | instid1(VALU_DEP_1)
	v_mul_f64 v[9:10], v[11:12], v[7:8]
	v_fma_f64 v[5:6], -v[5:6], v[9:10], v[11:12]
	s_delay_alu instid0(VALU_DEP_1) | instskip(NEXT) | instid1(VALU_DEP_1)
	v_div_fmas_f64 v[5:6], v[5:6], v[7:8], v[9:10]
	v_div_fixup_f64 v[5:6], v[5:6], v[2:3], v[0:1]
	s_delay_alu instid0(VALU_DEP_1) | instskip(NEXT) | instid1(VALU_DEP_1)
	v_fma_f64 v[0:1], v[0:1], v[5:6], v[2:3]
	v_div_scale_f64 v[2:3], null, v[0:1], v[0:1], 1.0
	s_delay_alu instid0(VALU_DEP_1) | instskip(SKIP_2) | instid1(VALU_DEP_1)
	v_rcp_f64_e32 v[7:8], v[2:3]
	s_waitcnt_depctr 0xfff
	v_fma_f64 v[9:10], -v[2:3], v[7:8], 1.0
	v_fma_f64 v[7:8], v[7:8], v[9:10], v[7:8]
	s_delay_alu instid0(VALU_DEP_1) | instskip(NEXT) | instid1(VALU_DEP_1)
	v_fma_f64 v[9:10], -v[2:3], v[7:8], 1.0
	v_fma_f64 v[7:8], v[7:8], v[9:10], v[7:8]
	v_div_scale_f64 v[9:10], vcc_lo, 1.0, v[0:1], 1.0
	s_delay_alu instid0(VALU_DEP_1) | instskip(NEXT) | instid1(VALU_DEP_1)
	v_mul_f64 v[11:12], v[9:10], v[7:8]
	v_fma_f64 v[2:3], -v[2:3], v[11:12], v[9:10]
	s_delay_alu instid0(VALU_DEP_1) | instskip(NEXT) | instid1(VALU_DEP_1)
	v_div_fmas_f64 v[2:3], v[2:3], v[7:8], v[11:12]
	v_div_fixup_f64 v[2:3], v[2:3], v[0:1], 1.0
	s_delay_alu instid0(VALU_DEP_1)
	v_mul_f64 v[0:1], v[5:6], v[2:3]
	v_xor_b32_e32 v3, 0x80000000, v3
.LBB120_607:
	s_and_not1_saveexec_b32 s2, s2
	s_cbranch_execz .LBB120_609
; %bb.608:
	s_delay_alu instid0(VALU_DEP_1) | instskip(SKIP_1) | instid1(VALU_DEP_2)
	v_div_scale_f64 v[5:6], null, v[0:1], v[0:1], v[2:3]
	v_div_scale_f64 v[11:12], vcc_lo, v[2:3], v[0:1], v[2:3]
	v_rcp_f64_e32 v[7:8], v[5:6]
	s_waitcnt_depctr 0xfff
	v_fma_f64 v[9:10], -v[5:6], v[7:8], 1.0
	s_delay_alu instid0(VALU_DEP_1) | instskip(NEXT) | instid1(VALU_DEP_1)
	v_fma_f64 v[7:8], v[7:8], v[9:10], v[7:8]
	v_fma_f64 v[9:10], -v[5:6], v[7:8], 1.0
	s_delay_alu instid0(VALU_DEP_1) | instskip(NEXT) | instid1(VALU_DEP_1)
	v_fma_f64 v[7:8], v[7:8], v[9:10], v[7:8]
	v_mul_f64 v[9:10], v[11:12], v[7:8]
	s_delay_alu instid0(VALU_DEP_1) | instskip(NEXT) | instid1(VALU_DEP_1)
	v_fma_f64 v[5:6], -v[5:6], v[9:10], v[11:12]
	v_div_fmas_f64 v[5:6], v[5:6], v[7:8], v[9:10]
	s_delay_alu instid0(VALU_DEP_1) | instskip(NEXT) | instid1(VALU_DEP_1)
	v_div_fixup_f64 v[5:6], v[5:6], v[0:1], v[2:3]
	v_fma_f64 v[0:1], v[2:3], v[5:6], v[0:1]
	s_delay_alu instid0(VALU_DEP_1) | instskip(NEXT) | instid1(VALU_DEP_1)
	v_div_scale_f64 v[2:3], null, v[0:1], v[0:1], 1.0
	v_rcp_f64_e32 v[7:8], v[2:3]
	s_waitcnt_depctr 0xfff
	v_fma_f64 v[9:10], -v[2:3], v[7:8], 1.0
	s_delay_alu instid0(VALU_DEP_1) | instskip(NEXT) | instid1(VALU_DEP_1)
	v_fma_f64 v[7:8], v[7:8], v[9:10], v[7:8]
	v_fma_f64 v[9:10], -v[2:3], v[7:8], 1.0
	s_delay_alu instid0(VALU_DEP_1) | instskip(SKIP_1) | instid1(VALU_DEP_1)
	v_fma_f64 v[7:8], v[7:8], v[9:10], v[7:8]
	v_div_scale_f64 v[9:10], vcc_lo, 1.0, v[0:1], 1.0
	v_mul_f64 v[11:12], v[9:10], v[7:8]
	s_delay_alu instid0(VALU_DEP_1) | instskip(NEXT) | instid1(VALU_DEP_1)
	v_fma_f64 v[2:3], -v[2:3], v[11:12], v[9:10]
	v_div_fmas_f64 v[2:3], v[2:3], v[7:8], v[11:12]
	s_delay_alu instid0(VALU_DEP_1) | instskip(NEXT) | instid1(VALU_DEP_1)
	v_div_fixup_f64 v[0:1], v[2:3], v[0:1], 1.0
	v_mul_f64 v[2:3], v[5:6], -v[0:1]
.LBB120_609:
	s_or_b32 exec_lo, exec_lo, s2
.LBB120_610:
	s_delay_alu instid0(SALU_CYCLE_1) | instskip(NEXT) | instid1(SALU_CYCLE_1)
	s_or_b32 exec_lo, exec_lo, s3
	s_mov_b32 s2, exec_lo
	v_cmpx_ne_u32_e64 v38, v4
	s_xor_b32 s2, exec_lo, s2
	s_cbranch_execz .LBB120_616
; %bb.611:
	s_mov_b32 s3, exec_lo
	v_cmpx_eq_u32_e32 24, v38
	s_cbranch_execz .LBB120_615
; %bb.612:
	v_cmp_ne_u32_e32 vcc_lo, 24, v4
	s_xor_b32 s6, s4, -1
	s_delay_alu instid0(SALU_CYCLE_1) | instskip(NEXT) | instid1(SALU_CYCLE_1)
	s_and_b32 s7, s6, vcc_lo
	s_and_saveexec_b32 s6, s7
	s_cbranch_execz .LBB120_614
; %bb.613:
	v_ashrrev_i32_e32 v5, 31, v4
	s_delay_alu instid0(VALU_DEP_1) | instskip(NEXT) | instid1(VALU_DEP_1)
	v_lshlrev_b64 v[5:6], 2, v[4:5]
	v_add_co_u32 v5, vcc_lo, v18, v5
	s_delay_alu instid0(VALU_DEP_2)
	v_add_co_ci_u32_e32 v6, vcc_lo, v19, v6, vcc_lo
	s_clause 0x1
	flat_load_b32 v7, v[5:6]
	flat_load_b32 v8, v[18:19] offset:96
	s_waitcnt vmcnt(1) lgkmcnt(1)
	flat_store_b32 v[18:19], v7 offset:96
	s_waitcnt vmcnt(0) lgkmcnt(1)
	flat_store_b32 v[5:6], v8
.LBB120_614:
	s_or_b32 exec_lo, exec_lo, s6
	v_mov_b32_e32 v38, v4
	v_mov_b32_e32 v37, v4
.LBB120_615:
	s_or_b32 exec_lo, exec_lo, s3
.LBB120_616:
	s_and_not1_saveexec_b32 s2, s2
	s_cbranch_execz .LBB120_618
; %bb.617:
	s_clause 0x1f
	scratch_load_b128 v[4:7], v100, off
	scratch_load_b128 v[8:11], v104, off
	;; [unrolled: 1-line block ×32, first 2 shown]
	s_clause 0x3
	scratch_load_b128 v[93:96], v136, off
	scratch_load_b128 v[89:92], v139, off
	;; [unrolled: 1-line block ×4, first 2 shown]
	v_mov_b32_e32 v38, 24
	s_waitcnt vmcnt(35)
	ds_store_2addr_b64 v20, v[4:5], v[6:7] offset0:50 offset1:51
	s_waitcnt vmcnt(34)
	ds_store_2addr_b64 v20, v[8:9], v[10:11] offset0:52 offset1:53
	;; [unrolled: 2-line block ×36, first 2 shown]
.LBB120_618:
	s_or_b32 exec_lo, exec_lo, s2
	s_delay_alu instid0(SALU_CYCLE_1)
	s_mov_b32 s2, exec_lo
	s_waitcnt lgkmcnt(0)
	s_waitcnt_vscnt null, 0x0
	s_barrier
	buffer_gl0_inv
	v_cmpx_lt_i32_e32 24, v38
	s_cbranch_execz .LBB120_621
; %bb.619:
	scratch_load_b128 v[4:7], off, off offset:384
	s_mov_b32 s3, 0
	s_waitcnt vmcnt(0)
	v_mul_f64 v[8:9], v[2:3], v[6:7]
	v_mul_f64 v[6:7], v[0:1], v[6:7]
	s_delay_alu instid0(VALU_DEP_2) | instskip(NEXT) | instid1(VALU_DEP_2)
	v_fma_f64 v[0:1], v[0:1], v[4:5], -v[8:9]
	v_fma_f64 v[2:3], v[2:3], v[4:5], v[6:7]
	v_add3_u32 v4, v36, 0, 0x190
	v_mov_b32_e32 v5, 0
	scratch_store_b128 off, v[0:3], off offset:384
.LBB120_620:                            ; =>This Inner Loop Header: Depth=1
	v_readfirstlane_b32 s6, v5
	v_add_nc_u32_e32 v14, s3, v4
	s_delay_alu instid0(VALU_DEP_2)
	s_add_i32 s7, s6, s3
	s_addk_i32 s3, 0x60
	s_add_i32 s6, s7, 0x190
	s_add_i32 s9, s7, 0x1a0
	;; [unrolled: 1-line block ×5, first 2 shown]
	s_addk_i32 s7, 0x1e0
	s_clause 0x5
	scratch_load_b128 v[6:9], off, s6
	scratch_load_b128 v[10:13], off, s9
	;; [unrolled: 1-line block ×6, first 2 shown]
	ds_load_2addr_b64 v[73:76], v14 offset1:1
	ds_load_2addr_b64 v[81:84], v14 offset0:2 offset1:3
	ds_load_2addr_b64 v[85:88], v14 offset0:4 offset1:5
	;; [unrolled: 1-line block ×5, first 2 shown]
	s_cmpk_lg_i32 s3, 0x240
	s_waitcnt lgkmcnt(5)
	v_mul_f64 v[14:15], v[75:76], v[2:3]
	v_mul_f64 v[49:50], v[73:74], v[2:3]
	s_waitcnt lgkmcnt(4)
	v_mul_f64 v[53:54], v[83:84], v[2:3]
	v_mul_f64 v[65:66], v[81:82], v[2:3]
	;; [unrolled: 3-line block ×6, first 2 shown]
	v_fma_f64 v[14:15], v[73:74], v[0:1], -v[14:15]
	v_fma_f64 v[49:50], v[75:76], v[0:1], v[49:50]
	v_fma_f64 v[53:54], v[81:82], v[0:1], -v[53:54]
	v_fma_f64 v[65:66], v[83:84], v[0:1], v[65:66]
	v_fma_f64 v[69:70], v[85:86], v[0:1], -v[69:70]
	v_fma_f64 v[73:74], v[87:88], v[0:1], v[77:78]
	v_fma_f64 v[75:76], v[89:90], v[0:1], -v[102:103]
	v_fma_f64 v[77:78], v[91:92], v[0:1], v[105:106]
	v_fma_f64 v[81:82], v[93:94], v[0:1], -v[109:110]
	v_fma_f64 v[83:84], v[95:96], v[0:1], v[113:114]
	v_fma_f64 v[85:86], v[129:130], v[0:1], -v[117:118]
	v_fma_f64 v[87:88], v[131:132], v[0:1], v[121:122]
	s_waitcnt vmcnt(5)
	v_add_f64 v[6:7], v[6:7], -v[14:15]
	v_add_f64 v[8:9], v[8:9], -v[49:50]
	s_waitcnt vmcnt(4)
	v_add_f64 v[10:11], v[10:11], -v[53:54]
	v_add_f64 v[12:13], v[12:13], -v[65:66]
	;; [unrolled: 3-line block ×6, first 2 shown]
	s_clause 0x5
	scratch_store_b128 off, v[6:9], s6
	scratch_store_b128 off, v[10:13], s9
	;; [unrolled: 1-line block ×6, first 2 shown]
	s_cbranch_scc1 .LBB120_620
.LBB120_621:
	s_or_b32 exec_lo, exec_lo, s2
	s_waitcnt_vscnt null, 0x0
	s_barrier
	buffer_gl0_inv
	scratch_load_b128 v[0:3], v100, off
	v_lshl_add_u32 v4, v38, 4, v20
	s_cmp_lt_i32 s5, 27
	s_waitcnt vmcnt(0)
	ds_store_2addr_b64 v4, v[0:1], v[2:3] offset1:1
	s_waitcnt lgkmcnt(0)
	s_barrier
	buffer_gl0_inv
	ds_load_2addr_b64 v[0:3], v20 offset0:50 offset1:51
	v_mov_b32_e32 v4, 25
	s_cbranch_scc1 .LBB120_624
; %bb.622:
	v_add3_u32 v5, v36, 0, 0x1a0
	v_mov_b32_e32 v4, 25
	s_mov_b32 s6, 26
	s_set_inst_prefetch_distance 0x1
	.p2align	6
.LBB120_623:                            ; =>This Inner Loop Header: Depth=1
	ds_load_2addr_b64 v[6:9], v5 offset1:1
	s_waitcnt lgkmcnt(1)
	v_cmp_gt_f64_e32 vcc_lo, 0, v[0:1]
	v_xor_b32_e32 v10, 0x80000000, v1
	v_cmp_gt_f64_e64 s2, 0, v[2:3]
	v_xor_b32_e32 v12, 0x80000000, v3
	v_add_nc_u32_e32 v5, 16, v5
	s_waitcnt lgkmcnt(0)
	v_cmp_gt_f64_e64 s3, 0, v[6:7]
	v_dual_mov_b32 v41, v8 :: v_dual_mov_b32 v14, v6
	v_cndmask_b32_e32 v11, v1, v10, vcc_lo
	v_xor_b32_e32 v10, 0x80000000, v7
	v_cndmask_b32_e64 v13, v3, v12, s2
	v_xor_b32_e32 v12, 0x80000000, v9
	s_delay_alu instid0(VALU_DEP_3) | instskip(SKIP_2) | instid1(VALU_DEP_2)
	v_cndmask_b32_e64 v15, v7, v10, s3
	v_cmp_gt_f64_e64 s3, 0, v[8:9]
	v_cndmask_b32_e32 v10, v0, v0, vcc_lo
	v_cndmask_b32_e64 v42, v9, v12, s3
	v_cndmask_b32_e64 v12, v2, v2, s2
	s_delay_alu instid0(VALU_DEP_2) | instskip(NEXT) | instid1(VALU_DEP_2)
	v_add_f64 v[14:15], v[14:15], v[41:42]
	v_add_f64 v[10:11], v[10:11], v[12:13]
	s_delay_alu instid0(VALU_DEP_1) | instskip(SKIP_4) | instid1(SALU_CYCLE_1)
	v_cmp_lt_f64_e32 vcc_lo, v[10:11], v[14:15]
	v_dual_cndmask_b32 v1, v1, v7 :: v_dual_cndmask_b32 v0, v0, v6
	v_dual_cndmask_b32 v3, v3, v9 :: v_dual_cndmask_b32 v2, v2, v8
	v_cndmask_b32_e64 v4, v4, s6, vcc_lo
	s_add_i32 s6, s6, 1
	s_cmp_lg_u32 s5, s6
	s_cbranch_scc1 .LBB120_623
.LBB120_624:
	s_set_inst_prefetch_distance 0x2
	s_waitcnt lgkmcnt(0)
	v_cmp_eq_f64_e32 vcc_lo, 0, v[0:1]
	v_cmp_eq_f64_e64 s2, 0, v[2:3]
	s_delay_alu instid0(VALU_DEP_1) | instskip(NEXT) | instid1(SALU_CYCLE_1)
	s_and_b32 s2, vcc_lo, s2
	s_and_saveexec_b32 s3, s2
	s_delay_alu instid0(SALU_CYCLE_1)
	s_xor_b32 s2, exec_lo, s3
; %bb.625:
	v_cmp_ne_u32_e32 vcc_lo, 0, v35
	v_cndmask_b32_e32 v35, 26, v35, vcc_lo
; %bb.626:
	s_and_not1_saveexec_b32 s3, s2
	s_cbranch_execz .LBB120_632
; %bb.627:
	v_cmp_gt_f64_e32 vcc_lo, 0, v[0:1]
	v_cmp_gt_f64_e64 s2, 0, v[2:3]
	v_xor_b32_e32 v5, 0x80000000, v1
	v_xor_b32_e32 v7, 0x80000000, v3
	s_delay_alu instid0(VALU_DEP_2) | instskip(NEXT) | instid1(VALU_DEP_2)
	v_dual_cndmask_b32 v6, v1, v5 :: v_dual_cndmask_b32 v5, v0, v0
	v_cndmask_b32_e64 v8, v3, v7, s2
	v_cndmask_b32_e64 v7, v2, v2, s2
	s_mov_b32 s2, exec_lo
	s_delay_alu instid0(VALU_DEP_1)
	v_cmpx_ngt_f64_e32 v[5:6], v[7:8]
	s_xor_b32 s2, exec_lo, s2
	s_cbranch_execz .LBB120_629
; %bb.628:
	v_div_scale_f64 v[5:6], null, v[2:3], v[2:3], v[0:1]
	v_div_scale_f64 v[11:12], vcc_lo, v[0:1], v[2:3], v[0:1]
	s_delay_alu instid0(VALU_DEP_2) | instskip(SKIP_2) | instid1(VALU_DEP_1)
	v_rcp_f64_e32 v[7:8], v[5:6]
	s_waitcnt_depctr 0xfff
	v_fma_f64 v[9:10], -v[5:6], v[7:8], 1.0
	v_fma_f64 v[7:8], v[7:8], v[9:10], v[7:8]
	s_delay_alu instid0(VALU_DEP_1) | instskip(NEXT) | instid1(VALU_DEP_1)
	v_fma_f64 v[9:10], -v[5:6], v[7:8], 1.0
	v_fma_f64 v[7:8], v[7:8], v[9:10], v[7:8]
	s_delay_alu instid0(VALU_DEP_1) | instskip(NEXT) | instid1(VALU_DEP_1)
	v_mul_f64 v[9:10], v[11:12], v[7:8]
	v_fma_f64 v[5:6], -v[5:6], v[9:10], v[11:12]
	s_delay_alu instid0(VALU_DEP_1) | instskip(NEXT) | instid1(VALU_DEP_1)
	v_div_fmas_f64 v[5:6], v[5:6], v[7:8], v[9:10]
	v_div_fixup_f64 v[5:6], v[5:6], v[2:3], v[0:1]
	s_delay_alu instid0(VALU_DEP_1) | instskip(NEXT) | instid1(VALU_DEP_1)
	v_fma_f64 v[0:1], v[0:1], v[5:6], v[2:3]
	v_div_scale_f64 v[2:3], null, v[0:1], v[0:1], 1.0
	s_delay_alu instid0(VALU_DEP_1) | instskip(SKIP_2) | instid1(VALU_DEP_1)
	v_rcp_f64_e32 v[7:8], v[2:3]
	s_waitcnt_depctr 0xfff
	v_fma_f64 v[9:10], -v[2:3], v[7:8], 1.0
	v_fma_f64 v[7:8], v[7:8], v[9:10], v[7:8]
	s_delay_alu instid0(VALU_DEP_1) | instskip(NEXT) | instid1(VALU_DEP_1)
	v_fma_f64 v[9:10], -v[2:3], v[7:8], 1.0
	v_fma_f64 v[7:8], v[7:8], v[9:10], v[7:8]
	v_div_scale_f64 v[9:10], vcc_lo, 1.0, v[0:1], 1.0
	s_delay_alu instid0(VALU_DEP_1) | instskip(NEXT) | instid1(VALU_DEP_1)
	v_mul_f64 v[11:12], v[9:10], v[7:8]
	v_fma_f64 v[2:3], -v[2:3], v[11:12], v[9:10]
	s_delay_alu instid0(VALU_DEP_1) | instskip(NEXT) | instid1(VALU_DEP_1)
	v_div_fmas_f64 v[2:3], v[2:3], v[7:8], v[11:12]
	v_div_fixup_f64 v[2:3], v[2:3], v[0:1], 1.0
	s_delay_alu instid0(VALU_DEP_1)
	v_mul_f64 v[0:1], v[5:6], v[2:3]
	v_xor_b32_e32 v3, 0x80000000, v3
.LBB120_629:
	s_and_not1_saveexec_b32 s2, s2
	s_cbranch_execz .LBB120_631
; %bb.630:
	s_delay_alu instid0(VALU_DEP_1) | instskip(SKIP_1) | instid1(VALU_DEP_2)
	v_div_scale_f64 v[5:6], null, v[0:1], v[0:1], v[2:3]
	v_div_scale_f64 v[11:12], vcc_lo, v[2:3], v[0:1], v[2:3]
	v_rcp_f64_e32 v[7:8], v[5:6]
	s_waitcnt_depctr 0xfff
	v_fma_f64 v[9:10], -v[5:6], v[7:8], 1.0
	s_delay_alu instid0(VALU_DEP_1) | instskip(NEXT) | instid1(VALU_DEP_1)
	v_fma_f64 v[7:8], v[7:8], v[9:10], v[7:8]
	v_fma_f64 v[9:10], -v[5:6], v[7:8], 1.0
	s_delay_alu instid0(VALU_DEP_1) | instskip(NEXT) | instid1(VALU_DEP_1)
	v_fma_f64 v[7:8], v[7:8], v[9:10], v[7:8]
	v_mul_f64 v[9:10], v[11:12], v[7:8]
	s_delay_alu instid0(VALU_DEP_1) | instskip(NEXT) | instid1(VALU_DEP_1)
	v_fma_f64 v[5:6], -v[5:6], v[9:10], v[11:12]
	v_div_fmas_f64 v[5:6], v[5:6], v[7:8], v[9:10]
	s_delay_alu instid0(VALU_DEP_1) | instskip(NEXT) | instid1(VALU_DEP_1)
	v_div_fixup_f64 v[5:6], v[5:6], v[0:1], v[2:3]
	v_fma_f64 v[0:1], v[2:3], v[5:6], v[0:1]
	s_delay_alu instid0(VALU_DEP_1) | instskip(NEXT) | instid1(VALU_DEP_1)
	v_div_scale_f64 v[2:3], null, v[0:1], v[0:1], 1.0
	v_rcp_f64_e32 v[7:8], v[2:3]
	s_waitcnt_depctr 0xfff
	v_fma_f64 v[9:10], -v[2:3], v[7:8], 1.0
	s_delay_alu instid0(VALU_DEP_1) | instskip(NEXT) | instid1(VALU_DEP_1)
	v_fma_f64 v[7:8], v[7:8], v[9:10], v[7:8]
	v_fma_f64 v[9:10], -v[2:3], v[7:8], 1.0
	s_delay_alu instid0(VALU_DEP_1) | instskip(SKIP_1) | instid1(VALU_DEP_1)
	v_fma_f64 v[7:8], v[7:8], v[9:10], v[7:8]
	v_div_scale_f64 v[9:10], vcc_lo, 1.0, v[0:1], 1.0
	v_mul_f64 v[11:12], v[9:10], v[7:8]
	s_delay_alu instid0(VALU_DEP_1) | instskip(NEXT) | instid1(VALU_DEP_1)
	v_fma_f64 v[2:3], -v[2:3], v[11:12], v[9:10]
	v_div_fmas_f64 v[2:3], v[2:3], v[7:8], v[11:12]
	s_delay_alu instid0(VALU_DEP_1) | instskip(NEXT) | instid1(VALU_DEP_1)
	v_div_fixup_f64 v[0:1], v[2:3], v[0:1], 1.0
	v_mul_f64 v[2:3], v[5:6], -v[0:1]
.LBB120_631:
	s_or_b32 exec_lo, exec_lo, s2
.LBB120_632:
	s_delay_alu instid0(SALU_CYCLE_1) | instskip(NEXT) | instid1(SALU_CYCLE_1)
	s_or_b32 exec_lo, exec_lo, s3
	s_mov_b32 s2, exec_lo
	v_cmpx_ne_u32_e64 v38, v4
	s_xor_b32 s2, exec_lo, s2
	s_cbranch_execz .LBB120_638
; %bb.633:
	s_mov_b32 s3, exec_lo
	v_cmpx_eq_u32_e32 25, v38
	s_cbranch_execz .LBB120_637
; %bb.634:
	v_cmp_ne_u32_e32 vcc_lo, 25, v4
	s_xor_b32 s6, s4, -1
	s_delay_alu instid0(SALU_CYCLE_1) | instskip(NEXT) | instid1(SALU_CYCLE_1)
	s_and_b32 s7, s6, vcc_lo
	s_and_saveexec_b32 s6, s7
	s_cbranch_execz .LBB120_636
; %bb.635:
	v_ashrrev_i32_e32 v5, 31, v4
	s_delay_alu instid0(VALU_DEP_1) | instskip(NEXT) | instid1(VALU_DEP_1)
	v_lshlrev_b64 v[5:6], 2, v[4:5]
	v_add_co_u32 v5, vcc_lo, v18, v5
	s_delay_alu instid0(VALU_DEP_2)
	v_add_co_ci_u32_e32 v6, vcc_lo, v19, v6, vcc_lo
	s_clause 0x1
	flat_load_b32 v7, v[5:6]
	flat_load_b32 v8, v[18:19] offset:100
	s_waitcnt vmcnt(1) lgkmcnt(1)
	flat_store_b32 v[18:19], v7 offset:100
	s_waitcnt vmcnt(0) lgkmcnt(1)
	flat_store_b32 v[5:6], v8
.LBB120_636:
	s_or_b32 exec_lo, exec_lo, s6
	v_mov_b32_e32 v38, v4
	v_mov_b32_e32 v37, v4
.LBB120_637:
	s_or_b32 exec_lo, exec_lo, s3
.LBB120_638:
	s_and_not1_saveexec_b32 s2, s2
	s_cbranch_execz .LBB120_640
; %bb.639:
	s_clause 0x1f
	scratch_load_b128 v[4:7], v104, off
	scratch_load_b128 v[8:11], v108, off
	;; [unrolled: 1-line block ×32, first 2 shown]
	s_clause 0x2
	scratch_load_b128 v[240:243], v139, off
	scratch_load_b128 v[244:247], v146, off
	;; [unrolled: 1-line block ×3, first 2 shown]
	v_mov_b32_e32 v38, 25
	s_waitcnt vmcnt(34)
	ds_store_2addr_b64 v20, v[4:5], v[6:7] offset0:52 offset1:53
	s_waitcnt vmcnt(33)
	ds_store_2addr_b64 v20, v[8:9], v[10:11] offset0:54 offset1:55
	s_waitcnt vmcnt(32)
	ds_store_2addr_b64 v20, v[12:13], v[14:15] offset0:56 offset1:57
	s_waitcnt vmcnt(31)
	ds_store_2addr_b64 v20, v[41:42], v[43:44] offset0:58 offset1:59
	s_waitcnt vmcnt(30)
	ds_store_2addr_b64 v20, v[45:46], v[47:48] offset0:60 offset1:61
	s_waitcnt vmcnt(29)
	ds_store_2addr_b64 v20, v[57:58], v[59:60] offset0:62 offset1:63
	s_waitcnt vmcnt(28)
	ds_store_2addr_b64 v20, v[61:62], v[63:64] offset0:64 offset1:65
	s_waitcnt vmcnt(27)
	ds_store_2addr_b64 v20, v[73:74], v[75:76] offset0:66 offset1:67
	s_waitcnt vmcnt(26)
	ds_store_2addr_b64 v20, v[81:82], v[83:84] offset0:68 offset1:69
	s_waitcnt vmcnt(25)
	ds_store_2addr_b64 v20, v[85:86], v[87:88] offset0:70 offset1:71
	s_waitcnt vmcnt(24)
	ds_store_2addr_b64 v20, v[89:90], v[91:92] offset0:72 offset1:73
	s_waitcnt vmcnt(23)
	ds_store_2addr_b64 v20, v[93:94], v[95:96] offset0:74 offset1:75
	s_waitcnt vmcnt(22)
	ds_store_2addr_b64 v20, v[129:130], v[131:132] offset0:76 offset1:77
	s_waitcnt vmcnt(21)
	ds_store_2addr_b64 v20, v[164:165], v[166:167] offset0:78 offset1:79
	s_waitcnt vmcnt(20)
	ds_store_2addr_b64 v20, v[168:169], v[170:171] offset0:80 offset1:81
	s_waitcnt vmcnt(19)
	ds_store_2addr_b64 v20, v[172:173], v[174:175] offset0:82 offset1:83
	s_waitcnt vmcnt(18)
	ds_store_2addr_b64 v20, v[176:177], v[178:179] offset0:84 offset1:85
	s_waitcnt vmcnt(17)
	ds_store_2addr_b64 v20, v[180:181], v[182:183] offset0:86 offset1:87
	s_waitcnt vmcnt(16)
	ds_store_2addr_b64 v20, v[184:185], v[186:187] offset0:88 offset1:89
	s_waitcnt vmcnt(15)
	ds_store_2addr_b64 v20, v[188:189], v[190:191] offset0:90 offset1:91
	s_waitcnt vmcnt(14)
	ds_store_2addr_b64 v20, v[192:193], v[194:195] offset0:92 offset1:93
	s_waitcnt vmcnt(13)
	ds_store_2addr_b64 v20, v[196:197], v[198:199] offset0:94 offset1:95
	s_waitcnt vmcnt(12)
	ds_store_2addr_b64 v20, v[200:201], v[202:203] offset0:96 offset1:97
	s_waitcnt vmcnt(11)
	ds_store_2addr_b64 v20, v[204:205], v[206:207] offset0:98 offset1:99
	s_waitcnt vmcnt(10)
	ds_store_2addr_b64 v20, v[208:209], v[210:211] offset0:100 offset1:101
	s_waitcnt vmcnt(9)
	ds_store_2addr_b64 v20, v[212:213], v[214:215] offset0:102 offset1:103
	s_waitcnt vmcnt(8)
	ds_store_2addr_b64 v20, v[216:217], v[218:219] offset0:104 offset1:105
	s_waitcnt vmcnt(7)
	ds_store_2addr_b64 v20, v[220:221], v[222:223] offset0:106 offset1:107
	s_waitcnt vmcnt(6)
	ds_store_2addr_b64 v20, v[224:225], v[226:227] offset0:108 offset1:109
	s_waitcnt vmcnt(5)
	ds_store_2addr_b64 v20, v[228:229], v[230:231] offset0:110 offset1:111
	s_waitcnt vmcnt(4)
	ds_store_2addr_b64 v20, v[232:233], v[234:235] offset0:112 offset1:113
	s_waitcnt vmcnt(3)
	ds_store_2addr_b64 v20, v[236:237], v[238:239] offset0:114 offset1:115
	s_waitcnt vmcnt(2)
	ds_store_2addr_b64 v20, v[240:241], v[242:243] offset0:116 offset1:117
	s_waitcnt vmcnt(1)
	ds_store_2addr_b64 v20, v[244:245], v[246:247] offset0:118 offset1:119
	s_waitcnt vmcnt(0)
	ds_store_2addr_b64 v20, v[248:249], v[250:251] offset0:120 offset1:121
.LBB120_640:
	s_or_b32 exec_lo, exec_lo, s2
	s_delay_alu instid0(SALU_CYCLE_1)
	s_mov_b32 s2, exec_lo
	s_waitcnt lgkmcnt(0)
	s_waitcnt_vscnt null, 0x0
	s_barrier
	buffer_gl0_inv
	v_cmpx_lt_i32_e32 25, v38
	s_cbranch_execz .LBB120_643
; %bb.641:
	scratch_load_b128 v[4:7], off, off offset:400
	s_mov_b32 s3, 0
	s_waitcnt vmcnt(0)
	v_mul_f64 v[8:9], v[2:3], v[6:7]
	v_mul_f64 v[6:7], v[0:1], v[6:7]
	s_delay_alu instid0(VALU_DEP_2) | instskip(NEXT) | instid1(VALU_DEP_2)
	v_fma_f64 v[0:1], v[0:1], v[4:5], -v[8:9]
	v_fma_f64 v[2:3], v[2:3], v[4:5], v[6:7]
	v_add3_u32 v4, v36, 0, 0x1a0
	v_mov_b32_e32 v5, 0
	scratch_store_b128 off, v[0:3], off offset:400
.LBB120_642:                            ; =>This Inner Loop Header: Depth=1
	v_add_nc_u32_e32 v39, s3, v4
	v_readfirstlane_b32 s6, v5
	ds_load_2addr_b64 v[6:9], v39 offset1:1
	ds_load_2addr_b64 v[10:13], v39 offset0:2 offset1:3
	ds_load_2addr_b64 v[41:44], v39 offset0:4 offset1:5
	;; [unrolled: 1-line block ×5, first 2 shown]
	s_add_i32 s6, s6, s3
	s_addk_i32 s3, 0x70
	s_add_i32 s7, s6, 0x1a0
	s_add_i32 s9, s6, 0x1b0
	;; [unrolled: 1-line block ×6, first 2 shown]
	s_addk_i32 s6, 0x200
	s_cmpk_lg_i32 s3, 0x230
	s_waitcnt lgkmcnt(5)
	v_mul_f64 v[14:15], v[8:9], v[2:3]
	v_mul_f64 v[49:50], v[6:7], v[2:3]
	s_waitcnt lgkmcnt(4)
	v_mul_f64 v[53:54], v[12:13], v[2:3]
	v_mul_f64 v[65:66], v[10:11], v[2:3]
	;; [unrolled: 3-line block ×6, first 2 shown]
	v_fma_f64 v[14:15], v[6:7], v[0:1], -v[14:15]
	v_fma_f64 v[49:50], v[8:9], v[0:1], v[49:50]
	v_fma_f64 v[53:54], v[10:11], v[0:1], -v[53:54]
	v_fma_f64 v[65:66], v[12:13], v[0:1], v[65:66]
	;; [unrolled: 2-line block ×6, first 2 shown]
	scratch_load_b128 v[0:3], off, off offset:400
	s_clause 0x6
	scratch_load_b128 v[6:9], off, s7
	scratch_load_b128 v[10:13], off, s9
	;; [unrolled: 1-line block ×7, first 2 shown]
	ds_load_2addr_b64 v[81:84], v39 offset0:12 offset1:13
	s_waitcnt vmcnt(6)
	v_add_f64 v[6:7], v[6:7], -v[14:15]
	v_add_f64 v[8:9], v[8:9], -v[49:50]
	s_waitcnt vmcnt(5)
	v_add_f64 v[10:11], v[10:11], -v[53:54]
	v_add_f64 v[12:13], v[12:13], -v[65:66]
	s_waitcnt vmcnt(4)
	v_add_f64 v[41:42], v[41:42], -v[69:70]
	s_waitcnt lgkmcnt(0)
	v_mul_f64 v[102:103], v[83:84], v[2:3]
	v_mul_f64 v[105:106], v[81:82], v[2:3]
	v_add_f64 v[43:44], v[43:44], -v[87:88]
	s_waitcnt vmcnt(3)
	v_add_f64 v[45:46], v[45:46], -v[89:90]
	v_add_f64 v[47:48], v[47:48], -v[77:78]
	s_waitcnt vmcnt(2)
	v_add_f64 v[57:58], v[57:58], -v[91:92]
	;; [unrolled: 3-line block ×3, first 2 shown]
	v_add_f64 v[63:64], v[63:64], -v[95:96]
	v_fma_f64 v[81:82], v[81:82], v[0:1], -v[102:103]
	v_fma_f64 v[83:84], v[83:84], v[0:1], v[105:106]
	s_waitcnt vmcnt(0)
	s_delay_alu instid0(VALU_DEP_2) | instskip(NEXT) | instid1(VALU_DEP_2)
	v_add_f64 v[73:74], v[73:74], -v[81:82]
	v_add_f64 v[75:76], v[75:76], -v[83:84]
	s_clause 0x6
	scratch_store_b128 off, v[6:9], s7
	scratch_store_b128 off, v[10:13], s9
	;; [unrolled: 1-line block ×7, first 2 shown]
	s_cbranch_scc1 .LBB120_642
.LBB120_643:
	s_or_b32 exec_lo, exec_lo, s2
	s_waitcnt_vscnt null, 0x0
	s_barrier
	buffer_gl0_inv
	scratch_load_b128 v[0:3], v104, off
	v_lshl_add_u32 v4, v38, 4, v20
	s_cmp_lt_i32 s5, 28
	s_waitcnt vmcnt(0)
	ds_store_2addr_b64 v4, v[0:1], v[2:3] offset1:1
	s_waitcnt lgkmcnt(0)
	s_barrier
	buffer_gl0_inv
	ds_load_2addr_b64 v[0:3], v20 offset0:52 offset1:53
	v_mov_b32_e32 v4, 26
	s_cbranch_scc1 .LBB120_646
; %bb.644:
	v_add3_u32 v5, v36, 0, 0x1b0
	v_mov_b32_e32 v4, 26
	s_mov_b32 s6, 27
	s_set_inst_prefetch_distance 0x1
	.p2align	6
.LBB120_645:                            ; =>This Inner Loop Header: Depth=1
	ds_load_2addr_b64 v[6:9], v5 offset1:1
	s_waitcnt lgkmcnt(1)
	v_cmp_gt_f64_e32 vcc_lo, 0, v[0:1]
	v_xor_b32_e32 v10, 0x80000000, v1
	v_cmp_gt_f64_e64 s2, 0, v[2:3]
	v_xor_b32_e32 v12, 0x80000000, v3
	v_add_nc_u32_e32 v5, 16, v5
	s_waitcnt lgkmcnt(0)
	v_cmp_gt_f64_e64 s3, 0, v[6:7]
	v_dual_mov_b32 v41, v8 :: v_dual_mov_b32 v14, v6
	v_cndmask_b32_e32 v11, v1, v10, vcc_lo
	v_xor_b32_e32 v10, 0x80000000, v7
	v_cndmask_b32_e64 v13, v3, v12, s2
	v_xor_b32_e32 v12, 0x80000000, v9
	s_delay_alu instid0(VALU_DEP_3) | instskip(SKIP_2) | instid1(VALU_DEP_2)
	v_cndmask_b32_e64 v15, v7, v10, s3
	v_cmp_gt_f64_e64 s3, 0, v[8:9]
	v_cndmask_b32_e32 v10, v0, v0, vcc_lo
	v_cndmask_b32_e64 v42, v9, v12, s3
	v_cndmask_b32_e64 v12, v2, v2, s2
	s_delay_alu instid0(VALU_DEP_2) | instskip(NEXT) | instid1(VALU_DEP_2)
	v_add_f64 v[14:15], v[14:15], v[41:42]
	v_add_f64 v[10:11], v[10:11], v[12:13]
	s_delay_alu instid0(VALU_DEP_1) | instskip(SKIP_4) | instid1(SALU_CYCLE_1)
	v_cmp_lt_f64_e32 vcc_lo, v[10:11], v[14:15]
	v_dual_cndmask_b32 v1, v1, v7 :: v_dual_cndmask_b32 v0, v0, v6
	v_dual_cndmask_b32 v3, v3, v9 :: v_dual_cndmask_b32 v2, v2, v8
	v_cndmask_b32_e64 v4, v4, s6, vcc_lo
	s_add_i32 s6, s6, 1
	s_cmp_lg_u32 s5, s6
	s_cbranch_scc1 .LBB120_645
.LBB120_646:
	s_set_inst_prefetch_distance 0x2
	s_waitcnt lgkmcnt(0)
	v_cmp_eq_f64_e32 vcc_lo, 0, v[0:1]
	v_cmp_eq_f64_e64 s2, 0, v[2:3]
	s_delay_alu instid0(VALU_DEP_1) | instskip(NEXT) | instid1(SALU_CYCLE_1)
	s_and_b32 s2, vcc_lo, s2
	s_and_saveexec_b32 s3, s2
	s_delay_alu instid0(SALU_CYCLE_1)
	s_xor_b32 s2, exec_lo, s3
; %bb.647:
	v_cmp_ne_u32_e32 vcc_lo, 0, v35
	v_cndmask_b32_e32 v35, 27, v35, vcc_lo
; %bb.648:
	s_and_not1_saveexec_b32 s3, s2
	s_cbranch_execz .LBB120_654
; %bb.649:
	v_cmp_gt_f64_e32 vcc_lo, 0, v[0:1]
	v_cmp_gt_f64_e64 s2, 0, v[2:3]
	v_xor_b32_e32 v5, 0x80000000, v1
	v_xor_b32_e32 v7, 0x80000000, v3
	s_delay_alu instid0(VALU_DEP_2) | instskip(NEXT) | instid1(VALU_DEP_2)
	v_dual_cndmask_b32 v6, v1, v5 :: v_dual_cndmask_b32 v5, v0, v0
	v_cndmask_b32_e64 v8, v3, v7, s2
	v_cndmask_b32_e64 v7, v2, v2, s2
	s_mov_b32 s2, exec_lo
	s_delay_alu instid0(VALU_DEP_1)
	v_cmpx_ngt_f64_e32 v[5:6], v[7:8]
	s_xor_b32 s2, exec_lo, s2
	s_cbranch_execz .LBB120_651
; %bb.650:
	v_div_scale_f64 v[5:6], null, v[2:3], v[2:3], v[0:1]
	v_div_scale_f64 v[11:12], vcc_lo, v[0:1], v[2:3], v[0:1]
	s_delay_alu instid0(VALU_DEP_2) | instskip(SKIP_2) | instid1(VALU_DEP_1)
	v_rcp_f64_e32 v[7:8], v[5:6]
	s_waitcnt_depctr 0xfff
	v_fma_f64 v[9:10], -v[5:6], v[7:8], 1.0
	v_fma_f64 v[7:8], v[7:8], v[9:10], v[7:8]
	s_delay_alu instid0(VALU_DEP_1) | instskip(NEXT) | instid1(VALU_DEP_1)
	v_fma_f64 v[9:10], -v[5:6], v[7:8], 1.0
	v_fma_f64 v[7:8], v[7:8], v[9:10], v[7:8]
	s_delay_alu instid0(VALU_DEP_1) | instskip(NEXT) | instid1(VALU_DEP_1)
	v_mul_f64 v[9:10], v[11:12], v[7:8]
	v_fma_f64 v[5:6], -v[5:6], v[9:10], v[11:12]
	s_delay_alu instid0(VALU_DEP_1) | instskip(NEXT) | instid1(VALU_DEP_1)
	v_div_fmas_f64 v[5:6], v[5:6], v[7:8], v[9:10]
	v_div_fixup_f64 v[5:6], v[5:6], v[2:3], v[0:1]
	s_delay_alu instid0(VALU_DEP_1) | instskip(NEXT) | instid1(VALU_DEP_1)
	v_fma_f64 v[0:1], v[0:1], v[5:6], v[2:3]
	v_div_scale_f64 v[2:3], null, v[0:1], v[0:1], 1.0
	s_delay_alu instid0(VALU_DEP_1) | instskip(SKIP_2) | instid1(VALU_DEP_1)
	v_rcp_f64_e32 v[7:8], v[2:3]
	s_waitcnt_depctr 0xfff
	v_fma_f64 v[9:10], -v[2:3], v[7:8], 1.0
	v_fma_f64 v[7:8], v[7:8], v[9:10], v[7:8]
	s_delay_alu instid0(VALU_DEP_1) | instskip(NEXT) | instid1(VALU_DEP_1)
	v_fma_f64 v[9:10], -v[2:3], v[7:8], 1.0
	v_fma_f64 v[7:8], v[7:8], v[9:10], v[7:8]
	v_div_scale_f64 v[9:10], vcc_lo, 1.0, v[0:1], 1.0
	s_delay_alu instid0(VALU_DEP_1) | instskip(NEXT) | instid1(VALU_DEP_1)
	v_mul_f64 v[11:12], v[9:10], v[7:8]
	v_fma_f64 v[2:3], -v[2:3], v[11:12], v[9:10]
	s_delay_alu instid0(VALU_DEP_1) | instskip(NEXT) | instid1(VALU_DEP_1)
	v_div_fmas_f64 v[2:3], v[2:3], v[7:8], v[11:12]
	v_div_fixup_f64 v[2:3], v[2:3], v[0:1], 1.0
	s_delay_alu instid0(VALU_DEP_1)
	v_mul_f64 v[0:1], v[5:6], v[2:3]
	v_xor_b32_e32 v3, 0x80000000, v3
.LBB120_651:
	s_and_not1_saveexec_b32 s2, s2
	s_cbranch_execz .LBB120_653
; %bb.652:
	s_delay_alu instid0(VALU_DEP_1) | instskip(SKIP_1) | instid1(VALU_DEP_2)
	v_div_scale_f64 v[5:6], null, v[0:1], v[0:1], v[2:3]
	v_div_scale_f64 v[11:12], vcc_lo, v[2:3], v[0:1], v[2:3]
	v_rcp_f64_e32 v[7:8], v[5:6]
	s_waitcnt_depctr 0xfff
	v_fma_f64 v[9:10], -v[5:6], v[7:8], 1.0
	s_delay_alu instid0(VALU_DEP_1) | instskip(NEXT) | instid1(VALU_DEP_1)
	v_fma_f64 v[7:8], v[7:8], v[9:10], v[7:8]
	v_fma_f64 v[9:10], -v[5:6], v[7:8], 1.0
	s_delay_alu instid0(VALU_DEP_1) | instskip(NEXT) | instid1(VALU_DEP_1)
	v_fma_f64 v[7:8], v[7:8], v[9:10], v[7:8]
	v_mul_f64 v[9:10], v[11:12], v[7:8]
	s_delay_alu instid0(VALU_DEP_1) | instskip(NEXT) | instid1(VALU_DEP_1)
	v_fma_f64 v[5:6], -v[5:6], v[9:10], v[11:12]
	v_div_fmas_f64 v[5:6], v[5:6], v[7:8], v[9:10]
	s_delay_alu instid0(VALU_DEP_1) | instskip(NEXT) | instid1(VALU_DEP_1)
	v_div_fixup_f64 v[5:6], v[5:6], v[0:1], v[2:3]
	v_fma_f64 v[0:1], v[2:3], v[5:6], v[0:1]
	s_delay_alu instid0(VALU_DEP_1) | instskip(NEXT) | instid1(VALU_DEP_1)
	v_div_scale_f64 v[2:3], null, v[0:1], v[0:1], 1.0
	v_rcp_f64_e32 v[7:8], v[2:3]
	s_waitcnt_depctr 0xfff
	v_fma_f64 v[9:10], -v[2:3], v[7:8], 1.0
	s_delay_alu instid0(VALU_DEP_1) | instskip(NEXT) | instid1(VALU_DEP_1)
	v_fma_f64 v[7:8], v[7:8], v[9:10], v[7:8]
	v_fma_f64 v[9:10], -v[2:3], v[7:8], 1.0
	s_delay_alu instid0(VALU_DEP_1) | instskip(SKIP_1) | instid1(VALU_DEP_1)
	v_fma_f64 v[7:8], v[7:8], v[9:10], v[7:8]
	v_div_scale_f64 v[9:10], vcc_lo, 1.0, v[0:1], 1.0
	v_mul_f64 v[11:12], v[9:10], v[7:8]
	s_delay_alu instid0(VALU_DEP_1) | instskip(NEXT) | instid1(VALU_DEP_1)
	v_fma_f64 v[2:3], -v[2:3], v[11:12], v[9:10]
	v_div_fmas_f64 v[2:3], v[2:3], v[7:8], v[11:12]
	s_delay_alu instid0(VALU_DEP_1) | instskip(NEXT) | instid1(VALU_DEP_1)
	v_div_fixup_f64 v[0:1], v[2:3], v[0:1], 1.0
	v_mul_f64 v[2:3], v[5:6], -v[0:1]
.LBB120_653:
	s_or_b32 exec_lo, exec_lo, s2
.LBB120_654:
	s_delay_alu instid0(SALU_CYCLE_1) | instskip(NEXT) | instid1(SALU_CYCLE_1)
	s_or_b32 exec_lo, exec_lo, s3
	s_mov_b32 s2, exec_lo
	v_cmpx_ne_u32_e64 v38, v4
	s_xor_b32 s2, exec_lo, s2
	s_cbranch_execz .LBB120_660
; %bb.655:
	s_mov_b32 s3, exec_lo
	v_cmpx_eq_u32_e32 26, v38
	s_cbranch_execz .LBB120_659
; %bb.656:
	v_cmp_ne_u32_e32 vcc_lo, 26, v4
	s_xor_b32 s6, s4, -1
	s_delay_alu instid0(SALU_CYCLE_1) | instskip(NEXT) | instid1(SALU_CYCLE_1)
	s_and_b32 s7, s6, vcc_lo
	s_and_saveexec_b32 s6, s7
	s_cbranch_execz .LBB120_658
; %bb.657:
	v_ashrrev_i32_e32 v5, 31, v4
	s_delay_alu instid0(VALU_DEP_1) | instskip(NEXT) | instid1(VALU_DEP_1)
	v_lshlrev_b64 v[5:6], 2, v[4:5]
	v_add_co_u32 v5, vcc_lo, v18, v5
	s_delay_alu instid0(VALU_DEP_2)
	v_add_co_ci_u32_e32 v6, vcc_lo, v19, v6, vcc_lo
	s_clause 0x1
	flat_load_b32 v7, v[5:6]
	flat_load_b32 v8, v[18:19] offset:104
	s_waitcnt vmcnt(1) lgkmcnt(1)
	flat_store_b32 v[18:19], v7 offset:104
	s_waitcnt vmcnt(0) lgkmcnt(1)
	flat_store_b32 v[5:6], v8
.LBB120_658:
	s_or_b32 exec_lo, exec_lo, s6
	v_mov_b32_e32 v38, v4
	v_mov_b32_e32 v37, v4
.LBB120_659:
	s_or_b32 exec_lo, exec_lo, s3
.LBB120_660:
	s_and_not1_saveexec_b32 s2, s2
	s_cbranch_execz .LBB120_662
; %bb.661:
	s_clause 0x1f
	scratch_load_b128 v[4:7], v108, off
	scratch_load_b128 v[8:11], v112, off
	;; [unrolled: 1-line block ×32, first 2 shown]
	s_clause 0x1
	scratch_load_b128 v[240:243], v146, off
	scratch_load_b128 v[244:247], v137, off
	v_mov_b32_e32 v38, 26
	s_waitcnt vmcnt(33)
	ds_store_2addr_b64 v20, v[4:5], v[6:7] offset0:54 offset1:55
	s_waitcnt vmcnt(32)
	ds_store_2addr_b64 v20, v[8:9], v[10:11] offset0:56 offset1:57
	;; [unrolled: 2-line block ×34, first 2 shown]
.LBB120_662:
	s_or_b32 exec_lo, exec_lo, s2
	s_delay_alu instid0(SALU_CYCLE_1)
	s_mov_b32 s2, exec_lo
	s_waitcnt lgkmcnt(0)
	s_waitcnt_vscnt null, 0x0
	s_barrier
	buffer_gl0_inv
	v_cmpx_lt_i32_e32 26, v38
	s_cbranch_execz .LBB120_665
; %bb.663:
	scratch_load_b128 v[4:7], off, off offset:416
	s_mov_b32 s3, 0
	s_waitcnt vmcnt(0)
	v_mul_f64 v[8:9], v[2:3], v[6:7]
	v_mul_f64 v[6:7], v[0:1], v[6:7]
	s_delay_alu instid0(VALU_DEP_2) | instskip(NEXT) | instid1(VALU_DEP_2)
	v_fma_f64 v[0:1], v[0:1], v[4:5], -v[8:9]
	v_fma_f64 v[2:3], v[2:3], v[4:5], v[6:7]
	v_add3_u32 v4, v36, 0, 0x1b0
	scratch_store_b128 off, v[0:3], off offset:416
	s_set_inst_prefetch_distance 0x1
	.p2align	6
.LBB120_664:                            ; =>This Inner Loop Header: Depth=1
	v_add_nc_u32_e64 v5, s3, 0
	v_add_nc_u32_e32 v13, s3, v4
	s_add_i32 s3, s3, 32
	s_delay_alu instid0(SALU_CYCLE_1) | instskip(NEXT) | instid1(VALU_DEP_2)
	s_cmpk_lg_i32 s3, 0x220
	v_add_nc_u32_e32 v15, 0x1b0, v5
	v_add_nc_u32_e32 v39, 0x1c0, v5
	s_clause 0x1
	scratch_load_b128 v[5:8], v15, off
	scratch_load_b128 v[9:12], v39, off
	ds_load_2addr_b64 v[41:44], v13 offset1:1
	ds_load_2addr_b64 v[45:48], v13 offset0:2 offset1:3
	s_waitcnt lgkmcnt(1)
	v_mul_f64 v[13:14], v[43:44], v[2:3]
	v_mul_f64 v[49:50], v[41:42], v[2:3]
	s_waitcnt lgkmcnt(0)
	v_mul_f64 v[53:54], v[47:48], v[2:3]
	v_mul_f64 v[57:58], v[45:46], v[2:3]
	s_delay_alu instid0(VALU_DEP_4) | instskip(NEXT) | instid1(VALU_DEP_4)
	v_fma_f64 v[13:14], v[41:42], v[0:1], -v[13:14]
	v_fma_f64 v[41:42], v[43:44], v[0:1], v[49:50]
	s_delay_alu instid0(VALU_DEP_4) | instskip(NEXT) | instid1(VALU_DEP_4)
	v_fma_f64 v[43:44], v[45:46], v[0:1], -v[53:54]
	v_fma_f64 v[45:46], v[47:48], v[0:1], v[57:58]
	s_waitcnt vmcnt(1)
	s_delay_alu instid0(VALU_DEP_4) | instskip(NEXT) | instid1(VALU_DEP_4)
	v_add_f64 v[5:6], v[5:6], -v[13:14]
	v_add_f64 v[7:8], v[7:8], -v[41:42]
	s_waitcnt vmcnt(0)
	s_delay_alu instid0(VALU_DEP_4) | instskip(NEXT) | instid1(VALU_DEP_4)
	v_add_f64 v[9:10], v[9:10], -v[43:44]
	v_add_f64 v[11:12], v[11:12], -v[45:46]
	s_clause 0x1
	scratch_store_b128 v15, v[5:8], off
	scratch_store_b128 v39, v[9:12], off
	s_cbranch_scc1 .LBB120_664
.LBB120_665:
	s_set_inst_prefetch_distance 0x2
	s_or_b32 exec_lo, exec_lo, s2
	s_waitcnt_vscnt null, 0x0
	s_barrier
	buffer_gl0_inv
	scratch_load_b128 v[0:3], v108, off
	v_lshl_add_u32 v4, v38, 4, v20
	s_cmp_lt_i32 s5, 29
	s_waitcnt vmcnt(0)
	ds_store_2addr_b64 v4, v[0:1], v[2:3] offset1:1
	s_waitcnt lgkmcnt(0)
	s_barrier
	buffer_gl0_inv
	ds_load_2addr_b64 v[0:3], v20 offset0:54 offset1:55
	v_mov_b32_e32 v4, 27
	s_cbranch_scc1 .LBB120_668
; %bb.666:
	v_add3_u32 v5, v36, 0, 0x1c0
	v_mov_b32_e32 v4, 27
	s_mov_b32 s6, 28
	s_set_inst_prefetch_distance 0x1
	.p2align	6
.LBB120_667:                            ; =>This Inner Loop Header: Depth=1
	ds_load_2addr_b64 v[6:9], v5 offset1:1
	s_waitcnt lgkmcnt(1)
	v_cmp_gt_f64_e32 vcc_lo, 0, v[0:1]
	v_xor_b32_e32 v10, 0x80000000, v1
	v_cmp_gt_f64_e64 s2, 0, v[2:3]
	v_xor_b32_e32 v12, 0x80000000, v3
	v_add_nc_u32_e32 v5, 16, v5
	s_waitcnt lgkmcnt(0)
	v_cmp_gt_f64_e64 s3, 0, v[6:7]
	v_dual_mov_b32 v41, v8 :: v_dual_mov_b32 v14, v6
	v_cndmask_b32_e32 v11, v1, v10, vcc_lo
	v_xor_b32_e32 v10, 0x80000000, v7
	v_cndmask_b32_e64 v13, v3, v12, s2
	v_xor_b32_e32 v12, 0x80000000, v9
	s_delay_alu instid0(VALU_DEP_3) | instskip(SKIP_2) | instid1(VALU_DEP_2)
	v_cndmask_b32_e64 v15, v7, v10, s3
	v_cmp_gt_f64_e64 s3, 0, v[8:9]
	v_cndmask_b32_e32 v10, v0, v0, vcc_lo
	v_cndmask_b32_e64 v42, v9, v12, s3
	v_cndmask_b32_e64 v12, v2, v2, s2
	s_delay_alu instid0(VALU_DEP_2) | instskip(NEXT) | instid1(VALU_DEP_2)
	v_add_f64 v[14:15], v[14:15], v[41:42]
	v_add_f64 v[10:11], v[10:11], v[12:13]
	s_delay_alu instid0(VALU_DEP_1) | instskip(SKIP_4) | instid1(SALU_CYCLE_1)
	v_cmp_lt_f64_e32 vcc_lo, v[10:11], v[14:15]
	v_dual_cndmask_b32 v1, v1, v7 :: v_dual_cndmask_b32 v0, v0, v6
	v_dual_cndmask_b32 v3, v3, v9 :: v_dual_cndmask_b32 v2, v2, v8
	v_cndmask_b32_e64 v4, v4, s6, vcc_lo
	s_add_i32 s6, s6, 1
	s_cmp_lg_u32 s5, s6
	s_cbranch_scc1 .LBB120_667
.LBB120_668:
	s_set_inst_prefetch_distance 0x2
	s_waitcnt lgkmcnt(0)
	v_cmp_eq_f64_e32 vcc_lo, 0, v[0:1]
	v_cmp_eq_f64_e64 s2, 0, v[2:3]
	s_delay_alu instid0(VALU_DEP_1) | instskip(NEXT) | instid1(SALU_CYCLE_1)
	s_and_b32 s2, vcc_lo, s2
	s_and_saveexec_b32 s3, s2
	s_delay_alu instid0(SALU_CYCLE_1)
	s_xor_b32 s2, exec_lo, s3
; %bb.669:
	v_cmp_ne_u32_e32 vcc_lo, 0, v35
	v_cndmask_b32_e32 v35, 28, v35, vcc_lo
; %bb.670:
	s_and_not1_saveexec_b32 s3, s2
	s_cbranch_execz .LBB120_676
; %bb.671:
	v_cmp_gt_f64_e32 vcc_lo, 0, v[0:1]
	v_cmp_gt_f64_e64 s2, 0, v[2:3]
	v_xor_b32_e32 v5, 0x80000000, v1
	v_xor_b32_e32 v7, 0x80000000, v3
	s_delay_alu instid0(VALU_DEP_2) | instskip(NEXT) | instid1(VALU_DEP_2)
	v_dual_cndmask_b32 v6, v1, v5 :: v_dual_cndmask_b32 v5, v0, v0
	v_cndmask_b32_e64 v8, v3, v7, s2
	v_cndmask_b32_e64 v7, v2, v2, s2
	s_mov_b32 s2, exec_lo
	s_delay_alu instid0(VALU_DEP_1)
	v_cmpx_ngt_f64_e32 v[5:6], v[7:8]
	s_xor_b32 s2, exec_lo, s2
	s_cbranch_execz .LBB120_673
; %bb.672:
	v_div_scale_f64 v[5:6], null, v[2:3], v[2:3], v[0:1]
	v_div_scale_f64 v[11:12], vcc_lo, v[0:1], v[2:3], v[0:1]
	s_delay_alu instid0(VALU_DEP_2) | instskip(SKIP_2) | instid1(VALU_DEP_1)
	v_rcp_f64_e32 v[7:8], v[5:6]
	s_waitcnt_depctr 0xfff
	v_fma_f64 v[9:10], -v[5:6], v[7:8], 1.0
	v_fma_f64 v[7:8], v[7:8], v[9:10], v[7:8]
	s_delay_alu instid0(VALU_DEP_1) | instskip(NEXT) | instid1(VALU_DEP_1)
	v_fma_f64 v[9:10], -v[5:6], v[7:8], 1.0
	v_fma_f64 v[7:8], v[7:8], v[9:10], v[7:8]
	s_delay_alu instid0(VALU_DEP_1) | instskip(NEXT) | instid1(VALU_DEP_1)
	v_mul_f64 v[9:10], v[11:12], v[7:8]
	v_fma_f64 v[5:6], -v[5:6], v[9:10], v[11:12]
	s_delay_alu instid0(VALU_DEP_1) | instskip(NEXT) | instid1(VALU_DEP_1)
	v_div_fmas_f64 v[5:6], v[5:6], v[7:8], v[9:10]
	v_div_fixup_f64 v[5:6], v[5:6], v[2:3], v[0:1]
	s_delay_alu instid0(VALU_DEP_1) | instskip(NEXT) | instid1(VALU_DEP_1)
	v_fma_f64 v[0:1], v[0:1], v[5:6], v[2:3]
	v_div_scale_f64 v[2:3], null, v[0:1], v[0:1], 1.0
	s_delay_alu instid0(VALU_DEP_1) | instskip(SKIP_2) | instid1(VALU_DEP_1)
	v_rcp_f64_e32 v[7:8], v[2:3]
	s_waitcnt_depctr 0xfff
	v_fma_f64 v[9:10], -v[2:3], v[7:8], 1.0
	v_fma_f64 v[7:8], v[7:8], v[9:10], v[7:8]
	s_delay_alu instid0(VALU_DEP_1) | instskip(NEXT) | instid1(VALU_DEP_1)
	v_fma_f64 v[9:10], -v[2:3], v[7:8], 1.0
	v_fma_f64 v[7:8], v[7:8], v[9:10], v[7:8]
	v_div_scale_f64 v[9:10], vcc_lo, 1.0, v[0:1], 1.0
	s_delay_alu instid0(VALU_DEP_1) | instskip(NEXT) | instid1(VALU_DEP_1)
	v_mul_f64 v[11:12], v[9:10], v[7:8]
	v_fma_f64 v[2:3], -v[2:3], v[11:12], v[9:10]
	s_delay_alu instid0(VALU_DEP_1) | instskip(NEXT) | instid1(VALU_DEP_1)
	v_div_fmas_f64 v[2:3], v[2:3], v[7:8], v[11:12]
	v_div_fixup_f64 v[2:3], v[2:3], v[0:1], 1.0
	s_delay_alu instid0(VALU_DEP_1)
	v_mul_f64 v[0:1], v[5:6], v[2:3]
	v_xor_b32_e32 v3, 0x80000000, v3
.LBB120_673:
	s_and_not1_saveexec_b32 s2, s2
	s_cbranch_execz .LBB120_675
; %bb.674:
	s_delay_alu instid0(VALU_DEP_1) | instskip(SKIP_1) | instid1(VALU_DEP_2)
	v_div_scale_f64 v[5:6], null, v[0:1], v[0:1], v[2:3]
	v_div_scale_f64 v[11:12], vcc_lo, v[2:3], v[0:1], v[2:3]
	v_rcp_f64_e32 v[7:8], v[5:6]
	s_waitcnt_depctr 0xfff
	v_fma_f64 v[9:10], -v[5:6], v[7:8], 1.0
	s_delay_alu instid0(VALU_DEP_1) | instskip(NEXT) | instid1(VALU_DEP_1)
	v_fma_f64 v[7:8], v[7:8], v[9:10], v[7:8]
	v_fma_f64 v[9:10], -v[5:6], v[7:8], 1.0
	s_delay_alu instid0(VALU_DEP_1) | instskip(NEXT) | instid1(VALU_DEP_1)
	v_fma_f64 v[7:8], v[7:8], v[9:10], v[7:8]
	v_mul_f64 v[9:10], v[11:12], v[7:8]
	s_delay_alu instid0(VALU_DEP_1) | instskip(NEXT) | instid1(VALU_DEP_1)
	v_fma_f64 v[5:6], -v[5:6], v[9:10], v[11:12]
	v_div_fmas_f64 v[5:6], v[5:6], v[7:8], v[9:10]
	s_delay_alu instid0(VALU_DEP_1) | instskip(NEXT) | instid1(VALU_DEP_1)
	v_div_fixup_f64 v[5:6], v[5:6], v[0:1], v[2:3]
	v_fma_f64 v[0:1], v[2:3], v[5:6], v[0:1]
	s_delay_alu instid0(VALU_DEP_1) | instskip(NEXT) | instid1(VALU_DEP_1)
	v_div_scale_f64 v[2:3], null, v[0:1], v[0:1], 1.0
	v_rcp_f64_e32 v[7:8], v[2:3]
	s_waitcnt_depctr 0xfff
	v_fma_f64 v[9:10], -v[2:3], v[7:8], 1.0
	s_delay_alu instid0(VALU_DEP_1) | instskip(NEXT) | instid1(VALU_DEP_1)
	v_fma_f64 v[7:8], v[7:8], v[9:10], v[7:8]
	v_fma_f64 v[9:10], -v[2:3], v[7:8], 1.0
	s_delay_alu instid0(VALU_DEP_1) | instskip(SKIP_1) | instid1(VALU_DEP_1)
	v_fma_f64 v[7:8], v[7:8], v[9:10], v[7:8]
	v_div_scale_f64 v[9:10], vcc_lo, 1.0, v[0:1], 1.0
	v_mul_f64 v[11:12], v[9:10], v[7:8]
	s_delay_alu instid0(VALU_DEP_1) | instskip(NEXT) | instid1(VALU_DEP_1)
	v_fma_f64 v[2:3], -v[2:3], v[11:12], v[9:10]
	v_div_fmas_f64 v[2:3], v[2:3], v[7:8], v[11:12]
	s_delay_alu instid0(VALU_DEP_1) | instskip(NEXT) | instid1(VALU_DEP_1)
	v_div_fixup_f64 v[0:1], v[2:3], v[0:1], 1.0
	v_mul_f64 v[2:3], v[5:6], -v[0:1]
.LBB120_675:
	s_or_b32 exec_lo, exec_lo, s2
.LBB120_676:
	s_delay_alu instid0(SALU_CYCLE_1) | instskip(NEXT) | instid1(SALU_CYCLE_1)
	s_or_b32 exec_lo, exec_lo, s3
	s_mov_b32 s2, exec_lo
	v_cmpx_ne_u32_e64 v38, v4
	s_xor_b32 s2, exec_lo, s2
	s_cbranch_execz .LBB120_682
; %bb.677:
	s_mov_b32 s3, exec_lo
	v_cmpx_eq_u32_e32 27, v38
	s_cbranch_execz .LBB120_681
; %bb.678:
	v_cmp_ne_u32_e32 vcc_lo, 27, v4
	s_xor_b32 s6, s4, -1
	s_delay_alu instid0(SALU_CYCLE_1) | instskip(NEXT) | instid1(SALU_CYCLE_1)
	s_and_b32 s7, s6, vcc_lo
	s_and_saveexec_b32 s6, s7
	s_cbranch_execz .LBB120_680
; %bb.679:
	v_ashrrev_i32_e32 v5, 31, v4
	s_delay_alu instid0(VALU_DEP_1) | instskip(NEXT) | instid1(VALU_DEP_1)
	v_lshlrev_b64 v[5:6], 2, v[4:5]
	v_add_co_u32 v5, vcc_lo, v18, v5
	s_delay_alu instid0(VALU_DEP_2)
	v_add_co_ci_u32_e32 v6, vcc_lo, v19, v6, vcc_lo
	s_clause 0x1
	flat_load_b32 v7, v[5:6]
	flat_load_b32 v8, v[18:19] offset:108
	s_waitcnt vmcnt(1) lgkmcnt(1)
	flat_store_b32 v[18:19], v7 offset:108
	s_waitcnt vmcnt(0) lgkmcnt(1)
	flat_store_b32 v[5:6], v8
.LBB120_680:
	s_or_b32 exec_lo, exec_lo, s6
	v_mov_b32_e32 v38, v4
	v_mov_b32_e32 v37, v4
.LBB120_681:
	s_or_b32 exec_lo, exec_lo, s3
.LBB120_682:
	s_and_not1_saveexec_b32 s2, s2
	s_cbranch_execz .LBB120_684
; %bb.683:
	s_clause 0x1f
	scratch_load_b128 v[4:7], v112, off
	scratch_load_b128 v[8:11], v116, off
	;; [unrolled: 1-line block ×33, first 2 shown]
	v_mov_b32_e32 v38, 27
	s_waitcnt vmcnt(32)
	ds_store_2addr_b64 v20, v[4:5], v[6:7] offset0:56 offset1:57
	s_waitcnt vmcnt(31)
	ds_store_2addr_b64 v20, v[8:9], v[10:11] offset0:58 offset1:59
	;; [unrolled: 2-line block ×33, first 2 shown]
.LBB120_684:
	s_or_b32 exec_lo, exec_lo, s2
	s_delay_alu instid0(SALU_CYCLE_1)
	s_mov_b32 s2, exec_lo
	s_waitcnt lgkmcnt(0)
	s_waitcnt_vscnt null, 0x0
	s_barrier
	buffer_gl0_inv
	v_cmpx_lt_i32_e32 27, v38
	s_cbranch_execz .LBB120_687
; %bb.685:
	scratch_load_b128 v[4:7], off, off offset:432
	s_mov_b32 s3, 0
	s_waitcnt vmcnt(0)
	v_mul_f64 v[8:9], v[2:3], v[6:7]
	v_mul_f64 v[6:7], v[0:1], v[6:7]
	s_delay_alu instid0(VALU_DEP_2) | instskip(NEXT) | instid1(VALU_DEP_2)
	v_fma_f64 v[0:1], v[0:1], v[4:5], -v[8:9]
	v_fma_f64 v[2:3], v[2:3], v[4:5], v[6:7]
	v_add3_u32 v4, v36, 0, 0x1c0
	v_mov_b32_e32 v5, 0
	scratch_store_b128 off, v[0:3], off offset:432
.LBB120_686:                            ; =>This Inner Loop Header: Depth=1
	v_readfirstlane_b32 s6, v5
	v_add_nc_u32_e32 v14, s3, v4
	s_delay_alu instid0(VALU_DEP_2)
	s_add_i32 s6, s6, s3
	s_add_i32 s3, s3, 48
	;; [unrolled: 1-line block ×4, first 2 shown]
	s_addk_i32 s6, 0x1e0
	s_clause 0x2
	scratch_load_b128 v[6:9], off, s7
	scratch_load_b128 v[10:13], off, s9
	;; [unrolled: 1-line block ×3, first 2 shown]
	ds_load_2addr_b64 v[45:48], v14 offset1:1
	ds_load_2addr_b64 v[57:60], v14 offset0:2 offset1:3
	ds_load_2addr_b64 v[61:64], v14 offset0:4 offset1:5
	s_cmpk_lg_i32 s3, 0x210
	s_waitcnt lgkmcnt(2)
	v_mul_f64 v[14:15], v[47:48], v[2:3]
	v_mul_f64 v[49:50], v[45:46], v[2:3]
	s_waitcnt lgkmcnt(1)
	v_mul_f64 v[53:54], v[59:60], v[2:3]
	v_mul_f64 v[65:66], v[57:58], v[2:3]
	;; [unrolled: 3-line block ×3, first 2 shown]
	v_fma_f64 v[14:15], v[45:46], v[0:1], -v[14:15]
	v_fma_f64 v[45:46], v[47:48], v[0:1], v[49:50]
	v_fma_f64 v[47:48], v[57:58], v[0:1], -v[53:54]
	v_fma_f64 v[49:50], v[59:60], v[0:1], v[65:66]
	;; [unrolled: 2-line block ×3, first 2 shown]
	s_waitcnt vmcnt(2)
	v_add_f64 v[6:7], v[6:7], -v[14:15]
	v_add_f64 v[8:9], v[8:9], -v[45:46]
	s_waitcnt vmcnt(1)
	v_add_f64 v[10:11], v[10:11], -v[47:48]
	v_add_f64 v[12:13], v[12:13], -v[49:50]
	;; [unrolled: 3-line block ×3, first 2 shown]
	s_clause 0x2
	scratch_store_b128 off, v[6:9], s7
	scratch_store_b128 off, v[10:13], s9
	;; [unrolled: 1-line block ×3, first 2 shown]
	s_cbranch_scc1 .LBB120_686
.LBB120_687:
	s_or_b32 exec_lo, exec_lo, s2
	s_waitcnt_vscnt null, 0x0
	s_barrier
	buffer_gl0_inv
	scratch_load_b128 v[0:3], v112, off
	v_lshl_add_u32 v4, v38, 4, v20
	s_cmp_lt_i32 s5, 30
	s_waitcnt vmcnt(0)
	ds_store_2addr_b64 v4, v[0:1], v[2:3] offset1:1
	s_waitcnt lgkmcnt(0)
	s_barrier
	buffer_gl0_inv
	ds_load_2addr_b64 v[0:3], v20 offset0:56 offset1:57
	v_mov_b32_e32 v4, 28
	s_cbranch_scc1 .LBB120_690
; %bb.688:
	v_add3_u32 v5, v36, 0, 0x1d0
	v_mov_b32_e32 v4, 28
	s_mov_b32 s6, 29
	s_set_inst_prefetch_distance 0x1
	.p2align	6
.LBB120_689:                            ; =>This Inner Loop Header: Depth=1
	ds_load_2addr_b64 v[6:9], v5 offset1:1
	s_waitcnt lgkmcnt(1)
	v_cmp_gt_f64_e32 vcc_lo, 0, v[0:1]
	v_xor_b32_e32 v10, 0x80000000, v1
	v_cmp_gt_f64_e64 s2, 0, v[2:3]
	v_xor_b32_e32 v12, 0x80000000, v3
	v_add_nc_u32_e32 v5, 16, v5
	s_waitcnt lgkmcnt(0)
	v_cmp_gt_f64_e64 s3, 0, v[6:7]
	v_dual_mov_b32 v41, v8 :: v_dual_mov_b32 v14, v6
	v_cndmask_b32_e32 v11, v1, v10, vcc_lo
	v_xor_b32_e32 v10, 0x80000000, v7
	v_cndmask_b32_e64 v13, v3, v12, s2
	v_xor_b32_e32 v12, 0x80000000, v9
	s_delay_alu instid0(VALU_DEP_3) | instskip(SKIP_2) | instid1(VALU_DEP_2)
	v_cndmask_b32_e64 v15, v7, v10, s3
	v_cmp_gt_f64_e64 s3, 0, v[8:9]
	v_cndmask_b32_e32 v10, v0, v0, vcc_lo
	v_cndmask_b32_e64 v42, v9, v12, s3
	v_cndmask_b32_e64 v12, v2, v2, s2
	s_delay_alu instid0(VALU_DEP_2) | instskip(NEXT) | instid1(VALU_DEP_2)
	v_add_f64 v[14:15], v[14:15], v[41:42]
	v_add_f64 v[10:11], v[10:11], v[12:13]
	s_delay_alu instid0(VALU_DEP_1) | instskip(SKIP_4) | instid1(SALU_CYCLE_1)
	v_cmp_lt_f64_e32 vcc_lo, v[10:11], v[14:15]
	v_dual_cndmask_b32 v1, v1, v7 :: v_dual_cndmask_b32 v0, v0, v6
	v_dual_cndmask_b32 v3, v3, v9 :: v_dual_cndmask_b32 v2, v2, v8
	v_cndmask_b32_e64 v4, v4, s6, vcc_lo
	s_add_i32 s6, s6, 1
	s_cmp_lg_u32 s5, s6
	s_cbranch_scc1 .LBB120_689
.LBB120_690:
	s_set_inst_prefetch_distance 0x2
	s_waitcnt lgkmcnt(0)
	v_cmp_eq_f64_e32 vcc_lo, 0, v[0:1]
	v_cmp_eq_f64_e64 s2, 0, v[2:3]
	s_delay_alu instid0(VALU_DEP_1) | instskip(NEXT) | instid1(SALU_CYCLE_1)
	s_and_b32 s2, vcc_lo, s2
	s_and_saveexec_b32 s3, s2
	s_delay_alu instid0(SALU_CYCLE_1)
	s_xor_b32 s2, exec_lo, s3
; %bb.691:
	v_cmp_ne_u32_e32 vcc_lo, 0, v35
	v_cndmask_b32_e32 v35, 29, v35, vcc_lo
; %bb.692:
	s_and_not1_saveexec_b32 s3, s2
	s_cbranch_execz .LBB120_698
; %bb.693:
	v_cmp_gt_f64_e32 vcc_lo, 0, v[0:1]
	v_cmp_gt_f64_e64 s2, 0, v[2:3]
	v_xor_b32_e32 v5, 0x80000000, v1
	v_xor_b32_e32 v7, 0x80000000, v3
	s_delay_alu instid0(VALU_DEP_2) | instskip(NEXT) | instid1(VALU_DEP_2)
	v_dual_cndmask_b32 v6, v1, v5 :: v_dual_cndmask_b32 v5, v0, v0
	v_cndmask_b32_e64 v8, v3, v7, s2
	v_cndmask_b32_e64 v7, v2, v2, s2
	s_mov_b32 s2, exec_lo
	s_delay_alu instid0(VALU_DEP_1)
	v_cmpx_ngt_f64_e32 v[5:6], v[7:8]
	s_xor_b32 s2, exec_lo, s2
	s_cbranch_execz .LBB120_695
; %bb.694:
	v_div_scale_f64 v[5:6], null, v[2:3], v[2:3], v[0:1]
	v_div_scale_f64 v[11:12], vcc_lo, v[0:1], v[2:3], v[0:1]
	s_delay_alu instid0(VALU_DEP_2) | instskip(SKIP_2) | instid1(VALU_DEP_1)
	v_rcp_f64_e32 v[7:8], v[5:6]
	s_waitcnt_depctr 0xfff
	v_fma_f64 v[9:10], -v[5:6], v[7:8], 1.0
	v_fma_f64 v[7:8], v[7:8], v[9:10], v[7:8]
	s_delay_alu instid0(VALU_DEP_1) | instskip(NEXT) | instid1(VALU_DEP_1)
	v_fma_f64 v[9:10], -v[5:6], v[7:8], 1.0
	v_fma_f64 v[7:8], v[7:8], v[9:10], v[7:8]
	s_delay_alu instid0(VALU_DEP_1) | instskip(NEXT) | instid1(VALU_DEP_1)
	v_mul_f64 v[9:10], v[11:12], v[7:8]
	v_fma_f64 v[5:6], -v[5:6], v[9:10], v[11:12]
	s_delay_alu instid0(VALU_DEP_1) | instskip(NEXT) | instid1(VALU_DEP_1)
	v_div_fmas_f64 v[5:6], v[5:6], v[7:8], v[9:10]
	v_div_fixup_f64 v[5:6], v[5:6], v[2:3], v[0:1]
	s_delay_alu instid0(VALU_DEP_1) | instskip(NEXT) | instid1(VALU_DEP_1)
	v_fma_f64 v[0:1], v[0:1], v[5:6], v[2:3]
	v_div_scale_f64 v[2:3], null, v[0:1], v[0:1], 1.0
	s_delay_alu instid0(VALU_DEP_1) | instskip(SKIP_2) | instid1(VALU_DEP_1)
	v_rcp_f64_e32 v[7:8], v[2:3]
	s_waitcnt_depctr 0xfff
	v_fma_f64 v[9:10], -v[2:3], v[7:8], 1.0
	v_fma_f64 v[7:8], v[7:8], v[9:10], v[7:8]
	s_delay_alu instid0(VALU_DEP_1) | instskip(NEXT) | instid1(VALU_DEP_1)
	v_fma_f64 v[9:10], -v[2:3], v[7:8], 1.0
	v_fma_f64 v[7:8], v[7:8], v[9:10], v[7:8]
	v_div_scale_f64 v[9:10], vcc_lo, 1.0, v[0:1], 1.0
	s_delay_alu instid0(VALU_DEP_1) | instskip(NEXT) | instid1(VALU_DEP_1)
	v_mul_f64 v[11:12], v[9:10], v[7:8]
	v_fma_f64 v[2:3], -v[2:3], v[11:12], v[9:10]
	s_delay_alu instid0(VALU_DEP_1) | instskip(NEXT) | instid1(VALU_DEP_1)
	v_div_fmas_f64 v[2:3], v[2:3], v[7:8], v[11:12]
	v_div_fixup_f64 v[2:3], v[2:3], v[0:1], 1.0
	s_delay_alu instid0(VALU_DEP_1)
	v_mul_f64 v[0:1], v[5:6], v[2:3]
	v_xor_b32_e32 v3, 0x80000000, v3
.LBB120_695:
	s_and_not1_saveexec_b32 s2, s2
	s_cbranch_execz .LBB120_697
; %bb.696:
	s_delay_alu instid0(VALU_DEP_1) | instskip(SKIP_1) | instid1(VALU_DEP_2)
	v_div_scale_f64 v[5:6], null, v[0:1], v[0:1], v[2:3]
	v_div_scale_f64 v[11:12], vcc_lo, v[2:3], v[0:1], v[2:3]
	v_rcp_f64_e32 v[7:8], v[5:6]
	s_waitcnt_depctr 0xfff
	v_fma_f64 v[9:10], -v[5:6], v[7:8], 1.0
	s_delay_alu instid0(VALU_DEP_1) | instskip(NEXT) | instid1(VALU_DEP_1)
	v_fma_f64 v[7:8], v[7:8], v[9:10], v[7:8]
	v_fma_f64 v[9:10], -v[5:6], v[7:8], 1.0
	s_delay_alu instid0(VALU_DEP_1) | instskip(NEXT) | instid1(VALU_DEP_1)
	v_fma_f64 v[7:8], v[7:8], v[9:10], v[7:8]
	v_mul_f64 v[9:10], v[11:12], v[7:8]
	s_delay_alu instid0(VALU_DEP_1) | instskip(NEXT) | instid1(VALU_DEP_1)
	v_fma_f64 v[5:6], -v[5:6], v[9:10], v[11:12]
	v_div_fmas_f64 v[5:6], v[5:6], v[7:8], v[9:10]
	s_delay_alu instid0(VALU_DEP_1) | instskip(NEXT) | instid1(VALU_DEP_1)
	v_div_fixup_f64 v[5:6], v[5:6], v[0:1], v[2:3]
	v_fma_f64 v[0:1], v[2:3], v[5:6], v[0:1]
	s_delay_alu instid0(VALU_DEP_1) | instskip(NEXT) | instid1(VALU_DEP_1)
	v_div_scale_f64 v[2:3], null, v[0:1], v[0:1], 1.0
	v_rcp_f64_e32 v[7:8], v[2:3]
	s_waitcnt_depctr 0xfff
	v_fma_f64 v[9:10], -v[2:3], v[7:8], 1.0
	s_delay_alu instid0(VALU_DEP_1) | instskip(NEXT) | instid1(VALU_DEP_1)
	v_fma_f64 v[7:8], v[7:8], v[9:10], v[7:8]
	v_fma_f64 v[9:10], -v[2:3], v[7:8], 1.0
	s_delay_alu instid0(VALU_DEP_1) | instskip(SKIP_1) | instid1(VALU_DEP_1)
	v_fma_f64 v[7:8], v[7:8], v[9:10], v[7:8]
	v_div_scale_f64 v[9:10], vcc_lo, 1.0, v[0:1], 1.0
	v_mul_f64 v[11:12], v[9:10], v[7:8]
	s_delay_alu instid0(VALU_DEP_1) | instskip(NEXT) | instid1(VALU_DEP_1)
	v_fma_f64 v[2:3], -v[2:3], v[11:12], v[9:10]
	v_div_fmas_f64 v[2:3], v[2:3], v[7:8], v[11:12]
	s_delay_alu instid0(VALU_DEP_1) | instskip(NEXT) | instid1(VALU_DEP_1)
	v_div_fixup_f64 v[0:1], v[2:3], v[0:1], 1.0
	v_mul_f64 v[2:3], v[5:6], -v[0:1]
.LBB120_697:
	s_or_b32 exec_lo, exec_lo, s2
.LBB120_698:
	s_delay_alu instid0(SALU_CYCLE_1) | instskip(NEXT) | instid1(SALU_CYCLE_1)
	s_or_b32 exec_lo, exec_lo, s3
	s_mov_b32 s2, exec_lo
	v_cmpx_ne_u32_e64 v38, v4
	s_xor_b32 s2, exec_lo, s2
	s_cbranch_execz .LBB120_704
; %bb.699:
	s_mov_b32 s3, exec_lo
	v_cmpx_eq_u32_e32 28, v38
	s_cbranch_execz .LBB120_703
; %bb.700:
	v_cmp_ne_u32_e32 vcc_lo, 28, v4
	s_xor_b32 s6, s4, -1
	s_delay_alu instid0(SALU_CYCLE_1) | instskip(NEXT) | instid1(SALU_CYCLE_1)
	s_and_b32 s7, s6, vcc_lo
	s_and_saveexec_b32 s6, s7
	s_cbranch_execz .LBB120_702
; %bb.701:
	v_ashrrev_i32_e32 v5, 31, v4
	s_delay_alu instid0(VALU_DEP_1) | instskip(NEXT) | instid1(VALU_DEP_1)
	v_lshlrev_b64 v[5:6], 2, v[4:5]
	v_add_co_u32 v5, vcc_lo, v18, v5
	s_delay_alu instid0(VALU_DEP_2)
	v_add_co_ci_u32_e32 v6, vcc_lo, v19, v6, vcc_lo
	s_clause 0x1
	flat_load_b32 v7, v[5:6]
	flat_load_b32 v8, v[18:19] offset:112
	s_waitcnt vmcnt(1) lgkmcnt(1)
	flat_store_b32 v[18:19], v7 offset:112
	s_waitcnt vmcnt(0) lgkmcnt(1)
	flat_store_b32 v[5:6], v8
.LBB120_702:
	s_or_b32 exec_lo, exec_lo, s6
	v_mov_b32_e32 v38, v4
	v_mov_b32_e32 v37, v4
.LBB120_703:
	s_or_b32 exec_lo, exec_lo, s3
.LBB120_704:
	s_and_not1_saveexec_b32 s2, s2
	s_cbranch_execz .LBB120_706
; %bb.705:
	s_clause 0x1f
	scratch_load_b128 v[4:7], v116, off
	scratch_load_b128 v[8:11], v120, off
	;; [unrolled: 1-line block ×32, first 2 shown]
	v_mov_b32_e32 v38, 28
	s_waitcnt vmcnt(31)
	ds_store_2addr_b64 v20, v[4:5], v[6:7] offset0:58 offset1:59
	s_waitcnt vmcnt(30)
	ds_store_2addr_b64 v20, v[8:9], v[10:11] offset0:60 offset1:61
	;; [unrolled: 2-line block ×32, first 2 shown]
.LBB120_706:
	s_or_b32 exec_lo, exec_lo, s2
	s_delay_alu instid0(SALU_CYCLE_1)
	s_mov_b32 s2, exec_lo
	s_waitcnt lgkmcnt(0)
	s_waitcnt_vscnt null, 0x0
	s_barrier
	buffer_gl0_inv
	v_cmpx_lt_i32_e32 28, v38
	s_cbranch_execz .LBB120_709
; %bb.707:
	scratch_load_b128 v[4:7], off, off offset:448
	s_mov_b32 s3, 0
	s_waitcnt vmcnt(0)
	v_mul_f64 v[8:9], v[2:3], v[6:7]
	v_mul_f64 v[6:7], v[0:1], v[6:7]
	s_delay_alu instid0(VALU_DEP_2) | instskip(NEXT) | instid1(VALU_DEP_2)
	v_fma_f64 v[0:1], v[0:1], v[4:5], -v[8:9]
	v_fma_f64 v[2:3], v[2:3], v[4:5], v[6:7]
	v_add3_u32 v4, v36, 0, 0x1d0
	v_mov_b32_e32 v5, 0
	scratch_store_b128 off, v[0:3], off offset:448
.LBB120_708:                            ; =>This Inner Loop Header: Depth=1
	v_readfirstlane_b32 s6, v5
	v_add_nc_u32_e32 v14, s3, v4
	s_delay_alu instid0(VALU_DEP_2)
	s_add_i32 s6, s6, s3
	s_add_i32 s3, s3, 64
	s_add_i32 s7, s6, 0x1d0
	s_add_i32 s9, s6, 0x1e0
	s_add_i32 s12, s6, 0x1f0
	s_addk_i32 s6, 0x200
	s_clause 0x3
	scratch_load_b128 v[6:9], off, s7
	scratch_load_b128 v[10:13], off, s9
	;; [unrolled: 1-line block ×4, first 2 shown]
	ds_load_2addr_b64 v[57:60], v14 offset1:1
	ds_load_2addr_b64 v[61:64], v14 offset0:2 offset1:3
	ds_load_2addr_b64 v[73:76], v14 offset0:4 offset1:5
	ds_load_2addr_b64 v[81:84], v14 offset0:6 offset1:7
	s_cmpk_lg_i32 s3, 0x200
	s_waitcnt lgkmcnt(3)
	v_mul_f64 v[14:15], v[59:60], v[2:3]
	v_mul_f64 v[49:50], v[57:58], v[2:3]
	s_waitcnt lgkmcnt(2)
	v_mul_f64 v[53:54], v[63:64], v[2:3]
	v_mul_f64 v[65:66], v[61:62], v[2:3]
	s_waitcnt lgkmcnt(1)
	v_mul_f64 v[69:70], v[75:76], v[2:3]
	v_mul_f64 v[77:78], v[73:74], v[2:3]
	s_waitcnt lgkmcnt(0)
	v_mul_f64 v[85:86], v[83:84], v[2:3]
	v_mul_f64 v[87:88], v[81:82], v[2:3]
	v_fma_f64 v[14:15], v[57:58], v[0:1], -v[14:15]
	v_fma_f64 v[49:50], v[59:60], v[0:1], v[49:50]
	v_fma_f64 v[53:54], v[61:62], v[0:1], -v[53:54]
	v_fma_f64 v[57:58], v[63:64], v[0:1], v[65:66]
	;; [unrolled: 2-line block ×4, first 2 shown]
	s_waitcnt vmcnt(3)
	v_add_f64 v[6:7], v[6:7], -v[14:15]
	v_add_f64 v[8:9], v[8:9], -v[49:50]
	s_waitcnt vmcnt(2)
	v_add_f64 v[10:11], v[10:11], -v[53:54]
	v_add_f64 v[12:13], v[12:13], -v[57:58]
	;; [unrolled: 3-line block ×4, first 2 shown]
	s_clause 0x3
	scratch_store_b128 off, v[6:9], s7
	scratch_store_b128 off, v[10:13], s9
	;; [unrolled: 1-line block ×4, first 2 shown]
	s_cbranch_scc1 .LBB120_708
.LBB120_709:
	s_or_b32 exec_lo, exec_lo, s2
	s_waitcnt_vscnt null, 0x0
	s_barrier
	buffer_gl0_inv
	scratch_load_b128 v[0:3], v116, off
	v_lshl_add_u32 v4, v38, 4, v20
	s_cmp_lt_i32 s5, 31
	s_waitcnt vmcnt(0)
	ds_store_2addr_b64 v4, v[0:1], v[2:3] offset1:1
	s_waitcnt lgkmcnt(0)
	s_barrier
	buffer_gl0_inv
	ds_load_2addr_b64 v[0:3], v20 offset0:58 offset1:59
	v_mov_b32_e32 v4, 29
	s_cbranch_scc1 .LBB120_712
; %bb.710:
	v_add3_u32 v5, v36, 0, 0x1e0
	v_mov_b32_e32 v4, 29
	s_mov_b32 s6, 30
	s_set_inst_prefetch_distance 0x1
	.p2align	6
.LBB120_711:                            ; =>This Inner Loop Header: Depth=1
	ds_load_2addr_b64 v[6:9], v5 offset1:1
	s_waitcnt lgkmcnt(1)
	v_cmp_gt_f64_e32 vcc_lo, 0, v[0:1]
	v_xor_b32_e32 v10, 0x80000000, v1
	v_cmp_gt_f64_e64 s2, 0, v[2:3]
	v_xor_b32_e32 v12, 0x80000000, v3
	v_add_nc_u32_e32 v5, 16, v5
	s_waitcnt lgkmcnt(0)
	v_cmp_gt_f64_e64 s3, 0, v[6:7]
	v_dual_mov_b32 v41, v8 :: v_dual_mov_b32 v14, v6
	v_cndmask_b32_e32 v11, v1, v10, vcc_lo
	v_xor_b32_e32 v10, 0x80000000, v7
	v_cndmask_b32_e64 v13, v3, v12, s2
	v_xor_b32_e32 v12, 0x80000000, v9
	s_delay_alu instid0(VALU_DEP_3) | instskip(SKIP_2) | instid1(VALU_DEP_2)
	v_cndmask_b32_e64 v15, v7, v10, s3
	v_cmp_gt_f64_e64 s3, 0, v[8:9]
	v_cndmask_b32_e32 v10, v0, v0, vcc_lo
	v_cndmask_b32_e64 v42, v9, v12, s3
	v_cndmask_b32_e64 v12, v2, v2, s2
	s_delay_alu instid0(VALU_DEP_2) | instskip(NEXT) | instid1(VALU_DEP_2)
	v_add_f64 v[14:15], v[14:15], v[41:42]
	v_add_f64 v[10:11], v[10:11], v[12:13]
	s_delay_alu instid0(VALU_DEP_1) | instskip(SKIP_4) | instid1(SALU_CYCLE_1)
	v_cmp_lt_f64_e32 vcc_lo, v[10:11], v[14:15]
	v_dual_cndmask_b32 v1, v1, v7 :: v_dual_cndmask_b32 v0, v0, v6
	v_dual_cndmask_b32 v3, v3, v9 :: v_dual_cndmask_b32 v2, v2, v8
	v_cndmask_b32_e64 v4, v4, s6, vcc_lo
	s_add_i32 s6, s6, 1
	s_cmp_lg_u32 s5, s6
	s_cbranch_scc1 .LBB120_711
.LBB120_712:
	s_set_inst_prefetch_distance 0x2
	s_waitcnt lgkmcnt(0)
	v_cmp_eq_f64_e32 vcc_lo, 0, v[0:1]
	v_cmp_eq_f64_e64 s2, 0, v[2:3]
	s_delay_alu instid0(VALU_DEP_1) | instskip(NEXT) | instid1(SALU_CYCLE_1)
	s_and_b32 s2, vcc_lo, s2
	s_and_saveexec_b32 s3, s2
	s_delay_alu instid0(SALU_CYCLE_1)
	s_xor_b32 s2, exec_lo, s3
; %bb.713:
	v_cmp_ne_u32_e32 vcc_lo, 0, v35
	v_cndmask_b32_e32 v35, 30, v35, vcc_lo
; %bb.714:
	s_and_not1_saveexec_b32 s3, s2
	s_cbranch_execz .LBB120_720
; %bb.715:
	v_cmp_gt_f64_e32 vcc_lo, 0, v[0:1]
	v_cmp_gt_f64_e64 s2, 0, v[2:3]
	v_xor_b32_e32 v5, 0x80000000, v1
	v_xor_b32_e32 v7, 0x80000000, v3
	s_delay_alu instid0(VALU_DEP_2) | instskip(NEXT) | instid1(VALU_DEP_2)
	v_dual_cndmask_b32 v6, v1, v5 :: v_dual_cndmask_b32 v5, v0, v0
	v_cndmask_b32_e64 v8, v3, v7, s2
	v_cndmask_b32_e64 v7, v2, v2, s2
	s_mov_b32 s2, exec_lo
	s_delay_alu instid0(VALU_DEP_1)
	v_cmpx_ngt_f64_e32 v[5:6], v[7:8]
	s_xor_b32 s2, exec_lo, s2
	s_cbranch_execz .LBB120_717
; %bb.716:
	v_div_scale_f64 v[5:6], null, v[2:3], v[2:3], v[0:1]
	v_div_scale_f64 v[11:12], vcc_lo, v[0:1], v[2:3], v[0:1]
	s_delay_alu instid0(VALU_DEP_2) | instskip(SKIP_2) | instid1(VALU_DEP_1)
	v_rcp_f64_e32 v[7:8], v[5:6]
	s_waitcnt_depctr 0xfff
	v_fma_f64 v[9:10], -v[5:6], v[7:8], 1.0
	v_fma_f64 v[7:8], v[7:8], v[9:10], v[7:8]
	s_delay_alu instid0(VALU_DEP_1) | instskip(NEXT) | instid1(VALU_DEP_1)
	v_fma_f64 v[9:10], -v[5:6], v[7:8], 1.0
	v_fma_f64 v[7:8], v[7:8], v[9:10], v[7:8]
	s_delay_alu instid0(VALU_DEP_1) | instskip(NEXT) | instid1(VALU_DEP_1)
	v_mul_f64 v[9:10], v[11:12], v[7:8]
	v_fma_f64 v[5:6], -v[5:6], v[9:10], v[11:12]
	s_delay_alu instid0(VALU_DEP_1) | instskip(NEXT) | instid1(VALU_DEP_1)
	v_div_fmas_f64 v[5:6], v[5:6], v[7:8], v[9:10]
	v_div_fixup_f64 v[5:6], v[5:6], v[2:3], v[0:1]
	s_delay_alu instid0(VALU_DEP_1) | instskip(NEXT) | instid1(VALU_DEP_1)
	v_fma_f64 v[0:1], v[0:1], v[5:6], v[2:3]
	v_div_scale_f64 v[2:3], null, v[0:1], v[0:1], 1.0
	s_delay_alu instid0(VALU_DEP_1) | instskip(SKIP_2) | instid1(VALU_DEP_1)
	v_rcp_f64_e32 v[7:8], v[2:3]
	s_waitcnt_depctr 0xfff
	v_fma_f64 v[9:10], -v[2:3], v[7:8], 1.0
	v_fma_f64 v[7:8], v[7:8], v[9:10], v[7:8]
	s_delay_alu instid0(VALU_DEP_1) | instskip(NEXT) | instid1(VALU_DEP_1)
	v_fma_f64 v[9:10], -v[2:3], v[7:8], 1.0
	v_fma_f64 v[7:8], v[7:8], v[9:10], v[7:8]
	v_div_scale_f64 v[9:10], vcc_lo, 1.0, v[0:1], 1.0
	s_delay_alu instid0(VALU_DEP_1) | instskip(NEXT) | instid1(VALU_DEP_1)
	v_mul_f64 v[11:12], v[9:10], v[7:8]
	v_fma_f64 v[2:3], -v[2:3], v[11:12], v[9:10]
	s_delay_alu instid0(VALU_DEP_1) | instskip(NEXT) | instid1(VALU_DEP_1)
	v_div_fmas_f64 v[2:3], v[2:3], v[7:8], v[11:12]
	v_div_fixup_f64 v[2:3], v[2:3], v[0:1], 1.0
	s_delay_alu instid0(VALU_DEP_1)
	v_mul_f64 v[0:1], v[5:6], v[2:3]
	v_xor_b32_e32 v3, 0x80000000, v3
.LBB120_717:
	s_and_not1_saveexec_b32 s2, s2
	s_cbranch_execz .LBB120_719
; %bb.718:
	s_delay_alu instid0(VALU_DEP_1) | instskip(SKIP_1) | instid1(VALU_DEP_2)
	v_div_scale_f64 v[5:6], null, v[0:1], v[0:1], v[2:3]
	v_div_scale_f64 v[11:12], vcc_lo, v[2:3], v[0:1], v[2:3]
	v_rcp_f64_e32 v[7:8], v[5:6]
	s_waitcnt_depctr 0xfff
	v_fma_f64 v[9:10], -v[5:6], v[7:8], 1.0
	s_delay_alu instid0(VALU_DEP_1) | instskip(NEXT) | instid1(VALU_DEP_1)
	v_fma_f64 v[7:8], v[7:8], v[9:10], v[7:8]
	v_fma_f64 v[9:10], -v[5:6], v[7:8], 1.0
	s_delay_alu instid0(VALU_DEP_1) | instskip(NEXT) | instid1(VALU_DEP_1)
	v_fma_f64 v[7:8], v[7:8], v[9:10], v[7:8]
	v_mul_f64 v[9:10], v[11:12], v[7:8]
	s_delay_alu instid0(VALU_DEP_1) | instskip(NEXT) | instid1(VALU_DEP_1)
	v_fma_f64 v[5:6], -v[5:6], v[9:10], v[11:12]
	v_div_fmas_f64 v[5:6], v[5:6], v[7:8], v[9:10]
	s_delay_alu instid0(VALU_DEP_1) | instskip(NEXT) | instid1(VALU_DEP_1)
	v_div_fixup_f64 v[5:6], v[5:6], v[0:1], v[2:3]
	v_fma_f64 v[0:1], v[2:3], v[5:6], v[0:1]
	s_delay_alu instid0(VALU_DEP_1) | instskip(NEXT) | instid1(VALU_DEP_1)
	v_div_scale_f64 v[2:3], null, v[0:1], v[0:1], 1.0
	v_rcp_f64_e32 v[7:8], v[2:3]
	s_waitcnt_depctr 0xfff
	v_fma_f64 v[9:10], -v[2:3], v[7:8], 1.0
	s_delay_alu instid0(VALU_DEP_1) | instskip(NEXT) | instid1(VALU_DEP_1)
	v_fma_f64 v[7:8], v[7:8], v[9:10], v[7:8]
	v_fma_f64 v[9:10], -v[2:3], v[7:8], 1.0
	s_delay_alu instid0(VALU_DEP_1) | instskip(SKIP_1) | instid1(VALU_DEP_1)
	v_fma_f64 v[7:8], v[7:8], v[9:10], v[7:8]
	v_div_scale_f64 v[9:10], vcc_lo, 1.0, v[0:1], 1.0
	v_mul_f64 v[11:12], v[9:10], v[7:8]
	s_delay_alu instid0(VALU_DEP_1) | instskip(NEXT) | instid1(VALU_DEP_1)
	v_fma_f64 v[2:3], -v[2:3], v[11:12], v[9:10]
	v_div_fmas_f64 v[2:3], v[2:3], v[7:8], v[11:12]
	s_delay_alu instid0(VALU_DEP_1) | instskip(NEXT) | instid1(VALU_DEP_1)
	v_div_fixup_f64 v[0:1], v[2:3], v[0:1], 1.0
	v_mul_f64 v[2:3], v[5:6], -v[0:1]
.LBB120_719:
	s_or_b32 exec_lo, exec_lo, s2
.LBB120_720:
	s_delay_alu instid0(SALU_CYCLE_1) | instskip(NEXT) | instid1(SALU_CYCLE_1)
	s_or_b32 exec_lo, exec_lo, s3
	s_mov_b32 s2, exec_lo
	v_cmpx_ne_u32_e64 v38, v4
	s_xor_b32 s2, exec_lo, s2
	s_cbranch_execz .LBB120_726
; %bb.721:
	s_mov_b32 s3, exec_lo
	v_cmpx_eq_u32_e32 29, v38
	s_cbranch_execz .LBB120_725
; %bb.722:
	v_cmp_ne_u32_e32 vcc_lo, 29, v4
	s_xor_b32 s6, s4, -1
	s_delay_alu instid0(SALU_CYCLE_1) | instskip(NEXT) | instid1(SALU_CYCLE_1)
	s_and_b32 s7, s6, vcc_lo
	s_and_saveexec_b32 s6, s7
	s_cbranch_execz .LBB120_724
; %bb.723:
	v_ashrrev_i32_e32 v5, 31, v4
	s_delay_alu instid0(VALU_DEP_1) | instskip(NEXT) | instid1(VALU_DEP_1)
	v_lshlrev_b64 v[5:6], 2, v[4:5]
	v_add_co_u32 v5, vcc_lo, v18, v5
	s_delay_alu instid0(VALU_DEP_2)
	v_add_co_ci_u32_e32 v6, vcc_lo, v19, v6, vcc_lo
	s_clause 0x1
	flat_load_b32 v7, v[5:6]
	flat_load_b32 v8, v[18:19] offset:116
	s_waitcnt vmcnt(1) lgkmcnt(1)
	flat_store_b32 v[18:19], v7 offset:116
	s_waitcnt vmcnt(0) lgkmcnt(1)
	flat_store_b32 v[5:6], v8
.LBB120_724:
	s_or_b32 exec_lo, exec_lo, s6
	v_mov_b32_e32 v38, v4
	v_mov_b32_e32 v37, v4
.LBB120_725:
	s_or_b32 exec_lo, exec_lo, s3
.LBB120_726:
	s_and_not1_saveexec_b32 s2, s2
	s_cbranch_execz .LBB120_728
; %bb.727:
	s_clause 0x1e
	scratch_load_b128 v[4:7], v120, off
	scratch_load_b128 v[8:11], v124, off
	;; [unrolled: 1-line block ×31, first 2 shown]
	v_mov_b32_e32 v38, 29
	s_waitcnt vmcnt(30)
	ds_store_2addr_b64 v20, v[4:5], v[6:7] offset0:60 offset1:61
	s_waitcnt vmcnt(29)
	ds_store_2addr_b64 v20, v[8:9], v[10:11] offset0:62 offset1:63
	s_waitcnt vmcnt(28)
	ds_store_2addr_b64 v20, v[12:13], v[14:15] offset0:64 offset1:65
	s_waitcnt vmcnt(27)
	ds_store_2addr_b64 v20, v[41:42], v[43:44] offset0:66 offset1:67
	s_waitcnt vmcnt(26)
	ds_store_2addr_b64 v20, v[45:46], v[47:48] offset0:68 offset1:69
	s_waitcnt vmcnt(25)
	ds_store_2addr_b64 v20, v[57:58], v[59:60] offset0:70 offset1:71
	s_waitcnt vmcnt(24)
	ds_store_2addr_b64 v20, v[61:62], v[63:64] offset0:72 offset1:73
	s_waitcnt vmcnt(23)
	ds_store_2addr_b64 v20, v[73:74], v[75:76] offset0:74 offset1:75
	s_waitcnt vmcnt(22)
	ds_store_2addr_b64 v20, v[81:82], v[83:84] offset0:76 offset1:77
	s_waitcnt vmcnt(21)
	ds_store_2addr_b64 v20, v[85:86], v[87:88] offset0:78 offset1:79
	s_waitcnt vmcnt(20)
	ds_store_2addr_b64 v20, v[89:90], v[91:92] offset0:80 offset1:81
	s_waitcnt vmcnt(19)
	ds_store_2addr_b64 v20, v[93:94], v[95:96] offset0:82 offset1:83
	s_waitcnt vmcnt(18)
	ds_store_2addr_b64 v20, v[129:130], v[131:132] offset0:84 offset1:85
	s_waitcnt vmcnt(17)
	ds_store_2addr_b64 v20, v[164:165], v[166:167] offset0:86 offset1:87
	s_waitcnt vmcnt(16)
	ds_store_2addr_b64 v20, v[168:169], v[170:171] offset0:88 offset1:89
	s_waitcnt vmcnt(15)
	ds_store_2addr_b64 v20, v[172:173], v[174:175] offset0:90 offset1:91
	s_waitcnt vmcnt(14)
	ds_store_2addr_b64 v20, v[176:177], v[178:179] offset0:92 offset1:93
	s_waitcnt vmcnt(13)
	ds_store_2addr_b64 v20, v[180:181], v[182:183] offset0:94 offset1:95
	s_waitcnt vmcnt(12)
	ds_store_2addr_b64 v20, v[184:185], v[186:187] offset0:96 offset1:97
	s_waitcnt vmcnt(11)
	ds_store_2addr_b64 v20, v[188:189], v[190:191] offset0:98 offset1:99
	s_waitcnt vmcnt(10)
	ds_store_2addr_b64 v20, v[192:193], v[194:195] offset0:100 offset1:101
	s_waitcnt vmcnt(9)
	ds_store_2addr_b64 v20, v[196:197], v[198:199] offset0:102 offset1:103
	s_waitcnt vmcnt(8)
	ds_store_2addr_b64 v20, v[200:201], v[202:203] offset0:104 offset1:105
	s_waitcnt vmcnt(7)
	ds_store_2addr_b64 v20, v[204:205], v[206:207] offset0:106 offset1:107
	s_waitcnt vmcnt(6)
	ds_store_2addr_b64 v20, v[208:209], v[210:211] offset0:108 offset1:109
	s_waitcnt vmcnt(5)
	ds_store_2addr_b64 v20, v[212:213], v[214:215] offset0:110 offset1:111
	s_waitcnt vmcnt(4)
	ds_store_2addr_b64 v20, v[216:217], v[218:219] offset0:112 offset1:113
	s_waitcnt vmcnt(3)
	ds_store_2addr_b64 v20, v[220:221], v[222:223] offset0:114 offset1:115
	s_waitcnt vmcnt(2)
	ds_store_2addr_b64 v20, v[224:225], v[226:227] offset0:116 offset1:117
	s_waitcnt vmcnt(1)
	ds_store_2addr_b64 v20, v[228:229], v[230:231] offset0:118 offset1:119
	s_waitcnt vmcnt(0)
	ds_store_2addr_b64 v20, v[232:233], v[234:235] offset0:120 offset1:121
.LBB120_728:
	s_or_b32 exec_lo, exec_lo, s2
	s_delay_alu instid0(SALU_CYCLE_1)
	s_mov_b32 s2, exec_lo
	s_waitcnt lgkmcnt(0)
	s_waitcnt_vscnt null, 0x0
	s_barrier
	buffer_gl0_inv
	v_cmpx_lt_i32_e32 29, v38
	s_cbranch_execz .LBB120_733
; %bb.729:
	scratch_load_b128 v[4:7], off, off offset:464
	s_mov_b32 s3, 0
	s_waitcnt vmcnt(0)
	v_mul_f64 v[8:9], v[2:3], v[6:7]
	v_mul_f64 v[6:7], v[0:1], v[6:7]
	s_delay_alu instid0(VALU_DEP_2) | instskip(NEXT) | instid1(VALU_DEP_2)
	v_fma_f64 v[0:1], v[0:1], v[4:5], -v[8:9]
	v_fma_f64 v[2:3], v[2:3], v[4:5], v[6:7]
	v_add3_u32 v4, v36, 0, 0x1e0
	v_mov_b32_e32 v5, 0
	scratch_store_b128 off, v[0:3], off offset:464
	s_branch .LBB120_731
.LBB120_730:                            ;   in Loop: Header=BB120_731 Depth=1
	s_and_not1_b32 vcc_lo, exec_lo, s7
	s_cbranch_vccz .LBB120_733
.LBB120_731:                            ; =>This Inner Loop Header: Depth=1
	v_readfirstlane_b32 s6, v5
	v_add_nc_u32_e32 v6, s3, v4
	s_mov_b32 s7, -1
	s_delay_alu instid0(VALU_DEP_2) | instskip(NEXT) | instid1(SALU_CYCLE_1)
	s_add_i32 s6, s6, s3
	s_add_i32 s9, s6, 0x1e0
	;; [unrolled: 1-line block ×3, first 2 shown]
	scratch_load_b128 v[7:10], off, s9
	s_add_i32 s14, s6, 0x200
	s_clause 0x1
	scratch_load_b128 v[11:14], off, s12
	scratch_load_b128 v[41:44], off, s14
	ds_load_2addr_b64 v[45:48], v6 offset1:1
	ds_load_2addr_b64 v[57:60], v6 offset0:2 offset1:3
	ds_load_2addr_b64 v[61:64], v6 offset0:4 offset1:5
	s_cmpk_eq_i32 s3, 0x1c0
	s_waitcnt lgkmcnt(2)
	v_mul_f64 v[49:50], v[47:48], v[2:3]
	v_mul_f64 v[53:54], v[45:46], v[2:3]
	s_waitcnt lgkmcnt(1)
	v_mul_f64 v[65:66], v[59:60], v[2:3]
	v_mul_f64 v[69:70], v[57:58], v[2:3]
	;; [unrolled: 3-line block ×3, first 2 shown]
	v_fma_f64 v[45:46], v[45:46], v[0:1], -v[49:50]
	v_fma_f64 v[47:48], v[47:48], v[0:1], v[53:54]
	v_fma_f64 v[49:50], v[57:58], v[0:1], -v[65:66]
	v_fma_f64 v[53:54], v[59:60], v[0:1], v[69:70]
	;; [unrolled: 2-line block ×3, first 2 shown]
	s_waitcnt vmcnt(2)
	v_add_f64 v[7:8], v[7:8], -v[45:46]
	v_add_f64 v[9:10], v[9:10], -v[47:48]
	s_waitcnt vmcnt(1)
	v_add_f64 v[11:12], v[11:12], -v[49:50]
	v_add_f64 v[13:14], v[13:14], -v[53:54]
	;; [unrolled: 3-line block ×3, first 2 shown]
	s_clause 0x2
	scratch_store_b128 off, v[7:10], s9
	scratch_store_b128 off, v[11:14], s12
	;; [unrolled: 1-line block ×3, first 2 shown]
	s_cbranch_scc1 .LBB120_730
; %bb.732:                              ;   in Loop: Header=BB120_731 Depth=1
	s_addk_i32 s6, 0x210
	ds_load_2addr_b64 v[11:14], v6 offset0:6 offset1:7
	scratch_load_b128 v[7:10], off, s6
	s_add_i32 s3, s3, 64
	s_mov_b32 s7, 0
	s_waitcnt lgkmcnt(0)
	v_mul_f64 v[41:42], v[13:14], v[2:3]
	v_mul_f64 v[43:44], v[11:12], v[2:3]
	s_delay_alu instid0(VALU_DEP_2) | instskip(NEXT) | instid1(VALU_DEP_2)
	v_fma_f64 v[11:12], v[11:12], v[0:1], -v[41:42]
	v_fma_f64 v[13:14], v[13:14], v[0:1], v[43:44]
	s_waitcnt vmcnt(0)
	s_delay_alu instid0(VALU_DEP_2) | instskip(NEXT) | instid1(VALU_DEP_2)
	v_add_f64 v[6:7], v[7:8], -v[11:12]
	v_add_f64 v[8:9], v[9:10], -v[13:14]
	scratch_store_b128 off, v[6:9], s6
	s_branch .LBB120_730
.LBB120_733:
	s_or_b32 exec_lo, exec_lo, s2
	s_waitcnt_vscnt null, 0x0
	s_barrier
	buffer_gl0_inv
	scratch_load_b128 v[0:3], v120, off
	v_lshl_add_u32 v4, v38, 4, v20
	s_cmp_lt_i32 s5, 32
	s_waitcnt vmcnt(0)
	ds_store_2addr_b64 v4, v[0:1], v[2:3] offset1:1
	s_waitcnt lgkmcnt(0)
	s_barrier
	buffer_gl0_inv
	ds_load_2addr_b64 v[0:3], v20 offset0:60 offset1:61
	v_mov_b32_e32 v4, 30
	s_cbranch_scc1 .LBB120_736
; %bb.734:
	v_add3_u32 v5, v36, 0, 0x1f0
	v_mov_b32_e32 v4, 30
	s_mov_b32 s6, 31
	s_set_inst_prefetch_distance 0x1
	.p2align	6
.LBB120_735:                            ; =>This Inner Loop Header: Depth=1
	ds_load_2addr_b64 v[6:9], v5 offset1:1
	s_waitcnt lgkmcnt(1)
	v_cmp_gt_f64_e32 vcc_lo, 0, v[0:1]
	v_xor_b32_e32 v10, 0x80000000, v1
	v_cmp_gt_f64_e64 s2, 0, v[2:3]
	v_xor_b32_e32 v12, 0x80000000, v3
	v_add_nc_u32_e32 v5, 16, v5
	s_waitcnt lgkmcnt(0)
	v_cmp_gt_f64_e64 s3, 0, v[6:7]
	v_dual_mov_b32 v41, v8 :: v_dual_mov_b32 v14, v6
	v_cndmask_b32_e32 v11, v1, v10, vcc_lo
	v_xor_b32_e32 v10, 0x80000000, v7
	v_cndmask_b32_e64 v13, v3, v12, s2
	v_xor_b32_e32 v12, 0x80000000, v9
	s_delay_alu instid0(VALU_DEP_3) | instskip(SKIP_2) | instid1(VALU_DEP_2)
	v_cndmask_b32_e64 v15, v7, v10, s3
	v_cmp_gt_f64_e64 s3, 0, v[8:9]
	v_cndmask_b32_e32 v10, v0, v0, vcc_lo
	v_cndmask_b32_e64 v42, v9, v12, s3
	v_cndmask_b32_e64 v12, v2, v2, s2
	s_delay_alu instid0(VALU_DEP_2) | instskip(NEXT) | instid1(VALU_DEP_2)
	v_add_f64 v[14:15], v[14:15], v[41:42]
	v_add_f64 v[10:11], v[10:11], v[12:13]
	s_delay_alu instid0(VALU_DEP_1) | instskip(SKIP_4) | instid1(SALU_CYCLE_1)
	v_cmp_lt_f64_e32 vcc_lo, v[10:11], v[14:15]
	v_dual_cndmask_b32 v1, v1, v7 :: v_dual_cndmask_b32 v0, v0, v6
	v_dual_cndmask_b32 v3, v3, v9 :: v_dual_cndmask_b32 v2, v2, v8
	v_cndmask_b32_e64 v4, v4, s6, vcc_lo
	s_add_i32 s6, s6, 1
	s_cmp_lg_u32 s5, s6
	s_cbranch_scc1 .LBB120_735
.LBB120_736:
	s_set_inst_prefetch_distance 0x2
	s_waitcnt lgkmcnt(0)
	v_cmp_eq_f64_e32 vcc_lo, 0, v[0:1]
	v_cmp_eq_f64_e64 s2, 0, v[2:3]
	s_delay_alu instid0(VALU_DEP_1) | instskip(NEXT) | instid1(SALU_CYCLE_1)
	s_and_b32 s2, vcc_lo, s2
	s_and_saveexec_b32 s3, s2
	s_delay_alu instid0(SALU_CYCLE_1)
	s_xor_b32 s2, exec_lo, s3
; %bb.737:
	v_cmp_ne_u32_e32 vcc_lo, 0, v35
	v_cndmask_b32_e32 v35, 31, v35, vcc_lo
; %bb.738:
	s_and_not1_saveexec_b32 s3, s2
	s_cbranch_execz .LBB120_744
; %bb.739:
	v_cmp_gt_f64_e32 vcc_lo, 0, v[0:1]
	v_cmp_gt_f64_e64 s2, 0, v[2:3]
	v_xor_b32_e32 v5, 0x80000000, v1
	v_xor_b32_e32 v7, 0x80000000, v3
	s_delay_alu instid0(VALU_DEP_2) | instskip(NEXT) | instid1(VALU_DEP_2)
	v_dual_cndmask_b32 v6, v1, v5 :: v_dual_cndmask_b32 v5, v0, v0
	v_cndmask_b32_e64 v8, v3, v7, s2
	v_cndmask_b32_e64 v7, v2, v2, s2
	s_mov_b32 s2, exec_lo
	s_delay_alu instid0(VALU_DEP_1)
	v_cmpx_ngt_f64_e32 v[5:6], v[7:8]
	s_xor_b32 s2, exec_lo, s2
	s_cbranch_execz .LBB120_741
; %bb.740:
	v_div_scale_f64 v[5:6], null, v[2:3], v[2:3], v[0:1]
	v_div_scale_f64 v[11:12], vcc_lo, v[0:1], v[2:3], v[0:1]
	s_delay_alu instid0(VALU_DEP_2) | instskip(SKIP_2) | instid1(VALU_DEP_1)
	v_rcp_f64_e32 v[7:8], v[5:6]
	s_waitcnt_depctr 0xfff
	v_fma_f64 v[9:10], -v[5:6], v[7:8], 1.0
	v_fma_f64 v[7:8], v[7:8], v[9:10], v[7:8]
	s_delay_alu instid0(VALU_DEP_1) | instskip(NEXT) | instid1(VALU_DEP_1)
	v_fma_f64 v[9:10], -v[5:6], v[7:8], 1.0
	v_fma_f64 v[7:8], v[7:8], v[9:10], v[7:8]
	s_delay_alu instid0(VALU_DEP_1) | instskip(NEXT) | instid1(VALU_DEP_1)
	v_mul_f64 v[9:10], v[11:12], v[7:8]
	v_fma_f64 v[5:6], -v[5:6], v[9:10], v[11:12]
	s_delay_alu instid0(VALU_DEP_1) | instskip(NEXT) | instid1(VALU_DEP_1)
	v_div_fmas_f64 v[5:6], v[5:6], v[7:8], v[9:10]
	v_div_fixup_f64 v[5:6], v[5:6], v[2:3], v[0:1]
	s_delay_alu instid0(VALU_DEP_1) | instskip(NEXT) | instid1(VALU_DEP_1)
	v_fma_f64 v[0:1], v[0:1], v[5:6], v[2:3]
	v_div_scale_f64 v[2:3], null, v[0:1], v[0:1], 1.0
	s_delay_alu instid0(VALU_DEP_1) | instskip(SKIP_2) | instid1(VALU_DEP_1)
	v_rcp_f64_e32 v[7:8], v[2:3]
	s_waitcnt_depctr 0xfff
	v_fma_f64 v[9:10], -v[2:3], v[7:8], 1.0
	v_fma_f64 v[7:8], v[7:8], v[9:10], v[7:8]
	s_delay_alu instid0(VALU_DEP_1) | instskip(NEXT) | instid1(VALU_DEP_1)
	v_fma_f64 v[9:10], -v[2:3], v[7:8], 1.0
	v_fma_f64 v[7:8], v[7:8], v[9:10], v[7:8]
	v_div_scale_f64 v[9:10], vcc_lo, 1.0, v[0:1], 1.0
	s_delay_alu instid0(VALU_DEP_1) | instskip(NEXT) | instid1(VALU_DEP_1)
	v_mul_f64 v[11:12], v[9:10], v[7:8]
	v_fma_f64 v[2:3], -v[2:3], v[11:12], v[9:10]
	s_delay_alu instid0(VALU_DEP_1) | instskip(NEXT) | instid1(VALU_DEP_1)
	v_div_fmas_f64 v[2:3], v[2:3], v[7:8], v[11:12]
	v_div_fixup_f64 v[2:3], v[2:3], v[0:1], 1.0
	s_delay_alu instid0(VALU_DEP_1)
	v_mul_f64 v[0:1], v[5:6], v[2:3]
	v_xor_b32_e32 v3, 0x80000000, v3
.LBB120_741:
	s_and_not1_saveexec_b32 s2, s2
	s_cbranch_execz .LBB120_743
; %bb.742:
	s_delay_alu instid0(VALU_DEP_1) | instskip(SKIP_1) | instid1(VALU_DEP_2)
	v_div_scale_f64 v[5:6], null, v[0:1], v[0:1], v[2:3]
	v_div_scale_f64 v[11:12], vcc_lo, v[2:3], v[0:1], v[2:3]
	v_rcp_f64_e32 v[7:8], v[5:6]
	s_waitcnt_depctr 0xfff
	v_fma_f64 v[9:10], -v[5:6], v[7:8], 1.0
	s_delay_alu instid0(VALU_DEP_1) | instskip(NEXT) | instid1(VALU_DEP_1)
	v_fma_f64 v[7:8], v[7:8], v[9:10], v[7:8]
	v_fma_f64 v[9:10], -v[5:6], v[7:8], 1.0
	s_delay_alu instid0(VALU_DEP_1) | instskip(NEXT) | instid1(VALU_DEP_1)
	v_fma_f64 v[7:8], v[7:8], v[9:10], v[7:8]
	v_mul_f64 v[9:10], v[11:12], v[7:8]
	s_delay_alu instid0(VALU_DEP_1) | instskip(NEXT) | instid1(VALU_DEP_1)
	v_fma_f64 v[5:6], -v[5:6], v[9:10], v[11:12]
	v_div_fmas_f64 v[5:6], v[5:6], v[7:8], v[9:10]
	s_delay_alu instid0(VALU_DEP_1) | instskip(NEXT) | instid1(VALU_DEP_1)
	v_div_fixup_f64 v[5:6], v[5:6], v[0:1], v[2:3]
	v_fma_f64 v[0:1], v[2:3], v[5:6], v[0:1]
	s_delay_alu instid0(VALU_DEP_1) | instskip(NEXT) | instid1(VALU_DEP_1)
	v_div_scale_f64 v[2:3], null, v[0:1], v[0:1], 1.0
	v_rcp_f64_e32 v[7:8], v[2:3]
	s_waitcnt_depctr 0xfff
	v_fma_f64 v[9:10], -v[2:3], v[7:8], 1.0
	s_delay_alu instid0(VALU_DEP_1) | instskip(NEXT) | instid1(VALU_DEP_1)
	v_fma_f64 v[7:8], v[7:8], v[9:10], v[7:8]
	v_fma_f64 v[9:10], -v[2:3], v[7:8], 1.0
	s_delay_alu instid0(VALU_DEP_1) | instskip(SKIP_1) | instid1(VALU_DEP_1)
	v_fma_f64 v[7:8], v[7:8], v[9:10], v[7:8]
	v_div_scale_f64 v[9:10], vcc_lo, 1.0, v[0:1], 1.0
	v_mul_f64 v[11:12], v[9:10], v[7:8]
	s_delay_alu instid0(VALU_DEP_1) | instskip(NEXT) | instid1(VALU_DEP_1)
	v_fma_f64 v[2:3], -v[2:3], v[11:12], v[9:10]
	v_div_fmas_f64 v[2:3], v[2:3], v[7:8], v[11:12]
	s_delay_alu instid0(VALU_DEP_1) | instskip(NEXT) | instid1(VALU_DEP_1)
	v_div_fixup_f64 v[0:1], v[2:3], v[0:1], 1.0
	v_mul_f64 v[2:3], v[5:6], -v[0:1]
.LBB120_743:
	s_or_b32 exec_lo, exec_lo, s2
.LBB120_744:
	s_delay_alu instid0(SALU_CYCLE_1) | instskip(NEXT) | instid1(SALU_CYCLE_1)
	s_or_b32 exec_lo, exec_lo, s3
	s_mov_b32 s2, exec_lo
	v_cmpx_ne_u32_e64 v38, v4
	s_xor_b32 s2, exec_lo, s2
	s_cbranch_execz .LBB120_750
; %bb.745:
	s_mov_b32 s3, exec_lo
	v_cmpx_eq_u32_e32 30, v38
	s_cbranch_execz .LBB120_749
; %bb.746:
	v_cmp_ne_u32_e32 vcc_lo, 30, v4
	s_xor_b32 s6, s4, -1
	s_delay_alu instid0(SALU_CYCLE_1) | instskip(NEXT) | instid1(SALU_CYCLE_1)
	s_and_b32 s7, s6, vcc_lo
	s_and_saveexec_b32 s6, s7
	s_cbranch_execz .LBB120_748
; %bb.747:
	v_ashrrev_i32_e32 v5, 31, v4
	s_delay_alu instid0(VALU_DEP_1) | instskip(NEXT) | instid1(VALU_DEP_1)
	v_lshlrev_b64 v[5:6], 2, v[4:5]
	v_add_co_u32 v5, vcc_lo, v18, v5
	s_delay_alu instid0(VALU_DEP_2)
	v_add_co_ci_u32_e32 v6, vcc_lo, v19, v6, vcc_lo
	s_clause 0x1
	flat_load_b32 v7, v[5:6]
	flat_load_b32 v8, v[18:19] offset:120
	s_waitcnt vmcnt(1) lgkmcnt(1)
	flat_store_b32 v[18:19], v7 offset:120
	s_waitcnt vmcnt(0) lgkmcnt(1)
	flat_store_b32 v[5:6], v8
.LBB120_748:
	s_or_b32 exec_lo, exec_lo, s6
	v_mov_b32_e32 v38, v4
	v_mov_b32_e32 v37, v4
.LBB120_749:
	s_or_b32 exec_lo, exec_lo, s3
.LBB120_750:
	s_and_not1_saveexec_b32 s2, s2
	s_cbranch_execz .LBB120_752
; %bb.751:
	s_clause 0x1d
	scratch_load_b128 v[4:7], v124, off
	scratch_load_b128 v[8:11], v128, off
	;; [unrolled: 1-line block ×30, first 2 shown]
	v_mov_b32_e32 v38, 30
	s_waitcnt vmcnt(29)
	ds_store_2addr_b64 v20, v[4:5], v[6:7] offset0:62 offset1:63
	s_waitcnt vmcnt(28)
	ds_store_2addr_b64 v20, v[8:9], v[10:11] offset0:64 offset1:65
	;; [unrolled: 2-line block ×30, first 2 shown]
.LBB120_752:
	s_or_b32 exec_lo, exec_lo, s2
	s_delay_alu instid0(SALU_CYCLE_1)
	s_mov_b32 s2, exec_lo
	s_waitcnt lgkmcnt(0)
	s_waitcnt_vscnt null, 0x0
	s_barrier
	buffer_gl0_inv
	v_cmpx_lt_i32_e32 30, v38
	s_cbranch_execz .LBB120_755
; %bb.753:
	scratch_load_b128 v[4:7], off, off offset:480
	s_mov_b32 s3, 0
	s_waitcnt vmcnt(0)
	v_mul_f64 v[8:9], v[2:3], v[6:7]
	v_mul_f64 v[6:7], v[0:1], v[6:7]
	s_delay_alu instid0(VALU_DEP_2) | instskip(NEXT) | instid1(VALU_DEP_2)
	v_fma_f64 v[0:1], v[0:1], v[4:5], -v[8:9]
	v_fma_f64 v[2:3], v[2:3], v[4:5], v[6:7]
	v_add3_u32 v4, v36, 0, 0x1f0
	v_mov_b32_e32 v5, 0
	scratch_store_b128 off, v[0:3], off offset:480
.LBB120_754:                            ; =>This Inner Loop Header: Depth=1
	v_readfirstlane_b32 s6, v5
	v_add_nc_u32_e32 v14, s3, v4
	s_delay_alu instid0(VALU_DEP_2)
	s_add_i32 s7, s6, s3
	s_addk_i32 s3, 0x60
	s_add_i32 s6, s7, 0x1f0
	s_add_i32 s9, s7, 0x200
	;; [unrolled: 1-line block ×5, first 2 shown]
	s_addk_i32 s7, 0x240
	s_clause 0x5
	scratch_load_b128 v[6:9], off, s6
	scratch_load_b128 v[10:13], off, s9
	;; [unrolled: 1-line block ×6, first 2 shown]
	ds_load_2addr_b64 v[73:76], v14 offset1:1
	ds_load_2addr_b64 v[81:84], v14 offset0:2 offset1:3
	ds_load_2addr_b64 v[85:88], v14 offset0:4 offset1:5
	ds_load_2addr_b64 v[89:92], v14 offset0:6 offset1:7
	ds_load_2addr_b64 v[93:96], v14 offset0:8 offset1:9
	ds_load_2addr_b64 v[129:132], v14 offset0:10 offset1:11
	s_cmpk_lg_i32 s3, 0x1e0
	s_waitcnt lgkmcnt(5)
	v_mul_f64 v[14:15], v[75:76], v[2:3]
	v_mul_f64 v[49:50], v[73:74], v[2:3]
	s_waitcnt lgkmcnt(4)
	v_mul_f64 v[53:54], v[83:84], v[2:3]
	v_mul_f64 v[65:66], v[81:82], v[2:3]
	;; [unrolled: 3-line block ×6, first 2 shown]
	v_fma_f64 v[14:15], v[73:74], v[0:1], -v[14:15]
	v_fma_f64 v[49:50], v[75:76], v[0:1], v[49:50]
	v_fma_f64 v[53:54], v[81:82], v[0:1], -v[53:54]
	v_fma_f64 v[65:66], v[83:84], v[0:1], v[65:66]
	;; [unrolled: 2-line block ×6, first 2 shown]
	s_waitcnt vmcnt(5)
	v_add_f64 v[6:7], v[6:7], -v[14:15]
	v_add_f64 v[8:9], v[8:9], -v[49:50]
	s_waitcnt vmcnt(4)
	v_add_f64 v[10:11], v[10:11], -v[53:54]
	v_add_f64 v[12:13], v[12:13], -v[65:66]
	;; [unrolled: 3-line block ×6, first 2 shown]
	s_clause 0x5
	scratch_store_b128 off, v[6:9], s6
	scratch_store_b128 off, v[10:13], s9
	;; [unrolled: 1-line block ×6, first 2 shown]
	s_cbranch_scc1 .LBB120_754
.LBB120_755:
	s_or_b32 exec_lo, exec_lo, s2
	s_waitcnt_vscnt null, 0x0
	s_barrier
	buffer_gl0_inv
	scratch_load_b128 v[0:3], v124, off
	v_lshl_add_u32 v4, v38, 4, v20
	s_cmp_lt_i32 s5, 33
	s_waitcnt vmcnt(0)
	ds_store_2addr_b64 v4, v[0:1], v[2:3] offset1:1
	s_waitcnt lgkmcnt(0)
	s_barrier
	buffer_gl0_inv
	ds_load_2addr_b64 v[0:3], v20 offset0:62 offset1:63
	v_mov_b32_e32 v4, 31
	s_cbranch_scc1 .LBB120_758
; %bb.756:
	v_add3_u32 v5, v36, 0, 0x200
	v_mov_b32_e32 v4, 31
	s_mov_b32 s6, 32
	s_set_inst_prefetch_distance 0x1
	.p2align	6
.LBB120_757:                            ; =>This Inner Loop Header: Depth=1
	ds_load_2addr_b64 v[6:9], v5 offset1:1
	s_waitcnt lgkmcnt(1)
	v_cmp_gt_f64_e32 vcc_lo, 0, v[0:1]
	v_xor_b32_e32 v10, 0x80000000, v1
	v_cmp_gt_f64_e64 s2, 0, v[2:3]
	v_xor_b32_e32 v12, 0x80000000, v3
	v_add_nc_u32_e32 v5, 16, v5
	s_waitcnt lgkmcnt(0)
	v_cmp_gt_f64_e64 s3, 0, v[6:7]
	v_dual_mov_b32 v41, v8 :: v_dual_mov_b32 v14, v6
	v_cndmask_b32_e32 v11, v1, v10, vcc_lo
	v_xor_b32_e32 v10, 0x80000000, v7
	v_cndmask_b32_e64 v13, v3, v12, s2
	v_xor_b32_e32 v12, 0x80000000, v9
	s_delay_alu instid0(VALU_DEP_3) | instskip(SKIP_2) | instid1(VALU_DEP_2)
	v_cndmask_b32_e64 v15, v7, v10, s3
	v_cmp_gt_f64_e64 s3, 0, v[8:9]
	v_cndmask_b32_e32 v10, v0, v0, vcc_lo
	v_cndmask_b32_e64 v42, v9, v12, s3
	v_cndmask_b32_e64 v12, v2, v2, s2
	s_delay_alu instid0(VALU_DEP_2) | instskip(NEXT) | instid1(VALU_DEP_2)
	v_add_f64 v[14:15], v[14:15], v[41:42]
	v_add_f64 v[10:11], v[10:11], v[12:13]
	s_delay_alu instid0(VALU_DEP_1) | instskip(SKIP_4) | instid1(SALU_CYCLE_1)
	v_cmp_lt_f64_e32 vcc_lo, v[10:11], v[14:15]
	v_dual_cndmask_b32 v1, v1, v7 :: v_dual_cndmask_b32 v0, v0, v6
	v_dual_cndmask_b32 v3, v3, v9 :: v_dual_cndmask_b32 v2, v2, v8
	v_cndmask_b32_e64 v4, v4, s6, vcc_lo
	s_add_i32 s6, s6, 1
	s_cmp_lg_u32 s5, s6
	s_cbranch_scc1 .LBB120_757
.LBB120_758:
	s_set_inst_prefetch_distance 0x2
	s_waitcnt lgkmcnt(0)
	v_cmp_eq_f64_e32 vcc_lo, 0, v[0:1]
	v_cmp_eq_f64_e64 s2, 0, v[2:3]
	s_delay_alu instid0(VALU_DEP_1) | instskip(NEXT) | instid1(SALU_CYCLE_1)
	s_and_b32 s2, vcc_lo, s2
	s_and_saveexec_b32 s3, s2
	s_delay_alu instid0(SALU_CYCLE_1)
	s_xor_b32 s2, exec_lo, s3
; %bb.759:
	v_cmp_ne_u32_e32 vcc_lo, 0, v35
	v_cndmask_b32_e32 v35, 32, v35, vcc_lo
; %bb.760:
	s_and_not1_saveexec_b32 s3, s2
	s_cbranch_execz .LBB120_766
; %bb.761:
	v_cmp_gt_f64_e32 vcc_lo, 0, v[0:1]
	v_cmp_gt_f64_e64 s2, 0, v[2:3]
	v_xor_b32_e32 v5, 0x80000000, v1
	v_xor_b32_e32 v7, 0x80000000, v3
	s_delay_alu instid0(VALU_DEP_2) | instskip(NEXT) | instid1(VALU_DEP_2)
	v_dual_cndmask_b32 v6, v1, v5 :: v_dual_cndmask_b32 v5, v0, v0
	v_cndmask_b32_e64 v8, v3, v7, s2
	v_cndmask_b32_e64 v7, v2, v2, s2
	s_mov_b32 s2, exec_lo
	s_delay_alu instid0(VALU_DEP_1)
	v_cmpx_ngt_f64_e32 v[5:6], v[7:8]
	s_xor_b32 s2, exec_lo, s2
	s_cbranch_execz .LBB120_763
; %bb.762:
	v_div_scale_f64 v[5:6], null, v[2:3], v[2:3], v[0:1]
	v_div_scale_f64 v[11:12], vcc_lo, v[0:1], v[2:3], v[0:1]
	s_delay_alu instid0(VALU_DEP_2) | instskip(SKIP_2) | instid1(VALU_DEP_1)
	v_rcp_f64_e32 v[7:8], v[5:6]
	s_waitcnt_depctr 0xfff
	v_fma_f64 v[9:10], -v[5:6], v[7:8], 1.0
	v_fma_f64 v[7:8], v[7:8], v[9:10], v[7:8]
	s_delay_alu instid0(VALU_DEP_1) | instskip(NEXT) | instid1(VALU_DEP_1)
	v_fma_f64 v[9:10], -v[5:6], v[7:8], 1.0
	v_fma_f64 v[7:8], v[7:8], v[9:10], v[7:8]
	s_delay_alu instid0(VALU_DEP_1) | instskip(NEXT) | instid1(VALU_DEP_1)
	v_mul_f64 v[9:10], v[11:12], v[7:8]
	v_fma_f64 v[5:6], -v[5:6], v[9:10], v[11:12]
	s_delay_alu instid0(VALU_DEP_1) | instskip(NEXT) | instid1(VALU_DEP_1)
	v_div_fmas_f64 v[5:6], v[5:6], v[7:8], v[9:10]
	v_div_fixup_f64 v[5:6], v[5:6], v[2:3], v[0:1]
	s_delay_alu instid0(VALU_DEP_1) | instskip(NEXT) | instid1(VALU_DEP_1)
	v_fma_f64 v[0:1], v[0:1], v[5:6], v[2:3]
	v_div_scale_f64 v[2:3], null, v[0:1], v[0:1], 1.0
	s_delay_alu instid0(VALU_DEP_1) | instskip(SKIP_2) | instid1(VALU_DEP_1)
	v_rcp_f64_e32 v[7:8], v[2:3]
	s_waitcnt_depctr 0xfff
	v_fma_f64 v[9:10], -v[2:3], v[7:8], 1.0
	v_fma_f64 v[7:8], v[7:8], v[9:10], v[7:8]
	s_delay_alu instid0(VALU_DEP_1) | instskip(NEXT) | instid1(VALU_DEP_1)
	v_fma_f64 v[9:10], -v[2:3], v[7:8], 1.0
	v_fma_f64 v[7:8], v[7:8], v[9:10], v[7:8]
	v_div_scale_f64 v[9:10], vcc_lo, 1.0, v[0:1], 1.0
	s_delay_alu instid0(VALU_DEP_1) | instskip(NEXT) | instid1(VALU_DEP_1)
	v_mul_f64 v[11:12], v[9:10], v[7:8]
	v_fma_f64 v[2:3], -v[2:3], v[11:12], v[9:10]
	s_delay_alu instid0(VALU_DEP_1) | instskip(NEXT) | instid1(VALU_DEP_1)
	v_div_fmas_f64 v[2:3], v[2:3], v[7:8], v[11:12]
	v_div_fixup_f64 v[2:3], v[2:3], v[0:1], 1.0
	s_delay_alu instid0(VALU_DEP_1)
	v_mul_f64 v[0:1], v[5:6], v[2:3]
	v_xor_b32_e32 v3, 0x80000000, v3
.LBB120_763:
	s_and_not1_saveexec_b32 s2, s2
	s_cbranch_execz .LBB120_765
; %bb.764:
	s_delay_alu instid0(VALU_DEP_1) | instskip(SKIP_1) | instid1(VALU_DEP_2)
	v_div_scale_f64 v[5:6], null, v[0:1], v[0:1], v[2:3]
	v_div_scale_f64 v[11:12], vcc_lo, v[2:3], v[0:1], v[2:3]
	v_rcp_f64_e32 v[7:8], v[5:6]
	s_waitcnt_depctr 0xfff
	v_fma_f64 v[9:10], -v[5:6], v[7:8], 1.0
	s_delay_alu instid0(VALU_DEP_1) | instskip(NEXT) | instid1(VALU_DEP_1)
	v_fma_f64 v[7:8], v[7:8], v[9:10], v[7:8]
	v_fma_f64 v[9:10], -v[5:6], v[7:8], 1.0
	s_delay_alu instid0(VALU_DEP_1) | instskip(NEXT) | instid1(VALU_DEP_1)
	v_fma_f64 v[7:8], v[7:8], v[9:10], v[7:8]
	v_mul_f64 v[9:10], v[11:12], v[7:8]
	s_delay_alu instid0(VALU_DEP_1) | instskip(NEXT) | instid1(VALU_DEP_1)
	v_fma_f64 v[5:6], -v[5:6], v[9:10], v[11:12]
	v_div_fmas_f64 v[5:6], v[5:6], v[7:8], v[9:10]
	s_delay_alu instid0(VALU_DEP_1) | instskip(NEXT) | instid1(VALU_DEP_1)
	v_div_fixup_f64 v[5:6], v[5:6], v[0:1], v[2:3]
	v_fma_f64 v[0:1], v[2:3], v[5:6], v[0:1]
	s_delay_alu instid0(VALU_DEP_1) | instskip(NEXT) | instid1(VALU_DEP_1)
	v_div_scale_f64 v[2:3], null, v[0:1], v[0:1], 1.0
	v_rcp_f64_e32 v[7:8], v[2:3]
	s_waitcnt_depctr 0xfff
	v_fma_f64 v[9:10], -v[2:3], v[7:8], 1.0
	s_delay_alu instid0(VALU_DEP_1) | instskip(NEXT) | instid1(VALU_DEP_1)
	v_fma_f64 v[7:8], v[7:8], v[9:10], v[7:8]
	v_fma_f64 v[9:10], -v[2:3], v[7:8], 1.0
	s_delay_alu instid0(VALU_DEP_1) | instskip(SKIP_1) | instid1(VALU_DEP_1)
	v_fma_f64 v[7:8], v[7:8], v[9:10], v[7:8]
	v_div_scale_f64 v[9:10], vcc_lo, 1.0, v[0:1], 1.0
	v_mul_f64 v[11:12], v[9:10], v[7:8]
	s_delay_alu instid0(VALU_DEP_1) | instskip(NEXT) | instid1(VALU_DEP_1)
	v_fma_f64 v[2:3], -v[2:3], v[11:12], v[9:10]
	v_div_fmas_f64 v[2:3], v[2:3], v[7:8], v[11:12]
	s_delay_alu instid0(VALU_DEP_1) | instskip(NEXT) | instid1(VALU_DEP_1)
	v_div_fixup_f64 v[0:1], v[2:3], v[0:1], 1.0
	v_mul_f64 v[2:3], v[5:6], -v[0:1]
.LBB120_765:
	s_or_b32 exec_lo, exec_lo, s2
.LBB120_766:
	s_delay_alu instid0(SALU_CYCLE_1) | instskip(NEXT) | instid1(SALU_CYCLE_1)
	s_or_b32 exec_lo, exec_lo, s3
	s_mov_b32 s2, exec_lo
	v_cmpx_ne_u32_e64 v38, v4
	s_xor_b32 s2, exec_lo, s2
	s_cbranch_execz .LBB120_772
; %bb.767:
	s_mov_b32 s3, exec_lo
	v_cmpx_eq_u32_e32 31, v38
	s_cbranch_execz .LBB120_771
; %bb.768:
	v_cmp_ne_u32_e32 vcc_lo, 31, v4
	s_xor_b32 s6, s4, -1
	s_delay_alu instid0(SALU_CYCLE_1) | instskip(NEXT) | instid1(SALU_CYCLE_1)
	s_and_b32 s7, s6, vcc_lo
	s_and_saveexec_b32 s6, s7
	s_cbranch_execz .LBB120_770
; %bb.769:
	v_ashrrev_i32_e32 v5, 31, v4
	s_delay_alu instid0(VALU_DEP_1) | instskip(NEXT) | instid1(VALU_DEP_1)
	v_lshlrev_b64 v[5:6], 2, v[4:5]
	v_add_co_u32 v5, vcc_lo, v18, v5
	s_delay_alu instid0(VALU_DEP_2)
	v_add_co_ci_u32_e32 v6, vcc_lo, v19, v6, vcc_lo
	s_clause 0x1
	flat_load_b32 v7, v[5:6]
	flat_load_b32 v8, v[18:19] offset:124
	s_waitcnt vmcnt(1) lgkmcnt(1)
	flat_store_b32 v[18:19], v7 offset:124
	s_waitcnt vmcnt(0) lgkmcnt(1)
	flat_store_b32 v[5:6], v8
.LBB120_770:
	s_or_b32 exec_lo, exec_lo, s6
	v_mov_b32_e32 v38, v4
	v_mov_b32_e32 v37, v4
.LBB120_771:
	s_or_b32 exec_lo, exec_lo, s3
.LBB120_772:
	s_and_not1_saveexec_b32 s2, s2
	s_cbranch_execz .LBB120_774
; %bb.773:
	s_clause 0x1c
	scratch_load_b128 v[4:7], v128, off
	scratch_load_b128 v[8:11], v163, off
	;; [unrolled: 1-line block ×29, first 2 shown]
	v_mov_b32_e32 v38, 31
	s_waitcnt vmcnt(28)
	ds_store_2addr_b64 v20, v[4:5], v[6:7] offset0:64 offset1:65
	s_waitcnt vmcnt(27)
	ds_store_2addr_b64 v20, v[8:9], v[10:11] offset0:66 offset1:67
	;; [unrolled: 2-line block ×29, first 2 shown]
.LBB120_774:
	s_or_b32 exec_lo, exec_lo, s2
	s_delay_alu instid0(SALU_CYCLE_1)
	s_mov_b32 s2, exec_lo
	s_waitcnt lgkmcnt(0)
	s_waitcnt_vscnt null, 0x0
	s_barrier
	buffer_gl0_inv
	v_cmpx_lt_i32_e32 31, v38
	s_cbranch_execz .LBB120_779
; %bb.775:
	scratch_load_b128 v[4:7], off, off offset:496
	s_mov_b32 s3, 0
	s_waitcnt vmcnt(0)
	v_mul_f64 v[8:9], v[2:3], v[6:7]
	v_mul_f64 v[6:7], v[0:1], v[6:7]
	s_delay_alu instid0(VALU_DEP_2) | instskip(NEXT) | instid1(VALU_DEP_2)
	v_fma_f64 v[0:1], v[0:1], v[4:5], -v[8:9]
	v_fma_f64 v[2:3], v[2:3], v[4:5], v[6:7]
	v_add3_u32 v4, v36, 0, 0x200
	v_mov_b32_e32 v5, 0
	scratch_store_b128 off, v[0:3], off offset:496
	s_branch .LBB120_777
.LBB120_776:                            ;   in Loop: Header=BB120_777 Depth=1
	s_and_not1_b32 vcc_lo, exec_lo, s7
	s_cbranch_vccz .LBB120_779
.LBB120_777:                            ; =>This Inner Loop Header: Depth=1
	v_readfirstlane_b32 s6, v5
	v_add_nc_u32_e32 v6, s3, v4
	s_mov_b32 s7, -1
	s_delay_alu instid0(VALU_DEP_2)
	s_add_i32 s6, s6, s3
	ds_load_2addr_b64 v[11:14], v6 offset1:1
	s_add_i32 s9, s6, 0x200
	s_cmpk_eq_i32 s3, 0x1c0
	scratch_load_b128 v[7:10], off, s9
	s_waitcnt lgkmcnt(0)
	v_mul_f64 v[41:42], v[13:14], v[2:3]
	v_mul_f64 v[43:44], v[11:12], v[2:3]
	s_delay_alu instid0(VALU_DEP_2) | instskip(NEXT) | instid1(VALU_DEP_2)
	v_fma_f64 v[11:12], v[11:12], v[0:1], -v[41:42]
	v_fma_f64 v[13:14], v[13:14], v[0:1], v[43:44]
	s_waitcnt vmcnt(0)
	s_delay_alu instid0(VALU_DEP_2) | instskip(NEXT) | instid1(VALU_DEP_2)
	v_add_f64 v[7:8], v[7:8], -v[11:12]
	v_add_f64 v[9:10], v[9:10], -v[13:14]
	scratch_store_b128 off, v[7:10], s9
	s_cbranch_scc1 .LBB120_776
; %bb.778:                              ;   in Loop: Header=BB120_777 Depth=1
	s_add_i32 s9, s6, 0x210
	s_add_i32 s12, s6, 0x220
	scratch_load_b128 v[7:10], off, s9
	s_addk_i32 s6, 0x230
	s_clause 0x1
	scratch_load_b128 v[11:14], off, s12
	scratch_load_b128 v[41:44], off, s6
	ds_load_2addr_b64 v[45:48], v6 offset0:2 offset1:3
	ds_load_2addr_b64 v[57:60], v6 offset0:4 offset1:5
	;; [unrolled: 1-line block ×3, first 2 shown]
	s_add_i32 s3, s3, 64
	s_mov_b32 s7, 0
	s_waitcnt lgkmcnt(2)
	v_mul_f64 v[49:50], v[47:48], v[2:3]
	v_mul_f64 v[53:54], v[45:46], v[2:3]
	s_waitcnt lgkmcnt(1)
	v_mul_f64 v[65:66], v[59:60], v[2:3]
	v_mul_f64 v[69:70], v[57:58], v[2:3]
	;; [unrolled: 3-line block ×3, first 2 shown]
	v_fma_f64 v[45:46], v[45:46], v[0:1], -v[49:50]
	v_fma_f64 v[47:48], v[47:48], v[0:1], v[53:54]
	v_fma_f64 v[49:50], v[57:58], v[0:1], -v[65:66]
	v_fma_f64 v[53:54], v[59:60], v[0:1], v[69:70]
	;; [unrolled: 2-line block ×3, first 2 shown]
	s_waitcnt vmcnt(2)
	v_add_f64 v[6:7], v[7:8], -v[45:46]
	v_add_f64 v[8:9], v[9:10], -v[47:48]
	s_waitcnt vmcnt(1)
	v_add_f64 v[10:11], v[11:12], -v[49:50]
	v_add_f64 v[12:13], v[13:14], -v[53:54]
	;; [unrolled: 3-line block ×3, first 2 shown]
	s_clause 0x2
	scratch_store_b128 off, v[6:9], s9
	scratch_store_b128 off, v[10:13], s12
	;; [unrolled: 1-line block ×3, first 2 shown]
	s_branch .LBB120_776
.LBB120_779:
	s_or_b32 exec_lo, exec_lo, s2
	s_waitcnt_vscnt null, 0x0
	s_barrier
	buffer_gl0_inv
	scratch_load_b128 v[0:3], v128, off
	v_lshl_add_u32 v4, v38, 4, v20
	s_cmp_lt_i32 s5, 34
	s_waitcnt vmcnt(0)
	ds_store_2addr_b64 v4, v[0:1], v[2:3] offset1:1
	s_waitcnt lgkmcnt(0)
	s_barrier
	buffer_gl0_inv
	ds_load_2addr_b64 v[0:3], v20 offset0:64 offset1:65
	v_mov_b32_e32 v4, 32
	s_cbranch_scc1 .LBB120_782
; %bb.780:
	v_add3_u32 v5, v36, 0, 0x210
	v_mov_b32_e32 v4, 32
	s_mov_b32 s6, 33
	s_set_inst_prefetch_distance 0x1
	.p2align	6
.LBB120_781:                            ; =>This Inner Loop Header: Depth=1
	ds_load_2addr_b64 v[6:9], v5 offset1:1
	s_waitcnt lgkmcnt(1)
	v_cmp_gt_f64_e32 vcc_lo, 0, v[0:1]
	v_xor_b32_e32 v10, 0x80000000, v1
	v_cmp_gt_f64_e64 s2, 0, v[2:3]
	v_xor_b32_e32 v12, 0x80000000, v3
	v_add_nc_u32_e32 v5, 16, v5
	s_waitcnt lgkmcnt(0)
	v_cmp_gt_f64_e64 s3, 0, v[6:7]
	v_dual_mov_b32 v41, v8 :: v_dual_mov_b32 v14, v6
	v_cndmask_b32_e32 v11, v1, v10, vcc_lo
	v_xor_b32_e32 v10, 0x80000000, v7
	v_cndmask_b32_e64 v13, v3, v12, s2
	v_xor_b32_e32 v12, 0x80000000, v9
	s_delay_alu instid0(VALU_DEP_3) | instskip(SKIP_2) | instid1(VALU_DEP_2)
	v_cndmask_b32_e64 v15, v7, v10, s3
	v_cmp_gt_f64_e64 s3, 0, v[8:9]
	v_cndmask_b32_e32 v10, v0, v0, vcc_lo
	v_cndmask_b32_e64 v42, v9, v12, s3
	v_cndmask_b32_e64 v12, v2, v2, s2
	s_delay_alu instid0(VALU_DEP_2) | instskip(NEXT) | instid1(VALU_DEP_2)
	v_add_f64 v[14:15], v[14:15], v[41:42]
	v_add_f64 v[10:11], v[10:11], v[12:13]
	s_delay_alu instid0(VALU_DEP_1) | instskip(SKIP_4) | instid1(SALU_CYCLE_1)
	v_cmp_lt_f64_e32 vcc_lo, v[10:11], v[14:15]
	v_dual_cndmask_b32 v1, v1, v7 :: v_dual_cndmask_b32 v0, v0, v6
	v_dual_cndmask_b32 v3, v3, v9 :: v_dual_cndmask_b32 v2, v2, v8
	v_cndmask_b32_e64 v4, v4, s6, vcc_lo
	s_add_i32 s6, s6, 1
	s_cmp_lg_u32 s5, s6
	s_cbranch_scc1 .LBB120_781
.LBB120_782:
	s_set_inst_prefetch_distance 0x2
	s_waitcnt lgkmcnt(0)
	v_cmp_eq_f64_e32 vcc_lo, 0, v[0:1]
	v_cmp_eq_f64_e64 s2, 0, v[2:3]
	s_delay_alu instid0(VALU_DEP_1) | instskip(NEXT) | instid1(SALU_CYCLE_1)
	s_and_b32 s2, vcc_lo, s2
	s_and_saveexec_b32 s3, s2
	s_delay_alu instid0(SALU_CYCLE_1)
	s_xor_b32 s2, exec_lo, s3
; %bb.783:
	v_cmp_ne_u32_e32 vcc_lo, 0, v35
	v_cndmask_b32_e32 v35, 33, v35, vcc_lo
; %bb.784:
	s_and_not1_saveexec_b32 s3, s2
	s_cbranch_execz .LBB120_790
; %bb.785:
	v_cmp_gt_f64_e32 vcc_lo, 0, v[0:1]
	v_cmp_gt_f64_e64 s2, 0, v[2:3]
	v_xor_b32_e32 v5, 0x80000000, v1
	v_xor_b32_e32 v7, 0x80000000, v3
	s_delay_alu instid0(VALU_DEP_2) | instskip(NEXT) | instid1(VALU_DEP_2)
	v_dual_cndmask_b32 v6, v1, v5 :: v_dual_cndmask_b32 v5, v0, v0
	v_cndmask_b32_e64 v8, v3, v7, s2
	v_cndmask_b32_e64 v7, v2, v2, s2
	s_mov_b32 s2, exec_lo
	s_delay_alu instid0(VALU_DEP_1)
	v_cmpx_ngt_f64_e32 v[5:6], v[7:8]
	s_xor_b32 s2, exec_lo, s2
	s_cbranch_execz .LBB120_787
; %bb.786:
	v_div_scale_f64 v[5:6], null, v[2:3], v[2:3], v[0:1]
	v_div_scale_f64 v[11:12], vcc_lo, v[0:1], v[2:3], v[0:1]
	s_delay_alu instid0(VALU_DEP_2) | instskip(SKIP_2) | instid1(VALU_DEP_1)
	v_rcp_f64_e32 v[7:8], v[5:6]
	s_waitcnt_depctr 0xfff
	v_fma_f64 v[9:10], -v[5:6], v[7:8], 1.0
	v_fma_f64 v[7:8], v[7:8], v[9:10], v[7:8]
	s_delay_alu instid0(VALU_DEP_1) | instskip(NEXT) | instid1(VALU_DEP_1)
	v_fma_f64 v[9:10], -v[5:6], v[7:8], 1.0
	v_fma_f64 v[7:8], v[7:8], v[9:10], v[7:8]
	s_delay_alu instid0(VALU_DEP_1) | instskip(NEXT) | instid1(VALU_DEP_1)
	v_mul_f64 v[9:10], v[11:12], v[7:8]
	v_fma_f64 v[5:6], -v[5:6], v[9:10], v[11:12]
	s_delay_alu instid0(VALU_DEP_1) | instskip(NEXT) | instid1(VALU_DEP_1)
	v_div_fmas_f64 v[5:6], v[5:6], v[7:8], v[9:10]
	v_div_fixup_f64 v[5:6], v[5:6], v[2:3], v[0:1]
	s_delay_alu instid0(VALU_DEP_1) | instskip(NEXT) | instid1(VALU_DEP_1)
	v_fma_f64 v[0:1], v[0:1], v[5:6], v[2:3]
	v_div_scale_f64 v[2:3], null, v[0:1], v[0:1], 1.0
	s_delay_alu instid0(VALU_DEP_1) | instskip(SKIP_2) | instid1(VALU_DEP_1)
	v_rcp_f64_e32 v[7:8], v[2:3]
	s_waitcnt_depctr 0xfff
	v_fma_f64 v[9:10], -v[2:3], v[7:8], 1.0
	v_fma_f64 v[7:8], v[7:8], v[9:10], v[7:8]
	s_delay_alu instid0(VALU_DEP_1) | instskip(NEXT) | instid1(VALU_DEP_1)
	v_fma_f64 v[9:10], -v[2:3], v[7:8], 1.0
	v_fma_f64 v[7:8], v[7:8], v[9:10], v[7:8]
	v_div_scale_f64 v[9:10], vcc_lo, 1.0, v[0:1], 1.0
	s_delay_alu instid0(VALU_DEP_1) | instskip(NEXT) | instid1(VALU_DEP_1)
	v_mul_f64 v[11:12], v[9:10], v[7:8]
	v_fma_f64 v[2:3], -v[2:3], v[11:12], v[9:10]
	s_delay_alu instid0(VALU_DEP_1) | instskip(NEXT) | instid1(VALU_DEP_1)
	v_div_fmas_f64 v[2:3], v[2:3], v[7:8], v[11:12]
	v_div_fixup_f64 v[2:3], v[2:3], v[0:1], 1.0
	s_delay_alu instid0(VALU_DEP_1)
	v_mul_f64 v[0:1], v[5:6], v[2:3]
	v_xor_b32_e32 v3, 0x80000000, v3
.LBB120_787:
	s_and_not1_saveexec_b32 s2, s2
	s_cbranch_execz .LBB120_789
; %bb.788:
	s_delay_alu instid0(VALU_DEP_1) | instskip(SKIP_1) | instid1(VALU_DEP_2)
	v_div_scale_f64 v[5:6], null, v[0:1], v[0:1], v[2:3]
	v_div_scale_f64 v[11:12], vcc_lo, v[2:3], v[0:1], v[2:3]
	v_rcp_f64_e32 v[7:8], v[5:6]
	s_waitcnt_depctr 0xfff
	v_fma_f64 v[9:10], -v[5:6], v[7:8], 1.0
	s_delay_alu instid0(VALU_DEP_1) | instskip(NEXT) | instid1(VALU_DEP_1)
	v_fma_f64 v[7:8], v[7:8], v[9:10], v[7:8]
	v_fma_f64 v[9:10], -v[5:6], v[7:8], 1.0
	s_delay_alu instid0(VALU_DEP_1) | instskip(NEXT) | instid1(VALU_DEP_1)
	v_fma_f64 v[7:8], v[7:8], v[9:10], v[7:8]
	v_mul_f64 v[9:10], v[11:12], v[7:8]
	s_delay_alu instid0(VALU_DEP_1) | instskip(NEXT) | instid1(VALU_DEP_1)
	v_fma_f64 v[5:6], -v[5:6], v[9:10], v[11:12]
	v_div_fmas_f64 v[5:6], v[5:6], v[7:8], v[9:10]
	s_delay_alu instid0(VALU_DEP_1) | instskip(NEXT) | instid1(VALU_DEP_1)
	v_div_fixup_f64 v[5:6], v[5:6], v[0:1], v[2:3]
	v_fma_f64 v[0:1], v[2:3], v[5:6], v[0:1]
	s_delay_alu instid0(VALU_DEP_1) | instskip(NEXT) | instid1(VALU_DEP_1)
	v_div_scale_f64 v[2:3], null, v[0:1], v[0:1], 1.0
	v_rcp_f64_e32 v[7:8], v[2:3]
	s_waitcnt_depctr 0xfff
	v_fma_f64 v[9:10], -v[2:3], v[7:8], 1.0
	s_delay_alu instid0(VALU_DEP_1) | instskip(NEXT) | instid1(VALU_DEP_1)
	v_fma_f64 v[7:8], v[7:8], v[9:10], v[7:8]
	v_fma_f64 v[9:10], -v[2:3], v[7:8], 1.0
	s_delay_alu instid0(VALU_DEP_1) | instskip(SKIP_1) | instid1(VALU_DEP_1)
	v_fma_f64 v[7:8], v[7:8], v[9:10], v[7:8]
	v_div_scale_f64 v[9:10], vcc_lo, 1.0, v[0:1], 1.0
	v_mul_f64 v[11:12], v[9:10], v[7:8]
	s_delay_alu instid0(VALU_DEP_1) | instskip(NEXT) | instid1(VALU_DEP_1)
	v_fma_f64 v[2:3], -v[2:3], v[11:12], v[9:10]
	v_div_fmas_f64 v[2:3], v[2:3], v[7:8], v[11:12]
	s_delay_alu instid0(VALU_DEP_1) | instskip(NEXT) | instid1(VALU_DEP_1)
	v_div_fixup_f64 v[0:1], v[2:3], v[0:1], 1.0
	v_mul_f64 v[2:3], v[5:6], -v[0:1]
.LBB120_789:
	s_or_b32 exec_lo, exec_lo, s2
.LBB120_790:
	s_delay_alu instid0(SALU_CYCLE_1) | instskip(NEXT) | instid1(SALU_CYCLE_1)
	s_or_b32 exec_lo, exec_lo, s3
	s_mov_b32 s2, exec_lo
	v_cmpx_ne_u32_e64 v38, v4
	s_xor_b32 s2, exec_lo, s2
	s_cbranch_execz .LBB120_796
; %bb.791:
	s_mov_b32 s3, exec_lo
	v_cmpx_eq_u32_e32 32, v38
	s_cbranch_execz .LBB120_795
; %bb.792:
	v_cmp_ne_u32_e32 vcc_lo, 32, v4
	s_xor_b32 s6, s4, -1
	s_delay_alu instid0(SALU_CYCLE_1) | instskip(NEXT) | instid1(SALU_CYCLE_1)
	s_and_b32 s7, s6, vcc_lo
	s_and_saveexec_b32 s6, s7
	s_cbranch_execz .LBB120_794
; %bb.793:
	v_ashrrev_i32_e32 v5, 31, v4
	s_delay_alu instid0(VALU_DEP_1) | instskip(NEXT) | instid1(VALU_DEP_1)
	v_lshlrev_b64 v[5:6], 2, v[4:5]
	v_add_co_u32 v5, vcc_lo, v18, v5
	s_delay_alu instid0(VALU_DEP_2)
	v_add_co_ci_u32_e32 v6, vcc_lo, v19, v6, vcc_lo
	s_clause 0x1
	flat_load_b32 v7, v[5:6]
	flat_load_b32 v8, v[18:19] offset:128
	s_waitcnt vmcnt(1) lgkmcnt(1)
	flat_store_b32 v[18:19], v7 offset:128
	s_waitcnt vmcnt(0) lgkmcnt(1)
	flat_store_b32 v[5:6], v8
.LBB120_794:
	s_or_b32 exec_lo, exec_lo, s6
	v_mov_b32_e32 v38, v4
	v_mov_b32_e32 v37, v4
.LBB120_795:
	s_or_b32 exec_lo, exec_lo, s3
.LBB120_796:
	s_and_not1_saveexec_b32 s2, s2
	s_cbranch_execz .LBB120_798
; %bb.797:
	s_clause 0x1b
	scratch_load_b128 v[4:7], v163, off
	scratch_load_b128 v[8:11], v162, off
	;; [unrolled: 1-line block ×28, first 2 shown]
	v_mov_b32_e32 v38, 32
	s_waitcnt vmcnt(27)
	ds_store_2addr_b64 v20, v[4:5], v[6:7] offset0:66 offset1:67
	s_waitcnt vmcnt(26)
	ds_store_2addr_b64 v20, v[8:9], v[10:11] offset0:68 offset1:69
	;; [unrolled: 2-line block ×28, first 2 shown]
.LBB120_798:
	s_or_b32 exec_lo, exec_lo, s2
	s_delay_alu instid0(SALU_CYCLE_1)
	s_mov_b32 s2, exec_lo
	s_waitcnt lgkmcnt(0)
	s_waitcnt_vscnt null, 0x0
	s_barrier
	buffer_gl0_inv
	v_cmpx_lt_i32_e32 32, v38
	s_cbranch_execz .LBB120_801
; %bb.799:
	scratch_load_b128 v[4:7], off, off offset:512
	s_mov_b32 s3, 0
	s_waitcnt vmcnt(0)
	v_mul_f64 v[8:9], v[2:3], v[6:7]
	v_mul_f64 v[6:7], v[0:1], v[6:7]
	s_delay_alu instid0(VALU_DEP_2) | instskip(NEXT) | instid1(VALU_DEP_2)
	v_fma_f64 v[0:1], v[0:1], v[4:5], -v[8:9]
	v_fma_f64 v[2:3], v[2:3], v[4:5], v[6:7]
	v_add3_u32 v4, v36, 0, 0x210
	v_mov_b32_e32 v5, 0
	scratch_store_b128 off, v[0:3], off offset:512
.LBB120_800:                            ; =>This Inner Loop Header: Depth=1
	v_add_nc_u32_e32 v39, s3, v4
	v_readfirstlane_b32 s6, v5
	ds_load_2addr_b64 v[6:9], v39 offset1:1
	ds_load_2addr_b64 v[10:13], v39 offset0:2 offset1:3
	ds_load_2addr_b64 v[41:44], v39 offset0:4 offset1:5
	;; [unrolled: 1-line block ×5, first 2 shown]
	s_add_i32 s6, s6, s3
	s_addk_i32 s3, 0x70
	s_add_i32 s7, s6, 0x210
	s_add_i32 s9, s6, 0x220
	;; [unrolled: 1-line block ×6, first 2 shown]
	s_addk_i32 s6, 0x270
	s_cmpk_lg_i32 s3, 0x1c0
	s_waitcnt lgkmcnt(5)
	v_mul_f64 v[14:15], v[8:9], v[2:3]
	v_mul_f64 v[49:50], v[6:7], v[2:3]
	s_waitcnt lgkmcnt(4)
	v_mul_f64 v[53:54], v[12:13], v[2:3]
	v_mul_f64 v[65:66], v[10:11], v[2:3]
	;; [unrolled: 3-line block ×6, first 2 shown]
	v_fma_f64 v[14:15], v[6:7], v[0:1], -v[14:15]
	v_fma_f64 v[49:50], v[8:9], v[0:1], v[49:50]
	v_fma_f64 v[53:54], v[10:11], v[0:1], -v[53:54]
	v_fma_f64 v[65:66], v[12:13], v[0:1], v[65:66]
	;; [unrolled: 2-line block ×6, first 2 shown]
	scratch_load_b128 v[0:3], off, off offset:512
	s_clause 0x6
	scratch_load_b128 v[6:9], off, s7
	scratch_load_b128 v[10:13], off, s9
	;; [unrolled: 1-line block ×7, first 2 shown]
	ds_load_2addr_b64 v[81:84], v39 offset0:12 offset1:13
	s_waitcnt vmcnt(6)
	v_add_f64 v[6:7], v[6:7], -v[14:15]
	v_add_f64 v[8:9], v[8:9], -v[49:50]
	s_waitcnt vmcnt(5)
	v_add_f64 v[10:11], v[10:11], -v[53:54]
	v_add_f64 v[12:13], v[12:13], -v[65:66]
	s_waitcnt vmcnt(4)
	v_add_f64 v[41:42], v[41:42], -v[69:70]
	s_waitcnt lgkmcnt(0)
	v_mul_f64 v[102:103], v[83:84], v[2:3]
	v_mul_f64 v[105:106], v[81:82], v[2:3]
	v_add_f64 v[43:44], v[43:44], -v[87:88]
	s_waitcnt vmcnt(3)
	v_add_f64 v[45:46], v[45:46], -v[89:90]
	v_add_f64 v[47:48], v[47:48], -v[77:78]
	s_waitcnt vmcnt(2)
	v_add_f64 v[57:58], v[57:58], -v[91:92]
	;; [unrolled: 3-line block ×3, first 2 shown]
	v_add_f64 v[63:64], v[63:64], -v[95:96]
	v_fma_f64 v[81:82], v[81:82], v[0:1], -v[102:103]
	v_fma_f64 v[83:84], v[83:84], v[0:1], v[105:106]
	s_waitcnt vmcnt(0)
	s_delay_alu instid0(VALU_DEP_2) | instskip(NEXT) | instid1(VALU_DEP_2)
	v_add_f64 v[73:74], v[73:74], -v[81:82]
	v_add_f64 v[75:76], v[75:76], -v[83:84]
	s_clause 0x6
	scratch_store_b128 off, v[6:9], s7
	scratch_store_b128 off, v[10:13], s9
	;; [unrolled: 1-line block ×7, first 2 shown]
	s_cbranch_scc1 .LBB120_800
.LBB120_801:
	s_or_b32 exec_lo, exec_lo, s2
	s_waitcnt_vscnt null, 0x0
	s_barrier
	buffer_gl0_inv
	scratch_load_b128 v[0:3], v163, off
	v_lshl_add_u32 v4, v38, 4, v20
	s_cmp_lt_i32 s5, 35
	s_waitcnt vmcnt(0)
	ds_store_2addr_b64 v4, v[0:1], v[2:3] offset1:1
	s_waitcnt lgkmcnt(0)
	s_barrier
	buffer_gl0_inv
	ds_load_2addr_b64 v[0:3], v20 offset0:66 offset1:67
	v_mov_b32_e32 v4, 33
	s_cbranch_scc1 .LBB120_804
; %bb.802:
	v_add3_u32 v5, v36, 0, 0x220
	v_mov_b32_e32 v4, 33
	s_mov_b32 s6, 34
	s_set_inst_prefetch_distance 0x1
	.p2align	6
.LBB120_803:                            ; =>This Inner Loop Header: Depth=1
	ds_load_2addr_b64 v[6:9], v5 offset1:1
	s_waitcnt lgkmcnt(1)
	v_cmp_gt_f64_e32 vcc_lo, 0, v[0:1]
	v_xor_b32_e32 v10, 0x80000000, v1
	v_cmp_gt_f64_e64 s2, 0, v[2:3]
	v_xor_b32_e32 v12, 0x80000000, v3
	v_add_nc_u32_e32 v5, 16, v5
	s_waitcnt lgkmcnt(0)
	v_cmp_gt_f64_e64 s3, 0, v[6:7]
	v_dual_mov_b32 v41, v8 :: v_dual_mov_b32 v14, v6
	v_cndmask_b32_e32 v11, v1, v10, vcc_lo
	v_xor_b32_e32 v10, 0x80000000, v7
	v_cndmask_b32_e64 v13, v3, v12, s2
	v_xor_b32_e32 v12, 0x80000000, v9
	s_delay_alu instid0(VALU_DEP_3) | instskip(SKIP_2) | instid1(VALU_DEP_2)
	v_cndmask_b32_e64 v15, v7, v10, s3
	v_cmp_gt_f64_e64 s3, 0, v[8:9]
	v_cndmask_b32_e32 v10, v0, v0, vcc_lo
	v_cndmask_b32_e64 v42, v9, v12, s3
	v_cndmask_b32_e64 v12, v2, v2, s2
	s_delay_alu instid0(VALU_DEP_2) | instskip(NEXT) | instid1(VALU_DEP_2)
	v_add_f64 v[14:15], v[14:15], v[41:42]
	v_add_f64 v[10:11], v[10:11], v[12:13]
	s_delay_alu instid0(VALU_DEP_1) | instskip(SKIP_4) | instid1(SALU_CYCLE_1)
	v_cmp_lt_f64_e32 vcc_lo, v[10:11], v[14:15]
	v_dual_cndmask_b32 v1, v1, v7 :: v_dual_cndmask_b32 v0, v0, v6
	v_dual_cndmask_b32 v3, v3, v9 :: v_dual_cndmask_b32 v2, v2, v8
	v_cndmask_b32_e64 v4, v4, s6, vcc_lo
	s_add_i32 s6, s6, 1
	s_cmp_lg_u32 s5, s6
	s_cbranch_scc1 .LBB120_803
.LBB120_804:
	s_set_inst_prefetch_distance 0x2
	s_waitcnt lgkmcnt(0)
	v_cmp_eq_f64_e32 vcc_lo, 0, v[0:1]
	v_cmp_eq_f64_e64 s2, 0, v[2:3]
	s_delay_alu instid0(VALU_DEP_1) | instskip(NEXT) | instid1(SALU_CYCLE_1)
	s_and_b32 s2, vcc_lo, s2
	s_and_saveexec_b32 s3, s2
	s_delay_alu instid0(SALU_CYCLE_1)
	s_xor_b32 s2, exec_lo, s3
; %bb.805:
	v_cmp_ne_u32_e32 vcc_lo, 0, v35
	v_cndmask_b32_e32 v35, 34, v35, vcc_lo
; %bb.806:
	s_and_not1_saveexec_b32 s3, s2
	s_cbranch_execz .LBB120_812
; %bb.807:
	v_cmp_gt_f64_e32 vcc_lo, 0, v[0:1]
	v_cmp_gt_f64_e64 s2, 0, v[2:3]
	v_xor_b32_e32 v5, 0x80000000, v1
	v_xor_b32_e32 v7, 0x80000000, v3
	s_delay_alu instid0(VALU_DEP_2) | instskip(NEXT) | instid1(VALU_DEP_2)
	v_dual_cndmask_b32 v6, v1, v5 :: v_dual_cndmask_b32 v5, v0, v0
	v_cndmask_b32_e64 v8, v3, v7, s2
	v_cndmask_b32_e64 v7, v2, v2, s2
	s_mov_b32 s2, exec_lo
	s_delay_alu instid0(VALU_DEP_1)
	v_cmpx_ngt_f64_e32 v[5:6], v[7:8]
	s_xor_b32 s2, exec_lo, s2
	s_cbranch_execz .LBB120_809
; %bb.808:
	v_div_scale_f64 v[5:6], null, v[2:3], v[2:3], v[0:1]
	v_div_scale_f64 v[11:12], vcc_lo, v[0:1], v[2:3], v[0:1]
	s_delay_alu instid0(VALU_DEP_2) | instskip(SKIP_2) | instid1(VALU_DEP_1)
	v_rcp_f64_e32 v[7:8], v[5:6]
	s_waitcnt_depctr 0xfff
	v_fma_f64 v[9:10], -v[5:6], v[7:8], 1.0
	v_fma_f64 v[7:8], v[7:8], v[9:10], v[7:8]
	s_delay_alu instid0(VALU_DEP_1) | instskip(NEXT) | instid1(VALU_DEP_1)
	v_fma_f64 v[9:10], -v[5:6], v[7:8], 1.0
	v_fma_f64 v[7:8], v[7:8], v[9:10], v[7:8]
	s_delay_alu instid0(VALU_DEP_1) | instskip(NEXT) | instid1(VALU_DEP_1)
	v_mul_f64 v[9:10], v[11:12], v[7:8]
	v_fma_f64 v[5:6], -v[5:6], v[9:10], v[11:12]
	s_delay_alu instid0(VALU_DEP_1) | instskip(NEXT) | instid1(VALU_DEP_1)
	v_div_fmas_f64 v[5:6], v[5:6], v[7:8], v[9:10]
	v_div_fixup_f64 v[5:6], v[5:6], v[2:3], v[0:1]
	s_delay_alu instid0(VALU_DEP_1) | instskip(NEXT) | instid1(VALU_DEP_1)
	v_fma_f64 v[0:1], v[0:1], v[5:6], v[2:3]
	v_div_scale_f64 v[2:3], null, v[0:1], v[0:1], 1.0
	s_delay_alu instid0(VALU_DEP_1) | instskip(SKIP_2) | instid1(VALU_DEP_1)
	v_rcp_f64_e32 v[7:8], v[2:3]
	s_waitcnt_depctr 0xfff
	v_fma_f64 v[9:10], -v[2:3], v[7:8], 1.0
	v_fma_f64 v[7:8], v[7:8], v[9:10], v[7:8]
	s_delay_alu instid0(VALU_DEP_1) | instskip(NEXT) | instid1(VALU_DEP_1)
	v_fma_f64 v[9:10], -v[2:3], v[7:8], 1.0
	v_fma_f64 v[7:8], v[7:8], v[9:10], v[7:8]
	v_div_scale_f64 v[9:10], vcc_lo, 1.0, v[0:1], 1.0
	s_delay_alu instid0(VALU_DEP_1) | instskip(NEXT) | instid1(VALU_DEP_1)
	v_mul_f64 v[11:12], v[9:10], v[7:8]
	v_fma_f64 v[2:3], -v[2:3], v[11:12], v[9:10]
	s_delay_alu instid0(VALU_DEP_1) | instskip(NEXT) | instid1(VALU_DEP_1)
	v_div_fmas_f64 v[2:3], v[2:3], v[7:8], v[11:12]
	v_div_fixup_f64 v[2:3], v[2:3], v[0:1], 1.0
	s_delay_alu instid0(VALU_DEP_1)
	v_mul_f64 v[0:1], v[5:6], v[2:3]
	v_xor_b32_e32 v3, 0x80000000, v3
.LBB120_809:
	s_and_not1_saveexec_b32 s2, s2
	s_cbranch_execz .LBB120_811
; %bb.810:
	s_delay_alu instid0(VALU_DEP_1) | instskip(SKIP_1) | instid1(VALU_DEP_2)
	v_div_scale_f64 v[5:6], null, v[0:1], v[0:1], v[2:3]
	v_div_scale_f64 v[11:12], vcc_lo, v[2:3], v[0:1], v[2:3]
	v_rcp_f64_e32 v[7:8], v[5:6]
	s_waitcnt_depctr 0xfff
	v_fma_f64 v[9:10], -v[5:6], v[7:8], 1.0
	s_delay_alu instid0(VALU_DEP_1) | instskip(NEXT) | instid1(VALU_DEP_1)
	v_fma_f64 v[7:8], v[7:8], v[9:10], v[7:8]
	v_fma_f64 v[9:10], -v[5:6], v[7:8], 1.0
	s_delay_alu instid0(VALU_DEP_1) | instskip(NEXT) | instid1(VALU_DEP_1)
	v_fma_f64 v[7:8], v[7:8], v[9:10], v[7:8]
	v_mul_f64 v[9:10], v[11:12], v[7:8]
	s_delay_alu instid0(VALU_DEP_1) | instskip(NEXT) | instid1(VALU_DEP_1)
	v_fma_f64 v[5:6], -v[5:6], v[9:10], v[11:12]
	v_div_fmas_f64 v[5:6], v[5:6], v[7:8], v[9:10]
	s_delay_alu instid0(VALU_DEP_1) | instskip(NEXT) | instid1(VALU_DEP_1)
	v_div_fixup_f64 v[5:6], v[5:6], v[0:1], v[2:3]
	v_fma_f64 v[0:1], v[2:3], v[5:6], v[0:1]
	s_delay_alu instid0(VALU_DEP_1) | instskip(NEXT) | instid1(VALU_DEP_1)
	v_div_scale_f64 v[2:3], null, v[0:1], v[0:1], 1.0
	v_rcp_f64_e32 v[7:8], v[2:3]
	s_waitcnt_depctr 0xfff
	v_fma_f64 v[9:10], -v[2:3], v[7:8], 1.0
	s_delay_alu instid0(VALU_DEP_1) | instskip(NEXT) | instid1(VALU_DEP_1)
	v_fma_f64 v[7:8], v[7:8], v[9:10], v[7:8]
	v_fma_f64 v[9:10], -v[2:3], v[7:8], 1.0
	s_delay_alu instid0(VALU_DEP_1) | instskip(SKIP_1) | instid1(VALU_DEP_1)
	v_fma_f64 v[7:8], v[7:8], v[9:10], v[7:8]
	v_div_scale_f64 v[9:10], vcc_lo, 1.0, v[0:1], 1.0
	v_mul_f64 v[11:12], v[9:10], v[7:8]
	s_delay_alu instid0(VALU_DEP_1) | instskip(NEXT) | instid1(VALU_DEP_1)
	v_fma_f64 v[2:3], -v[2:3], v[11:12], v[9:10]
	v_div_fmas_f64 v[2:3], v[2:3], v[7:8], v[11:12]
	s_delay_alu instid0(VALU_DEP_1) | instskip(NEXT) | instid1(VALU_DEP_1)
	v_div_fixup_f64 v[0:1], v[2:3], v[0:1], 1.0
	v_mul_f64 v[2:3], v[5:6], -v[0:1]
.LBB120_811:
	s_or_b32 exec_lo, exec_lo, s2
.LBB120_812:
	s_delay_alu instid0(SALU_CYCLE_1) | instskip(NEXT) | instid1(SALU_CYCLE_1)
	s_or_b32 exec_lo, exec_lo, s3
	s_mov_b32 s2, exec_lo
	v_cmpx_ne_u32_e64 v38, v4
	s_xor_b32 s2, exec_lo, s2
	s_cbranch_execz .LBB120_818
; %bb.813:
	s_mov_b32 s3, exec_lo
	v_cmpx_eq_u32_e32 33, v38
	s_cbranch_execz .LBB120_817
; %bb.814:
	v_cmp_ne_u32_e32 vcc_lo, 33, v4
	s_xor_b32 s6, s4, -1
	s_delay_alu instid0(SALU_CYCLE_1) | instskip(NEXT) | instid1(SALU_CYCLE_1)
	s_and_b32 s7, s6, vcc_lo
	s_and_saveexec_b32 s6, s7
	s_cbranch_execz .LBB120_816
; %bb.815:
	v_ashrrev_i32_e32 v5, 31, v4
	s_delay_alu instid0(VALU_DEP_1) | instskip(NEXT) | instid1(VALU_DEP_1)
	v_lshlrev_b64 v[5:6], 2, v[4:5]
	v_add_co_u32 v5, vcc_lo, v18, v5
	s_delay_alu instid0(VALU_DEP_2)
	v_add_co_ci_u32_e32 v6, vcc_lo, v19, v6, vcc_lo
	s_clause 0x1
	flat_load_b32 v7, v[5:6]
	flat_load_b32 v8, v[18:19] offset:132
	s_waitcnt vmcnt(1) lgkmcnt(1)
	flat_store_b32 v[18:19], v7 offset:132
	s_waitcnt vmcnt(0) lgkmcnt(1)
	flat_store_b32 v[5:6], v8
.LBB120_816:
	s_or_b32 exec_lo, exec_lo, s6
	v_mov_b32_e32 v38, v4
	v_mov_b32_e32 v37, v4
.LBB120_817:
	s_or_b32 exec_lo, exec_lo, s3
.LBB120_818:
	s_and_not1_saveexec_b32 s2, s2
	s_cbranch_execz .LBB120_820
; %bb.819:
	s_clause 0x1a
	scratch_load_b128 v[4:7], v162, off
	scratch_load_b128 v[8:11], v161, off
	;; [unrolled: 1-line block ×27, first 2 shown]
	v_mov_b32_e32 v38, 33
	s_waitcnt vmcnt(26)
	ds_store_2addr_b64 v20, v[4:5], v[6:7] offset0:68 offset1:69
	s_waitcnt vmcnt(25)
	ds_store_2addr_b64 v20, v[8:9], v[10:11] offset0:70 offset1:71
	;; [unrolled: 2-line block ×27, first 2 shown]
.LBB120_820:
	s_or_b32 exec_lo, exec_lo, s2
	s_delay_alu instid0(SALU_CYCLE_1)
	s_mov_b32 s2, exec_lo
	s_waitcnt lgkmcnt(0)
	s_waitcnt_vscnt null, 0x0
	s_barrier
	buffer_gl0_inv
	v_cmpx_lt_i32_e32 33, v38
	s_cbranch_execz .LBB120_823
; %bb.821:
	scratch_load_b128 v[4:7], off, off offset:528
	s_mov_b32 s3, 0
	s_waitcnt vmcnt(0)
	v_mul_f64 v[8:9], v[2:3], v[6:7]
	v_mul_f64 v[6:7], v[0:1], v[6:7]
	s_delay_alu instid0(VALU_DEP_2) | instskip(NEXT) | instid1(VALU_DEP_2)
	v_fma_f64 v[0:1], v[0:1], v[4:5], -v[8:9]
	v_fma_f64 v[2:3], v[2:3], v[4:5], v[6:7]
	v_add3_u32 v4, v36, 0, 0x220
	v_mov_b32_e32 v5, 0
	scratch_store_b128 off, v[0:3], off offset:528
.LBB120_822:                            ; =>This Inner Loop Header: Depth=1
	v_readfirstlane_b32 s6, v5
	v_add_nc_u32_e32 v14, s3, v4
	s_delay_alu instid0(VALU_DEP_2)
	s_add_i32 s6, s6, s3
	s_add_i32 s3, s3, 48
	;; [unrolled: 1-line block ×4, first 2 shown]
	s_addk_i32 s6, 0x240
	s_clause 0x2
	scratch_load_b128 v[6:9], off, s7
	scratch_load_b128 v[10:13], off, s9
	;; [unrolled: 1-line block ×3, first 2 shown]
	ds_load_2addr_b64 v[45:48], v14 offset1:1
	ds_load_2addr_b64 v[57:60], v14 offset0:2 offset1:3
	ds_load_2addr_b64 v[61:64], v14 offset0:4 offset1:5
	s_cmpk_lg_i32 s3, 0x1b0
	s_waitcnt lgkmcnt(2)
	v_mul_f64 v[14:15], v[47:48], v[2:3]
	v_mul_f64 v[49:50], v[45:46], v[2:3]
	s_waitcnt lgkmcnt(1)
	v_mul_f64 v[53:54], v[59:60], v[2:3]
	v_mul_f64 v[65:66], v[57:58], v[2:3]
	;; [unrolled: 3-line block ×3, first 2 shown]
	v_fma_f64 v[14:15], v[45:46], v[0:1], -v[14:15]
	v_fma_f64 v[45:46], v[47:48], v[0:1], v[49:50]
	v_fma_f64 v[47:48], v[57:58], v[0:1], -v[53:54]
	v_fma_f64 v[49:50], v[59:60], v[0:1], v[65:66]
	;; [unrolled: 2-line block ×3, first 2 shown]
	s_waitcnt vmcnt(2)
	v_add_f64 v[6:7], v[6:7], -v[14:15]
	v_add_f64 v[8:9], v[8:9], -v[45:46]
	s_waitcnt vmcnt(1)
	v_add_f64 v[10:11], v[10:11], -v[47:48]
	v_add_f64 v[12:13], v[12:13], -v[49:50]
	;; [unrolled: 3-line block ×3, first 2 shown]
	s_clause 0x2
	scratch_store_b128 off, v[6:9], s7
	scratch_store_b128 off, v[10:13], s9
	scratch_store_b128 off, v[41:44], s6
	s_cbranch_scc1 .LBB120_822
.LBB120_823:
	s_or_b32 exec_lo, exec_lo, s2
	s_waitcnt_vscnt null, 0x0
	s_barrier
	buffer_gl0_inv
	scratch_load_b128 v[0:3], v162, off
	v_lshl_add_u32 v4, v38, 4, v20
	s_cmp_lt_i32 s5, 36
	s_waitcnt vmcnt(0)
	ds_store_2addr_b64 v4, v[0:1], v[2:3] offset1:1
	s_waitcnt lgkmcnt(0)
	s_barrier
	buffer_gl0_inv
	ds_load_2addr_b64 v[0:3], v20 offset0:68 offset1:69
	v_mov_b32_e32 v4, 34
	s_cbranch_scc1 .LBB120_826
; %bb.824:
	v_add3_u32 v5, v36, 0, 0x230
	v_mov_b32_e32 v4, 34
	s_mov_b32 s6, 35
	s_set_inst_prefetch_distance 0x1
	.p2align	6
.LBB120_825:                            ; =>This Inner Loop Header: Depth=1
	ds_load_2addr_b64 v[6:9], v5 offset1:1
	s_waitcnt lgkmcnt(1)
	v_cmp_gt_f64_e32 vcc_lo, 0, v[0:1]
	v_xor_b32_e32 v10, 0x80000000, v1
	v_cmp_gt_f64_e64 s2, 0, v[2:3]
	v_xor_b32_e32 v12, 0x80000000, v3
	v_add_nc_u32_e32 v5, 16, v5
	s_waitcnt lgkmcnt(0)
	v_cmp_gt_f64_e64 s3, 0, v[6:7]
	v_dual_mov_b32 v41, v8 :: v_dual_mov_b32 v14, v6
	v_cndmask_b32_e32 v11, v1, v10, vcc_lo
	v_xor_b32_e32 v10, 0x80000000, v7
	v_cndmask_b32_e64 v13, v3, v12, s2
	v_xor_b32_e32 v12, 0x80000000, v9
	s_delay_alu instid0(VALU_DEP_3) | instskip(SKIP_2) | instid1(VALU_DEP_2)
	v_cndmask_b32_e64 v15, v7, v10, s3
	v_cmp_gt_f64_e64 s3, 0, v[8:9]
	v_cndmask_b32_e32 v10, v0, v0, vcc_lo
	v_cndmask_b32_e64 v42, v9, v12, s3
	v_cndmask_b32_e64 v12, v2, v2, s2
	s_delay_alu instid0(VALU_DEP_2) | instskip(NEXT) | instid1(VALU_DEP_2)
	v_add_f64 v[14:15], v[14:15], v[41:42]
	v_add_f64 v[10:11], v[10:11], v[12:13]
	s_delay_alu instid0(VALU_DEP_1) | instskip(SKIP_4) | instid1(SALU_CYCLE_1)
	v_cmp_lt_f64_e32 vcc_lo, v[10:11], v[14:15]
	v_dual_cndmask_b32 v1, v1, v7 :: v_dual_cndmask_b32 v0, v0, v6
	v_dual_cndmask_b32 v3, v3, v9 :: v_dual_cndmask_b32 v2, v2, v8
	v_cndmask_b32_e64 v4, v4, s6, vcc_lo
	s_add_i32 s6, s6, 1
	s_cmp_lg_u32 s5, s6
	s_cbranch_scc1 .LBB120_825
.LBB120_826:
	s_set_inst_prefetch_distance 0x2
	s_waitcnt lgkmcnt(0)
	v_cmp_eq_f64_e32 vcc_lo, 0, v[0:1]
	v_cmp_eq_f64_e64 s2, 0, v[2:3]
	s_delay_alu instid0(VALU_DEP_1) | instskip(NEXT) | instid1(SALU_CYCLE_1)
	s_and_b32 s2, vcc_lo, s2
	s_and_saveexec_b32 s3, s2
	s_delay_alu instid0(SALU_CYCLE_1)
	s_xor_b32 s2, exec_lo, s3
; %bb.827:
	v_cmp_ne_u32_e32 vcc_lo, 0, v35
	v_cndmask_b32_e32 v35, 35, v35, vcc_lo
; %bb.828:
	s_and_not1_saveexec_b32 s3, s2
	s_cbranch_execz .LBB120_834
; %bb.829:
	v_cmp_gt_f64_e32 vcc_lo, 0, v[0:1]
	v_cmp_gt_f64_e64 s2, 0, v[2:3]
	v_xor_b32_e32 v5, 0x80000000, v1
	v_xor_b32_e32 v7, 0x80000000, v3
	s_delay_alu instid0(VALU_DEP_2) | instskip(NEXT) | instid1(VALU_DEP_2)
	v_dual_cndmask_b32 v6, v1, v5 :: v_dual_cndmask_b32 v5, v0, v0
	v_cndmask_b32_e64 v8, v3, v7, s2
	v_cndmask_b32_e64 v7, v2, v2, s2
	s_mov_b32 s2, exec_lo
	s_delay_alu instid0(VALU_DEP_1)
	v_cmpx_ngt_f64_e32 v[5:6], v[7:8]
	s_xor_b32 s2, exec_lo, s2
	s_cbranch_execz .LBB120_831
; %bb.830:
	v_div_scale_f64 v[5:6], null, v[2:3], v[2:3], v[0:1]
	v_div_scale_f64 v[11:12], vcc_lo, v[0:1], v[2:3], v[0:1]
	s_delay_alu instid0(VALU_DEP_2) | instskip(SKIP_2) | instid1(VALU_DEP_1)
	v_rcp_f64_e32 v[7:8], v[5:6]
	s_waitcnt_depctr 0xfff
	v_fma_f64 v[9:10], -v[5:6], v[7:8], 1.0
	v_fma_f64 v[7:8], v[7:8], v[9:10], v[7:8]
	s_delay_alu instid0(VALU_DEP_1) | instskip(NEXT) | instid1(VALU_DEP_1)
	v_fma_f64 v[9:10], -v[5:6], v[7:8], 1.0
	v_fma_f64 v[7:8], v[7:8], v[9:10], v[7:8]
	s_delay_alu instid0(VALU_DEP_1) | instskip(NEXT) | instid1(VALU_DEP_1)
	v_mul_f64 v[9:10], v[11:12], v[7:8]
	v_fma_f64 v[5:6], -v[5:6], v[9:10], v[11:12]
	s_delay_alu instid0(VALU_DEP_1) | instskip(NEXT) | instid1(VALU_DEP_1)
	v_div_fmas_f64 v[5:6], v[5:6], v[7:8], v[9:10]
	v_div_fixup_f64 v[5:6], v[5:6], v[2:3], v[0:1]
	s_delay_alu instid0(VALU_DEP_1) | instskip(NEXT) | instid1(VALU_DEP_1)
	v_fma_f64 v[0:1], v[0:1], v[5:6], v[2:3]
	v_div_scale_f64 v[2:3], null, v[0:1], v[0:1], 1.0
	s_delay_alu instid0(VALU_DEP_1) | instskip(SKIP_2) | instid1(VALU_DEP_1)
	v_rcp_f64_e32 v[7:8], v[2:3]
	s_waitcnt_depctr 0xfff
	v_fma_f64 v[9:10], -v[2:3], v[7:8], 1.0
	v_fma_f64 v[7:8], v[7:8], v[9:10], v[7:8]
	s_delay_alu instid0(VALU_DEP_1) | instskip(NEXT) | instid1(VALU_DEP_1)
	v_fma_f64 v[9:10], -v[2:3], v[7:8], 1.0
	v_fma_f64 v[7:8], v[7:8], v[9:10], v[7:8]
	v_div_scale_f64 v[9:10], vcc_lo, 1.0, v[0:1], 1.0
	s_delay_alu instid0(VALU_DEP_1) | instskip(NEXT) | instid1(VALU_DEP_1)
	v_mul_f64 v[11:12], v[9:10], v[7:8]
	v_fma_f64 v[2:3], -v[2:3], v[11:12], v[9:10]
	s_delay_alu instid0(VALU_DEP_1) | instskip(NEXT) | instid1(VALU_DEP_1)
	v_div_fmas_f64 v[2:3], v[2:3], v[7:8], v[11:12]
	v_div_fixup_f64 v[2:3], v[2:3], v[0:1], 1.0
	s_delay_alu instid0(VALU_DEP_1)
	v_mul_f64 v[0:1], v[5:6], v[2:3]
	v_xor_b32_e32 v3, 0x80000000, v3
.LBB120_831:
	s_and_not1_saveexec_b32 s2, s2
	s_cbranch_execz .LBB120_833
; %bb.832:
	s_delay_alu instid0(VALU_DEP_1) | instskip(SKIP_1) | instid1(VALU_DEP_2)
	v_div_scale_f64 v[5:6], null, v[0:1], v[0:1], v[2:3]
	v_div_scale_f64 v[11:12], vcc_lo, v[2:3], v[0:1], v[2:3]
	v_rcp_f64_e32 v[7:8], v[5:6]
	s_waitcnt_depctr 0xfff
	v_fma_f64 v[9:10], -v[5:6], v[7:8], 1.0
	s_delay_alu instid0(VALU_DEP_1) | instskip(NEXT) | instid1(VALU_DEP_1)
	v_fma_f64 v[7:8], v[7:8], v[9:10], v[7:8]
	v_fma_f64 v[9:10], -v[5:6], v[7:8], 1.0
	s_delay_alu instid0(VALU_DEP_1) | instskip(NEXT) | instid1(VALU_DEP_1)
	v_fma_f64 v[7:8], v[7:8], v[9:10], v[7:8]
	v_mul_f64 v[9:10], v[11:12], v[7:8]
	s_delay_alu instid0(VALU_DEP_1) | instskip(NEXT) | instid1(VALU_DEP_1)
	v_fma_f64 v[5:6], -v[5:6], v[9:10], v[11:12]
	v_div_fmas_f64 v[5:6], v[5:6], v[7:8], v[9:10]
	s_delay_alu instid0(VALU_DEP_1) | instskip(NEXT) | instid1(VALU_DEP_1)
	v_div_fixup_f64 v[5:6], v[5:6], v[0:1], v[2:3]
	v_fma_f64 v[0:1], v[2:3], v[5:6], v[0:1]
	s_delay_alu instid0(VALU_DEP_1) | instskip(NEXT) | instid1(VALU_DEP_1)
	v_div_scale_f64 v[2:3], null, v[0:1], v[0:1], 1.0
	v_rcp_f64_e32 v[7:8], v[2:3]
	s_waitcnt_depctr 0xfff
	v_fma_f64 v[9:10], -v[2:3], v[7:8], 1.0
	s_delay_alu instid0(VALU_DEP_1) | instskip(NEXT) | instid1(VALU_DEP_1)
	v_fma_f64 v[7:8], v[7:8], v[9:10], v[7:8]
	v_fma_f64 v[9:10], -v[2:3], v[7:8], 1.0
	s_delay_alu instid0(VALU_DEP_1) | instskip(SKIP_1) | instid1(VALU_DEP_1)
	v_fma_f64 v[7:8], v[7:8], v[9:10], v[7:8]
	v_div_scale_f64 v[9:10], vcc_lo, 1.0, v[0:1], 1.0
	v_mul_f64 v[11:12], v[9:10], v[7:8]
	s_delay_alu instid0(VALU_DEP_1) | instskip(NEXT) | instid1(VALU_DEP_1)
	v_fma_f64 v[2:3], -v[2:3], v[11:12], v[9:10]
	v_div_fmas_f64 v[2:3], v[2:3], v[7:8], v[11:12]
	s_delay_alu instid0(VALU_DEP_1) | instskip(NEXT) | instid1(VALU_DEP_1)
	v_div_fixup_f64 v[0:1], v[2:3], v[0:1], 1.0
	v_mul_f64 v[2:3], v[5:6], -v[0:1]
.LBB120_833:
	s_or_b32 exec_lo, exec_lo, s2
.LBB120_834:
	s_delay_alu instid0(SALU_CYCLE_1) | instskip(NEXT) | instid1(SALU_CYCLE_1)
	s_or_b32 exec_lo, exec_lo, s3
	s_mov_b32 s2, exec_lo
	v_cmpx_ne_u32_e64 v38, v4
	s_xor_b32 s2, exec_lo, s2
	s_cbranch_execz .LBB120_840
; %bb.835:
	s_mov_b32 s3, exec_lo
	v_cmpx_eq_u32_e32 34, v38
	s_cbranch_execz .LBB120_839
; %bb.836:
	v_cmp_ne_u32_e32 vcc_lo, 34, v4
	s_xor_b32 s6, s4, -1
	s_delay_alu instid0(SALU_CYCLE_1) | instskip(NEXT) | instid1(SALU_CYCLE_1)
	s_and_b32 s7, s6, vcc_lo
	s_and_saveexec_b32 s6, s7
	s_cbranch_execz .LBB120_838
; %bb.837:
	v_ashrrev_i32_e32 v5, 31, v4
	s_delay_alu instid0(VALU_DEP_1) | instskip(NEXT) | instid1(VALU_DEP_1)
	v_lshlrev_b64 v[5:6], 2, v[4:5]
	v_add_co_u32 v5, vcc_lo, v18, v5
	s_delay_alu instid0(VALU_DEP_2)
	v_add_co_ci_u32_e32 v6, vcc_lo, v19, v6, vcc_lo
	s_clause 0x1
	flat_load_b32 v7, v[5:6]
	flat_load_b32 v8, v[18:19] offset:136
	s_waitcnt vmcnt(1) lgkmcnt(1)
	flat_store_b32 v[18:19], v7 offset:136
	s_waitcnt vmcnt(0) lgkmcnt(1)
	flat_store_b32 v[5:6], v8
.LBB120_838:
	s_or_b32 exec_lo, exec_lo, s6
	v_mov_b32_e32 v38, v4
	v_mov_b32_e32 v37, v4
.LBB120_839:
	s_or_b32 exec_lo, exec_lo, s3
.LBB120_840:
	s_and_not1_saveexec_b32 s2, s2
	s_cbranch_execz .LBB120_842
; %bb.841:
	s_clause 0x19
	scratch_load_b128 v[4:7], v161, off
	scratch_load_b128 v[8:11], v160, off
	;; [unrolled: 1-line block ×26, first 2 shown]
	v_mov_b32_e32 v38, 34
	s_waitcnt vmcnt(25)
	ds_store_2addr_b64 v20, v[4:5], v[6:7] offset0:70 offset1:71
	s_waitcnt vmcnt(24)
	ds_store_2addr_b64 v20, v[8:9], v[10:11] offset0:72 offset1:73
	;; [unrolled: 2-line block ×26, first 2 shown]
.LBB120_842:
	s_or_b32 exec_lo, exec_lo, s2
	s_delay_alu instid0(SALU_CYCLE_1)
	s_mov_b32 s2, exec_lo
	s_waitcnt lgkmcnt(0)
	s_waitcnt_vscnt null, 0x0
	s_barrier
	buffer_gl0_inv
	v_cmpx_lt_i32_e32 34, v38
	s_cbranch_execz .LBB120_845
; %bb.843:
	scratch_load_b128 v[4:7], off, off offset:544
	s_mov_b32 s3, 0
	s_waitcnt vmcnt(0)
	v_mul_f64 v[8:9], v[2:3], v[6:7]
	v_mul_f64 v[6:7], v[0:1], v[6:7]
	s_delay_alu instid0(VALU_DEP_2) | instskip(NEXT) | instid1(VALU_DEP_2)
	v_fma_f64 v[0:1], v[0:1], v[4:5], -v[8:9]
	v_fma_f64 v[2:3], v[2:3], v[4:5], v[6:7]
	v_add3_u32 v4, v36, 0, 0x230
	scratch_store_b128 off, v[0:3], off offset:544
	s_set_inst_prefetch_distance 0x1
	.p2align	6
.LBB120_844:                            ; =>This Inner Loop Header: Depth=1
	v_add_nc_u32_e64 v5, s3, 0
	v_add_nc_u32_e32 v13, s3, v4
	s_add_i32 s3, s3, 32
	s_delay_alu instid0(SALU_CYCLE_1) | instskip(NEXT) | instid1(VALU_DEP_2)
	s_cmpk_lg_i32 s3, 0x1a0
	v_add_nc_u32_e32 v15, 0x230, v5
	v_add_nc_u32_e32 v39, 0x240, v5
	s_clause 0x1
	scratch_load_b128 v[5:8], v15, off
	scratch_load_b128 v[9:12], v39, off
	ds_load_2addr_b64 v[41:44], v13 offset1:1
	ds_load_2addr_b64 v[45:48], v13 offset0:2 offset1:3
	s_waitcnt lgkmcnt(1)
	v_mul_f64 v[13:14], v[43:44], v[2:3]
	v_mul_f64 v[49:50], v[41:42], v[2:3]
	s_waitcnt lgkmcnt(0)
	v_mul_f64 v[53:54], v[47:48], v[2:3]
	v_mul_f64 v[57:58], v[45:46], v[2:3]
	s_delay_alu instid0(VALU_DEP_4) | instskip(NEXT) | instid1(VALU_DEP_4)
	v_fma_f64 v[13:14], v[41:42], v[0:1], -v[13:14]
	v_fma_f64 v[41:42], v[43:44], v[0:1], v[49:50]
	s_delay_alu instid0(VALU_DEP_4) | instskip(NEXT) | instid1(VALU_DEP_4)
	v_fma_f64 v[43:44], v[45:46], v[0:1], -v[53:54]
	v_fma_f64 v[45:46], v[47:48], v[0:1], v[57:58]
	s_waitcnt vmcnt(1)
	s_delay_alu instid0(VALU_DEP_4) | instskip(NEXT) | instid1(VALU_DEP_4)
	v_add_f64 v[5:6], v[5:6], -v[13:14]
	v_add_f64 v[7:8], v[7:8], -v[41:42]
	s_waitcnt vmcnt(0)
	s_delay_alu instid0(VALU_DEP_4) | instskip(NEXT) | instid1(VALU_DEP_4)
	v_add_f64 v[9:10], v[9:10], -v[43:44]
	v_add_f64 v[11:12], v[11:12], -v[45:46]
	s_clause 0x1
	scratch_store_b128 v15, v[5:8], off
	scratch_store_b128 v39, v[9:12], off
	s_cbranch_scc1 .LBB120_844
.LBB120_845:
	s_set_inst_prefetch_distance 0x2
	s_or_b32 exec_lo, exec_lo, s2
	s_waitcnt_vscnt null, 0x0
	s_barrier
	buffer_gl0_inv
	scratch_load_b128 v[0:3], v161, off
	v_lshl_add_u32 v4, v38, 4, v20
	s_cmp_lt_i32 s5, 37
	s_waitcnt vmcnt(0)
	ds_store_2addr_b64 v4, v[0:1], v[2:3] offset1:1
	s_waitcnt lgkmcnt(0)
	s_barrier
	buffer_gl0_inv
	ds_load_2addr_b64 v[0:3], v20 offset0:70 offset1:71
	v_mov_b32_e32 v4, 35
	s_cbranch_scc1 .LBB120_848
; %bb.846:
	v_add3_u32 v5, v36, 0, 0x240
	v_mov_b32_e32 v4, 35
	s_mov_b32 s6, 36
	s_set_inst_prefetch_distance 0x1
	.p2align	6
.LBB120_847:                            ; =>This Inner Loop Header: Depth=1
	ds_load_2addr_b64 v[6:9], v5 offset1:1
	s_waitcnt lgkmcnt(1)
	v_cmp_gt_f64_e32 vcc_lo, 0, v[0:1]
	v_xor_b32_e32 v10, 0x80000000, v1
	v_cmp_gt_f64_e64 s2, 0, v[2:3]
	v_xor_b32_e32 v12, 0x80000000, v3
	v_add_nc_u32_e32 v5, 16, v5
	s_waitcnt lgkmcnt(0)
	v_cmp_gt_f64_e64 s3, 0, v[6:7]
	v_dual_mov_b32 v41, v8 :: v_dual_mov_b32 v14, v6
	v_cndmask_b32_e32 v11, v1, v10, vcc_lo
	v_xor_b32_e32 v10, 0x80000000, v7
	v_cndmask_b32_e64 v13, v3, v12, s2
	v_xor_b32_e32 v12, 0x80000000, v9
	s_delay_alu instid0(VALU_DEP_3) | instskip(SKIP_2) | instid1(VALU_DEP_2)
	v_cndmask_b32_e64 v15, v7, v10, s3
	v_cmp_gt_f64_e64 s3, 0, v[8:9]
	v_cndmask_b32_e32 v10, v0, v0, vcc_lo
	v_cndmask_b32_e64 v42, v9, v12, s3
	v_cndmask_b32_e64 v12, v2, v2, s2
	s_delay_alu instid0(VALU_DEP_2) | instskip(NEXT) | instid1(VALU_DEP_2)
	v_add_f64 v[14:15], v[14:15], v[41:42]
	v_add_f64 v[10:11], v[10:11], v[12:13]
	s_delay_alu instid0(VALU_DEP_1) | instskip(SKIP_4) | instid1(SALU_CYCLE_1)
	v_cmp_lt_f64_e32 vcc_lo, v[10:11], v[14:15]
	v_dual_cndmask_b32 v1, v1, v7 :: v_dual_cndmask_b32 v0, v0, v6
	v_dual_cndmask_b32 v3, v3, v9 :: v_dual_cndmask_b32 v2, v2, v8
	v_cndmask_b32_e64 v4, v4, s6, vcc_lo
	s_add_i32 s6, s6, 1
	s_cmp_lg_u32 s5, s6
	s_cbranch_scc1 .LBB120_847
.LBB120_848:
	s_set_inst_prefetch_distance 0x2
	s_waitcnt lgkmcnt(0)
	v_cmp_eq_f64_e32 vcc_lo, 0, v[0:1]
	v_cmp_eq_f64_e64 s2, 0, v[2:3]
	s_delay_alu instid0(VALU_DEP_1) | instskip(NEXT) | instid1(SALU_CYCLE_1)
	s_and_b32 s2, vcc_lo, s2
	s_and_saveexec_b32 s3, s2
	s_delay_alu instid0(SALU_CYCLE_1)
	s_xor_b32 s2, exec_lo, s3
; %bb.849:
	v_cmp_ne_u32_e32 vcc_lo, 0, v35
	v_cndmask_b32_e32 v35, 36, v35, vcc_lo
; %bb.850:
	s_and_not1_saveexec_b32 s3, s2
	s_cbranch_execz .LBB120_856
; %bb.851:
	v_cmp_gt_f64_e32 vcc_lo, 0, v[0:1]
	v_cmp_gt_f64_e64 s2, 0, v[2:3]
	v_xor_b32_e32 v5, 0x80000000, v1
	v_xor_b32_e32 v7, 0x80000000, v3
	s_delay_alu instid0(VALU_DEP_2) | instskip(NEXT) | instid1(VALU_DEP_2)
	v_dual_cndmask_b32 v6, v1, v5 :: v_dual_cndmask_b32 v5, v0, v0
	v_cndmask_b32_e64 v8, v3, v7, s2
	v_cndmask_b32_e64 v7, v2, v2, s2
	s_mov_b32 s2, exec_lo
	s_delay_alu instid0(VALU_DEP_1)
	v_cmpx_ngt_f64_e32 v[5:6], v[7:8]
	s_xor_b32 s2, exec_lo, s2
	s_cbranch_execz .LBB120_853
; %bb.852:
	v_div_scale_f64 v[5:6], null, v[2:3], v[2:3], v[0:1]
	v_div_scale_f64 v[11:12], vcc_lo, v[0:1], v[2:3], v[0:1]
	s_delay_alu instid0(VALU_DEP_2) | instskip(SKIP_2) | instid1(VALU_DEP_1)
	v_rcp_f64_e32 v[7:8], v[5:6]
	s_waitcnt_depctr 0xfff
	v_fma_f64 v[9:10], -v[5:6], v[7:8], 1.0
	v_fma_f64 v[7:8], v[7:8], v[9:10], v[7:8]
	s_delay_alu instid0(VALU_DEP_1) | instskip(NEXT) | instid1(VALU_DEP_1)
	v_fma_f64 v[9:10], -v[5:6], v[7:8], 1.0
	v_fma_f64 v[7:8], v[7:8], v[9:10], v[7:8]
	s_delay_alu instid0(VALU_DEP_1) | instskip(NEXT) | instid1(VALU_DEP_1)
	v_mul_f64 v[9:10], v[11:12], v[7:8]
	v_fma_f64 v[5:6], -v[5:6], v[9:10], v[11:12]
	s_delay_alu instid0(VALU_DEP_1) | instskip(NEXT) | instid1(VALU_DEP_1)
	v_div_fmas_f64 v[5:6], v[5:6], v[7:8], v[9:10]
	v_div_fixup_f64 v[5:6], v[5:6], v[2:3], v[0:1]
	s_delay_alu instid0(VALU_DEP_1) | instskip(NEXT) | instid1(VALU_DEP_1)
	v_fma_f64 v[0:1], v[0:1], v[5:6], v[2:3]
	v_div_scale_f64 v[2:3], null, v[0:1], v[0:1], 1.0
	s_delay_alu instid0(VALU_DEP_1) | instskip(SKIP_2) | instid1(VALU_DEP_1)
	v_rcp_f64_e32 v[7:8], v[2:3]
	s_waitcnt_depctr 0xfff
	v_fma_f64 v[9:10], -v[2:3], v[7:8], 1.0
	v_fma_f64 v[7:8], v[7:8], v[9:10], v[7:8]
	s_delay_alu instid0(VALU_DEP_1) | instskip(NEXT) | instid1(VALU_DEP_1)
	v_fma_f64 v[9:10], -v[2:3], v[7:8], 1.0
	v_fma_f64 v[7:8], v[7:8], v[9:10], v[7:8]
	v_div_scale_f64 v[9:10], vcc_lo, 1.0, v[0:1], 1.0
	s_delay_alu instid0(VALU_DEP_1) | instskip(NEXT) | instid1(VALU_DEP_1)
	v_mul_f64 v[11:12], v[9:10], v[7:8]
	v_fma_f64 v[2:3], -v[2:3], v[11:12], v[9:10]
	s_delay_alu instid0(VALU_DEP_1) | instskip(NEXT) | instid1(VALU_DEP_1)
	v_div_fmas_f64 v[2:3], v[2:3], v[7:8], v[11:12]
	v_div_fixup_f64 v[2:3], v[2:3], v[0:1], 1.0
	s_delay_alu instid0(VALU_DEP_1)
	v_mul_f64 v[0:1], v[5:6], v[2:3]
	v_xor_b32_e32 v3, 0x80000000, v3
.LBB120_853:
	s_and_not1_saveexec_b32 s2, s2
	s_cbranch_execz .LBB120_855
; %bb.854:
	s_delay_alu instid0(VALU_DEP_1) | instskip(SKIP_1) | instid1(VALU_DEP_2)
	v_div_scale_f64 v[5:6], null, v[0:1], v[0:1], v[2:3]
	v_div_scale_f64 v[11:12], vcc_lo, v[2:3], v[0:1], v[2:3]
	v_rcp_f64_e32 v[7:8], v[5:6]
	s_waitcnt_depctr 0xfff
	v_fma_f64 v[9:10], -v[5:6], v[7:8], 1.0
	s_delay_alu instid0(VALU_DEP_1) | instskip(NEXT) | instid1(VALU_DEP_1)
	v_fma_f64 v[7:8], v[7:8], v[9:10], v[7:8]
	v_fma_f64 v[9:10], -v[5:6], v[7:8], 1.0
	s_delay_alu instid0(VALU_DEP_1) | instskip(NEXT) | instid1(VALU_DEP_1)
	v_fma_f64 v[7:8], v[7:8], v[9:10], v[7:8]
	v_mul_f64 v[9:10], v[11:12], v[7:8]
	s_delay_alu instid0(VALU_DEP_1) | instskip(NEXT) | instid1(VALU_DEP_1)
	v_fma_f64 v[5:6], -v[5:6], v[9:10], v[11:12]
	v_div_fmas_f64 v[5:6], v[5:6], v[7:8], v[9:10]
	s_delay_alu instid0(VALU_DEP_1) | instskip(NEXT) | instid1(VALU_DEP_1)
	v_div_fixup_f64 v[5:6], v[5:6], v[0:1], v[2:3]
	v_fma_f64 v[0:1], v[2:3], v[5:6], v[0:1]
	s_delay_alu instid0(VALU_DEP_1) | instskip(NEXT) | instid1(VALU_DEP_1)
	v_div_scale_f64 v[2:3], null, v[0:1], v[0:1], 1.0
	v_rcp_f64_e32 v[7:8], v[2:3]
	s_waitcnt_depctr 0xfff
	v_fma_f64 v[9:10], -v[2:3], v[7:8], 1.0
	s_delay_alu instid0(VALU_DEP_1) | instskip(NEXT) | instid1(VALU_DEP_1)
	v_fma_f64 v[7:8], v[7:8], v[9:10], v[7:8]
	v_fma_f64 v[9:10], -v[2:3], v[7:8], 1.0
	s_delay_alu instid0(VALU_DEP_1) | instskip(SKIP_1) | instid1(VALU_DEP_1)
	v_fma_f64 v[7:8], v[7:8], v[9:10], v[7:8]
	v_div_scale_f64 v[9:10], vcc_lo, 1.0, v[0:1], 1.0
	v_mul_f64 v[11:12], v[9:10], v[7:8]
	s_delay_alu instid0(VALU_DEP_1) | instskip(NEXT) | instid1(VALU_DEP_1)
	v_fma_f64 v[2:3], -v[2:3], v[11:12], v[9:10]
	v_div_fmas_f64 v[2:3], v[2:3], v[7:8], v[11:12]
	s_delay_alu instid0(VALU_DEP_1) | instskip(NEXT) | instid1(VALU_DEP_1)
	v_div_fixup_f64 v[0:1], v[2:3], v[0:1], 1.0
	v_mul_f64 v[2:3], v[5:6], -v[0:1]
.LBB120_855:
	s_or_b32 exec_lo, exec_lo, s2
.LBB120_856:
	s_delay_alu instid0(SALU_CYCLE_1) | instskip(NEXT) | instid1(SALU_CYCLE_1)
	s_or_b32 exec_lo, exec_lo, s3
	s_mov_b32 s2, exec_lo
	v_cmpx_ne_u32_e64 v38, v4
	s_xor_b32 s2, exec_lo, s2
	s_cbranch_execz .LBB120_862
; %bb.857:
	s_mov_b32 s3, exec_lo
	v_cmpx_eq_u32_e32 35, v38
	s_cbranch_execz .LBB120_861
; %bb.858:
	v_cmp_ne_u32_e32 vcc_lo, 35, v4
	s_xor_b32 s6, s4, -1
	s_delay_alu instid0(SALU_CYCLE_1) | instskip(NEXT) | instid1(SALU_CYCLE_1)
	s_and_b32 s7, s6, vcc_lo
	s_and_saveexec_b32 s6, s7
	s_cbranch_execz .LBB120_860
; %bb.859:
	v_ashrrev_i32_e32 v5, 31, v4
	s_delay_alu instid0(VALU_DEP_1) | instskip(NEXT) | instid1(VALU_DEP_1)
	v_lshlrev_b64 v[5:6], 2, v[4:5]
	v_add_co_u32 v5, vcc_lo, v18, v5
	s_delay_alu instid0(VALU_DEP_2)
	v_add_co_ci_u32_e32 v6, vcc_lo, v19, v6, vcc_lo
	s_clause 0x1
	flat_load_b32 v7, v[5:6]
	flat_load_b32 v8, v[18:19] offset:140
	s_waitcnt vmcnt(1) lgkmcnt(1)
	flat_store_b32 v[18:19], v7 offset:140
	s_waitcnt vmcnt(0) lgkmcnt(1)
	flat_store_b32 v[5:6], v8
.LBB120_860:
	s_or_b32 exec_lo, exec_lo, s6
	v_mov_b32_e32 v38, v4
	v_mov_b32_e32 v37, v4
.LBB120_861:
	s_or_b32 exec_lo, exec_lo, s3
.LBB120_862:
	s_and_not1_saveexec_b32 s2, s2
	s_cbranch_execz .LBB120_864
; %bb.863:
	s_clause 0x18
	scratch_load_b128 v[4:7], v160, off
	scratch_load_b128 v[8:11], v159, off
	;; [unrolled: 1-line block ×25, first 2 shown]
	v_mov_b32_e32 v38, 35
	s_waitcnt vmcnt(24)
	ds_store_2addr_b64 v20, v[4:5], v[6:7] offset0:72 offset1:73
	s_waitcnt vmcnt(23)
	ds_store_2addr_b64 v20, v[8:9], v[10:11] offset0:74 offset1:75
	;; [unrolled: 2-line block ×25, first 2 shown]
.LBB120_864:
	s_or_b32 exec_lo, exec_lo, s2
	s_delay_alu instid0(SALU_CYCLE_1)
	s_mov_b32 s2, exec_lo
	s_waitcnt lgkmcnt(0)
	s_waitcnt_vscnt null, 0x0
	s_barrier
	buffer_gl0_inv
	v_cmpx_lt_i32_e32 35, v38
	s_cbranch_execz .LBB120_867
; %bb.865:
	scratch_load_b128 v[4:7], off, off offset:560
	s_mov_b32 s3, 0
	s_waitcnt vmcnt(0)
	v_mul_f64 v[8:9], v[2:3], v[6:7]
	v_mul_f64 v[6:7], v[0:1], v[6:7]
	s_delay_alu instid0(VALU_DEP_2) | instskip(NEXT) | instid1(VALU_DEP_2)
	v_fma_f64 v[0:1], v[0:1], v[4:5], -v[8:9]
	v_fma_f64 v[2:3], v[2:3], v[4:5], v[6:7]
	v_add3_u32 v4, v36, 0, 0x240
	v_mov_b32_e32 v5, 0
	scratch_store_b128 off, v[0:3], off offset:560
.LBB120_866:                            ; =>This Inner Loop Header: Depth=1
	v_readfirstlane_b32 s6, v5
	v_add_nc_u32_e32 v14, s3, v4
	s_delay_alu instid0(VALU_DEP_2)
	s_add_i32 s6, s6, s3
	s_addk_i32 s3, 0x50
	s_add_i32 s7, s6, 0x240
	s_add_i32 s9, s6, 0x250
	;; [unrolled: 1-line block ×4, first 2 shown]
	s_addk_i32 s6, 0x280
	s_clause 0x4
	scratch_load_b128 v[6:9], off, s7
	scratch_load_b128 v[10:13], off, s9
	scratch_load_b128 v[41:44], off, s12
	scratch_load_b128 v[45:48], off, s14
	scratch_load_b128 v[57:60], off, s6
	ds_load_2addr_b64 v[61:64], v14 offset1:1
	ds_load_2addr_b64 v[73:76], v14 offset0:2 offset1:3
	ds_load_2addr_b64 v[81:84], v14 offset0:4 offset1:5
	;; [unrolled: 1-line block ×4, first 2 shown]
	s_cmpk_lg_i32 s3, 0x190
	s_waitcnt lgkmcnt(4)
	v_mul_f64 v[14:15], v[63:64], v[2:3]
	v_mul_f64 v[49:50], v[61:62], v[2:3]
	s_waitcnt lgkmcnt(3)
	v_mul_f64 v[53:54], v[75:76], v[2:3]
	v_mul_f64 v[65:66], v[73:74], v[2:3]
	;; [unrolled: 3-line block ×5, first 2 shown]
	v_fma_f64 v[14:15], v[61:62], v[0:1], -v[14:15]
	v_fma_f64 v[49:50], v[63:64], v[0:1], v[49:50]
	v_fma_f64 v[53:54], v[73:74], v[0:1], -v[53:54]
	v_fma_f64 v[61:62], v[75:76], v[0:1], v[65:66]
	v_fma_f64 v[63:64], v[81:82], v[0:1], -v[69:70]
	v_fma_f64 v[65:66], v[83:84], v[0:1], v[77:78]
	v_fma_f64 v[69:70], v[85:86], v[0:1], -v[93:94]
	v_fma_f64 v[73:74], v[87:88], v[0:1], v[95:96]
	v_fma_f64 v[75:76], v[89:90], v[0:1], -v[102:103]
	v_fma_f64 v[77:78], v[91:92], v[0:1], v[105:106]
	s_waitcnt vmcnt(4)
	v_add_f64 v[6:7], v[6:7], -v[14:15]
	v_add_f64 v[8:9], v[8:9], -v[49:50]
	s_waitcnt vmcnt(3)
	v_add_f64 v[10:11], v[10:11], -v[53:54]
	v_add_f64 v[12:13], v[12:13], -v[61:62]
	s_waitcnt vmcnt(2)
	v_add_f64 v[41:42], v[41:42], -v[63:64]
	v_add_f64 v[43:44], v[43:44], -v[65:66]
	s_waitcnt vmcnt(1)
	v_add_f64 v[45:46], v[45:46], -v[69:70]
	v_add_f64 v[47:48], v[47:48], -v[73:74]
	s_waitcnt vmcnt(0)
	v_add_f64 v[57:58], v[57:58], -v[75:76]
	v_add_f64 v[59:60], v[59:60], -v[77:78]
	s_clause 0x4
	scratch_store_b128 off, v[6:9], s7
	scratch_store_b128 off, v[10:13], s9
	;; [unrolled: 1-line block ×5, first 2 shown]
	s_cbranch_scc1 .LBB120_866
.LBB120_867:
	s_or_b32 exec_lo, exec_lo, s2
	s_waitcnt_vscnt null, 0x0
	s_barrier
	buffer_gl0_inv
	scratch_load_b128 v[0:3], v160, off
	v_lshl_add_u32 v4, v38, 4, v20
	s_cmp_lt_i32 s5, 38
	s_waitcnt vmcnt(0)
	ds_store_2addr_b64 v4, v[0:1], v[2:3] offset1:1
	s_waitcnt lgkmcnt(0)
	s_barrier
	buffer_gl0_inv
	ds_load_2addr_b64 v[0:3], v20 offset0:72 offset1:73
	v_mov_b32_e32 v4, 36
	s_cbranch_scc1 .LBB120_870
; %bb.868:
	v_add3_u32 v5, v36, 0, 0x250
	v_mov_b32_e32 v4, 36
	s_mov_b32 s6, 37
	s_set_inst_prefetch_distance 0x1
	.p2align	6
.LBB120_869:                            ; =>This Inner Loop Header: Depth=1
	ds_load_2addr_b64 v[6:9], v5 offset1:1
	s_waitcnt lgkmcnt(1)
	v_cmp_gt_f64_e32 vcc_lo, 0, v[0:1]
	v_xor_b32_e32 v10, 0x80000000, v1
	v_cmp_gt_f64_e64 s2, 0, v[2:3]
	v_xor_b32_e32 v12, 0x80000000, v3
	v_add_nc_u32_e32 v5, 16, v5
	s_waitcnt lgkmcnt(0)
	v_cmp_gt_f64_e64 s3, 0, v[6:7]
	v_dual_mov_b32 v41, v8 :: v_dual_mov_b32 v14, v6
	v_cndmask_b32_e32 v11, v1, v10, vcc_lo
	v_xor_b32_e32 v10, 0x80000000, v7
	v_cndmask_b32_e64 v13, v3, v12, s2
	v_xor_b32_e32 v12, 0x80000000, v9
	s_delay_alu instid0(VALU_DEP_3) | instskip(SKIP_2) | instid1(VALU_DEP_2)
	v_cndmask_b32_e64 v15, v7, v10, s3
	v_cmp_gt_f64_e64 s3, 0, v[8:9]
	v_cndmask_b32_e32 v10, v0, v0, vcc_lo
	v_cndmask_b32_e64 v42, v9, v12, s3
	v_cndmask_b32_e64 v12, v2, v2, s2
	s_delay_alu instid0(VALU_DEP_2) | instskip(NEXT) | instid1(VALU_DEP_2)
	v_add_f64 v[14:15], v[14:15], v[41:42]
	v_add_f64 v[10:11], v[10:11], v[12:13]
	s_delay_alu instid0(VALU_DEP_1) | instskip(SKIP_4) | instid1(SALU_CYCLE_1)
	v_cmp_lt_f64_e32 vcc_lo, v[10:11], v[14:15]
	v_dual_cndmask_b32 v1, v1, v7 :: v_dual_cndmask_b32 v0, v0, v6
	v_dual_cndmask_b32 v3, v3, v9 :: v_dual_cndmask_b32 v2, v2, v8
	v_cndmask_b32_e64 v4, v4, s6, vcc_lo
	s_add_i32 s6, s6, 1
	s_cmp_lg_u32 s5, s6
	s_cbranch_scc1 .LBB120_869
.LBB120_870:
	s_set_inst_prefetch_distance 0x2
	s_waitcnt lgkmcnt(0)
	v_cmp_eq_f64_e32 vcc_lo, 0, v[0:1]
	v_cmp_eq_f64_e64 s2, 0, v[2:3]
	s_delay_alu instid0(VALU_DEP_1) | instskip(NEXT) | instid1(SALU_CYCLE_1)
	s_and_b32 s2, vcc_lo, s2
	s_and_saveexec_b32 s3, s2
	s_delay_alu instid0(SALU_CYCLE_1)
	s_xor_b32 s2, exec_lo, s3
; %bb.871:
	v_cmp_ne_u32_e32 vcc_lo, 0, v35
	v_cndmask_b32_e32 v35, 37, v35, vcc_lo
; %bb.872:
	s_and_not1_saveexec_b32 s3, s2
	s_cbranch_execz .LBB120_878
; %bb.873:
	v_cmp_gt_f64_e32 vcc_lo, 0, v[0:1]
	v_cmp_gt_f64_e64 s2, 0, v[2:3]
	v_xor_b32_e32 v5, 0x80000000, v1
	v_xor_b32_e32 v7, 0x80000000, v3
	s_delay_alu instid0(VALU_DEP_2) | instskip(NEXT) | instid1(VALU_DEP_2)
	v_dual_cndmask_b32 v6, v1, v5 :: v_dual_cndmask_b32 v5, v0, v0
	v_cndmask_b32_e64 v8, v3, v7, s2
	v_cndmask_b32_e64 v7, v2, v2, s2
	s_mov_b32 s2, exec_lo
	s_delay_alu instid0(VALU_DEP_1)
	v_cmpx_ngt_f64_e32 v[5:6], v[7:8]
	s_xor_b32 s2, exec_lo, s2
	s_cbranch_execz .LBB120_875
; %bb.874:
	v_div_scale_f64 v[5:6], null, v[2:3], v[2:3], v[0:1]
	v_div_scale_f64 v[11:12], vcc_lo, v[0:1], v[2:3], v[0:1]
	s_delay_alu instid0(VALU_DEP_2) | instskip(SKIP_2) | instid1(VALU_DEP_1)
	v_rcp_f64_e32 v[7:8], v[5:6]
	s_waitcnt_depctr 0xfff
	v_fma_f64 v[9:10], -v[5:6], v[7:8], 1.0
	v_fma_f64 v[7:8], v[7:8], v[9:10], v[7:8]
	s_delay_alu instid0(VALU_DEP_1) | instskip(NEXT) | instid1(VALU_DEP_1)
	v_fma_f64 v[9:10], -v[5:6], v[7:8], 1.0
	v_fma_f64 v[7:8], v[7:8], v[9:10], v[7:8]
	s_delay_alu instid0(VALU_DEP_1) | instskip(NEXT) | instid1(VALU_DEP_1)
	v_mul_f64 v[9:10], v[11:12], v[7:8]
	v_fma_f64 v[5:6], -v[5:6], v[9:10], v[11:12]
	s_delay_alu instid0(VALU_DEP_1) | instskip(NEXT) | instid1(VALU_DEP_1)
	v_div_fmas_f64 v[5:6], v[5:6], v[7:8], v[9:10]
	v_div_fixup_f64 v[5:6], v[5:6], v[2:3], v[0:1]
	s_delay_alu instid0(VALU_DEP_1) | instskip(NEXT) | instid1(VALU_DEP_1)
	v_fma_f64 v[0:1], v[0:1], v[5:6], v[2:3]
	v_div_scale_f64 v[2:3], null, v[0:1], v[0:1], 1.0
	s_delay_alu instid0(VALU_DEP_1) | instskip(SKIP_2) | instid1(VALU_DEP_1)
	v_rcp_f64_e32 v[7:8], v[2:3]
	s_waitcnt_depctr 0xfff
	v_fma_f64 v[9:10], -v[2:3], v[7:8], 1.0
	v_fma_f64 v[7:8], v[7:8], v[9:10], v[7:8]
	s_delay_alu instid0(VALU_DEP_1) | instskip(NEXT) | instid1(VALU_DEP_1)
	v_fma_f64 v[9:10], -v[2:3], v[7:8], 1.0
	v_fma_f64 v[7:8], v[7:8], v[9:10], v[7:8]
	v_div_scale_f64 v[9:10], vcc_lo, 1.0, v[0:1], 1.0
	s_delay_alu instid0(VALU_DEP_1) | instskip(NEXT) | instid1(VALU_DEP_1)
	v_mul_f64 v[11:12], v[9:10], v[7:8]
	v_fma_f64 v[2:3], -v[2:3], v[11:12], v[9:10]
	s_delay_alu instid0(VALU_DEP_1) | instskip(NEXT) | instid1(VALU_DEP_1)
	v_div_fmas_f64 v[2:3], v[2:3], v[7:8], v[11:12]
	v_div_fixup_f64 v[2:3], v[2:3], v[0:1], 1.0
	s_delay_alu instid0(VALU_DEP_1)
	v_mul_f64 v[0:1], v[5:6], v[2:3]
	v_xor_b32_e32 v3, 0x80000000, v3
.LBB120_875:
	s_and_not1_saveexec_b32 s2, s2
	s_cbranch_execz .LBB120_877
; %bb.876:
	s_delay_alu instid0(VALU_DEP_1) | instskip(SKIP_1) | instid1(VALU_DEP_2)
	v_div_scale_f64 v[5:6], null, v[0:1], v[0:1], v[2:3]
	v_div_scale_f64 v[11:12], vcc_lo, v[2:3], v[0:1], v[2:3]
	v_rcp_f64_e32 v[7:8], v[5:6]
	s_waitcnt_depctr 0xfff
	v_fma_f64 v[9:10], -v[5:6], v[7:8], 1.0
	s_delay_alu instid0(VALU_DEP_1) | instskip(NEXT) | instid1(VALU_DEP_1)
	v_fma_f64 v[7:8], v[7:8], v[9:10], v[7:8]
	v_fma_f64 v[9:10], -v[5:6], v[7:8], 1.0
	s_delay_alu instid0(VALU_DEP_1) | instskip(NEXT) | instid1(VALU_DEP_1)
	v_fma_f64 v[7:8], v[7:8], v[9:10], v[7:8]
	v_mul_f64 v[9:10], v[11:12], v[7:8]
	s_delay_alu instid0(VALU_DEP_1) | instskip(NEXT) | instid1(VALU_DEP_1)
	v_fma_f64 v[5:6], -v[5:6], v[9:10], v[11:12]
	v_div_fmas_f64 v[5:6], v[5:6], v[7:8], v[9:10]
	s_delay_alu instid0(VALU_DEP_1) | instskip(NEXT) | instid1(VALU_DEP_1)
	v_div_fixup_f64 v[5:6], v[5:6], v[0:1], v[2:3]
	v_fma_f64 v[0:1], v[2:3], v[5:6], v[0:1]
	s_delay_alu instid0(VALU_DEP_1) | instskip(NEXT) | instid1(VALU_DEP_1)
	v_div_scale_f64 v[2:3], null, v[0:1], v[0:1], 1.0
	v_rcp_f64_e32 v[7:8], v[2:3]
	s_waitcnt_depctr 0xfff
	v_fma_f64 v[9:10], -v[2:3], v[7:8], 1.0
	s_delay_alu instid0(VALU_DEP_1) | instskip(NEXT) | instid1(VALU_DEP_1)
	v_fma_f64 v[7:8], v[7:8], v[9:10], v[7:8]
	v_fma_f64 v[9:10], -v[2:3], v[7:8], 1.0
	s_delay_alu instid0(VALU_DEP_1) | instskip(SKIP_1) | instid1(VALU_DEP_1)
	v_fma_f64 v[7:8], v[7:8], v[9:10], v[7:8]
	v_div_scale_f64 v[9:10], vcc_lo, 1.0, v[0:1], 1.0
	v_mul_f64 v[11:12], v[9:10], v[7:8]
	s_delay_alu instid0(VALU_DEP_1) | instskip(NEXT) | instid1(VALU_DEP_1)
	v_fma_f64 v[2:3], -v[2:3], v[11:12], v[9:10]
	v_div_fmas_f64 v[2:3], v[2:3], v[7:8], v[11:12]
	s_delay_alu instid0(VALU_DEP_1) | instskip(NEXT) | instid1(VALU_DEP_1)
	v_div_fixup_f64 v[0:1], v[2:3], v[0:1], 1.0
	v_mul_f64 v[2:3], v[5:6], -v[0:1]
.LBB120_877:
	s_or_b32 exec_lo, exec_lo, s2
.LBB120_878:
	s_delay_alu instid0(SALU_CYCLE_1) | instskip(NEXT) | instid1(SALU_CYCLE_1)
	s_or_b32 exec_lo, exec_lo, s3
	s_mov_b32 s2, exec_lo
	v_cmpx_ne_u32_e64 v38, v4
	s_xor_b32 s2, exec_lo, s2
	s_cbranch_execz .LBB120_884
; %bb.879:
	s_mov_b32 s3, exec_lo
	v_cmpx_eq_u32_e32 36, v38
	s_cbranch_execz .LBB120_883
; %bb.880:
	v_cmp_ne_u32_e32 vcc_lo, 36, v4
	s_xor_b32 s6, s4, -1
	s_delay_alu instid0(SALU_CYCLE_1) | instskip(NEXT) | instid1(SALU_CYCLE_1)
	s_and_b32 s7, s6, vcc_lo
	s_and_saveexec_b32 s6, s7
	s_cbranch_execz .LBB120_882
; %bb.881:
	v_ashrrev_i32_e32 v5, 31, v4
	s_delay_alu instid0(VALU_DEP_1) | instskip(NEXT) | instid1(VALU_DEP_1)
	v_lshlrev_b64 v[5:6], 2, v[4:5]
	v_add_co_u32 v5, vcc_lo, v18, v5
	s_delay_alu instid0(VALU_DEP_2)
	v_add_co_ci_u32_e32 v6, vcc_lo, v19, v6, vcc_lo
	s_clause 0x1
	flat_load_b32 v7, v[5:6]
	flat_load_b32 v8, v[18:19] offset:144
	s_waitcnt vmcnt(1) lgkmcnt(1)
	flat_store_b32 v[18:19], v7 offset:144
	s_waitcnt vmcnt(0) lgkmcnt(1)
	flat_store_b32 v[5:6], v8
.LBB120_882:
	s_or_b32 exec_lo, exec_lo, s6
	v_mov_b32_e32 v38, v4
	v_mov_b32_e32 v37, v4
.LBB120_883:
	s_or_b32 exec_lo, exec_lo, s3
.LBB120_884:
	s_and_not1_saveexec_b32 s2, s2
	s_cbranch_execz .LBB120_886
; %bb.885:
	s_clause 0x17
	scratch_load_b128 v[4:7], v159, off
	scratch_load_b128 v[8:11], v158, off
	;; [unrolled: 1-line block ×24, first 2 shown]
	v_mov_b32_e32 v38, 36
	s_waitcnt vmcnt(23)
	ds_store_2addr_b64 v20, v[4:5], v[6:7] offset0:74 offset1:75
	s_waitcnt vmcnt(22)
	ds_store_2addr_b64 v20, v[8:9], v[10:11] offset0:76 offset1:77
	;; [unrolled: 2-line block ×24, first 2 shown]
.LBB120_886:
	s_or_b32 exec_lo, exec_lo, s2
	s_delay_alu instid0(SALU_CYCLE_1)
	s_mov_b32 s2, exec_lo
	s_waitcnt lgkmcnt(0)
	s_waitcnt_vscnt null, 0x0
	s_barrier
	buffer_gl0_inv
	v_cmpx_lt_i32_e32 36, v38
	s_cbranch_execz .LBB120_889
; %bb.887:
	scratch_load_b128 v[4:7], off, off offset:576
	s_mov_b32 s3, 0
	s_waitcnt vmcnt(0)
	v_mul_f64 v[8:9], v[2:3], v[6:7]
	v_mul_f64 v[6:7], v[0:1], v[6:7]
	s_delay_alu instid0(VALU_DEP_2) | instskip(NEXT) | instid1(VALU_DEP_2)
	v_fma_f64 v[0:1], v[0:1], v[4:5], -v[8:9]
	v_fma_f64 v[2:3], v[2:3], v[4:5], v[6:7]
	v_add3_u32 v4, v36, 0, 0x250
	v_mov_b32_e32 v5, 0
	scratch_store_b128 off, v[0:3], off offset:576
.LBB120_888:                            ; =>This Inner Loop Header: Depth=1
	v_readfirstlane_b32 s6, v5
	v_add_nc_u32_e32 v14, s3, v4
	s_delay_alu instid0(VALU_DEP_2)
	s_add_i32 s7, s6, s3
	s_addk_i32 s3, 0x60
	s_add_i32 s6, s7, 0x250
	s_add_i32 s9, s7, 0x260
	;; [unrolled: 1-line block ×5, first 2 shown]
	s_addk_i32 s7, 0x2a0
	s_clause 0x5
	scratch_load_b128 v[6:9], off, s6
	scratch_load_b128 v[10:13], off, s9
	;; [unrolled: 1-line block ×6, first 2 shown]
	ds_load_2addr_b64 v[73:76], v14 offset1:1
	ds_load_2addr_b64 v[81:84], v14 offset0:2 offset1:3
	ds_load_2addr_b64 v[85:88], v14 offset0:4 offset1:5
	ds_load_2addr_b64 v[89:92], v14 offset0:6 offset1:7
	ds_load_2addr_b64 v[93:96], v14 offset0:8 offset1:9
	ds_load_2addr_b64 v[129:132], v14 offset0:10 offset1:11
	s_cmpk_lg_i32 s3, 0x180
	s_waitcnt lgkmcnt(5)
	v_mul_f64 v[14:15], v[75:76], v[2:3]
	v_mul_f64 v[49:50], v[73:74], v[2:3]
	s_waitcnt lgkmcnt(4)
	v_mul_f64 v[53:54], v[83:84], v[2:3]
	v_mul_f64 v[65:66], v[81:82], v[2:3]
	;; [unrolled: 3-line block ×6, first 2 shown]
	v_fma_f64 v[14:15], v[73:74], v[0:1], -v[14:15]
	v_fma_f64 v[49:50], v[75:76], v[0:1], v[49:50]
	v_fma_f64 v[53:54], v[81:82], v[0:1], -v[53:54]
	v_fma_f64 v[65:66], v[83:84], v[0:1], v[65:66]
	;; [unrolled: 2-line block ×6, first 2 shown]
	s_waitcnt vmcnt(5)
	v_add_f64 v[6:7], v[6:7], -v[14:15]
	v_add_f64 v[8:9], v[8:9], -v[49:50]
	s_waitcnt vmcnt(4)
	v_add_f64 v[10:11], v[10:11], -v[53:54]
	v_add_f64 v[12:13], v[12:13], -v[65:66]
	;; [unrolled: 3-line block ×6, first 2 shown]
	s_clause 0x5
	scratch_store_b128 off, v[6:9], s6
	scratch_store_b128 off, v[10:13], s9
	scratch_store_b128 off, v[41:44], s12
	scratch_store_b128 off, v[45:48], s14
	scratch_store_b128 off, v[57:60], s15
	scratch_store_b128 off, v[61:64], s7
	s_cbranch_scc1 .LBB120_888
.LBB120_889:
	s_or_b32 exec_lo, exec_lo, s2
	s_waitcnt_vscnt null, 0x0
	s_barrier
	buffer_gl0_inv
	scratch_load_b128 v[0:3], v159, off
	v_lshl_add_u32 v4, v38, 4, v20
	s_cmp_lt_i32 s5, 39
	s_waitcnt vmcnt(0)
	ds_store_2addr_b64 v4, v[0:1], v[2:3] offset1:1
	s_waitcnt lgkmcnt(0)
	s_barrier
	buffer_gl0_inv
	ds_load_2addr_b64 v[0:3], v20 offset0:74 offset1:75
	v_mov_b32_e32 v4, 37
	s_cbranch_scc1 .LBB120_892
; %bb.890:
	v_add3_u32 v5, v36, 0, 0x260
	v_mov_b32_e32 v4, 37
	s_mov_b32 s6, 38
	s_set_inst_prefetch_distance 0x1
	.p2align	6
.LBB120_891:                            ; =>This Inner Loop Header: Depth=1
	ds_load_2addr_b64 v[6:9], v5 offset1:1
	s_waitcnt lgkmcnt(1)
	v_cmp_gt_f64_e32 vcc_lo, 0, v[0:1]
	v_xor_b32_e32 v10, 0x80000000, v1
	v_cmp_gt_f64_e64 s2, 0, v[2:3]
	v_xor_b32_e32 v12, 0x80000000, v3
	v_add_nc_u32_e32 v5, 16, v5
	s_waitcnt lgkmcnt(0)
	v_cmp_gt_f64_e64 s3, 0, v[6:7]
	v_dual_mov_b32 v41, v8 :: v_dual_mov_b32 v14, v6
	v_cndmask_b32_e32 v11, v1, v10, vcc_lo
	v_xor_b32_e32 v10, 0x80000000, v7
	v_cndmask_b32_e64 v13, v3, v12, s2
	v_xor_b32_e32 v12, 0x80000000, v9
	s_delay_alu instid0(VALU_DEP_3) | instskip(SKIP_2) | instid1(VALU_DEP_2)
	v_cndmask_b32_e64 v15, v7, v10, s3
	v_cmp_gt_f64_e64 s3, 0, v[8:9]
	v_cndmask_b32_e32 v10, v0, v0, vcc_lo
	v_cndmask_b32_e64 v42, v9, v12, s3
	v_cndmask_b32_e64 v12, v2, v2, s2
	s_delay_alu instid0(VALU_DEP_2) | instskip(NEXT) | instid1(VALU_DEP_2)
	v_add_f64 v[14:15], v[14:15], v[41:42]
	v_add_f64 v[10:11], v[10:11], v[12:13]
	s_delay_alu instid0(VALU_DEP_1) | instskip(SKIP_4) | instid1(SALU_CYCLE_1)
	v_cmp_lt_f64_e32 vcc_lo, v[10:11], v[14:15]
	v_dual_cndmask_b32 v1, v1, v7 :: v_dual_cndmask_b32 v0, v0, v6
	v_dual_cndmask_b32 v3, v3, v9 :: v_dual_cndmask_b32 v2, v2, v8
	v_cndmask_b32_e64 v4, v4, s6, vcc_lo
	s_add_i32 s6, s6, 1
	s_cmp_lg_u32 s5, s6
	s_cbranch_scc1 .LBB120_891
.LBB120_892:
	s_set_inst_prefetch_distance 0x2
	s_waitcnt lgkmcnt(0)
	v_cmp_eq_f64_e32 vcc_lo, 0, v[0:1]
	v_cmp_eq_f64_e64 s2, 0, v[2:3]
	s_delay_alu instid0(VALU_DEP_1) | instskip(NEXT) | instid1(SALU_CYCLE_1)
	s_and_b32 s2, vcc_lo, s2
	s_and_saveexec_b32 s3, s2
	s_delay_alu instid0(SALU_CYCLE_1)
	s_xor_b32 s2, exec_lo, s3
; %bb.893:
	v_cmp_ne_u32_e32 vcc_lo, 0, v35
	v_cndmask_b32_e32 v35, 38, v35, vcc_lo
; %bb.894:
	s_and_not1_saveexec_b32 s3, s2
	s_cbranch_execz .LBB120_900
; %bb.895:
	v_cmp_gt_f64_e32 vcc_lo, 0, v[0:1]
	v_cmp_gt_f64_e64 s2, 0, v[2:3]
	v_xor_b32_e32 v5, 0x80000000, v1
	v_xor_b32_e32 v7, 0x80000000, v3
	s_delay_alu instid0(VALU_DEP_2) | instskip(NEXT) | instid1(VALU_DEP_2)
	v_dual_cndmask_b32 v6, v1, v5 :: v_dual_cndmask_b32 v5, v0, v0
	v_cndmask_b32_e64 v8, v3, v7, s2
	v_cndmask_b32_e64 v7, v2, v2, s2
	s_mov_b32 s2, exec_lo
	s_delay_alu instid0(VALU_DEP_1)
	v_cmpx_ngt_f64_e32 v[5:6], v[7:8]
	s_xor_b32 s2, exec_lo, s2
	s_cbranch_execz .LBB120_897
; %bb.896:
	v_div_scale_f64 v[5:6], null, v[2:3], v[2:3], v[0:1]
	v_div_scale_f64 v[11:12], vcc_lo, v[0:1], v[2:3], v[0:1]
	s_delay_alu instid0(VALU_DEP_2) | instskip(SKIP_2) | instid1(VALU_DEP_1)
	v_rcp_f64_e32 v[7:8], v[5:6]
	s_waitcnt_depctr 0xfff
	v_fma_f64 v[9:10], -v[5:6], v[7:8], 1.0
	v_fma_f64 v[7:8], v[7:8], v[9:10], v[7:8]
	s_delay_alu instid0(VALU_DEP_1) | instskip(NEXT) | instid1(VALU_DEP_1)
	v_fma_f64 v[9:10], -v[5:6], v[7:8], 1.0
	v_fma_f64 v[7:8], v[7:8], v[9:10], v[7:8]
	s_delay_alu instid0(VALU_DEP_1) | instskip(NEXT) | instid1(VALU_DEP_1)
	v_mul_f64 v[9:10], v[11:12], v[7:8]
	v_fma_f64 v[5:6], -v[5:6], v[9:10], v[11:12]
	s_delay_alu instid0(VALU_DEP_1) | instskip(NEXT) | instid1(VALU_DEP_1)
	v_div_fmas_f64 v[5:6], v[5:6], v[7:8], v[9:10]
	v_div_fixup_f64 v[5:6], v[5:6], v[2:3], v[0:1]
	s_delay_alu instid0(VALU_DEP_1) | instskip(NEXT) | instid1(VALU_DEP_1)
	v_fma_f64 v[0:1], v[0:1], v[5:6], v[2:3]
	v_div_scale_f64 v[2:3], null, v[0:1], v[0:1], 1.0
	s_delay_alu instid0(VALU_DEP_1) | instskip(SKIP_2) | instid1(VALU_DEP_1)
	v_rcp_f64_e32 v[7:8], v[2:3]
	s_waitcnt_depctr 0xfff
	v_fma_f64 v[9:10], -v[2:3], v[7:8], 1.0
	v_fma_f64 v[7:8], v[7:8], v[9:10], v[7:8]
	s_delay_alu instid0(VALU_DEP_1) | instskip(NEXT) | instid1(VALU_DEP_1)
	v_fma_f64 v[9:10], -v[2:3], v[7:8], 1.0
	v_fma_f64 v[7:8], v[7:8], v[9:10], v[7:8]
	v_div_scale_f64 v[9:10], vcc_lo, 1.0, v[0:1], 1.0
	s_delay_alu instid0(VALU_DEP_1) | instskip(NEXT) | instid1(VALU_DEP_1)
	v_mul_f64 v[11:12], v[9:10], v[7:8]
	v_fma_f64 v[2:3], -v[2:3], v[11:12], v[9:10]
	s_delay_alu instid0(VALU_DEP_1) | instskip(NEXT) | instid1(VALU_DEP_1)
	v_div_fmas_f64 v[2:3], v[2:3], v[7:8], v[11:12]
	v_div_fixup_f64 v[2:3], v[2:3], v[0:1], 1.0
	s_delay_alu instid0(VALU_DEP_1)
	v_mul_f64 v[0:1], v[5:6], v[2:3]
	v_xor_b32_e32 v3, 0x80000000, v3
.LBB120_897:
	s_and_not1_saveexec_b32 s2, s2
	s_cbranch_execz .LBB120_899
; %bb.898:
	s_delay_alu instid0(VALU_DEP_1) | instskip(SKIP_1) | instid1(VALU_DEP_2)
	v_div_scale_f64 v[5:6], null, v[0:1], v[0:1], v[2:3]
	v_div_scale_f64 v[11:12], vcc_lo, v[2:3], v[0:1], v[2:3]
	v_rcp_f64_e32 v[7:8], v[5:6]
	s_waitcnt_depctr 0xfff
	v_fma_f64 v[9:10], -v[5:6], v[7:8], 1.0
	s_delay_alu instid0(VALU_DEP_1) | instskip(NEXT) | instid1(VALU_DEP_1)
	v_fma_f64 v[7:8], v[7:8], v[9:10], v[7:8]
	v_fma_f64 v[9:10], -v[5:6], v[7:8], 1.0
	s_delay_alu instid0(VALU_DEP_1) | instskip(NEXT) | instid1(VALU_DEP_1)
	v_fma_f64 v[7:8], v[7:8], v[9:10], v[7:8]
	v_mul_f64 v[9:10], v[11:12], v[7:8]
	s_delay_alu instid0(VALU_DEP_1) | instskip(NEXT) | instid1(VALU_DEP_1)
	v_fma_f64 v[5:6], -v[5:6], v[9:10], v[11:12]
	v_div_fmas_f64 v[5:6], v[5:6], v[7:8], v[9:10]
	s_delay_alu instid0(VALU_DEP_1) | instskip(NEXT) | instid1(VALU_DEP_1)
	v_div_fixup_f64 v[5:6], v[5:6], v[0:1], v[2:3]
	v_fma_f64 v[0:1], v[2:3], v[5:6], v[0:1]
	s_delay_alu instid0(VALU_DEP_1) | instskip(NEXT) | instid1(VALU_DEP_1)
	v_div_scale_f64 v[2:3], null, v[0:1], v[0:1], 1.0
	v_rcp_f64_e32 v[7:8], v[2:3]
	s_waitcnt_depctr 0xfff
	v_fma_f64 v[9:10], -v[2:3], v[7:8], 1.0
	s_delay_alu instid0(VALU_DEP_1) | instskip(NEXT) | instid1(VALU_DEP_1)
	v_fma_f64 v[7:8], v[7:8], v[9:10], v[7:8]
	v_fma_f64 v[9:10], -v[2:3], v[7:8], 1.0
	s_delay_alu instid0(VALU_DEP_1) | instskip(SKIP_1) | instid1(VALU_DEP_1)
	v_fma_f64 v[7:8], v[7:8], v[9:10], v[7:8]
	v_div_scale_f64 v[9:10], vcc_lo, 1.0, v[0:1], 1.0
	v_mul_f64 v[11:12], v[9:10], v[7:8]
	s_delay_alu instid0(VALU_DEP_1) | instskip(NEXT) | instid1(VALU_DEP_1)
	v_fma_f64 v[2:3], -v[2:3], v[11:12], v[9:10]
	v_div_fmas_f64 v[2:3], v[2:3], v[7:8], v[11:12]
	s_delay_alu instid0(VALU_DEP_1) | instskip(NEXT) | instid1(VALU_DEP_1)
	v_div_fixup_f64 v[0:1], v[2:3], v[0:1], 1.0
	v_mul_f64 v[2:3], v[5:6], -v[0:1]
.LBB120_899:
	s_or_b32 exec_lo, exec_lo, s2
.LBB120_900:
	s_delay_alu instid0(SALU_CYCLE_1) | instskip(NEXT) | instid1(SALU_CYCLE_1)
	s_or_b32 exec_lo, exec_lo, s3
	s_mov_b32 s2, exec_lo
	v_cmpx_ne_u32_e64 v38, v4
	s_xor_b32 s2, exec_lo, s2
	s_cbranch_execz .LBB120_906
; %bb.901:
	s_mov_b32 s3, exec_lo
	v_cmpx_eq_u32_e32 37, v38
	s_cbranch_execz .LBB120_905
; %bb.902:
	v_cmp_ne_u32_e32 vcc_lo, 37, v4
	s_xor_b32 s6, s4, -1
	s_delay_alu instid0(SALU_CYCLE_1) | instskip(NEXT) | instid1(SALU_CYCLE_1)
	s_and_b32 s7, s6, vcc_lo
	s_and_saveexec_b32 s6, s7
	s_cbranch_execz .LBB120_904
; %bb.903:
	v_ashrrev_i32_e32 v5, 31, v4
	s_delay_alu instid0(VALU_DEP_1) | instskip(NEXT) | instid1(VALU_DEP_1)
	v_lshlrev_b64 v[5:6], 2, v[4:5]
	v_add_co_u32 v5, vcc_lo, v18, v5
	s_delay_alu instid0(VALU_DEP_2)
	v_add_co_ci_u32_e32 v6, vcc_lo, v19, v6, vcc_lo
	s_clause 0x1
	flat_load_b32 v7, v[5:6]
	flat_load_b32 v8, v[18:19] offset:148
	s_waitcnt vmcnt(1) lgkmcnt(1)
	flat_store_b32 v[18:19], v7 offset:148
	s_waitcnt vmcnt(0) lgkmcnt(1)
	flat_store_b32 v[5:6], v8
.LBB120_904:
	s_or_b32 exec_lo, exec_lo, s6
	v_mov_b32_e32 v38, v4
	v_mov_b32_e32 v37, v4
.LBB120_905:
	s_or_b32 exec_lo, exec_lo, s3
.LBB120_906:
	s_and_not1_saveexec_b32 s2, s2
	s_cbranch_execz .LBB120_908
; %bb.907:
	s_clause 0x16
	scratch_load_b128 v[4:7], v158, off
	scratch_load_b128 v[8:11], v157, off
	;; [unrolled: 1-line block ×23, first 2 shown]
	v_mov_b32_e32 v38, 37
	s_waitcnt vmcnt(22)
	ds_store_2addr_b64 v20, v[4:5], v[6:7] offset0:76 offset1:77
	s_waitcnt vmcnt(21)
	ds_store_2addr_b64 v20, v[8:9], v[10:11] offset0:78 offset1:79
	;; [unrolled: 2-line block ×23, first 2 shown]
.LBB120_908:
	s_or_b32 exec_lo, exec_lo, s2
	s_delay_alu instid0(SALU_CYCLE_1)
	s_mov_b32 s2, exec_lo
	s_waitcnt lgkmcnt(0)
	s_waitcnt_vscnt null, 0x0
	s_barrier
	buffer_gl0_inv
	v_cmpx_lt_i32_e32 37, v38
	s_cbranch_execz .LBB120_913
; %bb.909:
	scratch_load_b128 v[4:7], off, off offset:592
	s_mov_b32 s3, 0
	s_waitcnt vmcnt(0)
	v_mul_f64 v[8:9], v[2:3], v[6:7]
	v_mul_f64 v[6:7], v[0:1], v[6:7]
	s_delay_alu instid0(VALU_DEP_2) | instskip(NEXT) | instid1(VALU_DEP_2)
	v_fma_f64 v[0:1], v[0:1], v[4:5], -v[8:9]
	v_fma_f64 v[2:3], v[2:3], v[4:5], v[6:7]
	v_add3_u32 v4, v36, 0, 0x260
	v_mov_b32_e32 v5, 0
	scratch_store_b128 off, v[0:3], off offset:592
	s_branch .LBB120_911
.LBB120_910:                            ;   in Loop: Header=BB120_911 Depth=1
	s_and_not1_b32 vcc_lo, exec_lo, s7
	s_cbranch_vccz .LBB120_913
.LBB120_911:                            ; =>This Inner Loop Header: Depth=1
	v_readfirstlane_b32 s6, v5
	v_add_nc_u32_e32 v6, s3, v4
	s_mov_b32 s7, -1
	s_delay_alu instid0(VALU_DEP_2) | instskip(NEXT) | instid1(SALU_CYCLE_1)
	s_add_i32 s6, s6, s3
	s_add_i32 s9, s6, 0x260
	;; [unrolled: 1-line block ×3, first 2 shown]
	scratch_load_b128 v[7:10], off, s9
	s_add_i32 s14, s6, 0x280
	s_clause 0x1
	scratch_load_b128 v[11:14], off, s12
	scratch_load_b128 v[41:44], off, s14
	ds_load_2addr_b64 v[45:48], v6 offset1:1
	ds_load_2addr_b64 v[57:60], v6 offset0:2 offset1:3
	ds_load_2addr_b64 v[61:64], v6 offset0:4 offset1:5
	s_cmpk_eq_i32 s3, 0x140
	s_waitcnt lgkmcnt(2)
	v_mul_f64 v[49:50], v[47:48], v[2:3]
	v_mul_f64 v[53:54], v[45:46], v[2:3]
	s_waitcnt lgkmcnt(1)
	v_mul_f64 v[65:66], v[59:60], v[2:3]
	v_mul_f64 v[69:70], v[57:58], v[2:3]
	;; [unrolled: 3-line block ×3, first 2 shown]
	v_fma_f64 v[45:46], v[45:46], v[0:1], -v[49:50]
	v_fma_f64 v[47:48], v[47:48], v[0:1], v[53:54]
	v_fma_f64 v[49:50], v[57:58], v[0:1], -v[65:66]
	v_fma_f64 v[53:54], v[59:60], v[0:1], v[69:70]
	;; [unrolled: 2-line block ×3, first 2 shown]
	s_waitcnt vmcnt(2)
	v_add_f64 v[7:8], v[7:8], -v[45:46]
	v_add_f64 v[9:10], v[9:10], -v[47:48]
	s_waitcnt vmcnt(1)
	v_add_f64 v[11:12], v[11:12], -v[49:50]
	v_add_f64 v[13:14], v[13:14], -v[53:54]
	;; [unrolled: 3-line block ×3, first 2 shown]
	s_clause 0x2
	scratch_store_b128 off, v[7:10], s9
	scratch_store_b128 off, v[11:14], s12
	;; [unrolled: 1-line block ×3, first 2 shown]
	s_cbranch_scc1 .LBB120_910
; %bb.912:                              ;   in Loop: Header=BB120_911 Depth=1
	s_addk_i32 s6, 0x290
	ds_load_2addr_b64 v[11:14], v6 offset0:6 offset1:7
	scratch_load_b128 v[7:10], off, s6
	s_add_i32 s3, s3, 64
	s_mov_b32 s7, 0
	s_waitcnt lgkmcnt(0)
	v_mul_f64 v[41:42], v[13:14], v[2:3]
	v_mul_f64 v[43:44], v[11:12], v[2:3]
	s_delay_alu instid0(VALU_DEP_2) | instskip(NEXT) | instid1(VALU_DEP_2)
	v_fma_f64 v[11:12], v[11:12], v[0:1], -v[41:42]
	v_fma_f64 v[13:14], v[13:14], v[0:1], v[43:44]
	s_waitcnt vmcnt(0)
	s_delay_alu instid0(VALU_DEP_2) | instskip(NEXT) | instid1(VALU_DEP_2)
	v_add_f64 v[6:7], v[7:8], -v[11:12]
	v_add_f64 v[8:9], v[9:10], -v[13:14]
	scratch_store_b128 off, v[6:9], s6
	s_branch .LBB120_910
.LBB120_913:
	s_or_b32 exec_lo, exec_lo, s2
	s_waitcnt_vscnt null, 0x0
	s_barrier
	buffer_gl0_inv
	scratch_load_b128 v[0:3], v158, off
	v_lshl_add_u32 v4, v38, 4, v20
	s_cmp_lt_i32 s5, 40
	s_waitcnt vmcnt(0)
	ds_store_2addr_b64 v4, v[0:1], v[2:3] offset1:1
	s_waitcnt lgkmcnt(0)
	s_barrier
	buffer_gl0_inv
	ds_load_2addr_b64 v[0:3], v20 offset0:76 offset1:77
	v_mov_b32_e32 v4, 38
	s_cbranch_scc1 .LBB120_916
; %bb.914:
	v_add3_u32 v5, v36, 0, 0x270
	v_mov_b32_e32 v4, 38
	s_mov_b32 s6, 39
	s_set_inst_prefetch_distance 0x1
	.p2align	6
.LBB120_915:                            ; =>This Inner Loop Header: Depth=1
	ds_load_2addr_b64 v[6:9], v5 offset1:1
	s_waitcnt lgkmcnt(1)
	v_cmp_gt_f64_e32 vcc_lo, 0, v[0:1]
	v_xor_b32_e32 v10, 0x80000000, v1
	v_cmp_gt_f64_e64 s2, 0, v[2:3]
	v_xor_b32_e32 v12, 0x80000000, v3
	v_add_nc_u32_e32 v5, 16, v5
	s_waitcnt lgkmcnt(0)
	v_cmp_gt_f64_e64 s3, 0, v[6:7]
	v_dual_mov_b32 v41, v8 :: v_dual_mov_b32 v14, v6
	v_cndmask_b32_e32 v11, v1, v10, vcc_lo
	v_xor_b32_e32 v10, 0x80000000, v7
	v_cndmask_b32_e64 v13, v3, v12, s2
	v_xor_b32_e32 v12, 0x80000000, v9
	s_delay_alu instid0(VALU_DEP_3) | instskip(SKIP_2) | instid1(VALU_DEP_2)
	v_cndmask_b32_e64 v15, v7, v10, s3
	v_cmp_gt_f64_e64 s3, 0, v[8:9]
	v_cndmask_b32_e32 v10, v0, v0, vcc_lo
	v_cndmask_b32_e64 v42, v9, v12, s3
	v_cndmask_b32_e64 v12, v2, v2, s2
	s_delay_alu instid0(VALU_DEP_2) | instskip(NEXT) | instid1(VALU_DEP_2)
	v_add_f64 v[14:15], v[14:15], v[41:42]
	v_add_f64 v[10:11], v[10:11], v[12:13]
	s_delay_alu instid0(VALU_DEP_1) | instskip(SKIP_4) | instid1(SALU_CYCLE_1)
	v_cmp_lt_f64_e32 vcc_lo, v[10:11], v[14:15]
	v_dual_cndmask_b32 v1, v1, v7 :: v_dual_cndmask_b32 v0, v0, v6
	v_dual_cndmask_b32 v3, v3, v9 :: v_dual_cndmask_b32 v2, v2, v8
	v_cndmask_b32_e64 v4, v4, s6, vcc_lo
	s_add_i32 s6, s6, 1
	s_cmp_lg_u32 s5, s6
	s_cbranch_scc1 .LBB120_915
.LBB120_916:
	s_set_inst_prefetch_distance 0x2
	s_waitcnt lgkmcnt(0)
	v_cmp_eq_f64_e32 vcc_lo, 0, v[0:1]
	v_cmp_eq_f64_e64 s2, 0, v[2:3]
	s_delay_alu instid0(VALU_DEP_1) | instskip(NEXT) | instid1(SALU_CYCLE_1)
	s_and_b32 s2, vcc_lo, s2
	s_and_saveexec_b32 s3, s2
	s_delay_alu instid0(SALU_CYCLE_1)
	s_xor_b32 s2, exec_lo, s3
; %bb.917:
	v_cmp_ne_u32_e32 vcc_lo, 0, v35
	v_cndmask_b32_e32 v35, 39, v35, vcc_lo
; %bb.918:
	s_and_not1_saveexec_b32 s3, s2
	s_cbranch_execz .LBB120_924
; %bb.919:
	v_cmp_gt_f64_e32 vcc_lo, 0, v[0:1]
	v_cmp_gt_f64_e64 s2, 0, v[2:3]
	v_xor_b32_e32 v5, 0x80000000, v1
	v_xor_b32_e32 v7, 0x80000000, v3
	s_delay_alu instid0(VALU_DEP_2) | instskip(NEXT) | instid1(VALU_DEP_2)
	v_dual_cndmask_b32 v6, v1, v5 :: v_dual_cndmask_b32 v5, v0, v0
	v_cndmask_b32_e64 v8, v3, v7, s2
	v_cndmask_b32_e64 v7, v2, v2, s2
	s_mov_b32 s2, exec_lo
	s_delay_alu instid0(VALU_DEP_1)
	v_cmpx_ngt_f64_e32 v[5:6], v[7:8]
	s_xor_b32 s2, exec_lo, s2
	s_cbranch_execz .LBB120_921
; %bb.920:
	v_div_scale_f64 v[5:6], null, v[2:3], v[2:3], v[0:1]
	v_div_scale_f64 v[11:12], vcc_lo, v[0:1], v[2:3], v[0:1]
	s_delay_alu instid0(VALU_DEP_2) | instskip(SKIP_2) | instid1(VALU_DEP_1)
	v_rcp_f64_e32 v[7:8], v[5:6]
	s_waitcnt_depctr 0xfff
	v_fma_f64 v[9:10], -v[5:6], v[7:8], 1.0
	v_fma_f64 v[7:8], v[7:8], v[9:10], v[7:8]
	s_delay_alu instid0(VALU_DEP_1) | instskip(NEXT) | instid1(VALU_DEP_1)
	v_fma_f64 v[9:10], -v[5:6], v[7:8], 1.0
	v_fma_f64 v[7:8], v[7:8], v[9:10], v[7:8]
	s_delay_alu instid0(VALU_DEP_1) | instskip(NEXT) | instid1(VALU_DEP_1)
	v_mul_f64 v[9:10], v[11:12], v[7:8]
	v_fma_f64 v[5:6], -v[5:6], v[9:10], v[11:12]
	s_delay_alu instid0(VALU_DEP_1) | instskip(NEXT) | instid1(VALU_DEP_1)
	v_div_fmas_f64 v[5:6], v[5:6], v[7:8], v[9:10]
	v_div_fixup_f64 v[5:6], v[5:6], v[2:3], v[0:1]
	s_delay_alu instid0(VALU_DEP_1) | instskip(NEXT) | instid1(VALU_DEP_1)
	v_fma_f64 v[0:1], v[0:1], v[5:6], v[2:3]
	v_div_scale_f64 v[2:3], null, v[0:1], v[0:1], 1.0
	s_delay_alu instid0(VALU_DEP_1) | instskip(SKIP_2) | instid1(VALU_DEP_1)
	v_rcp_f64_e32 v[7:8], v[2:3]
	s_waitcnt_depctr 0xfff
	v_fma_f64 v[9:10], -v[2:3], v[7:8], 1.0
	v_fma_f64 v[7:8], v[7:8], v[9:10], v[7:8]
	s_delay_alu instid0(VALU_DEP_1) | instskip(NEXT) | instid1(VALU_DEP_1)
	v_fma_f64 v[9:10], -v[2:3], v[7:8], 1.0
	v_fma_f64 v[7:8], v[7:8], v[9:10], v[7:8]
	v_div_scale_f64 v[9:10], vcc_lo, 1.0, v[0:1], 1.0
	s_delay_alu instid0(VALU_DEP_1) | instskip(NEXT) | instid1(VALU_DEP_1)
	v_mul_f64 v[11:12], v[9:10], v[7:8]
	v_fma_f64 v[2:3], -v[2:3], v[11:12], v[9:10]
	s_delay_alu instid0(VALU_DEP_1) | instskip(NEXT) | instid1(VALU_DEP_1)
	v_div_fmas_f64 v[2:3], v[2:3], v[7:8], v[11:12]
	v_div_fixup_f64 v[2:3], v[2:3], v[0:1], 1.0
	s_delay_alu instid0(VALU_DEP_1)
	v_mul_f64 v[0:1], v[5:6], v[2:3]
	v_xor_b32_e32 v3, 0x80000000, v3
.LBB120_921:
	s_and_not1_saveexec_b32 s2, s2
	s_cbranch_execz .LBB120_923
; %bb.922:
	s_delay_alu instid0(VALU_DEP_1) | instskip(SKIP_1) | instid1(VALU_DEP_2)
	v_div_scale_f64 v[5:6], null, v[0:1], v[0:1], v[2:3]
	v_div_scale_f64 v[11:12], vcc_lo, v[2:3], v[0:1], v[2:3]
	v_rcp_f64_e32 v[7:8], v[5:6]
	s_waitcnt_depctr 0xfff
	v_fma_f64 v[9:10], -v[5:6], v[7:8], 1.0
	s_delay_alu instid0(VALU_DEP_1) | instskip(NEXT) | instid1(VALU_DEP_1)
	v_fma_f64 v[7:8], v[7:8], v[9:10], v[7:8]
	v_fma_f64 v[9:10], -v[5:6], v[7:8], 1.0
	s_delay_alu instid0(VALU_DEP_1) | instskip(NEXT) | instid1(VALU_DEP_1)
	v_fma_f64 v[7:8], v[7:8], v[9:10], v[7:8]
	v_mul_f64 v[9:10], v[11:12], v[7:8]
	s_delay_alu instid0(VALU_DEP_1) | instskip(NEXT) | instid1(VALU_DEP_1)
	v_fma_f64 v[5:6], -v[5:6], v[9:10], v[11:12]
	v_div_fmas_f64 v[5:6], v[5:6], v[7:8], v[9:10]
	s_delay_alu instid0(VALU_DEP_1) | instskip(NEXT) | instid1(VALU_DEP_1)
	v_div_fixup_f64 v[5:6], v[5:6], v[0:1], v[2:3]
	v_fma_f64 v[0:1], v[2:3], v[5:6], v[0:1]
	s_delay_alu instid0(VALU_DEP_1) | instskip(NEXT) | instid1(VALU_DEP_1)
	v_div_scale_f64 v[2:3], null, v[0:1], v[0:1], 1.0
	v_rcp_f64_e32 v[7:8], v[2:3]
	s_waitcnt_depctr 0xfff
	v_fma_f64 v[9:10], -v[2:3], v[7:8], 1.0
	s_delay_alu instid0(VALU_DEP_1) | instskip(NEXT) | instid1(VALU_DEP_1)
	v_fma_f64 v[7:8], v[7:8], v[9:10], v[7:8]
	v_fma_f64 v[9:10], -v[2:3], v[7:8], 1.0
	s_delay_alu instid0(VALU_DEP_1) | instskip(SKIP_1) | instid1(VALU_DEP_1)
	v_fma_f64 v[7:8], v[7:8], v[9:10], v[7:8]
	v_div_scale_f64 v[9:10], vcc_lo, 1.0, v[0:1], 1.0
	v_mul_f64 v[11:12], v[9:10], v[7:8]
	s_delay_alu instid0(VALU_DEP_1) | instskip(NEXT) | instid1(VALU_DEP_1)
	v_fma_f64 v[2:3], -v[2:3], v[11:12], v[9:10]
	v_div_fmas_f64 v[2:3], v[2:3], v[7:8], v[11:12]
	s_delay_alu instid0(VALU_DEP_1) | instskip(NEXT) | instid1(VALU_DEP_1)
	v_div_fixup_f64 v[0:1], v[2:3], v[0:1], 1.0
	v_mul_f64 v[2:3], v[5:6], -v[0:1]
.LBB120_923:
	s_or_b32 exec_lo, exec_lo, s2
.LBB120_924:
	s_delay_alu instid0(SALU_CYCLE_1) | instskip(NEXT) | instid1(SALU_CYCLE_1)
	s_or_b32 exec_lo, exec_lo, s3
	s_mov_b32 s2, exec_lo
	v_cmpx_ne_u32_e64 v38, v4
	s_xor_b32 s2, exec_lo, s2
	s_cbranch_execz .LBB120_930
; %bb.925:
	s_mov_b32 s3, exec_lo
	v_cmpx_eq_u32_e32 38, v38
	s_cbranch_execz .LBB120_929
; %bb.926:
	v_cmp_ne_u32_e32 vcc_lo, 38, v4
	s_xor_b32 s6, s4, -1
	s_delay_alu instid0(SALU_CYCLE_1) | instskip(NEXT) | instid1(SALU_CYCLE_1)
	s_and_b32 s7, s6, vcc_lo
	s_and_saveexec_b32 s6, s7
	s_cbranch_execz .LBB120_928
; %bb.927:
	v_ashrrev_i32_e32 v5, 31, v4
	s_delay_alu instid0(VALU_DEP_1) | instskip(NEXT) | instid1(VALU_DEP_1)
	v_lshlrev_b64 v[5:6], 2, v[4:5]
	v_add_co_u32 v5, vcc_lo, v18, v5
	s_delay_alu instid0(VALU_DEP_2)
	v_add_co_ci_u32_e32 v6, vcc_lo, v19, v6, vcc_lo
	s_clause 0x1
	flat_load_b32 v7, v[5:6]
	flat_load_b32 v8, v[18:19] offset:152
	s_waitcnt vmcnt(1) lgkmcnt(1)
	flat_store_b32 v[18:19], v7 offset:152
	s_waitcnt vmcnt(0) lgkmcnt(1)
	flat_store_b32 v[5:6], v8
.LBB120_928:
	s_or_b32 exec_lo, exec_lo, s6
	v_mov_b32_e32 v38, v4
	v_mov_b32_e32 v37, v4
.LBB120_929:
	s_or_b32 exec_lo, exec_lo, s3
.LBB120_930:
	s_and_not1_saveexec_b32 s2, s2
	s_cbranch_execz .LBB120_932
; %bb.931:
	s_clause 0x15
	scratch_load_b128 v[4:7], v157, off
	scratch_load_b128 v[8:11], v156, off
	;; [unrolled: 1-line block ×22, first 2 shown]
	v_mov_b32_e32 v38, 38
	s_waitcnt vmcnt(21)
	ds_store_2addr_b64 v20, v[4:5], v[6:7] offset0:78 offset1:79
	s_waitcnt vmcnt(20)
	ds_store_2addr_b64 v20, v[8:9], v[10:11] offset0:80 offset1:81
	;; [unrolled: 2-line block ×22, first 2 shown]
.LBB120_932:
	s_or_b32 exec_lo, exec_lo, s2
	s_delay_alu instid0(SALU_CYCLE_1)
	s_mov_b32 s2, exec_lo
	s_waitcnt lgkmcnt(0)
	s_waitcnt_vscnt null, 0x0
	s_barrier
	buffer_gl0_inv
	v_cmpx_lt_i32_e32 38, v38
	s_cbranch_execz .LBB120_935
; %bb.933:
	scratch_load_b128 v[4:7], off, off offset:608
	s_mov_b32 s3, 0
	s_waitcnt vmcnt(0)
	v_mul_f64 v[8:9], v[2:3], v[6:7]
	v_mul_f64 v[6:7], v[0:1], v[6:7]
	s_delay_alu instid0(VALU_DEP_2) | instskip(NEXT) | instid1(VALU_DEP_2)
	v_fma_f64 v[0:1], v[0:1], v[4:5], -v[8:9]
	v_fma_f64 v[2:3], v[2:3], v[4:5], v[6:7]
	v_add3_u32 v4, v36, 0, 0x270
	scratch_store_b128 off, v[0:3], off offset:608
	s_set_inst_prefetch_distance 0x1
	.p2align	6
.LBB120_934:                            ; =>This Inner Loop Header: Depth=1
	v_add_nc_u32_e64 v5, s3, 0
	v_add_nc_u32_e32 v13, s3, v4
	s_add_i32 s3, s3, 32
	s_delay_alu instid0(SALU_CYCLE_1) | instskip(NEXT) | instid1(VALU_DEP_2)
	s_cmpk_lg_i32 s3, 0x160
	v_add_nc_u32_e32 v15, 0x270, v5
	v_add_nc_u32_e32 v39, 0x280, v5
	s_clause 0x1
	scratch_load_b128 v[5:8], v15, off
	scratch_load_b128 v[9:12], v39, off
	ds_load_2addr_b64 v[41:44], v13 offset1:1
	ds_load_2addr_b64 v[45:48], v13 offset0:2 offset1:3
	s_waitcnt lgkmcnt(1)
	v_mul_f64 v[13:14], v[43:44], v[2:3]
	v_mul_f64 v[49:50], v[41:42], v[2:3]
	s_waitcnt lgkmcnt(0)
	v_mul_f64 v[53:54], v[47:48], v[2:3]
	v_mul_f64 v[57:58], v[45:46], v[2:3]
	s_delay_alu instid0(VALU_DEP_4) | instskip(NEXT) | instid1(VALU_DEP_4)
	v_fma_f64 v[13:14], v[41:42], v[0:1], -v[13:14]
	v_fma_f64 v[41:42], v[43:44], v[0:1], v[49:50]
	s_delay_alu instid0(VALU_DEP_4) | instskip(NEXT) | instid1(VALU_DEP_4)
	v_fma_f64 v[43:44], v[45:46], v[0:1], -v[53:54]
	v_fma_f64 v[45:46], v[47:48], v[0:1], v[57:58]
	s_waitcnt vmcnt(1)
	s_delay_alu instid0(VALU_DEP_4) | instskip(NEXT) | instid1(VALU_DEP_4)
	v_add_f64 v[5:6], v[5:6], -v[13:14]
	v_add_f64 v[7:8], v[7:8], -v[41:42]
	s_waitcnt vmcnt(0)
	s_delay_alu instid0(VALU_DEP_4) | instskip(NEXT) | instid1(VALU_DEP_4)
	v_add_f64 v[9:10], v[9:10], -v[43:44]
	v_add_f64 v[11:12], v[11:12], -v[45:46]
	s_clause 0x1
	scratch_store_b128 v15, v[5:8], off
	scratch_store_b128 v39, v[9:12], off
	s_cbranch_scc1 .LBB120_934
.LBB120_935:
	s_set_inst_prefetch_distance 0x2
	s_or_b32 exec_lo, exec_lo, s2
	s_waitcnt_vscnt null, 0x0
	s_barrier
	buffer_gl0_inv
	scratch_load_b128 v[0:3], v157, off
	v_lshl_add_u32 v4, v38, 4, v20
	s_cmp_lt_i32 s5, 41
	s_waitcnt vmcnt(0)
	ds_store_2addr_b64 v4, v[0:1], v[2:3] offset1:1
	s_waitcnt lgkmcnt(0)
	s_barrier
	buffer_gl0_inv
	ds_load_2addr_b64 v[0:3], v20 offset0:78 offset1:79
	v_mov_b32_e32 v4, 39
	s_cbranch_scc1 .LBB120_938
; %bb.936:
	v_add3_u32 v5, v36, 0, 0x280
	v_mov_b32_e32 v4, 39
	s_mov_b32 s6, 40
	s_set_inst_prefetch_distance 0x1
	.p2align	6
.LBB120_937:                            ; =>This Inner Loop Header: Depth=1
	ds_load_2addr_b64 v[6:9], v5 offset1:1
	s_waitcnt lgkmcnt(1)
	v_cmp_gt_f64_e32 vcc_lo, 0, v[0:1]
	v_xor_b32_e32 v10, 0x80000000, v1
	v_cmp_gt_f64_e64 s2, 0, v[2:3]
	v_xor_b32_e32 v12, 0x80000000, v3
	v_add_nc_u32_e32 v5, 16, v5
	s_waitcnt lgkmcnt(0)
	v_cmp_gt_f64_e64 s3, 0, v[6:7]
	v_dual_mov_b32 v41, v8 :: v_dual_mov_b32 v14, v6
	v_cndmask_b32_e32 v11, v1, v10, vcc_lo
	v_xor_b32_e32 v10, 0x80000000, v7
	v_cndmask_b32_e64 v13, v3, v12, s2
	v_xor_b32_e32 v12, 0x80000000, v9
	s_delay_alu instid0(VALU_DEP_3) | instskip(SKIP_2) | instid1(VALU_DEP_2)
	v_cndmask_b32_e64 v15, v7, v10, s3
	v_cmp_gt_f64_e64 s3, 0, v[8:9]
	v_cndmask_b32_e32 v10, v0, v0, vcc_lo
	v_cndmask_b32_e64 v42, v9, v12, s3
	v_cndmask_b32_e64 v12, v2, v2, s2
	s_delay_alu instid0(VALU_DEP_2) | instskip(NEXT) | instid1(VALU_DEP_2)
	v_add_f64 v[14:15], v[14:15], v[41:42]
	v_add_f64 v[10:11], v[10:11], v[12:13]
	s_delay_alu instid0(VALU_DEP_1) | instskip(SKIP_4) | instid1(SALU_CYCLE_1)
	v_cmp_lt_f64_e32 vcc_lo, v[10:11], v[14:15]
	v_dual_cndmask_b32 v1, v1, v7 :: v_dual_cndmask_b32 v0, v0, v6
	v_dual_cndmask_b32 v3, v3, v9 :: v_dual_cndmask_b32 v2, v2, v8
	v_cndmask_b32_e64 v4, v4, s6, vcc_lo
	s_add_i32 s6, s6, 1
	s_cmp_lg_u32 s5, s6
	s_cbranch_scc1 .LBB120_937
.LBB120_938:
	s_set_inst_prefetch_distance 0x2
	s_waitcnt lgkmcnt(0)
	v_cmp_eq_f64_e32 vcc_lo, 0, v[0:1]
	v_cmp_eq_f64_e64 s2, 0, v[2:3]
	s_delay_alu instid0(VALU_DEP_1) | instskip(NEXT) | instid1(SALU_CYCLE_1)
	s_and_b32 s2, vcc_lo, s2
	s_and_saveexec_b32 s3, s2
	s_delay_alu instid0(SALU_CYCLE_1)
	s_xor_b32 s2, exec_lo, s3
; %bb.939:
	v_cmp_ne_u32_e32 vcc_lo, 0, v35
	v_cndmask_b32_e32 v35, 40, v35, vcc_lo
; %bb.940:
	s_and_not1_saveexec_b32 s3, s2
	s_cbranch_execz .LBB120_946
; %bb.941:
	v_cmp_gt_f64_e32 vcc_lo, 0, v[0:1]
	v_cmp_gt_f64_e64 s2, 0, v[2:3]
	v_xor_b32_e32 v5, 0x80000000, v1
	v_xor_b32_e32 v7, 0x80000000, v3
	s_delay_alu instid0(VALU_DEP_2) | instskip(NEXT) | instid1(VALU_DEP_2)
	v_dual_cndmask_b32 v6, v1, v5 :: v_dual_cndmask_b32 v5, v0, v0
	v_cndmask_b32_e64 v8, v3, v7, s2
	v_cndmask_b32_e64 v7, v2, v2, s2
	s_mov_b32 s2, exec_lo
	s_delay_alu instid0(VALU_DEP_1)
	v_cmpx_ngt_f64_e32 v[5:6], v[7:8]
	s_xor_b32 s2, exec_lo, s2
	s_cbranch_execz .LBB120_943
; %bb.942:
	v_div_scale_f64 v[5:6], null, v[2:3], v[2:3], v[0:1]
	v_div_scale_f64 v[11:12], vcc_lo, v[0:1], v[2:3], v[0:1]
	s_delay_alu instid0(VALU_DEP_2) | instskip(SKIP_2) | instid1(VALU_DEP_1)
	v_rcp_f64_e32 v[7:8], v[5:6]
	s_waitcnt_depctr 0xfff
	v_fma_f64 v[9:10], -v[5:6], v[7:8], 1.0
	v_fma_f64 v[7:8], v[7:8], v[9:10], v[7:8]
	s_delay_alu instid0(VALU_DEP_1) | instskip(NEXT) | instid1(VALU_DEP_1)
	v_fma_f64 v[9:10], -v[5:6], v[7:8], 1.0
	v_fma_f64 v[7:8], v[7:8], v[9:10], v[7:8]
	s_delay_alu instid0(VALU_DEP_1) | instskip(NEXT) | instid1(VALU_DEP_1)
	v_mul_f64 v[9:10], v[11:12], v[7:8]
	v_fma_f64 v[5:6], -v[5:6], v[9:10], v[11:12]
	s_delay_alu instid0(VALU_DEP_1) | instskip(NEXT) | instid1(VALU_DEP_1)
	v_div_fmas_f64 v[5:6], v[5:6], v[7:8], v[9:10]
	v_div_fixup_f64 v[5:6], v[5:6], v[2:3], v[0:1]
	s_delay_alu instid0(VALU_DEP_1) | instskip(NEXT) | instid1(VALU_DEP_1)
	v_fma_f64 v[0:1], v[0:1], v[5:6], v[2:3]
	v_div_scale_f64 v[2:3], null, v[0:1], v[0:1], 1.0
	s_delay_alu instid0(VALU_DEP_1) | instskip(SKIP_2) | instid1(VALU_DEP_1)
	v_rcp_f64_e32 v[7:8], v[2:3]
	s_waitcnt_depctr 0xfff
	v_fma_f64 v[9:10], -v[2:3], v[7:8], 1.0
	v_fma_f64 v[7:8], v[7:8], v[9:10], v[7:8]
	s_delay_alu instid0(VALU_DEP_1) | instskip(NEXT) | instid1(VALU_DEP_1)
	v_fma_f64 v[9:10], -v[2:3], v[7:8], 1.0
	v_fma_f64 v[7:8], v[7:8], v[9:10], v[7:8]
	v_div_scale_f64 v[9:10], vcc_lo, 1.0, v[0:1], 1.0
	s_delay_alu instid0(VALU_DEP_1) | instskip(NEXT) | instid1(VALU_DEP_1)
	v_mul_f64 v[11:12], v[9:10], v[7:8]
	v_fma_f64 v[2:3], -v[2:3], v[11:12], v[9:10]
	s_delay_alu instid0(VALU_DEP_1) | instskip(NEXT) | instid1(VALU_DEP_1)
	v_div_fmas_f64 v[2:3], v[2:3], v[7:8], v[11:12]
	v_div_fixup_f64 v[2:3], v[2:3], v[0:1], 1.0
	s_delay_alu instid0(VALU_DEP_1)
	v_mul_f64 v[0:1], v[5:6], v[2:3]
	v_xor_b32_e32 v3, 0x80000000, v3
.LBB120_943:
	s_and_not1_saveexec_b32 s2, s2
	s_cbranch_execz .LBB120_945
; %bb.944:
	s_delay_alu instid0(VALU_DEP_1) | instskip(SKIP_1) | instid1(VALU_DEP_2)
	v_div_scale_f64 v[5:6], null, v[0:1], v[0:1], v[2:3]
	v_div_scale_f64 v[11:12], vcc_lo, v[2:3], v[0:1], v[2:3]
	v_rcp_f64_e32 v[7:8], v[5:6]
	s_waitcnt_depctr 0xfff
	v_fma_f64 v[9:10], -v[5:6], v[7:8], 1.0
	s_delay_alu instid0(VALU_DEP_1) | instskip(NEXT) | instid1(VALU_DEP_1)
	v_fma_f64 v[7:8], v[7:8], v[9:10], v[7:8]
	v_fma_f64 v[9:10], -v[5:6], v[7:8], 1.0
	s_delay_alu instid0(VALU_DEP_1) | instskip(NEXT) | instid1(VALU_DEP_1)
	v_fma_f64 v[7:8], v[7:8], v[9:10], v[7:8]
	v_mul_f64 v[9:10], v[11:12], v[7:8]
	s_delay_alu instid0(VALU_DEP_1) | instskip(NEXT) | instid1(VALU_DEP_1)
	v_fma_f64 v[5:6], -v[5:6], v[9:10], v[11:12]
	v_div_fmas_f64 v[5:6], v[5:6], v[7:8], v[9:10]
	s_delay_alu instid0(VALU_DEP_1) | instskip(NEXT) | instid1(VALU_DEP_1)
	v_div_fixup_f64 v[5:6], v[5:6], v[0:1], v[2:3]
	v_fma_f64 v[0:1], v[2:3], v[5:6], v[0:1]
	s_delay_alu instid0(VALU_DEP_1) | instskip(NEXT) | instid1(VALU_DEP_1)
	v_div_scale_f64 v[2:3], null, v[0:1], v[0:1], 1.0
	v_rcp_f64_e32 v[7:8], v[2:3]
	s_waitcnt_depctr 0xfff
	v_fma_f64 v[9:10], -v[2:3], v[7:8], 1.0
	s_delay_alu instid0(VALU_DEP_1) | instskip(NEXT) | instid1(VALU_DEP_1)
	v_fma_f64 v[7:8], v[7:8], v[9:10], v[7:8]
	v_fma_f64 v[9:10], -v[2:3], v[7:8], 1.0
	s_delay_alu instid0(VALU_DEP_1) | instskip(SKIP_1) | instid1(VALU_DEP_1)
	v_fma_f64 v[7:8], v[7:8], v[9:10], v[7:8]
	v_div_scale_f64 v[9:10], vcc_lo, 1.0, v[0:1], 1.0
	v_mul_f64 v[11:12], v[9:10], v[7:8]
	s_delay_alu instid0(VALU_DEP_1) | instskip(NEXT) | instid1(VALU_DEP_1)
	v_fma_f64 v[2:3], -v[2:3], v[11:12], v[9:10]
	v_div_fmas_f64 v[2:3], v[2:3], v[7:8], v[11:12]
	s_delay_alu instid0(VALU_DEP_1) | instskip(NEXT) | instid1(VALU_DEP_1)
	v_div_fixup_f64 v[0:1], v[2:3], v[0:1], 1.0
	v_mul_f64 v[2:3], v[5:6], -v[0:1]
.LBB120_945:
	s_or_b32 exec_lo, exec_lo, s2
.LBB120_946:
	s_delay_alu instid0(SALU_CYCLE_1) | instskip(NEXT) | instid1(SALU_CYCLE_1)
	s_or_b32 exec_lo, exec_lo, s3
	s_mov_b32 s2, exec_lo
	v_cmpx_ne_u32_e64 v38, v4
	s_xor_b32 s2, exec_lo, s2
	s_cbranch_execz .LBB120_952
; %bb.947:
	s_mov_b32 s3, exec_lo
	v_cmpx_eq_u32_e32 39, v38
	s_cbranch_execz .LBB120_951
; %bb.948:
	v_cmp_ne_u32_e32 vcc_lo, 39, v4
	s_xor_b32 s6, s4, -1
	s_delay_alu instid0(SALU_CYCLE_1) | instskip(NEXT) | instid1(SALU_CYCLE_1)
	s_and_b32 s7, s6, vcc_lo
	s_and_saveexec_b32 s6, s7
	s_cbranch_execz .LBB120_950
; %bb.949:
	v_ashrrev_i32_e32 v5, 31, v4
	s_delay_alu instid0(VALU_DEP_1) | instskip(NEXT) | instid1(VALU_DEP_1)
	v_lshlrev_b64 v[5:6], 2, v[4:5]
	v_add_co_u32 v5, vcc_lo, v18, v5
	s_delay_alu instid0(VALU_DEP_2)
	v_add_co_ci_u32_e32 v6, vcc_lo, v19, v6, vcc_lo
	s_clause 0x1
	flat_load_b32 v7, v[5:6]
	flat_load_b32 v8, v[18:19] offset:156
	s_waitcnt vmcnt(1) lgkmcnt(1)
	flat_store_b32 v[18:19], v7 offset:156
	s_waitcnt vmcnt(0) lgkmcnt(1)
	flat_store_b32 v[5:6], v8
.LBB120_950:
	s_or_b32 exec_lo, exec_lo, s6
	v_mov_b32_e32 v38, v4
	v_mov_b32_e32 v37, v4
.LBB120_951:
	s_or_b32 exec_lo, exec_lo, s3
.LBB120_952:
	s_and_not1_saveexec_b32 s2, s2
	s_cbranch_execz .LBB120_954
; %bb.953:
	s_clause 0x14
	scratch_load_b128 v[4:7], v156, off
	scratch_load_b128 v[8:11], v155, off
	;; [unrolled: 1-line block ×21, first 2 shown]
	v_mov_b32_e32 v38, 39
	s_waitcnt vmcnt(20)
	ds_store_2addr_b64 v20, v[4:5], v[6:7] offset0:80 offset1:81
	s_waitcnt vmcnt(19)
	ds_store_2addr_b64 v20, v[8:9], v[10:11] offset0:82 offset1:83
	;; [unrolled: 2-line block ×21, first 2 shown]
.LBB120_954:
	s_or_b32 exec_lo, exec_lo, s2
	s_delay_alu instid0(SALU_CYCLE_1)
	s_mov_b32 s2, exec_lo
	s_waitcnt lgkmcnt(0)
	s_waitcnt_vscnt null, 0x0
	s_barrier
	buffer_gl0_inv
	v_cmpx_lt_i32_e32 39, v38
	s_cbranch_execz .LBB120_957
; %bb.955:
	scratch_load_b128 v[4:7], off, off offset:624
	s_mov_b32 s3, 0
	s_waitcnt vmcnt(0)
	v_mul_f64 v[8:9], v[2:3], v[6:7]
	v_mul_f64 v[6:7], v[0:1], v[6:7]
	s_delay_alu instid0(VALU_DEP_2) | instskip(NEXT) | instid1(VALU_DEP_2)
	v_fma_f64 v[0:1], v[0:1], v[4:5], -v[8:9]
	v_fma_f64 v[2:3], v[2:3], v[4:5], v[6:7]
	v_add3_u32 v4, v36, 0, 0x280
	v_mov_b32_e32 v5, 0
	scratch_store_b128 off, v[0:3], off offset:624
.LBB120_956:                            ; =>This Inner Loop Header: Depth=1
	v_add_nc_u32_e32 v39, s3, v4
	v_readfirstlane_b32 s6, v5
	ds_load_2addr_b64 v[6:9], v39 offset1:1
	ds_load_2addr_b64 v[10:13], v39 offset0:2 offset1:3
	ds_load_2addr_b64 v[41:44], v39 offset0:4 offset1:5
	;; [unrolled: 1-line block ×5, first 2 shown]
	s_add_i32 s6, s6, s3
	s_addk_i32 s3, 0x70
	s_add_i32 s7, s6, 0x280
	s_add_i32 s9, s6, 0x290
	s_add_i32 s12, s6, 0x2a0
	s_add_i32 s14, s6, 0x2b0
	s_add_i32 s15, s6, 0x2c0
	s_add_i32 s16, s6, 0x2d0
	s_addk_i32 s6, 0x2e0
	s_cmpk_lg_i32 s3, 0x150
	s_waitcnt lgkmcnt(5)
	v_mul_f64 v[14:15], v[8:9], v[2:3]
	v_mul_f64 v[49:50], v[6:7], v[2:3]
	s_waitcnt lgkmcnt(4)
	v_mul_f64 v[53:54], v[12:13], v[2:3]
	v_mul_f64 v[65:66], v[10:11], v[2:3]
	;; [unrolled: 3-line block ×6, first 2 shown]
	v_fma_f64 v[14:15], v[6:7], v[0:1], -v[14:15]
	v_fma_f64 v[49:50], v[8:9], v[0:1], v[49:50]
	v_fma_f64 v[53:54], v[10:11], v[0:1], -v[53:54]
	v_fma_f64 v[65:66], v[12:13], v[0:1], v[65:66]
	v_fma_f64 v[69:70], v[41:42], v[0:1], -v[69:70]
	v_fma_f64 v[87:88], v[43:44], v[0:1], v[73:74]
	v_fma_f64 v[89:90], v[45:46], v[0:1], -v[75:76]
	v_fma_f64 v[77:78], v[47:48], v[0:1], v[77:78]
	v_fma_f64 v[91:92], v[57:58], v[0:1], -v[81:82]
	v_fma_f64 v[93:94], v[59:60], v[0:1], v[83:84]
	v_fma_f64 v[85:86], v[61:62], v[0:1], -v[85:86]
	v_fma_f64 v[95:96], v[63:64], v[0:1], v[2:3]
	scratch_load_b128 v[0:3], off, off offset:624
	s_clause 0x6
	scratch_load_b128 v[6:9], off, s7
	scratch_load_b128 v[10:13], off, s9
	;; [unrolled: 1-line block ×7, first 2 shown]
	ds_load_2addr_b64 v[81:84], v39 offset0:12 offset1:13
	s_waitcnt vmcnt(6)
	v_add_f64 v[6:7], v[6:7], -v[14:15]
	v_add_f64 v[8:9], v[8:9], -v[49:50]
	s_waitcnt vmcnt(5)
	v_add_f64 v[10:11], v[10:11], -v[53:54]
	v_add_f64 v[12:13], v[12:13], -v[65:66]
	s_waitcnt vmcnt(4)
	v_add_f64 v[41:42], v[41:42], -v[69:70]
	s_waitcnt lgkmcnt(0)
	v_mul_f64 v[102:103], v[83:84], v[2:3]
	v_mul_f64 v[105:106], v[81:82], v[2:3]
	v_add_f64 v[43:44], v[43:44], -v[87:88]
	s_waitcnt vmcnt(3)
	v_add_f64 v[45:46], v[45:46], -v[89:90]
	v_add_f64 v[47:48], v[47:48], -v[77:78]
	s_waitcnt vmcnt(2)
	v_add_f64 v[57:58], v[57:58], -v[91:92]
	;; [unrolled: 3-line block ×3, first 2 shown]
	v_add_f64 v[63:64], v[63:64], -v[95:96]
	v_fma_f64 v[81:82], v[81:82], v[0:1], -v[102:103]
	v_fma_f64 v[83:84], v[83:84], v[0:1], v[105:106]
	s_waitcnt vmcnt(0)
	s_delay_alu instid0(VALU_DEP_2) | instskip(NEXT) | instid1(VALU_DEP_2)
	v_add_f64 v[73:74], v[73:74], -v[81:82]
	v_add_f64 v[75:76], v[75:76], -v[83:84]
	s_clause 0x6
	scratch_store_b128 off, v[6:9], s7
	scratch_store_b128 off, v[10:13], s9
	;; [unrolled: 1-line block ×7, first 2 shown]
	s_cbranch_scc1 .LBB120_956
.LBB120_957:
	s_or_b32 exec_lo, exec_lo, s2
	s_waitcnt_vscnt null, 0x0
	s_barrier
	buffer_gl0_inv
	scratch_load_b128 v[0:3], v156, off
	v_lshl_add_u32 v4, v38, 4, v20
	s_cmp_lt_i32 s5, 42
	s_waitcnt vmcnt(0)
	ds_store_2addr_b64 v4, v[0:1], v[2:3] offset1:1
	s_waitcnt lgkmcnt(0)
	s_barrier
	buffer_gl0_inv
	ds_load_2addr_b64 v[0:3], v20 offset0:80 offset1:81
	v_mov_b32_e32 v4, 40
	s_cbranch_scc1 .LBB120_960
; %bb.958:
	v_add3_u32 v5, v36, 0, 0x290
	v_mov_b32_e32 v4, 40
	s_mov_b32 s6, 41
	s_set_inst_prefetch_distance 0x1
	.p2align	6
.LBB120_959:                            ; =>This Inner Loop Header: Depth=1
	ds_load_2addr_b64 v[6:9], v5 offset1:1
	s_waitcnt lgkmcnt(1)
	v_cmp_gt_f64_e32 vcc_lo, 0, v[0:1]
	v_xor_b32_e32 v10, 0x80000000, v1
	v_cmp_gt_f64_e64 s2, 0, v[2:3]
	v_xor_b32_e32 v12, 0x80000000, v3
	v_add_nc_u32_e32 v5, 16, v5
	s_waitcnt lgkmcnt(0)
	v_cmp_gt_f64_e64 s3, 0, v[6:7]
	v_dual_mov_b32 v41, v8 :: v_dual_mov_b32 v14, v6
	v_cndmask_b32_e32 v11, v1, v10, vcc_lo
	v_xor_b32_e32 v10, 0x80000000, v7
	v_cndmask_b32_e64 v13, v3, v12, s2
	v_xor_b32_e32 v12, 0x80000000, v9
	s_delay_alu instid0(VALU_DEP_3) | instskip(SKIP_2) | instid1(VALU_DEP_2)
	v_cndmask_b32_e64 v15, v7, v10, s3
	v_cmp_gt_f64_e64 s3, 0, v[8:9]
	v_cndmask_b32_e32 v10, v0, v0, vcc_lo
	v_cndmask_b32_e64 v42, v9, v12, s3
	v_cndmask_b32_e64 v12, v2, v2, s2
	s_delay_alu instid0(VALU_DEP_2) | instskip(NEXT) | instid1(VALU_DEP_2)
	v_add_f64 v[14:15], v[14:15], v[41:42]
	v_add_f64 v[10:11], v[10:11], v[12:13]
	s_delay_alu instid0(VALU_DEP_1) | instskip(SKIP_4) | instid1(SALU_CYCLE_1)
	v_cmp_lt_f64_e32 vcc_lo, v[10:11], v[14:15]
	v_dual_cndmask_b32 v1, v1, v7 :: v_dual_cndmask_b32 v0, v0, v6
	v_dual_cndmask_b32 v3, v3, v9 :: v_dual_cndmask_b32 v2, v2, v8
	v_cndmask_b32_e64 v4, v4, s6, vcc_lo
	s_add_i32 s6, s6, 1
	s_cmp_lg_u32 s5, s6
	s_cbranch_scc1 .LBB120_959
.LBB120_960:
	s_set_inst_prefetch_distance 0x2
	s_waitcnt lgkmcnt(0)
	v_cmp_eq_f64_e32 vcc_lo, 0, v[0:1]
	v_cmp_eq_f64_e64 s2, 0, v[2:3]
	s_delay_alu instid0(VALU_DEP_1) | instskip(NEXT) | instid1(SALU_CYCLE_1)
	s_and_b32 s2, vcc_lo, s2
	s_and_saveexec_b32 s3, s2
	s_delay_alu instid0(SALU_CYCLE_1)
	s_xor_b32 s2, exec_lo, s3
; %bb.961:
	v_cmp_ne_u32_e32 vcc_lo, 0, v35
	v_cndmask_b32_e32 v35, 41, v35, vcc_lo
; %bb.962:
	s_and_not1_saveexec_b32 s3, s2
	s_cbranch_execz .LBB120_968
; %bb.963:
	v_cmp_gt_f64_e32 vcc_lo, 0, v[0:1]
	v_cmp_gt_f64_e64 s2, 0, v[2:3]
	v_xor_b32_e32 v5, 0x80000000, v1
	v_xor_b32_e32 v7, 0x80000000, v3
	s_delay_alu instid0(VALU_DEP_2) | instskip(NEXT) | instid1(VALU_DEP_2)
	v_dual_cndmask_b32 v6, v1, v5 :: v_dual_cndmask_b32 v5, v0, v0
	v_cndmask_b32_e64 v8, v3, v7, s2
	v_cndmask_b32_e64 v7, v2, v2, s2
	s_mov_b32 s2, exec_lo
	s_delay_alu instid0(VALU_DEP_1)
	v_cmpx_ngt_f64_e32 v[5:6], v[7:8]
	s_xor_b32 s2, exec_lo, s2
	s_cbranch_execz .LBB120_965
; %bb.964:
	v_div_scale_f64 v[5:6], null, v[2:3], v[2:3], v[0:1]
	v_div_scale_f64 v[11:12], vcc_lo, v[0:1], v[2:3], v[0:1]
	s_delay_alu instid0(VALU_DEP_2) | instskip(SKIP_2) | instid1(VALU_DEP_1)
	v_rcp_f64_e32 v[7:8], v[5:6]
	s_waitcnt_depctr 0xfff
	v_fma_f64 v[9:10], -v[5:6], v[7:8], 1.0
	v_fma_f64 v[7:8], v[7:8], v[9:10], v[7:8]
	s_delay_alu instid0(VALU_DEP_1) | instskip(NEXT) | instid1(VALU_DEP_1)
	v_fma_f64 v[9:10], -v[5:6], v[7:8], 1.0
	v_fma_f64 v[7:8], v[7:8], v[9:10], v[7:8]
	s_delay_alu instid0(VALU_DEP_1) | instskip(NEXT) | instid1(VALU_DEP_1)
	v_mul_f64 v[9:10], v[11:12], v[7:8]
	v_fma_f64 v[5:6], -v[5:6], v[9:10], v[11:12]
	s_delay_alu instid0(VALU_DEP_1) | instskip(NEXT) | instid1(VALU_DEP_1)
	v_div_fmas_f64 v[5:6], v[5:6], v[7:8], v[9:10]
	v_div_fixup_f64 v[5:6], v[5:6], v[2:3], v[0:1]
	s_delay_alu instid0(VALU_DEP_1) | instskip(NEXT) | instid1(VALU_DEP_1)
	v_fma_f64 v[0:1], v[0:1], v[5:6], v[2:3]
	v_div_scale_f64 v[2:3], null, v[0:1], v[0:1], 1.0
	s_delay_alu instid0(VALU_DEP_1) | instskip(SKIP_2) | instid1(VALU_DEP_1)
	v_rcp_f64_e32 v[7:8], v[2:3]
	s_waitcnt_depctr 0xfff
	v_fma_f64 v[9:10], -v[2:3], v[7:8], 1.0
	v_fma_f64 v[7:8], v[7:8], v[9:10], v[7:8]
	s_delay_alu instid0(VALU_DEP_1) | instskip(NEXT) | instid1(VALU_DEP_1)
	v_fma_f64 v[9:10], -v[2:3], v[7:8], 1.0
	v_fma_f64 v[7:8], v[7:8], v[9:10], v[7:8]
	v_div_scale_f64 v[9:10], vcc_lo, 1.0, v[0:1], 1.0
	s_delay_alu instid0(VALU_DEP_1) | instskip(NEXT) | instid1(VALU_DEP_1)
	v_mul_f64 v[11:12], v[9:10], v[7:8]
	v_fma_f64 v[2:3], -v[2:3], v[11:12], v[9:10]
	s_delay_alu instid0(VALU_DEP_1) | instskip(NEXT) | instid1(VALU_DEP_1)
	v_div_fmas_f64 v[2:3], v[2:3], v[7:8], v[11:12]
	v_div_fixup_f64 v[2:3], v[2:3], v[0:1], 1.0
	s_delay_alu instid0(VALU_DEP_1)
	v_mul_f64 v[0:1], v[5:6], v[2:3]
	v_xor_b32_e32 v3, 0x80000000, v3
.LBB120_965:
	s_and_not1_saveexec_b32 s2, s2
	s_cbranch_execz .LBB120_967
; %bb.966:
	s_delay_alu instid0(VALU_DEP_1) | instskip(SKIP_1) | instid1(VALU_DEP_2)
	v_div_scale_f64 v[5:6], null, v[0:1], v[0:1], v[2:3]
	v_div_scale_f64 v[11:12], vcc_lo, v[2:3], v[0:1], v[2:3]
	v_rcp_f64_e32 v[7:8], v[5:6]
	s_waitcnt_depctr 0xfff
	v_fma_f64 v[9:10], -v[5:6], v[7:8], 1.0
	s_delay_alu instid0(VALU_DEP_1) | instskip(NEXT) | instid1(VALU_DEP_1)
	v_fma_f64 v[7:8], v[7:8], v[9:10], v[7:8]
	v_fma_f64 v[9:10], -v[5:6], v[7:8], 1.0
	s_delay_alu instid0(VALU_DEP_1) | instskip(NEXT) | instid1(VALU_DEP_1)
	v_fma_f64 v[7:8], v[7:8], v[9:10], v[7:8]
	v_mul_f64 v[9:10], v[11:12], v[7:8]
	s_delay_alu instid0(VALU_DEP_1) | instskip(NEXT) | instid1(VALU_DEP_1)
	v_fma_f64 v[5:6], -v[5:6], v[9:10], v[11:12]
	v_div_fmas_f64 v[5:6], v[5:6], v[7:8], v[9:10]
	s_delay_alu instid0(VALU_DEP_1) | instskip(NEXT) | instid1(VALU_DEP_1)
	v_div_fixup_f64 v[5:6], v[5:6], v[0:1], v[2:3]
	v_fma_f64 v[0:1], v[2:3], v[5:6], v[0:1]
	s_delay_alu instid0(VALU_DEP_1) | instskip(NEXT) | instid1(VALU_DEP_1)
	v_div_scale_f64 v[2:3], null, v[0:1], v[0:1], 1.0
	v_rcp_f64_e32 v[7:8], v[2:3]
	s_waitcnt_depctr 0xfff
	v_fma_f64 v[9:10], -v[2:3], v[7:8], 1.0
	s_delay_alu instid0(VALU_DEP_1) | instskip(NEXT) | instid1(VALU_DEP_1)
	v_fma_f64 v[7:8], v[7:8], v[9:10], v[7:8]
	v_fma_f64 v[9:10], -v[2:3], v[7:8], 1.0
	s_delay_alu instid0(VALU_DEP_1) | instskip(SKIP_1) | instid1(VALU_DEP_1)
	v_fma_f64 v[7:8], v[7:8], v[9:10], v[7:8]
	v_div_scale_f64 v[9:10], vcc_lo, 1.0, v[0:1], 1.0
	v_mul_f64 v[11:12], v[9:10], v[7:8]
	s_delay_alu instid0(VALU_DEP_1) | instskip(NEXT) | instid1(VALU_DEP_1)
	v_fma_f64 v[2:3], -v[2:3], v[11:12], v[9:10]
	v_div_fmas_f64 v[2:3], v[2:3], v[7:8], v[11:12]
	s_delay_alu instid0(VALU_DEP_1) | instskip(NEXT) | instid1(VALU_DEP_1)
	v_div_fixup_f64 v[0:1], v[2:3], v[0:1], 1.0
	v_mul_f64 v[2:3], v[5:6], -v[0:1]
.LBB120_967:
	s_or_b32 exec_lo, exec_lo, s2
.LBB120_968:
	s_delay_alu instid0(SALU_CYCLE_1) | instskip(NEXT) | instid1(SALU_CYCLE_1)
	s_or_b32 exec_lo, exec_lo, s3
	s_mov_b32 s2, exec_lo
	v_cmpx_ne_u32_e64 v38, v4
	s_xor_b32 s2, exec_lo, s2
	s_cbranch_execz .LBB120_974
; %bb.969:
	s_mov_b32 s3, exec_lo
	v_cmpx_eq_u32_e32 40, v38
	s_cbranch_execz .LBB120_973
; %bb.970:
	v_cmp_ne_u32_e32 vcc_lo, 40, v4
	s_xor_b32 s6, s4, -1
	s_delay_alu instid0(SALU_CYCLE_1) | instskip(NEXT) | instid1(SALU_CYCLE_1)
	s_and_b32 s7, s6, vcc_lo
	s_and_saveexec_b32 s6, s7
	s_cbranch_execz .LBB120_972
; %bb.971:
	v_ashrrev_i32_e32 v5, 31, v4
	s_delay_alu instid0(VALU_DEP_1) | instskip(NEXT) | instid1(VALU_DEP_1)
	v_lshlrev_b64 v[5:6], 2, v[4:5]
	v_add_co_u32 v5, vcc_lo, v18, v5
	s_delay_alu instid0(VALU_DEP_2)
	v_add_co_ci_u32_e32 v6, vcc_lo, v19, v6, vcc_lo
	s_clause 0x1
	flat_load_b32 v7, v[5:6]
	flat_load_b32 v8, v[18:19] offset:160
	s_waitcnt vmcnt(1) lgkmcnt(1)
	flat_store_b32 v[18:19], v7 offset:160
	s_waitcnt vmcnt(0) lgkmcnt(1)
	flat_store_b32 v[5:6], v8
.LBB120_972:
	s_or_b32 exec_lo, exec_lo, s6
	v_mov_b32_e32 v38, v4
	v_mov_b32_e32 v37, v4
.LBB120_973:
	s_or_b32 exec_lo, exec_lo, s3
.LBB120_974:
	s_and_not1_saveexec_b32 s2, s2
	s_cbranch_execz .LBB120_976
; %bb.975:
	s_clause 0x13
	scratch_load_b128 v[4:7], v155, off
	scratch_load_b128 v[8:11], v154, off
	;; [unrolled: 1-line block ×20, first 2 shown]
	v_mov_b32_e32 v38, 40
	s_waitcnt vmcnt(19)
	ds_store_2addr_b64 v20, v[4:5], v[6:7] offset0:82 offset1:83
	s_waitcnt vmcnt(18)
	ds_store_2addr_b64 v20, v[8:9], v[10:11] offset0:84 offset1:85
	;; [unrolled: 2-line block ×20, first 2 shown]
.LBB120_976:
	s_or_b32 exec_lo, exec_lo, s2
	s_delay_alu instid0(SALU_CYCLE_1)
	s_mov_b32 s2, exec_lo
	s_waitcnt lgkmcnt(0)
	s_waitcnt_vscnt null, 0x0
	s_barrier
	buffer_gl0_inv
	v_cmpx_lt_i32_e32 40, v38
	s_cbranch_execz .LBB120_979
; %bb.977:
	scratch_load_b128 v[4:7], off, off offset:640
	s_mov_b32 s3, 0
	s_waitcnt vmcnt(0)
	v_mul_f64 v[8:9], v[2:3], v[6:7]
	v_mul_f64 v[6:7], v[0:1], v[6:7]
	s_delay_alu instid0(VALU_DEP_2) | instskip(NEXT) | instid1(VALU_DEP_2)
	v_fma_f64 v[0:1], v[0:1], v[4:5], -v[8:9]
	v_fma_f64 v[2:3], v[2:3], v[4:5], v[6:7]
	v_add3_u32 v4, v36, 0, 0x290
	v_mov_b32_e32 v5, 0
	scratch_store_b128 off, v[0:3], off offset:640
.LBB120_978:                            ; =>This Inner Loop Header: Depth=1
	v_readfirstlane_b32 s6, v5
	v_add_nc_u32_e32 v14, s3, v4
	s_delay_alu instid0(VALU_DEP_2)
	s_add_i32 s6, s6, s3
	s_addk_i32 s3, 0x50
	s_add_i32 s7, s6, 0x290
	s_add_i32 s9, s6, 0x2a0
	;; [unrolled: 1-line block ×4, first 2 shown]
	s_addk_i32 s6, 0x2d0
	s_clause 0x4
	scratch_load_b128 v[6:9], off, s7
	scratch_load_b128 v[10:13], off, s9
	;; [unrolled: 1-line block ×5, first 2 shown]
	ds_load_2addr_b64 v[61:64], v14 offset1:1
	ds_load_2addr_b64 v[73:76], v14 offset0:2 offset1:3
	ds_load_2addr_b64 v[81:84], v14 offset0:4 offset1:5
	;; [unrolled: 1-line block ×4, first 2 shown]
	s_cmpk_lg_i32 s3, 0x140
	s_waitcnt lgkmcnt(4)
	v_mul_f64 v[14:15], v[63:64], v[2:3]
	v_mul_f64 v[49:50], v[61:62], v[2:3]
	s_waitcnt lgkmcnt(3)
	v_mul_f64 v[53:54], v[75:76], v[2:3]
	v_mul_f64 v[65:66], v[73:74], v[2:3]
	;; [unrolled: 3-line block ×5, first 2 shown]
	v_fma_f64 v[14:15], v[61:62], v[0:1], -v[14:15]
	v_fma_f64 v[49:50], v[63:64], v[0:1], v[49:50]
	v_fma_f64 v[53:54], v[73:74], v[0:1], -v[53:54]
	v_fma_f64 v[61:62], v[75:76], v[0:1], v[65:66]
	;; [unrolled: 2-line block ×5, first 2 shown]
	s_waitcnt vmcnt(4)
	v_add_f64 v[6:7], v[6:7], -v[14:15]
	v_add_f64 v[8:9], v[8:9], -v[49:50]
	s_waitcnt vmcnt(3)
	v_add_f64 v[10:11], v[10:11], -v[53:54]
	v_add_f64 v[12:13], v[12:13], -v[61:62]
	s_waitcnt vmcnt(2)
	v_add_f64 v[41:42], v[41:42], -v[63:64]
	v_add_f64 v[43:44], v[43:44], -v[65:66]
	s_waitcnt vmcnt(1)
	v_add_f64 v[45:46], v[45:46], -v[69:70]
	v_add_f64 v[47:48], v[47:48], -v[73:74]
	s_waitcnt vmcnt(0)
	v_add_f64 v[57:58], v[57:58], -v[75:76]
	v_add_f64 v[59:60], v[59:60], -v[77:78]
	s_clause 0x4
	scratch_store_b128 off, v[6:9], s7
	scratch_store_b128 off, v[10:13], s9
	;; [unrolled: 1-line block ×5, first 2 shown]
	s_cbranch_scc1 .LBB120_978
.LBB120_979:
	s_or_b32 exec_lo, exec_lo, s2
	s_waitcnt_vscnt null, 0x0
	s_barrier
	buffer_gl0_inv
	scratch_load_b128 v[0:3], v155, off
	v_lshl_add_u32 v4, v38, 4, v20
	s_cmp_lt_i32 s5, 43
	s_waitcnt vmcnt(0)
	ds_store_2addr_b64 v4, v[0:1], v[2:3] offset1:1
	s_waitcnt lgkmcnt(0)
	s_barrier
	buffer_gl0_inv
	ds_load_2addr_b64 v[0:3], v20 offset0:82 offset1:83
	v_mov_b32_e32 v4, 41
	s_cbranch_scc1 .LBB120_982
; %bb.980:
	v_add3_u32 v5, v36, 0, 0x2a0
	v_mov_b32_e32 v4, 41
	s_mov_b32 s6, 42
	s_set_inst_prefetch_distance 0x1
	.p2align	6
.LBB120_981:                            ; =>This Inner Loop Header: Depth=1
	ds_load_2addr_b64 v[6:9], v5 offset1:1
	s_waitcnt lgkmcnt(1)
	v_cmp_gt_f64_e32 vcc_lo, 0, v[0:1]
	v_xor_b32_e32 v10, 0x80000000, v1
	v_cmp_gt_f64_e64 s2, 0, v[2:3]
	v_xor_b32_e32 v12, 0x80000000, v3
	v_add_nc_u32_e32 v5, 16, v5
	s_waitcnt lgkmcnt(0)
	v_cmp_gt_f64_e64 s3, 0, v[6:7]
	v_dual_mov_b32 v41, v8 :: v_dual_mov_b32 v14, v6
	v_cndmask_b32_e32 v11, v1, v10, vcc_lo
	v_xor_b32_e32 v10, 0x80000000, v7
	v_cndmask_b32_e64 v13, v3, v12, s2
	v_xor_b32_e32 v12, 0x80000000, v9
	s_delay_alu instid0(VALU_DEP_3) | instskip(SKIP_2) | instid1(VALU_DEP_2)
	v_cndmask_b32_e64 v15, v7, v10, s3
	v_cmp_gt_f64_e64 s3, 0, v[8:9]
	v_cndmask_b32_e32 v10, v0, v0, vcc_lo
	v_cndmask_b32_e64 v42, v9, v12, s3
	v_cndmask_b32_e64 v12, v2, v2, s2
	s_delay_alu instid0(VALU_DEP_2) | instskip(NEXT) | instid1(VALU_DEP_2)
	v_add_f64 v[14:15], v[14:15], v[41:42]
	v_add_f64 v[10:11], v[10:11], v[12:13]
	s_delay_alu instid0(VALU_DEP_1) | instskip(SKIP_4) | instid1(SALU_CYCLE_1)
	v_cmp_lt_f64_e32 vcc_lo, v[10:11], v[14:15]
	v_dual_cndmask_b32 v1, v1, v7 :: v_dual_cndmask_b32 v0, v0, v6
	v_dual_cndmask_b32 v3, v3, v9 :: v_dual_cndmask_b32 v2, v2, v8
	v_cndmask_b32_e64 v4, v4, s6, vcc_lo
	s_add_i32 s6, s6, 1
	s_cmp_lg_u32 s5, s6
	s_cbranch_scc1 .LBB120_981
.LBB120_982:
	s_set_inst_prefetch_distance 0x2
	s_waitcnt lgkmcnt(0)
	v_cmp_eq_f64_e32 vcc_lo, 0, v[0:1]
	v_cmp_eq_f64_e64 s2, 0, v[2:3]
	s_delay_alu instid0(VALU_DEP_1) | instskip(NEXT) | instid1(SALU_CYCLE_1)
	s_and_b32 s2, vcc_lo, s2
	s_and_saveexec_b32 s3, s2
	s_delay_alu instid0(SALU_CYCLE_1)
	s_xor_b32 s2, exec_lo, s3
; %bb.983:
	v_cmp_ne_u32_e32 vcc_lo, 0, v35
	v_cndmask_b32_e32 v35, 42, v35, vcc_lo
; %bb.984:
	s_and_not1_saveexec_b32 s3, s2
	s_cbranch_execz .LBB120_990
; %bb.985:
	v_cmp_gt_f64_e32 vcc_lo, 0, v[0:1]
	v_cmp_gt_f64_e64 s2, 0, v[2:3]
	v_xor_b32_e32 v5, 0x80000000, v1
	v_xor_b32_e32 v7, 0x80000000, v3
	s_delay_alu instid0(VALU_DEP_2) | instskip(NEXT) | instid1(VALU_DEP_2)
	v_dual_cndmask_b32 v6, v1, v5 :: v_dual_cndmask_b32 v5, v0, v0
	v_cndmask_b32_e64 v8, v3, v7, s2
	v_cndmask_b32_e64 v7, v2, v2, s2
	s_mov_b32 s2, exec_lo
	s_delay_alu instid0(VALU_DEP_1)
	v_cmpx_ngt_f64_e32 v[5:6], v[7:8]
	s_xor_b32 s2, exec_lo, s2
	s_cbranch_execz .LBB120_987
; %bb.986:
	v_div_scale_f64 v[5:6], null, v[2:3], v[2:3], v[0:1]
	v_div_scale_f64 v[11:12], vcc_lo, v[0:1], v[2:3], v[0:1]
	s_delay_alu instid0(VALU_DEP_2) | instskip(SKIP_2) | instid1(VALU_DEP_1)
	v_rcp_f64_e32 v[7:8], v[5:6]
	s_waitcnt_depctr 0xfff
	v_fma_f64 v[9:10], -v[5:6], v[7:8], 1.0
	v_fma_f64 v[7:8], v[7:8], v[9:10], v[7:8]
	s_delay_alu instid0(VALU_DEP_1) | instskip(NEXT) | instid1(VALU_DEP_1)
	v_fma_f64 v[9:10], -v[5:6], v[7:8], 1.0
	v_fma_f64 v[7:8], v[7:8], v[9:10], v[7:8]
	s_delay_alu instid0(VALU_DEP_1) | instskip(NEXT) | instid1(VALU_DEP_1)
	v_mul_f64 v[9:10], v[11:12], v[7:8]
	v_fma_f64 v[5:6], -v[5:6], v[9:10], v[11:12]
	s_delay_alu instid0(VALU_DEP_1) | instskip(NEXT) | instid1(VALU_DEP_1)
	v_div_fmas_f64 v[5:6], v[5:6], v[7:8], v[9:10]
	v_div_fixup_f64 v[5:6], v[5:6], v[2:3], v[0:1]
	s_delay_alu instid0(VALU_DEP_1) | instskip(NEXT) | instid1(VALU_DEP_1)
	v_fma_f64 v[0:1], v[0:1], v[5:6], v[2:3]
	v_div_scale_f64 v[2:3], null, v[0:1], v[0:1], 1.0
	s_delay_alu instid0(VALU_DEP_1) | instskip(SKIP_2) | instid1(VALU_DEP_1)
	v_rcp_f64_e32 v[7:8], v[2:3]
	s_waitcnt_depctr 0xfff
	v_fma_f64 v[9:10], -v[2:3], v[7:8], 1.0
	v_fma_f64 v[7:8], v[7:8], v[9:10], v[7:8]
	s_delay_alu instid0(VALU_DEP_1) | instskip(NEXT) | instid1(VALU_DEP_1)
	v_fma_f64 v[9:10], -v[2:3], v[7:8], 1.0
	v_fma_f64 v[7:8], v[7:8], v[9:10], v[7:8]
	v_div_scale_f64 v[9:10], vcc_lo, 1.0, v[0:1], 1.0
	s_delay_alu instid0(VALU_DEP_1) | instskip(NEXT) | instid1(VALU_DEP_1)
	v_mul_f64 v[11:12], v[9:10], v[7:8]
	v_fma_f64 v[2:3], -v[2:3], v[11:12], v[9:10]
	s_delay_alu instid0(VALU_DEP_1) | instskip(NEXT) | instid1(VALU_DEP_1)
	v_div_fmas_f64 v[2:3], v[2:3], v[7:8], v[11:12]
	v_div_fixup_f64 v[2:3], v[2:3], v[0:1], 1.0
	s_delay_alu instid0(VALU_DEP_1)
	v_mul_f64 v[0:1], v[5:6], v[2:3]
	v_xor_b32_e32 v3, 0x80000000, v3
.LBB120_987:
	s_and_not1_saveexec_b32 s2, s2
	s_cbranch_execz .LBB120_989
; %bb.988:
	s_delay_alu instid0(VALU_DEP_1) | instskip(SKIP_1) | instid1(VALU_DEP_2)
	v_div_scale_f64 v[5:6], null, v[0:1], v[0:1], v[2:3]
	v_div_scale_f64 v[11:12], vcc_lo, v[2:3], v[0:1], v[2:3]
	v_rcp_f64_e32 v[7:8], v[5:6]
	s_waitcnt_depctr 0xfff
	v_fma_f64 v[9:10], -v[5:6], v[7:8], 1.0
	s_delay_alu instid0(VALU_DEP_1) | instskip(NEXT) | instid1(VALU_DEP_1)
	v_fma_f64 v[7:8], v[7:8], v[9:10], v[7:8]
	v_fma_f64 v[9:10], -v[5:6], v[7:8], 1.0
	s_delay_alu instid0(VALU_DEP_1) | instskip(NEXT) | instid1(VALU_DEP_1)
	v_fma_f64 v[7:8], v[7:8], v[9:10], v[7:8]
	v_mul_f64 v[9:10], v[11:12], v[7:8]
	s_delay_alu instid0(VALU_DEP_1) | instskip(NEXT) | instid1(VALU_DEP_1)
	v_fma_f64 v[5:6], -v[5:6], v[9:10], v[11:12]
	v_div_fmas_f64 v[5:6], v[5:6], v[7:8], v[9:10]
	s_delay_alu instid0(VALU_DEP_1) | instskip(NEXT) | instid1(VALU_DEP_1)
	v_div_fixup_f64 v[5:6], v[5:6], v[0:1], v[2:3]
	v_fma_f64 v[0:1], v[2:3], v[5:6], v[0:1]
	s_delay_alu instid0(VALU_DEP_1) | instskip(NEXT) | instid1(VALU_DEP_1)
	v_div_scale_f64 v[2:3], null, v[0:1], v[0:1], 1.0
	v_rcp_f64_e32 v[7:8], v[2:3]
	s_waitcnt_depctr 0xfff
	v_fma_f64 v[9:10], -v[2:3], v[7:8], 1.0
	s_delay_alu instid0(VALU_DEP_1) | instskip(NEXT) | instid1(VALU_DEP_1)
	v_fma_f64 v[7:8], v[7:8], v[9:10], v[7:8]
	v_fma_f64 v[9:10], -v[2:3], v[7:8], 1.0
	s_delay_alu instid0(VALU_DEP_1) | instskip(SKIP_1) | instid1(VALU_DEP_1)
	v_fma_f64 v[7:8], v[7:8], v[9:10], v[7:8]
	v_div_scale_f64 v[9:10], vcc_lo, 1.0, v[0:1], 1.0
	v_mul_f64 v[11:12], v[9:10], v[7:8]
	s_delay_alu instid0(VALU_DEP_1) | instskip(NEXT) | instid1(VALU_DEP_1)
	v_fma_f64 v[2:3], -v[2:3], v[11:12], v[9:10]
	v_div_fmas_f64 v[2:3], v[2:3], v[7:8], v[11:12]
	s_delay_alu instid0(VALU_DEP_1) | instskip(NEXT) | instid1(VALU_DEP_1)
	v_div_fixup_f64 v[0:1], v[2:3], v[0:1], 1.0
	v_mul_f64 v[2:3], v[5:6], -v[0:1]
.LBB120_989:
	s_or_b32 exec_lo, exec_lo, s2
.LBB120_990:
	s_delay_alu instid0(SALU_CYCLE_1) | instskip(NEXT) | instid1(SALU_CYCLE_1)
	s_or_b32 exec_lo, exec_lo, s3
	s_mov_b32 s2, exec_lo
	v_cmpx_ne_u32_e64 v38, v4
	s_xor_b32 s2, exec_lo, s2
	s_cbranch_execz .LBB120_996
; %bb.991:
	s_mov_b32 s3, exec_lo
	v_cmpx_eq_u32_e32 41, v38
	s_cbranch_execz .LBB120_995
; %bb.992:
	v_cmp_ne_u32_e32 vcc_lo, 41, v4
	s_xor_b32 s6, s4, -1
	s_delay_alu instid0(SALU_CYCLE_1) | instskip(NEXT) | instid1(SALU_CYCLE_1)
	s_and_b32 s7, s6, vcc_lo
	s_and_saveexec_b32 s6, s7
	s_cbranch_execz .LBB120_994
; %bb.993:
	v_ashrrev_i32_e32 v5, 31, v4
	s_delay_alu instid0(VALU_DEP_1) | instskip(NEXT) | instid1(VALU_DEP_1)
	v_lshlrev_b64 v[5:6], 2, v[4:5]
	v_add_co_u32 v5, vcc_lo, v18, v5
	s_delay_alu instid0(VALU_DEP_2)
	v_add_co_ci_u32_e32 v6, vcc_lo, v19, v6, vcc_lo
	s_clause 0x1
	flat_load_b32 v7, v[5:6]
	flat_load_b32 v8, v[18:19] offset:164
	s_waitcnt vmcnt(1) lgkmcnt(1)
	flat_store_b32 v[18:19], v7 offset:164
	s_waitcnt vmcnt(0) lgkmcnt(1)
	flat_store_b32 v[5:6], v8
.LBB120_994:
	s_or_b32 exec_lo, exec_lo, s6
	v_mov_b32_e32 v38, v4
	v_mov_b32_e32 v37, v4
.LBB120_995:
	s_or_b32 exec_lo, exec_lo, s3
.LBB120_996:
	s_and_not1_saveexec_b32 s2, s2
	s_cbranch_execz .LBB120_998
; %bb.997:
	s_clause 0x12
	scratch_load_b128 v[4:7], v154, off
	scratch_load_b128 v[8:11], v153, off
	;; [unrolled: 1-line block ×19, first 2 shown]
	v_mov_b32_e32 v38, 41
	s_waitcnt vmcnt(18)
	ds_store_2addr_b64 v20, v[4:5], v[6:7] offset0:84 offset1:85
	s_waitcnt vmcnt(17)
	ds_store_2addr_b64 v20, v[8:9], v[10:11] offset0:86 offset1:87
	;; [unrolled: 2-line block ×19, first 2 shown]
.LBB120_998:
	s_or_b32 exec_lo, exec_lo, s2
	s_delay_alu instid0(SALU_CYCLE_1)
	s_mov_b32 s2, exec_lo
	s_waitcnt lgkmcnt(0)
	s_waitcnt_vscnt null, 0x0
	s_barrier
	buffer_gl0_inv
	v_cmpx_lt_i32_e32 41, v38
	s_cbranch_execz .LBB120_1003
; %bb.999:
	scratch_load_b128 v[4:7], off, off offset:656
	s_mov_b32 s3, 0
	s_waitcnt vmcnt(0)
	v_mul_f64 v[8:9], v[2:3], v[6:7]
	v_mul_f64 v[6:7], v[0:1], v[6:7]
	s_delay_alu instid0(VALU_DEP_2) | instskip(NEXT) | instid1(VALU_DEP_2)
	v_fma_f64 v[0:1], v[0:1], v[4:5], -v[8:9]
	v_fma_f64 v[2:3], v[2:3], v[4:5], v[6:7]
	v_add3_u32 v4, v36, 0, 0x2a0
	v_mov_b32_e32 v5, 0
	scratch_store_b128 off, v[0:3], off offset:656
	s_branch .LBB120_1001
.LBB120_1000:                           ;   in Loop: Header=BB120_1001 Depth=1
	s_and_not1_b32 vcc_lo, exec_lo, s7
	s_cbranch_vccz .LBB120_1003
.LBB120_1001:                           ; =>This Inner Loop Header: Depth=1
	v_readfirstlane_b32 s6, v5
	v_add_nc_u32_e32 v6, s3, v4
	s_mov_b32 s7, -1
	s_delay_alu instid0(VALU_DEP_2) | instskip(NEXT) | instid1(SALU_CYCLE_1)
	s_add_i32 s6, s6, s3
	s_add_i32 s9, s6, 0x2a0
	;; [unrolled: 1-line block ×3, first 2 shown]
	scratch_load_b128 v[7:10], off, s9
	s_add_i32 s14, s6, 0x2c0
	s_clause 0x1
	scratch_load_b128 v[11:14], off, s12
	scratch_load_b128 v[41:44], off, s14
	ds_load_2addr_b64 v[45:48], v6 offset1:1
	ds_load_2addr_b64 v[57:60], v6 offset0:2 offset1:3
	ds_load_2addr_b64 v[61:64], v6 offset0:4 offset1:5
	s_cmpk_eq_i32 s3, 0x100
	s_waitcnt lgkmcnt(2)
	v_mul_f64 v[49:50], v[47:48], v[2:3]
	v_mul_f64 v[53:54], v[45:46], v[2:3]
	s_waitcnt lgkmcnt(1)
	v_mul_f64 v[65:66], v[59:60], v[2:3]
	v_mul_f64 v[69:70], v[57:58], v[2:3]
	;; [unrolled: 3-line block ×3, first 2 shown]
	v_fma_f64 v[45:46], v[45:46], v[0:1], -v[49:50]
	v_fma_f64 v[47:48], v[47:48], v[0:1], v[53:54]
	v_fma_f64 v[49:50], v[57:58], v[0:1], -v[65:66]
	v_fma_f64 v[53:54], v[59:60], v[0:1], v[69:70]
	;; [unrolled: 2-line block ×3, first 2 shown]
	s_waitcnt vmcnt(2)
	v_add_f64 v[7:8], v[7:8], -v[45:46]
	v_add_f64 v[9:10], v[9:10], -v[47:48]
	s_waitcnt vmcnt(1)
	v_add_f64 v[11:12], v[11:12], -v[49:50]
	v_add_f64 v[13:14], v[13:14], -v[53:54]
	s_waitcnt vmcnt(0)
	v_add_f64 v[41:42], v[41:42], -v[57:58]
	v_add_f64 v[43:44], v[43:44], -v[59:60]
	s_clause 0x2
	scratch_store_b128 off, v[7:10], s9
	scratch_store_b128 off, v[11:14], s12
	;; [unrolled: 1-line block ×3, first 2 shown]
	s_cbranch_scc1 .LBB120_1000
; %bb.1002:                             ;   in Loop: Header=BB120_1001 Depth=1
	s_addk_i32 s6, 0x2d0
	ds_load_2addr_b64 v[11:14], v6 offset0:6 offset1:7
	scratch_load_b128 v[7:10], off, s6
	s_add_i32 s3, s3, 64
	s_mov_b32 s7, 0
	s_waitcnt lgkmcnt(0)
	v_mul_f64 v[41:42], v[13:14], v[2:3]
	v_mul_f64 v[43:44], v[11:12], v[2:3]
	s_delay_alu instid0(VALU_DEP_2) | instskip(NEXT) | instid1(VALU_DEP_2)
	v_fma_f64 v[11:12], v[11:12], v[0:1], -v[41:42]
	v_fma_f64 v[13:14], v[13:14], v[0:1], v[43:44]
	s_waitcnt vmcnt(0)
	s_delay_alu instid0(VALU_DEP_2) | instskip(NEXT) | instid1(VALU_DEP_2)
	v_add_f64 v[6:7], v[7:8], -v[11:12]
	v_add_f64 v[8:9], v[9:10], -v[13:14]
	scratch_store_b128 off, v[6:9], s6
	s_branch .LBB120_1000
.LBB120_1003:
	s_or_b32 exec_lo, exec_lo, s2
	s_waitcnt_vscnt null, 0x0
	s_barrier
	buffer_gl0_inv
	scratch_load_b128 v[0:3], v154, off
	v_lshl_add_u32 v4, v38, 4, v20
	s_cmp_lt_i32 s5, 44
	s_waitcnt vmcnt(0)
	ds_store_2addr_b64 v4, v[0:1], v[2:3] offset1:1
	s_waitcnt lgkmcnt(0)
	s_barrier
	buffer_gl0_inv
	ds_load_2addr_b64 v[0:3], v20 offset0:84 offset1:85
	v_mov_b32_e32 v4, 42
	s_cbranch_scc1 .LBB120_1006
; %bb.1004:
	v_add3_u32 v5, v36, 0, 0x2b0
	v_mov_b32_e32 v4, 42
	s_mov_b32 s6, 43
	s_set_inst_prefetch_distance 0x1
	.p2align	6
.LBB120_1005:                           ; =>This Inner Loop Header: Depth=1
	ds_load_2addr_b64 v[6:9], v5 offset1:1
	s_waitcnt lgkmcnt(1)
	v_cmp_gt_f64_e32 vcc_lo, 0, v[0:1]
	v_xor_b32_e32 v10, 0x80000000, v1
	v_cmp_gt_f64_e64 s2, 0, v[2:3]
	v_xor_b32_e32 v12, 0x80000000, v3
	v_add_nc_u32_e32 v5, 16, v5
	s_waitcnt lgkmcnt(0)
	v_cmp_gt_f64_e64 s3, 0, v[6:7]
	v_dual_mov_b32 v41, v8 :: v_dual_mov_b32 v14, v6
	v_cndmask_b32_e32 v11, v1, v10, vcc_lo
	v_xor_b32_e32 v10, 0x80000000, v7
	v_cndmask_b32_e64 v13, v3, v12, s2
	v_xor_b32_e32 v12, 0x80000000, v9
	s_delay_alu instid0(VALU_DEP_3) | instskip(SKIP_2) | instid1(VALU_DEP_2)
	v_cndmask_b32_e64 v15, v7, v10, s3
	v_cmp_gt_f64_e64 s3, 0, v[8:9]
	v_cndmask_b32_e32 v10, v0, v0, vcc_lo
	v_cndmask_b32_e64 v42, v9, v12, s3
	v_cndmask_b32_e64 v12, v2, v2, s2
	s_delay_alu instid0(VALU_DEP_2) | instskip(NEXT) | instid1(VALU_DEP_2)
	v_add_f64 v[14:15], v[14:15], v[41:42]
	v_add_f64 v[10:11], v[10:11], v[12:13]
	s_delay_alu instid0(VALU_DEP_1) | instskip(SKIP_4) | instid1(SALU_CYCLE_1)
	v_cmp_lt_f64_e32 vcc_lo, v[10:11], v[14:15]
	v_dual_cndmask_b32 v1, v1, v7 :: v_dual_cndmask_b32 v0, v0, v6
	v_dual_cndmask_b32 v3, v3, v9 :: v_dual_cndmask_b32 v2, v2, v8
	v_cndmask_b32_e64 v4, v4, s6, vcc_lo
	s_add_i32 s6, s6, 1
	s_cmp_lg_u32 s5, s6
	s_cbranch_scc1 .LBB120_1005
.LBB120_1006:
	s_set_inst_prefetch_distance 0x2
	s_waitcnt lgkmcnt(0)
	v_cmp_eq_f64_e32 vcc_lo, 0, v[0:1]
	v_cmp_eq_f64_e64 s2, 0, v[2:3]
	s_delay_alu instid0(VALU_DEP_1) | instskip(NEXT) | instid1(SALU_CYCLE_1)
	s_and_b32 s2, vcc_lo, s2
	s_and_saveexec_b32 s3, s2
	s_delay_alu instid0(SALU_CYCLE_1)
	s_xor_b32 s2, exec_lo, s3
; %bb.1007:
	v_cmp_ne_u32_e32 vcc_lo, 0, v35
	v_cndmask_b32_e32 v35, 43, v35, vcc_lo
; %bb.1008:
	s_and_not1_saveexec_b32 s3, s2
	s_cbranch_execz .LBB120_1014
; %bb.1009:
	v_cmp_gt_f64_e32 vcc_lo, 0, v[0:1]
	v_cmp_gt_f64_e64 s2, 0, v[2:3]
	v_xor_b32_e32 v5, 0x80000000, v1
	v_xor_b32_e32 v7, 0x80000000, v3
	s_delay_alu instid0(VALU_DEP_2) | instskip(NEXT) | instid1(VALU_DEP_2)
	v_dual_cndmask_b32 v6, v1, v5 :: v_dual_cndmask_b32 v5, v0, v0
	v_cndmask_b32_e64 v8, v3, v7, s2
	v_cndmask_b32_e64 v7, v2, v2, s2
	s_mov_b32 s2, exec_lo
	s_delay_alu instid0(VALU_DEP_1)
	v_cmpx_ngt_f64_e32 v[5:6], v[7:8]
	s_xor_b32 s2, exec_lo, s2
	s_cbranch_execz .LBB120_1011
; %bb.1010:
	v_div_scale_f64 v[5:6], null, v[2:3], v[2:3], v[0:1]
	v_div_scale_f64 v[11:12], vcc_lo, v[0:1], v[2:3], v[0:1]
	s_delay_alu instid0(VALU_DEP_2) | instskip(SKIP_2) | instid1(VALU_DEP_1)
	v_rcp_f64_e32 v[7:8], v[5:6]
	s_waitcnt_depctr 0xfff
	v_fma_f64 v[9:10], -v[5:6], v[7:8], 1.0
	v_fma_f64 v[7:8], v[7:8], v[9:10], v[7:8]
	s_delay_alu instid0(VALU_DEP_1) | instskip(NEXT) | instid1(VALU_DEP_1)
	v_fma_f64 v[9:10], -v[5:6], v[7:8], 1.0
	v_fma_f64 v[7:8], v[7:8], v[9:10], v[7:8]
	s_delay_alu instid0(VALU_DEP_1) | instskip(NEXT) | instid1(VALU_DEP_1)
	v_mul_f64 v[9:10], v[11:12], v[7:8]
	v_fma_f64 v[5:6], -v[5:6], v[9:10], v[11:12]
	s_delay_alu instid0(VALU_DEP_1) | instskip(NEXT) | instid1(VALU_DEP_1)
	v_div_fmas_f64 v[5:6], v[5:6], v[7:8], v[9:10]
	v_div_fixup_f64 v[5:6], v[5:6], v[2:3], v[0:1]
	s_delay_alu instid0(VALU_DEP_1) | instskip(NEXT) | instid1(VALU_DEP_1)
	v_fma_f64 v[0:1], v[0:1], v[5:6], v[2:3]
	v_div_scale_f64 v[2:3], null, v[0:1], v[0:1], 1.0
	s_delay_alu instid0(VALU_DEP_1) | instskip(SKIP_2) | instid1(VALU_DEP_1)
	v_rcp_f64_e32 v[7:8], v[2:3]
	s_waitcnt_depctr 0xfff
	v_fma_f64 v[9:10], -v[2:3], v[7:8], 1.0
	v_fma_f64 v[7:8], v[7:8], v[9:10], v[7:8]
	s_delay_alu instid0(VALU_DEP_1) | instskip(NEXT) | instid1(VALU_DEP_1)
	v_fma_f64 v[9:10], -v[2:3], v[7:8], 1.0
	v_fma_f64 v[7:8], v[7:8], v[9:10], v[7:8]
	v_div_scale_f64 v[9:10], vcc_lo, 1.0, v[0:1], 1.0
	s_delay_alu instid0(VALU_DEP_1) | instskip(NEXT) | instid1(VALU_DEP_1)
	v_mul_f64 v[11:12], v[9:10], v[7:8]
	v_fma_f64 v[2:3], -v[2:3], v[11:12], v[9:10]
	s_delay_alu instid0(VALU_DEP_1) | instskip(NEXT) | instid1(VALU_DEP_1)
	v_div_fmas_f64 v[2:3], v[2:3], v[7:8], v[11:12]
	v_div_fixup_f64 v[2:3], v[2:3], v[0:1], 1.0
	s_delay_alu instid0(VALU_DEP_1)
	v_mul_f64 v[0:1], v[5:6], v[2:3]
	v_xor_b32_e32 v3, 0x80000000, v3
.LBB120_1011:
	s_and_not1_saveexec_b32 s2, s2
	s_cbranch_execz .LBB120_1013
; %bb.1012:
	s_delay_alu instid0(VALU_DEP_1) | instskip(SKIP_1) | instid1(VALU_DEP_2)
	v_div_scale_f64 v[5:6], null, v[0:1], v[0:1], v[2:3]
	v_div_scale_f64 v[11:12], vcc_lo, v[2:3], v[0:1], v[2:3]
	v_rcp_f64_e32 v[7:8], v[5:6]
	s_waitcnt_depctr 0xfff
	v_fma_f64 v[9:10], -v[5:6], v[7:8], 1.0
	s_delay_alu instid0(VALU_DEP_1) | instskip(NEXT) | instid1(VALU_DEP_1)
	v_fma_f64 v[7:8], v[7:8], v[9:10], v[7:8]
	v_fma_f64 v[9:10], -v[5:6], v[7:8], 1.0
	s_delay_alu instid0(VALU_DEP_1) | instskip(NEXT) | instid1(VALU_DEP_1)
	v_fma_f64 v[7:8], v[7:8], v[9:10], v[7:8]
	v_mul_f64 v[9:10], v[11:12], v[7:8]
	s_delay_alu instid0(VALU_DEP_1) | instskip(NEXT) | instid1(VALU_DEP_1)
	v_fma_f64 v[5:6], -v[5:6], v[9:10], v[11:12]
	v_div_fmas_f64 v[5:6], v[5:6], v[7:8], v[9:10]
	s_delay_alu instid0(VALU_DEP_1) | instskip(NEXT) | instid1(VALU_DEP_1)
	v_div_fixup_f64 v[5:6], v[5:6], v[0:1], v[2:3]
	v_fma_f64 v[0:1], v[2:3], v[5:6], v[0:1]
	s_delay_alu instid0(VALU_DEP_1) | instskip(NEXT) | instid1(VALU_DEP_1)
	v_div_scale_f64 v[2:3], null, v[0:1], v[0:1], 1.0
	v_rcp_f64_e32 v[7:8], v[2:3]
	s_waitcnt_depctr 0xfff
	v_fma_f64 v[9:10], -v[2:3], v[7:8], 1.0
	s_delay_alu instid0(VALU_DEP_1) | instskip(NEXT) | instid1(VALU_DEP_1)
	v_fma_f64 v[7:8], v[7:8], v[9:10], v[7:8]
	v_fma_f64 v[9:10], -v[2:3], v[7:8], 1.0
	s_delay_alu instid0(VALU_DEP_1) | instskip(SKIP_1) | instid1(VALU_DEP_1)
	v_fma_f64 v[7:8], v[7:8], v[9:10], v[7:8]
	v_div_scale_f64 v[9:10], vcc_lo, 1.0, v[0:1], 1.0
	v_mul_f64 v[11:12], v[9:10], v[7:8]
	s_delay_alu instid0(VALU_DEP_1) | instskip(NEXT) | instid1(VALU_DEP_1)
	v_fma_f64 v[2:3], -v[2:3], v[11:12], v[9:10]
	v_div_fmas_f64 v[2:3], v[2:3], v[7:8], v[11:12]
	s_delay_alu instid0(VALU_DEP_1) | instskip(NEXT) | instid1(VALU_DEP_1)
	v_div_fixup_f64 v[0:1], v[2:3], v[0:1], 1.0
	v_mul_f64 v[2:3], v[5:6], -v[0:1]
.LBB120_1013:
	s_or_b32 exec_lo, exec_lo, s2
.LBB120_1014:
	s_delay_alu instid0(SALU_CYCLE_1) | instskip(NEXT) | instid1(SALU_CYCLE_1)
	s_or_b32 exec_lo, exec_lo, s3
	s_mov_b32 s2, exec_lo
	v_cmpx_ne_u32_e64 v38, v4
	s_xor_b32 s2, exec_lo, s2
	s_cbranch_execz .LBB120_1020
; %bb.1015:
	s_mov_b32 s3, exec_lo
	v_cmpx_eq_u32_e32 42, v38
	s_cbranch_execz .LBB120_1019
; %bb.1016:
	v_cmp_ne_u32_e32 vcc_lo, 42, v4
	s_xor_b32 s6, s4, -1
	s_delay_alu instid0(SALU_CYCLE_1) | instskip(NEXT) | instid1(SALU_CYCLE_1)
	s_and_b32 s7, s6, vcc_lo
	s_and_saveexec_b32 s6, s7
	s_cbranch_execz .LBB120_1018
; %bb.1017:
	v_ashrrev_i32_e32 v5, 31, v4
	s_delay_alu instid0(VALU_DEP_1) | instskip(NEXT) | instid1(VALU_DEP_1)
	v_lshlrev_b64 v[5:6], 2, v[4:5]
	v_add_co_u32 v5, vcc_lo, v18, v5
	s_delay_alu instid0(VALU_DEP_2)
	v_add_co_ci_u32_e32 v6, vcc_lo, v19, v6, vcc_lo
	s_clause 0x1
	flat_load_b32 v7, v[5:6]
	flat_load_b32 v8, v[18:19] offset:168
	s_waitcnt vmcnt(1) lgkmcnt(1)
	flat_store_b32 v[18:19], v7 offset:168
	s_waitcnt vmcnt(0) lgkmcnt(1)
	flat_store_b32 v[5:6], v8
.LBB120_1018:
	s_or_b32 exec_lo, exec_lo, s6
	v_mov_b32_e32 v38, v4
	v_mov_b32_e32 v37, v4
.LBB120_1019:
	s_or_b32 exec_lo, exec_lo, s3
.LBB120_1020:
	s_and_not1_saveexec_b32 s2, s2
	s_cbranch_execz .LBB120_1022
; %bb.1021:
	s_clause 0x11
	scratch_load_b128 v[4:7], v153, off
	scratch_load_b128 v[8:11], v152, off
	;; [unrolled: 1-line block ×18, first 2 shown]
	v_mov_b32_e32 v38, 42
	s_waitcnt vmcnt(17)
	ds_store_2addr_b64 v20, v[4:5], v[6:7] offset0:86 offset1:87
	s_waitcnt vmcnt(16)
	ds_store_2addr_b64 v20, v[8:9], v[10:11] offset0:88 offset1:89
	;; [unrolled: 2-line block ×18, first 2 shown]
.LBB120_1022:
	s_or_b32 exec_lo, exec_lo, s2
	s_delay_alu instid0(SALU_CYCLE_1)
	s_mov_b32 s2, exec_lo
	s_waitcnt lgkmcnt(0)
	s_waitcnt_vscnt null, 0x0
	s_barrier
	buffer_gl0_inv
	v_cmpx_lt_i32_e32 42, v38
	s_cbranch_execz .LBB120_1025
; %bb.1023:
	scratch_load_b128 v[4:7], off, off offset:672
	s_mov_b32 s3, 0
	s_waitcnt vmcnt(0)
	v_mul_f64 v[8:9], v[2:3], v[6:7]
	v_mul_f64 v[6:7], v[0:1], v[6:7]
	s_delay_alu instid0(VALU_DEP_2) | instskip(NEXT) | instid1(VALU_DEP_2)
	v_fma_f64 v[0:1], v[0:1], v[4:5], -v[8:9]
	v_fma_f64 v[2:3], v[2:3], v[4:5], v[6:7]
	v_add3_u32 v4, v36, 0, 0x2b0
	v_mov_b32_e32 v5, 0
	scratch_store_b128 off, v[0:3], off offset:672
.LBB120_1024:                           ; =>This Inner Loop Header: Depth=1
	v_readfirstlane_b32 s6, v5
	v_add_nc_u32_e32 v14, s3, v4
	s_delay_alu instid0(VALU_DEP_2)
	s_add_i32 s7, s6, s3
	s_addk_i32 s3, 0x60
	s_add_i32 s6, s7, 0x2b0
	s_add_i32 s9, s7, 0x2c0
	;; [unrolled: 1-line block ×5, first 2 shown]
	s_addk_i32 s7, 0x300
	s_clause 0x5
	scratch_load_b128 v[6:9], off, s6
	scratch_load_b128 v[10:13], off, s9
	;; [unrolled: 1-line block ×6, first 2 shown]
	ds_load_2addr_b64 v[73:76], v14 offset1:1
	ds_load_2addr_b64 v[81:84], v14 offset0:2 offset1:3
	ds_load_2addr_b64 v[85:88], v14 offset0:4 offset1:5
	;; [unrolled: 1-line block ×5, first 2 shown]
	s_cmpk_lg_i32 s3, 0x120
	s_waitcnt lgkmcnt(5)
	v_mul_f64 v[14:15], v[75:76], v[2:3]
	v_mul_f64 v[49:50], v[73:74], v[2:3]
	s_waitcnt lgkmcnt(4)
	v_mul_f64 v[53:54], v[83:84], v[2:3]
	v_mul_f64 v[65:66], v[81:82], v[2:3]
	;; [unrolled: 3-line block ×6, first 2 shown]
	v_fma_f64 v[14:15], v[73:74], v[0:1], -v[14:15]
	v_fma_f64 v[49:50], v[75:76], v[0:1], v[49:50]
	v_fma_f64 v[53:54], v[81:82], v[0:1], -v[53:54]
	v_fma_f64 v[65:66], v[83:84], v[0:1], v[65:66]
	;; [unrolled: 2-line block ×6, first 2 shown]
	s_waitcnt vmcnt(5)
	v_add_f64 v[6:7], v[6:7], -v[14:15]
	v_add_f64 v[8:9], v[8:9], -v[49:50]
	s_waitcnt vmcnt(4)
	v_add_f64 v[10:11], v[10:11], -v[53:54]
	v_add_f64 v[12:13], v[12:13], -v[65:66]
	;; [unrolled: 3-line block ×6, first 2 shown]
	s_clause 0x5
	scratch_store_b128 off, v[6:9], s6
	scratch_store_b128 off, v[10:13], s9
	;; [unrolled: 1-line block ×6, first 2 shown]
	s_cbranch_scc1 .LBB120_1024
.LBB120_1025:
	s_or_b32 exec_lo, exec_lo, s2
	s_waitcnt_vscnt null, 0x0
	s_barrier
	buffer_gl0_inv
	scratch_load_b128 v[0:3], v153, off
	v_lshl_add_u32 v4, v38, 4, v20
	s_cmp_lt_i32 s5, 45
	s_waitcnt vmcnt(0)
	ds_store_2addr_b64 v4, v[0:1], v[2:3] offset1:1
	s_waitcnt lgkmcnt(0)
	s_barrier
	buffer_gl0_inv
	ds_load_2addr_b64 v[0:3], v20 offset0:86 offset1:87
	v_mov_b32_e32 v4, 43
	s_cbranch_scc1 .LBB120_1028
; %bb.1026:
	v_add3_u32 v5, v36, 0, 0x2c0
	v_mov_b32_e32 v4, 43
	s_mov_b32 s6, 44
	s_set_inst_prefetch_distance 0x1
	.p2align	6
.LBB120_1027:                           ; =>This Inner Loop Header: Depth=1
	ds_load_2addr_b64 v[6:9], v5 offset1:1
	s_waitcnt lgkmcnt(1)
	v_cmp_gt_f64_e32 vcc_lo, 0, v[0:1]
	v_xor_b32_e32 v10, 0x80000000, v1
	v_cmp_gt_f64_e64 s2, 0, v[2:3]
	v_xor_b32_e32 v12, 0x80000000, v3
	v_add_nc_u32_e32 v5, 16, v5
	s_waitcnt lgkmcnt(0)
	v_cmp_gt_f64_e64 s3, 0, v[6:7]
	v_dual_mov_b32 v41, v8 :: v_dual_mov_b32 v14, v6
	v_cndmask_b32_e32 v11, v1, v10, vcc_lo
	v_xor_b32_e32 v10, 0x80000000, v7
	v_cndmask_b32_e64 v13, v3, v12, s2
	v_xor_b32_e32 v12, 0x80000000, v9
	s_delay_alu instid0(VALU_DEP_3) | instskip(SKIP_2) | instid1(VALU_DEP_2)
	v_cndmask_b32_e64 v15, v7, v10, s3
	v_cmp_gt_f64_e64 s3, 0, v[8:9]
	v_cndmask_b32_e32 v10, v0, v0, vcc_lo
	v_cndmask_b32_e64 v42, v9, v12, s3
	v_cndmask_b32_e64 v12, v2, v2, s2
	s_delay_alu instid0(VALU_DEP_2) | instskip(NEXT) | instid1(VALU_DEP_2)
	v_add_f64 v[14:15], v[14:15], v[41:42]
	v_add_f64 v[10:11], v[10:11], v[12:13]
	s_delay_alu instid0(VALU_DEP_1) | instskip(SKIP_4) | instid1(SALU_CYCLE_1)
	v_cmp_lt_f64_e32 vcc_lo, v[10:11], v[14:15]
	v_dual_cndmask_b32 v1, v1, v7 :: v_dual_cndmask_b32 v0, v0, v6
	v_dual_cndmask_b32 v3, v3, v9 :: v_dual_cndmask_b32 v2, v2, v8
	v_cndmask_b32_e64 v4, v4, s6, vcc_lo
	s_add_i32 s6, s6, 1
	s_cmp_lg_u32 s5, s6
	s_cbranch_scc1 .LBB120_1027
.LBB120_1028:
	s_set_inst_prefetch_distance 0x2
	s_waitcnt lgkmcnt(0)
	v_cmp_eq_f64_e32 vcc_lo, 0, v[0:1]
	v_cmp_eq_f64_e64 s2, 0, v[2:3]
	s_delay_alu instid0(VALU_DEP_1) | instskip(NEXT) | instid1(SALU_CYCLE_1)
	s_and_b32 s2, vcc_lo, s2
	s_and_saveexec_b32 s3, s2
	s_delay_alu instid0(SALU_CYCLE_1)
	s_xor_b32 s2, exec_lo, s3
; %bb.1029:
	v_cmp_ne_u32_e32 vcc_lo, 0, v35
	v_cndmask_b32_e32 v35, 44, v35, vcc_lo
; %bb.1030:
	s_and_not1_saveexec_b32 s3, s2
	s_cbranch_execz .LBB120_1036
; %bb.1031:
	v_cmp_gt_f64_e32 vcc_lo, 0, v[0:1]
	v_cmp_gt_f64_e64 s2, 0, v[2:3]
	v_xor_b32_e32 v5, 0x80000000, v1
	v_xor_b32_e32 v7, 0x80000000, v3
	s_delay_alu instid0(VALU_DEP_2) | instskip(NEXT) | instid1(VALU_DEP_2)
	v_dual_cndmask_b32 v6, v1, v5 :: v_dual_cndmask_b32 v5, v0, v0
	v_cndmask_b32_e64 v8, v3, v7, s2
	v_cndmask_b32_e64 v7, v2, v2, s2
	s_mov_b32 s2, exec_lo
	s_delay_alu instid0(VALU_DEP_1)
	v_cmpx_ngt_f64_e32 v[5:6], v[7:8]
	s_xor_b32 s2, exec_lo, s2
	s_cbranch_execz .LBB120_1033
; %bb.1032:
	v_div_scale_f64 v[5:6], null, v[2:3], v[2:3], v[0:1]
	v_div_scale_f64 v[11:12], vcc_lo, v[0:1], v[2:3], v[0:1]
	s_delay_alu instid0(VALU_DEP_2) | instskip(SKIP_2) | instid1(VALU_DEP_1)
	v_rcp_f64_e32 v[7:8], v[5:6]
	s_waitcnt_depctr 0xfff
	v_fma_f64 v[9:10], -v[5:6], v[7:8], 1.0
	v_fma_f64 v[7:8], v[7:8], v[9:10], v[7:8]
	s_delay_alu instid0(VALU_DEP_1) | instskip(NEXT) | instid1(VALU_DEP_1)
	v_fma_f64 v[9:10], -v[5:6], v[7:8], 1.0
	v_fma_f64 v[7:8], v[7:8], v[9:10], v[7:8]
	s_delay_alu instid0(VALU_DEP_1) | instskip(NEXT) | instid1(VALU_DEP_1)
	v_mul_f64 v[9:10], v[11:12], v[7:8]
	v_fma_f64 v[5:6], -v[5:6], v[9:10], v[11:12]
	s_delay_alu instid0(VALU_DEP_1) | instskip(NEXT) | instid1(VALU_DEP_1)
	v_div_fmas_f64 v[5:6], v[5:6], v[7:8], v[9:10]
	v_div_fixup_f64 v[5:6], v[5:6], v[2:3], v[0:1]
	s_delay_alu instid0(VALU_DEP_1) | instskip(NEXT) | instid1(VALU_DEP_1)
	v_fma_f64 v[0:1], v[0:1], v[5:6], v[2:3]
	v_div_scale_f64 v[2:3], null, v[0:1], v[0:1], 1.0
	s_delay_alu instid0(VALU_DEP_1) | instskip(SKIP_2) | instid1(VALU_DEP_1)
	v_rcp_f64_e32 v[7:8], v[2:3]
	s_waitcnt_depctr 0xfff
	v_fma_f64 v[9:10], -v[2:3], v[7:8], 1.0
	v_fma_f64 v[7:8], v[7:8], v[9:10], v[7:8]
	s_delay_alu instid0(VALU_DEP_1) | instskip(NEXT) | instid1(VALU_DEP_1)
	v_fma_f64 v[9:10], -v[2:3], v[7:8], 1.0
	v_fma_f64 v[7:8], v[7:8], v[9:10], v[7:8]
	v_div_scale_f64 v[9:10], vcc_lo, 1.0, v[0:1], 1.0
	s_delay_alu instid0(VALU_DEP_1) | instskip(NEXT) | instid1(VALU_DEP_1)
	v_mul_f64 v[11:12], v[9:10], v[7:8]
	v_fma_f64 v[2:3], -v[2:3], v[11:12], v[9:10]
	s_delay_alu instid0(VALU_DEP_1) | instskip(NEXT) | instid1(VALU_DEP_1)
	v_div_fmas_f64 v[2:3], v[2:3], v[7:8], v[11:12]
	v_div_fixup_f64 v[2:3], v[2:3], v[0:1], 1.0
	s_delay_alu instid0(VALU_DEP_1)
	v_mul_f64 v[0:1], v[5:6], v[2:3]
	v_xor_b32_e32 v3, 0x80000000, v3
.LBB120_1033:
	s_and_not1_saveexec_b32 s2, s2
	s_cbranch_execz .LBB120_1035
; %bb.1034:
	s_delay_alu instid0(VALU_DEP_1) | instskip(SKIP_1) | instid1(VALU_DEP_2)
	v_div_scale_f64 v[5:6], null, v[0:1], v[0:1], v[2:3]
	v_div_scale_f64 v[11:12], vcc_lo, v[2:3], v[0:1], v[2:3]
	v_rcp_f64_e32 v[7:8], v[5:6]
	s_waitcnt_depctr 0xfff
	v_fma_f64 v[9:10], -v[5:6], v[7:8], 1.0
	s_delay_alu instid0(VALU_DEP_1) | instskip(NEXT) | instid1(VALU_DEP_1)
	v_fma_f64 v[7:8], v[7:8], v[9:10], v[7:8]
	v_fma_f64 v[9:10], -v[5:6], v[7:8], 1.0
	s_delay_alu instid0(VALU_DEP_1) | instskip(NEXT) | instid1(VALU_DEP_1)
	v_fma_f64 v[7:8], v[7:8], v[9:10], v[7:8]
	v_mul_f64 v[9:10], v[11:12], v[7:8]
	s_delay_alu instid0(VALU_DEP_1) | instskip(NEXT) | instid1(VALU_DEP_1)
	v_fma_f64 v[5:6], -v[5:6], v[9:10], v[11:12]
	v_div_fmas_f64 v[5:6], v[5:6], v[7:8], v[9:10]
	s_delay_alu instid0(VALU_DEP_1) | instskip(NEXT) | instid1(VALU_DEP_1)
	v_div_fixup_f64 v[5:6], v[5:6], v[0:1], v[2:3]
	v_fma_f64 v[0:1], v[2:3], v[5:6], v[0:1]
	s_delay_alu instid0(VALU_DEP_1) | instskip(NEXT) | instid1(VALU_DEP_1)
	v_div_scale_f64 v[2:3], null, v[0:1], v[0:1], 1.0
	v_rcp_f64_e32 v[7:8], v[2:3]
	s_waitcnt_depctr 0xfff
	v_fma_f64 v[9:10], -v[2:3], v[7:8], 1.0
	s_delay_alu instid0(VALU_DEP_1) | instskip(NEXT) | instid1(VALU_DEP_1)
	v_fma_f64 v[7:8], v[7:8], v[9:10], v[7:8]
	v_fma_f64 v[9:10], -v[2:3], v[7:8], 1.0
	s_delay_alu instid0(VALU_DEP_1) | instskip(SKIP_1) | instid1(VALU_DEP_1)
	v_fma_f64 v[7:8], v[7:8], v[9:10], v[7:8]
	v_div_scale_f64 v[9:10], vcc_lo, 1.0, v[0:1], 1.0
	v_mul_f64 v[11:12], v[9:10], v[7:8]
	s_delay_alu instid0(VALU_DEP_1) | instskip(NEXT) | instid1(VALU_DEP_1)
	v_fma_f64 v[2:3], -v[2:3], v[11:12], v[9:10]
	v_div_fmas_f64 v[2:3], v[2:3], v[7:8], v[11:12]
	s_delay_alu instid0(VALU_DEP_1) | instskip(NEXT) | instid1(VALU_DEP_1)
	v_div_fixup_f64 v[0:1], v[2:3], v[0:1], 1.0
	v_mul_f64 v[2:3], v[5:6], -v[0:1]
.LBB120_1035:
	s_or_b32 exec_lo, exec_lo, s2
.LBB120_1036:
	s_delay_alu instid0(SALU_CYCLE_1) | instskip(NEXT) | instid1(SALU_CYCLE_1)
	s_or_b32 exec_lo, exec_lo, s3
	s_mov_b32 s2, exec_lo
	v_cmpx_ne_u32_e64 v38, v4
	s_xor_b32 s2, exec_lo, s2
	s_cbranch_execz .LBB120_1042
; %bb.1037:
	s_mov_b32 s3, exec_lo
	v_cmpx_eq_u32_e32 43, v38
	s_cbranch_execz .LBB120_1041
; %bb.1038:
	v_cmp_ne_u32_e32 vcc_lo, 43, v4
	s_xor_b32 s6, s4, -1
	s_delay_alu instid0(SALU_CYCLE_1) | instskip(NEXT) | instid1(SALU_CYCLE_1)
	s_and_b32 s7, s6, vcc_lo
	s_and_saveexec_b32 s6, s7
	s_cbranch_execz .LBB120_1040
; %bb.1039:
	v_ashrrev_i32_e32 v5, 31, v4
	s_delay_alu instid0(VALU_DEP_1) | instskip(NEXT) | instid1(VALU_DEP_1)
	v_lshlrev_b64 v[5:6], 2, v[4:5]
	v_add_co_u32 v5, vcc_lo, v18, v5
	s_delay_alu instid0(VALU_DEP_2)
	v_add_co_ci_u32_e32 v6, vcc_lo, v19, v6, vcc_lo
	s_clause 0x1
	flat_load_b32 v7, v[5:6]
	flat_load_b32 v8, v[18:19] offset:172
	s_waitcnt vmcnt(1) lgkmcnt(1)
	flat_store_b32 v[18:19], v7 offset:172
	s_waitcnt vmcnt(0) lgkmcnt(1)
	flat_store_b32 v[5:6], v8
.LBB120_1040:
	s_or_b32 exec_lo, exec_lo, s6
	v_mov_b32_e32 v38, v4
	v_mov_b32_e32 v37, v4
.LBB120_1041:
	s_or_b32 exec_lo, exec_lo, s3
.LBB120_1042:
	s_and_not1_saveexec_b32 s2, s2
	s_cbranch_execz .LBB120_1044
; %bb.1043:
	s_clause 0x10
	scratch_load_b128 v[4:7], v152, off
	scratch_load_b128 v[8:11], v151, off
	;; [unrolled: 1-line block ×17, first 2 shown]
	v_mov_b32_e32 v38, 43
	s_waitcnt vmcnt(16)
	ds_store_2addr_b64 v20, v[4:5], v[6:7] offset0:88 offset1:89
	s_waitcnt vmcnt(15)
	ds_store_2addr_b64 v20, v[8:9], v[10:11] offset0:90 offset1:91
	;; [unrolled: 2-line block ×17, first 2 shown]
.LBB120_1044:
	s_or_b32 exec_lo, exec_lo, s2
	s_delay_alu instid0(SALU_CYCLE_1)
	s_mov_b32 s2, exec_lo
	s_waitcnt lgkmcnt(0)
	s_waitcnt_vscnt null, 0x0
	s_barrier
	buffer_gl0_inv
	v_cmpx_lt_i32_e32 43, v38
	s_cbranch_execz .LBB120_1046
; %bb.1045:
	s_clause 0x1
	scratch_load_b128 v[4:7], off, off offset:688
	scratch_load_b128 v[8:11], off, off offset:704
	s_waitcnt vmcnt(1)
	v_mul_f64 v[12:13], v[0:1], v[6:7]
	v_mul_f64 v[6:7], v[2:3], v[6:7]
	s_delay_alu instid0(VALU_DEP_2)
	v_fma_f64 v[2:3], v[2:3], v[4:5], v[12:13]
	ds_load_2addr_b64 v[12:15], v20 offset0:88 offset1:89
	ds_load_2addr_b64 v[41:44], v20 offset0:92 offset1:93
	;; [unrolled: 1-line block ×3, first 2 shown]
	v_fma_f64 v[0:1], v[0:1], v[4:5], -v[6:7]
	ds_load_2addr_b64 v[4:7], v20 offset0:94 offset1:95
	ds_load_2addr_b64 v[57:60], v20 offset0:96 offset1:97
	s_waitcnt lgkmcnt(4)
	v_mul_f64 v[49:50], v[14:15], v[2:3]
	v_mul_f64 v[53:54], v[12:13], v[2:3]
	s_waitcnt lgkmcnt(3)
	v_mul_f64 v[61:62], v[43:44], v[2:3]
	s_waitcnt lgkmcnt(1)
	v_mul_f64 v[65:66], v[6:7], v[2:3]
	v_mul_f64 v[63:64], v[41:42], v[2:3]
	;; [unrolled: 1-line block ×3, first 2 shown]
	s_waitcnt lgkmcnt(0)
	v_mul_f64 v[73:74], v[59:60], v[2:3]
	v_mul_f64 v[75:76], v[47:48], v[2:3]
	scratch_store_b128 off, v[0:3], off offset:688
	v_fma_f64 v[49:50], v[12:13], v[0:1], -v[49:50]
	v_fma_f64 v[53:54], v[14:15], v[0:1], v[53:54]
	ds_load_2addr_b64 v[12:15], v20 offset0:98 offset1:99
	v_fma_f64 v[61:62], v[41:42], v[0:1], -v[61:62]
	v_mul_f64 v[41:42], v[57:58], v[2:3]
	v_fma_f64 v[65:66], v[4:5], v[0:1], -v[65:66]
	v_fma_f64 v[63:64], v[43:44], v[0:1], v[63:64]
	v_fma_f64 v[69:70], v[6:7], v[0:1], v[69:70]
	v_fma_f64 v[73:74], v[57:58], v[0:1], -v[73:74]
	v_fma_f64 v[75:76], v[45:46], v[0:1], -v[75:76]
	s_waitcnt lgkmcnt(0)
	v_mul_f64 v[4:5], v[12:13], v[2:3]
	v_mul_f64 v[43:44], v[14:15], v[2:3]
	s_waitcnt vmcnt(0)
	v_add_f64 v[8:9], v[8:9], -v[49:50]
	v_add_f64 v[10:11], v[10:11], -v[53:54]
	s_clause 0x1
	scratch_load_b64 v[53:54], off, off offset:696
	scratch_load_b64 v[49:50], off, off offset:688
	v_fma_f64 v[77:78], v[59:60], v[0:1], v[41:42]
	v_mul_f64 v[41:42], v[45:46], v[2:3]
	scratch_load_b128 v[57:60], off, off offset:720
	v_fma_f64 v[83:84], v[14:15], v[0:1], v[4:5]
	scratch_load_b128 v[4:7], off, off offset:736
	v_fma_f64 v[81:82], v[12:13], v[0:1], -v[43:44]
	scratch_load_b128 v[12:15], off, off offset:752
	v_fma_f64 v[85:86], v[47:48], v[0:1], v[41:42]
	s_clause 0x2
	scratch_load_b128 v[41:44], off, off offset:768
	scratch_load_b128 v[45:48], off, off offset:784
	;; [unrolled: 1-line block ×3, first 2 shown]
	s_waitcnt vmcnt(5)
	v_add_f64 v[57:58], v[57:58], -v[75:76]
	v_add_f64 v[59:60], v[59:60], -v[85:86]
	s_waitcnt vmcnt(4)
	v_add_f64 v[4:5], v[4:5], -v[61:62]
	v_add_f64 v[6:7], v[6:7], -v[63:64]
	ds_load_2addr_b64 v[61:64], v20 offset0:100 offset1:101
	s_waitcnt vmcnt(3)
	v_add_f64 v[12:13], v[12:13], -v[65:66]
	v_add_f64 v[14:15], v[14:15], -v[69:70]
	s_waitcnt vmcnt(2)
	v_add_f64 v[41:42], v[41:42], -v[73:74]
	ds_load_2addr_b64 v[73:76], v20 offset0:102 offset1:103
	s_waitcnt vmcnt(0) lgkmcnt(1)
	v_mul_f64 v[65:66], v[63:64], v[2:3]
	v_add_f64 v[43:44], v[43:44], -v[77:78]
	v_add_f64 v[45:46], v[45:46], -v[81:82]
	;; [unrolled: 1-line block ×3, first 2 shown]
	s_delay_alu instid0(VALU_DEP_4) | instskip(SKIP_1) | instid1(VALU_DEP_1)
	v_fma_f64 v[65:66], v[61:62], v[49:50], -v[65:66]
	v_mul_f64 v[61:62], v[61:62], v[2:3]
	v_fma_f64 v[69:70], v[63:64], v[49:50], v[61:62]
	s_waitcnt lgkmcnt(0)
	v_mul_f64 v[61:62], v[75:76], v[2:3]
	s_delay_alu instid0(VALU_DEP_1) | instskip(SKIP_1) | instid1(VALU_DEP_1)
	v_fma_f64 v[77:78], v[73:74], v[49:50], -v[61:62]
	v_mul_f64 v[61:62], v[73:74], v[2:3]
	v_fma_f64 v[85:86], v[75:76], v[49:50], v[61:62]
	ds_load_2addr_b64 v[61:64], v20 offset0:104 offset1:105
	ds_load_2addr_b64 v[73:76], v20 offset0:106 offset1:107
	s_waitcnt lgkmcnt(1)
	v_mul_f64 v[81:82], v[63:64], v[2:3]
	s_delay_alu instid0(VALU_DEP_1) | instskip(SKIP_1) | instid1(VALU_DEP_1)
	v_fma_f64 v[87:88], v[61:62], v[49:50], -v[81:82]
	v_mul_f64 v[61:62], v[61:62], v[2:3]
	v_fma_f64 v[89:90], v[63:64], v[49:50], v[61:62]
	s_waitcnt lgkmcnt(0)
	v_mul_f64 v[61:62], v[75:76], v[2:3]
	s_delay_alu instid0(VALU_DEP_1) | instskip(SKIP_1) | instid1(VALU_DEP_1)
	v_fma_f64 v[91:92], v[73:74], v[49:50], -v[61:62]
	v_mul_f64 v[61:62], v[73:74], v[2:3]
	v_fma_f64 v[93:94], v[75:76], v[49:50], v[61:62]
	ds_load_2addr_b64 v[61:64], v20 offset0:108 offset1:109
	ds_load_2addr_b64 v[73:76], v20 offset0:110 offset1:111
	s_waitcnt lgkmcnt(1)
	v_mul_f64 v[81:82], v[63:64], v[2:3]
	s_delay_alu instid0(VALU_DEP_1) | instskip(SKIP_1) | instid1(VALU_DEP_1)
	v_fma_f64 v[95:96], v[61:62], v[49:50], -v[81:82]
	v_mul_f64 v[61:62], v[61:62], v[2:3]
	v_fma_f64 v[102:103], v[63:64], v[49:50], v[61:62]
	ds_load_2addr_b64 v[61:64], v20 offset0:112 offset1:113
	ds_load_2addr_b64 v[81:84], v20 offset0:114 offset1:115
	s_waitcnt lgkmcnt(1)
	v_mul_f64 v[105:106], v[63:64], v[53:54]
	s_delay_alu instid0(VALU_DEP_1) | instskip(SKIP_1) | instid1(VALU_DEP_1)
	v_fma_f64 v[105:106], v[61:62], v[0:1], -v[105:106]
	v_mul_f64 v[61:62], v[61:62], v[53:54]
	v_fma_f64 v[109:110], v[63:64], v[0:1], v[61:62]
	s_waitcnt lgkmcnt(0)
	v_mul_f64 v[61:62], v[83:84], v[53:54]
	s_delay_alu instid0(VALU_DEP_1) | instskip(SKIP_1) | instid1(VALU_DEP_1)
	v_fma_f64 v[113:114], v[81:82], v[0:1], -v[61:62]
	v_mul_f64 v[61:62], v[81:82], v[53:54]
	v_fma_f64 v[117:118], v[83:84], v[0:1], v[61:62]
	ds_load_2addr_b64 v[61:64], v20 offset0:116 offset1:117
	ds_load_2addr_b64 v[81:84], v20 offset0:118 offset1:119
	s_waitcnt lgkmcnt(1)
	v_mul_f64 v[121:122], v[63:64], v[53:54]
	s_delay_alu instid0(VALU_DEP_1) | instskip(SKIP_1) | instid1(VALU_DEP_1)
	v_fma_f64 v[121:122], v[61:62], v[0:1], -v[121:122]
	v_mul_f64 v[61:62], v[61:62], v[53:54]
	v_fma_f64 v[125:126], v[63:64], v[0:1], v[61:62]
	s_waitcnt lgkmcnt(0)
	v_mul_f64 v[61:62], v[83:84], v[53:54]
	s_delay_alu instid0(VALU_DEP_1) | instskip(SKIP_1) | instid1(VALU_DEP_1)
	v_fma_f64 v[172:173], v[81:82], v[0:1], -v[61:62]
	v_mul_f64 v[61:62], v[81:82], v[53:54]
	v_fma_f64 v[174:175], v[83:84], v[0:1], v[61:62]
	ds_load_2addr_b64 v[61:64], v20 offset0:120 offset1:121
	s_waitcnt lgkmcnt(0)
	v_mul_f64 v[81:82], v[63:64], v[53:54]
	v_mul_f64 v[53:54], v[61:62], v[53:54]
	s_delay_alu instid0(VALU_DEP_2) | instskip(NEXT) | instid1(VALU_DEP_2)
	v_fma_f64 v[176:177], v[61:62], v[0:1], -v[81:82]
	v_fma_f64 v[53:54], v[63:64], v[0:1], v[53:54]
	v_mul_f64 v[0:1], v[75:76], v[2:3]
	v_mul_f64 v[2:3], v[73:74], v[2:3]
	s_delay_alu instid0(VALU_DEP_2) | instskip(NEXT) | instid1(VALU_DEP_2)
	v_fma_f64 v[129:130], v[73:74], v[49:50], -v[0:1]
	v_fma_f64 v[49:50], v[75:76], v[49:50], v[2:3]
	s_clause 0x3
	scratch_load_b128 v[0:3], off, off offset:800
	scratch_load_b128 v[61:64], off, off offset:816
	scratch_load_b128 v[73:76], off, off offset:832
	scratch_load_b128 v[81:84], off, off offset:848
	s_waitcnt vmcnt(3)
	v_add_f64 v[0:1], v[0:1], -v[65:66]
	s_waitcnt vmcnt(2)
	v_add_f64 v[63:64], v[63:64], -v[85:86]
	;; [unrolled: 2-line block ×3, first 2 shown]
	v_add_f64 v[75:76], v[75:76], -v[89:90]
	s_waitcnt vmcnt(0)
	v_add_f64 v[81:82], v[81:82], -v[91:92]
	s_clause 0x1
	scratch_load_b128 v[85:88], off, off offset:864
	scratch_load_b128 v[89:92], off, off offset:880
	v_add_f64 v[83:84], v[83:84], -v[93:94]
	v_add_f64 v[2:3], v[2:3], -v[69:70]
	;; [unrolled: 1-line block ×3, first 2 shown]
	s_waitcnt vmcnt(1)
	v_add_f64 v[85:86], v[85:86], -v[95:96]
	s_waitcnt vmcnt(0)
	v_add_f64 v[89:90], v[89:90], -v[129:130]
	s_clause 0x3
	scratch_load_b128 v[93:96], off, off offset:896
	scratch_load_b128 v[129:132], off, off offset:912
	;; [unrolled: 1-line block ×4, first 2 shown]
	v_add_f64 v[87:88], v[87:88], -v[102:103]
	v_add_f64 v[91:92], v[91:92], -v[49:50]
	s_waitcnt vmcnt(3)
	v_add_f64 v[93:94], v[93:94], -v[105:106]
	v_add_f64 v[95:96], v[95:96], -v[109:110]
	s_waitcnt vmcnt(0)
	v_add_f64 v[168:169], v[168:169], -v[172:173]
	v_add_f64 v[170:171], v[170:171], -v[174:175]
	scratch_load_b128 v[172:175], off, off offset:960
	v_add_f64 v[129:130], v[129:130], -v[113:114]
	v_add_f64 v[131:132], v[131:132], -v[117:118]
	;; [unrolled: 1-line block ×4, first 2 shown]
	s_waitcnt vmcnt(0)
	v_add_f64 v[172:173], v[172:173], -v[176:177]
	v_add_f64 v[174:175], v[174:175], -v[53:54]
	s_clause 0x10
	scratch_store_b128 off, v[8:11], off offset:704
	scratch_store_b128 off, v[12:15], off offset:752
	;; [unrolled: 1-line block ×17, first 2 shown]
.LBB120_1046:
	s_or_b32 exec_lo, exec_lo, s2
	s_waitcnt_vscnt null, 0x0
	s_barrier
	buffer_gl0_inv
	scratch_load_b128 v[0:3], v152, off
	v_lshl_add_u32 v4, v38, 4, v20
	s_cmp_lt_i32 s5, 46
	s_waitcnt vmcnt(0)
	ds_store_2addr_b64 v4, v[0:1], v[2:3] offset1:1
	s_waitcnt lgkmcnt(0)
	s_barrier
	buffer_gl0_inv
	ds_load_2addr_b64 v[0:3], v20 offset0:88 offset1:89
	v_mov_b32_e32 v4, 44
	s_cbranch_scc1 .LBB120_1049
; %bb.1047:
	v_add3_u32 v5, v36, 0, 0x2d0
	v_mov_b32_e32 v4, 44
	s_mov_b32 s6, 45
	s_set_inst_prefetch_distance 0x1
	.p2align	6
.LBB120_1048:                           ; =>This Inner Loop Header: Depth=1
	ds_load_2addr_b64 v[6:9], v5 offset1:1
	s_waitcnt lgkmcnt(1)
	v_cmp_gt_f64_e32 vcc_lo, 0, v[0:1]
	v_xor_b32_e32 v10, 0x80000000, v1
	v_cmp_gt_f64_e64 s2, 0, v[2:3]
	v_xor_b32_e32 v12, 0x80000000, v3
	v_add_nc_u32_e32 v5, 16, v5
	s_waitcnt lgkmcnt(0)
	v_cmp_gt_f64_e64 s3, 0, v[6:7]
	v_dual_mov_b32 v41, v8 :: v_dual_mov_b32 v14, v6
	v_cndmask_b32_e32 v11, v1, v10, vcc_lo
	v_xor_b32_e32 v10, 0x80000000, v7
	v_cndmask_b32_e64 v13, v3, v12, s2
	v_xor_b32_e32 v12, 0x80000000, v9
	s_delay_alu instid0(VALU_DEP_3) | instskip(SKIP_2) | instid1(VALU_DEP_2)
	v_cndmask_b32_e64 v15, v7, v10, s3
	v_cmp_gt_f64_e64 s3, 0, v[8:9]
	v_cndmask_b32_e32 v10, v0, v0, vcc_lo
	v_cndmask_b32_e64 v42, v9, v12, s3
	v_cndmask_b32_e64 v12, v2, v2, s2
	s_delay_alu instid0(VALU_DEP_2) | instskip(NEXT) | instid1(VALU_DEP_2)
	v_add_f64 v[14:15], v[14:15], v[41:42]
	v_add_f64 v[10:11], v[10:11], v[12:13]
	s_delay_alu instid0(VALU_DEP_1) | instskip(SKIP_4) | instid1(SALU_CYCLE_1)
	v_cmp_lt_f64_e32 vcc_lo, v[10:11], v[14:15]
	v_dual_cndmask_b32 v1, v1, v7 :: v_dual_cndmask_b32 v0, v0, v6
	v_dual_cndmask_b32 v3, v3, v9 :: v_dual_cndmask_b32 v2, v2, v8
	v_cndmask_b32_e64 v4, v4, s6, vcc_lo
	s_add_i32 s6, s6, 1
	s_cmp_lg_u32 s5, s6
	s_cbranch_scc1 .LBB120_1048
.LBB120_1049:
	s_set_inst_prefetch_distance 0x2
	s_waitcnt lgkmcnt(0)
	v_cmp_eq_f64_e32 vcc_lo, 0, v[0:1]
	v_cmp_eq_f64_e64 s2, 0, v[2:3]
	s_delay_alu instid0(VALU_DEP_1) | instskip(NEXT) | instid1(SALU_CYCLE_1)
	s_and_b32 s2, vcc_lo, s2
	s_and_saveexec_b32 s3, s2
	s_delay_alu instid0(SALU_CYCLE_1)
	s_xor_b32 s2, exec_lo, s3
; %bb.1050:
	v_cmp_ne_u32_e32 vcc_lo, 0, v35
	v_cndmask_b32_e32 v35, 45, v35, vcc_lo
; %bb.1051:
	s_and_not1_saveexec_b32 s3, s2
	s_cbranch_execz .LBB120_1057
; %bb.1052:
	v_cmp_gt_f64_e32 vcc_lo, 0, v[0:1]
	v_cmp_gt_f64_e64 s2, 0, v[2:3]
	v_xor_b32_e32 v5, 0x80000000, v1
	v_xor_b32_e32 v7, 0x80000000, v3
	s_delay_alu instid0(VALU_DEP_2) | instskip(NEXT) | instid1(VALU_DEP_2)
	v_dual_cndmask_b32 v6, v1, v5 :: v_dual_cndmask_b32 v5, v0, v0
	v_cndmask_b32_e64 v8, v3, v7, s2
	v_cndmask_b32_e64 v7, v2, v2, s2
	s_mov_b32 s2, exec_lo
	s_delay_alu instid0(VALU_DEP_1)
	v_cmpx_ngt_f64_e32 v[5:6], v[7:8]
	s_xor_b32 s2, exec_lo, s2
	s_cbranch_execz .LBB120_1054
; %bb.1053:
	v_div_scale_f64 v[5:6], null, v[2:3], v[2:3], v[0:1]
	v_div_scale_f64 v[11:12], vcc_lo, v[0:1], v[2:3], v[0:1]
	s_delay_alu instid0(VALU_DEP_2) | instskip(SKIP_2) | instid1(VALU_DEP_1)
	v_rcp_f64_e32 v[7:8], v[5:6]
	s_waitcnt_depctr 0xfff
	v_fma_f64 v[9:10], -v[5:6], v[7:8], 1.0
	v_fma_f64 v[7:8], v[7:8], v[9:10], v[7:8]
	s_delay_alu instid0(VALU_DEP_1) | instskip(NEXT) | instid1(VALU_DEP_1)
	v_fma_f64 v[9:10], -v[5:6], v[7:8], 1.0
	v_fma_f64 v[7:8], v[7:8], v[9:10], v[7:8]
	s_delay_alu instid0(VALU_DEP_1) | instskip(NEXT) | instid1(VALU_DEP_1)
	v_mul_f64 v[9:10], v[11:12], v[7:8]
	v_fma_f64 v[5:6], -v[5:6], v[9:10], v[11:12]
	s_delay_alu instid0(VALU_DEP_1) | instskip(NEXT) | instid1(VALU_DEP_1)
	v_div_fmas_f64 v[5:6], v[5:6], v[7:8], v[9:10]
	v_div_fixup_f64 v[5:6], v[5:6], v[2:3], v[0:1]
	s_delay_alu instid0(VALU_DEP_1) | instskip(NEXT) | instid1(VALU_DEP_1)
	v_fma_f64 v[0:1], v[0:1], v[5:6], v[2:3]
	v_div_scale_f64 v[2:3], null, v[0:1], v[0:1], 1.0
	s_delay_alu instid0(VALU_DEP_1) | instskip(SKIP_2) | instid1(VALU_DEP_1)
	v_rcp_f64_e32 v[7:8], v[2:3]
	s_waitcnt_depctr 0xfff
	v_fma_f64 v[9:10], -v[2:3], v[7:8], 1.0
	v_fma_f64 v[7:8], v[7:8], v[9:10], v[7:8]
	s_delay_alu instid0(VALU_DEP_1) | instskip(NEXT) | instid1(VALU_DEP_1)
	v_fma_f64 v[9:10], -v[2:3], v[7:8], 1.0
	v_fma_f64 v[7:8], v[7:8], v[9:10], v[7:8]
	v_div_scale_f64 v[9:10], vcc_lo, 1.0, v[0:1], 1.0
	s_delay_alu instid0(VALU_DEP_1) | instskip(NEXT) | instid1(VALU_DEP_1)
	v_mul_f64 v[11:12], v[9:10], v[7:8]
	v_fma_f64 v[2:3], -v[2:3], v[11:12], v[9:10]
	s_delay_alu instid0(VALU_DEP_1) | instskip(NEXT) | instid1(VALU_DEP_1)
	v_div_fmas_f64 v[2:3], v[2:3], v[7:8], v[11:12]
	v_div_fixup_f64 v[2:3], v[2:3], v[0:1], 1.0
	s_delay_alu instid0(VALU_DEP_1)
	v_mul_f64 v[0:1], v[5:6], v[2:3]
	v_xor_b32_e32 v3, 0x80000000, v3
.LBB120_1054:
	s_and_not1_saveexec_b32 s2, s2
	s_cbranch_execz .LBB120_1056
; %bb.1055:
	s_delay_alu instid0(VALU_DEP_1) | instskip(SKIP_1) | instid1(VALU_DEP_2)
	v_div_scale_f64 v[5:6], null, v[0:1], v[0:1], v[2:3]
	v_div_scale_f64 v[11:12], vcc_lo, v[2:3], v[0:1], v[2:3]
	v_rcp_f64_e32 v[7:8], v[5:6]
	s_waitcnt_depctr 0xfff
	v_fma_f64 v[9:10], -v[5:6], v[7:8], 1.0
	s_delay_alu instid0(VALU_DEP_1) | instskip(NEXT) | instid1(VALU_DEP_1)
	v_fma_f64 v[7:8], v[7:8], v[9:10], v[7:8]
	v_fma_f64 v[9:10], -v[5:6], v[7:8], 1.0
	s_delay_alu instid0(VALU_DEP_1) | instskip(NEXT) | instid1(VALU_DEP_1)
	v_fma_f64 v[7:8], v[7:8], v[9:10], v[7:8]
	v_mul_f64 v[9:10], v[11:12], v[7:8]
	s_delay_alu instid0(VALU_DEP_1) | instskip(NEXT) | instid1(VALU_DEP_1)
	v_fma_f64 v[5:6], -v[5:6], v[9:10], v[11:12]
	v_div_fmas_f64 v[5:6], v[5:6], v[7:8], v[9:10]
	s_delay_alu instid0(VALU_DEP_1) | instskip(NEXT) | instid1(VALU_DEP_1)
	v_div_fixup_f64 v[5:6], v[5:6], v[0:1], v[2:3]
	v_fma_f64 v[0:1], v[2:3], v[5:6], v[0:1]
	s_delay_alu instid0(VALU_DEP_1) | instskip(NEXT) | instid1(VALU_DEP_1)
	v_div_scale_f64 v[2:3], null, v[0:1], v[0:1], 1.0
	v_rcp_f64_e32 v[7:8], v[2:3]
	s_waitcnt_depctr 0xfff
	v_fma_f64 v[9:10], -v[2:3], v[7:8], 1.0
	s_delay_alu instid0(VALU_DEP_1) | instskip(NEXT) | instid1(VALU_DEP_1)
	v_fma_f64 v[7:8], v[7:8], v[9:10], v[7:8]
	v_fma_f64 v[9:10], -v[2:3], v[7:8], 1.0
	s_delay_alu instid0(VALU_DEP_1) | instskip(SKIP_1) | instid1(VALU_DEP_1)
	v_fma_f64 v[7:8], v[7:8], v[9:10], v[7:8]
	v_div_scale_f64 v[9:10], vcc_lo, 1.0, v[0:1], 1.0
	v_mul_f64 v[11:12], v[9:10], v[7:8]
	s_delay_alu instid0(VALU_DEP_1) | instskip(NEXT) | instid1(VALU_DEP_1)
	v_fma_f64 v[2:3], -v[2:3], v[11:12], v[9:10]
	v_div_fmas_f64 v[2:3], v[2:3], v[7:8], v[11:12]
	s_delay_alu instid0(VALU_DEP_1) | instskip(NEXT) | instid1(VALU_DEP_1)
	v_div_fixup_f64 v[0:1], v[2:3], v[0:1], 1.0
	v_mul_f64 v[2:3], v[5:6], -v[0:1]
.LBB120_1056:
	s_or_b32 exec_lo, exec_lo, s2
.LBB120_1057:
	s_delay_alu instid0(SALU_CYCLE_1) | instskip(NEXT) | instid1(SALU_CYCLE_1)
	s_or_b32 exec_lo, exec_lo, s3
	s_mov_b32 s2, exec_lo
	v_cmpx_ne_u32_e64 v38, v4
	s_xor_b32 s2, exec_lo, s2
	s_cbranch_execz .LBB120_1063
; %bb.1058:
	s_mov_b32 s3, exec_lo
	v_cmpx_eq_u32_e32 44, v38
	s_cbranch_execz .LBB120_1062
; %bb.1059:
	v_cmp_ne_u32_e32 vcc_lo, 44, v4
	s_xor_b32 s6, s4, -1
	s_delay_alu instid0(SALU_CYCLE_1) | instskip(NEXT) | instid1(SALU_CYCLE_1)
	s_and_b32 s7, s6, vcc_lo
	s_and_saveexec_b32 s6, s7
	s_cbranch_execz .LBB120_1061
; %bb.1060:
	v_ashrrev_i32_e32 v5, 31, v4
	s_delay_alu instid0(VALU_DEP_1) | instskip(NEXT) | instid1(VALU_DEP_1)
	v_lshlrev_b64 v[5:6], 2, v[4:5]
	v_add_co_u32 v5, vcc_lo, v18, v5
	s_delay_alu instid0(VALU_DEP_2)
	v_add_co_ci_u32_e32 v6, vcc_lo, v19, v6, vcc_lo
	s_clause 0x1
	flat_load_b32 v7, v[5:6]
	flat_load_b32 v8, v[18:19] offset:176
	s_waitcnt vmcnt(1) lgkmcnt(1)
	flat_store_b32 v[18:19], v7 offset:176
	s_waitcnt vmcnt(0) lgkmcnt(1)
	flat_store_b32 v[5:6], v8
.LBB120_1061:
	s_or_b32 exec_lo, exec_lo, s6
	v_mov_b32_e32 v38, v4
	v_mov_b32_e32 v37, v4
.LBB120_1062:
	s_or_b32 exec_lo, exec_lo, s3
.LBB120_1063:
	s_and_not1_saveexec_b32 s2, s2
	s_cbranch_execz .LBB120_1065
; %bb.1064:
	s_clause 0xf
	scratch_load_b128 v[4:7], v151, off
	scratch_load_b128 v[8:11], v150, off
	scratch_load_b128 v[12:15], v149, off
	scratch_load_b128 v[41:44], v148, off
	scratch_load_b128 v[45:48], v147, off
	scratch_load_b128 v[57:60], v140, off
	scratch_load_b128 v[61:64], v145, off
	scratch_load_b128 v[73:76], v144, off
	scratch_load_b128 v[81:84], v143, off
	scratch_load_b128 v[85:88], v142, off
	scratch_load_b128 v[89:92], v138, off
	scratch_load_b128 v[93:96], v141, off
	scratch_load_b128 v[129:132], v136, off
	scratch_load_b128 v[164:167], v139, off
	scratch_load_b128 v[168:171], v146, off
	scratch_load_b128 v[172:175], v137, off
	v_mov_b32_e32 v38, 44
	s_waitcnt vmcnt(15)
	ds_store_2addr_b64 v20, v[4:5], v[6:7] offset0:90 offset1:91
	s_waitcnt vmcnt(14)
	ds_store_2addr_b64 v20, v[8:9], v[10:11] offset0:92 offset1:93
	;; [unrolled: 2-line block ×16, first 2 shown]
.LBB120_1065:
	s_or_b32 exec_lo, exec_lo, s2
	s_delay_alu instid0(SALU_CYCLE_1)
	s_mov_b32 s2, exec_lo
	s_waitcnt lgkmcnt(0)
	s_waitcnt_vscnt null, 0x0
	s_barrier
	buffer_gl0_inv
	v_cmpx_lt_i32_e32 44, v38
	s_cbranch_execz .LBB120_1067
; %bb.1066:
	s_clause 0x1
	scratch_load_b128 v[4:7], off, off offset:704
	scratch_load_b128 v[8:11], off, off offset:720
	s_waitcnt vmcnt(1)
	v_mul_f64 v[12:13], v[0:1], v[6:7]
	v_mul_f64 v[6:7], v[2:3], v[6:7]
	s_delay_alu instid0(VALU_DEP_2)
	v_fma_f64 v[2:3], v[2:3], v[4:5], v[12:13]
	ds_load_2addr_b64 v[12:15], v20 offset0:90 offset1:91
	ds_load_2addr_b64 v[41:44], v20 offset0:94 offset1:95
	;; [unrolled: 1-line block ×3, first 2 shown]
	v_fma_f64 v[0:1], v[0:1], v[4:5], -v[6:7]
	ds_load_2addr_b64 v[4:7], v20 offset0:96 offset1:97
	ds_load_2addr_b64 v[57:60], v20 offset0:98 offset1:99
	s_waitcnt lgkmcnt(4)
	v_mul_f64 v[49:50], v[14:15], v[2:3]
	v_mul_f64 v[53:54], v[12:13], v[2:3]
	s_waitcnt lgkmcnt(3)
	v_mul_f64 v[61:62], v[43:44], v[2:3]
	s_waitcnt lgkmcnt(1)
	v_mul_f64 v[65:66], v[6:7], v[2:3]
	v_mul_f64 v[63:64], v[41:42], v[2:3]
	;; [unrolled: 1-line block ×3, first 2 shown]
	s_waitcnt lgkmcnt(0)
	v_mul_f64 v[73:74], v[59:60], v[2:3]
	v_mul_f64 v[75:76], v[47:48], v[2:3]
	scratch_store_b128 off, v[0:3], off offset:704
	v_fma_f64 v[49:50], v[12:13], v[0:1], -v[49:50]
	v_fma_f64 v[53:54], v[14:15], v[0:1], v[53:54]
	ds_load_2addr_b64 v[12:15], v20 offset0:100 offset1:101
	v_fma_f64 v[61:62], v[41:42], v[0:1], -v[61:62]
	v_mul_f64 v[41:42], v[57:58], v[2:3]
	v_fma_f64 v[65:66], v[4:5], v[0:1], -v[65:66]
	v_fma_f64 v[63:64], v[43:44], v[0:1], v[63:64]
	v_fma_f64 v[69:70], v[6:7], v[0:1], v[69:70]
	v_fma_f64 v[73:74], v[57:58], v[0:1], -v[73:74]
	v_fma_f64 v[75:76], v[45:46], v[0:1], -v[75:76]
	s_waitcnt lgkmcnt(0)
	v_mul_f64 v[4:5], v[12:13], v[2:3]
	v_mul_f64 v[43:44], v[14:15], v[2:3]
	s_waitcnt vmcnt(0)
	v_add_f64 v[8:9], v[8:9], -v[49:50]
	v_add_f64 v[10:11], v[10:11], -v[53:54]
	s_clause 0x1
	scratch_load_b64 v[53:54], off, off offset:712
	scratch_load_b64 v[49:50], off, off offset:704
	v_fma_f64 v[77:78], v[59:60], v[0:1], v[41:42]
	v_mul_f64 v[41:42], v[45:46], v[2:3]
	scratch_load_b128 v[57:60], off, off offset:736
	v_fma_f64 v[83:84], v[14:15], v[0:1], v[4:5]
	scratch_load_b128 v[4:7], off, off offset:752
	v_fma_f64 v[81:82], v[12:13], v[0:1], -v[43:44]
	scratch_load_b128 v[12:15], off, off offset:768
	v_fma_f64 v[85:86], v[47:48], v[0:1], v[41:42]
	s_clause 0x2
	scratch_load_b128 v[41:44], off, off offset:784
	scratch_load_b128 v[45:48], off, off offset:800
	;; [unrolled: 1-line block ×3, first 2 shown]
	s_waitcnt vmcnt(5)
	v_add_f64 v[57:58], v[57:58], -v[75:76]
	v_add_f64 v[59:60], v[59:60], -v[85:86]
	s_waitcnt vmcnt(4)
	v_add_f64 v[4:5], v[4:5], -v[61:62]
	v_add_f64 v[6:7], v[6:7], -v[63:64]
	ds_load_2addr_b64 v[61:64], v20 offset0:102 offset1:103
	s_waitcnt vmcnt(3)
	v_add_f64 v[12:13], v[12:13], -v[65:66]
	v_add_f64 v[14:15], v[14:15], -v[69:70]
	s_waitcnt vmcnt(2)
	v_add_f64 v[41:42], v[41:42], -v[73:74]
	ds_load_2addr_b64 v[73:76], v20 offset0:104 offset1:105
	s_waitcnt vmcnt(0) lgkmcnt(1)
	v_mul_f64 v[65:66], v[63:64], v[2:3]
	v_add_f64 v[43:44], v[43:44], -v[77:78]
	v_add_f64 v[45:46], v[45:46], -v[81:82]
	;; [unrolled: 1-line block ×3, first 2 shown]
	s_delay_alu instid0(VALU_DEP_4) | instskip(SKIP_1) | instid1(VALU_DEP_1)
	v_fma_f64 v[65:66], v[61:62], v[49:50], -v[65:66]
	v_mul_f64 v[61:62], v[61:62], v[2:3]
	v_fma_f64 v[69:70], v[63:64], v[49:50], v[61:62]
	s_waitcnt lgkmcnt(0)
	v_mul_f64 v[61:62], v[75:76], v[2:3]
	s_delay_alu instid0(VALU_DEP_1) | instskip(SKIP_1) | instid1(VALU_DEP_1)
	v_fma_f64 v[77:78], v[73:74], v[49:50], -v[61:62]
	v_mul_f64 v[61:62], v[73:74], v[2:3]
	v_fma_f64 v[85:86], v[75:76], v[49:50], v[61:62]
	ds_load_2addr_b64 v[61:64], v20 offset0:106 offset1:107
	ds_load_2addr_b64 v[73:76], v20 offset0:108 offset1:109
	s_waitcnt lgkmcnt(1)
	v_mul_f64 v[81:82], v[63:64], v[2:3]
	s_delay_alu instid0(VALU_DEP_1) | instskip(SKIP_1) | instid1(VALU_DEP_1)
	v_fma_f64 v[87:88], v[61:62], v[49:50], -v[81:82]
	v_mul_f64 v[61:62], v[61:62], v[2:3]
	v_fma_f64 v[89:90], v[63:64], v[49:50], v[61:62]
	s_waitcnt lgkmcnt(0)
	v_mul_f64 v[61:62], v[75:76], v[2:3]
	s_delay_alu instid0(VALU_DEP_1) | instskip(SKIP_1) | instid1(VALU_DEP_1)
	v_fma_f64 v[91:92], v[73:74], v[49:50], -v[61:62]
	v_mul_f64 v[61:62], v[73:74], v[2:3]
	v_fma_f64 v[93:94], v[75:76], v[49:50], v[61:62]
	ds_load_2addr_b64 v[61:64], v20 offset0:110 offset1:111
	ds_load_2addr_b64 v[73:76], v20 offset0:112 offset1:113
	s_waitcnt lgkmcnt(1)
	v_mul_f64 v[81:82], v[63:64], v[2:3]
	s_delay_alu instid0(VALU_DEP_1) | instskip(SKIP_1) | instid1(VALU_DEP_1)
	v_fma_f64 v[95:96], v[61:62], v[49:50], -v[81:82]
	v_mul_f64 v[61:62], v[61:62], v[2:3]
	v_fma_f64 v[102:103], v[63:64], v[49:50], v[61:62]
	ds_load_2addr_b64 v[61:64], v20 offset0:114 offset1:115
	ds_load_2addr_b64 v[81:84], v20 offset0:116 offset1:117
	s_waitcnt lgkmcnt(1)
	v_mul_f64 v[105:106], v[63:64], v[53:54]
	s_delay_alu instid0(VALU_DEP_1) | instskip(SKIP_1) | instid1(VALU_DEP_1)
	v_fma_f64 v[105:106], v[61:62], v[0:1], -v[105:106]
	v_mul_f64 v[61:62], v[61:62], v[53:54]
	v_fma_f64 v[109:110], v[63:64], v[0:1], v[61:62]
	s_waitcnt lgkmcnt(0)
	v_mul_f64 v[61:62], v[83:84], v[53:54]
	s_delay_alu instid0(VALU_DEP_1) | instskip(SKIP_1) | instid1(VALU_DEP_1)
	v_fma_f64 v[113:114], v[81:82], v[0:1], -v[61:62]
	v_mul_f64 v[61:62], v[81:82], v[53:54]
	v_fma_f64 v[117:118], v[83:84], v[0:1], v[61:62]
	ds_load_2addr_b64 v[61:64], v20 offset0:118 offset1:119
	ds_load_2addr_b64 v[81:84], v20 offset0:120 offset1:121
	s_waitcnt lgkmcnt(1)
	v_mul_f64 v[121:122], v[63:64], v[53:54]
	s_delay_alu instid0(VALU_DEP_1) | instskip(SKIP_1) | instid1(VALU_DEP_1)
	v_fma_f64 v[121:122], v[61:62], v[0:1], -v[121:122]
	v_mul_f64 v[61:62], v[61:62], v[53:54]
	v_fma_f64 v[125:126], v[63:64], v[0:1], v[61:62]
	s_waitcnt lgkmcnt(0)
	v_mul_f64 v[61:62], v[83:84], v[53:54]
	v_mul_f64 v[53:54], v[81:82], v[53:54]
	s_delay_alu instid0(VALU_DEP_2) | instskip(NEXT) | instid1(VALU_DEP_2)
	v_fma_f64 v[172:173], v[81:82], v[0:1], -v[61:62]
	v_fma_f64 v[53:54], v[83:84], v[0:1], v[53:54]
	v_mul_f64 v[0:1], v[75:76], v[2:3]
	v_mul_f64 v[2:3], v[73:74], v[2:3]
	s_delay_alu instid0(VALU_DEP_2) | instskip(NEXT) | instid1(VALU_DEP_2)
	v_fma_f64 v[129:130], v[73:74], v[49:50], -v[0:1]
	v_fma_f64 v[49:50], v[75:76], v[49:50], v[2:3]
	s_clause 0x3
	scratch_load_b128 v[0:3], off, off offset:816
	scratch_load_b128 v[61:64], off, off offset:832
	;; [unrolled: 1-line block ×4, first 2 shown]
	s_waitcnt vmcnt(3)
	v_add_f64 v[0:1], v[0:1], -v[65:66]
	s_waitcnt vmcnt(2)
	v_add_f64 v[63:64], v[63:64], -v[85:86]
	;; [unrolled: 2-line block ×3, first 2 shown]
	v_add_f64 v[75:76], v[75:76], -v[89:90]
	s_waitcnt vmcnt(0)
	v_add_f64 v[81:82], v[81:82], -v[91:92]
	s_clause 0x1
	scratch_load_b128 v[85:88], off, off offset:880
	scratch_load_b128 v[89:92], off, off offset:896
	v_add_f64 v[83:84], v[83:84], -v[93:94]
	v_add_f64 v[2:3], v[2:3], -v[69:70]
	;; [unrolled: 1-line block ×3, first 2 shown]
	s_waitcnt vmcnt(1)
	v_add_f64 v[85:86], v[85:86], -v[95:96]
	s_waitcnt vmcnt(0)
	v_add_f64 v[89:90], v[89:90], -v[129:130]
	s_clause 0x3
	scratch_load_b128 v[93:96], off, off offset:912
	scratch_load_b128 v[129:132], off, off offset:928
	;; [unrolled: 1-line block ×4, first 2 shown]
	v_add_f64 v[87:88], v[87:88], -v[102:103]
	v_add_f64 v[91:92], v[91:92], -v[49:50]
	s_waitcnt vmcnt(3)
	v_add_f64 v[93:94], v[93:94], -v[105:106]
	v_add_f64 v[95:96], v[95:96], -v[109:110]
	s_waitcnt vmcnt(2)
	;; [unrolled: 3-line block ×4, first 2 shown]
	v_add_f64 v[168:169], v[168:169], -v[172:173]
	v_add_f64 v[170:171], v[170:171], -v[53:54]
	s_clause 0xf
	scratch_store_b128 off, v[8:11], off offset:720
	scratch_store_b128 off, v[12:15], off offset:768
	;; [unrolled: 1-line block ×16, first 2 shown]
.LBB120_1067:
	s_or_b32 exec_lo, exec_lo, s2
	s_waitcnt_vscnt null, 0x0
	s_barrier
	buffer_gl0_inv
	scratch_load_b128 v[0:3], v151, off
	v_lshl_add_u32 v4, v38, 4, v20
	s_cmp_lt_i32 s5, 47
	s_waitcnt vmcnt(0)
	ds_store_2addr_b64 v4, v[0:1], v[2:3] offset1:1
	s_waitcnt lgkmcnt(0)
	s_barrier
	buffer_gl0_inv
	ds_load_2addr_b64 v[0:3], v20 offset0:90 offset1:91
	v_mov_b32_e32 v4, 45
	s_cbranch_scc1 .LBB120_1070
; %bb.1068:
	v_add3_u32 v5, v36, 0, 0x2e0
	v_mov_b32_e32 v4, 45
	s_mov_b32 s6, 46
	s_set_inst_prefetch_distance 0x1
	.p2align	6
.LBB120_1069:                           ; =>This Inner Loop Header: Depth=1
	ds_load_2addr_b64 v[6:9], v5 offset1:1
	s_waitcnt lgkmcnt(1)
	v_cmp_gt_f64_e32 vcc_lo, 0, v[0:1]
	v_xor_b32_e32 v10, 0x80000000, v1
	v_cmp_gt_f64_e64 s2, 0, v[2:3]
	v_xor_b32_e32 v12, 0x80000000, v3
	v_add_nc_u32_e32 v5, 16, v5
	s_waitcnt lgkmcnt(0)
	v_cmp_gt_f64_e64 s3, 0, v[6:7]
	v_dual_mov_b32 v41, v8 :: v_dual_mov_b32 v14, v6
	v_cndmask_b32_e32 v11, v1, v10, vcc_lo
	v_xor_b32_e32 v10, 0x80000000, v7
	v_cndmask_b32_e64 v13, v3, v12, s2
	v_xor_b32_e32 v12, 0x80000000, v9
	s_delay_alu instid0(VALU_DEP_3) | instskip(SKIP_2) | instid1(VALU_DEP_2)
	v_cndmask_b32_e64 v15, v7, v10, s3
	v_cmp_gt_f64_e64 s3, 0, v[8:9]
	v_cndmask_b32_e32 v10, v0, v0, vcc_lo
	v_cndmask_b32_e64 v42, v9, v12, s3
	v_cndmask_b32_e64 v12, v2, v2, s2
	s_delay_alu instid0(VALU_DEP_2) | instskip(NEXT) | instid1(VALU_DEP_2)
	v_add_f64 v[14:15], v[14:15], v[41:42]
	v_add_f64 v[10:11], v[10:11], v[12:13]
	s_delay_alu instid0(VALU_DEP_1) | instskip(SKIP_4) | instid1(SALU_CYCLE_1)
	v_cmp_lt_f64_e32 vcc_lo, v[10:11], v[14:15]
	v_dual_cndmask_b32 v1, v1, v7 :: v_dual_cndmask_b32 v0, v0, v6
	v_dual_cndmask_b32 v3, v3, v9 :: v_dual_cndmask_b32 v2, v2, v8
	v_cndmask_b32_e64 v4, v4, s6, vcc_lo
	s_add_i32 s6, s6, 1
	s_cmp_lg_u32 s5, s6
	s_cbranch_scc1 .LBB120_1069
.LBB120_1070:
	s_set_inst_prefetch_distance 0x2
	s_waitcnt lgkmcnt(0)
	v_cmp_eq_f64_e32 vcc_lo, 0, v[0:1]
	v_cmp_eq_f64_e64 s2, 0, v[2:3]
	s_delay_alu instid0(VALU_DEP_1) | instskip(NEXT) | instid1(SALU_CYCLE_1)
	s_and_b32 s2, vcc_lo, s2
	s_and_saveexec_b32 s3, s2
	s_delay_alu instid0(SALU_CYCLE_1)
	s_xor_b32 s2, exec_lo, s3
; %bb.1071:
	v_cmp_ne_u32_e32 vcc_lo, 0, v35
	v_cndmask_b32_e32 v35, 46, v35, vcc_lo
; %bb.1072:
	s_and_not1_saveexec_b32 s3, s2
	s_cbranch_execz .LBB120_1078
; %bb.1073:
	v_cmp_gt_f64_e32 vcc_lo, 0, v[0:1]
	v_cmp_gt_f64_e64 s2, 0, v[2:3]
	v_xor_b32_e32 v5, 0x80000000, v1
	v_xor_b32_e32 v7, 0x80000000, v3
	s_delay_alu instid0(VALU_DEP_2) | instskip(NEXT) | instid1(VALU_DEP_2)
	v_dual_cndmask_b32 v6, v1, v5 :: v_dual_cndmask_b32 v5, v0, v0
	v_cndmask_b32_e64 v8, v3, v7, s2
	v_cndmask_b32_e64 v7, v2, v2, s2
	s_mov_b32 s2, exec_lo
	s_delay_alu instid0(VALU_DEP_1)
	v_cmpx_ngt_f64_e32 v[5:6], v[7:8]
	s_xor_b32 s2, exec_lo, s2
	s_cbranch_execz .LBB120_1075
; %bb.1074:
	v_div_scale_f64 v[5:6], null, v[2:3], v[2:3], v[0:1]
	v_div_scale_f64 v[11:12], vcc_lo, v[0:1], v[2:3], v[0:1]
	s_delay_alu instid0(VALU_DEP_2) | instskip(SKIP_2) | instid1(VALU_DEP_1)
	v_rcp_f64_e32 v[7:8], v[5:6]
	s_waitcnt_depctr 0xfff
	v_fma_f64 v[9:10], -v[5:6], v[7:8], 1.0
	v_fma_f64 v[7:8], v[7:8], v[9:10], v[7:8]
	s_delay_alu instid0(VALU_DEP_1) | instskip(NEXT) | instid1(VALU_DEP_1)
	v_fma_f64 v[9:10], -v[5:6], v[7:8], 1.0
	v_fma_f64 v[7:8], v[7:8], v[9:10], v[7:8]
	s_delay_alu instid0(VALU_DEP_1) | instskip(NEXT) | instid1(VALU_DEP_1)
	v_mul_f64 v[9:10], v[11:12], v[7:8]
	v_fma_f64 v[5:6], -v[5:6], v[9:10], v[11:12]
	s_delay_alu instid0(VALU_DEP_1) | instskip(NEXT) | instid1(VALU_DEP_1)
	v_div_fmas_f64 v[5:6], v[5:6], v[7:8], v[9:10]
	v_div_fixup_f64 v[5:6], v[5:6], v[2:3], v[0:1]
	s_delay_alu instid0(VALU_DEP_1) | instskip(NEXT) | instid1(VALU_DEP_1)
	v_fma_f64 v[0:1], v[0:1], v[5:6], v[2:3]
	v_div_scale_f64 v[2:3], null, v[0:1], v[0:1], 1.0
	s_delay_alu instid0(VALU_DEP_1) | instskip(SKIP_2) | instid1(VALU_DEP_1)
	v_rcp_f64_e32 v[7:8], v[2:3]
	s_waitcnt_depctr 0xfff
	v_fma_f64 v[9:10], -v[2:3], v[7:8], 1.0
	v_fma_f64 v[7:8], v[7:8], v[9:10], v[7:8]
	s_delay_alu instid0(VALU_DEP_1) | instskip(NEXT) | instid1(VALU_DEP_1)
	v_fma_f64 v[9:10], -v[2:3], v[7:8], 1.0
	v_fma_f64 v[7:8], v[7:8], v[9:10], v[7:8]
	v_div_scale_f64 v[9:10], vcc_lo, 1.0, v[0:1], 1.0
	s_delay_alu instid0(VALU_DEP_1) | instskip(NEXT) | instid1(VALU_DEP_1)
	v_mul_f64 v[11:12], v[9:10], v[7:8]
	v_fma_f64 v[2:3], -v[2:3], v[11:12], v[9:10]
	s_delay_alu instid0(VALU_DEP_1) | instskip(NEXT) | instid1(VALU_DEP_1)
	v_div_fmas_f64 v[2:3], v[2:3], v[7:8], v[11:12]
	v_div_fixup_f64 v[2:3], v[2:3], v[0:1], 1.0
	s_delay_alu instid0(VALU_DEP_1)
	v_mul_f64 v[0:1], v[5:6], v[2:3]
	v_xor_b32_e32 v3, 0x80000000, v3
.LBB120_1075:
	s_and_not1_saveexec_b32 s2, s2
	s_cbranch_execz .LBB120_1077
; %bb.1076:
	s_delay_alu instid0(VALU_DEP_1) | instskip(SKIP_1) | instid1(VALU_DEP_2)
	v_div_scale_f64 v[5:6], null, v[0:1], v[0:1], v[2:3]
	v_div_scale_f64 v[11:12], vcc_lo, v[2:3], v[0:1], v[2:3]
	v_rcp_f64_e32 v[7:8], v[5:6]
	s_waitcnt_depctr 0xfff
	v_fma_f64 v[9:10], -v[5:6], v[7:8], 1.0
	s_delay_alu instid0(VALU_DEP_1) | instskip(NEXT) | instid1(VALU_DEP_1)
	v_fma_f64 v[7:8], v[7:8], v[9:10], v[7:8]
	v_fma_f64 v[9:10], -v[5:6], v[7:8], 1.0
	s_delay_alu instid0(VALU_DEP_1) | instskip(NEXT) | instid1(VALU_DEP_1)
	v_fma_f64 v[7:8], v[7:8], v[9:10], v[7:8]
	v_mul_f64 v[9:10], v[11:12], v[7:8]
	s_delay_alu instid0(VALU_DEP_1) | instskip(NEXT) | instid1(VALU_DEP_1)
	v_fma_f64 v[5:6], -v[5:6], v[9:10], v[11:12]
	v_div_fmas_f64 v[5:6], v[5:6], v[7:8], v[9:10]
	s_delay_alu instid0(VALU_DEP_1) | instskip(NEXT) | instid1(VALU_DEP_1)
	v_div_fixup_f64 v[5:6], v[5:6], v[0:1], v[2:3]
	v_fma_f64 v[0:1], v[2:3], v[5:6], v[0:1]
	s_delay_alu instid0(VALU_DEP_1) | instskip(NEXT) | instid1(VALU_DEP_1)
	v_div_scale_f64 v[2:3], null, v[0:1], v[0:1], 1.0
	v_rcp_f64_e32 v[7:8], v[2:3]
	s_waitcnt_depctr 0xfff
	v_fma_f64 v[9:10], -v[2:3], v[7:8], 1.0
	s_delay_alu instid0(VALU_DEP_1) | instskip(NEXT) | instid1(VALU_DEP_1)
	v_fma_f64 v[7:8], v[7:8], v[9:10], v[7:8]
	v_fma_f64 v[9:10], -v[2:3], v[7:8], 1.0
	s_delay_alu instid0(VALU_DEP_1) | instskip(SKIP_1) | instid1(VALU_DEP_1)
	v_fma_f64 v[7:8], v[7:8], v[9:10], v[7:8]
	v_div_scale_f64 v[9:10], vcc_lo, 1.0, v[0:1], 1.0
	v_mul_f64 v[11:12], v[9:10], v[7:8]
	s_delay_alu instid0(VALU_DEP_1) | instskip(NEXT) | instid1(VALU_DEP_1)
	v_fma_f64 v[2:3], -v[2:3], v[11:12], v[9:10]
	v_div_fmas_f64 v[2:3], v[2:3], v[7:8], v[11:12]
	s_delay_alu instid0(VALU_DEP_1) | instskip(NEXT) | instid1(VALU_DEP_1)
	v_div_fixup_f64 v[0:1], v[2:3], v[0:1], 1.0
	v_mul_f64 v[2:3], v[5:6], -v[0:1]
.LBB120_1077:
	s_or_b32 exec_lo, exec_lo, s2
.LBB120_1078:
	s_delay_alu instid0(SALU_CYCLE_1) | instskip(NEXT) | instid1(SALU_CYCLE_1)
	s_or_b32 exec_lo, exec_lo, s3
	s_mov_b32 s2, exec_lo
	v_cmpx_ne_u32_e64 v38, v4
	s_xor_b32 s2, exec_lo, s2
	s_cbranch_execz .LBB120_1084
; %bb.1079:
	s_mov_b32 s3, exec_lo
	v_cmpx_eq_u32_e32 45, v38
	s_cbranch_execz .LBB120_1083
; %bb.1080:
	v_cmp_ne_u32_e32 vcc_lo, 45, v4
	s_xor_b32 s6, s4, -1
	s_delay_alu instid0(SALU_CYCLE_1) | instskip(NEXT) | instid1(SALU_CYCLE_1)
	s_and_b32 s7, s6, vcc_lo
	s_and_saveexec_b32 s6, s7
	s_cbranch_execz .LBB120_1082
; %bb.1081:
	v_ashrrev_i32_e32 v5, 31, v4
	s_delay_alu instid0(VALU_DEP_1) | instskip(NEXT) | instid1(VALU_DEP_1)
	v_lshlrev_b64 v[5:6], 2, v[4:5]
	v_add_co_u32 v5, vcc_lo, v18, v5
	s_delay_alu instid0(VALU_DEP_2)
	v_add_co_ci_u32_e32 v6, vcc_lo, v19, v6, vcc_lo
	s_clause 0x1
	flat_load_b32 v7, v[5:6]
	flat_load_b32 v8, v[18:19] offset:180
	s_waitcnt vmcnt(1) lgkmcnt(1)
	flat_store_b32 v[18:19], v7 offset:180
	s_waitcnt vmcnt(0) lgkmcnt(1)
	flat_store_b32 v[5:6], v8
.LBB120_1082:
	s_or_b32 exec_lo, exec_lo, s6
	v_mov_b32_e32 v38, v4
	v_mov_b32_e32 v37, v4
.LBB120_1083:
	s_or_b32 exec_lo, exec_lo, s3
.LBB120_1084:
	s_and_not1_saveexec_b32 s2, s2
	s_cbranch_execz .LBB120_1086
; %bb.1085:
	s_clause 0xe
	scratch_load_b128 v[4:7], v150, off
	scratch_load_b128 v[8:11], v149, off
	;; [unrolled: 1-line block ×15, first 2 shown]
	v_mov_b32_e32 v38, 45
	s_waitcnt vmcnt(14)
	ds_store_2addr_b64 v20, v[4:5], v[6:7] offset0:92 offset1:93
	s_waitcnt vmcnt(13)
	ds_store_2addr_b64 v20, v[8:9], v[10:11] offset0:94 offset1:95
	;; [unrolled: 2-line block ×15, first 2 shown]
.LBB120_1086:
	s_or_b32 exec_lo, exec_lo, s2
	s_delay_alu instid0(SALU_CYCLE_1)
	s_mov_b32 s2, exec_lo
	s_waitcnt lgkmcnt(0)
	s_waitcnt_vscnt null, 0x0
	s_barrier
	buffer_gl0_inv
	v_cmpx_lt_i32_e32 45, v38
	s_cbranch_execz .LBB120_1088
; %bb.1087:
	s_clause 0x1
	scratch_load_b128 v[4:7], off, off offset:720
	scratch_load_b128 v[8:11], off, off offset:736
	s_waitcnt vmcnt(1)
	v_mul_f64 v[12:13], v[0:1], v[6:7]
	v_mul_f64 v[6:7], v[2:3], v[6:7]
	s_delay_alu instid0(VALU_DEP_2)
	v_fma_f64 v[2:3], v[2:3], v[4:5], v[12:13]
	ds_load_2addr_b64 v[12:15], v20 offset0:92 offset1:93
	ds_load_2addr_b64 v[41:44], v20 offset0:96 offset1:97
	;; [unrolled: 1-line block ×3, first 2 shown]
	v_fma_f64 v[0:1], v[0:1], v[4:5], -v[6:7]
	ds_load_2addr_b64 v[4:7], v20 offset0:98 offset1:99
	ds_load_2addr_b64 v[57:60], v20 offset0:100 offset1:101
	;; [unrolled: 1-line block ×3, first 2 shown]
	s_waitcnt lgkmcnt(5)
	v_mul_f64 v[49:50], v[14:15], v[2:3]
	v_mul_f64 v[53:54], v[12:13], v[2:3]
	s_waitcnt lgkmcnt(4)
	v_mul_f64 v[65:66], v[43:44], v[2:3]
	v_mul_f64 v[69:70], v[41:42], v[2:3]
	s_waitcnt lgkmcnt(2)
	v_mul_f64 v[73:74], v[6:7], v[2:3]
	scratch_store_b128 off, v[0:3], off offset:720
	v_fma_f64 v[49:50], v[12:13], v[0:1], -v[49:50]
	v_fma_f64 v[53:54], v[14:15], v[0:1], v[53:54]
	v_mul_f64 v[12:13], v[4:5], v[2:3]
	s_waitcnt lgkmcnt(1)
	v_mul_f64 v[14:15], v[59:60], v[2:3]
	v_fma_f64 v[65:66], v[41:42], v[0:1], -v[65:66]
	v_fma_f64 v[69:70], v[43:44], v[0:1], v[69:70]
	v_mul_f64 v[41:42], v[57:58], v[2:3]
	s_waitcnt lgkmcnt(0)
	v_mul_f64 v[43:44], v[63:64], v[2:3]
	v_fma_f64 v[73:74], v[4:5], v[0:1], -v[73:74]
	v_mul_f64 v[4:5], v[61:62], v[2:3]
	s_waitcnt vmcnt(0)
	v_add_f64 v[8:9], v[8:9], -v[49:50]
	scratch_load_b64 v[49:50], off, off offset:720
	v_fma_f64 v[75:76], v[6:7], v[0:1], v[12:13]
	v_mul_f64 v[12:13], v[47:48], v[2:3]
	v_fma_f64 v[77:78], v[57:58], v[0:1], -v[14:15]
	v_mul_f64 v[14:15], v[45:46], v[2:3]
	v_fma_f64 v[81:82], v[59:60], v[0:1], v[41:42]
	v_fma_f64 v[61:62], v[61:62], v[0:1], -v[43:44]
	scratch_load_b128 v[57:60], off, off offset:720
	v_fma_f64 v[63:64], v[63:64], v[0:1], v[4:5]
	scratch_load_b128 v[4:7], off, off offset:768
	v_add_f64 v[10:11], v[10:11], -v[53:54]
	scratch_load_b128 v[41:44], off, off offset:800
	v_fma_f64 v[83:84], v[45:46], v[0:1], -v[12:13]
	v_fma_f64 v[85:86], v[47:48], v[0:1], v[14:15]
	s_clause 0x2
	scratch_load_b128 v[45:48], off, off offset:752
	scratch_load_b128 v[0:3], off, off offset:816
	;; [unrolled: 1-line block ×3, first 2 shown]
	s_waitcnt vmcnt(4)
	v_add_f64 v[4:5], v[4:5], -v[65:66]
	v_add_f64 v[6:7], v[6:7], -v[69:70]
	s_waitcnt vmcnt(3)
	v_add_f64 v[41:42], v[41:42], -v[77:78]
	v_add_f64 v[43:44], v[43:44], -v[81:82]
	s_waitcnt vmcnt(2)
	v_add_f64 v[47:48], v[47:48], -v[85:86]
	s_waitcnt vmcnt(1)
	v_add_f64 v[0:1], v[0:1], -v[61:62]
	v_add_f64 v[2:3], v[2:3], -v[63:64]
	ds_load_2addr_b64 v[61:64], v20 offset0:104 offset1:105
	s_waitcnt vmcnt(0)
	v_add_f64 v[12:13], v[12:13], -v[73:74]
	v_add_f64 v[14:15], v[14:15], -v[75:76]
	ds_load_2addr_b64 v[73:76], v20 offset0:106 offset1:107
	v_add_f64 v[45:46], v[45:46], -v[83:84]
	s_waitcnt lgkmcnt(1)
	v_mul_f64 v[53:54], v[63:64], v[59:60]
	v_mul_f64 v[65:66], v[61:62], v[59:60]
	s_delay_alu instid0(VALU_DEP_2) | instskip(NEXT) | instid1(VALU_DEP_2)
	v_fma_f64 v[53:54], v[61:62], v[49:50], -v[53:54]
	v_fma_f64 v[65:66], v[63:64], v[49:50], v[65:66]
	s_waitcnt lgkmcnt(0)
	v_mul_f64 v[61:62], v[75:76], v[59:60]
	v_mul_f64 v[63:64], v[73:74], v[59:60]
	s_delay_alu instid0(VALU_DEP_2) | instskip(NEXT) | instid1(VALU_DEP_2)
	v_fma_f64 v[69:70], v[73:74], v[49:50], -v[61:62]
	v_fma_f64 v[77:78], v[75:76], v[49:50], v[63:64]
	ds_load_2addr_b64 v[61:64], v20 offset0:108 offset1:109
	ds_load_2addr_b64 v[73:76], v20 offset0:110 offset1:111
	s_waitcnt lgkmcnt(1)
	v_mul_f64 v[81:82], v[63:64], v[59:60]
	s_delay_alu instid0(VALU_DEP_1) | instskip(SKIP_1) | instid1(VALU_DEP_1)
	v_fma_f64 v[85:86], v[61:62], v[49:50], -v[81:82]
	v_mul_f64 v[61:62], v[61:62], v[59:60]
	v_fma_f64 v[87:88], v[63:64], v[49:50], v[61:62]
	s_waitcnt lgkmcnt(0)
	v_mul_f64 v[61:62], v[75:76], v[59:60]
	s_delay_alu instid0(VALU_DEP_1) | instskip(SKIP_1) | instid1(VALU_DEP_1)
	v_fma_f64 v[89:90], v[73:74], v[49:50], -v[61:62]
	v_mul_f64 v[61:62], v[73:74], v[59:60]
	v_fma_f64 v[91:92], v[75:76], v[49:50], v[61:62]
	ds_load_2addr_b64 v[61:64], v20 offset0:112 offset1:113
	ds_load_2addr_b64 v[73:76], v20 offset0:114 offset1:115
	scratch_load_b64 v[102:103], off, off offset:728
	s_waitcnt lgkmcnt(1)
	v_mul_f64 v[81:82], v[63:64], v[59:60]
	s_delay_alu instid0(VALU_DEP_1) | instskip(SKIP_1) | instid1(VALU_DEP_1)
	v_fma_f64 v[93:94], v[61:62], v[49:50], -v[81:82]
	v_mul_f64 v[61:62], v[61:62], v[59:60]
	v_fma_f64 v[95:96], v[63:64], v[49:50], v[61:62]
	ds_load_2addr_b64 v[61:64], v20 offset0:116 offset1:117
	ds_load_2addr_b64 v[81:84], v20 offset0:118 offset1:119
	s_waitcnt vmcnt(0) lgkmcnt(1)
	v_mul_f64 v[105:106], v[63:64], v[102:103]
	s_delay_alu instid0(VALU_DEP_1) | instskip(SKIP_1) | instid1(VALU_DEP_1)
	v_fma_f64 v[105:106], v[61:62], v[57:58], -v[105:106]
	v_mul_f64 v[61:62], v[61:62], v[102:103]
	v_fma_f64 v[109:110], v[63:64], v[57:58], v[61:62]
	s_waitcnt lgkmcnt(0)
	v_mul_f64 v[61:62], v[83:84], v[102:103]
	s_delay_alu instid0(VALU_DEP_1) | instskip(SKIP_1) | instid1(VALU_DEP_1)
	v_fma_f64 v[113:114], v[81:82], v[57:58], -v[61:62]
	v_mul_f64 v[61:62], v[81:82], v[102:103]
	v_fma_f64 v[117:118], v[83:84], v[57:58], v[61:62]
	ds_load_2addr_b64 v[61:64], v20 offset0:120 offset1:121
	s_waitcnt lgkmcnt(0)
	v_mul_f64 v[81:82], v[63:64], v[102:103]
	v_mul_f64 v[83:84], v[61:62], v[102:103]
	s_delay_alu instid0(VALU_DEP_2) | instskip(NEXT) | instid1(VALU_DEP_2)
	v_fma_f64 v[102:103], v[61:62], v[57:58], -v[81:82]
	v_fma_f64 v[121:122], v[63:64], v[57:58], v[83:84]
	v_mul_f64 v[57:58], v[75:76], v[59:60]
	v_mul_f64 v[59:60], v[73:74], v[59:60]
	s_delay_alu instid0(VALU_DEP_2) | instskip(NEXT) | instid1(VALU_DEP_2)
	v_fma_f64 v[125:126], v[73:74], v[49:50], -v[57:58]
	v_fma_f64 v[49:50], v[75:76], v[49:50], v[59:60]
	s_clause 0x3
	scratch_load_b128 v[57:60], off, off offset:832
	scratch_load_b128 v[61:64], off, off offset:848
	;; [unrolled: 1-line block ×4, first 2 shown]
	s_waitcnt vmcnt(3)
	v_add_f64 v[57:58], v[57:58], -v[53:54]
	s_waitcnt vmcnt(1)
	v_add_f64 v[73:74], v[73:74], -v[85:86]
	v_add_f64 v[75:76], v[75:76], -v[87:88]
	s_waitcnt vmcnt(0)
	v_add_f64 v[81:82], v[81:82], -v[89:90]
	v_add_f64 v[83:84], v[83:84], -v[91:92]
	s_clause 0x1
	scratch_load_b128 v[85:88], off, off offset:896
	scratch_load_b128 v[89:92], off, off offset:912
	v_add_f64 v[59:60], v[59:60], -v[65:66]
	v_add_f64 v[61:62], v[61:62], -v[69:70]
	;; [unrolled: 1-line block ×3, first 2 shown]
	s_waitcnt vmcnt(1)
	v_add_f64 v[85:86], v[85:86], -v[93:94]
	v_add_f64 v[87:88], v[87:88], -v[95:96]
	s_clause 0x2
	scratch_load_b128 v[93:96], off, off offset:928
	scratch_load_b128 v[129:132], off, off offset:944
	;; [unrolled: 1-line block ×3, first 2 shown]
	s_waitcnt vmcnt(3)
	v_add_f64 v[89:90], v[89:90], -v[125:126]
	v_add_f64 v[91:92], v[91:92], -v[49:50]
	s_waitcnt vmcnt(2)
	v_add_f64 v[93:94], v[93:94], -v[105:106]
	v_add_f64 v[95:96], v[95:96], -v[109:110]
	;; [unrolled: 3-line block ×4, first 2 shown]
	s_clause 0xe
	scratch_store_b128 off, v[8:11], off offset:736
	scratch_store_b128 off, v[12:15], off offset:784
	;; [unrolled: 1-line block ×15, first 2 shown]
.LBB120_1088:
	s_or_b32 exec_lo, exec_lo, s2
	s_waitcnt_vscnt null, 0x0
	s_barrier
	buffer_gl0_inv
	scratch_load_b128 v[0:3], v150, off
	v_lshl_add_u32 v4, v38, 4, v20
	s_cmp_lt_i32 s5, 48
	s_waitcnt vmcnt(0)
	ds_store_2addr_b64 v4, v[0:1], v[2:3] offset1:1
	s_waitcnt lgkmcnt(0)
	s_barrier
	buffer_gl0_inv
	ds_load_2addr_b64 v[0:3], v20 offset0:92 offset1:93
	v_mov_b32_e32 v4, 46
	s_cbranch_scc1 .LBB120_1091
; %bb.1089:
	v_add3_u32 v5, v36, 0, 0x2f0
	v_mov_b32_e32 v4, 46
	s_mov_b32 s6, 47
	s_set_inst_prefetch_distance 0x1
	.p2align	6
.LBB120_1090:                           ; =>This Inner Loop Header: Depth=1
	ds_load_2addr_b64 v[6:9], v5 offset1:1
	s_waitcnt lgkmcnt(1)
	v_cmp_gt_f64_e32 vcc_lo, 0, v[0:1]
	v_xor_b32_e32 v10, 0x80000000, v1
	v_cmp_gt_f64_e64 s2, 0, v[2:3]
	v_xor_b32_e32 v12, 0x80000000, v3
	v_add_nc_u32_e32 v5, 16, v5
	s_waitcnt lgkmcnt(0)
	v_cmp_gt_f64_e64 s3, 0, v[6:7]
	v_dual_mov_b32 v41, v8 :: v_dual_mov_b32 v14, v6
	v_cndmask_b32_e32 v11, v1, v10, vcc_lo
	v_xor_b32_e32 v10, 0x80000000, v7
	v_cndmask_b32_e64 v13, v3, v12, s2
	v_xor_b32_e32 v12, 0x80000000, v9
	s_delay_alu instid0(VALU_DEP_3) | instskip(SKIP_2) | instid1(VALU_DEP_2)
	v_cndmask_b32_e64 v15, v7, v10, s3
	v_cmp_gt_f64_e64 s3, 0, v[8:9]
	v_cndmask_b32_e32 v10, v0, v0, vcc_lo
	v_cndmask_b32_e64 v42, v9, v12, s3
	v_cndmask_b32_e64 v12, v2, v2, s2
	s_delay_alu instid0(VALU_DEP_2) | instskip(NEXT) | instid1(VALU_DEP_2)
	v_add_f64 v[14:15], v[14:15], v[41:42]
	v_add_f64 v[10:11], v[10:11], v[12:13]
	s_delay_alu instid0(VALU_DEP_1) | instskip(SKIP_4) | instid1(SALU_CYCLE_1)
	v_cmp_lt_f64_e32 vcc_lo, v[10:11], v[14:15]
	v_dual_cndmask_b32 v1, v1, v7 :: v_dual_cndmask_b32 v0, v0, v6
	v_dual_cndmask_b32 v3, v3, v9 :: v_dual_cndmask_b32 v2, v2, v8
	v_cndmask_b32_e64 v4, v4, s6, vcc_lo
	s_add_i32 s6, s6, 1
	s_cmp_lg_u32 s5, s6
	s_cbranch_scc1 .LBB120_1090
.LBB120_1091:
	s_set_inst_prefetch_distance 0x2
	s_waitcnt lgkmcnt(0)
	v_cmp_eq_f64_e32 vcc_lo, 0, v[0:1]
	v_cmp_eq_f64_e64 s2, 0, v[2:3]
	s_delay_alu instid0(VALU_DEP_1) | instskip(NEXT) | instid1(SALU_CYCLE_1)
	s_and_b32 s2, vcc_lo, s2
	s_and_saveexec_b32 s3, s2
	s_delay_alu instid0(SALU_CYCLE_1)
	s_xor_b32 s2, exec_lo, s3
; %bb.1092:
	v_cmp_ne_u32_e32 vcc_lo, 0, v35
	v_cndmask_b32_e32 v35, 47, v35, vcc_lo
; %bb.1093:
	s_and_not1_saveexec_b32 s3, s2
	s_cbranch_execz .LBB120_1099
; %bb.1094:
	v_cmp_gt_f64_e32 vcc_lo, 0, v[0:1]
	v_cmp_gt_f64_e64 s2, 0, v[2:3]
	v_xor_b32_e32 v5, 0x80000000, v1
	v_xor_b32_e32 v7, 0x80000000, v3
	s_delay_alu instid0(VALU_DEP_2) | instskip(NEXT) | instid1(VALU_DEP_2)
	v_dual_cndmask_b32 v6, v1, v5 :: v_dual_cndmask_b32 v5, v0, v0
	v_cndmask_b32_e64 v8, v3, v7, s2
	v_cndmask_b32_e64 v7, v2, v2, s2
	s_mov_b32 s2, exec_lo
	s_delay_alu instid0(VALU_DEP_1)
	v_cmpx_ngt_f64_e32 v[5:6], v[7:8]
	s_xor_b32 s2, exec_lo, s2
	s_cbranch_execz .LBB120_1096
; %bb.1095:
	v_div_scale_f64 v[5:6], null, v[2:3], v[2:3], v[0:1]
	v_div_scale_f64 v[11:12], vcc_lo, v[0:1], v[2:3], v[0:1]
	s_delay_alu instid0(VALU_DEP_2) | instskip(SKIP_2) | instid1(VALU_DEP_1)
	v_rcp_f64_e32 v[7:8], v[5:6]
	s_waitcnt_depctr 0xfff
	v_fma_f64 v[9:10], -v[5:6], v[7:8], 1.0
	v_fma_f64 v[7:8], v[7:8], v[9:10], v[7:8]
	s_delay_alu instid0(VALU_DEP_1) | instskip(NEXT) | instid1(VALU_DEP_1)
	v_fma_f64 v[9:10], -v[5:6], v[7:8], 1.0
	v_fma_f64 v[7:8], v[7:8], v[9:10], v[7:8]
	s_delay_alu instid0(VALU_DEP_1) | instskip(NEXT) | instid1(VALU_DEP_1)
	v_mul_f64 v[9:10], v[11:12], v[7:8]
	v_fma_f64 v[5:6], -v[5:6], v[9:10], v[11:12]
	s_delay_alu instid0(VALU_DEP_1) | instskip(NEXT) | instid1(VALU_DEP_1)
	v_div_fmas_f64 v[5:6], v[5:6], v[7:8], v[9:10]
	v_div_fixup_f64 v[5:6], v[5:6], v[2:3], v[0:1]
	s_delay_alu instid0(VALU_DEP_1) | instskip(NEXT) | instid1(VALU_DEP_1)
	v_fma_f64 v[0:1], v[0:1], v[5:6], v[2:3]
	v_div_scale_f64 v[2:3], null, v[0:1], v[0:1], 1.0
	s_delay_alu instid0(VALU_DEP_1) | instskip(SKIP_2) | instid1(VALU_DEP_1)
	v_rcp_f64_e32 v[7:8], v[2:3]
	s_waitcnt_depctr 0xfff
	v_fma_f64 v[9:10], -v[2:3], v[7:8], 1.0
	v_fma_f64 v[7:8], v[7:8], v[9:10], v[7:8]
	s_delay_alu instid0(VALU_DEP_1) | instskip(NEXT) | instid1(VALU_DEP_1)
	v_fma_f64 v[9:10], -v[2:3], v[7:8], 1.0
	v_fma_f64 v[7:8], v[7:8], v[9:10], v[7:8]
	v_div_scale_f64 v[9:10], vcc_lo, 1.0, v[0:1], 1.0
	s_delay_alu instid0(VALU_DEP_1) | instskip(NEXT) | instid1(VALU_DEP_1)
	v_mul_f64 v[11:12], v[9:10], v[7:8]
	v_fma_f64 v[2:3], -v[2:3], v[11:12], v[9:10]
	s_delay_alu instid0(VALU_DEP_1) | instskip(NEXT) | instid1(VALU_DEP_1)
	v_div_fmas_f64 v[2:3], v[2:3], v[7:8], v[11:12]
	v_div_fixup_f64 v[2:3], v[2:3], v[0:1], 1.0
	s_delay_alu instid0(VALU_DEP_1)
	v_mul_f64 v[0:1], v[5:6], v[2:3]
	v_xor_b32_e32 v3, 0x80000000, v3
.LBB120_1096:
	s_and_not1_saveexec_b32 s2, s2
	s_cbranch_execz .LBB120_1098
; %bb.1097:
	s_delay_alu instid0(VALU_DEP_1) | instskip(SKIP_1) | instid1(VALU_DEP_2)
	v_div_scale_f64 v[5:6], null, v[0:1], v[0:1], v[2:3]
	v_div_scale_f64 v[11:12], vcc_lo, v[2:3], v[0:1], v[2:3]
	v_rcp_f64_e32 v[7:8], v[5:6]
	s_waitcnt_depctr 0xfff
	v_fma_f64 v[9:10], -v[5:6], v[7:8], 1.0
	s_delay_alu instid0(VALU_DEP_1) | instskip(NEXT) | instid1(VALU_DEP_1)
	v_fma_f64 v[7:8], v[7:8], v[9:10], v[7:8]
	v_fma_f64 v[9:10], -v[5:6], v[7:8], 1.0
	s_delay_alu instid0(VALU_DEP_1) | instskip(NEXT) | instid1(VALU_DEP_1)
	v_fma_f64 v[7:8], v[7:8], v[9:10], v[7:8]
	v_mul_f64 v[9:10], v[11:12], v[7:8]
	s_delay_alu instid0(VALU_DEP_1) | instskip(NEXT) | instid1(VALU_DEP_1)
	v_fma_f64 v[5:6], -v[5:6], v[9:10], v[11:12]
	v_div_fmas_f64 v[5:6], v[5:6], v[7:8], v[9:10]
	s_delay_alu instid0(VALU_DEP_1) | instskip(NEXT) | instid1(VALU_DEP_1)
	v_div_fixup_f64 v[5:6], v[5:6], v[0:1], v[2:3]
	v_fma_f64 v[0:1], v[2:3], v[5:6], v[0:1]
	s_delay_alu instid0(VALU_DEP_1) | instskip(NEXT) | instid1(VALU_DEP_1)
	v_div_scale_f64 v[2:3], null, v[0:1], v[0:1], 1.0
	v_rcp_f64_e32 v[7:8], v[2:3]
	s_waitcnt_depctr 0xfff
	v_fma_f64 v[9:10], -v[2:3], v[7:8], 1.0
	s_delay_alu instid0(VALU_DEP_1) | instskip(NEXT) | instid1(VALU_DEP_1)
	v_fma_f64 v[7:8], v[7:8], v[9:10], v[7:8]
	v_fma_f64 v[9:10], -v[2:3], v[7:8], 1.0
	s_delay_alu instid0(VALU_DEP_1) | instskip(SKIP_1) | instid1(VALU_DEP_1)
	v_fma_f64 v[7:8], v[7:8], v[9:10], v[7:8]
	v_div_scale_f64 v[9:10], vcc_lo, 1.0, v[0:1], 1.0
	v_mul_f64 v[11:12], v[9:10], v[7:8]
	s_delay_alu instid0(VALU_DEP_1) | instskip(NEXT) | instid1(VALU_DEP_1)
	v_fma_f64 v[2:3], -v[2:3], v[11:12], v[9:10]
	v_div_fmas_f64 v[2:3], v[2:3], v[7:8], v[11:12]
	s_delay_alu instid0(VALU_DEP_1) | instskip(NEXT) | instid1(VALU_DEP_1)
	v_div_fixup_f64 v[0:1], v[2:3], v[0:1], 1.0
	v_mul_f64 v[2:3], v[5:6], -v[0:1]
.LBB120_1098:
	s_or_b32 exec_lo, exec_lo, s2
.LBB120_1099:
	s_delay_alu instid0(SALU_CYCLE_1) | instskip(NEXT) | instid1(SALU_CYCLE_1)
	s_or_b32 exec_lo, exec_lo, s3
	s_mov_b32 s2, exec_lo
	v_cmpx_ne_u32_e64 v38, v4
	s_xor_b32 s2, exec_lo, s2
	s_cbranch_execz .LBB120_1105
; %bb.1100:
	s_mov_b32 s3, exec_lo
	v_cmpx_eq_u32_e32 46, v38
	s_cbranch_execz .LBB120_1104
; %bb.1101:
	v_cmp_ne_u32_e32 vcc_lo, 46, v4
	s_xor_b32 s6, s4, -1
	s_delay_alu instid0(SALU_CYCLE_1) | instskip(NEXT) | instid1(SALU_CYCLE_1)
	s_and_b32 s7, s6, vcc_lo
	s_and_saveexec_b32 s6, s7
	s_cbranch_execz .LBB120_1103
; %bb.1102:
	v_ashrrev_i32_e32 v5, 31, v4
	s_delay_alu instid0(VALU_DEP_1) | instskip(NEXT) | instid1(VALU_DEP_1)
	v_lshlrev_b64 v[5:6], 2, v[4:5]
	v_add_co_u32 v5, vcc_lo, v18, v5
	s_delay_alu instid0(VALU_DEP_2)
	v_add_co_ci_u32_e32 v6, vcc_lo, v19, v6, vcc_lo
	s_clause 0x1
	flat_load_b32 v7, v[5:6]
	flat_load_b32 v8, v[18:19] offset:184
	s_waitcnt vmcnt(1) lgkmcnt(1)
	flat_store_b32 v[18:19], v7 offset:184
	s_waitcnt vmcnt(0) lgkmcnt(1)
	flat_store_b32 v[5:6], v8
.LBB120_1103:
	s_or_b32 exec_lo, exec_lo, s6
	v_mov_b32_e32 v38, v4
	v_mov_b32_e32 v37, v4
.LBB120_1104:
	s_or_b32 exec_lo, exec_lo, s3
.LBB120_1105:
	s_and_not1_saveexec_b32 s2, s2
	s_cbranch_execz .LBB120_1107
; %bb.1106:
	s_clause 0xd
	scratch_load_b128 v[4:7], v149, off
	scratch_load_b128 v[8:11], v148, off
	;; [unrolled: 1-line block ×14, first 2 shown]
	v_mov_b32_e32 v38, 46
	s_waitcnt vmcnt(13)
	ds_store_2addr_b64 v20, v[4:5], v[6:7] offset0:94 offset1:95
	s_waitcnt vmcnt(12)
	ds_store_2addr_b64 v20, v[8:9], v[10:11] offset0:96 offset1:97
	s_waitcnt vmcnt(11)
	ds_store_2addr_b64 v20, v[12:13], v[14:15] offset0:98 offset1:99
	s_waitcnt vmcnt(10)
	ds_store_2addr_b64 v20, v[41:42], v[43:44] offset0:100 offset1:101
	s_waitcnt vmcnt(9)
	ds_store_2addr_b64 v20, v[45:46], v[47:48] offset0:102 offset1:103
	s_waitcnt vmcnt(8)
	ds_store_2addr_b64 v20, v[57:58], v[59:60] offset0:104 offset1:105
	s_waitcnt vmcnt(7)
	ds_store_2addr_b64 v20, v[61:62], v[63:64] offset0:106 offset1:107
	s_waitcnt vmcnt(6)
	ds_store_2addr_b64 v20, v[73:74], v[75:76] offset0:108 offset1:109
	s_waitcnt vmcnt(5)
	ds_store_2addr_b64 v20, v[81:82], v[83:84] offset0:110 offset1:111
	s_waitcnt vmcnt(4)
	ds_store_2addr_b64 v20, v[85:86], v[87:88] offset0:112 offset1:113
	s_waitcnt vmcnt(3)
	ds_store_2addr_b64 v20, v[89:90], v[91:92] offset0:114 offset1:115
	s_waitcnt vmcnt(2)
	ds_store_2addr_b64 v20, v[93:94], v[95:96] offset0:116 offset1:117
	s_waitcnt vmcnt(1)
	ds_store_2addr_b64 v20, v[129:130], v[131:132] offset0:118 offset1:119
	s_waitcnt vmcnt(0)
	ds_store_2addr_b64 v20, v[164:165], v[166:167] offset0:120 offset1:121
.LBB120_1107:
	s_or_b32 exec_lo, exec_lo, s2
	s_delay_alu instid0(SALU_CYCLE_1)
	s_mov_b32 s2, exec_lo
	s_waitcnt lgkmcnt(0)
	s_waitcnt_vscnt null, 0x0
	s_barrier
	buffer_gl0_inv
	v_cmpx_lt_i32_e32 46, v38
	s_cbranch_execz .LBB120_1109
; %bb.1108:
	s_clause 0x1
	scratch_load_b128 v[4:7], off, off offset:736
	scratch_load_b128 v[8:11], off, off offset:752
	s_waitcnt vmcnt(1)
	v_mul_f64 v[12:13], v[0:1], v[6:7]
	v_mul_f64 v[45:46], v[2:3], v[6:7]
	s_delay_alu instid0(VALU_DEP_2)
	v_fma_f64 v[6:7], v[2:3], v[4:5], v[12:13]
	ds_load_2addr_b64 v[12:15], v20 offset0:94 offset1:95
	ds_load_2addr_b64 v[41:44], v20 offset0:96 offset1:97
	v_fma_f64 v[4:5], v[0:1], v[4:5], -v[45:46]
	s_waitcnt lgkmcnt(1)
	v_mul_f64 v[0:1], v[14:15], v[6:7]
	v_mul_f64 v[2:3], v[12:13], v[6:7]
	scratch_store_b128 off, v[4:7], off offset:736
	s_waitcnt lgkmcnt(0)
	v_mul_f64 v[121:122], v[43:44], v[6:7]
	v_fma_f64 v[0:1], v[12:13], v[4:5], -v[0:1]
	v_fma_f64 v[2:3], v[14:15], v[4:5], v[2:3]
	s_delay_alu instid0(VALU_DEP_3) | instskip(SKIP_1) | instid1(VALU_DEP_3)
	v_fma_f64 v[121:122], v[41:42], v[4:5], -v[121:122]
	s_waitcnt vmcnt(0)
	v_add_f64 v[0:1], v[8:9], -v[0:1]
	s_delay_alu instid0(VALU_DEP_3)
	v_add_f64 v[2:3], v[10:11], -v[2:3]
	s_clause 0xf
	scratch_load_b128 v[8:11], off, off offset:736
	scratch_load_b64 v[49:50], off, off offset:744
	scratch_load_b64 v[53:54], off, off offset:736
	scratch_load_b128 v[12:15], off, off offset:784
	scratch_load_b128 v[45:48], off, off offset:800
	;; [unrolled: 1-line block ×13, first 2 shown]
	ds_load_2addr_b64 v[176:179], v20 offset0:98 offset1:99
	ds_load_2addr_b64 v[180:183], v20 offset0:100 offset1:101
	ds_load_2addr_b64 v[184:187], v20 offset0:102 offset1:103
	ds_load_2addr_b64 v[188:191], v20 offset0:104 offset1:105
	ds_load_2addr_b64 v[192:195], v20 offset0:106 offset1:107
	ds_load_2addr_b64 v[196:199], v20 offset0:108 offset1:109
	ds_load_2addr_b64 v[200:203], v20 offset0:110 offset1:111
	ds_load_2addr_b64 v[204:207], v20 offset0:112 offset1:113
	ds_load_2addr_b64 v[208:211], v20 offset0:114 offset1:115
	ds_load_2addr_b64 v[212:215], v20 offset0:116 offset1:117
	ds_load_2addr_b64 v[216:219], v20 offset0:118 offset1:119
	ds_load_2addr_b64 v[220:223], v20 offset0:120 offset1:121
	s_waitcnt lgkmcnt(11)
	v_mul_f64 v[65:66], v[178:179], v[6:7]
	s_waitcnt lgkmcnt(10)
	v_mul_f64 v[77:78], v[182:183], v[6:7]
	v_mul_f64 v[102:103], v[180:181], v[6:7]
	;; [unrolled: 1-line block ×3, first 2 shown]
	s_waitcnt lgkmcnt(9)
	v_mul_f64 v[105:106], v[186:187], v[6:7]
	v_mul_f64 v[109:110], v[184:185], v[6:7]
	s_waitcnt lgkmcnt(8)
	v_mul_f64 v[113:114], v[190:191], v[6:7]
	v_mul_f64 v[117:118], v[188:189], v[6:7]
	;; [unrolled: 1-line block ×3, first 2 shown]
	v_fma_f64 v[65:66], v[176:177], v[4:5], -v[65:66]
	v_fma_f64 v[77:78], v[180:181], v[4:5], -v[77:78]
	v_fma_f64 v[102:103], v[182:183], v[4:5], v[102:103]
	v_fma_f64 v[69:70], v[178:179], v[4:5], v[69:70]
	v_fma_f64 v[105:106], v[184:185], v[4:5], -v[105:106]
	v_fma_f64 v[109:110], v[186:187], v[4:5], v[109:110]
	v_fma_f64 v[113:114], v[188:189], v[4:5], -v[113:114]
	v_fma_f64 v[117:118], v[190:191], v[4:5], v[117:118]
	v_fma_f64 v[176:177], v[43:44], v[4:5], v[6:7]
	s_waitcnt vmcnt(15) lgkmcnt(7)
	v_mul_f64 v[125:126], v[194:195], v[10:11]
	v_mul_f64 v[224:225], v[192:193], v[10:11]
	s_waitcnt lgkmcnt(6)
	v_mul_f64 v[226:227], v[198:199], v[10:11]
	v_mul_f64 v[228:229], v[196:197], v[10:11]
	s_waitcnt lgkmcnt(5)
	;; [unrolled: 3-line block ×5, first 2 shown]
	v_mul_f64 v[242:243], v[214:215], v[10:11]
	v_mul_f64 v[10:11], v[212:213], v[10:11]
	s_waitcnt vmcnt(14) lgkmcnt(1)
	v_mul_f64 v[244:245], v[218:219], v[49:50]
	v_mul_f64 v[246:247], v[216:217], v[49:50]
	s_waitcnt lgkmcnt(0)
	v_mul_f64 v[248:249], v[222:223], v[49:50]
	v_mul_f64 v[49:50], v[220:221], v[49:50]
	s_waitcnt vmcnt(12)
	v_add_f64 v[4:5], v[12:13], -v[65:66]
	v_add_f64 v[6:7], v[14:15], -v[69:70]
	s_waitcnt vmcnt(10)
	v_add_f64 v[12:13], v[57:58], -v[105:106]
	v_add_f64 v[14:15], v[59:60], -v[109:110]
	;; [unrolled: 3-line block ×3, first 2 shown]
	v_fma_f64 v[125:126], v[192:193], v[53:54], -v[125:126]
	v_fma_f64 v[178:179], v[194:195], v[53:54], v[224:225]
	v_fma_f64 v[180:181], v[196:197], v[53:54], -v[226:227]
	v_fma_f64 v[182:183], v[198:199], v[53:54], v[228:229]
	;; [unrolled: 2-line block ×8, first 2 shown]
	v_add_f64 v[8:9], v[45:46], -v[77:78]
	v_add_f64 v[10:11], v[47:48], -v[102:103]
	s_waitcnt vmcnt(8)
	v_add_f64 v[45:46], v[73:74], -v[121:122]
	v_add_f64 v[47:48], v[75:76], -v[176:177]
	s_waitcnt vmcnt(7)
	v_add_f64 v[57:58], v[81:82], -v[125:126]
	v_add_f64 v[59:60], v[83:84], -v[178:179]
	s_waitcnt vmcnt(6)
	v_add_f64 v[61:62], v[85:86], -v[180:181]
	v_add_f64 v[63:64], v[87:88], -v[182:183]
	s_waitcnt vmcnt(5)
	v_add_f64 v[73:74], v[89:90], -v[184:185]
	v_add_f64 v[75:76], v[91:92], -v[186:187]
	s_waitcnt vmcnt(4)
	v_add_f64 v[81:82], v[93:94], -v[188:189]
	v_add_f64 v[83:84], v[95:96], -v[190:191]
	s_waitcnt vmcnt(3)
	v_add_f64 v[85:86], v[129:130], -v[192:193]
	v_add_f64 v[87:88], v[131:132], -v[194:195]
	s_waitcnt vmcnt(2)
	v_add_f64 v[89:90], v[164:165], -v[196:197]
	v_add_f64 v[91:92], v[166:167], -v[53:54]
	s_waitcnt vmcnt(1)
	v_add_f64 v[93:94], v[168:169], -v[198:199]
	v_add_f64 v[95:96], v[170:171], -v[200:201]
	s_waitcnt vmcnt(0)
	v_add_f64 v[129:130], v[172:173], -v[202:203]
	v_add_f64 v[131:132], v[174:175], -v[49:50]
	s_clause 0xd
	scratch_store_b128 off, v[0:3], off offset:752
	scratch_store_b128 off, v[8:11], off offset:800
	;; [unrolled: 1-line block ×14, first 2 shown]
.LBB120_1109:
	s_or_b32 exec_lo, exec_lo, s2
	s_waitcnt_vscnt null, 0x0
	s_barrier
	buffer_gl0_inv
	scratch_load_b128 v[0:3], v149, off
	v_lshl_add_u32 v4, v38, 4, v20
	s_cmp_lt_i32 s5, 49
	s_waitcnt vmcnt(0)
	ds_store_2addr_b64 v4, v[0:1], v[2:3] offset1:1
	s_waitcnt lgkmcnt(0)
	s_barrier
	buffer_gl0_inv
	ds_load_2addr_b64 v[0:3], v20 offset0:94 offset1:95
	v_mov_b32_e32 v4, 47
	s_cbranch_scc1 .LBB120_1112
; %bb.1110:
	v_add3_u32 v5, v36, 0, 0x300
	v_mov_b32_e32 v4, 47
	s_mov_b32 s6, 48
	s_set_inst_prefetch_distance 0x1
	.p2align	6
.LBB120_1111:                           ; =>This Inner Loop Header: Depth=1
	ds_load_2addr_b64 v[6:9], v5 offset1:1
	s_waitcnt lgkmcnt(1)
	v_cmp_gt_f64_e32 vcc_lo, 0, v[0:1]
	v_xor_b32_e32 v10, 0x80000000, v1
	v_cmp_gt_f64_e64 s2, 0, v[2:3]
	v_xor_b32_e32 v12, 0x80000000, v3
	v_add_nc_u32_e32 v5, 16, v5
	s_waitcnt lgkmcnt(0)
	v_cmp_gt_f64_e64 s3, 0, v[6:7]
	v_dual_mov_b32 v41, v8 :: v_dual_mov_b32 v14, v6
	v_cndmask_b32_e32 v11, v1, v10, vcc_lo
	v_xor_b32_e32 v10, 0x80000000, v7
	v_cndmask_b32_e64 v13, v3, v12, s2
	v_xor_b32_e32 v12, 0x80000000, v9
	s_delay_alu instid0(VALU_DEP_3) | instskip(SKIP_2) | instid1(VALU_DEP_2)
	v_cndmask_b32_e64 v15, v7, v10, s3
	v_cmp_gt_f64_e64 s3, 0, v[8:9]
	v_cndmask_b32_e32 v10, v0, v0, vcc_lo
	v_cndmask_b32_e64 v42, v9, v12, s3
	v_cndmask_b32_e64 v12, v2, v2, s2
	s_delay_alu instid0(VALU_DEP_2) | instskip(NEXT) | instid1(VALU_DEP_2)
	v_add_f64 v[14:15], v[14:15], v[41:42]
	v_add_f64 v[10:11], v[10:11], v[12:13]
	s_delay_alu instid0(VALU_DEP_1) | instskip(SKIP_4) | instid1(SALU_CYCLE_1)
	v_cmp_lt_f64_e32 vcc_lo, v[10:11], v[14:15]
	v_dual_cndmask_b32 v1, v1, v7 :: v_dual_cndmask_b32 v0, v0, v6
	v_dual_cndmask_b32 v3, v3, v9 :: v_dual_cndmask_b32 v2, v2, v8
	v_cndmask_b32_e64 v4, v4, s6, vcc_lo
	s_add_i32 s6, s6, 1
	s_cmp_lg_u32 s5, s6
	s_cbranch_scc1 .LBB120_1111
.LBB120_1112:
	s_set_inst_prefetch_distance 0x2
	s_waitcnt lgkmcnt(0)
	v_cmp_eq_f64_e32 vcc_lo, 0, v[0:1]
	v_cmp_eq_f64_e64 s2, 0, v[2:3]
	s_delay_alu instid0(VALU_DEP_1) | instskip(NEXT) | instid1(SALU_CYCLE_1)
	s_and_b32 s2, vcc_lo, s2
	s_and_saveexec_b32 s3, s2
	s_delay_alu instid0(SALU_CYCLE_1)
	s_xor_b32 s2, exec_lo, s3
; %bb.1113:
	v_cmp_ne_u32_e32 vcc_lo, 0, v35
	v_cndmask_b32_e32 v35, 48, v35, vcc_lo
; %bb.1114:
	s_and_not1_saveexec_b32 s3, s2
	s_cbranch_execz .LBB120_1120
; %bb.1115:
	v_cmp_gt_f64_e32 vcc_lo, 0, v[0:1]
	v_cmp_gt_f64_e64 s2, 0, v[2:3]
	v_xor_b32_e32 v5, 0x80000000, v1
	v_xor_b32_e32 v7, 0x80000000, v3
	s_delay_alu instid0(VALU_DEP_2) | instskip(NEXT) | instid1(VALU_DEP_2)
	v_dual_cndmask_b32 v6, v1, v5 :: v_dual_cndmask_b32 v5, v0, v0
	v_cndmask_b32_e64 v8, v3, v7, s2
	v_cndmask_b32_e64 v7, v2, v2, s2
	s_mov_b32 s2, exec_lo
	s_delay_alu instid0(VALU_DEP_1)
	v_cmpx_ngt_f64_e32 v[5:6], v[7:8]
	s_xor_b32 s2, exec_lo, s2
	s_cbranch_execz .LBB120_1117
; %bb.1116:
	v_div_scale_f64 v[5:6], null, v[2:3], v[2:3], v[0:1]
	v_div_scale_f64 v[11:12], vcc_lo, v[0:1], v[2:3], v[0:1]
	s_delay_alu instid0(VALU_DEP_2) | instskip(SKIP_2) | instid1(VALU_DEP_1)
	v_rcp_f64_e32 v[7:8], v[5:6]
	s_waitcnt_depctr 0xfff
	v_fma_f64 v[9:10], -v[5:6], v[7:8], 1.0
	v_fma_f64 v[7:8], v[7:8], v[9:10], v[7:8]
	s_delay_alu instid0(VALU_DEP_1) | instskip(NEXT) | instid1(VALU_DEP_1)
	v_fma_f64 v[9:10], -v[5:6], v[7:8], 1.0
	v_fma_f64 v[7:8], v[7:8], v[9:10], v[7:8]
	s_delay_alu instid0(VALU_DEP_1) | instskip(NEXT) | instid1(VALU_DEP_1)
	v_mul_f64 v[9:10], v[11:12], v[7:8]
	v_fma_f64 v[5:6], -v[5:6], v[9:10], v[11:12]
	s_delay_alu instid0(VALU_DEP_1) | instskip(NEXT) | instid1(VALU_DEP_1)
	v_div_fmas_f64 v[5:6], v[5:6], v[7:8], v[9:10]
	v_div_fixup_f64 v[5:6], v[5:6], v[2:3], v[0:1]
	s_delay_alu instid0(VALU_DEP_1) | instskip(NEXT) | instid1(VALU_DEP_1)
	v_fma_f64 v[0:1], v[0:1], v[5:6], v[2:3]
	v_div_scale_f64 v[2:3], null, v[0:1], v[0:1], 1.0
	s_delay_alu instid0(VALU_DEP_1) | instskip(SKIP_2) | instid1(VALU_DEP_1)
	v_rcp_f64_e32 v[7:8], v[2:3]
	s_waitcnt_depctr 0xfff
	v_fma_f64 v[9:10], -v[2:3], v[7:8], 1.0
	v_fma_f64 v[7:8], v[7:8], v[9:10], v[7:8]
	s_delay_alu instid0(VALU_DEP_1) | instskip(NEXT) | instid1(VALU_DEP_1)
	v_fma_f64 v[9:10], -v[2:3], v[7:8], 1.0
	v_fma_f64 v[7:8], v[7:8], v[9:10], v[7:8]
	v_div_scale_f64 v[9:10], vcc_lo, 1.0, v[0:1], 1.0
	s_delay_alu instid0(VALU_DEP_1) | instskip(NEXT) | instid1(VALU_DEP_1)
	v_mul_f64 v[11:12], v[9:10], v[7:8]
	v_fma_f64 v[2:3], -v[2:3], v[11:12], v[9:10]
	s_delay_alu instid0(VALU_DEP_1) | instskip(NEXT) | instid1(VALU_DEP_1)
	v_div_fmas_f64 v[2:3], v[2:3], v[7:8], v[11:12]
	v_div_fixup_f64 v[2:3], v[2:3], v[0:1], 1.0
	s_delay_alu instid0(VALU_DEP_1)
	v_mul_f64 v[0:1], v[5:6], v[2:3]
	v_xor_b32_e32 v3, 0x80000000, v3
.LBB120_1117:
	s_and_not1_saveexec_b32 s2, s2
	s_cbranch_execz .LBB120_1119
; %bb.1118:
	s_delay_alu instid0(VALU_DEP_1) | instskip(SKIP_1) | instid1(VALU_DEP_2)
	v_div_scale_f64 v[5:6], null, v[0:1], v[0:1], v[2:3]
	v_div_scale_f64 v[11:12], vcc_lo, v[2:3], v[0:1], v[2:3]
	v_rcp_f64_e32 v[7:8], v[5:6]
	s_waitcnt_depctr 0xfff
	v_fma_f64 v[9:10], -v[5:6], v[7:8], 1.0
	s_delay_alu instid0(VALU_DEP_1) | instskip(NEXT) | instid1(VALU_DEP_1)
	v_fma_f64 v[7:8], v[7:8], v[9:10], v[7:8]
	v_fma_f64 v[9:10], -v[5:6], v[7:8], 1.0
	s_delay_alu instid0(VALU_DEP_1) | instskip(NEXT) | instid1(VALU_DEP_1)
	v_fma_f64 v[7:8], v[7:8], v[9:10], v[7:8]
	v_mul_f64 v[9:10], v[11:12], v[7:8]
	s_delay_alu instid0(VALU_DEP_1) | instskip(NEXT) | instid1(VALU_DEP_1)
	v_fma_f64 v[5:6], -v[5:6], v[9:10], v[11:12]
	v_div_fmas_f64 v[5:6], v[5:6], v[7:8], v[9:10]
	s_delay_alu instid0(VALU_DEP_1) | instskip(NEXT) | instid1(VALU_DEP_1)
	v_div_fixup_f64 v[5:6], v[5:6], v[0:1], v[2:3]
	v_fma_f64 v[0:1], v[2:3], v[5:6], v[0:1]
	s_delay_alu instid0(VALU_DEP_1) | instskip(NEXT) | instid1(VALU_DEP_1)
	v_div_scale_f64 v[2:3], null, v[0:1], v[0:1], 1.0
	v_rcp_f64_e32 v[7:8], v[2:3]
	s_waitcnt_depctr 0xfff
	v_fma_f64 v[9:10], -v[2:3], v[7:8], 1.0
	s_delay_alu instid0(VALU_DEP_1) | instskip(NEXT) | instid1(VALU_DEP_1)
	v_fma_f64 v[7:8], v[7:8], v[9:10], v[7:8]
	v_fma_f64 v[9:10], -v[2:3], v[7:8], 1.0
	s_delay_alu instid0(VALU_DEP_1) | instskip(SKIP_1) | instid1(VALU_DEP_1)
	v_fma_f64 v[7:8], v[7:8], v[9:10], v[7:8]
	v_div_scale_f64 v[9:10], vcc_lo, 1.0, v[0:1], 1.0
	v_mul_f64 v[11:12], v[9:10], v[7:8]
	s_delay_alu instid0(VALU_DEP_1) | instskip(NEXT) | instid1(VALU_DEP_1)
	v_fma_f64 v[2:3], -v[2:3], v[11:12], v[9:10]
	v_div_fmas_f64 v[2:3], v[2:3], v[7:8], v[11:12]
	s_delay_alu instid0(VALU_DEP_1) | instskip(NEXT) | instid1(VALU_DEP_1)
	v_div_fixup_f64 v[0:1], v[2:3], v[0:1], 1.0
	v_mul_f64 v[2:3], v[5:6], -v[0:1]
.LBB120_1119:
	s_or_b32 exec_lo, exec_lo, s2
.LBB120_1120:
	s_delay_alu instid0(SALU_CYCLE_1) | instskip(NEXT) | instid1(SALU_CYCLE_1)
	s_or_b32 exec_lo, exec_lo, s3
	s_mov_b32 s2, exec_lo
	v_cmpx_ne_u32_e64 v38, v4
	s_xor_b32 s2, exec_lo, s2
	s_cbranch_execz .LBB120_1126
; %bb.1121:
	s_mov_b32 s3, exec_lo
	v_cmpx_eq_u32_e32 47, v38
	s_cbranch_execz .LBB120_1125
; %bb.1122:
	v_cmp_ne_u32_e32 vcc_lo, 47, v4
	s_xor_b32 s6, s4, -1
	s_delay_alu instid0(SALU_CYCLE_1) | instskip(NEXT) | instid1(SALU_CYCLE_1)
	s_and_b32 s7, s6, vcc_lo
	s_and_saveexec_b32 s6, s7
	s_cbranch_execz .LBB120_1124
; %bb.1123:
	v_ashrrev_i32_e32 v5, 31, v4
	s_delay_alu instid0(VALU_DEP_1) | instskip(NEXT) | instid1(VALU_DEP_1)
	v_lshlrev_b64 v[5:6], 2, v[4:5]
	v_add_co_u32 v5, vcc_lo, v18, v5
	s_delay_alu instid0(VALU_DEP_2)
	v_add_co_ci_u32_e32 v6, vcc_lo, v19, v6, vcc_lo
	s_clause 0x1
	flat_load_b32 v7, v[5:6]
	flat_load_b32 v8, v[18:19] offset:188
	s_waitcnt vmcnt(1) lgkmcnt(1)
	flat_store_b32 v[18:19], v7 offset:188
	s_waitcnt vmcnt(0) lgkmcnt(1)
	flat_store_b32 v[5:6], v8
.LBB120_1124:
	s_or_b32 exec_lo, exec_lo, s6
	v_mov_b32_e32 v38, v4
	v_mov_b32_e32 v37, v4
.LBB120_1125:
	s_or_b32 exec_lo, exec_lo, s3
.LBB120_1126:
	s_and_not1_saveexec_b32 s2, s2
	s_cbranch_execz .LBB120_1128
; %bb.1127:
	s_clause 0xc
	scratch_load_b128 v[4:7], v148, off
	scratch_load_b128 v[8:11], v147, off
	;; [unrolled: 1-line block ×13, first 2 shown]
	v_mov_b32_e32 v38, 47
	s_waitcnt vmcnt(12)
	ds_store_2addr_b64 v20, v[4:5], v[6:7] offset0:96 offset1:97
	s_waitcnt vmcnt(11)
	ds_store_2addr_b64 v20, v[8:9], v[10:11] offset0:98 offset1:99
	;; [unrolled: 2-line block ×13, first 2 shown]
.LBB120_1128:
	s_or_b32 exec_lo, exec_lo, s2
	s_delay_alu instid0(SALU_CYCLE_1)
	s_mov_b32 s2, exec_lo
	s_waitcnt lgkmcnt(0)
	s_waitcnt_vscnt null, 0x0
	s_barrier
	buffer_gl0_inv
	v_cmpx_lt_i32_e32 47, v38
	s_cbranch_execz .LBB120_1130
; %bb.1129:
	s_clause 0x1
	scratch_load_b128 v[4:7], off, off offset:752
	scratch_load_b128 v[8:11], off, off offset:768
	s_waitcnt vmcnt(1)
	v_mul_f64 v[12:13], v[0:1], v[6:7]
	v_mul_f64 v[6:7], v[2:3], v[6:7]
	s_delay_alu instid0(VALU_DEP_2)
	v_fma_f64 v[2:3], v[2:3], v[4:5], v[12:13]
	ds_load_2addr_b64 v[12:15], v20 offset0:96 offset1:97
	ds_load_2addr_b64 v[41:44], v20 offset0:98 offset1:99
	v_fma_f64 v[0:1], v[0:1], v[4:5], -v[6:7]
	s_waitcnt lgkmcnt(1)
	v_mul_f64 v[4:5], v[14:15], v[2:3]
	v_mul_f64 v[6:7], v[12:13], v[2:3]
	scratch_store_b128 off, v[0:3], off offset:752
	s_waitcnt lgkmcnt(0)
	v_mul_f64 v[121:122], v[43:44], v[2:3]
	v_fma_f64 v[4:5], v[12:13], v[0:1], -v[4:5]
	v_fma_f64 v[6:7], v[14:15], v[0:1], v[6:7]
	s_delay_alu instid0(VALU_DEP_3) | instskip(SKIP_1) | instid1(VALU_DEP_3)
	v_fma_f64 v[121:122], v[41:42], v[0:1], -v[121:122]
	s_waitcnt vmcnt(0)
	v_add_f64 v[4:5], v[8:9], -v[4:5]
	s_delay_alu instid0(VALU_DEP_3)
	v_add_f64 v[6:7], v[10:11], -v[6:7]
	s_clause 0xe
	scratch_load_b128 v[8:11], off, off offset:752
	scratch_load_b64 v[49:50], off, off offset:760
	scratch_load_b64 v[53:54], off, off offset:752
	scratch_load_b128 v[12:15], off, off offset:800
	scratch_load_b128 v[45:48], off, off offset:816
	;; [unrolled: 1-line block ×12, first 2 shown]
	ds_load_2addr_b64 v[172:175], v20 offset0:100 offset1:101
	ds_load_2addr_b64 v[176:179], v20 offset0:102 offset1:103
	;; [unrolled: 1-line block ×11, first 2 shown]
	s_waitcnt lgkmcnt(10)
	v_mul_f64 v[65:66], v[174:175], v[2:3]
	s_waitcnt lgkmcnt(9)
	v_mul_f64 v[77:78], v[178:179], v[2:3]
	v_mul_f64 v[102:103], v[176:177], v[2:3]
	;; [unrolled: 1-line block ×3, first 2 shown]
	s_waitcnt lgkmcnt(8)
	v_mul_f64 v[105:106], v[182:183], v[2:3]
	v_mul_f64 v[109:110], v[180:181], v[2:3]
	s_waitcnt lgkmcnt(7)
	v_mul_f64 v[113:114], v[186:187], v[2:3]
	v_mul_f64 v[117:118], v[184:185], v[2:3]
	;; [unrolled: 1-line block ×3, first 2 shown]
	v_fma_f64 v[65:66], v[172:173], v[0:1], -v[65:66]
	v_fma_f64 v[77:78], v[176:177], v[0:1], -v[77:78]
	v_fma_f64 v[102:103], v[178:179], v[0:1], v[102:103]
	v_fma_f64 v[69:70], v[174:175], v[0:1], v[69:70]
	v_fma_f64 v[105:106], v[180:181], v[0:1], -v[105:106]
	v_fma_f64 v[109:110], v[182:183], v[0:1], v[109:110]
	v_fma_f64 v[113:114], v[184:185], v[0:1], -v[113:114]
	v_fma_f64 v[117:118], v[186:187], v[0:1], v[117:118]
	v_fma_f64 v[172:173], v[43:44], v[0:1], v[2:3]
	s_waitcnt vmcnt(14) lgkmcnt(6)
	v_mul_f64 v[125:126], v[190:191], v[10:11]
	v_mul_f64 v[216:217], v[188:189], v[10:11]
	s_waitcnt lgkmcnt(5)
	v_mul_f64 v[218:219], v[194:195], v[10:11]
	v_mul_f64 v[220:221], v[192:193], v[10:11]
	s_waitcnt lgkmcnt(4)
	;; [unrolled: 3-line block ×5, first 2 shown]
	v_mul_f64 v[234:235], v[210:211], v[10:11]
	v_mul_f64 v[10:11], v[208:209], v[10:11]
	s_waitcnt vmcnt(13) lgkmcnt(0)
	v_mul_f64 v[236:237], v[214:215], v[49:50]
	v_mul_f64 v[49:50], v[212:213], v[49:50]
	s_waitcnt vmcnt(11)
	v_add_f64 v[0:1], v[12:13], -v[65:66]
	v_add_f64 v[2:3], v[14:15], -v[69:70]
	s_waitcnt vmcnt(9)
	v_add_f64 v[12:13], v[57:58], -v[105:106]
	v_add_f64 v[14:15], v[59:60], -v[109:110]
	;; [unrolled: 3-line block ×3, first 2 shown]
	v_fma_f64 v[125:126], v[188:189], v[53:54], -v[125:126]
	v_fma_f64 v[174:175], v[190:191], v[53:54], v[216:217]
	v_fma_f64 v[176:177], v[192:193], v[53:54], -v[218:219]
	v_fma_f64 v[178:179], v[194:195], v[53:54], v[220:221]
	;; [unrolled: 2-line block ×7, first 2 shown]
	v_add_f64 v[8:9], v[45:46], -v[77:78]
	v_add_f64 v[10:11], v[47:48], -v[102:103]
	s_waitcnt vmcnt(7)
	v_add_f64 v[45:46], v[73:74], -v[121:122]
	v_add_f64 v[47:48], v[75:76], -v[172:173]
	s_waitcnt vmcnt(6)
	;; [unrolled: 3-line block ×8, first 2 shown]
	v_add_f64 v[93:94], v[168:169], -v[194:195]
	v_add_f64 v[95:96], v[170:171], -v[49:50]
	s_clause 0xc
	scratch_store_b128 off, v[4:7], off offset:768
	scratch_store_b128 off, v[8:11], off offset:816
	;; [unrolled: 1-line block ×13, first 2 shown]
.LBB120_1130:
	s_or_b32 exec_lo, exec_lo, s2
	s_waitcnt_vscnt null, 0x0
	s_barrier
	buffer_gl0_inv
	scratch_load_b128 v[0:3], v148, off
	v_lshl_add_u32 v4, v38, 4, v20
	s_cmp_lt_i32 s5, 50
	s_waitcnt vmcnt(0)
	ds_store_2addr_b64 v4, v[0:1], v[2:3] offset1:1
	s_waitcnt lgkmcnt(0)
	s_barrier
	buffer_gl0_inv
	ds_load_2addr_b64 v[0:3], v20 offset0:96 offset1:97
	v_mov_b32_e32 v4, 48
	s_cbranch_scc1 .LBB120_1133
; %bb.1131:
	v_add3_u32 v5, v36, 0, 0x310
	v_mov_b32_e32 v4, 48
	s_mov_b32 s6, 49
	s_set_inst_prefetch_distance 0x1
	.p2align	6
.LBB120_1132:                           ; =>This Inner Loop Header: Depth=1
	ds_load_2addr_b64 v[6:9], v5 offset1:1
	s_waitcnt lgkmcnt(1)
	v_cmp_gt_f64_e32 vcc_lo, 0, v[0:1]
	v_xor_b32_e32 v10, 0x80000000, v1
	v_cmp_gt_f64_e64 s2, 0, v[2:3]
	v_xor_b32_e32 v12, 0x80000000, v3
	v_add_nc_u32_e32 v5, 16, v5
	s_waitcnt lgkmcnt(0)
	v_cmp_gt_f64_e64 s3, 0, v[6:7]
	v_dual_mov_b32 v41, v8 :: v_dual_mov_b32 v14, v6
	v_cndmask_b32_e32 v11, v1, v10, vcc_lo
	v_xor_b32_e32 v10, 0x80000000, v7
	v_cndmask_b32_e64 v13, v3, v12, s2
	v_xor_b32_e32 v12, 0x80000000, v9
	s_delay_alu instid0(VALU_DEP_3) | instskip(SKIP_2) | instid1(VALU_DEP_2)
	v_cndmask_b32_e64 v15, v7, v10, s3
	v_cmp_gt_f64_e64 s3, 0, v[8:9]
	v_cndmask_b32_e32 v10, v0, v0, vcc_lo
	v_cndmask_b32_e64 v42, v9, v12, s3
	v_cndmask_b32_e64 v12, v2, v2, s2
	s_delay_alu instid0(VALU_DEP_2) | instskip(NEXT) | instid1(VALU_DEP_2)
	v_add_f64 v[14:15], v[14:15], v[41:42]
	v_add_f64 v[10:11], v[10:11], v[12:13]
	s_delay_alu instid0(VALU_DEP_1) | instskip(SKIP_4) | instid1(SALU_CYCLE_1)
	v_cmp_lt_f64_e32 vcc_lo, v[10:11], v[14:15]
	v_dual_cndmask_b32 v1, v1, v7 :: v_dual_cndmask_b32 v0, v0, v6
	v_dual_cndmask_b32 v3, v3, v9 :: v_dual_cndmask_b32 v2, v2, v8
	v_cndmask_b32_e64 v4, v4, s6, vcc_lo
	s_add_i32 s6, s6, 1
	s_cmp_lg_u32 s5, s6
	s_cbranch_scc1 .LBB120_1132
.LBB120_1133:
	s_set_inst_prefetch_distance 0x2
	s_waitcnt lgkmcnt(0)
	v_cmp_eq_f64_e32 vcc_lo, 0, v[0:1]
	v_cmp_eq_f64_e64 s2, 0, v[2:3]
	s_delay_alu instid0(VALU_DEP_1) | instskip(NEXT) | instid1(SALU_CYCLE_1)
	s_and_b32 s2, vcc_lo, s2
	s_and_saveexec_b32 s3, s2
	s_delay_alu instid0(SALU_CYCLE_1)
	s_xor_b32 s2, exec_lo, s3
; %bb.1134:
	v_cmp_ne_u32_e32 vcc_lo, 0, v35
	v_cndmask_b32_e32 v35, 49, v35, vcc_lo
; %bb.1135:
	s_and_not1_saveexec_b32 s3, s2
	s_cbranch_execz .LBB120_1141
; %bb.1136:
	v_cmp_gt_f64_e32 vcc_lo, 0, v[0:1]
	v_cmp_gt_f64_e64 s2, 0, v[2:3]
	v_xor_b32_e32 v5, 0x80000000, v1
	v_xor_b32_e32 v7, 0x80000000, v3
	s_delay_alu instid0(VALU_DEP_2) | instskip(NEXT) | instid1(VALU_DEP_2)
	v_dual_cndmask_b32 v6, v1, v5 :: v_dual_cndmask_b32 v5, v0, v0
	v_cndmask_b32_e64 v8, v3, v7, s2
	v_cndmask_b32_e64 v7, v2, v2, s2
	s_mov_b32 s2, exec_lo
	s_delay_alu instid0(VALU_DEP_1)
	v_cmpx_ngt_f64_e32 v[5:6], v[7:8]
	s_xor_b32 s2, exec_lo, s2
	s_cbranch_execz .LBB120_1138
; %bb.1137:
	v_div_scale_f64 v[5:6], null, v[2:3], v[2:3], v[0:1]
	v_div_scale_f64 v[11:12], vcc_lo, v[0:1], v[2:3], v[0:1]
	s_delay_alu instid0(VALU_DEP_2) | instskip(SKIP_2) | instid1(VALU_DEP_1)
	v_rcp_f64_e32 v[7:8], v[5:6]
	s_waitcnt_depctr 0xfff
	v_fma_f64 v[9:10], -v[5:6], v[7:8], 1.0
	v_fma_f64 v[7:8], v[7:8], v[9:10], v[7:8]
	s_delay_alu instid0(VALU_DEP_1) | instskip(NEXT) | instid1(VALU_DEP_1)
	v_fma_f64 v[9:10], -v[5:6], v[7:8], 1.0
	v_fma_f64 v[7:8], v[7:8], v[9:10], v[7:8]
	s_delay_alu instid0(VALU_DEP_1) | instskip(NEXT) | instid1(VALU_DEP_1)
	v_mul_f64 v[9:10], v[11:12], v[7:8]
	v_fma_f64 v[5:6], -v[5:6], v[9:10], v[11:12]
	s_delay_alu instid0(VALU_DEP_1) | instskip(NEXT) | instid1(VALU_DEP_1)
	v_div_fmas_f64 v[5:6], v[5:6], v[7:8], v[9:10]
	v_div_fixup_f64 v[5:6], v[5:6], v[2:3], v[0:1]
	s_delay_alu instid0(VALU_DEP_1) | instskip(NEXT) | instid1(VALU_DEP_1)
	v_fma_f64 v[0:1], v[0:1], v[5:6], v[2:3]
	v_div_scale_f64 v[2:3], null, v[0:1], v[0:1], 1.0
	s_delay_alu instid0(VALU_DEP_1) | instskip(SKIP_2) | instid1(VALU_DEP_1)
	v_rcp_f64_e32 v[7:8], v[2:3]
	s_waitcnt_depctr 0xfff
	v_fma_f64 v[9:10], -v[2:3], v[7:8], 1.0
	v_fma_f64 v[7:8], v[7:8], v[9:10], v[7:8]
	s_delay_alu instid0(VALU_DEP_1) | instskip(NEXT) | instid1(VALU_DEP_1)
	v_fma_f64 v[9:10], -v[2:3], v[7:8], 1.0
	v_fma_f64 v[7:8], v[7:8], v[9:10], v[7:8]
	v_div_scale_f64 v[9:10], vcc_lo, 1.0, v[0:1], 1.0
	s_delay_alu instid0(VALU_DEP_1) | instskip(NEXT) | instid1(VALU_DEP_1)
	v_mul_f64 v[11:12], v[9:10], v[7:8]
	v_fma_f64 v[2:3], -v[2:3], v[11:12], v[9:10]
	s_delay_alu instid0(VALU_DEP_1) | instskip(NEXT) | instid1(VALU_DEP_1)
	v_div_fmas_f64 v[2:3], v[2:3], v[7:8], v[11:12]
	v_div_fixup_f64 v[2:3], v[2:3], v[0:1], 1.0
	s_delay_alu instid0(VALU_DEP_1)
	v_mul_f64 v[0:1], v[5:6], v[2:3]
	v_xor_b32_e32 v3, 0x80000000, v3
.LBB120_1138:
	s_and_not1_saveexec_b32 s2, s2
	s_cbranch_execz .LBB120_1140
; %bb.1139:
	s_delay_alu instid0(VALU_DEP_1) | instskip(SKIP_1) | instid1(VALU_DEP_2)
	v_div_scale_f64 v[5:6], null, v[0:1], v[0:1], v[2:3]
	v_div_scale_f64 v[11:12], vcc_lo, v[2:3], v[0:1], v[2:3]
	v_rcp_f64_e32 v[7:8], v[5:6]
	s_waitcnt_depctr 0xfff
	v_fma_f64 v[9:10], -v[5:6], v[7:8], 1.0
	s_delay_alu instid0(VALU_DEP_1) | instskip(NEXT) | instid1(VALU_DEP_1)
	v_fma_f64 v[7:8], v[7:8], v[9:10], v[7:8]
	v_fma_f64 v[9:10], -v[5:6], v[7:8], 1.0
	s_delay_alu instid0(VALU_DEP_1) | instskip(NEXT) | instid1(VALU_DEP_1)
	v_fma_f64 v[7:8], v[7:8], v[9:10], v[7:8]
	v_mul_f64 v[9:10], v[11:12], v[7:8]
	s_delay_alu instid0(VALU_DEP_1) | instskip(NEXT) | instid1(VALU_DEP_1)
	v_fma_f64 v[5:6], -v[5:6], v[9:10], v[11:12]
	v_div_fmas_f64 v[5:6], v[5:6], v[7:8], v[9:10]
	s_delay_alu instid0(VALU_DEP_1) | instskip(NEXT) | instid1(VALU_DEP_1)
	v_div_fixup_f64 v[5:6], v[5:6], v[0:1], v[2:3]
	v_fma_f64 v[0:1], v[2:3], v[5:6], v[0:1]
	s_delay_alu instid0(VALU_DEP_1) | instskip(NEXT) | instid1(VALU_DEP_1)
	v_div_scale_f64 v[2:3], null, v[0:1], v[0:1], 1.0
	v_rcp_f64_e32 v[7:8], v[2:3]
	s_waitcnt_depctr 0xfff
	v_fma_f64 v[9:10], -v[2:3], v[7:8], 1.0
	s_delay_alu instid0(VALU_DEP_1) | instskip(NEXT) | instid1(VALU_DEP_1)
	v_fma_f64 v[7:8], v[7:8], v[9:10], v[7:8]
	v_fma_f64 v[9:10], -v[2:3], v[7:8], 1.0
	s_delay_alu instid0(VALU_DEP_1) | instskip(SKIP_1) | instid1(VALU_DEP_1)
	v_fma_f64 v[7:8], v[7:8], v[9:10], v[7:8]
	v_div_scale_f64 v[9:10], vcc_lo, 1.0, v[0:1], 1.0
	v_mul_f64 v[11:12], v[9:10], v[7:8]
	s_delay_alu instid0(VALU_DEP_1) | instskip(NEXT) | instid1(VALU_DEP_1)
	v_fma_f64 v[2:3], -v[2:3], v[11:12], v[9:10]
	v_div_fmas_f64 v[2:3], v[2:3], v[7:8], v[11:12]
	s_delay_alu instid0(VALU_DEP_1) | instskip(NEXT) | instid1(VALU_DEP_1)
	v_div_fixup_f64 v[0:1], v[2:3], v[0:1], 1.0
	v_mul_f64 v[2:3], v[5:6], -v[0:1]
.LBB120_1140:
	s_or_b32 exec_lo, exec_lo, s2
.LBB120_1141:
	s_delay_alu instid0(SALU_CYCLE_1) | instskip(NEXT) | instid1(SALU_CYCLE_1)
	s_or_b32 exec_lo, exec_lo, s3
	s_mov_b32 s2, exec_lo
	v_cmpx_ne_u32_e64 v38, v4
	s_xor_b32 s2, exec_lo, s2
	s_cbranch_execz .LBB120_1147
; %bb.1142:
	s_mov_b32 s3, exec_lo
	v_cmpx_eq_u32_e32 48, v38
	s_cbranch_execz .LBB120_1146
; %bb.1143:
	v_cmp_ne_u32_e32 vcc_lo, 48, v4
	s_xor_b32 s6, s4, -1
	s_delay_alu instid0(SALU_CYCLE_1) | instskip(NEXT) | instid1(SALU_CYCLE_1)
	s_and_b32 s7, s6, vcc_lo
	s_and_saveexec_b32 s6, s7
	s_cbranch_execz .LBB120_1145
; %bb.1144:
	v_ashrrev_i32_e32 v5, 31, v4
	s_delay_alu instid0(VALU_DEP_1) | instskip(NEXT) | instid1(VALU_DEP_1)
	v_lshlrev_b64 v[5:6], 2, v[4:5]
	v_add_co_u32 v5, vcc_lo, v18, v5
	s_delay_alu instid0(VALU_DEP_2)
	v_add_co_ci_u32_e32 v6, vcc_lo, v19, v6, vcc_lo
	s_clause 0x1
	flat_load_b32 v7, v[5:6]
	flat_load_b32 v8, v[18:19] offset:192
	s_waitcnt vmcnt(1) lgkmcnt(1)
	flat_store_b32 v[18:19], v7 offset:192
	s_waitcnt vmcnt(0) lgkmcnt(1)
	flat_store_b32 v[5:6], v8
.LBB120_1145:
	s_or_b32 exec_lo, exec_lo, s6
	v_mov_b32_e32 v38, v4
	v_mov_b32_e32 v37, v4
.LBB120_1146:
	s_or_b32 exec_lo, exec_lo, s3
.LBB120_1147:
	s_and_not1_saveexec_b32 s2, s2
	s_cbranch_execz .LBB120_1149
; %bb.1148:
	s_clause 0xb
	scratch_load_b128 v[4:7], v147, off
	scratch_load_b128 v[8:11], v140, off
	;; [unrolled: 1-line block ×12, first 2 shown]
	v_mov_b32_e32 v38, 48
	s_waitcnt vmcnt(11)
	ds_store_2addr_b64 v20, v[4:5], v[6:7] offset0:98 offset1:99
	s_waitcnt vmcnt(10)
	ds_store_2addr_b64 v20, v[8:9], v[10:11] offset0:100 offset1:101
	;; [unrolled: 2-line block ×12, first 2 shown]
.LBB120_1149:
	s_or_b32 exec_lo, exec_lo, s2
	s_delay_alu instid0(SALU_CYCLE_1)
	s_mov_b32 s2, exec_lo
	s_waitcnt lgkmcnt(0)
	s_waitcnt_vscnt null, 0x0
	s_barrier
	buffer_gl0_inv
	v_cmpx_lt_i32_e32 48, v38
	s_cbranch_execz .LBB120_1151
; %bb.1150:
	s_clause 0x1
	scratch_load_b128 v[4:7], off, off offset:768
	scratch_load_b128 v[8:11], off, off offset:784
	s_waitcnt vmcnt(1)
	v_mul_f64 v[12:13], v[0:1], v[6:7]
	v_mul_f64 v[6:7], v[2:3], v[6:7]
	s_delay_alu instid0(VALU_DEP_2)
	v_fma_f64 v[2:3], v[2:3], v[4:5], v[12:13]
	ds_load_2addr_b64 v[12:15], v20 offset0:98 offset1:99
	ds_load_2addr_b64 v[41:44], v20 offset0:100 offset1:101
	v_fma_f64 v[0:1], v[0:1], v[4:5], -v[6:7]
	s_waitcnt lgkmcnt(1)
	v_mul_f64 v[4:5], v[14:15], v[2:3]
	v_mul_f64 v[6:7], v[12:13], v[2:3]
	scratch_store_b128 off, v[0:3], off offset:768
	s_waitcnt lgkmcnt(0)
	v_mul_f64 v[113:114], v[43:44], v[2:3]
	v_fma_f64 v[4:5], v[12:13], v[0:1], -v[4:5]
	v_fma_f64 v[6:7], v[14:15], v[0:1], v[6:7]
	s_delay_alu instid0(VALU_DEP_3) | instskip(SKIP_1) | instid1(VALU_DEP_3)
	v_fma_f64 v[113:114], v[41:42], v[0:1], -v[113:114]
	s_waitcnt vmcnt(0)
	v_add_f64 v[4:5], v[8:9], -v[4:5]
	s_delay_alu instid0(VALU_DEP_3)
	v_add_f64 v[6:7], v[10:11], -v[6:7]
	s_clause 0xb
	scratch_load_b128 v[8:11], off, off offset:768
	scratch_load_b128 v[12:15], off, off offset:816
	;; [unrolled: 1-line block ×12, first 2 shown]
	ds_load_2addr_b64 v[168:171], v20 offset0:102 offset1:103
	ds_load_2addr_b64 v[172:175], v20 offset0:104 offset1:105
	;; [unrolled: 1-line block ×10, first 2 shown]
	s_waitcnt lgkmcnt(9)
	v_mul_f64 v[49:50], v[170:171], v[2:3]
	s_waitcnt lgkmcnt(8)
	v_mul_f64 v[65:66], v[174:175], v[2:3]
	v_mul_f64 v[69:70], v[172:173], v[2:3]
	;; [unrolled: 1-line block ×3, first 2 shown]
	s_waitcnt lgkmcnt(7)
	v_mul_f64 v[77:78], v[178:179], v[2:3]
	v_mul_f64 v[102:103], v[176:177], v[2:3]
	s_waitcnt lgkmcnt(6)
	v_mul_f64 v[105:106], v[182:183], v[2:3]
	v_mul_f64 v[109:110], v[180:181], v[2:3]
	;; [unrolled: 1-line block ×3, first 2 shown]
	v_fma_f64 v[49:50], v[168:169], v[0:1], -v[49:50]
	v_fma_f64 v[65:66], v[172:173], v[0:1], -v[65:66]
	v_fma_f64 v[69:70], v[174:175], v[0:1], v[69:70]
	v_fma_f64 v[53:54], v[170:171], v[0:1], v[53:54]
	v_fma_f64 v[77:78], v[176:177], v[0:1], -v[77:78]
	v_fma_f64 v[102:103], v[178:179], v[0:1], v[102:103]
	v_fma_f64 v[105:106], v[180:181], v[0:1], -v[105:106]
	v_fma_f64 v[109:110], v[182:183], v[0:1], v[109:110]
	v_fma_f64 v[168:169], v[43:44], v[0:1], v[2:3]
	s_waitcnt vmcnt(11) lgkmcnt(5)
	v_mul_f64 v[117:118], v[186:187], v[10:11]
	v_mul_f64 v[121:122], v[184:185], v[10:11]
	s_waitcnt lgkmcnt(4)
	v_mul_f64 v[125:126], v[190:191], v[10:11]
	v_mul_f64 v[208:209], v[188:189], v[10:11]
	s_waitcnt lgkmcnt(3)
	;; [unrolled: 3-line block ×5, first 2 shown]
	v_mul_f64 v[222:223], v[206:207], v[10:11]
	v_mul_f64 v[10:11], v[204:205], v[10:11]
	s_waitcnt vmcnt(10)
	v_add_f64 v[0:1], v[12:13], -v[49:50]
	v_add_f64 v[2:3], v[14:15], -v[53:54]
	s_waitcnt vmcnt(8)
	v_add_f64 v[12:13], v[57:58], -v[77:78]
	v_add_f64 v[14:15], v[59:60], -v[102:103]
	;; [unrolled: 3-line block ×3, first 2 shown]
	v_fma_f64 v[117:118], v[184:185], v[8:9], -v[117:118]
	v_fma_f64 v[121:122], v[186:187], v[8:9], v[121:122]
	v_fma_f64 v[125:126], v[188:189], v[8:9], -v[125:126]
	v_fma_f64 v[170:171], v[190:191], v[8:9], v[208:209]
	;; [unrolled: 2-line block ×6, first 2 shown]
	v_add_f64 v[8:9], v[45:46], -v[65:66]
	v_add_f64 v[10:11], v[47:48], -v[69:70]
	s_waitcnt vmcnt(6)
	v_add_f64 v[45:46], v[73:74], -v[113:114]
	v_add_f64 v[47:48], v[75:76], -v[168:169]
	s_waitcnt vmcnt(5)
	;; [unrolled: 3-line block ×7, first 2 shown]
	v_add_f64 v[89:90], v[164:165], -v[184:185]
	v_add_f64 v[91:92], v[166:167], -v[186:187]
	s_clause 0xb
	scratch_store_b128 off, v[4:7], off offset:784
	scratch_store_b128 off, v[8:11], off offset:832
	;; [unrolled: 1-line block ×12, first 2 shown]
.LBB120_1151:
	s_or_b32 exec_lo, exec_lo, s2
	s_waitcnt_vscnt null, 0x0
	s_barrier
	buffer_gl0_inv
	scratch_load_b128 v[0:3], v147, off
	v_lshl_add_u32 v4, v38, 4, v20
	s_cmp_lt_i32 s5, 51
	s_waitcnt vmcnt(0)
	ds_store_2addr_b64 v4, v[0:1], v[2:3] offset1:1
	s_waitcnt lgkmcnt(0)
	s_barrier
	buffer_gl0_inv
	ds_load_2addr_b64 v[0:3], v20 offset0:98 offset1:99
	v_mov_b32_e32 v4, 49
	s_cbranch_scc1 .LBB120_1154
; %bb.1152:
	v_add3_u32 v5, v36, 0, 0x320
	v_mov_b32_e32 v4, 49
	s_mov_b32 s6, 50
	s_set_inst_prefetch_distance 0x1
	.p2align	6
.LBB120_1153:                           ; =>This Inner Loop Header: Depth=1
	ds_load_2addr_b64 v[6:9], v5 offset1:1
	s_waitcnt lgkmcnt(1)
	v_cmp_gt_f64_e32 vcc_lo, 0, v[0:1]
	v_xor_b32_e32 v10, 0x80000000, v1
	v_cmp_gt_f64_e64 s2, 0, v[2:3]
	v_xor_b32_e32 v12, 0x80000000, v3
	v_add_nc_u32_e32 v5, 16, v5
	s_waitcnt lgkmcnt(0)
	v_cmp_gt_f64_e64 s3, 0, v[6:7]
	v_dual_mov_b32 v41, v8 :: v_dual_mov_b32 v14, v6
	v_cndmask_b32_e32 v11, v1, v10, vcc_lo
	v_xor_b32_e32 v10, 0x80000000, v7
	v_cndmask_b32_e64 v13, v3, v12, s2
	v_xor_b32_e32 v12, 0x80000000, v9
	s_delay_alu instid0(VALU_DEP_3) | instskip(SKIP_2) | instid1(VALU_DEP_2)
	v_cndmask_b32_e64 v15, v7, v10, s3
	v_cmp_gt_f64_e64 s3, 0, v[8:9]
	v_cndmask_b32_e32 v10, v0, v0, vcc_lo
	v_cndmask_b32_e64 v42, v9, v12, s3
	v_cndmask_b32_e64 v12, v2, v2, s2
	s_delay_alu instid0(VALU_DEP_2) | instskip(NEXT) | instid1(VALU_DEP_2)
	v_add_f64 v[14:15], v[14:15], v[41:42]
	v_add_f64 v[10:11], v[10:11], v[12:13]
	s_delay_alu instid0(VALU_DEP_1) | instskip(SKIP_4) | instid1(SALU_CYCLE_1)
	v_cmp_lt_f64_e32 vcc_lo, v[10:11], v[14:15]
	v_dual_cndmask_b32 v1, v1, v7 :: v_dual_cndmask_b32 v0, v0, v6
	v_dual_cndmask_b32 v3, v3, v9 :: v_dual_cndmask_b32 v2, v2, v8
	v_cndmask_b32_e64 v4, v4, s6, vcc_lo
	s_add_i32 s6, s6, 1
	s_cmp_lg_u32 s5, s6
	s_cbranch_scc1 .LBB120_1153
.LBB120_1154:
	s_set_inst_prefetch_distance 0x2
	s_waitcnt lgkmcnt(0)
	v_cmp_eq_f64_e32 vcc_lo, 0, v[0:1]
	v_cmp_eq_f64_e64 s2, 0, v[2:3]
	s_delay_alu instid0(VALU_DEP_1) | instskip(NEXT) | instid1(SALU_CYCLE_1)
	s_and_b32 s2, vcc_lo, s2
	s_and_saveexec_b32 s3, s2
	s_delay_alu instid0(SALU_CYCLE_1)
	s_xor_b32 s2, exec_lo, s3
; %bb.1155:
	v_cmp_ne_u32_e32 vcc_lo, 0, v35
	v_cndmask_b32_e32 v35, 50, v35, vcc_lo
; %bb.1156:
	s_and_not1_saveexec_b32 s3, s2
	s_cbranch_execz .LBB120_1162
; %bb.1157:
	v_cmp_gt_f64_e32 vcc_lo, 0, v[0:1]
	v_cmp_gt_f64_e64 s2, 0, v[2:3]
	v_xor_b32_e32 v5, 0x80000000, v1
	v_xor_b32_e32 v7, 0x80000000, v3
	s_delay_alu instid0(VALU_DEP_2) | instskip(NEXT) | instid1(VALU_DEP_2)
	v_dual_cndmask_b32 v6, v1, v5 :: v_dual_cndmask_b32 v5, v0, v0
	v_cndmask_b32_e64 v8, v3, v7, s2
	v_cndmask_b32_e64 v7, v2, v2, s2
	s_mov_b32 s2, exec_lo
	s_delay_alu instid0(VALU_DEP_1)
	v_cmpx_ngt_f64_e32 v[5:6], v[7:8]
	s_xor_b32 s2, exec_lo, s2
	s_cbranch_execz .LBB120_1159
; %bb.1158:
	v_div_scale_f64 v[5:6], null, v[2:3], v[2:3], v[0:1]
	v_div_scale_f64 v[11:12], vcc_lo, v[0:1], v[2:3], v[0:1]
	s_delay_alu instid0(VALU_DEP_2) | instskip(SKIP_2) | instid1(VALU_DEP_1)
	v_rcp_f64_e32 v[7:8], v[5:6]
	s_waitcnt_depctr 0xfff
	v_fma_f64 v[9:10], -v[5:6], v[7:8], 1.0
	v_fma_f64 v[7:8], v[7:8], v[9:10], v[7:8]
	s_delay_alu instid0(VALU_DEP_1) | instskip(NEXT) | instid1(VALU_DEP_1)
	v_fma_f64 v[9:10], -v[5:6], v[7:8], 1.0
	v_fma_f64 v[7:8], v[7:8], v[9:10], v[7:8]
	s_delay_alu instid0(VALU_DEP_1) | instskip(NEXT) | instid1(VALU_DEP_1)
	v_mul_f64 v[9:10], v[11:12], v[7:8]
	v_fma_f64 v[5:6], -v[5:6], v[9:10], v[11:12]
	s_delay_alu instid0(VALU_DEP_1) | instskip(NEXT) | instid1(VALU_DEP_1)
	v_div_fmas_f64 v[5:6], v[5:6], v[7:8], v[9:10]
	v_div_fixup_f64 v[5:6], v[5:6], v[2:3], v[0:1]
	s_delay_alu instid0(VALU_DEP_1) | instskip(NEXT) | instid1(VALU_DEP_1)
	v_fma_f64 v[0:1], v[0:1], v[5:6], v[2:3]
	v_div_scale_f64 v[2:3], null, v[0:1], v[0:1], 1.0
	s_delay_alu instid0(VALU_DEP_1) | instskip(SKIP_2) | instid1(VALU_DEP_1)
	v_rcp_f64_e32 v[7:8], v[2:3]
	s_waitcnt_depctr 0xfff
	v_fma_f64 v[9:10], -v[2:3], v[7:8], 1.0
	v_fma_f64 v[7:8], v[7:8], v[9:10], v[7:8]
	s_delay_alu instid0(VALU_DEP_1) | instskip(NEXT) | instid1(VALU_DEP_1)
	v_fma_f64 v[9:10], -v[2:3], v[7:8], 1.0
	v_fma_f64 v[7:8], v[7:8], v[9:10], v[7:8]
	v_div_scale_f64 v[9:10], vcc_lo, 1.0, v[0:1], 1.0
	s_delay_alu instid0(VALU_DEP_1) | instskip(NEXT) | instid1(VALU_DEP_1)
	v_mul_f64 v[11:12], v[9:10], v[7:8]
	v_fma_f64 v[2:3], -v[2:3], v[11:12], v[9:10]
	s_delay_alu instid0(VALU_DEP_1) | instskip(NEXT) | instid1(VALU_DEP_1)
	v_div_fmas_f64 v[2:3], v[2:3], v[7:8], v[11:12]
	v_div_fixup_f64 v[2:3], v[2:3], v[0:1], 1.0
	s_delay_alu instid0(VALU_DEP_1)
	v_mul_f64 v[0:1], v[5:6], v[2:3]
	v_xor_b32_e32 v3, 0x80000000, v3
.LBB120_1159:
	s_and_not1_saveexec_b32 s2, s2
	s_cbranch_execz .LBB120_1161
; %bb.1160:
	s_delay_alu instid0(VALU_DEP_1) | instskip(SKIP_1) | instid1(VALU_DEP_2)
	v_div_scale_f64 v[5:6], null, v[0:1], v[0:1], v[2:3]
	v_div_scale_f64 v[11:12], vcc_lo, v[2:3], v[0:1], v[2:3]
	v_rcp_f64_e32 v[7:8], v[5:6]
	s_waitcnt_depctr 0xfff
	v_fma_f64 v[9:10], -v[5:6], v[7:8], 1.0
	s_delay_alu instid0(VALU_DEP_1) | instskip(NEXT) | instid1(VALU_DEP_1)
	v_fma_f64 v[7:8], v[7:8], v[9:10], v[7:8]
	v_fma_f64 v[9:10], -v[5:6], v[7:8], 1.0
	s_delay_alu instid0(VALU_DEP_1) | instskip(NEXT) | instid1(VALU_DEP_1)
	v_fma_f64 v[7:8], v[7:8], v[9:10], v[7:8]
	v_mul_f64 v[9:10], v[11:12], v[7:8]
	s_delay_alu instid0(VALU_DEP_1) | instskip(NEXT) | instid1(VALU_DEP_1)
	v_fma_f64 v[5:6], -v[5:6], v[9:10], v[11:12]
	v_div_fmas_f64 v[5:6], v[5:6], v[7:8], v[9:10]
	s_delay_alu instid0(VALU_DEP_1) | instskip(NEXT) | instid1(VALU_DEP_1)
	v_div_fixup_f64 v[5:6], v[5:6], v[0:1], v[2:3]
	v_fma_f64 v[0:1], v[2:3], v[5:6], v[0:1]
	s_delay_alu instid0(VALU_DEP_1) | instskip(NEXT) | instid1(VALU_DEP_1)
	v_div_scale_f64 v[2:3], null, v[0:1], v[0:1], 1.0
	v_rcp_f64_e32 v[7:8], v[2:3]
	s_waitcnt_depctr 0xfff
	v_fma_f64 v[9:10], -v[2:3], v[7:8], 1.0
	s_delay_alu instid0(VALU_DEP_1) | instskip(NEXT) | instid1(VALU_DEP_1)
	v_fma_f64 v[7:8], v[7:8], v[9:10], v[7:8]
	v_fma_f64 v[9:10], -v[2:3], v[7:8], 1.0
	s_delay_alu instid0(VALU_DEP_1) | instskip(SKIP_1) | instid1(VALU_DEP_1)
	v_fma_f64 v[7:8], v[7:8], v[9:10], v[7:8]
	v_div_scale_f64 v[9:10], vcc_lo, 1.0, v[0:1], 1.0
	v_mul_f64 v[11:12], v[9:10], v[7:8]
	s_delay_alu instid0(VALU_DEP_1) | instskip(NEXT) | instid1(VALU_DEP_1)
	v_fma_f64 v[2:3], -v[2:3], v[11:12], v[9:10]
	v_div_fmas_f64 v[2:3], v[2:3], v[7:8], v[11:12]
	s_delay_alu instid0(VALU_DEP_1) | instskip(NEXT) | instid1(VALU_DEP_1)
	v_div_fixup_f64 v[0:1], v[2:3], v[0:1], 1.0
	v_mul_f64 v[2:3], v[5:6], -v[0:1]
.LBB120_1161:
	s_or_b32 exec_lo, exec_lo, s2
.LBB120_1162:
	s_delay_alu instid0(SALU_CYCLE_1) | instskip(NEXT) | instid1(SALU_CYCLE_1)
	s_or_b32 exec_lo, exec_lo, s3
	s_mov_b32 s2, exec_lo
	v_cmpx_ne_u32_e64 v38, v4
	s_xor_b32 s2, exec_lo, s2
	s_cbranch_execz .LBB120_1168
; %bb.1163:
	s_mov_b32 s3, exec_lo
	v_cmpx_eq_u32_e32 49, v38
	s_cbranch_execz .LBB120_1167
; %bb.1164:
	v_cmp_ne_u32_e32 vcc_lo, 49, v4
	s_xor_b32 s6, s4, -1
	s_delay_alu instid0(SALU_CYCLE_1) | instskip(NEXT) | instid1(SALU_CYCLE_1)
	s_and_b32 s7, s6, vcc_lo
	s_and_saveexec_b32 s6, s7
	s_cbranch_execz .LBB120_1166
; %bb.1165:
	v_ashrrev_i32_e32 v5, 31, v4
	s_delay_alu instid0(VALU_DEP_1) | instskip(NEXT) | instid1(VALU_DEP_1)
	v_lshlrev_b64 v[5:6], 2, v[4:5]
	v_add_co_u32 v5, vcc_lo, v18, v5
	s_delay_alu instid0(VALU_DEP_2)
	v_add_co_ci_u32_e32 v6, vcc_lo, v19, v6, vcc_lo
	s_clause 0x1
	flat_load_b32 v7, v[5:6]
	flat_load_b32 v8, v[18:19] offset:196
	s_waitcnt vmcnt(1) lgkmcnt(1)
	flat_store_b32 v[18:19], v7 offset:196
	s_waitcnt vmcnt(0) lgkmcnt(1)
	flat_store_b32 v[5:6], v8
.LBB120_1166:
	s_or_b32 exec_lo, exec_lo, s6
	v_mov_b32_e32 v38, v4
	v_mov_b32_e32 v37, v4
.LBB120_1167:
	s_or_b32 exec_lo, exec_lo, s3
.LBB120_1168:
	s_and_not1_saveexec_b32 s2, s2
	s_cbranch_execz .LBB120_1170
; %bb.1169:
	s_clause 0xa
	scratch_load_b128 v[4:7], v140, off
	scratch_load_b128 v[8:11], v145, off
	;; [unrolled: 1-line block ×11, first 2 shown]
	v_mov_b32_e32 v38, 49
	s_waitcnt vmcnt(10)
	ds_store_2addr_b64 v20, v[4:5], v[6:7] offset0:100 offset1:101
	s_waitcnt vmcnt(9)
	ds_store_2addr_b64 v20, v[8:9], v[10:11] offset0:102 offset1:103
	;; [unrolled: 2-line block ×11, first 2 shown]
.LBB120_1170:
	s_or_b32 exec_lo, exec_lo, s2
	s_delay_alu instid0(SALU_CYCLE_1)
	s_mov_b32 s2, exec_lo
	s_waitcnt lgkmcnt(0)
	s_waitcnt_vscnt null, 0x0
	s_barrier
	buffer_gl0_inv
	v_cmpx_lt_i32_e32 49, v38
	s_cbranch_execz .LBB120_1172
; %bb.1171:
	s_clause 0x1
	scratch_load_b128 v[4:7], off, off offset:784
	scratch_load_b128 v[8:11], off, off offset:800
	s_waitcnt vmcnt(1)
	v_mul_f64 v[12:13], v[0:1], v[6:7]
	v_mul_f64 v[6:7], v[2:3], v[6:7]
	s_delay_alu instid0(VALU_DEP_2)
	v_fma_f64 v[2:3], v[2:3], v[4:5], v[12:13]
	ds_load_2addr_b64 v[12:15], v20 offset0:100 offset1:101
	ds_load_2addr_b64 v[41:44], v20 offset0:102 offset1:103
	v_fma_f64 v[0:1], v[0:1], v[4:5], -v[6:7]
	s_waitcnt lgkmcnt(1)
	v_mul_f64 v[4:5], v[14:15], v[2:3]
	v_mul_f64 v[6:7], v[12:13], v[2:3]
	scratch_store_b128 off, v[0:3], off offset:784
	s_waitcnt lgkmcnt(0)
	v_mul_f64 v[113:114], v[43:44], v[2:3]
	v_fma_f64 v[4:5], v[12:13], v[0:1], -v[4:5]
	v_fma_f64 v[6:7], v[14:15], v[0:1], v[6:7]
	s_delay_alu instid0(VALU_DEP_3) | instskip(SKIP_1) | instid1(VALU_DEP_3)
	v_fma_f64 v[113:114], v[41:42], v[0:1], -v[113:114]
	s_waitcnt vmcnt(0)
	v_add_f64 v[4:5], v[8:9], -v[4:5]
	s_delay_alu instid0(VALU_DEP_3)
	v_add_f64 v[6:7], v[10:11], -v[6:7]
	s_clause 0xa
	scratch_load_b128 v[8:11], off, off offset:784
	scratch_load_b128 v[12:15], off, off offset:832
	;; [unrolled: 1-line block ×11, first 2 shown]
	ds_load_2addr_b64 v[164:167], v20 offset0:104 offset1:105
	ds_load_2addr_b64 v[168:171], v20 offset0:106 offset1:107
	;; [unrolled: 1-line block ×9, first 2 shown]
	s_waitcnt lgkmcnt(8)
	v_mul_f64 v[49:50], v[166:167], v[2:3]
	s_waitcnt lgkmcnt(7)
	v_mul_f64 v[65:66], v[170:171], v[2:3]
	v_mul_f64 v[69:70], v[168:169], v[2:3]
	;; [unrolled: 1-line block ×3, first 2 shown]
	s_waitcnt lgkmcnt(6)
	v_mul_f64 v[77:78], v[174:175], v[2:3]
	v_mul_f64 v[102:103], v[172:173], v[2:3]
	s_waitcnt lgkmcnt(5)
	v_mul_f64 v[105:106], v[178:179], v[2:3]
	v_mul_f64 v[109:110], v[176:177], v[2:3]
	;; [unrolled: 1-line block ×3, first 2 shown]
	v_fma_f64 v[49:50], v[164:165], v[0:1], -v[49:50]
	v_fma_f64 v[65:66], v[168:169], v[0:1], -v[65:66]
	v_fma_f64 v[69:70], v[170:171], v[0:1], v[69:70]
	v_fma_f64 v[53:54], v[166:167], v[0:1], v[53:54]
	v_fma_f64 v[77:78], v[172:173], v[0:1], -v[77:78]
	v_fma_f64 v[102:103], v[174:175], v[0:1], v[102:103]
	v_fma_f64 v[105:106], v[176:177], v[0:1], -v[105:106]
	v_fma_f64 v[109:110], v[178:179], v[0:1], v[109:110]
	v_fma_f64 v[164:165], v[43:44], v[0:1], v[2:3]
	s_waitcnt vmcnt(10) lgkmcnt(4)
	v_mul_f64 v[117:118], v[182:183], v[10:11]
	v_mul_f64 v[121:122], v[180:181], v[10:11]
	s_waitcnt lgkmcnt(3)
	v_mul_f64 v[125:126], v[186:187], v[10:11]
	v_mul_f64 v[200:201], v[184:185], v[10:11]
	s_waitcnt lgkmcnt(2)
	;; [unrolled: 3-line block ×4, first 2 shown]
	v_mul_f64 v[210:211], v[198:199], v[10:11]
	v_mul_f64 v[10:11], v[196:197], v[10:11]
	s_waitcnt vmcnt(9)
	v_add_f64 v[0:1], v[12:13], -v[49:50]
	v_add_f64 v[2:3], v[14:15], -v[53:54]
	s_waitcnt vmcnt(7)
	v_add_f64 v[12:13], v[57:58], -v[77:78]
	v_add_f64 v[14:15], v[59:60], -v[102:103]
	;; [unrolled: 3-line block ×3, first 2 shown]
	v_fma_f64 v[117:118], v[180:181], v[8:9], -v[117:118]
	v_fma_f64 v[121:122], v[182:183], v[8:9], v[121:122]
	v_fma_f64 v[125:126], v[184:185], v[8:9], -v[125:126]
	v_fma_f64 v[166:167], v[186:187], v[8:9], v[200:201]
	;; [unrolled: 2-line block ×5, first 2 shown]
	v_add_f64 v[8:9], v[45:46], -v[65:66]
	v_add_f64 v[10:11], v[47:48], -v[69:70]
	s_waitcnt vmcnt(5)
	v_add_f64 v[45:46], v[73:74], -v[113:114]
	v_add_f64 v[47:48], v[75:76], -v[164:165]
	s_waitcnt vmcnt(4)
	;; [unrolled: 3-line block ×6, first 2 shown]
	v_add_f64 v[85:86], v[129:130], -v[176:177]
	v_add_f64 v[87:88], v[131:132], -v[178:179]
	s_clause 0xa
	scratch_store_b128 off, v[4:7], off offset:800
	scratch_store_b128 off, v[8:11], off offset:848
	;; [unrolled: 1-line block ×11, first 2 shown]
.LBB120_1172:
	s_or_b32 exec_lo, exec_lo, s2
	s_waitcnt_vscnt null, 0x0
	s_barrier
	buffer_gl0_inv
	scratch_load_b128 v[0:3], v140, off
	v_lshl_add_u32 v4, v38, 4, v20
	s_cmp_lt_i32 s5, 52
	s_waitcnt vmcnt(0)
	ds_store_2addr_b64 v4, v[0:1], v[2:3] offset1:1
	s_waitcnt lgkmcnt(0)
	s_barrier
	buffer_gl0_inv
	ds_load_2addr_b64 v[0:3], v20 offset0:100 offset1:101
	v_mov_b32_e32 v4, 50
	s_cbranch_scc1 .LBB120_1175
; %bb.1173:
	v_add3_u32 v5, v36, 0, 0x330
	v_mov_b32_e32 v4, 50
	s_mov_b32 s6, 51
	s_set_inst_prefetch_distance 0x1
	.p2align	6
.LBB120_1174:                           ; =>This Inner Loop Header: Depth=1
	ds_load_2addr_b64 v[6:9], v5 offset1:1
	s_waitcnt lgkmcnt(1)
	v_cmp_gt_f64_e32 vcc_lo, 0, v[0:1]
	v_xor_b32_e32 v10, 0x80000000, v1
	v_cmp_gt_f64_e64 s2, 0, v[2:3]
	v_xor_b32_e32 v12, 0x80000000, v3
	v_add_nc_u32_e32 v5, 16, v5
	s_waitcnt lgkmcnt(0)
	v_cmp_gt_f64_e64 s3, 0, v[6:7]
	v_dual_mov_b32 v41, v8 :: v_dual_mov_b32 v14, v6
	v_cndmask_b32_e32 v11, v1, v10, vcc_lo
	v_xor_b32_e32 v10, 0x80000000, v7
	v_cndmask_b32_e64 v13, v3, v12, s2
	v_xor_b32_e32 v12, 0x80000000, v9
	s_delay_alu instid0(VALU_DEP_3) | instskip(SKIP_2) | instid1(VALU_DEP_2)
	v_cndmask_b32_e64 v15, v7, v10, s3
	v_cmp_gt_f64_e64 s3, 0, v[8:9]
	v_cndmask_b32_e32 v10, v0, v0, vcc_lo
	v_cndmask_b32_e64 v42, v9, v12, s3
	v_cndmask_b32_e64 v12, v2, v2, s2
	s_delay_alu instid0(VALU_DEP_2) | instskip(NEXT) | instid1(VALU_DEP_2)
	v_add_f64 v[14:15], v[14:15], v[41:42]
	v_add_f64 v[10:11], v[10:11], v[12:13]
	s_delay_alu instid0(VALU_DEP_1) | instskip(SKIP_4) | instid1(SALU_CYCLE_1)
	v_cmp_lt_f64_e32 vcc_lo, v[10:11], v[14:15]
	v_dual_cndmask_b32 v1, v1, v7 :: v_dual_cndmask_b32 v0, v0, v6
	v_dual_cndmask_b32 v3, v3, v9 :: v_dual_cndmask_b32 v2, v2, v8
	v_cndmask_b32_e64 v4, v4, s6, vcc_lo
	s_add_i32 s6, s6, 1
	s_cmp_lg_u32 s5, s6
	s_cbranch_scc1 .LBB120_1174
.LBB120_1175:
	s_set_inst_prefetch_distance 0x2
	s_waitcnt lgkmcnt(0)
	v_cmp_eq_f64_e32 vcc_lo, 0, v[0:1]
	v_cmp_eq_f64_e64 s2, 0, v[2:3]
	s_delay_alu instid0(VALU_DEP_1) | instskip(NEXT) | instid1(SALU_CYCLE_1)
	s_and_b32 s2, vcc_lo, s2
	s_and_saveexec_b32 s3, s2
	s_delay_alu instid0(SALU_CYCLE_1)
	s_xor_b32 s2, exec_lo, s3
; %bb.1176:
	v_cmp_ne_u32_e32 vcc_lo, 0, v35
	v_cndmask_b32_e32 v35, 51, v35, vcc_lo
; %bb.1177:
	s_and_not1_saveexec_b32 s3, s2
	s_cbranch_execz .LBB120_1183
; %bb.1178:
	v_cmp_gt_f64_e32 vcc_lo, 0, v[0:1]
	v_cmp_gt_f64_e64 s2, 0, v[2:3]
	v_xor_b32_e32 v5, 0x80000000, v1
	v_xor_b32_e32 v7, 0x80000000, v3
	s_delay_alu instid0(VALU_DEP_2) | instskip(NEXT) | instid1(VALU_DEP_2)
	v_dual_cndmask_b32 v6, v1, v5 :: v_dual_cndmask_b32 v5, v0, v0
	v_cndmask_b32_e64 v8, v3, v7, s2
	v_cndmask_b32_e64 v7, v2, v2, s2
	s_mov_b32 s2, exec_lo
	s_delay_alu instid0(VALU_DEP_1)
	v_cmpx_ngt_f64_e32 v[5:6], v[7:8]
	s_xor_b32 s2, exec_lo, s2
	s_cbranch_execz .LBB120_1180
; %bb.1179:
	v_div_scale_f64 v[5:6], null, v[2:3], v[2:3], v[0:1]
	v_div_scale_f64 v[11:12], vcc_lo, v[0:1], v[2:3], v[0:1]
	s_delay_alu instid0(VALU_DEP_2) | instskip(SKIP_2) | instid1(VALU_DEP_1)
	v_rcp_f64_e32 v[7:8], v[5:6]
	s_waitcnt_depctr 0xfff
	v_fma_f64 v[9:10], -v[5:6], v[7:8], 1.0
	v_fma_f64 v[7:8], v[7:8], v[9:10], v[7:8]
	s_delay_alu instid0(VALU_DEP_1) | instskip(NEXT) | instid1(VALU_DEP_1)
	v_fma_f64 v[9:10], -v[5:6], v[7:8], 1.0
	v_fma_f64 v[7:8], v[7:8], v[9:10], v[7:8]
	s_delay_alu instid0(VALU_DEP_1) | instskip(NEXT) | instid1(VALU_DEP_1)
	v_mul_f64 v[9:10], v[11:12], v[7:8]
	v_fma_f64 v[5:6], -v[5:6], v[9:10], v[11:12]
	s_delay_alu instid0(VALU_DEP_1) | instskip(NEXT) | instid1(VALU_DEP_1)
	v_div_fmas_f64 v[5:6], v[5:6], v[7:8], v[9:10]
	v_div_fixup_f64 v[5:6], v[5:6], v[2:3], v[0:1]
	s_delay_alu instid0(VALU_DEP_1) | instskip(NEXT) | instid1(VALU_DEP_1)
	v_fma_f64 v[0:1], v[0:1], v[5:6], v[2:3]
	v_div_scale_f64 v[2:3], null, v[0:1], v[0:1], 1.0
	s_delay_alu instid0(VALU_DEP_1) | instskip(SKIP_2) | instid1(VALU_DEP_1)
	v_rcp_f64_e32 v[7:8], v[2:3]
	s_waitcnt_depctr 0xfff
	v_fma_f64 v[9:10], -v[2:3], v[7:8], 1.0
	v_fma_f64 v[7:8], v[7:8], v[9:10], v[7:8]
	s_delay_alu instid0(VALU_DEP_1) | instskip(NEXT) | instid1(VALU_DEP_1)
	v_fma_f64 v[9:10], -v[2:3], v[7:8], 1.0
	v_fma_f64 v[7:8], v[7:8], v[9:10], v[7:8]
	v_div_scale_f64 v[9:10], vcc_lo, 1.0, v[0:1], 1.0
	s_delay_alu instid0(VALU_DEP_1) | instskip(NEXT) | instid1(VALU_DEP_1)
	v_mul_f64 v[11:12], v[9:10], v[7:8]
	v_fma_f64 v[2:3], -v[2:3], v[11:12], v[9:10]
	s_delay_alu instid0(VALU_DEP_1) | instskip(NEXT) | instid1(VALU_DEP_1)
	v_div_fmas_f64 v[2:3], v[2:3], v[7:8], v[11:12]
	v_div_fixup_f64 v[2:3], v[2:3], v[0:1], 1.0
	s_delay_alu instid0(VALU_DEP_1)
	v_mul_f64 v[0:1], v[5:6], v[2:3]
	v_xor_b32_e32 v3, 0x80000000, v3
.LBB120_1180:
	s_and_not1_saveexec_b32 s2, s2
	s_cbranch_execz .LBB120_1182
; %bb.1181:
	s_delay_alu instid0(VALU_DEP_1) | instskip(SKIP_1) | instid1(VALU_DEP_2)
	v_div_scale_f64 v[5:6], null, v[0:1], v[0:1], v[2:3]
	v_div_scale_f64 v[11:12], vcc_lo, v[2:3], v[0:1], v[2:3]
	v_rcp_f64_e32 v[7:8], v[5:6]
	s_waitcnt_depctr 0xfff
	v_fma_f64 v[9:10], -v[5:6], v[7:8], 1.0
	s_delay_alu instid0(VALU_DEP_1) | instskip(NEXT) | instid1(VALU_DEP_1)
	v_fma_f64 v[7:8], v[7:8], v[9:10], v[7:8]
	v_fma_f64 v[9:10], -v[5:6], v[7:8], 1.0
	s_delay_alu instid0(VALU_DEP_1) | instskip(NEXT) | instid1(VALU_DEP_1)
	v_fma_f64 v[7:8], v[7:8], v[9:10], v[7:8]
	v_mul_f64 v[9:10], v[11:12], v[7:8]
	s_delay_alu instid0(VALU_DEP_1) | instskip(NEXT) | instid1(VALU_DEP_1)
	v_fma_f64 v[5:6], -v[5:6], v[9:10], v[11:12]
	v_div_fmas_f64 v[5:6], v[5:6], v[7:8], v[9:10]
	s_delay_alu instid0(VALU_DEP_1) | instskip(NEXT) | instid1(VALU_DEP_1)
	v_div_fixup_f64 v[5:6], v[5:6], v[0:1], v[2:3]
	v_fma_f64 v[0:1], v[2:3], v[5:6], v[0:1]
	s_delay_alu instid0(VALU_DEP_1) | instskip(NEXT) | instid1(VALU_DEP_1)
	v_div_scale_f64 v[2:3], null, v[0:1], v[0:1], 1.0
	v_rcp_f64_e32 v[7:8], v[2:3]
	s_waitcnt_depctr 0xfff
	v_fma_f64 v[9:10], -v[2:3], v[7:8], 1.0
	s_delay_alu instid0(VALU_DEP_1) | instskip(NEXT) | instid1(VALU_DEP_1)
	v_fma_f64 v[7:8], v[7:8], v[9:10], v[7:8]
	v_fma_f64 v[9:10], -v[2:3], v[7:8], 1.0
	s_delay_alu instid0(VALU_DEP_1) | instskip(SKIP_1) | instid1(VALU_DEP_1)
	v_fma_f64 v[7:8], v[7:8], v[9:10], v[7:8]
	v_div_scale_f64 v[9:10], vcc_lo, 1.0, v[0:1], 1.0
	v_mul_f64 v[11:12], v[9:10], v[7:8]
	s_delay_alu instid0(VALU_DEP_1) | instskip(NEXT) | instid1(VALU_DEP_1)
	v_fma_f64 v[2:3], -v[2:3], v[11:12], v[9:10]
	v_div_fmas_f64 v[2:3], v[2:3], v[7:8], v[11:12]
	s_delay_alu instid0(VALU_DEP_1) | instskip(NEXT) | instid1(VALU_DEP_1)
	v_div_fixup_f64 v[0:1], v[2:3], v[0:1], 1.0
	v_mul_f64 v[2:3], v[5:6], -v[0:1]
.LBB120_1182:
	s_or_b32 exec_lo, exec_lo, s2
.LBB120_1183:
	s_delay_alu instid0(SALU_CYCLE_1) | instskip(NEXT) | instid1(SALU_CYCLE_1)
	s_or_b32 exec_lo, exec_lo, s3
	s_mov_b32 s2, exec_lo
	v_cmpx_ne_u32_e64 v38, v4
	s_xor_b32 s2, exec_lo, s2
	s_cbranch_execz .LBB120_1189
; %bb.1184:
	s_mov_b32 s3, exec_lo
	v_cmpx_eq_u32_e32 50, v38
	s_cbranch_execz .LBB120_1188
; %bb.1185:
	v_cmp_ne_u32_e32 vcc_lo, 50, v4
	s_xor_b32 s6, s4, -1
	s_delay_alu instid0(SALU_CYCLE_1) | instskip(NEXT) | instid1(SALU_CYCLE_1)
	s_and_b32 s7, s6, vcc_lo
	s_and_saveexec_b32 s6, s7
	s_cbranch_execz .LBB120_1187
; %bb.1186:
	v_ashrrev_i32_e32 v5, 31, v4
	s_delay_alu instid0(VALU_DEP_1) | instskip(NEXT) | instid1(VALU_DEP_1)
	v_lshlrev_b64 v[5:6], 2, v[4:5]
	v_add_co_u32 v5, vcc_lo, v18, v5
	s_delay_alu instid0(VALU_DEP_2)
	v_add_co_ci_u32_e32 v6, vcc_lo, v19, v6, vcc_lo
	s_clause 0x1
	flat_load_b32 v7, v[5:6]
	flat_load_b32 v8, v[18:19] offset:200
	s_waitcnt vmcnt(1) lgkmcnt(1)
	flat_store_b32 v[18:19], v7 offset:200
	s_waitcnt vmcnt(0) lgkmcnt(1)
	flat_store_b32 v[5:6], v8
.LBB120_1187:
	s_or_b32 exec_lo, exec_lo, s6
	v_mov_b32_e32 v38, v4
	v_mov_b32_e32 v37, v4
.LBB120_1188:
	s_or_b32 exec_lo, exec_lo, s3
.LBB120_1189:
	s_and_not1_saveexec_b32 s2, s2
	s_cbranch_execz .LBB120_1191
; %bb.1190:
	s_clause 0x9
	scratch_load_b128 v[4:7], v145, off
	scratch_load_b128 v[8:11], v144, off
	;; [unrolled: 1-line block ×10, first 2 shown]
	v_mov_b32_e32 v38, 50
	s_waitcnt vmcnt(9)
	ds_store_2addr_b64 v20, v[4:5], v[6:7] offset0:102 offset1:103
	s_waitcnt vmcnt(8)
	ds_store_2addr_b64 v20, v[8:9], v[10:11] offset0:104 offset1:105
	;; [unrolled: 2-line block ×10, first 2 shown]
.LBB120_1191:
	s_or_b32 exec_lo, exec_lo, s2
	s_delay_alu instid0(SALU_CYCLE_1)
	s_mov_b32 s2, exec_lo
	s_waitcnt lgkmcnt(0)
	s_waitcnt_vscnt null, 0x0
	s_barrier
	buffer_gl0_inv
	v_cmpx_lt_i32_e32 50, v38
	s_cbranch_execz .LBB120_1193
; %bb.1192:
	s_clause 0x1
	scratch_load_b128 v[4:7], off, off offset:800
	scratch_load_b128 v[8:11], off, off offset:816
	s_waitcnt vmcnt(1)
	v_mul_f64 v[12:13], v[0:1], v[6:7]
	v_mul_f64 v[6:7], v[2:3], v[6:7]
	s_delay_alu instid0(VALU_DEP_2)
	v_fma_f64 v[2:3], v[2:3], v[4:5], v[12:13]
	ds_load_2addr_b64 v[12:15], v20 offset0:102 offset1:103
	ds_load_2addr_b64 v[41:44], v20 offset0:104 offset1:105
	v_fma_f64 v[0:1], v[0:1], v[4:5], -v[6:7]
	s_waitcnt lgkmcnt(1)
	v_mul_f64 v[4:5], v[14:15], v[2:3]
	v_mul_f64 v[6:7], v[12:13], v[2:3]
	scratch_store_b128 off, v[0:3], off offset:800
	s_waitcnt lgkmcnt(0)
	v_mul_f64 v[113:114], v[43:44], v[2:3]
	v_fma_f64 v[4:5], v[12:13], v[0:1], -v[4:5]
	v_fma_f64 v[6:7], v[14:15], v[0:1], v[6:7]
	s_delay_alu instid0(VALU_DEP_3) | instskip(SKIP_1) | instid1(VALU_DEP_3)
	v_fma_f64 v[113:114], v[41:42], v[0:1], -v[113:114]
	s_waitcnt vmcnt(0)
	v_add_f64 v[4:5], v[8:9], -v[4:5]
	s_delay_alu instid0(VALU_DEP_3)
	v_add_f64 v[6:7], v[10:11], -v[6:7]
	s_clause 0x9
	scratch_load_b128 v[8:11], off, off offset:800
	scratch_load_b128 v[12:15], off, off offset:848
	;; [unrolled: 1-line block ×10, first 2 shown]
	ds_load_2addr_b64 v[129:132], v20 offset0:106 offset1:107
	ds_load_2addr_b64 v[164:167], v20 offset0:108 offset1:109
	;; [unrolled: 1-line block ×8, first 2 shown]
	s_waitcnt lgkmcnt(7)
	v_mul_f64 v[49:50], v[131:132], v[2:3]
	s_waitcnt lgkmcnt(6)
	v_mul_f64 v[65:66], v[166:167], v[2:3]
	v_mul_f64 v[69:70], v[164:165], v[2:3]
	;; [unrolled: 1-line block ×3, first 2 shown]
	s_waitcnt lgkmcnt(5)
	v_mul_f64 v[77:78], v[170:171], v[2:3]
	v_mul_f64 v[102:103], v[168:169], v[2:3]
	s_waitcnt lgkmcnt(4)
	v_mul_f64 v[105:106], v[174:175], v[2:3]
	v_mul_f64 v[109:110], v[172:173], v[2:3]
	;; [unrolled: 1-line block ×3, first 2 shown]
	v_fma_f64 v[49:50], v[129:130], v[0:1], -v[49:50]
	v_fma_f64 v[65:66], v[164:165], v[0:1], -v[65:66]
	v_fma_f64 v[69:70], v[166:167], v[0:1], v[69:70]
	v_fma_f64 v[53:54], v[131:132], v[0:1], v[53:54]
	v_fma_f64 v[77:78], v[168:169], v[0:1], -v[77:78]
	v_fma_f64 v[102:103], v[170:171], v[0:1], v[102:103]
	v_fma_f64 v[105:106], v[172:173], v[0:1], -v[105:106]
	v_fma_f64 v[109:110], v[174:175], v[0:1], v[109:110]
	v_fma_f64 v[129:130], v[43:44], v[0:1], v[2:3]
	s_waitcnt vmcnt(9) lgkmcnt(3)
	v_mul_f64 v[117:118], v[178:179], v[10:11]
	v_mul_f64 v[121:122], v[176:177], v[10:11]
	s_waitcnt lgkmcnt(2)
	v_mul_f64 v[125:126], v[182:183], v[10:11]
	v_mul_f64 v[192:193], v[180:181], v[10:11]
	s_waitcnt lgkmcnt(1)
	;; [unrolled: 3-line block ×3, first 2 shown]
	v_mul_f64 v[198:199], v[190:191], v[10:11]
	v_mul_f64 v[10:11], v[188:189], v[10:11]
	s_waitcnt vmcnt(8)
	v_add_f64 v[0:1], v[12:13], -v[49:50]
	v_add_f64 v[2:3], v[14:15], -v[53:54]
	s_waitcnt vmcnt(6)
	v_add_f64 v[12:13], v[57:58], -v[77:78]
	v_add_f64 v[14:15], v[59:60], -v[102:103]
	;; [unrolled: 3-line block ×3, first 2 shown]
	v_fma_f64 v[117:118], v[176:177], v[8:9], -v[117:118]
	v_fma_f64 v[121:122], v[178:179], v[8:9], v[121:122]
	v_fma_f64 v[125:126], v[180:181], v[8:9], -v[125:126]
	v_fma_f64 v[131:132], v[182:183], v[8:9], v[192:193]
	;; [unrolled: 2-line block ×4, first 2 shown]
	v_add_f64 v[8:9], v[45:46], -v[65:66]
	v_add_f64 v[10:11], v[47:48], -v[69:70]
	s_waitcnt vmcnt(4)
	v_add_f64 v[45:46], v[73:74], -v[113:114]
	v_add_f64 v[47:48], v[75:76], -v[129:130]
	s_waitcnt vmcnt(3)
	;; [unrolled: 3-line block ×5, first 2 shown]
	v_add_f64 v[81:82], v[93:94], -v[168:169]
	v_add_f64 v[83:84], v[95:96], -v[170:171]
	s_clause 0x9
	scratch_store_b128 off, v[4:7], off offset:816
	scratch_store_b128 off, v[8:11], off offset:864
	;; [unrolled: 1-line block ×10, first 2 shown]
.LBB120_1193:
	s_or_b32 exec_lo, exec_lo, s2
	s_waitcnt_vscnt null, 0x0
	s_barrier
	buffer_gl0_inv
	scratch_load_b128 v[0:3], v145, off
	v_lshl_add_u32 v4, v38, 4, v20
	s_cmp_lt_i32 s5, 53
	s_waitcnt vmcnt(0)
	ds_store_2addr_b64 v4, v[0:1], v[2:3] offset1:1
	s_waitcnt lgkmcnt(0)
	s_barrier
	buffer_gl0_inv
	ds_load_2addr_b64 v[0:3], v20 offset0:102 offset1:103
	v_mov_b32_e32 v4, 51
	s_cbranch_scc1 .LBB120_1196
; %bb.1194:
	v_add3_u32 v5, v36, 0, 0x340
	v_mov_b32_e32 v4, 51
	s_mov_b32 s6, 52
	s_set_inst_prefetch_distance 0x1
	.p2align	6
.LBB120_1195:                           ; =>This Inner Loop Header: Depth=1
	ds_load_2addr_b64 v[6:9], v5 offset1:1
	s_waitcnt lgkmcnt(1)
	v_cmp_gt_f64_e32 vcc_lo, 0, v[0:1]
	v_xor_b32_e32 v10, 0x80000000, v1
	v_cmp_gt_f64_e64 s2, 0, v[2:3]
	v_xor_b32_e32 v12, 0x80000000, v3
	v_add_nc_u32_e32 v5, 16, v5
	s_waitcnt lgkmcnt(0)
	v_cmp_gt_f64_e64 s3, 0, v[6:7]
	v_dual_mov_b32 v41, v8 :: v_dual_mov_b32 v14, v6
	v_cndmask_b32_e32 v11, v1, v10, vcc_lo
	v_xor_b32_e32 v10, 0x80000000, v7
	v_cndmask_b32_e64 v13, v3, v12, s2
	v_xor_b32_e32 v12, 0x80000000, v9
	s_delay_alu instid0(VALU_DEP_3) | instskip(SKIP_2) | instid1(VALU_DEP_2)
	v_cndmask_b32_e64 v15, v7, v10, s3
	v_cmp_gt_f64_e64 s3, 0, v[8:9]
	v_cndmask_b32_e32 v10, v0, v0, vcc_lo
	v_cndmask_b32_e64 v42, v9, v12, s3
	v_cndmask_b32_e64 v12, v2, v2, s2
	s_delay_alu instid0(VALU_DEP_2) | instskip(NEXT) | instid1(VALU_DEP_2)
	v_add_f64 v[14:15], v[14:15], v[41:42]
	v_add_f64 v[10:11], v[10:11], v[12:13]
	s_delay_alu instid0(VALU_DEP_1) | instskip(SKIP_4) | instid1(SALU_CYCLE_1)
	v_cmp_lt_f64_e32 vcc_lo, v[10:11], v[14:15]
	v_dual_cndmask_b32 v1, v1, v7 :: v_dual_cndmask_b32 v0, v0, v6
	v_dual_cndmask_b32 v3, v3, v9 :: v_dual_cndmask_b32 v2, v2, v8
	v_cndmask_b32_e64 v4, v4, s6, vcc_lo
	s_add_i32 s6, s6, 1
	s_cmp_lg_u32 s5, s6
	s_cbranch_scc1 .LBB120_1195
.LBB120_1196:
	s_set_inst_prefetch_distance 0x2
	s_waitcnt lgkmcnt(0)
	v_cmp_eq_f64_e32 vcc_lo, 0, v[0:1]
	v_cmp_eq_f64_e64 s2, 0, v[2:3]
	s_delay_alu instid0(VALU_DEP_1) | instskip(NEXT) | instid1(SALU_CYCLE_1)
	s_and_b32 s2, vcc_lo, s2
	s_and_saveexec_b32 s3, s2
	s_delay_alu instid0(SALU_CYCLE_1)
	s_xor_b32 s2, exec_lo, s3
; %bb.1197:
	v_cmp_ne_u32_e32 vcc_lo, 0, v35
	v_cndmask_b32_e32 v35, 52, v35, vcc_lo
; %bb.1198:
	s_and_not1_saveexec_b32 s3, s2
	s_cbranch_execz .LBB120_1204
; %bb.1199:
	v_cmp_gt_f64_e32 vcc_lo, 0, v[0:1]
	v_cmp_gt_f64_e64 s2, 0, v[2:3]
	v_xor_b32_e32 v5, 0x80000000, v1
	v_xor_b32_e32 v7, 0x80000000, v3
	s_delay_alu instid0(VALU_DEP_2) | instskip(NEXT) | instid1(VALU_DEP_2)
	v_dual_cndmask_b32 v6, v1, v5 :: v_dual_cndmask_b32 v5, v0, v0
	v_cndmask_b32_e64 v8, v3, v7, s2
	v_cndmask_b32_e64 v7, v2, v2, s2
	s_mov_b32 s2, exec_lo
	s_delay_alu instid0(VALU_DEP_1)
	v_cmpx_ngt_f64_e32 v[5:6], v[7:8]
	s_xor_b32 s2, exec_lo, s2
	s_cbranch_execz .LBB120_1201
; %bb.1200:
	v_div_scale_f64 v[5:6], null, v[2:3], v[2:3], v[0:1]
	v_div_scale_f64 v[11:12], vcc_lo, v[0:1], v[2:3], v[0:1]
	s_delay_alu instid0(VALU_DEP_2) | instskip(SKIP_2) | instid1(VALU_DEP_1)
	v_rcp_f64_e32 v[7:8], v[5:6]
	s_waitcnt_depctr 0xfff
	v_fma_f64 v[9:10], -v[5:6], v[7:8], 1.0
	v_fma_f64 v[7:8], v[7:8], v[9:10], v[7:8]
	s_delay_alu instid0(VALU_DEP_1) | instskip(NEXT) | instid1(VALU_DEP_1)
	v_fma_f64 v[9:10], -v[5:6], v[7:8], 1.0
	v_fma_f64 v[7:8], v[7:8], v[9:10], v[7:8]
	s_delay_alu instid0(VALU_DEP_1) | instskip(NEXT) | instid1(VALU_DEP_1)
	v_mul_f64 v[9:10], v[11:12], v[7:8]
	v_fma_f64 v[5:6], -v[5:6], v[9:10], v[11:12]
	s_delay_alu instid0(VALU_DEP_1) | instskip(NEXT) | instid1(VALU_DEP_1)
	v_div_fmas_f64 v[5:6], v[5:6], v[7:8], v[9:10]
	v_div_fixup_f64 v[5:6], v[5:6], v[2:3], v[0:1]
	s_delay_alu instid0(VALU_DEP_1) | instskip(NEXT) | instid1(VALU_DEP_1)
	v_fma_f64 v[0:1], v[0:1], v[5:6], v[2:3]
	v_div_scale_f64 v[2:3], null, v[0:1], v[0:1], 1.0
	s_delay_alu instid0(VALU_DEP_1) | instskip(SKIP_2) | instid1(VALU_DEP_1)
	v_rcp_f64_e32 v[7:8], v[2:3]
	s_waitcnt_depctr 0xfff
	v_fma_f64 v[9:10], -v[2:3], v[7:8], 1.0
	v_fma_f64 v[7:8], v[7:8], v[9:10], v[7:8]
	s_delay_alu instid0(VALU_DEP_1) | instskip(NEXT) | instid1(VALU_DEP_1)
	v_fma_f64 v[9:10], -v[2:3], v[7:8], 1.0
	v_fma_f64 v[7:8], v[7:8], v[9:10], v[7:8]
	v_div_scale_f64 v[9:10], vcc_lo, 1.0, v[0:1], 1.0
	s_delay_alu instid0(VALU_DEP_1) | instskip(NEXT) | instid1(VALU_DEP_1)
	v_mul_f64 v[11:12], v[9:10], v[7:8]
	v_fma_f64 v[2:3], -v[2:3], v[11:12], v[9:10]
	s_delay_alu instid0(VALU_DEP_1) | instskip(NEXT) | instid1(VALU_DEP_1)
	v_div_fmas_f64 v[2:3], v[2:3], v[7:8], v[11:12]
	v_div_fixup_f64 v[2:3], v[2:3], v[0:1], 1.0
	s_delay_alu instid0(VALU_DEP_1)
	v_mul_f64 v[0:1], v[5:6], v[2:3]
	v_xor_b32_e32 v3, 0x80000000, v3
.LBB120_1201:
	s_and_not1_saveexec_b32 s2, s2
	s_cbranch_execz .LBB120_1203
; %bb.1202:
	s_delay_alu instid0(VALU_DEP_1) | instskip(SKIP_1) | instid1(VALU_DEP_2)
	v_div_scale_f64 v[5:6], null, v[0:1], v[0:1], v[2:3]
	v_div_scale_f64 v[11:12], vcc_lo, v[2:3], v[0:1], v[2:3]
	v_rcp_f64_e32 v[7:8], v[5:6]
	s_waitcnt_depctr 0xfff
	v_fma_f64 v[9:10], -v[5:6], v[7:8], 1.0
	s_delay_alu instid0(VALU_DEP_1) | instskip(NEXT) | instid1(VALU_DEP_1)
	v_fma_f64 v[7:8], v[7:8], v[9:10], v[7:8]
	v_fma_f64 v[9:10], -v[5:6], v[7:8], 1.0
	s_delay_alu instid0(VALU_DEP_1) | instskip(NEXT) | instid1(VALU_DEP_1)
	v_fma_f64 v[7:8], v[7:8], v[9:10], v[7:8]
	v_mul_f64 v[9:10], v[11:12], v[7:8]
	s_delay_alu instid0(VALU_DEP_1) | instskip(NEXT) | instid1(VALU_DEP_1)
	v_fma_f64 v[5:6], -v[5:6], v[9:10], v[11:12]
	v_div_fmas_f64 v[5:6], v[5:6], v[7:8], v[9:10]
	s_delay_alu instid0(VALU_DEP_1) | instskip(NEXT) | instid1(VALU_DEP_1)
	v_div_fixup_f64 v[5:6], v[5:6], v[0:1], v[2:3]
	v_fma_f64 v[0:1], v[2:3], v[5:6], v[0:1]
	s_delay_alu instid0(VALU_DEP_1) | instskip(NEXT) | instid1(VALU_DEP_1)
	v_div_scale_f64 v[2:3], null, v[0:1], v[0:1], 1.0
	v_rcp_f64_e32 v[7:8], v[2:3]
	s_waitcnt_depctr 0xfff
	v_fma_f64 v[9:10], -v[2:3], v[7:8], 1.0
	s_delay_alu instid0(VALU_DEP_1) | instskip(NEXT) | instid1(VALU_DEP_1)
	v_fma_f64 v[7:8], v[7:8], v[9:10], v[7:8]
	v_fma_f64 v[9:10], -v[2:3], v[7:8], 1.0
	s_delay_alu instid0(VALU_DEP_1) | instskip(SKIP_1) | instid1(VALU_DEP_1)
	v_fma_f64 v[7:8], v[7:8], v[9:10], v[7:8]
	v_div_scale_f64 v[9:10], vcc_lo, 1.0, v[0:1], 1.0
	v_mul_f64 v[11:12], v[9:10], v[7:8]
	s_delay_alu instid0(VALU_DEP_1) | instskip(NEXT) | instid1(VALU_DEP_1)
	v_fma_f64 v[2:3], -v[2:3], v[11:12], v[9:10]
	v_div_fmas_f64 v[2:3], v[2:3], v[7:8], v[11:12]
	s_delay_alu instid0(VALU_DEP_1) | instskip(NEXT) | instid1(VALU_DEP_1)
	v_div_fixup_f64 v[0:1], v[2:3], v[0:1], 1.0
	v_mul_f64 v[2:3], v[5:6], -v[0:1]
.LBB120_1203:
	s_or_b32 exec_lo, exec_lo, s2
.LBB120_1204:
	s_delay_alu instid0(SALU_CYCLE_1) | instskip(NEXT) | instid1(SALU_CYCLE_1)
	s_or_b32 exec_lo, exec_lo, s3
	s_mov_b32 s2, exec_lo
	v_cmpx_ne_u32_e64 v38, v4
	s_xor_b32 s2, exec_lo, s2
	s_cbranch_execz .LBB120_1210
; %bb.1205:
	s_mov_b32 s3, exec_lo
	v_cmpx_eq_u32_e32 51, v38
	s_cbranch_execz .LBB120_1209
; %bb.1206:
	v_cmp_ne_u32_e32 vcc_lo, 51, v4
	s_xor_b32 s6, s4, -1
	s_delay_alu instid0(SALU_CYCLE_1) | instskip(NEXT) | instid1(SALU_CYCLE_1)
	s_and_b32 s7, s6, vcc_lo
	s_and_saveexec_b32 s6, s7
	s_cbranch_execz .LBB120_1208
; %bb.1207:
	v_ashrrev_i32_e32 v5, 31, v4
	s_delay_alu instid0(VALU_DEP_1) | instskip(NEXT) | instid1(VALU_DEP_1)
	v_lshlrev_b64 v[5:6], 2, v[4:5]
	v_add_co_u32 v5, vcc_lo, v18, v5
	s_delay_alu instid0(VALU_DEP_2)
	v_add_co_ci_u32_e32 v6, vcc_lo, v19, v6, vcc_lo
	s_clause 0x1
	flat_load_b32 v7, v[5:6]
	flat_load_b32 v8, v[18:19] offset:204
	s_waitcnt vmcnt(1) lgkmcnt(1)
	flat_store_b32 v[18:19], v7 offset:204
	s_waitcnt vmcnt(0) lgkmcnt(1)
	flat_store_b32 v[5:6], v8
.LBB120_1208:
	s_or_b32 exec_lo, exec_lo, s6
	v_mov_b32_e32 v38, v4
	v_mov_b32_e32 v37, v4
.LBB120_1209:
	s_or_b32 exec_lo, exec_lo, s3
.LBB120_1210:
	s_and_not1_saveexec_b32 s2, s2
	s_cbranch_execz .LBB120_1212
; %bb.1211:
	s_clause 0x8
	scratch_load_b128 v[4:7], v144, off
	scratch_load_b128 v[8:11], v143, off
	;; [unrolled: 1-line block ×9, first 2 shown]
	v_mov_b32_e32 v38, 51
	s_waitcnt vmcnt(8)
	ds_store_2addr_b64 v20, v[4:5], v[6:7] offset0:104 offset1:105
	s_waitcnt vmcnt(7)
	ds_store_2addr_b64 v20, v[8:9], v[10:11] offset0:106 offset1:107
	;; [unrolled: 2-line block ×9, first 2 shown]
.LBB120_1212:
	s_or_b32 exec_lo, exec_lo, s2
	s_delay_alu instid0(SALU_CYCLE_1)
	s_mov_b32 s2, exec_lo
	s_waitcnt lgkmcnt(0)
	s_waitcnt_vscnt null, 0x0
	s_barrier
	buffer_gl0_inv
	v_cmpx_lt_i32_e32 51, v38
	s_cbranch_execz .LBB120_1214
; %bb.1213:
	s_clause 0x1
	scratch_load_b128 v[4:7], off, off offset:816
	scratch_load_b128 v[8:11], off, off offset:832
	s_waitcnt vmcnt(1)
	v_mul_f64 v[12:13], v[0:1], v[6:7]
	v_mul_f64 v[6:7], v[2:3], v[6:7]
	s_delay_alu instid0(VALU_DEP_2)
	v_fma_f64 v[2:3], v[2:3], v[4:5], v[12:13]
	ds_load_2addr_b64 v[12:15], v20 offset0:104 offset1:105
	ds_load_2addr_b64 v[41:44], v20 offset0:106 offset1:107
	v_fma_f64 v[0:1], v[0:1], v[4:5], -v[6:7]
	s_waitcnt lgkmcnt(1)
	v_mul_f64 v[4:5], v[14:15], v[2:3]
	v_mul_f64 v[6:7], v[12:13], v[2:3]
	scratch_store_b128 off, v[0:3], off offset:816
	s_waitcnt lgkmcnt(0)
	v_mul_f64 v[113:114], v[43:44], v[2:3]
	v_fma_f64 v[4:5], v[12:13], v[0:1], -v[4:5]
	v_fma_f64 v[6:7], v[14:15], v[0:1], v[6:7]
	s_waitcnt vmcnt(0)
	s_delay_alu instid0(VALU_DEP_2) | instskip(NEXT) | instid1(VALU_DEP_2)
	v_add_f64 v[4:5], v[8:9], -v[4:5]
	v_add_f64 v[6:7], v[10:11], -v[6:7]
	s_clause 0x8
	scratch_load_b128 v[8:11], off, off offset:816
	scratch_load_b128 v[12:15], off, off offset:864
	;; [unrolled: 1-line block ×9, first 2 shown]
	ds_load_2addr_b64 v[93:96], v20 offset0:108 offset1:109
	ds_load_2addr_b64 v[129:132], v20 offset0:110 offset1:111
	;; [unrolled: 1-line block ×7, first 2 shown]
	s_waitcnt lgkmcnt(6)
	v_mul_f64 v[49:50], v[95:96], v[2:3]
	s_waitcnt lgkmcnt(5)
	v_mul_f64 v[65:66], v[131:132], v[2:3]
	v_mul_f64 v[69:70], v[129:130], v[2:3]
	;; [unrolled: 1-line block ×3, first 2 shown]
	s_waitcnt lgkmcnt(4)
	v_mul_f64 v[77:78], v[166:167], v[2:3]
	v_mul_f64 v[102:103], v[164:165], v[2:3]
	s_waitcnt lgkmcnt(3)
	v_mul_f64 v[105:106], v[170:171], v[2:3]
	v_mul_f64 v[109:110], v[168:169], v[2:3]
	;; [unrolled: 1-line block ×3, first 2 shown]
	v_fma_f64 v[49:50], v[93:94], v[0:1], -v[49:50]
	v_fma_f64 v[65:66], v[129:130], v[0:1], -v[65:66]
	v_fma_f64 v[69:70], v[131:132], v[0:1], v[69:70]
	v_fma_f64 v[53:54], v[95:96], v[0:1], v[53:54]
	v_fma_f64 v[77:78], v[164:165], v[0:1], -v[77:78]
	v_fma_f64 v[93:94], v[166:167], v[0:1], v[102:103]
	v_fma_f64 v[95:96], v[168:169], v[0:1], -v[105:106]
	;; [unrolled: 2-line block ×3, first 2 shown]
	v_fma_f64 v[109:110], v[43:44], v[0:1], v[2:3]
	s_waitcnt vmcnt(8) lgkmcnt(2)
	v_mul_f64 v[117:118], v[174:175], v[10:11]
	v_mul_f64 v[121:122], v[172:173], v[10:11]
	s_waitcnt lgkmcnt(1)
	v_mul_f64 v[125:126], v[178:179], v[10:11]
	v_mul_f64 v[184:185], v[176:177], v[10:11]
	s_waitcnt lgkmcnt(0)
	v_mul_f64 v[186:187], v[182:183], v[10:11]
	v_mul_f64 v[10:11], v[180:181], v[10:11]
	s_waitcnt vmcnt(7)
	v_add_f64 v[0:1], v[12:13], -v[49:50]
	v_add_f64 v[2:3], v[14:15], -v[53:54]
	s_waitcnt vmcnt(5)
	v_add_f64 v[12:13], v[57:58], -v[77:78]
	v_add_f64 v[14:15], v[59:60], -v[93:94]
	s_waitcnt vmcnt(4)
	v_add_f64 v[41:42], v[61:62], -v[95:96]
	v_add_f64 v[43:44], v[63:64], -v[102:103]
	v_fma_f64 v[113:114], v[172:173], v[8:9], -v[117:118]
	v_fma_f64 v[117:118], v[174:175], v[8:9], v[121:122]
	v_fma_f64 v[121:122], v[176:177], v[8:9], -v[125:126]
	v_fma_f64 v[125:126], v[178:179], v[8:9], v[184:185]
	;; [unrolled: 2-line block ×3, first 2 shown]
	v_add_f64 v[8:9], v[45:46], -v[65:66]
	v_add_f64 v[10:11], v[47:48], -v[69:70]
	s_waitcnt vmcnt(3)
	v_add_f64 v[45:46], v[73:74], -v[105:106]
	v_add_f64 v[47:48], v[75:76], -v[109:110]
	s_waitcnt vmcnt(2)
	;; [unrolled: 3-line block ×4, first 2 shown]
	v_add_f64 v[73:74], v[89:90], -v[129:130]
	v_add_f64 v[75:76], v[91:92], -v[131:132]
	s_clause 0x8
	scratch_store_b128 off, v[4:7], off offset:832
	scratch_store_b128 off, v[8:11], off offset:880
	;; [unrolled: 1-line block ×9, first 2 shown]
.LBB120_1214:
	s_or_b32 exec_lo, exec_lo, s2
	s_waitcnt_vscnt null, 0x0
	s_barrier
	buffer_gl0_inv
	scratch_load_b128 v[0:3], v144, off
	v_lshl_add_u32 v4, v38, 4, v20
	s_cmp_lt_i32 s5, 54
	s_waitcnt vmcnt(0)
	ds_store_2addr_b64 v4, v[0:1], v[2:3] offset1:1
	s_waitcnt lgkmcnt(0)
	s_barrier
	buffer_gl0_inv
	ds_load_2addr_b64 v[0:3], v20 offset0:104 offset1:105
	v_mov_b32_e32 v4, 52
	s_cbranch_scc1 .LBB120_1217
; %bb.1215:
	v_add3_u32 v5, v36, 0, 0x350
	v_mov_b32_e32 v4, 52
	s_mov_b32 s6, 53
	s_set_inst_prefetch_distance 0x1
	.p2align	6
.LBB120_1216:                           ; =>This Inner Loop Header: Depth=1
	ds_load_2addr_b64 v[6:9], v5 offset1:1
	s_waitcnt lgkmcnt(1)
	v_cmp_gt_f64_e32 vcc_lo, 0, v[0:1]
	v_xor_b32_e32 v10, 0x80000000, v1
	v_cmp_gt_f64_e64 s2, 0, v[2:3]
	v_xor_b32_e32 v12, 0x80000000, v3
	v_add_nc_u32_e32 v5, 16, v5
	s_waitcnt lgkmcnt(0)
	v_cmp_gt_f64_e64 s3, 0, v[6:7]
	v_dual_mov_b32 v41, v8 :: v_dual_mov_b32 v14, v6
	v_cndmask_b32_e32 v11, v1, v10, vcc_lo
	v_xor_b32_e32 v10, 0x80000000, v7
	v_cndmask_b32_e64 v13, v3, v12, s2
	v_xor_b32_e32 v12, 0x80000000, v9
	s_delay_alu instid0(VALU_DEP_3) | instskip(SKIP_2) | instid1(VALU_DEP_2)
	v_cndmask_b32_e64 v15, v7, v10, s3
	v_cmp_gt_f64_e64 s3, 0, v[8:9]
	v_cndmask_b32_e32 v10, v0, v0, vcc_lo
	v_cndmask_b32_e64 v42, v9, v12, s3
	v_cndmask_b32_e64 v12, v2, v2, s2
	s_delay_alu instid0(VALU_DEP_2) | instskip(NEXT) | instid1(VALU_DEP_2)
	v_add_f64 v[14:15], v[14:15], v[41:42]
	v_add_f64 v[10:11], v[10:11], v[12:13]
	s_delay_alu instid0(VALU_DEP_1) | instskip(SKIP_4) | instid1(SALU_CYCLE_1)
	v_cmp_lt_f64_e32 vcc_lo, v[10:11], v[14:15]
	v_dual_cndmask_b32 v1, v1, v7 :: v_dual_cndmask_b32 v0, v0, v6
	v_dual_cndmask_b32 v3, v3, v9 :: v_dual_cndmask_b32 v2, v2, v8
	v_cndmask_b32_e64 v4, v4, s6, vcc_lo
	s_add_i32 s6, s6, 1
	s_cmp_lg_u32 s5, s6
	s_cbranch_scc1 .LBB120_1216
.LBB120_1217:
	s_set_inst_prefetch_distance 0x2
	s_waitcnt lgkmcnt(0)
	v_cmp_eq_f64_e32 vcc_lo, 0, v[0:1]
	v_cmp_eq_f64_e64 s2, 0, v[2:3]
	s_delay_alu instid0(VALU_DEP_1) | instskip(NEXT) | instid1(SALU_CYCLE_1)
	s_and_b32 s2, vcc_lo, s2
	s_and_saveexec_b32 s3, s2
	s_delay_alu instid0(SALU_CYCLE_1)
	s_xor_b32 s2, exec_lo, s3
; %bb.1218:
	v_cmp_ne_u32_e32 vcc_lo, 0, v35
	v_cndmask_b32_e32 v35, 53, v35, vcc_lo
; %bb.1219:
	s_and_not1_saveexec_b32 s3, s2
	s_cbranch_execz .LBB120_1225
; %bb.1220:
	v_cmp_gt_f64_e32 vcc_lo, 0, v[0:1]
	v_cmp_gt_f64_e64 s2, 0, v[2:3]
	v_xor_b32_e32 v5, 0x80000000, v1
	v_xor_b32_e32 v7, 0x80000000, v3
	s_delay_alu instid0(VALU_DEP_2) | instskip(NEXT) | instid1(VALU_DEP_2)
	v_dual_cndmask_b32 v6, v1, v5 :: v_dual_cndmask_b32 v5, v0, v0
	v_cndmask_b32_e64 v8, v3, v7, s2
	v_cndmask_b32_e64 v7, v2, v2, s2
	s_mov_b32 s2, exec_lo
	s_delay_alu instid0(VALU_DEP_1)
	v_cmpx_ngt_f64_e32 v[5:6], v[7:8]
	s_xor_b32 s2, exec_lo, s2
	s_cbranch_execz .LBB120_1222
; %bb.1221:
	v_div_scale_f64 v[5:6], null, v[2:3], v[2:3], v[0:1]
	v_div_scale_f64 v[11:12], vcc_lo, v[0:1], v[2:3], v[0:1]
	s_delay_alu instid0(VALU_DEP_2) | instskip(SKIP_2) | instid1(VALU_DEP_1)
	v_rcp_f64_e32 v[7:8], v[5:6]
	s_waitcnt_depctr 0xfff
	v_fma_f64 v[9:10], -v[5:6], v[7:8], 1.0
	v_fma_f64 v[7:8], v[7:8], v[9:10], v[7:8]
	s_delay_alu instid0(VALU_DEP_1) | instskip(NEXT) | instid1(VALU_DEP_1)
	v_fma_f64 v[9:10], -v[5:6], v[7:8], 1.0
	v_fma_f64 v[7:8], v[7:8], v[9:10], v[7:8]
	s_delay_alu instid0(VALU_DEP_1) | instskip(NEXT) | instid1(VALU_DEP_1)
	v_mul_f64 v[9:10], v[11:12], v[7:8]
	v_fma_f64 v[5:6], -v[5:6], v[9:10], v[11:12]
	s_delay_alu instid0(VALU_DEP_1) | instskip(NEXT) | instid1(VALU_DEP_1)
	v_div_fmas_f64 v[5:6], v[5:6], v[7:8], v[9:10]
	v_div_fixup_f64 v[5:6], v[5:6], v[2:3], v[0:1]
	s_delay_alu instid0(VALU_DEP_1) | instskip(NEXT) | instid1(VALU_DEP_1)
	v_fma_f64 v[0:1], v[0:1], v[5:6], v[2:3]
	v_div_scale_f64 v[2:3], null, v[0:1], v[0:1], 1.0
	s_delay_alu instid0(VALU_DEP_1) | instskip(SKIP_2) | instid1(VALU_DEP_1)
	v_rcp_f64_e32 v[7:8], v[2:3]
	s_waitcnt_depctr 0xfff
	v_fma_f64 v[9:10], -v[2:3], v[7:8], 1.0
	v_fma_f64 v[7:8], v[7:8], v[9:10], v[7:8]
	s_delay_alu instid0(VALU_DEP_1) | instskip(NEXT) | instid1(VALU_DEP_1)
	v_fma_f64 v[9:10], -v[2:3], v[7:8], 1.0
	v_fma_f64 v[7:8], v[7:8], v[9:10], v[7:8]
	v_div_scale_f64 v[9:10], vcc_lo, 1.0, v[0:1], 1.0
	s_delay_alu instid0(VALU_DEP_1) | instskip(NEXT) | instid1(VALU_DEP_1)
	v_mul_f64 v[11:12], v[9:10], v[7:8]
	v_fma_f64 v[2:3], -v[2:3], v[11:12], v[9:10]
	s_delay_alu instid0(VALU_DEP_1) | instskip(NEXT) | instid1(VALU_DEP_1)
	v_div_fmas_f64 v[2:3], v[2:3], v[7:8], v[11:12]
	v_div_fixup_f64 v[2:3], v[2:3], v[0:1], 1.0
	s_delay_alu instid0(VALU_DEP_1)
	v_mul_f64 v[0:1], v[5:6], v[2:3]
	v_xor_b32_e32 v3, 0x80000000, v3
.LBB120_1222:
	s_and_not1_saveexec_b32 s2, s2
	s_cbranch_execz .LBB120_1224
; %bb.1223:
	s_delay_alu instid0(VALU_DEP_1) | instskip(SKIP_1) | instid1(VALU_DEP_2)
	v_div_scale_f64 v[5:6], null, v[0:1], v[0:1], v[2:3]
	v_div_scale_f64 v[11:12], vcc_lo, v[2:3], v[0:1], v[2:3]
	v_rcp_f64_e32 v[7:8], v[5:6]
	s_waitcnt_depctr 0xfff
	v_fma_f64 v[9:10], -v[5:6], v[7:8], 1.0
	s_delay_alu instid0(VALU_DEP_1) | instskip(NEXT) | instid1(VALU_DEP_1)
	v_fma_f64 v[7:8], v[7:8], v[9:10], v[7:8]
	v_fma_f64 v[9:10], -v[5:6], v[7:8], 1.0
	s_delay_alu instid0(VALU_DEP_1) | instskip(NEXT) | instid1(VALU_DEP_1)
	v_fma_f64 v[7:8], v[7:8], v[9:10], v[7:8]
	v_mul_f64 v[9:10], v[11:12], v[7:8]
	s_delay_alu instid0(VALU_DEP_1) | instskip(NEXT) | instid1(VALU_DEP_1)
	v_fma_f64 v[5:6], -v[5:6], v[9:10], v[11:12]
	v_div_fmas_f64 v[5:6], v[5:6], v[7:8], v[9:10]
	s_delay_alu instid0(VALU_DEP_1) | instskip(NEXT) | instid1(VALU_DEP_1)
	v_div_fixup_f64 v[5:6], v[5:6], v[0:1], v[2:3]
	v_fma_f64 v[0:1], v[2:3], v[5:6], v[0:1]
	s_delay_alu instid0(VALU_DEP_1) | instskip(NEXT) | instid1(VALU_DEP_1)
	v_div_scale_f64 v[2:3], null, v[0:1], v[0:1], 1.0
	v_rcp_f64_e32 v[7:8], v[2:3]
	s_waitcnt_depctr 0xfff
	v_fma_f64 v[9:10], -v[2:3], v[7:8], 1.0
	s_delay_alu instid0(VALU_DEP_1) | instskip(NEXT) | instid1(VALU_DEP_1)
	v_fma_f64 v[7:8], v[7:8], v[9:10], v[7:8]
	v_fma_f64 v[9:10], -v[2:3], v[7:8], 1.0
	s_delay_alu instid0(VALU_DEP_1) | instskip(SKIP_1) | instid1(VALU_DEP_1)
	v_fma_f64 v[7:8], v[7:8], v[9:10], v[7:8]
	v_div_scale_f64 v[9:10], vcc_lo, 1.0, v[0:1], 1.0
	v_mul_f64 v[11:12], v[9:10], v[7:8]
	s_delay_alu instid0(VALU_DEP_1) | instskip(NEXT) | instid1(VALU_DEP_1)
	v_fma_f64 v[2:3], -v[2:3], v[11:12], v[9:10]
	v_div_fmas_f64 v[2:3], v[2:3], v[7:8], v[11:12]
	s_delay_alu instid0(VALU_DEP_1) | instskip(NEXT) | instid1(VALU_DEP_1)
	v_div_fixup_f64 v[0:1], v[2:3], v[0:1], 1.0
	v_mul_f64 v[2:3], v[5:6], -v[0:1]
.LBB120_1224:
	s_or_b32 exec_lo, exec_lo, s2
.LBB120_1225:
	s_delay_alu instid0(SALU_CYCLE_1) | instskip(NEXT) | instid1(SALU_CYCLE_1)
	s_or_b32 exec_lo, exec_lo, s3
	s_mov_b32 s2, exec_lo
	v_cmpx_ne_u32_e64 v38, v4
	s_xor_b32 s2, exec_lo, s2
	s_cbranch_execz .LBB120_1231
; %bb.1226:
	s_mov_b32 s3, exec_lo
	v_cmpx_eq_u32_e32 52, v38
	s_cbranch_execz .LBB120_1230
; %bb.1227:
	v_cmp_ne_u32_e32 vcc_lo, 52, v4
	s_xor_b32 s6, s4, -1
	s_delay_alu instid0(SALU_CYCLE_1) | instskip(NEXT) | instid1(SALU_CYCLE_1)
	s_and_b32 s7, s6, vcc_lo
	s_and_saveexec_b32 s6, s7
	s_cbranch_execz .LBB120_1229
; %bb.1228:
	v_ashrrev_i32_e32 v5, 31, v4
	s_delay_alu instid0(VALU_DEP_1) | instskip(NEXT) | instid1(VALU_DEP_1)
	v_lshlrev_b64 v[5:6], 2, v[4:5]
	v_add_co_u32 v5, vcc_lo, v18, v5
	s_delay_alu instid0(VALU_DEP_2)
	v_add_co_ci_u32_e32 v6, vcc_lo, v19, v6, vcc_lo
	s_clause 0x1
	flat_load_b32 v7, v[5:6]
	flat_load_b32 v8, v[18:19] offset:208
	s_waitcnt vmcnt(1) lgkmcnt(1)
	flat_store_b32 v[18:19], v7 offset:208
	s_waitcnt vmcnt(0) lgkmcnt(1)
	flat_store_b32 v[5:6], v8
.LBB120_1229:
	s_or_b32 exec_lo, exec_lo, s6
	v_mov_b32_e32 v38, v4
	v_mov_b32_e32 v37, v4
.LBB120_1230:
	s_or_b32 exec_lo, exec_lo, s3
.LBB120_1231:
	s_and_not1_saveexec_b32 s2, s2
	s_cbranch_execz .LBB120_1233
; %bb.1232:
	s_clause 0x7
	scratch_load_b128 v[4:7], v143, off
	scratch_load_b128 v[8:11], v142, off
	;; [unrolled: 1-line block ×8, first 2 shown]
	v_mov_b32_e32 v38, 52
	s_waitcnt vmcnt(7)
	ds_store_2addr_b64 v20, v[4:5], v[6:7] offset0:106 offset1:107
	s_waitcnt vmcnt(6)
	ds_store_2addr_b64 v20, v[8:9], v[10:11] offset0:108 offset1:109
	;; [unrolled: 2-line block ×8, first 2 shown]
.LBB120_1233:
	s_or_b32 exec_lo, exec_lo, s2
	s_delay_alu instid0(SALU_CYCLE_1)
	s_mov_b32 s2, exec_lo
	s_waitcnt lgkmcnt(0)
	s_waitcnt_vscnt null, 0x0
	s_barrier
	buffer_gl0_inv
	v_cmpx_lt_i32_e32 52, v38
	s_cbranch_execz .LBB120_1235
; %bb.1234:
	s_clause 0x1
	scratch_load_b128 v[4:7], off, off offset:832
	scratch_load_b128 v[8:11], off, off offset:848
	s_waitcnt vmcnt(1)
	v_mul_f64 v[12:13], v[0:1], v[6:7]
	v_mul_f64 v[6:7], v[2:3], v[6:7]
	s_delay_alu instid0(VALU_DEP_2)
	v_fma_f64 v[2:3], v[2:3], v[4:5], v[12:13]
	ds_load_2addr_b64 v[12:15], v20 offset0:106 offset1:107
	ds_load_2addr_b64 v[41:44], v20 offset0:108 offset1:109
	v_fma_f64 v[0:1], v[0:1], v[4:5], -v[6:7]
	s_waitcnt lgkmcnt(1)
	v_mul_f64 v[4:5], v[14:15], v[2:3]
	v_mul_f64 v[6:7], v[12:13], v[2:3]
	scratch_store_b128 off, v[0:3], off offset:832
	s_waitcnt lgkmcnt(0)
	v_mul_f64 v[113:114], v[43:44], v[2:3]
	v_fma_f64 v[4:5], v[12:13], v[0:1], -v[4:5]
	v_fma_f64 v[6:7], v[14:15], v[0:1], v[6:7]
	s_waitcnt vmcnt(0)
	s_delay_alu instid0(VALU_DEP_2) | instskip(NEXT) | instid1(VALU_DEP_2)
	v_add_f64 v[4:5], v[8:9], -v[4:5]
	v_add_f64 v[6:7], v[10:11], -v[6:7]
	s_clause 0x7
	scratch_load_b128 v[8:11], off, off offset:832
	scratch_load_b128 v[12:15], off, off offset:880
	;; [unrolled: 1-line block ×8, first 2 shown]
	ds_load_2addr_b64 v[89:92], v20 offset0:110 offset1:111
	ds_load_2addr_b64 v[93:96], v20 offset0:112 offset1:113
	;; [unrolled: 1-line block ×6, first 2 shown]
	s_waitcnt lgkmcnt(5)
	v_mul_f64 v[49:50], v[91:92], v[2:3]
	s_waitcnt lgkmcnt(4)
	v_mul_f64 v[65:66], v[95:96], v[2:3]
	v_mul_f64 v[69:70], v[93:94], v[2:3]
	;; [unrolled: 1-line block ×3, first 2 shown]
	s_waitcnt lgkmcnt(3)
	v_mul_f64 v[77:78], v[131:132], v[2:3]
	v_mul_f64 v[102:103], v[129:130], v[2:3]
	s_waitcnt lgkmcnt(2)
	v_mul_f64 v[105:106], v[166:167], v[2:3]
	v_mul_f64 v[109:110], v[164:165], v[2:3]
	;; [unrolled: 1-line block ×3, first 2 shown]
	v_fma_f64 v[49:50], v[89:90], v[0:1], -v[49:50]
	v_fma_f64 v[65:66], v[93:94], v[0:1], -v[65:66]
	v_fma_f64 v[69:70], v[95:96], v[0:1], v[69:70]
	v_fma_f64 v[53:54], v[91:92], v[0:1], v[53:54]
	v_fma_f64 v[77:78], v[129:130], v[0:1], -v[77:78]
	v_fma_f64 v[89:90], v[131:132], v[0:1], v[102:103]
	v_fma_f64 v[95:96], v[41:42], v[0:1], -v[113:114]
	v_fma_f64 v[91:92], v[164:165], v[0:1], -v[105:106]
	v_fma_f64 v[102:103], v[43:44], v[0:1], v[2:3]
	v_fma_f64 v[93:94], v[166:167], v[0:1], v[109:110]
	s_waitcnt vmcnt(7) lgkmcnt(1)
	v_mul_f64 v[117:118], v[170:171], v[10:11]
	v_mul_f64 v[121:122], v[168:169], v[10:11]
	s_waitcnt lgkmcnt(0)
	v_mul_f64 v[125:126], v[174:175], v[10:11]
	v_mul_f64 v[10:11], v[172:173], v[10:11]
	s_waitcnt vmcnt(6)
	v_add_f64 v[0:1], v[12:13], -v[49:50]
	v_add_f64 v[2:3], v[14:15], -v[53:54]
	s_waitcnt vmcnt(4)
	v_add_f64 v[12:13], v[57:58], -v[77:78]
	v_add_f64 v[14:15], v[59:60], -v[89:90]
	s_waitcnt vmcnt(3)
	v_add_f64 v[41:42], v[61:62], -v[91:92]
	v_add_f64 v[43:44], v[63:64], -v[93:94]
	v_fma_f64 v[105:106], v[168:169], v[8:9], -v[117:118]
	v_fma_f64 v[109:110], v[170:171], v[8:9], v[121:122]
	v_fma_f64 v[113:114], v[172:173], v[8:9], -v[125:126]
	v_fma_f64 v[117:118], v[174:175], v[8:9], v[10:11]
	v_add_f64 v[8:9], v[45:46], -v[65:66]
	v_add_f64 v[10:11], v[47:48], -v[69:70]
	s_waitcnt vmcnt(2)
	v_add_f64 v[45:46], v[73:74], -v[95:96]
	v_add_f64 v[47:48], v[75:76], -v[102:103]
	s_waitcnt vmcnt(1)
	;; [unrolled: 3-line block ×3, first 2 shown]
	v_add_f64 v[61:62], v[85:86], -v[113:114]
	v_add_f64 v[63:64], v[87:88], -v[117:118]
	s_clause 0x7
	scratch_store_b128 off, v[4:7], off offset:848
	scratch_store_b128 off, v[8:11], off offset:896
	;; [unrolled: 1-line block ×8, first 2 shown]
.LBB120_1235:
	s_or_b32 exec_lo, exec_lo, s2
	s_waitcnt_vscnt null, 0x0
	s_barrier
	buffer_gl0_inv
	scratch_load_b128 v[0:3], v143, off
	v_lshl_add_u32 v4, v38, 4, v20
	s_cmp_lt_i32 s5, 55
	s_waitcnt vmcnt(0)
	ds_store_2addr_b64 v4, v[0:1], v[2:3] offset1:1
	s_waitcnt lgkmcnt(0)
	s_barrier
	buffer_gl0_inv
	ds_load_2addr_b64 v[0:3], v20 offset0:106 offset1:107
	v_mov_b32_e32 v4, 53
	s_cbranch_scc1 .LBB120_1238
; %bb.1236:
	v_add3_u32 v5, v36, 0, 0x360
	v_mov_b32_e32 v4, 53
	s_mov_b32 s6, 54
	s_set_inst_prefetch_distance 0x1
	.p2align	6
.LBB120_1237:                           ; =>This Inner Loop Header: Depth=1
	ds_load_2addr_b64 v[6:9], v5 offset1:1
	s_waitcnt lgkmcnt(1)
	v_cmp_gt_f64_e32 vcc_lo, 0, v[0:1]
	v_xor_b32_e32 v10, 0x80000000, v1
	v_cmp_gt_f64_e64 s2, 0, v[2:3]
	v_xor_b32_e32 v12, 0x80000000, v3
	v_add_nc_u32_e32 v5, 16, v5
	s_waitcnt lgkmcnt(0)
	v_cmp_gt_f64_e64 s3, 0, v[6:7]
	v_dual_mov_b32 v41, v8 :: v_dual_mov_b32 v14, v6
	v_cndmask_b32_e32 v11, v1, v10, vcc_lo
	v_xor_b32_e32 v10, 0x80000000, v7
	v_cndmask_b32_e64 v13, v3, v12, s2
	v_xor_b32_e32 v12, 0x80000000, v9
	s_delay_alu instid0(VALU_DEP_3) | instskip(SKIP_2) | instid1(VALU_DEP_2)
	v_cndmask_b32_e64 v15, v7, v10, s3
	v_cmp_gt_f64_e64 s3, 0, v[8:9]
	v_cndmask_b32_e32 v10, v0, v0, vcc_lo
	v_cndmask_b32_e64 v42, v9, v12, s3
	v_cndmask_b32_e64 v12, v2, v2, s2
	s_delay_alu instid0(VALU_DEP_2) | instskip(NEXT) | instid1(VALU_DEP_2)
	v_add_f64 v[14:15], v[14:15], v[41:42]
	v_add_f64 v[10:11], v[10:11], v[12:13]
	s_delay_alu instid0(VALU_DEP_1) | instskip(SKIP_4) | instid1(SALU_CYCLE_1)
	v_cmp_lt_f64_e32 vcc_lo, v[10:11], v[14:15]
	v_dual_cndmask_b32 v1, v1, v7 :: v_dual_cndmask_b32 v0, v0, v6
	v_dual_cndmask_b32 v3, v3, v9 :: v_dual_cndmask_b32 v2, v2, v8
	v_cndmask_b32_e64 v4, v4, s6, vcc_lo
	s_add_i32 s6, s6, 1
	s_cmp_lg_u32 s5, s6
	s_cbranch_scc1 .LBB120_1237
.LBB120_1238:
	s_set_inst_prefetch_distance 0x2
	s_waitcnt lgkmcnt(0)
	v_cmp_eq_f64_e32 vcc_lo, 0, v[0:1]
	v_cmp_eq_f64_e64 s2, 0, v[2:3]
	s_delay_alu instid0(VALU_DEP_1) | instskip(NEXT) | instid1(SALU_CYCLE_1)
	s_and_b32 s2, vcc_lo, s2
	s_and_saveexec_b32 s3, s2
	s_delay_alu instid0(SALU_CYCLE_1)
	s_xor_b32 s2, exec_lo, s3
; %bb.1239:
	v_cmp_ne_u32_e32 vcc_lo, 0, v35
	v_cndmask_b32_e32 v35, 54, v35, vcc_lo
; %bb.1240:
	s_and_not1_saveexec_b32 s3, s2
	s_cbranch_execz .LBB120_1246
; %bb.1241:
	v_cmp_gt_f64_e32 vcc_lo, 0, v[0:1]
	v_cmp_gt_f64_e64 s2, 0, v[2:3]
	v_xor_b32_e32 v5, 0x80000000, v1
	v_xor_b32_e32 v7, 0x80000000, v3
	s_delay_alu instid0(VALU_DEP_2) | instskip(NEXT) | instid1(VALU_DEP_2)
	v_dual_cndmask_b32 v6, v1, v5 :: v_dual_cndmask_b32 v5, v0, v0
	v_cndmask_b32_e64 v8, v3, v7, s2
	v_cndmask_b32_e64 v7, v2, v2, s2
	s_mov_b32 s2, exec_lo
	s_delay_alu instid0(VALU_DEP_1)
	v_cmpx_ngt_f64_e32 v[5:6], v[7:8]
	s_xor_b32 s2, exec_lo, s2
	s_cbranch_execz .LBB120_1243
; %bb.1242:
	v_div_scale_f64 v[5:6], null, v[2:3], v[2:3], v[0:1]
	v_div_scale_f64 v[11:12], vcc_lo, v[0:1], v[2:3], v[0:1]
	s_delay_alu instid0(VALU_DEP_2) | instskip(SKIP_2) | instid1(VALU_DEP_1)
	v_rcp_f64_e32 v[7:8], v[5:6]
	s_waitcnt_depctr 0xfff
	v_fma_f64 v[9:10], -v[5:6], v[7:8], 1.0
	v_fma_f64 v[7:8], v[7:8], v[9:10], v[7:8]
	s_delay_alu instid0(VALU_DEP_1) | instskip(NEXT) | instid1(VALU_DEP_1)
	v_fma_f64 v[9:10], -v[5:6], v[7:8], 1.0
	v_fma_f64 v[7:8], v[7:8], v[9:10], v[7:8]
	s_delay_alu instid0(VALU_DEP_1) | instskip(NEXT) | instid1(VALU_DEP_1)
	v_mul_f64 v[9:10], v[11:12], v[7:8]
	v_fma_f64 v[5:6], -v[5:6], v[9:10], v[11:12]
	s_delay_alu instid0(VALU_DEP_1) | instskip(NEXT) | instid1(VALU_DEP_1)
	v_div_fmas_f64 v[5:6], v[5:6], v[7:8], v[9:10]
	v_div_fixup_f64 v[5:6], v[5:6], v[2:3], v[0:1]
	s_delay_alu instid0(VALU_DEP_1) | instskip(NEXT) | instid1(VALU_DEP_1)
	v_fma_f64 v[0:1], v[0:1], v[5:6], v[2:3]
	v_div_scale_f64 v[2:3], null, v[0:1], v[0:1], 1.0
	s_delay_alu instid0(VALU_DEP_1) | instskip(SKIP_2) | instid1(VALU_DEP_1)
	v_rcp_f64_e32 v[7:8], v[2:3]
	s_waitcnt_depctr 0xfff
	v_fma_f64 v[9:10], -v[2:3], v[7:8], 1.0
	v_fma_f64 v[7:8], v[7:8], v[9:10], v[7:8]
	s_delay_alu instid0(VALU_DEP_1) | instskip(NEXT) | instid1(VALU_DEP_1)
	v_fma_f64 v[9:10], -v[2:3], v[7:8], 1.0
	v_fma_f64 v[7:8], v[7:8], v[9:10], v[7:8]
	v_div_scale_f64 v[9:10], vcc_lo, 1.0, v[0:1], 1.0
	s_delay_alu instid0(VALU_DEP_1) | instskip(NEXT) | instid1(VALU_DEP_1)
	v_mul_f64 v[11:12], v[9:10], v[7:8]
	v_fma_f64 v[2:3], -v[2:3], v[11:12], v[9:10]
	s_delay_alu instid0(VALU_DEP_1) | instskip(NEXT) | instid1(VALU_DEP_1)
	v_div_fmas_f64 v[2:3], v[2:3], v[7:8], v[11:12]
	v_div_fixup_f64 v[2:3], v[2:3], v[0:1], 1.0
	s_delay_alu instid0(VALU_DEP_1)
	v_mul_f64 v[0:1], v[5:6], v[2:3]
	v_xor_b32_e32 v3, 0x80000000, v3
.LBB120_1243:
	s_and_not1_saveexec_b32 s2, s2
	s_cbranch_execz .LBB120_1245
; %bb.1244:
	s_delay_alu instid0(VALU_DEP_1) | instskip(SKIP_1) | instid1(VALU_DEP_2)
	v_div_scale_f64 v[5:6], null, v[0:1], v[0:1], v[2:3]
	v_div_scale_f64 v[11:12], vcc_lo, v[2:3], v[0:1], v[2:3]
	v_rcp_f64_e32 v[7:8], v[5:6]
	s_waitcnt_depctr 0xfff
	v_fma_f64 v[9:10], -v[5:6], v[7:8], 1.0
	s_delay_alu instid0(VALU_DEP_1) | instskip(NEXT) | instid1(VALU_DEP_1)
	v_fma_f64 v[7:8], v[7:8], v[9:10], v[7:8]
	v_fma_f64 v[9:10], -v[5:6], v[7:8], 1.0
	s_delay_alu instid0(VALU_DEP_1) | instskip(NEXT) | instid1(VALU_DEP_1)
	v_fma_f64 v[7:8], v[7:8], v[9:10], v[7:8]
	v_mul_f64 v[9:10], v[11:12], v[7:8]
	s_delay_alu instid0(VALU_DEP_1) | instskip(NEXT) | instid1(VALU_DEP_1)
	v_fma_f64 v[5:6], -v[5:6], v[9:10], v[11:12]
	v_div_fmas_f64 v[5:6], v[5:6], v[7:8], v[9:10]
	s_delay_alu instid0(VALU_DEP_1) | instskip(NEXT) | instid1(VALU_DEP_1)
	v_div_fixup_f64 v[5:6], v[5:6], v[0:1], v[2:3]
	v_fma_f64 v[0:1], v[2:3], v[5:6], v[0:1]
	s_delay_alu instid0(VALU_DEP_1) | instskip(NEXT) | instid1(VALU_DEP_1)
	v_div_scale_f64 v[2:3], null, v[0:1], v[0:1], 1.0
	v_rcp_f64_e32 v[7:8], v[2:3]
	s_waitcnt_depctr 0xfff
	v_fma_f64 v[9:10], -v[2:3], v[7:8], 1.0
	s_delay_alu instid0(VALU_DEP_1) | instskip(NEXT) | instid1(VALU_DEP_1)
	v_fma_f64 v[7:8], v[7:8], v[9:10], v[7:8]
	v_fma_f64 v[9:10], -v[2:3], v[7:8], 1.0
	s_delay_alu instid0(VALU_DEP_1) | instskip(SKIP_1) | instid1(VALU_DEP_1)
	v_fma_f64 v[7:8], v[7:8], v[9:10], v[7:8]
	v_div_scale_f64 v[9:10], vcc_lo, 1.0, v[0:1], 1.0
	v_mul_f64 v[11:12], v[9:10], v[7:8]
	s_delay_alu instid0(VALU_DEP_1) | instskip(NEXT) | instid1(VALU_DEP_1)
	v_fma_f64 v[2:3], -v[2:3], v[11:12], v[9:10]
	v_div_fmas_f64 v[2:3], v[2:3], v[7:8], v[11:12]
	s_delay_alu instid0(VALU_DEP_1) | instskip(NEXT) | instid1(VALU_DEP_1)
	v_div_fixup_f64 v[0:1], v[2:3], v[0:1], 1.0
	v_mul_f64 v[2:3], v[5:6], -v[0:1]
.LBB120_1245:
	s_or_b32 exec_lo, exec_lo, s2
.LBB120_1246:
	s_delay_alu instid0(SALU_CYCLE_1) | instskip(NEXT) | instid1(SALU_CYCLE_1)
	s_or_b32 exec_lo, exec_lo, s3
	s_mov_b32 s2, exec_lo
	v_cmpx_ne_u32_e64 v38, v4
	s_xor_b32 s2, exec_lo, s2
	s_cbranch_execz .LBB120_1252
; %bb.1247:
	s_mov_b32 s3, exec_lo
	v_cmpx_eq_u32_e32 53, v38
	s_cbranch_execz .LBB120_1251
; %bb.1248:
	v_cmp_ne_u32_e32 vcc_lo, 53, v4
	s_xor_b32 s6, s4, -1
	s_delay_alu instid0(SALU_CYCLE_1) | instskip(NEXT) | instid1(SALU_CYCLE_1)
	s_and_b32 s7, s6, vcc_lo
	s_and_saveexec_b32 s6, s7
	s_cbranch_execz .LBB120_1250
; %bb.1249:
	v_ashrrev_i32_e32 v5, 31, v4
	s_delay_alu instid0(VALU_DEP_1) | instskip(NEXT) | instid1(VALU_DEP_1)
	v_lshlrev_b64 v[5:6], 2, v[4:5]
	v_add_co_u32 v5, vcc_lo, v18, v5
	s_delay_alu instid0(VALU_DEP_2)
	v_add_co_ci_u32_e32 v6, vcc_lo, v19, v6, vcc_lo
	s_clause 0x1
	flat_load_b32 v7, v[5:6]
	flat_load_b32 v8, v[18:19] offset:212
	s_waitcnt vmcnt(1) lgkmcnt(1)
	flat_store_b32 v[18:19], v7 offset:212
	s_waitcnt vmcnt(0) lgkmcnt(1)
	flat_store_b32 v[5:6], v8
.LBB120_1250:
	s_or_b32 exec_lo, exec_lo, s6
	v_mov_b32_e32 v38, v4
	v_mov_b32_e32 v37, v4
.LBB120_1251:
	s_or_b32 exec_lo, exec_lo, s3
.LBB120_1252:
	s_and_not1_saveexec_b32 s2, s2
	s_cbranch_execz .LBB120_1254
; %bb.1253:
	s_clause 0x6
	scratch_load_b128 v[4:7], v142, off
	scratch_load_b128 v[8:11], v138, off
	;; [unrolled: 1-line block ×7, first 2 shown]
	v_mov_b32_e32 v38, 53
	s_waitcnt vmcnt(6)
	ds_store_2addr_b64 v20, v[4:5], v[6:7] offset0:108 offset1:109
	s_waitcnt vmcnt(5)
	ds_store_2addr_b64 v20, v[8:9], v[10:11] offset0:110 offset1:111
	s_waitcnt vmcnt(4)
	ds_store_2addr_b64 v20, v[12:13], v[14:15] offset0:112 offset1:113
	s_waitcnt vmcnt(3)
	ds_store_2addr_b64 v20, v[41:42], v[43:44] offset0:114 offset1:115
	s_waitcnt vmcnt(2)
	ds_store_2addr_b64 v20, v[45:46], v[47:48] offset0:116 offset1:117
	s_waitcnt vmcnt(1)
	ds_store_2addr_b64 v20, v[57:58], v[59:60] offset0:118 offset1:119
	s_waitcnt vmcnt(0)
	ds_store_2addr_b64 v20, v[61:62], v[63:64] offset0:120 offset1:121
.LBB120_1254:
	s_or_b32 exec_lo, exec_lo, s2
	s_delay_alu instid0(SALU_CYCLE_1)
	s_mov_b32 s2, exec_lo
	s_waitcnt lgkmcnt(0)
	s_waitcnt_vscnt null, 0x0
	s_barrier
	buffer_gl0_inv
	v_cmpx_lt_i32_e32 53, v38
	s_cbranch_execz .LBB120_1256
; %bb.1255:
	s_clause 0x1
	scratch_load_b128 v[4:7], off, off offset:848
	scratch_load_b128 v[8:11], off, off offset:864
	s_waitcnt vmcnt(1)
	v_mul_f64 v[12:13], v[0:1], v[6:7]
	v_mul_f64 v[6:7], v[2:3], v[6:7]
	s_delay_alu instid0(VALU_DEP_2)
	v_fma_f64 v[2:3], v[2:3], v[4:5], v[12:13]
	ds_load_2addr_b64 v[12:15], v20 offset0:108 offset1:109
	ds_load_2addr_b64 v[41:44], v20 offset0:110 offset1:111
	v_fma_f64 v[0:1], v[0:1], v[4:5], -v[6:7]
	s_waitcnt lgkmcnt(1)
	v_mul_f64 v[4:5], v[14:15], v[2:3]
	v_mul_f64 v[6:7], v[12:13], v[2:3]
	scratch_store_b128 off, v[0:3], off offset:848
	s_waitcnt lgkmcnt(0)
	v_mul_f64 v[102:103], v[43:44], v[2:3]
	v_mul_f64 v[105:106], v[41:42], v[2:3]
	v_fma_f64 v[4:5], v[12:13], v[0:1], -v[4:5]
	v_fma_f64 v[6:7], v[14:15], v[0:1], v[6:7]
	s_delay_alu instid0(VALU_DEP_4) | instskip(NEXT) | instid1(VALU_DEP_4)
	v_fma_f64 v[41:42], v[41:42], v[0:1], -v[102:103]
	v_fma_f64 v[43:44], v[43:44], v[0:1], v[105:106]
	s_waitcnt vmcnt(0)
	s_delay_alu instid0(VALU_DEP_4) | instskip(NEXT) | instid1(VALU_DEP_4)
	v_add_f64 v[4:5], v[8:9], -v[4:5]
	v_add_f64 v[6:7], v[10:11], -v[6:7]
	s_clause 0x6
	scratch_load_b128 v[8:11], off, off offset:848
	scratch_load_b128 v[12:15], off, off offset:896
	;; [unrolled: 1-line block ×7, first 2 shown]
	ds_load_2addr_b64 v[85:88], v20 offset0:112 offset1:113
	ds_load_2addr_b64 v[89:92], v20 offset0:114 offset1:115
	;; [unrolled: 1-line block ×5, first 2 shown]
	s_waitcnt lgkmcnt(4)
	v_mul_f64 v[49:50], v[87:88], v[2:3]
	v_mul_f64 v[53:54], v[85:86], v[2:3]
	s_waitcnt lgkmcnt(3)
	v_mul_f64 v[65:66], v[91:92], v[2:3]
	v_mul_f64 v[69:70], v[89:90], v[2:3]
	;; [unrolled: 3-line block ×4, first 2 shown]
	v_fma_f64 v[49:50], v[85:86], v[0:1], -v[49:50]
	v_fma_f64 v[53:54], v[87:88], v[0:1], v[53:54]
	v_fma_f64 v[65:66], v[89:90], v[0:1], -v[65:66]
	v_fma_f64 v[69:70], v[91:92], v[0:1], v[69:70]
	;; [unrolled: 2-line block ×4, first 2 shown]
	s_waitcnt vmcnt(6) lgkmcnt(0)
	v_mul_f64 v[117:118], v[166:167], v[10:11]
	v_mul_f64 v[10:11], v[164:165], v[10:11]
	s_waitcnt vmcnt(5)
	v_add_f64 v[0:1], v[12:13], -v[49:50]
	v_add_f64 v[2:3], v[14:15], -v[53:54]
	s_waitcnt vmcnt(2)
	v_add_f64 v[41:42], v[61:62], -v[41:42]
	v_add_f64 v[43:44], v[63:64], -v[43:44]
	;; [unrolled: 1-line block ×4, first 2 shown]
	v_fma_f64 v[91:92], v[164:165], v[8:9], -v[117:118]
	v_fma_f64 v[93:94], v[166:167], v[8:9], v[10:11]
	v_add_f64 v[8:9], v[45:46], -v[65:66]
	v_add_f64 v[10:11], v[47:48], -v[69:70]
	s_waitcnt vmcnt(1)
	v_add_f64 v[45:46], v[73:74], -v[87:88]
	v_add_f64 v[47:48], v[75:76], -v[89:90]
	s_waitcnt vmcnt(0)
	v_add_f64 v[57:58], v[81:82], -v[91:92]
	v_add_f64 v[59:60], v[83:84], -v[93:94]
	s_clause 0x6
	scratch_store_b128 off, v[4:7], off offset:864
	scratch_store_b128 off, v[41:44], off offset:880
	;; [unrolled: 1-line block ×7, first 2 shown]
.LBB120_1256:
	s_or_b32 exec_lo, exec_lo, s2
	s_waitcnt_vscnt null, 0x0
	s_barrier
	buffer_gl0_inv
	scratch_load_b128 v[0:3], v142, off
	v_lshl_add_u32 v4, v38, 4, v20
	s_cmp_lt_i32 s5, 56
	s_waitcnt vmcnt(0)
	ds_store_2addr_b64 v4, v[0:1], v[2:3] offset1:1
	s_waitcnt lgkmcnt(0)
	s_barrier
	buffer_gl0_inv
	ds_load_2addr_b64 v[0:3], v20 offset0:108 offset1:109
	v_mov_b32_e32 v4, 54
	s_cbranch_scc1 .LBB120_1259
; %bb.1257:
	v_add3_u32 v5, v36, 0, 0x370
	v_mov_b32_e32 v4, 54
	s_mov_b32 s6, 55
	s_set_inst_prefetch_distance 0x1
	.p2align	6
.LBB120_1258:                           ; =>This Inner Loop Header: Depth=1
	ds_load_2addr_b64 v[6:9], v5 offset1:1
	s_waitcnt lgkmcnt(1)
	v_cmp_gt_f64_e32 vcc_lo, 0, v[0:1]
	v_xor_b32_e32 v10, 0x80000000, v1
	v_cmp_gt_f64_e64 s2, 0, v[2:3]
	v_xor_b32_e32 v12, 0x80000000, v3
	v_add_nc_u32_e32 v5, 16, v5
	s_waitcnt lgkmcnt(0)
	v_cmp_gt_f64_e64 s3, 0, v[6:7]
	v_dual_mov_b32 v41, v8 :: v_dual_mov_b32 v14, v6
	v_cndmask_b32_e32 v11, v1, v10, vcc_lo
	v_xor_b32_e32 v10, 0x80000000, v7
	v_cndmask_b32_e64 v13, v3, v12, s2
	v_xor_b32_e32 v12, 0x80000000, v9
	s_delay_alu instid0(VALU_DEP_3) | instskip(SKIP_2) | instid1(VALU_DEP_2)
	v_cndmask_b32_e64 v15, v7, v10, s3
	v_cmp_gt_f64_e64 s3, 0, v[8:9]
	v_cndmask_b32_e32 v10, v0, v0, vcc_lo
	v_cndmask_b32_e64 v42, v9, v12, s3
	v_cndmask_b32_e64 v12, v2, v2, s2
	s_delay_alu instid0(VALU_DEP_2) | instskip(NEXT) | instid1(VALU_DEP_2)
	v_add_f64 v[14:15], v[14:15], v[41:42]
	v_add_f64 v[10:11], v[10:11], v[12:13]
	s_delay_alu instid0(VALU_DEP_1) | instskip(SKIP_4) | instid1(SALU_CYCLE_1)
	v_cmp_lt_f64_e32 vcc_lo, v[10:11], v[14:15]
	v_dual_cndmask_b32 v1, v1, v7 :: v_dual_cndmask_b32 v0, v0, v6
	v_dual_cndmask_b32 v3, v3, v9 :: v_dual_cndmask_b32 v2, v2, v8
	v_cndmask_b32_e64 v4, v4, s6, vcc_lo
	s_add_i32 s6, s6, 1
	s_cmp_lg_u32 s5, s6
	s_cbranch_scc1 .LBB120_1258
.LBB120_1259:
	s_set_inst_prefetch_distance 0x2
	s_waitcnt lgkmcnt(0)
	v_cmp_eq_f64_e32 vcc_lo, 0, v[0:1]
	v_cmp_eq_f64_e64 s2, 0, v[2:3]
	s_delay_alu instid0(VALU_DEP_1) | instskip(NEXT) | instid1(SALU_CYCLE_1)
	s_and_b32 s2, vcc_lo, s2
	s_and_saveexec_b32 s3, s2
	s_delay_alu instid0(SALU_CYCLE_1)
	s_xor_b32 s2, exec_lo, s3
; %bb.1260:
	v_cmp_ne_u32_e32 vcc_lo, 0, v35
	v_cndmask_b32_e32 v35, 55, v35, vcc_lo
; %bb.1261:
	s_and_not1_saveexec_b32 s3, s2
	s_cbranch_execz .LBB120_1267
; %bb.1262:
	v_cmp_gt_f64_e32 vcc_lo, 0, v[0:1]
	v_cmp_gt_f64_e64 s2, 0, v[2:3]
	v_xor_b32_e32 v5, 0x80000000, v1
	v_xor_b32_e32 v7, 0x80000000, v3
	s_delay_alu instid0(VALU_DEP_2) | instskip(NEXT) | instid1(VALU_DEP_2)
	v_dual_cndmask_b32 v6, v1, v5 :: v_dual_cndmask_b32 v5, v0, v0
	v_cndmask_b32_e64 v8, v3, v7, s2
	v_cndmask_b32_e64 v7, v2, v2, s2
	s_mov_b32 s2, exec_lo
	s_delay_alu instid0(VALU_DEP_1)
	v_cmpx_ngt_f64_e32 v[5:6], v[7:8]
	s_xor_b32 s2, exec_lo, s2
	s_cbranch_execz .LBB120_1264
; %bb.1263:
	v_div_scale_f64 v[5:6], null, v[2:3], v[2:3], v[0:1]
	v_div_scale_f64 v[11:12], vcc_lo, v[0:1], v[2:3], v[0:1]
	s_delay_alu instid0(VALU_DEP_2) | instskip(SKIP_2) | instid1(VALU_DEP_1)
	v_rcp_f64_e32 v[7:8], v[5:6]
	s_waitcnt_depctr 0xfff
	v_fma_f64 v[9:10], -v[5:6], v[7:8], 1.0
	v_fma_f64 v[7:8], v[7:8], v[9:10], v[7:8]
	s_delay_alu instid0(VALU_DEP_1) | instskip(NEXT) | instid1(VALU_DEP_1)
	v_fma_f64 v[9:10], -v[5:6], v[7:8], 1.0
	v_fma_f64 v[7:8], v[7:8], v[9:10], v[7:8]
	s_delay_alu instid0(VALU_DEP_1) | instskip(NEXT) | instid1(VALU_DEP_1)
	v_mul_f64 v[9:10], v[11:12], v[7:8]
	v_fma_f64 v[5:6], -v[5:6], v[9:10], v[11:12]
	s_delay_alu instid0(VALU_DEP_1) | instskip(NEXT) | instid1(VALU_DEP_1)
	v_div_fmas_f64 v[5:6], v[5:6], v[7:8], v[9:10]
	v_div_fixup_f64 v[5:6], v[5:6], v[2:3], v[0:1]
	s_delay_alu instid0(VALU_DEP_1) | instskip(NEXT) | instid1(VALU_DEP_1)
	v_fma_f64 v[0:1], v[0:1], v[5:6], v[2:3]
	v_div_scale_f64 v[2:3], null, v[0:1], v[0:1], 1.0
	s_delay_alu instid0(VALU_DEP_1) | instskip(SKIP_2) | instid1(VALU_DEP_1)
	v_rcp_f64_e32 v[7:8], v[2:3]
	s_waitcnt_depctr 0xfff
	v_fma_f64 v[9:10], -v[2:3], v[7:8], 1.0
	v_fma_f64 v[7:8], v[7:8], v[9:10], v[7:8]
	s_delay_alu instid0(VALU_DEP_1) | instskip(NEXT) | instid1(VALU_DEP_1)
	v_fma_f64 v[9:10], -v[2:3], v[7:8], 1.0
	v_fma_f64 v[7:8], v[7:8], v[9:10], v[7:8]
	v_div_scale_f64 v[9:10], vcc_lo, 1.0, v[0:1], 1.0
	s_delay_alu instid0(VALU_DEP_1) | instskip(NEXT) | instid1(VALU_DEP_1)
	v_mul_f64 v[11:12], v[9:10], v[7:8]
	v_fma_f64 v[2:3], -v[2:3], v[11:12], v[9:10]
	s_delay_alu instid0(VALU_DEP_1) | instskip(NEXT) | instid1(VALU_DEP_1)
	v_div_fmas_f64 v[2:3], v[2:3], v[7:8], v[11:12]
	v_div_fixup_f64 v[2:3], v[2:3], v[0:1], 1.0
	s_delay_alu instid0(VALU_DEP_1)
	v_mul_f64 v[0:1], v[5:6], v[2:3]
	v_xor_b32_e32 v3, 0x80000000, v3
.LBB120_1264:
	s_and_not1_saveexec_b32 s2, s2
	s_cbranch_execz .LBB120_1266
; %bb.1265:
	s_delay_alu instid0(VALU_DEP_1) | instskip(SKIP_1) | instid1(VALU_DEP_2)
	v_div_scale_f64 v[5:6], null, v[0:1], v[0:1], v[2:3]
	v_div_scale_f64 v[11:12], vcc_lo, v[2:3], v[0:1], v[2:3]
	v_rcp_f64_e32 v[7:8], v[5:6]
	s_waitcnt_depctr 0xfff
	v_fma_f64 v[9:10], -v[5:6], v[7:8], 1.0
	s_delay_alu instid0(VALU_DEP_1) | instskip(NEXT) | instid1(VALU_DEP_1)
	v_fma_f64 v[7:8], v[7:8], v[9:10], v[7:8]
	v_fma_f64 v[9:10], -v[5:6], v[7:8], 1.0
	s_delay_alu instid0(VALU_DEP_1) | instskip(NEXT) | instid1(VALU_DEP_1)
	v_fma_f64 v[7:8], v[7:8], v[9:10], v[7:8]
	v_mul_f64 v[9:10], v[11:12], v[7:8]
	s_delay_alu instid0(VALU_DEP_1) | instskip(NEXT) | instid1(VALU_DEP_1)
	v_fma_f64 v[5:6], -v[5:6], v[9:10], v[11:12]
	v_div_fmas_f64 v[5:6], v[5:6], v[7:8], v[9:10]
	s_delay_alu instid0(VALU_DEP_1) | instskip(NEXT) | instid1(VALU_DEP_1)
	v_div_fixup_f64 v[5:6], v[5:6], v[0:1], v[2:3]
	v_fma_f64 v[0:1], v[2:3], v[5:6], v[0:1]
	s_delay_alu instid0(VALU_DEP_1) | instskip(NEXT) | instid1(VALU_DEP_1)
	v_div_scale_f64 v[2:3], null, v[0:1], v[0:1], 1.0
	v_rcp_f64_e32 v[7:8], v[2:3]
	s_waitcnt_depctr 0xfff
	v_fma_f64 v[9:10], -v[2:3], v[7:8], 1.0
	s_delay_alu instid0(VALU_DEP_1) | instskip(NEXT) | instid1(VALU_DEP_1)
	v_fma_f64 v[7:8], v[7:8], v[9:10], v[7:8]
	v_fma_f64 v[9:10], -v[2:3], v[7:8], 1.0
	s_delay_alu instid0(VALU_DEP_1) | instskip(SKIP_1) | instid1(VALU_DEP_1)
	v_fma_f64 v[7:8], v[7:8], v[9:10], v[7:8]
	v_div_scale_f64 v[9:10], vcc_lo, 1.0, v[0:1], 1.0
	v_mul_f64 v[11:12], v[9:10], v[7:8]
	s_delay_alu instid0(VALU_DEP_1) | instskip(NEXT) | instid1(VALU_DEP_1)
	v_fma_f64 v[2:3], -v[2:3], v[11:12], v[9:10]
	v_div_fmas_f64 v[2:3], v[2:3], v[7:8], v[11:12]
	s_delay_alu instid0(VALU_DEP_1) | instskip(NEXT) | instid1(VALU_DEP_1)
	v_div_fixup_f64 v[0:1], v[2:3], v[0:1], 1.0
	v_mul_f64 v[2:3], v[5:6], -v[0:1]
.LBB120_1266:
	s_or_b32 exec_lo, exec_lo, s2
.LBB120_1267:
	s_delay_alu instid0(SALU_CYCLE_1) | instskip(NEXT) | instid1(SALU_CYCLE_1)
	s_or_b32 exec_lo, exec_lo, s3
	s_mov_b32 s2, exec_lo
	v_cmpx_ne_u32_e64 v38, v4
	s_xor_b32 s2, exec_lo, s2
	s_cbranch_execz .LBB120_1273
; %bb.1268:
	s_mov_b32 s3, exec_lo
	v_cmpx_eq_u32_e32 54, v38
	s_cbranch_execz .LBB120_1272
; %bb.1269:
	v_cmp_ne_u32_e32 vcc_lo, 54, v4
	s_xor_b32 s6, s4, -1
	s_delay_alu instid0(SALU_CYCLE_1) | instskip(NEXT) | instid1(SALU_CYCLE_1)
	s_and_b32 s7, s6, vcc_lo
	s_and_saveexec_b32 s6, s7
	s_cbranch_execz .LBB120_1271
; %bb.1270:
	v_ashrrev_i32_e32 v5, 31, v4
	s_delay_alu instid0(VALU_DEP_1) | instskip(NEXT) | instid1(VALU_DEP_1)
	v_lshlrev_b64 v[5:6], 2, v[4:5]
	v_add_co_u32 v5, vcc_lo, v18, v5
	s_delay_alu instid0(VALU_DEP_2)
	v_add_co_ci_u32_e32 v6, vcc_lo, v19, v6, vcc_lo
	s_clause 0x1
	flat_load_b32 v7, v[5:6]
	flat_load_b32 v8, v[18:19] offset:216
	s_waitcnt vmcnt(1) lgkmcnt(1)
	flat_store_b32 v[18:19], v7 offset:216
	s_waitcnt vmcnt(0) lgkmcnt(1)
	flat_store_b32 v[5:6], v8
.LBB120_1271:
	s_or_b32 exec_lo, exec_lo, s6
	v_mov_b32_e32 v38, v4
	v_mov_b32_e32 v37, v4
.LBB120_1272:
	s_or_b32 exec_lo, exec_lo, s3
.LBB120_1273:
	s_and_not1_saveexec_b32 s2, s2
	s_cbranch_execz .LBB120_1275
; %bb.1274:
	s_clause 0x5
	scratch_load_b128 v[4:7], v138, off
	scratch_load_b128 v[8:11], v141, off
	;; [unrolled: 1-line block ×6, first 2 shown]
	v_mov_b32_e32 v38, 54
	s_waitcnt vmcnt(5)
	ds_store_2addr_b64 v20, v[4:5], v[6:7] offset0:110 offset1:111
	s_waitcnt vmcnt(4)
	ds_store_2addr_b64 v20, v[8:9], v[10:11] offset0:112 offset1:113
	s_waitcnt vmcnt(3)
	ds_store_2addr_b64 v20, v[12:13], v[14:15] offset0:114 offset1:115
	s_waitcnt vmcnt(2)
	ds_store_2addr_b64 v20, v[41:42], v[43:44] offset0:116 offset1:117
	s_waitcnt vmcnt(1)
	ds_store_2addr_b64 v20, v[45:46], v[47:48] offset0:118 offset1:119
	s_waitcnt vmcnt(0)
	ds_store_2addr_b64 v20, v[57:58], v[59:60] offset0:120 offset1:121
.LBB120_1275:
	s_or_b32 exec_lo, exec_lo, s2
	s_delay_alu instid0(SALU_CYCLE_1)
	s_mov_b32 s2, exec_lo
	s_waitcnt lgkmcnt(0)
	s_waitcnt_vscnt null, 0x0
	s_barrier
	buffer_gl0_inv
	v_cmpx_lt_i32_e32 54, v38
	s_cbranch_execz .LBB120_1277
; %bb.1276:
	s_clause 0x6
	scratch_load_b128 v[4:7], off, off offset:864
	scratch_load_b128 v[8:11], off, off offset:880
	scratch_load_b128 v[12:15], off, off offset:896
	scratch_load_b128 v[41:44], off, off offset:912
	scratch_load_b128 v[45:48], off, off offset:928
	scratch_load_b128 v[57:60], off, off offset:944
	scratch_load_b128 v[61:64], off, off offset:960
	ds_load_2addr_b64 v[73:76], v20 offset0:110 offset1:111
	ds_load_2addr_b64 v[81:84], v20 offset0:112 offset1:113
	ds_load_2addr_b64 v[85:88], v20 offset0:114 offset1:115
	ds_load_2addr_b64 v[89:92], v20 offset0:116 offset1:117
	ds_load_2addr_b64 v[93:96], v20 offset0:118 offset1:119
	ds_load_2addr_b64 v[129:132], v20 offset0:120 offset1:121
	s_waitcnt vmcnt(6)
	v_mul_f64 v[49:50], v[0:1], v[6:7]
	v_mul_f64 v[6:7], v[2:3], v[6:7]
	s_delay_alu instid0(VALU_DEP_2) | instskip(NEXT) | instid1(VALU_DEP_2)
	v_fma_f64 v[2:3], v[2:3], v[4:5], v[49:50]
	v_fma_f64 v[0:1], v[0:1], v[4:5], -v[6:7]
	s_waitcnt lgkmcnt(5)
	s_delay_alu instid0(VALU_DEP_2)
	v_mul_f64 v[4:5], v[75:76], v[2:3]
	v_mul_f64 v[6:7], v[73:74], v[2:3]
	s_waitcnt lgkmcnt(4)
	v_mul_f64 v[49:50], v[83:84], v[2:3]
	v_mul_f64 v[53:54], v[81:82], v[2:3]
	s_waitcnt lgkmcnt(3)
	;; [unrolled: 3-line block ×5, first 2 shown]
	v_mul_f64 v[113:114], v[131:132], v[2:3]
	v_mul_f64 v[117:118], v[129:130], v[2:3]
	v_fma_f64 v[4:5], v[73:74], v[0:1], -v[4:5]
	v_fma_f64 v[6:7], v[75:76], v[0:1], v[6:7]
	v_fma_f64 v[49:50], v[81:82], v[0:1], -v[49:50]
	v_fma_f64 v[53:54], v[83:84], v[0:1], v[53:54]
	;; [unrolled: 2-line block ×6, first 2 shown]
	s_waitcnt vmcnt(5)
	v_add_f64 v[4:5], v[8:9], -v[4:5]
	v_add_f64 v[6:7], v[10:11], -v[6:7]
	s_waitcnt vmcnt(4)
	v_add_f64 v[8:9], v[12:13], -v[49:50]
	v_add_f64 v[10:11], v[14:15], -v[53:54]
	;; [unrolled: 3-line block ×6, first 2 shown]
	s_clause 0x6
	scratch_store_b128 off, v[0:3], off offset:864
	scratch_store_b128 off, v[4:7], off offset:880
	;; [unrolled: 1-line block ×7, first 2 shown]
.LBB120_1277:
	s_or_b32 exec_lo, exec_lo, s2
	s_waitcnt_vscnt null, 0x0
	s_barrier
	buffer_gl0_inv
	scratch_load_b128 v[0:3], v138, off
	v_lshl_add_u32 v4, v38, 4, v20
	s_cmp_lt_i32 s5, 57
	s_waitcnt vmcnt(0)
	ds_store_2addr_b64 v4, v[0:1], v[2:3] offset1:1
	s_waitcnt lgkmcnt(0)
	s_barrier
	buffer_gl0_inv
	ds_load_2addr_b64 v[0:3], v20 offset0:110 offset1:111
	v_mov_b32_e32 v4, 55
	s_cbranch_scc1 .LBB120_1280
; %bb.1278:
	v_add3_u32 v5, v36, 0, 0x380
	v_mov_b32_e32 v4, 55
	s_mov_b32 s6, 56
	s_set_inst_prefetch_distance 0x1
	.p2align	6
.LBB120_1279:                           ; =>This Inner Loop Header: Depth=1
	ds_load_2addr_b64 v[6:9], v5 offset1:1
	s_waitcnt lgkmcnt(1)
	v_cmp_gt_f64_e32 vcc_lo, 0, v[0:1]
	v_xor_b32_e32 v10, 0x80000000, v1
	v_cmp_gt_f64_e64 s2, 0, v[2:3]
	v_xor_b32_e32 v12, 0x80000000, v3
	v_add_nc_u32_e32 v5, 16, v5
	s_waitcnt lgkmcnt(0)
	v_cmp_gt_f64_e64 s3, 0, v[6:7]
	v_dual_mov_b32 v41, v8 :: v_dual_mov_b32 v14, v6
	v_cndmask_b32_e32 v11, v1, v10, vcc_lo
	v_xor_b32_e32 v10, 0x80000000, v7
	v_cndmask_b32_e64 v13, v3, v12, s2
	v_xor_b32_e32 v12, 0x80000000, v9
	s_delay_alu instid0(VALU_DEP_3) | instskip(SKIP_2) | instid1(VALU_DEP_2)
	v_cndmask_b32_e64 v15, v7, v10, s3
	v_cmp_gt_f64_e64 s3, 0, v[8:9]
	v_cndmask_b32_e32 v10, v0, v0, vcc_lo
	v_cndmask_b32_e64 v42, v9, v12, s3
	v_cndmask_b32_e64 v12, v2, v2, s2
	s_delay_alu instid0(VALU_DEP_2) | instskip(NEXT) | instid1(VALU_DEP_2)
	v_add_f64 v[14:15], v[14:15], v[41:42]
	v_add_f64 v[10:11], v[10:11], v[12:13]
	s_delay_alu instid0(VALU_DEP_1) | instskip(SKIP_4) | instid1(SALU_CYCLE_1)
	v_cmp_lt_f64_e32 vcc_lo, v[10:11], v[14:15]
	v_dual_cndmask_b32 v1, v1, v7 :: v_dual_cndmask_b32 v0, v0, v6
	v_dual_cndmask_b32 v3, v3, v9 :: v_dual_cndmask_b32 v2, v2, v8
	v_cndmask_b32_e64 v4, v4, s6, vcc_lo
	s_add_i32 s6, s6, 1
	s_cmp_lg_u32 s5, s6
	s_cbranch_scc1 .LBB120_1279
.LBB120_1280:
	s_set_inst_prefetch_distance 0x2
	s_waitcnt lgkmcnt(0)
	v_cmp_eq_f64_e32 vcc_lo, 0, v[0:1]
	v_cmp_eq_f64_e64 s2, 0, v[2:3]
	s_delay_alu instid0(VALU_DEP_1) | instskip(NEXT) | instid1(SALU_CYCLE_1)
	s_and_b32 s2, vcc_lo, s2
	s_and_saveexec_b32 s3, s2
	s_delay_alu instid0(SALU_CYCLE_1)
	s_xor_b32 s2, exec_lo, s3
; %bb.1281:
	v_cmp_ne_u32_e32 vcc_lo, 0, v35
	v_cndmask_b32_e32 v35, 56, v35, vcc_lo
; %bb.1282:
	s_and_not1_saveexec_b32 s3, s2
	s_cbranch_execz .LBB120_1288
; %bb.1283:
	v_cmp_gt_f64_e32 vcc_lo, 0, v[0:1]
	v_cmp_gt_f64_e64 s2, 0, v[2:3]
	v_xor_b32_e32 v5, 0x80000000, v1
	v_xor_b32_e32 v7, 0x80000000, v3
	s_delay_alu instid0(VALU_DEP_2) | instskip(NEXT) | instid1(VALU_DEP_2)
	v_dual_cndmask_b32 v6, v1, v5 :: v_dual_cndmask_b32 v5, v0, v0
	v_cndmask_b32_e64 v8, v3, v7, s2
	v_cndmask_b32_e64 v7, v2, v2, s2
	s_mov_b32 s2, exec_lo
	s_delay_alu instid0(VALU_DEP_1)
	v_cmpx_ngt_f64_e32 v[5:6], v[7:8]
	s_xor_b32 s2, exec_lo, s2
	s_cbranch_execz .LBB120_1285
; %bb.1284:
	v_div_scale_f64 v[5:6], null, v[2:3], v[2:3], v[0:1]
	v_div_scale_f64 v[11:12], vcc_lo, v[0:1], v[2:3], v[0:1]
	s_delay_alu instid0(VALU_DEP_2) | instskip(SKIP_2) | instid1(VALU_DEP_1)
	v_rcp_f64_e32 v[7:8], v[5:6]
	s_waitcnt_depctr 0xfff
	v_fma_f64 v[9:10], -v[5:6], v[7:8], 1.0
	v_fma_f64 v[7:8], v[7:8], v[9:10], v[7:8]
	s_delay_alu instid0(VALU_DEP_1) | instskip(NEXT) | instid1(VALU_DEP_1)
	v_fma_f64 v[9:10], -v[5:6], v[7:8], 1.0
	v_fma_f64 v[7:8], v[7:8], v[9:10], v[7:8]
	s_delay_alu instid0(VALU_DEP_1) | instskip(NEXT) | instid1(VALU_DEP_1)
	v_mul_f64 v[9:10], v[11:12], v[7:8]
	v_fma_f64 v[5:6], -v[5:6], v[9:10], v[11:12]
	s_delay_alu instid0(VALU_DEP_1) | instskip(NEXT) | instid1(VALU_DEP_1)
	v_div_fmas_f64 v[5:6], v[5:6], v[7:8], v[9:10]
	v_div_fixup_f64 v[5:6], v[5:6], v[2:3], v[0:1]
	s_delay_alu instid0(VALU_DEP_1) | instskip(NEXT) | instid1(VALU_DEP_1)
	v_fma_f64 v[0:1], v[0:1], v[5:6], v[2:3]
	v_div_scale_f64 v[2:3], null, v[0:1], v[0:1], 1.0
	s_delay_alu instid0(VALU_DEP_1) | instskip(SKIP_2) | instid1(VALU_DEP_1)
	v_rcp_f64_e32 v[7:8], v[2:3]
	s_waitcnt_depctr 0xfff
	v_fma_f64 v[9:10], -v[2:3], v[7:8], 1.0
	v_fma_f64 v[7:8], v[7:8], v[9:10], v[7:8]
	s_delay_alu instid0(VALU_DEP_1) | instskip(NEXT) | instid1(VALU_DEP_1)
	v_fma_f64 v[9:10], -v[2:3], v[7:8], 1.0
	v_fma_f64 v[7:8], v[7:8], v[9:10], v[7:8]
	v_div_scale_f64 v[9:10], vcc_lo, 1.0, v[0:1], 1.0
	s_delay_alu instid0(VALU_DEP_1) | instskip(NEXT) | instid1(VALU_DEP_1)
	v_mul_f64 v[11:12], v[9:10], v[7:8]
	v_fma_f64 v[2:3], -v[2:3], v[11:12], v[9:10]
	s_delay_alu instid0(VALU_DEP_1) | instskip(NEXT) | instid1(VALU_DEP_1)
	v_div_fmas_f64 v[2:3], v[2:3], v[7:8], v[11:12]
	v_div_fixup_f64 v[2:3], v[2:3], v[0:1], 1.0
	s_delay_alu instid0(VALU_DEP_1)
	v_mul_f64 v[0:1], v[5:6], v[2:3]
	v_xor_b32_e32 v3, 0x80000000, v3
.LBB120_1285:
	s_and_not1_saveexec_b32 s2, s2
	s_cbranch_execz .LBB120_1287
; %bb.1286:
	s_delay_alu instid0(VALU_DEP_1) | instskip(SKIP_1) | instid1(VALU_DEP_2)
	v_div_scale_f64 v[5:6], null, v[0:1], v[0:1], v[2:3]
	v_div_scale_f64 v[11:12], vcc_lo, v[2:3], v[0:1], v[2:3]
	v_rcp_f64_e32 v[7:8], v[5:6]
	s_waitcnt_depctr 0xfff
	v_fma_f64 v[9:10], -v[5:6], v[7:8], 1.0
	s_delay_alu instid0(VALU_DEP_1) | instskip(NEXT) | instid1(VALU_DEP_1)
	v_fma_f64 v[7:8], v[7:8], v[9:10], v[7:8]
	v_fma_f64 v[9:10], -v[5:6], v[7:8], 1.0
	s_delay_alu instid0(VALU_DEP_1) | instskip(NEXT) | instid1(VALU_DEP_1)
	v_fma_f64 v[7:8], v[7:8], v[9:10], v[7:8]
	v_mul_f64 v[9:10], v[11:12], v[7:8]
	s_delay_alu instid0(VALU_DEP_1) | instskip(NEXT) | instid1(VALU_DEP_1)
	v_fma_f64 v[5:6], -v[5:6], v[9:10], v[11:12]
	v_div_fmas_f64 v[5:6], v[5:6], v[7:8], v[9:10]
	s_delay_alu instid0(VALU_DEP_1) | instskip(NEXT) | instid1(VALU_DEP_1)
	v_div_fixup_f64 v[5:6], v[5:6], v[0:1], v[2:3]
	v_fma_f64 v[0:1], v[2:3], v[5:6], v[0:1]
	s_delay_alu instid0(VALU_DEP_1) | instskip(NEXT) | instid1(VALU_DEP_1)
	v_div_scale_f64 v[2:3], null, v[0:1], v[0:1], 1.0
	v_rcp_f64_e32 v[7:8], v[2:3]
	s_waitcnt_depctr 0xfff
	v_fma_f64 v[9:10], -v[2:3], v[7:8], 1.0
	s_delay_alu instid0(VALU_DEP_1) | instskip(NEXT) | instid1(VALU_DEP_1)
	v_fma_f64 v[7:8], v[7:8], v[9:10], v[7:8]
	v_fma_f64 v[9:10], -v[2:3], v[7:8], 1.0
	s_delay_alu instid0(VALU_DEP_1) | instskip(SKIP_1) | instid1(VALU_DEP_1)
	v_fma_f64 v[7:8], v[7:8], v[9:10], v[7:8]
	v_div_scale_f64 v[9:10], vcc_lo, 1.0, v[0:1], 1.0
	v_mul_f64 v[11:12], v[9:10], v[7:8]
	s_delay_alu instid0(VALU_DEP_1) | instskip(NEXT) | instid1(VALU_DEP_1)
	v_fma_f64 v[2:3], -v[2:3], v[11:12], v[9:10]
	v_div_fmas_f64 v[2:3], v[2:3], v[7:8], v[11:12]
	s_delay_alu instid0(VALU_DEP_1) | instskip(NEXT) | instid1(VALU_DEP_1)
	v_div_fixup_f64 v[0:1], v[2:3], v[0:1], 1.0
	v_mul_f64 v[2:3], v[5:6], -v[0:1]
.LBB120_1287:
	s_or_b32 exec_lo, exec_lo, s2
.LBB120_1288:
	s_delay_alu instid0(SALU_CYCLE_1) | instskip(NEXT) | instid1(SALU_CYCLE_1)
	s_or_b32 exec_lo, exec_lo, s3
	s_mov_b32 s2, exec_lo
	v_cmpx_ne_u32_e64 v38, v4
	s_xor_b32 s2, exec_lo, s2
	s_cbranch_execz .LBB120_1294
; %bb.1289:
	s_mov_b32 s3, exec_lo
	v_cmpx_eq_u32_e32 55, v38
	s_cbranch_execz .LBB120_1293
; %bb.1290:
	v_cmp_ne_u32_e32 vcc_lo, 55, v4
	s_xor_b32 s6, s4, -1
	s_delay_alu instid0(SALU_CYCLE_1) | instskip(NEXT) | instid1(SALU_CYCLE_1)
	s_and_b32 s7, s6, vcc_lo
	s_and_saveexec_b32 s6, s7
	s_cbranch_execz .LBB120_1292
; %bb.1291:
	v_ashrrev_i32_e32 v5, 31, v4
	s_delay_alu instid0(VALU_DEP_1) | instskip(NEXT) | instid1(VALU_DEP_1)
	v_lshlrev_b64 v[5:6], 2, v[4:5]
	v_add_co_u32 v5, vcc_lo, v18, v5
	s_delay_alu instid0(VALU_DEP_2)
	v_add_co_ci_u32_e32 v6, vcc_lo, v19, v6, vcc_lo
	s_clause 0x1
	flat_load_b32 v7, v[5:6]
	flat_load_b32 v8, v[18:19] offset:220
	s_waitcnt vmcnt(1) lgkmcnt(1)
	flat_store_b32 v[18:19], v7 offset:220
	s_waitcnt vmcnt(0) lgkmcnt(1)
	flat_store_b32 v[5:6], v8
.LBB120_1292:
	s_or_b32 exec_lo, exec_lo, s6
	v_mov_b32_e32 v38, v4
	v_mov_b32_e32 v37, v4
.LBB120_1293:
	s_or_b32 exec_lo, exec_lo, s3
.LBB120_1294:
	s_and_not1_saveexec_b32 s2, s2
	s_cbranch_execz .LBB120_1296
; %bb.1295:
	s_clause 0x4
	scratch_load_b128 v[4:7], v141, off
	scratch_load_b128 v[8:11], v136, off
	;; [unrolled: 1-line block ×5, first 2 shown]
	v_mov_b32_e32 v38, 55
	s_waitcnt vmcnt(4)
	ds_store_2addr_b64 v20, v[4:5], v[6:7] offset0:112 offset1:113
	s_waitcnt vmcnt(3)
	ds_store_2addr_b64 v20, v[8:9], v[10:11] offset0:114 offset1:115
	;; [unrolled: 2-line block ×5, first 2 shown]
.LBB120_1296:
	s_or_b32 exec_lo, exec_lo, s2
	s_delay_alu instid0(SALU_CYCLE_1)
	s_mov_b32 s2, exec_lo
	s_waitcnt lgkmcnt(0)
	s_waitcnt_vscnt null, 0x0
	s_barrier
	buffer_gl0_inv
	v_cmpx_lt_i32_e32 55, v38
	s_cbranch_execz .LBB120_1298
; %bb.1297:
	s_clause 0x5
	scratch_load_b128 v[4:7], off, off offset:880
	scratch_load_b128 v[8:11], off, off offset:896
	;; [unrolled: 1-line block ×6, first 2 shown]
	ds_load_2addr_b64 v[61:64], v20 offset0:112 offset1:113
	ds_load_2addr_b64 v[73:76], v20 offset0:114 offset1:115
	;; [unrolled: 1-line block ×5, first 2 shown]
	s_waitcnt vmcnt(5)
	v_mul_f64 v[49:50], v[0:1], v[6:7]
	v_mul_f64 v[6:7], v[2:3], v[6:7]
	s_delay_alu instid0(VALU_DEP_2) | instskip(NEXT) | instid1(VALU_DEP_2)
	v_fma_f64 v[2:3], v[2:3], v[4:5], v[49:50]
	v_fma_f64 v[0:1], v[0:1], v[4:5], -v[6:7]
	s_waitcnt lgkmcnt(4)
	s_delay_alu instid0(VALU_DEP_2)
	v_mul_f64 v[4:5], v[63:64], v[2:3]
	v_mul_f64 v[6:7], v[61:62], v[2:3]
	s_waitcnt lgkmcnt(3)
	v_mul_f64 v[49:50], v[75:76], v[2:3]
	v_mul_f64 v[53:54], v[73:74], v[2:3]
	s_waitcnt lgkmcnt(2)
	;; [unrolled: 3-line block ×4, first 2 shown]
	v_mul_f64 v[95:96], v[91:92], v[2:3]
	v_mul_f64 v[102:103], v[89:90], v[2:3]
	v_fma_f64 v[4:5], v[61:62], v[0:1], -v[4:5]
	v_fma_f64 v[6:7], v[63:64], v[0:1], v[6:7]
	v_fma_f64 v[49:50], v[73:74], v[0:1], -v[49:50]
	v_fma_f64 v[53:54], v[75:76], v[0:1], v[53:54]
	;; [unrolled: 2-line block ×5, first 2 shown]
	s_waitcnt vmcnt(4)
	v_add_f64 v[4:5], v[8:9], -v[4:5]
	v_add_f64 v[6:7], v[10:11], -v[6:7]
	s_waitcnt vmcnt(3)
	v_add_f64 v[8:9], v[12:13], -v[49:50]
	v_add_f64 v[10:11], v[14:15], -v[53:54]
	s_waitcnt vmcnt(2)
	v_add_f64 v[12:13], v[41:42], -v[61:62]
	v_add_f64 v[14:15], v[43:44], -v[63:64]
	s_waitcnt vmcnt(1)
	v_add_f64 v[41:42], v[45:46], -v[65:66]
	v_add_f64 v[43:44], v[47:48], -v[69:70]
	s_waitcnt vmcnt(0)
	v_add_f64 v[45:46], v[57:58], -v[73:74]
	v_add_f64 v[47:48], v[59:60], -v[75:76]
	s_clause 0x5
	scratch_store_b128 off, v[0:3], off offset:880
	scratch_store_b128 off, v[4:7], off offset:896
	;; [unrolled: 1-line block ×6, first 2 shown]
.LBB120_1298:
	s_or_b32 exec_lo, exec_lo, s2
	s_waitcnt_vscnt null, 0x0
	s_barrier
	buffer_gl0_inv
	scratch_load_b128 v[0:3], v141, off
	v_lshl_add_u32 v4, v38, 4, v20
	s_cmp_lt_i32 s5, 58
	s_waitcnt vmcnt(0)
	ds_store_2addr_b64 v4, v[0:1], v[2:3] offset1:1
	s_waitcnt lgkmcnt(0)
	s_barrier
	buffer_gl0_inv
	ds_load_2addr_b64 v[0:3], v20 offset0:112 offset1:113
	v_mov_b32_e32 v4, 56
	s_cbranch_scc1 .LBB120_1301
; %bb.1299:
	v_add3_u32 v5, v36, 0, 0x390
	v_mov_b32_e32 v4, 56
	s_mov_b32 s6, 57
	s_set_inst_prefetch_distance 0x1
	.p2align	6
.LBB120_1300:                           ; =>This Inner Loop Header: Depth=1
	ds_load_2addr_b64 v[6:9], v5 offset1:1
	s_waitcnt lgkmcnt(1)
	v_cmp_gt_f64_e32 vcc_lo, 0, v[0:1]
	v_xor_b32_e32 v10, 0x80000000, v1
	v_cmp_gt_f64_e64 s2, 0, v[2:3]
	v_xor_b32_e32 v12, 0x80000000, v3
	v_add_nc_u32_e32 v5, 16, v5
	s_waitcnt lgkmcnt(0)
	v_cmp_gt_f64_e64 s3, 0, v[6:7]
	v_dual_mov_b32 v41, v8 :: v_dual_mov_b32 v14, v6
	v_cndmask_b32_e32 v11, v1, v10, vcc_lo
	v_xor_b32_e32 v10, 0x80000000, v7
	v_cndmask_b32_e64 v13, v3, v12, s2
	v_xor_b32_e32 v12, 0x80000000, v9
	s_delay_alu instid0(VALU_DEP_3) | instskip(SKIP_2) | instid1(VALU_DEP_2)
	v_cndmask_b32_e64 v15, v7, v10, s3
	v_cmp_gt_f64_e64 s3, 0, v[8:9]
	v_cndmask_b32_e32 v10, v0, v0, vcc_lo
	v_cndmask_b32_e64 v42, v9, v12, s3
	v_cndmask_b32_e64 v12, v2, v2, s2
	s_delay_alu instid0(VALU_DEP_2) | instskip(NEXT) | instid1(VALU_DEP_2)
	v_add_f64 v[14:15], v[14:15], v[41:42]
	v_add_f64 v[10:11], v[10:11], v[12:13]
	s_delay_alu instid0(VALU_DEP_1) | instskip(SKIP_4) | instid1(SALU_CYCLE_1)
	v_cmp_lt_f64_e32 vcc_lo, v[10:11], v[14:15]
	v_dual_cndmask_b32 v1, v1, v7 :: v_dual_cndmask_b32 v0, v0, v6
	v_dual_cndmask_b32 v3, v3, v9 :: v_dual_cndmask_b32 v2, v2, v8
	v_cndmask_b32_e64 v4, v4, s6, vcc_lo
	s_add_i32 s6, s6, 1
	s_cmp_lg_u32 s5, s6
	s_cbranch_scc1 .LBB120_1300
.LBB120_1301:
	s_set_inst_prefetch_distance 0x2
	s_waitcnt lgkmcnt(0)
	v_cmp_eq_f64_e32 vcc_lo, 0, v[0:1]
	v_cmp_eq_f64_e64 s2, 0, v[2:3]
	s_delay_alu instid0(VALU_DEP_1) | instskip(NEXT) | instid1(SALU_CYCLE_1)
	s_and_b32 s2, vcc_lo, s2
	s_and_saveexec_b32 s3, s2
	s_delay_alu instid0(SALU_CYCLE_1)
	s_xor_b32 s2, exec_lo, s3
; %bb.1302:
	v_cmp_ne_u32_e32 vcc_lo, 0, v35
	v_cndmask_b32_e32 v35, 57, v35, vcc_lo
; %bb.1303:
	s_and_not1_saveexec_b32 s3, s2
	s_cbranch_execz .LBB120_1309
; %bb.1304:
	v_cmp_gt_f64_e32 vcc_lo, 0, v[0:1]
	v_cmp_gt_f64_e64 s2, 0, v[2:3]
	v_xor_b32_e32 v5, 0x80000000, v1
	v_xor_b32_e32 v7, 0x80000000, v3
	s_delay_alu instid0(VALU_DEP_2) | instskip(NEXT) | instid1(VALU_DEP_2)
	v_dual_cndmask_b32 v6, v1, v5 :: v_dual_cndmask_b32 v5, v0, v0
	v_cndmask_b32_e64 v8, v3, v7, s2
	v_cndmask_b32_e64 v7, v2, v2, s2
	s_mov_b32 s2, exec_lo
	s_delay_alu instid0(VALU_DEP_1)
	v_cmpx_ngt_f64_e32 v[5:6], v[7:8]
	s_xor_b32 s2, exec_lo, s2
	s_cbranch_execz .LBB120_1306
; %bb.1305:
	v_div_scale_f64 v[5:6], null, v[2:3], v[2:3], v[0:1]
	v_div_scale_f64 v[11:12], vcc_lo, v[0:1], v[2:3], v[0:1]
	s_delay_alu instid0(VALU_DEP_2) | instskip(SKIP_2) | instid1(VALU_DEP_1)
	v_rcp_f64_e32 v[7:8], v[5:6]
	s_waitcnt_depctr 0xfff
	v_fma_f64 v[9:10], -v[5:6], v[7:8], 1.0
	v_fma_f64 v[7:8], v[7:8], v[9:10], v[7:8]
	s_delay_alu instid0(VALU_DEP_1) | instskip(NEXT) | instid1(VALU_DEP_1)
	v_fma_f64 v[9:10], -v[5:6], v[7:8], 1.0
	v_fma_f64 v[7:8], v[7:8], v[9:10], v[7:8]
	s_delay_alu instid0(VALU_DEP_1) | instskip(NEXT) | instid1(VALU_DEP_1)
	v_mul_f64 v[9:10], v[11:12], v[7:8]
	v_fma_f64 v[5:6], -v[5:6], v[9:10], v[11:12]
	s_delay_alu instid0(VALU_DEP_1) | instskip(NEXT) | instid1(VALU_DEP_1)
	v_div_fmas_f64 v[5:6], v[5:6], v[7:8], v[9:10]
	v_div_fixup_f64 v[5:6], v[5:6], v[2:3], v[0:1]
	s_delay_alu instid0(VALU_DEP_1) | instskip(NEXT) | instid1(VALU_DEP_1)
	v_fma_f64 v[0:1], v[0:1], v[5:6], v[2:3]
	v_div_scale_f64 v[2:3], null, v[0:1], v[0:1], 1.0
	s_delay_alu instid0(VALU_DEP_1) | instskip(SKIP_2) | instid1(VALU_DEP_1)
	v_rcp_f64_e32 v[7:8], v[2:3]
	s_waitcnt_depctr 0xfff
	v_fma_f64 v[9:10], -v[2:3], v[7:8], 1.0
	v_fma_f64 v[7:8], v[7:8], v[9:10], v[7:8]
	s_delay_alu instid0(VALU_DEP_1) | instskip(NEXT) | instid1(VALU_DEP_1)
	v_fma_f64 v[9:10], -v[2:3], v[7:8], 1.0
	v_fma_f64 v[7:8], v[7:8], v[9:10], v[7:8]
	v_div_scale_f64 v[9:10], vcc_lo, 1.0, v[0:1], 1.0
	s_delay_alu instid0(VALU_DEP_1) | instskip(NEXT) | instid1(VALU_DEP_1)
	v_mul_f64 v[11:12], v[9:10], v[7:8]
	v_fma_f64 v[2:3], -v[2:3], v[11:12], v[9:10]
	s_delay_alu instid0(VALU_DEP_1) | instskip(NEXT) | instid1(VALU_DEP_1)
	v_div_fmas_f64 v[2:3], v[2:3], v[7:8], v[11:12]
	v_div_fixup_f64 v[2:3], v[2:3], v[0:1], 1.0
	s_delay_alu instid0(VALU_DEP_1)
	v_mul_f64 v[0:1], v[5:6], v[2:3]
	v_xor_b32_e32 v3, 0x80000000, v3
.LBB120_1306:
	s_and_not1_saveexec_b32 s2, s2
	s_cbranch_execz .LBB120_1308
; %bb.1307:
	s_delay_alu instid0(VALU_DEP_1) | instskip(SKIP_1) | instid1(VALU_DEP_2)
	v_div_scale_f64 v[5:6], null, v[0:1], v[0:1], v[2:3]
	v_div_scale_f64 v[11:12], vcc_lo, v[2:3], v[0:1], v[2:3]
	v_rcp_f64_e32 v[7:8], v[5:6]
	s_waitcnt_depctr 0xfff
	v_fma_f64 v[9:10], -v[5:6], v[7:8], 1.0
	s_delay_alu instid0(VALU_DEP_1) | instskip(NEXT) | instid1(VALU_DEP_1)
	v_fma_f64 v[7:8], v[7:8], v[9:10], v[7:8]
	v_fma_f64 v[9:10], -v[5:6], v[7:8], 1.0
	s_delay_alu instid0(VALU_DEP_1) | instskip(NEXT) | instid1(VALU_DEP_1)
	v_fma_f64 v[7:8], v[7:8], v[9:10], v[7:8]
	v_mul_f64 v[9:10], v[11:12], v[7:8]
	s_delay_alu instid0(VALU_DEP_1) | instskip(NEXT) | instid1(VALU_DEP_1)
	v_fma_f64 v[5:6], -v[5:6], v[9:10], v[11:12]
	v_div_fmas_f64 v[5:6], v[5:6], v[7:8], v[9:10]
	s_delay_alu instid0(VALU_DEP_1) | instskip(NEXT) | instid1(VALU_DEP_1)
	v_div_fixup_f64 v[5:6], v[5:6], v[0:1], v[2:3]
	v_fma_f64 v[0:1], v[2:3], v[5:6], v[0:1]
	s_delay_alu instid0(VALU_DEP_1) | instskip(NEXT) | instid1(VALU_DEP_1)
	v_div_scale_f64 v[2:3], null, v[0:1], v[0:1], 1.0
	v_rcp_f64_e32 v[7:8], v[2:3]
	s_waitcnt_depctr 0xfff
	v_fma_f64 v[9:10], -v[2:3], v[7:8], 1.0
	s_delay_alu instid0(VALU_DEP_1) | instskip(NEXT) | instid1(VALU_DEP_1)
	v_fma_f64 v[7:8], v[7:8], v[9:10], v[7:8]
	v_fma_f64 v[9:10], -v[2:3], v[7:8], 1.0
	s_delay_alu instid0(VALU_DEP_1) | instskip(SKIP_1) | instid1(VALU_DEP_1)
	v_fma_f64 v[7:8], v[7:8], v[9:10], v[7:8]
	v_div_scale_f64 v[9:10], vcc_lo, 1.0, v[0:1], 1.0
	v_mul_f64 v[11:12], v[9:10], v[7:8]
	s_delay_alu instid0(VALU_DEP_1) | instskip(NEXT) | instid1(VALU_DEP_1)
	v_fma_f64 v[2:3], -v[2:3], v[11:12], v[9:10]
	v_div_fmas_f64 v[2:3], v[2:3], v[7:8], v[11:12]
	s_delay_alu instid0(VALU_DEP_1) | instskip(NEXT) | instid1(VALU_DEP_1)
	v_div_fixup_f64 v[0:1], v[2:3], v[0:1], 1.0
	v_mul_f64 v[2:3], v[5:6], -v[0:1]
.LBB120_1308:
	s_or_b32 exec_lo, exec_lo, s2
.LBB120_1309:
	s_delay_alu instid0(SALU_CYCLE_1) | instskip(NEXT) | instid1(SALU_CYCLE_1)
	s_or_b32 exec_lo, exec_lo, s3
	s_mov_b32 s2, exec_lo
	v_cmpx_ne_u32_e64 v38, v4
	s_xor_b32 s2, exec_lo, s2
	s_cbranch_execz .LBB120_1315
; %bb.1310:
	s_mov_b32 s3, exec_lo
	v_cmpx_eq_u32_e32 56, v38
	s_cbranch_execz .LBB120_1314
; %bb.1311:
	v_cmp_ne_u32_e32 vcc_lo, 56, v4
	s_xor_b32 s6, s4, -1
	s_delay_alu instid0(SALU_CYCLE_1) | instskip(NEXT) | instid1(SALU_CYCLE_1)
	s_and_b32 s7, s6, vcc_lo
	s_and_saveexec_b32 s6, s7
	s_cbranch_execz .LBB120_1313
; %bb.1312:
	v_ashrrev_i32_e32 v5, 31, v4
	s_delay_alu instid0(VALU_DEP_1) | instskip(NEXT) | instid1(VALU_DEP_1)
	v_lshlrev_b64 v[5:6], 2, v[4:5]
	v_add_co_u32 v5, vcc_lo, v18, v5
	s_delay_alu instid0(VALU_DEP_2)
	v_add_co_ci_u32_e32 v6, vcc_lo, v19, v6, vcc_lo
	s_clause 0x1
	flat_load_b32 v7, v[5:6]
	flat_load_b32 v8, v[18:19] offset:224
	s_waitcnt vmcnt(1) lgkmcnt(1)
	flat_store_b32 v[18:19], v7 offset:224
	s_waitcnt vmcnt(0) lgkmcnt(1)
	flat_store_b32 v[5:6], v8
.LBB120_1313:
	s_or_b32 exec_lo, exec_lo, s6
	v_mov_b32_e32 v38, v4
	v_mov_b32_e32 v37, v4
.LBB120_1314:
	s_or_b32 exec_lo, exec_lo, s3
.LBB120_1315:
	s_and_not1_saveexec_b32 s2, s2
	s_cbranch_execz .LBB120_1317
; %bb.1316:
	s_clause 0x3
	scratch_load_b128 v[4:7], v136, off
	scratch_load_b128 v[8:11], v139, off
	;; [unrolled: 1-line block ×4, first 2 shown]
	v_mov_b32_e32 v38, 56
	s_waitcnt vmcnt(3)
	ds_store_2addr_b64 v20, v[4:5], v[6:7] offset0:114 offset1:115
	s_waitcnt vmcnt(2)
	ds_store_2addr_b64 v20, v[8:9], v[10:11] offset0:116 offset1:117
	s_waitcnt vmcnt(1)
	ds_store_2addr_b64 v20, v[12:13], v[14:15] offset0:118 offset1:119
	s_waitcnt vmcnt(0)
	ds_store_2addr_b64 v20, v[41:42], v[43:44] offset0:120 offset1:121
.LBB120_1317:
	s_or_b32 exec_lo, exec_lo, s2
	s_delay_alu instid0(SALU_CYCLE_1)
	s_mov_b32 s2, exec_lo
	s_waitcnt lgkmcnt(0)
	s_waitcnt_vscnt null, 0x0
	s_barrier
	buffer_gl0_inv
	v_cmpx_lt_i32_e32 56, v38
	s_cbranch_execz .LBB120_1319
; %bb.1318:
	s_clause 0x4
	scratch_load_b128 v[4:7], off, off offset:896
	scratch_load_b128 v[8:11], off, off offset:912
	;; [unrolled: 1-line block ×5, first 2 shown]
	ds_load_2addr_b64 v[57:60], v20 offset0:114 offset1:115
	ds_load_2addr_b64 v[61:64], v20 offset0:116 offset1:117
	ds_load_2addr_b64 v[73:76], v20 offset0:118 offset1:119
	ds_load_2addr_b64 v[81:84], v20 offset0:120 offset1:121
	s_waitcnt vmcnt(4)
	v_mul_f64 v[49:50], v[0:1], v[6:7]
	v_mul_f64 v[6:7], v[2:3], v[6:7]
	s_delay_alu instid0(VALU_DEP_2) | instskip(NEXT) | instid1(VALU_DEP_2)
	v_fma_f64 v[2:3], v[2:3], v[4:5], v[49:50]
	v_fma_f64 v[0:1], v[0:1], v[4:5], -v[6:7]
	s_waitcnt lgkmcnt(3)
	s_delay_alu instid0(VALU_DEP_2)
	v_mul_f64 v[4:5], v[59:60], v[2:3]
	v_mul_f64 v[6:7], v[57:58], v[2:3]
	s_waitcnt lgkmcnt(2)
	v_mul_f64 v[49:50], v[63:64], v[2:3]
	v_mul_f64 v[53:54], v[61:62], v[2:3]
	s_waitcnt lgkmcnt(1)
	;; [unrolled: 3-line block ×3, first 2 shown]
	v_mul_f64 v[77:78], v[83:84], v[2:3]
	v_mul_f64 v[85:86], v[81:82], v[2:3]
	v_fma_f64 v[4:5], v[57:58], v[0:1], -v[4:5]
	v_fma_f64 v[6:7], v[59:60], v[0:1], v[6:7]
	v_fma_f64 v[49:50], v[61:62], v[0:1], -v[49:50]
	v_fma_f64 v[53:54], v[63:64], v[0:1], v[53:54]
	;; [unrolled: 2-line block ×4, first 2 shown]
	s_waitcnt vmcnt(3)
	v_add_f64 v[4:5], v[8:9], -v[4:5]
	v_add_f64 v[6:7], v[10:11], -v[6:7]
	s_waitcnt vmcnt(2)
	v_add_f64 v[8:9], v[12:13], -v[49:50]
	v_add_f64 v[10:11], v[14:15], -v[53:54]
	;; [unrolled: 3-line block ×4, first 2 shown]
	s_clause 0x4
	scratch_store_b128 off, v[0:3], off offset:896
	scratch_store_b128 off, v[4:7], off offset:912
	scratch_store_b128 off, v[8:11], off offset:928
	scratch_store_b128 off, v[12:15], off offset:944
	scratch_store_b128 off, v[41:44], off offset:960
.LBB120_1319:
	s_or_b32 exec_lo, exec_lo, s2
	s_waitcnt_vscnt null, 0x0
	s_barrier
	buffer_gl0_inv
	scratch_load_b128 v[0:3], v136, off
	v_lshl_add_u32 v4, v38, 4, v20
	s_cmp_lt_i32 s5, 59
	s_waitcnt vmcnt(0)
	ds_store_2addr_b64 v4, v[0:1], v[2:3] offset1:1
	s_waitcnt lgkmcnt(0)
	s_barrier
	buffer_gl0_inv
	ds_load_2addr_b64 v[0:3], v20 offset0:114 offset1:115
	v_mov_b32_e32 v4, 57
	s_cbranch_scc1 .LBB120_1322
; %bb.1320:
	v_add3_u32 v5, v36, 0, 0x3a0
	v_mov_b32_e32 v4, 57
	s_mov_b32 s6, 58
	s_set_inst_prefetch_distance 0x1
	.p2align	6
.LBB120_1321:                           ; =>This Inner Loop Header: Depth=1
	ds_load_2addr_b64 v[6:9], v5 offset1:1
	s_waitcnt lgkmcnt(1)
	v_cmp_gt_f64_e32 vcc_lo, 0, v[0:1]
	v_xor_b32_e32 v10, 0x80000000, v1
	v_cmp_gt_f64_e64 s2, 0, v[2:3]
	v_xor_b32_e32 v12, 0x80000000, v3
	v_add_nc_u32_e32 v5, 16, v5
	s_waitcnt lgkmcnt(0)
	v_cmp_gt_f64_e64 s3, 0, v[6:7]
	v_dual_mov_b32 v41, v8 :: v_dual_mov_b32 v14, v6
	v_cndmask_b32_e32 v11, v1, v10, vcc_lo
	v_xor_b32_e32 v10, 0x80000000, v7
	v_cndmask_b32_e64 v13, v3, v12, s2
	v_xor_b32_e32 v12, 0x80000000, v9
	s_delay_alu instid0(VALU_DEP_3) | instskip(SKIP_2) | instid1(VALU_DEP_2)
	v_cndmask_b32_e64 v15, v7, v10, s3
	v_cmp_gt_f64_e64 s3, 0, v[8:9]
	v_cndmask_b32_e32 v10, v0, v0, vcc_lo
	v_cndmask_b32_e64 v42, v9, v12, s3
	v_cndmask_b32_e64 v12, v2, v2, s2
	s_delay_alu instid0(VALU_DEP_2) | instskip(NEXT) | instid1(VALU_DEP_2)
	v_add_f64 v[14:15], v[14:15], v[41:42]
	v_add_f64 v[10:11], v[10:11], v[12:13]
	s_delay_alu instid0(VALU_DEP_1) | instskip(SKIP_4) | instid1(SALU_CYCLE_1)
	v_cmp_lt_f64_e32 vcc_lo, v[10:11], v[14:15]
	v_dual_cndmask_b32 v1, v1, v7 :: v_dual_cndmask_b32 v0, v0, v6
	v_dual_cndmask_b32 v3, v3, v9 :: v_dual_cndmask_b32 v2, v2, v8
	v_cndmask_b32_e64 v4, v4, s6, vcc_lo
	s_add_i32 s6, s6, 1
	s_cmp_lg_u32 s5, s6
	s_cbranch_scc1 .LBB120_1321
.LBB120_1322:
	s_set_inst_prefetch_distance 0x2
	s_waitcnt lgkmcnt(0)
	v_cmp_eq_f64_e32 vcc_lo, 0, v[0:1]
	v_cmp_eq_f64_e64 s2, 0, v[2:3]
	s_delay_alu instid0(VALU_DEP_1) | instskip(NEXT) | instid1(SALU_CYCLE_1)
	s_and_b32 s2, vcc_lo, s2
	s_and_saveexec_b32 s3, s2
	s_delay_alu instid0(SALU_CYCLE_1)
	s_xor_b32 s2, exec_lo, s3
; %bb.1323:
	v_cmp_ne_u32_e32 vcc_lo, 0, v35
	v_cndmask_b32_e32 v35, 58, v35, vcc_lo
; %bb.1324:
	s_and_not1_saveexec_b32 s3, s2
	s_cbranch_execz .LBB120_1330
; %bb.1325:
	v_cmp_gt_f64_e32 vcc_lo, 0, v[0:1]
	v_cmp_gt_f64_e64 s2, 0, v[2:3]
	v_xor_b32_e32 v5, 0x80000000, v1
	v_xor_b32_e32 v7, 0x80000000, v3
	s_delay_alu instid0(VALU_DEP_2) | instskip(NEXT) | instid1(VALU_DEP_2)
	v_dual_cndmask_b32 v6, v1, v5 :: v_dual_cndmask_b32 v5, v0, v0
	v_cndmask_b32_e64 v8, v3, v7, s2
	v_cndmask_b32_e64 v7, v2, v2, s2
	s_mov_b32 s2, exec_lo
	s_delay_alu instid0(VALU_DEP_1)
	v_cmpx_ngt_f64_e32 v[5:6], v[7:8]
	s_xor_b32 s2, exec_lo, s2
	s_cbranch_execz .LBB120_1327
; %bb.1326:
	v_div_scale_f64 v[5:6], null, v[2:3], v[2:3], v[0:1]
	v_div_scale_f64 v[11:12], vcc_lo, v[0:1], v[2:3], v[0:1]
	s_delay_alu instid0(VALU_DEP_2) | instskip(SKIP_2) | instid1(VALU_DEP_1)
	v_rcp_f64_e32 v[7:8], v[5:6]
	s_waitcnt_depctr 0xfff
	v_fma_f64 v[9:10], -v[5:6], v[7:8], 1.0
	v_fma_f64 v[7:8], v[7:8], v[9:10], v[7:8]
	s_delay_alu instid0(VALU_DEP_1) | instskip(NEXT) | instid1(VALU_DEP_1)
	v_fma_f64 v[9:10], -v[5:6], v[7:8], 1.0
	v_fma_f64 v[7:8], v[7:8], v[9:10], v[7:8]
	s_delay_alu instid0(VALU_DEP_1) | instskip(NEXT) | instid1(VALU_DEP_1)
	v_mul_f64 v[9:10], v[11:12], v[7:8]
	v_fma_f64 v[5:6], -v[5:6], v[9:10], v[11:12]
	s_delay_alu instid0(VALU_DEP_1) | instskip(NEXT) | instid1(VALU_DEP_1)
	v_div_fmas_f64 v[5:6], v[5:6], v[7:8], v[9:10]
	v_div_fixup_f64 v[5:6], v[5:6], v[2:3], v[0:1]
	s_delay_alu instid0(VALU_DEP_1) | instskip(NEXT) | instid1(VALU_DEP_1)
	v_fma_f64 v[0:1], v[0:1], v[5:6], v[2:3]
	v_div_scale_f64 v[2:3], null, v[0:1], v[0:1], 1.0
	s_delay_alu instid0(VALU_DEP_1) | instskip(SKIP_2) | instid1(VALU_DEP_1)
	v_rcp_f64_e32 v[7:8], v[2:3]
	s_waitcnt_depctr 0xfff
	v_fma_f64 v[9:10], -v[2:3], v[7:8], 1.0
	v_fma_f64 v[7:8], v[7:8], v[9:10], v[7:8]
	s_delay_alu instid0(VALU_DEP_1) | instskip(NEXT) | instid1(VALU_DEP_1)
	v_fma_f64 v[9:10], -v[2:3], v[7:8], 1.0
	v_fma_f64 v[7:8], v[7:8], v[9:10], v[7:8]
	v_div_scale_f64 v[9:10], vcc_lo, 1.0, v[0:1], 1.0
	s_delay_alu instid0(VALU_DEP_1) | instskip(NEXT) | instid1(VALU_DEP_1)
	v_mul_f64 v[11:12], v[9:10], v[7:8]
	v_fma_f64 v[2:3], -v[2:3], v[11:12], v[9:10]
	s_delay_alu instid0(VALU_DEP_1) | instskip(NEXT) | instid1(VALU_DEP_1)
	v_div_fmas_f64 v[2:3], v[2:3], v[7:8], v[11:12]
	v_div_fixup_f64 v[2:3], v[2:3], v[0:1], 1.0
	s_delay_alu instid0(VALU_DEP_1)
	v_mul_f64 v[0:1], v[5:6], v[2:3]
	v_xor_b32_e32 v3, 0x80000000, v3
.LBB120_1327:
	s_and_not1_saveexec_b32 s2, s2
	s_cbranch_execz .LBB120_1329
; %bb.1328:
	s_delay_alu instid0(VALU_DEP_1) | instskip(SKIP_1) | instid1(VALU_DEP_2)
	v_div_scale_f64 v[5:6], null, v[0:1], v[0:1], v[2:3]
	v_div_scale_f64 v[11:12], vcc_lo, v[2:3], v[0:1], v[2:3]
	v_rcp_f64_e32 v[7:8], v[5:6]
	s_waitcnt_depctr 0xfff
	v_fma_f64 v[9:10], -v[5:6], v[7:8], 1.0
	s_delay_alu instid0(VALU_DEP_1) | instskip(NEXT) | instid1(VALU_DEP_1)
	v_fma_f64 v[7:8], v[7:8], v[9:10], v[7:8]
	v_fma_f64 v[9:10], -v[5:6], v[7:8], 1.0
	s_delay_alu instid0(VALU_DEP_1) | instskip(NEXT) | instid1(VALU_DEP_1)
	v_fma_f64 v[7:8], v[7:8], v[9:10], v[7:8]
	v_mul_f64 v[9:10], v[11:12], v[7:8]
	s_delay_alu instid0(VALU_DEP_1) | instskip(NEXT) | instid1(VALU_DEP_1)
	v_fma_f64 v[5:6], -v[5:6], v[9:10], v[11:12]
	v_div_fmas_f64 v[5:6], v[5:6], v[7:8], v[9:10]
	s_delay_alu instid0(VALU_DEP_1) | instskip(NEXT) | instid1(VALU_DEP_1)
	v_div_fixup_f64 v[5:6], v[5:6], v[0:1], v[2:3]
	v_fma_f64 v[0:1], v[2:3], v[5:6], v[0:1]
	s_delay_alu instid0(VALU_DEP_1) | instskip(NEXT) | instid1(VALU_DEP_1)
	v_div_scale_f64 v[2:3], null, v[0:1], v[0:1], 1.0
	v_rcp_f64_e32 v[7:8], v[2:3]
	s_waitcnt_depctr 0xfff
	v_fma_f64 v[9:10], -v[2:3], v[7:8], 1.0
	s_delay_alu instid0(VALU_DEP_1) | instskip(NEXT) | instid1(VALU_DEP_1)
	v_fma_f64 v[7:8], v[7:8], v[9:10], v[7:8]
	v_fma_f64 v[9:10], -v[2:3], v[7:8], 1.0
	s_delay_alu instid0(VALU_DEP_1) | instskip(SKIP_1) | instid1(VALU_DEP_1)
	v_fma_f64 v[7:8], v[7:8], v[9:10], v[7:8]
	v_div_scale_f64 v[9:10], vcc_lo, 1.0, v[0:1], 1.0
	v_mul_f64 v[11:12], v[9:10], v[7:8]
	s_delay_alu instid0(VALU_DEP_1) | instskip(NEXT) | instid1(VALU_DEP_1)
	v_fma_f64 v[2:3], -v[2:3], v[11:12], v[9:10]
	v_div_fmas_f64 v[2:3], v[2:3], v[7:8], v[11:12]
	s_delay_alu instid0(VALU_DEP_1) | instskip(NEXT) | instid1(VALU_DEP_1)
	v_div_fixup_f64 v[0:1], v[2:3], v[0:1], 1.0
	v_mul_f64 v[2:3], v[5:6], -v[0:1]
.LBB120_1329:
	s_or_b32 exec_lo, exec_lo, s2
.LBB120_1330:
	s_delay_alu instid0(SALU_CYCLE_1) | instskip(NEXT) | instid1(SALU_CYCLE_1)
	s_or_b32 exec_lo, exec_lo, s3
	s_mov_b32 s2, exec_lo
	v_cmpx_ne_u32_e64 v38, v4
	s_xor_b32 s2, exec_lo, s2
	s_cbranch_execz .LBB120_1336
; %bb.1331:
	s_mov_b32 s3, exec_lo
	v_cmpx_eq_u32_e32 57, v38
	s_cbranch_execz .LBB120_1335
; %bb.1332:
	v_cmp_ne_u32_e32 vcc_lo, 57, v4
	s_xor_b32 s6, s4, -1
	s_delay_alu instid0(SALU_CYCLE_1) | instskip(NEXT) | instid1(SALU_CYCLE_1)
	s_and_b32 s7, s6, vcc_lo
	s_and_saveexec_b32 s6, s7
	s_cbranch_execz .LBB120_1334
; %bb.1333:
	v_ashrrev_i32_e32 v5, 31, v4
	s_delay_alu instid0(VALU_DEP_1) | instskip(NEXT) | instid1(VALU_DEP_1)
	v_lshlrev_b64 v[5:6], 2, v[4:5]
	v_add_co_u32 v5, vcc_lo, v18, v5
	s_delay_alu instid0(VALU_DEP_2)
	v_add_co_ci_u32_e32 v6, vcc_lo, v19, v6, vcc_lo
	s_clause 0x1
	flat_load_b32 v7, v[5:6]
	flat_load_b32 v8, v[18:19] offset:228
	s_waitcnt vmcnt(1) lgkmcnt(1)
	flat_store_b32 v[18:19], v7 offset:228
	s_waitcnt vmcnt(0) lgkmcnt(1)
	flat_store_b32 v[5:6], v8
.LBB120_1334:
	s_or_b32 exec_lo, exec_lo, s6
	v_mov_b32_e32 v38, v4
	v_mov_b32_e32 v37, v4
.LBB120_1335:
	s_or_b32 exec_lo, exec_lo, s3
.LBB120_1336:
	s_and_not1_saveexec_b32 s2, s2
	s_cbranch_execz .LBB120_1338
; %bb.1337:
	s_clause 0x2
	scratch_load_b128 v[4:7], v139, off
	scratch_load_b128 v[8:11], v146, off
	;; [unrolled: 1-line block ×3, first 2 shown]
	v_mov_b32_e32 v38, 57
	s_waitcnt vmcnt(2)
	ds_store_2addr_b64 v20, v[4:5], v[6:7] offset0:116 offset1:117
	s_waitcnt vmcnt(1)
	ds_store_2addr_b64 v20, v[8:9], v[10:11] offset0:118 offset1:119
	;; [unrolled: 2-line block ×3, first 2 shown]
.LBB120_1338:
	s_or_b32 exec_lo, exec_lo, s2
	s_delay_alu instid0(SALU_CYCLE_1)
	s_mov_b32 s2, exec_lo
	s_waitcnt lgkmcnt(0)
	s_waitcnt_vscnt null, 0x0
	s_barrier
	buffer_gl0_inv
	v_cmpx_lt_i32_e32 57, v38
	s_cbranch_execz .LBB120_1340
; %bb.1339:
	s_clause 0x3
	scratch_load_b128 v[4:7], off, off offset:912
	scratch_load_b128 v[8:11], off, off offset:928
	;; [unrolled: 1-line block ×4, first 2 shown]
	s_waitcnt vmcnt(3)
	v_mul_f64 v[45:46], v[0:1], v[6:7]
	v_mul_f64 v[6:7], v[2:3], v[6:7]
	s_delay_alu instid0(VALU_DEP_2)
	v_fma_f64 v[2:3], v[2:3], v[4:5], v[45:46]
	ds_load_2addr_b64 v[45:48], v20 offset0:116 offset1:117
	ds_load_2addr_b64 v[57:60], v20 offset0:118 offset1:119
	;; [unrolled: 1-line block ×3, first 2 shown]
	v_fma_f64 v[0:1], v[0:1], v[4:5], -v[6:7]
	s_waitcnt lgkmcnt(2)
	v_mul_f64 v[4:5], v[47:48], v[2:3]
	v_mul_f64 v[6:7], v[45:46], v[2:3]
	s_waitcnt lgkmcnt(1)
	v_mul_f64 v[49:50], v[59:60], v[2:3]
	v_mul_f64 v[53:54], v[57:58], v[2:3]
	;; [unrolled: 3-line block ×3, first 2 shown]
	v_fma_f64 v[4:5], v[45:46], v[0:1], -v[4:5]
	v_fma_f64 v[6:7], v[47:48], v[0:1], v[6:7]
	v_fma_f64 v[45:46], v[57:58], v[0:1], -v[49:50]
	v_fma_f64 v[47:48], v[59:60], v[0:1], v[53:54]
	;; [unrolled: 2-line block ×3, first 2 shown]
	s_waitcnt vmcnt(2)
	v_add_f64 v[4:5], v[8:9], -v[4:5]
	v_add_f64 v[6:7], v[10:11], -v[6:7]
	s_waitcnt vmcnt(1)
	v_add_f64 v[8:9], v[12:13], -v[45:46]
	v_add_f64 v[10:11], v[14:15], -v[47:48]
	;; [unrolled: 3-line block ×3, first 2 shown]
	s_clause 0x3
	scratch_store_b128 off, v[0:3], off offset:912
	scratch_store_b128 off, v[4:7], off offset:928
	;; [unrolled: 1-line block ×4, first 2 shown]
.LBB120_1340:
	s_or_b32 exec_lo, exec_lo, s2
	s_waitcnt_vscnt null, 0x0
	s_barrier
	buffer_gl0_inv
	scratch_load_b128 v[0:3], v139, off
	v_lshl_add_u32 v4, v38, 4, v20
	s_cmp_lt_i32 s5, 60
	s_waitcnt vmcnt(0)
	ds_store_2addr_b64 v4, v[0:1], v[2:3] offset1:1
	s_waitcnt lgkmcnt(0)
	s_barrier
	buffer_gl0_inv
	ds_load_2addr_b64 v[0:3], v20 offset0:116 offset1:117
	v_mov_b32_e32 v4, 58
	s_cbranch_scc1 .LBB120_1343
; %bb.1341:
	v_add3_u32 v5, v36, 0, 0x3b0
	v_mov_b32_e32 v4, 58
	s_mov_b32 s6, 59
	s_set_inst_prefetch_distance 0x1
	.p2align	6
.LBB120_1342:                           ; =>This Inner Loop Header: Depth=1
	ds_load_2addr_b64 v[6:9], v5 offset1:1
	s_waitcnt lgkmcnt(1)
	v_cmp_gt_f64_e32 vcc_lo, 0, v[0:1]
	v_xor_b32_e32 v10, 0x80000000, v1
	v_cmp_gt_f64_e64 s2, 0, v[2:3]
	v_xor_b32_e32 v12, 0x80000000, v3
	v_add_nc_u32_e32 v5, 16, v5
	s_waitcnt lgkmcnt(0)
	v_cmp_gt_f64_e64 s3, 0, v[6:7]
	v_dual_mov_b32 v41, v8 :: v_dual_mov_b32 v14, v6
	v_cndmask_b32_e32 v11, v1, v10, vcc_lo
	v_xor_b32_e32 v10, 0x80000000, v7
	v_cndmask_b32_e64 v13, v3, v12, s2
	v_xor_b32_e32 v12, 0x80000000, v9
	s_delay_alu instid0(VALU_DEP_3) | instskip(SKIP_2) | instid1(VALU_DEP_2)
	v_cndmask_b32_e64 v15, v7, v10, s3
	v_cmp_gt_f64_e64 s3, 0, v[8:9]
	v_cndmask_b32_e32 v10, v0, v0, vcc_lo
	v_cndmask_b32_e64 v42, v9, v12, s3
	v_cndmask_b32_e64 v12, v2, v2, s2
	s_delay_alu instid0(VALU_DEP_2) | instskip(NEXT) | instid1(VALU_DEP_2)
	v_add_f64 v[14:15], v[14:15], v[41:42]
	v_add_f64 v[10:11], v[10:11], v[12:13]
	s_delay_alu instid0(VALU_DEP_1) | instskip(SKIP_4) | instid1(SALU_CYCLE_1)
	v_cmp_lt_f64_e32 vcc_lo, v[10:11], v[14:15]
	v_dual_cndmask_b32 v1, v1, v7 :: v_dual_cndmask_b32 v0, v0, v6
	v_dual_cndmask_b32 v3, v3, v9 :: v_dual_cndmask_b32 v2, v2, v8
	v_cndmask_b32_e64 v4, v4, s6, vcc_lo
	s_add_i32 s6, s6, 1
	s_cmp_lg_u32 s5, s6
	s_cbranch_scc1 .LBB120_1342
.LBB120_1343:
	s_set_inst_prefetch_distance 0x2
	s_waitcnt lgkmcnt(0)
	v_cmp_eq_f64_e32 vcc_lo, 0, v[0:1]
	v_cmp_eq_f64_e64 s2, 0, v[2:3]
	s_delay_alu instid0(VALU_DEP_1) | instskip(NEXT) | instid1(SALU_CYCLE_1)
	s_and_b32 s2, vcc_lo, s2
	s_and_saveexec_b32 s3, s2
	s_delay_alu instid0(SALU_CYCLE_1)
	s_xor_b32 s2, exec_lo, s3
; %bb.1344:
	v_cmp_ne_u32_e32 vcc_lo, 0, v35
	v_cndmask_b32_e32 v35, 59, v35, vcc_lo
; %bb.1345:
	s_and_not1_saveexec_b32 s3, s2
	s_cbranch_execz .LBB120_1351
; %bb.1346:
	v_cmp_gt_f64_e32 vcc_lo, 0, v[0:1]
	v_cmp_gt_f64_e64 s2, 0, v[2:3]
	v_xor_b32_e32 v5, 0x80000000, v1
	v_xor_b32_e32 v7, 0x80000000, v3
	s_delay_alu instid0(VALU_DEP_2) | instskip(NEXT) | instid1(VALU_DEP_2)
	v_dual_cndmask_b32 v6, v1, v5 :: v_dual_cndmask_b32 v5, v0, v0
	v_cndmask_b32_e64 v8, v3, v7, s2
	v_cndmask_b32_e64 v7, v2, v2, s2
	s_mov_b32 s2, exec_lo
	s_delay_alu instid0(VALU_DEP_1)
	v_cmpx_ngt_f64_e32 v[5:6], v[7:8]
	s_xor_b32 s2, exec_lo, s2
	s_cbranch_execz .LBB120_1348
; %bb.1347:
	v_div_scale_f64 v[5:6], null, v[2:3], v[2:3], v[0:1]
	v_div_scale_f64 v[11:12], vcc_lo, v[0:1], v[2:3], v[0:1]
	s_delay_alu instid0(VALU_DEP_2) | instskip(SKIP_2) | instid1(VALU_DEP_1)
	v_rcp_f64_e32 v[7:8], v[5:6]
	s_waitcnt_depctr 0xfff
	v_fma_f64 v[9:10], -v[5:6], v[7:8], 1.0
	v_fma_f64 v[7:8], v[7:8], v[9:10], v[7:8]
	s_delay_alu instid0(VALU_DEP_1) | instskip(NEXT) | instid1(VALU_DEP_1)
	v_fma_f64 v[9:10], -v[5:6], v[7:8], 1.0
	v_fma_f64 v[7:8], v[7:8], v[9:10], v[7:8]
	s_delay_alu instid0(VALU_DEP_1) | instskip(NEXT) | instid1(VALU_DEP_1)
	v_mul_f64 v[9:10], v[11:12], v[7:8]
	v_fma_f64 v[5:6], -v[5:6], v[9:10], v[11:12]
	s_delay_alu instid0(VALU_DEP_1) | instskip(NEXT) | instid1(VALU_DEP_1)
	v_div_fmas_f64 v[5:6], v[5:6], v[7:8], v[9:10]
	v_div_fixup_f64 v[5:6], v[5:6], v[2:3], v[0:1]
	s_delay_alu instid0(VALU_DEP_1) | instskip(NEXT) | instid1(VALU_DEP_1)
	v_fma_f64 v[0:1], v[0:1], v[5:6], v[2:3]
	v_div_scale_f64 v[2:3], null, v[0:1], v[0:1], 1.0
	s_delay_alu instid0(VALU_DEP_1) | instskip(SKIP_2) | instid1(VALU_DEP_1)
	v_rcp_f64_e32 v[7:8], v[2:3]
	s_waitcnt_depctr 0xfff
	v_fma_f64 v[9:10], -v[2:3], v[7:8], 1.0
	v_fma_f64 v[7:8], v[7:8], v[9:10], v[7:8]
	s_delay_alu instid0(VALU_DEP_1) | instskip(NEXT) | instid1(VALU_DEP_1)
	v_fma_f64 v[9:10], -v[2:3], v[7:8], 1.0
	v_fma_f64 v[7:8], v[7:8], v[9:10], v[7:8]
	v_div_scale_f64 v[9:10], vcc_lo, 1.0, v[0:1], 1.0
	s_delay_alu instid0(VALU_DEP_1) | instskip(NEXT) | instid1(VALU_DEP_1)
	v_mul_f64 v[11:12], v[9:10], v[7:8]
	v_fma_f64 v[2:3], -v[2:3], v[11:12], v[9:10]
	s_delay_alu instid0(VALU_DEP_1) | instskip(NEXT) | instid1(VALU_DEP_1)
	v_div_fmas_f64 v[2:3], v[2:3], v[7:8], v[11:12]
	v_div_fixup_f64 v[2:3], v[2:3], v[0:1], 1.0
	s_delay_alu instid0(VALU_DEP_1)
	v_mul_f64 v[0:1], v[5:6], v[2:3]
	v_xor_b32_e32 v3, 0x80000000, v3
.LBB120_1348:
	s_and_not1_saveexec_b32 s2, s2
	s_cbranch_execz .LBB120_1350
; %bb.1349:
	s_delay_alu instid0(VALU_DEP_1) | instskip(SKIP_1) | instid1(VALU_DEP_2)
	v_div_scale_f64 v[5:6], null, v[0:1], v[0:1], v[2:3]
	v_div_scale_f64 v[11:12], vcc_lo, v[2:3], v[0:1], v[2:3]
	v_rcp_f64_e32 v[7:8], v[5:6]
	s_waitcnt_depctr 0xfff
	v_fma_f64 v[9:10], -v[5:6], v[7:8], 1.0
	s_delay_alu instid0(VALU_DEP_1) | instskip(NEXT) | instid1(VALU_DEP_1)
	v_fma_f64 v[7:8], v[7:8], v[9:10], v[7:8]
	v_fma_f64 v[9:10], -v[5:6], v[7:8], 1.0
	s_delay_alu instid0(VALU_DEP_1) | instskip(NEXT) | instid1(VALU_DEP_1)
	v_fma_f64 v[7:8], v[7:8], v[9:10], v[7:8]
	v_mul_f64 v[9:10], v[11:12], v[7:8]
	s_delay_alu instid0(VALU_DEP_1) | instskip(NEXT) | instid1(VALU_DEP_1)
	v_fma_f64 v[5:6], -v[5:6], v[9:10], v[11:12]
	v_div_fmas_f64 v[5:6], v[5:6], v[7:8], v[9:10]
	s_delay_alu instid0(VALU_DEP_1) | instskip(NEXT) | instid1(VALU_DEP_1)
	v_div_fixup_f64 v[5:6], v[5:6], v[0:1], v[2:3]
	v_fma_f64 v[0:1], v[2:3], v[5:6], v[0:1]
	s_delay_alu instid0(VALU_DEP_1) | instskip(NEXT) | instid1(VALU_DEP_1)
	v_div_scale_f64 v[2:3], null, v[0:1], v[0:1], 1.0
	v_rcp_f64_e32 v[7:8], v[2:3]
	s_waitcnt_depctr 0xfff
	v_fma_f64 v[9:10], -v[2:3], v[7:8], 1.0
	s_delay_alu instid0(VALU_DEP_1) | instskip(NEXT) | instid1(VALU_DEP_1)
	v_fma_f64 v[7:8], v[7:8], v[9:10], v[7:8]
	v_fma_f64 v[9:10], -v[2:3], v[7:8], 1.0
	s_delay_alu instid0(VALU_DEP_1) | instskip(SKIP_1) | instid1(VALU_DEP_1)
	v_fma_f64 v[7:8], v[7:8], v[9:10], v[7:8]
	v_div_scale_f64 v[9:10], vcc_lo, 1.0, v[0:1], 1.0
	v_mul_f64 v[11:12], v[9:10], v[7:8]
	s_delay_alu instid0(VALU_DEP_1) | instskip(NEXT) | instid1(VALU_DEP_1)
	v_fma_f64 v[2:3], -v[2:3], v[11:12], v[9:10]
	v_div_fmas_f64 v[2:3], v[2:3], v[7:8], v[11:12]
	s_delay_alu instid0(VALU_DEP_1) | instskip(NEXT) | instid1(VALU_DEP_1)
	v_div_fixup_f64 v[0:1], v[2:3], v[0:1], 1.0
	v_mul_f64 v[2:3], v[5:6], -v[0:1]
.LBB120_1350:
	s_or_b32 exec_lo, exec_lo, s2
.LBB120_1351:
	s_delay_alu instid0(SALU_CYCLE_1) | instskip(NEXT) | instid1(SALU_CYCLE_1)
	s_or_b32 exec_lo, exec_lo, s3
	s_mov_b32 s2, exec_lo
	v_cmpx_ne_u32_e64 v38, v4
	s_xor_b32 s2, exec_lo, s2
	s_cbranch_execz .LBB120_1357
; %bb.1352:
	s_mov_b32 s3, exec_lo
	v_cmpx_eq_u32_e32 58, v38
	s_cbranch_execz .LBB120_1356
; %bb.1353:
	v_cmp_ne_u32_e32 vcc_lo, 58, v4
	s_xor_b32 s6, s4, -1
	s_delay_alu instid0(SALU_CYCLE_1) | instskip(NEXT) | instid1(SALU_CYCLE_1)
	s_and_b32 s7, s6, vcc_lo
	s_and_saveexec_b32 s6, s7
	s_cbranch_execz .LBB120_1355
; %bb.1354:
	v_ashrrev_i32_e32 v5, 31, v4
	s_delay_alu instid0(VALU_DEP_1) | instskip(NEXT) | instid1(VALU_DEP_1)
	v_lshlrev_b64 v[5:6], 2, v[4:5]
	v_add_co_u32 v5, vcc_lo, v18, v5
	s_delay_alu instid0(VALU_DEP_2)
	v_add_co_ci_u32_e32 v6, vcc_lo, v19, v6, vcc_lo
	s_clause 0x1
	flat_load_b32 v7, v[5:6]
	flat_load_b32 v8, v[18:19] offset:232
	s_waitcnt vmcnt(1) lgkmcnt(1)
	flat_store_b32 v[18:19], v7 offset:232
	s_waitcnt vmcnt(0) lgkmcnt(1)
	flat_store_b32 v[5:6], v8
.LBB120_1355:
	s_or_b32 exec_lo, exec_lo, s6
	v_mov_b32_e32 v38, v4
	v_mov_b32_e32 v37, v4
.LBB120_1356:
	s_or_b32 exec_lo, exec_lo, s3
.LBB120_1357:
	s_and_not1_saveexec_b32 s2, s2
	s_cbranch_execz .LBB120_1359
; %bb.1358:
	s_clause 0x1
	scratch_load_b128 v[4:7], v146, off
	scratch_load_b128 v[8:11], v137, off
	v_mov_b32_e32 v38, 58
	s_waitcnt vmcnt(1)
	ds_store_2addr_b64 v20, v[4:5], v[6:7] offset0:118 offset1:119
	s_waitcnt vmcnt(0)
	ds_store_2addr_b64 v20, v[8:9], v[10:11] offset0:120 offset1:121
.LBB120_1359:
	s_or_b32 exec_lo, exec_lo, s2
	s_delay_alu instid0(SALU_CYCLE_1)
	s_mov_b32 s2, exec_lo
	s_waitcnt lgkmcnt(0)
	s_waitcnt_vscnt null, 0x0
	s_barrier
	buffer_gl0_inv
	v_cmpx_lt_i32_e32 58, v38
	s_cbranch_execz .LBB120_1361
; %bb.1360:
	s_clause 0x2
	scratch_load_b128 v[4:7], off, off offset:928
	scratch_load_b128 v[8:11], off, off offset:944
	;; [unrolled: 1-line block ×3, first 2 shown]
	s_waitcnt vmcnt(2)
	v_mul_f64 v[41:42], v[0:1], v[6:7]
	v_mul_f64 v[6:7], v[2:3], v[6:7]
	s_delay_alu instid0(VALU_DEP_2)
	v_fma_f64 v[2:3], v[2:3], v[4:5], v[41:42]
	ds_load_2addr_b64 v[41:44], v20 offset0:118 offset1:119
	ds_load_2addr_b64 v[45:48], v20 offset0:120 offset1:121
	v_fma_f64 v[0:1], v[0:1], v[4:5], -v[6:7]
	s_waitcnt lgkmcnt(1)
	v_mul_f64 v[4:5], v[43:44], v[2:3]
	v_mul_f64 v[6:7], v[41:42], v[2:3]
	s_waitcnt lgkmcnt(0)
	v_mul_f64 v[49:50], v[47:48], v[2:3]
	v_mul_f64 v[53:54], v[45:46], v[2:3]
	s_delay_alu instid0(VALU_DEP_4) | instskip(NEXT) | instid1(VALU_DEP_4)
	v_fma_f64 v[4:5], v[41:42], v[0:1], -v[4:5]
	v_fma_f64 v[6:7], v[43:44], v[0:1], v[6:7]
	s_delay_alu instid0(VALU_DEP_4) | instskip(NEXT) | instid1(VALU_DEP_4)
	v_fma_f64 v[41:42], v[45:46], v[0:1], -v[49:50]
	v_fma_f64 v[43:44], v[47:48], v[0:1], v[53:54]
	s_waitcnt vmcnt(1)
	s_delay_alu instid0(VALU_DEP_4) | instskip(NEXT) | instid1(VALU_DEP_4)
	v_add_f64 v[4:5], v[8:9], -v[4:5]
	v_add_f64 v[6:7], v[10:11], -v[6:7]
	s_waitcnt vmcnt(0)
	s_delay_alu instid0(VALU_DEP_4) | instskip(NEXT) | instid1(VALU_DEP_4)
	v_add_f64 v[8:9], v[12:13], -v[41:42]
	v_add_f64 v[10:11], v[14:15], -v[43:44]
	s_clause 0x2
	scratch_store_b128 off, v[0:3], off offset:928
	scratch_store_b128 off, v[4:7], off offset:944
	;; [unrolled: 1-line block ×3, first 2 shown]
.LBB120_1361:
	s_or_b32 exec_lo, exec_lo, s2
	s_waitcnt_vscnt null, 0x0
	s_barrier
	buffer_gl0_inv
	scratch_load_b128 v[0:3], v146, off
	v_lshl_add_u32 v4, v38, 4, v20
	s_cmp_lt_i32 s5, 61
	s_waitcnt vmcnt(0)
	ds_store_2addr_b64 v4, v[0:1], v[2:3] offset1:1
	s_waitcnt lgkmcnt(0)
	s_barrier
	buffer_gl0_inv
	ds_load_2addr_b64 v[0:3], v20 offset0:118 offset1:119
	v_mov_b32_e32 v4, 59
	s_cbranch_scc1 .LBB120_1364
; %bb.1362:
	v_add3_u32 v5, v36, 0, 0x3c0
	v_mov_b32_e32 v4, 59
	s_mov_b32 s6, 60
	s_set_inst_prefetch_distance 0x1
	.p2align	6
.LBB120_1363:                           ; =>This Inner Loop Header: Depth=1
	ds_load_2addr_b64 v[6:9], v5 offset1:1
	s_waitcnt lgkmcnt(1)
	v_cmp_gt_f64_e32 vcc_lo, 0, v[0:1]
	v_xor_b32_e32 v10, 0x80000000, v1
	v_cmp_gt_f64_e64 s2, 0, v[2:3]
	v_xor_b32_e32 v12, 0x80000000, v3
	v_add_nc_u32_e32 v5, 16, v5
	s_waitcnt lgkmcnt(0)
	v_cmp_gt_f64_e64 s3, 0, v[6:7]
	v_dual_mov_b32 v41, v8 :: v_dual_mov_b32 v14, v6
	v_cndmask_b32_e32 v11, v1, v10, vcc_lo
	v_xor_b32_e32 v10, 0x80000000, v7
	v_cndmask_b32_e64 v13, v3, v12, s2
	v_xor_b32_e32 v12, 0x80000000, v9
	s_delay_alu instid0(VALU_DEP_3) | instskip(SKIP_2) | instid1(VALU_DEP_2)
	v_cndmask_b32_e64 v15, v7, v10, s3
	v_cmp_gt_f64_e64 s3, 0, v[8:9]
	v_cndmask_b32_e32 v10, v0, v0, vcc_lo
	v_cndmask_b32_e64 v42, v9, v12, s3
	v_cndmask_b32_e64 v12, v2, v2, s2
	s_delay_alu instid0(VALU_DEP_2) | instskip(NEXT) | instid1(VALU_DEP_2)
	v_add_f64 v[14:15], v[14:15], v[41:42]
	v_add_f64 v[10:11], v[10:11], v[12:13]
	s_delay_alu instid0(VALU_DEP_1) | instskip(SKIP_4) | instid1(SALU_CYCLE_1)
	v_cmp_lt_f64_e32 vcc_lo, v[10:11], v[14:15]
	v_dual_cndmask_b32 v1, v1, v7 :: v_dual_cndmask_b32 v0, v0, v6
	v_dual_cndmask_b32 v3, v3, v9 :: v_dual_cndmask_b32 v2, v2, v8
	v_cndmask_b32_e64 v4, v4, s6, vcc_lo
	s_add_i32 s6, s6, 1
	s_cmp_lg_u32 s5, s6
	s_cbranch_scc1 .LBB120_1363
.LBB120_1364:
	s_set_inst_prefetch_distance 0x2
	s_waitcnt lgkmcnt(0)
	v_cmp_eq_f64_e32 vcc_lo, 0, v[0:1]
	v_cmp_eq_f64_e64 s2, 0, v[2:3]
	s_delay_alu instid0(VALU_DEP_1) | instskip(NEXT) | instid1(SALU_CYCLE_1)
	s_and_b32 s2, vcc_lo, s2
	s_and_saveexec_b32 s3, s2
	s_delay_alu instid0(SALU_CYCLE_1)
	s_xor_b32 s2, exec_lo, s3
; %bb.1365:
	v_cmp_ne_u32_e32 vcc_lo, 0, v35
	v_cndmask_b32_e32 v35, 60, v35, vcc_lo
; %bb.1366:
	s_and_not1_saveexec_b32 s3, s2
	s_cbranch_execz .LBB120_1372
; %bb.1367:
	v_cmp_gt_f64_e32 vcc_lo, 0, v[0:1]
	v_cmp_gt_f64_e64 s2, 0, v[2:3]
	v_xor_b32_e32 v5, 0x80000000, v1
	v_xor_b32_e32 v7, 0x80000000, v3
	s_delay_alu instid0(VALU_DEP_2) | instskip(NEXT) | instid1(VALU_DEP_2)
	v_dual_cndmask_b32 v6, v1, v5 :: v_dual_cndmask_b32 v5, v0, v0
	v_cndmask_b32_e64 v8, v3, v7, s2
	v_cndmask_b32_e64 v7, v2, v2, s2
	s_mov_b32 s2, exec_lo
	s_delay_alu instid0(VALU_DEP_1)
	v_cmpx_ngt_f64_e32 v[5:6], v[7:8]
	s_xor_b32 s2, exec_lo, s2
	s_cbranch_execz .LBB120_1369
; %bb.1368:
	v_div_scale_f64 v[5:6], null, v[2:3], v[2:3], v[0:1]
	v_div_scale_f64 v[11:12], vcc_lo, v[0:1], v[2:3], v[0:1]
	s_delay_alu instid0(VALU_DEP_2) | instskip(SKIP_2) | instid1(VALU_DEP_1)
	v_rcp_f64_e32 v[7:8], v[5:6]
	s_waitcnt_depctr 0xfff
	v_fma_f64 v[9:10], -v[5:6], v[7:8], 1.0
	v_fma_f64 v[7:8], v[7:8], v[9:10], v[7:8]
	s_delay_alu instid0(VALU_DEP_1) | instskip(NEXT) | instid1(VALU_DEP_1)
	v_fma_f64 v[9:10], -v[5:6], v[7:8], 1.0
	v_fma_f64 v[7:8], v[7:8], v[9:10], v[7:8]
	s_delay_alu instid0(VALU_DEP_1) | instskip(NEXT) | instid1(VALU_DEP_1)
	v_mul_f64 v[9:10], v[11:12], v[7:8]
	v_fma_f64 v[5:6], -v[5:6], v[9:10], v[11:12]
	s_delay_alu instid0(VALU_DEP_1) | instskip(NEXT) | instid1(VALU_DEP_1)
	v_div_fmas_f64 v[5:6], v[5:6], v[7:8], v[9:10]
	v_div_fixup_f64 v[5:6], v[5:6], v[2:3], v[0:1]
	s_delay_alu instid0(VALU_DEP_1) | instskip(NEXT) | instid1(VALU_DEP_1)
	v_fma_f64 v[0:1], v[0:1], v[5:6], v[2:3]
	v_div_scale_f64 v[2:3], null, v[0:1], v[0:1], 1.0
	s_delay_alu instid0(VALU_DEP_1) | instskip(SKIP_2) | instid1(VALU_DEP_1)
	v_rcp_f64_e32 v[7:8], v[2:3]
	s_waitcnt_depctr 0xfff
	v_fma_f64 v[9:10], -v[2:3], v[7:8], 1.0
	v_fma_f64 v[7:8], v[7:8], v[9:10], v[7:8]
	s_delay_alu instid0(VALU_DEP_1) | instskip(NEXT) | instid1(VALU_DEP_1)
	v_fma_f64 v[9:10], -v[2:3], v[7:8], 1.0
	v_fma_f64 v[7:8], v[7:8], v[9:10], v[7:8]
	v_div_scale_f64 v[9:10], vcc_lo, 1.0, v[0:1], 1.0
	s_delay_alu instid0(VALU_DEP_1) | instskip(NEXT) | instid1(VALU_DEP_1)
	v_mul_f64 v[11:12], v[9:10], v[7:8]
	v_fma_f64 v[2:3], -v[2:3], v[11:12], v[9:10]
	s_delay_alu instid0(VALU_DEP_1) | instskip(NEXT) | instid1(VALU_DEP_1)
	v_div_fmas_f64 v[2:3], v[2:3], v[7:8], v[11:12]
	v_div_fixup_f64 v[2:3], v[2:3], v[0:1], 1.0
	s_delay_alu instid0(VALU_DEP_1)
	v_mul_f64 v[0:1], v[5:6], v[2:3]
	v_xor_b32_e32 v3, 0x80000000, v3
.LBB120_1369:
	s_and_not1_saveexec_b32 s2, s2
	s_cbranch_execz .LBB120_1371
; %bb.1370:
	s_delay_alu instid0(VALU_DEP_1) | instskip(SKIP_1) | instid1(VALU_DEP_2)
	v_div_scale_f64 v[5:6], null, v[0:1], v[0:1], v[2:3]
	v_div_scale_f64 v[11:12], vcc_lo, v[2:3], v[0:1], v[2:3]
	v_rcp_f64_e32 v[7:8], v[5:6]
	s_waitcnt_depctr 0xfff
	v_fma_f64 v[9:10], -v[5:6], v[7:8], 1.0
	s_delay_alu instid0(VALU_DEP_1) | instskip(NEXT) | instid1(VALU_DEP_1)
	v_fma_f64 v[7:8], v[7:8], v[9:10], v[7:8]
	v_fma_f64 v[9:10], -v[5:6], v[7:8], 1.0
	s_delay_alu instid0(VALU_DEP_1) | instskip(NEXT) | instid1(VALU_DEP_1)
	v_fma_f64 v[7:8], v[7:8], v[9:10], v[7:8]
	v_mul_f64 v[9:10], v[11:12], v[7:8]
	s_delay_alu instid0(VALU_DEP_1) | instskip(NEXT) | instid1(VALU_DEP_1)
	v_fma_f64 v[5:6], -v[5:6], v[9:10], v[11:12]
	v_div_fmas_f64 v[5:6], v[5:6], v[7:8], v[9:10]
	s_delay_alu instid0(VALU_DEP_1) | instskip(NEXT) | instid1(VALU_DEP_1)
	v_div_fixup_f64 v[5:6], v[5:6], v[0:1], v[2:3]
	v_fma_f64 v[0:1], v[2:3], v[5:6], v[0:1]
	s_delay_alu instid0(VALU_DEP_1) | instskip(NEXT) | instid1(VALU_DEP_1)
	v_div_scale_f64 v[2:3], null, v[0:1], v[0:1], 1.0
	v_rcp_f64_e32 v[7:8], v[2:3]
	s_waitcnt_depctr 0xfff
	v_fma_f64 v[9:10], -v[2:3], v[7:8], 1.0
	s_delay_alu instid0(VALU_DEP_1) | instskip(NEXT) | instid1(VALU_DEP_1)
	v_fma_f64 v[7:8], v[7:8], v[9:10], v[7:8]
	v_fma_f64 v[9:10], -v[2:3], v[7:8], 1.0
	s_delay_alu instid0(VALU_DEP_1) | instskip(SKIP_1) | instid1(VALU_DEP_1)
	v_fma_f64 v[7:8], v[7:8], v[9:10], v[7:8]
	v_div_scale_f64 v[9:10], vcc_lo, 1.0, v[0:1], 1.0
	v_mul_f64 v[11:12], v[9:10], v[7:8]
	s_delay_alu instid0(VALU_DEP_1) | instskip(NEXT) | instid1(VALU_DEP_1)
	v_fma_f64 v[2:3], -v[2:3], v[11:12], v[9:10]
	v_div_fmas_f64 v[2:3], v[2:3], v[7:8], v[11:12]
	s_delay_alu instid0(VALU_DEP_1) | instskip(NEXT) | instid1(VALU_DEP_1)
	v_div_fixup_f64 v[0:1], v[2:3], v[0:1], 1.0
	v_mul_f64 v[2:3], v[5:6], -v[0:1]
.LBB120_1371:
	s_or_b32 exec_lo, exec_lo, s2
.LBB120_1372:
	s_delay_alu instid0(SALU_CYCLE_1) | instskip(NEXT) | instid1(SALU_CYCLE_1)
	s_or_b32 exec_lo, exec_lo, s3
	s_mov_b32 s2, exec_lo
	v_cmpx_ne_u32_e64 v38, v4
	s_xor_b32 s2, exec_lo, s2
	s_cbranch_execz .LBB120_1378
; %bb.1373:
	s_mov_b32 s3, exec_lo
	v_cmpx_eq_u32_e32 59, v38
	s_cbranch_execz .LBB120_1377
; %bb.1374:
	v_cmp_ne_u32_e32 vcc_lo, 59, v4
	s_xor_b32 s6, s4, -1
	s_delay_alu instid0(SALU_CYCLE_1) | instskip(NEXT) | instid1(SALU_CYCLE_1)
	s_and_b32 s7, s6, vcc_lo
	s_and_saveexec_b32 s6, s7
	s_cbranch_execz .LBB120_1376
; %bb.1375:
	v_ashrrev_i32_e32 v5, 31, v4
	s_delay_alu instid0(VALU_DEP_1) | instskip(NEXT) | instid1(VALU_DEP_1)
	v_lshlrev_b64 v[5:6], 2, v[4:5]
	v_add_co_u32 v5, vcc_lo, v18, v5
	s_delay_alu instid0(VALU_DEP_2)
	v_add_co_ci_u32_e32 v6, vcc_lo, v19, v6, vcc_lo
	s_clause 0x1
	flat_load_b32 v7, v[5:6]
	flat_load_b32 v8, v[18:19] offset:236
	s_waitcnt vmcnt(1) lgkmcnt(1)
	flat_store_b32 v[18:19], v7 offset:236
	s_waitcnt vmcnt(0) lgkmcnt(1)
	flat_store_b32 v[5:6], v8
.LBB120_1376:
	s_or_b32 exec_lo, exec_lo, s6
	v_mov_b32_e32 v38, v4
	v_mov_b32_e32 v37, v4
.LBB120_1377:
	s_or_b32 exec_lo, exec_lo, s3
.LBB120_1378:
	s_and_not1_saveexec_b32 s2, s2
	s_cbranch_execz .LBB120_1380
; %bb.1379:
	scratch_load_b128 v[4:7], v137, off
	v_mov_b32_e32 v38, 59
	s_waitcnt vmcnt(0)
	ds_store_2addr_b64 v20, v[4:5], v[6:7] offset0:120 offset1:121
.LBB120_1380:
	s_or_b32 exec_lo, exec_lo, s2
	s_delay_alu instid0(SALU_CYCLE_1)
	s_mov_b32 s2, exec_lo
	s_waitcnt lgkmcnt(0)
	s_waitcnt_vscnt null, 0x0
	s_barrier
	buffer_gl0_inv
	v_cmpx_lt_i32_e32 59, v38
	s_cbranch_execz .LBB120_1382
; %bb.1381:
	s_clause 0x1
	scratch_load_b128 v[4:7], off, off offset:944
	scratch_load_b128 v[8:11], off, off offset:960
	s_waitcnt vmcnt(1)
	v_mul_f64 v[12:13], v[0:1], v[6:7]
	v_mul_f64 v[6:7], v[2:3], v[6:7]
	s_delay_alu instid0(VALU_DEP_2)
	v_fma_f64 v[2:3], v[2:3], v[4:5], v[12:13]
	ds_load_2addr_b64 v[12:15], v20 offset0:120 offset1:121
	v_fma_f64 v[0:1], v[0:1], v[4:5], -v[6:7]
	s_waitcnt lgkmcnt(0)
	v_mul_f64 v[4:5], v[14:15], v[2:3]
	v_mul_f64 v[6:7], v[12:13], v[2:3]
	s_delay_alu instid0(VALU_DEP_2) | instskip(NEXT) | instid1(VALU_DEP_2)
	v_fma_f64 v[4:5], v[12:13], v[0:1], -v[4:5]
	v_fma_f64 v[6:7], v[14:15], v[0:1], v[6:7]
	s_waitcnt vmcnt(0)
	s_delay_alu instid0(VALU_DEP_2) | instskip(NEXT) | instid1(VALU_DEP_2)
	v_add_f64 v[4:5], v[8:9], -v[4:5]
	v_add_f64 v[6:7], v[10:11], -v[6:7]
	s_clause 0x1
	scratch_store_b128 off, v[0:3], off offset:944
	scratch_store_b128 off, v[4:7], off offset:960
.LBB120_1382:
	s_or_b32 exec_lo, exec_lo, s2
	s_waitcnt_vscnt null, 0x0
	s_barrier
	buffer_gl0_inv
	scratch_load_b128 v[0:3], v137, off
	v_lshl_add_u32 v4, v38, 4, v20
	s_cmp_lt_i32 s5, 62
	s_waitcnt vmcnt(0)
	ds_store_2addr_b64 v4, v[0:1], v[2:3] offset1:1
	s_waitcnt lgkmcnt(0)
	s_barrier
	buffer_gl0_inv
	ds_load_2addr_b64 v[0:3], v20 offset0:120 offset1:121
	v_mov_b32_e32 v4, 60
	s_cbranch_scc1 .LBB120_1385
; %bb.1383:
	v_add3_u32 v5, v36, 0, 0x3d0
	v_mov_b32_e32 v4, 60
	s_mov_b32 s6, 61
	s_set_inst_prefetch_distance 0x1
	.p2align	6
.LBB120_1384:                           ; =>This Inner Loop Header: Depth=1
	ds_load_2addr_b64 v[6:9], v5 offset1:1
	s_waitcnt lgkmcnt(1)
	v_cmp_gt_f64_e32 vcc_lo, 0, v[0:1]
	v_xor_b32_e32 v10, 0x80000000, v1
	v_cmp_gt_f64_e64 s2, 0, v[2:3]
	v_xor_b32_e32 v12, 0x80000000, v3
	v_add_nc_u32_e32 v5, 16, v5
	s_waitcnt lgkmcnt(0)
	v_cmp_gt_f64_e64 s3, 0, v[6:7]
	v_dual_mov_b32 v41, v8 :: v_dual_mov_b32 v14, v6
	v_cndmask_b32_e32 v11, v1, v10, vcc_lo
	v_xor_b32_e32 v10, 0x80000000, v7
	v_cndmask_b32_e64 v13, v3, v12, s2
	v_xor_b32_e32 v12, 0x80000000, v9
	s_delay_alu instid0(VALU_DEP_3) | instskip(SKIP_2) | instid1(VALU_DEP_2)
	v_cndmask_b32_e64 v15, v7, v10, s3
	v_cmp_gt_f64_e64 s3, 0, v[8:9]
	v_cndmask_b32_e32 v10, v0, v0, vcc_lo
	v_cndmask_b32_e64 v42, v9, v12, s3
	v_cndmask_b32_e64 v12, v2, v2, s2
	s_delay_alu instid0(VALU_DEP_2) | instskip(NEXT) | instid1(VALU_DEP_2)
	v_add_f64 v[14:15], v[14:15], v[41:42]
	v_add_f64 v[10:11], v[10:11], v[12:13]
	s_delay_alu instid0(VALU_DEP_1) | instskip(SKIP_4) | instid1(SALU_CYCLE_1)
	v_cmp_lt_f64_e32 vcc_lo, v[10:11], v[14:15]
	v_dual_cndmask_b32 v1, v1, v7 :: v_dual_cndmask_b32 v0, v0, v6
	v_dual_cndmask_b32 v3, v3, v9 :: v_dual_cndmask_b32 v2, v2, v8
	v_cndmask_b32_e64 v4, v4, s6, vcc_lo
	s_add_i32 s6, s6, 1
	s_cmp_lg_u32 s5, s6
	s_cbranch_scc1 .LBB120_1384
.LBB120_1385:
	s_set_inst_prefetch_distance 0x2
	s_waitcnt lgkmcnt(0)
	v_cmp_eq_f64_e32 vcc_lo, 0, v[0:1]
	v_cmp_eq_f64_e64 s2, 0, v[2:3]
	s_delay_alu instid0(VALU_DEP_1) | instskip(NEXT) | instid1(SALU_CYCLE_1)
	s_and_b32 s2, vcc_lo, s2
	s_and_saveexec_b32 s3, s2
	s_delay_alu instid0(SALU_CYCLE_1)
	s_xor_b32 s2, exec_lo, s3
; %bb.1386:
	v_cmp_ne_u32_e32 vcc_lo, 0, v35
	v_cndmask_b32_e32 v35, 61, v35, vcc_lo
; %bb.1387:
	s_and_not1_saveexec_b32 s3, s2
	s_cbranch_execz .LBB120_1393
; %bb.1388:
	v_cmp_gt_f64_e32 vcc_lo, 0, v[0:1]
	v_cmp_gt_f64_e64 s2, 0, v[2:3]
	v_xor_b32_e32 v5, 0x80000000, v1
	v_xor_b32_e32 v7, 0x80000000, v3
	s_delay_alu instid0(VALU_DEP_2) | instskip(NEXT) | instid1(VALU_DEP_2)
	v_dual_cndmask_b32 v6, v1, v5 :: v_dual_cndmask_b32 v5, v0, v0
	v_cndmask_b32_e64 v8, v3, v7, s2
	v_cndmask_b32_e64 v7, v2, v2, s2
	s_mov_b32 s2, exec_lo
	s_delay_alu instid0(VALU_DEP_1)
	v_cmpx_ngt_f64_e32 v[5:6], v[7:8]
	s_xor_b32 s2, exec_lo, s2
	s_cbranch_execz .LBB120_1390
; %bb.1389:
	v_div_scale_f64 v[5:6], null, v[2:3], v[2:3], v[0:1]
	v_div_scale_f64 v[11:12], vcc_lo, v[0:1], v[2:3], v[0:1]
	s_delay_alu instid0(VALU_DEP_2) | instskip(SKIP_2) | instid1(VALU_DEP_1)
	v_rcp_f64_e32 v[7:8], v[5:6]
	s_waitcnt_depctr 0xfff
	v_fma_f64 v[9:10], -v[5:6], v[7:8], 1.0
	v_fma_f64 v[7:8], v[7:8], v[9:10], v[7:8]
	s_delay_alu instid0(VALU_DEP_1) | instskip(NEXT) | instid1(VALU_DEP_1)
	v_fma_f64 v[9:10], -v[5:6], v[7:8], 1.0
	v_fma_f64 v[7:8], v[7:8], v[9:10], v[7:8]
	s_delay_alu instid0(VALU_DEP_1) | instskip(NEXT) | instid1(VALU_DEP_1)
	v_mul_f64 v[9:10], v[11:12], v[7:8]
	v_fma_f64 v[5:6], -v[5:6], v[9:10], v[11:12]
	s_delay_alu instid0(VALU_DEP_1) | instskip(NEXT) | instid1(VALU_DEP_1)
	v_div_fmas_f64 v[5:6], v[5:6], v[7:8], v[9:10]
	v_div_fixup_f64 v[5:6], v[5:6], v[2:3], v[0:1]
	s_delay_alu instid0(VALU_DEP_1) | instskip(NEXT) | instid1(VALU_DEP_1)
	v_fma_f64 v[0:1], v[0:1], v[5:6], v[2:3]
	v_div_scale_f64 v[2:3], null, v[0:1], v[0:1], 1.0
	s_delay_alu instid0(VALU_DEP_1) | instskip(SKIP_2) | instid1(VALU_DEP_1)
	v_rcp_f64_e32 v[7:8], v[2:3]
	s_waitcnt_depctr 0xfff
	v_fma_f64 v[9:10], -v[2:3], v[7:8], 1.0
	v_fma_f64 v[7:8], v[7:8], v[9:10], v[7:8]
	s_delay_alu instid0(VALU_DEP_1) | instskip(NEXT) | instid1(VALU_DEP_1)
	v_fma_f64 v[9:10], -v[2:3], v[7:8], 1.0
	v_fma_f64 v[7:8], v[7:8], v[9:10], v[7:8]
	v_div_scale_f64 v[9:10], vcc_lo, 1.0, v[0:1], 1.0
	s_delay_alu instid0(VALU_DEP_1) | instskip(NEXT) | instid1(VALU_DEP_1)
	v_mul_f64 v[11:12], v[9:10], v[7:8]
	v_fma_f64 v[2:3], -v[2:3], v[11:12], v[9:10]
	s_delay_alu instid0(VALU_DEP_1) | instskip(NEXT) | instid1(VALU_DEP_1)
	v_div_fmas_f64 v[2:3], v[2:3], v[7:8], v[11:12]
	v_div_fixup_f64 v[2:3], v[2:3], v[0:1], 1.0
	s_delay_alu instid0(VALU_DEP_1)
	v_mul_f64 v[0:1], v[5:6], v[2:3]
	v_xor_b32_e32 v3, 0x80000000, v3
.LBB120_1390:
	s_and_not1_saveexec_b32 s2, s2
	s_cbranch_execz .LBB120_1392
; %bb.1391:
	s_delay_alu instid0(VALU_DEP_1) | instskip(SKIP_1) | instid1(VALU_DEP_2)
	v_div_scale_f64 v[5:6], null, v[0:1], v[0:1], v[2:3]
	v_div_scale_f64 v[11:12], vcc_lo, v[2:3], v[0:1], v[2:3]
	v_rcp_f64_e32 v[7:8], v[5:6]
	s_waitcnt_depctr 0xfff
	v_fma_f64 v[9:10], -v[5:6], v[7:8], 1.0
	s_delay_alu instid0(VALU_DEP_1) | instskip(NEXT) | instid1(VALU_DEP_1)
	v_fma_f64 v[7:8], v[7:8], v[9:10], v[7:8]
	v_fma_f64 v[9:10], -v[5:6], v[7:8], 1.0
	s_delay_alu instid0(VALU_DEP_1) | instskip(NEXT) | instid1(VALU_DEP_1)
	v_fma_f64 v[7:8], v[7:8], v[9:10], v[7:8]
	v_mul_f64 v[9:10], v[11:12], v[7:8]
	s_delay_alu instid0(VALU_DEP_1) | instskip(NEXT) | instid1(VALU_DEP_1)
	v_fma_f64 v[5:6], -v[5:6], v[9:10], v[11:12]
	v_div_fmas_f64 v[5:6], v[5:6], v[7:8], v[9:10]
	s_delay_alu instid0(VALU_DEP_1) | instskip(NEXT) | instid1(VALU_DEP_1)
	v_div_fixup_f64 v[5:6], v[5:6], v[0:1], v[2:3]
	v_fma_f64 v[0:1], v[2:3], v[5:6], v[0:1]
	s_delay_alu instid0(VALU_DEP_1) | instskip(NEXT) | instid1(VALU_DEP_1)
	v_div_scale_f64 v[2:3], null, v[0:1], v[0:1], 1.0
	v_rcp_f64_e32 v[7:8], v[2:3]
	s_waitcnt_depctr 0xfff
	v_fma_f64 v[9:10], -v[2:3], v[7:8], 1.0
	s_delay_alu instid0(VALU_DEP_1) | instskip(NEXT) | instid1(VALU_DEP_1)
	v_fma_f64 v[7:8], v[7:8], v[9:10], v[7:8]
	v_fma_f64 v[9:10], -v[2:3], v[7:8], 1.0
	s_delay_alu instid0(VALU_DEP_1) | instskip(SKIP_1) | instid1(VALU_DEP_1)
	v_fma_f64 v[7:8], v[7:8], v[9:10], v[7:8]
	v_div_scale_f64 v[9:10], vcc_lo, 1.0, v[0:1], 1.0
	v_mul_f64 v[11:12], v[9:10], v[7:8]
	s_delay_alu instid0(VALU_DEP_1) | instskip(NEXT) | instid1(VALU_DEP_1)
	v_fma_f64 v[2:3], -v[2:3], v[11:12], v[9:10]
	v_div_fmas_f64 v[2:3], v[2:3], v[7:8], v[11:12]
	s_delay_alu instid0(VALU_DEP_1) | instskip(NEXT) | instid1(VALU_DEP_1)
	v_div_fixup_f64 v[0:1], v[2:3], v[0:1], 1.0
	v_mul_f64 v[2:3], v[5:6], -v[0:1]
.LBB120_1392:
	s_or_b32 exec_lo, exec_lo, s2
.LBB120_1393:
	s_delay_alu instid0(SALU_CYCLE_1)
	s_or_b32 exec_lo, exec_lo, s3
	v_mov_b32_e32 v132, 60
	s_mov_b32 s2, exec_lo
	v_cmpx_ne_u32_e64 v38, v4
	s_cbranch_execz .LBB120_1399
; %bb.1394:
	s_mov_b32 s3, exec_lo
	v_cmpx_eq_u32_e32 60, v38
	s_cbranch_execz .LBB120_1398
; %bb.1395:
	v_cmp_ne_u32_e32 vcc_lo, 60, v4
	s_xor_b32 s4, s4, -1
	s_delay_alu instid0(SALU_CYCLE_1) | instskip(NEXT) | instid1(SALU_CYCLE_1)
	s_and_b32 s5, s4, vcc_lo
	s_and_saveexec_b32 s4, s5
	s_cbranch_execz .LBB120_1397
; %bb.1396:
	v_ashrrev_i32_e32 v5, 31, v4
	s_delay_alu instid0(VALU_DEP_1) | instskip(NEXT) | instid1(VALU_DEP_1)
	v_lshlrev_b64 v[5:6], 2, v[4:5]
	v_add_co_u32 v5, vcc_lo, v18, v5
	s_delay_alu instid0(VALU_DEP_2)
	v_add_co_ci_u32_e32 v6, vcc_lo, v19, v6, vcc_lo
	s_clause 0x1
	flat_load_b32 v7, v[5:6]
	flat_load_b32 v8, v[18:19] offset:240
	s_waitcnt vmcnt(1) lgkmcnt(1)
	flat_store_b32 v[18:19], v7 offset:240
	s_waitcnt vmcnt(0) lgkmcnt(1)
	flat_store_b32 v[5:6], v8
.LBB120_1397:
	s_or_b32 exec_lo, exec_lo, s4
	v_mov_b32_e32 v38, v4
	v_mov_b32_e32 v37, v4
.LBB120_1398:
	s_or_b32 exec_lo, exec_lo, s3
	s_delay_alu instid0(VALU_DEP_2)
	v_mov_b32_e32 v132, v38
.LBB120_1399:
	s_or_b32 exec_lo, exec_lo, s2
	s_delay_alu instid0(SALU_CYCLE_1)
	s_mov_b32 s2, exec_lo
	s_waitcnt lgkmcnt(0)
	s_waitcnt_vscnt null, 0x0
	s_barrier
	buffer_gl0_inv
	v_cmpx_lt_i32_e32 60, v132
	s_cbranch_execz .LBB120_1401
; %bb.1400:
	scratch_load_b128 v[4:7], off, off offset:960
	s_waitcnt vmcnt(0)
	v_mul_f64 v[8:9], v[2:3], v[6:7]
	v_mul_f64 v[6:7], v[0:1], v[6:7]
	s_delay_alu instid0(VALU_DEP_2) | instskip(NEXT) | instid1(VALU_DEP_2)
	v_fma_f64 v[0:1], v[0:1], v[4:5], -v[8:9]
	v_fma_f64 v[2:3], v[2:3], v[4:5], v[6:7]
	scratch_store_b128 off, v[0:3], off offset:960
.LBB120_1401:
	s_or_b32 exec_lo, exec_lo, s2
	s_load_b256 s[0:7], s[0:1], 0x28
	v_ashrrev_i32_e32 v133, 31, v132
	s_mov_b32 s9, exec_lo
	s_waitcnt lgkmcnt(0)
	s_waitcnt_vscnt null, 0x0
	s_barrier
	buffer_gl0_inv
	v_cmpx_gt_i32_e32 61, v132
	s_cbranch_execz .LBB120_1403
; %bb.1402:
	v_mul_lo_u32 v2, v17, s4
	v_mul_lo_u32 v3, v16, s5
	v_mad_u64_u32 v[0:1], null, v16, s4, 0
	s_lshl_b64 s[2:3], s[2:3], 2
	s_delay_alu instid0(SALU_CYCLE_1) | instskip(SKIP_1) | instid1(VALU_DEP_1)
	s_add_u32 s0, s2, s0
	s_addc_u32 s1, s3, s1
	v_add3_u32 v1, v1, v3, v2
	v_lshlrev_b64 v[2:3], 2, v[132:133]
	s_delay_alu instid0(VALU_DEP_2) | instskip(NEXT) | instid1(VALU_DEP_1)
	v_lshlrev_b64 v[0:1], 2, v[0:1]
	v_add_co_u32 v0, vcc_lo, s0, v0
	s_delay_alu instid0(VALU_DEP_2) | instskip(NEXT) | instid1(VALU_DEP_2)
	v_add_co_ci_u32_e32 v1, vcc_lo, s1, v1, vcc_lo
	v_add_co_u32 v0, vcc_lo, v0, v2
	s_delay_alu instid0(VALU_DEP_2)
	v_add_co_ci_u32_e32 v1, vcc_lo, v1, v3, vcc_lo
	v_add3_u32 v2, v37, s13, 1
	global_store_b32 v[0:1], v2, off
.LBB120_1403:
	s_or_b32 exec_lo, exec_lo, s9
	s_delay_alu instid0(SALU_CYCLE_1)
	s_mov_b32 s1, exec_lo
	v_cmpx_eq_u32_e32 0, v132
	s_cbranch_execz .LBB120_1406
; %bb.1404:
	v_lshlrev_b64 v[0:1], 2, v[16:17]
	v_cmp_lt_i32_e64 s0, 0, v35
	s_delay_alu instid0(VALU_DEP_2) | instskip(NEXT) | instid1(VALU_DEP_3)
	v_add_co_u32 v0, vcc_lo, s6, v0
	v_add_co_ci_u32_e32 v1, vcc_lo, s7, v1, vcc_lo
	global_load_b32 v2, v[0:1], off
	s_waitcnt vmcnt(0)
	v_cmp_eq_u32_e32 vcc_lo, 0, v2
	s_and_b32 s0, vcc_lo, s0
	s_delay_alu instid0(SALU_CYCLE_1)
	s_and_b32 exec_lo, exec_lo, s0
	s_cbranch_execz .LBB120_1406
; %bb.1405:
	v_add_nc_u32_e32 v2, s13, v35
	global_store_b32 v[0:1], v2, off
.LBB120_1406:
	s_or_b32 exec_lo, exec_lo, s1
	scratch_load_b128 v[76:79], off, off
	s_clause 0x1f
	scratch_load_b128 v[64:67], v31, off
	scratch_load_b128 v[60:63], v30, off
	;; [unrolled: 1-line block ×32, first 2 shown]
	s_clause 0x13
	scratch_load_b128 v[163:166], v163, off
	scratch_load_b128 v[167:170], v162, off
	scratch_load_b128 v[171:174], v161, off
	scratch_load_b128 v[175:178], v160, off
	scratch_load_b128 v[159:162], v159, off
	scratch_load_b128 v[179:182], v158, off
	scratch_load_b128 v[183:186], v157, off
	scratch_load_b128 v[187:190], v156, off
	scratch_load_b128 v[155:158], v155, off
	scratch_load_b128 v[191:194], v154, off
	scratch_load_b128 v[195:198], v153, off
	scratch_load_b128 v[199:202], v152, off
	scratch_load_b128 v[151:154], v151, off
	scratch_load_b128 v[203:206], v150, off
	scratch_load_b128 v[207:210], v149, off
	scratch_load_b128 v[211:214], v148, off
	scratch_load_b128 v[147:150], v147, off
	scratch_load_b128 v[215:218], v140, off
	scratch_load_b128 v[219:222], v145, off
	scratch_load_b128 v[223:226], v144, off
	v_lshlrev_b64 v[227:228], 4, v[132:133]
	v_add3_u32 v132, s8, s8, v132
	s_delay_alu instid0(VALU_DEP_1) | instskip(SKIP_1) | instid1(VALU_DEP_4)
	v_add_nc_u32_e32 v144, s8, v132
	v_ashrrev_i32_e32 v133, 31, v132
	v_add_co_u32 v227, vcc_lo, v134, v227
	v_add_co_ci_u32_e32 v228, vcc_lo, v135, v228, vcc_lo
	s_delay_alu instid0(VALU_DEP_4) | instskip(SKIP_3) | instid1(VALU_DEP_4)
	v_add_nc_u32_e32 v229, s8, v144
	v_ashrrev_i32_e32 v145, 31, v144
	v_lshlrev_b64 v[132:133], 4, v[132:133]
	v_add_co_u32 v231, vcc_lo, v227, s10
	v_add_nc_u32_e32 v233, s8, v229
	s_delay_alu instid0(VALU_DEP_4)
	v_lshlrev_b64 v[144:145], 4, v[144:145]
	v_add_co_ci_u32_e32 v232, vcc_lo, s11, v228, vcc_lo
	v_ashrrev_i32_e32 v230, 31, v229
	v_add_co_u32 v132, vcc_lo, v134, v132
	v_ashrrev_i32_e32 v234, 31, v233
	v_add_nc_u32_e32 v235, s8, v233
	v_add_co_ci_u32_e32 v133, vcc_lo, v135, v133, vcc_lo
	v_add_co_u32 v237, vcc_lo, v134, v144
	v_lshlrev_b64 v[229:230], 4, v[229:230]
	v_add_co_ci_u32_e32 v238, vcc_lo, v135, v145, vcc_lo
	v_lshlrev_b64 v[144:145], 4, v[233:234]
	v_add_nc_u32_e32 v233, s8, v235
	v_ashrrev_i32_e32 v236, 31, v235
	v_add_co_u32 v229, vcc_lo, v134, v229
	v_add_co_ci_u32_e32 v230, vcc_lo, v135, v230, vcc_lo
	s_delay_alu instid0(VALU_DEP_4)
	v_ashrrev_i32_e32 v234, 31, v233
	v_add_nc_u32_e32 v239, s8, v233
	v_add_co_u32 v241, vcc_lo, v134, v144
	v_lshlrev_b64 v[235:236], 4, v[235:236]
	v_add_co_ci_u32_e32 v242, vcc_lo, v135, v145, vcc_lo
	v_lshlrev_b64 v[144:145], 4, v[233:234]
	v_add_nc_u32_e32 v233, s8, v239
	v_ashrrev_i32_e32 v240, 31, v239
	v_add_co_u32 v235, vcc_lo, v134, v235
	v_add_co_ci_u32_e32 v236, vcc_lo, v135, v236, vcc_lo
	s_delay_alu instid0(VALU_DEP_4)
	v_ashrrev_i32_e32 v234, 31, v233
	v_add_nc_u32_e32 v243, s8, v233
	;; [unrolled: 11-line block ×3, first 2 shown]
	v_add_co_u32 v249, vcc_lo, v134, v144
	v_lshlrev_b64 v[243:244], 4, v[243:244]
	v_add_co_ci_u32_e32 v250, vcc_lo, v135, v145, vcc_lo
	v_lshlrev_b64 v[144:145], 4, v[233:234]
	v_add_nc_u32_e32 v233, s8, v247
	v_ashrrev_i32_e32 v248, 31, v247
	v_add_co_u32 v243, vcc_lo, v134, v243
	v_add_co_ci_u32_e32 v244, vcc_lo, v135, v244, vcc_lo
	s_delay_alu instid0(VALU_DEP_4) | instskip(SKIP_3) | instid1(VALU_DEP_4)
	v_add_nc_u32_e32 v253, s8, v233
	v_add_co_u32 v251, vcc_lo, v134, v144
	v_ashrrev_i32_e32 v234, 31, v233
	v_add_co_ci_u32_e32 v252, vcc_lo, v135, v145, vcc_lo
	v_ashrrev_i32_e32 v254, 31, v253
	s_delay_alu instid0(VALU_DEP_3)
	v_lshlrev_b64 v[233:234], 4, v[233:234]
	s_waitcnt vmcnt(52)
	global_store_b128 v[227:228], v[76:79], off
	s_clause 0x1
	scratch_load_b128 v[76:79], v143, off
	scratch_load_b128 v[142:145], v142, off
	s_waitcnt vmcnt(53)
	global_store_b128 v[231:232], v[64:67], off
	v_add_nc_u32_e32 v231, s8, v253
	v_lshlrev_b64 v[227:228], 4, v[247:248]
	v_lshlrev_b64 v[64:65], 4, v[253:254]
	s_waitcnt vmcnt(52)
	global_store_b128 v[132:133], v[60:63], off
	v_add_nc_u32_e32 v247, s8, v231
	v_ashrrev_i32_e32 v232, 31, v231
	v_add_co_u32 v227, vcc_lo, v134, v227
	v_add_co_ci_u32_e32 v228, vcc_lo, v135, v228, vcc_lo
	v_add_co_u32 v233, vcc_lo, v134, v233
	v_add_nc_u32_e32 v140, s8, v247
	v_add_co_ci_u32_e32 v234, vcc_lo, v135, v234, vcc_lo
	v_add_co_u32 v253, vcc_lo, v134, v64
	v_ashrrev_i32_e32 v248, 31, v247
	v_add_co_ci_u32_e32 v254, vcc_lo, v135, v65, vcc_lo
	s_clause 0x1
	scratch_load_b128 v[60:63], v138, off
	scratch_load_b128 v[64:67], v141, off
	v_ashrrev_i32_e32 v141, 31, v140
	s_waitcnt vmcnt(53)
	global_store_b128 v[237:238], v[48:51], off
	v_add_nc_u32_e32 v237, s8, v140
	v_lshlrev_b64 v[132:133], 4, v[231:232]
	v_lshlrev_b64 v[231:232], 4, v[247:248]
	;; [unrolled: 1-line block ×3, first 2 shown]
	s_waitcnt vmcnt(52)
	global_store_b128 v[229:230], v[44:47], off
	v_add_nc_u32_e32 v140, s8, v237
	v_ashrrev_i32_e32 v238, 31, v237
	v_add_co_u32 v132, vcc_lo, v134, v132
	v_add_co_ci_u32_e32 v133, vcc_lo, v135, v133, vcc_lo
	v_add_co_u32 v231, vcc_lo, v134, v231
	v_add_nc_u32_e32 v138, s8, v140
	v_add_co_ci_u32_e32 v232, vcc_lo, v135, v232, vcc_lo
	v_ashrrev_i32_e32 v141, 31, v140
	v_add_co_u32 v247, vcc_lo, v134, v48
	v_lshlrev_b64 v[229:230], 4, v[237:238]
	v_add_co_ci_u32_e32 v248, vcc_lo, v135, v49, vcc_lo
	s_clause 0x1
	scratch_load_b128 v[44:47], v136, off
	scratch_load_b128 v[48:51], v139, off
	v_ashrrev_i32_e32 v139, 31, v138
	v_lshlrev_b64 v[140:141], 4, v[140:141]
	s_waitcnt vmcnt(53)
	global_store_b128 v[241:242], v[36:39], off
	v_add_co_u32 v229, vcc_lo, v134, v229
	v_lshlrev_b64 v[36:37], 4, v[138:139]
	v_add_co_ci_u32_e32 v230, vcc_lo, v135, v230, vcc_lo
	v_add_co_u32 v140, vcc_lo, v134, v140
	v_add_co_ci_u32_e32 v141, vcc_lo, v135, v141, vcc_lo
	s_delay_alu instid0(VALU_DEP_4)
	v_add_co_u32 v241, vcc_lo, v134, v36
	s_waitcnt vmcnt(52)
	global_store_b128 v[235:236], v[28:31], off
	v_add_co_ci_u32_e32 v242, vcc_lo, v135, v37, vcc_lo
	s_clause 0x1
	scratch_load_b128 v[28:31], v146, off
	scratch_load_b128 v[36:39], v137, off
	v_add_nc_u32_e32 v237, s8, v138
	s_waitcnt vmcnt(53)
	global_store_b128 v[245:246], v[20:23], off
	s_waitcnt vmcnt(52)
	global_store_b128 v[239:240], v[12:15], off
	;; [unrolled: 2-line block ×4, first 2 shown]
	v_add_nc_u32_e32 v138, s8, v237
	v_ashrrev_i32_e32 v238, 31, v237
	s_delay_alu instid0(VALU_DEP_2) | instskip(NEXT) | instid1(VALU_DEP_2)
	v_add_nc_u32_e32 v136, s8, v138
	v_lshlrev_b64 v[235:236], 4, v[237:238]
	v_ashrrev_i32_e32 v139, 31, v138
	s_delay_alu instid0(VALU_DEP_3) | instskip(SKIP_1) | instid1(VALU_DEP_4)
	v_add_nc_u32_e32 v20, s8, v136
	v_ashrrev_i32_e32 v137, 31, v136
	v_add_co_u32 v22, vcc_lo, v134, v235
	s_delay_alu instid0(VALU_DEP_4) | instskip(NEXT) | instid1(VALU_DEP_4)
	v_lshlrev_b64 v[138:139], 4, v[138:139]
	v_add_nc_u32_e32 v235, s8, v20
	v_ashrrev_i32_e32 v21, 31, v20
	v_lshlrev_b64 v[136:137], 4, v[136:137]
	v_add_co_ci_u32_e32 v23, vcc_lo, v135, v236, vcc_lo
	s_delay_alu instid0(VALU_DEP_4)
	v_add_nc_u32_e32 v237, s8, v235
	v_add_co_u32 v138, vcc_lo, v134, v138
	v_lshlrev_b64 v[20:21], 4, v[20:21]
	v_add_co_ci_u32_e32 v139, vcc_lo, v135, v139, vcc_lo
	v_add_co_u32 v136, vcc_lo, v134, v136
	v_ashrrev_i32_e32 v238, 31, v237
	v_add_nc_u32_e32 v12, s8, v237
	v_ashrrev_i32_e32 v236, 31, v235
	v_add_co_ci_u32_e32 v137, vcc_lo, v135, v137, vcc_lo
	v_add_co_u32 v14, vcc_lo, v134, v20
	v_add_co_ci_u32_e32 v15, vcc_lo, v135, v21, vcc_lo
	v_lshlrev_b64 v[20:21], 4, v[237:238]
	v_add_nc_u32_e32 v237, s8, v12
	v_lshlrev_b64 v[235:236], 4, v[235:236]
	v_ashrrev_i32_e32 v13, 31, v12
	s_delay_alu instid0(VALU_DEP_3) | instskip(SKIP_1) | instid1(VALU_DEP_4)
	v_add_nc_u32_e32 v239, s8, v237
	v_ashrrev_i32_e32 v238, 31, v237
	v_add_co_u32 v235, vcc_lo, v134, v235
	s_delay_alu instid0(VALU_DEP_4)
	v_lshlrev_b64 v[12:13], 4, v[12:13]
	v_add_co_ci_u32_e32 v236, vcc_lo, v135, v236, vcc_lo
	v_add_co_u32 v20, vcc_lo, v134, v20
	v_ashrrev_i32_e32 v240, 31, v239
	v_add_nc_u32_e32 v8, s8, v239
	v_add_co_ci_u32_e32 v21, vcc_lo, v135, v21, vcc_lo
	v_add_co_u32 v10, vcc_lo, v134, v12
	v_add_co_ci_u32_e32 v11, vcc_lo, v135, v13, vcc_lo
	v_lshlrev_b64 v[12:13], 4, v[239:240]
	v_add_nc_u32_e32 v239, s8, v8
	v_lshlrev_b64 v[237:238], 4, v[237:238]
	v_ashrrev_i32_e32 v9, 31, v8
	s_delay_alu instid0(VALU_DEP_3) | instskip(SKIP_1) | instid1(VALU_DEP_4)
	v_add_nc_u32_e32 v245, s8, v239
	v_ashrrev_i32_e32 v240, 31, v239
	v_add_co_u32 v237, vcc_lo, v134, v237
	s_delay_alu instid0(VALU_DEP_4) | instskip(NEXT) | instid1(VALU_DEP_4)
	v_lshlrev_b64 v[8:9], 4, v[8:9]
	v_add_nc_u32_e32 v0, s8, v245
	v_add_co_ci_u32_e32 v238, vcc_lo, v135, v238, vcc_lo
	v_add_co_u32 v12, vcc_lo, v134, v12
	v_ashrrev_i32_e32 v246, 31, v245
	v_add_co_ci_u32_e32 v13, vcc_lo, v135, v13, vcc_lo
	v_lshlrev_b64 v[239:240], 4, v[239:240]
	v_add_co_u32 v2, vcc_lo, v134, v8
	v_ashrrev_i32_e32 v1, 31, v0
	v_add_co_ci_u32_e32 v3, vcc_lo, v135, v9, vcc_lo
	v_lshlrev_b64 v[8:9], 4, v[245:246]
	v_add_nc_u32_e32 v243, s8, v0
	v_add_co_u32 v239, vcc_lo, v134, v239
	v_lshlrev_b64 v[0:1], 4, v[0:1]
	v_add_co_ci_u32_e32 v240, vcc_lo, v135, v240, vcc_lo
	s_waitcnt vmcnt(49)
	global_store_b128 v[251:252], v[4:7], off
	s_waitcnt vmcnt(48)
	global_store_b128 v[227:228], v[16:19], off
	;; [unrolled: 2-line block ×20, first 2 shown]
	v_add_co_u32 v2, vcc_lo, v134, v8
	v_add_co_ci_u32_e32 v3, vcc_lo, v135, v9, vcc_lo
	v_ashrrev_i32_e32 v244, 31, v243
	v_add_co_u32 v0, vcc_lo, v134, v0
	v_add_nc_u32_e32 v4, s8, v243
	v_add_co_ci_u32_e32 v1, vcc_lo, v135, v1, vcc_lo
	s_delay_alu instid0(VALU_DEP_4)
	v_lshlrev_b64 v[6:7], 4, v[243:244]
	s_waitcnt vmcnt(29)
	global_store_b128 v[239:240], v[124:127], off
	v_ashrrev_i32_e32 v5, 31, v4
	s_waitcnt vmcnt(28)
	global_store_b128 v[2:3], v[128:131], off
	s_waitcnt vmcnt(27)
	global_store_b128 v[0:1], v[163:166], off
	v_add_nc_u32_e32 v2, s8, v4
	v_lshlrev_b64 v[0:1], 4, v[4:5]
	v_add_co_u32 v4, vcc_lo, v134, v6
	s_delay_alu instid0(VALU_DEP_3) | instskip(SKIP_3) | instid1(VALU_DEP_4)
	v_add_nc_u32_e32 v6, s8, v2
	v_ashrrev_i32_e32 v3, 31, v2
	v_add_co_ci_u32_e32 v5, vcc_lo, v135, v7, vcc_lo
	v_add_co_u32 v0, vcc_lo, v134, v0
	v_add_nc_u32_e32 v8, s8, v6
	v_ashrrev_i32_e32 v7, 31, v6
	v_add_co_ci_u32_e32 v1, vcc_lo, v135, v1, vcc_lo
	v_lshlrev_b64 v[2:3], 4, v[2:3]
	s_delay_alu instid0(VALU_DEP_4)
	v_ashrrev_i32_e32 v9, 31, v8
	s_waitcnt vmcnt(26)
	global_store_b128 v[4:5], v[167:170], off
	s_waitcnt vmcnt(25)
	global_store_b128 v[0:1], v[171:174], off
	v_lshlrev_b64 v[0:1], 4, v[6:7]
	v_add_nc_u32_e32 v6, s8, v8
	v_add_co_u32 v2, vcc_lo, v134, v2
	v_lshlrev_b64 v[4:5], 4, v[8:9]
	v_add_co_ci_u32_e32 v3, vcc_lo, v135, v3, vcc_lo
	v_add_co_u32 v0, vcc_lo, v134, v0
	v_add_co_ci_u32_e32 v1, vcc_lo, v135, v1, vcc_lo
	s_delay_alu instid0(VALU_DEP_4)
	v_add_co_u32 v4, vcc_lo, v134, v4
	v_add_nc_u32_e32 v8, s8, v6
	v_add_co_ci_u32_e32 v5, vcc_lo, v135, v5, vcc_lo
	v_ashrrev_i32_e32 v7, 31, v6
	s_waitcnt vmcnt(24)
	global_store_b128 v[2:3], v[175:178], off
	v_ashrrev_i32_e32 v9, 31, v8
	s_waitcnt vmcnt(23)
	global_store_b128 v[0:1], v[159:162], off
	s_waitcnt vmcnt(22)
	global_store_b128 v[4:5], v[179:182], off
	v_add_nc_u32_e32 v4, s8, v8
	v_lshlrev_b64 v[2:3], 4, v[6:7]
	v_lshlrev_b64 v[0:1], 4, v[8:9]
	s_delay_alu instid0(VALU_DEP_3) | instskip(SKIP_1) | instid1(VALU_DEP_4)
	v_add_nc_u32_e32 v6, s8, v4
	v_ashrrev_i32_e32 v5, 31, v4
	v_add_co_u32 v2, vcc_lo, v134, v2
	v_add_co_ci_u32_e32 v3, vcc_lo, v135, v3, vcc_lo
	s_delay_alu instid0(VALU_DEP_4)
	v_add_nc_u32_e32 v8, s8, v6
	v_add_co_u32 v0, vcc_lo, v134, v0
	v_ashrrev_i32_e32 v7, 31, v6
	v_lshlrev_b64 v[4:5], 4, v[4:5]
	v_add_co_ci_u32_e32 v1, vcc_lo, v135, v1, vcc_lo
	v_ashrrev_i32_e32 v9, 31, v8
	s_waitcnt vmcnt(21)
	global_store_b128 v[2:3], v[183:186], off
	s_waitcnt vmcnt(20)
	global_store_b128 v[0:1], v[187:190], off
	v_lshlrev_b64 v[0:1], 4, v[6:7]
	v_add_co_u32 v2, vcc_lo, v134, v4
	v_add_co_ci_u32_e32 v3, vcc_lo, v135, v5, vcc_lo
	v_lshlrev_b64 v[4:5], 4, v[8:9]
	v_add_nc_u32_e32 v6, s8, v8
	v_add_co_u32 v0, vcc_lo, v134, v0
	v_add_co_ci_u32_e32 v1, vcc_lo, v135, v1, vcc_lo
	s_delay_alu instid0(VALU_DEP_4) | instskip(NEXT) | instid1(VALU_DEP_4)
	v_add_co_u32 v4, vcc_lo, v134, v4
	v_add_nc_u32_e32 v8, s8, v6
	v_add_co_ci_u32_e32 v5, vcc_lo, v135, v5, vcc_lo
	v_ashrrev_i32_e32 v7, 31, v6
	s_waitcnt vmcnt(19)
	global_store_b128 v[2:3], v[155:158], off
	v_ashrrev_i32_e32 v9, 31, v8
	s_waitcnt vmcnt(18)
	global_store_b128 v[0:1], v[191:194], off
	s_waitcnt vmcnt(17)
	global_store_b128 v[4:5], v[195:198], off
	v_add_nc_u32_e32 v4, s8, v8
	v_lshlrev_b64 v[2:3], 4, v[6:7]
	v_lshlrev_b64 v[0:1], 4, v[8:9]
	s_delay_alu instid0(VALU_DEP_3) | instskip(SKIP_1) | instid1(VALU_DEP_4)
	v_add_nc_u32_e32 v6, s8, v4
	v_ashrrev_i32_e32 v5, 31, v4
	v_add_co_u32 v2, vcc_lo, v134, v2
	v_add_co_ci_u32_e32 v3, vcc_lo, v135, v3, vcc_lo
	s_delay_alu instid0(VALU_DEP_4)
	v_add_nc_u32_e32 v8, s8, v6
	v_add_co_u32 v0, vcc_lo, v134, v0
	v_ashrrev_i32_e32 v7, 31, v6
	v_lshlrev_b64 v[4:5], 4, v[4:5]
	v_add_co_ci_u32_e32 v1, vcc_lo, v135, v1, vcc_lo
	v_ashrrev_i32_e32 v9, 31, v8
	s_waitcnt vmcnt(16)
	global_store_b128 v[2:3], v[199:202], off
	s_waitcnt vmcnt(15)
	global_store_b128 v[0:1], v[151:154], off
	v_lshlrev_b64 v[0:1], 4, v[6:7]
	v_add_co_u32 v2, vcc_lo, v134, v4
	v_add_co_ci_u32_e32 v3, vcc_lo, v135, v5, vcc_lo
	v_lshlrev_b64 v[4:5], 4, v[8:9]
	v_add_nc_u32_e32 v6, s8, v8
	v_add_co_u32 v0, vcc_lo, v134, v0
	v_add_co_ci_u32_e32 v1, vcc_lo, v135, v1, vcc_lo
	s_delay_alu instid0(VALU_DEP_4) | instskip(NEXT) | instid1(VALU_DEP_4)
	;; [unrolled: 38-line block ×3, first 2 shown]
	v_add_co_u32 v4, vcc_lo, v134, v4
	v_add_nc_u32_e32 v8, s8, v6
	v_add_co_ci_u32_e32 v5, vcc_lo, v135, v5, vcc_lo
	v_ashrrev_i32_e32 v7, 31, v6
	s_waitcnt vmcnt(9)
	global_store_b128 v[2:3], v[219:222], off
	s_waitcnt vmcnt(8)
	global_store_b128 v[0:1], v[223:226], off
	;; [unrolled: 2-line block ×3, first 2 shown]
	v_add_nc_u32_e32 v4, s8, v8
	v_ashrrev_i32_e32 v9, 31, v8
	v_lshlrev_b64 v[2:3], 4, v[6:7]
	s_delay_alu instid0(VALU_DEP_3) | instskip(NEXT) | instid1(VALU_DEP_3)
	v_add_nc_u32_e32 v6, s8, v4
	v_lshlrev_b64 v[0:1], 4, v[8:9]
	v_ashrrev_i32_e32 v5, 31, v4
	s_delay_alu instid0(VALU_DEP_4)
	v_add_co_u32 v2, vcc_lo, v134, v2
	v_add_co_ci_u32_e32 v3, vcc_lo, v135, v3, vcc_lo
	v_add_nc_u32_e32 v8, s8, v6
	v_add_co_u32 v0, vcc_lo, v134, v0
	v_add_co_ci_u32_e32 v1, vcc_lo, v135, v1, vcc_lo
	v_ashrrev_i32_e32 v7, 31, v6
	s_waitcnt vmcnt(6)
	global_store_b128 v[2:3], v[142:145], off
	v_lshlrev_b64 v[2:3], 4, v[4:5]
	v_ashrrev_i32_e32 v9, 31, v8
	v_add_nc_u32_e32 v4, s8, v8
	s_waitcnt vmcnt(5)
	global_store_b128 v[0:1], v[60:63], off
	v_lshlrev_b64 v[0:1], 4, v[6:7]
	v_lshlrev_b64 v[6:7], 4, v[8:9]
	v_add_nc_u32_e32 v8, s8, v4
	v_ashrrev_i32_e32 v5, 31, v4
	v_add_co_u32 v2, vcc_lo, v134, v2
	v_add_co_ci_u32_e32 v3, vcc_lo, v135, v3, vcc_lo
	s_delay_alu instid0(VALU_DEP_4)
	v_ashrrev_i32_e32 v9, 31, v8
	v_add_co_u32 v0, vcc_lo, v134, v0
	v_lshlrev_b64 v[4:5], 4, v[4:5]
	v_add_co_ci_u32_e32 v1, vcc_lo, v135, v1, vcc_lo
	v_add_co_u32 v6, vcc_lo, v134, v6
	v_lshlrev_b64 v[8:9], 4, v[8:9]
	v_add_co_ci_u32_e32 v7, vcc_lo, v135, v7, vcc_lo
	v_add_co_u32 v4, vcc_lo, v134, v4
	v_add_co_ci_u32_e32 v5, vcc_lo, v135, v5, vcc_lo
	s_delay_alu instid0(VALU_DEP_4)
	v_add_co_u32 v8, vcc_lo, v134, v8
	v_add_co_ci_u32_e32 v9, vcc_lo, v135, v9, vcc_lo
	s_waitcnt vmcnt(4)
	global_store_b128 v[2:3], v[64:67], off
	s_waitcnt vmcnt(3)
	global_store_b128 v[0:1], v[44:47], off
	;; [unrolled: 2-line block ×5, first 2 shown]
.LBB120_1407:
	s_nop 0
	s_sendmsg sendmsg(MSG_DEALLOC_VGPRS)
	s_endpgm
	.section	.rodata,"a",@progbits
	.p2align	6, 0x0
	.amdhsa_kernel _ZN9rocsolver6v33100L18getf2_small_kernelILi61E19rocblas_complex_numIdEiiPKPS3_EEvT1_T3_lS7_lPS7_llPT2_S7_S7_S9_l
		.amdhsa_group_segment_fixed_size 0
		.amdhsa_private_segment_fixed_size 992
		.amdhsa_kernarg_size 352
		.amdhsa_user_sgpr_count 14
		.amdhsa_user_sgpr_dispatch_ptr 0
		.amdhsa_user_sgpr_queue_ptr 0
		.amdhsa_user_sgpr_kernarg_segment_ptr 1
		.amdhsa_user_sgpr_dispatch_id 0
		.amdhsa_user_sgpr_private_segment_size 0
		.amdhsa_wavefront_size32 1
		.amdhsa_uses_dynamic_stack 0
		.amdhsa_enable_private_segment 1
		.amdhsa_system_sgpr_workgroup_id_x 1
		.amdhsa_system_sgpr_workgroup_id_y 1
		.amdhsa_system_sgpr_workgroup_id_z 0
		.amdhsa_system_sgpr_workgroup_info 0
		.amdhsa_system_vgpr_workitem_id 1
		.amdhsa_next_free_vgpr 256
		.amdhsa_next_free_sgpr 70
		.amdhsa_reserve_vcc 1
		.amdhsa_float_round_mode_32 0
		.amdhsa_float_round_mode_16_64 0
		.amdhsa_float_denorm_mode_32 3
		.amdhsa_float_denorm_mode_16_64 3
		.amdhsa_dx10_clamp 1
		.amdhsa_ieee_mode 1
		.amdhsa_fp16_overflow 0
		.amdhsa_workgroup_processor_mode 1
		.amdhsa_memory_ordered 1
		.amdhsa_forward_progress 0
		.amdhsa_shared_vgpr_count 0
		.amdhsa_exception_fp_ieee_invalid_op 0
		.amdhsa_exception_fp_denorm_src 0
		.amdhsa_exception_fp_ieee_div_zero 0
		.amdhsa_exception_fp_ieee_overflow 0
		.amdhsa_exception_fp_ieee_underflow 0
		.amdhsa_exception_fp_ieee_inexact 0
		.amdhsa_exception_int_div_zero 0
	.end_amdhsa_kernel
	.section	.text._ZN9rocsolver6v33100L18getf2_small_kernelILi61E19rocblas_complex_numIdEiiPKPS3_EEvT1_T3_lS7_lPS7_llPT2_S7_S7_S9_l,"axG",@progbits,_ZN9rocsolver6v33100L18getf2_small_kernelILi61E19rocblas_complex_numIdEiiPKPS3_EEvT1_T3_lS7_lPS7_llPT2_S7_S7_S9_l,comdat
.Lfunc_end120:
	.size	_ZN9rocsolver6v33100L18getf2_small_kernelILi61E19rocblas_complex_numIdEiiPKPS3_EEvT1_T3_lS7_lPS7_llPT2_S7_S7_S9_l, .Lfunc_end120-_ZN9rocsolver6v33100L18getf2_small_kernelILi61E19rocblas_complex_numIdEiiPKPS3_EEvT1_T3_lS7_lPS7_llPT2_S7_S7_S9_l
                                        ; -- End function
	.section	.AMDGPU.csdata,"",@progbits
; Kernel info:
; codeLenInByte = 133636
; NumSgprs: 72
; NumVgprs: 256
; ScratchSize: 992
; MemoryBound: 0
; FloatMode: 240
; IeeeMode: 1
; LDSByteSize: 0 bytes/workgroup (compile time only)
; SGPRBlocks: 8
; VGPRBlocks: 31
; NumSGPRsForWavesPerEU: 72
; NumVGPRsForWavesPerEU: 256
; Occupancy: 5
; WaveLimiterHint : 1
; COMPUTE_PGM_RSRC2:SCRATCH_EN: 1
; COMPUTE_PGM_RSRC2:USER_SGPR: 14
; COMPUTE_PGM_RSRC2:TRAP_HANDLER: 0
; COMPUTE_PGM_RSRC2:TGID_X_EN: 1
; COMPUTE_PGM_RSRC2:TGID_Y_EN: 1
; COMPUTE_PGM_RSRC2:TGID_Z_EN: 0
; COMPUTE_PGM_RSRC2:TIDIG_COMP_CNT: 1
	.section	.text._ZN9rocsolver6v33100L23getf2_npvt_small_kernelILi61E19rocblas_complex_numIdEiiPKPS3_EEvT1_T3_lS7_lPT2_S7_S7_,"axG",@progbits,_ZN9rocsolver6v33100L23getf2_npvt_small_kernelILi61E19rocblas_complex_numIdEiiPKPS3_EEvT1_T3_lS7_lPT2_S7_S7_,comdat
	.globl	_ZN9rocsolver6v33100L23getf2_npvt_small_kernelILi61E19rocblas_complex_numIdEiiPKPS3_EEvT1_T3_lS7_lPT2_S7_S7_ ; -- Begin function _ZN9rocsolver6v33100L23getf2_npvt_small_kernelILi61E19rocblas_complex_numIdEiiPKPS3_EEvT1_T3_lS7_lPT2_S7_S7_
	.p2align	8
	.type	_ZN9rocsolver6v33100L23getf2_npvt_small_kernelILi61E19rocblas_complex_numIdEiiPKPS3_EEvT1_T3_lS7_lPT2_S7_S7_,@function
_ZN9rocsolver6v33100L23getf2_npvt_small_kernelILi61E19rocblas_complex_numIdEiiPKPS3_EEvT1_T3_lS7_lPT2_S7_S7_: ; @_ZN9rocsolver6v33100L23getf2_npvt_small_kernelILi61E19rocblas_complex_numIdEiiPKPS3_EEvT1_T3_lS7_lPT2_S7_S7_
; %bb.0:
	s_clause 0x1
	s_load_b32 s2, s[0:1], 0x44
	s_load_b64 s[10:11], s[0:1], 0x30
	v_bfe_u32 v120, v0, 10, 10
	s_waitcnt lgkmcnt(0)
	s_lshr_b32 s8, s2, 16
	s_mov_b32 s2, exec_lo
	s_delay_alu instid0(VALU_DEP_1) | instskip(NEXT) | instid1(VALU_DEP_1)
	v_mad_u64_u32 v[1:2], null, s15, s8, v[120:121]
	v_cmpx_gt_i32_e64 s10, v1
	s_cbranch_execz .LBB121_677
; %bb.1:
	s_clause 0x1
	s_load_b128 s[4:7], s[0:1], 0x8
	s_load_b32 s2, s[0:1], 0x18
	v_ashrrev_i32_e32 v2, 31, v1
	v_and_b32_e32 v254, 0x3ff, v0
	s_movk_i32 s9, 0x90
	s_movk_i32 s10, 0xa0
	;; [unrolled: 1-line block ×3, first 2 shown]
	scratch_store_b64 off, v[1:2], off offset:1648 ; 8-byte Folded Spill
	v_lshlrev_b64 v[1:2], 3, v[1:2]
	v_lshlrev_b32_e32 v181, 4, v254
	s_movk_i32 s13, 0xc0
	s_movk_i32 s14, 0xd0
	s_movk_i32 s15, 0xe0
	s_movk_i32 s16, 0xf0
	s_movk_i32 s17, 0x100
	s_movk_i32 s18, 0x110
	s_movk_i32 s19, 0x120
	s_movk_i32 s20, 0x130
	s_movk_i32 s21, 0x140
	s_movk_i32 s22, 0x150
	s_waitcnt lgkmcnt(0)
	v_add_co_u32 v1, vcc_lo, s4, v1
	v_add_co_ci_u32_e32 v2, vcc_lo, s5, v2, vcc_lo
	v_add3_u32 v3, s2, s2, v254
	s_lshl_b64 s[4:5], s[6:7], 4
	s_ashr_i32 s3, s2, 31
	global_load_b64 v[1:2], v[1:2], off
	s_movk_i32 s6, 0x60
	v_add_nc_u32_e32 v5, s2, v3
	v_ashrrev_i32_e32 v4, 31, v3
	s_movk_i32 s7, 0x70
	s_movk_i32 s23, 0x160
	;; [unrolled: 1-line block ×3, first 2 shown]
	v_add_nc_u32_e32 v7, s2, v5
	v_ashrrev_i32_e32 v6, 31, v5
	v_lshlrev_b64 v[3:4], 4, v[3:4]
	s_movk_i32 s25, 0x180
	s_movk_i32 s26, 0x190
	v_add_nc_u32_e32 v9, s2, v7
	v_ashrrev_i32_e32 v8, 31, v7
	v_lshlrev_b64 v[5:6], 4, v[5:6]
	s_movk_i32 s27, 0x1a0
	s_movk_i32 s28, 0x1b0
	;; [unrolled: 5-line block ×18, first 2 shown]
	v_add_nc_u32_e32 v43, s2, v41
	v_ashrrev_i32_e32 v42, 31, v41
	v_lshlrev_b64 v[39:40], 4, v[39:40]
	s_movk_i32 s62, 0x3c0
	s_delay_alu instid0(VALU_DEP_3) | instskip(SKIP_2) | instid1(VALU_DEP_3)
	v_add_nc_u32_e32 v45, s2, v43
	v_ashrrev_i32_e32 v44, 31, v43
	v_lshlrev_b64 v[41:42], 4, v[41:42]
	v_add_nc_u32_e32 v47, s2, v45
	v_ashrrev_i32_e32 v46, 31, v45
	s_delay_alu instid0(VALU_DEP_4) | instskip(NEXT) | instid1(VALU_DEP_3)
	v_lshlrev_b64 v[43:44], 4, v[43:44]
	v_add_nc_u32_e32 v49, s2, v47
	v_ashrrev_i32_e32 v48, 31, v47
	s_delay_alu instid0(VALU_DEP_4) | instskip(NEXT) | instid1(VALU_DEP_3)
	v_lshlrev_b64 v[45:46], 4, v[45:46]
	v_add_nc_u32_e32 v51, s2, v49
	v_ashrrev_i32_e32 v50, 31, v49
	s_delay_alu instid0(VALU_DEP_4) | instskip(NEXT) | instid1(VALU_DEP_3)
	v_lshlrev_b64 v[47:48], 4, v[47:48]
	v_add_nc_u32_e32 v53, s2, v51
	v_ashrrev_i32_e32 v52, 31, v51
	s_delay_alu instid0(VALU_DEP_4) | instskip(NEXT) | instid1(VALU_DEP_3)
	v_lshlrev_b64 v[49:50], 4, v[49:50]
	v_add_nc_u32_e32 v55, s2, v53
	v_ashrrev_i32_e32 v54, 31, v53
	s_delay_alu instid0(VALU_DEP_4) | instskip(NEXT) | instid1(VALU_DEP_3)
	v_lshlrev_b64 v[51:52], 4, v[51:52]
	v_add_nc_u32_e32 v57, s2, v55
	s_delay_alu instid0(VALU_DEP_3) | instskip(SKIP_1) | instid1(VALU_DEP_3)
	v_lshlrev_b64 v[63:64], 4, v[53:54]
	v_ashrrev_i32_e32 v56, 31, v55
	v_add_nc_u32_e32 v59, s2, v57
	v_ashrrev_i32_e32 v58, 31, v57
	s_delay_alu instid0(VALU_DEP_3) | instskip(NEXT) | instid1(VALU_DEP_3)
	v_lshlrev_b64 v[76:77], 4, v[55:56]
	v_ashrrev_i32_e32 v60, 31, v59
	v_add_nc_u32_e32 v61, s2, v59
	s_delay_alu instid0(VALU_DEP_4) | instskip(NEXT) | instid1(VALU_DEP_3)
	v_lshlrev_b64 v[92:93], 4, v[57:58]
	v_lshlrev_b64 v[108:109], 4, v[59:60]
	s_delay_alu instid0(VALU_DEP_3) | instskip(SKIP_1) | instid1(VALU_DEP_2)
	v_ashrrev_i32_e32 v62, 31, v61
	v_add_nc_u32_e32 v121, s2, v61
	v_lshlrev_b64 v[112:113], 4, v[61:62]
	s_delay_alu instid0(VALU_DEP_2) | instskip(SKIP_1) | instid1(VALU_DEP_2)
	v_add_nc_u32_e32 v123, s2, v121
	v_ashrrev_i32_e32 v122, 31, v121
	v_add_nc_u32_e32 v127, s2, v123
	v_ashrrev_i32_e32 v124, 31, v123
	s_delay_alu instid0(VALU_DEP_3) | instskip(NEXT) | instid1(VALU_DEP_3)
	v_lshlrev_b64 v[121:122], 4, v[121:122]
	v_add_nc_u32_e32 v129, s2, v127
	v_ashrrev_i32_e32 v128, 31, v127
	s_delay_alu instid0(VALU_DEP_4) | instskip(NEXT) | instid1(VALU_DEP_3)
	v_lshlrev_b64 v[123:124], 4, v[123:124]
	v_add_nc_u32_e32 v131, s2, v129
	v_ashrrev_i32_e32 v130, 31, v129
	s_delay_alu instid0(VALU_DEP_4) | instskip(NEXT) | instid1(VALU_DEP_3)
	;; [unrolled: 4-line block ×26, first 2 shown]
	v_lshlrev_b64 v[175:176], 4, v[175:176]
	v_ashrrev_i32_e32 v180, 31, v179
	s_delay_alu instid0(VALU_DEP_3) | instskip(NEXT) | instid1(VALU_DEP_2)
	v_lshlrev_b64 v[177:178], 4, v[177:178]
	v_lshlrev_b64 v[179:180], 4, v[179:180]
	s_waitcnt vmcnt(0)
	v_add_co_u32 v125, vcc_lo, v1, s4
	v_add_co_ci_u32_e32 v126, vcc_lo, s5, v2, vcc_lo
	s_lshl_b64 s[4:5], s[2:3], 4
	s_delay_alu instid0(VALU_DEP_2) | instskip(NEXT) | instid1(VALU_DEP_2)
	v_add_co_u32 v0, vcc_lo, v125, v3
	v_add_co_ci_u32_e32 v1, vcc_lo, v126, v4, vcc_lo
	v_add_co_u32 v4, vcc_lo, v125, v5
	v_add_co_ci_u32_e32 v5, vcc_lo, v126, v6, vcc_lo
	;; [unrolled: 2-line block ×22, first 2 shown]
	s_clause 0x2
	scratch_store_b64 off, v[0:1], off offset:1348
	scratch_store_b64 off, v[4:5], off offset:1332
	;; [unrolled: 1-line block ×3, first 2 shown]
	s_clause 0x1
	global_load_b128 v[8:11], v[98:99], off
	global_load_b128 v[12:15], v[100:101], off
	v_add_co_u32 v98, vcc_lo, v125, v47
	v_add_co_ci_u32_e32 v99, vcc_lo, v126, v48, vcc_lo
	scratch_store_b64 off, v[96:97], off offset:1300 ; 8-byte Folded Spill
	s_clause 0x1
	global_load_b128 v[20:23], v[96:97], off
	global_load_b128 v[16:19], v[94:95], off
	scratch_store_b64 off, v[94:95], off offset:1292 ; 8-byte Folded Spill
	v_add_co_u32 v94, vcc_lo, v125, v49
	v_add_co_ci_u32_e32 v95, vcc_lo, v126, v50, vcc_lo
	v_add_co_u32 v96, vcc_lo, v125, v51
	v_add_co_ci_u32_e32 v97, vcc_lo, v126, v52, vcc_lo
	;; [unrolled: 2-line block ×3, first 2 shown]
	s_clause 0x1
	global_load_b128 v[0:3], v[0:1], off
	global_load_b128 v[4:7], v[4:5], off
	v_add_co_u32 v106, vcc_lo, v125, v76
	v_add_co_ci_u32_e32 v107, vcc_lo, v126, v77, vcc_lo
	v_add_co_u32 v110, vcc_lo, v125, v92
	s_clause 0x3
	global_load_b128 v[24:27], v[90:91], off
	global_load_b128 v[28:31], v[88:89], off
	;; [unrolled: 1-line block ×4, first 2 shown]
	v_add_co_ci_u32_e32 v111, vcc_lo, v126, v93, vcc_lo
	s_clause 0x1
	global_load_b128 v[40:43], v[74:75], off
	global_load_b128 v[44:47], v[69:70], off
	v_add_co_u32 v114, vcc_lo, v125, v108
	s_clause 0x3
	scratch_store_b64 off, v[74:75], off offset:1252
	scratch_store_b64 off, v[69:70], off offset:1244
	;; [unrolled: 1-line block ×4, first 2 shown]
	s_clause 0x1
	global_load_b128 v[52:55], v[53:54], off
	global_load_b128 v[48:51], v[58:59], off
	s_clause 0x3
	scratch_store_b64 off, v[80:81], off offset:1196
	scratch_store_b64 off, v[82:83], off offset:1204
	;; [unrolled: 1-line block ×4, first 2 shown]
	s_clause 0x1
	global_load_b128 v[60:63], v[60:61], off
	global_load_b128 v[56:59], v[56:57], off
	v_add_co_ci_u32_e32 v115, vcc_lo, v126, v109, vcc_lo
	s_clause 0x3
	scratch_store_b64 off, v[65:66], off offset:1164
	scratch_store_b64 off, v[72:73], off offset:1172
	;; [unrolled: 1-line block ×4, first 2 shown]
	s_clause 0x3
	global_load_b128 v[76:79], v[78:79], off
	global_load_b128 v[68:71], v[67:68], off
	;; [unrolled: 1-line block ×4, first 2 shown]
	v_add_co_u32 v116, vcc_lo, v125, v112
	s_clause 0x3
	scratch_store_b64 off, v[90:91], off offset:1284
	scratch_store_b64 off, v[88:89], off offset:1276
	;; [unrolled: 1-line block ×4, first 2 shown]
	s_clause 0x1
	global_load_b128 v[84:87], v[80:81], off
	global_load_b128 v[80:83], v[82:83], off
	v_add_co_ci_u32_e32 v117, vcc_lo, v126, v113, vcc_lo
	global_load_b128 v[88:91], v[98:99], off
	s_clause 0x3
	scratch_store_b64 off, v[94:95], off offset:1340
	scratch_store_b64 off, v[96:97], off offset:1356
	;; [unrolled: 1-line block ×4, first 2 shown]
	global_load_b128 v[92:95], v[94:95], off
	s_clause 0x1
	scratch_store_b64 off, v[100:101], off offset:1316
	scratch_store_b64 off, v[98:99], off offset:1308
	global_load_b128 v[100:103], v[96:97], off
	s_clause 0x2
	scratch_store_b64 off, v[110:111], off offset:1380
	scratch_store_b64 off, v[114:115], off offset:1388
	;; [unrolled: 1-line block ×3, first 2 shown]
	s_clause 0x4
	global_load_b128 v[108:111], v[110:111], off
	global_load_b128 v[96:99], v[104:105], off
	;; [unrolled: 1-line block ×5, first 2 shown]
	v_add_co_u32 v121, vcc_lo, v125, v121
	v_add_co_ci_u32_e32 v122, vcc_lo, v126, v122, vcc_lo
	v_add_co_u32 v123, vcc_lo, v125, v123
	v_add_co_ci_u32_e32 v124, vcc_lo, v126, v124, vcc_lo
	;; [unrolled: 2-line block ×30, first 2 shown]
	s_mul_i32 s2, s8, 0x3d0
	v_cmp_ne_u32_e64 s3, 0, v254
	s_movk_i32 s8, 0x80
	s_waitcnt vmcnt(25)
	s_clause 0x1
	scratch_store_b128 off, v[0:3], off offset:32
	scratch_store_b64 off, v[121:122], off offset:1404
	global_load_b128 v[0:3], v[121:122], off
	scratch_store_b64 off, v[123:124], off offset:1412 ; 8-byte Folded Spill
	global_load_b128 v[121:124], v[123:124], off
	s_waitcnt vmcnt(26)
	s_clause 0x2
	scratch_store_b128 off, v[4:7], off offset:48
	scratch_store_b128 off, v[8:11], off offset:64
	scratch_store_b64 off, v[127:128], off offset:1420
	s_clause 0x1
	global_load_b128 v[4:7], v[127:128], off
	global_load_b128 v[8:11], v[129:130], off
	s_clause 0x3
	scratch_store_b64 off, v[129:130], off offset:1428
	scratch_store_b128 off, v[12:15], off offset:80
	scratch_store_b128 off, v[20:23], off offset:96
	scratch_store_b64 off, v[131:132], off offset:1436
	s_clause 0x1
	global_load_b128 v[12:15], v[131:132], off
	global_load_b128 v[20:23], v[133:134], off
	s_clause 0x1
	scratch_store_b64 off, v[133:134], off offset:1444
	scratch_store_b128 off, v[16:19], off offset:112
	s_waitcnt vmcnt(29)
	s_clause 0x1
	scratch_store_b128 off, v[24:27], off offset:128
	scratch_store_b64 off, v[135:136], off offset:1452
	s_clause 0x1
	global_load_b128 v[16:19], v[135:136], off
	global_load_b128 v[24:27], v[137:138], off
	scratch_store_b64 off, v[137:138], off offset:1460 ; 8-byte Folded Spill
	s_waitcnt vmcnt(30)
	scratch_store_b128 off, v[28:31], off offset:144
	s_waitcnt vmcnt(29)
	s_clause 0x1
	scratch_store_b128 off, v[36:39], off offset:160
	scratch_store_b64 off, v[139:140], off offset:1468
	s_clause 0x1
	global_load_b128 v[28:31], v[139:140], off
	global_load_b128 v[36:39], v[141:142], off
	scratch_store_b64 off, v[141:142], off offset:1476 ; 8-byte Folded Spill
	s_waitcnt vmcnt(30)
	;; [unrolled: 10-line block ×4, first 2 shown]
	scratch_store_b128 off, v[48:51], off offset:240
	s_waitcnt vmcnt(28)
	s_clause 0x1
	scratch_store_b128 off, v[56:59], off offset:256
	scratch_store_b64 off, v[151:152], off offset:1516
	s_clause 0x1
	global_load_b128 v[48:51], v[151:152], off
	global_load_b128 v[56:59], v[153:154], off
	s_clause 0x1
	scratch_store_b64 off, v[153:154], off offset:1524
	scratch_store_b128 off, v[60:63], off offset:272
	s_waitcnt vmcnt(28)
	s_clause 0x1
	scratch_store_b128 off, v[68:71], off offset:288
	scratch_store_b64 off, v[155:156], off offset:1532
	s_clause 0x1
	global_load_b128 v[60:63], v[155:156], off
	global_load_b128 v[68:71], v[157:158], off
	scratch_store_b64 off, v[157:158], off offset:1540 ; 8-byte Folded Spill
	s_waitcnt vmcnt(29)
	scratch_store_b128 off, v[64:67], off offset:304
	s_waitcnt vmcnt(28)
	s_clause 0x1
	scratch_store_b128 off, v[72:75], off offset:320
	scratch_store_b64 off, v[159:160], off offset:1548
	s_clause 0x1
	global_load_b128 v[64:67], v[159:160], off
	global_load_b128 v[72:75], v[161:162], off
	s_clause 0x1
	scratch_store_b64 off, v[161:162], off offset:1556
	scratch_store_b128 off, v[76:79], off offset:336
	s_waitcnt vmcnt(29)
	s_clause 0x1
	scratch_store_b128 off, v[84:87], off offset:352
	scratch_store_b64 off, v[163:164], off offset:1564
	v_add_co_u32 v127, vcc_lo, v125, s4
	s_clause 0x1
	global_load_b128 v[76:79], v[163:164], off
	global_load_b128 v[84:87], v[165:166], off
	scratch_store_b64 off, v[165:166], off offset:1572 ; 8-byte Folded Spill
	s_waitcnt vmcnt(30)
	scratch_store_b128 off, v[80:83], off offset:368
	s_waitcnt vmcnt(29)
	s_clause 0x1
	scratch_store_b128 off, v[88:91], off offset:384
	scratch_store_b64 off, v[167:168], off offset:1580
	s_clause 0x1
	global_load_b128 v[80:83], v[167:168], off
	global_load_b128 v[88:91], v[169:170], off
	scratch_store_b64 off, v[169:170], off offset:1588 ; 8-byte Folded Spill
	s_waitcnt vmcnt(30)
	scratch_store_b128 off, v[92:95], off offset:400
	s_waitcnt vmcnt(29)
	s_clause 0x1
	scratch_store_b128 off, v[100:103], off offset:416
	scratch_store_b64 off, v[171:172], off offset:1596
	v_add_co_ci_u32_e32 v128, vcc_lo, s5, v126, vcc_lo
	s_clause 0x1
	global_load_b128 v[92:95], v[171:172], off
	global_load_b128 v[100:103], v[173:174], off
	scratch_store_b64 off, v[173:174], off offset:1604 ; 8-byte Folded Spill
	s_waitcnt vmcnt(29)
	scratch_store_b128 off, v[96:99], off offset:432
	s_waitcnt vmcnt(27)
	s_clause 0x1
	scratch_store_b128 off, v[104:107], off offset:448
	scratch_store_b64 off, v[175:176], off offset:1612
	s_clause 0x1
	global_load_b128 v[96:99], v[175:176], off
	global_load_b128 v[104:107], v[177:178], off
	s_clause 0x2
	scratch_store_b64 off, v[177:178], off offset:1620
	scratch_store_b128 off, v[108:111], off offset:464
	scratch_store_b64 off, v[179:180], off offset:1628
	global_load_b128 v[108:111], v[179:180], off
	scratch_store_b128 off, v[112:115], off offset:480
	s_waitcnt vmcnt(29)
	s_clause 0x1
	scratch_store_b128 off, v[116:119], off offset:496
	scratch_store_b64 off, v[125:126], off offset:1084
	s_clause 0x1
	global_load_b128 v[112:115], v[125:126], off
	global_load_b128 v[116:119], v[127:128], off
	v_mul_u32_u24_e32 v176, 0x3d0, v120
	v_lshlrev_b32_e32 v120, 4, v120
	scratch_store_b64 off, v[127:128], off offset:1636 ; 8-byte Folded Spill
	s_movk_i32 s5, 0x50
	s_waitcnt vmcnt(30)
	scratch_store_b128 off, v[0:3], off offset:512
	s_waitcnt vmcnt(29)
	scratch_store_b128 off, v[121:124], off offset:528
	;; [unrolled: 2-line block ×29, first 2 shown]
	v_add3_u32 v251, 0, s2, v120
	v_cmp_eq_u32_e64 s2, 0, v254
	v_mov_b32_e32 v0, 0
	v_add3_u32 v10, v176, 0, 16
	s_waitcnt vmcnt(1)
	scratch_store_b128 off, v[112:115], off
	s_waitcnt vmcnt(0)
	scratch_store_b128 off, v[116:119], off offset:16
	s_and_saveexec_b32 s63, s2
	s_cbranch_execz .LBB121_10
; %bb.2:
	scratch_load_b64 v[1:2], off, off offset:1084 ; 8-byte Folded Reload
	s_movk_i32 s4, 0xfc40
	s_waitcnt vmcnt(0)
	global_load_b128 v[1:4], v[1:2], off
	s_waitcnt vmcnt(0)
	ds_store_2addr_b64 v251, v[1:2], v[3:4] offset1:1
.LBB121_3:                              ; =>This Inner Loop Header: Depth=1
	v_readfirstlane_b32 s64, v0
	v_add_nc_u32_e32 v9, s4, v10
	s_delay_alu instid0(VALU_DEP_2)
	s_add_i32 s64, s64, s4
	s_addk_i32 s4, 0xf0
	s_add_i32 s65, s64, 0x3d0
	s_add_i32 s66, s64, 0x3e0
	;; [unrolled: 1-line block ×14, first 2 shown]
	s_addk_i32 s64, 0x4b0
	s_clause 0xe
	scratch_load_b128 v[1:4], off, s65
	scratch_load_b128 v[5:8], off, s66
	;; [unrolled: 1-line block ×15, first 2 shown]
	s_cmp_eq_u32 s4, 0
	s_waitcnt vmcnt(14)
	ds_store_2addr_b64 v9, v[1:2], v[3:4] offset0:120 offset1:121
	s_waitcnt vmcnt(13)
	ds_store_2addr_b64 v9, v[5:6], v[7:8] offset0:122 offset1:123
	;; [unrolled: 2-line block ×15, first 2 shown]
	s_cbranch_scc0 .LBB121_3
; %bb.4:
	ds_load_2addr_b64 v[0:3], v251 offset1:1
	s_waitcnt lgkmcnt(0)
	v_cmp_neq_f64_e32 vcc_lo, 0, v[0:1]
	v_cmp_neq_f64_e64 s4, 0, v[2:3]
	s_delay_alu instid0(VALU_DEP_1) | instskip(NEXT) | instid1(SALU_CYCLE_1)
	s_or_b32 s4, vcc_lo, s4
	s_and_b32 exec_lo, exec_lo, s4
	s_cbranch_execz .LBB121_10
; %bb.5:
	v_cmp_gt_f64_e32 vcc_lo, 0, v[0:1]
	v_cmp_gt_f64_e64 s4, 0, v[2:3]
	v_xor_b32_e32 v4, 0x80000000, v1
	v_xor_b32_e32 v6, 0x80000000, v3
                                        ; implicit-def: $vgpr8_vgpr9
	s_delay_alu instid0(VALU_DEP_2) | instskip(NEXT) | instid1(VALU_DEP_2)
	v_cndmask_b32_e32 v5, v1, v4, vcc_lo
	v_cndmask_b32_e64 v7, v3, v6, s4
	v_cndmask_b32_e32 v4, v0, v0, vcc_lo
	v_cndmask_b32_e64 v6, v2, v2, s4
	s_mov_b32 s4, exec_lo
	s_delay_alu instid0(VALU_DEP_1)
	v_cmpx_ngt_f64_e32 v[4:5], v[6:7]
	s_xor_b32 s4, exec_lo, s4
                                        ; implicit-def: $vgpr4_vgpr5_vgpr6_vgpr7
	s_cbranch_execz .LBB121_7
; %bb.6:
	v_div_scale_f64 v[4:5], null, v[2:3], v[2:3], v[0:1]
	v_div_scale_f64 v[11:12], vcc_lo, v[0:1], v[2:3], v[0:1]
	s_delay_alu instid0(VALU_DEP_2) | instskip(SKIP_2) | instid1(VALU_DEP_1)
	v_rcp_f64_e32 v[6:7], v[4:5]
	s_waitcnt_depctr 0xfff
	v_fma_f64 v[8:9], -v[4:5], v[6:7], 1.0
	v_fma_f64 v[6:7], v[6:7], v[8:9], v[6:7]
	s_delay_alu instid0(VALU_DEP_1) | instskip(NEXT) | instid1(VALU_DEP_1)
	v_fma_f64 v[8:9], -v[4:5], v[6:7], 1.0
	v_fma_f64 v[6:7], v[6:7], v[8:9], v[6:7]
	s_delay_alu instid0(VALU_DEP_1) | instskip(NEXT) | instid1(VALU_DEP_1)
	v_mul_f64 v[8:9], v[11:12], v[6:7]
	v_fma_f64 v[4:5], -v[4:5], v[8:9], v[11:12]
	s_delay_alu instid0(VALU_DEP_1) | instskip(NEXT) | instid1(VALU_DEP_1)
	v_div_fmas_f64 v[4:5], v[4:5], v[6:7], v[8:9]
	v_div_fixup_f64 v[4:5], v[4:5], v[2:3], v[0:1]
	s_delay_alu instid0(VALU_DEP_1) | instskip(NEXT) | instid1(VALU_DEP_1)
	v_fma_f64 v[0:1], v[0:1], v[4:5], v[2:3]
	v_div_scale_f64 v[2:3], null, v[0:1], v[0:1], 1.0
	s_delay_alu instid0(VALU_DEP_1) | instskip(SKIP_2) | instid1(VALU_DEP_1)
	v_rcp_f64_e32 v[6:7], v[2:3]
	s_waitcnt_depctr 0xfff
	v_fma_f64 v[8:9], -v[2:3], v[6:7], 1.0
	v_fma_f64 v[6:7], v[6:7], v[8:9], v[6:7]
	s_delay_alu instid0(VALU_DEP_1) | instskip(NEXT) | instid1(VALU_DEP_1)
	v_fma_f64 v[8:9], -v[2:3], v[6:7], 1.0
	v_fma_f64 v[6:7], v[6:7], v[8:9], v[6:7]
	v_div_scale_f64 v[8:9], vcc_lo, 1.0, v[0:1], 1.0
	s_delay_alu instid0(VALU_DEP_1) | instskip(NEXT) | instid1(VALU_DEP_1)
	v_mul_f64 v[11:12], v[8:9], v[6:7]
	v_fma_f64 v[2:3], -v[2:3], v[11:12], v[8:9]
	s_delay_alu instid0(VALU_DEP_1) | instskip(NEXT) | instid1(VALU_DEP_1)
	v_div_fmas_f64 v[2:3], v[2:3], v[6:7], v[11:12]
	v_div_fixup_f64 v[6:7], v[2:3], v[0:1], 1.0
                                        ; implicit-def: $vgpr0_vgpr1
	s_delay_alu instid0(VALU_DEP_1)
	v_mul_f64 v[8:9], v[4:5], v[6:7]
	v_xor_b32_e32 v7, 0x80000000, v7
.LBB121_7:
	s_and_not1_saveexec_b32 s4, s4
	s_cbranch_execz .LBB121_9
; %bb.8:
	v_div_scale_f64 v[4:5], null, v[0:1], v[0:1], v[2:3]
	v_div_scale_f64 v[11:12], vcc_lo, v[2:3], v[0:1], v[2:3]
	s_delay_alu instid0(VALU_DEP_2) | instskip(SKIP_2) | instid1(VALU_DEP_1)
	v_rcp_f64_e32 v[6:7], v[4:5]
	s_waitcnt_depctr 0xfff
	v_fma_f64 v[8:9], -v[4:5], v[6:7], 1.0
	v_fma_f64 v[6:7], v[6:7], v[8:9], v[6:7]
	s_delay_alu instid0(VALU_DEP_1) | instskip(NEXT) | instid1(VALU_DEP_1)
	v_fma_f64 v[8:9], -v[4:5], v[6:7], 1.0
	v_fma_f64 v[6:7], v[6:7], v[8:9], v[6:7]
	s_delay_alu instid0(VALU_DEP_1) | instskip(NEXT) | instid1(VALU_DEP_1)
	v_mul_f64 v[8:9], v[11:12], v[6:7]
	v_fma_f64 v[4:5], -v[4:5], v[8:9], v[11:12]
	s_delay_alu instid0(VALU_DEP_1) | instskip(NEXT) | instid1(VALU_DEP_1)
	v_div_fmas_f64 v[4:5], v[4:5], v[6:7], v[8:9]
	v_div_fixup_f64 v[4:5], v[4:5], v[0:1], v[2:3]
	s_delay_alu instid0(VALU_DEP_1) | instskip(NEXT) | instid1(VALU_DEP_1)
	v_fma_f64 v[0:1], v[2:3], v[4:5], v[0:1]
	v_div_scale_f64 v[2:3], null, v[0:1], v[0:1], 1.0
	s_delay_alu instid0(VALU_DEP_1) | instskip(SKIP_2) | instid1(VALU_DEP_1)
	v_rcp_f64_e32 v[6:7], v[2:3]
	s_waitcnt_depctr 0xfff
	v_fma_f64 v[8:9], -v[2:3], v[6:7], 1.0
	v_fma_f64 v[6:7], v[6:7], v[8:9], v[6:7]
	s_delay_alu instid0(VALU_DEP_1) | instskip(NEXT) | instid1(VALU_DEP_1)
	v_fma_f64 v[8:9], -v[2:3], v[6:7], 1.0
	v_fma_f64 v[6:7], v[6:7], v[8:9], v[6:7]
	v_div_scale_f64 v[8:9], vcc_lo, 1.0, v[0:1], 1.0
	s_delay_alu instid0(VALU_DEP_1) | instskip(NEXT) | instid1(VALU_DEP_1)
	v_mul_f64 v[11:12], v[8:9], v[6:7]
	v_fma_f64 v[2:3], -v[2:3], v[11:12], v[8:9]
	s_delay_alu instid0(VALU_DEP_1) | instskip(NEXT) | instid1(VALU_DEP_1)
	v_div_fmas_f64 v[2:3], v[2:3], v[6:7], v[11:12]
	v_div_fixup_f64 v[8:9], v[2:3], v[0:1], 1.0
	s_delay_alu instid0(VALU_DEP_1)
	v_mul_f64 v[6:7], v[4:5], -v[8:9]
.LBB121_9:
	s_or_b32 exec_lo, exec_lo, s4
	ds_store_2addr_b64 v251, v[8:9], v[6:7] offset1:1
.LBB121_10:
	s_or_b32 exec_lo, exec_lo, s63
	v_add_nc_u32_e64 v0, s7, 0
	v_add_nc_u32_e64 v67, 0, 16
	v_add_nc_u32_e64 v59, 0, 32
	v_add_nc_u32_e64 v58, 0, 48
	v_add_nc_u32_e64 v57, 0, 64
	scratch_store_b32 off, v0, off offset:1160 ; 4-byte Folded Spill
	v_add_nc_u32_e64 v0, s8, 0
	v_add_nc_u32_e64 v66, s5, 0
	v_add_nc_u32_e64 v65, s6, 0
	v_add_nc_u32_e64 v245, s54, 0
	v_add_nc_u32_e64 v250, s55, 0
	scratch_store_b32 off, v0, off offset:1156 ; 4-byte Folded Spill
	;; [unrolled: 6-line block ×3, first 2 shown]
	v_add_nc_u32_e64 v0, s10, 0
	v_add_nc_u32_e64 v255, s60, 0
	;; [unrolled: 1-line block ×4, first 2 shown]
	scratch_store_b32 off, v0, off offset:1148 ; 4-byte Folded Spill
	v_add_nc_u32_e64 v0, s12, 0
	scratch_store_b32 off, v0, off offset:1144 ; 4-byte Folded Spill
	v_add_nc_u32_e64 v0, s13, 0
	;; [unrolled: 2-line block ×41, first 2 shown]
	scratch_store_b32 off, v0, off offset:976 ; 4-byte Folded Spill
	s_waitcnt lgkmcnt(0)
	s_waitcnt_vscnt null, 0x0
	s_barrier
	buffer_gl0_inv
	ds_load_2addr_b64 v[68:71], v251 offset1:1
	s_and_saveexec_b32 s4, s3
	s_cbranch_execz .LBB121_13
; %bb.11:
	scratch_load_b128 v[6:9], off, off
	s_mov_b32 s3, 0
	s_waitcnt vmcnt(0) lgkmcnt(0)
	v_mul_f64 v[0:1], v[70:71], v[8:9]
	v_mul_f64 v[8:9], v[68:69], v[8:9]
	s_delay_alu instid0(VALU_DEP_2) | instskip(NEXT) | instid1(VALU_DEP_2)
	v_fma_f64 v[4:5], v[68:69], v[6:7], -v[0:1]
	v_fma_f64 v[6:7], v[70:71], v[6:7], v[8:9]
	v_mov_b32_e32 v0, 0
	scratch_store_b128 off, v[4:7], off
.LBB121_12:                             ; =>This Inner Loop Header: Depth=1
	v_add_nc_u32_e32 v1, s3, v10
	v_readfirstlane_b32 s5, v0
	ds_load_2addr_b64 v[11:14], v1 offset1:1
	ds_load_2addr_b64 v[15:18], v1 offset0:2 offset1:3
	ds_load_2addr_b64 v[19:22], v1 offset0:4 offset1:5
	;; [unrolled: 1-line block ×5, first 2 shown]
	s_add_i32 s5, s5, s3
	s_addk_i32 s3, 0x60
	s_add_i32 s6, s5, 16
	s_add_i32 s7, s5, 32
	;; [unrolled: 1-line block ×5, first 2 shown]
	s_addk_i32 s5, 0x60
	s_cmpk_lg_i32 s3, 0x3c0
	s_waitcnt lgkmcnt(4)
	v_mul_f64 v[37:38], v[17:18], v[6:7]
	v_mul_f64 v[8:9], v[13:14], v[6:7]
	v_mul_f64 v[35:36], v[11:12], v[6:7]
	s_delay_alu instid0(VALU_DEP_3) | instskip(NEXT) | instid1(VALU_DEP_3)
	v_fma_f64 v[37:38], v[15:16], v[4:5], -v[37:38]
	v_fma_f64 v[8:9], v[11:12], v[4:5], -v[8:9]
	v_mul_f64 v[11:12], v[15:16], v[6:7]
	s_delay_alu instid0(VALU_DEP_4) | instskip(SKIP_4) | instid1(VALU_DEP_4)
	v_fma_f64 v[35:36], v[13:14], v[4:5], v[35:36]
	s_waitcnt lgkmcnt(3)
	v_mul_f64 v[13:14], v[21:22], v[6:7]
	s_waitcnt lgkmcnt(2)
	v_mul_f64 v[15:16], v[25:26], v[6:7]
	v_fma_f64 v[39:40], v[17:18], v[4:5], v[11:12]
	v_mul_f64 v[11:12], v[19:20], v[6:7]
	s_delay_alu instid0(VALU_DEP_4)
	v_fma_f64 v[41:42], v[19:20], v[4:5], -v[13:14]
	s_waitcnt lgkmcnt(1)
	v_mul_f64 v[13:14], v[29:30], v[6:7]
	v_fma_f64 v[45:46], v[23:24], v[4:5], -v[15:16]
	s_waitcnt lgkmcnt(0)
	v_mul_f64 v[15:16], v[33:34], v[6:7]
	v_fma_f64 v[43:44], v[21:22], v[4:5], v[11:12]
	v_mul_f64 v[11:12], v[23:24], v[6:7]
	v_fma_f64 v[49:50], v[27:28], v[4:5], -v[13:14]
	scratch_load_b128 v[19:22], off, s8
	v_fma_f64 v[53:54], v[31:32], v[4:5], -v[15:16]
	scratch_load_b128 v[15:18], off, s7
	v_fma_f64 v[47:48], v[25:26], v[4:5], v[11:12]
	v_mul_f64 v[11:12], v[27:28], v[6:7]
	scratch_load_b128 v[23:26], off, s9
	v_fma_f64 v[51:52], v[29:30], v[4:5], v[11:12]
	scratch_load_b128 v[27:30], off, s10
	v_mul_f64 v[11:12], v[31:32], v[6:7]
	s_delay_alu instid0(VALU_DEP_1)
	v_fma_f64 v[55:56], v[33:34], v[4:5], v[11:12]
	s_clause 0x1
	scratch_load_b128 v[11:14], off, s6
	scratch_load_b128 v[31:34], off, s5
	s_waitcnt vmcnt(5)
	v_add_f64 v[19:20], v[19:20], -v[41:42]
	v_add_f64 v[21:22], v[21:22], -v[43:44]
	s_waitcnt vmcnt(4)
	v_add_f64 v[15:16], v[15:16], -v[37:38]
	v_add_f64 v[17:18], v[17:18], -v[39:40]
	;; [unrolled: 3-line block ×6, first 2 shown]
	s_clause 0x5
	scratch_store_b128 off, v[11:14], s6
	scratch_store_b128 off, v[15:18], s7
	;; [unrolled: 1-line block ×6, first 2 shown]
	s_cbranch_scc1 .LBB121_12
.LBB121_13:
	s_or_b32 exec_lo, exec_lo, s4
	v_add3_u32 v12, v176, 0, 32
	s_mov_b32 s4, exec_lo
	s_waitcnt lgkmcnt(0)
	s_waitcnt_vscnt null, 0x0
	s_barrier
	buffer_gl0_inv
	v_cmpx_eq_u32_e32 1, v254
	s_cbranch_execz .LBB121_24
; %bb.14:
	scratch_load_b128 v[4:7], v67, off
	v_mov_b32_e32 v0, 0
	s_movk_i32 s3, 0xfc80
	s_waitcnt vmcnt(0)
	ds_store_2addr_b64 v251, v[4:5], v[6:7] offset1:1
	s_branch .LBB121_16
.LBB121_15:                             ;   in Loop: Header=BB121_16 Depth=1
	s_add_i32 s6, s5, 0x3d0
	s_add_i32 s7, s5, 0x3e0
	s_clause 0x1
	scratch_load_b128 v[4:7], off, s6
	scratch_load_b128 v[8:11], off, s7
	s_add_i32 s6, s5, 0x3f0
	s_add_i32 s7, s5, 0x400
	s_addk_i32 s5, 0x410
	s_clause 0x2
	scratch_load_b128 v[13:16], off, s6
	scratch_load_b128 v[17:20], off, s7
	;; [unrolled: 1-line block ×3, first 2 shown]
	s_addk_i32 s3, 0x80
	s_waitcnt vmcnt(4)
	ds_store_2addr_b64 v1, v[4:5], v[6:7] offset0:118 offset1:119
	s_waitcnt vmcnt(3)
	ds_store_2addr_b64 v1, v[8:9], v[10:11] offset0:120 offset1:121
	;; [unrolled: 2-line block ×5, first 2 shown]
	s_cbranch_execz .LBB121_18
.LBB121_16:                             ; =>This Inner Loop Header: Depth=1
	v_readfirstlane_b32 s5, v0
	v_add_nc_u32_e32 v1, s3, v12
	s_delay_alu instid0(VALU_DEP_2) | instskip(NEXT) | instid1(SALU_CYCLE_1)
	s_add_i32 s5, s5, s3
	s_add_i32 s6, s5, 0x3a0
	;; [unrolled: 1-line block ×4, first 2 shown]
	s_clause 0x2
	scratch_load_b128 v[4:7], off, s6
	scratch_load_b128 v[8:11], off, s7
	;; [unrolled: 1-line block ×3, first 2 shown]
	s_cmp_eq_u32 s3, 0
	s_waitcnt vmcnt(2)
	ds_store_2addr_b64 v1, v[4:5], v[6:7] offset0:112 offset1:113
	s_waitcnt vmcnt(1)
	ds_store_2addr_b64 v1, v[8:9], v[10:11] offset0:114 offset1:115
	;; [unrolled: 2-line block ×3, first 2 shown]
	s_cbranch_scc0 .LBB121_15
; %bb.17:
                                        ; implicit-def: $sgpr3
.LBB121_18:
	ds_load_2addr_b64 v[4:7], v251 offset1:1
	s_waitcnt lgkmcnt(0)
	v_cmp_neq_f64_e32 vcc_lo, 0, v[4:5]
	v_cmp_neq_f64_e64 s3, 0, v[6:7]
	s_delay_alu instid0(VALU_DEP_1) | instskip(NEXT) | instid1(SALU_CYCLE_1)
	s_or_b32 s3, vcc_lo, s3
	s_and_b32 exec_lo, exec_lo, s3
	s_cbranch_execz .LBB121_24
; %bb.19:
	v_cmp_gt_f64_e32 vcc_lo, 0, v[4:5]
	v_cmp_gt_f64_e64 s3, 0, v[6:7]
	v_xor_b32_e32 v0, 0x80000000, v5
	v_xor_b32_e32 v8, 0x80000000, v7
	s_delay_alu instid0(VALU_DEP_2) | instskip(NEXT) | instid1(VALU_DEP_2)
	v_cndmask_b32_e32 v1, v5, v0, vcc_lo
	v_cndmask_b32_e64 v9, v7, v8, s3
	v_cndmask_b32_e32 v0, v4, v4, vcc_lo
	v_cndmask_b32_e64 v8, v6, v6, s3
	s_delay_alu instid0(VALU_DEP_1) | instskip(SKIP_1) | instid1(SALU_CYCLE_1)
	v_cmp_ngt_f64_e32 vcc_lo, v[0:1], v[8:9]
                                        ; implicit-def: $vgpr0_vgpr1
	s_and_saveexec_b32 s3, vcc_lo
	s_xor_b32 s3, exec_lo, s3
                                        ; implicit-def: $vgpr8_vgpr9_vgpr10_vgpr11
	s_cbranch_execz .LBB121_21
; %bb.20:
	v_div_scale_f64 v[0:1], null, v[6:7], v[6:7], v[4:5]
	v_div_scale_f64 v[13:14], vcc_lo, v[4:5], v[6:7], v[4:5]
	s_delay_alu instid0(VALU_DEP_2) | instskip(SKIP_2) | instid1(VALU_DEP_1)
	v_rcp_f64_e32 v[8:9], v[0:1]
	s_waitcnt_depctr 0xfff
	v_fma_f64 v[10:11], -v[0:1], v[8:9], 1.0
	v_fma_f64 v[8:9], v[8:9], v[10:11], v[8:9]
	s_delay_alu instid0(VALU_DEP_1) | instskip(NEXT) | instid1(VALU_DEP_1)
	v_fma_f64 v[10:11], -v[0:1], v[8:9], 1.0
	v_fma_f64 v[8:9], v[8:9], v[10:11], v[8:9]
	s_delay_alu instid0(VALU_DEP_1) | instskip(NEXT) | instid1(VALU_DEP_1)
	v_mul_f64 v[10:11], v[13:14], v[8:9]
	v_fma_f64 v[0:1], -v[0:1], v[10:11], v[13:14]
	s_delay_alu instid0(VALU_DEP_1) | instskip(NEXT) | instid1(VALU_DEP_1)
	v_div_fmas_f64 v[0:1], v[0:1], v[8:9], v[10:11]
	v_div_fixup_f64 v[0:1], v[0:1], v[6:7], v[4:5]
	s_delay_alu instid0(VALU_DEP_1) | instskip(NEXT) | instid1(VALU_DEP_1)
	v_fma_f64 v[4:5], v[4:5], v[0:1], v[6:7]
	v_div_scale_f64 v[6:7], null, v[4:5], v[4:5], 1.0
	s_delay_alu instid0(VALU_DEP_1) | instskip(SKIP_2) | instid1(VALU_DEP_1)
	v_rcp_f64_e32 v[8:9], v[6:7]
	s_waitcnt_depctr 0xfff
	v_fma_f64 v[10:11], -v[6:7], v[8:9], 1.0
	v_fma_f64 v[8:9], v[8:9], v[10:11], v[8:9]
	s_delay_alu instid0(VALU_DEP_1) | instskip(NEXT) | instid1(VALU_DEP_1)
	v_fma_f64 v[10:11], -v[6:7], v[8:9], 1.0
	v_fma_f64 v[8:9], v[8:9], v[10:11], v[8:9]
	v_div_scale_f64 v[10:11], vcc_lo, 1.0, v[4:5], 1.0
	s_delay_alu instid0(VALU_DEP_1) | instskip(NEXT) | instid1(VALU_DEP_1)
	v_mul_f64 v[13:14], v[10:11], v[8:9]
	v_fma_f64 v[6:7], -v[6:7], v[13:14], v[10:11]
	s_delay_alu instid0(VALU_DEP_1) | instskip(NEXT) | instid1(VALU_DEP_1)
	v_div_fmas_f64 v[6:7], v[6:7], v[8:9], v[13:14]
	v_div_fixup_f64 v[10:11], v[6:7], v[4:5], 1.0
                                        ; implicit-def: $vgpr4_vgpr5
	s_delay_alu instid0(VALU_DEP_1)
	v_mul_f64 v[0:1], v[0:1], v[10:11]
	v_xor_b32_e32 v11, 0x80000000, v11
.LBB121_21:
	s_and_not1_saveexec_b32 s3, s3
	s_cbranch_execz .LBB121_23
; %bb.22:
	v_div_scale_f64 v[0:1], null, v[4:5], v[4:5], v[6:7]
	v_div_scale_f64 v[13:14], vcc_lo, v[6:7], v[4:5], v[6:7]
	s_delay_alu instid0(VALU_DEP_2) | instskip(SKIP_2) | instid1(VALU_DEP_1)
	v_rcp_f64_e32 v[8:9], v[0:1]
	s_waitcnt_depctr 0xfff
	v_fma_f64 v[10:11], -v[0:1], v[8:9], 1.0
	v_fma_f64 v[8:9], v[8:9], v[10:11], v[8:9]
	s_delay_alu instid0(VALU_DEP_1) | instskip(NEXT) | instid1(VALU_DEP_1)
	v_fma_f64 v[10:11], -v[0:1], v[8:9], 1.0
	v_fma_f64 v[8:9], v[8:9], v[10:11], v[8:9]
	s_delay_alu instid0(VALU_DEP_1) | instskip(NEXT) | instid1(VALU_DEP_1)
	v_mul_f64 v[10:11], v[13:14], v[8:9]
	v_fma_f64 v[0:1], -v[0:1], v[10:11], v[13:14]
	s_delay_alu instid0(VALU_DEP_1) | instskip(NEXT) | instid1(VALU_DEP_1)
	v_div_fmas_f64 v[0:1], v[0:1], v[8:9], v[10:11]
	v_div_fixup_f64 v[8:9], v[0:1], v[4:5], v[6:7]
	s_delay_alu instid0(VALU_DEP_1) | instskip(NEXT) | instid1(VALU_DEP_1)
	v_fma_f64 v[0:1], v[6:7], v[8:9], v[4:5]
	v_div_scale_f64 v[4:5], null, v[0:1], v[0:1], 1.0
	s_delay_alu instid0(VALU_DEP_1) | instskip(SKIP_2) | instid1(VALU_DEP_1)
	v_rcp_f64_e32 v[6:7], v[4:5]
	s_waitcnt_depctr 0xfff
	v_fma_f64 v[10:11], -v[4:5], v[6:7], 1.0
	v_fma_f64 v[6:7], v[6:7], v[10:11], v[6:7]
	s_delay_alu instid0(VALU_DEP_1) | instskip(NEXT) | instid1(VALU_DEP_1)
	v_fma_f64 v[10:11], -v[4:5], v[6:7], 1.0
	v_fma_f64 v[6:7], v[6:7], v[10:11], v[6:7]
	v_div_scale_f64 v[10:11], vcc_lo, 1.0, v[0:1], 1.0
	s_delay_alu instid0(VALU_DEP_1) | instskip(NEXT) | instid1(VALU_DEP_1)
	v_mul_f64 v[13:14], v[10:11], v[6:7]
	v_fma_f64 v[4:5], -v[4:5], v[13:14], v[10:11]
	s_delay_alu instid0(VALU_DEP_1) | instskip(NEXT) | instid1(VALU_DEP_1)
	v_div_fmas_f64 v[4:5], v[4:5], v[6:7], v[13:14]
	v_div_fixup_f64 v[0:1], v[4:5], v[0:1], 1.0
	s_delay_alu instid0(VALU_DEP_1)
	v_mul_f64 v[10:11], v[8:9], -v[0:1]
.LBB121_23:
	s_or_b32 exec_lo, exec_lo, s3
	ds_store_2addr_b64 v251, v[0:1], v[10:11] offset1:1
.LBB121_24:
	s_or_b32 exec_lo, exec_lo, s4
	s_waitcnt lgkmcnt(0)
	s_barrier
	buffer_gl0_inv
	ds_load_2addr_b64 v[45:48], v251 offset1:1
	s_mov_b32 s3, exec_lo
	v_cmpx_lt_u32_e32 1, v254
	s_cbranch_execz .LBB121_29
; %bb.25:
	scratch_load_b128 v[13:16], off, off offset:16
	s_mov_b32 s4, 0
	s_waitcnt vmcnt(0) lgkmcnt(0)
	v_mul_f64 v[0:1], v[47:48], v[15:16]
	v_mul_f64 v[4:5], v[45:46], v[15:16]
	s_delay_alu instid0(VALU_DEP_2) | instskip(NEXT) | instid1(VALU_DEP_2)
	v_fma_f64 v[8:9], v[45:46], v[13:14], -v[0:1]
	v_fma_f64 v[10:11], v[47:48], v[13:14], v[4:5]
	v_mov_b32_e32 v0, 0
	scratch_store_b128 off, v[8:11], off offset:16
	s_branch .LBB121_27
.LBB121_26:                             ;   in Loop: Header=BB121_27 Depth=1
	s_and_not1_b32 vcc_lo, exec_lo, s6
	s_cbranch_vccz .LBB121_29
.LBB121_27:                             ; =>This Inner Loop Header: Depth=1
	v_readfirstlane_b32 s5, v0
	v_add_nc_u32_e32 v1, s4, v12
	s_mov_b32 s6, -1
	s_delay_alu instid0(VALU_DEP_2) | instskip(NEXT) | instid1(SALU_CYCLE_1)
	s_add_i32 s5, s5, s4
	s_add_i32 s7, s5, 32
	;; [unrolled: 1-line block ×3, first 2 shown]
	scratch_load_b128 v[13:16], off, s7
	s_add_i32 s9, s5, 64
	s_clause 0x1
	scratch_load_b128 v[17:20], off, s8
	scratch_load_b128 v[21:24], off, s9
	ds_load_2addr_b64 v[25:28], v1 offset1:1
	ds_load_2addr_b64 v[29:32], v1 offset0:2 offset1:3
	ds_load_2addr_b64 v[33:36], v1 offset0:4 offset1:5
	s_cmpk_eq_i32 s4, 0x380
	s_waitcnt lgkmcnt(2)
	v_mul_f64 v[4:5], v[27:28], v[10:11]
	v_mul_f64 v[6:7], v[25:26], v[10:11]
	s_waitcnt lgkmcnt(1)
	v_mul_f64 v[37:38], v[31:32], v[10:11]
	v_mul_f64 v[39:40], v[29:30], v[10:11]
	;; [unrolled: 3-line block ×3, first 2 shown]
	v_fma_f64 v[4:5], v[25:26], v[8:9], -v[4:5]
	v_fma_f64 v[6:7], v[27:28], v[8:9], v[6:7]
	v_fma_f64 v[25:26], v[29:30], v[8:9], -v[37:38]
	v_fma_f64 v[27:28], v[31:32], v[8:9], v[39:40]
	;; [unrolled: 2-line block ×3, first 2 shown]
	s_waitcnt vmcnt(2)
	v_add_f64 v[13:14], v[13:14], -v[4:5]
	v_add_f64 v[15:16], v[15:16], -v[6:7]
	s_waitcnt vmcnt(1)
	v_add_f64 v[17:18], v[17:18], -v[25:26]
	v_add_f64 v[19:20], v[19:20], -v[27:28]
	;; [unrolled: 3-line block ×3, first 2 shown]
	s_clause 0x2
	scratch_store_b128 off, v[13:16], s7
	scratch_store_b128 off, v[17:20], s8
	;; [unrolled: 1-line block ×3, first 2 shown]
	s_cbranch_scc1 .LBB121_26
; %bb.28:                               ;   in Loop: Header=BB121_27 Depth=1
	s_addk_i32 s5, 0x50
	ds_load_2addr_b64 v[17:20], v1 offset0:6 offset1:7
	scratch_load_b128 v[13:16], off, s5
	s_add_i32 s4, s4, 64
	s_mov_b32 s6, 0
	s_waitcnt lgkmcnt(0)
	v_mul_f64 v[4:5], v[19:20], v[10:11]
	v_mul_f64 v[6:7], v[17:18], v[10:11]
	s_delay_alu instid0(VALU_DEP_2) | instskip(NEXT) | instid1(VALU_DEP_2)
	v_fma_f64 v[4:5], v[17:18], v[8:9], -v[4:5]
	v_fma_f64 v[6:7], v[19:20], v[8:9], v[6:7]
	s_waitcnt vmcnt(0)
	s_delay_alu instid0(VALU_DEP_2) | instskip(NEXT) | instid1(VALU_DEP_2)
	v_add_f64 v[13:14], v[13:14], -v[4:5]
	v_add_f64 v[15:16], v[15:16], -v[6:7]
	scratch_store_b128 off, v[13:16], s5
	s_branch .LBB121_26
.LBB121_29:
	s_or_b32 exec_lo, exec_lo, s3
	v_add3_u32 v16, v176, 0, 48
	s_mov_b32 s4, exec_lo
	s_waitcnt lgkmcnt(0)
	s_waitcnt_vscnt null, 0x0
	s_barrier
	buffer_gl0_inv
	v_cmpx_eq_u32_e32 2, v254
	s_cbranch_execz .LBB121_38
; %bb.30:
	scratch_load_b128 v[8:11], v59, off
	s_mov_b32 s3, 0
	s_waitcnt vmcnt(0)
	ds_store_2addr_b64 v251, v[8:9], v[10:11] offset1:1
.LBB121_31:                             ; =>This Inner Loop Header: Depth=1
	v_add_nc_u32_e64 v0, s3, 0
	s_delay_alu instid0(VALU_DEP_1)
	v_add_nc_u32_e32 v1, 48, v0
	v_add_nc_u32_e32 v0, 64, v0
	s_clause 0x1
	scratch_load_b128 v[8:11], v1, off
	scratch_load_b128 v[12:15], v0, off
	v_add_nc_u32_e32 v0, s3, v16
	s_add_i32 s3, s3, 32
	s_waitcnt vmcnt(1)
	ds_store_2addr_b64 v0, v[8:9], v[10:11] offset1:1
	s_waitcnt vmcnt(0)
	ds_store_2addr_b64 v0, v[12:13], v[14:15] offset0:2 offset1:3
	s_cmpk_lg_i32 s3, 0x3a0
	s_cbranch_scc1 .LBB121_31
; %bb.32:
	ds_load_2addr_b64 v[8:11], v251 offset1:1
	s_waitcnt lgkmcnt(0)
	v_cmp_neq_f64_e32 vcc_lo, 0, v[8:9]
	v_cmp_neq_f64_e64 s3, 0, v[10:11]
	s_delay_alu instid0(VALU_DEP_1) | instskip(NEXT) | instid1(SALU_CYCLE_1)
	s_or_b32 s3, vcc_lo, s3
	s_and_b32 exec_lo, exec_lo, s3
	s_cbranch_execz .LBB121_38
; %bb.33:
	v_cmp_gt_f64_e32 vcc_lo, 0, v[8:9]
	v_cmp_gt_f64_e64 s3, 0, v[10:11]
	v_xor_b32_e32 v0, 0x80000000, v9
	v_xor_b32_e32 v4, 0x80000000, v11
	s_delay_alu instid0(VALU_DEP_2) | instskip(NEXT) | instid1(VALU_DEP_2)
	v_cndmask_b32_e32 v1, v9, v0, vcc_lo
	v_cndmask_b32_e64 v5, v11, v4, s3
	v_cndmask_b32_e32 v0, v8, v8, vcc_lo
	v_cndmask_b32_e64 v4, v10, v10, s3
	s_delay_alu instid0(VALU_DEP_1) | instskip(SKIP_1) | instid1(SALU_CYCLE_1)
	v_cmp_ngt_f64_e32 vcc_lo, v[0:1], v[4:5]
                                        ; implicit-def: $vgpr0_vgpr1
	s_and_saveexec_b32 s3, vcc_lo
	s_xor_b32 s3, exec_lo, s3
                                        ; implicit-def: $vgpr12_vgpr13_vgpr14_vgpr15
	s_cbranch_execz .LBB121_35
; %bb.34:
	v_div_scale_f64 v[0:1], null, v[10:11], v[10:11], v[8:9]
	v_div_scale_f64 v[12:13], vcc_lo, v[8:9], v[10:11], v[8:9]
	s_delay_alu instid0(VALU_DEP_2) | instskip(SKIP_2) | instid1(VALU_DEP_1)
	v_rcp_f64_e32 v[4:5], v[0:1]
	s_waitcnt_depctr 0xfff
	v_fma_f64 v[6:7], -v[0:1], v[4:5], 1.0
	v_fma_f64 v[4:5], v[4:5], v[6:7], v[4:5]
	s_delay_alu instid0(VALU_DEP_1) | instskip(NEXT) | instid1(VALU_DEP_1)
	v_fma_f64 v[6:7], -v[0:1], v[4:5], 1.0
	v_fma_f64 v[4:5], v[4:5], v[6:7], v[4:5]
	s_delay_alu instid0(VALU_DEP_1) | instskip(NEXT) | instid1(VALU_DEP_1)
	v_mul_f64 v[6:7], v[12:13], v[4:5]
	v_fma_f64 v[0:1], -v[0:1], v[6:7], v[12:13]
	s_delay_alu instid0(VALU_DEP_1) | instskip(NEXT) | instid1(VALU_DEP_1)
	v_div_fmas_f64 v[0:1], v[0:1], v[4:5], v[6:7]
	v_div_fixup_f64 v[0:1], v[0:1], v[10:11], v[8:9]
	s_delay_alu instid0(VALU_DEP_1) | instskip(NEXT) | instid1(VALU_DEP_1)
	v_fma_f64 v[4:5], v[8:9], v[0:1], v[10:11]
	v_div_scale_f64 v[6:7], null, v[4:5], v[4:5], 1.0
	s_delay_alu instid0(VALU_DEP_1) | instskip(SKIP_2) | instid1(VALU_DEP_1)
	v_rcp_f64_e32 v[8:9], v[6:7]
	s_waitcnt_depctr 0xfff
	v_fma_f64 v[10:11], -v[6:7], v[8:9], 1.0
	v_fma_f64 v[8:9], v[8:9], v[10:11], v[8:9]
	s_delay_alu instid0(VALU_DEP_1) | instskip(NEXT) | instid1(VALU_DEP_1)
	v_fma_f64 v[10:11], -v[6:7], v[8:9], 1.0
	v_fma_f64 v[8:9], v[8:9], v[10:11], v[8:9]
	v_div_scale_f64 v[10:11], vcc_lo, 1.0, v[4:5], 1.0
	s_delay_alu instid0(VALU_DEP_1) | instskip(NEXT) | instid1(VALU_DEP_1)
	v_mul_f64 v[12:13], v[10:11], v[8:9]
	v_fma_f64 v[6:7], -v[6:7], v[12:13], v[10:11]
	s_delay_alu instid0(VALU_DEP_1) | instskip(NEXT) | instid1(VALU_DEP_1)
	v_div_fmas_f64 v[6:7], v[6:7], v[8:9], v[12:13]
                                        ; implicit-def: $vgpr8_vgpr9
	v_div_fixup_f64 v[14:15], v[6:7], v[4:5], 1.0
	s_delay_alu instid0(VALU_DEP_1)
	v_mul_f64 v[0:1], v[0:1], v[14:15]
	v_xor_b32_e32 v15, 0x80000000, v15
.LBB121_35:
	s_and_not1_saveexec_b32 s3, s3
	s_cbranch_execz .LBB121_37
; %bb.36:
	v_div_scale_f64 v[0:1], null, v[8:9], v[8:9], v[10:11]
	v_div_scale_f64 v[12:13], vcc_lo, v[10:11], v[8:9], v[10:11]
	s_delay_alu instid0(VALU_DEP_2) | instskip(SKIP_2) | instid1(VALU_DEP_1)
	v_rcp_f64_e32 v[4:5], v[0:1]
	s_waitcnt_depctr 0xfff
	v_fma_f64 v[6:7], -v[0:1], v[4:5], 1.0
	v_fma_f64 v[4:5], v[4:5], v[6:7], v[4:5]
	s_delay_alu instid0(VALU_DEP_1) | instskip(NEXT) | instid1(VALU_DEP_1)
	v_fma_f64 v[6:7], -v[0:1], v[4:5], 1.0
	v_fma_f64 v[4:5], v[4:5], v[6:7], v[4:5]
	s_delay_alu instid0(VALU_DEP_1) | instskip(NEXT) | instid1(VALU_DEP_1)
	v_mul_f64 v[6:7], v[12:13], v[4:5]
	v_fma_f64 v[0:1], -v[0:1], v[6:7], v[12:13]
	s_delay_alu instid0(VALU_DEP_1) | instskip(NEXT) | instid1(VALU_DEP_1)
	v_div_fmas_f64 v[0:1], v[0:1], v[4:5], v[6:7]
	v_div_fixup_f64 v[4:5], v[0:1], v[8:9], v[10:11]
	s_delay_alu instid0(VALU_DEP_1) | instskip(NEXT) | instid1(VALU_DEP_1)
	v_fma_f64 v[0:1], v[10:11], v[4:5], v[8:9]
	v_div_scale_f64 v[6:7], null, v[0:1], v[0:1], 1.0
	s_delay_alu instid0(VALU_DEP_1) | instskip(SKIP_2) | instid1(VALU_DEP_1)
	v_rcp_f64_e32 v[8:9], v[6:7]
	s_waitcnt_depctr 0xfff
	v_fma_f64 v[10:11], -v[6:7], v[8:9], 1.0
	v_fma_f64 v[8:9], v[8:9], v[10:11], v[8:9]
	s_delay_alu instid0(VALU_DEP_1) | instskip(NEXT) | instid1(VALU_DEP_1)
	v_fma_f64 v[10:11], -v[6:7], v[8:9], 1.0
	v_fma_f64 v[8:9], v[8:9], v[10:11], v[8:9]
	v_div_scale_f64 v[10:11], vcc_lo, 1.0, v[0:1], 1.0
	s_delay_alu instid0(VALU_DEP_1) | instskip(NEXT) | instid1(VALU_DEP_1)
	v_mul_f64 v[12:13], v[10:11], v[8:9]
	v_fma_f64 v[6:7], -v[6:7], v[12:13], v[10:11]
	s_delay_alu instid0(VALU_DEP_1) | instskip(NEXT) | instid1(VALU_DEP_1)
	v_div_fmas_f64 v[6:7], v[6:7], v[8:9], v[12:13]
	v_div_fixup_f64 v[0:1], v[6:7], v[0:1], 1.0
	s_delay_alu instid0(VALU_DEP_1)
	v_mul_f64 v[14:15], v[4:5], -v[0:1]
.LBB121_37:
	s_or_b32 exec_lo, exec_lo, s3
	ds_store_2addr_b64 v251, v[0:1], v[14:15] offset1:1
.LBB121_38:
	s_or_b32 exec_lo, exec_lo, s4
	s_waitcnt lgkmcnt(0)
	s_barrier
	buffer_gl0_inv
	ds_load_2addr_b64 v[8:11], v251 offset1:1
	s_mov_b32 s3, exec_lo
	v_cmpx_lt_u32_e32 2, v254
	s_cbranch_execz .LBB121_41
; %bb.39:
	scratch_load_b128 v[17:20], off, off offset:32
	s_mov_b32 s4, 0
	s_waitcnt vmcnt(0) lgkmcnt(0)
	v_mul_f64 v[0:1], v[10:11], v[19:20]
	v_mul_f64 v[4:5], v[8:9], v[19:20]
	s_delay_alu instid0(VALU_DEP_2) | instskip(NEXT) | instid1(VALU_DEP_2)
	v_fma_f64 v[12:13], v[8:9], v[17:18], -v[0:1]
	v_fma_f64 v[14:15], v[10:11], v[17:18], v[4:5]
	scratch_store_b128 off, v[12:15], off offset:32
	s_set_inst_prefetch_distance 0x1
	.p2align	6
.LBB121_40:                             ; =>This Inner Loop Header: Depth=1
	v_add_nc_u32_e64 v0, s4, 0
	s_delay_alu instid0(VALU_DEP_1)
	v_add_nc_u32_e32 v35, 48, v0
	v_add_nc_u32_e32 v36, 64, v0
	;; [unrolled: 1-line block ×3, first 2 shown]
	s_add_i32 s4, s4, 32
	s_clause 0x1
	scratch_load_b128 v[17:20], v35, off
	scratch_load_b128 v[21:24], v36, off
	ds_load_2addr_b64 v[25:28], v0 offset1:1
	ds_load_2addr_b64 v[29:32], v0 offset0:2 offset1:3
	s_cmpk_lg_i32 s4, 0x3a0
	s_waitcnt lgkmcnt(1)
	v_mul_f64 v[0:1], v[27:28], v[14:15]
	v_mul_f64 v[4:5], v[25:26], v[14:15]
	s_waitcnt lgkmcnt(0)
	v_mul_f64 v[6:7], v[31:32], v[14:15]
	v_mul_f64 v[33:34], v[29:30], v[14:15]
	s_delay_alu instid0(VALU_DEP_4) | instskip(NEXT) | instid1(VALU_DEP_4)
	v_fma_f64 v[0:1], v[25:26], v[12:13], -v[0:1]
	v_fma_f64 v[4:5], v[27:28], v[12:13], v[4:5]
	s_delay_alu instid0(VALU_DEP_4) | instskip(NEXT) | instid1(VALU_DEP_4)
	v_fma_f64 v[6:7], v[29:30], v[12:13], -v[6:7]
	v_fma_f64 v[25:26], v[31:32], v[12:13], v[33:34]
	s_waitcnt vmcnt(1)
	s_delay_alu instid0(VALU_DEP_4) | instskip(NEXT) | instid1(VALU_DEP_4)
	v_add_f64 v[17:18], v[17:18], -v[0:1]
	v_add_f64 v[19:20], v[19:20], -v[4:5]
	s_waitcnt vmcnt(0)
	s_delay_alu instid0(VALU_DEP_4) | instskip(NEXT) | instid1(VALU_DEP_4)
	v_add_f64 v[21:22], v[21:22], -v[6:7]
	v_add_f64 v[23:24], v[23:24], -v[25:26]
	s_clause 0x1
	scratch_store_b128 v35, v[17:20], off
	scratch_store_b128 v36, v[21:24], off
	s_cbranch_scc1 .LBB121_40
.LBB121_41:
	s_set_inst_prefetch_distance 0x2
	s_or_b32 exec_lo, exec_lo, s3
	v_add3_u32 v20, v176, 0, 64
	s_mov_b32 s4, exec_lo
	s_waitcnt lgkmcnt(0)
	s_waitcnt_vscnt null, 0x0
	s_barrier
	buffer_gl0_inv
	v_cmpx_eq_u32_e32 3, v254
	s_cbranch_execz .LBB121_50
; %bb.42:
	scratch_load_b128 v[12:15], v58, off
	v_mov_b32_e32 v0, 0
	s_mov_b32 s3, 0
	s_waitcnt vmcnt(0)
	ds_store_2addr_b64 v251, v[12:13], v[14:15] offset1:1
	.p2align	6
.LBB121_43:                             ; =>This Inner Loop Header: Depth=1
	v_readfirstlane_b32 s5, v0
	v_add_nc_u32_e32 v1, s3, v20
	s_delay_alu instid0(VALU_DEP_2)
	s_add_i32 s5, s5, s3
	s_add_i32 s3, s3, 48
	;; [unrolled: 1-line block ×4, first 2 shown]
	s_addk_i32 s5, 0x60
	s_clause 0x2
	scratch_load_b128 v[12:15], off, s6
	scratch_load_b128 v[16:19], off, s7
	;; [unrolled: 1-line block ×3, first 2 shown]
	s_cmpk_lg_i32 s3, 0x390
	s_waitcnt vmcnt(2)
	ds_store_2addr_b64 v1, v[12:13], v[14:15] offset1:1
	s_waitcnt vmcnt(1)
	ds_store_2addr_b64 v1, v[16:17], v[18:19] offset0:2 offset1:3
	s_waitcnt vmcnt(0)
	ds_store_2addr_b64 v1, v[21:22], v[23:24] offset0:4 offset1:5
	s_cbranch_scc1 .LBB121_43
; %bb.44:
	ds_load_2addr_b64 v[12:15], v251 offset1:1
	s_waitcnt lgkmcnt(0)
	v_cmp_neq_f64_e32 vcc_lo, 0, v[12:13]
	v_cmp_neq_f64_e64 s3, 0, v[14:15]
	s_delay_alu instid0(VALU_DEP_1) | instskip(NEXT) | instid1(SALU_CYCLE_1)
	s_or_b32 s3, vcc_lo, s3
	s_and_b32 exec_lo, exec_lo, s3
	s_cbranch_execz .LBB121_50
; %bb.45:
	v_cmp_gt_f64_e32 vcc_lo, 0, v[12:13]
	v_cmp_gt_f64_e64 s3, 0, v[14:15]
	v_xor_b32_e32 v0, 0x80000000, v13
	v_xor_b32_e32 v4, 0x80000000, v15
	s_delay_alu instid0(VALU_DEP_2) | instskip(NEXT) | instid1(VALU_DEP_2)
	v_cndmask_b32_e32 v1, v13, v0, vcc_lo
	v_cndmask_b32_e64 v5, v15, v4, s3
	v_cndmask_b32_e32 v0, v12, v12, vcc_lo
	v_cndmask_b32_e64 v4, v14, v14, s3
	s_delay_alu instid0(VALU_DEP_1) | instskip(SKIP_1) | instid1(SALU_CYCLE_1)
	v_cmp_ngt_f64_e32 vcc_lo, v[0:1], v[4:5]
                                        ; implicit-def: $vgpr0_vgpr1
	s_and_saveexec_b32 s3, vcc_lo
	s_xor_b32 s3, exec_lo, s3
                                        ; implicit-def: $vgpr16_vgpr17_vgpr18_vgpr19
	s_cbranch_execz .LBB121_47
; %bb.46:
	v_div_scale_f64 v[0:1], null, v[14:15], v[14:15], v[12:13]
	v_div_scale_f64 v[16:17], vcc_lo, v[12:13], v[14:15], v[12:13]
	s_delay_alu instid0(VALU_DEP_2) | instskip(SKIP_2) | instid1(VALU_DEP_1)
	v_rcp_f64_e32 v[4:5], v[0:1]
	s_waitcnt_depctr 0xfff
	v_fma_f64 v[6:7], -v[0:1], v[4:5], 1.0
	v_fma_f64 v[4:5], v[4:5], v[6:7], v[4:5]
	s_delay_alu instid0(VALU_DEP_1) | instskip(NEXT) | instid1(VALU_DEP_1)
	v_fma_f64 v[6:7], -v[0:1], v[4:5], 1.0
	v_fma_f64 v[4:5], v[4:5], v[6:7], v[4:5]
	s_delay_alu instid0(VALU_DEP_1) | instskip(NEXT) | instid1(VALU_DEP_1)
	v_mul_f64 v[6:7], v[16:17], v[4:5]
	v_fma_f64 v[0:1], -v[0:1], v[6:7], v[16:17]
	s_delay_alu instid0(VALU_DEP_1) | instskip(NEXT) | instid1(VALU_DEP_1)
	v_div_fmas_f64 v[0:1], v[0:1], v[4:5], v[6:7]
	v_div_fixup_f64 v[0:1], v[0:1], v[14:15], v[12:13]
	s_delay_alu instid0(VALU_DEP_1) | instskip(NEXT) | instid1(VALU_DEP_1)
	v_fma_f64 v[4:5], v[12:13], v[0:1], v[14:15]
	v_div_scale_f64 v[6:7], null, v[4:5], v[4:5], 1.0
	s_delay_alu instid0(VALU_DEP_1) | instskip(SKIP_2) | instid1(VALU_DEP_1)
	v_rcp_f64_e32 v[12:13], v[6:7]
	s_waitcnt_depctr 0xfff
	v_fma_f64 v[14:15], -v[6:7], v[12:13], 1.0
	v_fma_f64 v[12:13], v[12:13], v[14:15], v[12:13]
	s_delay_alu instid0(VALU_DEP_1) | instskip(NEXT) | instid1(VALU_DEP_1)
	v_fma_f64 v[14:15], -v[6:7], v[12:13], 1.0
	v_fma_f64 v[12:13], v[12:13], v[14:15], v[12:13]
	v_div_scale_f64 v[14:15], vcc_lo, 1.0, v[4:5], 1.0
	s_delay_alu instid0(VALU_DEP_1) | instskip(NEXT) | instid1(VALU_DEP_1)
	v_mul_f64 v[16:17], v[14:15], v[12:13]
	v_fma_f64 v[6:7], -v[6:7], v[16:17], v[14:15]
	s_delay_alu instid0(VALU_DEP_1) | instskip(NEXT) | instid1(VALU_DEP_1)
	v_div_fmas_f64 v[6:7], v[6:7], v[12:13], v[16:17]
                                        ; implicit-def: $vgpr12_vgpr13
	v_div_fixup_f64 v[18:19], v[6:7], v[4:5], 1.0
	s_delay_alu instid0(VALU_DEP_1)
	v_mul_f64 v[0:1], v[0:1], v[18:19]
	v_xor_b32_e32 v19, 0x80000000, v19
.LBB121_47:
	s_and_not1_saveexec_b32 s3, s3
	s_cbranch_execz .LBB121_49
; %bb.48:
	v_div_scale_f64 v[0:1], null, v[12:13], v[12:13], v[14:15]
	v_div_scale_f64 v[16:17], vcc_lo, v[14:15], v[12:13], v[14:15]
	s_delay_alu instid0(VALU_DEP_2) | instskip(SKIP_2) | instid1(VALU_DEP_1)
	v_rcp_f64_e32 v[4:5], v[0:1]
	s_waitcnt_depctr 0xfff
	v_fma_f64 v[6:7], -v[0:1], v[4:5], 1.0
	v_fma_f64 v[4:5], v[4:5], v[6:7], v[4:5]
	s_delay_alu instid0(VALU_DEP_1) | instskip(NEXT) | instid1(VALU_DEP_1)
	v_fma_f64 v[6:7], -v[0:1], v[4:5], 1.0
	v_fma_f64 v[4:5], v[4:5], v[6:7], v[4:5]
	s_delay_alu instid0(VALU_DEP_1) | instskip(NEXT) | instid1(VALU_DEP_1)
	v_mul_f64 v[6:7], v[16:17], v[4:5]
	v_fma_f64 v[0:1], -v[0:1], v[6:7], v[16:17]
	s_delay_alu instid0(VALU_DEP_1) | instskip(NEXT) | instid1(VALU_DEP_1)
	v_div_fmas_f64 v[0:1], v[0:1], v[4:5], v[6:7]
	v_div_fixup_f64 v[4:5], v[0:1], v[12:13], v[14:15]
	s_delay_alu instid0(VALU_DEP_1) | instskip(NEXT) | instid1(VALU_DEP_1)
	v_fma_f64 v[0:1], v[14:15], v[4:5], v[12:13]
	v_div_scale_f64 v[6:7], null, v[0:1], v[0:1], 1.0
	s_delay_alu instid0(VALU_DEP_1) | instskip(SKIP_2) | instid1(VALU_DEP_1)
	v_rcp_f64_e32 v[12:13], v[6:7]
	s_waitcnt_depctr 0xfff
	v_fma_f64 v[14:15], -v[6:7], v[12:13], 1.0
	v_fma_f64 v[12:13], v[12:13], v[14:15], v[12:13]
	s_delay_alu instid0(VALU_DEP_1) | instskip(NEXT) | instid1(VALU_DEP_1)
	v_fma_f64 v[14:15], -v[6:7], v[12:13], 1.0
	v_fma_f64 v[12:13], v[12:13], v[14:15], v[12:13]
	v_div_scale_f64 v[14:15], vcc_lo, 1.0, v[0:1], 1.0
	s_delay_alu instid0(VALU_DEP_1) | instskip(NEXT) | instid1(VALU_DEP_1)
	v_mul_f64 v[16:17], v[14:15], v[12:13]
	v_fma_f64 v[6:7], -v[6:7], v[16:17], v[14:15]
	s_delay_alu instid0(VALU_DEP_1) | instskip(NEXT) | instid1(VALU_DEP_1)
	v_div_fmas_f64 v[6:7], v[6:7], v[12:13], v[16:17]
	v_div_fixup_f64 v[0:1], v[6:7], v[0:1], 1.0
	s_delay_alu instid0(VALU_DEP_1)
	v_mul_f64 v[18:19], v[4:5], -v[0:1]
.LBB121_49:
	s_or_b32 exec_lo, exec_lo, s3
	ds_store_2addr_b64 v251, v[0:1], v[18:19] offset1:1
.LBB121_50:
	s_or_b32 exec_lo, exec_lo, s4
	s_clause 0x1
	scratch_store_b128 off, v[8:11], off offset:1688
	scratch_store_b128 off, v[45:48], off offset:1672
	s_waitcnt lgkmcnt(0)
	s_waitcnt_vscnt null, 0x0
	s_barrier
	buffer_gl0_inv
	ds_load_2addr_b64 v[12:15], v251 offset1:1
	s_mov_b32 s3, exec_lo
	v_cmpx_lt_u32_e32 3, v254
	s_cbranch_execz .LBB121_53
; %bb.51:
	scratch_load_b128 v[21:24], off, off offset:48
	s_mov_b32 s4, 0
	s_waitcnt vmcnt(0) lgkmcnt(0)
	v_mul_f64 v[0:1], v[14:15], v[23:24]
	v_mul_f64 v[4:5], v[12:13], v[23:24]
	s_delay_alu instid0(VALU_DEP_2) | instskip(NEXT) | instid1(VALU_DEP_2)
	v_fma_f64 v[16:17], v[12:13], v[21:22], -v[0:1]
	v_fma_f64 v[18:19], v[14:15], v[21:22], v[4:5]
	v_mov_b32_e32 v0, 0
	scratch_store_b128 off, v[16:19], off offset:48
.LBB121_52:                             ; =>This Inner Loop Header: Depth=1
	v_readfirstlane_b32 s5, v0
	v_add_nc_u32_e32 v1, s4, v20
	s_delay_alu instid0(VALU_DEP_2)
	s_add_i32 s5, s5, s4
	s_add_i32 s4, s4, 48
	;; [unrolled: 1-line block ×4, first 2 shown]
	s_addk_i32 s5, 0x60
	s_clause 0x2
	scratch_load_b128 v[21:24], off, s6
	scratch_load_b128 v[25:28], off, s7
	;; [unrolled: 1-line block ×3, first 2 shown]
	ds_load_2addr_b64 v[33:36], v1 offset1:1
	ds_load_2addr_b64 v[37:40], v1 offset0:2 offset1:3
	ds_load_2addr_b64 v[41:44], v1 offset0:4 offset1:5
	s_cmpk_lg_i32 s4, 0x390
	s_waitcnt lgkmcnt(2)
	v_mul_f64 v[4:5], v[35:36], v[18:19]
	v_mul_f64 v[6:7], v[33:34], v[18:19]
	s_waitcnt lgkmcnt(1)
	v_mul_f64 v[45:46], v[39:40], v[18:19]
	v_mul_f64 v[47:48], v[37:38], v[18:19]
	;; [unrolled: 3-line block ×3, first 2 shown]
	v_fma_f64 v[4:5], v[33:34], v[16:17], -v[4:5]
	v_fma_f64 v[6:7], v[35:36], v[16:17], v[6:7]
	v_fma_f64 v[33:34], v[37:38], v[16:17], -v[45:46]
	v_fma_f64 v[35:36], v[39:40], v[16:17], v[47:48]
	;; [unrolled: 2-line block ×3, first 2 shown]
	s_waitcnt vmcnt(2)
	v_add_f64 v[21:22], v[21:22], -v[4:5]
	v_add_f64 v[23:24], v[23:24], -v[6:7]
	s_waitcnt vmcnt(1)
	v_add_f64 v[25:26], v[25:26], -v[33:34]
	v_add_f64 v[27:28], v[27:28], -v[35:36]
	;; [unrolled: 3-line block ×3, first 2 shown]
	s_clause 0x2
	scratch_store_b128 off, v[21:24], s6
	scratch_store_b128 off, v[25:28], s7
	;; [unrolled: 1-line block ×3, first 2 shown]
	s_cbranch_scc1 .LBB121_52
.LBB121_53:
	s_or_b32 exec_lo, exec_lo, s3
	v_add3_u32 v24, v176, 0, 0x50
	s_mov_b32 s4, exec_lo
	s_waitcnt lgkmcnt(0)
	s_waitcnt_vscnt null, 0x0
	s_barrier
	buffer_gl0_inv
	v_cmpx_eq_u32_e32 4, v254
	s_cbranch_execz .LBB121_62
; %bb.54:
	scratch_load_b128 v[16:19], v57, off
	v_mov_b32_e32 v0, 0
	s_movk_i32 s3, 0xfc80
	s_waitcnt vmcnt(0)
	ds_store_2addr_b64 v251, v[16:17], v[18:19] offset1:1
.LBB121_55:                             ; =>This Inner Loop Header: Depth=1
	v_readfirstlane_b32 s5, v0
	v_add_nc_u32_e32 v1, s3, v24
	s_delay_alu instid0(VALU_DEP_2)
	s_add_i32 s5, s5, s3
	s_addk_i32 s3, 0xe0
	s_add_i32 s6, s5, 0x3d0
	s_add_i32 s7, s5, 0x3e0
	;; [unrolled: 1-line block ×8, first 2 shown]
	s_clause 0x7
	scratch_load_b128 v[16:19], off, s6
	scratch_load_b128 v[20:23], off, s7
	;; [unrolled: 1-line block ×8, first 2 shown]
	s_add_i32 s15, s5, 0x450
	s_add_i32 s16, s5, 0x460
	;; [unrolled: 1-line block ×5, first 2 shown]
	s_addk_i32 s5, 0x4a0
	s_cmp_lg_u32 s3, 0
	s_waitcnt vmcnt(7)
	ds_store_2addr_b64 v1, v[16:17], v[18:19] offset0:112 offset1:113
	s_waitcnt vmcnt(6)
	ds_store_2addr_b64 v1, v[20:21], v[22:23] offset0:114 offset1:115
	s_clause 0x1
	scratch_load_b128 v[16:19], off, s15
	scratch_load_b128 v[20:23], off, s16
	s_waitcnt vmcnt(7)
	ds_store_2addr_b64 v1, v[25:26], v[27:28] offset0:116 offset1:117
	s_waitcnt vmcnt(6)
	ds_store_2addr_b64 v1, v[29:30], v[31:32] offset0:118 offset1:119
	s_clause 0x1
	scratch_load_b128 v[25:28], off, s17
	scratch_load_b128 v[29:32], off, s18
	;; [unrolled: 7-line block ×3, first 2 shown]
	s_waitcnt vmcnt(7)
	ds_store_2addr_b64 v1, v[41:42], v[43:44] offset0:124 offset1:125
	s_waitcnt vmcnt(6)
	ds_store_2addr_b64 v1, v[45:46], v[47:48] offset0:126 offset1:127
	;; [unrolled: 2-line block ×8, first 2 shown]
	s_cbranch_scc1 .LBB121_55
; %bb.56:
	ds_load_2addr_b64 v[16:19], v251 offset1:1
	s_waitcnt lgkmcnt(0)
	v_cmp_neq_f64_e32 vcc_lo, 0, v[16:17]
	v_cmp_neq_f64_e64 s3, 0, v[18:19]
	s_delay_alu instid0(VALU_DEP_1) | instskip(NEXT) | instid1(SALU_CYCLE_1)
	s_or_b32 s3, vcc_lo, s3
	s_and_b32 exec_lo, exec_lo, s3
	s_cbranch_execz .LBB121_62
; %bb.57:
	v_cmp_gt_f64_e32 vcc_lo, 0, v[16:17]
	v_cmp_gt_f64_e64 s3, 0, v[18:19]
	v_xor_b32_e32 v0, 0x80000000, v17
	v_xor_b32_e32 v4, 0x80000000, v19
	s_delay_alu instid0(VALU_DEP_2) | instskip(NEXT) | instid1(VALU_DEP_2)
	v_cndmask_b32_e32 v1, v17, v0, vcc_lo
	v_cndmask_b32_e64 v5, v19, v4, s3
	v_cndmask_b32_e32 v0, v16, v16, vcc_lo
	v_cndmask_b32_e64 v4, v18, v18, s3
	s_delay_alu instid0(VALU_DEP_1) | instskip(SKIP_1) | instid1(SALU_CYCLE_1)
	v_cmp_ngt_f64_e32 vcc_lo, v[0:1], v[4:5]
                                        ; implicit-def: $vgpr0_vgpr1
	s_and_saveexec_b32 s3, vcc_lo
	s_xor_b32 s3, exec_lo, s3
                                        ; implicit-def: $vgpr20_vgpr21_vgpr22_vgpr23
	s_cbranch_execz .LBB121_59
; %bb.58:
	v_div_scale_f64 v[0:1], null, v[18:19], v[18:19], v[16:17]
	v_div_scale_f64 v[20:21], vcc_lo, v[16:17], v[18:19], v[16:17]
	s_delay_alu instid0(VALU_DEP_2) | instskip(SKIP_2) | instid1(VALU_DEP_1)
	v_rcp_f64_e32 v[4:5], v[0:1]
	s_waitcnt_depctr 0xfff
	v_fma_f64 v[6:7], -v[0:1], v[4:5], 1.0
	v_fma_f64 v[4:5], v[4:5], v[6:7], v[4:5]
	s_delay_alu instid0(VALU_DEP_1) | instskip(NEXT) | instid1(VALU_DEP_1)
	v_fma_f64 v[6:7], -v[0:1], v[4:5], 1.0
	v_fma_f64 v[4:5], v[4:5], v[6:7], v[4:5]
	s_delay_alu instid0(VALU_DEP_1) | instskip(NEXT) | instid1(VALU_DEP_1)
	v_mul_f64 v[6:7], v[20:21], v[4:5]
	v_fma_f64 v[0:1], -v[0:1], v[6:7], v[20:21]
	s_delay_alu instid0(VALU_DEP_1) | instskip(NEXT) | instid1(VALU_DEP_1)
	v_div_fmas_f64 v[0:1], v[0:1], v[4:5], v[6:7]
	v_div_fixup_f64 v[0:1], v[0:1], v[18:19], v[16:17]
	s_delay_alu instid0(VALU_DEP_1) | instskip(NEXT) | instid1(VALU_DEP_1)
	v_fma_f64 v[4:5], v[16:17], v[0:1], v[18:19]
	v_div_scale_f64 v[6:7], null, v[4:5], v[4:5], 1.0
	s_delay_alu instid0(VALU_DEP_1) | instskip(SKIP_2) | instid1(VALU_DEP_1)
	v_rcp_f64_e32 v[16:17], v[6:7]
	s_waitcnt_depctr 0xfff
	v_fma_f64 v[18:19], -v[6:7], v[16:17], 1.0
	v_fma_f64 v[16:17], v[16:17], v[18:19], v[16:17]
	s_delay_alu instid0(VALU_DEP_1) | instskip(NEXT) | instid1(VALU_DEP_1)
	v_fma_f64 v[18:19], -v[6:7], v[16:17], 1.0
	v_fma_f64 v[16:17], v[16:17], v[18:19], v[16:17]
	v_div_scale_f64 v[18:19], vcc_lo, 1.0, v[4:5], 1.0
	s_delay_alu instid0(VALU_DEP_1) | instskip(NEXT) | instid1(VALU_DEP_1)
	v_mul_f64 v[20:21], v[18:19], v[16:17]
	v_fma_f64 v[6:7], -v[6:7], v[20:21], v[18:19]
	s_delay_alu instid0(VALU_DEP_1) | instskip(NEXT) | instid1(VALU_DEP_1)
	v_div_fmas_f64 v[6:7], v[6:7], v[16:17], v[20:21]
                                        ; implicit-def: $vgpr16_vgpr17
	v_div_fixup_f64 v[22:23], v[6:7], v[4:5], 1.0
	s_delay_alu instid0(VALU_DEP_1)
	v_mul_f64 v[0:1], v[0:1], v[22:23]
	v_xor_b32_e32 v23, 0x80000000, v23
.LBB121_59:
	s_and_not1_saveexec_b32 s3, s3
	s_cbranch_execz .LBB121_61
; %bb.60:
	v_div_scale_f64 v[0:1], null, v[16:17], v[16:17], v[18:19]
	v_div_scale_f64 v[20:21], vcc_lo, v[18:19], v[16:17], v[18:19]
	s_delay_alu instid0(VALU_DEP_2) | instskip(SKIP_2) | instid1(VALU_DEP_1)
	v_rcp_f64_e32 v[4:5], v[0:1]
	s_waitcnt_depctr 0xfff
	v_fma_f64 v[6:7], -v[0:1], v[4:5], 1.0
	v_fma_f64 v[4:5], v[4:5], v[6:7], v[4:5]
	s_delay_alu instid0(VALU_DEP_1) | instskip(NEXT) | instid1(VALU_DEP_1)
	v_fma_f64 v[6:7], -v[0:1], v[4:5], 1.0
	v_fma_f64 v[4:5], v[4:5], v[6:7], v[4:5]
	s_delay_alu instid0(VALU_DEP_1) | instskip(NEXT) | instid1(VALU_DEP_1)
	v_mul_f64 v[6:7], v[20:21], v[4:5]
	v_fma_f64 v[0:1], -v[0:1], v[6:7], v[20:21]
	s_delay_alu instid0(VALU_DEP_1) | instskip(NEXT) | instid1(VALU_DEP_1)
	v_div_fmas_f64 v[0:1], v[0:1], v[4:5], v[6:7]
	v_div_fixup_f64 v[4:5], v[0:1], v[16:17], v[18:19]
	s_delay_alu instid0(VALU_DEP_1) | instskip(NEXT) | instid1(VALU_DEP_1)
	v_fma_f64 v[0:1], v[18:19], v[4:5], v[16:17]
	v_div_scale_f64 v[6:7], null, v[0:1], v[0:1], 1.0
	s_delay_alu instid0(VALU_DEP_1) | instskip(SKIP_2) | instid1(VALU_DEP_1)
	v_rcp_f64_e32 v[16:17], v[6:7]
	s_waitcnt_depctr 0xfff
	v_fma_f64 v[18:19], -v[6:7], v[16:17], 1.0
	v_fma_f64 v[16:17], v[16:17], v[18:19], v[16:17]
	s_delay_alu instid0(VALU_DEP_1) | instskip(NEXT) | instid1(VALU_DEP_1)
	v_fma_f64 v[18:19], -v[6:7], v[16:17], 1.0
	v_fma_f64 v[16:17], v[16:17], v[18:19], v[16:17]
	v_div_scale_f64 v[18:19], vcc_lo, 1.0, v[0:1], 1.0
	s_delay_alu instid0(VALU_DEP_1) | instskip(NEXT) | instid1(VALU_DEP_1)
	v_mul_f64 v[20:21], v[18:19], v[16:17]
	v_fma_f64 v[6:7], -v[6:7], v[20:21], v[18:19]
	s_delay_alu instid0(VALU_DEP_1) | instskip(NEXT) | instid1(VALU_DEP_1)
	v_div_fmas_f64 v[6:7], v[6:7], v[16:17], v[20:21]
	v_div_fixup_f64 v[0:1], v[6:7], v[0:1], 1.0
	s_delay_alu instid0(VALU_DEP_1)
	v_mul_f64 v[22:23], v[4:5], -v[0:1]
.LBB121_61:
	s_or_b32 exec_lo, exec_lo, s3
	ds_store_2addr_b64 v251, v[0:1], v[22:23] offset1:1
.LBB121_62:
	s_or_b32 exec_lo, exec_lo, s4
	s_waitcnt lgkmcnt(0)
	s_barrier
	buffer_gl0_inv
	ds_load_2addr_b64 v[16:19], v251 offset1:1
	s_mov_b32 s3, exec_lo
	v_cmpx_lt_u32_e32 4, v254
	s_cbranch_execz .LBB121_65
; %bb.63:
	scratch_load_b128 v[25:28], off, off offset:64
	s_mov_b32 s4, 0
	s_waitcnt vmcnt(0) lgkmcnt(0)
	v_mul_f64 v[0:1], v[18:19], v[27:28]
	v_mul_f64 v[4:5], v[16:17], v[27:28]
	s_delay_alu instid0(VALU_DEP_2) | instskip(NEXT) | instid1(VALU_DEP_2)
	v_fma_f64 v[20:21], v[16:17], v[25:26], -v[0:1]
	v_fma_f64 v[22:23], v[18:19], v[25:26], v[4:5]
	v_mov_b32_e32 v0, 0
	scratch_store_b128 off, v[20:23], off offset:64
.LBB121_64:                             ; =>This Inner Loop Header: Depth=1
	v_add_nc_u32_e32 v1, s4, v24
	v_readfirstlane_b32 s5, v0
	ds_load_2addr_b64 v[25:28], v1 offset1:1
	s_add_i32 s5, s5, s4
	s_addk_i32 s4, 0x70
	s_add_i32 s6, s5, 0x50
	s_waitcnt lgkmcnt(0)
	v_mul_f64 v[4:5], v[27:28], v[22:23]
	v_mul_f64 v[6:7], v[25:26], v[22:23]
	s_delay_alu instid0(VALU_DEP_2) | instskip(NEXT) | instid1(VALU_DEP_2)
	v_fma_f64 v[4:5], v[25:26], v[20:21], -v[4:5]
	v_fma_f64 v[6:7], v[27:28], v[20:21], v[6:7]
	scratch_load_b128 v[25:28], off, s6
	s_waitcnt vmcnt(0)
	v_add_f64 v[25:26], v[25:26], -v[4:5]
	v_add_f64 v[27:28], v[27:28], -v[6:7]
	scratch_store_b128 off, v[25:28], s6
	ds_load_2addr_b64 v[25:28], v1 offset0:2 offset1:3
	s_add_i32 s6, s5, 0x60
	s_waitcnt lgkmcnt(0)
	v_mul_f64 v[4:5], v[27:28], v[22:23]
	v_mul_f64 v[6:7], v[25:26], v[22:23]
	s_delay_alu instid0(VALU_DEP_2) | instskip(NEXT) | instid1(VALU_DEP_2)
	v_fma_f64 v[4:5], v[25:26], v[20:21], -v[4:5]
	v_fma_f64 v[6:7], v[27:28], v[20:21], v[6:7]
	scratch_load_b128 v[25:28], off, s6
	s_waitcnt vmcnt(0)
	v_add_f64 v[25:26], v[25:26], -v[4:5]
	v_add_f64 v[27:28], v[27:28], -v[6:7]
	scratch_store_b128 off, v[25:28], s6
	ds_load_2addr_b64 v[25:28], v1 offset0:4 offset1:5
	s_add_i32 s6, s5, 0x70
	s_waitcnt lgkmcnt(0)
	v_mul_f64 v[4:5], v[27:28], v[22:23]
	v_mul_f64 v[6:7], v[25:26], v[22:23]
	s_delay_alu instid0(VALU_DEP_2) | instskip(NEXT) | instid1(VALU_DEP_2)
	v_fma_f64 v[4:5], v[25:26], v[20:21], -v[4:5]
	v_fma_f64 v[6:7], v[27:28], v[20:21], v[6:7]
	scratch_load_b128 v[25:28], off, s6
	s_waitcnt vmcnt(0)
	v_add_f64 v[25:26], v[25:26], -v[4:5]
	v_add_f64 v[27:28], v[27:28], -v[6:7]
	scratch_store_b128 off, v[25:28], s6
	ds_load_2addr_b64 v[25:28], v1 offset0:6 offset1:7
	s_add_i32 s6, s5, 0x80
	s_waitcnt lgkmcnt(0)
	v_mul_f64 v[4:5], v[27:28], v[22:23]
	v_mul_f64 v[6:7], v[25:26], v[22:23]
	s_delay_alu instid0(VALU_DEP_2) | instskip(NEXT) | instid1(VALU_DEP_2)
	v_fma_f64 v[4:5], v[25:26], v[20:21], -v[4:5]
	v_fma_f64 v[6:7], v[27:28], v[20:21], v[6:7]
	scratch_load_b128 v[25:28], off, s6
	s_waitcnt vmcnt(0)
	v_add_f64 v[25:26], v[25:26], -v[4:5]
	v_add_f64 v[27:28], v[27:28], -v[6:7]
	scratch_store_b128 off, v[25:28], s6
	ds_load_2addr_b64 v[25:28], v1 offset0:8 offset1:9
	s_add_i32 s6, s5, 0x90
	s_waitcnt lgkmcnt(0)
	v_mul_f64 v[4:5], v[27:28], v[22:23]
	v_mul_f64 v[6:7], v[25:26], v[22:23]
	s_delay_alu instid0(VALU_DEP_2) | instskip(NEXT) | instid1(VALU_DEP_2)
	v_fma_f64 v[4:5], v[25:26], v[20:21], -v[4:5]
	v_fma_f64 v[6:7], v[27:28], v[20:21], v[6:7]
	scratch_load_b128 v[25:28], off, s6
	s_waitcnt vmcnt(0)
	v_add_f64 v[25:26], v[25:26], -v[4:5]
	v_add_f64 v[27:28], v[27:28], -v[6:7]
	scratch_store_b128 off, v[25:28], s6
	ds_load_2addr_b64 v[25:28], v1 offset0:10 offset1:11
	s_add_i32 s6, s5, 0xa0
	s_addk_i32 s5, 0xb0
	s_cmpk_lg_i32 s4, 0x380
	s_waitcnt lgkmcnt(0)
	v_mul_f64 v[4:5], v[27:28], v[22:23]
	v_mul_f64 v[6:7], v[25:26], v[22:23]
	s_delay_alu instid0(VALU_DEP_2) | instskip(NEXT) | instid1(VALU_DEP_2)
	v_fma_f64 v[4:5], v[25:26], v[20:21], -v[4:5]
	v_fma_f64 v[6:7], v[27:28], v[20:21], v[6:7]
	scratch_load_b128 v[25:28], off, s6
	s_waitcnt vmcnt(0)
	v_add_f64 v[25:26], v[25:26], -v[4:5]
	v_add_f64 v[27:28], v[27:28], -v[6:7]
	scratch_store_b128 off, v[25:28], s6
	ds_load_2addr_b64 v[25:28], v1 offset0:12 offset1:13
	s_waitcnt lgkmcnt(0)
	v_mul_f64 v[4:5], v[27:28], v[22:23]
	v_mul_f64 v[6:7], v[25:26], v[22:23]
	s_delay_alu instid0(VALU_DEP_2) | instskip(NEXT) | instid1(VALU_DEP_2)
	v_fma_f64 v[4:5], v[25:26], v[20:21], -v[4:5]
	v_fma_f64 v[6:7], v[27:28], v[20:21], v[6:7]
	scratch_load_b128 v[25:28], off, s5
	s_waitcnt vmcnt(0)
	v_add_f64 v[25:26], v[25:26], -v[4:5]
	v_add_f64 v[27:28], v[27:28], -v[6:7]
	scratch_store_b128 off, v[25:28], s5
	s_cbranch_scc1 .LBB121_64
.LBB121_65:
	s_or_b32 exec_lo, exec_lo, s3
	v_add3_u32 v28, v176, 0, 0x60
	s_mov_b32 s4, exec_lo
	s_waitcnt lgkmcnt(0)
	s_waitcnt_vscnt null, 0x0
	s_barrier
	buffer_gl0_inv
	v_cmpx_eq_u32_e32 5, v254
	s_cbranch_execz .LBB121_74
; %bb.66:
	scratch_load_b128 v[20:23], v66, off
	v_mov_b32_e32 v0, 0
	s_movk_i32 s3, 0xfc90
	s_waitcnt vmcnt(0)
	ds_store_2addr_b64 v251, v[20:21], v[22:23] offset1:1
.LBB121_67:                             ; =>This Inner Loop Header: Depth=1
	v_readfirstlane_b32 s5, v0
	v_add_nc_u32_e32 v1, s3, v28
	s_delay_alu instid0(VALU_DEP_2)
	s_add_i32 s5, s5, s3
	s_addk_i32 s3, 0xb0
	s_add_i32 s6, s5, 0x3d0
	s_add_i32 s7, s5, 0x3e0
	;; [unrolled: 1-line block ×10, first 2 shown]
	s_addk_i32 s5, 0x470
	s_clause 0xa
	scratch_load_b128 v[20:23], off, s6
	scratch_load_b128 v[24:27], off, s7
	;; [unrolled: 1-line block ×11, first 2 shown]
	s_cmp_lg_u32 s3, 0
	s_waitcnt vmcnt(10)
	ds_store_2addr_b64 v1, v[20:21], v[22:23] offset0:110 offset1:111
	s_waitcnt vmcnt(9)
	ds_store_2addr_b64 v1, v[24:25], v[26:27] offset0:112 offset1:113
	;; [unrolled: 2-line block ×11, first 2 shown]
	s_cbranch_scc1 .LBB121_67
; %bb.68:
	ds_load_2addr_b64 v[20:23], v251 offset1:1
	s_waitcnt lgkmcnt(0)
	v_cmp_neq_f64_e32 vcc_lo, 0, v[20:21]
	v_cmp_neq_f64_e64 s3, 0, v[22:23]
	s_delay_alu instid0(VALU_DEP_1) | instskip(NEXT) | instid1(SALU_CYCLE_1)
	s_or_b32 s3, vcc_lo, s3
	s_and_b32 exec_lo, exec_lo, s3
	s_cbranch_execz .LBB121_74
; %bb.69:
	v_cmp_gt_f64_e32 vcc_lo, 0, v[20:21]
	v_cmp_gt_f64_e64 s3, 0, v[22:23]
	v_xor_b32_e32 v0, 0x80000000, v21
	v_xor_b32_e32 v4, 0x80000000, v23
	s_delay_alu instid0(VALU_DEP_2) | instskip(NEXT) | instid1(VALU_DEP_2)
	v_cndmask_b32_e32 v1, v21, v0, vcc_lo
	v_cndmask_b32_e64 v5, v23, v4, s3
	v_cndmask_b32_e32 v0, v20, v20, vcc_lo
	v_cndmask_b32_e64 v4, v22, v22, s3
	s_delay_alu instid0(VALU_DEP_1) | instskip(SKIP_1) | instid1(SALU_CYCLE_1)
	v_cmp_ngt_f64_e32 vcc_lo, v[0:1], v[4:5]
                                        ; implicit-def: $vgpr0_vgpr1
	s_and_saveexec_b32 s3, vcc_lo
	s_xor_b32 s3, exec_lo, s3
                                        ; implicit-def: $vgpr24_vgpr25_vgpr26_vgpr27
	s_cbranch_execz .LBB121_71
; %bb.70:
	v_div_scale_f64 v[0:1], null, v[22:23], v[22:23], v[20:21]
	v_div_scale_f64 v[24:25], vcc_lo, v[20:21], v[22:23], v[20:21]
	s_delay_alu instid0(VALU_DEP_2) | instskip(SKIP_2) | instid1(VALU_DEP_1)
	v_rcp_f64_e32 v[4:5], v[0:1]
	s_waitcnt_depctr 0xfff
	v_fma_f64 v[6:7], -v[0:1], v[4:5], 1.0
	v_fma_f64 v[4:5], v[4:5], v[6:7], v[4:5]
	s_delay_alu instid0(VALU_DEP_1) | instskip(NEXT) | instid1(VALU_DEP_1)
	v_fma_f64 v[6:7], -v[0:1], v[4:5], 1.0
	v_fma_f64 v[4:5], v[4:5], v[6:7], v[4:5]
	s_delay_alu instid0(VALU_DEP_1) | instskip(NEXT) | instid1(VALU_DEP_1)
	v_mul_f64 v[6:7], v[24:25], v[4:5]
	v_fma_f64 v[0:1], -v[0:1], v[6:7], v[24:25]
	s_delay_alu instid0(VALU_DEP_1) | instskip(NEXT) | instid1(VALU_DEP_1)
	v_div_fmas_f64 v[0:1], v[0:1], v[4:5], v[6:7]
	v_div_fixup_f64 v[0:1], v[0:1], v[22:23], v[20:21]
	s_delay_alu instid0(VALU_DEP_1) | instskip(NEXT) | instid1(VALU_DEP_1)
	v_fma_f64 v[4:5], v[20:21], v[0:1], v[22:23]
	v_div_scale_f64 v[6:7], null, v[4:5], v[4:5], 1.0
	s_delay_alu instid0(VALU_DEP_1) | instskip(SKIP_2) | instid1(VALU_DEP_1)
	v_rcp_f64_e32 v[20:21], v[6:7]
	s_waitcnt_depctr 0xfff
	v_fma_f64 v[22:23], -v[6:7], v[20:21], 1.0
	v_fma_f64 v[20:21], v[20:21], v[22:23], v[20:21]
	s_delay_alu instid0(VALU_DEP_1) | instskip(NEXT) | instid1(VALU_DEP_1)
	v_fma_f64 v[22:23], -v[6:7], v[20:21], 1.0
	v_fma_f64 v[20:21], v[20:21], v[22:23], v[20:21]
	v_div_scale_f64 v[22:23], vcc_lo, 1.0, v[4:5], 1.0
	s_delay_alu instid0(VALU_DEP_1) | instskip(NEXT) | instid1(VALU_DEP_1)
	v_mul_f64 v[24:25], v[22:23], v[20:21]
	v_fma_f64 v[6:7], -v[6:7], v[24:25], v[22:23]
	s_delay_alu instid0(VALU_DEP_1) | instskip(NEXT) | instid1(VALU_DEP_1)
	v_div_fmas_f64 v[6:7], v[6:7], v[20:21], v[24:25]
                                        ; implicit-def: $vgpr20_vgpr21
	v_div_fixup_f64 v[26:27], v[6:7], v[4:5], 1.0
	s_delay_alu instid0(VALU_DEP_1)
	v_mul_f64 v[0:1], v[0:1], v[26:27]
	v_xor_b32_e32 v27, 0x80000000, v27
.LBB121_71:
	s_and_not1_saveexec_b32 s3, s3
	s_cbranch_execz .LBB121_73
; %bb.72:
	v_div_scale_f64 v[0:1], null, v[20:21], v[20:21], v[22:23]
	v_div_scale_f64 v[24:25], vcc_lo, v[22:23], v[20:21], v[22:23]
	s_delay_alu instid0(VALU_DEP_2) | instskip(SKIP_2) | instid1(VALU_DEP_1)
	v_rcp_f64_e32 v[4:5], v[0:1]
	s_waitcnt_depctr 0xfff
	v_fma_f64 v[6:7], -v[0:1], v[4:5], 1.0
	v_fma_f64 v[4:5], v[4:5], v[6:7], v[4:5]
	s_delay_alu instid0(VALU_DEP_1) | instskip(NEXT) | instid1(VALU_DEP_1)
	v_fma_f64 v[6:7], -v[0:1], v[4:5], 1.0
	v_fma_f64 v[4:5], v[4:5], v[6:7], v[4:5]
	s_delay_alu instid0(VALU_DEP_1) | instskip(NEXT) | instid1(VALU_DEP_1)
	v_mul_f64 v[6:7], v[24:25], v[4:5]
	v_fma_f64 v[0:1], -v[0:1], v[6:7], v[24:25]
	s_delay_alu instid0(VALU_DEP_1) | instskip(NEXT) | instid1(VALU_DEP_1)
	v_div_fmas_f64 v[0:1], v[0:1], v[4:5], v[6:7]
	v_div_fixup_f64 v[4:5], v[0:1], v[20:21], v[22:23]
	s_delay_alu instid0(VALU_DEP_1) | instskip(NEXT) | instid1(VALU_DEP_1)
	v_fma_f64 v[0:1], v[22:23], v[4:5], v[20:21]
	v_div_scale_f64 v[6:7], null, v[0:1], v[0:1], 1.0
	s_delay_alu instid0(VALU_DEP_1) | instskip(SKIP_2) | instid1(VALU_DEP_1)
	v_rcp_f64_e32 v[20:21], v[6:7]
	s_waitcnt_depctr 0xfff
	v_fma_f64 v[22:23], -v[6:7], v[20:21], 1.0
	v_fma_f64 v[20:21], v[20:21], v[22:23], v[20:21]
	s_delay_alu instid0(VALU_DEP_1) | instskip(NEXT) | instid1(VALU_DEP_1)
	v_fma_f64 v[22:23], -v[6:7], v[20:21], 1.0
	v_fma_f64 v[20:21], v[20:21], v[22:23], v[20:21]
	v_div_scale_f64 v[22:23], vcc_lo, 1.0, v[0:1], 1.0
	s_delay_alu instid0(VALU_DEP_1) | instskip(NEXT) | instid1(VALU_DEP_1)
	v_mul_f64 v[24:25], v[22:23], v[20:21]
	v_fma_f64 v[6:7], -v[6:7], v[24:25], v[22:23]
	s_delay_alu instid0(VALU_DEP_1) | instskip(NEXT) | instid1(VALU_DEP_1)
	v_div_fmas_f64 v[6:7], v[6:7], v[20:21], v[24:25]
	v_div_fixup_f64 v[0:1], v[6:7], v[0:1], 1.0
	s_delay_alu instid0(VALU_DEP_1)
	v_mul_f64 v[26:27], v[4:5], -v[0:1]
.LBB121_73:
	s_or_b32 exec_lo, exec_lo, s3
	ds_store_2addr_b64 v251, v[0:1], v[26:27] offset1:1
.LBB121_74:
	s_or_b32 exec_lo, exec_lo, s4
	s_waitcnt lgkmcnt(0)
	s_barrier
	buffer_gl0_inv
	ds_load_2addr_b64 v[20:23], v251 offset1:1
	s_mov_b32 s3, exec_lo
	v_cmpx_lt_u32_e32 5, v254
	s_cbranch_execz .LBB121_77
; %bb.75:
	scratch_load_b128 v[29:32], off, off offset:80
	s_mov_b32 s4, 0
	s_waitcnt vmcnt(0) lgkmcnt(0)
	v_mul_f64 v[0:1], v[22:23], v[31:32]
	v_mul_f64 v[4:5], v[20:21], v[31:32]
	s_delay_alu instid0(VALU_DEP_2) | instskip(NEXT) | instid1(VALU_DEP_2)
	v_fma_f64 v[24:25], v[20:21], v[29:30], -v[0:1]
	v_fma_f64 v[26:27], v[22:23], v[29:30], v[4:5]
	v_mov_b32_e32 v0, 0
	scratch_store_b128 off, v[24:27], off offset:80
.LBB121_76:                             ; =>This Inner Loop Header: Depth=1
	v_add_nc_u32_e32 v1, s4, v28
	v_readfirstlane_b32 s5, v0
	ds_load_2addr_b64 v[29:32], v1 offset1:1
	s_add_i32 s5, s5, s4
	s_addk_i32 s4, 0x50
	s_add_i32 s6, s5, 0x60
	s_waitcnt lgkmcnt(0)
	v_mul_f64 v[4:5], v[31:32], v[26:27]
	v_mul_f64 v[6:7], v[29:30], v[26:27]
	s_delay_alu instid0(VALU_DEP_2) | instskip(NEXT) | instid1(VALU_DEP_2)
	v_fma_f64 v[4:5], v[29:30], v[24:25], -v[4:5]
	v_fma_f64 v[6:7], v[31:32], v[24:25], v[6:7]
	scratch_load_b128 v[29:32], off, s6
	s_waitcnt vmcnt(0)
	v_add_f64 v[29:30], v[29:30], -v[4:5]
	v_add_f64 v[31:32], v[31:32], -v[6:7]
	scratch_store_b128 off, v[29:32], s6
	ds_load_2addr_b64 v[29:32], v1 offset0:2 offset1:3
	s_add_i32 s6, s5, 0x70
	s_waitcnt lgkmcnt(0)
	v_mul_f64 v[4:5], v[31:32], v[26:27]
	v_mul_f64 v[6:7], v[29:30], v[26:27]
	s_delay_alu instid0(VALU_DEP_2) | instskip(NEXT) | instid1(VALU_DEP_2)
	v_fma_f64 v[4:5], v[29:30], v[24:25], -v[4:5]
	v_fma_f64 v[6:7], v[31:32], v[24:25], v[6:7]
	scratch_load_b128 v[29:32], off, s6
	s_waitcnt vmcnt(0)
	v_add_f64 v[29:30], v[29:30], -v[4:5]
	v_add_f64 v[31:32], v[31:32], -v[6:7]
	scratch_store_b128 off, v[29:32], s6
	ds_load_2addr_b64 v[29:32], v1 offset0:4 offset1:5
	;; [unrolled: 13-line block ×3, first 2 shown]
	s_add_i32 s6, s5, 0x90
	s_addk_i32 s5, 0xa0
	s_cmpk_lg_i32 s4, 0x370
	s_waitcnt lgkmcnt(0)
	v_mul_f64 v[4:5], v[31:32], v[26:27]
	v_mul_f64 v[6:7], v[29:30], v[26:27]
	s_delay_alu instid0(VALU_DEP_2) | instskip(NEXT) | instid1(VALU_DEP_2)
	v_fma_f64 v[4:5], v[29:30], v[24:25], -v[4:5]
	v_fma_f64 v[6:7], v[31:32], v[24:25], v[6:7]
	scratch_load_b128 v[29:32], off, s6
	s_waitcnt vmcnt(0)
	v_add_f64 v[29:30], v[29:30], -v[4:5]
	v_add_f64 v[31:32], v[31:32], -v[6:7]
	scratch_store_b128 off, v[29:32], s6
	ds_load_2addr_b64 v[29:32], v1 offset0:8 offset1:9
	s_waitcnt lgkmcnt(0)
	v_mul_f64 v[4:5], v[31:32], v[26:27]
	v_mul_f64 v[6:7], v[29:30], v[26:27]
	s_delay_alu instid0(VALU_DEP_2) | instskip(NEXT) | instid1(VALU_DEP_2)
	v_fma_f64 v[4:5], v[29:30], v[24:25], -v[4:5]
	v_fma_f64 v[6:7], v[31:32], v[24:25], v[6:7]
	scratch_load_b128 v[29:32], off, s5
	s_waitcnt vmcnt(0)
	v_add_f64 v[29:30], v[29:30], -v[4:5]
	v_add_f64 v[31:32], v[31:32], -v[6:7]
	scratch_store_b128 off, v[29:32], s5
	s_cbranch_scc1 .LBB121_76
.LBB121_77:
	s_or_b32 exec_lo, exec_lo, s3
	v_add3_u32 v32, v176, 0, 0x70
	s_mov_b32 s4, exec_lo
	s_waitcnt lgkmcnt(0)
	s_waitcnt_vscnt null, 0x0
	s_barrier
	buffer_gl0_inv
	v_cmpx_eq_u32_e32 6, v254
	s_cbranch_execz .LBB121_86
; %bb.78:
	scratch_load_b128 v[24:27], v65, off
	v_mov_b32_e32 v0, 0
	s_movk_i32 s3, 0xfca0
	s_waitcnt vmcnt(0)
	ds_store_2addr_b64 v251, v[24:25], v[26:27] offset1:1
.LBB121_79:                             ; =>This Inner Loop Header: Depth=1
	v_readfirstlane_b32 s5, v0
	v_add_nc_u32_e32 v1, s3, v32
	s_delay_alu instid0(VALU_DEP_2)
	s_add_i32 s5, s5, s3
	s_addk_i32 s3, 0x120
	s_add_i32 s6, s5, 0x3d0
	scratch_load_b128 v[24:27], off, s6
	s_add_i32 s6, s5, 0x3e0
	s_waitcnt vmcnt(0)
	ds_store_2addr_b64 v1, v[24:25], v[26:27] offset0:108 offset1:109
	scratch_load_b128 v[24:27], off, s6
	s_add_i32 s6, s5, 0x3f0
	s_waitcnt vmcnt(0)
	ds_store_2addr_b64 v1, v[24:25], v[26:27] offset0:110 offset1:111
	;; [unrolled: 4-line block ×15, first 2 shown]
	scratch_load_b128 v[24:27], off, s6
	s_add_i32 s6, s5, 0x4d0
	s_addk_i32 s5, 0x4e0
	s_cmp_lg_u32 s3, 0
	s_waitcnt vmcnt(0)
	ds_store_2addr_b64 v1, v[24:25], v[26:27] offset0:138 offset1:139
	scratch_load_b128 v[24:27], off, s6
	s_waitcnt vmcnt(0)
	ds_store_2addr_b64 v1, v[24:25], v[26:27] offset0:140 offset1:141
	scratch_load_b128 v[24:27], off, s5
	s_waitcnt vmcnt(0)
	ds_store_2addr_b64 v1, v[24:25], v[26:27] offset0:142 offset1:143
	s_cbranch_scc1 .LBB121_79
; %bb.80:
	ds_load_2addr_b64 v[24:27], v251 offset1:1
	s_waitcnt lgkmcnt(0)
	v_cmp_neq_f64_e32 vcc_lo, 0, v[24:25]
	v_cmp_neq_f64_e64 s3, 0, v[26:27]
	s_delay_alu instid0(VALU_DEP_1) | instskip(NEXT) | instid1(SALU_CYCLE_1)
	s_or_b32 s3, vcc_lo, s3
	s_and_b32 exec_lo, exec_lo, s3
	s_cbranch_execz .LBB121_86
; %bb.81:
	v_cmp_gt_f64_e32 vcc_lo, 0, v[24:25]
	v_cmp_gt_f64_e64 s3, 0, v[26:27]
	v_xor_b32_e32 v0, 0x80000000, v25
	v_xor_b32_e32 v4, 0x80000000, v27
	s_delay_alu instid0(VALU_DEP_2) | instskip(NEXT) | instid1(VALU_DEP_2)
	v_cndmask_b32_e32 v1, v25, v0, vcc_lo
	v_cndmask_b32_e64 v5, v27, v4, s3
	v_cndmask_b32_e32 v0, v24, v24, vcc_lo
	v_cndmask_b32_e64 v4, v26, v26, s3
	s_delay_alu instid0(VALU_DEP_1) | instskip(SKIP_1) | instid1(SALU_CYCLE_1)
	v_cmp_ngt_f64_e32 vcc_lo, v[0:1], v[4:5]
                                        ; implicit-def: $vgpr0_vgpr1
	s_and_saveexec_b32 s3, vcc_lo
	s_xor_b32 s3, exec_lo, s3
                                        ; implicit-def: $vgpr28_vgpr29_vgpr30_vgpr31
	s_cbranch_execz .LBB121_83
; %bb.82:
	v_div_scale_f64 v[0:1], null, v[26:27], v[26:27], v[24:25]
	v_div_scale_f64 v[28:29], vcc_lo, v[24:25], v[26:27], v[24:25]
	s_delay_alu instid0(VALU_DEP_2) | instskip(SKIP_2) | instid1(VALU_DEP_1)
	v_rcp_f64_e32 v[4:5], v[0:1]
	s_waitcnt_depctr 0xfff
	v_fma_f64 v[6:7], -v[0:1], v[4:5], 1.0
	v_fma_f64 v[4:5], v[4:5], v[6:7], v[4:5]
	s_delay_alu instid0(VALU_DEP_1) | instskip(NEXT) | instid1(VALU_DEP_1)
	v_fma_f64 v[6:7], -v[0:1], v[4:5], 1.0
	v_fma_f64 v[4:5], v[4:5], v[6:7], v[4:5]
	s_delay_alu instid0(VALU_DEP_1) | instskip(NEXT) | instid1(VALU_DEP_1)
	v_mul_f64 v[6:7], v[28:29], v[4:5]
	v_fma_f64 v[0:1], -v[0:1], v[6:7], v[28:29]
	s_delay_alu instid0(VALU_DEP_1) | instskip(NEXT) | instid1(VALU_DEP_1)
	v_div_fmas_f64 v[0:1], v[0:1], v[4:5], v[6:7]
	v_div_fixup_f64 v[0:1], v[0:1], v[26:27], v[24:25]
	s_delay_alu instid0(VALU_DEP_1) | instskip(NEXT) | instid1(VALU_DEP_1)
	v_fma_f64 v[4:5], v[24:25], v[0:1], v[26:27]
	v_div_scale_f64 v[6:7], null, v[4:5], v[4:5], 1.0
	s_delay_alu instid0(VALU_DEP_1) | instskip(SKIP_2) | instid1(VALU_DEP_1)
	v_rcp_f64_e32 v[24:25], v[6:7]
	s_waitcnt_depctr 0xfff
	v_fma_f64 v[26:27], -v[6:7], v[24:25], 1.0
	v_fma_f64 v[24:25], v[24:25], v[26:27], v[24:25]
	s_delay_alu instid0(VALU_DEP_1) | instskip(NEXT) | instid1(VALU_DEP_1)
	v_fma_f64 v[26:27], -v[6:7], v[24:25], 1.0
	v_fma_f64 v[24:25], v[24:25], v[26:27], v[24:25]
	v_div_scale_f64 v[26:27], vcc_lo, 1.0, v[4:5], 1.0
	s_delay_alu instid0(VALU_DEP_1) | instskip(NEXT) | instid1(VALU_DEP_1)
	v_mul_f64 v[28:29], v[26:27], v[24:25]
	v_fma_f64 v[6:7], -v[6:7], v[28:29], v[26:27]
	s_delay_alu instid0(VALU_DEP_1) | instskip(NEXT) | instid1(VALU_DEP_1)
	v_div_fmas_f64 v[6:7], v[6:7], v[24:25], v[28:29]
                                        ; implicit-def: $vgpr24_vgpr25
	v_div_fixup_f64 v[30:31], v[6:7], v[4:5], 1.0
	s_delay_alu instid0(VALU_DEP_1)
	v_mul_f64 v[0:1], v[0:1], v[30:31]
	v_xor_b32_e32 v31, 0x80000000, v31
.LBB121_83:
	s_and_not1_saveexec_b32 s3, s3
	s_cbranch_execz .LBB121_85
; %bb.84:
	v_div_scale_f64 v[0:1], null, v[24:25], v[24:25], v[26:27]
	v_div_scale_f64 v[28:29], vcc_lo, v[26:27], v[24:25], v[26:27]
	s_delay_alu instid0(VALU_DEP_2) | instskip(SKIP_2) | instid1(VALU_DEP_1)
	v_rcp_f64_e32 v[4:5], v[0:1]
	s_waitcnt_depctr 0xfff
	v_fma_f64 v[6:7], -v[0:1], v[4:5], 1.0
	v_fma_f64 v[4:5], v[4:5], v[6:7], v[4:5]
	s_delay_alu instid0(VALU_DEP_1) | instskip(NEXT) | instid1(VALU_DEP_1)
	v_fma_f64 v[6:7], -v[0:1], v[4:5], 1.0
	v_fma_f64 v[4:5], v[4:5], v[6:7], v[4:5]
	s_delay_alu instid0(VALU_DEP_1) | instskip(NEXT) | instid1(VALU_DEP_1)
	v_mul_f64 v[6:7], v[28:29], v[4:5]
	v_fma_f64 v[0:1], -v[0:1], v[6:7], v[28:29]
	s_delay_alu instid0(VALU_DEP_1) | instskip(NEXT) | instid1(VALU_DEP_1)
	v_div_fmas_f64 v[0:1], v[0:1], v[4:5], v[6:7]
	v_div_fixup_f64 v[4:5], v[0:1], v[24:25], v[26:27]
	s_delay_alu instid0(VALU_DEP_1) | instskip(NEXT) | instid1(VALU_DEP_1)
	v_fma_f64 v[0:1], v[26:27], v[4:5], v[24:25]
	v_div_scale_f64 v[6:7], null, v[0:1], v[0:1], 1.0
	s_delay_alu instid0(VALU_DEP_1) | instskip(SKIP_2) | instid1(VALU_DEP_1)
	v_rcp_f64_e32 v[24:25], v[6:7]
	s_waitcnt_depctr 0xfff
	v_fma_f64 v[26:27], -v[6:7], v[24:25], 1.0
	v_fma_f64 v[24:25], v[24:25], v[26:27], v[24:25]
	s_delay_alu instid0(VALU_DEP_1) | instskip(NEXT) | instid1(VALU_DEP_1)
	v_fma_f64 v[26:27], -v[6:7], v[24:25], 1.0
	v_fma_f64 v[24:25], v[24:25], v[26:27], v[24:25]
	v_div_scale_f64 v[26:27], vcc_lo, 1.0, v[0:1], 1.0
	s_delay_alu instid0(VALU_DEP_1) | instskip(NEXT) | instid1(VALU_DEP_1)
	v_mul_f64 v[28:29], v[26:27], v[24:25]
	v_fma_f64 v[6:7], -v[6:7], v[28:29], v[26:27]
	s_delay_alu instid0(VALU_DEP_1) | instskip(NEXT) | instid1(VALU_DEP_1)
	v_div_fmas_f64 v[6:7], v[6:7], v[24:25], v[28:29]
	v_div_fixup_f64 v[0:1], v[6:7], v[0:1], 1.0
	s_delay_alu instid0(VALU_DEP_1)
	v_mul_f64 v[30:31], v[4:5], -v[0:1]
.LBB121_85:
	s_or_b32 exec_lo, exec_lo, s3
	ds_store_2addr_b64 v251, v[0:1], v[30:31] offset1:1
.LBB121_86:
	s_or_b32 exec_lo, exec_lo, s4
	s_waitcnt lgkmcnt(0)
	s_barrier
	buffer_gl0_inv
	ds_load_2addr_b64 v[24:27], v251 offset1:1
	s_mov_b32 s3, exec_lo
	v_cmpx_lt_u32_e32 6, v254
	s_cbranch_execz .LBB121_89
; %bb.87:
	scratch_load_b128 v[33:36], off, off offset:96
	s_mov_b32 s4, 0
	s_waitcnt vmcnt(0) lgkmcnt(0)
	v_mul_f64 v[0:1], v[26:27], v[35:36]
	v_mul_f64 v[4:5], v[24:25], v[35:36]
	s_delay_alu instid0(VALU_DEP_2) | instskip(NEXT) | instid1(VALU_DEP_2)
	v_fma_f64 v[28:29], v[24:25], v[33:34], -v[0:1]
	v_fma_f64 v[30:31], v[26:27], v[33:34], v[4:5]
	v_mov_b32_e32 v0, 0
	scratch_store_b128 off, v[28:31], off offset:96
.LBB121_88:                             ; =>This Inner Loop Header: Depth=1
	v_add_nc_u32_e32 v1, s4, v32
	v_readfirstlane_b32 s5, v0
	ds_load_2addr_b64 v[33:36], v1 offset1:1
	s_add_i32 s5, s5, s4
	s_addk_i32 s4, 0x60
	s_add_i32 s6, s5, 0x70
	s_waitcnt lgkmcnt(0)
	v_mul_f64 v[4:5], v[35:36], v[30:31]
	v_mul_f64 v[6:7], v[33:34], v[30:31]
	s_delay_alu instid0(VALU_DEP_2) | instskip(NEXT) | instid1(VALU_DEP_2)
	v_fma_f64 v[4:5], v[33:34], v[28:29], -v[4:5]
	v_fma_f64 v[6:7], v[35:36], v[28:29], v[6:7]
	scratch_load_b128 v[33:36], off, s6
	s_waitcnt vmcnt(0)
	v_add_f64 v[33:34], v[33:34], -v[4:5]
	v_add_f64 v[35:36], v[35:36], -v[6:7]
	scratch_store_b128 off, v[33:36], s6
	ds_load_2addr_b64 v[33:36], v1 offset0:2 offset1:3
	s_add_i32 s6, s5, 0x80
	s_waitcnt lgkmcnt(0)
	v_mul_f64 v[4:5], v[35:36], v[30:31]
	v_mul_f64 v[6:7], v[33:34], v[30:31]
	s_delay_alu instid0(VALU_DEP_2) | instskip(NEXT) | instid1(VALU_DEP_2)
	v_fma_f64 v[4:5], v[33:34], v[28:29], -v[4:5]
	v_fma_f64 v[6:7], v[35:36], v[28:29], v[6:7]
	scratch_load_b128 v[33:36], off, s6
	s_waitcnt vmcnt(0)
	v_add_f64 v[33:34], v[33:34], -v[4:5]
	v_add_f64 v[35:36], v[35:36], -v[6:7]
	scratch_store_b128 off, v[33:36], s6
	ds_load_2addr_b64 v[33:36], v1 offset0:4 offset1:5
	;; [unrolled: 13-line block ×4, first 2 shown]
	s_add_i32 s6, s5, 0xb0
	s_addk_i32 s5, 0xc0
	s_cmpk_lg_i32 s4, 0x360
	s_waitcnt lgkmcnt(0)
	v_mul_f64 v[4:5], v[35:36], v[30:31]
	v_mul_f64 v[6:7], v[33:34], v[30:31]
	s_delay_alu instid0(VALU_DEP_2) | instskip(NEXT) | instid1(VALU_DEP_2)
	v_fma_f64 v[4:5], v[33:34], v[28:29], -v[4:5]
	v_fma_f64 v[6:7], v[35:36], v[28:29], v[6:7]
	scratch_load_b128 v[33:36], off, s6
	s_waitcnt vmcnt(0)
	v_add_f64 v[33:34], v[33:34], -v[4:5]
	v_add_f64 v[35:36], v[35:36], -v[6:7]
	scratch_store_b128 off, v[33:36], s6
	ds_load_2addr_b64 v[33:36], v1 offset0:10 offset1:11
	s_waitcnt lgkmcnt(0)
	v_mul_f64 v[4:5], v[35:36], v[30:31]
	v_mul_f64 v[6:7], v[33:34], v[30:31]
	s_delay_alu instid0(VALU_DEP_2) | instskip(NEXT) | instid1(VALU_DEP_2)
	v_fma_f64 v[4:5], v[33:34], v[28:29], -v[4:5]
	v_fma_f64 v[6:7], v[35:36], v[28:29], v[6:7]
	scratch_load_b128 v[33:36], off, s5
	s_waitcnt vmcnt(0)
	v_add_f64 v[33:34], v[33:34], -v[4:5]
	v_add_f64 v[35:36], v[35:36], -v[6:7]
	scratch_store_b128 off, v[33:36], s5
	s_cbranch_scc1 .LBB121_88
.LBB121_89:
	s_or_b32 exec_lo, exec_lo, s3
	v_dual_mov_b32 v10, v67 :: v_dual_mov_b32 v9, v65
	v_add_nc_u32_e32 v244, 0, v176
	s_mov_b32 s4, exec_lo
	scratch_store_b32 off, v66, off offset:1644 ; 4-byte Folded Spill
	s_waitcnt lgkmcnt(0)
	s_waitcnt_vscnt null, 0x0
	s_barrier
	buffer_gl0_inv
	v_cmpx_eq_u32_e32 7, v254
	s_cbranch_execz .LBB121_100
; %bb.90:
	scratch_load_b32 v0, off, off offset:1160 ; 4-byte Folded Reload
	s_movk_i32 s3, 0xfd00
	s_waitcnt vmcnt(0)
	scratch_load_b128 v[28:31], v0, off
	v_mov_b32_e32 v0, 0
	s_waitcnt vmcnt(0)
	ds_store_2addr_b64 v251, v[28:29], v[30:31] offset1:1
	s_branch .LBB121_92
.LBB121_91:                             ;   in Loop: Header=BB121_92 Depth=1
	s_add_i32 s6, s5, 0x3d0
	s_add_i32 s7, s5, 0x3e0
	s_addk_i32 s5, 0x3f0
	s_clause 0x2
	scratch_load_b128 v[28:31], off, s6
	scratch_load_b128 v[32:35], off, s7
	;; [unrolled: 1-line block ×3, first 2 shown]
	s_addk_i32 s3, 0x80
	s_waitcnt vmcnt(2)
	ds_store_2addr_b64 v1, v[28:29], v[30:31] offset0:122 offset1:123
	s_waitcnt vmcnt(1)
	ds_store_2addr_b64 v1, v[32:33], v[34:35] offset0:124 offset1:125
	;; [unrolled: 2-line block ×3, first 2 shown]
	s_cbranch_execz .LBB121_94
.LBB121_92:                             ; =>This Inner Loop Header: Depth=1
	v_readfirstlane_b32 s5, v0
	v_add_nc_u32_e32 v1, s3, v244
	s_delay_alu instid0(VALU_DEP_2) | instskip(NEXT) | instid1(SALU_CYCLE_1)
	s_add_i32 s5, s5, s3
	s_add_i32 s6, s5, 0x380
	;; [unrolled: 1-line block ×6, first 2 shown]
	s_clause 0x4
	scratch_load_b128 v[28:31], off, s6
	scratch_load_b128 v[32:35], off, s7
	scratch_load_b128 v[36:39], off, s8
	scratch_load_b128 v[40:43], off, s9
	scratch_load_b128 v[44:47], off, s10
	s_cmp_eq_u32 s3, 0
	s_waitcnt vmcnt(4)
	ds_store_2addr_b64 v1, v[28:29], v[30:31] offset0:112 offset1:113
	s_waitcnt vmcnt(3)
	ds_store_2addr_b64 v1, v[32:33], v[34:35] offset0:114 offset1:115
	;; [unrolled: 2-line block ×5, first 2 shown]
	s_cbranch_scc0 .LBB121_91
; %bb.93:
                                        ; implicit-def: $sgpr3
.LBB121_94:
	ds_load_2addr_b64 v[28:31], v251 offset1:1
	s_waitcnt lgkmcnt(0)
	v_cmp_neq_f64_e32 vcc_lo, 0, v[28:29]
	v_cmp_neq_f64_e64 s3, 0, v[30:31]
	s_delay_alu instid0(VALU_DEP_1) | instskip(NEXT) | instid1(SALU_CYCLE_1)
	s_or_b32 s3, vcc_lo, s3
	s_and_b32 exec_lo, exec_lo, s3
	s_cbranch_execz .LBB121_100
; %bb.95:
	v_cmp_gt_f64_e32 vcc_lo, 0, v[28:29]
	v_cmp_gt_f64_e64 s3, 0, v[30:31]
	v_xor_b32_e32 v0, 0x80000000, v29
	v_xor_b32_e32 v4, 0x80000000, v31
	s_delay_alu instid0(VALU_DEP_2) | instskip(NEXT) | instid1(VALU_DEP_2)
	v_cndmask_b32_e32 v1, v29, v0, vcc_lo
	v_cndmask_b32_e64 v5, v31, v4, s3
	v_cndmask_b32_e32 v0, v28, v28, vcc_lo
	v_cndmask_b32_e64 v4, v30, v30, s3
	s_delay_alu instid0(VALU_DEP_1) | instskip(SKIP_1) | instid1(SALU_CYCLE_1)
	v_cmp_ngt_f64_e32 vcc_lo, v[0:1], v[4:5]
                                        ; implicit-def: $vgpr0_vgpr1
	s_and_saveexec_b32 s3, vcc_lo
	s_xor_b32 s3, exec_lo, s3
                                        ; implicit-def: $vgpr32_vgpr33_vgpr34_vgpr35
	s_cbranch_execz .LBB121_97
; %bb.96:
	v_div_scale_f64 v[0:1], null, v[30:31], v[30:31], v[28:29]
	v_div_scale_f64 v[32:33], vcc_lo, v[28:29], v[30:31], v[28:29]
	s_delay_alu instid0(VALU_DEP_2) | instskip(SKIP_2) | instid1(VALU_DEP_1)
	v_rcp_f64_e32 v[4:5], v[0:1]
	s_waitcnt_depctr 0xfff
	v_fma_f64 v[6:7], -v[0:1], v[4:5], 1.0
	v_fma_f64 v[4:5], v[4:5], v[6:7], v[4:5]
	s_delay_alu instid0(VALU_DEP_1) | instskip(NEXT) | instid1(VALU_DEP_1)
	v_fma_f64 v[6:7], -v[0:1], v[4:5], 1.0
	v_fma_f64 v[4:5], v[4:5], v[6:7], v[4:5]
	s_delay_alu instid0(VALU_DEP_1) | instskip(NEXT) | instid1(VALU_DEP_1)
	v_mul_f64 v[6:7], v[32:33], v[4:5]
	v_fma_f64 v[0:1], -v[0:1], v[6:7], v[32:33]
	s_delay_alu instid0(VALU_DEP_1) | instskip(NEXT) | instid1(VALU_DEP_1)
	v_div_fmas_f64 v[0:1], v[0:1], v[4:5], v[6:7]
	v_div_fixup_f64 v[0:1], v[0:1], v[30:31], v[28:29]
	s_delay_alu instid0(VALU_DEP_1) | instskip(NEXT) | instid1(VALU_DEP_1)
	v_fma_f64 v[4:5], v[28:29], v[0:1], v[30:31]
	v_div_scale_f64 v[6:7], null, v[4:5], v[4:5], 1.0
	s_delay_alu instid0(VALU_DEP_1) | instskip(SKIP_2) | instid1(VALU_DEP_1)
	v_rcp_f64_e32 v[28:29], v[6:7]
	s_waitcnt_depctr 0xfff
	v_fma_f64 v[30:31], -v[6:7], v[28:29], 1.0
	v_fma_f64 v[28:29], v[28:29], v[30:31], v[28:29]
	s_delay_alu instid0(VALU_DEP_1) | instskip(NEXT) | instid1(VALU_DEP_1)
	v_fma_f64 v[30:31], -v[6:7], v[28:29], 1.0
	v_fma_f64 v[28:29], v[28:29], v[30:31], v[28:29]
	v_div_scale_f64 v[30:31], vcc_lo, 1.0, v[4:5], 1.0
	s_delay_alu instid0(VALU_DEP_1) | instskip(NEXT) | instid1(VALU_DEP_1)
	v_mul_f64 v[32:33], v[30:31], v[28:29]
	v_fma_f64 v[6:7], -v[6:7], v[32:33], v[30:31]
	s_delay_alu instid0(VALU_DEP_1) | instskip(NEXT) | instid1(VALU_DEP_1)
	v_div_fmas_f64 v[6:7], v[6:7], v[28:29], v[32:33]
                                        ; implicit-def: $vgpr28_vgpr29
	v_div_fixup_f64 v[34:35], v[6:7], v[4:5], 1.0
	s_delay_alu instid0(VALU_DEP_1)
	v_mul_f64 v[0:1], v[0:1], v[34:35]
	v_xor_b32_e32 v35, 0x80000000, v35
.LBB121_97:
	s_and_not1_saveexec_b32 s3, s3
	s_cbranch_execz .LBB121_99
; %bb.98:
	v_div_scale_f64 v[0:1], null, v[28:29], v[28:29], v[30:31]
	v_div_scale_f64 v[32:33], vcc_lo, v[30:31], v[28:29], v[30:31]
	s_delay_alu instid0(VALU_DEP_2) | instskip(SKIP_2) | instid1(VALU_DEP_1)
	v_rcp_f64_e32 v[4:5], v[0:1]
	s_waitcnt_depctr 0xfff
	v_fma_f64 v[6:7], -v[0:1], v[4:5], 1.0
	v_fma_f64 v[4:5], v[4:5], v[6:7], v[4:5]
	s_delay_alu instid0(VALU_DEP_1) | instskip(NEXT) | instid1(VALU_DEP_1)
	v_fma_f64 v[6:7], -v[0:1], v[4:5], 1.0
	v_fma_f64 v[4:5], v[4:5], v[6:7], v[4:5]
	s_delay_alu instid0(VALU_DEP_1) | instskip(NEXT) | instid1(VALU_DEP_1)
	v_mul_f64 v[6:7], v[32:33], v[4:5]
	v_fma_f64 v[0:1], -v[0:1], v[6:7], v[32:33]
	s_delay_alu instid0(VALU_DEP_1) | instskip(NEXT) | instid1(VALU_DEP_1)
	v_div_fmas_f64 v[0:1], v[0:1], v[4:5], v[6:7]
	v_div_fixup_f64 v[4:5], v[0:1], v[28:29], v[30:31]
	s_delay_alu instid0(VALU_DEP_1) | instskip(NEXT) | instid1(VALU_DEP_1)
	v_fma_f64 v[0:1], v[30:31], v[4:5], v[28:29]
	v_div_scale_f64 v[6:7], null, v[0:1], v[0:1], 1.0
	s_delay_alu instid0(VALU_DEP_1) | instskip(SKIP_2) | instid1(VALU_DEP_1)
	v_rcp_f64_e32 v[28:29], v[6:7]
	s_waitcnt_depctr 0xfff
	v_fma_f64 v[30:31], -v[6:7], v[28:29], 1.0
	v_fma_f64 v[28:29], v[28:29], v[30:31], v[28:29]
	s_delay_alu instid0(VALU_DEP_1) | instskip(NEXT) | instid1(VALU_DEP_1)
	v_fma_f64 v[30:31], -v[6:7], v[28:29], 1.0
	v_fma_f64 v[28:29], v[28:29], v[30:31], v[28:29]
	v_div_scale_f64 v[30:31], vcc_lo, 1.0, v[0:1], 1.0
	s_delay_alu instid0(VALU_DEP_1) | instskip(NEXT) | instid1(VALU_DEP_1)
	v_mul_f64 v[32:33], v[30:31], v[28:29]
	v_fma_f64 v[6:7], -v[6:7], v[32:33], v[30:31]
	s_delay_alu instid0(VALU_DEP_1) | instskip(NEXT) | instid1(VALU_DEP_1)
	v_div_fmas_f64 v[6:7], v[6:7], v[28:29], v[32:33]
	v_div_fixup_f64 v[0:1], v[6:7], v[0:1], 1.0
	s_delay_alu instid0(VALU_DEP_1)
	v_mul_f64 v[34:35], v[4:5], -v[0:1]
.LBB121_99:
	s_or_b32 exec_lo, exec_lo, s3
	ds_store_2addr_b64 v251, v[0:1], v[34:35] offset1:1
.LBB121_100:
	s_or_b32 exec_lo, exec_lo, s4
	s_waitcnt lgkmcnt(0)
	s_barrier
	buffer_gl0_inv
	ds_load_2addr_b64 v[28:31], v251 offset1:1
	s_mov_b32 s3, exec_lo
	v_cmpx_lt_u32_e32 7, v254
	s_cbranch_execz .LBB121_105
; %bb.101:
	scratch_load_b128 v[34:37], off, off offset:112
	s_mov_b32 s4, 0
	s_waitcnt vmcnt(0) lgkmcnt(0)
	v_mul_f64 v[0:1], v[30:31], v[36:37]
	v_mul_f64 v[4:5], v[28:29], v[36:37]
	s_delay_alu instid0(VALU_DEP_2) | instskip(NEXT) | instid1(VALU_DEP_2)
	v_fma_f64 v[32:33], v[28:29], v[34:35], -v[0:1]
	v_fma_f64 v[34:35], v[30:31], v[34:35], v[4:5]
	v_add3_u32 v0, v176, 0, 0x80
	v_mov_b32_e32 v1, 0
	scratch_store_b128 off, v[32:35], off offset:112
	s_branch .LBB121_103
.LBB121_102:                            ;   in Loop: Header=BB121_103 Depth=1
	s_and_not1_b32 vcc_lo, exec_lo, s6
	s_cbranch_vccz .LBB121_105
.LBB121_103:                            ; =>This Inner Loop Header: Depth=1
	v_readfirstlane_b32 s5, v1
	v_add_nc_u32_e32 v36, s4, v0
	s_mov_b32 s6, -1
	s_delay_alu instid0(VALU_DEP_2)
	s_add_i32 s5, s5, s4
	ds_load_2addr_b64 v[41:44], v36 offset1:1
	s_add_i32 s7, s5, 0x80
	s_cmpk_eq_i32 s4, 0x340
	scratch_load_b128 v[37:40], off, s7
	s_waitcnt lgkmcnt(0)
	v_mul_f64 v[4:5], v[43:44], v[34:35]
	v_mul_f64 v[6:7], v[41:42], v[34:35]
	s_delay_alu instid0(VALU_DEP_2) | instskip(NEXT) | instid1(VALU_DEP_2)
	v_fma_f64 v[4:5], v[41:42], v[32:33], -v[4:5]
	v_fma_f64 v[6:7], v[43:44], v[32:33], v[6:7]
	s_waitcnt vmcnt(0)
	s_delay_alu instid0(VALU_DEP_2) | instskip(NEXT) | instid1(VALU_DEP_2)
	v_add_f64 v[37:38], v[37:38], -v[4:5]
	v_add_f64 v[39:40], v[39:40], -v[6:7]
	scratch_store_b128 off, v[37:40], s7
	s_cbranch_scc1 .LBB121_102
; %bb.104:                              ;   in Loop: Header=BB121_103 Depth=1
	ds_load_2addr_b64 v[37:40], v36 offset0:2 offset1:3
	s_add_i32 s6, s5, 0x90
	s_add_i32 s4, s4, 64
	s_waitcnt lgkmcnt(0)
	v_mul_f64 v[4:5], v[39:40], v[34:35]
	v_mul_f64 v[6:7], v[37:38], v[34:35]
	s_delay_alu instid0(VALU_DEP_2) | instskip(NEXT) | instid1(VALU_DEP_2)
	v_fma_f64 v[4:5], v[37:38], v[32:33], -v[4:5]
	v_fma_f64 v[6:7], v[39:40], v[32:33], v[6:7]
	scratch_load_b128 v[37:40], off, s6
	s_waitcnt vmcnt(0)
	v_add_f64 v[37:38], v[37:38], -v[4:5]
	v_add_f64 v[39:40], v[39:40], -v[6:7]
	scratch_store_b128 off, v[37:40], s6
	ds_load_2addr_b64 v[37:40], v36 offset0:4 offset1:5
	s_add_i32 s6, s5, 0xa0
	s_addk_i32 s5, 0xb0
	s_waitcnt lgkmcnt(0)
	v_mul_f64 v[4:5], v[39:40], v[34:35]
	v_mul_f64 v[6:7], v[37:38], v[34:35]
	s_delay_alu instid0(VALU_DEP_2) | instskip(NEXT) | instid1(VALU_DEP_2)
	v_fma_f64 v[4:5], v[37:38], v[32:33], -v[4:5]
	v_fma_f64 v[6:7], v[39:40], v[32:33], v[6:7]
	scratch_load_b128 v[37:40], off, s6
	s_waitcnt vmcnt(0)
	v_add_f64 v[37:38], v[37:38], -v[4:5]
	v_add_f64 v[39:40], v[39:40], -v[6:7]
	scratch_store_b128 off, v[37:40], s6
	ds_load_2addr_b64 v[36:39], v36 offset0:6 offset1:7
	s_mov_b32 s6, 0
	s_waitcnt lgkmcnt(0)
	v_mul_f64 v[4:5], v[38:39], v[34:35]
	v_mul_f64 v[6:7], v[36:37], v[34:35]
	s_delay_alu instid0(VALU_DEP_2) | instskip(NEXT) | instid1(VALU_DEP_2)
	v_fma_f64 v[4:5], v[36:37], v[32:33], -v[4:5]
	v_fma_f64 v[6:7], v[38:39], v[32:33], v[6:7]
	scratch_load_b128 v[36:39], off, s5
	s_waitcnt vmcnt(0)
	v_add_f64 v[36:37], v[36:37], -v[4:5]
	v_add_f64 v[38:39], v[38:39], -v[6:7]
	scratch_store_b128 off, v[36:39], s5
	s_branch .LBB121_102
.LBB121_105:
	s_or_b32 exec_lo, exec_lo, s3
	v_add3_u32 v40, v176, 0, 0x90
	s_mov_b32 s4, exec_lo
	s_waitcnt lgkmcnt(0)
	s_waitcnt_vscnt null, 0x0
	s_barrier
	buffer_gl0_inv
	v_cmpx_eq_u32_e32 8, v254
	s_cbranch_execz .LBB121_114
; %bb.106:
	scratch_load_b32 v0, off, off offset:1156 ; 4-byte Folded Reload
	s_movk_i32 s3, 0xfcc0
	s_waitcnt vmcnt(0)
	scratch_load_b128 v[32:35], v0, off
	v_mov_b32_e32 v0, 0
	s_waitcnt vmcnt(0)
	ds_store_2addr_b64 v251, v[32:33], v[34:35] offset1:1
.LBB121_107:                            ; =>This Inner Loop Header: Depth=1
	v_readfirstlane_b32 s5, v0
	v_add_nc_u32_e32 v1, s3, v40
	s_delay_alu instid0(VALU_DEP_2)
	s_add_i32 s5, s5, s3
	s_addk_i32 s3, 0xd0
	s_add_i32 s6, s5, 0x3d0
	scratch_load_b128 v[32:35], off, s6
	s_add_i32 s6, s5, 0x3e0
	s_waitcnt vmcnt(0)
	ds_store_2addr_b64 v1, v[32:33], v[34:35] offset0:104 offset1:105
	scratch_load_b128 v[32:35], off, s6
	s_add_i32 s6, s5, 0x3f0
	s_waitcnt vmcnt(0)
	ds_store_2addr_b64 v1, v[32:33], v[34:35] offset0:106 offset1:107
	;; [unrolled: 4-line block ×10, first 2 shown]
	scratch_load_b128 v[32:35], off, s6
	s_add_i32 s6, s5, 0x480
	s_addk_i32 s5, 0x490
	s_cmp_lg_u32 s3, 0
	s_waitcnt vmcnt(0)
	ds_store_2addr_b64 v1, v[32:33], v[34:35] offset0:124 offset1:125
	scratch_load_b128 v[32:35], off, s6
	s_waitcnt vmcnt(0)
	ds_store_2addr_b64 v1, v[32:33], v[34:35] offset0:126 offset1:127
	scratch_load_b128 v[32:35], off, s5
	s_waitcnt vmcnt(0)
	ds_store_2addr_b64 v1, v[32:33], v[34:35] offset0:128 offset1:129
	s_cbranch_scc1 .LBB121_107
; %bb.108:
	ds_load_2addr_b64 v[32:35], v251 offset1:1
	s_waitcnt lgkmcnt(0)
	v_cmp_neq_f64_e32 vcc_lo, 0, v[32:33]
	v_cmp_neq_f64_e64 s3, 0, v[34:35]
	s_delay_alu instid0(VALU_DEP_1) | instskip(NEXT) | instid1(SALU_CYCLE_1)
	s_or_b32 s3, vcc_lo, s3
	s_and_b32 exec_lo, exec_lo, s3
	s_cbranch_execz .LBB121_114
; %bb.109:
	v_cmp_gt_f64_e32 vcc_lo, 0, v[32:33]
	v_cmp_gt_f64_e64 s3, 0, v[34:35]
	v_xor_b32_e32 v0, 0x80000000, v33
	v_xor_b32_e32 v4, 0x80000000, v35
	s_delay_alu instid0(VALU_DEP_2) | instskip(NEXT) | instid1(VALU_DEP_2)
	v_cndmask_b32_e32 v1, v33, v0, vcc_lo
	v_cndmask_b32_e64 v5, v35, v4, s3
	v_cndmask_b32_e32 v0, v32, v32, vcc_lo
	v_cndmask_b32_e64 v4, v34, v34, s3
	s_delay_alu instid0(VALU_DEP_1) | instskip(SKIP_1) | instid1(SALU_CYCLE_1)
	v_cmp_ngt_f64_e32 vcc_lo, v[0:1], v[4:5]
                                        ; implicit-def: $vgpr0_vgpr1
	s_and_saveexec_b32 s3, vcc_lo
	s_xor_b32 s3, exec_lo, s3
                                        ; implicit-def: $vgpr36_vgpr37_vgpr38_vgpr39
	s_cbranch_execz .LBB121_111
; %bb.110:
	v_div_scale_f64 v[0:1], null, v[34:35], v[34:35], v[32:33]
	v_div_scale_f64 v[36:37], vcc_lo, v[32:33], v[34:35], v[32:33]
	s_delay_alu instid0(VALU_DEP_2) | instskip(SKIP_2) | instid1(VALU_DEP_1)
	v_rcp_f64_e32 v[4:5], v[0:1]
	s_waitcnt_depctr 0xfff
	v_fma_f64 v[6:7], -v[0:1], v[4:5], 1.0
	v_fma_f64 v[4:5], v[4:5], v[6:7], v[4:5]
	s_delay_alu instid0(VALU_DEP_1) | instskip(NEXT) | instid1(VALU_DEP_1)
	v_fma_f64 v[6:7], -v[0:1], v[4:5], 1.0
	v_fma_f64 v[4:5], v[4:5], v[6:7], v[4:5]
	s_delay_alu instid0(VALU_DEP_1) | instskip(NEXT) | instid1(VALU_DEP_1)
	v_mul_f64 v[6:7], v[36:37], v[4:5]
	v_fma_f64 v[0:1], -v[0:1], v[6:7], v[36:37]
	s_delay_alu instid0(VALU_DEP_1) | instskip(NEXT) | instid1(VALU_DEP_1)
	v_div_fmas_f64 v[0:1], v[0:1], v[4:5], v[6:7]
	v_div_fixup_f64 v[0:1], v[0:1], v[34:35], v[32:33]
	s_delay_alu instid0(VALU_DEP_1) | instskip(NEXT) | instid1(VALU_DEP_1)
	v_fma_f64 v[4:5], v[32:33], v[0:1], v[34:35]
	v_div_scale_f64 v[6:7], null, v[4:5], v[4:5], 1.0
	s_delay_alu instid0(VALU_DEP_1) | instskip(SKIP_2) | instid1(VALU_DEP_1)
	v_rcp_f64_e32 v[32:33], v[6:7]
	s_waitcnt_depctr 0xfff
	v_fma_f64 v[34:35], -v[6:7], v[32:33], 1.0
	v_fma_f64 v[32:33], v[32:33], v[34:35], v[32:33]
	s_delay_alu instid0(VALU_DEP_1) | instskip(NEXT) | instid1(VALU_DEP_1)
	v_fma_f64 v[34:35], -v[6:7], v[32:33], 1.0
	v_fma_f64 v[32:33], v[32:33], v[34:35], v[32:33]
	v_div_scale_f64 v[34:35], vcc_lo, 1.0, v[4:5], 1.0
	s_delay_alu instid0(VALU_DEP_1) | instskip(NEXT) | instid1(VALU_DEP_1)
	v_mul_f64 v[36:37], v[34:35], v[32:33]
	v_fma_f64 v[6:7], -v[6:7], v[36:37], v[34:35]
	s_delay_alu instid0(VALU_DEP_1) | instskip(NEXT) | instid1(VALU_DEP_1)
	v_div_fmas_f64 v[6:7], v[6:7], v[32:33], v[36:37]
                                        ; implicit-def: $vgpr32_vgpr33
	v_div_fixup_f64 v[38:39], v[6:7], v[4:5], 1.0
	s_delay_alu instid0(VALU_DEP_1)
	v_mul_f64 v[0:1], v[0:1], v[38:39]
	v_xor_b32_e32 v39, 0x80000000, v39
.LBB121_111:
	s_and_not1_saveexec_b32 s3, s3
	s_cbranch_execz .LBB121_113
; %bb.112:
	v_div_scale_f64 v[0:1], null, v[32:33], v[32:33], v[34:35]
	v_div_scale_f64 v[36:37], vcc_lo, v[34:35], v[32:33], v[34:35]
	s_delay_alu instid0(VALU_DEP_2) | instskip(SKIP_2) | instid1(VALU_DEP_1)
	v_rcp_f64_e32 v[4:5], v[0:1]
	s_waitcnt_depctr 0xfff
	v_fma_f64 v[6:7], -v[0:1], v[4:5], 1.0
	v_fma_f64 v[4:5], v[4:5], v[6:7], v[4:5]
	s_delay_alu instid0(VALU_DEP_1) | instskip(NEXT) | instid1(VALU_DEP_1)
	v_fma_f64 v[6:7], -v[0:1], v[4:5], 1.0
	v_fma_f64 v[4:5], v[4:5], v[6:7], v[4:5]
	s_delay_alu instid0(VALU_DEP_1) | instskip(NEXT) | instid1(VALU_DEP_1)
	v_mul_f64 v[6:7], v[36:37], v[4:5]
	v_fma_f64 v[0:1], -v[0:1], v[6:7], v[36:37]
	s_delay_alu instid0(VALU_DEP_1) | instskip(NEXT) | instid1(VALU_DEP_1)
	v_div_fmas_f64 v[0:1], v[0:1], v[4:5], v[6:7]
	v_div_fixup_f64 v[4:5], v[0:1], v[32:33], v[34:35]
	s_delay_alu instid0(VALU_DEP_1) | instskip(NEXT) | instid1(VALU_DEP_1)
	v_fma_f64 v[0:1], v[34:35], v[4:5], v[32:33]
	v_div_scale_f64 v[6:7], null, v[0:1], v[0:1], 1.0
	s_delay_alu instid0(VALU_DEP_1) | instskip(SKIP_2) | instid1(VALU_DEP_1)
	v_rcp_f64_e32 v[32:33], v[6:7]
	s_waitcnt_depctr 0xfff
	v_fma_f64 v[34:35], -v[6:7], v[32:33], 1.0
	v_fma_f64 v[32:33], v[32:33], v[34:35], v[32:33]
	s_delay_alu instid0(VALU_DEP_1) | instskip(NEXT) | instid1(VALU_DEP_1)
	v_fma_f64 v[34:35], -v[6:7], v[32:33], 1.0
	v_fma_f64 v[32:33], v[32:33], v[34:35], v[32:33]
	v_div_scale_f64 v[34:35], vcc_lo, 1.0, v[0:1], 1.0
	s_delay_alu instid0(VALU_DEP_1) | instskip(NEXT) | instid1(VALU_DEP_1)
	v_mul_f64 v[36:37], v[34:35], v[32:33]
	v_fma_f64 v[6:7], -v[6:7], v[36:37], v[34:35]
	s_delay_alu instid0(VALU_DEP_1) | instskip(NEXT) | instid1(VALU_DEP_1)
	v_div_fmas_f64 v[6:7], v[6:7], v[32:33], v[36:37]
	v_div_fixup_f64 v[0:1], v[6:7], v[0:1], 1.0
	s_delay_alu instid0(VALU_DEP_1)
	v_mul_f64 v[38:39], v[4:5], -v[0:1]
.LBB121_113:
	s_or_b32 exec_lo, exec_lo, s3
	ds_store_2addr_b64 v251, v[0:1], v[38:39] offset1:1
.LBB121_114:
	s_or_b32 exec_lo, exec_lo, s4
	s_waitcnt lgkmcnt(0)
	s_barrier
	buffer_gl0_inv
	ds_load_2addr_b64 v[32:35], v251 offset1:1
	s_mov_b32 s3, exec_lo
	v_cmpx_lt_u32_e32 8, v254
	s_cbranch_execz .LBB121_117
; %bb.115:
	scratch_load_b128 v[41:44], off, off offset:128
	s_mov_b32 s4, 0
	s_waitcnt vmcnt(0) lgkmcnt(0)
	v_mul_f64 v[0:1], v[34:35], v[43:44]
	v_mul_f64 v[4:5], v[32:33], v[43:44]
	s_delay_alu instid0(VALU_DEP_2) | instskip(NEXT) | instid1(VALU_DEP_2)
	v_fma_f64 v[36:37], v[32:33], v[41:42], -v[0:1]
	v_fma_f64 v[38:39], v[34:35], v[41:42], v[4:5]
	v_mov_b32_e32 v0, 0
	scratch_store_b128 off, v[36:39], off offset:128
.LBB121_116:                            ; =>This Inner Loop Header: Depth=1
	v_add_nc_u32_e32 v1, s4, v40
	v_readfirstlane_b32 s5, v0
	ds_load_2addr_b64 v[41:44], v1 offset1:1
	s_add_i32 s5, s5, s4
	s_add_i32 s4, s4, 64
	;; [unrolled: 1-line block ×3, first 2 shown]
	s_waitcnt lgkmcnt(0)
	v_mul_f64 v[4:5], v[43:44], v[38:39]
	v_mul_f64 v[6:7], v[41:42], v[38:39]
	s_delay_alu instid0(VALU_DEP_2) | instskip(NEXT) | instid1(VALU_DEP_2)
	v_fma_f64 v[4:5], v[41:42], v[36:37], -v[4:5]
	v_fma_f64 v[6:7], v[43:44], v[36:37], v[6:7]
	scratch_load_b128 v[41:44], off, s6
	s_waitcnt vmcnt(0)
	v_add_f64 v[41:42], v[41:42], -v[4:5]
	v_add_f64 v[43:44], v[43:44], -v[6:7]
	scratch_store_b128 off, v[41:44], s6
	ds_load_2addr_b64 v[41:44], v1 offset0:2 offset1:3
	s_add_i32 s6, s5, 0xa0
	s_waitcnt lgkmcnt(0)
	v_mul_f64 v[4:5], v[43:44], v[38:39]
	v_mul_f64 v[6:7], v[41:42], v[38:39]
	s_delay_alu instid0(VALU_DEP_2) | instskip(NEXT) | instid1(VALU_DEP_2)
	v_fma_f64 v[4:5], v[41:42], v[36:37], -v[4:5]
	v_fma_f64 v[6:7], v[43:44], v[36:37], v[6:7]
	scratch_load_b128 v[41:44], off, s6
	s_waitcnt vmcnt(0)
	v_add_f64 v[41:42], v[41:42], -v[4:5]
	v_add_f64 v[43:44], v[43:44], -v[6:7]
	scratch_store_b128 off, v[41:44], s6
	ds_load_2addr_b64 v[41:44], v1 offset0:4 offset1:5
	s_add_i32 s6, s5, 0xb0
	s_addk_i32 s5, 0xc0
	s_cmpk_lg_i32 s4, 0x340
	s_waitcnt lgkmcnt(0)
	v_mul_f64 v[4:5], v[43:44], v[38:39]
	v_mul_f64 v[6:7], v[41:42], v[38:39]
	s_delay_alu instid0(VALU_DEP_2) | instskip(NEXT) | instid1(VALU_DEP_2)
	v_fma_f64 v[4:5], v[41:42], v[36:37], -v[4:5]
	v_fma_f64 v[6:7], v[43:44], v[36:37], v[6:7]
	scratch_load_b128 v[41:44], off, s6
	s_waitcnt vmcnt(0)
	v_add_f64 v[41:42], v[41:42], -v[4:5]
	v_add_f64 v[43:44], v[43:44], -v[6:7]
	scratch_store_b128 off, v[41:44], s6
	ds_load_2addr_b64 v[41:44], v1 offset0:6 offset1:7
	s_waitcnt lgkmcnt(0)
	v_mul_f64 v[4:5], v[43:44], v[38:39]
	v_mul_f64 v[6:7], v[41:42], v[38:39]
	s_delay_alu instid0(VALU_DEP_2) | instskip(NEXT) | instid1(VALU_DEP_2)
	v_fma_f64 v[4:5], v[41:42], v[36:37], -v[4:5]
	v_fma_f64 v[6:7], v[43:44], v[36:37], v[6:7]
	scratch_load_b128 v[41:44], off, s5
	s_waitcnt vmcnt(0)
	v_add_f64 v[41:42], v[41:42], -v[4:5]
	v_add_f64 v[43:44], v[43:44], -v[6:7]
	scratch_store_b128 off, v[41:44], s5
	s_cbranch_scc1 .LBB121_116
.LBB121_117:
	s_or_b32 exec_lo, exec_lo, s3
	v_add3_u32 v44, v176, 0, 0xa0
	s_mov_b32 s4, exec_lo
	s_waitcnt lgkmcnt(0)
	s_waitcnt_vscnt null, 0x0
	s_barrier
	buffer_gl0_inv
	v_cmpx_eq_u32_e32 9, v254
	s_cbranch_execz .LBB121_126
; %bb.118:
	scratch_load_b32 v0, off, off offset:1152 ; 4-byte Folded Reload
	s_movk_i32 s3, 0xfcd0
	s_waitcnt vmcnt(0)
	scratch_load_b128 v[36:39], v0, off
	v_mov_b32_e32 v0, 0
	s_waitcnt vmcnt(0)
	ds_store_2addr_b64 v251, v[36:37], v[38:39] offset1:1
.LBB121_119:                            ; =>This Inner Loop Header: Depth=1
	v_readfirstlane_b32 s5, v0
	v_add_nc_u32_e32 v1, s3, v44
	s_delay_alu instid0(VALU_DEP_2)
	s_add_i32 s5, s5, s3
	s_addk_i32 s3, 0x110
	s_add_i32 s6, s5, 0x3d0
	scratch_load_b128 v[36:39], off, s6
	s_add_i32 s6, s5, 0x3e0
	s_waitcnt vmcnt(0)
	ds_store_2addr_b64 v1, v[36:37], v[38:39] offset0:102 offset1:103
	scratch_load_b128 v[36:39], off, s6
	s_add_i32 s6, s5, 0x3f0
	s_waitcnt vmcnt(0)
	ds_store_2addr_b64 v1, v[36:37], v[38:39] offset0:104 offset1:105
	;; [unrolled: 4-line block ×14, first 2 shown]
	scratch_load_b128 v[36:39], off, s6
	s_add_i32 s6, s5, 0x4c0
	s_addk_i32 s5, 0x4d0
	s_cmp_lg_u32 s3, 0
	s_waitcnt vmcnt(0)
	ds_store_2addr_b64 v1, v[36:37], v[38:39] offset0:130 offset1:131
	scratch_load_b128 v[36:39], off, s6
	s_waitcnt vmcnt(0)
	ds_store_2addr_b64 v1, v[36:37], v[38:39] offset0:132 offset1:133
	scratch_load_b128 v[36:39], off, s5
	s_waitcnt vmcnt(0)
	ds_store_2addr_b64 v1, v[36:37], v[38:39] offset0:134 offset1:135
	s_cbranch_scc1 .LBB121_119
; %bb.120:
	ds_load_2addr_b64 v[36:39], v251 offset1:1
	s_waitcnt lgkmcnt(0)
	v_cmp_neq_f64_e32 vcc_lo, 0, v[36:37]
	v_cmp_neq_f64_e64 s3, 0, v[38:39]
	s_delay_alu instid0(VALU_DEP_1) | instskip(NEXT) | instid1(SALU_CYCLE_1)
	s_or_b32 s3, vcc_lo, s3
	s_and_b32 exec_lo, exec_lo, s3
	s_cbranch_execz .LBB121_126
; %bb.121:
	v_cmp_gt_f64_e32 vcc_lo, 0, v[36:37]
	v_cmp_gt_f64_e64 s3, 0, v[38:39]
	v_xor_b32_e32 v0, 0x80000000, v37
	v_xor_b32_e32 v4, 0x80000000, v39
	s_delay_alu instid0(VALU_DEP_2) | instskip(NEXT) | instid1(VALU_DEP_2)
	v_cndmask_b32_e32 v1, v37, v0, vcc_lo
	v_cndmask_b32_e64 v5, v39, v4, s3
	v_cndmask_b32_e32 v0, v36, v36, vcc_lo
	v_cndmask_b32_e64 v4, v38, v38, s3
	s_delay_alu instid0(VALU_DEP_1) | instskip(SKIP_1) | instid1(SALU_CYCLE_1)
	v_cmp_ngt_f64_e32 vcc_lo, v[0:1], v[4:5]
                                        ; implicit-def: $vgpr0_vgpr1
	s_and_saveexec_b32 s3, vcc_lo
	s_xor_b32 s3, exec_lo, s3
                                        ; implicit-def: $vgpr40_vgpr41_vgpr42_vgpr43
	s_cbranch_execz .LBB121_123
; %bb.122:
	v_div_scale_f64 v[0:1], null, v[38:39], v[38:39], v[36:37]
	v_div_scale_f64 v[40:41], vcc_lo, v[36:37], v[38:39], v[36:37]
	s_delay_alu instid0(VALU_DEP_2) | instskip(SKIP_2) | instid1(VALU_DEP_1)
	v_rcp_f64_e32 v[4:5], v[0:1]
	s_waitcnt_depctr 0xfff
	v_fma_f64 v[6:7], -v[0:1], v[4:5], 1.0
	v_fma_f64 v[4:5], v[4:5], v[6:7], v[4:5]
	s_delay_alu instid0(VALU_DEP_1) | instskip(NEXT) | instid1(VALU_DEP_1)
	v_fma_f64 v[6:7], -v[0:1], v[4:5], 1.0
	v_fma_f64 v[4:5], v[4:5], v[6:7], v[4:5]
	s_delay_alu instid0(VALU_DEP_1) | instskip(NEXT) | instid1(VALU_DEP_1)
	v_mul_f64 v[6:7], v[40:41], v[4:5]
	v_fma_f64 v[0:1], -v[0:1], v[6:7], v[40:41]
	s_delay_alu instid0(VALU_DEP_1) | instskip(NEXT) | instid1(VALU_DEP_1)
	v_div_fmas_f64 v[0:1], v[0:1], v[4:5], v[6:7]
	v_div_fixup_f64 v[0:1], v[0:1], v[38:39], v[36:37]
	s_delay_alu instid0(VALU_DEP_1) | instskip(NEXT) | instid1(VALU_DEP_1)
	v_fma_f64 v[4:5], v[36:37], v[0:1], v[38:39]
	v_div_scale_f64 v[6:7], null, v[4:5], v[4:5], 1.0
	s_delay_alu instid0(VALU_DEP_1) | instskip(SKIP_2) | instid1(VALU_DEP_1)
	v_rcp_f64_e32 v[36:37], v[6:7]
	s_waitcnt_depctr 0xfff
	v_fma_f64 v[38:39], -v[6:7], v[36:37], 1.0
	v_fma_f64 v[36:37], v[36:37], v[38:39], v[36:37]
	s_delay_alu instid0(VALU_DEP_1) | instskip(NEXT) | instid1(VALU_DEP_1)
	v_fma_f64 v[38:39], -v[6:7], v[36:37], 1.0
	v_fma_f64 v[36:37], v[36:37], v[38:39], v[36:37]
	v_div_scale_f64 v[38:39], vcc_lo, 1.0, v[4:5], 1.0
	s_delay_alu instid0(VALU_DEP_1) | instskip(NEXT) | instid1(VALU_DEP_1)
	v_mul_f64 v[40:41], v[38:39], v[36:37]
	v_fma_f64 v[6:7], -v[6:7], v[40:41], v[38:39]
	s_delay_alu instid0(VALU_DEP_1) | instskip(NEXT) | instid1(VALU_DEP_1)
	v_div_fmas_f64 v[6:7], v[6:7], v[36:37], v[40:41]
                                        ; implicit-def: $vgpr36_vgpr37
	v_div_fixup_f64 v[42:43], v[6:7], v[4:5], 1.0
	s_delay_alu instid0(VALU_DEP_1)
	v_mul_f64 v[0:1], v[0:1], v[42:43]
	v_xor_b32_e32 v43, 0x80000000, v43
.LBB121_123:
	s_and_not1_saveexec_b32 s3, s3
	s_cbranch_execz .LBB121_125
; %bb.124:
	v_div_scale_f64 v[0:1], null, v[36:37], v[36:37], v[38:39]
	v_div_scale_f64 v[40:41], vcc_lo, v[38:39], v[36:37], v[38:39]
	s_delay_alu instid0(VALU_DEP_2) | instskip(SKIP_2) | instid1(VALU_DEP_1)
	v_rcp_f64_e32 v[4:5], v[0:1]
	s_waitcnt_depctr 0xfff
	v_fma_f64 v[6:7], -v[0:1], v[4:5], 1.0
	v_fma_f64 v[4:5], v[4:5], v[6:7], v[4:5]
	s_delay_alu instid0(VALU_DEP_1) | instskip(NEXT) | instid1(VALU_DEP_1)
	v_fma_f64 v[6:7], -v[0:1], v[4:5], 1.0
	v_fma_f64 v[4:5], v[4:5], v[6:7], v[4:5]
	s_delay_alu instid0(VALU_DEP_1) | instskip(NEXT) | instid1(VALU_DEP_1)
	v_mul_f64 v[6:7], v[40:41], v[4:5]
	v_fma_f64 v[0:1], -v[0:1], v[6:7], v[40:41]
	s_delay_alu instid0(VALU_DEP_1) | instskip(NEXT) | instid1(VALU_DEP_1)
	v_div_fmas_f64 v[0:1], v[0:1], v[4:5], v[6:7]
	v_div_fixup_f64 v[4:5], v[0:1], v[36:37], v[38:39]
	s_delay_alu instid0(VALU_DEP_1) | instskip(NEXT) | instid1(VALU_DEP_1)
	v_fma_f64 v[0:1], v[38:39], v[4:5], v[36:37]
	v_div_scale_f64 v[6:7], null, v[0:1], v[0:1], 1.0
	s_delay_alu instid0(VALU_DEP_1) | instskip(SKIP_2) | instid1(VALU_DEP_1)
	v_rcp_f64_e32 v[36:37], v[6:7]
	s_waitcnt_depctr 0xfff
	v_fma_f64 v[38:39], -v[6:7], v[36:37], 1.0
	v_fma_f64 v[36:37], v[36:37], v[38:39], v[36:37]
	s_delay_alu instid0(VALU_DEP_1) | instskip(NEXT) | instid1(VALU_DEP_1)
	v_fma_f64 v[38:39], -v[6:7], v[36:37], 1.0
	v_fma_f64 v[36:37], v[36:37], v[38:39], v[36:37]
	v_div_scale_f64 v[38:39], vcc_lo, 1.0, v[0:1], 1.0
	s_delay_alu instid0(VALU_DEP_1) | instskip(NEXT) | instid1(VALU_DEP_1)
	v_mul_f64 v[40:41], v[38:39], v[36:37]
	v_fma_f64 v[6:7], -v[6:7], v[40:41], v[38:39]
	s_delay_alu instid0(VALU_DEP_1) | instskip(NEXT) | instid1(VALU_DEP_1)
	v_div_fmas_f64 v[6:7], v[6:7], v[36:37], v[40:41]
	v_div_fixup_f64 v[0:1], v[6:7], v[0:1], 1.0
	s_delay_alu instid0(VALU_DEP_1)
	v_mul_f64 v[42:43], v[4:5], -v[0:1]
.LBB121_125:
	s_or_b32 exec_lo, exec_lo, s3
	ds_store_2addr_b64 v251, v[0:1], v[42:43] offset1:1
.LBB121_126:
	s_or_b32 exec_lo, exec_lo, s4
	s_waitcnt lgkmcnt(0)
	s_barrier
	buffer_gl0_inv
	ds_load_2addr_b64 v[36:39], v251 offset1:1
	s_mov_b32 s3, exec_lo
	v_cmpx_lt_u32_e32 9, v254
	s_cbranch_execz .LBB121_129
; %bb.127:
	scratch_load_b128 v[45:48], off, off offset:144
	s_mov_b32 s4, 0
	s_waitcnt vmcnt(0) lgkmcnt(0)
	v_mul_f64 v[0:1], v[38:39], v[47:48]
	v_mul_f64 v[4:5], v[36:37], v[47:48]
	s_delay_alu instid0(VALU_DEP_2) | instskip(NEXT) | instid1(VALU_DEP_2)
	v_fma_f64 v[40:41], v[36:37], v[45:46], -v[0:1]
	v_fma_f64 v[42:43], v[38:39], v[45:46], v[4:5]
	v_mov_b32_e32 v0, 0
	scratch_store_b128 off, v[40:43], off offset:144
.LBB121_128:                            ; =>This Inner Loop Header: Depth=1
	v_add_nc_u32_e32 v1, s4, v44
	v_readfirstlane_b32 s5, v0
	ds_load_2addr_b64 v[45:48], v1 offset1:1
	s_add_i32 s5, s5, s4
	s_add_i32 s4, s4, 48
	;; [unrolled: 1-line block ×3, first 2 shown]
	s_waitcnt lgkmcnt(0)
	v_mul_f64 v[4:5], v[47:48], v[42:43]
	v_mul_f64 v[6:7], v[45:46], v[42:43]
	s_delay_alu instid0(VALU_DEP_2) | instskip(NEXT) | instid1(VALU_DEP_2)
	v_fma_f64 v[4:5], v[45:46], v[40:41], -v[4:5]
	v_fma_f64 v[6:7], v[47:48], v[40:41], v[6:7]
	scratch_load_b128 v[45:48], off, s6
	s_waitcnt vmcnt(0)
	v_add_f64 v[45:46], v[45:46], -v[4:5]
	v_add_f64 v[47:48], v[47:48], -v[6:7]
	scratch_store_b128 off, v[45:48], s6
	ds_load_2addr_b64 v[45:48], v1 offset0:2 offset1:3
	s_add_i32 s6, s5, 0xb0
	s_addk_i32 s5, 0xc0
	s_cmpk_lg_i32 s4, 0x330
	s_waitcnt lgkmcnt(0)
	v_mul_f64 v[4:5], v[47:48], v[42:43]
	v_mul_f64 v[6:7], v[45:46], v[42:43]
	s_delay_alu instid0(VALU_DEP_2) | instskip(NEXT) | instid1(VALU_DEP_2)
	v_fma_f64 v[4:5], v[45:46], v[40:41], -v[4:5]
	v_fma_f64 v[6:7], v[47:48], v[40:41], v[6:7]
	scratch_load_b128 v[45:48], off, s6
	s_waitcnt vmcnt(0)
	v_add_f64 v[45:46], v[45:46], -v[4:5]
	v_add_f64 v[47:48], v[47:48], -v[6:7]
	scratch_store_b128 off, v[45:48], s6
	ds_load_2addr_b64 v[45:48], v1 offset0:4 offset1:5
	s_waitcnt lgkmcnt(0)
	v_mul_f64 v[4:5], v[47:48], v[42:43]
	v_mul_f64 v[6:7], v[45:46], v[42:43]
	s_delay_alu instid0(VALU_DEP_2) | instskip(NEXT) | instid1(VALU_DEP_2)
	v_fma_f64 v[4:5], v[45:46], v[40:41], -v[4:5]
	v_fma_f64 v[6:7], v[47:48], v[40:41], v[6:7]
	scratch_load_b128 v[45:48], off, s5
	s_waitcnt vmcnt(0)
	v_add_f64 v[45:46], v[45:46], -v[4:5]
	v_add_f64 v[47:48], v[47:48], -v[6:7]
	scratch_store_b128 off, v[45:48], s5
	s_cbranch_scc1 .LBB121_128
.LBB121_129:
	s_or_b32 exec_lo, exec_lo, s3
	v_add3_u32 v48, v176, 0, 0xb0
	s_mov_b32 s4, exec_lo
	s_waitcnt lgkmcnt(0)
	s_waitcnt_vscnt null, 0x0
	s_barrier
	buffer_gl0_inv
	v_cmpx_eq_u32_e32 10, v254
	s_cbranch_execz .LBB121_138
; %bb.130:
	scratch_load_b32 v0, off, off offset:1148 ; 4-byte Folded Reload
	s_movk_i32 s3, 0xfce0
	s_waitcnt vmcnt(0)
	scratch_load_b128 v[40:43], v0, off
	v_mov_b32_e32 v0, 0
	s_waitcnt vmcnt(0)
	ds_store_2addr_b64 v251, v[40:41], v[42:43] offset1:1
.LBB121_131:                            ; =>This Inner Loop Header: Depth=1
	v_readfirstlane_b32 s5, v0
	v_add_nc_u32_e32 v1, s3, v48
	s_delay_alu instid0(VALU_DEP_2)
	s_add_i32 s5, s5, s3
	s_addk_i32 s3, 0xa0
	s_add_i32 s6, s5, 0x3d0
	scratch_load_b128 v[40:43], off, s6
	s_add_i32 s6, s5, 0x3e0
	s_waitcnt vmcnt(0)
	ds_store_2addr_b64 v1, v[40:41], v[42:43] offset0:100 offset1:101
	scratch_load_b128 v[40:43], off, s6
	s_add_i32 s6, s5, 0x3f0
	s_waitcnt vmcnt(0)
	ds_store_2addr_b64 v1, v[40:41], v[42:43] offset0:102 offset1:103
	;; [unrolled: 4-line block ×7, first 2 shown]
	scratch_load_b128 v[40:43], off, s6
	s_add_i32 s6, s5, 0x450
	s_addk_i32 s5, 0x460
	s_cmp_lg_u32 s3, 0
	s_waitcnt vmcnt(0)
	ds_store_2addr_b64 v1, v[40:41], v[42:43] offset0:114 offset1:115
	scratch_load_b128 v[40:43], off, s6
	s_waitcnt vmcnt(0)
	ds_store_2addr_b64 v1, v[40:41], v[42:43] offset0:116 offset1:117
	scratch_load_b128 v[40:43], off, s5
	s_waitcnt vmcnt(0)
	ds_store_2addr_b64 v1, v[40:41], v[42:43] offset0:118 offset1:119
	s_cbranch_scc1 .LBB121_131
; %bb.132:
	ds_load_2addr_b64 v[40:43], v251 offset1:1
	s_waitcnt lgkmcnt(0)
	v_cmp_neq_f64_e32 vcc_lo, 0, v[40:41]
	v_cmp_neq_f64_e64 s3, 0, v[42:43]
	s_delay_alu instid0(VALU_DEP_1) | instskip(NEXT) | instid1(SALU_CYCLE_1)
	s_or_b32 s3, vcc_lo, s3
	s_and_b32 exec_lo, exec_lo, s3
	s_cbranch_execz .LBB121_138
; %bb.133:
	v_cmp_gt_f64_e32 vcc_lo, 0, v[40:41]
	v_cmp_gt_f64_e64 s3, 0, v[42:43]
	v_xor_b32_e32 v0, 0x80000000, v41
	v_xor_b32_e32 v4, 0x80000000, v43
	s_delay_alu instid0(VALU_DEP_2) | instskip(NEXT) | instid1(VALU_DEP_2)
	v_cndmask_b32_e32 v1, v41, v0, vcc_lo
	v_cndmask_b32_e64 v5, v43, v4, s3
	v_cndmask_b32_e32 v0, v40, v40, vcc_lo
	v_cndmask_b32_e64 v4, v42, v42, s3
	s_delay_alu instid0(VALU_DEP_1) | instskip(SKIP_1) | instid1(SALU_CYCLE_1)
	v_cmp_ngt_f64_e32 vcc_lo, v[0:1], v[4:5]
                                        ; implicit-def: $vgpr0_vgpr1
	s_and_saveexec_b32 s3, vcc_lo
	s_xor_b32 s3, exec_lo, s3
                                        ; implicit-def: $vgpr44_vgpr45_vgpr46_vgpr47
	s_cbranch_execz .LBB121_135
; %bb.134:
	v_div_scale_f64 v[0:1], null, v[42:43], v[42:43], v[40:41]
	v_div_scale_f64 v[44:45], vcc_lo, v[40:41], v[42:43], v[40:41]
	s_delay_alu instid0(VALU_DEP_2) | instskip(SKIP_2) | instid1(VALU_DEP_1)
	v_rcp_f64_e32 v[4:5], v[0:1]
	s_waitcnt_depctr 0xfff
	v_fma_f64 v[6:7], -v[0:1], v[4:5], 1.0
	v_fma_f64 v[4:5], v[4:5], v[6:7], v[4:5]
	s_delay_alu instid0(VALU_DEP_1) | instskip(NEXT) | instid1(VALU_DEP_1)
	v_fma_f64 v[6:7], -v[0:1], v[4:5], 1.0
	v_fma_f64 v[4:5], v[4:5], v[6:7], v[4:5]
	s_delay_alu instid0(VALU_DEP_1) | instskip(NEXT) | instid1(VALU_DEP_1)
	v_mul_f64 v[6:7], v[44:45], v[4:5]
	v_fma_f64 v[0:1], -v[0:1], v[6:7], v[44:45]
	s_delay_alu instid0(VALU_DEP_1) | instskip(NEXT) | instid1(VALU_DEP_1)
	v_div_fmas_f64 v[0:1], v[0:1], v[4:5], v[6:7]
	v_div_fixup_f64 v[0:1], v[0:1], v[42:43], v[40:41]
	s_delay_alu instid0(VALU_DEP_1) | instskip(NEXT) | instid1(VALU_DEP_1)
	v_fma_f64 v[4:5], v[40:41], v[0:1], v[42:43]
	v_div_scale_f64 v[6:7], null, v[4:5], v[4:5], 1.0
	s_delay_alu instid0(VALU_DEP_1) | instskip(SKIP_2) | instid1(VALU_DEP_1)
	v_rcp_f64_e32 v[40:41], v[6:7]
	s_waitcnt_depctr 0xfff
	v_fma_f64 v[42:43], -v[6:7], v[40:41], 1.0
	v_fma_f64 v[40:41], v[40:41], v[42:43], v[40:41]
	s_delay_alu instid0(VALU_DEP_1) | instskip(NEXT) | instid1(VALU_DEP_1)
	v_fma_f64 v[42:43], -v[6:7], v[40:41], 1.0
	v_fma_f64 v[40:41], v[40:41], v[42:43], v[40:41]
	v_div_scale_f64 v[42:43], vcc_lo, 1.0, v[4:5], 1.0
	s_delay_alu instid0(VALU_DEP_1) | instskip(NEXT) | instid1(VALU_DEP_1)
	v_mul_f64 v[44:45], v[42:43], v[40:41]
	v_fma_f64 v[6:7], -v[6:7], v[44:45], v[42:43]
	s_delay_alu instid0(VALU_DEP_1) | instskip(NEXT) | instid1(VALU_DEP_1)
	v_div_fmas_f64 v[6:7], v[6:7], v[40:41], v[44:45]
                                        ; implicit-def: $vgpr40_vgpr41
	v_div_fixup_f64 v[46:47], v[6:7], v[4:5], 1.0
	s_delay_alu instid0(VALU_DEP_1)
	v_mul_f64 v[0:1], v[0:1], v[46:47]
	v_xor_b32_e32 v47, 0x80000000, v47
.LBB121_135:
	s_and_not1_saveexec_b32 s3, s3
	s_cbranch_execz .LBB121_137
; %bb.136:
	v_div_scale_f64 v[0:1], null, v[40:41], v[40:41], v[42:43]
	v_div_scale_f64 v[44:45], vcc_lo, v[42:43], v[40:41], v[42:43]
	s_delay_alu instid0(VALU_DEP_2) | instskip(SKIP_2) | instid1(VALU_DEP_1)
	v_rcp_f64_e32 v[4:5], v[0:1]
	s_waitcnt_depctr 0xfff
	v_fma_f64 v[6:7], -v[0:1], v[4:5], 1.0
	v_fma_f64 v[4:5], v[4:5], v[6:7], v[4:5]
	s_delay_alu instid0(VALU_DEP_1) | instskip(NEXT) | instid1(VALU_DEP_1)
	v_fma_f64 v[6:7], -v[0:1], v[4:5], 1.0
	v_fma_f64 v[4:5], v[4:5], v[6:7], v[4:5]
	s_delay_alu instid0(VALU_DEP_1) | instskip(NEXT) | instid1(VALU_DEP_1)
	v_mul_f64 v[6:7], v[44:45], v[4:5]
	v_fma_f64 v[0:1], -v[0:1], v[6:7], v[44:45]
	s_delay_alu instid0(VALU_DEP_1) | instskip(NEXT) | instid1(VALU_DEP_1)
	v_div_fmas_f64 v[0:1], v[0:1], v[4:5], v[6:7]
	v_div_fixup_f64 v[4:5], v[0:1], v[40:41], v[42:43]
	s_delay_alu instid0(VALU_DEP_1) | instskip(NEXT) | instid1(VALU_DEP_1)
	v_fma_f64 v[0:1], v[42:43], v[4:5], v[40:41]
	v_div_scale_f64 v[6:7], null, v[0:1], v[0:1], 1.0
	s_delay_alu instid0(VALU_DEP_1) | instskip(SKIP_2) | instid1(VALU_DEP_1)
	v_rcp_f64_e32 v[40:41], v[6:7]
	s_waitcnt_depctr 0xfff
	v_fma_f64 v[42:43], -v[6:7], v[40:41], 1.0
	v_fma_f64 v[40:41], v[40:41], v[42:43], v[40:41]
	s_delay_alu instid0(VALU_DEP_1) | instskip(NEXT) | instid1(VALU_DEP_1)
	v_fma_f64 v[42:43], -v[6:7], v[40:41], 1.0
	v_fma_f64 v[40:41], v[40:41], v[42:43], v[40:41]
	v_div_scale_f64 v[42:43], vcc_lo, 1.0, v[0:1], 1.0
	s_delay_alu instid0(VALU_DEP_1) | instskip(NEXT) | instid1(VALU_DEP_1)
	v_mul_f64 v[44:45], v[42:43], v[40:41]
	v_fma_f64 v[6:7], -v[6:7], v[44:45], v[42:43]
	s_delay_alu instid0(VALU_DEP_1) | instskip(NEXT) | instid1(VALU_DEP_1)
	v_div_fmas_f64 v[6:7], v[6:7], v[40:41], v[44:45]
	v_div_fixup_f64 v[0:1], v[6:7], v[0:1], 1.0
	s_delay_alu instid0(VALU_DEP_1)
	v_mul_f64 v[46:47], v[4:5], -v[0:1]
.LBB121_137:
	s_or_b32 exec_lo, exec_lo, s3
	ds_store_2addr_b64 v251, v[0:1], v[46:47] offset1:1
.LBB121_138:
	s_or_b32 exec_lo, exec_lo, s4
	s_waitcnt lgkmcnt(0)
	s_barrier
	buffer_gl0_inv
	ds_load_2addr_b64 v[40:43], v251 offset1:1
	s_mov_b32 s3, exec_lo
	v_cmpx_lt_u32_e32 10, v254
	s_cbranch_execz .LBB121_141
; %bb.139:
	scratch_load_b128 v[49:52], off, off offset:160
	s_mov_b32 s4, 0
	s_waitcnt vmcnt(0) lgkmcnt(0)
	v_mul_f64 v[0:1], v[42:43], v[51:52]
	v_mul_f64 v[4:5], v[40:41], v[51:52]
	s_delay_alu instid0(VALU_DEP_2) | instskip(NEXT) | instid1(VALU_DEP_2)
	v_fma_f64 v[44:45], v[40:41], v[49:50], -v[0:1]
	v_fma_f64 v[46:47], v[42:43], v[49:50], v[4:5]
	v_mov_b32_e32 v0, 0
	scratch_store_b128 off, v[44:47], off offset:160
.LBB121_140:                            ; =>This Inner Loop Header: Depth=1
	v_add_nc_u32_e32 v1, s4, v48
	v_readfirstlane_b32 s5, v0
	ds_load_2addr_b64 v[49:52], v1 offset1:1
	s_add_i32 s5, s5, s4
	s_addk_i32 s4, 0x50
	s_add_i32 s6, s5, 0xb0
	s_waitcnt lgkmcnt(0)
	v_mul_f64 v[4:5], v[51:52], v[46:47]
	v_mul_f64 v[6:7], v[49:50], v[46:47]
	s_delay_alu instid0(VALU_DEP_2) | instskip(NEXT) | instid1(VALU_DEP_2)
	v_fma_f64 v[4:5], v[49:50], v[44:45], -v[4:5]
	v_fma_f64 v[6:7], v[51:52], v[44:45], v[6:7]
	scratch_load_b128 v[49:52], off, s6
	s_waitcnt vmcnt(0)
	v_add_f64 v[49:50], v[49:50], -v[4:5]
	v_add_f64 v[51:52], v[51:52], -v[6:7]
	scratch_store_b128 off, v[49:52], s6
	ds_load_2addr_b64 v[49:52], v1 offset0:2 offset1:3
	s_add_i32 s6, s5, 0xc0
	s_waitcnt lgkmcnt(0)
	v_mul_f64 v[4:5], v[51:52], v[46:47]
	v_mul_f64 v[6:7], v[49:50], v[46:47]
	s_delay_alu instid0(VALU_DEP_2) | instskip(NEXT) | instid1(VALU_DEP_2)
	v_fma_f64 v[4:5], v[49:50], v[44:45], -v[4:5]
	v_fma_f64 v[6:7], v[51:52], v[44:45], v[6:7]
	scratch_load_b128 v[49:52], off, s6
	s_waitcnt vmcnt(0)
	v_add_f64 v[49:50], v[49:50], -v[4:5]
	v_add_f64 v[51:52], v[51:52], -v[6:7]
	scratch_store_b128 off, v[49:52], s6
	ds_load_2addr_b64 v[49:52], v1 offset0:4 offset1:5
	;; [unrolled: 13-line block ×3, first 2 shown]
	s_add_i32 s6, s5, 0xe0
	s_addk_i32 s5, 0xf0
	s_cmpk_lg_i32 s4, 0x320
	s_waitcnt lgkmcnt(0)
	v_mul_f64 v[4:5], v[51:52], v[46:47]
	v_mul_f64 v[6:7], v[49:50], v[46:47]
	s_delay_alu instid0(VALU_DEP_2) | instskip(NEXT) | instid1(VALU_DEP_2)
	v_fma_f64 v[4:5], v[49:50], v[44:45], -v[4:5]
	v_fma_f64 v[6:7], v[51:52], v[44:45], v[6:7]
	scratch_load_b128 v[49:52], off, s6
	s_waitcnt vmcnt(0)
	v_add_f64 v[49:50], v[49:50], -v[4:5]
	v_add_f64 v[51:52], v[51:52], -v[6:7]
	scratch_store_b128 off, v[49:52], s6
	ds_load_2addr_b64 v[49:52], v1 offset0:8 offset1:9
	s_waitcnt lgkmcnt(0)
	v_mul_f64 v[4:5], v[51:52], v[46:47]
	v_mul_f64 v[6:7], v[49:50], v[46:47]
	s_delay_alu instid0(VALU_DEP_2) | instskip(NEXT) | instid1(VALU_DEP_2)
	v_fma_f64 v[4:5], v[49:50], v[44:45], -v[4:5]
	v_fma_f64 v[6:7], v[51:52], v[44:45], v[6:7]
	scratch_load_b128 v[49:52], off, s5
	s_waitcnt vmcnt(0)
	v_add_f64 v[49:50], v[49:50], -v[4:5]
	v_add_f64 v[51:52], v[51:52], -v[6:7]
	scratch_store_b128 off, v[49:52], s5
	s_cbranch_scc1 .LBB121_140
.LBB121_141:
	s_or_b32 exec_lo, exec_lo, s3
	v_add3_u32 v52, v176, 0, 0xc0
	s_mov_b32 s4, exec_lo
	s_waitcnt lgkmcnt(0)
	s_waitcnt_vscnt null, 0x0
	s_barrier
	buffer_gl0_inv
	v_cmpx_eq_u32_e32 11, v254
	s_cbranch_execz .LBB121_150
; %bb.142:
	scratch_load_b32 v0, off, off offset:1144 ; 4-byte Folded Reload
	s_movk_i32 s3, 0xfcf0
	s_waitcnt vmcnt(0)
	scratch_load_b128 v[44:47], v0, off
	v_mov_b32_e32 v0, 0
	s_waitcnt vmcnt(0)
	ds_store_2addr_b64 v251, v[44:45], v[46:47] offset1:1
	s_set_inst_prefetch_distance 0x1
	.p2align	6
.LBB121_143:                            ; =>This Inner Loop Header: Depth=1
	v_readfirstlane_b32 s5, v0
	v_add_nc_u32_e32 v1, s3, v52
	s_delay_alu instid0(VALU_DEP_2)
	s_add_i32 s5, s5, s3
	s_addk_i32 s3, 0x70
	s_add_i32 s6, s5, 0x3d0
	scratch_load_b128 v[44:47], off, s6
	s_add_i32 s6, s5, 0x3e0
	s_waitcnt vmcnt(0)
	ds_store_2addr_b64 v1, v[44:45], v[46:47] offset0:98 offset1:99
	scratch_load_b128 v[44:47], off, s6
	s_add_i32 s6, s5, 0x3f0
	s_waitcnt vmcnt(0)
	ds_store_2addr_b64 v1, v[44:45], v[46:47] offset0:100 offset1:101
	;; [unrolled: 4-line block ×4, first 2 shown]
	scratch_load_b128 v[44:47], off, s6
	s_add_i32 s6, s5, 0x420
	s_addk_i32 s5, 0x430
	s_cmp_lg_u32 s3, 0
	s_waitcnt vmcnt(0)
	ds_store_2addr_b64 v1, v[44:45], v[46:47] offset0:106 offset1:107
	scratch_load_b128 v[44:47], off, s6
	s_waitcnt vmcnt(0)
	ds_store_2addr_b64 v1, v[44:45], v[46:47] offset0:108 offset1:109
	scratch_load_b128 v[44:47], off, s5
	s_waitcnt vmcnt(0)
	ds_store_2addr_b64 v1, v[44:45], v[46:47] offset0:110 offset1:111
	s_cbranch_scc1 .LBB121_143
; %bb.144:
	s_set_inst_prefetch_distance 0x2
	ds_load_2addr_b64 v[44:47], v251 offset1:1
	s_waitcnt lgkmcnt(0)
	v_cmp_neq_f64_e32 vcc_lo, 0, v[44:45]
	v_cmp_neq_f64_e64 s3, 0, v[46:47]
	s_delay_alu instid0(VALU_DEP_1) | instskip(NEXT) | instid1(SALU_CYCLE_1)
	s_or_b32 s3, vcc_lo, s3
	s_and_b32 exec_lo, exec_lo, s3
	s_cbranch_execz .LBB121_150
; %bb.145:
	v_cmp_gt_f64_e32 vcc_lo, 0, v[44:45]
	v_cmp_gt_f64_e64 s3, 0, v[46:47]
	v_xor_b32_e32 v0, 0x80000000, v45
	v_xor_b32_e32 v4, 0x80000000, v47
	s_delay_alu instid0(VALU_DEP_2) | instskip(NEXT) | instid1(VALU_DEP_2)
	v_cndmask_b32_e32 v1, v45, v0, vcc_lo
	v_cndmask_b32_e64 v5, v47, v4, s3
	v_cndmask_b32_e32 v0, v44, v44, vcc_lo
	v_cndmask_b32_e64 v4, v46, v46, s3
	s_delay_alu instid0(VALU_DEP_1) | instskip(SKIP_1) | instid1(SALU_CYCLE_1)
	v_cmp_ngt_f64_e32 vcc_lo, v[0:1], v[4:5]
                                        ; implicit-def: $vgpr0_vgpr1
	s_and_saveexec_b32 s3, vcc_lo
	s_xor_b32 s3, exec_lo, s3
                                        ; implicit-def: $vgpr48_vgpr49_vgpr50_vgpr51
	s_cbranch_execz .LBB121_147
; %bb.146:
	v_div_scale_f64 v[0:1], null, v[46:47], v[46:47], v[44:45]
	v_div_scale_f64 v[48:49], vcc_lo, v[44:45], v[46:47], v[44:45]
	s_delay_alu instid0(VALU_DEP_2) | instskip(SKIP_2) | instid1(VALU_DEP_1)
	v_rcp_f64_e32 v[4:5], v[0:1]
	s_waitcnt_depctr 0xfff
	v_fma_f64 v[6:7], -v[0:1], v[4:5], 1.0
	v_fma_f64 v[4:5], v[4:5], v[6:7], v[4:5]
	s_delay_alu instid0(VALU_DEP_1) | instskip(NEXT) | instid1(VALU_DEP_1)
	v_fma_f64 v[6:7], -v[0:1], v[4:5], 1.0
	v_fma_f64 v[4:5], v[4:5], v[6:7], v[4:5]
	s_delay_alu instid0(VALU_DEP_1) | instskip(NEXT) | instid1(VALU_DEP_1)
	v_mul_f64 v[6:7], v[48:49], v[4:5]
	v_fma_f64 v[0:1], -v[0:1], v[6:7], v[48:49]
	s_delay_alu instid0(VALU_DEP_1) | instskip(NEXT) | instid1(VALU_DEP_1)
	v_div_fmas_f64 v[0:1], v[0:1], v[4:5], v[6:7]
	v_div_fixup_f64 v[0:1], v[0:1], v[46:47], v[44:45]
	s_delay_alu instid0(VALU_DEP_1) | instskip(NEXT) | instid1(VALU_DEP_1)
	v_fma_f64 v[4:5], v[44:45], v[0:1], v[46:47]
	v_div_scale_f64 v[6:7], null, v[4:5], v[4:5], 1.0
	s_delay_alu instid0(VALU_DEP_1) | instskip(SKIP_2) | instid1(VALU_DEP_1)
	v_rcp_f64_e32 v[44:45], v[6:7]
	s_waitcnt_depctr 0xfff
	v_fma_f64 v[46:47], -v[6:7], v[44:45], 1.0
	v_fma_f64 v[44:45], v[44:45], v[46:47], v[44:45]
	s_delay_alu instid0(VALU_DEP_1) | instskip(NEXT) | instid1(VALU_DEP_1)
	v_fma_f64 v[46:47], -v[6:7], v[44:45], 1.0
	v_fma_f64 v[44:45], v[44:45], v[46:47], v[44:45]
	v_div_scale_f64 v[46:47], vcc_lo, 1.0, v[4:5], 1.0
	s_delay_alu instid0(VALU_DEP_1) | instskip(NEXT) | instid1(VALU_DEP_1)
	v_mul_f64 v[48:49], v[46:47], v[44:45]
	v_fma_f64 v[6:7], -v[6:7], v[48:49], v[46:47]
	s_delay_alu instid0(VALU_DEP_1) | instskip(NEXT) | instid1(VALU_DEP_1)
	v_div_fmas_f64 v[6:7], v[6:7], v[44:45], v[48:49]
                                        ; implicit-def: $vgpr44_vgpr45
	v_div_fixup_f64 v[50:51], v[6:7], v[4:5], 1.0
	s_delay_alu instid0(VALU_DEP_1)
	v_mul_f64 v[0:1], v[0:1], v[50:51]
	v_xor_b32_e32 v51, 0x80000000, v51
.LBB121_147:
	s_and_not1_saveexec_b32 s3, s3
	s_cbranch_execz .LBB121_149
; %bb.148:
	v_div_scale_f64 v[0:1], null, v[44:45], v[44:45], v[46:47]
	v_div_scale_f64 v[48:49], vcc_lo, v[46:47], v[44:45], v[46:47]
	s_delay_alu instid0(VALU_DEP_2) | instskip(SKIP_2) | instid1(VALU_DEP_1)
	v_rcp_f64_e32 v[4:5], v[0:1]
	s_waitcnt_depctr 0xfff
	v_fma_f64 v[6:7], -v[0:1], v[4:5], 1.0
	v_fma_f64 v[4:5], v[4:5], v[6:7], v[4:5]
	s_delay_alu instid0(VALU_DEP_1) | instskip(NEXT) | instid1(VALU_DEP_1)
	v_fma_f64 v[6:7], -v[0:1], v[4:5], 1.0
	v_fma_f64 v[4:5], v[4:5], v[6:7], v[4:5]
	s_delay_alu instid0(VALU_DEP_1) | instskip(NEXT) | instid1(VALU_DEP_1)
	v_mul_f64 v[6:7], v[48:49], v[4:5]
	v_fma_f64 v[0:1], -v[0:1], v[6:7], v[48:49]
	s_delay_alu instid0(VALU_DEP_1) | instskip(NEXT) | instid1(VALU_DEP_1)
	v_div_fmas_f64 v[0:1], v[0:1], v[4:5], v[6:7]
	v_div_fixup_f64 v[4:5], v[0:1], v[44:45], v[46:47]
	s_delay_alu instid0(VALU_DEP_1) | instskip(NEXT) | instid1(VALU_DEP_1)
	v_fma_f64 v[0:1], v[46:47], v[4:5], v[44:45]
	v_div_scale_f64 v[6:7], null, v[0:1], v[0:1], 1.0
	s_delay_alu instid0(VALU_DEP_1) | instskip(SKIP_2) | instid1(VALU_DEP_1)
	v_rcp_f64_e32 v[44:45], v[6:7]
	s_waitcnt_depctr 0xfff
	v_fma_f64 v[46:47], -v[6:7], v[44:45], 1.0
	v_fma_f64 v[44:45], v[44:45], v[46:47], v[44:45]
	s_delay_alu instid0(VALU_DEP_1) | instskip(NEXT) | instid1(VALU_DEP_1)
	v_fma_f64 v[46:47], -v[6:7], v[44:45], 1.0
	v_fma_f64 v[44:45], v[44:45], v[46:47], v[44:45]
	v_div_scale_f64 v[46:47], vcc_lo, 1.0, v[0:1], 1.0
	s_delay_alu instid0(VALU_DEP_1) | instskip(NEXT) | instid1(VALU_DEP_1)
	v_mul_f64 v[48:49], v[46:47], v[44:45]
	v_fma_f64 v[6:7], -v[6:7], v[48:49], v[46:47]
	s_delay_alu instid0(VALU_DEP_1) | instskip(NEXT) | instid1(VALU_DEP_1)
	v_div_fmas_f64 v[6:7], v[6:7], v[44:45], v[48:49]
	v_div_fixup_f64 v[0:1], v[6:7], v[0:1], 1.0
	s_delay_alu instid0(VALU_DEP_1)
	v_mul_f64 v[50:51], v[4:5], -v[0:1]
.LBB121_149:
	s_or_b32 exec_lo, exec_lo, s3
	ds_store_2addr_b64 v251, v[0:1], v[50:51] offset1:1
.LBB121_150:
	s_or_b32 exec_lo, exec_lo, s4
	s_waitcnt lgkmcnt(0)
	s_barrier
	buffer_gl0_inv
	ds_load_2addr_b64 v[44:47], v251 offset1:1
	s_mov_b32 s3, exec_lo
	v_cmpx_lt_u32_e32 11, v254
	s_cbranch_execz .LBB121_153
; %bb.151:
	scratch_load_b128 v[53:56], off, off offset:176
	s_mov_b32 s4, 0
	s_waitcnt vmcnt(0) lgkmcnt(0)
	v_mul_f64 v[0:1], v[46:47], v[55:56]
	v_mul_f64 v[4:5], v[44:45], v[55:56]
	s_delay_alu instid0(VALU_DEP_2) | instskip(NEXT) | instid1(VALU_DEP_2)
	v_fma_f64 v[48:49], v[44:45], v[53:54], -v[0:1]
	v_fma_f64 v[50:51], v[46:47], v[53:54], v[4:5]
	v_mov_b32_e32 v0, 0
	scratch_store_b128 off, v[48:51], off offset:176
.LBB121_152:                            ; =>This Inner Loop Header: Depth=1
	v_add_nc_u32_e32 v1, s4, v52
	v_readfirstlane_b32 s5, v0
	ds_load_2addr_b64 v[53:56], v1 offset1:1
	s_add_i32 s5, s5, s4
	s_addk_i32 s4, 0x70
	s_add_i32 s6, s5, 0xc0
	s_waitcnt lgkmcnt(0)
	v_mul_f64 v[4:5], v[55:56], v[50:51]
	v_mul_f64 v[6:7], v[53:54], v[50:51]
	s_delay_alu instid0(VALU_DEP_2) | instskip(NEXT) | instid1(VALU_DEP_2)
	v_fma_f64 v[4:5], v[53:54], v[48:49], -v[4:5]
	v_fma_f64 v[6:7], v[55:56], v[48:49], v[6:7]
	scratch_load_b128 v[53:56], off, s6
	s_waitcnt vmcnt(0)
	v_add_f64 v[53:54], v[53:54], -v[4:5]
	v_add_f64 v[55:56], v[55:56], -v[6:7]
	scratch_store_b128 off, v[53:56], s6
	ds_load_2addr_b64 v[53:56], v1 offset0:2 offset1:3
	s_add_i32 s6, s5, 0xd0
	s_waitcnt lgkmcnt(0)
	v_mul_f64 v[4:5], v[55:56], v[50:51]
	v_mul_f64 v[6:7], v[53:54], v[50:51]
	s_delay_alu instid0(VALU_DEP_2) | instskip(NEXT) | instid1(VALU_DEP_2)
	v_fma_f64 v[4:5], v[53:54], v[48:49], -v[4:5]
	v_fma_f64 v[6:7], v[55:56], v[48:49], v[6:7]
	scratch_load_b128 v[53:56], off, s6
	s_waitcnt vmcnt(0)
	v_add_f64 v[53:54], v[53:54], -v[4:5]
	v_add_f64 v[55:56], v[55:56], -v[6:7]
	scratch_store_b128 off, v[53:56], s6
	ds_load_2addr_b64 v[53:56], v1 offset0:4 offset1:5
	;; [unrolled: 13-line block ×5, first 2 shown]
	s_add_i32 s6, s5, 0x110
	s_addk_i32 s5, 0x120
	s_cmpk_lg_i32 s4, 0x310
	s_waitcnt lgkmcnt(0)
	v_mul_f64 v[4:5], v[55:56], v[50:51]
	v_mul_f64 v[6:7], v[53:54], v[50:51]
	s_delay_alu instid0(VALU_DEP_2) | instskip(NEXT) | instid1(VALU_DEP_2)
	v_fma_f64 v[4:5], v[53:54], v[48:49], -v[4:5]
	v_fma_f64 v[6:7], v[55:56], v[48:49], v[6:7]
	scratch_load_b128 v[48:51], off, s6
	ds_load_2addr_b64 v[53:56], v1 offset0:12 offset1:13
	s_waitcnt vmcnt(0)
	v_add_f64 v[48:49], v[48:49], -v[4:5]
	v_add_f64 v[50:51], v[50:51], -v[6:7]
	scratch_store_b128 off, v[48:51], s6
	scratch_load_b128 v[48:51], off, off offset:176
	s_waitcnt vmcnt(0) lgkmcnt(0)
	v_mul_f64 v[4:5], v[55:56], v[50:51]
	v_mul_f64 v[6:7], v[53:54], v[50:51]
	s_delay_alu instid0(VALU_DEP_2) | instskip(NEXT) | instid1(VALU_DEP_2)
	v_fma_f64 v[4:5], v[53:54], v[48:49], -v[4:5]
	v_fma_f64 v[6:7], v[55:56], v[48:49], v[6:7]
	scratch_load_b128 v[53:56], off, s5
	s_waitcnt vmcnt(0)
	v_add_f64 v[53:54], v[53:54], -v[4:5]
	v_add_f64 v[55:56], v[55:56], -v[6:7]
	scratch_store_b128 off, v[53:56], s5
	s_cbranch_scc1 .LBB121_152
.LBB121_153:
	s_or_b32 exec_lo, exec_lo, s3
	v_add3_u32 v56, v176, 0, 0xd0
	s_mov_b32 s4, exec_lo
	s_waitcnt lgkmcnt(0)
	s_waitcnt_vscnt null, 0x0
	s_barrier
	buffer_gl0_inv
	v_cmpx_eq_u32_e32 12, v254
	s_cbranch_execz .LBB121_162
; %bb.154:
	scratch_load_b32 v0, off, off offset:1140 ; 4-byte Folded Reload
	s_movk_i32 s3, 0xfd00
	s_waitcnt vmcnt(0)
	scratch_load_b128 v[48:51], v0, off
	v_mov_b32_e32 v0, 0
	s_waitcnt vmcnt(0)
	ds_store_2addr_b64 v251, v[48:49], v[50:51] offset1:1
.LBB121_155:                            ; =>This Inner Loop Header: Depth=1
	v_readfirstlane_b32 s5, v0
	v_add_nc_u32_e32 v1, s3, v56
	s_delay_alu instid0(VALU_DEP_2)
	s_add_i32 s5, s5, s3
	s_addk_i32 s3, 0x100
	s_add_i32 s6, s5, 0x3d0
	scratch_load_b128 v[48:51], off, s6
	s_add_i32 s6, s5, 0x3e0
	s_waitcnt vmcnt(0)
	ds_store_2addr_b64 v1, v[48:49], v[50:51] offset0:96 offset1:97
	scratch_load_b128 v[48:51], off, s6
	s_add_i32 s6, s5, 0x3f0
	s_waitcnt vmcnt(0)
	ds_store_2addr_b64 v1, v[48:49], v[50:51] offset0:98 offset1:99
	;; [unrolled: 4-line block ×13, first 2 shown]
	scratch_load_b128 v[48:51], off, s6
	s_add_i32 s6, s5, 0x4b0
	s_addk_i32 s5, 0x4c0
	s_cmp_lg_u32 s3, 0
	s_waitcnt vmcnt(0)
	ds_store_2addr_b64 v1, v[48:49], v[50:51] offset0:122 offset1:123
	scratch_load_b128 v[48:51], off, s6
	s_waitcnt vmcnt(0)
	ds_store_2addr_b64 v1, v[48:49], v[50:51] offset0:124 offset1:125
	scratch_load_b128 v[48:51], off, s5
	s_waitcnt vmcnt(0)
	ds_store_2addr_b64 v1, v[48:49], v[50:51] offset0:126 offset1:127
	s_cbranch_scc1 .LBB121_155
; %bb.156:
	ds_load_2addr_b64 v[48:51], v251 offset1:1
	s_waitcnt lgkmcnt(0)
	v_cmp_neq_f64_e32 vcc_lo, 0, v[48:49]
	v_cmp_neq_f64_e64 s3, 0, v[50:51]
	s_delay_alu instid0(VALU_DEP_1) | instskip(NEXT) | instid1(SALU_CYCLE_1)
	s_or_b32 s3, vcc_lo, s3
	s_and_b32 exec_lo, exec_lo, s3
	s_cbranch_execz .LBB121_162
; %bb.157:
	v_cmp_gt_f64_e32 vcc_lo, 0, v[48:49]
	v_cmp_gt_f64_e64 s3, 0, v[50:51]
	v_xor_b32_e32 v0, 0x80000000, v49
	v_xor_b32_e32 v4, 0x80000000, v51
	s_delay_alu instid0(VALU_DEP_2) | instskip(NEXT) | instid1(VALU_DEP_2)
	v_cndmask_b32_e32 v1, v49, v0, vcc_lo
	v_cndmask_b32_e64 v5, v51, v4, s3
	v_cndmask_b32_e32 v0, v48, v48, vcc_lo
	v_cndmask_b32_e64 v4, v50, v50, s3
	s_delay_alu instid0(VALU_DEP_1) | instskip(SKIP_1) | instid1(SALU_CYCLE_1)
	v_cmp_ngt_f64_e32 vcc_lo, v[0:1], v[4:5]
                                        ; implicit-def: $vgpr0_vgpr1
	s_and_saveexec_b32 s3, vcc_lo
	s_xor_b32 s3, exec_lo, s3
                                        ; implicit-def: $vgpr52_vgpr53_vgpr54_vgpr55
	s_cbranch_execz .LBB121_159
; %bb.158:
	v_div_scale_f64 v[0:1], null, v[50:51], v[50:51], v[48:49]
	v_div_scale_f64 v[52:53], vcc_lo, v[48:49], v[50:51], v[48:49]
	s_delay_alu instid0(VALU_DEP_2) | instskip(SKIP_2) | instid1(VALU_DEP_1)
	v_rcp_f64_e32 v[4:5], v[0:1]
	s_waitcnt_depctr 0xfff
	v_fma_f64 v[6:7], -v[0:1], v[4:5], 1.0
	v_fma_f64 v[4:5], v[4:5], v[6:7], v[4:5]
	s_delay_alu instid0(VALU_DEP_1) | instskip(NEXT) | instid1(VALU_DEP_1)
	v_fma_f64 v[6:7], -v[0:1], v[4:5], 1.0
	v_fma_f64 v[4:5], v[4:5], v[6:7], v[4:5]
	s_delay_alu instid0(VALU_DEP_1) | instskip(NEXT) | instid1(VALU_DEP_1)
	v_mul_f64 v[6:7], v[52:53], v[4:5]
	v_fma_f64 v[0:1], -v[0:1], v[6:7], v[52:53]
	s_delay_alu instid0(VALU_DEP_1) | instskip(NEXT) | instid1(VALU_DEP_1)
	v_div_fmas_f64 v[0:1], v[0:1], v[4:5], v[6:7]
	v_div_fixup_f64 v[0:1], v[0:1], v[50:51], v[48:49]
	s_delay_alu instid0(VALU_DEP_1) | instskip(NEXT) | instid1(VALU_DEP_1)
	v_fma_f64 v[4:5], v[48:49], v[0:1], v[50:51]
	v_div_scale_f64 v[6:7], null, v[4:5], v[4:5], 1.0
	s_delay_alu instid0(VALU_DEP_1) | instskip(SKIP_2) | instid1(VALU_DEP_1)
	v_rcp_f64_e32 v[48:49], v[6:7]
	s_waitcnt_depctr 0xfff
	v_fma_f64 v[50:51], -v[6:7], v[48:49], 1.0
	v_fma_f64 v[48:49], v[48:49], v[50:51], v[48:49]
	s_delay_alu instid0(VALU_DEP_1) | instskip(NEXT) | instid1(VALU_DEP_1)
	v_fma_f64 v[50:51], -v[6:7], v[48:49], 1.0
	v_fma_f64 v[48:49], v[48:49], v[50:51], v[48:49]
	v_div_scale_f64 v[50:51], vcc_lo, 1.0, v[4:5], 1.0
	s_delay_alu instid0(VALU_DEP_1) | instskip(NEXT) | instid1(VALU_DEP_1)
	v_mul_f64 v[52:53], v[50:51], v[48:49]
	v_fma_f64 v[6:7], -v[6:7], v[52:53], v[50:51]
	s_delay_alu instid0(VALU_DEP_1) | instskip(NEXT) | instid1(VALU_DEP_1)
	v_div_fmas_f64 v[6:7], v[6:7], v[48:49], v[52:53]
                                        ; implicit-def: $vgpr48_vgpr49
	v_div_fixup_f64 v[54:55], v[6:7], v[4:5], 1.0
	s_delay_alu instid0(VALU_DEP_1)
	v_mul_f64 v[0:1], v[0:1], v[54:55]
	v_xor_b32_e32 v55, 0x80000000, v55
.LBB121_159:
	s_and_not1_saveexec_b32 s3, s3
	s_cbranch_execz .LBB121_161
; %bb.160:
	v_div_scale_f64 v[0:1], null, v[48:49], v[48:49], v[50:51]
	v_div_scale_f64 v[52:53], vcc_lo, v[50:51], v[48:49], v[50:51]
	s_delay_alu instid0(VALU_DEP_2) | instskip(SKIP_2) | instid1(VALU_DEP_1)
	v_rcp_f64_e32 v[4:5], v[0:1]
	s_waitcnt_depctr 0xfff
	v_fma_f64 v[6:7], -v[0:1], v[4:5], 1.0
	v_fma_f64 v[4:5], v[4:5], v[6:7], v[4:5]
	s_delay_alu instid0(VALU_DEP_1) | instskip(NEXT) | instid1(VALU_DEP_1)
	v_fma_f64 v[6:7], -v[0:1], v[4:5], 1.0
	v_fma_f64 v[4:5], v[4:5], v[6:7], v[4:5]
	s_delay_alu instid0(VALU_DEP_1) | instskip(NEXT) | instid1(VALU_DEP_1)
	v_mul_f64 v[6:7], v[52:53], v[4:5]
	v_fma_f64 v[0:1], -v[0:1], v[6:7], v[52:53]
	s_delay_alu instid0(VALU_DEP_1) | instskip(NEXT) | instid1(VALU_DEP_1)
	v_div_fmas_f64 v[0:1], v[0:1], v[4:5], v[6:7]
	v_div_fixup_f64 v[4:5], v[0:1], v[48:49], v[50:51]
	s_delay_alu instid0(VALU_DEP_1) | instskip(NEXT) | instid1(VALU_DEP_1)
	v_fma_f64 v[0:1], v[50:51], v[4:5], v[48:49]
	v_div_scale_f64 v[6:7], null, v[0:1], v[0:1], 1.0
	s_delay_alu instid0(VALU_DEP_1) | instskip(SKIP_2) | instid1(VALU_DEP_1)
	v_rcp_f64_e32 v[48:49], v[6:7]
	s_waitcnt_depctr 0xfff
	v_fma_f64 v[50:51], -v[6:7], v[48:49], 1.0
	v_fma_f64 v[48:49], v[48:49], v[50:51], v[48:49]
	s_delay_alu instid0(VALU_DEP_1) | instskip(NEXT) | instid1(VALU_DEP_1)
	v_fma_f64 v[50:51], -v[6:7], v[48:49], 1.0
	v_fma_f64 v[48:49], v[48:49], v[50:51], v[48:49]
	v_div_scale_f64 v[50:51], vcc_lo, 1.0, v[0:1], 1.0
	s_delay_alu instid0(VALU_DEP_1) | instskip(NEXT) | instid1(VALU_DEP_1)
	v_mul_f64 v[52:53], v[50:51], v[48:49]
	v_fma_f64 v[6:7], -v[6:7], v[52:53], v[50:51]
	s_delay_alu instid0(VALU_DEP_1) | instskip(NEXT) | instid1(VALU_DEP_1)
	v_div_fmas_f64 v[6:7], v[6:7], v[48:49], v[52:53]
	v_div_fixup_f64 v[0:1], v[6:7], v[0:1], 1.0
	s_delay_alu instid0(VALU_DEP_1)
	v_mul_f64 v[54:55], v[4:5], -v[0:1]
.LBB121_161:
	s_or_b32 exec_lo, exec_lo, s3
	ds_store_2addr_b64 v251, v[0:1], v[54:55] offset1:1
.LBB121_162:
	s_or_b32 exec_lo, exec_lo, s4
	s_waitcnt lgkmcnt(0)
	s_barrier
	buffer_gl0_inv
	ds_load_2addr_b64 v[48:51], v251 offset1:1
	s_mov_b32 s3, exec_lo
	v_cmpx_lt_u32_e32 12, v254
	s_cbranch_execz .LBB121_165
; %bb.163:
	scratch_load_b128 v[57:60], off, off offset:192
	s_mov_b32 s4, 0
	s_waitcnt vmcnt(0) lgkmcnt(0)
	v_mul_f64 v[0:1], v[50:51], v[59:60]
	v_mul_f64 v[4:5], v[48:49], v[59:60]
	s_delay_alu instid0(VALU_DEP_2) | instskip(NEXT) | instid1(VALU_DEP_2)
	v_fma_f64 v[52:53], v[48:49], v[57:58], -v[0:1]
	v_fma_f64 v[54:55], v[50:51], v[57:58], v[4:5]
	v_mov_b32_e32 v0, 0
	scratch_store_b128 off, v[52:55], off offset:192
.LBB121_164:                            ; =>This Inner Loop Header: Depth=1
	v_add_nc_u32_e32 v1, s4, v56
	v_readfirstlane_b32 s5, v0
	ds_load_2addr_b64 v[57:60], v1 offset1:1
	s_add_i32 s5, s5, s4
	s_addk_i32 s4, 0x60
	s_add_i32 s6, s5, 0xd0
	s_waitcnt lgkmcnt(0)
	v_mul_f64 v[4:5], v[59:60], v[54:55]
	v_mul_f64 v[6:7], v[57:58], v[54:55]
	s_delay_alu instid0(VALU_DEP_2) | instskip(NEXT) | instid1(VALU_DEP_2)
	v_fma_f64 v[4:5], v[57:58], v[52:53], -v[4:5]
	v_fma_f64 v[6:7], v[59:60], v[52:53], v[6:7]
	scratch_load_b128 v[57:60], off, s6
	s_waitcnt vmcnt(0)
	v_add_f64 v[57:58], v[57:58], -v[4:5]
	v_add_f64 v[59:60], v[59:60], -v[6:7]
	scratch_store_b128 off, v[57:60], s6
	ds_load_2addr_b64 v[57:60], v1 offset0:2 offset1:3
	s_add_i32 s6, s5, 0xe0
	s_waitcnt lgkmcnt(0)
	v_mul_f64 v[4:5], v[59:60], v[54:55]
	v_mul_f64 v[6:7], v[57:58], v[54:55]
	s_delay_alu instid0(VALU_DEP_2) | instskip(NEXT) | instid1(VALU_DEP_2)
	v_fma_f64 v[4:5], v[57:58], v[52:53], -v[4:5]
	v_fma_f64 v[6:7], v[59:60], v[52:53], v[6:7]
	scratch_load_b128 v[57:60], off, s6
	s_waitcnt vmcnt(0)
	v_add_f64 v[57:58], v[57:58], -v[4:5]
	v_add_f64 v[59:60], v[59:60], -v[6:7]
	scratch_store_b128 off, v[57:60], s6
	ds_load_2addr_b64 v[57:60], v1 offset0:4 offset1:5
	;; [unrolled: 13-line block ×4, first 2 shown]
	s_add_i32 s6, s5, 0x110
	s_addk_i32 s5, 0x120
	s_cmpk_lg_i32 s4, 0x300
	s_waitcnt lgkmcnt(0)
	v_mul_f64 v[4:5], v[59:60], v[54:55]
	v_mul_f64 v[6:7], v[57:58], v[54:55]
	s_delay_alu instid0(VALU_DEP_2) | instskip(NEXT) | instid1(VALU_DEP_2)
	v_fma_f64 v[4:5], v[57:58], v[52:53], -v[4:5]
	v_fma_f64 v[6:7], v[59:60], v[52:53], v[6:7]
	scratch_load_b128 v[57:60], off, s6
	s_waitcnt vmcnt(0)
	v_add_f64 v[57:58], v[57:58], -v[4:5]
	v_add_f64 v[59:60], v[59:60], -v[6:7]
	scratch_store_b128 off, v[57:60], s6
	ds_load_2addr_b64 v[57:60], v1 offset0:10 offset1:11
	s_waitcnt lgkmcnt(0)
	v_mul_f64 v[4:5], v[59:60], v[54:55]
	v_mul_f64 v[6:7], v[57:58], v[54:55]
	s_delay_alu instid0(VALU_DEP_2) | instskip(NEXT) | instid1(VALU_DEP_2)
	v_fma_f64 v[4:5], v[57:58], v[52:53], -v[4:5]
	v_fma_f64 v[6:7], v[59:60], v[52:53], v[6:7]
	scratch_load_b128 v[57:60], off, s5
	s_waitcnt vmcnt(0)
	v_add_f64 v[57:58], v[57:58], -v[4:5]
	v_add_f64 v[59:60], v[59:60], -v[6:7]
	scratch_store_b128 off, v[57:60], s5
	s_cbranch_scc1 .LBB121_164
.LBB121_165:
	s_or_b32 exec_lo, exec_lo, s3
	s_delay_alu instid0(SALU_CYCLE_1)
	s_mov_b32 s4, exec_lo
	s_waitcnt lgkmcnt(0)
	s_waitcnt_vscnt null, 0x0
	s_barrier
	buffer_gl0_inv
	v_cmpx_eq_u32_e32 13, v254
	s_cbranch_execz .LBB121_176
; %bb.166:
	scratch_load_b32 v0, off, off offset:1136 ; 4-byte Folded Reload
	s_movk_i32 s3, 0xfd80
	s_waitcnt vmcnt(0)
	scratch_load_b128 v[52:55], v0, off
	v_mov_b32_e32 v0, 0
	s_waitcnt vmcnt(0)
	ds_store_2addr_b64 v251, v[52:53], v[54:55] offset1:1
	s_branch .LBB121_168
.LBB121_167:                            ;   in Loop: Header=BB121_168 Depth=1
	s_addk_i32 s5, 0x3d0
	s_addk_i32 s3, 0x80
	scratch_load_b128 v[52:55], off, s5
	s_waitcnt vmcnt(0)
	ds_store_2addr_b64 v1, v[52:53], v[54:55] offset0:122 offset1:123
	s_cbranch_execz .LBB121_170
.LBB121_168:                            ; =>This Inner Loop Header: Depth=1
	v_readfirstlane_b32 s5, v0
	v_add_nc_u32_e32 v1, s3, v244
	s_delay_alu instid0(VALU_DEP_2) | instskip(NEXT) | instid1(SALU_CYCLE_1)
	s_add_i32 s5, s5, s3
	s_add_i32 s6, s5, 0x360
	scratch_load_b128 v[52:55], off, s6
	s_add_i32 s6, s5, 0x370
	s_waitcnt vmcnt(0)
	ds_store_2addr_b64 v1, v[52:53], v[54:55] offset0:108 offset1:109
	scratch_load_b128 v[52:55], off, s6
	s_add_i32 s6, s5, 0x380
	s_waitcnt vmcnt(0)
	ds_store_2addr_b64 v1, v[52:53], v[54:55] offset0:110 offset1:111
	;; [unrolled: 4-line block ×5, first 2 shown]
	scratch_load_b128 v[52:55], off, s6
	s_add_i32 s6, s5, 0x3c0
	s_cmp_eq_u32 s3, 0
	s_waitcnt vmcnt(0)
	ds_store_2addr_b64 v1, v[52:53], v[54:55] offset0:118 offset1:119
	scratch_load_b128 v[52:55], off, s6
	s_waitcnt vmcnt(0)
	ds_store_2addr_b64 v1, v[52:53], v[54:55] offset0:120 offset1:121
	s_cbranch_scc0 .LBB121_167
; %bb.169:
                                        ; implicit-def: $sgpr3
.LBB121_170:
	ds_load_2addr_b64 v[52:55], v251 offset1:1
	s_waitcnt lgkmcnt(0)
	v_cmp_neq_f64_e32 vcc_lo, 0, v[52:53]
	v_cmp_neq_f64_e64 s3, 0, v[54:55]
	s_delay_alu instid0(VALU_DEP_1) | instskip(NEXT) | instid1(SALU_CYCLE_1)
	s_or_b32 s3, vcc_lo, s3
	s_and_b32 exec_lo, exec_lo, s3
	s_cbranch_execz .LBB121_176
; %bb.171:
	v_cmp_gt_f64_e32 vcc_lo, 0, v[52:53]
	v_cmp_gt_f64_e64 s3, 0, v[54:55]
	v_xor_b32_e32 v0, 0x80000000, v53
	v_xor_b32_e32 v4, 0x80000000, v55
	s_delay_alu instid0(VALU_DEP_2) | instskip(NEXT) | instid1(VALU_DEP_2)
	v_cndmask_b32_e32 v1, v53, v0, vcc_lo
	v_cndmask_b32_e64 v5, v55, v4, s3
	v_cndmask_b32_e32 v0, v52, v52, vcc_lo
	v_cndmask_b32_e64 v4, v54, v54, s3
	s_delay_alu instid0(VALU_DEP_1) | instskip(SKIP_1) | instid1(SALU_CYCLE_1)
	v_cmp_ngt_f64_e32 vcc_lo, v[0:1], v[4:5]
                                        ; implicit-def: $vgpr0_vgpr1
	s_and_saveexec_b32 s3, vcc_lo
	s_xor_b32 s3, exec_lo, s3
                                        ; implicit-def: $vgpr56_vgpr57_vgpr58_vgpr59
	s_cbranch_execz .LBB121_173
; %bb.172:
	v_div_scale_f64 v[0:1], null, v[54:55], v[54:55], v[52:53]
	v_div_scale_f64 v[56:57], vcc_lo, v[52:53], v[54:55], v[52:53]
	s_delay_alu instid0(VALU_DEP_2) | instskip(SKIP_2) | instid1(VALU_DEP_1)
	v_rcp_f64_e32 v[4:5], v[0:1]
	s_waitcnt_depctr 0xfff
	v_fma_f64 v[6:7], -v[0:1], v[4:5], 1.0
	v_fma_f64 v[4:5], v[4:5], v[6:7], v[4:5]
	s_delay_alu instid0(VALU_DEP_1) | instskip(NEXT) | instid1(VALU_DEP_1)
	v_fma_f64 v[6:7], -v[0:1], v[4:5], 1.0
	v_fma_f64 v[4:5], v[4:5], v[6:7], v[4:5]
	s_delay_alu instid0(VALU_DEP_1) | instskip(NEXT) | instid1(VALU_DEP_1)
	v_mul_f64 v[6:7], v[56:57], v[4:5]
	v_fma_f64 v[0:1], -v[0:1], v[6:7], v[56:57]
	s_delay_alu instid0(VALU_DEP_1) | instskip(NEXT) | instid1(VALU_DEP_1)
	v_div_fmas_f64 v[0:1], v[0:1], v[4:5], v[6:7]
	v_div_fixup_f64 v[0:1], v[0:1], v[54:55], v[52:53]
	s_delay_alu instid0(VALU_DEP_1) | instskip(NEXT) | instid1(VALU_DEP_1)
	v_fma_f64 v[4:5], v[52:53], v[0:1], v[54:55]
	v_div_scale_f64 v[6:7], null, v[4:5], v[4:5], 1.0
	s_delay_alu instid0(VALU_DEP_1) | instskip(SKIP_2) | instid1(VALU_DEP_1)
	v_rcp_f64_e32 v[52:53], v[6:7]
	s_waitcnt_depctr 0xfff
	v_fma_f64 v[54:55], -v[6:7], v[52:53], 1.0
	v_fma_f64 v[52:53], v[52:53], v[54:55], v[52:53]
	s_delay_alu instid0(VALU_DEP_1) | instskip(NEXT) | instid1(VALU_DEP_1)
	v_fma_f64 v[54:55], -v[6:7], v[52:53], 1.0
	v_fma_f64 v[52:53], v[52:53], v[54:55], v[52:53]
	v_div_scale_f64 v[54:55], vcc_lo, 1.0, v[4:5], 1.0
	s_delay_alu instid0(VALU_DEP_1) | instskip(NEXT) | instid1(VALU_DEP_1)
	v_mul_f64 v[56:57], v[54:55], v[52:53]
	v_fma_f64 v[6:7], -v[6:7], v[56:57], v[54:55]
	s_delay_alu instid0(VALU_DEP_1) | instskip(NEXT) | instid1(VALU_DEP_1)
	v_div_fmas_f64 v[6:7], v[6:7], v[52:53], v[56:57]
                                        ; implicit-def: $vgpr52_vgpr53
	v_div_fixup_f64 v[58:59], v[6:7], v[4:5], 1.0
	s_delay_alu instid0(VALU_DEP_1)
	v_mul_f64 v[0:1], v[0:1], v[58:59]
	v_xor_b32_e32 v59, 0x80000000, v59
.LBB121_173:
	s_and_not1_saveexec_b32 s3, s3
	s_cbranch_execz .LBB121_175
; %bb.174:
	v_div_scale_f64 v[0:1], null, v[52:53], v[52:53], v[54:55]
	v_div_scale_f64 v[56:57], vcc_lo, v[54:55], v[52:53], v[54:55]
	s_delay_alu instid0(VALU_DEP_2) | instskip(SKIP_2) | instid1(VALU_DEP_1)
	v_rcp_f64_e32 v[4:5], v[0:1]
	s_waitcnt_depctr 0xfff
	v_fma_f64 v[6:7], -v[0:1], v[4:5], 1.0
	v_fma_f64 v[4:5], v[4:5], v[6:7], v[4:5]
	s_delay_alu instid0(VALU_DEP_1) | instskip(NEXT) | instid1(VALU_DEP_1)
	v_fma_f64 v[6:7], -v[0:1], v[4:5], 1.0
	v_fma_f64 v[4:5], v[4:5], v[6:7], v[4:5]
	s_delay_alu instid0(VALU_DEP_1) | instskip(NEXT) | instid1(VALU_DEP_1)
	v_mul_f64 v[6:7], v[56:57], v[4:5]
	v_fma_f64 v[0:1], -v[0:1], v[6:7], v[56:57]
	s_delay_alu instid0(VALU_DEP_1) | instskip(NEXT) | instid1(VALU_DEP_1)
	v_div_fmas_f64 v[0:1], v[0:1], v[4:5], v[6:7]
	v_div_fixup_f64 v[4:5], v[0:1], v[52:53], v[54:55]
	s_delay_alu instid0(VALU_DEP_1) | instskip(NEXT) | instid1(VALU_DEP_1)
	v_fma_f64 v[0:1], v[54:55], v[4:5], v[52:53]
	v_div_scale_f64 v[6:7], null, v[0:1], v[0:1], 1.0
	s_delay_alu instid0(VALU_DEP_1) | instskip(SKIP_2) | instid1(VALU_DEP_1)
	v_rcp_f64_e32 v[52:53], v[6:7]
	s_waitcnt_depctr 0xfff
	v_fma_f64 v[54:55], -v[6:7], v[52:53], 1.0
	v_fma_f64 v[52:53], v[52:53], v[54:55], v[52:53]
	s_delay_alu instid0(VALU_DEP_1) | instskip(NEXT) | instid1(VALU_DEP_1)
	v_fma_f64 v[54:55], -v[6:7], v[52:53], 1.0
	v_fma_f64 v[52:53], v[52:53], v[54:55], v[52:53]
	v_div_scale_f64 v[54:55], vcc_lo, 1.0, v[0:1], 1.0
	s_delay_alu instid0(VALU_DEP_1) | instskip(NEXT) | instid1(VALU_DEP_1)
	v_mul_f64 v[56:57], v[54:55], v[52:53]
	v_fma_f64 v[6:7], -v[6:7], v[56:57], v[54:55]
	s_delay_alu instid0(VALU_DEP_1) | instskip(NEXT) | instid1(VALU_DEP_1)
	v_div_fmas_f64 v[6:7], v[6:7], v[52:53], v[56:57]
	v_div_fixup_f64 v[0:1], v[6:7], v[0:1], 1.0
	s_delay_alu instid0(VALU_DEP_1)
	v_mul_f64 v[58:59], v[4:5], -v[0:1]
.LBB121_175:
	s_or_b32 exec_lo, exec_lo, s3
	ds_store_2addr_b64 v251, v[0:1], v[58:59] offset1:1
.LBB121_176:
	s_or_b32 exec_lo, exec_lo, s4
	s_waitcnt lgkmcnt(0)
	s_barrier
	buffer_gl0_inv
	ds_load_2addr_b64 v[52:55], v251 offset1:1
	s_mov_b32 s3, exec_lo
	v_cmpx_lt_u32_e32 13, v254
	s_cbranch_execz .LBB121_181
; %bb.177:
	scratch_load_b128 v[58:61], off, off offset:208
	s_mov_b32 s4, 0
	s_waitcnt vmcnt(0) lgkmcnt(0)
	v_mul_f64 v[0:1], v[54:55], v[60:61]
	v_mul_f64 v[4:5], v[52:53], v[60:61]
	s_delay_alu instid0(VALU_DEP_2) | instskip(NEXT) | instid1(VALU_DEP_2)
	v_fma_f64 v[56:57], v[52:53], v[58:59], -v[0:1]
	v_fma_f64 v[58:59], v[54:55], v[58:59], v[4:5]
	v_add3_u32 v0, v176, 0, 0xe0
	v_mov_b32_e32 v1, 0
	scratch_store_b128 off, v[56:59], off offset:208
	s_branch .LBB121_179
.LBB121_178:                            ;   in Loop: Header=BB121_179 Depth=1
	s_and_not1_b32 vcc_lo, exec_lo, s6
	s_cbranch_vccz .LBB121_181
.LBB121_179:                            ; =>This Inner Loop Header: Depth=1
	v_add_nc_u32_e32 v60, s4, v0
	v_readfirstlane_b32 s5, v1
	ds_load_2addr_b64 v[61:64], v60 offset1:1
	s_add_i32 s5, s5, s4
	s_delay_alu instid0(SALU_CYCLE_1) | instskip(SKIP_3) | instid1(VALU_DEP_2)
	s_add_i32 s6, s5, 0xe0
	s_waitcnt lgkmcnt(0)
	v_mul_f64 v[4:5], v[63:64], v[58:59]
	v_mul_f64 v[6:7], v[61:62], v[58:59]
	v_fma_f64 v[4:5], v[61:62], v[56:57], -v[4:5]
	s_delay_alu instid0(VALU_DEP_2)
	v_fma_f64 v[6:7], v[63:64], v[56:57], v[6:7]
	scratch_load_b128 v[61:64], off, s6
	s_waitcnt vmcnt(0)
	v_add_f64 v[61:62], v[61:62], -v[4:5]
	v_add_f64 v[63:64], v[63:64], -v[6:7]
	scratch_store_b128 off, v[61:64], s6
	ds_load_2addr_b64 v[61:64], v60 offset0:2 offset1:3
	s_add_i32 s6, s5, 0xf0
	s_waitcnt lgkmcnt(0)
	v_mul_f64 v[4:5], v[63:64], v[58:59]
	v_mul_f64 v[6:7], v[61:62], v[58:59]
	s_delay_alu instid0(VALU_DEP_2) | instskip(NEXT) | instid1(VALU_DEP_2)
	v_fma_f64 v[4:5], v[61:62], v[56:57], -v[4:5]
	v_fma_f64 v[6:7], v[63:64], v[56:57], v[6:7]
	scratch_load_b128 v[61:64], off, s6
	s_waitcnt vmcnt(0)
	v_add_f64 v[61:62], v[61:62], -v[4:5]
	v_add_f64 v[63:64], v[63:64], -v[6:7]
	scratch_store_b128 off, v[61:64], s6
	ds_load_2addr_b64 v[61:64], v60 offset0:4 offset1:5
	s_add_i32 s6, s5, 0x100
	s_cmpk_eq_i32 s4, 0x2c0
	s_waitcnt lgkmcnt(0)
	v_mul_f64 v[4:5], v[63:64], v[58:59]
	v_mul_f64 v[6:7], v[61:62], v[58:59]
	s_delay_alu instid0(VALU_DEP_2) | instskip(NEXT) | instid1(VALU_DEP_2)
	v_fma_f64 v[4:5], v[61:62], v[56:57], -v[4:5]
	v_fma_f64 v[6:7], v[63:64], v[56:57], v[6:7]
	scratch_load_b128 v[61:64], off, s6
	s_waitcnt vmcnt(0)
	v_add_f64 v[61:62], v[61:62], -v[4:5]
	v_add_f64 v[63:64], v[63:64], -v[6:7]
	scratch_store_b128 off, v[61:64], s6
	s_mov_b32 s6, -1
	s_cbranch_scc1 .LBB121_178
; %bb.180:                              ;   in Loop: Header=BB121_179 Depth=1
	ds_load_2addr_b64 v[60:63], v60 offset0:6 offset1:7
	s_addk_i32 s5, 0x110
	s_add_i32 s4, s4, 64
	s_mov_b32 s6, 0
	s_waitcnt lgkmcnt(0)
	v_mul_f64 v[4:5], v[62:63], v[58:59]
	v_mul_f64 v[6:7], v[60:61], v[58:59]
	s_delay_alu instid0(VALU_DEP_2) | instskip(NEXT) | instid1(VALU_DEP_2)
	v_fma_f64 v[4:5], v[60:61], v[56:57], -v[4:5]
	v_fma_f64 v[6:7], v[62:63], v[56:57], v[6:7]
	scratch_load_b128 v[60:63], off, s5
	s_waitcnt vmcnt(0)
	v_add_f64 v[60:61], v[60:61], -v[4:5]
	v_add_f64 v[62:63], v[62:63], -v[6:7]
	scratch_store_b128 off, v[60:63], s5
	s_branch .LBB121_178
.LBB121_181:
	s_or_b32 exec_lo, exec_lo, s3
	v_add3_u32 v64, v176, 0, 0xf0
	s_mov_b32 s4, exec_lo
	s_waitcnt lgkmcnt(0)
	s_waitcnt_vscnt null, 0x0
	s_barrier
	buffer_gl0_inv
	v_cmpx_eq_u32_e32 14, v254
	s_cbranch_execz .LBB121_190
; %bb.182:
	scratch_load_b32 v0, off, off offset:1132 ; 4-byte Folded Reload
	s_mov_b32 s3, 0
	s_waitcnt vmcnt(0)
	scratch_load_b128 v[56:59], v0, off
	s_waitcnt vmcnt(0)
	ds_store_2addr_b64 v251, v[56:57], v[58:59] offset1:1
	.p2align	6
.LBB121_183:                            ; =>This Inner Loop Header: Depth=1
	v_add_nc_u32_e64 v0, s3, 0
	s_delay_alu instid0(VALU_DEP_1)
	v_add_nc_u32_e32 v1, 0xf0, v0
	v_add_nc_u32_e32 v0, 0x100, v0
	s_clause 0x1
	scratch_load_b128 v[56:59], v1, off
	scratch_load_b128 v[60:63], v0, off
	v_add_nc_u32_e32 v0, s3, v64
	s_add_i32 s3, s3, 32
	s_waitcnt vmcnt(1)
	ds_store_2addr_b64 v0, v[56:57], v[58:59] offset1:1
	s_waitcnt vmcnt(0)
	ds_store_2addr_b64 v0, v[60:61], v[62:63] offset0:2 offset1:3
	s_cmpk_lg_i32 s3, 0x2e0
	s_cbranch_scc1 .LBB121_183
; %bb.184:
	ds_load_2addr_b64 v[56:59], v251 offset1:1
	s_waitcnt lgkmcnt(0)
	v_cmp_neq_f64_e32 vcc_lo, 0, v[56:57]
	v_cmp_neq_f64_e64 s3, 0, v[58:59]
	s_delay_alu instid0(VALU_DEP_1) | instskip(NEXT) | instid1(SALU_CYCLE_1)
	s_or_b32 s3, vcc_lo, s3
	s_and_b32 exec_lo, exec_lo, s3
	s_cbranch_execz .LBB121_190
; %bb.185:
	v_cmp_gt_f64_e32 vcc_lo, 0, v[56:57]
	v_cmp_gt_f64_e64 s3, 0, v[58:59]
	v_xor_b32_e32 v0, 0x80000000, v57
	v_xor_b32_e32 v4, 0x80000000, v59
	s_delay_alu instid0(VALU_DEP_2) | instskip(NEXT) | instid1(VALU_DEP_2)
	v_cndmask_b32_e32 v1, v57, v0, vcc_lo
	v_cndmask_b32_e64 v5, v59, v4, s3
	v_cndmask_b32_e32 v0, v56, v56, vcc_lo
	v_cndmask_b32_e64 v4, v58, v58, s3
	s_delay_alu instid0(VALU_DEP_1) | instskip(SKIP_1) | instid1(SALU_CYCLE_1)
	v_cmp_ngt_f64_e32 vcc_lo, v[0:1], v[4:5]
                                        ; implicit-def: $vgpr0_vgpr1
	s_and_saveexec_b32 s3, vcc_lo
	s_xor_b32 s3, exec_lo, s3
                                        ; implicit-def: $vgpr60_vgpr61_vgpr62_vgpr63
	s_cbranch_execz .LBB121_187
; %bb.186:
	v_div_scale_f64 v[0:1], null, v[58:59], v[58:59], v[56:57]
	v_div_scale_f64 v[60:61], vcc_lo, v[56:57], v[58:59], v[56:57]
	s_delay_alu instid0(VALU_DEP_2) | instskip(SKIP_2) | instid1(VALU_DEP_1)
	v_rcp_f64_e32 v[4:5], v[0:1]
	s_waitcnt_depctr 0xfff
	v_fma_f64 v[6:7], -v[0:1], v[4:5], 1.0
	v_fma_f64 v[4:5], v[4:5], v[6:7], v[4:5]
	s_delay_alu instid0(VALU_DEP_1) | instskip(NEXT) | instid1(VALU_DEP_1)
	v_fma_f64 v[6:7], -v[0:1], v[4:5], 1.0
	v_fma_f64 v[4:5], v[4:5], v[6:7], v[4:5]
	s_delay_alu instid0(VALU_DEP_1) | instskip(NEXT) | instid1(VALU_DEP_1)
	v_mul_f64 v[6:7], v[60:61], v[4:5]
	v_fma_f64 v[0:1], -v[0:1], v[6:7], v[60:61]
	s_delay_alu instid0(VALU_DEP_1) | instskip(NEXT) | instid1(VALU_DEP_1)
	v_div_fmas_f64 v[0:1], v[0:1], v[4:5], v[6:7]
	v_div_fixup_f64 v[0:1], v[0:1], v[58:59], v[56:57]
	s_delay_alu instid0(VALU_DEP_1) | instskip(NEXT) | instid1(VALU_DEP_1)
	v_fma_f64 v[4:5], v[56:57], v[0:1], v[58:59]
	v_div_scale_f64 v[6:7], null, v[4:5], v[4:5], 1.0
	s_delay_alu instid0(VALU_DEP_1) | instskip(SKIP_2) | instid1(VALU_DEP_1)
	v_rcp_f64_e32 v[56:57], v[6:7]
	s_waitcnt_depctr 0xfff
	v_fma_f64 v[58:59], -v[6:7], v[56:57], 1.0
	v_fma_f64 v[56:57], v[56:57], v[58:59], v[56:57]
	s_delay_alu instid0(VALU_DEP_1) | instskip(NEXT) | instid1(VALU_DEP_1)
	v_fma_f64 v[58:59], -v[6:7], v[56:57], 1.0
	v_fma_f64 v[56:57], v[56:57], v[58:59], v[56:57]
	v_div_scale_f64 v[58:59], vcc_lo, 1.0, v[4:5], 1.0
	s_delay_alu instid0(VALU_DEP_1) | instskip(NEXT) | instid1(VALU_DEP_1)
	v_mul_f64 v[60:61], v[58:59], v[56:57]
	v_fma_f64 v[6:7], -v[6:7], v[60:61], v[58:59]
	s_delay_alu instid0(VALU_DEP_1) | instskip(NEXT) | instid1(VALU_DEP_1)
	v_div_fmas_f64 v[6:7], v[6:7], v[56:57], v[60:61]
                                        ; implicit-def: $vgpr56_vgpr57
	v_div_fixup_f64 v[62:63], v[6:7], v[4:5], 1.0
	s_delay_alu instid0(VALU_DEP_1)
	v_mul_f64 v[0:1], v[0:1], v[62:63]
	v_xor_b32_e32 v63, 0x80000000, v63
.LBB121_187:
	s_and_not1_saveexec_b32 s3, s3
	s_cbranch_execz .LBB121_189
; %bb.188:
	v_div_scale_f64 v[0:1], null, v[56:57], v[56:57], v[58:59]
	v_div_scale_f64 v[60:61], vcc_lo, v[58:59], v[56:57], v[58:59]
	s_delay_alu instid0(VALU_DEP_2) | instskip(SKIP_2) | instid1(VALU_DEP_1)
	v_rcp_f64_e32 v[4:5], v[0:1]
	s_waitcnt_depctr 0xfff
	v_fma_f64 v[6:7], -v[0:1], v[4:5], 1.0
	v_fma_f64 v[4:5], v[4:5], v[6:7], v[4:5]
	s_delay_alu instid0(VALU_DEP_1) | instskip(NEXT) | instid1(VALU_DEP_1)
	v_fma_f64 v[6:7], -v[0:1], v[4:5], 1.0
	v_fma_f64 v[4:5], v[4:5], v[6:7], v[4:5]
	s_delay_alu instid0(VALU_DEP_1) | instskip(NEXT) | instid1(VALU_DEP_1)
	v_mul_f64 v[6:7], v[60:61], v[4:5]
	v_fma_f64 v[0:1], -v[0:1], v[6:7], v[60:61]
	s_delay_alu instid0(VALU_DEP_1) | instskip(NEXT) | instid1(VALU_DEP_1)
	v_div_fmas_f64 v[0:1], v[0:1], v[4:5], v[6:7]
	v_div_fixup_f64 v[4:5], v[0:1], v[56:57], v[58:59]
	s_delay_alu instid0(VALU_DEP_1) | instskip(NEXT) | instid1(VALU_DEP_1)
	v_fma_f64 v[0:1], v[58:59], v[4:5], v[56:57]
	v_div_scale_f64 v[6:7], null, v[0:1], v[0:1], 1.0
	s_delay_alu instid0(VALU_DEP_1) | instskip(SKIP_2) | instid1(VALU_DEP_1)
	v_rcp_f64_e32 v[56:57], v[6:7]
	s_waitcnt_depctr 0xfff
	v_fma_f64 v[58:59], -v[6:7], v[56:57], 1.0
	v_fma_f64 v[56:57], v[56:57], v[58:59], v[56:57]
	s_delay_alu instid0(VALU_DEP_1) | instskip(NEXT) | instid1(VALU_DEP_1)
	v_fma_f64 v[58:59], -v[6:7], v[56:57], 1.0
	v_fma_f64 v[56:57], v[56:57], v[58:59], v[56:57]
	v_div_scale_f64 v[58:59], vcc_lo, 1.0, v[0:1], 1.0
	s_delay_alu instid0(VALU_DEP_1) | instskip(NEXT) | instid1(VALU_DEP_1)
	v_mul_f64 v[60:61], v[58:59], v[56:57]
	v_fma_f64 v[6:7], -v[6:7], v[60:61], v[58:59]
	s_delay_alu instid0(VALU_DEP_1) | instskip(NEXT) | instid1(VALU_DEP_1)
	v_div_fmas_f64 v[6:7], v[6:7], v[56:57], v[60:61]
	v_div_fixup_f64 v[0:1], v[6:7], v[0:1], 1.0
	s_delay_alu instid0(VALU_DEP_1)
	v_mul_f64 v[62:63], v[4:5], -v[0:1]
.LBB121_189:
	s_or_b32 exec_lo, exec_lo, s3
	ds_store_2addr_b64 v251, v[0:1], v[62:63] offset1:1
.LBB121_190:
	s_or_b32 exec_lo, exec_lo, s4
	scratch_store_b128 off, v[68:71], off offset:1656 ; 16-byte Folded Spill
	s_waitcnt lgkmcnt(0)
	s_waitcnt_vscnt null, 0x0
	s_barrier
	buffer_gl0_inv
	ds_load_2addr_b64 v[56:59], v251 offset1:1
	s_mov_b32 s3, exec_lo
	v_cmpx_lt_u32_e32 14, v254
	s_cbranch_execz .LBB121_193
; %bb.191:
	scratch_load_b128 v[65:68], off, off offset:224
	s_mov_b32 s4, 0
	s_waitcnt vmcnt(0) lgkmcnt(0)
	v_mul_f64 v[0:1], v[58:59], v[67:68]
	s_delay_alu instid0(VALU_DEP_1) | instskip(SKIP_1) | instid1(VALU_DEP_1)
	v_fma_f64 v[60:61], v[56:57], v[65:66], -v[0:1]
	v_mul_f64 v[0:1], v[56:57], v[67:68]
	v_fma_f64 v[62:63], v[58:59], v[65:66], v[0:1]
	scratch_store_b128 off, v[60:63], off offset:224
	s_set_inst_prefetch_distance 0x1
	.p2align	6
.LBB121_192:                            ; =>This Inner Loop Header: Depth=1
	v_add_nc_u32_e32 v6, s4, v64
	v_add_nc_u32_e64 v7, s4, 0
	s_add_i32 s4, s4, 32
	s_delay_alu instid0(SALU_CYCLE_1)
	s_cmpk_lg_i32 s4, 0x2e0
	ds_load_2addr_b64 v[65:68], v6 offset1:1
	v_add_nc_u32_e32 v69, 0xf0, v7
	s_waitcnt lgkmcnt(0)
	v_mul_f64 v[0:1], v[67:68], v[62:63]
	v_mul_f64 v[4:5], v[65:66], v[62:63]
	s_delay_alu instid0(VALU_DEP_2) | instskip(NEXT) | instid1(VALU_DEP_2)
	v_fma_f64 v[0:1], v[65:66], v[60:61], -v[0:1]
	v_fma_f64 v[4:5], v[67:68], v[60:61], v[4:5]
	scratch_load_b128 v[65:68], v69, off
	s_waitcnt vmcnt(0)
	v_add_f64 v[65:66], v[65:66], -v[0:1]
	v_add_f64 v[67:68], v[67:68], -v[4:5]
	scratch_store_b128 v69, v[65:68], off
	ds_load_2addr_b64 v[65:68], v6 offset0:2 offset1:3
	v_add_nc_u32_e32 v6, 0x100, v7
	s_waitcnt lgkmcnt(0)
	v_mul_f64 v[0:1], v[67:68], v[62:63]
	v_mul_f64 v[4:5], v[65:66], v[62:63]
	s_delay_alu instid0(VALU_DEP_2) | instskip(NEXT) | instid1(VALU_DEP_2)
	v_fma_f64 v[0:1], v[65:66], v[60:61], -v[0:1]
	v_fma_f64 v[4:5], v[67:68], v[60:61], v[4:5]
	scratch_load_b128 v[65:68], v6, off
	s_waitcnt vmcnt(0)
	v_add_f64 v[65:66], v[65:66], -v[0:1]
	v_add_f64 v[67:68], v[67:68], -v[4:5]
	scratch_store_b128 v6, v[65:68], off
	s_cbranch_scc1 .LBB121_192
.LBB121_193:
	s_set_inst_prefetch_distance 0x2
	s_or_b32 exec_lo, exec_lo, s3
	v_add3_u32 v68, v176, 0, 0x100
	s_mov_b32 s4, exec_lo
	s_waitcnt lgkmcnt(0)
	s_waitcnt_vscnt null, 0x0
	s_barrier
	buffer_gl0_inv
	v_cmpx_eq_u32_e32 15, v254
	s_cbranch_execz .LBB121_202
; %bb.194:
	scratch_load_b32 v0, off, off offset:1128 ; 4-byte Folded Reload
	s_movk_i32 s3, 0xfd30
	s_waitcnt vmcnt(0)
	scratch_load_b128 v[60:63], v0, off
	v_mov_b32_e32 v0, 0
	s_waitcnt vmcnt(0)
	ds_store_2addr_b64 v251, v[60:61], v[62:63] offset1:1
.LBB121_195:                            ; =>This Inner Loop Header: Depth=1
	v_readfirstlane_b32 s5, v0
	v_add_nc_u32_e32 v1, s3, v68
	s_delay_alu instid0(VALU_DEP_2)
	s_add_i32 s5, s5, s3
	s_addk_i32 s3, 0xf0
	s_add_i32 s6, s5, 0x3d0
	scratch_load_b128 v[60:63], off, s6
	s_add_i32 s6, s5, 0x3e0
	s_waitcnt vmcnt(0)
	ds_store_2addr_b64 v1, v[60:61], v[62:63] offset0:90 offset1:91
	scratch_load_b128 v[60:63], off, s6
	s_add_i32 s6, s5, 0x3f0
	s_waitcnt vmcnt(0)
	ds_store_2addr_b64 v1, v[60:61], v[62:63] offset0:92 offset1:93
	;; [unrolled: 4-line block ×12, first 2 shown]
	scratch_load_b128 v[60:63], off, s6
	s_add_i32 s6, s5, 0x4a0
	s_addk_i32 s5, 0x4b0
	s_cmp_lg_u32 s3, 0
	s_waitcnt vmcnt(0)
	ds_store_2addr_b64 v1, v[60:61], v[62:63] offset0:114 offset1:115
	scratch_load_b128 v[60:63], off, s6
	s_waitcnt vmcnt(0)
	ds_store_2addr_b64 v1, v[60:61], v[62:63] offset0:116 offset1:117
	scratch_load_b128 v[60:63], off, s5
	s_waitcnt vmcnt(0)
	ds_store_2addr_b64 v1, v[60:61], v[62:63] offset0:118 offset1:119
	s_cbranch_scc1 .LBB121_195
; %bb.196:
	ds_load_2addr_b64 v[60:63], v251 offset1:1
	s_waitcnt lgkmcnt(0)
	v_cmp_neq_f64_e32 vcc_lo, 0, v[60:61]
	v_cmp_neq_f64_e64 s3, 0, v[62:63]
	s_delay_alu instid0(VALU_DEP_1) | instskip(NEXT) | instid1(SALU_CYCLE_1)
	s_or_b32 s3, vcc_lo, s3
	s_and_b32 exec_lo, exec_lo, s3
	s_cbranch_execz .LBB121_202
; %bb.197:
	v_cmp_gt_f64_e32 vcc_lo, 0, v[60:61]
	v_xor_b32_e32 v0, 0x80000000, v61
	v_xor_b32_e32 v4, 0x80000000, v63
	s_delay_alu instid0(VALU_DEP_2) | instskip(SKIP_2) | instid1(VALU_DEP_4)
	v_cndmask_b32_e32 v1, v61, v0, vcc_lo
	v_cndmask_b32_e32 v0, v60, v60, vcc_lo
	v_cmp_gt_f64_e32 vcc_lo, 0, v[62:63]
	v_dual_cndmask_b32 v5, v63, v4 :: v_dual_cndmask_b32 v4, v62, v62
	s_delay_alu instid0(VALU_DEP_1) | instskip(SKIP_1) | instid1(SALU_CYCLE_1)
	v_cmp_ngt_f64_e32 vcc_lo, v[0:1], v[4:5]
                                        ; implicit-def: $vgpr0_vgpr1
	s_and_saveexec_b32 s3, vcc_lo
	s_xor_b32 s3, exec_lo, s3
                                        ; implicit-def: $vgpr64_vgpr65_vgpr66_vgpr67
	s_cbranch_execz .LBB121_199
; %bb.198:
	v_div_scale_f64 v[0:1], null, v[62:63], v[62:63], v[60:61]
	v_div_scale_f64 v[64:65], vcc_lo, v[60:61], v[62:63], v[60:61]
	s_delay_alu instid0(VALU_DEP_2) | instskip(SKIP_2) | instid1(VALU_DEP_1)
	v_rcp_f64_e32 v[4:5], v[0:1]
	s_waitcnt_depctr 0xfff
	v_fma_f64 v[6:7], -v[0:1], v[4:5], 1.0
	v_fma_f64 v[4:5], v[4:5], v[6:7], v[4:5]
	s_delay_alu instid0(VALU_DEP_1) | instskip(NEXT) | instid1(VALU_DEP_1)
	v_fma_f64 v[6:7], -v[0:1], v[4:5], 1.0
	v_fma_f64 v[4:5], v[4:5], v[6:7], v[4:5]
	s_delay_alu instid0(VALU_DEP_1) | instskip(NEXT) | instid1(VALU_DEP_1)
	v_mul_f64 v[6:7], v[64:65], v[4:5]
	v_fma_f64 v[0:1], -v[0:1], v[6:7], v[64:65]
	s_delay_alu instid0(VALU_DEP_1) | instskip(NEXT) | instid1(VALU_DEP_1)
	v_div_fmas_f64 v[0:1], v[0:1], v[4:5], v[6:7]
	v_div_fixup_f64 v[0:1], v[0:1], v[62:63], v[60:61]
	s_delay_alu instid0(VALU_DEP_1) | instskip(NEXT) | instid1(VALU_DEP_1)
	v_fma_f64 v[4:5], v[60:61], v[0:1], v[62:63]
	v_div_scale_f64 v[6:7], null, v[4:5], v[4:5], 1.0
	s_delay_alu instid0(VALU_DEP_1) | instskip(SKIP_2) | instid1(VALU_DEP_1)
	v_rcp_f64_e32 v[60:61], v[6:7]
	s_waitcnt_depctr 0xfff
	v_fma_f64 v[62:63], -v[6:7], v[60:61], 1.0
	v_fma_f64 v[60:61], v[60:61], v[62:63], v[60:61]
	s_delay_alu instid0(VALU_DEP_1) | instskip(NEXT) | instid1(VALU_DEP_1)
	v_fma_f64 v[62:63], -v[6:7], v[60:61], 1.0
	v_fma_f64 v[60:61], v[60:61], v[62:63], v[60:61]
	v_div_scale_f64 v[62:63], vcc_lo, 1.0, v[4:5], 1.0
	s_delay_alu instid0(VALU_DEP_1) | instskip(NEXT) | instid1(VALU_DEP_1)
	v_mul_f64 v[64:65], v[62:63], v[60:61]
	v_fma_f64 v[6:7], -v[6:7], v[64:65], v[62:63]
	s_delay_alu instid0(VALU_DEP_1) | instskip(NEXT) | instid1(VALU_DEP_1)
	v_div_fmas_f64 v[6:7], v[6:7], v[60:61], v[64:65]
                                        ; implicit-def: $vgpr60_vgpr61
	v_div_fixup_f64 v[66:67], v[6:7], v[4:5], 1.0
	s_delay_alu instid0(VALU_DEP_1)
	v_mul_f64 v[0:1], v[0:1], v[66:67]
	v_xor_b32_e32 v67, 0x80000000, v67
.LBB121_199:
	s_and_not1_saveexec_b32 s3, s3
	s_cbranch_execz .LBB121_201
; %bb.200:
	v_div_scale_f64 v[0:1], null, v[60:61], v[60:61], v[62:63]
	v_div_scale_f64 v[64:65], vcc_lo, v[62:63], v[60:61], v[62:63]
	s_delay_alu instid0(VALU_DEP_2) | instskip(SKIP_2) | instid1(VALU_DEP_1)
	v_rcp_f64_e32 v[4:5], v[0:1]
	s_waitcnt_depctr 0xfff
	v_fma_f64 v[6:7], -v[0:1], v[4:5], 1.0
	v_fma_f64 v[4:5], v[4:5], v[6:7], v[4:5]
	s_delay_alu instid0(VALU_DEP_1) | instskip(NEXT) | instid1(VALU_DEP_1)
	v_fma_f64 v[6:7], -v[0:1], v[4:5], 1.0
	v_fma_f64 v[4:5], v[4:5], v[6:7], v[4:5]
	s_delay_alu instid0(VALU_DEP_1) | instskip(NEXT) | instid1(VALU_DEP_1)
	v_mul_f64 v[6:7], v[64:65], v[4:5]
	v_fma_f64 v[0:1], -v[0:1], v[6:7], v[64:65]
	s_delay_alu instid0(VALU_DEP_1) | instskip(NEXT) | instid1(VALU_DEP_1)
	v_div_fmas_f64 v[0:1], v[0:1], v[4:5], v[6:7]
	v_div_fixup_f64 v[4:5], v[0:1], v[60:61], v[62:63]
	s_delay_alu instid0(VALU_DEP_1) | instskip(NEXT) | instid1(VALU_DEP_1)
	v_fma_f64 v[0:1], v[62:63], v[4:5], v[60:61]
	v_div_scale_f64 v[6:7], null, v[0:1], v[0:1], 1.0
	s_delay_alu instid0(VALU_DEP_1) | instskip(SKIP_2) | instid1(VALU_DEP_1)
	v_rcp_f64_e32 v[60:61], v[6:7]
	s_waitcnt_depctr 0xfff
	v_fma_f64 v[62:63], -v[6:7], v[60:61], 1.0
	v_fma_f64 v[60:61], v[60:61], v[62:63], v[60:61]
	s_delay_alu instid0(VALU_DEP_1) | instskip(NEXT) | instid1(VALU_DEP_1)
	v_fma_f64 v[62:63], -v[6:7], v[60:61], 1.0
	v_fma_f64 v[60:61], v[60:61], v[62:63], v[60:61]
	v_div_scale_f64 v[62:63], vcc_lo, 1.0, v[0:1], 1.0
	s_delay_alu instid0(VALU_DEP_1) | instskip(NEXT) | instid1(VALU_DEP_1)
	v_mul_f64 v[64:65], v[62:63], v[60:61]
	v_fma_f64 v[6:7], -v[6:7], v[64:65], v[62:63]
	s_delay_alu instid0(VALU_DEP_1) | instskip(NEXT) | instid1(VALU_DEP_1)
	v_div_fmas_f64 v[6:7], v[6:7], v[60:61], v[64:65]
	v_div_fixup_f64 v[0:1], v[6:7], v[0:1], 1.0
	s_delay_alu instid0(VALU_DEP_1)
	v_mul_f64 v[66:67], v[4:5], -v[0:1]
.LBB121_201:
	s_or_b32 exec_lo, exec_lo, s3
	ds_store_2addr_b64 v251, v[0:1], v[66:67] offset1:1
.LBB121_202:
	s_or_b32 exec_lo, exec_lo, s4
	s_waitcnt lgkmcnt(0)
	s_barrier
	buffer_gl0_inv
	ds_load_2addr_b64 v[60:63], v251 offset1:1
	s_mov_b32 s3, exec_lo
	v_cmpx_lt_u32_e32 15, v254
	s_cbranch_execz .LBB121_205
; %bb.203:
	scratch_load_b128 v[69:72], off, off offset:240
	s_mov_b32 s4, 0
	s_waitcnt vmcnt(0) lgkmcnt(0)
	v_mul_f64 v[0:1], v[62:63], v[71:72]
	s_delay_alu instid0(VALU_DEP_1) | instskip(SKIP_1) | instid1(VALU_DEP_1)
	v_fma_f64 v[64:65], v[60:61], v[69:70], -v[0:1]
	v_mul_f64 v[0:1], v[60:61], v[71:72]
	v_fma_f64 v[66:67], v[62:63], v[69:70], v[0:1]
	v_mov_b32_e32 v0, 0
	scratch_store_b128 off, v[64:67], off offset:240
.LBB121_204:                            ; =>This Inner Loop Header: Depth=1
	v_add_nc_u32_e32 v1, s4, v68
	v_readfirstlane_b32 s5, v0
	ds_load_2addr_b64 v[69:72], v1 offset1:1
	s_add_i32 s5, s5, s4
	s_addk_i32 s4, 0x50
	s_add_i32 s6, s5, 0x100
	s_waitcnt lgkmcnt(0)
	v_mul_f64 v[4:5], v[71:72], v[66:67]
	v_mul_f64 v[6:7], v[69:70], v[66:67]
	s_delay_alu instid0(VALU_DEP_2) | instskip(NEXT) | instid1(VALU_DEP_2)
	v_fma_f64 v[4:5], v[69:70], v[64:65], -v[4:5]
	v_fma_f64 v[6:7], v[71:72], v[64:65], v[6:7]
	scratch_load_b128 v[69:72], off, s6
	s_waitcnt vmcnt(0)
	v_add_f64 v[69:70], v[69:70], -v[4:5]
	v_add_f64 v[71:72], v[71:72], -v[6:7]
	scratch_store_b128 off, v[69:72], s6
	ds_load_2addr_b64 v[69:72], v1 offset0:2 offset1:3
	s_add_i32 s6, s5, 0x110
	s_waitcnt lgkmcnt(0)
	v_mul_f64 v[4:5], v[71:72], v[66:67]
	v_mul_f64 v[6:7], v[69:70], v[66:67]
	s_delay_alu instid0(VALU_DEP_2) | instskip(NEXT) | instid1(VALU_DEP_2)
	v_fma_f64 v[4:5], v[69:70], v[64:65], -v[4:5]
	v_fma_f64 v[6:7], v[71:72], v[64:65], v[6:7]
	scratch_load_b128 v[69:72], off, s6
	s_waitcnt vmcnt(0)
	v_add_f64 v[69:70], v[69:70], -v[4:5]
	v_add_f64 v[71:72], v[71:72], -v[6:7]
	scratch_store_b128 off, v[69:72], s6
	ds_load_2addr_b64 v[69:72], v1 offset0:4 offset1:5
	;; [unrolled: 13-line block ×3, first 2 shown]
	s_add_i32 s6, s5, 0x130
	s_addk_i32 s5, 0x140
	s_cmpk_lg_i32 s4, 0x2d0
	s_waitcnt lgkmcnt(0)
	v_mul_f64 v[4:5], v[71:72], v[66:67]
	v_mul_f64 v[6:7], v[69:70], v[66:67]
	s_delay_alu instid0(VALU_DEP_2) | instskip(NEXT) | instid1(VALU_DEP_2)
	v_fma_f64 v[4:5], v[69:70], v[64:65], -v[4:5]
	v_fma_f64 v[6:7], v[71:72], v[64:65], v[6:7]
	scratch_load_b128 v[69:72], off, s6
	s_waitcnt vmcnt(0)
	v_add_f64 v[69:70], v[69:70], -v[4:5]
	v_add_f64 v[71:72], v[71:72], -v[6:7]
	scratch_store_b128 off, v[69:72], s6
	ds_load_2addr_b64 v[69:72], v1 offset0:8 offset1:9
	s_waitcnt lgkmcnt(0)
	v_mul_f64 v[4:5], v[71:72], v[66:67]
	v_mul_f64 v[6:7], v[69:70], v[66:67]
	s_delay_alu instid0(VALU_DEP_2) | instskip(NEXT) | instid1(VALU_DEP_2)
	v_fma_f64 v[4:5], v[69:70], v[64:65], -v[4:5]
	v_fma_f64 v[6:7], v[71:72], v[64:65], v[6:7]
	scratch_load_b128 v[69:72], off, s5
	s_waitcnt vmcnt(0)
	v_add_f64 v[69:70], v[69:70], -v[4:5]
	v_add_f64 v[71:72], v[71:72], -v[6:7]
	scratch_store_b128 off, v[69:72], s5
	s_cbranch_scc1 .LBB121_204
.LBB121_205:
	s_or_b32 exec_lo, exec_lo, s3
	v_add3_u32 v72, v176, 0, 0x110
	s_mov_b32 s4, exec_lo
	s_waitcnt lgkmcnt(0)
	s_waitcnt_vscnt null, 0x0
	s_barrier
	buffer_gl0_inv
	v_cmpx_eq_u32_e32 16, v254
	s_cbranch_execz .LBB121_214
; %bb.206:
	scratch_load_b32 v0, off, off offset:1124 ; 4-byte Folded Reload
	s_movk_i32 s3, 0xfd40
	s_waitcnt vmcnt(0)
	scratch_load_b128 v[64:67], v0, off
	v_mov_b32_e32 v0, 0
	s_waitcnt vmcnt(0)
	ds_store_2addr_b64 v251, v[64:65], v[66:67] offset1:1
.LBB121_207:                            ; =>This Inner Loop Header: Depth=1
	v_readfirstlane_b32 s5, v0
	v_add_nc_u32_e32 v1, s3, v72
	s_delay_alu instid0(VALU_DEP_2)
	s_add_i32 s5, s5, s3
	s_addk_i32 s3, 0xb0
	s_add_i32 s6, s5, 0x3d0
	scratch_load_b128 v[64:67], off, s6
	s_add_i32 s6, s5, 0x3e0
	s_waitcnt vmcnt(0)
	ds_store_2addr_b64 v1, v[64:65], v[66:67] offset0:88 offset1:89
	scratch_load_b128 v[64:67], off, s6
	s_add_i32 s6, s5, 0x3f0
	s_waitcnt vmcnt(0)
	ds_store_2addr_b64 v1, v[64:65], v[66:67] offset0:90 offset1:91
	;; [unrolled: 4-line block ×8, first 2 shown]
	scratch_load_b128 v[64:67], off, s6
	s_add_i32 s6, s5, 0x460
	s_addk_i32 s5, 0x470
	s_cmp_lg_u32 s3, 0
	s_waitcnt vmcnt(0)
	ds_store_2addr_b64 v1, v[64:65], v[66:67] offset0:104 offset1:105
	scratch_load_b128 v[64:67], off, s6
	s_waitcnt vmcnt(0)
	ds_store_2addr_b64 v1, v[64:65], v[66:67] offset0:106 offset1:107
	scratch_load_b128 v[64:67], off, s5
	s_waitcnt vmcnt(0)
	ds_store_2addr_b64 v1, v[64:65], v[66:67] offset0:108 offset1:109
	s_cbranch_scc1 .LBB121_207
; %bb.208:
	ds_load_2addr_b64 v[64:67], v251 offset1:1
	s_waitcnt lgkmcnt(0)
	v_cmp_neq_f64_e32 vcc_lo, 0, v[64:65]
	v_cmp_neq_f64_e64 s3, 0, v[66:67]
	s_delay_alu instid0(VALU_DEP_1) | instskip(NEXT) | instid1(SALU_CYCLE_1)
	s_or_b32 s3, vcc_lo, s3
	s_and_b32 exec_lo, exec_lo, s3
	s_cbranch_execz .LBB121_214
; %bb.209:
	v_cmp_gt_f64_e32 vcc_lo, 0, v[64:65]
	v_xor_b32_e32 v0, 0x80000000, v65
	v_xor_b32_e32 v4, 0x80000000, v67
	s_delay_alu instid0(VALU_DEP_2) | instskip(SKIP_2) | instid1(VALU_DEP_4)
	v_cndmask_b32_e32 v1, v65, v0, vcc_lo
	v_cndmask_b32_e32 v0, v64, v64, vcc_lo
	v_cmp_gt_f64_e32 vcc_lo, 0, v[66:67]
	v_dual_cndmask_b32 v5, v67, v4 :: v_dual_cndmask_b32 v4, v66, v66
	s_delay_alu instid0(VALU_DEP_1) | instskip(SKIP_1) | instid1(SALU_CYCLE_1)
	v_cmp_ngt_f64_e32 vcc_lo, v[0:1], v[4:5]
                                        ; implicit-def: $vgpr0_vgpr1
	s_and_saveexec_b32 s3, vcc_lo
	s_xor_b32 s3, exec_lo, s3
                                        ; implicit-def: $vgpr68_vgpr69_vgpr70_vgpr71
	s_cbranch_execz .LBB121_211
; %bb.210:
	v_div_scale_f64 v[0:1], null, v[66:67], v[66:67], v[64:65]
	v_div_scale_f64 v[68:69], vcc_lo, v[64:65], v[66:67], v[64:65]
	s_delay_alu instid0(VALU_DEP_2) | instskip(SKIP_2) | instid1(VALU_DEP_1)
	v_rcp_f64_e32 v[4:5], v[0:1]
	s_waitcnt_depctr 0xfff
	v_fma_f64 v[6:7], -v[0:1], v[4:5], 1.0
	v_fma_f64 v[4:5], v[4:5], v[6:7], v[4:5]
	s_delay_alu instid0(VALU_DEP_1) | instskip(NEXT) | instid1(VALU_DEP_1)
	v_fma_f64 v[6:7], -v[0:1], v[4:5], 1.0
	v_fma_f64 v[4:5], v[4:5], v[6:7], v[4:5]
	s_delay_alu instid0(VALU_DEP_1) | instskip(NEXT) | instid1(VALU_DEP_1)
	v_mul_f64 v[6:7], v[68:69], v[4:5]
	v_fma_f64 v[0:1], -v[0:1], v[6:7], v[68:69]
	s_delay_alu instid0(VALU_DEP_1) | instskip(NEXT) | instid1(VALU_DEP_1)
	v_div_fmas_f64 v[0:1], v[0:1], v[4:5], v[6:7]
	v_div_fixup_f64 v[0:1], v[0:1], v[66:67], v[64:65]
	s_delay_alu instid0(VALU_DEP_1) | instskip(NEXT) | instid1(VALU_DEP_1)
	v_fma_f64 v[4:5], v[64:65], v[0:1], v[66:67]
	v_div_scale_f64 v[6:7], null, v[4:5], v[4:5], 1.0
	s_delay_alu instid0(VALU_DEP_1) | instskip(SKIP_2) | instid1(VALU_DEP_1)
	v_rcp_f64_e32 v[64:65], v[6:7]
	s_waitcnt_depctr 0xfff
	v_fma_f64 v[66:67], -v[6:7], v[64:65], 1.0
	v_fma_f64 v[64:65], v[64:65], v[66:67], v[64:65]
	s_delay_alu instid0(VALU_DEP_1) | instskip(NEXT) | instid1(VALU_DEP_1)
	v_fma_f64 v[66:67], -v[6:7], v[64:65], 1.0
	v_fma_f64 v[64:65], v[64:65], v[66:67], v[64:65]
	v_div_scale_f64 v[66:67], vcc_lo, 1.0, v[4:5], 1.0
	s_delay_alu instid0(VALU_DEP_1) | instskip(NEXT) | instid1(VALU_DEP_1)
	v_mul_f64 v[68:69], v[66:67], v[64:65]
	v_fma_f64 v[6:7], -v[6:7], v[68:69], v[66:67]
	s_delay_alu instid0(VALU_DEP_1) | instskip(NEXT) | instid1(VALU_DEP_1)
	v_div_fmas_f64 v[6:7], v[6:7], v[64:65], v[68:69]
                                        ; implicit-def: $vgpr64_vgpr65
	v_div_fixup_f64 v[70:71], v[6:7], v[4:5], 1.0
	s_delay_alu instid0(VALU_DEP_1)
	v_mul_f64 v[0:1], v[0:1], v[70:71]
	v_xor_b32_e32 v71, 0x80000000, v71
.LBB121_211:
	s_and_not1_saveexec_b32 s3, s3
	s_cbranch_execz .LBB121_213
; %bb.212:
	v_div_scale_f64 v[0:1], null, v[64:65], v[64:65], v[66:67]
	v_div_scale_f64 v[68:69], vcc_lo, v[66:67], v[64:65], v[66:67]
	s_delay_alu instid0(VALU_DEP_2) | instskip(SKIP_2) | instid1(VALU_DEP_1)
	v_rcp_f64_e32 v[4:5], v[0:1]
	s_waitcnt_depctr 0xfff
	v_fma_f64 v[6:7], -v[0:1], v[4:5], 1.0
	v_fma_f64 v[4:5], v[4:5], v[6:7], v[4:5]
	s_delay_alu instid0(VALU_DEP_1) | instskip(NEXT) | instid1(VALU_DEP_1)
	v_fma_f64 v[6:7], -v[0:1], v[4:5], 1.0
	v_fma_f64 v[4:5], v[4:5], v[6:7], v[4:5]
	s_delay_alu instid0(VALU_DEP_1) | instskip(NEXT) | instid1(VALU_DEP_1)
	v_mul_f64 v[6:7], v[68:69], v[4:5]
	v_fma_f64 v[0:1], -v[0:1], v[6:7], v[68:69]
	s_delay_alu instid0(VALU_DEP_1) | instskip(NEXT) | instid1(VALU_DEP_1)
	v_div_fmas_f64 v[0:1], v[0:1], v[4:5], v[6:7]
	v_div_fixup_f64 v[4:5], v[0:1], v[64:65], v[66:67]
	s_delay_alu instid0(VALU_DEP_1) | instskip(NEXT) | instid1(VALU_DEP_1)
	v_fma_f64 v[0:1], v[66:67], v[4:5], v[64:65]
	v_div_scale_f64 v[6:7], null, v[0:1], v[0:1], 1.0
	s_delay_alu instid0(VALU_DEP_1) | instskip(SKIP_2) | instid1(VALU_DEP_1)
	v_rcp_f64_e32 v[64:65], v[6:7]
	s_waitcnt_depctr 0xfff
	v_fma_f64 v[66:67], -v[6:7], v[64:65], 1.0
	v_fma_f64 v[64:65], v[64:65], v[66:67], v[64:65]
	s_delay_alu instid0(VALU_DEP_1) | instskip(NEXT) | instid1(VALU_DEP_1)
	v_fma_f64 v[66:67], -v[6:7], v[64:65], 1.0
	v_fma_f64 v[64:65], v[64:65], v[66:67], v[64:65]
	v_div_scale_f64 v[66:67], vcc_lo, 1.0, v[0:1], 1.0
	s_delay_alu instid0(VALU_DEP_1) | instskip(NEXT) | instid1(VALU_DEP_1)
	v_mul_f64 v[68:69], v[66:67], v[64:65]
	v_fma_f64 v[6:7], -v[6:7], v[68:69], v[66:67]
	s_delay_alu instid0(VALU_DEP_1) | instskip(NEXT) | instid1(VALU_DEP_1)
	v_div_fmas_f64 v[6:7], v[6:7], v[64:65], v[68:69]
	v_div_fixup_f64 v[0:1], v[6:7], v[0:1], 1.0
	s_delay_alu instid0(VALU_DEP_1)
	v_mul_f64 v[70:71], v[4:5], -v[0:1]
.LBB121_213:
	s_or_b32 exec_lo, exec_lo, s3
	ds_store_2addr_b64 v251, v[0:1], v[70:71] offset1:1
.LBB121_214:
	s_or_b32 exec_lo, exec_lo, s4
	s_waitcnt lgkmcnt(0)
	s_barrier
	buffer_gl0_inv
	ds_load_2addr_b64 v[64:67], v251 offset1:1
	s_mov_b32 s3, exec_lo
	v_cmpx_lt_u32_e32 16, v254
	s_cbranch_execz .LBB121_217
; %bb.215:
	scratch_load_b128 v[73:76], off, off offset:256
	s_mov_b32 s4, 0
	s_waitcnt vmcnt(0) lgkmcnt(0)
	v_mul_f64 v[0:1], v[66:67], v[75:76]
	s_delay_alu instid0(VALU_DEP_1) | instskip(SKIP_1) | instid1(VALU_DEP_1)
	v_fma_f64 v[68:69], v[64:65], v[73:74], -v[0:1]
	v_mul_f64 v[0:1], v[64:65], v[75:76]
	v_fma_f64 v[70:71], v[66:67], v[73:74], v[0:1]
	v_mov_b32_e32 v0, 0
	scratch_store_b128 off, v[68:71], off offset:256
.LBB121_216:                            ; =>This Inner Loop Header: Depth=1
	v_add_nc_u32_e32 v1, s4, v72
	v_readfirstlane_b32 s5, v0
	ds_load_2addr_b64 v[73:76], v1 offset1:1
	s_add_i32 s5, s5, s4
	s_add_i32 s4, s4, 64
	;; [unrolled: 1-line block ×3, first 2 shown]
	s_waitcnt lgkmcnt(0)
	v_mul_f64 v[4:5], v[75:76], v[70:71]
	v_mul_f64 v[6:7], v[73:74], v[70:71]
	s_delay_alu instid0(VALU_DEP_2) | instskip(NEXT) | instid1(VALU_DEP_2)
	v_fma_f64 v[4:5], v[73:74], v[68:69], -v[4:5]
	v_fma_f64 v[6:7], v[75:76], v[68:69], v[6:7]
	scratch_load_b128 v[73:76], off, s6
	s_waitcnt vmcnt(0)
	v_add_f64 v[73:74], v[73:74], -v[4:5]
	v_add_f64 v[75:76], v[75:76], -v[6:7]
	scratch_store_b128 off, v[73:76], s6
	ds_load_2addr_b64 v[73:76], v1 offset0:2 offset1:3
	s_add_i32 s6, s5, 0x120
	s_waitcnt lgkmcnt(0)
	v_mul_f64 v[4:5], v[75:76], v[70:71]
	v_mul_f64 v[6:7], v[73:74], v[70:71]
	s_delay_alu instid0(VALU_DEP_2) | instskip(NEXT) | instid1(VALU_DEP_2)
	v_fma_f64 v[4:5], v[73:74], v[68:69], -v[4:5]
	v_fma_f64 v[6:7], v[75:76], v[68:69], v[6:7]
	scratch_load_b128 v[73:76], off, s6
	s_waitcnt vmcnt(0)
	v_add_f64 v[73:74], v[73:74], -v[4:5]
	v_add_f64 v[75:76], v[75:76], -v[6:7]
	scratch_store_b128 off, v[73:76], s6
	ds_load_2addr_b64 v[73:76], v1 offset0:4 offset1:5
	s_add_i32 s6, s5, 0x130
	s_addk_i32 s5, 0x140
	s_cmpk_lg_i32 s4, 0x2c0
	s_waitcnt lgkmcnt(0)
	v_mul_f64 v[4:5], v[75:76], v[70:71]
	v_mul_f64 v[6:7], v[73:74], v[70:71]
	s_delay_alu instid0(VALU_DEP_2) | instskip(NEXT) | instid1(VALU_DEP_2)
	v_fma_f64 v[4:5], v[73:74], v[68:69], -v[4:5]
	v_fma_f64 v[6:7], v[75:76], v[68:69], v[6:7]
	scratch_load_b128 v[73:76], off, s6
	s_waitcnt vmcnt(0)
	v_add_f64 v[73:74], v[73:74], -v[4:5]
	v_add_f64 v[75:76], v[75:76], -v[6:7]
	scratch_store_b128 off, v[73:76], s6
	ds_load_2addr_b64 v[73:76], v1 offset0:6 offset1:7
	s_waitcnt lgkmcnt(0)
	v_mul_f64 v[4:5], v[75:76], v[70:71]
	v_mul_f64 v[6:7], v[73:74], v[70:71]
	s_delay_alu instid0(VALU_DEP_2) | instskip(NEXT) | instid1(VALU_DEP_2)
	v_fma_f64 v[4:5], v[73:74], v[68:69], -v[4:5]
	v_fma_f64 v[6:7], v[75:76], v[68:69], v[6:7]
	scratch_load_b128 v[73:76], off, s5
	s_waitcnt vmcnt(0)
	v_add_f64 v[73:74], v[73:74], -v[4:5]
	v_add_f64 v[75:76], v[75:76], -v[6:7]
	scratch_store_b128 off, v[73:76], s5
	s_cbranch_scc1 .LBB121_216
.LBB121_217:
	s_or_b32 exec_lo, exec_lo, s3
	v_add3_u32 v76, v176, 0, 0x120
	s_mov_b32 s4, exec_lo
	s_waitcnt lgkmcnt(0)
	s_waitcnt_vscnt null, 0x0
	s_barrier
	buffer_gl0_inv
	v_cmpx_eq_u32_e32 17, v254
	s_cbranch_execz .LBB121_228
; %bb.218:
	scratch_load_b32 v0, off, off offset:1120 ; 4-byte Folded Reload
	s_movk_i32 s3, 0xfd80
	s_waitcnt vmcnt(0)
	scratch_load_b128 v[68:71], v0, off
	v_mov_b32_e32 v0, 0
	s_waitcnt vmcnt(0)
	ds_store_2addr_b64 v251, v[68:69], v[70:71] offset1:1
	s_branch .LBB121_220
.LBB121_219:                            ;   in Loop: Header=BB121_220 Depth=1
	s_add_i32 s6, s5, 0x3d0
	s_addk_i32 s3, 0x80
	scratch_load_b128 v[68:71], off, s6
	s_add_i32 s6, s5, 0x3e0
	s_waitcnt vmcnt(0)
	ds_store_2addr_b64 v1, v[68:69], v[70:71] offset0:86 offset1:87
	scratch_load_b128 v[68:71], off, s6
	s_add_i32 s6, s5, 0x3f0
	s_waitcnt vmcnt(0)
	ds_store_2addr_b64 v1, v[68:69], v[70:71] offset0:88 offset1:89
	scratch_load_b128 v[68:71], off, s6
	s_add_i32 s6, s5, 0x400
	s_addk_i32 s5, 0x410
	s_waitcnt vmcnt(0)
	ds_store_2addr_b64 v1, v[68:69], v[70:71] offset0:90 offset1:91
	scratch_load_b128 v[68:71], off, s6
	s_waitcnt vmcnt(0)
	ds_store_2addr_b64 v1, v[68:69], v[70:71] offset0:92 offset1:93
	scratch_load_b128 v[68:71], off, s5
	s_waitcnt vmcnt(0)
	ds_store_2addr_b64 v1, v[68:69], v[70:71] offset0:94 offset1:95
	s_cbranch_execz .LBB121_222
.LBB121_220:                            ; =>This Inner Loop Header: Depth=1
	v_readfirstlane_b32 s5, v0
	v_add_nc_u32_e32 v1, s3, v76
	s_delay_alu instid0(VALU_DEP_2) | instskip(NEXT) | instid1(SALU_CYCLE_1)
	s_add_i32 s5, s5, s3
	s_add_i32 s6, s5, 0x3a0
	scratch_load_b128 v[68:71], off, s6
	s_add_i32 s6, s5, 0x3b0
	s_waitcnt vmcnt(0)
	ds_store_2addr_b64 v1, v[68:69], v[70:71] offset0:80 offset1:81
	scratch_load_b128 v[68:71], off, s6
	s_add_i32 s6, s5, 0x3c0
	s_cmp_eq_u32 s3, 0
	s_waitcnt vmcnt(0)
	ds_store_2addr_b64 v1, v[68:69], v[70:71] offset0:82 offset1:83
	scratch_load_b128 v[68:71], off, s6
	s_waitcnt vmcnt(0)
	ds_store_2addr_b64 v1, v[68:69], v[70:71] offset0:84 offset1:85
	s_cbranch_scc0 .LBB121_219
; %bb.221:
                                        ; implicit-def: $sgpr3
.LBB121_222:
	ds_load_2addr_b64 v[68:71], v251 offset1:1
	s_waitcnt lgkmcnt(0)
	v_cmp_neq_f64_e32 vcc_lo, 0, v[68:69]
	v_cmp_neq_f64_e64 s3, 0, v[70:71]
	s_delay_alu instid0(VALU_DEP_1) | instskip(NEXT) | instid1(SALU_CYCLE_1)
	s_or_b32 s3, vcc_lo, s3
	s_and_b32 exec_lo, exec_lo, s3
	s_cbranch_execz .LBB121_228
; %bb.223:
	v_cmp_gt_f64_e32 vcc_lo, 0, v[68:69]
	v_xor_b32_e32 v0, 0x80000000, v69
	v_xor_b32_e32 v4, 0x80000000, v71
	s_delay_alu instid0(VALU_DEP_2) | instskip(SKIP_2) | instid1(VALU_DEP_4)
	v_cndmask_b32_e32 v1, v69, v0, vcc_lo
	v_cndmask_b32_e32 v0, v68, v68, vcc_lo
	v_cmp_gt_f64_e32 vcc_lo, 0, v[70:71]
	v_dual_cndmask_b32 v5, v71, v4 :: v_dual_cndmask_b32 v4, v70, v70
	s_delay_alu instid0(VALU_DEP_1) | instskip(SKIP_1) | instid1(SALU_CYCLE_1)
	v_cmp_ngt_f64_e32 vcc_lo, v[0:1], v[4:5]
                                        ; implicit-def: $vgpr0_vgpr1
	s_and_saveexec_b32 s3, vcc_lo
	s_xor_b32 s3, exec_lo, s3
                                        ; implicit-def: $vgpr72_vgpr73_vgpr74_vgpr75
	s_cbranch_execz .LBB121_225
; %bb.224:
	v_div_scale_f64 v[0:1], null, v[70:71], v[70:71], v[68:69]
	v_div_scale_f64 v[72:73], vcc_lo, v[68:69], v[70:71], v[68:69]
	s_delay_alu instid0(VALU_DEP_2) | instskip(SKIP_2) | instid1(VALU_DEP_1)
	v_rcp_f64_e32 v[4:5], v[0:1]
	s_waitcnt_depctr 0xfff
	v_fma_f64 v[6:7], -v[0:1], v[4:5], 1.0
	v_fma_f64 v[4:5], v[4:5], v[6:7], v[4:5]
	s_delay_alu instid0(VALU_DEP_1) | instskip(NEXT) | instid1(VALU_DEP_1)
	v_fma_f64 v[6:7], -v[0:1], v[4:5], 1.0
	v_fma_f64 v[4:5], v[4:5], v[6:7], v[4:5]
	s_delay_alu instid0(VALU_DEP_1) | instskip(NEXT) | instid1(VALU_DEP_1)
	v_mul_f64 v[6:7], v[72:73], v[4:5]
	v_fma_f64 v[0:1], -v[0:1], v[6:7], v[72:73]
	s_delay_alu instid0(VALU_DEP_1) | instskip(NEXT) | instid1(VALU_DEP_1)
	v_div_fmas_f64 v[0:1], v[0:1], v[4:5], v[6:7]
	v_div_fixup_f64 v[0:1], v[0:1], v[70:71], v[68:69]
	s_delay_alu instid0(VALU_DEP_1) | instskip(NEXT) | instid1(VALU_DEP_1)
	v_fma_f64 v[4:5], v[68:69], v[0:1], v[70:71]
	v_div_scale_f64 v[6:7], null, v[4:5], v[4:5], 1.0
	s_delay_alu instid0(VALU_DEP_1) | instskip(SKIP_2) | instid1(VALU_DEP_1)
	v_rcp_f64_e32 v[68:69], v[6:7]
	s_waitcnt_depctr 0xfff
	v_fma_f64 v[70:71], -v[6:7], v[68:69], 1.0
	v_fma_f64 v[68:69], v[68:69], v[70:71], v[68:69]
	s_delay_alu instid0(VALU_DEP_1) | instskip(NEXT) | instid1(VALU_DEP_1)
	v_fma_f64 v[70:71], -v[6:7], v[68:69], 1.0
	v_fma_f64 v[68:69], v[68:69], v[70:71], v[68:69]
	v_div_scale_f64 v[70:71], vcc_lo, 1.0, v[4:5], 1.0
	s_delay_alu instid0(VALU_DEP_1) | instskip(NEXT) | instid1(VALU_DEP_1)
	v_mul_f64 v[72:73], v[70:71], v[68:69]
	v_fma_f64 v[6:7], -v[6:7], v[72:73], v[70:71]
	s_delay_alu instid0(VALU_DEP_1) | instskip(NEXT) | instid1(VALU_DEP_1)
	v_div_fmas_f64 v[6:7], v[6:7], v[68:69], v[72:73]
                                        ; implicit-def: $vgpr68_vgpr69
	v_div_fixup_f64 v[74:75], v[6:7], v[4:5], 1.0
	s_delay_alu instid0(VALU_DEP_1)
	v_mul_f64 v[0:1], v[0:1], v[74:75]
	v_xor_b32_e32 v75, 0x80000000, v75
.LBB121_225:
	s_and_not1_saveexec_b32 s3, s3
	s_cbranch_execz .LBB121_227
; %bb.226:
	v_div_scale_f64 v[0:1], null, v[68:69], v[68:69], v[70:71]
	v_div_scale_f64 v[72:73], vcc_lo, v[70:71], v[68:69], v[70:71]
	s_delay_alu instid0(VALU_DEP_2) | instskip(SKIP_2) | instid1(VALU_DEP_1)
	v_rcp_f64_e32 v[4:5], v[0:1]
	s_waitcnt_depctr 0xfff
	v_fma_f64 v[6:7], -v[0:1], v[4:5], 1.0
	v_fma_f64 v[4:5], v[4:5], v[6:7], v[4:5]
	s_delay_alu instid0(VALU_DEP_1) | instskip(NEXT) | instid1(VALU_DEP_1)
	v_fma_f64 v[6:7], -v[0:1], v[4:5], 1.0
	v_fma_f64 v[4:5], v[4:5], v[6:7], v[4:5]
	s_delay_alu instid0(VALU_DEP_1) | instskip(NEXT) | instid1(VALU_DEP_1)
	v_mul_f64 v[6:7], v[72:73], v[4:5]
	v_fma_f64 v[0:1], -v[0:1], v[6:7], v[72:73]
	s_delay_alu instid0(VALU_DEP_1) | instskip(NEXT) | instid1(VALU_DEP_1)
	v_div_fmas_f64 v[0:1], v[0:1], v[4:5], v[6:7]
	v_div_fixup_f64 v[4:5], v[0:1], v[68:69], v[70:71]
	s_delay_alu instid0(VALU_DEP_1) | instskip(NEXT) | instid1(VALU_DEP_1)
	v_fma_f64 v[0:1], v[70:71], v[4:5], v[68:69]
	v_div_scale_f64 v[6:7], null, v[0:1], v[0:1], 1.0
	s_delay_alu instid0(VALU_DEP_1) | instskip(SKIP_2) | instid1(VALU_DEP_1)
	v_rcp_f64_e32 v[68:69], v[6:7]
	s_waitcnt_depctr 0xfff
	v_fma_f64 v[70:71], -v[6:7], v[68:69], 1.0
	v_fma_f64 v[68:69], v[68:69], v[70:71], v[68:69]
	s_delay_alu instid0(VALU_DEP_1) | instskip(NEXT) | instid1(VALU_DEP_1)
	v_fma_f64 v[70:71], -v[6:7], v[68:69], 1.0
	v_fma_f64 v[68:69], v[68:69], v[70:71], v[68:69]
	v_div_scale_f64 v[70:71], vcc_lo, 1.0, v[0:1], 1.0
	s_delay_alu instid0(VALU_DEP_1) | instskip(NEXT) | instid1(VALU_DEP_1)
	v_mul_f64 v[72:73], v[70:71], v[68:69]
	v_fma_f64 v[6:7], -v[6:7], v[72:73], v[70:71]
	s_delay_alu instid0(VALU_DEP_1) | instskip(NEXT) | instid1(VALU_DEP_1)
	v_div_fmas_f64 v[6:7], v[6:7], v[68:69], v[72:73]
	v_div_fixup_f64 v[0:1], v[6:7], v[0:1], 1.0
	s_delay_alu instid0(VALU_DEP_1)
	v_mul_f64 v[74:75], v[4:5], -v[0:1]
.LBB121_227:
	s_or_b32 exec_lo, exec_lo, s3
	ds_store_2addr_b64 v251, v[0:1], v[74:75] offset1:1
.LBB121_228:
	s_or_b32 exec_lo, exec_lo, s4
	s_waitcnt lgkmcnt(0)
	s_barrier
	buffer_gl0_inv
	ds_load_2addr_b64 v[68:71], v251 offset1:1
	s_mov_b32 s3, exec_lo
	v_cmpx_lt_u32_e32 17, v254
	s_cbranch_execz .LBB121_233
; %bb.229:
	scratch_load_b128 v[77:80], off, off offset:272
	s_mov_b32 s4, 0
	s_waitcnt vmcnt(0) lgkmcnt(0)
	v_mul_f64 v[0:1], v[70:71], v[79:80]
	s_delay_alu instid0(VALU_DEP_1) | instskip(SKIP_1) | instid1(VALU_DEP_1)
	v_fma_f64 v[72:73], v[68:69], v[77:78], -v[0:1]
	v_mul_f64 v[0:1], v[68:69], v[79:80]
	v_fma_f64 v[74:75], v[70:71], v[77:78], v[0:1]
	v_mov_b32_e32 v0, 0
	scratch_store_b128 off, v[72:75], off offset:272
	s_branch .LBB121_231
.LBB121_230:                            ;   in Loop: Header=BB121_231 Depth=1
	s_and_not1_b32 vcc_lo, exec_lo, s6
	s_cbranch_vccz .LBB121_233
.LBB121_231:                            ; =>This Inner Loop Header: Depth=1
	v_add_nc_u32_e32 v1, s4, v76
	v_readfirstlane_b32 s5, v0
	ds_load_2addr_b64 v[77:80], v1 offset1:1
	s_add_i32 s5, s5, s4
	s_delay_alu instid0(SALU_CYCLE_1) | instskip(SKIP_3) | instid1(VALU_DEP_2)
	s_add_i32 s6, s5, 0x120
	s_waitcnt lgkmcnt(0)
	v_mul_f64 v[4:5], v[79:80], v[74:75]
	v_mul_f64 v[6:7], v[77:78], v[74:75]
	v_fma_f64 v[4:5], v[77:78], v[72:73], -v[4:5]
	s_delay_alu instid0(VALU_DEP_2)
	v_fma_f64 v[6:7], v[79:80], v[72:73], v[6:7]
	scratch_load_b128 v[77:80], off, s6
	s_waitcnt vmcnt(0)
	v_add_f64 v[77:78], v[77:78], -v[4:5]
	v_add_f64 v[79:80], v[79:80], -v[6:7]
	scratch_store_b128 off, v[77:80], s6
	ds_load_2addr_b64 v[77:80], v1 offset0:2 offset1:3
	s_add_i32 s6, s5, 0x130
	s_waitcnt lgkmcnt(0)
	v_mul_f64 v[4:5], v[79:80], v[74:75]
	v_mul_f64 v[6:7], v[77:78], v[74:75]
	s_delay_alu instid0(VALU_DEP_2) | instskip(NEXT) | instid1(VALU_DEP_2)
	v_fma_f64 v[4:5], v[77:78], v[72:73], -v[4:5]
	v_fma_f64 v[6:7], v[79:80], v[72:73], v[6:7]
	scratch_load_b128 v[77:80], off, s6
	s_waitcnt vmcnt(0)
	v_add_f64 v[77:78], v[77:78], -v[4:5]
	v_add_f64 v[79:80], v[79:80], -v[6:7]
	scratch_store_b128 off, v[77:80], s6
	ds_load_2addr_b64 v[77:80], v1 offset0:4 offset1:5
	s_add_i32 s6, s5, 0x140
	s_cmpk_eq_i32 s4, 0x280
	s_waitcnt lgkmcnt(0)
	v_mul_f64 v[4:5], v[79:80], v[74:75]
	v_mul_f64 v[6:7], v[77:78], v[74:75]
	s_delay_alu instid0(VALU_DEP_2) | instskip(NEXT) | instid1(VALU_DEP_2)
	v_fma_f64 v[4:5], v[77:78], v[72:73], -v[4:5]
	v_fma_f64 v[6:7], v[79:80], v[72:73], v[6:7]
	scratch_load_b128 v[77:80], off, s6
	s_waitcnt vmcnt(0)
	v_add_f64 v[77:78], v[77:78], -v[4:5]
	v_add_f64 v[79:80], v[79:80], -v[6:7]
	scratch_store_b128 off, v[77:80], s6
	s_mov_b32 s6, -1
	s_cbranch_scc1 .LBB121_230
; %bb.232:                              ;   in Loop: Header=BB121_231 Depth=1
	ds_load_2addr_b64 v[77:80], v1 offset0:6 offset1:7
	s_addk_i32 s5, 0x150
	s_add_i32 s4, s4, 64
	s_mov_b32 s6, 0
	s_waitcnt lgkmcnt(0)
	v_mul_f64 v[4:5], v[79:80], v[74:75]
	v_mul_f64 v[6:7], v[77:78], v[74:75]
	s_delay_alu instid0(VALU_DEP_2) | instskip(NEXT) | instid1(VALU_DEP_2)
	v_fma_f64 v[4:5], v[77:78], v[72:73], -v[4:5]
	v_fma_f64 v[6:7], v[79:80], v[72:73], v[6:7]
	scratch_load_b128 v[77:80], off, s5
	s_waitcnt vmcnt(0)
	v_add_f64 v[77:78], v[77:78], -v[4:5]
	v_add_f64 v[79:80], v[79:80], -v[6:7]
	scratch_store_b128 off, v[77:80], s5
	s_branch .LBB121_230
.LBB121_233:
	s_or_b32 exec_lo, exec_lo, s3
	v_add3_u32 v80, v176, 0, 0x130
	s_mov_b32 s4, exec_lo
	s_waitcnt lgkmcnt(0)
	s_waitcnt_vscnt null, 0x0
	s_barrier
	buffer_gl0_inv
	v_cmpx_eq_u32_e32 18, v254
	s_cbranch_execz .LBB121_242
; %bb.234:
	scratch_load_b32 v0, off, off offset:1116 ; 4-byte Folded Reload
	s_movk_i32 s3, 0xfd60
	s_waitcnt vmcnt(0)
	scratch_load_b128 v[72:75], v0, off
	v_mov_b32_e32 v0, 0
	s_waitcnt vmcnt(0)
	ds_store_2addr_b64 v251, v[72:73], v[74:75] offset1:1
.LBB121_235:                            ; =>This Inner Loop Header: Depth=1
	v_readfirstlane_b32 s5, v0
	v_add_nc_u32_e32 v1, s3, v80
	s_delay_alu instid0(VALU_DEP_2)
	s_add_i32 s5, s5, s3
	s_addk_i32 s3, 0xe0
	s_add_i32 s6, s5, 0x3d0
	scratch_load_b128 v[72:75], off, s6
	s_add_i32 s6, s5, 0x3e0
	s_waitcnt vmcnt(0)
	ds_store_2addr_b64 v1, v[72:73], v[74:75] offset0:84 offset1:85
	scratch_load_b128 v[72:75], off, s6
	s_add_i32 s6, s5, 0x3f0
	s_waitcnt vmcnt(0)
	ds_store_2addr_b64 v1, v[72:73], v[74:75] offset0:86 offset1:87
	;; [unrolled: 4-line block ×11, first 2 shown]
	scratch_load_b128 v[72:75], off, s6
	s_add_i32 s6, s5, 0x490
	s_addk_i32 s5, 0x4a0
	s_cmp_lg_u32 s3, 0
	s_waitcnt vmcnt(0)
	ds_store_2addr_b64 v1, v[72:73], v[74:75] offset0:106 offset1:107
	scratch_load_b128 v[72:75], off, s6
	s_waitcnt vmcnt(0)
	ds_store_2addr_b64 v1, v[72:73], v[74:75] offset0:108 offset1:109
	scratch_load_b128 v[72:75], off, s5
	s_waitcnt vmcnt(0)
	ds_store_2addr_b64 v1, v[72:73], v[74:75] offset0:110 offset1:111
	s_cbranch_scc1 .LBB121_235
; %bb.236:
	ds_load_2addr_b64 v[72:75], v251 offset1:1
	s_waitcnt lgkmcnt(0)
	v_cmp_neq_f64_e32 vcc_lo, 0, v[72:73]
	v_cmp_neq_f64_e64 s3, 0, v[74:75]
	s_delay_alu instid0(VALU_DEP_1) | instskip(NEXT) | instid1(SALU_CYCLE_1)
	s_or_b32 s3, vcc_lo, s3
	s_and_b32 exec_lo, exec_lo, s3
	s_cbranch_execz .LBB121_242
; %bb.237:
	v_cmp_gt_f64_e32 vcc_lo, 0, v[72:73]
	v_xor_b32_e32 v0, 0x80000000, v73
	v_xor_b32_e32 v4, 0x80000000, v75
	s_delay_alu instid0(VALU_DEP_2) | instskip(SKIP_2) | instid1(VALU_DEP_4)
	v_cndmask_b32_e32 v1, v73, v0, vcc_lo
	v_cndmask_b32_e32 v0, v72, v72, vcc_lo
	v_cmp_gt_f64_e32 vcc_lo, 0, v[74:75]
	v_dual_cndmask_b32 v5, v75, v4 :: v_dual_cndmask_b32 v4, v74, v74
	s_delay_alu instid0(VALU_DEP_1) | instskip(SKIP_1) | instid1(SALU_CYCLE_1)
	v_cmp_ngt_f64_e32 vcc_lo, v[0:1], v[4:5]
                                        ; implicit-def: $vgpr0_vgpr1
	s_and_saveexec_b32 s3, vcc_lo
	s_xor_b32 s3, exec_lo, s3
                                        ; implicit-def: $vgpr76_vgpr77_vgpr78_vgpr79
	s_cbranch_execz .LBB121_239
; %bb.238:
	v_div_scale_f64 v[0:1], null, v[74:75], v[74:75], v[72:73]
	v_div_scale_f64 v[76:77], vcc_lo, v[72:73], v[74:75], v[72:73]
	s_delay_alu instid0(VALU_DEP_2) | instskip(SKIP_2) | instid1(VALU_DEP_1)
	v_rcp_f64_e32 v[4:5], v[0:1]
	s_waitcnt_depctr 0xfff
	v_fma_f64 v[6:7], -v[0:1], v[4:5], 1.0
	v_fma_f64 v[4:5], v[4:5], v[6:7], v[4:5]
	s_delay_alu instid0(VALU_DEP_1) | instskip(NEXT) | instid1(VALU_DEP_1)
	v_fma_f64 v[6:7], -v[0:1], v[4:5], 1.0
	v_fma_f64 v[4:5], v[4:5], v[6:7], v[4:5]
	s_delay_alu instid0(VALU_DEP_1) | instskip(NEXT) | instid1(VALU_DEP_1)
	v_mul_f64 v[6:7], v[76:77], v[4:5]
	v_fma_f64 v[0:1], -v[0:1], v[6:7], v[76:77]
	s_delay_alu instid0(VALU_DEP_1) | instskip(NEXT) | instid1(VALU_DEP_1)
	v_div_fmas_f64 v[0:1], v[0:1], v[4:5], v[6:7]
	v_div_fixup_f64 v[0:1], v[0:1], v[74:75], v[72:73]
	s_delay_alu instid0(VALU_DEP_1) | instskip(NEXT) | instid1(VALU_DEP_1)
	v_fma_f64 v[4:5], v[72:73], v[0:1], v[74:75]
	v_div_scale_f64 v[6:7], null, v[4:5], v[4:5], 1.0
	s_delay_alu instid0(VALU_DEP_1) | instskip(SKIP_2) | instid1(VALU_DEP_1)
	v_rcp_f64_e32 v[72:73], v[6:7]
	s_waitcnt_depctr 0xfff
	v_fma_f64 v[74:75], -v[6:7], v[72:73], 1.0
	v_fma_f64 v[72:73], v[72:73], v[74:75], v[72:73]
	s_delay_alu instid0(VALU_DEP_1) | instskip(NEXT) | instid1(VALU_DEP_1)
	v_fma_f64 v[74:75], -v[6:7], v[72:73], 1.0
	v_fma_f64 v[72:73], v[72:73], v[74:75], v[72:73]
	v_div_scale_f64 v[74:75], vcc_lo, 1.0, v[4:5], 1.0
	s_delay_alu instid0(VALU_DEP_1) | instskip(NEXT) | instid1(VALU_DEP_1)
	v_mul_f64 v[76:77], v[74:75], v[72:73]
	v_fma_f64 v[6:7], -v[6:7], v[76:77], v[74:75]
	s_delay_alu instid0(VALU_DEP_1) | instskip(NEXT) | instid1(VALU_DEP_1)
	v_div_fmas_f64 v[6:7], v[6:7], v[72:73], v[76:77]
                                        ; implicit-def: $vgpr72_vgpr73
	v_div_fixup_f64 v[78:79], v[6:7], v[4:5], 1.0
	s_delay_alu instid0(VALU_DEP_1)
	v_mul_f64 v[0:1], v[0:1], v[78:79]
	v_xor_b32_e32 v79, 0x80000000, v79
.LBB121_239:
	s_and_not1_saveexec_b32 s3, s3
	s_cbranch_execz .LBB121_241
; %bb.240:
	v_div_scale_f64 v[0:1], null, v[72:73], v[72:73], v[74:75]
	v_div_scale_f64 v[76:77], vcc_lo, v[74:75], v[72:73], v[74:75]
	s_delay_alu instid0(VALU_DEP_2) | instskip(SKIP_2) | instid1(VALU_DEP_1)
	v_rcp_f64_e32 v[4:5], v[0:1]
	s_waitcnt_depctr 0xfff
	v_fma_f64 v[6:7], -v[0:1], v[4:5], 1.0
	v_fma_f64 v[4:5], v[4:5], v[6:7], v[4:5]
	s_delay_alu instid0(VALU_DEP_1) | instskip(NEXT) | instid1(VALU_DEP_1)
	v_fma_f64 v[6:7], -v[0:1], v[4:5], 1.0
	v_fma_f64 v[4:5], v[4:5], v[6:7], v[4:5]
	s_delay_alu instid0(VALU_DEP_1) | instskip(NEXT) | instid1(VALU_DEP_1)
	v_mul_f64 v[6:7], v[76:77], v[4:5]
	v_fma_f64 v[0:1], -v[0:1], v[6:7], v[76:77]
	s_delay_alu instid0(VALU_DEP_1) | instskip(NEXT) | instid1(VALU_DEP_1)
	v_div_fmas_f64 v[0:1], v[0:1], v[4:5], v[6:7]
	v_div_fixup_f64 v[4:5], v[0:1], v[72:73], v[74:75]
	s_delay_alu instid0(VALU_DEP_1) | instskip(NEXT) | instid1(VALU_DEP_1)
	v_fma_f64 v[0:1], v[74:75], v[4:5], v[72:73]
	v_div_scale_f64 v[6:7], null, v[0:1], v[0:1], 1.0
	s_delay_alu instid0(VALU_DEP_1) | instskip(SKIP_2) | instid1(VALU_DEP_1)
	v_rcp_f64_e32 v[72:73], v[6:7]
	s_waitcnt_depctr 0xfff
	v_fma_f64 v[74:75], -v[6:7], v[72:73], 1.0
	v_fma_f64 v[72:73], v[72:73], v[74:75], v[72:73]
	s_delay_alu instid0(VALU_DEP_1) | instskip(NEXT) | instid1(VALU_DEP_1)
	v_fma_f64 v[74:75], -v[6:7], v[72:73], 1.0
	v_fma_f64 v[72:73], v[72:73], v[74:75], v[72:73]
	v_div_scale_f64 v[74:75], vcc_lo, 1.0, v[0:1], 1.0
	s_delay_alu instid0(VALU_DEP_1) | instskip(NEXT) | instid1(VALU_DEP_1)
	v_mul_f64 v[76:77], v[74:75], v[72:73]
	v_fma_f64 v[6:7], -v[6:7], v[76:77], v[74:75]
	s_delay_alu instid0(VALU_DEP_1) | instskip(NEXT) | instid1(VALU_DEP_1)
	v_div_fmas_f64 v[6:7], v[6:7], v[72:73], v[76:77]
	v_div_fixup_f64 v[0:1], v[6:7], v[0:1], 1.0
	s_delay_alu instid0(VALU_DEP_1)
	v_mul_f64 v[78:79], v[4:5], -v[0:1]
.LBB121_241:
	s_or_b32 exec_lo, exec_lo, s3
	ds_store_2addr_b64 v251, v[0:1], v[78:79] offset1:1
.LBB121_242:
	s_or_b32 exec_lo, exec_lo, s4
	s_waitcnt lgkmcnt(0)
	s_barrier
	buffer_gl0_inv
	ds_load_2addr_b64 v[72:75], v251 offset1:1
	s_mov_b32 s3, exec_lo
	v_cmpx_lt_u32_e32 18, v254
	s_cbranch_execz .LBB121_245
; %bb.243:
	scratch_load_b128 v[81:84], off, off offset:288
	s_mov_b32 s4, 0
	s_waitcnt vmcnt(0) lgkmcnt(0)
	v_mul_f64 v[0:1], v[74:75], v[83:84]
	s_delay_alu instid0(VALU_DEP_1) | instskip(SKIP_1) | instid1(VALU_DEP_1)
	v_fma_f64 v[76:77], v[72:73], v[81:82], -v[0:1]
	v_mul_f64 v[0:1], v[72:73], v[83:84]
	v_fma_f64 v[78:79], v[74:75], v[81:82], v[0:1]
	v_mov_b32_e32 v0, 0
	scratch_store_b128 off, v[76:79], off offset:288
.LBB121_244:                            ; =>This Inner Loop Header: Depth=1
	v_add_nc_u32_e32 v1, s4, v80
	v_readfirstlane_b32 s5, v0
	ds_load_2addr_b64 v[81:84], v1 offset1:1
	s_add_i32 s5, s5, s4
	s_addk_i32 s4, 0x70
	s_add_i32 s6, s5, 0x130
	s_waitcnt lgkmcnt(0)
	v_mul_f64 v[4:5], v[83:84], v[78:79]
	v_mul_f64 v[6:7], v[81:82], v[78:79]
	s_delay_alu instid0(VALU_DEP_2) | instskip(NEXT) | instid1(VALU_DEP_2)
	v_fma_f64 v[4:5], v[81:82], v[76:77], -v[4:5]
	v_fma_f64 v[6:7], v[83:84], v[76:77], v[6:7]
	scratch_load_b128 v[81:84], off, s6
	s_waitcnt vmcnt(0)
	v_add_f64 v[81:82], v[81:82], -v[4:5]
	v_add_f64 v[83:84], v[83:84], -v[6:7]
	scratch_store_b128 off, v[81:84], s6
	ds_load_2addr_b64 v[81:84], v1 offset0:2 offset1:3
	s_add_i32 s6, s5, 0x140
	s_waitcnt lgkmcnt(0)
	v_mul_f64 v[4:5], v[83:84], v[78:79]
	v_mul_f64 v[6:7], v[81:82], v[78:79]
	s_delay_alu instid0(VALU_DEP_2) | instskip(NEXT) | instid1(VALU_DEP_2)
	v_fma_f64 v[4:5], v[81:82], v[76:77], -v[4:5]
	v_fma_f64 v[6:7], v[83:84], v[76:77], v[6:7]
	scratch_load_b128 v[81:84], off, s6
	s_waitcnt vmcnt(0)
	v_add_f64 v[81:82], v[81:82], -v[4:5]
	v_add_f64 v[83:84], v[83:84], -v[6:7]
	scratch_store_b128 off, v[81:84], s6
	ds_load_2addr_b64 v[81:84], v1 offset0:4 offset1:5
	;; [unrolled: 13-line block ×5, first 2 shown]
	s_add_i32 s6, s5, 0x180
	s_addk_i32 s5, 0x190
	s_cmpk_lg_i32 s4, 0x2a0
	s_waitcnt lgkmcnt(0)
	v_mul_f64 v[4:5], v[83:84], v[78:79]
	v_mul_f64 v[6:7], v[81:82], v[78:79]
	s_delay_alu instid0(VALU_DEP_2) | instskip(NEXT) | instid1(VALU_DEP_2)
	v_fma_f64 v[4:5], v[81:82], v[76:77], -v[4:5]
	v_fma_f64 v[6:7], v[83:84], v[76:77], v[6:7]
	scratch_load_b128 v[76:79], off, s6
	ds_load_2addr_b64 v[81:84], v1 offset0:12 offset1:13
	s_waitcnt vmcnt(0)
	v_add_f64 v[76:77], v[76:77], -v[4:5]
	v_add_f64 v[78:79], v[78:79], -v[6:7]
	scratch_store_b128 off, v[76:79], s6
	scratch_load_b128 v[76:79], off, off offset:288
	s_waitcnt vmcnt(0) lgkmcnt(0)
	v_mul_f64 v[4:5], v[83:84], v[78:79]
	v_mul_f64 v[6:7], v[81:82], v[78:79]
	s_delay_alu instid0(VALU_DEP_2) | instskip(NEXT) | instid1(VALU_DEP_2)
	v_fma_f64 v[4:5], v[81:82], v[76:77], -v[4:5]
	v_fma_f64 v[6:7], v[83:84], v[76:77], v[6:7]
	scratch_load_b128 v[81:84], off, s5
	s_waitcnt vmcnt(0)
	v_add_f64 v[81:82], v[81:82], -v[4:5]
	v_add_f64 v[83:84], v[83:84], -v[6:7]
	scratch_store_b128 off, v[81:84], s5
	s_cbranch_scc1 .LBB121_244
.LBB121_245:
	s_or_b32 exec_lo, exec_lo, s3
	v_add3_u32 v84, v176, 0, 0x140
	s_mov_b32 s4, exec_lo
	s_waitcnt lgkmcnt(0)
	s_waitcnt_vscnt null, 0x0
	s_barrier
	buffer_gl0_inv
	v_cmpx_eq_u32_e32 19, v254
	s_cbranch_execz .LBB121_256
; %bb.246:
	scratch_load_b32 v0, off, off offset:1112 ; 4-byte Folded Reload
	s_movk_i32 s3, 0xfd80
	s_waitcnt vmcnt(0)
	scratch_load_b128 v[76:79], v0, off
	v_mov_b32_e32 v0, 0
	s_waitcnt vmcnt(0)
	ds_store_2addr_b64 v251, v[76:77], v[78:79] offset1:1
	s_branch .LBB121_248
.LBB121_247:                            ;   in Loop: Header=BB121_248 Depth=1
	s_add_i32 s6, s5, 0x3d0
	s_addk_i32 s3, 0x80
	scratch_load_b128 v[76:79], off, s6
	s_add_i32 s6, s5, 0x3e0
	s_waitcnt vmcnt(0)
	ds_store_2addr_b64 v1, v[76:77], v[78:79] offset0:82 offset1:83
	scratch_load_b128 v[76:79], off, s6
	s_add_i32 s6, s5, 0x3f0
	s_waitcnt vmcnt(0)
	ds_store_2addr_b64 v1, v[76:77], v[78:79] offset0:84 offset1:85
	scratch_load_b128 v[76:79], off, s6
	s_add_i32 s6, s5, 0x400
	s_waitcnt vmcnt(0)
	ds_store_2addr_b64 v1, v[76:77], v[78:79] offset0:86 offset1:87
	scratch_load_b128 v[76:79], off, s6
	s_add_i32 s6, s5, 0x410
	s_waitcnt vmcnt(0)
	ds_store_2addr_b64 v1, v[76:77], v[78:79] offset0:88 offset1:89
	scratch_load_b128 v[76:79], off, s6
	s_add_i32 s6, s5, 0x420
	s_addk_i32 s5, 0x430
	s_waitcnt vmcnt(0)
	ds_store_2addr_b64 v1, v[76:77], v[78:79] offset0:90 offset1:91
	scratch_load_b128 v[76:79], off, s6
	s_waitcnt vmcnt(0)
	ds_store_2addr_b64 v1, v[76:77], v[78:79] offset0:92 offset1:93
	scratch_load_b128 v[76:79], off, s5
	s_waitcnt vmcnt(0)
	ds_store_2addr_b64 v1, v[76:77], v[78:79] offset0:94 offset1:95
	s_cbranch_execz .LBB121_250
.LBB121_248:                            ; =>This Inner Loop Header: Depth=1
	v_readfirstlane_b32 s5, v0
	v_add_nc_u32_e32 v1, s3, v84
	s_delay_alu instid0(VALU_DEP_2) | instskip(NEXT) | instid1(SALU_CYCLE_1)
	s_add_i32 s5, s5, s3
	s_add_i32 s6, s5, 0x3c0
	s_cmp_eq_u32 s3, 0
	scratch_load_b128 v[76:79], off, s6
	s_waitcnt vmcnt(0)
	ds_store_2addr_b64 v1, v[76:77], v[78:79] offset0:80 offset1:81
	s_cbranch_scc0 .LBB121_247
; %bb.249:
                                        ; implicit-def: $sgpr3
.LBB121_250:
	ds_load_2addr_b64 v[76:79], v251 offset1:1
	s_waitcnt lgkmcnt(0)
	v_cmp_neq_f64_e32 vcc_lo, 0, v[76:77]
	v_cmp_neq_f64_e64 s3, 0, v[78:79]
	s_delay_alu instid0(VALU_DEP_1) | instskip(NEXT) | instid1(SALU_CYCLE_1)
	s_or_b32 s3, vcc_lo, s3
	s_and_b32 exec_lo, exec_lo, s3
	s_cbranch_execz .LBB121_256
; %bb.251:
	v_cmp_gt_f64_e32 vcc_lo, 0, v[76:77]
	v_xor_b32_e32 v0, 0x80000000, v77
	v_xor_b32_e32 v4, 0x80000000, v79
	s_delay_alu instid0(VALU_DEP_2) | instskip(SKIP_2) | instid1(VALU_DEP_4)
	v_cndmask_b32_e32 v1, v77, v0, vcc_lo
	v_cndmask_b32_e32 v0, v76, v76, vcc_lo
	v_cmp_gt_f64_e32 vcc_lo, 0, v[78:79]
	v_dual_cndmask_b32 v5, v79, v4 :: v_dual_cndmask_b32 v4, v78, v78
	s_delay_alu instid0(VALU_DEP_1) | instskip(SKIP_1) | instid1(SALU_CYCLE_1)
	v_cmp_ngt_f64_e32 vcc_lo, v[0:1], v[4:5]
                                        ; implicit-def: $vgpr0_vgpr1
	s_and_saveexec_b32 s3, vcc_lo
	s_xor_b32 s3, exec_lo, s3
                                        ; implicit-def: $vgpr80_vgpr81_vgpr82_vgpr83
	s_cbranch_execz .LBB121_253
; %bb.252:
	v_div_scale_f64 v[0:1], null, v[78:79], v[78:79], v[76:77]
	v_div_scale_f64 v[80:81], vcc_lo, v[76:77], v[78:79], v[76:77]
	s_delay_alu instid0(VALU_DEP_2) | instskip(SKIP_2) | instid1(VALU_DEP_1)
	v_rcp_f64_e32 v[4:5], v[0:1]
	s_waitcnt_depctr 0xfff
	v_fma_f64 v[6:7], -v[0:1], v[4:5], 1.0
	v_fma_f64 v[4:5], v[4:5], v[6:7], v[4:5]
	s_delay_alu instid0(VALU_DEP_1) | instskip(NEXT) | instid1(VALU_DEP_1)
	v_fma_f64 v[6:7], -v[0:1], v[4:5], 1.0
	v_fma_f64 v[4:5], v[4:5], v[6:7], v[4:5]
	s_delay_alu instid0(VALU_DEP_1) | instskip(NEXT) | instid1(VALU_DEP_1)
	v_mul_f64 v[6:7], v[80:81], v[4:5]
	v_fma_f64 v[0:1], -v[0:1], v[6:7], v[80:81]
	s_delay_alu instid0(VALU_DEP_1) | instskip(NEXT) | instid1(VALU_DEP_1)
	v_div_fmas_f64 v[0:1], v[0:1], v[4:5], v[6:7]
	v_div_fixup_f64 v[0:1], v[0:1], v[78:79], v[76:77]
	s_delay_alu instid0(VALU_DEP_1) | instskip(NEXT) | instid1(VALU_DEP_1)
	v_fma_f64 v[4:5], v[76:77], v[0:1], v[78:79]
	v_div_scale_f64 v[6:7], null, v[4:5], v[4:5], 1.0
	s_delay_alu instid0(VALU_DEP_1) | instskip(SKIP_2) | instid1(VALU_DEP_1)
	v_rcp_f64_e32 v[76:77], v[6:7]
	s_waitcnt_depctr 0xfff
	v_fma_f64 v[78:79], -v[6:7], v[76:77], 1.0
	v_fma_f64 v[76:77], v[76:77], v[78:79], v[76:77]
	s_delay_alu instid0(VALU_DEP_1) | instskip(NEXT) | instid1(VALU_DEP_1)
	v_fma_f64 v[78:79], -v[6:7], v[76:77], 1.0
	v_fma_f64 v[76:77], v[76:77], v[78:79], v[76:77]
	v_div_scale_f64 v[78:79], vcc_lo, 1.0, v[4:5], 1.0
	s_delay_alu instid0(VALU_DEP_1) | instskip(NEXT) | instid1(VALU_DEP_1)
	v_mul_f64 v[80:81], v[78:79], v[76:77]
	v_fma_f64 v[6:7], -v[6:7], v[80:81], v[78:79]
	s_delay_alu instid0(VALU_DEP_1) | instskip(NEXT) | instid1(VALU_DEP_1)
	v_div_fmas_f64 v[6:7], v[6:7], v[76:77], v[80:81]
                                        ; implicit-def: $vgpr76_vgpr77
	v_div_fixup_f64 v[82:83], v[6:7], v[4:5], 1.0
	s_delay_alu instid0(VALU_DEP_1)
	v_mul_f64 v[0:1], v[0:1], v[82:83]
	v_xor_b32_e32 v83, 0x80000000, v83
.LBB121_253:
	s_and_not1_saveexec_b32 s3, s3
	s_cbranch_execz .LBB121_255
; %bb.254:
	v_div_scale_f64 v[0:1], null, v[76:77], v[76:77], v[78:79]
	v_div_scale_f64 v[80:81], vcc_lo, v[78:79], v[76:77], v[78:79]
	s_delay_alu instid0(VALU_DEP_2) | instskip(SKIP_2) | instid1(VALU_DEP_1)
	v_rcp_f64_e32 v[4:5], v[0:1]
	s_waitcnt_depctr 0xfff
	v_fma_f64 v[6:7], -v[0:1], v[4:5], 1.0
	v_fma_f64 v[4:5], v[4:5], v[6:7], v[4:5]
	s_delay_alu instid0(VALU_DEP_1) | instskip(NEXT) | instid1(VALU_DEP_1)
	v_fma_f64 v[6:7], -v[0:1], v[4:5], 1.0
	v_fma_f64 v[4:5], v[4:5], v[6:7], v[4:5]
	s_delay_alu instid0(VALU_DEP_1) | instskip(NEXT) | instid1(VALU_DEP_1)
	v_mul_f64 v[6:7], v[80:81], v[4:5]
	v_fma_f64 v[0:1], -v[0:1], v[6:7], v[80:81]
	s_delay_alu instid0(VALU_DEP_1) | instskip(NEXT) | instid1(VALU_DEP_1)
	v_div_fmas_f64 v[0:1], v[0:1], v[4:5], v[6:7]
	v_div_fixup_f64 v[4:5], v[0:1], v[76:77], v[78:79]
	s_delay_alu instid0(VALU_DEP_1) | instskip(NEXT) | instid1(VALU_DEP_1)
	v_fma_f64 v[0:1], v[78:79], v[4:5], v[76:77]
	v_div_scale_f64 v[6:7], null, v[0:1], v[0:1], 1.0
	s_delay_alu instid0(VALU_DEP_1) | instskip(SKIP_2) | instid1(VALU_DEP_1)
	v_rcp_f64_e32 v[76:77], v[6:7]
	s_waitcnt_depctr 0xfff
	v_fma_f64 v[78:79], -v[6:7], v[76:77], 1.0
	v_fma_f64 v[76:77], v[76:77], v[78:79], v[76:77]
	s_delay_alu instid0(VALU_DEP_1) | instskip(NEXT) | instid1(VALU_DEP_1)
	v_fma_f64 v[78:79], -v[6:7], v[76:77], 1.0
	v_fma_f64 v[76:77], v[76:77], v[78:79], v[76:77]
	v_div_scale_f64 v[78:79], vcc_lo, 1.0, v[0:1], 1.0
	s_delay_alu instid0(VALU_DEP_1) | instskip(NEXT) | instid1(VALU_DEP_1)
	v_mul_f64 v[80:81], v[78:79], v[76:77]
	v_fma_f64 v[6:7], -v[6:7], v[80:81], v[78:79]
	s_delay_alu instid0(VALU_DEP_1) | instskip(NEXT) | instid1(VALU_DEP_1)
	v_div_fmas_f64 v[6:7], v[6:7], v[76:77], v[80:81]
	v_div_fixup_f64 v[0:1], v[6:7], v[0:1], 1.0
	s_delay_alu instid0(VALU_DEP_1)
	v_mul_f64 v[82:83], v[4:5], -v[0:1]
.LBB121_255:
	s_or_b32 exec_lo, exec_lo, s3
	ds_store_2addr_b64 v251, v[0:1], v[82:83] offset1:1
.LBB121_256:
	s_or_b32 exec_lo, exec_lo, s4
	s_waitcnt lgkmcnt(0)
	s_barrier
	buffer_gl0_inv
	ds_load_2addr_b64 v[76:79], v251 offset1:1
	s_mov_b32 s3, exec_lo
	v_cmpx_lt_u32_e32 19, v254
	s_cbranch_execz .LBB121_261
; %bb.257:
	scratch_load_b128 v[85:88], off, off offset:304
	s_mov_b32 s4, 0
	s_waitcnt vmcnt(0) lgkmcnt(0)
	v_mul_f64 v[0:1], v[78:79], v[87:88]
	s_delay_alu instid0(VALU_DEP_1) | instskip(SKIP_1) | instid1(VALU_DEP_1)
	v_fma_f64 v[80:81], v[76:77], v[85:86], -v[0:1]
	v_mul_f64 v[0:1], v[76:77], v[87:88]
	v_fma_f64 v[82:83], v[78:79], v[85:86], v[0:1]
	v_mov_b32_e32 v0, 0
	scratch_store_b128 off, v[80:83], off offset:304
	s_branch .LBB121_259
.LBB121_258:                            ;   in Loop: Header=BB121_259 Depth=1
	s_and_not1_b32 vcc_lo, exec_lo, s6
	s_cbranch_vccz .LBB121_261
.LBB121_259:                            ; =>This Inner Loop Header: Depth=1
	v_add_nc_u32_e32 v1, s4, v84
	v_readfirstlane_b32 s5, v0
	ds_load_2addr_b64 v[85:88], v1 offset1:1
	s_add_i32 s5, s5, s4
	s_delay_alu instid0(SALU_CYCLE_1) | instskip(SKIP_4) | instid1(VALU_DEP_2)
	s_add_i32 s6, s5, 0x140
	s_cmpk_eq_i32 s4, 0x280
	s_waitcnt lgkmcnt(0)
	v_mul_f64 v[4:5], v[87:88], v[82:83]
	v_mul_f64 v[6:7], v[85:86], v[82:83]
	v_fma_f64 v[4:5], v[85:86], v[80:81], -v[4:5]
	s_delay_alu instid0(VALU_DEP_2)
	v_fma_f64 v[6:7], v[87:88], v[80:81], v[6:7]
	scratch_load_b128 v[85:88], off, s6
	s_waitcnt vmcnt(0)
	v_add_f64 v[85:86], v[85:86], -v[4:5]
	v_add_f64 v[87:88], v[87:88], -v[6:7]
	scratch_store_b128 off, v[85:88], s6
	s_mov_b32 s6, -1
	s_cbranch_scc1 .LBB121_258
; %bb.260:                              ;   in Loop: Header=BB121_259 Depth=1
	ds_load_2addr_b64 v[85:88], v1 offset0:2 offset1:3
	s_add_i32 s6, s5, 0x150
	s_add_i32 s4, s4, 64
	s_waitcnt lgkmcnt(0)
	v_mul_f64 v[4:5], v[87:88], v[82:83]
	v_mul_f64 v[6:7], v[85:86], v[82:83]
	s_delay_alu instid0(VALU_DEP_2) | instskip(NEXT) | instid1(VALU_DEP_2)
	v_fma_f64 v[4:5], v[85:86], v[80:81], -v[4:5]
	v_fma_f64 v[6:7], v[87:88], v[80:81], v[6:7]
	scratch_load_b128 v[85:88], off, s6
	s_waitcnt vmcnt(0)
	v_add_f64 v[85:86], v[85:86], -v[4:5]
	v_add_f64 v[87:88], v[87:88], -v[6:7]
	scratch_store_b128 off, v[85:88], s6
	ds_load_2addr_b64 v[85:88], v1 offset0:4 offset1:5
	s_add_i32 s6, s5, 0x160
	s_addk_i32 s5, 0x170
	s_waitcnt lgkmcnt(0)
	v_mul_f64 v[4:5], v[87:88], v[82:83]
	v_mul_f64 v[6:7], v[85:86], v[82:83]
	s_delay_alu instid0(VALU_DEP_2) | instskip(NEXT) | instid1(VALU_DEP_2)
	v_fma_f64 v[4:5], v[85:86], v[80:81], -v[4:5]
	v_fma_f64 v[6:7], v[87:88], v[80:81], v[6:7]
	scratch_load_b128 v[85:88], off, s6
	s_waitcnt vmcnt(0)
	v_add_f64 v[85:86], v[85:86], -v[4:5]
	v_add_f64 v[87:88], v[87:88], -v[6:7]
	scratch_store_b128 off, v[85:88], s6
	ds_load_2addr_b64 v[85:88], v1 offset0:6 offset1:7
	s_mov_b32 s6, 0
	s_waitcnt lgkmcnt(0)
	v_mul_f64 v[4:5], v[87:88], v[82:83]
	v_mul_f64 v[6:7], v[85:86], v[82:83]
	s_delay_alu instid0(VALU_DEP_2) | instskip(NEXT) | instid1(VALU_DEP_2)
	v_fma_f64 v[4:5], v[85:86], v[80:81], -v[4:5]
	v_fma_f64 v[6:7], v[87:88], v[80:81], v[6:7]
	scratch_load_b128 v[85:88], off, s5
	s_waitcnt vmcnt(0)
	v_add_f64 v[85:86], v[85:86], -v[4:5]
	v_add_f64 v[87:88], v[87:88], -v[6:7]
	scratch_store_b128 off, v[85:88], s5
	s_branch .LBB121_258
.LBB121_261:
	s_or_b32 exec_lo, exec_lo, s3
	v_add3_u32 v88, v176, 0, 0x150
	s_mov_b32 s4, exec_lo
	s_waitcnt lgkmcnt(0)
	s_waitcnt_vscnt null, 0x0
	s_barrier
	buffer_gl0_inv
	v_cmpx_eq_u32_e32 20, v254
	s_cbranch_execz .LBB121_270
; %bb.262:
	scratch_load_b32 v0, off, off offset:1108 ; 4-byte Folded Reload
	s_movk_i32 s3, 0xfd80
	s_waitcnt vmcnt(0)
	scratch_load_b128 v[80:83], v0, off
	v_mov_b32_e32 v0, 0
	s_waitcnt vmcnt(0)
	ds_store_2addr_b64 v251, v[80:81], v[82:83] offset1:1
.LBB121_263:                            ; =>This Inner Loop Header: Depth=1
	v_readfirstlane_b32 s5, v0
	v_add_nc_u32_e32 v1, s3, v88
	s_delay_alu instid0(VALU_DEP_2)
	s_add_i32 s5, s5, s3
	s_addk_i32 s3, 0xa0
	s_add_i32 s6, s5, 0x3d0
	scratch_load_b128 v[80:83], off, s6
	s_add_i32 s6, s5, 0x3e0
	s_waitcnt vmcnt(0)
	ds_store_2addr_b64 v1, v[80:81], v[82:83] offset0:80 offset1:81
	scratch_load_b128 v[80:83], off, s6
	s_add_i32 s6, s5, 0x3f0
	s_waitcnt vmcnt(0)
	ds_store_2addr_b64 v1, v[80:81], v[82:83] offset0:82 offset1:83
	;; [unrolled: 4-line block ×7, first 2 shown]
	scratch_load_b128 v[80:83], off, s6
	s_add_i32 s6, s5, 0x450
	s_addk_i32 s5, 0x460
	s_cmp_lg_u32 s3, 0
	s_waitcnt vmcnt(0)
	ds_store_2addr_b64 v1, v[80:81], v[82:83] offset0:94 offset1:95
	scratch_load_b128 v[80:83], off, s6
	s_waitcnt vmcnt(0)
	ds_store_2addr_b64 v1, v[80:81], v[82:83] offset0:96 offset1:97
	scratch_load_b128 v[80:83], off, s5
	s_waitcnt vmcnt(0)
	ds_store_2addr_b64 v1, v[80:81], v[82:83] offset0:98 offset1:99
	s_cbranch_scc1 .LBB121_263
; %bb.264:
	ds_load_2addr_b64 v[80:83], v251 offset1:1
	s_waitcnt lgkmcnt(0)
	v_cmp_neq_f64_e32 vcc_lo, 0, v[80:81]
	v_cmp_neq_f64_e64 s3, 0, v[82:83]
	s_delay_alu instid0(VALU_DEP_1) | instskip(NEXT) | instid1(SALU_CYCLE_1)
	s_or_b32 s3, vcc_lo, s3
	s_and_b32 exec_lo, exec_lo, s3
	s_cbranch_execz .LBB121_270
; %bb.265:
	v_cmp_gt_f64_e32 vcc_lo, 0, v[80:81]
	v_xor_b32_e32 v0, 0x80000000, v81
	v_xor_b32_e32 v4, 0x80000000, v83
	s_delay_alu instid0(VALU_DEP_2) | instskip(SKIP_2) | instid1(VALU_DEP_4)
	v_cndmask_b32_e32 v1, v81, v0, vcc_lo
	v_cndmask_b32_e32 v0, v80, v80, vcc_lo
	v_cmp_gt_f64_e32 vcc_lo, 0, v[82:83]
	v_dual_cndmask_b32 v5, v83, v4 :: v_dual_cndmask_b32 v4, v82, v82
	s_delay_alu instid0(VALU_DEP_1) | instskip(SKIP_1) | instid1(SALU_CYCLE_1)
	v_cmp_ngt_f64_e32 vcc_lo, v[0:1], v[4:5]
                                        ; implicit-def: $vgpr0_vgpr1
	s_and_saveexec_b32 s3, vcc_lo
	s_xor_b32 s3, exec_lo, s3
                                        ; implicit-def: $vgpr84_vgpr85_vgpr86_vgpr87
	s_cbranch_execz .LBB121_267
; %bb.266:
	v_div_scale_f64 v[0:1], null, v[82:83], v[82:83], v[80:81]
	v_div_scale_f64 v[84:85], vcc_lo, v[80:81], v[82:83], v[80:81]
	s_delay_alu instid0(VALU_DEP_2) | instskip(SKIP_2) | instid1(VALU_DEP_1)
	v_rcp_f64_e32 v[4:5], v[0:1]
	s_waitcnt_depctr 0xfff
	v_fma_f64 v[6:7], -v[0:1], v[4:5], 1.0
	v_fma_f64 v[4:5], v[4:5], v[6:7], v[4:5]
	s_delay_alu instid0(VALU_DEP_1) | instskip(NEXT) | instid1(VALU_DEP_1)
	v_fma_f64 v[6:7], -v[0:1], v[4:5], 1.0
	v_fma_f64 v[4:5], v[4:5], v[6:7], v[4:5]
	s_delay_alu instid0(VALU_DEP_1) | instskip(NEXT) | instid1(VALU_DEP_1)
	v_mul_f64 v[6:7], v[84:85], v[4:5]
	v_fma_f64 v[0:1], -v[0:1], v[6:7], v[84:85]
	s_delay_alu instid0(VALU_DEP_1) | instskip(NEXT) | instid1(VALU_DEP_1)
	v_div_fmas_f64 v[0:1], v[0:1], v[4:5], v[6:7]
	v_div_fixup_f64 v[0:1], v[0:1], v[82:83], v[80:81]
	s_delay_alu instid0(VALU_DEP_1) | instskip(NEXT) | instid1(VALU_DEP_1)
	v_fma_f64 v[4:5], v[80:81], v[0:1], v[82:83]
	v_div_scale_f64 v[6:7], null, v[4:5], v[4:5], 1.0
	s_delay_alu instid0(VALU_DEP_1) | instskip(SKIP_2) | instid1(VALU_DEP_1)
	v_rcp_f64_e32 v[80:81], v[6:7]
	s_waitcnt_depctr 0xfff
	v_fma_f64 v[82:83], -v[6:7], v[80:81], 1.0
	v_fma_f64 v[80:81], v[80:81], v[82:83], v[80:81]
	s_delay_alu instid0(VALU_DEP_1) | instskip(NEXT) | instid1(VALU_DEP_1)
	v_fma_f64 v[82:83], -v[6:7], v[80:81], 1.0
	v_fma_f64 v[80:81], v[80:81], v[82:83], v[80:81]
	v_div_scale_f64 v[82:83], vcc_lo, 1.0, v[4:5], 1.0
	s_delay_alu instid0(VALU_DEP_1) | instskip(NEXT) | instid1(VALU_DEP_1)
	v_mul_f64 v[84:85], v[82:83], v[80:81]
	v_fma_f64 v[6:7], -v[6:7], v[84:85], v[82:83]
	s_delay_alu instid0(VALU_DEP_1) | instskip(NEXT) | instid1(VALU_DEP_1)
	v_div_fmas_f64 v[6:7], v[6:7], v[80:81], v[84:85]
                                        ; implicit-def: $vgpr80_vgpr81
	v_div_fixup_f64 v[86:87], v[6:7], v[4:5], 1.0
	s_delay_alu instid0(VALU_DEP_1)
	v_mul_f64 v[0:1], v[0:1], v[86:87]
	v_xor_b32_e32 v87, 0x80000000, v87
.LBB121_267:
	s_and_not1_saveexec_b32 s3, s3
	s_cbranch_execz .LBB121_269
; %bb.268:
	v_div_scale_f64 v[0:1], null, v[80:81], v[80:81], v[82:83]
	v_div_scale_f64 v[84:85], vcc_lo, v[82:83], v[80:81], v[82:83]
	s_delay_alu instid0(VALU_DEP_2) | instskip(SKIP_2) | instid1(VALU_DEP_1)
	v_rcp_f64_e32 v[4:5], v[0:1]
	s_waitcnt_depctr 0xfff
	v_fma_f64 v[6:7], -v[0:1], v[4:5], 1.0
	v_fma_f64 v[4:5], v[4:5], v[6:7], v[4:5]
	s_delay_alu instid0(VALU_DEP_1) | instskip(NEXT) | instid1(VALU_DEP_1)
	v_fma_f64 v[6:7], -v[0:1], v[4:5], 1.0
	v_fma_f64 v[4:5], v[4:5], v[6:7], v[4:5]
	s_delay_alu instid0(VALU_DEP_1) | instskip(NEXT) | instid1(VALU_DEP_1)
	v_mul_f64 v[6:7], v[84:85], v[4:5]
	v_fma_f64 v[0:1], -v[0:1], v[6:7], v[84:85]
	s_delay_alu instid0(VALU_DEP_1) | instskip(NEXT) | instid1(VALU_DEP_1)
	v_div_fmas_f64 v[0:1], v[0:1], v[4:5], v[6:7]
	v_div_fixup_f64 v[4:5], v[0:1], v[80:81], v[82:83]
	s_delay_alu instid0(VALU_DEP_1) | instskip(NEXT) | instid1(VALU_DEP_1)
	v_fma_f64 v[0:1], v[82:83], v[4:5], v[80:81]
	v_div_scale_f64 v[6:7], null, v[0:1], v[0:1], 1.0
	s_delay_alu instid0(VALU_DEP_1) | instskip(SKIP_2) | instid1(VALU_DEP_1)
	v_rcp_f64_e32 v[80:81], v[6:7]
	s_waitcnt_depctr 0xfff
	v_fma_f64 v[82:83], -v[6:7], v[80:81], 1.0
	v_fma_f64 v[80:81], v[80:81], v[82:83], v[80:81]
	s_delay_alu instid0(VALU_DEP_1) | instskip(NEXT) | instid1(VALU_DEP_1)
	v_fma_f64 v[82:83], -v[6:7], v[80:81], 1.0
	v_fma_f64 v[80:81], v[80:81], v[82:83], v[80:81]
	v_div_scale_f64 v[82:83], vcc_lo, 1.0, v[0:1], 1.0
	s_delay_alu instid0(VALU_DEP_1) | instskip(NEXT) | instid1(VALU_DEP_1)
	v_mul_f64 v[84:85], v[82:83], v[80:81]
	v_fma_f64 v[6:7], -v[6:7], v[84:85], v[82:83]
	s_delay_alu instid0(VALU_DEP_1) | instskip(NEXT) | instid1(VALU_DEP_1)
	v_div_fmas_f64 v[6:7], v[6:7], v[80:81], v[84:85]
	v_div_fixup_f64 v[0:1], v[6:7], v[0:1], 1.0
	s_delay_alu instid0(VALU_DEP_1)
	v_mul_f64 v[86:87], v[4:5], -v[0:1]
.LBB121_269:
	s_or_b32 exec_lo, exec_lo, s3
	ds_store_2addr_b64 v251, v[0:1], v[86:87] offset1:1
.LBB121_270:
	s_or_b32 exec_lo, exec_lo, s4
	s_waitcnt lgkmcnt(0)
	s_barrier
	buffer_gl0_inv
	ds_load_2addr_b64 v[80:83], v251 offset1:1
	s_mov_b32 s3, exec_lo
	v_cmpx_lt_u32_e32 20, v254
	s_cbranch_execz .LBB121_273
; %bb.271:
	scratch_load_b128 v[89:92], off, off offset:320
	s_mov_b32 s4, 0
	s_waitcnt vmcnt(0) lgkmcnt(0)
	v_mul_f64 v[0:1], v[82:83], v[91:92]
	s_delay_alu instid0(VALU_DEP_1) | instskip(SKIP_1) | instid1(VALU_DEP_1)
	v_fma_f64 v[84:85], v[80:81], v[89:90], -v[0:1]
	v_mul_f64 v[0:1], v[80:81], v[91:92]
	v_fma_f64 v[86:87], v[82:83], v[89:90], v[0:1]
	v_mov_b32_e32 v0, 0
	scratch_store_b128 off, v[84:87], off offset:320
.LBB121_272:                            ; =>This Inner Loop Header: Depth=1
	v_add_nc_u32_e32 v1, s4, v88
	v_readfirstlane_b32 s5, v0
	ds_load_2addr_b64 v[89:92], v1 offset1:1
	s_add_i32 s5, s5, s4
	s_addk_i32 s4, 0x50
	s_add_i32 s6, s5, 0x150
	s_waitcnt lgkmcnt(0)
	v_mul_f64 v[4:5], v[91:92], v[86:87]
	v_mul_f64 v[6:7], v[89:90], v[86:87]
	s_delay_alu instid0(VALU_DEP_2) | instskip(NEXT) | instid1(VALU_DEP_2)
	v_fma_f64 v[4:5], v[89:90], v[84:85], -v[4:5]
	v_fma_f64 v[6:7], v[91:92], v[84:85], v[6:7]
	scratch_load_b128 v[89:92], off, s6
	s_waitcnt vmcnt(0)
	v_add_f64 v[89:90], v[89:90], -v[4:5]
	v_add_f64 v[91:92], v[91:92], -v[6:7]
	scratch_store_b128 off, v[89:92], s6
	ds_load_2addr_b64 v[89:92], v1 offset0:2 offset1:3
	s_add_i32 s6, s5, 0x160
	s_waitcnt lgkmcnt(0)
	v_mul_f64 v[4:5], v[91:92], v[86:87]
	v_mul_f64 v[6:7], v[89:90], v[86:87]
	s_delay_alu instid0(VALU_DEP_2) | instskip(NEXT) | instid1(VALU_DEP_2)
	v_fma_f64 v[4:5], v[89:90], v[84:85], -v[4:5]
	v_fma_f64 v[6:7], v[91:92], v[84:85], v[6:7]
	scratch_load_b128 v[89:92], off, s6
	s_waitcnt vmcnt(0)
	v_add_f64 v[89:90], v[89:90], -v[4:5]
	v_add_f64 v[91:92], v[91:92], -v[6:7]
	scratch_store_b128 off, v[89:92], s6
	ds_load_2addr_b64 v[89:92], v1 offset0:4 offset1:5
	;; [unrolled: 13-line block ×3, first 2 shown]
	s_add_i32 s6, s5, 0x180
	s_addk_i32 s5, 0x190
	s_cmpk_lg_i32 s4, 0x280
	s_waitcnt lgkmcnt(0)
	v_mul_f64 v[4:5], v[91:92], v[86:87]
	v_mul_f64 v[6:7], v[89:90], v[86:87]
	s_delay_alu instid0(VALU_DEP_2) | instskip(NEXT) | instid1(VALU_DEP_2)
	v_fma_f64 v[4:5], v[89:90], v[84:85], -v[4:5]
	v_fma_f64 v[6:7], v[91:92], v[84:85], v[6:7]
	scratch_load_b128 v[89:92], off, s6
	s_waitcnt vmcnt(0)
	v_add_f64 v[89:90], v[89:90], -v[4:5]
	v_add_f64 v[91:92], v[91:92], -v[6:7]
	scratch_store_b128 off, v[89:92], s6
	ds_load_2addr_b64 v[89:92], v1 offset0:8 offset1:9
	s_waitcnt lgkmcnt(0)
	v_mul_f64 v[4:5], v[91:92], v[86:87]
	v_mul_f64 v[6:7], v[89:90], v[86:87]
	s_delay_alu instid0(VALU_DEP_2) | instskip(NEXT) | instid1(VALU_DEP_2)
	v_fma_f64 v[4:5], v[89:90], v[84:85], -v[4:5]
	v_fma_f64 v[6:7], v[91:92], v[84:85], v[6:7]
	scratch_load_b128 v[89:92], off, s5
	s_waitcnt vmcnt(0)
	v_add_f64 v[89:90], v[89:90], -v[4:5]
	v_add_f64 v[91:92], v[91:92], -v[6:7]
	scratch_store_b128 off, v[89:92], s5
	s_cbranch_scc1 .LBB121_272
.LBB121_273:
	s_or_b32 exec_lo, exec_lo, s3
	v_add3_u32 v92, v176, 0, 0x160
	s_mov_b32 s4, exec_lo
	s_waitcnt lgkmcnt(0)
	s_waitcnt_vscnt null, 0x0
	s_barrier
	buffer_gl0_inv
	v_cmpx_eq_u32_e32 21, v254
	s_cbranch_execz .LBB121_282
; %bb.274:
	scratch_load_b32 v0, off, off offset:1104 ; 4-byte Folded Reload
	s_movk_i32 s3, 0xfd90
	s_waitcnt vmcnt(0)
	scratch_load_b128 v[84:87], v0, off
	v_mov_b32_e32 v0, 0
	s_waitcnt vmcnt(0)
	ds_store_2addr_b64 v251, v[84:85], v[86:87] offset1:1
.LBB121_275:                            ; =>This Inner Loop Header: Depth=1
	v_readfirstlane_b32 s5, v0
	v_add_nc_u32_e32 v1, s3, v92
	s_delay_alu instid0(VALU_DEP_2)
	s_add_i32 s5, s5, s3
	s_addk_i32 s3, 0xd0
	s_add_i32 s6, s5, 0x3d0
	scratch_load_b128 v[84:87], off, s6
	s_add_i32 s6, s5, 0x3e0
	s_waitcnt vmcnt(0)
	ds_store_2addr_b64 v1, v[84:85], v[86:87] offset0:78 offset1:79
	scratch_load_b128 v[84:87], off, s6
	s_add_i32 s6, s5, 0x3f0
	s_waitcnt vmcnt(0)
	ds_store_2addr_b64 v1, v[84:85], v[86:87] offset0:80 offset1:81
	;; [unrolled: 4-line block ×10, first 2 shown]
	scratch_load_b128 v[84:87], off, s6
	s_add_i32 s6, s5, 0x480
	s_addk_i32 s5, 0x490
	s_cmp_lg_u32 s3, 0
	s_waitcnt vmcnt(0)
	ds_store_2addr_b64 v1, v[84:85], v[86:87] offset0:98 offset1:99
	scratch_load_b128 v[84:87], off, s6
	s_waitcnt vmcnt(0)
	ds_store_2addr_b64 v1, v[84:85], v[86:87] offset0:100 offset1:101
	scratch_load_b128 v[84:87], off, s5
	s_waitcnt vmcnt(0)
	ds_store_2addr_b64 v1, v[84:85], v[86:87] offset0:102 offset1:103
	s_cbranch_scc1 .LBB121_275
; %bb.276:
	ds_load_2addr_b64 v[84:87], v251 offset1:1
	s_waitcnt lgkmcnt(0)
	v_cmp_neq_f64_e32 vcc_lo, 0, v[84:85]
	v_cmp_neq_f64_e64 s3, 0, v[86:87]
	s_delay_alu instid0(VALU_DEP_1) | instskip(NEXT) | instid1(SALU_CYCLE_1)
	s_or_b32 s3, vcc_lo, s3
	s_and_b32 exec_lo, exec_lo, s3
	s_cbranch_execz .LBB121_282
; %bb.277:
	v_cmp_gt_f64_e32 vcc_lo, 0, v[84:85]
	v_xor_b32_e32 v0, 0x80000000, v85
	v_xor_b32_e32 v4, 0x80000000, v87
	s_delay_alu instid0(VALU_DEP_2) | instskip(SKIP_2) | instid1(VALU_DEP_4)
	v_cndmask_b32_e32 v1, v85, v0, vcc_lo
	v_cndmask_b32_e32 v0, v84, v84, vcc_lo
	v_cmp_gt_f64_e32 vcc_lo, 0, v[86:87]
	v_dual_cndmask_b32 v5, v87, v4 :: v_dual_cndmask_b32 v4, v86, v86
	s_delay_alu instid0(VALU_DEP_1) | instskip(SKIP_1) | instid1(SALU_CYCLE_1)
	v_cmp_ngt_f64_e32 vcc_lo, v[0:1], v[4:5]
                                        ; implicit-def: $vgpr0_vgpr1
	s_and_saveexec_b32 s3, vcc_lo
	s_xor_b32 s3, exec_lo, s3
                                        ; implicit-def: $vgpr88_vgpr89_vgpr90_vgpr91
	s_cbranch_execz .LBB121_279
; %bb.278:
	v_div_scale_f64 v[0:1], null, v[86:87], v[86:87], v[84:85]
	v_div_scale_f64 v[88:89], vcc_lo, v[84:85], v[86:87], v[84:85]
	s_delay_alu instid0(VALU_DEP_2) | instskip(SKIP_2) | instid1(VALU_DEP_1)
	v_rcp_f64_e32 v[4:5], v[0:1]
	s_waitcnt_depctr 0xfff
	v_fma_f64 v[6:7], -v[0:1], v[4:5], 1.0
	v_fma_f64 v[4:5], v[4:5], v[6:7], v[4:5]
	s_delay_alu instid0(VALU_DEP_1) | instskip(NEXT) | instid1(VALU_DEP_1)
	v_fma_f64 v[6:7], -v[0:1], v[4:5], 1.0
	v_fma_f64 v[4:5], v[4:5], v[6:7], v[4:5]
	s_delay_alu instid0(VALU_DEP_1) | instskip(NEXT) | instid1(VALU_DEP_1)
	v_mul_f64 v[6:7], v[88:89], v[4:5]
	v_fma_f64 v[0:1], -v[0:1], v[6:7], v[88:89]
	s_delay_alu instid0(VALU_DEP_1) | instskip(NEXT) | instid1(VALU_DEP_1)
	v_div_fmas_f64 v[0:1], v[0:1], v[4:5], v[6:7]
	v_div_fixup_f64 v[0:1], v[0:1], v[86:87], v[84:85]
	s_delay_alu instid0(VALU_DEP_1) | instskip(NEXT) | instid1(VALU_DEP_1)
	v_fma_f64 v[4:5], v[84:85], v[0:1], v[86:87]
	v_div_scale_f64 v[6:7], null, v[4:5], v[4:5], 1.0
	s_delay_alu instid0(VALU_DEP_1) | instskip(SKIP_2) | instid1(VALU_DEP_1)
	v_rcp_f64_e32 v[84:85], v[6:7]
	s_waitcnt_depctr 0xfff
	v_fma_f64 v[86:87], -v[6:7], v[84:85], 1.0
	v_fma_f64 v[84:85], v[84:85], v[86:87], v[84:85]
	s_delay_alu instid0(VALU_DEP_1) | instskip(NEXT) | instid1(VALU_DEP_1)
	v_fma_f64 v[86:87], -v[6:7], v[84:85], 1.0
	v_fma_f64 v[84:85], v[84:85], v[86:87], v[84:85]
	v_div_scale_f64 v[86:87], vcc_lo, 1.0, v[4:5], 1.0
	s_delay_alu instid0(VALU_DEP_1) | instskip(NEXT) | instid1(VALU_DEP_1)
	v_mul_f64 v[88:89], v[86:87], v[84:85]
	v_fma_f64 v[6:7], -v[6:7], v[88:89], v[86:87]
	s_delay_alu instid0(VALU_DEP_1) | instskip(NEXT) | instid1(VALU_DEP_1)
	v_div_fmas_f64 v[6:7], v[6:7], v[84:85], v[88:89]
                                        ; implicit-def: $vgpr84_vgpr85
	v_div_fixup_f64 v[90:91], v[6:7], v[4:5], 1.0
	s_delay_alu instid0(VALU_DEP_1)
	v_mul_f64 v[0:1], v[0:1], v[90:91]
	v_xor_b32_e32 v91, 0x80000000, v91
.LBB121_279:
	s_and_not1_saveexec_b32 s3, s3
	s_cbranch_execz .LBB121_281
; %bb.280:
	v_div_scale_f64 v[0:1], null, v[84:85], v[84:85], v[86:87]
	v_div_scale_f64 v[88:89], vcc_lo, v[86:87], v[84:85], v[86:87]
	s_delay_alu instid0(VALU_DEP_2) | instskip(SKIP_2) | instid1(VALU_DEP_1)
	v_rcp_f64_e32 v[4:5], v[0:1]
	s_waitcnt_depctr 0xfff
	v_fma_f64 v[6:7], -v[0:1], v[4:5], 1.0
	v_fma_f64 v[4:5], v[4:5], v[6:7], v[4:5]
	s_delay_alu instid0(VALU_DEP_1) | instskip(NEXT) | instid1(VALU_DEP_1)
	v_fma_f64 v[6:7], -v[0:1], v[4:5], 1.0
	v_fma_f64 v[4:5], v[4:5], v[6:7], v[4:5]
	s_delay_alu instid0(VALU_DEP_1) | instskip(NEXT) | instid1(VALU_DEP_1)
	v_mul_f64 v[6:7], v[88:89], v[4:5]
	v_fma_f64 v[0:1], -v[0:1], v[6:7], v[88:89]
	s_delay_alu instid0(VALU_DEP_1) | instskip(NEXT) | instid1(VALU_DEP_1)
	v_div_fmas_f64 v[0:1], v[0:1], v[4:5], v[6:7]
	v_div_fixup_f64 v[4:5], v[0:1], v[84:85], v[86:87]
	s_delay_alu instid0(VALU_DEP_1) | instskip(NEXT) | instid1(VALU_DEP_1)
	v_fma_f64 v[0:1], v[86:87], v[4:5], v[84:85]
	v_div_scale_f64 v[6:7], null, v[0:1], v[0:1], 1.0
	s_delay_alu instid0(VALU_DEP_1) | instskip(SKIP_2) | instid1(VALU_DEP_1)
	v_rcp_f64_e32 v[84:85], v[6:7]
	s_waitcnt_depctr 0xfff
	v_fma_f64 v[86:87], -v[6:7], v[84:85], 1.0
	v_fma_f64 v[84:85], v[84:85], v[86:87], v[84:85]
	s_delay_alu instid0(VALU_DEP_1) | instskip(NEXT) | instid1(VALU_DEP_1)
	v_fma_f64 v[86:87], -v[6:7], v[84:85], 1.0
	v_fma_f64 v[84:85], v[84:85], v[86:87], v[84:85]
	v_div_scale_f64 v[86:87], vcc_lo, 1.0, v[0:1], 1.0
	s_delay_alu instid0(VALU_DEP_1) | instskip(NEXT) | instid1(VALU_DEP_1)
	v_mul_f64 v[88:89], v[86:87], v[84:85]
	v_fma_f64 v[6:7], -v[6:7], v[88:89], v[86:87]
	s_delay_alu instid0(VALU_DEP_1) | instskip(NEXT) | instid1(VALU_DEP_1)
	v_div_fmas_f64 v[6:7], v[6:7], v[84:85], v[88:89]
	v_div_fixup_f64 v[0:1], v[6:7], v[0:1], 1.0
	s_delay_alu instid0(VALU_DEP_1)
	v_mul_f64 v[90:91], v[4:5], -v[0:1]
.LBB121_281:
	s_or_b32 exec_lo, exec_lo, s3
	ds_store_2addr_b64 v251, v[0:1], v[90:91] offset1:1
.LBB121_282:
	s_or_b32 exec_lo, exec_lo, s4
	s_waitcnt lgkmcnt(0)
	s_barrier
	buffer_gl0_inv
	ds_load_2addr_b64 v[84:87], v251 offset1:1
	s_mov_b32 s3, exec_lo
	v_cmpx_lt_u32_e32 21, v254
	s_cbranch_execz .LBB121_285
; %bb.283:
	scratch_load_b128 v[93:96], off, off offset:336
	s_mov_b32 s4, 0
	s_waitcnt vmcnt(0) lgkmcnt(0)
	v_mul_f64 v[0:1], v[86:87], v[95:96]
	s_delay_alu instid0(VALU_DEP_1) | instskip(SKIP_1) | instid1(VALU_DEP_1)
	v_fma_f64 v[88:89], v[84:85], v[93:94], -v[0:1]
	v_mul_f64 v[0:1], v[84:85], v[95:96]
	v_fma_f64 v[90:91], v[86:87], v[93:94], v[0:1]
	v_mov_b32_e32 v0, 0
	scratch_store_b128 off, v[88:91], off offset:336
.LBB121_284:                            ; =>This Inner Loop Header: Depth=1
	v_add_nc_u32_e32 v1, s4, v92
	v_readfirstlane_b32 s5, v0
	ds_load_2addr_b64 v[93:96], v1 offset1:1
	s_add_i32 s5, s5, s4
	s_add_i32 s4, s4, 48
	;; [unrolled: 1-line block ×3, first 2 shown]
	s_waitcnt lgkmcnt(0)
	v_mul_f64 v[4:5], v[95:96], v[90:91]
	v_mul_f64 v[6:7], v[93:94], v[90:91]
	s_delay_alu instid0(VALU_DEP_2) | instskip(NEXT) | instid1(VALU_DEP_2)
	v_fma_f64 v[4:5], v[93:94], v[88:89], -v[4:5]
	v_fma_f64 v[6:7], v[95:96], v[88:89], v[6:7]
	scratch_load_b128 v[93:96], off, s6
	s_waitcnt vmcnt(0)
	v_add_f64 v[93:94], v[93:94], -v[4:5]
	v_add_f64 v[95:96], v[95:96], -v[6:7]
	scratch_store_b128 off, v[93:96], s6
	ds_load_2addr_b64 v[93:96], v1 offset0:2 offset1:3
	s_add_i32 s6, s5, 0x170
	s_addk_i32 s5, 0x180
	s_cmpk_lg_i32 s4, 0x270
	s_waitcnt lgkmcnt(0)
	v_mul_f64 v[4:5], v[95:96], v[90:91]
	v_mul_f64 v[6:7], v[93:94], v[90:91]
	s_delay_alu instid0(VALU_DEP_2) | instskip(NEXT) | instid1(VALU_DEP_2)
	v_fma_f64 v[4:5], v[93:94], v[88:89], -v[4:5]
	v_fma_f64 v[6:7], v[95:96], v[88:89], v[6:7]
	scratch_load_b128 v[93:96], off, s6
	s_waitcnt vmcnt(0)
	v_add_f64 v[93:94], v[93:94], -v[4:5]
	v_add_f64 v[95:96], v[95:96], -v[6:7]
	scratch_store_b128 off, v[93:96], s6
	ds_load_2addr_b64 v[93:96], v1 offset0:4 offset1:5
	s_waitcnt lgkmcnt(0)
	v_mul_f64 v[4:5], v[95:96], v[90:91]
	v_mul_f64 v[6:7], v[93:94], v[90:91]
	s_delay_alu instid0(VALU_DEP_2) | instskip(NEXT) | instid1(VALU_DEP_2)
	v_fma_f64 v[4:5], v[93:94], v[88:89], -v[4:5]
	v_fma_f64 v[6:7], v[95:96], v[88:89], v[6:7]
	scratch_load_b128 v[93:96], off, s5
	s_waitcnt vmcnt(0)
	v_add_f64 v[93:94], v[93:94], -v[4:5]
	v_add_f64 v[95:96], v[95:96], -v[6:7]
	scratch_store_b128 off, v[93:96], s5
	s_cbranch_scc1 .LBB121_284
.LBB121_285:
	s_or_b32 exec_lo, exec_lo, s3
	v_add3_u32 v96, v176, 0, 0x170
	s_mov_b32 s4, exec_lo
	s_waitcnt lgkmcnt(0)
	s_waitcnt_vscnt null, 0x0
	s_barrier
	buffer_gl0_inv
	v_cmpx_eq_u32_e32 22, v254
	s_cbranch_execz .LBB121_294
; %bb.286:
	scratch_load_b32 v0, off, off offset:1100 ; 4-byte Folded Reload
	s_mov_b32 s3, 0
	s_waitcnt vmcnt(0)
	scratch_load_b128 v[88:91], v0, off
	s_waitcnt vmcnt(0)
	ds_store_2addr_b64 v251, v[88:89], v[90:91] offset1:1
	.p2align	6
.LBB121_287:                            ; =>This Inner Loop Header: Depth=1
	v_add_nc_u32_e64 v0, s3, 0
	v_add_nc_u32_e32 v4, s3, v96
	s_add_i32 s3, s3, 32
	s_delay_alu instid0(SALU_CYCLE_1) | instskip(NEXT) | instid1(VALU_DEP_2)
	s_cmpk_lg_i32 s3, 0x260
	v_add_nc_u32_e32 v1, 0x170, v0
	v_add_nc_u32_e32 v0, 0x180, v0
	scratch_load_b128 v[88:91], v1, off
	s_waitcnt vmcnt(0)
	ds_store_2addr_b64 v4, v[88:89], v[90:91] offset1:1
	scratch_load_b128 v[88:91], v0, off
	s_waitcnt vmcnt(0)
	ds_store_2addr_b64 v4, v[88:89], v[90:91] offset0:2 offset1:3
	s_cbranch_scc1 .LBB121_287
; %bb.288:
	ds_load_2addr_b64 v[88:91], v251 offset1:1
	s_waitcnt lgkmcnt(0)
	v_cmp_neq_f64_e32 vcc_lo, 0, v[88:89]
	v_cmp_neq_f64_e64 s3, 0, v[90:91]
	s_delay_alu instid0(VALU_DEP_1) | instskip(NEXT) | instid1(SALU_CYCLE_1)
	s_or_b32 s3, vcc_lo, s3
	s_and_b32 exec_lo, exec_lo, s3
	s_cbranch_execz .LBB121_294
; %bb.289:
	v_cmp_gt_f64_e32 vcc_lo, 0, v[88:89]
	v_xor_b32_e32 v0, 0x80000000, v89
	v_xor_b32_e32 v4, 0x80000000, v91
	s_delay_alu instid0(VALU_DEP_2) | instskip(SKIP_2) | instid1(VALU_DEP_4)
	v_cndmask_b32_e32 v1, v89, v0, vcc_lo
	v_cndmask_b32_e32 v0, v88, v88, vcc_lo
	v_cmp_gt_f64_e32 vcc_lo, 0, v[90:91]
	v_dual_cndmask_b32 v5, v91, v4 :: v_dual_cndmask_b32 v4, v90, v90
	s_delay_alu instid0(VALU_DEP_1) | instskip(SKIP_1) | instid1(SALU_CYCLE_1)
	v_cmp_ngt_f64_e32 vcc_lo, v[0:1], v[4:5]
                                        ; implicit-def: $vgpr0_vgpr1
	s_and_saveexec_b32 s3, vcc_lo
	s_xor_b32 s3, exec_lo, s3
                                        ; implicit-def: $vgpr92_vgpr93_vgpr94_vgpr95
	s_cbranch_execz .LBB121_291
; %bb.290:
	v_div_scale_f64 v[0:1], null, v[90:91], v[90:91], v[88:89]
	v_div_scale_f64 v[92:93], vcc_lo, v[88:89], v[90:91], v[88:89]
	s_delay_alu instid0(VALU_DEP_2) | instskip(SKIP_2) | instid1(VALU_DEP_1)
	v_rcp_f64_e32 v[4:5], v[0:1]
	s_waitcnt_depctr 0xfff
	v_fma_f64 v[6:7], -v[0:1], v[4:5], 1.0
	v_fma_f64 v[4:5], v[4:5], v[6:7], v[4:5]
	s_delay_alu instid0(VALU_DEP_1) | instskip(NEXT) | instid1(VALU_DEP_1)
	v_fma_f64 v[6:7], -v[0:1], v[4:5], 1.0
	v_fma_f64 v[4:5], v[4:5], v[6:7], v[4:5]
	s_delay_alu instid0(VALU_DEP_1) | instskip(NEXT) | instid1(VALU_DEP_1)
	v_mul_f64 v[6:7], v[92:93], v[4:5]
	v_fma_f64 v[0:1], -v[0:1], v[6:7], v[92:93]
	s_delay_alu instid0(VALU_DEP_1) | instskip(NEXT) | instid1(VALU_DEP_1)
	v_div_fmas_f64 v[0:1], v[0:1], v[4:5], v[6:7]
	v_div_fixup_f64 v[0:1], v[0:1], v[90:91], v[88:89]
	s_delay_alu instid0(VALU_DEP_1) | instskip(NEXT) | instid1(VALU_DEP_1)
	v_fma_f64 v[4:5], v[88:89], v[0:1], v[90:91]
	v_div_scale_f64 v[6:7], null, v[4:5], v[4:5], 1.0
	s_delay_alu instid0(VALU_DEP_1) | instskip(SKIP_2) | instid1(VALU_DEP_1)
	v_rcp_f64_e32 v[88:89], v[6:7]
	s_waitcnt_depctr 0xfff
	v_fma_f64 v[90:91], -v[6:7], v[88:89], 1.0
	v_fma_f64 v[88:89], v[88:89], v[90:91], v[88:89]
	s_delay_alu instid0(VALU_DEP_1) | instskip(NEXT) | instid1(VALU_DEP_1)
	v_fma_f64 v[90:91], -v[6:7], v[88:89], 1.0
	v_fma_f64 v[88:89], v[88:89], v[90:91], v[88:89]
	v_div_scale_f64 v[90:91], vcc_lo, 1.0, v[4:5], 1.0
	s_delay_alu instid0(VALU_DEP_1) | instskip(NEXT) | instid1(VALU_DEP_1)
	v_mul_f64 v[92:93], v[90:91], v[88:89]
	v_fma_f64 v[6:7], -v[6:7], v[92:93], v[90:91]
	s_delay_alu instid0(VALU_DEP_1) | instskip(NEXT) | instid1(VALU_DEP_1)
	v_div_fmas_f64 v[6:7], v[6:7], v[88:89], v[92:93]
                                        ; implicit-def: $vgpr88_vgpr89
	v_div_fixup_f64 v[94:95], v[6:7], v[4:5], 1.0
	s_delay_alu instid0(VALU_DEP_1)
	v_mul_f64 v[0:1], v[0:1], v[94:95]
	v_xor_b32_e32 v95, 0x80000000, v95
.LBB121_291:
	s_and_not1_saveexec_b32 s3, s3
	s_cbranch_execz .LBB121_293
; %bb.292:
	v_div_scale_f64 v[0:1], null, v[88:89], v[88:89], v[90:91]
	v_div_scale_f64 v[92:93], vcc_lo, v[90:91], v[88:89], v[90:91]
	s_delay_alu instid0(VALU_DEP_2) | instskip(SKIP_2) | instid1(VALU_DEP_1)
	v_rcp_f64_e32 v[4:5], v[0:1]
	s_waitcnt_depctr 0xfff
	v_fma_f64 v[6:7], -v[0:1], v[4:5], 1.0
	v_fma_f64 v[4:5], v[4:5], v[6:7], v[4:5]
	s_delay_alu instid0(VALU_DEP_1) | instskip(NEXT) | instid1(VALU_DEP_1)
	v_fma_f64 v[6:7], -v[0:1], v[4:5], 1.0
	v_fma_f64 v[4:5], v[4:5], v[6:7], v[4:5]
	s_delay_alu instid0(VALU_DEP_1) | instskip(NEXT) | instid1(VALU_DEP_1)
	v_mul_f64 v[6:7], v[92:93], v[4:5]
	v_fma_f64 v[0:1], -v[0:1], v[6:7], v[92:93]
	s_delay_alu instid0(VALU_DEP_1) | instskip(NEXT) | instid1(VALU_DEP_1)
	v_div_fmas_f64 v[0:1], v[0:1], v[4:5], v[6:7]
	v_div_fixup_f64 v[4:5], v[0:1], v[88:89], v[90:91]
	s_delay_alu instid0(VALU_DEP_1) | instskip(NEXT) | instid1(VALU_DEP_1)
	v_fma_f64 v[0:1], v[90:91], v[4:5], v[88:89]
	v_div_scale_f64 v[6:7], null, v[0:1], v[0:1], 1.0
	s_delay_alu instid0(VALU_DEP_1) | instskip(SKIP_2) | instid1(VALU_DEP_1)
	v_rcp_f64_e32 v[88:89], v[6:7]
	s_waitcnt_depctr 0xfff
	v_fma_f64 v[90:91], -v[6:7], v[88:89], 1.0
	v_fma_f64 v[88:89], v[88:89], v[90:91], v[88:89]
	s_delay_alu instid0(VALU_DEP_1) | instskip(NEXT) | instid1(VALU_DEP_1)
	v_fma_f64 v[90:91], -v[6:7], v[88:89], 1.0
	v_fma_f64 v[88:89], v[88:89], v[90:91], v[88:89]
	v_div_scale_f64 v[90:91], vcc_lo, 1.0, v[0:1], 1.0
	s_delay_alu instid0(VALU_DEP_1) | instskip(NEXT) | instid1(VALU_DEP_1)
	v_mul_f64 v[92:93], v[90:91], v[88:89]
	v_fma_f64 v[6:7], -v[6:7], v[92:93], v[90:91]
	s_delay_alu instid0(VALU_DEP_1) | instskip(NEXT) | instid1(VALU_DEP_1)
	v_div_fmas_f64 v[6:7], v[6:7], v[88:89], v[92:93]
	v_div_fixup_f64 v[0:1], v[6:7], v[0:1], 1.0
	s_delay_alu instid0(VALU_DEP_1)
	v_mul_f64 v[94:95], v[4:5], -v[0:1]
.LBB121_293:
	s_or_b32 exec_lo, exec_lo, s3
	ds_store_2addr_b64 v251, v[0:1], v[94:95] offset1:1
.LBB121_294:
	s_or_b32 exec_lo, exec_lo, s4
	s_waitcnt lgkmcnt(0)
	s_barrier
	buffer_gl0_inv
	ds_load_2addr_b64 v[88:91], v251 offset1:1
	s_mov_b32 s3, exec_lo
	v_cmpx_lt_u32_e32 22, v254
	s_cbranch_execz .LBB121_297
; %bb.295:
	scratch_load_b128 v[97:100], off, off offset:352
	s_mov_b32 s4, 0
	s_waitcnt vmcnt(0) lgkmcnt(0)
	v_mul_f64 v[0:1], v[90:91], v[99:100]
	s_delay_alu instid0(VALU_DEP_1) | instskip(SKIP_1) | instid1(VALU_DEP_1)
	v_fma_f64 v[92:93], v[88:89], v[97:98], -v[0:1]
	v_mul_f64 v[0:1], v[88:89], v[99:100]
	v_fma_f64 v[94:95], v[90:91], v[97:98], v[0:1]
	scratch_store_b128 off, v[92:95], off offset:352
	s_set_inst_prefetch_distance 0x1
	.p2align	6
.LBB121_296:                            ; =>This Inner Loop Header: Depth=1
	v_add_nc_u32_e32 v6, s4, v96
	v_add_nc_u32_e64 v7, s4, 0
	s_add_i32 s4, s4, 32
	s_delay_alu instid0(SALU_CYCLE_1)
	s_cmpk_lg_i32 s4, 0x260
	ds_load_2addr_b64 v[97:100], v6 offset1:1
	v_add_nc_u32_e32 v101, 0x170, v7
	s_waitcnt lgkmcnt(0)
	v_mul_f64 v[0:1], v[99:100], v[94:95]
	v_mul_f64 v[4:5], v[97:98], v[94:95]
	s_delay_alu instid0(VALU_DEP_2) | instskip(NEXT) | instid1(VALU_DEP_2)
	v_fma_f64 v[0:1], v[97:98], v[92:93], -v[0:1]
	v_fma_f64 v[4:5], v[99:100], v[92:93], v[4:5]
	scratch_load_b128 v[97:100], v101, off
	s_waitcnt vmcnt(0)
	v_add_f64 v[97:98], v[97:98], -v[0:1]
	v_add_f64 v[99:100], v[99:100], -v[4:5]
	scratch_store_b128 v101, v[97:100], off
	ds_load_2addr_b64 v[97:100], v6 offset0:2 offset1:3
	v_add_nc_u32_e32 v6, 0x180, v7
	s_waitcnt lgkmcnt(0)
	v_mul_f64 v[0:1], v[99:100], v[94:95]
	v_mul_f64 v[4:5], v[97:98], v[94:95]
	s_delay_alu instid0(VALU_DEP_2) | instskip(NEXT) | instid1(VALU_DEP_2)
	v_fma_f64 v[0:1], v[97:98], v[92:93], -v[0:1]
	v_fma_f64 v[4:5], v[99:100], v[92:93], v[4:5]
	scratch_load_b128 v[97:100], v6, off
	s_waitcnt vmcnt(0)
	v_add_f64 v[97:98], v[97:98], -v[0:1]
	v_add_f64 v[99:100], v[99:100], -v[4:5]
	scratch_store_b128 v6, v[97:100], off
	s_cbranch_scc1 .LBB121_296
.LBB121_297:
	s_set_inst_prefetch_distance 0x2
	s_or_b32 exec_lo, exec_lo, s3
	s_delay_alu instid0(SALU_CYCLE_1)
	s_mov_b32 s4, exec_lo
	s_waitcnt lgkmcnt(0)
	s_waitcnt_vscnt null, 0x0
	s_barrier
	buffer_gl0_inv
	v_cmpx_eq_u32_e32 23, v254
	s_cbranch_execz .LBB121_308
; %bb.298:
	scratch_load_b32 v0, off, off offset:1096 ; 4-byte Folded Reload
	s_movk_i32 s3, 0xfe00
	s_waitcnt vmcnt(0)
	scratch_load_b128 v[92:95], v0, off
	v_mov_b32_e32 v0, 0
	s_waitcnt vmcnt(0)
	ds_store_2addr_b64 v251, v[92:93], v[94:95] offset1:1
	s_branch .LBB121_300
.LBB121_299:                            ;   in Loop: Header=BB121_300 Depth=1
	s_add_i32 s6, s5, 0x3d0
	s_addk_i32 s3, 0x80
	scratch_load_b128 v[92:95], off, s6
	s_add_i32 s6, s5, 0x3e0
	s_addk_i32 s5, 0x3f0
	s_waitcnt vmcnt(0)
	ds_store_2addr_b64 v1, v[92:93], v[94:95] offset0:122 offset1:123
	scratch_load_b128 v[92:95], off, s6
	s_waitcnt vmcnt(0)
	ds_store_2addr_b64 v1, v[92:93], v[94:95] offset0:124 offset1:125
	scratch_load_b128 v[92:95], off, s5
	s_waitcnt vmcnt(0)
	ds_store_2addr_b64 v1, v[92:93], v[94:95] offset0:126 offset1:127
	s_cbranch_execz .LBB121_302
.LBB121_300:                            ; =>This Inner Loop Header: Depth=1
	v_readfirstlane_b32 s5, v0
	v_add_nc_u32_e32 v1, s3, v244
	s_delay_alu instid0(VALU_DEP_2) | instskip(NEXT) | instid1(SALU_CYCLE_1)
	s_add_i32 s5, s5, s3
	s_add_i32 s6, s5, 0x380
	scratch_load_b128 v[92:95], off, s6
	s_add_i32 s6, s5, 0x390
	s_waitcnt vmcnt(0)
	ds_store_2addr_b64 v1, v[92:93], v[94:95] offset0:112 offset1:113
	scratch_load_b128 v[92:95], off, s6
	s_add_i32 s6, s5, 0x3a0
	s_waitcnt vmcnt(0)
	ds_store_2addr_b64 v1, v[92:93], v[94:95] offset0:114 offset1:115
	;; [unrolled: 4-line block ×3, first 2 shown]
	scratch_load_b128 v[92:95], off, s6
	s_add_i32 s6, s5, 0x3c0
	s_cmp_eq_u32 s3, 0
	s_waitcnt vmcnt(0)
	ds_store_2addr_b64 v1, v[92:93], v[94:95] offset0:118 offset1:119
	scratch_load_b128 v[92:95], off, s6
	s_waitcnt vmcnt(0)
	ds_store_2addr_b64 v1, v[92:93], v[94:95] offset0:120 offset1:121
	s_cbranch_scc0 .LBB121_299
; %bb.301:
                                        ; implicit-def: $sgpr3
.LBB121_302:
	ds_load_2addr_b64 v[92:95], v251 offset1:1
	s_waitcnt lgkmcnt(0)
	v_cmp_neq_f64_e32 vcc_lo, 0, v[92:93]
	v_cmp_neq_f64_e64 s3, 0, v[94:95]
	s_delay_alu instid0(VALU_DEP_1) | instskip(NEXT) | instid1(SALU_CYCLE_1)
	s_or_b32 s3, vcc_lo, s3
	s_and_b32 exec_lo, exec_lo, s3
	s_cbranch_execz .LBB121_308
; %bb.303:
	v_cmp_gt_f64_e32 vcc_lo, 0, v[92:93]
	v_xor_b32_e32 v0, 0x80000000, v93
	v_xor_b32_e32 v4, 0x80000000, v95
	s_delay_alu instid0(VALU_DEP_2) | instskip(SKIP_2) | instid1(VALU_DEP_4)
	v_cndmask_b32_e32 v1, v93, v0, vcc_lo
	v_cndmask_b32_e32 v0, v92, v92, vcc_lo
	v_cmp_gt_f64_e32 vcc_lo, 0, v[94:95]
	v_dual_cndmask_b32 v5, v95, v4 :: v_dual_cndmask_b32 v4, v94, v94
	s_delay_alu instid0(VALU_DEP_1) | instskip(SKIP_1) | instid1(SALU_CYCLE_1)
	v_cmp_ngt_f64_e32 vcc_lo, v[0:1], v[4:5]
                                        ; implicit-def: $vgpr0_vgpr1
	s_and_saveexec_b32 s3, vcc_lo
	s_xor_b32 s3, exec_lo, s3
                                        ; implicit-def: $vgpr96_vgpr97_vgpr98_vgpr99
	s_cbranch_execz .LBB121_305
; %bb.304:
	v_div_scale_f64 v[0:1], null, v[94:95], v[94:95], v[92:93]
	v_div_scale_f64 v[96:97], vcc_lo, v[92:93], v[94:95], v[92:93]
	s_delay_alu instid0(VALU_DEP_2) | instskip(SKIP_2) | instid1(VALU_DEP_1)
	v_rcp_f64_e32 v[4:5], v[0:1]
	s_waitcnt_depctr 0xfff
	v_fma_f64 v[6:7], -v[0:1], v[4:5], 1.0
	v_fma_f64 v[4:5], v[4:5], v[6:7], v[4:5]
	s_delay_alu instid0(VALU_DEP_1) | instskip(NEXT) | instid1(VALU_DEP_1)
	v_fma_f64 v[6:7], -v[0:1], v[4:5], 1.0
	v_fma_f64 v[4:5], v[4:5], v[6:7], v[4:5]
	s_delay_alu instid0(VALU_DEP_1) | instskip(NEXT) | instid1(VALU_DEP_1)
	v_mul_f64 v[6:7], v[96:97], v[4:5]
	v_fma_f64 v[0:1], -v[0:1], v[6:7], v[96:97]
	s_delay_alu instid0(VALU_DEP_1) | instskip(NEXT) | instid1(VALU_DEP_1)
	v_div_fmas_f64 v[0:1], v[0:1], v[4:5], v[6:7]
	v_div_fixup_f64 v[0:1], v[0:1], v[94:95], v[92:93]
	s_delay_alu instid0(VALU_DEP_1) | instskip(NEXT) | instid1(VALU_DEP_1)
	v_fma_f64 v[4:5], v[92:93], v[0:1], v[94:95]
	v_div_scale_f64 v[6:7], null, v[4:5], v[4:5], 1.0
	s_delay_alu instid0(VALU_DEP_1) | instskip(SKIP_2) | instid1(VALU_DEP_1)
	v_rcp_f64_e32 v[92:93], v[6:7]
	s_waitcnt_depctr 0xfff
	v_fma_f64 v[94:95], -v[6:7], v[92:93], 1.0
	v_fma_f64 v[92:93], v[92:93], v[94:95], v[92:93]
	s_delay_alu instid0(VALU_DEP_1) | instskip(NEXT) | instid1(VALU_DEP_1)
	v_fma_f64 v[94:95], -v[6:7], v[92:93], 1.0
	v_fma_f64 v[92:93], v[92:93], v[94:95], v[92:93]
	v_div_scale_f64 v[94:95], vcc_lo, 1.0, v[4:5], 1.0
	s_delay_alu instid0(VALU_DEP_1) | instskip(NEXT) | instid1(VALU_DEP_1)
	v_mul_f64 v[96:97], v[94:95], v[92:93]
	v_fma_f64 v[6:7], -v[6:7], v[96:97], v[94:95]
	s_delay_alu instid0(VALU_DEP_1) | instskip(NEXT) | instid1(VALU_DEP_1)
	v_div_fmas_f64 v[6:7], v[6:7], v[92:93], v[96:97]
                                        ; implicit-def: $vgpr92_vgpr93
	v_div_fixup_f64 v[98:99], v[6:7], v[4:5], 1.0
	s_delay_alu instid0(VALU_DEP_1)
	v_mul_f64 v[0:1], v[0:1], v[98:99]
	v_xor_b32_e32 v99, 0x80000000, v99
.LBB121_305:
	s_and_not1_saveexec_b32 s3, s3
	s_cbranch_execz .LBB121_307
; %bb.306:
	v_div_scale_f64 v[0:1], null, v[92:93], v[92:93], v[94:95]
	v_div_scale_f64 v[96:97], vcc_lo, v[94:95], v[92:93], v[94:95]
	s_delay_alu instid0(VALU_DEP_2) | instskip(SKIP_2) | instid1(VALU_DEP_1)
	v_rcp_f64_e32 v[4:5], v[0:1]
	s_waitcnt_depctr 0xfff
	v_fma_f64 v[6:7], -v[0:1], v[4:5], 1.0
	v_fma_f64 v[4:5], v[4:5], v[6:7], v[4:5]
	s_delay_alu instid0(VALU_DEP_1) | instskip(NEXT) | instid1(VALU_DEP_1)
	v_fma_f64 v[6:7], -v[0:1], v[4:5], 1.0
	v_fma_f64 v[4:5], v[4:5], v[6:7], v[4:5]
	s_delay_alu instid0(VALU_DEP_1) | instskip(NEXT) | instid1(VALU_DEP_1)
	v_mul_f64 v[6:7], v[96:97], v[4:5]
	v_fma_f64 v[0:1], -v[0:1], v[6:7], v[96:97]
	s_delay_alu instid0(VALU_DEP_1) | instskip(NEXT) | instid1(VALU_DEP_1)
	v_div_fmas_f64 v[0:1], v[0:1], v[4:5], v[6:7]
	v_div_fixup_f64 v[4:5], v[0:1], v[92:93], v[94:95]
	s_delay_alu instid0(VALU_DEP_1) | instskip(NEXT) | instid1(VALU_DEP_1)
	v_fma_f64 v[0:1], v[94:95], v[4:5], v[92:93]
	v_div_scale_f64 v[6:7], null, v[0:1], v[0:1], 1.0
	s_delay_alu instid0(VALU_DEP_1) | instskip(SKIP_2) | instid1(VALU_DEP_1)
	v_rcp_f64_e32 v[92:93], v[6:7]
	s_waitcnt_depctr 0xfff
	v_fma_f64 v[94:95], -v[6:7], v[92:93], 1.0
	v_fma_f64 v[92:93], v[92:93], v[94:95], v[92:93]
	s_delay_alu instid0(VALU_DEP_1) | instskip(NEXT) | instid1(VALU_DEP_1)
	v_fma_f64 v[94:95], -v[6:7], v[92:93], 1.0
	v_fma_f64 v[92:93], v[92:93], v[94:95], v[92:93]
	v_div_scale_f64 v[94:95], vcc_lo, 1.0, v[0:1], 1.0
	s_delay_alu instid0(VALU_DEP_1) | instskip(NEXT) | instid1(VALU_DEP_1)
	v_mul_f64 v[96:97], v[94:95], v[92:93]
	v_fma_f64 v[6:7], -v[6:7], v[96:97], v[94:95]
	s_delay_alu instid0(VALU_DEP_1) | instskip(NEXT) | instid1(VALU_DEP_1)
	v_div_fmas_f64 v[6:7], v[6:7], v[92:93], v[96:97]
	v_div_fixup_f64 v[0:1], v[6:7], v[0:1], 1.0
	s_delay_alu instid0(VALU_DEP_1)
	v_mul_f64 v[98:99], v[4:5], -v[0:1]
.LBB121_307:
	s_or_b32 exec_lo, exec_lo, s3
	ds_store_2addr_b64 v251, v[0:1], v[98:99] offset1:1
.LBB121_308:
	s_or_b32 exec_lo, exec_lo, s4
	s_waitcnt lgkmcnt(0)
	s_barrier
	buffer_gl0_inv
	ds_load_2addr_b64 v[92:95], v251 offset1:1
	s_mov_b32 s3, exec_lo
	v_cmpx_lt_u32_e32 23, v254
	s_cbranch_execz .LBB121_313
; %bb.309:
	scratch_load_b128 v[98:101], off, off offset:368
	s_mov_b32 s4, 0
	s_waitcnt vmcnt(0) lgkmcnt(0)
	v_mul_f64 v[0:1], v[94:95], v[100:101]
	s_delay_alu instid0(VALU_DEP_1) | instskip(SKIP_1) | instid1(VALU_DEP_1)
	v_fma_f64 v[96:97], v[92:93], v[98:99], -v[0:1]
	v_mul_f64 v[0:1], v[92:93], v[100:101]
	v_fma_f64 v[98:99], v[94:95], v[98:99], v[0:1]
	v_add3_u32 v0, v176, 0, 0x180
	v_mov_b32_e32 v1, 0
	scratch_store_b128 off, v[96:99], off offset:368
	s_branch .LBB121_311
.LBB121_310:                            ;   in Loop: Header=BB121_311 Depth=1
	s_and_not1_b32 vcc_lo, exec_lo, s6
	s_cbranch_vccz .LBB121_313
.LBB121_311:                            ; =>This Inner Loop Header: Depth=1
	v_add_nc_u32_e32 v100, s4, v0
	v_readfirstlane_b32 s5, v1
	ds_load_2addr_b64 v[101:104], v100 offset1:1
	s_add_i32 s5, s5, s4
	s_delay_alu instid0(SALU_CYCLE_1) | instskip(SKIP_4) | instid1(VALU_DEP_2)
	s_add_i32 s6, s5, 0x180
	s_cmpk_eq_i32 s4, 0x240
	s_waitcnt lgkmcnt(0)
	v_mul_f64 v[4:5], v[103:104], v[98:99]
	v_mul_f64 v[6:7], v[101:102], v[98:99]
	v_fma_f64 v[4:5], v[101:102], v[96:97], -v[4:5]
	s_delay_alu instid0(VALU_DEP_2)
	v_fma_f64 v[6:7], v[103:104], v[96:97], v[6:7]
	scratch_load_b128 v[101:104], off, s6
	s_waitcnt vmcnt(0)
	v_add_f64 v[101:102], v[101:102], -v[4:5]
	v_add_f64 v[103:104], v[103:104], -v[6:7]
	scratch_store_b128 off, v[101:104], s6
	s_mov_b32 s6, -1
	s_cbranch_scc1 .LBB121_310
; %bb.312:                              ;   in Loop: Header=BB121_311 Depth=1
	ds_load_2addr_b64 v[101:104], v100 offset0:2 offset1:3
	s_add_i32 s6, s5, 0x190
	s_add_i32 s4, s4, 64
	s_waitcnt lgkmcnt(0)
	v_mul_f64 v[4:5], v[103:104], v[98:99]
	v_mul_f64 v[6:7], v[101:102], v[98:99]
	s_delay_alu instid0(VALU_DEP_2) | instskip(NEXT) | instid1(VALU_DEP_2)
	v_fma_f64 v[4:5], v[101:102], v[96:97], -v[4:5]
	v_fma_f64 v[6:7], v[103:104], v[96:97], v[6:7]
	scratch_load_b128 v[101:104], off, s6
	s_waitcnt vmcnt(0)
	v_add_f64 v[101:102], v[101:102], -v[4:5]
	v_add_f64 v[103:104], v[103:104], -v[6:7]
	scratch_store_b128 off, v[101:104], s6
	ds_load_2addr_b64 v[101:104], v100 offset0:4 offset1:5
	s_add_i32 s6, s5, 0x1a0
	s_addk_i32 s5, 0x1b0
	s_waitcnt lgkmcnt(0)
	v_mul_f64 v[4:5], v[103:104], v[98:99]
	v_mul_f64 v[6:7], v[101:102], v[98:99]
	s_delay_alu instid0(VALU_DEP_2) | instskip(NEXT) | instid1(VALU_DEP_2)
	v_fma_f64 v[4:5], v[101:102], v[96:97], -v[4:5]
	v_fma_f64 v[6:7], v[103:104], v[96:97], v[6:7]
	scratch_load_b128 v[101:104], off, s6
	s_waitcnt vmcnt(0)
	v_add_f64 v[101:102], v[101:102], -v[4:5]
	v_add_f64 v[103:104], v[103:104], -v[6:7]
	scratch_store_b128 off, v[101:104], s6
	ds_load_2addr_b64 v[100:103], v100 offset0:6 offset1:7
	s_mov_b32 s6, 0
	s_waitcnt lgkmcnt(0)
	v_mul_f64 v[4:5], v[102:103], v[98:99]
	v_mul_f64 v[6:7], v[100:101], v[98:99]
	s_delay_alu instid0(VALU_DEP_2) | instskip(NEXT) | instid1(VALU_DEP_2)
	v_fma_f64 v[4:5], v[100:101], v[96:97], -v[4:5]
	v_fma_f64 v[6:7], v[102:103], v[96:97], v[6:7]
	scratch_load_b128 v[100:103], off, s5
	s_waitcnt vmcnt(0)
	v_add_f64 v[100:101], v[100:101], -v[4:5]
	v_add_f64 v[102:103], v[102:103], -v[6:7]
	scratch_store_b128 off, v[100:103], s5
	s_branch .LBB121_310
.LBB121_313:
	s_or_b32 exec_lo, exec_lo, s3
	s_delay_alu instid0(SALU_CYCLE_1)
	s_mov_b32 s4, exec_lo
	s_waitcnt lgkmcnt(0)
	s_waitcnt_vscnt null, 0x0
	s_barrier
	buffer_gl0_inv
	v_cmpx_eq_u32_e32 24, v254
	s_cbranch_execz .LBB121_320
; %bb.314:
	scratch_load_b32 v0, off, off offset:1092 ; 4-byte Folded Reload
	s_waitcnt vmcnt(0)
	scratch_load_b128 v[96:99], v0, off
	scratch_load_b32 v0, off, off offset:1080 ; 4-byte Folded Reload
	s_waitcnt vmcnt(1)
	ds_store_2addr_b64 v251, v[96:97], v[98:99] offset1:1
	s_waitcnt vmcnt(0)
	scratch_load_b128 v[96:99], v0, off
	scratch_load_b32 v0, off, off offset:1076 ; 4-byte Folded Reload
	s_waitcnt vmcnt(1)
	ds_store_2addr_b64 v244, v[96:97], v[98:99] offset0:50 offset1:51
	s_waitcnt vmcnt(0)
	scratch_load_b128 v[96:99], v0, off
	scratch_load_b32 v0, off, off offset:1072 ; 4-byte Folded Reload
	s_waitcnt vmcnt(1)
	ds_store_2addr_b64 v244, v[96:97], v[98:99] offset0:52 offset1:53
	;; [unrolled: 5-line block ×26, first 2 shown]
	s_waitcnt vmcnt(0)
	scratch_load_b128 v[96:99], v0, off
	s_waitcnt vmcnt(0)
	ds_store_2addr_b64 v244, v[96:97], v[98:99] offset0:102 offset1:103
	scratch_load_b128 v[96:99], v245, off
	s_waitcnt vmcnt(0)
	ds_store_2addr_b64 v244, v[96:97], v[98:99] offset0:104 offset1:105
	;; [unrolled: 3-line block ×10, first 2 shown]
	ds_load_2addr_b64 v[96:99], v251 offset1:1
	s_waitcnt lgkmcnt(0)
	v_cmp_neq_f64_e32 vcc_lo, 0, v[96:97]
	v_cmp_neq_f64_e64 s3, 0, v[98:99]
	s_delay_alu instid0(VALU_DEP_1) | instskip(NEXT) | instid1(SALU_CYCLE_1)
	s_or_b32 s3, vcc_lo, s3
	s_and_b32 exec_lo, exec_lo, s3
	s_cbranch_execz .LBB121_320
; %bb.315:
	v_cmp_gt_f64_e32 vcc_lo, 0, v[96:97]
	v_xor_b32_e32 v0, 0x80000000, v97
	v_xor_b32_e32 v4, 0x80000000, v99
	s_delay_alu instid0(VALU_DEP_2) | instskip(SKIP_2) | instid1(VALU_DEP_4)
	v_cndmask_b32_e32 v1, v97, v0, vcc_lo
	v_cndmask_b32_e32 v0, v96, v96, vcc_lo
	v_cmp_gt_f64_e32 vcc_lo, 0, v[98:99]
	v_dual_cndmask_b32 v5, v99, v4 :: v_dual_cndmask_b32 v4, v98, v98
	s_delay_alu instid0(VALU_DEP_1) | instskip(SKIP_1) | instid1(SALU_CYCLE_1)
	v_cmp_ngt_f64_e32 vcc_lo, v[0:1], v[4:5]
                                        ; implicit-def: $vgpr0_vgpr1
	s_and_saveexec_b32 s3, vcc_lo
	s_xor_b32 s3, exec_lo, s3
                                        ; implicit-def: $vgpr100_vgpr101_vgpr102_vgpr103
	s_cbranch_execz .LBB121_317
; %bb.316:
	v_div_scale_f64 v[0:1], null, v[98:99], v[98:99], v[96:97]
	v_div_scale_f64 v[100:101], vcc_lo, v[96:97], v[98:99], v[96:97]
	s_delay_alu instid0(VALU_DEP_2) | instskip(SKIP_2) | instid1(VALU_DEP_1)
	v_rcp_f64_e32 v[4:5], v[0:1]
	s_waitcnt_depctr 0xfff
	v_fma_f64 v[6:7], -v[0:1], v[4:5], 1.0
	v_fma_f64 v[4:5], v[4:5], v[6:7], v[4:5]
	s_delay_alu instid0(VALU_DEP_1) | instskip(NEXT) | instid1(VALU_DEP_1)
	v_fma_f64 v[6:7], -v[0:1], v[4:5], 1.0
	v_fma_f64 v[4:5], v[4:5], v[6:7], v[4:5]
	s_delay_alu instid0(VALU_DEP_1) | instskip(NEXT) | instid1(VALU_DEP_1)
	v_mul_f64 v[6:7], v[100:101], v[4:5]
	v_fma_f64 v[0:1], -v[0:1], v[6:7], v[100:101]
	s_delay_alu instid0(VALU_DEP_1) | instskip(NEXT) | instid1(VALU_DEP_1)
	v_div_fmas_f64 v[0:1], v[0:1], v[4:5], v[6:7]
	v_div_fixup_f64 v[0:1], v[0:1], v[98:99], v[96:97]
	s_delay_alu instid0(VALU_DEP_1) | instskip(NEXT) | instid1(VALU_DEP_1)
	v_fma_f64 v[4:5], v[96:97], v[0:1], v[98:99]
	v_div_scale_f64 v[6:7], null, v[4:5], v[4:5], 1.0
	s_delay_alu instid0(VALU_DEP_1) | instskip(SKIP_2) | instid1(VALU_DEP_1)
	v_rcp_f64_e32 v[96:97], v[6:7]
	s_waitcnt_depctr 0xfff
	v_fma_f64 v[98:99], -v[6:7], v[96:97], 1.0
	v_fma_f64 v[96:97], v[96:97], v[98:99], v[96:97]
	s_delay_alu instid0(VALU_DEP_1) | instskip(NEXT) | instid1(VALU_DEP_1)
	v_fma_f64 v[98:99], -v[6:7], v[96:97], 1.0
	v_fma_f64 v[96:97], v[96:97], v[98:99], v[96:97]
	v_div_scale_f64 v[98:99], vcc_lo, 1.0, v[4:5], 1.0
	s_delay_alu instid0(VALU_DEP_1) | instskip(NEXT) | instid1(VALU_DEP_1)
	v_mul_f64 v[100:101], v[98:99], v[96:97]
	v_fma_f64 v[6:7], -v[6:7], v[100:101], v[98:99]
	s_delay_alu instid0(VALU_DEP_1) | instskip(NEXT) | instid1(VALU_DEP_1)
	v_div_fmas_f64 v[6:7], v[6:7], v[96:97], v[100:101]
                                        ; implicit-def: $vgpr96_vgpr97
	v_div_fixup_f64 v[102:103], v[6:7], v[4:5], 1.0
	s_delay_alu instid0(VALU_DEP_1)
	v_mul_f64 v[0:1], v[0:1], v[102:103]
	v_xor_b32_e32 v103, 0x80000000, v103
.LBB121_317:
	s_and_not1_saveexec_b32 s3, s3
	s_cbranch_execz .LBB121_319
; %bb.318:
	v_div_scale_f64 v[0:1], null, v[96:97], v[96:97], v[98:99]
	v_div_scale_f64 v[100:101], vcc_lo, v[98:99], v[96:97], v[98:99]
	s_delay_alu instid0(VALU_DEP_2) | instskip(SKIP_2) | instid1(VALU_DEP_1)
	v_rcp_f64_e32 v[4:5], v[0:1]
	s_waitcnt_depctr 0xfff
	v_fma_f64 v[6:7], -v[0:1], v[4:5], 1.0
	v_fma_f64 v[4:5], v[4:5], v[6:7], v[4:5]
	s_delay_alu instid0(VALU_DEP_1) | instskip(NEXT) | instid1(VALU_DEP_1)
	v_fma_f64 v[6:7], -v[0:1], v[4:5], 1.0
	v_fma_f64 v[4:5], v[4:5], v[6:7], v[4:5]
	s_delay_alu instid0(VALU_DEP_1) | instskip(NEXT) | instid1(VALU_DEP_1)
	v_mul_f64 v[6:7], v[100:101], v[4:5]
	v_fma_f64 v[0:1], -v[0:1], v[6:7], v[100:101]
	s_delay_alu instid0(VALU_DEP_1) | instskip(NEXT) | instid1(VALU_DEP_1)
	v_div_fmas_f64 v[0:1], v[0:1], v[4:5], v[6:7]
	v_div_fixup_f64 v[4:5], v[0:1], v[96:97], v[98:99]
	s_delay_alu instid0(VALU_DEP_1) | instskip(NEXT) | instid1(VALU_DEP_1)
	v_fma_f64 v[0:1], v[98:99], v[4:5], v[96:97]
	v_div_scale_f64 v[6:7], null, v[0:1], v[0:1], 1.0
	s_delay_alu instid0(VALU_DEP_1) | instskip(SKIP_2) | instid1(VALU_DEP_1)
	v_rcp_f64_e32 v[96:97], v[6:7]
	s_waitcnt_depctr 0xfff
	v_fma_f64 v[98:99], -v[6:7], v[96:97], 1.0
	v_fma_f64 v[96:97], v[96:97], v[98:99], v[96:97]
	s_delay_alu instid0(VALU_DEP_1) | instskip(NEXT) | instid1(VALU_DEP_1)
	v_fma_f64 v[98:99], -v[6:7], v[96:97], 1.0
	v_fma_f64 v[96:97], v[96:97], v[98:99], v[96:97]
	v_div_scale_f64 v[98:99], vcc_lo, 1.0, v[0:1], 1.0
	s_delay_alu instid0(VALU_DEP_1) | instskip(NEXT) | instid1(VALU_DEP_1)
	v_mul_f64 v[100:101], v[98:99], v[96:97]
	v_fma_f64 v[6:7], -v[6:7], v[100:101], v[98:99]
	s_delay_alu instid0(VALU_DEP_1) | instskip(NEXT) | instid1(VALU_DEP_1)
	v_div_fmas_f64 v[6:7], v[6:7], v[96:97], v[100:101]
	v_div_fixup_f64 v[0:1], v[6:7], v[0:1], 1.0
	s_delay_alu instid0(VALU_DEP_1)
	v_mul_f64 v[102:103], v[4:5], -v[0:1]
.LBB121_319:
	s_or_b32 exec_lo, exec_lo, s3
	ds_store_2addr_b64 v251, v[0:1], v[102:103] offset1:1
.LBB121_320:
	s_or_b32 exec_lo, exec_lo, s4
	s_waitcnt lgkmcnt(0)
	s_barrier
	buffer_gl0_inv
	ds_load_2addr_b64 v[96:99], v251 offset1:1
	s_mov_b32 s3, exec_lo
	v_cmpx_lt_u32_e32 24, v254
	s_cbranch_execz .LBB121_323
; %bb.321:
	scratch_load_b128 v[102:105], off, off offset:384
	s_mov_b32 s4, 0
	s_waitcnt vmcnt(0) lgkmcnt(0)
	v_mul_f64 v[0:1], v[98:99], v[104:105]
	s_delay_alu instid0(VALU_DEP_1) | instskip(SKIP_1) | instid1(VALU_DEP_1)
	v_fma_f64 v[100:101], v[96:97], v[102:103], -v[0:1]
	v_mul_f64 v[0:1], v[96:97], v[104:105]
	v_fma_f64 v[102:103], v[98:99], v[102:103], v[0:1]
	v_add3_u32 v0, v176, 0, 0x190
	v_mov_b32_e32 v1, 0
	scratch_store_b128 off, v[100:103], off offset:384
.LBB121_322:                            ; =>This Inner Loop Header: Depth=1
	v_add_nc_u32_e32 v108, s4, v0
	v_readfirstlane_b32 s5, v1
	ds_load_2addr_b64 v[104:107], v108 offset1:1
	s_add_i32 s5, s5, s4
	s_addk_i32 s4, 0x60
	s_add_i32 s6, s5, 0x190
	s_waitcnt lgkmcnt(0)
	v_mul_f64 v[4:5], v[106:107], v[102:103]
	v_mul_f64 v[6:7], v[104:105], v[102:103]
	s_delay_alu instid0(VALU_DEP_2) | instskip(NEXT) | instid1(VALU_DEP_2)
	v_fma_f64 v[4:5], v[104:105], v[100:101], -v[4:5]
	v_fma_f64 v[6:7], v[106:107], v[100:101], v[6:7]
	scratch_load_b128 v[104:107], off, s6
	s_waitcnt vmcnt(0)
	v_add_f64 v[104:105], v[104:105], -v[4:5]
	v_add_f64 v[106:107], v[106:107], -v[6:7]
	scratch_store_b128 off, v[104:107], s6
	ds_load_2addr_b64 v[104:107], v108 offset0:2 offset1:3
	s_add_i32 s6, s5, 0x1a0
	s_waitcnt lgkmcnt(0)
	v_mul_f64 v[4:5], v[106:107], v[102:103]
	v_mul_f64 v[6:7], v[104:105], v[102:103]
	s_delay_alu instid0(VALU_DEP_2) | instskip(NEXT) | instid1(VALU_DEP_2)
	v_fma_f64 v[4:5], v[104:105], v[100:101], -v[4:5]
	v_fma_f64 v[6:7], v[106:107], v[100:101], v[6:7]
	scratch_load_b128 v[104:107], off, s6
	s_waitcnt vmcnt(0)
	v_add_f64 v[104:105], v[104:105], -v[4:5]
	v_add_f64 v[106:107], v[106:107], -v[6:7]
	scratch_store_b128 off, v[104:107], s6
	ds_load_2addr_b64 v[104:107], v108 offset0:4 offset1:5
	;; [unrolled: 13-line block ×4, first 2 shown]
	s_add_i32 s6, s5, 0x1d0
	s_addk_i32 s5, 0x1e0
	s_cmpk_lg_i32 s4, 0x240
	s_waitcnt lgkmcnt(0)
	v_mul_f64 v[4:5], v[106:107], v[102:103]
	v_mul_f64 v[6:7], v[104:105], v[102:103]
	s_delay_alu instid0(VALU_DEP_2) | instskip(NEXT) | instid1(VALU_DEP_2)
	v_fma_f64 v[4:5], v[104:105], v[100:101], -v[4:5]
	v_fma_f64 v[6:7], v[106:107], v[100:101], v[6:7]
	scratch_load_b128 v[104:107], off, s6
	s_waitcnt vmcnt(0)
	v_add_f64 v[104:105], v[104:105], -v[4:5]
	v_add_f64 v[106:107], v[106:107], -v[6:7]
	scratch_store_b128 off, v[104:107], s6
	ds_load_2addr_b64 v[104:107], v108 offset0:10 offset1:11
	s_waitcnt lgkmcnt(0)
	v_mul_f64 v[4:5], v[106:107], v[102:103]
	v_mul_f64 v[6:7], v[104:105], v[102:103]
	s_delay_alu instid0(VALU_DEP_2) | instskip(NEXT) | instid1(VALU_DEP_2)
	v_fma_f64 v[4:5], v[104:105], v[100:101], -v[4:5]
	v_fma_f64 v[6:7], v[106:107], v[100:101], v[6:7]
	scratch_load_b128 v[104:107], off, s5
	s_waitcnt vmcnt(0)
	v_add_f64 v[104:105], v[104:105], -v[4:5]
	v_add_f64 v[106:107], v[106:107], -v[6:7]
	scratch_store_b128 off, v[104:107], s5
	s_cbranch_scc1 .LBB121_322
.LBB121_323:
	s_or_b32 exec_lo, exec_lo, s3
	s_delay_alu instid0(SALU_CYCLE_1)
	s_mov_b32 s4, exec_lo
	s_waitcnt lgkmcnt(0)
	s_waitcnt_vscnt null, 0x0
	s_barrier
	buffer_gl0_inv
	v_cmpx_eq_u32_e32 25, v254
	s_cbranch_execz .LBB121_330
; %bb.324:
	scratch_load_b32 v0, off, off offset:1080 ; 4-byte Folded Reload
	s_waitcnt vmcnt(0)
	scratch_load_b128 v[100:103], v0, off
	scratch_load_b32 v0, off, off offset:1076 ; 4-byte Folded Reload
	s_waitcnt vmcnt(1)
	ds_store_2addr_b64 v251, v[100:101], v[102:103] offset1:1
	s_waitcnt vmcnt(0)
	scratch_load_b128 v[100:103], v0, off
	scratch_load_b32 v0, off, off offset:1072 ; 4-byte Folded Reload
	s_waitcnt vmcnt(1)
	ds_store_2addr_b64 v244, v[100:101], v[102:103] offset0:52 offset1:53
	s_waitcnt vmcnt(0)
	scratch_load_b128 v[100:103], v0, off
	scratch_load_b32 v0, off, off offset:1068 ; 4-byte Folded Reload
	s_waitcnt vmcnt(1)
	ds_store_2addr_b64 v244, v[100:101], v[102:103] offset0:54 offset1:55
	s_waitcnt vmcnt(0)
	scratch_load_b128 v[100:103], v0, off
	scratch_load_b32 v0, off, off offset:1064 ; 4-byte Folded Reload
	s_waitcnt vmcnt(1)
	ds_store_2addr_b64 v244, v[100:101], v[102:103] offset0:56 offset1:57
	s_waitcnt vmcnt(0)
	scratch_load_b128 v[100:103], v0, off
	scratch_load_b32 v0, off, off offset:1060 ; 4-byte Folded Reload
	s_waitcnt vmcnt(1)
	ds_store_2addr_b64 v244, v[100:101], v[102:103] offset0:58 offset1:59
	s_waitcnt vmcnt(0)
	scratch_load_b128 v[100:103], v0, off
	scratch_load_b32 v0, off, off offset:1056 ; 4-byte Folded Reload
	s_waitcnt vmcnt(1)
	ds_store_2addr_b64 v244, v[100:101], v[102:103] offset0:60 offset1:61
	s_waitcnt vmcnt(0)
	scratch_load_b128 v[100:103], v0, off
	scratch_load_b32 v0, off, off offset:1052 ; 4-byte Folded Reload
	s_waitcnt vmcnt(1)
	ds_store_2addr_b64 v244, v[100:101], v[102:103] offset0:62 offset1:63
	s_waitcnt vmcnt(0)
	scratch_load_b128 v[100:103], v0, off
	scratch_load_b32 v0, off, off offset:1048 ; 4-byte Folded Reload
	s_waitcnt vmcnt(1)
	ds_store_2addr_b64 v244, v[100:101], v[102:103] offset0:64 offset1:65
	s_waitcnt vmcnt(0)
	scratch_load_b128 v[100:103], v0, off
	scratch_load_b32 v0, off, off offset:1044 ; 4-byte Folded Reload
	s_waitcnt vmcnt(1)
	ds_store_2addr_b64 v244, v[100:101], v[102:103] offset0:66 offset1:67
	s_waitcnt vmcnt(0)
	scratch_load_b128 v[100:103], v0, off
	scratch_load_b32 v0, off, off offset:1040 ; 4-byte Folded Reload
	s_waitcnt vmcnt(1)
	ds_store_2addr_b64 v244, v[100:101], v[102:103] offset0:68 offset1:69
	s_waitcnt vmcnt(0)
	scratch_load_b128 v[100:103], v0, off
	scratch_load_b32 v0, off, off offset:1036 ; 4-byte Folded Reload
	s_waitcnt vmcnt(1)
	ds_store_2addr_b64 v244, v[100:101], v[102:103] offset0:70 offset1:71
	s_waitcnt vmcnt(0)
	scratch_load_b128 v[100:103], v0, off
	scratch_load_b32 v0, off, off offset:1032 ; 4-byte Folded Reload
	s_waitcnt vmcnt(1)
	ds_store_2addr_b64 v244, v[100:101], v[102:103] offset0:72 offset1:73
	s_waitcnt vmcnt(0)
	scratch_load_b128 v[100:103], v0, off
	scratch_load_b32 v0, off, off offset:1028 ; 4-byte Folded Reload
	s_waitcnt vmcnt(1)
	ds_store_2addr_b64 v244, v[100:101], v[102:103] offset0:74 offset1:75
	s_waitcnt vmcnt(0)
	scratch_load_b128 v[100:103], v0, off
	scratch_load_b32 v0, off, off offset:1024 ; 4-byte Folded Reload
	s_waitcnt vmcnt(1)
	ds_store_2addr_b64 v244, v[100:101], v[102:103] offset0:76 offset1:77
	s_waitcnt vmcnt(0)
	scratch_load_b128 v[100:103], v0, off
	scratch_load_b32 v0, off, off offset:1020 ; 4-byte Folded Reload
	s_waitcnt vmcnt(1)
	ds_store_2addr_b64 v244, v[100:101], v[102:103] offset0:78 offset1:79
	s_waitcnt vmcnt(0)
	scratch_load_b128 v[100:103], v0, off
	scratch_load_b32 v0, off, off offset:1016 ; 4-byte Folded Reload
	s_waitcnt vmcnt(1)
	ds_store_2addr_b64 v244, v[100:101], v[102:103] offset0:80 offset1:81
	s_waitcnt vmcnt(0)
	scratch_load_b128 v[100:103], v0, off
	scratch_load_b32 v0, off, off offset:1012 ; 4-byte Folded Reload
	s_waitcnt vmcnt(1)
	ds_store_2addr_b64 v244, v[100:101], v[102:103] offset0:82 offset1:83
	s_waitcnt vmcnt(0)
	scratch_load_b128 v[100:103], v0, off
	scratch_load_b32 v0, off, off offset:1008 ; 4-byte Folded Reload
	s_waitcnt vmcnt(1)
	ds_store_2addr_b64 v244, v[100:101], v[102:103] offset0:84 offset1:85
	s_waitcnt vmcnt(0)
	scratch_load_b128 v[100:103], v0, off
	scratch_load_b32 v0, off, off offset:1004 ; 4-byte Folded Reload
	s_waitcnt vmcnt(1)
	ds_store_2addr_b64 v244, v[100:101], v[102:103] offset0:86 offset1:87
	s_waitcnt vmcnt(0)
	scratch_load_b128 v[100:103], v0, off
	scratch_load_b32 v0, off, off offset:1000 ; 4-byte Folded Reload
	s_waitcnt vmcnt(1)
	ds_store_2addr_b64 v244, v[100:101], v[102:103] offset0:88 offset1:89
	s_waitcnt vmcnt(0)
	scratch_load_b128 v[100:103], v0, off
	scratch_load_b32 v0, off, off offset:996 ; 4-byte Folded Reload
	s_waitcnt vmcnt(1)
	ds_store_2addr_b64 v244, v[100:101], v[102:103] offset0:90 offset1:91
	s_waitcnt vmcnt(0)
	scratch_load_b128 v[100:103], v0, off
	scratch_load_b32 v0, off, off offset:992 ; 4-byte Folded Reload
	s_waitcnt vmcnt(1)
	ds_store_2addr_b64 v244, v[100:101], v[102:103] offset0:92 offset1:93
	s_waitcnt vmcnt(0)
	scratch_load_b128 v[100:103], v0, off
	scratch_load_b32 v0, off, off offset:988 ; 4-byte Folded Reload
	s_waitcnt vmcnt(1)
	ds_store_2addr_b64 v244, v[100:101], v[102:103] offset0:94 offset1:95
	s_waitcnt vmcnt(0)
	scratch_load_b128 v[100:103], v0, off
	scratch_load_b32 v0, off, off offset:984 ; 4-byte Folded Reload
	s_waitcnt vmcnt(1)
	ds_store_2addr_b64 v244, v[100:101], v[102:103] offset0:96 offset1:97
	s_waitcnt vmcnt(0)
	scratch_load_b128 v[100:103], v0, off
	scratch_load_b32 v0, off, off offset:980 ; 4-byte Folded Reload
	s_waitcnt vmcnt(1)
	ds_store_2addr_b64 v244, v[100:101], v[102:103] offset0:98 offset1:99
	s_waitcnt vmcnt(0)
	scratch_load_b128 v[100:103], v0, off
	scratch_load_b32 v0, off, off offset:976 ; 4-byte Folded Reload
	s_waitcnt vmcnt(1)
	ds_store_2addr_b64 v244, v[100:101], v[102:103] offset0:100 offset1:101
	s_waitcnt vmcnt(0)
	scratch_load_b128 v[100:103], v0, off
	s_waitcnt vmcnt(0)
	ds_store_2addr_b64 v244, v[100:101], v[102:103] offset0:102 offset1:103
	scratch_load_b128 v[100:103], v245, off
	s_waitcnt vmcnt(0)
	ds_store_2addr_b64 v244, v[100:101], v[102:103] offset0:104 offset1:105
	;; [unrolled: 3-line block ×10, first 2 shown]
	ds_load_2addr_b64 v[100:103], v251 offset1:1
	s_waitcnt lgkmcnt(0)
	v_cmp_neq_f64_e32 vcc_lo, 0, v[100:101]
	v_cmp_neq_f64_e64 s3, 0, v[102:103]
	s_delay_alu instid0(VALU_DEP_1) | instskip(NEXT) | instid1(SALU_CYCLE_1)
	s_or_b32 s3, vcc_lo, s3
	s_and_b32 exec_lo, exec_lo, s3
	s_cbranch_execz .LBB121_330
; %bb.325:
	v_cmp_gt_f64_e32 vcc_lo, 0, v[100:101]
	v_xor_b32_e32 v0, 0x80000000, v101
	v_xor_b32_e32 v4, 0x80000000, v103
	s_delay_alu instid0(VALU_DEP_2) | instskip(SKIP_2) | instid1(VALU_DEP_4)
	v_cndmask_b32_e32 v1, v101, v0, vcc_lo
	v_cndmask_b32_e32 v0, v100, v100, vcc_lo
	v_cmp_gt_f64_e32 vcc_lo, 0, v[102:103]
	v_dual_cndmask_b32 v5, v103, v4 :: v_dual_cndmask_b32 v4, v102, v102
	s_delay_alu instid0(VALU_DEP_1) | instskip(SKIP_1) | instid1(SALU_CYCLE_1)
	v_cmp_ngt_f64_e32 vcc_lo, v[0:1], v[4:5]
                                        ; implicit-def: $vgpr0_vgpr1
	s_and_saveexec_b32 s3, vcc_lo
	s_xor_b32 s3, exec_lo, s3
                                        ; implicit-def: $vgpr104_vgpr105_vgpr106_vgpr107
	s_cbranch_execz .LBB121_327
; %bb.326:
	v_div_scale_f64 v[0:1], null, v[102:103], v[102:103], v[100:101]
	v_div_scale_f64 v[104:105], vcc_lo, v[100:101], v[102:103], v[100:101]
	s_delay_alu instid0(VALU_DEP_2) | instskip(SKIP_2) | instid1(VALU_DEP_1)
	v_rcp_f64_e32 v[4:5], v[0:1]
	s_waitcnt_depctr 0xfff
	v_fma_f64 v[6:7], -v[0:1], v[4:5], 1.0
	v_fma_f64 v[4:5], v[4:5], v[6:7], v[4:5]
	s_delay_alu instid0(VALU_DEP_1) | instskip(NEXT) | instid1(VALU_DEP_1)
	v_fma_f64 v[6:7], -v[0:1], v[4:5], 1.0
	v_fma_f64 v[4:5], v[4:5], v[6:7], v[4:5]
	s_delay_alu instid0(VALU_DEP_1) | instskip(NEXT) | instid1(VALU_DEP_1)
	v_mul_f64 v[6:7], v[104:105], v[4:5]
	v_fma_f64 v[0:1], -v[0:1], v[6:7], v[104:105]
	s_delay_alu instid0(VALU_DEP_1) | instskip(NEXT) | instid1(VALU_DEP_1)
	v_div_fmas_f64 v[0:1], v[0:1], v[4:5], v[6:7]
	v_div_fixup_f64 v[0:1], v[0:1], v[102:103], v[100:101]
	s_delay_alu instid0(VALU_DEP_1) | instskip(NEXT) | instid1(VALU_DEP_1)
	v_fma_f64 v[4:5], v[100:101], v[0:1], v[102:103]
	v_div_scale_f64 v[6:7], null, v[4:5], v[4:5], 1.0
	s_delay_alu instid0(VALU_DEP_1) | instskip(SKIP_2) | instid1(VALU_DEP_1)
	v_rcp_f64_e32 v[100:101], v[6:7]
	s_waitcnt_depctr 0xfff
	v_fma_f64 v[102:103], -v[6:7], v[100:101], 1.0
	v_fma_f64 v[100:101], v[100:101], v[102:103], v[100:101]
	s_delay_alu instid0(VALU_DEP_1) | instskip(NEXT) | instid1(VALU_DEP_1)
	v_fma_f64 v[102:103], -v[6:7], v[100:101], 1.0
	v_fma_f64 v[100:101], v[100:101], v[102:103], v[100:101]
	v_div_scale_f64 v[102:103], vcc_lo, 1.0, v[4:5], 1.0
	s_delay_alu instid0(VALU_DEP_1) | instskip(NEXT) | instid1(VALU_DEP_1)
	v_mul_f64 v[104:105], v[102:103], v[100:101]
	v_fma_f64 v[6:7], -v[6:7], v[104:105], v[102:103]
	s_delay_alu instid0(VALU_DEP_1) | instskip(NEXT) | instid1(VALU_DEP_1)
	v_div_fmas_f64 v[6:7], v[6:7], v[100:101], v[104:105]
                                        ; implicit-def: $vgpr100_vgpr101
	v_div_fixup_f64 v[106:107], v[6:7], v[4:5], 1.0
	s_delay_alu instid0(VALU_DEP_1)
	v_mul_f64 v[0:1], v[0:1], v[106:107]
	v_xor_b32_e32 v107, 0x80000000, v107
.LBB121_327:
	s_and_not1_saveexec_b32 s3, s3
	s_cbranch_execz .LBB121_329
; %bb.328:
	v_div_scale_f64 v[0:1], null, v[100:101], v[100:101], v[102:103]
	v_div_scale_f64 v[104:105], vcc_lo, v[102:103], v[100:101], v[102:103]
	s_delay_alu instid0(VALU_DEP_2) | instskip(SKIP_2) | instid1(VALU_DEP_1)
	v_rcp_f64_e32 v[4:5], v[0:1]
	s_waitcnt_depctr 0xfff
	v_fma_f64 v[6:7], -v[0:1], v[4:5], 1.0
	v_fma_f64 v[4:5], v[4:5], v[6:7], v[4:5]
	s_delay_alu instid0(VALU_DEP_1) | instskip(NEXT) | instid1(VALU_DEP_1)
	v_fma_f64 v[6:7], -v[0:1], v[4:5], 1.0
	v_fma_f64 v[4:5], v[4:5], v[6:7], v[4:5]
	s_delay_alu instid0(VALU_DEP_1) | instskip(NEXT) | instid1(VALU_DEP_1)
	v_mul_f64 v[6:7], v[104:105], v[4:5]
	v_fma_f64 v[0:1], -v[0:1], v[6:7], v[104:105]
	s_delay_alu instid0(VALU_DEP_1) | instskip(NEXT) | instid1(VALU_DEP_1)
	v_div_fmas_f64 v[0:1], v[0:1], v[4:5], v[6:7]
	v_div_fixup_f64 v[4:5], v[0:1], v[100:101], v[102:103]
	s_delay_alu instid0(VALU_DEP_1) | instskip(NEXT) | instid1(VALU_DEP_1)
	v_fma_f64 v[0:1], v[102:103], v[4:5], v[100:101]
	v_div_scale_f64 v[6:7], null, v[0:1], v[0:1], 1.0
	s_delay_alu instid0(VALU_DEP_1) | instskip(SKIP_2) | instid1(VALU_DEP_1)
	v_rcp_f64_e32 v[100:101], v[6:7]
	s_waitcnt_depctr 0xfff
	v_fma_f64 v[102:103], -v[6:7], v[100:101], 1.0
	v_fma_f64 v[100:101], v[100:101], v[102:103], v[100:101]
	s_delay_alu instid0(VALU_DEP_1) | instskip(NEXT) | instid1(VALU_DEP_1)
	v_fma_f64 v[102:103], -v[6:7], v[100:101], 1.0
	v_fma_f64 v[100:101], v[100:101], v[102:103], v[100:101]
	v_div_scale_f64 v[102:103], vcc_lo, 1.0, v[0:1], 1.0
	s_delay_alu instid0(VALU_DEP_1) | instskip(NEXT) | instid1(VALU_DEP_1)
	v_mul_f64 v[104:105], v[102:103], v[100:101]
	v_fma_f64 v[6:7], -v[6:7], v[104:105], v[102:103]
	s_delay_alu instid0(VALU_DEP_1) | instskip(NEXT) | instid1(VALU_DEP_1)
	v_div_fmas_f64 v[6:7], v[6:7], v[100:101], v[104:105]
	v_div_fixup_f64 v[0:1], v[6:7], v[0:1], 1.0
	s_delay_alu instid0(VALU_DEP_1)
	v_mul_f64 v[106:107], v[4:5], -v[0:1]
.LBB121_329:
	s_or_b32 exec_lo, exec_lo, s3
	ds_store_2addr_b64 v251, v[0:1], v[106:107] offset1:1
.LBB121_330:
	s_or_b32 exec_lo, exec_lo, s4
	s_waitcnt lgkmcnt(0)
	s_barrier
	buffer_gl0_inv
	ds_load_2addr_b64 v[100:103], v251 offset1:1
	s_mov_b32 s3, exec_lo
	v_cmpx_lt_u32_e32 25, v254
	s_cbranch_execz .LBB121_333
; %bb.331:
	scratch_load_b128 v[106:109], off, off offset:400
	s_mov_b32 s4, 0
	s_waitcnt vmcnt(0) lgkmcnt(0)
	v_mul_f64 v[0:1], v[102:103], v[108:109]
	s_delay_alu instid0(VALU_DEP_1) | instskip(SKIP_1) | instid1(VALU_DEP_1)
	v_fma_f64 v[104:105], v[100:101], v[106:107], -v[0:1]
	v_mul_f64 v[0:1], v[100:101], v[108:109]
	v_fma_f64 v[106:107], v[102:103], v[106:107], v[0:1]
	v_add3_u32 v0, v176, 0, 0x1a0
	v_mov_b32_e32 v1, 0
	scratch_store_b128 off, v[104:107], off offset:400
.LBB121_332:                            ; =>This Inner Loop Header: Depth=1
	v_add_nc_u32_e32 v112, s4, v0
	v_readfirstlane_b32 s5, v1
	ds_load_2addr_b64 v[108:111], v112 offset1:1
	s_add_i32 s5, s5, s4
	s_addk_i32 s4, 0x70
	s_add_i32 s6, s5, 0x1a0
	s_waitcnt lgkmcnt(0)
	v_mul_f64 v[4:5], v[110:111], v[106:107]
	v_mul_f64 v[6:7], v[108:109], v[106:107]
	s_delay_alu instid0(VALU_DEP_2) | instskip(NEXT) | instid1(VALU_DEP_2)
	v_fma_f64 v[4:5], v[108:109], v[104:105], -v[4:5]
	v_fma_f64 v[6:7], v[110:111], v[104:105], v[6:7]
	scratch_load_b128 v[108:111], off, s6
	s_waitcnt vmcnt(0)
	v_add_f64 v[108:109], v[108:109], -v[4:5]
	v_add_f64 v[110:111], v[110:111], -v[6:7]
	scratch_store_b128 off, v[108:111], s6
	ds_load_2addr_b64 v[108:111], v112 offset0:2 offset1:3
	s_add_i32 s6, s5, 0x1b0
	s_waitcnt lgkmcnt(0)
	v_mul_f64 v[4:5], v[110:111], v[106:107]
	v_mul_f64 v[6:7], v[108:109], v[106:107]
	s_delay_alu instid0(VALU_DEP_2) | instskip(NEXT) | instid1(VALU_DEP_2)
	v_fma_f64 v[4:5], v[108:109], v[104:105], -v[4:5]
	v_fma_f64 v[6:7], v[110:111], v[104:105], v[6:7]
	scratch_load_b128 v[108:111], off, s6
	s_waitcnt vmcnt(0)
	v_add_f64 v[108:109], v[108:109], -v[4:5]
	v_add_f64 v[110:111], v[110:111], -v[6:7]
	scratch_store_b128 off, v[108:111], s6
	ds_load_2addr_b64 v[108:111], v112 offset0:4 offset1:5
	;; [unrolled: 13-line block ×5, first 2 shown]
	s_add_i32 s6, s5, 0x1f0
	s_addk_i32 s5, 0x200
	s_cmpk_lg_i32 s4, 0x230
	s_waitcnt lgkmcnt(0)
	v_mul_f64 v[4:5], v[110:111], v[106:107]
	v_mul_f64 v[6:7], v[108:109], v[106:107]
	s_delay_alu instid0(VALU_DEP_2) | instskip(NEXT) | instid1(VALU_DEP_2)
	v_fma_f64 v[4:5], v[108:109], v[104:105], -v[4:5]
	v_fma_f64 v[6:7], v[110:111], v[104:105], v[6:7]
	scratch_load_b128 v[104:107], off, s6
	ds_load_2addr_b64 v[108:111], v112 offset0:12 offset1:13
	s_waitcnt vmcnt(0)
	v_add_f64 v[104:105], v[104:105], -v[4:5]
	v_add_f64 v[106:107], v[106:107], -v[6:7]
	scratch_store_b128 off, v[104:107], s6
	scratch_load_b128 v[104:107], off, off offset:400
	s_waitcnt vmcnt(0) lgkmcnt(0)
	v_mul_f64 v[4:5], v[110:111], v[106:107]
	v_mul_f64 v[6:7], v[108:109], v[106:107]
	s_delay_alu instid0(VALU_DEP_2) | instskip(NEXT) | instid1(VALU_DEP_2)
	v_fma_f64 v[4:5], v[108:109], v[104:105], -v[4:5]
	v_fma_f64 v[6:7], v[110:111], v[104:105], v[6:7]
	scratch_load_b128 v[108:111], off, s5
	s_waitcnt vmcnt(0)
	v_add_f64 v[108:109], v[108:109], -v[4:5]
	v_add_f64 v[110:111], v[110:111], -v[6:7]
	scratch_store_b128 off, v[108:111], s5
	s_cbranch_scc1 .LBB121_332
.LBB121_333:
	s_or_b32 exec_lo, exec_lo, s3
	s_delay_alu instid0(SALU_CYCLE_1)
	s_mov_b32 s4, exec_lo
	s_waitcnt lgkmcnt(0)
	s_waitcnt_vscnt null, 0x0
	s_barrier
	buffer_gl0_inv
	v_cmpx_eq_u32_e32 26, v254
	s_cbranch_execz .LBB121_340
; %bb.334:
	scratch_load_b32 v0, off, off offset:1076 ; 4-byte Folded Reload
	s_waitcnt vmcnt(0)
	scratch_load_b128 v[104:107], v0, off
	scratch_load_b32 v0, off, off offset:1072 ; 4-byte Folded Reload
	s_waitcnt vmcnt(1)
	ds_store_2addr_b64 v251, v[104:105], v[106:107] offset1:1
	s_waitcnt vmcnt(0)
	scratch_load_b128 v[104:107], v0, off
	scratch_load_b32 v0, off, off offset:1068 ; 4-byte Folded Reload
	s_waitcnt vmcnt(1)
	ds_store_2addr_b64 v244, v[104:105], v[106:107] offset0:54 offset1:55
	s_waitcnt vmcnt(0)
	scratch_load_b128 v[104:107], v0, off
	scratch_load_b32 v0, off, off offset:1064 ; 4-byte Folded Reload
	s_waitcnt vmcnt(1)
	ds_store_2addr_b64 v244, v[104:105], v[106:107] offset0:56 offset1:57
	;; [unrolled: 5-line block ×24, first 2 shown]
	s_waitcnt vmcnt(0)
	scratch_load_b128 v[104:107], v0, off
	s_waitcnt vmcnt(0)
	ds_store_2addr_b64 v244, v[104:105], v[106:107] offset0:102 offset1:103
	scratch_load_b128 v[104:107], v245, off
	s_waitcnt vmcnt(0)
	ds_store_2addr_b64 v244, v[104:105], v[106:107] offset0:104 offset1:105
	;; [unrolled: 3-line block ×10, first 2 shown]
	ds_load_2addr_b64 v[104:107], v251 offset1:1
	s_waitcnt lgkmcnt(0)
	v_cmp_neq_f64_e32 vcc_lo, 0, v[104:105]
	v_cmp_neq_f64_e64 s3, 0, v[106:107]
	s_delay_alu instid0(VALU_DEP_1) | instskip(NEXT) | instid1(SALU_CYCLE_1)
	s_or_b32 s3, vcc_lo, s3
	s_and_b32 exec_lo, exec_lo, s3
	s_cbranch_execz .LBB121_340
; %bb.335:
	v_cmp_gt_f64_e32 vcc_lo, 0, v[104:105]
	v_xor_b32_e32 v0, 0x80000000, v105
	v_xor_b32_e32 v4, 0x80000000, v107
	s_delay_alu instid0(VALU_DEP_2) | instskip(SKIP_2) | instid1(VALU_DEP_4)
	v_cndmask_b32_e32 v1, v105, v0, vcc_lo
	v_cndmask_b32_e32 v0, v104, v104, vcc_lo
	v_cmp_gt_f64_e32 vcc_lo, 0, v[106:107]
	v_dual_cndmask_b32 v5, v107, v4 :: v_dual_cndmask_b32 v4, v106, v106
	s_delay_alu instid0(VALU_DEP_1) | instskip(SKIP_1) | instid1(SALU_CYCLE_1)
	v_cmp_ngt_f64_e32 vcc_lo, v[0:1], v[4:5]
                                        ; implicit-def: $vgpr0_vgpr1
	s_and_saveexec_b32 s3, vcc_lo
	s_xor_b32 s3, exec_lo, s3
                                        ; implicit-def: $vgpr108_vgpr109_vgpr110_vgpr111
	s_cbranch_execz .LBB121_337
; %bb.336:
	v_div_scale_f64 v[0:1], null, v[106:107], v[106:107], v[104:105]
	v_div_scale_f64 v[108:109], vcc_lo, v[104:105], v[106:107], v[104:105]
	s_delay_alu instid0(VALU_DEP_2) | instskip(SKIP_2) | instid1(VALU_DEP_1)
	v_rcp_f64_e32 v[4:5], v[0:1]
	s_waitcnt_depctr 0xfff
	v_fma_f64 v[6:7], -v[0:1], v[4:5], 1.0
	v_fma_f64 v[4:5], v[4:5], v[6:7], v[4:5]
	s_delay_alu instid0(VALU_DEP_1) | instskip(NEXT) | instid1(VALU_DEP_1)
	v_fma_f64 v[6:7], -v[0:1], v[4:5], 1.0
	v_fma_f64 v[4:5], v[4:5], v[6:7], v[4:5]
	s_delay_alu instid0(VALU_DEP_1) | instskip(NEXT) | instid1(VALU_DEP_1)
	v_mul_f64 v[6:7], v[108:109], v[4:5]
	v_fma_f64 v[0:1], -v[0:1], v[6:7], v[108:109]
	s_delay_alu instid0(VALU_DEP_1) | instskip(NEXT) | instid1(VALU_DEP_1)
	v_div_fmas_f64 v[0:1], v[0:1], v[4:5], v[6:7]
	v_div_fixup_f64 v[0:1], v[0:1], v[106:107], v[104:105]
	s_delay_alu instid0(VALU_DEP_1) | instskip(NEXT) | instid1(VALU_DEP_1)
	v_fma_f64 v[4:5], v[104:105], v[0:1], v[106:107]
	v_div_scale_f64 v[6:7], null, v[4:5], v[4:5], 1.0
	s_delay_alu instid0(VALU_DEP_1) | instskip(SKIP_2) | instid1(VALU_DEP_1)
	v_rcp_f64_e32 v[104:105], v[6:7]
	s_waitcnt_depctr 0xfff
	v_fma_f64 v[106:107], -v[6:7], v[104:105], 1.0
	v_fma_f64 v[104:105], v[104:105], v[106:107], v[104:105]
	s_delay_alu instid0(VALU_DEP_1) | instskip(NEXT) | instid1(VALU_DEP_1)
	v_fma_f64 v[106:107], -v[6:7], v[104:105], 1.0
	v_fma_f64 v[104:105], v[104:105], v[106:107], v[104:105]
	v_div_scale_f64 v[106:107], vcc_lo, 1.0, v[4:5], 1.0
	s_delay_alu instid0(VALU_DEP_1) | instskip(NEXT) | instid1(VALU_DEP_1)
	v_mul_f64 v[108:109], v[106:107], v[104:105]
	v_fma_f64 v[6:7], -v[6:7], v[108:109], v[106:107]
	s_delay_alu instid0(VALU_DEP_1) | instskip(NEXT) | instid1(VALU_DEP_1)
	v_div_fmas_f64 v[6:7], v[6:7], v[104:105], v[108:109]
                                        ; implicit-def: $vgpr104_vgpr105
	v_div_fixup_f64 v[110:111], v[6:7], v[4:5], 1.0
	s_delay_alu instid0(VALU_DEP_1)
	v_mul_f64 v[0:1], v[0:1], v[110:111]
	v_xor_b32_e32 v111, 0x80000000, v111
.LBB121_337:
	s_and_not1_saveexec_b32 s3, s3
	s_cbranch_execz .LBB121_339
; %bb.338:
	v_div_scale_f64 v[0:1], null, v[104:105], v[104:105], v[106:107]
	v_div_scale_f64 v[108:109], vcc_lo, v[106:107], v[104:105], v[106:107]
	s_delay_alu instid0(VALU_DEP_2) | instskip(SKIP_2) | instid1(VALU_DEP_1)
	v_rcp_f64_e32 v[4:5], v[0:1]
	s_waitcnt_depctr 0xfff
	v_fma_f64 v[6:7], -v[0:1], v[4:5], 1.0
	v_fma_f64 v[4:5], v[4:5], v[6:7], v[4:5]
	s_delay_alu instid0(VALU_DEP_1) | instskip(NEXT) | instid1(VALU_DEP_1)
	v_fma_f64 v[6:7], -v[0:1], v[4:5], 1.0
	v_fma_f64 v[4:5], v[4:5], v[6:7], v[4:5]
	s_delay_alu instid0(VALU_DEP_1) | instskip(NEXT) | instid1(VALU_DEP_1)
	v_mul_f64 v[6:7], v[108:109], v[4:5]
	v_fma_f64 v[0:1], -v[0:1], v[6:7], v[108:109]
	s_delay_alu instid0(VALU_DEP_1) | instskip(NEXT) | instid1(VALU_DEP_1)
	v_div_fmas_f64 v[0:1], v[0:1], v[4:5], v[6:7]
	v_div_fixup_f64 v[4:5], v[0:1], v[104:105], v[106:107]
	s_delay_alu instid0(VALU_DEP_1) | instskip(NEXT) | instid1(VALU_DEP_1)
	v_fma_f64 v[0:1], v[106:107], v[4:5], v[104:105]
	v_div_scale_f64 v[6:7], null, v[0:1], v[0:1], 1.0
	s_delay_alu instid0(VALU_DEP_1) | instskip(SKIP_2) | instid1(VALU_DEP_1)
	v_rcp_f64_e32 v[104:105], v[6:7]
	s_waitcnt_depctr 0xfff
	v_fma_f64 v[106:107], -v[6:7], v[104:105], 1.0
	v_fma_f64 v[104:105], v[104:105], v[106:107], v[104:105]
	s_delay_alu instid0(VALU_DEP_1) | instskip(NEXT) | instid1(VALU_DEP_1)
	v_fma_f64 v[106:107], -v[6:7], v[104:105], 1.0
	v_fma_f64 v[104:105], v[104:105], v[106:107], v[104:105]
	v_div_scale_f64 v[106:107], vcc_lo, 1.0, v[0:1], 1.0
	s_delay_alu instid0(VALU_DEP_1) | instskip(NEXT) | instid1(VALU_DEP_1)
	v_mul_f64 v[108:109], v[106:107], v[104:105]
	v_fma_f64 v[6:7], -v[6:7], v[108:109], v[106:107]
	s_delay_alu instid0(VALU_DEP_1) | instskip(NEXT) | instid1(VALU_DEP_1)
	v_div_fmas_f64 v[6:7], v[6:7], v[104:105], v[108:109]
	v_div_fixup_f64 v[0:1], v[6:7], v[0:1], 1.0
	s_delay_alu instid0(VALU_DEP_1)
	v_mul_f64 v[110:111], v[4:5], -v[0:1]
.LBB121_339:
	s_or_b32 exec_lo, exec_lo, s3
	ds_store_2addr_b64 v251, v[0:1], v[110:111] offset1:1
.LBB121_340:
	s_or_b32 exec_lo, exec_lo, s4
	s_waitcnt lgkmcnt(0)
	s_barrier
	buffer_gl0_inv
	ds_load_2addr_b64 v[104:107], v251 offset1:1
	s_mov_b32 s3, exec_lo
	v_cmpx_lt_u32_e32 26, v254
	s_cbranch_execz .LBB121_343
; %bb.341:
	scratch_load_b128 v[110:113], off, off offset:416
	s_mov_b32 s4, 0
	s_waitcnt vmcnt(0) lgkmcnt(0)
	v_mul_f64 v[0:1], v[106:107], v[112:113]
	s_delay_alu instid0(VALU_DEP_1) | instskip(SKIP_1) | instid1(VALU_DEP_1)
	v_fma_f64 v[108:109], v[104:105], v[110:111], -v[0:1]
	v_mul_f64 v[0:1], v[104:105], v[112:113]
	v_fma_f64 v[110:111], v[106:107], v[110:111], v[0:1]
	v_add3_u32 v0, v176, 0, 0x1b0
	scratch_store_b128 off, v[108:111], off offset:416
	s_set_inst_prefetch_distance 0x1
	.p2align	6
.LBB121_342:                            ; =>This Inner Loop Header: Depth=1
	v_add_nc_u32_e32 v1, s4, v0
	v_add_nc_u32_e64 v116, s4, 0
	s_add_i32 s4, s4, 32
	s_delay_alu instid0(SALU_CYCLE_1)
	s_cmpk_lg_i32 s4, 0x220
	ds_load_2addr_b64 v[112:115], v1 offset1:1
	v_add_nc_u32_e32 v117, 0x1b0, v116
	s_waitcnt lgkmcnt(0)
	v_mul_f64 v[4:5], v[114:115], v[110:111]
	v_mul_f64 v[6:7], v[112:113], v[110:111]
	s_delay_alu instid0(VALU_DEP_2) | instskip(NEXT) | instid1(VALU_DEP_2)
	v_fma_f64 v[4:5], v[112:113], v[108:109], -v[4:5]
	v_fma_f64 v[6:7], v[114:115], v[108:109], v[6:7]
	scratch_load_b128 v[112:115], v117, off
	s_waitcnt vmcnt(0)
	v_add_f64 v[112:113], v[112:113], -v[4:5]
	v_add_f64 v[114:115], v[114:115], -v[6:7]
	scratch_store_b128 v117, v[112:115], off
	ds_load_2addr_b64 v[112:115], v1 offset0:2 offset1:3
	v_add_nc_u32_e32 v1, 0x1c0, v116
	s_waitcnt lgkmcnt(0)
	v_mul_f64 v[4:5], v[114:115], v[110:111]
	v_mul_f64 v[6:7], v[112:113], v[110:111]
	s_delay_alu instid0(VALU_DEP_2) | instskip(NEXT) | instid1(VALU_DEP_2)
	v_fma_f64 v[4:5], v[112:113], v[108:109], -v[4:5]
	v_fma_f64 v[6:7], v[114:115], v[108:109], v[6:7]
	scratch_load_b128 v[112:115], v1, off
	s_waitcnt vmcnt(0)
	v_add_f64 v[112:113], v[112:113], -v[4:5]
	v_add_f64 v[114:115], v[114:115], -v[6:7]
	scratch_store_b128 v1, v[112:115], off
	s_cbranch_scc1 .LBB121_342
.LBB121_343:
	s_set_inst_prefetch_distance 0x2
	s_or_b32 exec_lo, exec_lo, s3
	s_delay_alu instid0(SALU_CYCLE_1)
	s_mov_b32 s4, exec_lo
	s_waitcnt lgkmcnt(0)
	s_waitcnt_vscnt null, 0x0
	s_barrier
	buffer_gl0_inv
	v_cmpx_eq_u32_e32 27, v254
	s_cbranch_execz .LBB121_350
; %bb.344:
	scratch_load_b32 v0, off, off offset:1072 ; 4-byte Folded Reload
	s_waitcnt vmcnt(0)
	scratch_load_b128 v[108:111], v0, off
	scratch_load_b32 v0, off, off offset:1068 ; 4-byte Folded Reload
	s_waitcnt vmcnt(1)
	ds_store_2addr_b64 v251, v[108:109], v[110:111] offset1:1
	s_waitcnt vmcnt(0)
	scratch_load_b128 v[108:111], v0, off
	scratch_load_b32 v0, off, off offset:1064 ; 4-byte Folded Reload
	s_waitcnt vmcnt(1)
	ds_store_2addr_b64 v244, v[108:109], v[110:111] offset0:56 offset1:57
	s_waitcnt vmcnt(0)
	scratch_load_b128 v[108:111], v0, off
	scratch_load_b32 v0, off, off offset:1060 ; 4-byte Folded Reload
	s_waitcnt vmcnt(1)
	ds_store_2addr_b64 v244, v[108:109], v[110:111] offset0:58 offset1:59
	;; [unrolled: 5-line block ×23, first 2 shown]
	s_waitcnt vmcnt(0)
	scratch_load_b128 v[108:111], v0, off
	s_waitcnt vmcnt(0)
	ds_store_2addr_b64 v244, v[108:109], v[110:111] offset0:102 offset1:103
	scratch_load_b128 v[108:111], v245, off
	s_waitcnt vmcnt(0)
	ds_store_2addr_b64 v244, v[108:109], v[110:111] offset0:104 offset1:105
	;; [unrolled: 3-line block ×10, first 2 shown]
	ds_load_2addr_b64 v[108:111], v251 offset1:1
	s_waitcnt lgkmcnt(0)
	v_cmp_neq_f64_e32 vcc_lo, 0, v[108:109]
	v_cmp_neq_f64_e64 s3, 0, v[110:111]
	s_delay_alu instid0(VALU_DEP_1) | instskip(NEXT) | instid1(SALU_CYCLE_1)
	s_or_b32 s3, vcc_lo, s3
	s_and_b32 exec_lo, exec_lo, s3
	s_cbranch_execz .LBB121_350
; %bb.345:
	v_cmp_gt_f64_e32 vcc_lo, 0, v[108:109]
	v_xor_b32_e32 v0, 0x80000000, v109
	v_xor_b32_e32 v4, 0x80000000, v111
	s_delay_alu instid0(VALU_DEP_2) | instskip(SKIP_2) | instid1(VALU_DEP_4)
	v_cndmask_b32_e32 v1, v109, v0, vcc_lo
	v_cndmask_b32_e32 v0, v108, v108, vcc_lo
	v_cmp_gt_f64_e32 vcc_lo, 0, v[110:111]
	v_dual_cndmask_b32 v5, v111, v4 :: v_dual_cndmask_b32 v4, v110, v110
	s_delay_alu instid0(VALU_DEP_1) | instskip(SKIP_1) | instid1(SALU_CYCLE_1)
	v_cmp_ngt_f64_e32 vcc_lo, v[0:1], v[4:5]
                                        ; implicit-def: $vgpr0_vgpr1
	s_and_saveexec_b32 s3, vcc_lo
	s_xor_b32 s3, exec_lo, s3
                                        ; implicit-def: $vgpr112_vgpr113_vgpr114_vgpr115
	s_cbranch_execz .LBB121_347
; %bb.346:
	v_div_scale_f64 v[0:1], null, v[110:111], v[110:111], v[108:109]
	v_div_scale_f64 v[112:113], vcc_lo, v[108:109], v[110:111], v[108:109]
	s_delay_alu instid0(VALU_DEP_2) | instskip(SKIP_2) | instid1(VALU_DEP_1)
	v_rcp_f64_e32 v[4:5], v[0:1]
	s_waitcnt_depctr 0xfff
	v_fma_f64 v[6:7], -v[0:1], v[4:5], 1.0
	v_fma_f64 v[4:5], v[4:5], v[6:7], v[4:5]
	s_delay_alu instid0(VALU_DEP_1) | instskip(NEXT) | instid1(VALU_DEP_1)
	v_fma_f64 v[6:7], -v[0:1], v[4:5], 1.0
	v_fma_f64 v[4:5], v[4:5], v[6:7], v[4:5]
	s_delay_alu instid0(VALU_DEP_1) | instskip(NEXT) | instid1(VALU_DEP_1)
	v_mul_f64 v[6:7], v[112:113], v[4:5]
	v_fma_f64 v[0:1], -v[0:1], v[6:7], v[112:113]
	s_delay_alu instid0(VALU_DEP_1) | instskip(NEXT) | instid1(VALU_DEP_1)
	v_div_fmas_f64 v[0:1], v[0:1], v[4:5], v[6:7]
	v_div_fixup_f64 v[0:1], v[0:1], v[110:111], v[108:109]
	s_delay_alu instid0(VALU_DEP_1) | instskip(NEXT) | instid1(VALU_DEP_1)
	v_fma_f64 v[4:5], v[108:109], v[0:1], v[110:111]
	v_div_scale_f64 v[6:7], null, v[4:5], v[4:5], 1.0
	s_delay_alu instid0(VALU_DEP_1) | instskip(SKIP_2) | instid1(VALU_DEP_1)
	v_rcp_f64_e32 v[108:109], v[6:7]
	s_waitcnt_depctr 0xfff
	v_fma_f64 v[110:111], -v[6:7], v[108:109], 1.0
	v_fma_f64 v[108:109], v[108:109], v[110:111], v[108:109]
	s_delay_alu instid0(VALU_DEP_1) | instskip(NEXT) | instid1(VALU_DEP_1)
	v_fma_f64 v[110:111], -v[6:7], v[108:109], 1.0
	v_fma_f64 v[108:109], v[108:109], v[110:111], v[108:109]
	v_div_scale_f64 v[110:111], vcc_lo, 1.0, v[4:5], 1.0
	s_delay_alu instid0(VALU_DEP_1) | instskip(NEXT) | instid1(VALU_DEP_1)
	v_mul_f64 v[112:113], v[110:111], v[108:109]
	v_fma_f64 v[6:7], -v[6:7], v[112:113], v[110:111]
	s_delay_alu instid0(VALU_DEP_1) | instskip(NEXT) | instid1(VALU_DEP_1)
	v_div_fmas_f64 v[6:7], v[6:7], v[108:109], v[112:113]
                                        ; implicit-def: $vgpr108_vgpr109
	v_div_fixup_f64 v[114:115], v[6:7], v[4:5], 1.0
	s_delay_alu instid0(VALU_DEP_1)
	v_mul_f64 v[0:1], v[0:1], v[114:115]
	v_xor_b32_e32 v115, 0x80000000, v115
.LBB121_347:
	s_and_not1_saveexec_b32 s3, s3
	s_cbranch_execz .LBB121_349
; %bb.348:
	v_div_scale_f64 v[0:1], null, v[108:109], v[108:109], v[110:111]
	v_div_scale_f64 v[112:113], vcc_lo, v[110:111], v[108:109], v[110:111]
	s_delay_alu instid0(VALU_DEP_2) | instskip(SKIP_2) | instid1(VALU_DEP_1)
	v_rcp_f64_e32 v[4:5], v[0:1]
	s_waitcnt_depctr 0xfff
	v_fma_f64 v[6:7], -v[0:1], v[4:5], 1.0
	v_fma_f64 v[4:5], v[4:5], v[6:7], v[4:5]
	s_delay_alu instid0(VALU_DEP_1) | instskip(NEXT) | instid1(VALU_DEP_1)
	v_fma_f64 v[6:7], -v[0:1], v[4:5], 1.0
	v_fma_f64 v[4:5], v[4:5], v[6:7], v[4:5]
	s_delay_alu instid0(VALU_DEP_1) | instskip(NEXT) | instid1(VALU_DEP_1)
	v_mul_f64 v[6:7], v[112:113], v[4:5]
	v_fma_f64 v[0:1], -v[0:1], v[6:7], v[112:113]
	s_delay_alu instid0(VALU_DEP_1) | instskip(NEXT) | instid1(VALU_DEP_1)
	v_div_fmas_f64 v[0:1], v[0:1], v[4:5], v[6:7]
	v_div_fixup_f64 v[4:5], v[0:1], v[108:109], v[110:111]
	s_delay_alu instid0(VALU_DEP_1) | instskip(NEXT) | instid1(VALU_DEP_1)
	v_fma_f64 v[0:1], v[110:111], v[4:5], v[108:109]
	v_div_scale_f64 v[6:7], null, v[0:1], v[0:1], 1.0
	s_delay_alu instid0(VALU_DEP_1) | instskip(SKIP_2) | instid1(VALU_DEP_1)
	v_rcp_f64_e32 v[108:109], v[6:7]
	s_waitcnt_depctr 0xfff
	v_fma_f64 v[110:111], -v[6:7], v[108:109], 1.0
	v_fma_f64 v[108:109], v[108:109], v[110:111], v[108:109]
	s_delay_alu instid0(VALU_DEP_1) | instskip(NEXT) | instid1(VALU_DEP_1)
	v_fma_f64 v[110:111], -v[6:7], v[108:109], 1.0
	v_fma_f64 v[108:109], v[108:109], v[110:111], v[108:109]
	v_div_scale_f64 v[110:111], vcc_lo, 1.0, v[0:1], 1.0
	s_delay_alu instid0(VALU_DEP_1) | instskip(NEXT) | instid1(VALU_DEP_1)
	v_mul_f64 v[112:113], v[110:111], v[108:109]
	v_fma_f64 v[6:7], -v[6:7], v[112:113], v[110:111]
	s_delay_alu instid0(VALU_DEP_1) | instskip(NEXT) | instid1(VALU_DEP_1)
	v_div_fmas_f64 v[6:7], v[6:7], v[108:109], v[112:113]
	v_div_fixup_f64 v[0:1], v[6:7], v[0:1], 1.0
	s_delay_alu instid0(VALU_DEP_1)
	v_mul_f64 v[114:115], v[4:5], -v[0:1]
.LBB121_349:
	s_or_b32 exec_lo, exec_lo, s3
	ds_store_2addr_b64 v251, v[0:1], v[114:115] offset1:1
.LBB121_350:
	s_or_b32 exec_lo, exec_lo, s4
	s_waitcnt lgkmcnt(0)
	s_barrier
	buffer_gl0_inv
	ds_load_2addr_b64 v[108:111], v251 offset1:1
	s_mov_b32 s3, exec_lo
	v_cmpx_lt_u32_e32 27, v254
	s_cbranch_execz .LBB121_353
; %bb.351:
	scratch_load_b128 v[114:117], off, off offset:432
	s_mov_b32 s4, 0
	s_waitcnt vmcnt(0) lgkmcnt(0)
	v_mul_f64 v[0:1], v[110:111], v[116:117]
	s_delay_alu instid0(VALU_DEP_1) | instskip(SKIP_1) | instid1(VALU_DEP_1)
	v_fma_f64 v[112:113], v[108:109], v[114:115], -v[0:1]
	v_mul_f64 v[0:1], v[108:109], v[116:117]
	v_fma_f64 v[114:115], v[110:111], v[114:115], v[0:1]
	v_add3_u32 v0, v176, 0, 0x1c0
	v_mov_b32_e32 v1, 0
	scratch_store_b128 off, v[112:115], off offset:432
.LBB121_352:                            ; =>This Inner Loop Header: Depth=1
	v_add_nc_u32_e32 v120, s4, v0
	v_readfirstlane_b32 s5, v1
	ds_load_2addr_b64 v[116:119], v120 offset1:1
	s_add_i32 s5, s5, s4
	s_add_i32 s4, s4, 48
	;; [unrolled: 1-line block ×3, first 2 shown]
	s_waitcnt lgkmcnt(0)
	v_mul_f64 v[4:5], v[118:119], v[114:115]
	v_mul_f64 v[6:7], v[116:117], v[114:115]
	s_delay_alu instid0(VALU_DEP_2) | instskip(NEXT) | instid1(VALU_DEP_2)
	v_fma_f64 v[4:5], v[116:117], v[112:113], -v[4:5]
	v_fma_f64 v[6:7], v[118:119], v[112:113], v[6:7]
	scratch_load_b128 v[116:119], off, s6
	s_waitcnt vmcnt(0)
	v_add_f64 v[116:117], v[116:117], -v[4:5]
	v_add_f64 v[118:119], v[118:119], -v[6:7]
	scratch_store_b128 off, v[116:119], s6
	ds_load_2addr_b64 v[116:119], v120 offset0:2 offset1:3
	s_add_i32 s6, s5, 0x1d0
	s_addk_i32 s5, 0x1e0
	s_cmpk_lg_i32 s4, 0x210
	s_waitcnt lgkmcnt(0)
	v_mul_f64 v[4:5], v[118:119], v[114:115]
	v_mul_f64 v[6:7], v[116:117], v[114:115]
	s_delay_alu instid0(VALU_DEP_2) | instskip(NEXT) | instid1(VALU_DEP_2)
	v_fma_f64 v[4:5], v[116:117], v[112:113], -v[4:5]
	v_fma_f64 v[6:7], v[118:119], v[112:113], v[6:7]
	scratch_load_b128 v[116:119], off, s6
	s_waitcnt vmcnt(0)
	v_add_f64 v[116:117], v[116:117], -v[4:5]
	v_add_f64 v[118:119], v[118:119], -v[6:7]
	scratch_store_b128 off, v[116:119], s6
	ds_load_2addr_b64 v[116:119], v120 offset0:4 offset1:5
	s_waitcnt lgkmcnt(0)
	v_mul_f64 v[4:5], v[118:119], v[114:115]
	v_mul_f64 v[6:7], v[116:117], v[114:115]
	s_delay_alu instid0(VALU_DEP_2) | instskip(NEXT) | instid1(VALU_DEP_2)
	v_fma_f64 v[4:5], v[116:117], v[112:113], -v[4:5]
	v_fma_f64 v[6:7], v[118:119], v[112:113], v[6:7]
	scratch_load_b128 v[116:119], off, s5
	s_waitcnt vmcnt(0)
	v_add_f64 v[116:117], v[116:117], -v[4:5]
	v_add_f64 v[118:119], v[118:119], -v[6:7]
	scratch_store_b128 off, v[116:119], s5
	s_cbranch_scc1 .LBB121_352
.LBB121_353:
	s_or_b32 exec_lo, exec_lo, s3
	s_delay_alu instid0(SALU_CYCLE_1)
	s_mov_b32 s4, exec_lo
	s_waitcnt lgkmcnt(0)
	s_waitcnt_vscnt null, 0x0
	s_barrier
	buffer_gl0_inv
	v_cmpx_eq_u32_e32 28, v254
	s_cbranch_execz .LBB121_360
; %bb.354:
	scratch_load_b32 v0, off, off offset:1068 ; 4-byte Folded Reload
	s_waitcnt vmcnt(0)
	scratch_load_b128 v[112:115], v0, off
	scratch_load_b32 v0, off, off offset:1064 ; 4-byte Folded Reload
	s_waitcnt vmcnt(1)
	ds_store_2addr_b64 v251, v[112:113], v[114:115] offset1:1
	s_waitcnt vmcnt(0)
	scratch_load_b128 v[112:115], v0, off
	scratch_load_b32 v0, off, off offset:1060 ; 4-byte Folded Reload
	s_waitcnt vmcnt(1)
	ds_store_2addr_b64 v244, v[112:113], v[114:115] offset0:58 offset1:59
	s_waitcnt vmcnt(0)
	scratch_load_b128 v[112:115], v0, off
	scratch_load_b32 v0, off, off offset:1056 ; 4-byte Folded Reload
	s_waitcnt vmcnt(1)
	ds_store_2addr_b64 v244, v[112:113], v[114:115] offset0:60 offset1:61
	;; [unrolled: 5-line block ×22, first 2 shown]
	s_waitcnt vmcnt(0)
	scratch_load_b128 v[112:115], v0, off
	s_waitcnt vmcnt(0)
	ds_store_2addr_b64 v244, v[112:113], v[114:115] offset0:102 offset1:103
	scratch_load_b128 v[112:115], v245, off
	s_waitcnt vmcnt(0)
	ds_store_2addr_b64 v244, v[112:113], v[114:115] offset0:104 offset1:105
	;; [unrolled: 3-line block ×10, first 2 shown]
	ds_load_2addr_b64 v[112:115], v251 offset1:1
	s_waitcnt lgkmcnt(0)
	v_cmp_neq_f64_e32 vcc_lo, 0, v[112:113]
	v_cmp_neq_f64_e64 s3, 0, v[114:115]
	s_delay_alu instid0(VALU_DEP_1) | instskip(NEXT) | instid1(SALU_CYCLE_1)
	s_or_b32 s3, vcc_lo, s3
	s_and_b32 exec_lo, exec_lo, s3
	s_cbranch_execz .LBB121_360
; %bb.355:
	v_cmp_gt_f64_e32 vcc_lo, 0, v[112:113]
	v_xor_b32_e32 v0, 0x80000000, v113
	v_xor_b32_e32 v4, 0x80000000, v115
	s_delay_alu instid0(VALU_DEP_2) | instskip(SKIP_2) | instid1(VALU_DEP_4)
	v_cndmask_b32_e32 v1, v113, v0, vcc_lo
	v_cndmask_b32_e32 v0, v112, v112, vcc_lo
	v_cmp_gt_f64_e32 vcc_lo, 0, v[114:115]
	v_dual_cndmask_b32 v5, v115, v4 :: v_dual_cndmask_b32 v4, v114, v114
	s_delay_alu instid0(VALU_DEP_1) | instskip(SKIP_1) | instid1(SALU_CYCLE_1)
	v_cmp_ngt_f64_e32 vcc_lo, v[0:1], v[4:5]
                                        ; implicit-def: $vgpr0_vgpr1
	s_and_saveexec_b32 s3, vcc_lo
	s_xor_b32 s3, exec_lo, s3
                                        ; implicit-def: $vgpr116_vgpr117_vgpr118_vgpr119
	s_cbranch_execz .LBB121_357
; %bb.356:
	v_div_scale_f64 v[0:1], null, v[114:115], v[114:115], v[112:113]
	v_div_scale_f64 v[116:117], vcc_lo, v[112:113], v[114:115], v[112:113]
	s_delay_alu instid0(VALU_DEP_2) | instskip(SKIP_2) | instid1(VALU_DEP_1)
	v_rcp_f64_e32 v[4:5], v[0:1]
	s_waitcnt_depctr 0xfff
	v_fma_f64 v[6:7], -v[0:1], v[4:5], 1.0
	v_fma_f64 v[4:5], v[4:5], v[6:7], v[4:5]
	s_delay_alu instid0(VALU_DEP_1) | instskip(NEXT) | instid1(VALU_DEP_1)
	v_fma_f64 v[6:7], -v[0:1], v[4:5], 1.0
	v_fma_f64 v[4:5], v[4:5], v[6:7], v[4:5]
	s_delay_alu instid0(VALU_DEP_1) | instskip(NEXT) | instid1(VALU_DEP_1)
	v_mul_f64 v[6:7], v[116:117], v[4:5]
	v_fma_f64 v[0:1], -v[0:1], v[6:7], v[116:117]
	s_delay_alu instid0(VALU_DEP_1) | instskip(NEXT) | instid1(VALU_DEP_1)
	v_div_fmas_f64 v[0:1], v[0:1], v[4:5], v[6:7]
	v_div_fixup_f64 v[0:1], v[0:1], v[114:115], v[112:113]
	s_delay_alu instid0(VALU_DEP_1) | instskip(NEXT) | instid1(VALU_DEP_1)
	v_fma_f64 v[4:5], v[112:113], v[0:1], v[114:115]
	v_div_scale_f64 v[6:7], null, v[4:5], v[4:5], 1.0
	s_delay_alu instid0(VALU_DEP_1) | instskip(SKIP_2) | instid1(VALU_DEP_1)
	v_rcp_f64_e32 v[112:113], v[6:7]
	s_waitcnt_depctr 0xfff
	v_fma_f64 v[114:115], -v[6:7], v[112:113], 1.0
	v_fma_f64 v[112:113], v[112:113], v[114:115], v[112:113]
	s_delay_alu instid0(VALU_DEP_1) | instskip(NEXT) | instid1(VALU_DEP_1)
	v_fma_f64 v[114:115], -v[6:7], v[112:113], 1.0
	v_fma_f64 v[112:113], v[112:113], v[114:115], v[112:113]
	v_div_scale_f64 v[114:115], vcc_lo, 1.0, v[4:5], 1.0
	s_delay_alu instid0(VALU_DEP_1) | instskip(NEXT) | instid1(VALU_DEP_1)
	v_mul_f64 v[116:117], v[114:115], v[112:113]
	v_fma_f64 v[6:7], -v[6:7], v[116:117], v[114:115]
	s_delay_alu instid0(VALU_DEP_1) | instskip(NEXT) | instid1(VALU_DEP_1)
	v_div_fmas_f64 v[6:7], v[6:7], v[112:113], v[116:117]
                                        ; implicit-def: $vgpr112_vgpr113
	v_div_fixup_f64 v[118:119], v[6:7], v[4:5], 1.0
	s_delay_alu instid0(VALU_DEP_1)
	v_mul_f64 v[0:1], v[0:1], v[118:119]
	v_xor_b32_e32 v119, 0x80000000, v119
.LBB121_357:
	s_and_not1_saveexec_b32 s3, s3
	s_cbranch_execz .LBB121_359
; %bb.358:
	v_div_scale_f64 v[0:1], null, v[112:113], v[112:113], v[114:115]
	v_div_scale_f64 v[116:117], vcc_lo, v[114:115], v[112:113], v[114:115]
	s_delay_alu instid0(VALU_DEP_2) | instskip(SKIP_2) | instid1(VALU_DEP_1)
	v_rcp_f64_e32 v[4:5], v[0:1]
	s_waitcnt_depctr 0xfff
	v_fma_f64 v[6:7], -v[0:1], v[4:5], 1.0
	v_fma_f64 v[4:5], v[4:5], v[6:7], v[4:5]
	s_delay_alu instid0(VALU_DEP_1) | instskip(NEXT) | instid1(VALU_DEP_1)
	v_fma_f64 v[6:7], -v[0:1], v[4:5], 1.0
	v_fma_f64 v[4:5], v[4:5], v[6:7], v[4:5]
	s_delay_alu instid0(VALU_DEP_1) | instskip(NEXT) | instid1(VALU_DEP_1)
	v_mul_f64 v[6:7], v[116:117], v[4:5]
	v_fma_f64 v[0:1], -v[0:1], v[6:7], v[116:117]
	s_delay_alu instid0(VALU_DEP_1) | instskip(NEXT) | instid1(VALU_DEP_1)
	v_div_fmas_f64 v[0:1], v[0:1], v[4:5], v[6:7]
	v_div_fixup_f64 v[4:5], v[0:1], v[112:113], v[114:115]
	s_delay_alu instid0(VALU_DEP_1) | instskip(NEXT) | instid1(VALU_DEP_1)
	v_fma_f64 v[0:1], v[114:115], v[4:5], v[112:113]
	v_div_scale_f64 v[6:7], null, v[0:1], v[0:1], 1.0
	s_delay_alu instid0(VALU_DEP_1) | instskip(SKIP_2) | instid1(VALU_DEP_1)
	v_rcp_f64_e32 v[112:113], v[6:7]
	s_waitcnt_depctr 0xfff
	v_fma_f64 v[114:115], -v[6:7], v[112:113], 1.0
	v_fma_f64 v[112:113], v[112:113], v[114:115], v[112:113]
	s_delay_alu instid0(VALU_DEP_1) | instskip(NEXT) | instid1(VALU_DEP_1)
	v_fma_f64 v[114:115], -v[6:7], v[112:113], 1.0
	v_fma_f64 v[112:113], v[112:113], v[114:115], v[112:113]
	v_div_scale_f64 v[114:115], vcc_lo, 1.0, v[0:1], 1.0
	s_delay_alu instid0(VALU_DEP_1) | instskip(NEXT) | instid1(VALU_DEP_1)
	v_mul_f64 v[116:117], v[114:115], v[112:113]
	v_fma_f64 v[6:7], -v[6:7], v[116:117], v[114:115]
	s_delay_alu instid0(VALU_DEP_1) | instskip(NEXT) | instid1(VALU_DEP_1)
	v_div_fmas_f64 v[6:7], v[6:7], v[112:113], v[116:117]
	v_div_fixup_f64 v[0:1], v[6:7], v[0:1], 1.0
	s_delay_alu instid0(VALU_DEP_1)
	v_mul_f64 v[118:119], v[4:5], -v[0:1]
.LBB121_359:
	s_or_b32 exec_lo, exec_lo, s3
	ds_store_2addr_b64 v251, v[0:1], v[118:119] offset1:1
.LBB121_360:
	s_or_b32 exec_lo, exec_lo, s4
	s_waitcnt lgkmcnt(0)
	s_barrier
	buffer_gl0_inv
	ds_load_2addr_b64 v[112:115], v251 offset1:1
	s_mov_b32 s3, exec_lo
	v_cmpx_lt_u32_e32 28, v254
	s_cbranch_execz .LBB121_363
; %bb.361:
	scratch_load_b128 v[118:121], off, off offset:448
	s_mov_b32 s4, 0
	s_waitcnt vmcnt(0) lgkmcnt(0)
	v_mul_f64 v[0:1], v[114:115], v[120:121]
	s_delay_alu instid0(VALU_DEP_1) | instskip(SKIP_1) | instid1(VALU_DEP_1)
	v_fma_f64 v[116:117], v[112:113], v[118:119], -v[0:1]
	v_mul_f64 v[0:1], v[112:113], v[120:121]
	v_fma_f64 v[118:119], v[114:115], v[118:119], v[0:1]
	v_add3_u32 v0, v176, 0, 0x1d0
	v_mov_b32_e32 v1, 0
	scratch_store_b128 off, v[116:119], off offset:448
.LBB121_362:                            ; =>This Inner Loop Header: Depth=1
	v_add_nc_u32_e32 v124, s4, v0
	v_readfirstlane_b32 s5, v1
	ds_load_2addr_b64 v[120:123], v124 offset1:1
	s_add_i32 s5, s5, s4
	s_add_i32 s4, s4, 64
	;; [unrolled: 1-line block ×3, first 2 shown]
	s_waitcnt lgkmcnt(0)
	v_mul_f64 v[4:5], v[122:123], v[118:119]
	v_mul_f64 v[6:7], v[120:121], v[118:119]
	s_delay_alu instid0(VALU_DEP_2) | instskip(NEXT) | instid1(VALU_DEP_2)
	v_fma_f64 v[4:5], v[120:121], v[116:117], -v[4:5]
	v_fma_f64 v[6:7], v[122:123], v[116:117], v[6:7]
	scratch_load_b128 v[120:123], off, s6
	s_waitcnt vmcnt(0)
	v_add_f64 v[120:121], v[120:121], -v[4:5]
	v_add_f64 v[122:123], v[122:123], -v[6:7]
	scratch_store_b128 off, v[120:123], s6
	ds_load_2addr_b64 v[120:123], v124 offset0:2 offset1:3
	s_add_i32 s6, s5, 0x1e0
	s_waitcnt lgkmcnt(0)
	v_mul_f64 v[4:5], v[122:123], v[118:119]
	v_mul_f64 v[6:7], v[120:121], v[118:119]
	s_delay_alu instid0(VALU_DEP_2) | instskip(NEXT) | instid1(VALU_DEP_2)
	v_fma_f64 v[4:5], v[120:121], v[116:117], -v[4:5]
	v_fma_f64 v[6:7], v[122:123], v[116:117], v[6:7]
	scratch_load_b128 v[120:123], off, s6
	s_waitcnt vmcnt(0)
	v_add_f64 v[120:121], v[120:121], -v[4:5]
	v_add_f64 v[122:123], v[122:123], -v[6:7]
	scratch_store_b128 off, v[120:123], s6
	ds_load_2addr_b64 v[120:123], v124 offset0:4 offset1:5
	s_add_i32 s6, s5, 0x1f0
	s_addk_i32 s5, 0x200
	s_cmpk_lg_i32 s4, 0x200
	s_waitcnt lgkmcnt(0)
	v_mul_f64 v[4:5], v[122:123], v[118:119]
	v_mul_f64 v[6:7], v[120:121], v[118:119]
	s_delay_alu instid0(VALU_DEP_2) | instskip(NEXT) | instid1(VALU_DEP_2)
	v_fma_f64 v[4:5], v[120:121], v[116:117], -v[4:5]
	v_fma_f64 v[6:7], v[122:123], v[116:117], v[6:7]
	scratch_load_b128 v[120:123], off, s6
	s_waitcnt vmcnt(0)
	v_add_f64 v[120:121], v[120:121], -v[4:5]
	v_add_f64 v[122:123], v[122:123], -v[6:7]
	scratch_store_b128 off, v[120:123], s6
	ds_load_2addr_b64 v[120:123], v124 offset0:6 offset1:7
	s_waitcnt lgkmcnt(0)
	v_mul_f64 v[4:5], v[122:123], v[118:119]
	v_mul_f64 v[6:7], v[120:121], v[118:119]
	s_delay_alu instid0(VALU_DEP_2) | instskip(NEXT) | instid1(VALU_DEP_2)
	v_fma_f64 v[4:5], v[120:121], v[116:117], -v[4:5]
	v_fma_f64 v[6:7], v[122:123], v[116:117], v[6:7]
	scratch_load_b128 v[120:123], off, s5
	s_waitcnt vmcnt(0)
	v_add_f64 v[120:121], v[120:121], -v[4:5]
	v_add_f64 v[122:123], v[122:123], -v[6:7]
	scratch_store_b128 off, v[120:123], s5
	s_cbranch_scc1 .LBB121_362
.LBB121_363:
	s_or_b32 exec_lo, exec_lo, s3
	s_delay_alu instid0(SALU_CYCLE_1)
	s_mov_b32 s4, exec_lo
	s_waitcnt lgkmcnt(0)
	s_waitcnt_vscnt null, 0x0
	s_barrier
	buffer_gl0_inv
	v_cmpx_eq_u32_e32 29, v254
	s_cbranch_execz .LBB121_370
; %bb.364:
	scratch_load_b32 v0, off, off offset:1064 ; 4-byte Folded Reload
	s_waitcnt vmcnt(0)
	scratch_load_b128 v[116:119], v0, off
	scratch_load_b32 v0, off, off offset:1060 ; 4-byte Folded Reload
	s_waitcnt vmcnt(1)
	ds_store_2addr_b64 v251, v[116:117], v[118:119] offset1:1
	s_waitcnt vmcnt(0)
	scratch_load_b128 v[116:119], v0, off
	scratch_load_b32 v0, off, off offset:1056 ; 4-byte Folded Reload
	s_waitcnt vmcnt(1)
	ds_store_2addr_b64 v244, v[116:117], v[118:119] offset0:60 offset1:61
	s_waitcnt vmcnt(0)
	scratch_load_b128 v[116:119], v0, off
	scratch_load_b32 v0, off, off offset:1052 ; 4-byte Folded Reload
	s_waitcnt vmcnt(1)
	ds_store_2addr_b64 v244, v[116:117], v[118:119] offset0:62 offset1:63
	;; [unrolled: 5-line block ×21, first 2 shown]
	s_waitcnt vmcnt(0)
	scratch_load_b128 v[116:119], v0, off
	s_waitcnt vmcnt(0)
	ds_store_2addr_b64 v244, v[116:117], v[118:119] offset0:102 offset1:103
	scratch_load_b128 v[116:119], v245, off
	s_waitcnt vmcnt(0)
	ds_store_2addr_b64 v244, v[116:117], v[118:119] offset0:104 offset1:105
	;; [unrolled: 3-line block ×10, first 2 shown]
	ds_load_2addr_b64 v[116:119], v251 offset1:1
	s_waitcnt lgkmcnt(0)
	v_cmp_neq_f64_e32 vcc_lo, 0, v[116:117]
	v_cmp_neq_f64_e64 s3, 0, v[118:119]
	s_delay_alu instid0(VALU_DEP_1) | instskip(NEXT) | instid1(SALU_CYCLE_1)
	s_or_b32 s3, vcc_lo, s3
	s_and_b32 exec_lo, exec_lo, s3
	s_cbranch_execz .LBB121_370
; %bb.365:
	v_cmp_gt_f64_e32 vcc_lo, 0, v[116:117]
	v_xor_b32_e32 v0, 0x80000000, v117
	v_xor_b32_e32 v4, 0x80000000, v119
	s_delay_alu instid0(VALU_DEP_2) | instskip(SKIP_2) | instid1(VALU_DEP_4)
	v_cndmask_b32_e32 v1, v117, v0, vcc_lo
	v_cndmask_b32_e32 v0, v116, v116, vcc_lo
	v_cmp_gt_f64_e32 vcc_lo, 0, v[118:119]
	v_dual_cndmask_b32 v5, v119, v4 :: v_dual_cndmask_b32 v4, v118, v118
	s_delay_alu instid0(VALU_DEP_1) | instskip(SKIP_1) | instid1(SALU_CYCLE_1)
	v_cmp_ngt_f64_e32 vcc_lo, v[0:1], v[4:5]
                                        ; implicit-def: $vgpr0_vgpr1
	s_and_saveexec_b32 s3, vcc_lo
	s_xor_b32 s3, exec_lo, s3
                                        ; implicit-def: $vgpr120_vgpr121_vgpr122_vgpr123
	s_cbranch_execz .LBB121_367
; %bb.366:
	v_div_scale_f64 v[0:1], null, v[118:119], v[118:119], v[116:117]
	v_div_scale_f64 v[120:121], vcc_lo, v[116:117], v[118:119], v[116:117]
	s_delay_alu instid0(VALU_DEP_2) | instskip(SKIP_2) | instid1(VALU_DEP_1)
	v_rcp_f64_e32 v[4:5], v[0:1]
	s_waitcnt_depctr 0xfff
	v_fma_f64 v[6:7], -v[0:1], v[4:5], 1.0
	v_fma_f64 v[4:5], v[4:5], v[6:7], v[4:5]
	s_delay_alu instid0(VALU_DEP_1) | instskip(NEXT) | instid1(VALU_DEP_1)
	v_fma_f64 v[6:7], -v[0:1], v[4:5], 1.0
	v_fma_f64 v[4:5], v[4:5], v[6:7], v[4:5]
	s_delay_alu instid0(VALU_DEP_1) | instskip(NEXT) | instid1(VALU_DEP_1)
	v_mul_f64 v[6:7], v[120:121], v[4:5]
	v_fma_f64 v[0:1], -v[0:1], v[6:7], v[120:121]
	s_delay_alu instid0(VALU_DEP_1) | instskip(NEXT) | instid1(VALU_DEP_1)
	v_div_fmas_f64 v[0:1], v[0:1], v[4:5], v[6:7]
	v_div_fixup_f64 v[0:1], v[0:1], v[118:119], v[116:117]
	s_delay_alu instid0(VALU_DEP_1) | instskip(NEXT) | instid1(VALU_DEP_1)
	v_fma_f64 v[4:5], v[116:117], v[0:1], v[118:119]
	v_div_scale_f64 v[6:7], null, v[4:5], v[4:5], 1.0
	s_delay_alu instid0(VALU_DEP_1) | instskip(SKIP_2) | instid1(VALU_DEP_1)
	v_rcp_f64_e32 v[116:117], v[6:7]
	s_waitcnt_depctr 0xfff
	v_fma_f64 v[118:119], -v[6:7], v[116:117], 1.0
	v_fma_f64 v[116:117], v[116:117], v[118:119], v[116:117]
	s_delay_alu instid0(VALU_DEP_1) | instskip(NEXT) | instid1(VALU_DEP_1)
	v_fma_f64 v[118:119], -v[6:7], v[116:117], 1.0
	v_fma_f64 v[116:117], v[116:117], v[118:119], v[116:117]
	v_div_scale_f64 v[118:119], vcc_lo, 1.0, v[4:5], 1.0
	s_delay_alu instid0(VALU_DEP_1) | instskip(NEXT) | instid1(VALU_DEP_1)
	v_mul_f64 v[120:121], v[118:119], v[116:117]
	v_fma_f64 v[6:7], -v[6:7], v[120:121], v[118:119]
	s_delay_alu instid0(VALU_DEP_1) | instskip(NEXT) | instid1(VALU_DEP_1)
	v_div_fmas_f64 v[6:7], v[6:7], v[116:117], v[120:121]
                                        ; implicit-def: $vgpr116_vgpr117
	v_div_fixup_f64 v[122:123], v[6:7], v[4:5], 1.0
	s_delay_alu instid0(VALU_DEP_1)
	v_mul_f64 v[0:1], v[0:1], v[122:123]
	v_xor_b32_e32 v123, 0x80000000, v123
.LBB121_367:
	s_and_not1_saveexec_b32 s3, s3
	s_cbranch_execz .LBB121_369
; %bb.368:
	v_div_scale_f64 v[0:1], null, v[116:117], v[116:117], v[118:119]
	v_div_scale_f64 v[120:121], vcc_lo, v[118:119], v[116:117], v[118:119]
	s_delay_alu instid0(VALU_DEP_2) | instskip(SKIP_2) | instid1(VALU_DEP_1)
	v_rcp_f64_e32 v[4:5], v[0:1]
	s_waitcnt_depctr 0xfff
	v_fma_f64 v[6:7], -v[0:1], v[4:5], 1.0
	v_fma_f64 v[4:5], v[4:5], v[6:7], v[4:5]
	s_delay_alu instid0(VALU_DEP_1) | instskip(NEXT) | instid1(VALU_DEP_1)
	v_fma_f64 v[6:7], -v[0:1], v[4:5], 1.0
	v_fma_f64 v[4:5], v[4:5], v[6:7], v[4:5]
	s_delay_alu instid0(VALU_DEP_1) | instskip(NEXT) | instid1(VALU_DEP_1)
	v_mul_f64 v[6:7], v[120:121], v[4:5]
	v_fma_f64 v[0:1], -v[0:1], v[6:7], v[120:121]
	s_delay_alu instid0(VALU_DEP_1) | instskip(NEXT) | instid1(VALU_DEP_1)
	v_div_fmas_f64 v[0:1], v[0:1], v[4:5], v[6:7]
	v_div_fixup_f64 v[4:5], v[0:1], v[116:117], v[118:119]
	s_delay_alu instid0(VALU_DEP_1) | instskip(NEXT) | instid1(VALU_DEP_1)
	v_fma_f64 v[0:1], v[118:119], v[4:5], v[116:117]
	v_div_scale_f64 v[6:7], null, v[0:1], v[0:1], 1.0
	s_delay_alu instid0(VALU_DEP_1) | instskip(SKIP_2) | instid1(VALU_DEP_1)
	v_rcp_f64_e32 v[116:117], v[6:7]
	s_waitcnt_depctr 0xfff
	v_fma_f64 v[118:119], -v[6:7], v[116:117], 1.0
	v_fma_f64 v[116:117], v[116:117], v[118:119], v[116:117]
	s_delay_alu instid0(VALU_DEP_1) | instskip(NEXT) | instid1(VALU_DEP_1)
	v_fma_f64 v[118:119], -v[6:7], v[116:117], 1.0
	v_fma_f64 v[116:117], v[116:117], v[118:119], v[116:117]
	v_div_scale_f64 v[118:119], vcc_lo, 1.0, v[0:1], 1.0
	s_delay_alu instid0(VALU_DEP_1) | instskip(NEXT) | instid1(VALU_DEP_1)
	v_mul_f64 v[120:121], v[118:119], v[116:117]
	v_fma_f64 v[6:7], -v[6:7], v[120:121], v[118:119]
	s_delay_alu instid0(VALU_DEP_1) | instskip(NEXT) | instid1(VALU_DEP_1)
	v_div_fmas_f64 v[6:7], v[6:7], v[116:117], v[120:121]
	v_div_fixup_f64 v[0:1], v[6:7], v[0:1], 1.0
	s_delay_alu instid0(VALU_DEP_1)
	v_mul_f64 v[122:123], v[4:5], -v[0:1]
.LBB121_369:
	s_or_b32 exec_lo, exec_lo, s3
	ds_store_2addr_b64 v251, v[0:1], v[122:123] offset1:1
.LBB121_370:
	s_or_b32 exec_lo, exec_lo, s4
	s_waitcnt lgkmcnt(0)
	s_barrier
	buffer_gl0_inv
	ds_load_2addr_b64 v[116:119], v251 offset1:1
	s_mov_b32 s3, exec_lo
	v_cmpx_lt_u32_e32 29, v254
	s_cbranch_execz .LBB121_375
; %bb.371:
	scratch_load_b128 v[122:125], off, off offset:464
	s_mov_b32 s4, 0
	s_waitcnt vmcnt(0) lgkmcnt(0)
	v_mul_f64 v[0:1], v[118:119], v[124:125]
	s_delay_alu instid0(VALU_DEP_1) | instskip(SKIP_1) | instid1(VALU_DEP_1)
	v_fma_f64 v[120:121], v[116:117], v[122:123], -v[0:1]
	v_mul_f64 v[0:1], v[116:117], v[124:125]
	v_fma_f64 v[122:123], v[118:119], v[122:123], v[0:1]
	v_add3_u32 v0, v176, 0, 0x1e0
	v_mov_b32_e32 v1, 0
	scratch_store_b128 off, v[120:123], off offset:464
	s_branch .LBB121_373
.LBB121_372:                            ;   in Loop: Header=BB121_373 Depth=1
	s_and_not1_b32 vcc_lo, exec_lo, s6
	s_cbranch_vccz .LBB121_375
.LBB121_373:                            ; =>This Inner Loop Header: Depth=1
	v_add_nc_u32_e32 v124, s4, v0
	v_readfirstlane_b32 s5, v1
	ds_load_2addr_b64 v[125:128], v124 offset1:1
	s_add_i32 s5, s5, s4
	s_delay_alu instid0(SALU_CYCLE_1) | instskip(SKIP_3) | instid1(VALU_DEP_2)
	s_add_i32 s6, s5, 0x1e0
	s_waitcnt lgkmcnt(0)
	v_mul_f64 v[4:5], v[127:128], v[122:123]
	v_mul_f64 v[6:7], v[125:126], v[122:123]
	v_fma_f64 v[4:5], v[125:126], v[120:121], -v[4:5]
	s_delay_alu instid0(VALU_DEP_2)
	v_fma_f64 v[6:7], v[127:128], v[120:121], v[6:7]
	scratch_load_b128 v[125:128], off, s6
	s_waitcnt vmcnt(0)
	v_add_f64 v[125:126], v[125:126], -v[4:5]
	v_add_f64 v[127:128], v[127:128], -v[6:7]
	scratch_store_b128 off, v[125:128], s6
	ds_load_2addr_b64 v[125:128], v124 offset0:2 offset1:3
	s_add_i32 s6, s5, 0x1f0
	s_waitcnt lgkmcnt(0)
	v_mul_f64 v[4:5], v[127:128], v[122:123]
	v_mul_f64 v[6:7], v[125:126], v[122:123]
	s_delay_alu instid0(VALU_DEP_2) | instskip(NEXT) | instid1(VALU_DEP_2)
	v_fma_f64 v[4:5], v[125:126], v[120:121], -v[4:5]
	v_fma_f64 v[6:7], v[127:128], v[120:121], v[6:7]
	scratch_load_b128 v[125:128], off, s6
	s_waitcnt vmcnt(0)
	v_add_f64 v[125:126], v[125:126], -v[4:5]
	v_add_f64 v[127:128], v[127:128], -v[6:7]
	scratch_store_b128 off, v[125:128], s6
	ds_load_2addr_b64 v[125:128], v124 offset0:4 offset1:5
	s_add_i32 s6, s5, 0x200
	s_cmpk_eq_i32 s4, 0x1c0
	s_waitcnt lgkmcnt(0)
	v_mul_f64 v[4:5], v[127:128], v[122:123]
	v_mul_f64 v[6:7], v[125:126], v[122:123]
	s_delay_alu instid0(VALU_DEP_2) | instskip(NEXT) | instid1(VALU_DEP_2)
	v_fma_f64 v[4:5], v[125:126], v[120:121], -v[4:5]
	v_fma_f64 v[6:7], v[127:128], v[120:121], v[6:7]
	scratch_load_b128 v[125:128], off, s6
	s_waitcnt vmcnt(0)
	v_add_f64 v[125:126], v[125:126], -v[4:5]
	v_add_f64 v[127:128], v[127:128], -v[6:7]
	scratch_store_b128 off, v[125:128], s6
	s_mov_b32 s6, -1
	s_cbranch_scc1 .LBB121_372
; %bb.374:                              ;   in Loop: Header=BB121_373 Depth=1
	ds_load_2addr_b64 v[124:127], v124 offset0:6 offset1:7
	s_addk_i32 s5, 0x210
	s_add_i32 s4, s4, 64
	s_mov_b32 s6, 0
	s_waitcnt lgkmcnt(0)
	v_mul_f64 v[4:5], v[126:127], v[122:123]
	v_mul_f64 v[6:7], v[124:125], v[122:123]
	s_delay_alu instid0(VALU_DEP_2) | instskip(NEXT) | instid1(VALU_DEP_2)
	v_fma_f64 v[4:5], v[124:125], v[120:121], -v[4:5]
	v_fma_f64 v[6:7], v[126:127], v[120:121], v[6:7]
	scratch_load_b128 v[124:127], off, s5
	s_waitcnt vmcnt(0)
	v_add_f64 v[124:125], v[124:125], -v[4:5]
	v_add_f64 v[126:127], v[126:127], -v[6:7]
	scratch_store_b128 off, v[124:127], s5
	s_branch .LBB121_372
.LBB121_375:
	s_or_b32 exec_lo, exec_lo, s3
	s_delay_alu instid0(SALU_CYCLE_1)
	s_mov_b32 s4, exec_lo
	s_waitcnt lgkmcnt(0)
	s_waitcnt_vscnt null, 0x0
	s_barrier
	buffer_gl0_inv
	v_cmpx_eq_u32_e32 30, v254
	s_cbranch_execz .LBB121_382
; %bb.376:
	scratch_load_b32 v0, off, off offset:1060 ; 4-byte Folded Reload
	s_waitcnt vmcnt(0)
	scratch_load_b128 v[120:123], v0, off
	scratch_load_b32 v0, off, off offset:1056 ; 4-byte Folded Reload
	s_waitcnt vmcnt(1)
	ds_store_2addr_b64 v251, v[120:121], v[122:123] offset1:1
	s_waitcnt vmcnt(0)
	scratch_load_b128 v[120:123], v0, off
	scratch_load_b32 v0, off, off offset:1052 ; 4-byte Folded Reload
	s_waitcnt vmcnt(1)
	ds_store_2addr_b64 v244, v[120:121], v[122:123] offset0:62 offset1:63
	s_waitcnt vmcnt(0)
	scratch_load_b128 v[120:123], v0, off
	scratch_load_b32 v0, off, off offset:1048 ; 4-byte Folded Reload
	s_waitcnt vmcnt(1)
	ds_store_2addr_b64 v244, v[120:121], v[122:123] offset0:64 offset1:65
	;; [unrolled: 5-line block ×20, first 2 shown]
	s_waitcnt vmcnt(0)
	scratch_load_b128 v[120:123], v0, off
	s_waitcnt vmcnt(0)
	ds_store_2addr_b64 v244, v[120:121], v[122:123] offset0:102 offset1:103
	scratch_load_b128 v[120:123], v245, off
	s_waitcnt vmcnt(0)
	ds_store_2addr_b64 v244, v[120:121], v[122:123] offset0:104 offset1:105
	scratch_load_b128 v[120:123], v250, off
	s_waitcnt vmcnt(0)
	ds_store_2addr_b64 v244, v[120:121], v[122:123] offset0:106 offset1:107
	scratch_load_b128 v[120:123], v253, off
	s_waitcnt vmcnt(0)
	ds_store_2addr_b64 v244, v[120:121], v[122:123] offset0:108 offset1:109
	scratch_load_b128 v[120:123], v252, off
	s_waitcnt vmcnt(0)
	ds_store_2addr_b64 v244, v[120:121], v[122:123] offset0:110 offset1:111
	scratch_load_b128 v[120:123], v249, off
	s_waitcnt vmcnt(0)
	ds_store_2addr_b64 v244, v[120:121], v[122:123] offset0:112 offset1:113
	scratch_load_b128 v[120:123], v248, off
	s_waitcnt vmcnt(0)
	ds_store_2addr_b64 v244, v[120:121], v[122:123] offset0:114 offset1:115
	scratch_load_b128 v[120:123], v255, off
	s_waitcnt vmcnt(0)
	ds_store_2addr_b64 v244, v[120:121], v[122:123] offset0:116 offset1:117
	scratch_load_b128 v[120:123], v3, off
	s_waitcnt vmcnt(0)
	ds_store_2addr_b64 v244, v[120:121], v[122:123] offset0:118 offset1:119
	scratch_load_b128 v[120:123], v2, off
	s_waitcnt vmcnt(0)
	ds_store_2addr_b64 v244, v[120:121], v[122:123] offset0:120 offset1:121
	ds_load_2addr_b64 v[120:123], v251 offset1:1
	s_waitcnt lgkmcnt(0)
	v_cmp_neq_f64_e32 vcc_lo, 0, v[120:121]
	v_cmp_neq_f64_e64 s3, 0, v[122:123]
	s_delay_alu instid0(VALU_DEP_1) | instskip(NEXT) | instid1(SALU_CYCLE_1)
	s_or_b32 s3, vcc_lo, s3
	s_and_b32 exec_lo, exec_lo, s3
	s_cbranch_execz .LBB121_382
; %bb.377:
	v_cmp_gt_f64_e32 vcc_lo, 0, v[120:121]
	v_xor_b32_e32 v0, 0x80000000, v121
	v_xor_b32_e32 v4, 0x80000000, v123
	s_delay_alu instid0(VALU_DEP_2) | instskip(SKIP_2) | instid1(VALU_DEP_4)
	v_cndmask_b32_e32 v1, v121, v0, vcc_lo
	v_cndmask_b32_e32 v0, v120, v120, vcc_lo
	v_cmp_gt_f64_e32 vcc_lo, 0, v[122:123]
	v_dual_cndmask_b32 v5, v123, v4 :: v_dual_cndmask_b32 v4, v122, v122
	s_delay_alu instid0(VALU_DEP_1) | instskip(SKIP_1) | instid1(SALU_CYCLE_1)
	v_cmp_ngt_f64_e32 vcc_lo, v[0:1], v[4:5]
                                        ; implicit-def: $vgpr0_vgpr1
	s_and_saveexec_b32 s3, vcc_lo
	s_xor_b32 s3, exec_lo, s3
                                        ; implicit-def: $vgpr124_vgpr125_vgpr126_vgpr127
	s_cbranch_execz .LBB121_379
; %bb.378:
	v_div_scale_f64 v[0:1], null, v[122:123], v[122:123], v[120:121]
	v_div_scale_f64 v[124:125], vcc_lo, v[120:121], v[122:123], v[120:121]
	s_delay_alu instid0(VALU_DEP_2) | instskip(SKIP_2) | instid1(VALU_DEP_1)
	v_rcp_f64_e32 v[4:5], v[0:1]
	s_waitcnt_depctr 0xfff
	v_fma_f64 v[6:7], -v[0:1], v[4:5], 1.0
	v_fma_f64 v[4:5], v[4:5], v[6:7], v[4:5]
	s_delay_alu instid0(VALU_DEP_1) | instskip(NEXT) | instid1(VALU_DEP_1)
	v_fma_f64 v[6:7], -v[0:1], v[4:5], 1.0
	v_fma_f64 v[4:5], v[4:5], v[6:7], v[4:5]
	s_delay_alu instid0(VALU_DEP_1) | instskip(NEXT) | instid1(VALU_DEP_1)
	v_mul_f64 v[6:7], v[124:125], v[4:5]
	v_fma_f64 v[0:1], -v[0:1], v[6:7], v[124:125]
	s_delay_alu instid0(VALU_DEP_1) | instskip(NEXT) | instid1(VALU_DEP_1)
	v_div_fmas_f64 v[0:1], v[0:1], v[4:5], v[6:7]
	v_div_fixup_f64 v[0:1], v[0:1], v[122:123], v[120:121]
	s_delay_alu instid0(VALU_DEP_1) | instskip(NEXT) | instid1(VALU_DEP_1)
	v_fma_f64 v[4:5], v[120:121], v[0:1], v[122:123]
	v_div_scale_f64 v[6:7], null, v[4:5], v[4:5], 1.0
	s_delay_alu instid0(VALU_DEP_1) | instskip(SKIP_2) | instid1(VALU_DEP_1)
	v_rcp_f64_e32 v[120:121], v[6:7]
	s_waitcnt_depctr 0xfff
	v_fma_f64 v[122:123], -v[6:7], v[120:121], 1.0
	v_fma_f64 v[120:121], v[120:121], v[122:123], v[120:121]
	s_delay_alu instid0(VALU_DEP_1) | instskip(NEXT) | instid1(VALU_DEP_1)
	v_fma_f64 v[122:123], -v[6:7], v[120:121], 1.0
	v_fma_f64 v[120:121], v[120:121], v[122:123], v[120:121]
	v_div_scale_f64 v[122:123], vcc_lo, 1.0, v[4:5], 1.0
	s_delay_alu instid0(VALU_DEP_1) | instskip(NEXT) | instid1(VALU_DEP_1)
	v_mul_f64 v[124:125], v[122:123], v[120:121]
	v_fma_f64 v[6:7], -v[6:7], v[124:125], v[122:123]
	s_delay_alu instid0(VALU_DEP_1) | instskip(NEXT) | instid1(VALU_DEP_1)
	v_div_fmas_f64 v[6:7], v[6:7], v[120:121], v[124:125]
                                        ; implicit-def: $vgpr120_vgpr121
	v_div_fixup_f64 v[126:127], v[6:7], v[4:5], 1.0
	s_delay_alu instid0(VALU_DEP_1)
	v_mul_f64 v[0:1], v[0:1], v[126:127]
	v_xor_b32_e32 v127, 0x80000000, v127
.LBB121_379:
	s_and_not1_saveexec_b32 s3, s3
	s_cbranch_execz .LBB121_381
; %bb.380:
	v_div_scale_f64 v[0:1], null, v[120:121], v[120:121], v[122:123]
	v_div_scale_f64 v[124:125], vcc_lo, v[122:123], v[120:121], v[122:123]
	s_delay_alu instid0(VALU_DEP_2) | instskip(SKIP_2) | instid1(VALU_DEP_1)
	v_rcp_f64_e32 v[4:5], v[0:1]
	s_waitcnt_depctr 0xfff
	v_fma_f64 v[6:7], -v[0:1], v[4:5], 1.0
	v_fma_f64 v[4:5], v[4:5], v[6:7], v[4:5]
	s_delay_alu instid0(VALU_DEP_1) | instskip(NEXT) | instid1(VALU_DEP_1)
	v_fma_f64 v[6:7], -v[0:1], v[4:5], 1.0
	v_fma_f64 v[4:5], v[4:5], v[6:7], v[4:5]
	s_delay_alu instid0(VALU_DEP_1) | instskip(NEXT) | instid1(VALU_DEP_1)
	v_mul_f64 v[6:7], v[124:125], v[4:5]
	v_fma_f64 v[0:1], -v[0:1], v[6:7], v[124:125]
	s_delay_alu instid0(VALU_DEP_1) | instskip(NEXT) | instid1(VALU_DEP_1)
	v_div_fmas_f64 v[0:1], v[0:1], v[4:5], v[6:7]
	v_div_fixup_f64 v[4:5], v[0:1], v[120:121], v[122:123]
	s_delay_alu instid0(VALU_DEP_1) | instskip(NEXT) | instid1(VALU_DEP_1)
	v_fma_f64 v[0:1], v[122:123], v[4:5], v[120:121]
	v_div_scale_f64 v[6:7], null, v[0:1], v[0:1], 1.0
	s_delay_alu instid0(VALU_DEP_1) | instskip(SKIP_2) | instid1(VALU_DEP_1)
	v_rcp_f64_e32 v[120:121], v[6:7]
	s_waitcnt_depctr 0xfff
	v_fma_f64 v[122:123], -v[6:7], v[120:121], 1.0
	v_fma_f64 v[120:121], v[120:121], v[122:123], v[120:121]
	s_delay_alu instid0(VALU_DEP_1) | instskip(NEXT) | instid1(VALU_DEP_1)
	v_fma_f64 v[122:123], -v[6:7], v[120:121], 1.0
	v_fma_f64 v[120:121], v[120:121], v[122:123], v[120:121]
	v_div_scale_f64 v[122:123], vcc_lo, 1.0, v[0:1], 1.0
	s_delay_alu instid0(VALU_DEP_1) | instskip(NEXT) | instid1(VALU_DEP_1)
	v_mul_f64 v[124:125], v[122:123], v[120:121]
	v_fma_f64 v[6:7], -v[6:7], v[124:125], v[122:123]
	s_delay_alu instid0(VALU_DEP_1) | instskip(NEXT) | instid1(VALU_DEP_1)
	v_div_fmas_f64 v[6:7], v[6:7], v[120:121], v[124:125]
	v_div_fixup_f64 v[0:1], v[6:7], v[0:1], 1.0
	s_delay_alu instid0(VALU_DEP_1)
	v_mul_f64 v[126:127], v[4:5], -v[0:1]
.LBB121_381:
	s_or_b32 exec_lo, exec_lo, s3
	ds_store_2addr_b64 v251, v[0:1], v[126:127] offset1:1
.LBB121_382:
	s_or_b32 exec_lo, exec_lo, s4
	s_waitcnt lgkmcnt(0)
	s_barrier
	buffer_gl0_inv
	ds_load_2addr_b64 v[120:123], v251 offset1:1
	s_mov_b32 s3, exec_lo
	v_cmpx_lt_u32_e32 30, v254
	s_cbranch_execz .LBB121_385
; %bb.383:
	scratch_load_b128 v[126:129], off, off offset:480
	s_mov_b32 s4, 0
	s_waitcnt vmcnt(0) lgkmcnt(0)
	v_mul_f64 v[0:1], v[122:123], v[128:129]
	s_delay_alu instid0(VALU_DEP_1) | instskip(SKIP_1) | instid1(VALU_DEP_1)
	v_fma_f64 v[124:125], v[120:121], v[126:127], -v[0:1]
	v_mul_f64 v[0:1], v[120:121], v[128:129]
	v_fma_f64 v[126:127], v[122:123], v[126:127], v[0:1]
	v_add3_u32 v0, v176, 0, 0x1f0
	v_mov_b32_e32 v1, 0
	scratch_store_b128 off, v[124:127], off offset:480
.LBB121_384:                            ; =>This Inner Loop Header: Depth=1
	v_add_nc_u32_e32 v132, s4, v0
	v_readfirstlane_b32 s5, v1
	ds_load_2addr_b64 v[128:131], v132 offset1:1
	s_add_i32 s5, s5, s4
	s_addk_i32 s4, 0x60
	s_add_i32 s6, s5, 0x1f0
	s_waitcnt lgkmcnt(0)
	v_mul_f64 v[4:5], v[130:131], v[126:127]
	v_mul_f64 v[6:7], v[128:129], v[126:127]
	s_delay_alu instid0(VALU_DEP_2) | instskip(NEXT) | instid1(VALU_DEP_2)
	v_fma_f64 v[4:5], v[128:129], v[124:125], -v[4:5]
	v_fma_f64 v[6:7], v[130:131], v[124:125], v[6:7]
	scratch_load_b128 v[128:131], off, s6
	s_waitcnt vmcnt(0)
	v_add_f64 v[128:129], v[128:129], -v[4:5]
	v_add_f64 v[130:131], v[130:131], -v[6:7]
	scratch_store_b128 off, v[128:131], s6
	ds_load_2addr_b64 v[128:131], v132 offset0:2 offset1:3
	s_add_i32 s6, s5, 0x200
	s_waitcnt lgkmcnt(0)
	v_mul_f64 v[4:5], v[130:131], v[126:127]
	v_mul_f64 v[6:7], v[128:129], v[126:127]
	s_delay_alu instid0(VALU_DEP_2) | instskip(NEXT) | instid1(VALU_DEP_2)
	v_fma_f64 v[4:5], v[128:129], v[124:125], -v[4:5]
	v_fma_f64 v[6:7], v[130:131], v[124:125], v[6:7]
	scratch_load_b128 v[128:131], off, s6
	s_waitcnt vmcnt(0)
	v_add_f64 v[128:129], v[128:129], -v[4:5]
	v_add_f64 v[130:131], v[130:131], -v[6:7]
	scratch_store_b128 off, v[128:131], s6
	ds_load_2addr_b64 v[128:131], v132 offset0:4 offset1:5
	;; [unrolled: 13-line block ×4, first 2 shown]
	s_add_i32 s6, s5, 0x230
	s_addk_i32 s5, 0x240
	s_cmpk_lg_i32 s4, 0x1e0
	s_waitcnt lgkmcnt(0)
	v_mul_f64 v[4:5], v[130:131], v[126:127]
	v_mul_f64 v[6:7], v[128:129], v[126:127]
	s_delay_alu instid0(VALU_DEP_2) | instskip(NEXT) | instid1(VALU_DEP_2)
	v_fma_f64 v[4:5], v[128:129], v[124:125], -v[4:5]
	v_fma_f64 v[6:7], v[130:131], v[124:125], v[6:7]
	scratch_load_b128 v[128:131], off, s6
	s_waitcnt vmcnt(0)
	v_add_f64 v[128:129], v[128:129], -v[4:5]
	v_add_f64 v[130:131], v[130:131], -v[6:7]
	scratch_store_b128 off, v[128:131], s6
	ds_load_2addr_b64 v[128:131], v132 offset0:10 offset1:11
	s_waitcnt lgkmcnt(0)
	v_mul_f64 v[4:5], v[130:131], v[126:127]
	v_mul_f64 v[6:7], v[128:129], v[126:127]
	s_delay_alu instid0(VALU_DEP_2) | instskip(NEXT) | instid1(VALU_DEP_2)
	v_fma_f64 v[4:5], v[128:129], v[124:125], -v[4:5]
	v_fma_f64 v[6:7], v[130:131], v[124:125], v[6:7]
	scratch_load_b128 v[128:131], off, s5
	s_waitcnt vmcnt(0)
	v_add_f64 v[128:129], v[128:129], -v[4:5]
	v_add_f64 v[130:131], v[130:131], -v[6:7]
	scratch_store_b128 off, v[128:131], s5
	s_cbranch_scc1 .LBB121_384
.LBB121_385:
	s_or_b32 exec_lo, exec_lo, s3
	s_delay_alu instid0(SALU_CYCLE_1)
	s_mov_b32 s4, exec_lo
	s_waitcnt lgkmcnt(0)
	s_waitcnt_vscnt null, 0x0
	s_barrier
	buffer_gl0_inv
	v_cmpx_eq_u32_e32 31, v254
	s_cbranch_execz .LBB121_392
; %bb.386:
	scratch_load_b32 v0, off, off offset:1056 ; 4-byte Folded Reload
	s_waitcnt vmcnt(0)
	scratch_load_b128 v[124:127], v0, off
	scratch_load_b32 v0, off, off offset:1052 ; 4-byte Folded Reload
	s_waitcnt vmcnt(1)
	ds_store_2addr_b64 v251, v[124:125], v[126:127] offset1:1
	s_waitcnt vmcnt(0)
	scratch_load_b128 v[124:127], v0, off
	scratch_load_b32 v0, off, off offset:1048 ; 4-byte Folded Reload
	s_waitcnt vmcnt(1)
	ds_store_2addr_b64 v244, v[124:125], v[126:127] offset0:64 offset1:65
	s_waitcnt vmcnt(0)
	scratch_load_b128 v[124:127], v0, off
	scratch_load_b32 v0, off, off offset:1044 ; 4-byte Folded Reload
	s_waitcnt vmcnt(1)
	ds_store_2addr_b64 v244, v[124:125], v[126:127] offset0:66 offset1:67
	s_waitcnt vmcnt(0)
	scratch_load_b128 v[124:127], v0, off
	scratch_load_b32 v0, off, off offset:1040 ; 4-byte Folded Reload
	s_waitcnt vmcnt(1)
	ds_store_2addr_b64 v244, v[124:125], v[126:127] offset0:68 offset1:69
	s_waitcnt vmcnt(0)
	scratch_load_b128 v[124:127], v0, off
	scratch_load_b32 v0, off, off offset:1036 ; 4-byte Folded Reload
	s_waitcnt vmcnt(1)
	ds_store_2addr_b64 v244, v[124:125], v[126:127] offset0:70 offset1:71
	s_waitcnt vmcnt(0)
	scratch_load_b128 v[124:127], v0, off
	scratch_load_b32 v0, off, off offset:1032 ; 4-byte Folded Reload
	s_waitcnt vmcnt(1)
	ds_store_2addr_b64 v244, v[124:125], v[126:127] offset0:72 offset1:73
	s_waitcnt vmcnt(0)
	scratch_load_b128 v[124:127], v0, off
	scratch_load_b32 v0, off, off offset:1028 ; 4-byte Folded Reload
	s_waitcnt vmcnt(1)
	ds_store_2addr_b64 v244, v[124:125], v[126:127] offset0:74 offset1:75
	s_waitcnt vmcnt(0)
	scratch_load_b128 v[124:127], v0, off
	scratch_load_b32 v0, off, off offset:1024 ; 4-byte Folded Reload
	s_waitcnt vmcnt(1)
	ds_store_2addr_b64 v244, v[124:125], v[126:127] offset0:76 offset1:77
	s_waitcnt vmcnt(0)
	scratch_load_b128 v[124:127], v0, off
	scratch_load_b32 v0, off, off offset:1020 ; 4-byte Folded Reload
	s_waitcnt vmcnt(1)
	ds_store_2addr_b64 v244, v[124:125], v[126:127] offset0:78 offset1:79
	s_waitcnt vmcnt(0)
	scratch_load_b128 v[124:127], v0, off
	scratch_load_b32 v0, off, off offset:1016 ; 4-byte Folded Reload
	s_waitcnt vmcnt(1)
	ds_store_2addr_b64 v244, v[124:125], v[126:127] offset0:80 offset1:81
	s_waitcnt vmcnt(0)
	scratch_load_b128 v[124:127], v0, off
	scratch_load_b32 v0, off, off offset:1012 ; 4-byte Folded Reload
	s_waitcnt vmcnt(1)
	ds_store_2addr_b64 v244, v[124:125], v[126:127] offset0:82 offset1:83
	s_waitcnt vmcnt(0)
	scratch_load_b128 v[124:127], v0, off
	scratch_load_b32 v0, off, off offset:1008 ; 4-byte Folded Reload
	s_waitcnt vmcnt(1)
	ds_store_2addr_b64 v244, v[124:125], v[126:127] offset0:84 offset1:85
	s_waitcnt vmcnt(0)
	scratch_load_b128 v[124:127], v0, off
	scratch_load_b32 v0, off, off offset:1004 ; 4-byte Folded Reload
	s_waitcnt vmcnt(1)
	ds_store_2addr_b64 v244, v[124:125], v[126:127] offset0:86 offset1:87
	s_waitcnt vmcnt(0)
	scratch_load_b128 v[124:127], v0, off
	scratch_load_b32 v0, off, off offset:1000 ; 4-byte Folded Reload
	s_waitcnt vmcnt(1)
	ds_store_2addr_b64 v244, v[124:125], v[126:127] offset0:88 offset1:89
	s_waitcnt vmcnt(0)
	scratch_load_b128 v[124:127], v0, off
	scratch_load_b32 v0, off, off offset:996 ; 4-byte Folded Reload
	s_waitcnt vmcnt(1)
	ds_store_2addr_b64 v244, v[124:125], v[126:127] offset0:90 offset1:91
	s_waitcnt vmcnt(0)
	scratch_load_b128 v[124:127], v0, off
	scratch_load_b32 v0, off, off offset:992 ; 4-byte Folded Reload
	s_waitcnt vmcnt(1)
	ds_store_2addr_b64 v244, v[124:125], v[126:127] offset0:92 offset1:93
	s_waitcnt vmcnt(0)
	scratch_load_b128 v[124:127], v0, off
	scratch_load_b32 v0, off, off offset:988 ; 4-byte Folded Reload
	s_waitcnt vmcnt(1)
	ds_store_2addr_b64 v244, v[124:125], v[126:127] offset0:94 offset1:95
	s_waitcnt vmcnt(0)
	scratch_load_b128 v[124:127], v0, off
	scratch_load_b32 v0, off, off offset:984 ; 4-byte Folded Reload
	s_waitcnt vmcnt(1)
	ds_store_2addr_b64 v244, v[124:125], v[126:127] offset0:96 offset1:97
	s_waitcnt vmcnt(0)
	scratch_load_b128 v[124:127], v0, off
	scratch_load_b32 v0, off, off offset:980 ; 4-byte Folded Reload
	s_waitcnt vmcnt(1)
	ds_store_2addr_b64 v244, v[124:125], v[126:127] offset0:98 offset1:99
	s_waitcnt vmcnt(0)
	scratch_load_b128 v[124:127], v0, off
	scratch_load_b32 v0, off, off offset:976 ; 4-byte Folded Reload
	s_waitcnt vmcnt(1)
	ds_store_2addr_b64 v244, v[124:125], v[126:127] offset0:100 offset1:101
	s_waitcnt vmcnt(0)
	scratch_load_b128 v[124:127], v0, off
	s_waitcnt vmcnt(0)
	ds_store_2addr_b64 v244, v[124:125], v[126:127] offset0:102 offset1:103
	scratch_load_b128 v[124:127], v245, off
	s_waitcnt vmcnt(0)
	ds_store_2addr_b64 v244, v[124:125], v[126:127] offset0:104 offset1:105
	;; [unrolled: 3-line block ×10, first 2 shown]
	ds_load_2addr_b64 v[124:127], v251 offset1:1
	s_waitcnt lgkmcnt(0)
	v_cmp_neq_f64_e32 vcc_lo, 0, v[124:125]
	v_cmp_neq_f64_e64 s3, 0, v[126:127]
	s_delay_alu instid0(VALU_DEP_1) | instskip(NEXT) | instid1(SALU_CYCLE_1)
	s_or_b32 s3, vcc_lo, s3
	s_and_b32 exec_lo, exec_lo, s3
	s_cbranch_execz .LBB121_392
; %bb.387:
	v_cmp_gt_f64_e32 vcc_lo, 0, v[124:125]
	v_xor_b32_e32 v0, 0x80000000, v125
	v_xor_b32_e32 v4, 0x80000000, v127
	s_delay_alu instid0(VALU_DEP_2) | instskip(SKIP_2) | instid1(VALU_DEP_4)
	v_cndmask_b32_e32 v1, v125, v0, vcc_lo
	v_cndmask_b32_e32 v0, v124, v124, vcc_lo
	v_cmp_gt_f64_e32 vcc_lo, 0, v[126:127]
	v_dual_cndmask_b32 v5, v127, v4 :: v_dual_cndmask_b32 v4, v126, v126
	s_delay_alu instid0(VALU_DEP_1) | instskip(SKIP_1) | instid1(SALU_CYCLE_1)
	v_cmp_ngt_f64_e32 vcc_lo, v[0:1], v[4:5]
                                        ; implicit-def: $vgpr0_vgpr1
	s_and_saveexec_b32 s3, vcc_lo
	s_xor_b32 s3, exec_lo, s3
                                        ; implicit-def: $vgpr128_vgpr129_vgpr130_vgpr131
	s_cbranch_execz .LBB121_389
; %bb.388:
	v_div_scale_f64 v[0:1], null, v[126:127], v[126:127], v[124:125]
	v_div_scale_f64 v[128:129], vcc_lo, v[124:125], v[126:127], v[124:125]
	s_delay_alu instid0(VALU_DEP_2) | instskip(SKIP_2) | instid1(VALU_DEP_1)
	v_rcp_f64_e32 v[4:5], v[0:1]
	s_waitcnt_depctr 0xfff
	v_fma_f64 v[6:7], -v[0:1], v[4:5], 1.0
	v_fma_f64 v[4:5], v[4:5], v[6:7], v[4:5]
	s_delay_alu instid0(VALU_DEP_1) | instskip(NEXT) | instid1(VALU_DEP_1)
	v_fma_f64 v[6:7], -v[0:1], v[4:5], 1.0
	v_fma_f64 v[4:5], v[4:5], v[6:7], v[4:5]
	s_delay_alu instid0(VALU_DEP_1) | instskip(NEXT) | instid1(VALU_DEP_1)
	v_mul_f64 v[6:7], v[128:129], v[4:5]
	v_fma_f64 v[0:1], -v[0:1], v[6:7], v[128:129]
	s_delay_alu instid0(VALU_DEP_1) | instskip(NEXT) | instid1(VALU_DEP_1)
	v_div_fmas_f64 v[0:1], v[0:1], v[4:5], v[6:7]
	v_div_fixup_f64 v[0:1], v[0:1], v[126:127], v[124:125]
	s_delay_alu instid0(VALU_DEP_1) | instskip(NEXT) | instid1(VALU_DEP_1)
	v_fma_f64 v[4:5], v[124:125], v[0:1], v[126:127]
	v_div_scale_f64 v[6:7], null, v[4:5], v[4:5], 1.0
	s_delay_alu instid0(VALU_DEP_1) | instskip(SKIP_2) | instid1(VALU_DEP_1)
	v_rcp_f64_e32 v[124:125], v[6:7]
	s_waitcnt_depctr 0xfff
	v_fma_f64 v[126:127], -v[6:7], v[124:125], 1.0
	v_fma_f64 v[124:125], v[124:125], v[126:127], v[124:125]
	s_delay_alu instid0(VALU_DEP_1) | instskip(NEXT) | instid1(VALU_DEP_1)
	v_fma_f64 v[126:127], -v[6:7], v[124:125], 1.0
	v_fma_f64 v[124:125], v[124:125], v[126:127], v[124:125]
	v_div_scale_f64 v[126:127], vcc_lo, 1.0, v[4:5], 1.0
	s_delay_alu instid0(VALU_DEP_1) | instskip(NEXT) | instid1(VALU_DEP_1)
	v_mul_f64 v[128:129], v[126:127], v[124:125]
	v_fma_f64 v[6:7], -v[6:7], v[128:129], v[126:127]
	s_delay_alu instid0(VALU_DEP_1) | instskip(NEXT) | instid1(VALU_DEP_1)
	v_div_fmas_f64 v[6:7], v[6:7], v[124:125], v[128:129]
                                        ; implicit-def: $vgpr124_vgpr125
	v_div_fixup_f64 v[130:131], v[6:7], v[4:5], 1.0
	s_delay_alu instid0(VALU_DEP_1)
	v_mul_f64 v[0:1], v[0:1], v[130:131]
	v_xor_b32_e32 v131, 0x80000000, v131
.LBB121_389:
	s_and_not1_saveexec_b32 s3, s3
	s_cbranch_execz .LBB121_391
; %bb.390:
	v_div_scale_f64 v[0:1], null, v[124:125], v[124:125], v[126:127]
	v_div_scale_f64 v[128:129], vcc_lo, v[126:127], v[124:125], v[126:127]
	s_delay_alu instid0(VALU_DEP_2) | instskip(SKIP_2) | instid1(VALU_DEP_1)
	v_rcp_f64_e32 v[4:5], v[0:1]
	s_waitcnt_depctr 0xfff
	v_fma_f64 v[6:7], -v[0:1], v[4:5], 1.0
	v_fma_f64 v[4:5], v[4:5], v[6:7], v[4:5]
	s_delay_alu instid0(VALU_DEP_1) | instskip(NEXT) | instid1(VALU_DEP_1)
	v_fma_f64 v[6:7], -v[0:1], v[4:5], 1.0
	v_fma_f64 v[4:5], v[4:5], v[6:7], v[4:5]
	s_delay_alu instid0(VALU_DEP_1) | instskip(NEXT) | instid1(VALU_DEP_1)
	v_mul_f64 v[6:7], v[128:129], v[4:5]
	v_fma_f64 v[0:1], -v[0:1], v[6:7], v[128:129]
	s_delay_alu instid0(VALU_DEP_1) | instskip(NEXT) | instid1(VALU_DEP_1)
	v_div_fmas_f64 v[0:1], v[0:1], v[4:5], v[6:7]
	v_div_fixup_f64 v[4:5], v[0:1], v[124:125], v[126:127]
	s_delay_alu instid0(VALU_DEP_1) | instskip(NEXT) | instid1(VALU_DEP_1)
	v_fma_f64 v[0:1], v[126:127], v[4:5], v[124:125]
	v_div_scale_f64 v[6:7], null, v[0:1], v[0:1], 1.0
	s_delay_alu instid0(VALU_DEP_1) | instskip(SKIP_2) | instid1(VALU_DEP_1)
	v_rcp_f64_e32 v[124:125], v[6:7]
	s_waitcnt_depctr 0xfff
	v_fma_f64 v[126:127], -v[6:7], v[124:125], 1.0
	v_fma_f64 v[124:125], v[124:125], v[126:127], v[124:125]
	s_delay_alu instid0(VALU_DEP_1) | instskip(NEXT) | instid1(VALU_DEP_1)
	v_fma_f64 v[126:127], -v[6:7], v[124:125], 1.0
	v_fma_f64 v[124:125], v[124:125], v[126:127], v[124:125]
	v_div_scale_f64 v[126:127], vcc_lo, 1.0, v[0:1], 1.0
	s_delay_alu instid0(VALU_DEP_1) | instskip(NEXT) | instid1(VALU_DEP_1)
	v_mul_f64 v[128:129], v[126:127], v[124:125]
	v_fma_f64 v[6:7], -v[6:7], v[128:129], v[126:127]
	s_delay_alu instid0(VALU_DEP_1) | instskip(NEXT) | instid1(VALU_DEP_1)
	v_div_fmas_f64 v[6:7], v[6:7], v[124:125], v[128:129]
	v_div_fixup_f64 v[0:1], v[6:7], v[0:1], 1.0
	s_delay_alu instid0(VALU_DEP_1)
	v_mul_f64 v[130:131], v[4:5], -v[0:1]
.LBB121_391:
	s_or_b32 exec_lo, exec_lo, s3
	ds_store_2addr_b64 v251, v[0:1], v[130:131] offset1:1
.LBB121_392:
	s_or_b32 exec_lo, exec_lo, s4
	s_waitcnt lgkmcnt(0)
	s_barrier
	buffer_gl0_inv
	ds_load_2addr_b64 v[124:127], v251 offset1:1
	s_mov_b32 s3, exec_lo
	v_cmpx_lt_u32_e32 31, v254
	s_cbranch_execz .LBB121_397
; %bb.393:
	scratch_load_b128 v[130:133], off, off offset:496
	s_mov_b32 s4, 0
	s_waitcnt vmcnt(0) lgkmcnt(0)
	v_mul_f64 v[0:1], v[126:127], v[132:133]
	s_delay_alu instid0(VALU_DEP_1) | instskip(SKIP_1) | instid1(VALU_DEP_1)
	v_fma_f64 v[128:129], v[124:125], v[130:131], -v[0:1]
	v_mul_f64 v[0:1], v[124:125], v[132:133]
	v_fma_f64 v[130:131], v[126:127], v[130:131], v[0:1]
	v_add3_u32 v0, v176, 0, 0x200
	v_mov_b32_e32 v1, 0
	scratch_store_b128 off, v[128:131], off offset:496
	s_branch .LBB121_395
.LBB121_394:                            ;   in Loop: Header=BB121_395 Depth=1
	s_and_not1_b32 vcc_lo, exec_lo, s6
	s_cbranch_vccz .LBB121_397
.LBB121_395:                            ; =>This Inner Loop Header: Depth=1
	v_add_nc_u32_e32 v132, s4, v0
	v_readfirstlane_b32 s5, v1
	ds_load_2addr_b64 v[133:136], v132 offset1:1
	s_add_i32 s5, s5, s4
	s_delay_alu instid0(SALU_CYCLE_1) | instskip(SKIP_4) | instid1(VALU_DEP_2)
	s_add_i32 s6, s5, 0x200
	s_cmpk_eq_i32 s4, 0x1c0
	s_waitcnt lgkmcnt(0)
	v_mul_f64 v[4:5], v[135:136], v[130:131]
	v_mul_f64 v[6:7], v[133:134], v[130:131]
	v_fma_f64 v[4:5], v[133:134], v[128:129], -v[4:5]
	s_delay_alu instid0(VALU_DEP_2)
	v_fma_f64 v[6:7], v[135:136], v[128:129], v[6:7]
	scratch_load_b128 v[133:136], off, s6
	s_waitcnt vmcnt(0)
	v_add_f64 v[133:134], v[133:134], -v[4:5]
	v_add_f64 v[135:136], v[135:136], -v[6:7]
	scratch_store_b128 off, v[133:136], s6
	s_mov_b32 s6, -1
	s_cbranch_scc1 .LBB121_394
; %bb.396:                              ;   in Loop: Header=BB121_395 Depth=1
	ds_load_2addr_b64 v[133:136], v132 offset0:2 offset1:3
	s_add_i32 s6, s5, 0x210
	s_add_i32 s4, s4, 64
	s_waitcnt lgkmcnt(0)
	v_mul_f64 v[4:5], v[135:136], v[130:131]
	v_mul_f64 v[6:7], v[133:134], v[130:131]
	s_delay_alu instid0(VALU_DEP_2) | instskip(NEXT) | instid1(VALU_DEP_2)
	v_fma_f64 v[4:5], v[133:134], v[128:129], -v[4:5]
	v_fma_f64 v[6:7], v[135:136], v[128:129], v[6:7]
	scratch_load_b128 v[133:136], off, s6
	s_waitcnt vmcnt(0)
	v_add_f64 v[133:134], v[133:134], -v[4:5]
	v_add_f64 v[135:136], v[135:136], -v[6:7]
	scratch_store_b128 off, v[133:136], s6
	ds_load_2addr_b64 v[133:136], v132 offset0:4 offset1:5
	s_add_i32 s6, s5, 0x220
	s_addk_i32 s5, 0x230
	s_waitcnt lgkmcnt(0)
	v_mul_f64 v[4:5], v[135:136], v[130:131]
	v_mul_f64 v[6:7], v[133:134], v[130:131]
	s_delay_alu instid0(VALU_DEP_2) | instskip(NEXT) | instid1(VALU_DEP_2)
	v_fma_f64 v[4:5], v[133:134], v[128:129], -v[4:5]
	v_fma_f64 v[6:7], v[135:136], v[128:129], v[6:7]
	scratch_load_b128 v[133:136], off, s6
	s_waitcnt vmcnt(0)
	v_add_f64 v[133:134], v[133:134], -v[4:5]
	v_add_f64 v[135:136], v[135:136], -v[6:7]
	scratch_store_b128 off, v[133:136], s6
	ds_load_2addr_b64 v[132:135], v132 offset0:6 offset1:7
	s_mov_b32 s6, 0
	s_waitcnt lgkmcnt(0)
	v_mul_f64 v[4:5], v[134:135], v[130:131]
	v_mul_f64 v[6:7], v[132:133], v[130:131]
	s_delay_alu instid0(VALU_DEP_2) | instskip(NEXT) | instid1(VALU_DEP_2)
	v_fma_f64 v[4:5], v[132:133], v[128:129], -v[4:5]
	v_fma_f64 v[6:7], v[134:135], v[128:129], v[6:7]
	scratch_load_b128 v[132:135], off, s5
	s_waitcnt vmcnt(0)
	v_add_f64 v[132:133], v[132:133], -v[4:5]
	v_add_f64 v[134:135], v[134:135], -v[6:7]
	scratch_store_b128 off, v[132:135], s5
	s_branch .LBB121_394
.LBB121_397:
	s_or_b32 exec_lo, exec_lo, s3
	s_delay_alu instid0(SALU_CYCLE_1)
	s_mov_b32 s4, exec_lo
	s_waitcnt lgkmcnt(0)
	s_waitcnt_vscnt null, 0x0
	s_barrier
	buffer_gl0_inv
	v_cmpx_eq_u32_e32 32, v254
	s_cbranch_execz .LBB121_404
; %bb.398:
	scratch_load_b32 v0, off, off offset:1052 ; 4-byte Folded Reload
	s_waitcnt vmcnt(0)
	scratch_load_b128 v[128:131], v0, off
	scratch_load_b32 v0, off, off offset:1048 ; 4-byte Folded Reload
	s_waitcnt vmcnt(1)
	ds_store_2addr_b64 v251, v[128:129], v[130:131] offset1:1
	s_waitcnt vmcnt(0)
	scratch_load_b128 v[128:131], v0, off
	scratch_load_b32 v0, off, off offset:1044 ; 4-byte Folded Reload
	s_waitcnt vmcnt(1)
	ds_store_2addr_b64 v244, v[128:129], v[130:131] offset0:66 offset1:67
	s_waitcnt vmcnt(0)
	scratch_load_b128 v[128:131], v0, off
	scratch_load_b32 v0, off, off offset:1040 ; 4-byte Folded Reload
	s_waitcnt vmcnt(1)
	ds_store_2addr_b64 v244, v[128:129], v[130:131] offset0:68 offset1:69
	s_waitcnt vmcnt(0)
	scratch_load_b128 v[128:131], v0, off
	scratch_load_b32 v0, off, off offset:1036 ; 4-byte Folded Reload
	s_waitcnt vmcnt(1)
	ds_store_2addr_b64 v244, v[128:129], v[130:131] offset0:70 offset1:71
	s_waitcnt vmcnt(0)
	scratch_load_b128 v[128:131], v0, off
	scratch_load_b32 v0, off, off offset:1032 ; 4-byte Folded Reload
	s_waitcnt vmcnt(1)
	ds_store_2addr_b64 v244, v[128:129], v[130:131] offset0:72 offset1:73
	s_waitcnt vmcnt(0)
	scratch_load_b128 v[128:131], v0, off
	scratch_load_b32 v0, off, off offset:1028 ; 4-byte Folded Reload
	s_waitcnt vmcnt(1)
	ds_store_2addr_b64 v244, v[128:129], v[130:131] offset0:74 offset1:75
	s_waitcnt vmcnt(0)
	scratch_load_b128 v[128:131], v0, off
	scratch_load_b32 v0, off, off offset:1024 ; 4-byte Folded Reload
	s_waitcnt vmcnt(1)
	ds_store_2addr_b64 v244, v[128:129], v[130:131] offset0:76 offset1:77
	s_waitcnt vmcnt(0)
	scratch_load_b128 v[128:131], v0, off
	scratch_load_b32 v0, off, off offset:1020 ; 4-byte Folded Reload
	s_waitcnt vmcnt(1)
	ds_store_2addr_b64 v244, v[128:129], v[130:131] offset0:78 offset1:79
	s_waitcnt vmcnt(0)
	scratch_load_b128 v[128:131], v0, off
	scratch_load_b32 v0, off, off offset:1016 ; 4-byte Folded Reload
	s_waitcnt vmcnt(1)
	ds_store_2addr_b64 v244, v[128:129], v[130:131] offset0:80 offset1:81
	s_waitcnt vmcnt(0)
	scratch_load_b128 v[128:131], v0, off
	scratch_load_b32 v0, off, off offset:1012 ; 4-byte Folded Reload
	s_waitcnt vmcnt(1)
	ds_store_2addr_b64 v244, v[128:129], v[130:131] offset0:82 offset1:83
	s_waitcnt vmcnt(0)
	scratch_load_b128 v[128:131], v0, off
	scratch_load_b32 v0, off, off offset:1008 ; 4-byte Folded Reload
	s_waitcnt vmcnt(1)
	ds_store_2addr_b64 v244, v[128:129], v[130:131] offset0:84 offset1:85
	s_waitcnt vmcnt(0)
	scratch_load_b128 v[128:131], v0, off
	scratch_load_b32 v0, off, off offset:1004 ; 4-byte Folded Reload
	s_waitcnt vmcnt(1)
	ds_store_2addr_b64 v244, v[128:129], v[130:131] offset0:86 offset1:87
	s_waitcnt vmcnt(0)
	scratch_load_b128 v[128:131], v0, off
	scratch_load_b32 v0, off, off offset:1000 ; 4-byte Folded Reload
	s_waitcnt vmcnt(1)
	ds_store_2addr_b64 v244, v[128:129], v[130:131] offset0:88 offset1:89
	s_waitcnt vmcnt(0)
	scratch_load_b128 v[128:131], v0, off
	scratch_load_b32 v0, off, off offset:996 ; 4-byte Folded Reload
	s_waitcnt vmcnt(1)
	ds_store_2addr_b64 v244, v[128:129], v[130:131] offset0:90 offset1:91
	s_waitcnt vmcnt(0)
	scratch_load_b128 v[128:131], v0, off
	scratch_load_b32 v0, off, off offset:992 ; 4-byte Folded Reload
	s_waitcnt vmcnt(1)
	ds_store_2addr_b64 v244, v[128:129], v[130:131] offset0:92 offset1:93
	s_waitcnt vmcnt(0)
	scratch_load_b128 v[128:131], v0, off
	scratch_load_b32 v0, off, off offset:988 ; 4-byte Folded Reload
	s_waitcnt vmcnt(1)
	ds_store_2addr_b64 v244, v[128:129], v[130:131] offset0:94 offset1:95
	s_waitcnt vmcnt(0)
	scratch_load_b128 v[128:131], v0, off
	scratch_load_b32 v0, off, off offset:984 ; 4-byte Folded Reload
	s_waitcnt vmcnt(1)
	ds_store_2addr_b64 v244, v[128:129], v[130:131] offset0:96 offset1:97
	s_waitcnt vmcnt(0)
	scratch_load_b128 v[128:131], v0, off
	scratch_load_b32 v0, off, off offset:980 ; 4-byte Folded Reload
	s_waitcnt vmcnt(1)
	ds_store_2addr_b64 v244, v[128:129], v[130:131] offset0:98 offset1:99
	s_waitcnt vmcnt(0)
	scratch_load_b128 v[128:131], v0, off
	scratch_load_b32 v0, off, off offset:976 ; 4-byte Folded Reload
	s_waitcnt vmcnt(1)
	ds_store_2addr_b64 v244, v[128:129], v[130:131] offset0:100 offset1:101
	s_waitcnt vmcnt(0)
	scratch_load_b128 v[128:131], v0, off
	s_waitcnt vmcnt(0)
	ds_store_2addr_b64 v244, v[128:129], v[130:131] offset0:102 offset1:103
	scratch_load_b128 v[128:131], v245, off
	s_waitcnt vmcnt(0)
	ds_store_2addr_b64 v244, v[128:129], v[130:131] offset0:104 offset1:105
	;; [unrolled: 3-line block ×10, first 2 shown]
	ds_load_2addr_b64 v[128:131], v251 offset1:1
	s_waitcnt lgkmcnt(0)
	v_cmp_neq_f64_e32 vcc_lo, 0, v[128:129]
	v_cmp_neq_f64_e64 s3, 0, v[130:131]
	s_delay_alu instid0(VALU_DEP_1) | instskip(NEXT) | instid1(SALU_CYCLE_1)
	s_or_b32 s3, vcc_lo, s3
	s_and_b32 exec_lo, exec_lo, s3
	s_cbranch_execz .LBB121_404
; %bb.399:
	v_cmp_gt_f64_e32 vcc_lo, 0, v[128:129]
	v_xor_b32_e32 v0, 0x80000000, v129
	v_xor_b32_e32 v4, 0x80000000, v131
	s_delay_alu instid0(VALU_DEP_2) | instskip(SKIP_2) | instid1(VALU_DEP_4)
	v_cndmask_b32_e32 v1, v129, v0, vcc_lo
	v_cndmask_b32_e32 v0, v128, v128, vcc_lo
	v_cmp_gt_f64_e32 vcc_lo, 0, v[130:131]
	v_dual_cndmask_b32 v5, v131, v4 :: v_dual_cndmask_b32 v4, v130, v130
	s_delay_alu instid0(VALU_DEP_1) | instskip(SKIP_1) | instid1(SALU_CYCLE_1)
	v_cmp_ngt_f64_e32 vcc_lo, v[0:1], v[4:5]
                                        ; implicit-def: $vgpr0_vgpr1
	s_and_saveexec_b32 s3, vcc_lo
	s_xor_b32 s3, exec_lo, s3
                                        ; implicit-def: $vgpr132_vgpr133_vgpr134_vgpr135
	s_cbranch_execz .LBB121_401
; %bb.400:
	v_div_scale_f64 v[0:1], null, v[130:131], v[130:131], v[128:129]
	v_div_scale_f64 v[132:133], vcc_lo, v[128:129], v[130:131], v[128:129]
	s_delay_alu instid0(VALU_DEP_2) | instskip(SKIP_2) | instid1(VALU_DEP_1)
	v_rcp_f64_e32 v[4:5], v[0:1]
	s_waitcnt_depctr 0xfff
	v_fma_f64 v[6:7], -v[0:1], v[4:5], 1.0
	v_fma_f64 v[4:5], v[4:5], v[6:7], v[4:5]
	s_delay_alu instid0(VALU_DEP_1) | instskip(NEXT) | instid1(VALU_DEP_1)
	v_fma_f64 v[6:7], -v[0:1], v[4:5], 1.0
	v_fma_f64 v[4:5], v[4:5], v[6:7], v[4:5]
	s_delay_alu instid0(VALU_DEP_1) | instskip(NEXT) | instid1(VALU_DEP_1)
	v_mul_f64 v[6:7], v[132:133], v[4:5]
	v_fma_f64 v[0:1], -v[0:1], v[6:7], v[132:133]
	s_delay_alu instid0(VALU_DEP_1) | instskip(NEXT) | instid1(VALU_DEP_1)
	v_div_fmas_f64 v[0:1], v[0:1], v[4:5], v[6:7]
	v_div_fixup_f64 v[0:1], v[0:1], v[130:131], v[128:129]
	s_delay_alu instid0(VALU_DEP_1) | instskip(NEXT) | instid1(VALU_DEP_1)
	v_fma_f64 v[4:5], v[128:129], v[0:1], v[130:131]
	v_div_scale_f64 v[6:7], null, v[4:5], v[4:5], 1.0
	s_delay_alu instid0(VALU_DEP_1) | instskip(SKIP_2) | instid1(VALU_DEP_1)
	v_rcp_f64_e32 v[128:129], v[6:7]
	s_waitcnt_depctr 0xfff
	v_fma_f64 v[130:131], -v[6:7], v[128:129], 1.0
	v_fma_f64 v[128:129], v[128:129], v[130:131], v[128:129]
	s_delay_alu instid0(VALU_DEP_1) | instskip(NEXT) | instid1(VALU_DEP_1)
	v_fma_f64 v[130:131], -v[6:7], v[128:129], 1.0
	v_fma_f64 v[128:129], v[128:129], v[130:131], v[128:129]
	v_div_scale_f64 v[130:131], vcc_lo, 1.0, v[4:5], 1.0
	s_delay_alu instid0(VALU_DEP_1) | instskip(NEXT) | instid1(VALU_DEP_1)
	v_mul_f64 v[132:133], v[130:131], v[128:129]
	v_fma_f64 v[6:7], -v[6:7], v[132:133], v[130:131]
	s_delay_alu instid0(VALU_DEP_1) | instskip(NEXT) | instid1(VALU_DEP_1)
	v_div_fmas_f64 v[6:7], v[6:7], v[128:129], v[132:133]
                                        ; implicit-def: $vgpr128_vgpr129
	v_div_fixup_f64 v[134:135], v[6:7], v[4:5], 1.0
	s_delay_alu instid0(VALU_DEP_1)
	v_mul_f64 v[0:1], v[0:1], v[134:135]
	v_xor_b32_e32 v135, 0x80000000, v135
.LBB121_401:
	s_and_not1_saveexec_b32 s3, s3
	s_cbranch_execz .LBB121_403
; %bb.402:
	v_div_scale_f64 v[0:1], null, v[128:129], v[128:129], v[130:131]
	v_div_scale_f64 v[132:133], vcc_lo, v[130:131], v[128:129], v[130:131]
	s_delay_alu instid0(VALU_DEP_2) | instskip(SKIP_2) | instid1(VALU_DEP_1)
	v_rcp_f64_e32 v[4:5], v[0:1]
	s_waitcnt_depctr 0xfff
	v_fma_f64 v[6:7], -v[0:1], v[4:5], 1.0
	v_fma_f64 v[4:5], v[4:5], v[6:7], v[4:5]
	s_delay_alu instid0(VALU_DEP_1) | instskip(NEXT) | instid1(VALU_DEP_1)
	v_fma_f64 v[6:7], -v[0:1], v[4:5], 1.0
	v_fma_f64 v[4:5], v[4:5], v[6:7], v[4:5]
	s_delay_alu instid0(VALU_DEP_1) | instskip(NEXT) | instid1(VALU_DEP_1)
	v_mul_f64 v[6:7], v[132:133], v[4:5]
	v_fma_f64 v[0:1], -v[0:1], v[6:7], v[132:133]
	s_delay_alu instid0(VALU_DEP_1) | instskip(NEXT) | instid1(VALU_DEP_1)
	v_div_fmas_f64 v[0:1], v[0:1], v[4:5], v[6:7]
	v_div_fixup_f64 v[4:5], v[0:1], v[128:129], v[130:131]
	s_delay_alu instid0(VALU_DEP_1) | instskip(NEXT) | instid1(VALU_DEP_1)
	v_fma_f64 v[0:1], v[130:131], v[4:5], v[128:129]
	v_div_scale_f64 v[6:7], null, v[0:1], v[0:1], 1.0
	s_delay_alu instid0(VALU_DEP_1) | instskip(SKIP_2) | instid1(VALU_DEP_1)
	v_rcp_f64_e32 v[128:129], v[6:7]
	s_waitcnt_depctr 0xfff
	v_fma_f64 v[130:131], -v[6:7], v[128:129], 1.0
	v_fma_f64 v[128:129], v[128:129], v[130:131], v[128:129]
	s_delay_alu instid0(VALU_DEP_1) | instskip(NEXT) | instid1(VALU_DEP_1)
	v_fma_f64 v[130:131], -v[6:7], v[128:129], 1.0
	v_fma_f64 v[128:129], v[128:129], v[130:131], v[128:129]
	v_div_scale_f64 v[130:131], vcc_lo, 1.0, v[0:1], 1.0
	s_delay_alu instid0(VALU_DEP_1) | instskip(NEXT) | instid1(VALU_DEP_1)
	v_mul_f64 v[132:133], v[130:131], v[128:129]
	v_fma_f64 v[6:7], -v[6:7], v[132:133], v[130:131]
	s_delay_alu instid0(VALU_DEP_1) | instskip(NEXT) | instid1(VALU_DEP_1)
	v_div_fmas_f64 v[6:7], v[6:7], v[128:129], v[132:133]
	v_div_fixup_f64 v[0:1], v[6:7], v[0:1], 1.0
	s_delay_alu instid0(VALU_DEP_1)
	v_mul_f64 v[134:135], v[4:5], -v[0:1]
.LBB121_403:
	s_or_b32 exec_lo, exec_lo, s3
	ds_store_2addr_b64 v251, v[0:1], v[134:135] offset1:1
.LBB121_404:
	s_or_b32 exec_lo, exec_lo, s4
	s_waitcnt lgkmcnt(0)
	s_barrier
	buffer_gl0_inv
	ds_load_2addr_b64 v[128:131], v251 offset1:1
	s_mov_b32 s3, exec_lo
	v_cmpx_lt_u32_e32 32, v254
	s_cbranch_execz .LBB121_407
; %bb.405:
	scratch_load_b128 v[134:137], off, off offset:512
	s_mov_b32 s4, 0
	s_waitcnt vmcnt(0) lgkmcnt(0)
	v_mul_f64 v[0:1], v[130:131], v[136:137]
	s_delay_alu instid0(VALU_DEP_1) | instskip(SKIP_1) | instid1(VALU_DEP_1)
	v_fma_f64 v[132:133], v[128:129], v[134:135], -v[0:1]
	v_mul_f64 v[0:1], v[128:129], v[136:137]
	v_fma_f64 v[134:135], v[130:131], v[134:135], v[0:1]
	v_add3_u32 v0, v176, 0, 0x210
	v_mov_b32_e32 v1, 0
	scratch_store_b128 off, v[132:135], off offset:512
.LBB121_406:                            ; =>This Inner Loop Header: Depth=1
	v_add_nc_u32_e32 v140, s4, v0
	v_readfirstlane_b32 s5, v1
	ds_load_2addr_b64 v[136:139], v140 offset1:1
	s_add_i32 s5, s5, s4
	s_addk_i32 s4, 0x70
	s_add_i32 s6, s5, 0x210
	s_waitcnt lgkmcnt(0)
	v_mul_f64 v[4:5], v[138:139], v[134:135]
	v_mul_f64 v[6:7], v[136:137], v[134:135]
	s_delay_alu instid0(VALU_DEP_2) | instskip(NEXT) | instid1(VALU_DEP_2)
	v_fma_f64 v[4:5], v[136:137], v[132:133], -v[4:5]
	v_fma_f64 v[6:7], v[138:139], v[132:133], v[6:7]
	scratch_load_b128 v[136:139], off, s6
	s_waitcnt vmcnt(0)
	v_add_f64 v[136:137], v[136:137], -v[4:5]
	v_add_f64 v[138:139], v[138:139], -v[6:7]
	scratch_store_b128 off, v[136:139], s6
	ds_load_2addr_b64 v[136:139], v140 offset0:2 offset1:3
	s_add_i32 s6, s5, 0x220
	s_waitcnt lgkmcnt(0)
	v_mul_f64 v[4:5], v[138:139], v[134:135]
	v_mul_f64 v[6:7], v[136:137], v[134:135]
	s_delay_alu instid0(VALU_DEP_2) | instskip(NEXT) | instid1(VALU_DEP_2)
	v_fma_f64 v[4:5], v[136:137], v[132:133], -v[4:5]
	v_fma_f64 v[6:7], v[138:139], v[132:133], v[6:7]
	scratch_load_b128 v[136:139], off, s6
	s_waitcnt vmcnt(0)
	v_add_f64 v[136:137], v[136:137], -v[4:5]
	v_add_f64 v[138:139], v[138:139], -v[6:7]
	scratch_store_b128 off, v[136:139], s6
	ds_load_2addr_b64 v[136:139], v140 offset0:4 offset1:5
	;; [unrolled: 13-line block ×5, first 2 shown]
	s_add_i32 s6, s5, 0x260
	s_addk_i32 s5, 0x270
	s_cmpk_lg_i32 s4, 0x1c0
	s_waitcnt lgkmcnt(0)
	v_mul_f64 v[4:5], v[138:139], v[134:135]
	v_mul_f64 v[6:7], v[136:137], v[134:135]
	s_delay_alu instid0(VALU_DEP_2) | instskip(NEXT) | instid1(VALU_DEP_2)
	v_fma_f64 v[4:5], v[136:137], v[132:133], -v[4:5]
	v_fma_f64 v[6:7], v[138:139], v[132:133], v[6:7]
	scratch_load_b128 v[132:135], off, s6
	ds_load_2addr_b64 v[136:139], v140 offset0:12 offset1:13
	s_waitcnt vmcnt(0)
	v_add_f64 v[132:133], v[132:133], -v[4:5]
	v_add_f64 v[134:135], v[134:135], -v[6:7]
	scratch_store_b128 off, v[132:135], s6
	scratch_load_b128 v[132:135], off, off offset:512
	s_waitcnt vmcnt(0) lgkmcnt(0)
	v_mul_f64 v[4:5], v[138:139], v[134:135]
	v_mul_f64 v[6:7], v[136:137], v[134:135]
	s_delay_alu instid0(VALU_DEP_2) | instskip(NEXT) | instid1(VALU_DEP_2)
	v_fma_f64 v[4:5], v[136:137], v[132:133], -v[4:5]
	v_fma_f64 v[6:7], v[138:139], v[132:133], v[6:7]
	scratch_load_b128 v[136:139], off, s5
	s_waitcnt vmcnt(0)
	v_add_f64 v[136:137], v[136:137], -v[4:5]
	v_add_f64 v[138:139], v[138:139], -v[6:7]
	scratch_store_b128 off, v[136:139], s5
	s_cbranch_scc1 .LBB121_406
.LBB121_407:
	s_or_b32 exec_lo, exec_lo, s3
	s_delay_alu instid0(SALU_CYCLE_1)
	s_mov_b32 s4, exec_lo
	s_waitcnt lgkmcnt(0)
	s_waitcnt_vscnt null, 0x0
	s_barrier
	buffer_gl0_inv
	v_cmpx_eq_u32_e32 33, v254
	s_cbranch_execz .LBB121_414
; %bb.408:
	scratch_load_b32 v0, off, off offset:1048 ; 4-byte Folded Reload
	s_waitcnt vmcnt(0)
	scratch_load_b128 v[132:135], v0, off
	scratch_load_b32 v0, off, off offset:1044 ; 4-byte Folded Reload
	s_waitcnt vmcnt(1)
	ds_store_2addr_b64 v251, v[132:133], v[134:135] offset1:1
	s_waitcnt vmcnt(0)
	scratch_load_b128 v[132:135], v0, off
	scratch_load_b32 v0, off, off offset:1040 ; 4-byte Folded Reload
	s_waitcnt vmcnt(1)
	ds_store_2addr_b64 v244, v[132:133], v[134:135] offset0:68 offset1:69
	s_waitcnt vmcnt(0)
	scratch_load_b128 v[132:135], v0, off
	scratch_load_b32 v0, off, off offset:1036 ; 4-byte Folded Reload
	s_waitcnt vmcnt(1)
	ds_store_2addr_b64 v244, v[132:133], v[134:135] offset0:70 offset1:71
	;; [unrolled: 5-line block ×17, first 2 shown]
	s_waitcnt vmcnt(0)
	scratch_load_b128 v[132:135], v0, off
	s_waitcnt vmcnt(0)
	ds_store_2addr_b64 v244, v[132:133], v[134:135] offset0:102 offset1:103
	scratch_load_b128 v[132:135], v245, off
	s_waitcnt vmcnt(0)
	ds_store_2addr_b64 v244, v[132:133], v[134:135] offset0:104 offset1:105
	;; [unrolled: 3-line block ×10, first 2 shown]
	ds_load_2addr_b64 v[132:135], v251 offset1:1
	s_waitcnt lgkmcnt(0)
	v_cmp_neq_f64_e32 vcc_lo, 0, v[132:133]
	v_cmp_neq_f64_e64 s3, 0, v[134:135]
	s_delay_alu instid0(VALU_DEP_1) | instskip(NEXT) | instid1(SALU_CYCLE_1)
	s_or_b32 s3, vcc_lo, s3
	s_and_b32 exec_lo, exec_lo, s3
	s_cbranch_execz .LBB121_414
; %bb.409:
	v_cmp_gt_f64_e32 vcc_lo, 0, v[132:133]
	v_xor_b32_e32 v0, 0x80000000, v133
	v_xor_b32_e32 v4, 0x80000000, v135
	s_delay_alu instid0(VALU_DEP_2) | instskip(SKIP_2) | instid1(VALU_DEP_4)
	v_cndmask_b32_e32 v1, v133, v0, vcc_lo
	v_cndmask_b32_e32 v0, v132, v132, vcc_lo
	v_cmp_gt_f64_e32 vcc_lo, 0, v[134:135]
	v_dual_cndmask_b32 v5, v135, v4 :: v_dual_cndmask_b32 v4, v134, v134
	s_delay_alu instid0(VALU_DEP_1) | instskip(SKIP_1) | instid1(SALU_CYCLE_1)
	v_cmp_ngt_f64_e32 vcc_lo, v[0:1], v[4:5]
                                        ; implicit-def: $vgpr0_vgpr1
	s_and_saveexec_b32 s3, vcc_lo
	s_xor_b32 s3, exec_lo, s3
                                        ; implicit-def: $vgpr136_vgpr137_vgpr138_vgpr139
	s_cbranch_execz .LBB121_411
; %bb.410:
	v_div_scale_f64 v[0:1], null, v[134:135], v[134:135], v[132:133]
	v_div_scale_f64 v[136:137], vcc_lo, v[132:133], v[134:135], v[132:133]
	s_delay_alu instid0(VALU_DEP_2) | instskip(SKIP_2) | instid1(VALU_DEP_1)
	v_rcp_f64_e32 v[4:5], v[0:1]
	s_waitcnt_depctr 0xfff
	v_fma_f64 v[6:7], -v[0:1], v[4:5], 1.0
	v_fma_f64 v[4:5], v[4:5], v[6:7], v[4:5]
	s_delay_alu instid0(VALU_DEP_1) | instskip(NEXT) | instid1(VALU_DEP_1)
	v_fma_f64 v[6:7], -v[0:1], v[4:5], 1.0
	v_fma_f64 v[4:5], v[4:5], v[6:7], v[4:5]
	s_delay_alu instid0(VALU_DEP_1) | instskip(NEXT) | instid1(VALU_DEP_1)
	v_mul_f64 v[6:7], v[136:137], v[4:5]
	v_fma_f64 v[0:1], -v[0:1], v[6:7], v[136:137]
	s_delay_alu instid0(VALU_DEP_1) | instskip(NEXT) | instid1(VALU_DEP_1)
	v_div_fmas_f64 v[0:1], v[0:1], v[4:5], v[6:7]
	v_div_fixup_f64 v[0:1], v[0:1], v[134:135], v[132:133]
	s_delay_alu instid0(VALU_DEP_1) | instskip(NEXT) | instid1(VALU_DEP_1)
	v_fma_f64 v[4:5], v[132:133], v[0:1], v[134:135]
	v_div_scale_f64 v[6:7], null, v[4:5], v[4:5], 1.0
	s_delay_alu instid0(VALU_DEP_1) | instskip(SKIP_2) | instid1(VALU_DEP_1)
	v_rcp_f64_e32 v[132:133], v[6:7]
	s_waitcnt_depctr 0xfff
	v_fma_f64 v[134:135], -v[6:7], v[132:133], 1.0
	v_fma_f64 v[132:133], v[132:133], v[134:135], v[132:133]
	s_delay_alu instid0(VALU_DEP_1) | instskip(NEXT) | instid1(VALU_DEP_1)
	v_fma_f64 v[134:135], -v[6:7], v[132:133], 1.0
	v_fma_f64 v[132:133], v[132:133], v[134:135], v[132:133]
	v_div_scale_f64 v[134:135], vcc_lo, 1.0, v[4:5], 1.0
	s_delay_alu instid0(VALU_DEP_1) | instskip(NEXT) | instid1(VALU_DEP_1)
	v_mul_f64 v[136:137], v[134:135], v[132:133]
	v_fma_f64 v[6:7], -v[6:7], v[136:137], v[134:135]
	s_delay_alu instid0(VALU_DEP_1) | instskip(NEXT) | instid1(VALU_DEP_1)
	v_div_fmas_f64 v[6:7], v[6:7], v[132:133], v[136:137]
                                        ; implicit-def: $vgpr132_vgpr133
	v_div_fixup_f64 v[138:139], v[6:7], v[4:5], 1.0
	s_delay_alu instid0(VALU_DEP_1)
	v_mul_f64 v[0:1], v[0:1], v[138:139]
	v_xor_b32_e32 v139, 0x80000000, v139
.LBB121_411:
	s_and_not1_saveexec_b32 s3, s3
	s_cbranch_execz .LBB121_413
; %bb.412:
	v_div_scale_f64 v[0:1], null, v[132:133], v[132:133], v[134:135]
	v_div_scale_f64 v[136:137], vcc_lo, v[134:135], v[132:133], v[134:135]
	s_delay_alu instid0(VALU_DEP_2) | instskip(SKIP_2) | instid1(VALU_DEP_1)
	v_rcp_f64_e32 v[4:5], v[0:1]
	s_waitcnt_depctr 0xfff
	v_fma_f64 v[6:7], -v[0:1], v[4:5], 1.0
	v_fma_f64 v[4:5], v[4:5], v[6:7], v[4:5]
	s_delay_alu instid0(VALU_DEP_1) | instskip(NEXT) | instid1(VALU_DEP_1)
	v_fma_f64 v[6:7], -v[0:1], v[4:5], 1.0
	v_fma_f64 v[4:5], v[4:5], v[6:7], v[4:5]
	s_delay_alu instid0(VALU_DEP_1) | instskip(NEXT) | instid1(VALU_DEP_1)
	v_mul_f64 v[6:7], v[136:137], v[4:5]
	v_fma_f64 v[0:1], -v[0:1], v[6:7], v[136:137]
	s_delay_alu instid0(VALU_DEP_1) | instskip(NEXT) | instid1(VALU_DEP_1)
	v_div_fmas_f64 v[0:1], v[0:1], v[4:5], v[6:7]
	v_div_fixup_f64 v[4:5], v[0:1], v[132:133], v[134:135]
	s_delay_alu instid0(VALU_DEP_1) | instskip(NEXT) | instid1(VALU_DEP_1)
	v_fma_f64 v[0:1], v[134:135], v[4:5], v[132:133]
	v_div_scale_f64 v[6:7], null, v[0:1], v[0:1], 1.0
	s_delay_alu instid0(VALU_DEP_1) | instskip(SKIP_2) | instid1(VALU_DEP_1)
	v_rcp_f64_e32 v[132:133], v[6:7]
	s_waitcnt_depctr 0xfff
	v_fma_f64 v[134:135], -v[6:7], v[132:133], 1.0
	v_fma_f64 v[132:133], v[132:133], v[134:135], v[132:133]
	s_delay_alu instid0(VALU_DEP_1) | instskip(NEXT) | instid1(VALU_DEP_1)
	v_fma_f64 v[134:135], -v[6:7], v[132:133], 1.0
	v_fma_f64 v[132:133], v[132:133], v[134:135], v[132:133]
	v_div_scale_f64 v[134:135], vcc_lo, 1.0, v[0:1], 1.0
	s_delay_alu instid0(VALU_DEP_1) | instskip(NEXT) | instid1(VALU_DEP_1)
	v_mul_f64 v[136:137], v[134:135], v[132:133]
	v_fma_f64 v[6:7], -v[6:7], v[136:137], v[134:135]
	s_delay_alu instid0(VALU_DEP_1) | instskip(NEXT) | instid1(VALU_DEP_1)
	v_div_fmas_f64 v[6:7], v[6:7], v[132:133], v[136:137]
	v_div_fixup_f64 v[0:1], v[6:7], v[0:1], 1.0
	s_delay_alu instid0(VALU_DEP_1)
	v_mul_f64 v[138:139], v[4:5], -v[0:1]
.LBB121_413:
	s_or_b32 exec_lo, exec_lo, s3
	ds_store_2addr_b64 v251, v[0:1], v[138:139] offset1:1
.LBB121_414:
	s_or_b32 exec_lo, exec_lo, s4
	s_waitcnt lgkmcnt(0)
	s_barrier
	buffer_gl0_inv
	ds_load_2addr_b64 v[132:135], v251 offset1:1
	s_mov_b32 s3, exec_lo
	v_cmpx_lt_u32_e32 33, v254
	s_cbranch_execz .LBB121_417
; %bb.415:
	scratch_load_b128 v[138:141], off, off offset:528
	s_mov_b32 s4, 0
	s_waitcnt vmcnt(0) lgkmcnt(0)
	v_mul_f64 v[0:1], v[134:135], v[140:141]
	s_delay_alu instid0(VALU_DEP_1) | instskip(SKIP_1) | instid1(VALU_DEP_1)
	v_fma_f64 v[136:137], v[132:133], v[138:139], -v[0:1]
	v_mul_f64 v[0:1], v[132:133], v[140:141]
	v_fma_f64 v[138:139], v[134:135], v[138:139], v[0:1]
	v_add3_u32 v0, v176, 0, 0x220
	v_mov_b32_e32 v1, 0
	scratch_store_b128 off, v[136:139], off offset:528
.LBB121_416:                            ; =>This Inner Loop Header: Depth=1
	v_add_nc_u32_e32 v144, s4, v0
	v_readfirstlane_b32 s5, v1
	ds_load_2addr_b64 v[140:143], v144 offset1:1
	s_add_i32 s5, s5, s4
	s_add_i32 s4, s4, 48
	s_add_i32 s6, s5, 0x220
	s_waitcnt lgkmcnt(0)
	v_mul_f64 v[4:5], v[142:143], v[138:139]
	v_mul_f64 v[6:7], v[140:141], v[138:139]
	s_delay_alu instid0(VALU_DEP_2) | instskip(NEXT) | instid1(VALU_DEP_2)
	v_fma_f64 v[4:5], v[140:141], v[136:137], -v[4:5]
	v_fma_f64 v[6:7], v[142:143], v[136:137], v[6:7]
	scratch_load_b128 v[140:143], off, s6
	s_waitcnt vmcnt(0)
	v_add_f64 v[140:141], v[140:141], -v[4:5]
	v_add_f64 v[142:143], v[142:143], -v[6:7]
	scratch_store_b128 off, v[140:143], s6
	ds_load_2addr_b64 v[140:143], v144 offset0:2 offset1:3
	s_add_i32 s6, s5, 0x230
	s_addk_i32 s5, 0x240
	s_cmpk_lg_i32 s4, 0x1b0
	s_waitcnt lgkmcnt(0)
	v_mul_f64 v[4:5], v[142:143], v[138:139]
	v_mul_f64 v[6:7], v[140:141], v[138:139]
	s_delay_alu instid0(VALU_DEP_2) | instskip(NEXT) | instid1(VALU_DEP_2)
	v_fma_f64 v[4:5], v[140:141], v[136:137], -v[4:5]
	v_fma_f64 v[6:7], v[142:143], v[136:137], v[6:7]
	scratch_load_b128 v[140:143], off, s6
	s_waitcnt vmcnt(0)
	v_add_f64 v[140:141], v[140:141], -v[4:5]
	v_add_f64 v[142:143], v[142:143], -v[6:7]
	scratch_store_b128 off, v[140:143], s6
	ds_load_2addr_b64 v[140:143], v144 offset0:4 offset1:5
	s_waitcnt lgkmcnt(0)
	v_mul_f64 v[4:5], v[142:143], v[138:139]
	v_mul_f64 v[6:7], v[140:141], v[138:139]
	s_delay_alu instid0(VALU_DEP_2) | instskip(NEXT) | instid1(VALU_DEP_2)
	v_fma_f64 v[4:5], v[140:141], v[136:137], -v[4:5]
	v_fma_f64 v[6:7], v[142:143], v[136:137], v[6:7]
	scratch_load_b128 v[140:143], off, s5
	s_waitcnt vmcnt(0)
	v_add_f64 v[140:141], v[140:141], -v[4:5]
	v_add_f64 v[142:143], v[142:143], -v[6:7]
	scratch_store_b128 off, v[140:143], s5
	s_cbranch_scc1 .LBB121_416
.LBB121_417:
	s_or_b32 exec_lo, exec_lo, s3
	s_delay_alu instid0(SALU_CYCLE_1)
	s_mov_b32 s4, exec_lo
	s_waitcnt lgkmcnt(0)
	s_waitcnt_vscnt null, 0x0
	s_barrier
	buffer_gl0_inv
	v_cmpx_eq_u32_e32 34, v254
	s_cbranch_execz .LBB121_424
; %bb.418:
	scratch_load_b32 v0, off, off offset:1044 ; 4-byte Folded Reload
	s_waitcnt vmcnt(0)
	scratch_load_b128 v[136:139], v0, off
	scratch_load_b32 v0, off, off offset:1040 ; 4-byte Folded Reload
	s_waitcnt vmcnt(1)
	ds_store_2addr_b64 v251, v[136:137], v[138:139] offset1:1
	s_waitcnt vmcnt(0)
	scratch_load_b128 v[136:139], v0, off
	scratch_load_b32 v0, off, off offset:1036 ; 4-byte Folded Reload
	s_waitcnt vmcnt(1)
	ds_store_2addr_b64 v244, v[136:137], v[138:139] offset0:70 offset1:71
	s_waitcnt vmcnt(0)
	scratch_load_b128 v[136:139], v0, off
	scratch_load_b32 v0, off, off offset:1032 ; 4-byte Folded Reload
	s_waitcnt vmcnt(1)
	ds_store_2addr_b64 v244, v[136:137], v[138:139] offset0:72 offset1:73
	;; [unrolled: 5-line block ×16, first 2 shown]
	s_waitcnt vmcnt(0)
	scratch_load_b128 v[136:139], v0, off
	s_waitcnt vmcnt(0)
	ds_store_2addr_b64 v244, v[136:137], v[138:139] offset0:102 offset1:103
	scratch_load_b128 v[136:139], v245, off
	s_waitcnt vmcnt(0)
	ds_store_2addr_b64 v244, v[136:137], v[138:139] offset0:104 offset1:105
	;; [unrolled: 3-line block ×10, first 2 shown]
	ds_load_2addr_b64 v[136:139], v251 offset1:1
	s_waitcnt lgkmcnt(0)
	v_cmp_neq_f64_e32 vcc_lo, 0, v[136:137]
	v_cmp_neq_f64_e64 s3, 0, v[138:139]
	s_delay_alu instid0(VALU_DEP_1) | instskip(NEXT) | instid1(SALU_CYCLE_1)
	s_or_b32 s3, vcc_lo, s3
	s_and_b32 exec_lo, exec_lo, s3
	s_cbranch_execz .LBB121_424
; %bb.419:
	v_cmp_gt_f64_e32 vcc_lo, 0, v[136:137]
	v_xor_b32_e32 v0, 0x80000000, v137
	v_xor_b32_e32 v4, 0x80000000, v139
	s_delay_alu instid0(VALU_DEP_2) | instskip(SKIP_2) | instid1(VALU_DEP_4)
	v_cndmask_b32_e32 v1, v137, v0, vcc_lo
	v_cndmask_b32_e32 v0, v136, v136, vcc_lo
	v_cmp_gt_f64_e32 vcc_lo, 0, v[138:139]
	v_dual_cndmask_b32 v5, v139, v4 :: v_dual_cndmask_b32 v4, v138, v138
	s_delay_alu instid0(VALU_DEP_1) | instskip(SKIP_1) | instid1(SALU_CYCLE_1)
	v_cmp_ngt_f64_e32 vcc_lo, v[0:1], v[4:5]
                                        ; implicit-def: $vgpr0_vgpr1
	s_and_saveexec_b32 s3, vcc_lo
	s_xor_b32 s3, exec_lo, s3
                                        ; implicit-def: $vgpr140_vgpr141_vgpr142_vgpr143
	s_cbranch_execz .LBB121_421
; %bb.420:
	v_div_scale_f64 v[0:1], null, v[138:139], v[138:139], v[136:137]
	v_div_scale_f64 v[140:141], vcc_lo, v[136:137], v[138:139], v[136:137]
	s_delay_alu instid0(VALU_DEP_2) | instskip(SKIP_2) | instid1(VALU_DEP_1)
	v_rcp_f64_e32 v[4:5], v[0:1]
	s_waitcnt_depctr 0xfff
	v_fma_f64 v[6:7], -v[0:1], v[4:5], 1.0
	v_fma_f64 v[4:5], v[4:5], v[6:7], v[4:5]
	s_delay_alu instid0(VALU_DEP_1) | instskip(NEXT) | instid1(VALU_DEP_1)
	v_fma_f64 v[6:7], -v[0:1], v[4:5], 1.0
	v_fma_f64 v[4:5], v[4:5], v[6:7], v[4:5]
	s_delay_alu instid0(VALU_DEP_1) | instskip(NEXT) | instid1(VALU_DEP_1)
	v_mul_f64 v[6:7], v[140:141], v[4:5]
	v_fma_f64 v[0:1], -v[0:1], v[6:7], v[140:141]
	s_delay_alu instid0(VALU_DEP_1) | instskip(NEXT) | instid1(VALU_DEP_1)
	v_div_fmas_f64 v[0:1], v[0:1], v[4:5], v[6:7]
	v_div_fixup_f64 v[0:1], v[0:1], v[138:139], v[136:137]
	s_delay_alu instid0(VALU_DEP_1) | instskip(NEXT) | instid1(VALU_DEP_1)
	v_fma_f64 v[4:5], v[136:137], v[0:1], v[138:139]
	v_div_scale_f64 v[6:7], null, v[4:5], v[4:5], 1.0
	s_delay_alu instid0(VALU_DEP_1) | instskip(SKIP_2) | instid1(VALU_DEP_1)
	v_rcp_f64_e32 v[136:137], v[6:7]
	s_waitcnt_depctr 0xfff
	v_fma_f64 v[138:139], -v[6:7], v[136:137], 1.0
	v_fma_f64 v[136:137], v[136:137], v[138:139], v[136:137]
	s_delay_alu instid0(VALU_DEP_1) | instskip(NEXT) | instid1(VALU_DEP_1)
	v_fma_f64 v[138:139], -v[6:7], v[136:137], 1.0
	v_fma_f64 v[136:137], v[136:137], v[138:139], v[136:137]
	v_div_scale_f64 v[138:139], vcc_lo, 1.0, v[4:5], 1.0
	s_delay_alu instid0(VALU_DEP_1) | instskip(NEXT) | instid1(VALU_DEP_1)
	v_mul_f64 v[140:141], v[138:139], v[136:137]
	v_fma_f64 v[6:7], -v[6:7], v[140:141], v[138:139]
	s_delay_alu instid0(VALU_DEP_1) | instskip(NEXT) | instid1(VALU_DEP_1)
	v_div_fmas_f64 v[6:7], v[6:7], v[136:137], v[140:141]
                                        ; implicit-def: $vgpr136_vgpr137
	v_div_fixup_f64 v[142:143], v[6:7], v[4:5], 1.0
	s_delay_alu instid0(VALU_DEP_1)
	v_mul_f64 v[0:1], v[0:1], v[142:143]
	v_xor_b32_e32 v143, 0x80000000, v143
.LBB121_421:
	s_and_not1_saveexec_b32 s3, s3
	s_cbranch_execz .LBB121_423
; %bb.422:
	v_div_scale_f64 v[0:1], null, v[136:137], v[136:137], v[138:139]
	v_div_scale_f64 v[140:141], vcc_lo, v[138:139], v[136:137], v[138:139]
	s_delay_alu instid0(VALU_DEP_2) | instskip(SKIP_2) | instid1(VALU_DEP_1)
	v_rcp_f64_e32 v[4:5], v[0:1]
	s_waitcnt_depctr 0xfff
	v_fma_f64 v[6:7], -v[0:1], v[4:5], 1.0
	v_fma_f64 v[4:5], v[4:5], v[6:7], v[4:5]
	s_delay_alu instid0(VALU_DEP_1) | instskip(NEXT) | instid1(VALU_DEP_1)
	v_fma_f64 v[6:7], -v[0:1], v[4:5], 1.0
	v_fma_f64 v[4:5], v[4:5], v[6:7], v[4:5]
	s_delay_alu instid0(VALU_DEP_1) | instskip(NEXT) | instid1(VALU_DEP_1)
	v_mul_f64 v[6:7], v[140:141], v[4:5]
	v_fma_f64 v[0:1], -v[0:1], v[6:7], v[140:141]
	s_delay_alu instid0(VALU_DEP_1) | instskip(NEXT) | instid1(VALU_DEP_1)
	v_div_fmas_f64 v[0:1], v[0:1], v[4:5], v[6:7]
	v_div_fixup_f64 v[4:5], v[0:1], v[136:137], v[138:139]
	s_delay_alu instid0(VALU_DEP_1) | instskip(NEXT) | instid1(VALU_DEP_1)
	v_fma_f64 v[0:1], v[138:139], v[4:5], v[136:137]
	v_div_scale_f64 v[6:7], null, v[0:1], v[0:1], 1.0
	s_delay_alu instid0(VALU_DEP_1) | instskip(SKIP_2) | instid1(VALU_DEP_1)
	v_rcp_f64_e32 v[136:137], v[6:7]
	s_waitcnt_depctr 0xfff
	v_fma_f64 v[138:139], -v[6:7], v[136:137], 1.0
	v_fma_f64 v[136:137], v[136:137], v[138:139], v[136:137]
	s_delay_alu instid0(VALU_DEP_1) | instskip(NEXT) | instid1(VALU_DEP_1)
	v_fma_f64 v[138:139], -v[6:7], v[136:137], 1.0
	v_fma_f64 v[136:137], v[136:137], v[138:139], v[136:137]
	v_div_scale_f64 v[138:139], vcc_lo, 1.0, v[0:1], 1.0
	s_delay_alu instid0(VALU_DEP_1) | instskip(NEXT) | instid1(VALU_DEP_1)
	v_mul_f64 v[140:141], v[138:139], v[136:137]
	v_fma_f64 v[6:7], -v[6:7], v[140:141], v[138:139]
	s_delay_alu instid0(VALU_DEP_1) | instskip(NEXT) | instid1(VALU_DEP_1)
	v_div_fmas_f64 v[6:7], v[6:7], v[136:137], v[140:141]
	v_div_fixup_f64 v[0:1], v[6:7], v[0:1], 1.0
	s_delay_alu instid0(VALU_DEP_1)
	v_mul_f64 v[142:143], v[4:5], -v[0:1]
.LBB121_423:
	s_or_b32 exec_lo, exec_lo, s3
	ds_store_2addr_b64 v251, v[0:1], v[142:143] offset1:1
.LBB121_424:
	s_or_b32 exec_lo, exec_lo, s4
	s_waitcnt lgkmcnt(0)
	s_barrier
	buffer_gl0_inv
	ds_load_2addr_b64 v[136:139], v251 offset1:1
	s_mov_b32 s3, exec_lo
	v_cmpx_lt_u32_e32 34, v254
	s_cbranch_execz .LBB121_427
; %bb.425:
	scratch_load_b128 v[142:145], off, off offset:544
	s_mov_b32 s4, 0
	s_waitcnt vmcnt(0) lgkmcnt(0)
	v_mul_f64 v[0:1], v[138:139], v[144:145]
	s_delay_alu instid0(VALU_DEP_1) | instskip(SKIP_1) | instid1(VALU_DEP_1)
	v_fma_f64 v[140:141], v[136:137], v[142:143], -v[0:1]
	v_mul_f64 v[0:1], v[136:137], v[144:145]
	v_fma_f64 v[142:143], v[138:139], v[142:143], v[0:1]
	v_add3_u32 v0, v176, 0, 0x230
	scratch_store_b128 off, v[140:143], off offset:544
	s_set_inst_prefetch_distance 0x1
	.p2align	6
.LBB121_426:                            ; =>This Inner Loop Header: Depth=1
	v_add_nc_u32_e32 v1, s4, v0
	v_add_nc_u32_e64 v148, s4, 0
	s_add_i32 s4, s4, 32
	s_delay_alu instid0(SALU_CYCLE_1)
	s_cmpk_lg_i32 s4, 0x1a0
	ds_load_2addr_b64 v[144:147], v1 offset1:1
	v_add_nc_u32_e32 v149, 0x230, v148
	s_waitcnt lgkmcnt(0)
	v_mul_f64 v[4:5], v[146:147], v[142:143]
	v_mul_f64 v[6:7], v[144:145], v[142:143]
	s_delay_alu instid0(VALU_DEP_2) | instskip(NEXT) | instid1(VALU_DEP_2)
	v_fma_f64 v[4:5], v[144:145], v[140:141], -v[4:5]
	v_fma_f64 v[6:7], v[146:147], v[140:141], v[6:7]
	scratch_load_b128 v[144:147], v149, off
	s_waitcnt vmcnt(0)
	v_add_f64 v[144:145], v[144:145], -v[4:5]
	v_add_f64 v[146:147], v[146:147], -v[6:7]
	scratch_store_b128 v149, v[144:147], off
	ds_load_2addr_b64 v[144:147], v1 offset0:2 offset1:3
	v_add_nc_u32_e32 v1, 0x240, v148
	s_waitcnt lgkmcnt(0)
	v_mul_f64 v[4:5], v[146:147], v[142:143]
	v_mul_f64 v[6:7], v[144:145], v[142:143]
	s_delay_alu instid0(VALU_DEP_2) | instskip(NEXT) | instid1(VALU_DEP_2)
	v_fma_f64 v[4:5], v[144:145], v[140:141], -v[4:5]
	v_fma_f64 v[6:7], v[146:147], v[140:141], v[6:7]
	scratch_load_b128 v[144:147], v1, off
	s_waitcnt vmcnt(0)
	v_add_f64 v[144:145], v[144:145], -v[4:5]
	v_add_f64 v[146:147], v[146:147], -v[6:7]
	scratch_store_b128 v1, v[144:147], off
	s_cbranch_scc1 .LBB121_426
.LBB121_427:
	s_set_inst_prefetch_distance 0x2
	s_or_b32 exec_lo, exec_lo, s3
	s_delay_alu instid0(SALU_CYCLE_1)
	s_mov_b32 s4, exec_lo
	s_waitcnt lgkmcnt(0)
	s_waitcnt_vscnt null, 0x0
	s_barrier
	buffer_gl0_inv
	v_cmpx_eq_u32_e32 35, v254
	s_cbranch_execz .LBB121_434
; %bb.428:
	scratch_load_b32 v0, off, off offset:1040 ; 4-byte Folded Reload
	s_waitcnt vmcnt(0)
	scratch_load_b128 v[140:143], v0, off
	scratch_load_b32 v0, off, off offset:1036 ; 4-byte Folded Reload
	s_waitcnt vmcnt(1)
	ds_store_2addr_b64 v251, v[140:141], v[142:143] offset1:1
	s_waitcnt vmcnt(0)
	scratch_load_b128 v[140:143], v0, off
	scratch_load_b32 v0, off, off offset:1032 ; 4-byte Folded Reload
	s_waitcnt vmcnt(1)
	ds_store_2addr_b64 v244, v[140:141], v[142:143] offset0:72 offset1:73
	s_waitcnt vmcnt(0)
	scratch_load_b128 v[140:143], v0, off
	scratch_load_b32 v0, off, off offset:1028 ; 4-byte Folded Reload
	s_waitcnt vmcnt(1)
	ds_store_2addr_b64 v244, v[140:141], v[142:143] offset0:74 offset1:75
	;; [unrolled: 5-line block ×15, first 2 shown]
	s_waitcnt vmcnt(0)
	scratch_load_b128 v[140:143], v0, off
	s_waitcnt vmcnt(0)
	ds_store_2addr_b64 v244, v[140:141], v[142:143] offset0:102 offset1:103
	scratch_load_b128 v[140:143], v245, off
	s_waitcnt vmcnt(0)
	ds_store_2addr_b64 v244, v[140:141], v[142:143] offset0:104 offset1:105
	;; [unrolled: 3-line block ×10, first 2 shown]
	ds_load_2addr_b64 v[140:143], v251 offset1:1
	s_waitcnt lgkmcnt(0)
	v_cmp_neq_f64_e32 vcc_lo, 0, v[140:141]
	v_cmp_neq_f64_e64 s3, 0, v[142:143]
	s_delay_alu instid0(VALU_DEP_1) | instskip(NEXT) | instid1(SALU_CYCLE_1)
	s_or_b32 s3, vcc_lo, s3
	s_and_b32 exec_lo, exec_lo, s3
	s_cbranch_execz .LBB121_434
; %bb.429:
	v_cmp_gt_f64_e32 vcc_lo, 0, v[140:141]
	v_xor_b32_e32 v0, 0x80000000, v141
	v_xor_b32_e32 v4, 0x80000000, v143
	s_delay_alu instid0(VALU_DEP_2) | instskip(SKIP_2) | instid1(VALU_DEP_4)
	v_cndmask_b32_e32 v1, v141, v0, vcc_lo
	v_cndmask_b32_e32 v0, v140, v140, vcc_lo
	v_cmp_gt_f64_e32 vcc_lo, 0, v[142:143]
	v_dual_cndmask_b32 v5, v143, v4 :: v_dual_cndmask_b32 v4, v142, v142
	s_delay_alu instid0(VALU_DEP_1) | instskip(SKIP_1) | instid1(SALU_CYCLE_1)
	v_cmp_ngt_f64_e32 vcc_lo, v[0:1], v[4:5]
                                        ; implicit-def: $vgpr0_vgpr1
	s_and_saveexec_b32 s3, vcc_lo
	s_xor_b32 s3, exec_lo, s3
                                        ; implicit-def: $vgpr144_vgpr145_vgpr146_vgpr147
	s_cbranch_execz .LBB121_431
; %bb.430:
	v_div_scale_f64 v[0:1], null, v[142:143], v[142:143], v[140:141]
	v_div_scale_f64 v[144:145], vcc_lo, v[140:141], v[142:143], v[140:141]
	s_delay_alu instid0(VALU_DEP_2) | instskip(SKIP_2) | instid1(VALU_DEP_1)
	v_rcp_f64_e32 v[4:5], v[0:1]
	s_waitcnt_depctr 0xfff
	v_fma_f64 v[6:7], -v[0:1], v[4:5], 1.0
	v_fma_f64 v[4:5], v[4:5], v[6:7], v[4:5]
	s_delay_alu instid0(VALU_DEP_1) | instskip(NEXT) | instid1(VALU_DEP_1)
	v_fma_f64 v[6:7], -v[0:1], v[4:5], 1.0
	v_fma_f64 v[4:5], v[4:5], v[6:7], v[4:5]
	s_delay_alu instid0(VALU_DEP_1) | instskip(NEXT) | instid1(VALU_DEP_1)
	v_mul_f64 v[6:7], v[144:145], v[4:5]
	v_fma_f64 v[0:1], -v[0:1], v[6:7], v[144:145]
	s_delay_alu instid0(VALU_DEP_1) | instskip(NEXT) | instid1(VALU_DEP_1)
	v_div_fmas_f64 v[0:1], v[0:1], v[4:5], v[6:7]
	v_div_fixup_f64 v[0:1], v[0:1], v[142:143], v[140:141]
	s_delay_alu instid0(VALU_DEP_1) | instskip(NEXT) | instid1(VALU_DEP_1)
	v_fma_f64 v[4:5], v[140:141], v[0:1], v[142:143]
	v_div_scale_f64 v[6:7], null, v[4:5], v[4:5], 1.0
	s_delay_alu instid0(VALU_DEP_1) | instskip(SKIP_2) | instid1(VALU_DEP_1)
	v_rcp_f64_e32 v[140:141], v[6:7]
	s_waitcnt_depctr 0xfff
	v_fma_f64 v[142:143], -v[6:7], v[140:141], 1.0
	v_fma_f64 v[140:141], v[140:141], v[142:143], v[140:141]
	s_delay_alu instid0(VALU_DEP_1) | instskip(NEXT) | instid1(VALU_DEP_1)
	v_fma_f64 v[142:143], -v[6:7], v[140:141], 1.0
	v_fma_f64 v[140:141], v[140:141], v[142:143], v[140:141]
	v_div_scale_f64 v[142:143], vcc_lo, 1.0, v[4:5], 1.0
	s_delay_alu instid0(VALU_DEP_1) | instskip(NEXT) | instid1(VALU_DEP_1)
	v_mul_f64 v[144:145], v[142:143], v[140:141]
	v_fma_f64 v[6:7], -v[6:7], v[144:145], v[142:143]
	s_delay_alu instid0(VALU_DEP_1) | instskip(NEXT) | instid1(VALU_DEP_1)
	v_div_fmas_f64 v[6:7], v[6:7], v[140:141], v[144:145]
                                        ; implicit-def: $vgpr140_vgpr141
	v_div_fixup_f64 v[146:147], v[6:7], v[4:5], 1.0
	s_delay_alu instid0(VALU_DEP_1)
	v_mul_f64 v[0:1], v[0:1], v[146:147]
	v_xor_b32_e32 v147, 0x80000000, v147
.LBB121_431:
	s_and_not1_saveexec_b32 s3, s3
	s_cbranch_execz .LBB121_433
; %bb.432:
	v_div_scale_f64 v[0:1], null, v[140:141], v[140:141], v[142:143]
	v_div_scale_f64 v[144:145], vcc_lo, v[142:143], v[140:141], v[142:143]
	s_delay_alu instid0(VALU_DEP_2) | instskip(SKIP_2) | instid1(VALU_DEP_1)
	v_rcp_f64_e32 v[4:5], v[0:1]
	s_waitcnt_depctr 0xfff
	v_fma_f64 v[6:7], -v[0:1], v[4:5], 1.0
	v_fma_f64 v[4:5], v[4:5], v[6:7], v[4:5]
	s_delay_alu instid0(VALU_DEP_1) | instskip(NEXT) | instid1(VALU_DEP_1)
	v_fma_f64 v[6:7], -v[0:1], v[4:5], 1.0
	v_fma_f64 v[4:5], v[4:5], v[6:7], v[4:5]
	s_delay_alu instid0(VALU_DEP_1) | instskip(NEXT) | instid1(VALU_DEP_1)
	v_mul_f64 v[6:7], v[144:145], v[4:5]
	v_fma_f64 v[0:1], -v[0:1], v[6:7], v[144:145]
	s_delay_alu instid0(VALU_DEP_1) | instskip(NEXT) | instid1(VALU_DEP_1)
	v_div_fmas_f64 v[0:1], v[0:1], v[4:5], v[6:7]
	v_div_fixup_f64 v[4:5], v[0:1], v[140:141], v[142:143]
	s_delay_alu instid0(VALU_DEP_1) | instskip(NEXT) | instid1(VALU_DEP_1)
	v_fma_f64 v[0:1], v[142:143], v[4:5], v[140:141]
	v_div_scale_f64 v[6:7], null, v[0:1], v[0:1], 1.0
	s_delay_alu instid0(VALU_DEP_1) | instskip(SKIP_2) | instid1(VALU_DEP_1)
	v_rcp_f64_e32 v[140:141], v[6:7]
	s_waitcnt_depctr 0xfff
	v_fma_f64 v[142:143], -v[6:7], v[140:141], 1.0
	v_fma_f64 v[140:141], v[140:141], v[142:143], v[140:141]
	s_delay_alu instid0(VALU_DEP_1) | instskip(NEXT) | instid1(VALU_DEP_1)
	v_fma_f64 v[142:143], -v[6:7], v[140:141], 1.0
	v_fma_f64 v[140:141], v[140:141], v[142:143], v[140:141]
	v_div_scale_f64 v[142:143], vcc_lo, 1.0, v[0:1], 1.0
	s_delay_alu instid0(VALU_DEP_1) | instskip(NEXT) | instid1(VALU_DEP_1)
	v_mul_f64 v[144:145], v[142:143], v[140:141]
	v_fma_f64 v[6:7], -v[6:7], v[144:145], v[142:143]
	s_delay_alu instid0(VALU_DEP_1) | instskip(NEXT) | instid1(VALU_DEP_1)
	v_div_fmas_f64 v[6:7], v[6:7], v[140:141], v[144:145]
	v_div_fixup_f64 v[0:1], v[6:7], v[0:1], 1.0
	s_delay_alu instid0(VALU_DEP_1)
	v_mul_f64 v[146:147], v[4:5], -v[0:1]
.LBB121_433:
	s_or_b32 exec_lo, exec_lo, s3
	ds_store_2addr_b64 v251, v[0:1], v[146:147] offset1:1
.LBB121_434:
	s_or_b32 exec_lo, exec_lo, s4
	s_waitcnt lgkmcnt(0)
	s_barrier
	buffer_gl0_inv
	ds_load_2addr_b64 v[140:143], v251 offset1:1
	s_mov_b32 s3, exec_lo
	v_cmpx_lt_u32_e32 35, v254
	s_cbranch_execz .LBB121_437
; %bb.435:
	scratch_load_b128 v[146:149], off, off offset:560
	s_mov_b32 s4, 0
	s_waitcnt vmcnt(0) lgkmcnt(0)
	v_mul_f64 v[0:1], v[142:143], v[148:149]
	s_delay_alu instid0(VALU_DEP_1) | instskip(SKIP_1) | instid1(VALU_DEP_1)
	v_fma_f64 v[144:145], v[140:141], v[146:147], -v[0:1]
	v_mul_f64 v[0:1], v[140:141], v[148:149]
	v_fma_f64 v[146:147], v[142:143], v[146:147], v[0:1]
	v_add3_u32 v0, v176, 0, 0x240
	v_mov_b32_e32 v1, 0
	scratch_store_b128 off, v[144:147], off offset:560
.LBB121_436:                            ; =>This Inner Loop Header: Depth=1
	v_add_nc_u32_e32 v152, s4, v0
	v_readfirstlane_b32 s5, v1
	ds_load_2addr_b64 v[148:151], v152 offset1:1
	s_add_i32 s5, s5, s4
	s_addk_i32 s4, 0x50
	s_add_i32 s6, s5, 0x240
	s_waitcnt lgkmcnt(0)
	v_mul_f64 v[4:5], v[150:151], v[146:147]
	v_mul_f64 v[6:7], v[148:149], v[146:147]
	s_delay_alu instid0(VALU_DEP_2) | instskip(NEXT) | instid1(VALU_DEP_2)
	v_fma_f64 v[4:5], v[148:149], v[144:145], -v[4:5]
	v_fma_f64 v[6:7], v[150:151], v[144:145], v[6:7]
	scratch_load_b128 v[148:151], off, s6
	s_waitcnt vmcnt(0)
	v_add_f64 v[148:149], v[148:149], -v[4:5]
	v_add_f64 v[150:151], v[150:151], -v[6:7]
	scratch_store_b128 off, v[148:151], s6
	ds_load_2addr_b64 v[148:151], v152 offset0:2 offset1:3
	s_add_i32 s6, s5, 0x250
	s_waitcnt lgkmcnt(0)
	v_mul_f64 v[4:5], v[150:151], v[146:147]
	v_mul_f64 v[6:7], v[148:149], v[146:147]
	s_delay_alu instid0(VALU_DEP_2) | instskip(NEXT) | instid1(VALU_DEP_2)
	v_fma_f64 v[4:5], v[148:149], v[144:145], -v[4:5]
	v_fma_f64 v[6:7], v[150:151], v[144:145], v[6:7]
	scratch_load_b128 v[148:151], off, s6
	s_waitcnt vmcnt(0)
	v_add_f64 v[148:149], v[148:149], -v[4:5]
	v_add_f64 v[150:151], v[150:151], -v[6:7]
	scratch_store_b128 off, v[148:151], s6
	ds_load_2addr_b64 v[148:151], v152 offset0:4 offset1:5
	;; [unrolled: 13-line block ×3, first 2 shown]
	s_add_i32 s6, s5, 0x270
	s_addk_i32 s5, 0x280
	s_cmpk_lg_i32 s4, 0x190
	s_waitcnt lgkmcnt(0)
	v_mul_f64 v[4:5], v[150:151], v[146:147]
	v_mul_f64 v[6:7], v[148:149], v[146:147]
	s_delay_alu instid0(VALU_DEP_2) | instskip(NEXT) | instid1(VALU_DEP_2)
	v_fma_f64 v[4:5], v[148:149], v[144:145], -v[4:5]
	v_fma_f64 v[6:7], v[150:151], v[144:145], v[6:7]
	scratch_load_b128 v[148:151], off, s6
	s_waitcnt vmcnt(0)
	v_add_f64 v[148:149], v[148:149], -v[4:5]
	v_add_f64 v[150:151], v[150:151], -v[6:7]
	scratch_store_b128 off, v[148:151], s6
	ds_load_2addr_b64 v[148:151], v152 offset0:8 offset1:9
	s_waitcnt lgkmcnt(0)
	v_mul_f64 v[4:5], v[150:151], v[146:147]
	v_mul_f64 v[6:7], v[148:149], v[146:147]
	s_delay_alu instid0(VALU_DEP_2) | instskip(NEXT) | instid1(VALU_DEP_2)
	v_fma_f64 v[4:5], v[148:149], v[144:145], -v[4:5]
	v_fma_f64 v[6:7], v[150:151], v[144:145], v[6:7]
	scratch_load_b128 v[148:151], off, s5
	s_waitcnt vmcnt(0)
	v_add_f64 v[148:149], v[148:149], -v[4:5]
	v_add_f64 v[150:151], v[150:151], -v[6:7]
	scratch_store_b128 off, v[148:151], s5
	s_cbranch_scc1 .LBB121_436
.LBB121_437:
	s_or_b32 exec_lo, exec_lo, s3
	s_delay_alu instid0(SALU_CYCLE_1)
	s_mov_b32 s4, exec_lo
	s_waitcnt lgkmcnt(0)
	s_waitcnt_vscnt null, 0x0
	s_barrier
	buffer_gl0_inv
	v_cmpx_eq_u32_e32 36, v254
	s_cbranch_execz .LBB121_444
; %bb.438:
	scratch_load_b32 v0, off, off offset:1036 ; 4-byte Folded Reload
	s_waitcnt vmcnt(0)
	scratch_load_b128 v[144:147], v0, off
	scratch_load_b32 v0, off, off offset:1032 ; 4-byte Folded Reload
	s_waitcnt vmcnt(1)
	ds_store_2addr_b64 v251, v[144:145], v[146:147] offset1:1
	s_waitcnt vmcnt(0)
	scratch_load_b128 v[144:147], v0, off
	scratch_load_b32 v0, off, off offset:1028 ; 4-byte Folded Reload
	s_waitcnt vmcnt(1)
	ds_store_2addr_b64 v244, v[144:145], v[146:147] offset0:74 offset1:75
	s_waitcnt vmcnt(0)
	scratch_load_b128 v[144:147], v0, off
	scratch_load_b32 v0, off, off offset:1024 ; 4-byte Folded Reload
	s_waitcnt vmcnt(1)
	ds_store_2addr_b64 v244, v[144:145], v[146:147] offset0:76 offset1:77
	;; [unrolled: 5-line block ×14, first 2 shown]
	s_waitcnt vmcnt(0)
	scratch_load_b128 v[144:147], v0, off
	s_waitcnt vmcnt(0)
	ds_store_2addr_b64 v244, v[144:145], v[146:147] offset0:102 offset1:103
	scratch_load_b128 v[144:147], v245, off
	s_waitcnt vmcnt(0)
	ds_store_2addr_b64 v244, v[144:145], v[146:147] offset0:104 offset1:105
	;; [unrolled: 3-line block ×10, first 2 shown]
	ds_load_2addr_b64 v[144:147], v251 offset1:1
	s_waitcnt lgkmcnt(0)
	v_cmp_neq_f64_e32 vcc_lo, 0, v[144:145]
	v_cmp_neq_f64_e64 s3, 0, v[146:147]
	s_delay_alu instid0(VALU_DEP_1) | instskip(NEXT) | instid1(SALU_CYCLE_1)
	s_or_b32 s3, vcc_lo, s3
	s_and_b32 exec_lo, exec_lo, s3
	s_cbranch_execz .LBB121_444
; %bb.439:
	v_cmp_gt_f64_e32 vcc_lo, 0, v[144:145]
	v_xor_b32_e32 v0, 0x80000000, v145
	v_xor_b32_e32 v4, 0x80000000, v147
	s_delay_alu instid0(VALU_DEP_2) | instskip(SKIP_2) | instid1(VALU_DEP_4)
	v_cndmask_b32_e32 v1, v145, v0, vcc_lo
	v_cndmask_b32_e32 v0, v144, v144, vcc_lo
	v_cmp_gt_f64_e32 vcc_lo, 0, v[146:147]
	v_dual_cndmask_b32 v5, v147, v4 :: v_dual_cndmask_b32 v4, v146, v146
	s_delay_alu instid0(VALU_DEP_1) | instskip(SKIP_1) | instid1(SALU_CYCLE_1)
	v_cmp_ngt_f64_e32 vcc_lo, v[0:1], v[4:5]
                                        ; implicit-def: $vgpr0_vgpr1
	s_and_saveexec_b32 s3, vcc_lo
	s_xor_b32 s3, exec_lo, s3
                                        ; implicit-def: $vgpr148_vgpr149_vgpr150_vgpr151
	s_cbranch_execz .LBB121_441
; %bb.440:
	v_div_scale_f64 v[0:1], null, v[146:147], v[146:147], v[144:145]
	v_div_scale_f64 v[148:149], vcc_lo, v[144:145], v[146:147], v[144:145]
	s_delay_alu instid0(VALU_DEP_2) | instskip(SKIP_2) | instid1(VALU_DEP_1)
	v_rcp_f64_e32 v[4:5], v[0:1]
	s_waitcnt_depctr 0xfff
	v_fma_f64 v[6:7], -v[0:1], v[4:5], 1.0
	v_fma_f64 v[4:5], v[4:5], v[6:7], v[4:5]
	s_delay_alu instid0(VALU_DEP_1) | instskip(NEXT) | instid1(VALU_DEP_1)
	v_fma_f64 v[6:7], -v[0:1], v[4:5], 1.0
	v_fma_f64 v[4:5], v[4:5], v[6:7], v[4:5]
	s_delay_alu instid0(VALU_DEP_1) | instskip(NEXT) | instid1(VALU_DEP_1)
	v_mul_f64 v[6:7], v[148:149], v[4:5]
	v_fma_f64 v[0:1], -v[0:1], v[6:7], v[148:149]
	s_delay_alu instid0(VALU_DEP_1) | instskip(NEXT) | instid1(VALU_DEP_1)
	v_div_fmas_f64 v[0:1], v[0:1], v[4:5], v[6:7]
	v_div_fixup_f64 v[0:1], v[0:1], v[146:147], v[144:145]
	s_delay_alu instid0(VALU_DEP_1) | instskip(NEXT) | instid1(VALU_DEP_1)
	v_fma_f64 v[4:5], v[144:145], v[0:1], v[146:147]
	v_div_scale_f64 v[6:7], null, v[4:5], v[4:5], 1.0
	s_delay_alu instid0(VALU_DEP_1) | instskip(SKIP_2) | instid1(VALU_DEP_1)
	v_rcp_f64_e32 v[144:145], v[6:7]
	s_waitcnt_depctr 0xfff
	v_fma_f64 v[146:147], -v[6:7], v[144:145], 1.0
	v_fma_f64 v[144:145], v[144:145], v[146:147], v[144:145]
	s_delay_alu instid0(VALU_DEP_1) | instskip(NEXT) | instid1(VALU_DEP_1)
	v_fma_f64 v[146:147], -v[6:7], v[144:145], 1.0
	v_fma_f64 v[144:145], v[144:145], v[146:147], v[144:145]
	v_div_scale_f64 v[146:147], vcc_lo, 1.0, v[4:5], 1.0
	s_delay_alu instid0(VALU_DEP_1) | instskip(NEXT) | instid1(VALU_DEP_1)
	v_mul_f64 v[148:149], v[146:147], v[144:145]
	v_fma_f64 v[6:7], -v[6:7], v[148:149], v[146:147]
	s_delay_alu instid0(VALU_DEP_1) | instskip(NEXT) | instid1(VALU_DEP_1)
	v_div_fmas_f64 v[6:7], v[6:7], v[144:145], v[148:149]
                                        ; implicit-def: $vgpr144_vgpr145
	v_div_fixup_f64 v[150:151], v[6:7], v[4:5], 1.0
	s_delay_alu instid0(VALU_DEP_1)
	v_mul_f64 v[0:1], v[0:1], v[150:151]
	v_xor_b32_e32 v151, 0x80000000, v151
.LBB121_441:
	s_and_not1_saveexec_b32 s3, s3
	s_cbranch_execz .LBB121_443
; %bb.442:
	v_div_scale_f64 v[0:1], null, v[144:145], v[144:145], v[146:147]
	v_div_scale_f64 v[148:149], vcc_lo, v[146:147], v[144:145], v[146:147]
	s_delay_alu instid0(VALU_DEP_2) | instskip(SKIP_2) | instid1(VALU_DEP_1)
	v_rcp_f64_e32 v[4:5], v[0:1]
	s_waitcnt_depctr 0xfff
	v_fma_f64 v[6:7], -v[0:1], v[4:5], 1.0
	v_fma_f64 v[4:5], v[4:5], v[6:7], v[4:5]
	s_delay_alu instid0(VALU_DEP_1) | instskip(NEXT) | instid1(VALU_DEP_1)
	v_fma_f64 v[6:7], -v[0:1], v[4:5], 1.0
	v_fma_f64 v[4:5], v[4:5], v[6:7], v[4:5]
	s_delay_alu instid0(VALU_DEP_1) | instskip(NEXT) | instid1(VALU_DEP_1)
	v_mul_f64 v[6:7], v[148:149], v[4:5]
	v_fma_f64 v[0:1], -v[0:1], v[6:7], v[148:149]
	s_delay_alu instid0(VALU_DEP_1) | instskip(NEXT) | instid1(VALU_DEP_1)
	v_div_fmas_f64 v[0:1], v[0:1], v[4:5], v[6:7]
	v_div_fixup_f64 v[4:5], v[0:1], v[144:145], v[146:147]
	s_delay_alu instid0(VALU_DEP_1) | instskip(NEXT) | instid1(VALU_DEP_1)
	v_fma_f64 v[0:1], v[146:147], v[4:5], v[144:145]
	v_div_scale_f64 v[6:7], null, v[0:1], v[0:1], 1.0
	s_delay_alu instid0(VALU_DEP_1) | instskip(SKIP_2) | instid1(VALU_DEP_1)
	v_rcp_f64_e32 v[144:145], v[6:7]
	s_waitcnt_depctr 0xfff
	v_fma_f64 v[146:147], -v[6:7], v[144:145], 1.0
	v_fma_f64 v[144:145], v[144:145], v[146:147], v[144:145]
	s_delay_alu instid0(VALU_DEP_1) | instskip(NEXT) | instid1(VALU_DEP_1)
	v_fma_f64 v[146:147], -v[6:7], v[144:145], 1.0
	v_fma_f64 v[144:145], v[144:145], v[146:147], v[144:145]
	v_div_scale_f64 v[146:147], vcc_lo, 1.0, v[0:1], 1.0
	s_delay_alu instid0(VALU_DEP_1) | instskip(NEXT) | instid1(VALU_DEP_1)
	v_mul_f64 v[148:149], v[146:147], v[144:145]
	v_fma_f64 v[6:7], -v[6:7], v[148:149], v[146:147]
	s_delay_alu instid0(VALU_DEP_1) | instskip(NEXT) | instid1(VALU_DEP_1)
	v_div_fmas_f64 v[6:7], v[6:7], v[144:145], v[148:149]
	v_div_fixup_f64 v[0:1], v[6:7], v[0:1], 1.0
	s_delay_alu instid0(VALU_DEP_1)
	v_mul_f64 v[150:151], v[4:5], -v[0:1]
.LBB121_443:
	s_or_b32 exec_lo, exec_lo, s3
	ds_store_2addr_b64 v251, v[0:1], v[150:151] offset1:1
.LBB121_444:
	s_or_b32 exec_lo, exec_lo, s4
	s_waitcnt lgkmcnt(0)
	s_barrier
	buffer_gl0_inv
	ds_load_2addr_b64 v[144:147], v251 offset1:1
	s_mov_b32 s3, exec_lo
	v_cmpx_lt_u32_e32 36, v254
	s_cbranch_execz .LBB121_447
; %bb.445:
	scratch_load_b128 v[150:153], off, off offset:576
	s_mov_b32 s4, 0
	s_waitcnt vmcnt(0) lgkmcnt(0)
	v_mul_f64 v[0:1], v[146:147], v[152:153]
	s_delay_alu instid0(VALU_DEP_1) | instskip(SKIP_1) | instid1(VALU_DEP_1)
	v_fma_f64 v[148:149], v[144:145], v[150:151], -v[0:1]
	v_mul_f64 v[0:1], v[144:145], v[152:153]
	v_fma_f64 v[150:151], v[146:147], v[150:151], v[0:1]
	v_add3_u32 v0, v176, 0, 0x250
	v_mov_b32_e32 v1, 0
	scratch_store_b128 off, v[148:151], off offset:576
.LBB121_446:                            ; =>This Inner Loop Header: Depth=1
	v_add_nc_u32_e32 v156, s4, v0
	v_readfirstlane_b32 s5, v1
	ds_load_2addr_b64 v[152:155], v156 offset1:1
	s_add_i32 s5, s5, s4
	s_addk_i32 s4, 0x60
	s_add_i32 s6, s5, 0x250
	s_waitcnt lgkmcnt(0)
	v_mul_f64 v[4:5], v[154:155], v[150:151]
	v_mul_f64 v[6:7], v[152:153], v[150:151]
	s_delay_alu instid0(VALU_DEP_2) | instskip(NEXT) | instid1(VALU_DEP_2)
	v_fma_f64 v[4:5], v[152:153], v[148:149], -v[4:5]
	v_fma_f64 v[6:7], v[154:155], v[148:149], v[6:7]
	scratch_load_b128 v[152:155], off, s6
	s_waitcnt vmcnt(0)
	v_add_f64 v[152:153], v[152:153], -v[4:5]
	v_add_f64 v[154:155], v[154:155], -v[6:7]
	scratch_store_b128 off, v[152:155], s6
	ds_load_2addr_b64 v[152:155], v156 offset0:2 offset1:3
	s_add_i32 s6, s5, 0x260
	s_waitcnt lgkmcnt(0)
	v_mul_f64 v[4:5], v[154:155], v[150:151]
	v_mul_f64 v[6:7], v[152:153], v[150:151]
	s_delay_alu instid0(VALU_DEP_2) | instskip(NEXT) | instid1(VALU_DEP_2)
	v_fma_f64 v[4:5], v[152:153], v[148:149], -v[4:5]
	v_fma_f64 v[6:7], v[154:155], v[148:149], v[6:7]
	scratch_load_b128 v[152:155], off, s6
	s_waitcnt vmcnt(0)
	v_add_f64 v[152:153], v[152:153], -v[4:5]
	v_add_f64 v[154:155], v[154:155], -v[6:7]
	scratch_store_b128 off, v[152:155], s6
	ds_load_2addr_b64 v[152:155], v156 offset0:4 offset1:5
	;; [unrolled: 13-line block ×4, first 2 shown]
	s_add_i32 s6, s5, 0x290
	s_addk_i32 s5, 0x2a0
	s_cmpk_lg_i32 s4, 0x180
	s_waitcnt lgkmcnt(0)
	v_mul_f64 v[4:5], v[154:155], v[150:151]
	v_mul_f64 v[6:7], v[152:153], v[150:151]
	s_delay_alu instid0(VALU_DEP_2) | instskip(NEXT) | instid1(VALU_DEP_2)
	v_fma_f64 v[4:5], v[152:153], v[148:149], -v[4:5]
	v_fma_f64 v[6:7], v[154:155], v[148:149], v[6:7]
	scratch_load_b128 v[152:155], off, s6
	s_waitcnt vmcnt(0)
	v_add_f64 v[152:153], v[152:153], -v[4:5]
	v_add_f64 v[154:155], v[154:155], -v[6:7]
	scratch_store_b128 off, v[152:155], s6
	ds_load_2addr_b64 v[152:155], v156 offset0:10 offset1:11
	s_waitcnt lgkmcnt(0)
	v_mul_f64 v[4:5], v[154:155], v[150:151]
	v_mul_f64 v[6:7], v[152:153], v[150:151]
	s_delay_alu instid0(VALU_DEP_2) | instskip(NEXT) | instid1(VALU_DEP_2)
	v_fma_f64 v[4:5], v[152:153], v[148:149], -v[4:5]
	v_fma_f64 v[6:7], v[154:155], v[148:149], v[6:7]
	scratch_load_b128 v[152:155], off, s5
	s_waitcnt vmcnt(0)
	v_add_f64 v[152:153], v[152:153], -v[4:5]
	v_add_f64 v[154:155], v[154:155], -v[6:7]
	scratch_store_b128 off, v[152:155], s5
	s_cbranch_scc1 .LBB121_446
.LBB121_447:
	s_or_b32 exec_lo, exec_lo, s3
	s_delay_alu instid0(SALU_CYCLE_1)
	s_mov_b32 s4, exec_lo
	s_waitcnt lgkmcnt(0)
	s_waitcnt_vscnt null, 0x0
	s_barrier
	buffer_gl0_inv
	v_cmpx_eq_u32_e32 37, v254
	s_cbranch_execz .LBB121_454
; %bb.448:
	scratch_load_b32 v0, off, off offset:1032 ; 4-byte Folded Reload
	s_waitcnt vmcnt(0)
	scratch_load_b128 v[148:151], v0, off
	scratch_load_b32 v0, off, off offset:1028 ; 4-byte Folded Reload
	s_waitcnt vmcnt(1)
	ds_store_2addr_b64 v251, v[148:149], v[150:151] offset1:1
	s_waitcnt vmcnt(0)
	scratch_load_b128 v[148:151], v0, off
	scratch_load_b32 v0, off, off offset:1024 ; 4-byte Folded Reload
	s_waitcnt vmcnt(1)
	ds_store_2addr_b64 v244, v[148:149], v[150:151] offset0:76 offset1:77
	s_waitcnt vmcnt(0)
	scratch_load_b128 v[148:151], v0, off
	scratch_load_b32 v0, off, off offset:1020 ; 4-byte Folded Reload
	s_waitcnt vmcnt(1)
	ds_store_2addr_b64 v244, v[148:149], v[150:151] offset0:78 offset1:79
	;; [unrolled: 5-line block ×13, first 2 shown]
	s_waitcnt vmcnt(0)
	scratch_load_b128 v[148:151], v0, off
	s_waitcnt vmcnt(0)
	ds_store_2addr_b64 v244, v[148:149], v[150:151] offset0:102 offset1:103
	scratch_load_b128 v[148:151], v245, off
	s_waitcnt vmcnt(0)
	ds_store_2addr_b64 v244, v[148:149], v[150:151] offset0:104 offset1:105
	;; [unrolled: 3-line block ×10, first 2 shown]
	ds_load_2addr_b64 v[148:151], v251 offset1:1
	s_waitcnt lgkmcnt(0)
	v_cmp_neq_f64_e32 vcc_lo, 0, v[148:149]
	v_cmp_neq_f64_e64 s3, 0, v[150:151]
	s_delay_alu instid0(VALU_DEP_1) | instskip(NEXT) | instid1(SALU_CYCLE_1)
	s_or_b32 s3, vcc_lo, s3
	s_and_b32 exec_lo, exec_lo, s3
	s_cbranch_execz .LBB121_454
; %bb.449:
	v_cmp_gt_f64_e32 vcc_lo, 0, v[148:149]
	v_xor_b32_e32 v0, 0x80000000, v149
	v_xor_b32_e32 v4, 0x80000000, v151
	s_delay_alu instid0(VALU_DEP_2) | instskip(SKIP_2) | instid1(VALU_DEP_4)
	v_cndmask_b32_e32 v1, v149, v0, vcc_lo
	v_cndmask_b32_e32 v0, v148, v148, vcc_lo
	v_cmp_gt_f64_e32 vcc_lo, 0, v[150:151]
	v_dual_cndmask_b32 v5, v151, v4 :: v_dual_cndmask_b32 v4, v150, v150
	s_delay_alu instid0(VALU_DEP_1) | instskip(SKIP_1) | instid1(SALU_CYCLE_1)
	v_cmp_ngt_f64_e32 vcc_lo, v[0:1], v[4:5]
                                        ; implicit-def: $vgpr0_vgpr1
	s_and_saveexec_b32 s3, vcc_lo
	s_xor_b32 s3, exec_lo, s3
                                        ; implicit-def: $vgpr152_vgpr153_vgpr154_vgpr155
	s_cbranch_execz .LBB121_451
; %bb.450:
	v_div_scale_f64 v[0:1], null, v[150:151], v[150:151], v[148:149]
	v_div_scale_f64 v[152:153], vcc_lo, v[148:149], v[150:151], v[148:149]
	s_delay_alu instid0(VALU_DEP_2) | instskip(SKIP_2) | instid1(VALU_DEP_1)
	v_rcp_f64_e32 v[4:5], v[0:1]
	s_waitcnt_depctr 0xfff
	v_fma_f64 v[6:7], -v[0:1], v[4:5], 1.0
	v_fma_f64 v[4:5], v[4:5], v[6:7], v[4:5]
	s_delay_alu instid0(VALU_DEP_1) | instskip(NEXT) | instid1(VALU_DEP_1)
	v_fma_f64 v[6:7], -v[0:1], v[4:5], 1.0
	v_fma_f64 v[4:5], v[4:5], v[6:7], v[4:5]
	s_delay_alu instid0(VALU_DEP_1) | instskip(NEXT) | instid1(VALU_DEP_1)
	v_mul_f64 v[6:7], v[152:153], v[4:5]
	v_fma_f64 v[0:1], -v[0:1], v[6:7], v[152:153]
	s_delay_alu instid0(VALU_DEP_1) | instskip(NEXT) | instid1(VALU_DEP_1)
	v_div_fmas_f64 v[0:1], v[0:1], v[4:5], v[6:7]
	v_div_fixup_f64 v[0:1], v[0:1], v[150:151], v[148:149]
	s_delay_alu instid0(VALU_DEP_1) | instskip(NEXT) | instid1(VALU_DEP_1)
	v_fma_f64 v[4:5], v[148:149], v[0:1], v[150:151]
	v_div_scale_f64 v[6:7], null, v[4:5], v[4:5], 1.0
	s_delay_alu instid0(VALU_DEP_1) | instskip(SKIP_2) | instid1(VALU_DEP_1)
	v_rcp_f64_e32 v[148:149], v[6:7]
	s_waitcnt_depctr 0xfff
	v_fma_f64 v[150:151], -v[6:7], v[148:149], 1.0
	v_fma_f64 v[148:149], v[148:149], v[150:151], v[148:149]
	s_delay_alu instid0(VALU_DEP_1) | instskip(NEXT) | instid1(VALU_DEP_1)
	v_fma_f64 v[150:151], -v[6:7], v[148:149], 1.0
	v_fma_f64 v[148:149], v[148:149], v[150:151], v[148:149]
	v_div_scale_f64 v[150:151], vcc_lo, 1.0, v[4:5], 1.0
	s_delay_alu instid0(VALU_DEP_1) | instskip(NEXT) | instid1(VALU_DEP_1)
	v_mul_f64 v[152:153], v[150:151], v[148:149]
	v_fma_f64 v[6:7], -v[6:7], v[152:153], v[150:151]
	s_delay_alu instid0(VALU_DEP_1) | instskip(NEXT) | instid1(VALU_DEP_1)
	v_div_fmas_f64 v[6:7], v[6:7], v[148:149], v[152:153]
                                        ; implicit-def: $vgpr148_vgpr149
	v_div_fixup_f64 v[154:155], v[6:7], v[4:5], 1.0
	s_delay_alu instid0(VALU_DEP_1)
	v_mul_f64 v[0:1], v[0:1], v[154:155]
	v_xor_b32_e32 v155, 0x80000000, v155
.LBB121_451:
	s_and_not1_saveexec_b32 s3, s3
	s_cbranch_execz .LBB121_453
; %bb.452:
	v_div_scale_f64 v[0:1], null, v[148:149], v[148:149], v[150:151]
	v_div_scale_f64 v[152:153], vcc_lo, v[150:151], v[148:149], v[150:151]
	s_delay_alu instid0(VALU_DEP_2) | instskip(SKIP_2) | instid1(VALU_DEP_1)
	v_rcp_f64_e32 v[4:5], v[0:1]
	s_waitcnt_depctr 0xfff
	v_fma_f64 v[6:7], -v[0:1], v[4:5], 1.0
	v_fma_f64 v[4:5], v[4:5], v[6:7], v[4:5]
	s_delay_alu instid0(VALU_DEP_1) | instskip(NEXT) | instid1(VALU_DEP_1)
	v_fma_f64 v[6:7], -v[0:1], v[4:5], 1.0
	v_fma_f64 v[4:5], v[4:5], v[6:7], v[4:5]
	s_delay_alu instid0(VALU_DEP_1) | instskip(NEXT) | instid1(VALU_DEP_1)
	v_mul_f64 v[6:7], v[152:153], v[4:5]
	v_fma_f64 v[0:1], -v[0:1], v[6:7], v[152:153]
	s_delay_alu instid0(VALU_DEP_1) | instskip(NEXT) | instid1(VALU_DEP_1)
	v_div_fmas_f64 v[0:1], v[0:1], v[4:5], v[6:7]
	v_div_fixup_f64 v[4:5], v[0:1], v[148:149], v[150:151]
	s_delay_alu instid0(VALU_DEP_1) | instskip(NEXT) | instid1(VALU_DEP_1)
	v_fma_f64 v[0:1], v[150:151], v[4:5], v[148:149]
	v_div_scale_f64 v[6:7], null, v[0:1], v[0:1], 1.0
	s_delay_alu instid0(VALU_DEP_1) | instskip(SKIP_2) | instid1(VALU_DEP_1)
	v_rcp_f64_e32 v[148:149], v[6:7]
	s_waitcnt_depctr 0xfff
	v_fma_f64 v[150:151], -v[6:7], v[148:149], 1.0
	v_fma_f64 v[148:149], v[148:149], v[150:151], v[148:149]
	s_delay_alu instid0(VALU_DEP_1) | instskip(NEXT) | instid1(VALU_DEP_1)
	v_fma_f64 v[150:151], -v[6:7], v[148:149], 1.0
	v_fma_f64 v[148:149], v[148:149], v[150:151], v[148:149]
	v_div_scale_f64 v[150:151], vcc_lo, 1.0, v[0:1], 1.0
	s_delay_alu instid0(VALU_DEP_1) | instskip(NEXT) | instid1(VALU_DEP_1)
	v_mul_f64 v[152:153], v[150:151], v[148:149]
	v_fma_f64 v[6:7], -v[6:7], v[152:153], v[150:151]
	s_delay_alu instid0(VALU_DEP_1) | instskip(NEXT) | instid1(VALU_DEP_1)
	v_div_fmas_f64 v[6:7], v[6:7], v[148:149], v[152:153]
	v_div_fixup_f64 v[0:1], v[6:7], v[0:1], 1.0
	s_delay_alu instid0(VALU_DEP_1)
	v_mul_f64 v[154:155], v[4:5], -v[0:1]
.LBB121_453:
	s_or_b32 exec_lo, exec_lo, s3
	ds_store_2addr_b64 v251, v[0:1], v[154:155] offset1:1
.LBB121_454:
	s_or_b32 exec_lo, exec_lo, s4
	s_waitcnt lgkmcnt(0)
	s_barrier
	buffer_gl0_inv
	ds_load_2addr_b64 v[148:151], v251 offset1:1
	s_mov_b32 s3, exec_lo
	v_cmpx_lt_u32_e32 37, v254
	s_cbranch_execz .LBB121_459
; %bb.455:
	scratch_load_b128 v[154:157], off, off offset:592
	s_mov_b32 s4, 0
	s_waitcnt vmcnt(0) lgkmcnt(0)
	v_mul_f64 v[0:1], v[150:151], v[156:157]
	s_delay_alu instid0(VALU_DEP_1) | instskip(SKIP_1) | instid1(VALU_DEP_1)
	v_fma_f64 v[152:153], v[148:149], v[154:155], -v[0:1]
	v_mul_f64 v[0:1], v[148:149], v[156:157]
	v_fma_f64 v[154:155], v[150:151], v[154:155], v[0:1]
	v_add3_u32 v0, v176, 0, 0x260
	v_mov_b32_e32 v1, 0
	scratch_store_b128 off, v[152:155], off offset:592
	s_branch .LBB121_457
.LBB121_456:                            ;   in Loop: Header=BB121_457 Depth=1
	s_and_not1_b32 vcc_lo, exec_lo, s6
	s_cbranch_vccz .LBB121_459
.LBB121_457:                            ; =>This Inner Loop Header: Depth=1
	v_add_nc_u32_e32 v156, s4, v0
	v_readfirstlane_b32 s5, v1
	ds_load_2addr_b64 v[157:160], v156 offset1:1
	s_add_i32 s5, s5, s4
	s_delay_alu instid0(SALU_CYCLE_1) | instskip(SKIP_3) | instid1(VALU_DEP_2)
	s_add_i32 s6, s5, 0x260
	s_waitcnt lgkmcnt(0)
	v_mul_f64 v[4:5], v[159:160], v[154:155]
	v_mul_f64 v[6:7], v[157:158], v[154:155]
	v_fma_f64 v[4:5], v[157:158], v[152:153], -v[4:5]
	s_delay_alu instid0(VALU_DEP_2)
	v_fma_f64 v[6:7], v[159:160], v[152:153], v[6:7]
	scratch_load_b128 v[157:160], off, s6
	s_waitcnt vmcnt(0)
	v_add_f64 v[157:158], v[157:158], -v[4:5]
	v_add_f64 v[159:160], v[159:160], -v[6:7]
	scratch_store_b128 off, v[157:160], s6
	ds_load_2addr_b64 v[157:160], v156 offset0:2 offset1:3
	s_add_i32 s6, s5, 0x270
	s_waitcnt lgkmcnt(0)
	v_mul_f64 v[4:5], v[159:160], v[154:155]
	v_mul_f64 v[6:7], v[157:158], v[154:155]
	s_delay_alu instid0(VALU_DEP_2) | instskip(NEXT) | instid1(VALU_DEP_2)
	v_fma_f64 v[4:5], v[157:158], v[152:153], -v[4:5]
	v_fma_f64 v[6:7], v[159:160], v[152:153], v[6:7]
	scratch_load_b128 v[157:160], off, s6
	s_waitcnt vmcnt(0)
	v_add_f64 v[157:158], v[157:158], -v[4:5]
	v_add_f64 v[159:160], v[159:160], -v[6:7]
	scratch_store_b128 off, v[157:160], s6
	ds_load_2addr_b64 v[157:160], v156 offset0:4 offset1:5
	s_add_i32 s6, s5, 0x280
	s_cmpk_eq_i32 s4, 0x140
	s_waitcnt lgkmcnt(0)
	v_mul_f64 v[4:5], v[159:160], v[154:155]
	v_mul_f64 v[6:7], v[157:158], v[154:155]
	s_delay_alu instid0(VALU_DEP_2) | instskip(NEXT) | instid1(VALU_DEP_2)
	v_fma_f64 v[4:5], v[157:158], v[152:153], -v[4:5]
	v_fma_f64 v[6:7], v[159:160], v[152:153], v[6:7]
	scratch_load_b128 v[157:160], off, s6
	s_waitcnt vmcnt(0)
	v_add_f64 v[157:158], v[157:158], -v[4:5]
	v_add_f64 v[159:160], v[159:160], -v[6:7]
	scratch_store_b128 off, v[157:160], s6
	s_mov_b32 s6, -1
	s_cbranch_scc1 .LBB121_456
; %bb.458:                              ;   in Loop: Header=BB121_457 Depth=1
	ds_load_2addr_b64 v[156:159], v156 offset0:6 offset1:7
	s_addk_i32 s5, 0x290
	s_add_i32 s4, s4, 64
	s_mov_b32 s6, 0
	s_waitcnt lgkmcnt(0)
	v_mul_f64 v[4:5], v[158:159], v[154:155]
	v_mul_f64 v[6:7], v[156:157], v[154:155]
	s_delay_alu instid0(VALU_DEP_2) | instskip(NEXT) | instid1(VALU_DEP_2)
	v_fma_f64 v[4:5], v[156:157], v[152:153], -v[4:5]
	v_fma_f64 v[6:7], v[158:159], v[152:153], v[6:7]
	scratch_load_b128 v[156:159], off, s5
	s_waitcnt vmcnt(0)
	v_add_f64 v[156:157], v[156:157], -v[4:5]
	v_add_f64 v[158:159], v[158:159], -v[6:7]
	scratch_store_b128 off, v[156:159], s5
	s_branch .LBB121_456
.LBB121_459:
	s_or_b32 exec_lo, exec_lo, s3
	s_delay_alu instid0(SALU_CYCLE_1)
	s_mov_b32 s4, exec_lo
	s_waitcnt lgkmcnt(0)
	s_waitcnt_vscnt null, 0x0
	s_barrier
	buffer_gl0_inv
	v_cmpx_eq_u32_e32 38, v254
	s_cbranch_execz .LBB121_466
; %bb.460:
	scratch_load_b32 v0, off, off offset:1028 ; 4-byte Folded Reload
	s_waitcnt vmcnt(0)
	scratch_load_b128 v[152:155], v0, off
	scratch_load_b32 v0, off, off offset:1024 ; 4-byte Folded Reload
	s_waitcnt vmcnt(1)
	ds_store_2addr_b64 v251, v[152:153], v[154:155] offset1:1
	s_waitcnt vmcnt(0)
	scratch_load_b128 v[152:155], v0, off
	scratch_load_b32 v0, off, off offset:1020 ; 4-byte Folded Reload
	s_waitcnt vmcnt(1)
	ds_store_2addr_b64 v244, v[152:153], v[154:155] offset0:78 offset1:79
	s_waitcnt vmcnt(0)
	scratch_load_b128 v[152:155], v0, off
	scratch_load_b32 v0, off, off offset:1016 ; 4-byte Folded Reload
	s_waitcnt vmcnt(1)
	ds_store_2addr_b64 v244, v[152:153], v[154:155] offset0:80 offset1:81
	;; [unrolled: 5-line block ×12, first 2 shown]
	s_waitcnt vmcnt(0)
	scratch_load_b128 v[152:155], v0, off
	s_waitcnt vmcnt(0)
	ds_store_2addr_b64 v244, v[152:153], v[154:155] offset0:102 offset1:103
	scratch_load_b128 v[152:155], v245, off
	s_waitcnt vmcnt(0)
	ds_store_2addr_b64 v244, v[152:153], v[154:155] offset0:104 offset1:105
	;; [unrolled: 3-line block ×10, first 2 shown]
	ds_load_2addr_b64 v[152:155], v251 offset1:1
	s_waitcnt lgkmcnt(0)
	v_cmp_neq_f64_e32 vcc_lo, 0, v[152:153]
	v_cmp_neq_f64_e64 s3, 0, v[154:155]
	s_delay_alu instid0(VALU_DEP_1) | instskip(NEXT) | instid1(SALU_CYCLE_1)
	s_or_b32 s3, vcc_lo, s3
	s_and_b32 exec_lo, exec_lo, s3
	s_cbranch_execz .LBB121_466
; %bb.461:
	v_cmp_gt_f64_e32 vcc_lo, 0, v[152:153]
	v_xor_b32_e32 v0, 0x80000000, v153
	v_xor_b32_e32 v4, 0x80000000, v155
	s_delay_alu instid0(VALU_DEP_2) | instskip(SKIP_2) | instid1(VALU_DEP_4)
	v_cndmask_b32_e32 v1, v153, v0, vcc_lo
	v_cndmask_b32_e32 v0, v152, v152, vcc_lo
	v_cmp_gt_f64_e32 vcc_lo, 0, v[154:155]
	v_dual_cndmask_b32 v5, v155, v4 :: v_dual_cndmask_b32 v4, v154, v154
	s_delay_alu instid0(VALU_DEP_1) | instskip(SKIP_1) | instid1(SALU_CYCLE_1)
	v_cmp_ngt_f64_e32 vcc_lo, v[0:1], v[4:5]
                                        ; implicit-def: $vgpr0_vgpr1
	s_and_saveexec_b32 s3, vcc_lo
	s_xor_b32 s3, exec_lo, s3
                                        ; implicit-def: $vgpr156_vgpr157_vgpr158_vgpr159
	s_cbranch_execz .LBB121_463
; %bb.462:
	v_div_scale_f64 v[0:1], null, v[154:155], v[154:155], v[152:153]
	v_div_scale_f64 v[156:157], vcc_lo, v[152:153], v[154:155], v[152:153]
	s_delay_alu instid0(VALU_DEP_2) | instskip(SKIP_2) | instid1(VALU_DEP_1)
	v_rcp_f64_e32 v[4:5], v[0:1]
	s_waitcnt_depctr 0xfff
	v_fma_f64 v[6:7], -v[0:1], v[4:5], 1.0
	v_fma_f64 v[4:5], v[4:5], v[6:7], v[4:5]
	s_delay_alu instid0(VALU_DEP_1) | instskip(NEXT) | instid1(VALU_DEP_1)
	v_fma_f64 v[6:7], -v[0:1], v[4:5], 1.0
	v_fma_f64 v[4:5], v[4:5], v[6:7], v[4:5]
	s_delay_alu instid0(VALU_DEP_1) | instskip(NEXT) | instid1(VALU_DEP_1)
	v_mul_f64 v[6:7], v[156:157], v[4:5]
	v_fma_f64 v[0:1], -v[0:1], v[6:7], v[156:157]
	s_delay_alu instid0(VALU_DEP_1) | instskip(NEXT) | instid1(VALU_DEP_1)
	v_div_fmas_f64 v[0:1], v[0:1], v[4:5], v[6:7]
	v_div_fixup_f64 v[0:1], v[0:1], v[154:155], v[152:153]
	s_delay_alu instid0(VALU_DEP_1) | instskip(NEXT) | instid1(VALU_DEP_1)
	v_fma_f64 v[4:5], v[152:153], v[0:1], v[154:155]
	v_div_scale_f64 v[6:7], null, v[4:5], v[4:5], 1.0
	s_delay_alu instid0(VALU_DEP_1) | instskip(SKIP_2) | instid1(VALU_DEP_1)
	v_rcp_f64_e32 v[152:153], v[6:7]
	s_waitcnt_depctr 0xfff
	v_fma_f64 v[154:155], -v[6:7], v[152:153], 1.0
	v_fma_f64 v[152:153], v[152:153], v[154:155], v[152:153]
	s_delay_alu instid0(VALU_DEP_1) | instskip(NEXT) | instid1(VALU_DEP_1)
	v_fma_f64 v[154:155], -v[6:7], v[152:153], 1.0
	v_fma_f64 v[152:153], v[152:153], v[154:155], v[152:153]
	v_div_scale_f64 v[154:155], vcc_lo, 1.0, v[4:5], 1.0
	s_delay_alu instid0(VALU_DEP_1) | instskip(NEXT) | instid1(VALU_DEP_1)
	v_mul_f64 v[156:157], v[154:155], v[152:153]
	v_fma_f64 v[6:7], -v[6:7], v[156:157], v[154:155]
	s_delay_alu instid0(VALU_DEP_1) | instskip(NEXT) | instid1(VALU_DEP_1)
	v_div_fmas_f64 v[6:7], v[6:7], v[152:153], v[156:157]
                                        ; implicit-def: $vgpr152_vgpr153
	v_div_fixup_f64 v[158:159], v[6:7], v[4:5], 1.0
	s_delay_alu instid0(VALU_DEP_1)
	v_mul_f64 v[0:1], v[0:1], v[158:159]
	v_xor_b32_e32 v159, 0x80000000, v159
.LBB121_463:
	s_and_not1_saveexec_b32 s3, s3
	s_cbranch_execz .LBB121_465
; %bb.464:
	v_div_scale_f64 v[0:1], null, v[152:153], v[152:153], v[154:155]
	v_div_scale_f64 v[156:157], vcc_lo, v[154:155], v[152:153], v[154:155]
	s_delay_alu instid0(VALU_DEP_2) | instskip(SKIP_2) | instid1(VALU_DEP_1)
	v_rcp_f64_e32 v[4:5], v[0:1]
	s_waitcnt_depctr 0xfff
	v_fma_f64 v[6:7], -v[0:1], v[4:5], 1.0
	v_fma_f64 v[4:5], v[4:5], v[6:7], v[4:5]
	s_delay_alu instid0(VALU_DEP_1) | instskip(NEXT) | instid1(VALU_DEP_1)
	v_fma_f64 v[6:7], -v[0:1], v[4:5], 1.0
	v_fma_f64 v[4:5], v[4:5], v[6:7], v[4:5]
	s_delay_alu instid0(VALU_DEP_1) | instskip(NEXT) | instid1(VALU_DEP_1)
	v_mul_f64 v[6:7], v[156:157], v[4:5]
	v_fma_f64 v[0:1], -v[0:1], v[6:7], v[156:157]
	s_delay_alu instid0(VALU_DEP_1) | instskip(NEXT) | instid1(VALU_DEP_1)
	v_div_fmas_f64 v[0:1], v[0:1], v[4:5], v[6:7]
	v_div_fixup_f64 v[4:5], v[0:1], v[152:153], v[154:155]
	s_delay_alu instid0(VALU_DEP_1) | instskip(NEXT) | instid1(VALU_DEP_1)
	v_fma_f64 v[0:1], v[154:155], v[4:5], v[152:153]
	v_div_scale_f64 v[6:7], null, v[0:1], v[0:1], 1.0
	s_delay_alu instid0(VALU_DEP_1) | instskip(SKIP_2) | instid1(VALU_DEP_1)
	v_rcp_f64_e32 v[152:153], v[6:7]
	s_waitcnt_depctr 0xfff
	v_fma_f64 v[154:155], -v[6:7], v[152:153], 1.0
	v_fma_f64 v[152:153], v[152:153], v[154:155], v[152:153]
	s_delay_alu instid0(VALU_DEP_1) | instskip(NEXT) | instid1(VALU_DEP_1)
	v_fma_f64 v[154:155], -v[6:7], v[152:153], 1.0
	v_fma_f64 v[152:153], v[152:153], v[154:155], v[152:153]
	v_div_scale_f64 v[154:155], vcc_lo, 1.0, v[0:1], 1.0
	s_delay_alu instid0(VALU_DEP_1) | instskip(NEXT) | instid1(VALU_DEP_1)
	v_mul_f64 v[156:157], v[154:155], v[152:153]
	v_fma_f64 v[6:7], -v[6:7], v[156:157], v[154:155]
	s_delay_alu instid0(VALU_DEP_1) | instskip(NEXT) | instid1(VALU_DEP_1)
	v_div_fmas_f64 v[6:7], v[6:7], v[152:153], v[156:157]
	v_div_fixup_f64 v[0:1], v[6:7], v[0:1], 1.0
	s_delay_alu instid0(VALU_DEP_1)
	v_mul_f64 v[158:159], v[4:5], -v[0:1]
.LBB121_465:
	s_or_b32 exec_lo, exec_lo, s3
	ds_store_2addr_b64 v251, v[0:1], v[158:159] offset1:1
.LBB121_466:
	s_or_b32 exec_lo, exec_lo, s4
	s_waitcnt lgkmcnt(0)
	s_barrier
	buffer_gl0_inv
	ds_load_2addr_b64 v[152:155], v251 offset1:1
	s_mov_b32 s3, exec_lo
	v_cmpx_lt_u32_e32 38, v254
	s_cbranch_execz .LBB121_469
; %bb.467:
	scratch_load_b128 v[158:161], off, off offset:608
	s_mov_b32 s4, 0
	s_waitcnt vmcnt(0) lgkmcnt(0)
	v_mul_f64 v[0:1], v[154:155], v[160:161]
	s_delay_alu instid0(VALU_DEP_1) | instskip(SKIP_1) | instid1(VALU_DEP_1)
	v_fma_f64 v[156:157], v[152:153], v[158:159], -v[0:1]
	v_mul_f64 v[0:1], v[152:153], v[160:161]
	v_fma_f64 v[158:159], v[154:155], v[158:159], v[0:1]
	v_add3_u32 v0, v176, 0, 0x270
	scratch_store_b128 off, v[156:159], off offset:608
	s_set_inst_prefetch_distance 0x1
	.p2align	6
.LBB121_468:                            ; =>This Inner Loop Header: Depth=1
	v_add_nc_u32_e32 v1, s4, v0
	v_add_nc_u32_e64 v164, s4, 0
	s_add_i32 s4, s4, 32
	s_delay_alu instid0(SALU_CYCLE_1)
	s_cmpk_lg_i32 s4, 0x160
	ds_load_2addr_b64 v[160:163], v1 offset1:1
	v_add_nc_u32_e32 v165, 0x270, v164
	s_waitcnt lgkmcnt(0)
	v_mul_f64 v[4:5], v[162:163], v[158:159]
	v_mul_f64 v[6:7], v[160:161], v[158:159]
	s_delay_alu instid0(VALU_DEP_2) | instskip(NEXT) | instid1(VALU_DEP_2)
	v_fma_f64 v[4:5], v[160:161], v[156:157], -v[4:5]
	v_fma_f64 v[6:7], v[162:163], v[156:157], v[6:7]
	scratch_load_b128 v[160:163], v165, off
	s_waitcnt vmcnt(0)
	v_add_f64 v[160:161], v[160:161], -v[4:5]
	v_add_f64 v[162:163], v[162:163], -v[6:7]
	scratch_store_b128 v165, v[160:163], off
	ds_load_2addr_b64 v[160:163], v1 offset0:2 offset1:3
	v_add_nc_u32_e32 v1, 0x280, v164
	s_waitcnt lgkmcnt(0)
	v_mul_f64 v[4:5], v[162:163], v[158:159]
	v_mul_f64 v[6:7], v[160:161], v[158:159]
	s_delay_alu instid0(VALU_DEP_2) | instskip(NEXT) | instid1(VALU_DEP_2)
	v_fma_f64 v[4:5], v[160:161], v[156:157], -v[4:5]
	v_fma_f64 v[6:7], v[162:163], v[156:157], v[6:7]
	scratch_load_b128 v[160:163], v1, off
	s_waitcnt vmcnt(0)
	v_add_f64 v[160:161], v[160:161], -v[4:5]
	v_add_f64 v[162:163], v[162:163], -v[6:7]
	scratch_store_b128 v1, v[160:163], off
	s_cbranch_scc1 .LBB121_468
.LBB121_469:
	s_set_inst_prefetch_distance 0x2
	s_or_b32 exec_lo, exec_lo, s3
	s_delay_alu instid0(SALU_CYCLE_1)
	s_mov_b32 s4, exec_lo
	s_waitcnt lgkmcnt(0)
	s_waitcnt_vscnt null, 0x0
	s_barrier
	buffer_gl0_inv
	v_cmpx_eq_u32_e32 39, v254
	s_cbranch_execz .LBB121_476
; %bb.470:
	scratch_load_b32 v0, off, off offset:1024 ; 4-byte Folded Reload
	s_waitcnt vmcnt(0)
	scratch_load_b128 v[156:159], v0, off
	scratch_load_b32 v0, off, off offset:1020 ; 4-byte Folded Reload
	s_waitcnt vmcnt(1)
	ds_store_2addr_b64 v251, v[156:157], v[158:159] offset1:1
	s_waitcnt vmcnt(0)
	scratch_load_b128 v[156:159], v0, off
	scratch_load_b32 v0, off, off offset:1016 ; 4-byte Folded Reload
	s_waitcnt vmcnt(1)
	ds_store_2addr_b64 v244, v[156:157], v[158:159] offset0:80 offset1:81
	s_waitcnt vmcnt(0)
	scratch_load_b128 v[156:159], v0, off
	scratch_load_b32 v0, off, off offset:1012 ; 4-byte Folded Reload
	s_waitcnt vmcnt(1)
	ds_store_2addr_b64 v244, v[156:157], v[158:159] offset0:82 offset1:83
	s_waitcnt vmcnt(0)
	scratch_load_b128 v[156:159], v0, off
	scratch_load_b32 v0, off, off offset:1008 ; 4-byte Folded Reload
	s_waitcnt vmcnt(1)
	ds_store_2addr_b64 v244, v[156:157], v[158:159] offset0:84 offset1:85
	s_waitcnt vmcnt(0)
	scratch_load_b128 v[156:159], v0, off
	scratch_load_b32 v0, off, off offset:1004 ; 4-byte Folded Reload
	s_waitcnt vmcnt(1)
	ds_store_2addr_b64 v244, v[156:157], v[158:159] offset0:86 offset1:87
	s_waitcnt vmcnt(0)
	scratch_load_b128 v[156:159], v0, off
	scratch_load_b32 v0, off, off offset:1000 ; 4-byte Folded Reload
	s_waitcnt vmcnt(1)
	ds_store_2addr_b64 v244, v[156:157], v[158:159] offset0:88 offset1:89
	s_waitcnt vmcnt(0)
	scratch_load_b128 v[156:159], v0, off
	scratch_load_b32 v0, off, off offset:996 ; 4-byte Folded Reload
	s_waitcnt vmcnt(1)
	ds_store_2addr_b64 v244, v[156:157], v[158:159] offset0:90 offset1:91
	s_waitcnt vmcnt(0)
	scratch_load_b128 v[156:159], v0, off
	scratch_load_b32 v0, off, off offset:992 ; 4-byte Folded Reload
	s_waitcnt vmcnt(1)
	ds_store_2addr_b64 v244, v[156:157], v[158:159] offset0:92 offset1:93
	s_waitcnt vmcnt(0)
	scratch_load_b128 v[156:159], v0, off
	scratch_load_b32 v0, off, off offset:988 ; 4-byte Folded Reload
	s_waitcnt vmcnt(1)
	ds_store_2addr_b64 v244, v[156:157], v[158:159] offset0:94 offset1:95
	s_waitcnt vmcnt(0)
	scratch_load_b128 v[156:159], v0, off
	scratch_load_b32 v0, off, off offset:984 ; 4-byte Folded Reload
	s_waitcnt vmcnt(1)
	ds_store_2addr_b64 v244, v[156:157], v[158:159] offset0:96 offset1:97
	s_waitcnt vmcnt(0)
	scratch_load_b128 v[156:159], v0, off
	scratch_load_b32 v0, off, off offset:980 ; 4-byte Folded Reload
	s_waitcnt vmcnt(1)
	ds_store_2addr_b64 v244, v[156:157], v[158:159] offset0:98 offset1:99
	s_waitcnt vmcnt(0)
	scratch_load_b128 v[156:159], v0, off
	scratch_load_b32 v0, off, off offset:976 ; 4-byte Folded Reload
	s_waitcnt vmcnt(1)
	ds_store_2addr_b64 v244, v[156:157], v[158:159] offset0:100 offset1:101
	s_waitcnt vmcnt(0)
	scratch_load_b128 v[156:159], v0, off
	s_waitcnt vmcnt(0)
	ds_store_2addr_b64 v244, v[156:157], v[158:159] offset0:102 offset1:103
	scratch_load_b128 v[156:159], v245, off
	s_waitcnt vmcnt(0)
	ds_store_2addr_b64 v244, v[156:157], v[158:159] offset0:104 offset1:105
	;; [unrolled: 3-line block ×10, first 2 shown]
	ds_load_2addr_b64 v[156:159], v251 offset1:1
	s_waitcnt lgkmcnt(0)
	v_cmp_neq_f64_e32 vcc_lo, 0, v[156:157]
	v_cmp_neq_f64_e64 s3, 0, v[158:159]
	s_delay_alu instid0(VALU_DEP_1) | instskip(NEXT) | instid1(SALU_CYCLE_1)
	s_or_b32 s3, vcc_lo, s3
	s_and_b32 exec_lo, exec_lo, s3
	s_cbranch_execz .LBB121_476
; %bb.471:
	v_cmp_gt_f64_e32 vcc_lo, 0, v[156:157]
	v_xor_b32_e32 v0, 0x80000000, v157
	v_xor_b32_e32 v4, 0x80000000, v159
	s_delay_alu instid0(VALU_DEP_2) | instskip(SKIP_2) | instid1(VALU_DEP_4)
	v_cndmask_b32_e32 v1, v157, v0, vcc_lo
	v_cndmask_b32_e32 v0, v156, v156, vcc_lo
	v_cmp_gt_f64_e32 vcc_lo, 0, v[158:159]
	v_dual_cndmask_b32 v5, v159, v4 :: v_dual_cndmask_b32 v4, v158, v158
	s_delay_alu instid0(VALU_DEP_1) | instskip(SKIP_1) | instid1(SALU_CYCLE_1)
	v_cmp_ngt_f64_e32 vcc_lo, v[0:1], v[4:5]
                                        ; implicit-def: $vgpr0_vgpr1
	s_and_saveexec_b32 s3, vcc_lo
	s_xor_b32 s3, exec_lo, s3
                                        ; implicit-def: $vgpr160_vgpr161_vgpr162_vgpr163
	s_cbranch_execz .LBB121_473
; %bb.472:
	v_div_scale_f64 v[0:1], null, v[158:159], v[158:159], v[156:157]
	v_div_scale_f64 v[160:161], vcc_lo, v[156:157], v[158:159], v[156:157]
	s_delay_alu instid0(VALU_DEP_2) | instskip(SKIP_2) | instid1(VALU_DEP_1)
	v_rcp_f64_e32 v[4:5], v[0:1]
	s_waitcnt_depctr 0xfff
	v_fma_f64 v[6:7], -v[0:1], v[4:5], 1.0
	v_fma_f64 v[4:5], v[4:5], v[6:7], v[4:5]
	s_delay_alu instid0(VALU_DEP_1) | instskip(NEXT) | instid1(VALU_DEP_1)
	v_fma_f64 v[6:7], -v[0:1], v[4:5], 1.0
	v_fma_f64 v[4:5], v[4:5], v[6:7], v[4:5]
	s_delay_alu instid0(VALU_DEP_1) | instskip(NEXT) | instid1(VALU_DEP_1)
	v_mul_f64 v[6:7], v[160:161], v[4:5]
	v_fma_f64 v[0:1], -v[0:1], v[6:7], v[160:161]
	s_delay_alu instid0(VALU_DEP_1) | instskip(NEXT) | instid1(VALU_DEP_1)
	v_div_fmas_f64 v[0:1], v[0:1], v[4:5], v[6:7]
	v_div_fixup_f64 v[0:1], v[0:1], v[158:159], v[156:157]
	s_delay_alu instid0(VALU_DEP_1) | instskip(NEXT) | instid1(VALU_DEP_1)
	v_fma_f64 v[4:5], v[156:157], v[0:1], v[158:159]
	v_div_scale_f64 v[6:7], null, v[4:5], v[4:5], 1.0
	s_delay_alu instid0(VALU_DEP_1) | instskip(SKIP_2) | instid1(VALU_DEP_1)
	v_rcp_f64_e32 v[156:157], v[6:7]
	s_waitcnt_depctr 0xfff
	v_fma_f64 v[158:159], -v[6:7], v[156:157], 1.0
	v_fma_f64 v[156:157], v[156:157], v[158:159], v[156:157]
	s_delay_alu instid0(VALU_DEP_1) | instskip(NEXT) | instid1(VALU_DEP_1)
	v_fma_f64 v[158:159], -v[6:7], v[156:157], 1.0
	v_fma_f64 v[156:157], v[156:157], v[158:159], v[156:157]
	v_div_scale_f64 v[158:159], vcc_lo, 1.0, v[4:5], 1.0
	s_delay_alu instid0(VALU_DEP_1) | instskip(NEXT) | instid1(VALU_DEP_1)
	v_mul_f64 v[160:161], v[158:159], v[156:157]
	v_fma_f64 v[6:7], -v[6:7], v[160:161], v[158:159]
	s_delay_alu instid0(VALU_DEP_1) | instskip(NEXT) | instid1(VALU_DEP_1)
	v_div_fmas_f64 v[6:7], v[6:7], v[156:157], v[160:161]
                                        ; implicit-def: $vgpr156_vgpr157
	v_div_fixup_f64 v[162:163], v[6:7], v[4:5], 1.0
	s_delay_alu instid0(VALU_DEP_1)
	v_mul_f64 v[0:1], v[0:1], v[162:163]
	v_xor_b32_e32 v163, 0x80000000, v163
.LBB121_473:
	s_and_not1_saveexec_b32 s3, s3
	s_cbranch_execz .LBB121_475
; %bb.474:
	v_div_scale_f64 v[0:1], null, v[156:157], v[156:157], v[158:159]
	v_div_scale_f64 v[160:161], vcc_lo, v[158:159], v[156:157], v[158:159]
	s_delay_alu instid0(VALU_DEP_2) | instskip(SKIP_2) | instid1(VALU_DEP_1)
	v_rcp_f64_e32 v[4:5], v[0:1]
	s_waitcnt_depctr 0xfff
	v_fma_f64 v[6:7], -v[0:1], v[4:5], 1.0
	v_fma_f64 v[4:5], v[4:5], v[6:7], v[4:5]
	s_delay_alu instid0(VALU_DEP_1) | instskip(NEXT) | instid1(VALU_DEP_1)
	v_fma_f64 v[6:7], -v[0:1], v[4:5], 1.0
	v_fma_f64 v[4:5], v[4:5], v[6:7], v[4:5]
	s_delay_alu instid0(VALU_DEP_1) | instskip(NEXT) | instid1(VALU_DEP_1)
	v_mul_f64 v[6:7], v[160:161], v[4:5]
	v_fma_f64 v[0:1], -v[0:1], v[6:7], v[160:161]
	s_delay_alu instid0(VALU_DEP_1) | instskip(NEXT) | instid1(VALU_DEP_1)
	v_div_fmas_f64 v[0:1], v[0:1], v[4:5], v[6:7]
	v_div_fixup_f64 v[4:5], v[0:1], v[156:157], v[158:159]
	s_delay_alu instid0(VALU_DEP_1) | instskip(NEXT) | instid1(VALU_DEP_1)
	v_fma_f64 v[0:1], v[158:159], v[4:5], v[156:157]
	v_div_scale_f64 v[6:7], null, v[0:1], v[0:1], 1.0
	s_delay_alu instid0(VALU_DEP_1) | instskip(SKIP_2) | instid1(VALU_DEP_1)
	v_rcp_f64_e32 v[156:157], v[6:7]
	s_waitcnt_depctr 0xfff
	v_fma_f64 v[158:159], -v[6:7], v[156:157], 1.0
	v_fma_f64 v[156:157], v[156:157], v[158:159], v[156:157]
	s_delay_alu instid0(VALU_DEP_1) | instskip(NEXT) | instid1(VALU_DEP_1)
	v_fma_f64 v[158:159], -v[6:7], v[156:157], 1.0
	v_fma_f64 v[156:157], v[156:157], v[158:159], v[156:157]
	v_div_scale_f64 v[158:159], vcc_lo, 1.0, v[0:1], 1.0
	s_delay_alu instid0(VALU_DEP_1) | instskip(NEXT) | instid1(VALU_DEP_1)
	v_mul_f64 v[160:161], v[158:159], v[156:157]
	v_fma_f64 v[6:7], -v[6:7], v[160:161], v[158:159]
	s_delay_alu instid0(VALU_DEP_1) | instskip(NEXT) | instid1(VALU_DEP_1)
	v_div_fmas_f64 v[6:7], v[6:7], v[156:157], v[160:161]
	v_div_fixup_f64 v[0:1], v[6:7], v[0:1], 1.0
	s_delay_alu instid0(VALU_DEP_1)
	v_mul_f64 v[162:163], v[4:5], -v[0:1]
.LBB121_475:
	s_or_b32 exec_lo, exec_lo, s3
	ds_store_2addr_b64 v251, v[0:1], v[162:163] offset1:1
.LBB121_476:
	s_or_b32 exec_lo, exec_lo, s4
	s_waitcnt lgkmcnt(0)
	s_barrier
	buffer_gl0_inv
	ds_load_2addr_b64 v[156:159], v251 offset1:1
	s_mov_b32 s3, exec_lo
	v_cmpx_lt_u32_e32 39, v254
	s_cbranch_execz .LBB121_479
; %bb.477:
	scratch_load_b128 v[162:165], off, off offset:624
	s_mov_b32 s4, 0
	s_waitcnt vmcnt(0) lgkmcnt(0)
	v_mul_f64 v[0:1], v[158:159], v[164:165]
	s_delay_alu instid0(VALU_DEP_1) | instskip(SKIP_1) | instid1(VALU_DEP_1)
	v_fma_f64 v[160:161], v[156:157], v[162:163], -v[0:1]
	v_mul_f64 v[0:1], v[156:157], v[164:165]
	v_fma_f64 v[162:163], v[158:159], v[162:163], v[0:1]
	v_add3_u32 v0, v176, 0, 0x280
	v_mov_b32_e32 v1, 0
	scratch_store_b128 off, v[160:163], off offset:624
.LBB121_478:                            ; =>This Inner Loop Header: Depth=1
	v_add_nc_u32_e32 v168, s4, v0
	v_readfirstlane_b32 s5, v1
	ds_load_2addr_b64 v[164:167], v168 offset1:1
	s_add_i32 s5, s5, s4
	s_addk_i32 s4, 0x70
	s_add_i32 s6, s5, 0x280
	s_waitcnt lgkmcnt(0)
	v_mul_f64 v[4:5], v[166:167], v[162:163]
	v_mul_f64 v[6:7], v[164:165], v[162:163]
	s_delay_alu instid0(VALU_DEP_2) | instskip(NEXT) | instid1(VALU_DEP_2)
	v_fma_f64 v[4:5], v[164:165], v[160:161], -v[4:5]
	v_fma_f64 v[6:7], v[166:167], v[160:161], v[6:7]
	scratch_load_b128 v[164:167], off, s6
	s_waitcnt vmcnt(0)
	v_add_f64 v[164:165], v[164:165], -v[4:5]
	v_add_f64 v[166:167], v[166:167], -v[6:7]
	scratch_store_b128 off, v[164:167], s6
	ds_load_2addr_b64 v[164:167], v168 offset0:2 offset1:3
	s_add_i32 s6, s5, 0x290
	s_waitcnt lgkmcnt(0)
	v_mul_f64 v[4:5], v[166:167], v[162:163]
	v_mul_f64 v[6:7], v[164:165], v[162:163]
	s_delay_alu instid0(VALU_DEP_2) | instskip(NEXT) | instid1(VALU_DEP_2)
	v_fma_f64 v[4:5], v[164:165], v[160:161], -v[4:5]
	v_fma_f64 v[6:7], v[166:167], v[160:161], v[6:7]
	scratch_load_b128 v[164:167], off, s6
	s_waitcnt vmcnt(0)
	v_add_f64 v[164:165], v[164:165], -v[4:5]
	v_add_f64 v[166:167], v[166:167], -v[6:7]
	scratch_store_b128 off, v[164:167], s6
	ds_load_2addr_b64 v[164:167], v168 offset0:4 offset1:5
	;; [unrolled: 13-line block ×5, first 2 shown]
	s_add_i32 s6, s5, 0x2d0
	s_addk_i32 s5, 0x2e0
	s_cmpk_lg_i32 s4, 0x150
	s_waitcnt lgkmcnt(0)
	v_mul_f64 v[4:5], v[166:167], v[162:163]
	v_mul_f64 v[6:7], v[164:165], v[162:163]
	s_delay_alu instid0(VALU_DEP_2) | instskip(NEXT) | instid1(VALU_DEP_2)
	v_fma_f64 v[4:5], v[164:165], v[160:161], -v[4:5]
	v_fma_f64 v[6:7], v[166:167], v[160:161], v[6:7]
	scratch_load_b128 v[160:163], off, s6
	ds_load_2addr_b64 v[164:167], v168 offset0:12 offset1:13
	s_waitcnt vmcnt(0)
	v_add_f64 v[160:161], v[160:161], -v[4:5]
	v_add_f64 v[162:163], v[162:163], -v[6:7]
	scratch_store_b128 off, v[160:163], s6
	scratch_load_b128 v[160:163], off, off offset:624
	s_waitcnt vmcnt(0) lgkmcnt(0)
	v_mul_f64 v[4:5], v[166:167], v[162:163]
	v_mul_f64 v[6:7], v[164:165], v[162:163]
	s_delay_alu instid0(VALU_DEP_2) | instskip(NEXT) | instid1(VALU_DEP_2)
	v_fma_f64 v[4:5], v[164:165], v[160:161], -v[4:5]
	v_fma_f64 v[6:7], v[166:167], v[160:161], v[6:7]
	scratch_load_b128 v[164:167], off, s5
	s_waitcnt vmcnt(0)
	v_add_f64 v[164:165], v[164:165], -v[4:5]
	v_add_f64 v[166:167], v[166:167], -v[6:7]
	scratch_store_b128 off, v[164:167], s5
	s_cbranch_scc1 .LBB121_478
.LBB121_479:
	s_or_b32 exec_lo, exec_lo, s3
	s_delay_alu instid0(SALU_CYCLE_1)
	s_mov_b32 s4, exec_lo
	s_waitcnt lgkmcnt(0)
	s_waitcnt_vscnt null, 0x0
	s_barrier
	buffer_gl0_inv
	v_cmpx_eq_u32_e32 40, v254
	s_cbranch_execz .LBB121_486
; %bb.480:
	scratch_load_b32 v0, off, off offset:1020 ; 4-byte Folded Reload
	s_waitcnt vmcnt(0)
	scratch_load_b128 v[160:163], v0, off
	scratch_load_b32 v0, off, off offset:1016 ; 4-byte Folded Reload
	s_waitcnt vmcnt(1)
	ds_store_2addr_b64 v251, v[160:161], v[162:163] offset1:1
	s_waitcnt vmcnt(0)
	scratch_load_b128 v[160:163], v0, off
	scratch_load_b32 v0, off, off offset:1012 ; 4-byte Folded Reload
	s_waitcnt vmcnt(1)
	ds_store_2addr_b64 v244, v[160:161], v[162:163] offset0:82 offset1:83
	s_waitcnt vmcnt(0)
	scratch_load_b128 v[160:163], v0, off
	scratch_load_b32 v0, off, off offset:1008 ; 4-byte Folded Reload
	s_waitcnt vmcnt(1)
	ds_store_2addr_b64 v244, v[160:161], v[162:163] offset0:84 offset1:85
	;; [unrolled: 5-line block ×10, first 2 shown]
	s_waitcnt vmcnt(0)
	scratch_load_b128 v[160:163], v0, off
	s_waitcnt vmcnt(0)
	ds_store_2addr_b64 v244, v[160:161], v[162:163] offset0:102 offset1:103
	scratch_load_b128 v[160:163], v245, off
	s_waitcnt vmcnt(0)
	ds_store_2addr_b64 v244, v[160:161], v[162:163] offset0:104 offset1:105
	;; [unrolled: 3-line block ×10, first 2 shown]
	ds_load_2addr_b64 v[160:163], v251 offset1:1
	s_waitcnt lgkmcnt(0)
	v_cmp_neq_f64_e32 vcc_lo, 0, v[160:161]
	v_cmp_neq_f64_e64 s3, 0, v[162:163]
	s_delay_alu instid0(VALU_DEP_1) | instskip(NEXT) | instid1(SALU_CYCLE_1)
	s_or_b32 s3, vcc_lo, s3
	s_and_b32 exec_lo, exec_lo, s3
	s_cbranch_execz .LBB121_486
; %bb.481:
	v_cmp_gt_f64_e32 vcc_lo, 0, v[160:161]
	v_xor_b32_e32 v0, 0x80000000, v161
	v_xor_b32_e32 v4, 0x80000000, v163
	s_delay_alu instid0(VALU_DEP_2) | instskip(SKIP_2) | instid1(VALU_DEP_4)
	v_cndmask_b32_e32 v1, v161, v0, vcc_lo
	v_cndmask_b32_e32 v0, v160, v160, vcc_lo
	v_cmp_gt_f64_e32 vcc_lo, 0, v[162:163]
	v_dual_cndmask_b32 v5, v163, v4 :: v_dual_cndmask_b32 v4, v162, v162
	s_delay_alu instid0(VALU_DEP_1) | instskip(SKIP_1) | instid1(SALU_CYCLE_1)
	v_cmp_ngt_f64_e32 vcc_lo, v[0:1], v[4:5]
                                        ; implicit-def: $vgpr0_vgpr1
	s_and_saveexec_b32 s3, vcc_lo
	s_xor_b32 s3, exec_lo, s3
                                        ; implicit-def: $vgpr164_vgpr165_vgpr166_vgpr167
	s_cbranch_execz .LBB121_483
; %bb.482:
	v_div_scale_f64 v[0:1], null, v[162:163], v[162:163], v[160:161]
	v_div_scale_f64 v[164:165], vcc_lo, v[160:161], v[162:163], v[160:161]
	s_delay_alu instid0(VALU_DEP_2) | instskip(SKIP_2) | instid1(VALU_DEP_1)
	v_rcp_f64_e32 v[4:5], v[0:1]
	s_waitcnt_depctr 0xfff
	v_fma_f64 v[6:7], -v[0:1], v[4:5], 1.0
	v_fma_f64 v[4:5], v[4:5], v[6:7], v[4:5]
	s_delay_alu instid0(VALU_DEP_1) | instskip(NEXT) | instid1(VALU_DEP_1)
	v_fma_f64 v[6:7], -v[0:1], v[4:5], 1.0
	v_fma_f64 v[4:5], v[4:5], v[6:7], v[4:5]
	s_delay_alu instid0(VALU_DEP_1) | instskip(NEXT) | instid1(VALU_DEP_1)
	v_mul_f64 v[6:7], v[164:165], v[4:5]
	v_fma_f64 v[0:1], -v[0:1], v[6:7], v[164:165]
	s_delay_alu instid0(VALU_DEP_1) | instskip(NEXT) | instid1(VALU_DEP_1)
	v_div_fmas_f64 v[0:1], v[0:1], v[4:5], v[6:7]
	v_div_fixup_f64 v[0:1], v[0:1], v[162:163], v[160:161]
	s_delay_alu instid0(VALU_DEP_1) | instskip(NEXT) | instid1(VALU_DEP_1)
	v_fma_f64 v[4:5], v[160:161], v[0:1], v[162:163]
	v_div_scale_f64 v[6:7], null, v[4:5], v[4:5], 1.0
	s_delay_alu instid0(VALU_DEP_1) | instskip(SKIP_2) | instid1(VALU_DEP_1)
	v_rcp_f64_e32 v[160:161], v[6:7]
	s_waitcnt_depctr 0xfff
	v_fma_f64 v[162:163], -v[6:7], v[160:161], 1.0
	v_fma_f64 v[160:161], v[160:161], v[162:163], v[160:161]
	s_delay_alu instid0(VALU_DEP_1) | instskip(NEXT) | instid1(VALU_DEP_1)
	v_fma_f64 v[162:163], -v[6:7], v[160:161], 1.0
	v_fma_f64 v[160:161], v[160:161], v[162:163], v[160:161]
	v_div_scale_f64 v[162:163], vcc_lo, 1.0, v[4:5], 1.0
	s_delay_alu instid0(VALU_DEP_1) | instskip(NEXT) | instid1(VALU_DEP_1)
	v_mul_f64 v[164:165], v[162:163], v[160:161]
	v_fma_f64 v[6:7], -v[6:7], v[164:165], v[162:163]
	s_delay_alu instid0(VALU_DEP_1) | instskip(NEXT) | instid1(VALU_DEP_1)
	v_div_fmas_f64 v[6:7], v[6:7], v[160:161], v[164:165]
                                        ; implicit-def: $vgpr160_vgpr161
	v_div_fixup_f64 v[166:167], v[6:7], v[4:5], 1.0
	s_delay_alu instid0(VALU_DEP_1)
	v_mul_f64 v[0:1], v[0:1], v[166:167]
	v_xor_b32_e32 v167, 0x80000000, v167
.LBB121_483:
	s_and_not1_saveexec_b32 s3, s3
	s_cbranch_execz .LBB121_485
; %bb.484:
	v_div_scale_f64 v[0:1], null, v[160:161], v[160:161], v[162:163]
	v_div_scale_f64 v[164:165], vcc_lo, v[162:163], v[160:161], v[162:163]
	s_delay_alu instid0(VALU_DEP_2) | instskip(SKIP_2) | instid1(VALU_DEP_1)
	v_rcp_f64_e32 v[4:5], v[0:1]
	s_waitcnt_depctr 0xfff
	v_fma_f64 v[6:7], -v[0:1], v[4:5], 1.0
	v_fma_f64 v[4:5], v[4:5], v[6:7], v[4:5]
	s_delay_alu instid0(VALU_DEP_1) | instskip(NEXT) | instid1(VALU_DEP_1)
	v_fma_f64 v[6:7], -v[0:1], v[4:5], 1.0
	v_fma_f64 v[4:5], v[4:5], v[6:7], v[4:5]
	s_delay_alu instid0(VALU_DEP_1) | instskip(NEXT) | instid1(VALU_DEP_1)
	v_mul_f64 v[6:7], v[164:165], v[4:5]
	v_fma_f64 v[0:1], -v[0:1], v[6:7], v[164:165]
	s_delay_alu instid0(VALU_DEP_1) | instskip(NEXT) | instid1(VALU_DEP_1)
	v_div_fmas_f64 v[0:1], v[0:1], v[4:5], v[6:7]
	v_div_fixup_f64 v[4:5], v[0:1], v[160:161], v[162:163]
	s_delay_alu instid0(VALU_DEP_1) | instskip(NEXT) | instid1(VALU_DEP_1)
	v_fma_f64 v[0:1], v[162:163], v[4:5], v[160:161]
	v_div_scale_f64 v[6:7], null, v[0:1], v[0:1], 1.0
	s_delay_alu instid0(VALU_DEP_1) | instskip(SKIP_2) | instid1(VALU_DEP_1)
	v_rcp_f64_e32 v[160:161], v[6:7]
	s_waitcnt_depctr 0xfff
	v_fma_f64 v[162:163], -v[6:7], v[160:161], 1.0
	v_fma_f64 v[160:161], v[160:161], v[162:163], v[160:161]
	s_delay_alu instid0(VALU_DEP_1) | instskip(NEXT) | instid1(VALU_DEP_1)
	v_fma_f64 v[162:163], -v[6:7], v[160:161], 1.0
	v_fma_f64 v[160:161], v[160:161], v[162:163], v[160:161]
	v_div_scale_f64 v[162:163], vcc_lo, 1.0, v[0:1], 1.0
	s_delay_alu instid0(VALU_DEP_1) | instskip(NEXT) | instid1(VALU_DEP_1)
	v_mul_f64 v[164:165], v[162:163], v[160:161]
	v_fma_f64 v[6:7], -v[6:7], v[164:165], v[162:163]
	s_delay_alu instid0(VALU_DEP_1) | instskip(NEXT) | instid1(VALU_DEP_1)
	v_div_fmas_f64 v[6:7], v[6:7], v[160:161], v[164:165]
	v_div_fixup_f64 v[0:1], v[6:7], v[0:1], 1.0
	s_delay_alu instid0(VALU_DEP_1)
	v_mul_f64 v[166:167], v[4:5], -v[0:1]
.LBB121_485:
	s_or_b32 exec_lo, exec_lo, s3
	ds_store_2addr_b64 v251, v[0:1], v[166:167] offset1:1
.LBB121_486:
	s_or_b32 exec_lo, exec_lo, s4
	s_waitcnt lgkmcnt(0)
	s_barrier
	buffer_gl0_inv
	ds_load_2addr_b64 v[160:163], v251 offset1:1
	s_mov_b32 s3, exec_lo
	v_cmpx_lt_u32_e32 40, v254
	s_cbranch_execz .LBB121_489
; %bb.487:
	scratch_load_b128 v[166:169], off, off offset:640
	s_mov_b32 s4, 0
	s_waitcnt vmcnt(0) lgkmcnt(0)
	v_mul_f64 v[0:1], v[162:163], v[168:169]
	s_delay_alu instid0(VALU_DEP_1) | instskip(SKIP_1) | instid1(VALU_DEP_1)
	v_fma_f64 v[164:165], v[160:161], v[166:167], -v[0:1]
	v_mul_f64 v[0:1], v[160:161], v[168:169]
	v_fma_f64 v[166:167], v[162:163], v[166:167], v[0:1]
	v_add3_u32 v0, v176, 0, 0x290
	v_mov_b32_e32 v1, 0
	scratch_store_b128 off, v[164:167], off offset:640
.LBB121_488:                            ; =>This Inner Loop Header: Depth=1
	v_add_nc_u32_e32 v172, s4, v0
	v_readfirstlane_b32 s5, v1
	ds_load_2addr_b64 v[168:171], v172 offset1:1
	s_add_i32 s5, s5, s4
	s_addk_i32 s4, 0x50
	s_add_i32 s6, s5, 0x290
	s_waitcnt lgkmcnt(0)
	v_mul_f64 v[4:5], v[170:171], v[166:167]
	v_mul_f64 v[6:7], v[168:169], v[166:167]
	s_delay_alu instid0(VALU_DEP_2) | instskip(NEXT) | instid1(VALU_DEP_2)
	v_fma_f64 v[4:5], v[168:169], v[164:165], -v[4:5]
	v_fma_f64 v[6:7], v[170:171], v[164:165], v[6:7]
	scratch_load_b128 v[168:171], off, s6
	s_waitcnt vmcnt(0)
	v_add_f64 v[168:169], v[168:169], -v[4:5]
	v_add_f64 v[170:171], v[170:171], -v[6:7]
	scratch_store_b128 off, v[168:171], s6
	ds_load_2addr_b64 v[168:171], v172 offset0:2 offset1:3
	s_add_i32 s6, s5, 0x2a0
	s_waitcnt lgkmcnt(0)
	v_mul_f64 v[4:5], v[170:171], v[166:167]
	v_mul_f64 v[6:7], v[168:169], v[166:167]
	s_delay_alu instid0(VALU_DEP_2) | instskip(NEXT) | instid1(VALU_DEP_2)
	v_fma_f64 v[4:5], v[168:169], v[164:165], -v[4:5]
	v_fma_f64 v[6:7], v[170:171], v[164:165], v[6:7]
	scratch_load_b128 v[168:171], off, s6
	s_waitcnt vmcnt(0)
	v_add_f64 v[168:169], v[168:169], -v[4:5]
	v_add_f64 v[170:171], v[170:171], -v[6:7]
	scratch_store_b128 off, v[168:171], s6
	ds_load_2addr_b64 v[168:171], v172 offset0:4 offset1:5
	;; [unrolled: 13-line block ×3, first 2 shown]
	s_add_i32 s6, s5, 0x2c0
	s_addk_i32 s5, 0x2d0
	s_cmpk_lg_i32 s4, 0x140
	s_waitcnt lgkmcnt(0)
	v_mul_f64 v[4:5], v[170:171], v[166:167]
	v_mul_f64 v[6:7], v[168:169], v[166:167]
	s_delay_alu instid0(VALU_DEP_2) | instskip(NEXT) | instid1(VALU_DEP_2)
	v_fma_f64 v[4:5], v[168:169], v[164:165], -v[4:5]
	v_fma_f64 v[6:7], v[170:171], v[164:165], v[6:7]
	scratch_load_b128 v[168:171], off, s6
	s_waitcnt vmcnt(0)
	v_add_f64 v[168:169], v[168:169], -v[4:5]
	v_add_f64 v[170:171], v[170:171], -v[6:7]
	scratch_store_b128 off, v[168:171], s6
	ds_load_2addr_b64 v[168:171], v172 offset0:8 offset1:9
	s_waitcnt lgkmcnt(0)
	v_mul_f64 v[4:5], v[170:171], v[166:167]
	v_mul_f64 v[6:7], v[168:169], v[166:167]
	s_delay_alu instid0(VALU_DEP_2) | instskip(NEXT) | instid1(VALU_DEP_2)
	v_fma_f64 v[4:5], v[168:169], v[164:165], -v[4:5]
	v_fma_f64 v[6:7], v[170:171], v[164:165], v[6:7]
	scratch_load_b128 v[168:171], off, s5
	s_waitcnt vmcnt(0)
	v_add_f64 v[168:169], v[168:169], -v[4:5]
	v_add_f64 v[170:171], v[170:171], -v[6:7]
	scratch_store_b128 off, v[168:171], s5
	s_cbranch_scc1 .LBB121_488
.LBB121_489:
	s_or_b32 exec_lo, exec_lo, s3
	s_delay_alu instid0(SALU_CYCLE_1)
	s_mov_b32 s4, exec_lo
	s_waitcnt lgkmcnt(0)
	s_waitcnt_vscnt null, 0x0
	s_barrier
	buffer_gl0_inv
	v_cmpx_eq_u32_e32 41, v254
	s_cbranch_execz .LBB121_496
; %bb.490:
	scratch_load_b32 v0, off, off offset:1016 ; 4-byte Folded Reload
	s_waitcnt vmcnt(0)
	scratch_load_b128 v[164:167], v0, off
	scratch_load_b32 v0, off, off offset:1012 ; 4-byte Folded Reload
	s_waitcnt vmcnt(1)
	ds_store_2addr_b64 v251, v[164:165], v[166:167] offset1:1
	s_waitcnt vmcnt(0)
	scratch_load_b128 v[164:167], v0, off
	scratch_load_b32 v0, off, off offset:1008 ; 4-byte Folded Reload
	s_waitcnt vmcnt(1)
	ds_store_2addr_b64 v244, v[164:165], v[166:167] offset0:84 offset1:85
	s_waitcnt vmcnt(0)
	scratch_load_b128 v[164:167], v0, off
	scratch_load_b32 v0, off, off offset:1004 ; 4-byte Folded Reload
	s_waitcnt vmcnt(1)
	ds_store_2addr_b64 v244, v[164:165], v[166:167] offset0:86 offset1:87
	;; [unrolled: 5-line block ×9, first 2 shown]
	s_waitcnt vmcnt(0)
	scratch_load_b128 v[164:167], v0, off
	s_waitcnt vmcnt(0)
	ds_store_2addr_b64 v244, v[164:165], v[166:167] offset0:102 offset1:103
	scratch_load_b128 v[164:167], v245, off
	s_waitcnt vmcnt(0)
	ds_store_2addr_b64 v244, v[164:165], v[166:167] offset0:104 offset1:105
	;; [unrolled: 3-line block ×10, first 2 shown]
	ds_load_2addr_b64 v[164:167], v251 offset1:1
	s_waitcnt lgkmcnt(0)
	v_cmp_neq_f64_e32 vcc_lo, 0, v[164:165]
	v_cmp_neq_f64_e64 s3, 0, v[166:167]
	s_delay_alu instid0(VALU_DEP_1) | instskip(NEXT) | instid1(SALU_CYCLE_1)
	s_or_b32 s3, vcc_lo, s3
	s_and_b32 exec_lo, exec_lo, s3
	s_cbranch_execz .LBB121_496
; %bb.491:
	v_cmp_gt_f64_e32 vcc_lo, 0, v[164:165]
	v_xor_b32_e32 v0, 0x80000000, v165
	v_xor_b32_e32 v4, 0x80000000, v167
	s_delay_alu instid0(VALU_DEP_2) | instskip(SKIP_2) | instid1(VALU_DEP_4)
	v_cndmask_b32_e32 v1, v165, v0, vcc_lo
	v_cndmask_b32_e32 v0, v164, v164, vcc_lo
	v_cmp_gt_f64_e32 vcc_lo, 0, v[166:167]
	v_dual_cndmask_b32 v5, v167, v4 :: v_dual_cndmask_b32 v4, v166, v166
	s_delay_alu instid0(VALU_DEP_1) | instskip(SKIP_1) | instid1(SALU_CYCLE_1)
	v_cmp_ngt_f64_e32 vcc_lo, v[0:1], v[4:5]
                                        ; implicit-def: $vgpr0_vgpr1
	s_and_saveexec_b32 s3, vcc_lo
	s_xor_b32 s3, exec_lo, s3
                                        ; implicit-def: $vgpr168_vgpr169_vgpr170_vgpr171
	s_cbranch_execz .LBB121_493
; %bb.492:
	v_div_scale_f64 v[0:1], null, v[166:167], v[166:167], v[164:165]
	v_div_scale_f64 v[168:169], vcc_lo, v[164:165], v[166:167], v[164:165]
	s_delay_alu instid0(VALU_DEP_2) | instskip(SKIP_2) | instid1(VALU_DEP_1)
	v_rcp_f64_e32 v[4:5], v[0:1]
	s_waitcnt_depctr 0xfff
	v_fma_f64 v[6:7], -v[0:1], v[4:5], 1.0
	v_fma_f64 v[4:5], v[4:5], v[6:7], v[4:5]
	s_delay_alu instid0(VALU_DEP_1) | instskip(NEXT) | instid1(VALU_DEP_1)
	v_fma_f64 v[6:7], -v[0:1], v[4:5], 1.0
	v_fma_f64 v[4:5], v[4:5], v[6:7], v[4:5]
	s_delay_alu instid0(VALU_DEP_1) | instskip(NEXT) | instid1(VALU_DEP_1)
	v_mul_f64 v[6:7], v[168:169], v[4:5]
	v_fma_f64 v[0:1], -v[0:1], v[6:7], v[168:169]
	s_delay_alu instid0(VALU_DEP_1) | instskip(NEXT) | instid1(VALU_DEP_1)
	v_div_fmas_f64 v[0:1], v[0:1], v[4:5], v[6:7]
	v_div_fixup_f64 v[0:1], v[0:1], v[166:167], v[164:165]
	s_delay_alu instid0(VALU_DEP_1) | instskip(NEXT) | instid1(VALU_DEP_1)
	v_fma_f64 v[4:5], v[164:165], v[0:1], v[166:167]
	v_div_scale_f64 v[6:7], null, v[4:5], v[4:5], 1.0
	s_delay_alu instid0(VALU_DEP_1) | instskip(SKIP_2) | instid1(VALU_DEP_1)
	v_rcp_f64_e32 v[164:165], v[6:7]
	s_waitcnt_depctr 0xfff
	v_fma_f64 v[166:167], -v[6:7], v[164:165], 1.0
	v_fma_f64 v[164:165], v[164:165], v[166:167], v[164:165]
	s_delay_alu instid0(VALU_DEP_1) | instskip(NEXT) | instid1(VALU_DEP_1)
	v_fma_f64 v[166:167], -v[6:7], v[164:165], 1.0
	v_fma_f64 v[164:165], v[164:165], v[166:167], v[164:165]
	v_div_scale_f64 v[166:167], vcc_lo, 1.0, v[4:5], 1.0
	s_delay_alu instid0(VALU_DEP_1) | instskip(NEXT) | instid1(VALU_DEP_1)
	v_mul_f64 v[168:169], v[166:167], v[164:165]
	v_fma_f64 v[6:7], -v[6:7], v[168:169], v[166:167]
	s_delay_alu instid0(VALU_DEP_1) | instskip(NEXT) | instid1(VALU_DEP_1)
	v_div_fmas_f64 v[6:7], v[6:7], v[164:165], v[168:169]
                                        ; implicit-def: $vgpr164_vgpr165
	v_div_fixup_f64 v[170:171], v[6:7], v[4:5], 1.0
	s_delay_alu instid0(VALU_DEP_1)
	v_mul_f64 v[0:1], v[0:1], v[170:171]
	v_xor_b32_e32 v171, 0x80000000, v171
.LBB121_493:
	s_and_not1_saveexec_b32 s3, s3
	s_cbranch_execz .LBB121_495
; %bb.494:
	v_div_scale_f64 v[0:1], null, v[164:165], v[164:165], v[166:167]
	v_div_scale_f64 v[168:169], vcc_lo, v[166:167], v[164:165], v[166:167]
	s_delay_alu instid0(VALU_DEP_2) | instskip(SKIP_2) | instid1(VALU_DEP_1)
	v_rcp_f64_e32 v[4:5], v[0:1]
	s_waitcnt_depctr 0xfff
	v_fma_f64 v[6:7], -v[0:1], v[4:5], 1.0
	v_fma_f64 v[4:5], v[4:5], v[6:7], v[4:5]
	s_delay_alu instid0(VALU_DEP_1) | instskip(NEXT) | instid1(VALU_DEP_1)
	v_fma_f64 v[6:7], -v[0:1], v[4:5], 1.0
	v_fma_f64 v[4:5], v[4:5], v[6:7], v[4:5]
	s_delay_alu instid0(VALU_DEP_1) | instskip(NEXT) | instid1(VALU_DEP_1)
	v_mul_f64 v[6:7], v[168:169], v[4:5]
	v_fma_f64 v[0:1], -v[0:1], v[6:7], v[168:169]
	s_delay_alu instid0(VALU_DEP_1) | instskip(NEXT) | instid1(VALU_DEP_1)
	v_div_fmas_f64 v[0:1], v[0:1], v[4:5], v[6:7]
	v_div_fixup_f64 v[4:5], v[0:1], v[164:165], v[166:167]
	s_delay_alu instid0(VALU_DEP_1) | instskip(NEXT) | instid1(VALU_DEP_1)
	v_fma_f64 v[0:1], v[166:167], v[4:5], v[164:165]
	v_div_scale_f64 v[6:7], null, v[0:1], v[0:1], 1.0
	s_delay_alu instid0(VALU_DEP_1) | instskip(SKIP_2) | instid1(VALU_DEP_1)
	v_rcp_f64_e32 v[164:165], v[6:7]
	s_waitcnt_depctr 0xfff
	v_fma_f64 v[166:167], -v[6:7], v[164:165], 1.0
	v_fma_f64 v[164:165], v[164:165], v[166:167], v[164:165]
	s_delay_alu instid0(VALU_DEP_1) | instskip(NEXT) | instid1(VALU_DEP_1)
	v_fma_f64 v[166:167], -v[6:7], v[164:165], 1.0
	v_fma_f64 v[164:165], v[164:165], v[166:167], v[164:165]
	v_div_scale_f64 v[166:167], vcc_lo, 1.0, v[0:1], 1.0
	s_delay_alu instid0(VALU_DEP_1) | instskip(NEXT) | instid1(VALU_DEP_1)
	v_mul_f64 v[168:169], v[166:167], v[164:165]
	v_fma_f64 v[6:7], -v[6:7], v[168:169], v[166:167]
	s_delay_alu instid0(VALU_DEP_1) | instskip(NEXT) | instid1(VALU_DEP_1)
	v_div_fmas_f64 v[6:7], v[6:7], v[164:165], v[168:169]
	v_div_fixup_f64 v[0:1], v[6:7], v[0:1], 1.0
	s_delay_alu instid0(VALU_DEP_1)
	v_mul_f64 v[170:171], v[4:5], -v[0:1]
.LBB121_495:
	s_or_b32 exec_lo, exec_lo, s3
	ds_store_2addr_b64 v251, v[0:1], v[170:171] offset1:1
.LBB121_496:
	s_or_b32 exec_lo, exec_lo, s4
	s_waitcnt lgkmcnt(0)
	s_barrier
	buffer_gl0_inv
	ds_load_2addr_b64 v[164:167], v251 offset1:1
	s_mov_b32 s3, exec_lo
	v_cmpx_lt_u32_e32 41, v254
	s_cbranch_execz .LBB121_501
; %bb.497:
	scratch_load_b128 v[170:173], off, off offset:656
	s_mov_b32 s4, 0
	s_waitcnt vmcnt(0) lgkmcnt(0)
	v_mul_f64 v[0:1], v[166:167], v[172:173]
	s_delay_alu instid0(VALU_DEP_1) | instskip(SKIP_1) | instid1(VALU_DEP_1)
	v_fma_f64 v[168:169], v[164:165], v[170:171], -v[0:1]
	v_mul_f64 v[0:1], v[164:165], v[172:173]
	v_fma_f64 v[170:171], v[166:167], v[170:171], v[0:1]
	v_add3_u32 v0, v176, 0, 0x2a0
	v_mov_b32_e32 v1, 0
	scratch_store_b128 off, v[168:171], off offset:656
	s_branch .LBB121_499
.LBB121_498:                            ;   in Loop: Header=BB121_499 Depth=1
	s_and_not1_b32 vcc_lo, exec_lo, s6
	s_cbranch_vccz .LBB121_501
.LBB121_499:                            ; =>This Inner Loop Header: Depth=1
	v_add_nc_u32_e32 v172, s4, v0
	v_readfirstlane_b32 s5, v1
	ds_load_2addr_b64 v[177:180], v172 offset1:1
	s_add_i32 s5, s5, s4
	s_delay_alu instid0(SALU_CYCLE_1) | instskip(SKIP_3) | instid1(VALU_DEP_2)
	s_add_i32 s6, s5, 0x2a0
	s_waitcnt lgkmcnt(0)
	v_mul_f64 v[4:5], v[179:180], v[170:171]
	v_mul_f64 v[6:7], v[177:178], v[170:171]
	v_fma_f64 v[4:5], v[177:178], v[168:169], -v[4:5]
	s_delay_alu instid0(VALU_DEP_2)
	v_fma_f64 v[6:7], v[179:180], v[168:169], v[6:7]
	scratch_load_b128 v[177:180], off, s6
	s_waitcnt vmcnt(0)
	v_add_f64 v[177:178], v[177:178], -v[4:5]
	v_add_f64 v[179:180], v[179:180], -v[6:7]
	scratch_store_b128 off, v[177:180], s6
	ds_load_2addr_b64 v[177:180], v172 offset0:2 offset1:3
	s_add_i32 s6, s5, 0x2b0
	s_waitcnt lgkmcnt(0)
	v_mul_f64 v[4:5], v[179:180], v[170:171]
	v_mul_f64 v[6:7], v[177:178], v[170:171]
	s_delay_alu instid0(VALU_DEP_2) | instskip(NEXT) | instid1(VALU_DEP_2)
	v_fma_f64 v[4:5], v[177:178], v[168:169], -v[4:5]
	v_fma_f64 v[6:7], v[179:180], v[168:169], v[6:7]
	scratch_load_b128 v[177:180], off, s6
	s_waitcnt vmcnt(0)
	v_add_f64 v[177:178], v[177:178], -v[4:5]
	v_add_f64 v[179:180], v[179:180], -v[6:7]
	scratch_store_b128 off, v[177:180], s6
	ds_load_2addr_b64 v[177:180], v172 offset0:4 offset1:5
	s_add_i32 s6, s5, 0x2c0
	s_cmpk_eq_i32 s4, 0x100
	s_waitcnt lgkmcnt(0)
	v_mul_f64 v[4:5], v[179:180], v[170:171]
	v_mul_f64 v[6:7], v[177:178], v[170:171]
	s_delay_alu instid0(VALU_DEP_2) | instskip(NEXT) | instid1(VALU_DEP_2)
	v_fma_f64 v[4:5], v[177:178], v[168:169], -v[4:5]
	v_fma_f64 v[6:7], v[179:180], v[168:169], v[6:7]
	scratch_load_b128 v[177:180], off, s6
	s_waitcnt vmcnt(0)
	v_add_f64 v[177:178], v[177:178], -v[4:5]
	v_add_f64 v[179:180], v[179:180], -v[6:7]
	scratch_store_b128 off, v[177:180], s6
	s_mov_b32 s6, -1
	s_cbranch_scc1 .LBB121_498
; %bb.500:                              ;   in Loop: Header=BB121_499 Depth=1
	ds_load_2addr_b64 v[172:175], v172 offset0:6 offset1:7
	s_addk_i32 s5, 0x2d0
	s_add_i32 s4, s4, 64
	s_mov_b32 s6, 0
	s_waitcnt lgkmcnt(0)
	v_mul_f64 v[4:5], v[174:175], v[170:171]
	v_mul_f64 v[6:7], v[172:173], v[170:171]
	s_delay_alu instid0(VALU_DEP_2) | instskip(NEXT) | instid1(VALU_DEP_2)
	v_fma_f64 v[4:5], v[172:173], v[168:169], -v[4:5]
	v_fma_f64 v[6:7], v[174:175], v[168:169], v[6:7]
	scratch_load_b128 v[172:175], off, s5
	s_waitcnt vmcnt(0)
	v_add_f64 v[172:173], v[172:173], -v[4:5]
	v_add_f64 v[174:175], v[174:175], -v[6:7]
	scratch_store_b128 off, v[172:175], s5
	s_branch .LBB121_498
.LBB121_501:
	s_or_b32 exec_lo, exec_lo, s3
	s_delay_alu instid0(SALU_CYCLE_1)
	s_mov_b32 s4, exec_lo
	s_waitcnt lgkmcnt(0)
	s_waitcnt_vscnt null, 0x0
	s_barrier
	buffer_gl0_inv
	v_cmpx_eq_u32_e32 42, v254
	s_cbranch_execz .LBB121_508
; %bb.502:
	scratch_load_b32 v0, off, off offset:1012 ; 4-byte Folded Reload
	s_waitcnt vmcnt(0)
	scratch_load_b128 v[168:171], v0, off
	scratch_load_b32 v0, off, off offset:1008 ; 4-byte Folded Reload
	s_waitcnt vmcnt(1)
	ds_store_2addr_b64 v251, v[168:169], v[170:171] offset1:1
	s_waitcnt vmcnt(0)
	scratch_load_b128 v[168:171], v0, off
	scratch_load_b32 v0, off, off offset:1004 ; 4-byte Folded Reload
	s_waitcnt vmcnt(1)
	ds_store_2addr_b64 v244, v[168:169], v[170:171] offset0:86 offset1:87
	s_waitcnt vmcnt(0)
	scratch_load_b128 v[168:171], v0, off
	scratch_load_b32 v0, off, off offset:1000 ; 4-byte Folded Reload
	s_waitcnt vmcnt(1)
	ds_store_2addr_b64 v244, v[168:169], v[170:171] offset0:88 offset1:89
	;; [unrolled: 5-line block ×8, first 2 shown]
	s_waitcnt vmcnt(0)
	scratch_load_b128 v[168:171], v0, off
	s_waitcnt vmcnt(0)
	ds_store_2addr_b64 v244, v[168:169], v[170:171] offset0:102 offset1:103
	scratch_load_b128 v[168:171], v245, off
	s_waitcnt vmcnt(0)
	ds_store_2addr_b64 v244, v[168:169], v[170:171] offset0:104 offset1:105
	;; [unrolled: 3-line block ×10, first 2 shown]
	ds_load_2addr_b64 v[168:171], v251 offset1:1
	s_waitcnt lgkmcnt(0)
	v_cmp_neq_f64_e32 vcc_lo, 0, v[168:169]
	v_cmp_neq_f64_e64 s3, 0, v[170:171]
	s_delay_alu instid0(VALU_DEP_1) | instskip(NEXT) | instid1(SALU_CYCLE_1)
	s_or_b32 s3, vcc_lo, s3
	s_and_b32 exec_lo, exec_lo, s3
	s_cbranch_execz .LBB121_508
; %bb.503:
	v_cmp_gt_f64_e32 vcc_lo, 0, v[168:169]
	v_xor_b32_e32 v0, 0x80000000, v169
	v_xor_b32_e32 v4, 0x80000000, v171
	s_delay_alu instid0(VALU_DEP_2) | instskip(SKIP_2) | instid1(VALU_DEP_4)
	v_cndmask_b32_e32 v1, v169, v0, vcc_lo
	v_cndmask_b32_e32 v0, v168, v168, vcc_lo
	v_cmp_gt_f64_e32 vcc_lo, 0, v[170:171]
	v_dual_cndmask_b32 v5, v171, v4 :: v_dual_cndmask_b32 v4, v170, v170
	s_delay_alu instid0(VALU_DEP_1) | instskip(SKIP_1) | instid1(SALU_CYCLE_1)
	v_cmp_ngt_f64_e32 vcc_lo, v[0:1], v[4:5]
                                        ; implicit-def: $vgpr0_vgpr1
	s_and_saveexec_b32 s3, vcc_lo
	s_xor_b32 s3, exec_lo, s3
                                        ; implicit-def: $vgpr172_vgpr173_vgpr174_vgpr175
	s_cbranch_execz .LBB121_505
; %bb.504:
	v_div_scale_f64 v[0:1], null, v[170:171], v[170:171], v[168:169]
	v_div_scale_f64 v[172:173], vcc_lo, v[168:169], v[170:171], v[168:169]
	s_delay_alu instid0(VALU_DEP_2) | instskip(SKIP_2) | instid1(VALU_DEP_1)
	v_rcp_f64_e32 v[4:5], v[0:1]
	s_waitcnt_depctr 0xfff
	v_fma_f64 v[6:7], -v[0:1], v[4:5], 1.0
	v_fma_f64 v[4:5], v[4:5], v[6:7], v[4:5]
	s_delay_alu instid0(VALU_DEP_1) | instskip(NEXT) | instid1(VALU_DEP_1)
	v_fma_f64 v[6:7], -v[0:1], v[4:5], 1.0
	v_fma_f64 v[4:5], v[4:5], v[6:7], v[4:5]
	s_delay_alu instid0(VALU_DEP_1) | instskip(NEXT) | instid1(VALU_DEP_1)
	v_mul_f64 v[6:7], v[172:173], v[4:5]
	v_fma_f64 v[0:1], -v[0:1], v[6:7], v[172:173]
	s_delay_alu instid0(VALU_DEP_1) | instskip(NEXT) | instid1(VALU_DEP_1)
	v_div_fmas_f64 v[0:1], v[0:1], v[4:5], v[6:7]
	v_div_fixup_f64 v[0:1], v[0:1], v[170:171], v[168:169]
	s_delay_alu instid0(VALU_DEP_1) | instskip(NEXT) | instid1(VALU_DEP_1)
	v_fma_f64 v[4:5], v[168:169], v[0:1], v[170:171]
	v_div_scale_f64 v[6:7], null, v[4:5], v[4:5], 1.0
	s_delay_alu instid0(VALU_DEP_1) | instskip(SKIP_2) | instid1(VALU_DEP_1)
	v_rcp_f64_e32 v[168:169], v[6:7]
	s_waitcnt_depctr 0xfff
	v_fma_f64 v[170:171], -v[6:7], v[168:169], 1.0
	v_fma_f64 v[168:169], v[168:169], v[170:171], v[168:169]
	s_delay_alu instid0(VALU_DEP_1) | instskip(NEXT) | instid1(VALU_DEP_1)
	v_fma_f64 v[170:171], -v[6:7], v[168:169], 1.0
	v_fma_f64 v[168:169], v[168:169], v[170:171], v[168:169]
	v_div_scale_f64 v[170:171], vcc_lo, 1.0, v[4:5], 1.0
	s_delay_alu instid0(VALU_DEP_1) | instskip(NEXT) | instid1(VALU_DEP_1)
	v_mul_f64 v[172:173], v[170:171], v[168:169]
	v_fma_f64 v[6:7], -v[6:7], v[172:173], v[170:171]
	s_delay_alu instid0(VALU_DEP_1) | instskip(NEXT) | instid1(VALU_DEP_1)
	v_div_fmas_f64 v[6:7], v[6:7], v[168:169], v[172:173]
                                        ; implicit-def: $vgpr168_vgpr169
	v_div_fixup_f64 v[174:175], v[6:7], v[4:5], 1.0
	s_delay_alu instid0(VALU_DEP_1)
	v_mul_f64 v[0:1], v[0:1], v[174:175]
	v_xor_b32_e32 v175, 0x80000000, v175
.LBB121_505:
	s_and_not1_saveexec_b32 s3, s3
	s_cbranch_execz .LBB121_507
; %bb.506:
	v_div_scale_f64 v[0:1], null, v[168:169], v[168:169], v[170:171]
	v_div_scale_f64 v[172:173], vcc_lo, v[170:171], v[168:169], v[170:171]
	s_delay_alu instid0(VALU_DEP_2) | instskip(SKIP_2) | instid1(VALU_DEP_1)
	v_rcp_f64_e32 v[4:5], v[0:1]
	s_waitcnt_depctr 0xfff
	v_fma_f64 v[6:7], -v[0:1], v[4:5], 1.0
	v_fma_f64 v[4:5], v[4:5], v[6:7], v[4:5]
	s_delay_alu instid0(VALU_DEP_1) | instskip(NEXT) | instid1(VALU_DEP_1)
	v_fma_f64 v[6:7], -v[0:1], v[4:5], 1.0
	v_fma_f64 v[4:5], v[4:5], v[6:7], v[4:5]
	s_delay_alu instid0(VALU_DEP_1) | instskip(NEXT) | instid1(VALU_DEP_1)
	v_mul_f64 v[6:7], v[172:173], v[4:5]
	v_fma_f64 v[0:1], -v[0:1], v[6:7], v[172:173]
	s_delay_alu instid0(VALU_DEP_1) | instskip(NEXT) | instid1(VALU_DEP_1)
	v_div_fmas_f64 v[0:1], v[0:1], v[4:5], v[6:7]
	v_div_fixup_f64 v[4:5], v[0:1], v[168:169], v[170:171]
	s_delay_alu instid0(VALU_DEP_1) | instskip(NEXT) | instid1(VALU_DEP_1)
	v_fma_f64 v[0:1], v[170:171], v[4:5], v[168:169]
	v_div_scale_f64 v[6:7], null, v[0:1], v[0:1], 1.0
	s_delay_alu instid0(VALU_DEP_1) | instskip(SKIP_2) | instid1(VALU_DEP_1)
	v_rcp_f64_e32 v[168:169], v[6:7]
	s_waitcnt_depctr 0xfff
	v_fma_f64 v[170:171], -v[6:7], v[168:169], 1.0
	v_fma_f64 v[168:169], v[168:169], v[170:171], v[168:169]
	s_delay_alu instid0(VALU_DEP_1) | instskip(NEXT) | instid1(VALU_DEP_1)
	v_fma_f64 v[170:171], -v[6:7], v[168:169], 1.0
	v_fma_f64 v[168:169], v[168:169], v[170:171], v[168:169]
	v_div_scale_f64 v[170:171], vcc_lo, 1.0, v[0:1], 1.0
	s_delay_alu instid0(VALU_DEP_1) | instskip(NEXT) | instid1(VALU_DEP_1)
	v_mul_f64 v[172:173], v[170:171], v[168:169]
	v_fma_f64 v[6:7], -v[6:7], v[172:173], v[170:171]
	s_delay_alu instid0(VALU_DEP_1) | instskip(NEXT) | instid1(VALU_DEP_1)
	v_div_fmas_f64 v[6:7], v[6:7], v[168:169], v[172:173]
	v_div_fixup_f64 v[0:1], v[6:7], v[0:1], 1.0
	s_delay_alu instid0(VALU_DEP_1)
	v_mul_f64 v[174:175], v[4:5], -v[0:1]
.LBB121_507:
	s_or_b32 exec_lo, exec_lo, s3
	ds_store_2addr_b64 v251, v[0:1], v[174:175] offset1:1
.LBB121_508:
	s_or_b32 exec_lo, exec_lo, s4
	s_waitcnt lgkmcnt(0)
	s_barrier
	buffer_gl0_inv
	ds_load_2addr_b64 v[168:171], v251 offset1:1
	s_mov_b32 s3, exec_lo
	v_cmpx_lt_u32_e32 42, v254
	s_cbranch_execz .LBB121_511
; %bb.509:
	scratch_load_b128 v[177:180], off, off offset:672
	s_mov_b32 s4, 0
	s_waitcnt vmcnt(0) lgkmcnt(0)
	v_mul_f64 v[0:1], v[170:171], v[179:180]
	s_delay_alu instid0(VALU_DEP_1) | instskip(SKIP_1) | instid1(VALU_DEP_1)
	v_fma_f64 v[172:173], v[168:169], v[177:178], -v[0:1]
	v_mul_f64 v[0:1], v[168:169], v[179:180]
	v_fma_f64 v[174:175], v[170:171], v[177:178], v[0:1]
	v_add3_u32 v0, v176, 0, 0x2b0
	v_mov_b32_e32 v1, 0
	scratch_store_b128 off, v[172:175], off offset:672
.LBB121_510:                            ; =>This Inner Loop Header: Depth=1
	v_add_nc_u32_e32 v180, s4, v0
	v_readfirstlane_b32 s5, v1
	ds_load_2addr_b64 v[176:179], v180 offset1:1
	s_add_i32 s5, s5, s4
	s_addk_i32 s4, 0x60
	s_add_i32 s6, s5, 0x2b0
	s_waitcnt lgkmcnt(0)
	v_mul_f64 v[4:5], v[178:179], v[174:175]
	v_mul_f64 v[6:7], v[176:177], v[174:175]
	s_delay_alu instid0(VALU_DEP_2) | instskip(NEXT) | instid1(VALU_DEP_2)
	v_fma_f64 v[4:5], v[176:177], v[172:173], -v[4:5]
	v_fma_f64 v[6:7], v[178:179], v[172:173], v[6:7]
	scratch_load_b128 v[176:179], off, s6
	s_waitcnt vmcnt(0)
	v_add_f64 v[176:177], v[176:177], -v[4:5]
	v_add_f64 v[178:179], v[178:179], -v[6:7]
	scratch_store_b128 off, v[176:179], s6
	ds_load_2addr_b64 v[176:179], v180 offset0:2 offset1:3
	s_add_i32 s6, s5, 0x2c0
	s_waitcnt lgkmcnt(0)
	v_mul_f64 v[4:5], v[178:179], v[174:175]
	v_mul_f64 v[6:7], v[176:177], v[174:175]
	s_delay_alu instid0(VALU_DEP_2) | instskip(NEXT) | instid1(VALU_DEP_2)
	v_fma_f64 v[4:5], v[176:177], v[172:173], -v[4:5]
	v_fma_f64 v[6:7], v[178:179], v[172:173], v[6:7]
	scratch_load_b128 v[176:179], off, s6
	s_waitcnt vmcnt(0)
	v_add_f64 v[176:177], v[176:177], -v[4:5]
	v_add_f64 v[178:179], v[178:179], -v[6:7]
	scratch_store_b128 off, v[176:179], s6
	ds_load_2addr_b64 v[176:179], v180 offset0:4 offset1:5
	;; [unrolled: 13-line block ×4, first 2 shown]
	s_add_i32 s6, s5, 0x2f0
	s_addk_i32 s5, 0x300
	s_cmpk_lg_i32 s4, 0x120
	s_waitcnt lgkmcnt(0)
	v_mul_f64 v[4:5], v[178:179], v[174:175]
	v_mul_f64 v[6:7], v[176:177], v[174:175]
	s_delay_alu instid0(VALU_DEP_2) | instskip(NEXT) | instid1(VALU_DEP_2)
	v_fma_f64 v[4:5], v[176:177], v[172:173], -v[4:5]
	v_fma_f64 v[6:7], v[178:179], v[172:173], v[6:7]
	scratch_load_b128 v[176:179], off, s6
	s_waitcnt vmcnt(0)
	v_add_f64 v[176:177], v[176:177], -v[4:5]
	v_add_f64 v[178:179], v[178:179], -v[6:7]
	scratch_store_b128 off, v[176:179], s6
	ds_load_2addr_b64 v[176:179], v180 offset0:10 offset1:11
	s_waitcnt lgkmcnt(0)
	v_mul_f64 v[4:5], v[178:179], v[174:175]
	v_mul_f64 v[6:7], v[176:177], v[174:175]
	s_delay_alu instid0(VALU_DEP_2) | instskip(NEXT) | instid1(VALU_DEP_2)
	v_fma_f64 v[4:5], v[176:177], v[172:173], -v[4:5]
	v_fma_f64 v[6:7], v[178:179], v[172:173], v[6:7]
	scratch_load_b128 v[176:179], off, s5
	s_waitcnt vmcnt(0)
	v_add_f64 v[176:177], v[176:177], -v[4:5]
	v_add_f64 v[178:179], v[178:179], -v[6:7]
	scratch_store_b128 off, v[176:179], s5
	s_cbranch_scc1 .LBB121_510
.LBB121_511:
	s_or_b32 exec_lo, exec_lo, s3
	s_delay_alu instid0(SALU_CYCLE_1)
	s_mov_b32 s4, exec_lo
	s_waitcnt lgkmcnt(0)
	s_waitcnt_vscnt null, 0x0
	s_barrier
	buffer_gl0_inv
	v_cmpx_eq_u32_e32 43, v254
	s_cbranch_execz .LBB121_518
; %bb.512:
	scratch_load_b32 v0, off, off offset:1008 ; 4-byte Folded Reload
	s_waitcnt vmcnt(0)
	scratch_load_b128 v[172:175], v0, off
	scratch_load_b32 v0, off, off offset:1004 ; 4-byte Folded Reload
	s_waitcnt vmcnt(1)
	ds_store_2addr_b64 v251, v[172:173], v[174:175] offset1:1
	s_waitcnt vmcnt(0)
	scratch_load_b128 v[172:175], v0, off
	scratch_load_b32 v0, off, off offset:1000 ; 4-byte Folded Reload
	s_waitcnt vmcnt(1)
	ds_store_2addr_b64 v244, v[172:173], v[174:175] offset0:88 offset1:89
	s_waitcnt vmcnt(0)
	scratch_load_b128 v[172:175], v0, off
	scratch_load_b32 v0, off, off offset:996 ; 4-byte Folded Reload
	s_waitcnt vmcnt(1)
	ds_store_2addr_b64 v244, v[172:173], v[174:175] offset0:90 offset1:91
	;; [unrolled: 5-line block ×7, first 2 shown]
	s_waitcnt vmcnt(0)
	scratch_load_b128 v[172:175], v0, off
	s_waitcnt vmcnt(0)
	ds_store_2addr_b64 v244, v[172:173], v[174:175] offset0:102 offset1:103
	scratch_load_b128 v[172:175], v245, off
	s_waitcnt vmcnt(0)
	ds_store_2addr_b64 v244, v[172:173], v[174:175] offset0:104 offset1:105
	;; [unrolled: 3-line block ×10, first 2 shown]
	ds_load_2addr_b64 v[172:175], v251 offset1:1
	s_waitcnt lgkmcnt(0)
	v_cmp_neq_f64_e32 vcc_lo, 0, v[172:173]
	v_cmp_neq_f64_e64 s3, 0, v[174:175]
	s_delay_alu instid0(VALU_DEP_1) | instskip(NEXT) | instid1(SALU_CYCLE_1)
	s_or_b32 s3, vcc_lo, s3
	s_and_b32 exec_lo, exec_lo, s3
	s_cbranch_execz .LBB121_518
; %bb.513:
	v_cmp_gt_f64_e32 vcc_lo, 0, v[172:173]
	v_xor_b32_e32 v0, 0x80000000, v173
	v_xor_b32_e32 v4, 0x80000000, v175
	s_delay_alu instid0(VALU_DEP_2) | instskip(SKIP_2) | instid1(VALU_DEP_4)
	v_cndmask_b32_e32 v1, v173, v0, vcc_lo
	v_cndmask_b32_e32 v0, v172, v172, vcc_lo
	v_cmp_gt_f64_e32 vcc_lo, 0, v[174:175]
	v_dual_cndmask_b32 v5, v175, v4 :: v_dual_cndmask_b32 v4, v174, v174
	s_delay_alu instid0(VALU_DEP_1) | instskip(SKIP_1) | instid1(SALU_CYCLE_1)
	v_cmp_ngt_f64_e32 vcc_lo, v[0:1], v[4:5]
                                        ; implicit-def: $vgpr0_vgpr1
	s_and_saveexec_b32 s3, vcc_lo
	s_xor_b32 s3, exec_lo, s3
                                        ; implicit-def: $vgpr176_vgpr177_vgpr178_vgpr179
	s_cbranch_execz .LBB121_515
; %bb.514:
	v_div_scale_f64 v[0:1], null, v[174:175], v[174:175], v[172:173]
	v_div_scale_f64 v[176:177], vcc_lo, v[172:173], v[174:175], v[172:173]
	s_delay_alu instid0(VALU_DEP_2) | instskip(SKIP_2) | instid1(VALU_DEP_1)
	v_rcp_f64_e32 v[4:5], v[0:1]
	s_waitcnt_depctr 0xfff
	v_fma_f64 v[6:7], -v[0:1], v[4:5], 1.0
	v_fma_f64 v[4:5], v[4:5], v[6:7], v[4:5]
	s_delay_alu instid0(VALU_DEP_1) | instskip(NEXT) | instid1(VALU_DEP_1)
	v_fma_f64 v[6:7], -v[0:1], v[4:5], 1.0
	v_fma_f64 v[4:5], v[4:5], v[6:7], v[4:5]
	s_delay_alu instid0(VALU_DEP_1) | instskip(NEXT) | instid1(VALU_DEP_1)
	v_mul_f64 v[6:7], v[176:177], v[4:5]
	v_fma_f64 v[0:1], -v[0:1], v[6:7], v[176:177]
	s_delay_alu instid0(VALU_DEP_1) | instskip(NEXT) | instid1(VALU_DEP_1)
	v_div_fmas_f64 v[0:1], v[0:1], v[4:5], v[6:7]
	v_div_fixup_f64 v[0:1], v[0:1], v[174:175], v[172:173]
	s_delay_alu instid0(VALU_DEP_1) | instskip(NEXT) | instid1(VALU_DEP_1)
	v_fma_f64 v[4:5], v[172:173], v[0:1], v[174:175]
	v_div_scale_f64 v[6:7], null, v[4:5], v[4:5], 1.0
	s_delay_alu instid0(VALU_DEP_1) | instskip(SKIP_2) | instid1(VALU_DEP_1)
	v_rcp_f64_e32 v[172:173], v[6:7]
	s_waitcnt_depctr 0xfff
	v_fma_f64 v[174:175], -v[6:7], v[172:173], 1.0
	v_fma_f64 v[172:173], v[172:173], v[174:175], v[172:173]
	s_delay_alu instid0(VALU_DEP_1) | instskip(NEXT) | instid1(VALU_DEP_1)
	v_fma_f64 v[174:175], -v[6:7], v[172:173], 1.0
	v_fma_f64 v[172:173], v[172:173], v[174:175], v[172:173]
	v_div_scale_f64 v[174:175], vcc_lo, 1.0, v[4:5], 1.0
	s_delay_alu instid0(VALU_DEP_1) | instskip(NEXT) | instid1(VALU_DEP_1)
	v_mul_f64 v[176:177], v[174:175], v[172:173]
	v_fma_f64 v[6:7], -v[6:7], v[176:177], v[174:175]
	s_delay_alu instid0(VALU_DEP_1) | instskip(NEXT) | instid1(VALU_DEP_1)
	v_div_fmas_f64 v[6:7], v[6:7], v[172:173], v[176:177]
                                        ; implicit-def: $vgpr172_vgpr173
	v_div_fixup_f64 v[178:179], v[6:7], v[4:5], 1.0
	s_delay_alu instid0(VALU_DEP_1)
	v_mul_f64 v[0:1], v[0:1], v[178:179]
	v_xor_b32_e32 v179, 0x80000000, v179
.LBB121_515:
	s_and_not1_saveexec_b32 s3, s3
	s_cbranch_execz .LBB121_517
; %bb.516:
	v_div_scale_f64 v[0:1], null, v[172:173], v[172:173], v[174:175]
	v_div_scale_f64 v[176:177], vcc_lo, v[174:175], v[172:173], v[174:175]
	s_delay_alu instid0(VALU_DEP_2) | instskip(SKIP_2) | instid1(VALU_DEP_1)
	v_rcp_f64_e32 v[4:5], v[0:1]
	s_waitcnt_depctr 0xfff
	v_fma_f64 v[6:7], -v[0:1], v[4:5], 1.0
	v_fma_f64 v[4:5], v[4:5], v[6:7], v[4:5]
	s_delay_alu instid0(VALU_DEP_1) | instskip(NEXT) | instid1(VALU_DEP_1)
	v_fma_f64 v[6:7], -v[0:1], v[4:5], 1.0
	v_fma_f64 v[4:5], v[4:5], v[6:7], v[4:5]
	s_delay_alu instid0(VALU_DEP_1) | instskip(NEXT) | instid1(VALU_DEP_1)
	v_mul_f64 v[6:7], v[176:177], v[4:5]
	v_fma_f64 v[0:1], -v[0:1], v[6:7], v[176:177]
	s_delay_alu instid0(VALU_DEP_1) | instskip(NEXT) | instid1(VALU_DEP_1)
	v_div_fmas_f64 v[0:1], v[0:1], v[4:5], v[6:7]
	v_div_fixup_f64 v[4:5], v[0:1], v[172:173], v[174:175]
	s_delay_alu instid0(VALU_DEP_1) | instskip(NEXT) | instid1(VALU_DEP_1)
	v_fma_f64 v[0:1], v[174:175], v[4:5], v[172:173]
	v_div_scale_f64 v[6:7], null, v[0:1], v[0:1], 1.0
	s_delay_alu instid0(VALU_DEP_1) | instskip(SKIP_2) | instid1(VALU_DEP_1)
	v_rcp_f64_e32 v[172:173], v[6:7]
	s_waitcnt_depctr 0xfff
	v_fma_f64 v[174:175], -v[6:7], v[172:173], 1.0
	v_fma_f64 v[172:173], v[172:173], v[174:175], v[172:173]
	s_delay_alu instid0(VALU_DEP_1) | instskip(NEXT) | instid1(VALU_DEP_1)
	v_fma_f64 v[174:175], -v[6:7], v[172:173], 1.0
	v_fma_f64 v[172:173], v[172:173], v[174:175], v[172:173]
	v_div_scale_f64 v[174:175], vcc_lo, 1.0, v[0:1], 1.0
	s_delay_alu instid0(VALU_DEP_1) | instskip(NEXT) | instid1(VALU_DEP_1)
	v_mul_f64 v[176:177], v[174:175], v[172:173]
	v_fma_f64 v[6:7], -v[6:7], v[176:177], v[174:175]
	s_delay_alu instid0(VALU_DEP_1) | instskip(NEXT) | instid1(VALU_DEP_1)
	v_div_fmas_f64 v[6:7], v[6:7], v[172:173], v[176:177]
	v_div_fixup_f64 v[0:1], v[6:7], v[0:1], 1.0
	s_delay_alu instid0(VALU_DEP_1)
	v_mul_f64 v[178:179], v[4:5], -v[0:1]
.LBB121_517:
	s_or_b32 exec_lo, exec_lo, s3
	ds_store_2addr_b64 v251, v[0:1], v[178:179] offset1:1
.LBB121_518:
	s_or_b32 exec_lo, exec_lo, s4
	s_waitcnt lgkmcnt(0)
	s_barrier
	buffer_gl0_inv
	ds_load_2addr_b64 v[172:175], v251 offset1:1
	s_mov_b32 s3, exec_lo
	v_cmpx_lt_u32_e32 43, v254
	s_cbranch_execz .LBB121_520
; %bb.519:
	scratch_load_b128 v[176:179], off, off offset:688
	s_waitcnt vmcnt(0) lgkmcnt(0)
	v_mul_f64 v[0:1], v[174:175], v[178:179]
	s_delay_alu instid0(VALU_DEP_1) | instskip(SKIP_1) | instid1(VALU_DEP_1)
	v_fma_f64 v[180:181], v[172:173], v[176:177], -v[0:1]
	v_mul_f64 v[0:1], v[172:173], v[178:179]
	v_fma_f64 v[182:183], v[174:175], v[176:177], v[0:1]
	ds_load_2addr_b64 v[176:179], v244 offset0:88 offset1:89
	s_waitcnt lgkmcnt(0)
	v_mul_f64 v[0:1], v[178:179], v[182:183]
	v_mul_f64 v[4:5], v[176:177], v[182:183]
	s_delay_alu instid0(VALU_DEP_2) | instskip(NEXT) | instid1(VALU_DEP_2)
	v_fma_f64 v[0:1], v[176:177], v[180:181], -v[0:1]
	v_fma_f64 v[4:5], v[178:179], v[180:181], v[4:5]
	scratch_load_b128 v[176:179], off, off offset:704
	s_waitcnt vmcnt(0)
	v_add_f64 v[176:177], v[176:177], -v[0:1]
	v_add_f64 v[178:179], v[178:179], -v[4:5]
	s_clause 0x1
	scratch_store_b128 off, v[180:183], off offset:688
	scratch_store_b128 off, v[176:179], off offset:704
	ds_load_2addr_b64 v[176:179], v244 offset0:90 offset1:91
	s_waitcnt lgkmcnt(0)
	v_mul_f64 v[0:1], v[178:179], v[182:183]
	v_mul_f64 v[4:5], v[176:177], v[182:183]
	s_delay_alu instid0(VALU_DEP_2) | instskip(NEXT) | instid1(VALU_DEP_2)
	v_fma_f64 v[0:1], v[176:177], v[180:181], -v[0:1]
	v_fma_f64 v[4:5], v[178:179], v[180:181], v[4:5]
	scratch_load_b128 v[176:179], off, off offset:720
	s_waitcnt vmcnt(0)
	v_add_f64 v[176:177], v[176:177], -v[0:1]
	v_add_f64 v[178:179], v[178:179], -v[4:5]
	scratch_store_b128 off, v[176:179], off offset:720
	ds_load_2addr_b64 v[176:179], v244 offset0:92 offset1:93
	s_waitcnt lgkmcnt(0)
	v_mul_f64 v[0:1], v[178:179], v[182:183]
	v_mul_f64 v[4:5], v[176:177], v[182:183]
	s_delay_alu instid0(VALU_DEP_2) | instskip(NEXT) | instid1(VALU_DEP_2)
	v_fma_f64 v[0:1], v[176:177], v[180:181], -v[0:1]
	v_fma_f64 v[4:5], v[178:179], v[180:181], v[4:5]
	scratch_load_b128 v[176:179], off, off offset:736
	s_waitcnt vmcnt(0)
	v_add_f64 v[176:177], v[176:177], -v[0:1]
	v_add_f64 v[178:179], v[178:179], -v[4:5]
	;; [unrolled: 12-line block ×4, first 2 shown]
	scratch_store_b128 off, v[176:179], off offset:768
	ds_load_2addr_b64 v[176:179], v244 offset0:98 offset1:99
	s_waitcnt lgkmcnt(0)
	v_mul_f64 v[0:1], v[178:179], v[182:183]
	v_mul_f64 v[4:5], v[176:177], v[182:183]
	s_delay_alu instid0(VALU_DEP_2) | instskip(NEXT) | instid1(VALU_DEP_2)
	v_fma_f64 v[0:1], v[176:177], v[180:181], -v[0:1]
	v_fma_f64 v[4:5], v[178:179], v[180:181], v[4:5]
	scratch_load_b128 v[176:179], off, off offset:784
	ds_load_2addr_b64 v[180:183], v244 offset0:100 offset1:101
	s_waitcnt vmcnt(0)
	v_add_f64 v[176:177], v[176:177], -v[0:1]
	v_add_f64 v[178:179], v[178:179], -v[4:5]
	scratch_store_b128 off, v[176:179], off offset:784
	s_clause 0x1
	scratch_load_b64 v[0:1], off, off offset:688
	scratch_load_b128 v[176:179], off, off offset:688
	s_waitcnt vmcnt(0) lgkmcnt(0)
	v_mul_f64 v[4:5], v[182:183], v[178:179]
	v_mul_f64 v[6:7], v[180:181], v[178:179]
	s_delay_alu instid0(VALU_DEP_2) | instskip(NEXT) | instid1(VALU_DEP_2)
	v_fma_f64 v[4:5], v[180:181], v[0:1], -v[4:5]
	v_fma_f64 v[6:7], v[182:183], v[0:1], v[6:7]
	scratch_load_b128 v[180:183], off, off offset:800
	s_waitcnt vmcnt(0)
	v_add_f64 v[180:181], v[180:181], -v[4:5]
	v_add_f64 v[182:183], v[182:183], -v[6:7]
	scratch_store_b128 off, v[180:183], off offset:800
	ds_load_2addr_b64 v[180:183], v244 offset0:102 offset1:103
	s_waitcnt lgkmcnt(0)
	v_mul_f64 v[4:5], v[182:183], v[178:179]
	v_mul_f64 v[6:7], v[180:181], v[178:179]
	s_delay_alu instid0(VALU_DEP_2) | instskip(NEXT) | instid1(VALU_DEP_2)
	v_fma_f64 v[4:5], v[180:181], v[0:1], -v[4:5]
	v_fma_f64 v[6:7], v[182:183], v[0:1], v[6:7]
	scratch_load_b128 v[180:183], off, off offset:816
	s_waitcnt vmcnt(0)
	v_add_f64 v[180:181], v[180:181], -v[4:5]
	v_add_f64 v[182:183], v[182:183], -v[6:7]
	scratch_store_b128 off, v[180:183], off offset:816
	ds_load_2addr_b64 v[180:183], v244 offset0:104 offset1:105
	s_waitcnt lgkmcnt(0)
	v_mul_f64 v[4:5], v[182:183], v[178:179]
	v_mul_f64 v[6:7], v[180:181], v[178:179]
	s_delay_alu instid0(VALU_DEP_2) | instskip(NEXT) | instid1(VALU_DEP_2)
	v_fma_f64 v[4:5], v[180:181], v[0:1], -v[4:5]
	v_fma_f64 v[6:7], v[182:183], v[0:1], v[6:7]
	scratch_load_b128 v[180:183], off, off offset:832
	s_waitcnt vmcnt(0)
	v_add_f64 v[180:181], v[180:181], -v[4:5]
	v_add_f64 v[182:183], v[182:183], -v[6:7]
	scratch_store_b128 off, v[180:183], off offset:832
	ds_load_2addr_b64 v[180:183], v244 offset0:106 offset1:107
	s_waitcnt lgkmcnt(0)
	v_mul_f64 v[4:5], v[182:183], v[178:179]
	v_mul_f64 v[6:7], v[180:181], v[178:179]
	s_delay_alu instid0(VALU_DEP_2) | instskip(NEXT) | instid1(VALU_DEP_2)
	v_fma_f64 v[4:5], v[180:181], v[0:1], -v[4:5]
	v_fma_f64 v[6:7], v[182:183], v[0:1], v[6:7]
	scratch_load_b128 v[180:183], off, off offset:848
	s_waitcnt vmcnt(0)
	v_add_f64 v[180:181], v[180:181], -v[4:5]
	v_add_f64 v[182:183], v[182:183], -v[6:7]
	scratch_store_b128 off, v[180:183], off offset:848
	ds_load_2addr_b64 v[180:183], v244 offset0:108 offset1:109
	s_waitcnt lgkmcnt(0)
	v_mul_f64 v[4:5], v[182:183], v[178:179]
	v_mul_f64 v[6:7], v[180:181], v[178:179]
	s_delay_alu instid0(VALU_DEP_2) | instskip(NEXT) | instid1(VALU_DEP_2)
	v_fma_f64 v[4:5], v[180:181], v[0:1], -v[4:5]
	v_fma_f64 v[6:7], v[182:183], v[0:1], v[6:7]
	scratch_load_b128 v[180:183], off, off offset:864
	s_waitcnt vmcnt(0)
	v_add_f64 v[180:181], v[180:181], -v[4:5]
	v_add_f64 v[182:183], v[182:183], -v[6:7]
	scratch_store_b128 off, v[180:183], off offset:864
	ds_load_2addr_b64 v[180:183], v244 offset0:110 offset1:111
	s_waitcnt lgkmcnt(0)
	v_mul_f64 v[4:5], v[182:183], v[178:179]
	v_mul_f64 v[6:7], v[180:181], v[178:179]
	s_delay_alu instid0(VALU_DEP_2) | instskip(SKIP_3) | instid1(VALU_DEP_1)
	v_fma_f64 v[4:5], v[180:181], v[0:1], -v[4:5]
	scratch_load_b128 v[178:181], off, off offset:880
	v_fma_f64 v[0:1], v[182:183], v[0:1], v[6:7]
	s_waitcnt vmcnt(0)
	v_add_f64 v[180:181], v[180:181], -v[0:1]
	scratch_load_b64 v[0:1], off, off offset:696
	v_add_f64 v[178:179], v[178:179], -v[4:5]
	scratch_store_b128 off, v[178:181], off offset:880
	ds_load_2addr_b64 v[178:181], v244 offset0:112 offset1:113
	s_waitcnt vmcnt(0) lgkmcnt(0)
	v_mul_f64 v[4:5], v[180:181], v[0:1]
	v_mul_f64 v[6:7], v[178:179], v[0:1]
	s_delay_alu instid0(VALU_DEP_2) | instskip(NEXT) | instid1(VALU_DEP_2)
	v_fma_f64 v[4:5], v[178:179], v[176:177], -v[4:5]
	v_fma_f64 v[6:7], v[180:181], v[176:177], v[6:7]
	scratch_load_b128 v[178:181], off, off offset:896
	s_waitcnt vmcnt(0)
	v_add_f64 v[178:179], v[178:179], -v[4:5]
	v_add_f64 v[180:181], v[180:181], -v[6:7]
	scratch_store_b128 off, v[178:181], off offset:896
	ds_load_2addr_b64 v[178:181], v244 offset0:114 offset1:115
	s_waitcnt lgkmcnt(0)
	v_mul_f64 v[4:5], v[180:181], v[0:1]
	v_mul_f64 v[6:7], v[178:179], v[0:1]
	s_delay_alu instid0(VALU_DEP_2) | instskip(NEXT) | instid1(VALU_DEP_2)
	v_fma_f64 v[4:5], v[178:179], v[176:177], -v[4:5]
	v_fma_f64 v[6:7], v[180:181], v[176:177], v[6:7]
	scratch_load_b128 v[178:181], off, off offset:912
	s_waitcnt vmcnt(0)
	v_add_f64 v[178:179], v[178:179], -v[4:5]
	v_add_f64 v[180:181], v[180:181], -v[6:7]
	scratch_store_b128 off, v[178:181], off offset:912
	ds_load_2addr_b64 v[178:181], v244 offset0:116 offset1:117
	s_waitcnt lgkmcnt(0)
	;; [unrolled: 12-line block ×4, first 2 shown]
	v_mul_f64 v[4:5], v[180:181], v[0:1]
	v_mul_f64 v[0:1], v[178:179], v[0:1]
	s_delay_alu instid0(VALU_DEP_2) | instskip(NEXT) | instid1(VALU_DEP_2)
	v_fma_f64 v[4:5], v[178:179], v[176:177], -v[4:5]
	v_fma_f64 v[0:1], v[180:181], v[176:177], v[0:1]
	scratch_load_b128 v[176:179], off, off offset:960
	s_waitcnt vmcnt(0)
	v_add_f64 v[176:177], v[176:177], -v[4:5]
	v_add_f64 v[178:179], v[178:179], -v[0:1]
	scratch_store_b128 off, v[176:179], off offset:960
.LBB121_520:
	s_or_b32 exec_lo, exec_lo, s3
	s_delay_alu instid0(SALU_CYCLE_1)
	s_mov_b32 s4, exec_lo
	s_waitcnt lgkmcnt(0)
	s_waitcnt_vscnt null, 0x0
	s_barrier
	buffer_gl0_inv
	v_cmpx_eq_u32_e32 44, v254
	s_cbranch_execz .LBB121_527
; %bb.521:
	scratch_load_b32 v0, off, off offset:1004 ; 4-byte Folded Reload
	s_waitcnt vmcnt(0)
	scratch_load_b128 v[176:179], v0, off
	scratch_load_b32 v0, off, off offset:1000 ; 4-byte Folded Reload
	s_waitcnt vmcnt(1)
	ds_store_2addr_b64 v251, v[176:177], v[178:179] offset1:1
	s_waitcnt vmcnt(0)
	scratch_load_b128 v[176:179], v0, off
	scratch_load_b32 v0, off, off offset:996 ; 4-byte Folded Reload
	s_waitcnt vmcnt(1)
	ds_store_2addr_b64 v244, v[176:177], v[178:179] offset0:90 offset1:91
	s_waitcnt vmcnt(0)
	scratch_load_b128 v[176:179], v0, off
	scratch_load_b32 v0, off, off offset:992 ; 4-byte Folded Reload
	s_waitcnt vmcnt(1)
	ds_store_2addr_b64 v244, v[176:177], v[178:179] offset0:92 offset1:93
	;; [unrolled: 5-line block ×6, first 2 shown]
	s_waitcnt vmcnt(0)
	scratch_load_b128 v[176:179], v0, off
	s_waitcnt vmcnt(0)
	ds_store_2addr_b64 v244, v[176:177], v[178:179] offset0:102 offset1:103
	scratch_load_b128 v[176:179], v245, off
	s_waitcnt vmcnt(0)
	ds_store_2addr_b64 v244, v[176:177], v[178:179] offset0:104 offset1:105
	;; [unrolled: 3-line block ×10, first 2 shown]
	ds_load_2addr_b64 v[176:179], v251 offset1:1
	s_waitcnt lgkmcnt(0)
	v_cmp_neq_f64_e32 vcc_lo, 0, v[176:177]
	v_cmp_neq_f64_e64 s3, 0, v[178:179]
	s_delay_alu instid0(VALU_DEP_1) | instskip(NEXT) | instid1(SALU_CYCLE_1)
	s_or_b32 s3, vcc_lo, s3
	s_and_b32 exec_lo, exec_lo, s3
	s_cbranch_execz .LBB121_527
; %bb.522:
	v_cmp_gt_f64_e32 vcc_lo, 0, v[176:177]
	v_xor_b32_e32 v0, 0x80000000, v177
	v_xor_b32_e32 v4, 0x80000000, v179
	s_delay_alu instid0(VALU_DEP_2) | instskip(SKIP_2) | instid1(VALU_DEP_4)
	v_cndmask_b32_e32 v1, v177, v0, vcc_lo
	v_cndmask_b32_e32 v0, v176, v176, vcc_lo
	v_cmp_gt_f64_e32 vcc_lo, 0, v[178:179]
	v_dual_cndmask_b32 v5, v179, v4 :: v_dual_cndmask_b32 v4, v178, v178
	s_delay_alu instid0(VALU_DEP_1) | instskip(SKIP_1) | instid1(SALU_CYCLE_1)
	v_cmp_ngt_f64_e32 vcc_lo, v[0:1], v[4:5]
                                        ; implicit-def: $vgpr0_vgpr1
	s_and_saveexec_b32 s3, vcc_lo
	s_xor_b32 s3, exec_lo, s3
                                        ; implicit-def: $vgpr180_vgpr181_vgpr182_vgpr183
	s_cbranch_execz .LBB121_524
; %bb.523:
	v_div_scale_f64 v[0:1], null, v[178:179], v[178:179], v[176:177]
	v_div_scale_f64 v[180:181], vcc_lo, v[176:177], v[178:179], v[176:177]
	s_delay_alu instid0(VALU_DEP_2) | instskip(SKIP_2) | instid1(VALU_DEP_1)
	v_rcp_f64_e32 v[4:5], v[0:1]
	s_waitcnt_depctr 0xfff
	v_fma_f64 v[6:7], -v[0:1], v[4:5], 1.0
	v_fma_f64 v[4:5], v[4:5], v[6:7], v[4:5]
	s_delay_alu instid0(VALU_DEP_1) | instskip(NEXT) | instid1(VALU_DEP_1)
	v_fma_f64 v[6:7], -v[0:1], v[4:5], 1.0
	v_fma_f64 v[4:5], v[4:5], v[6:7], v[4:5]
	s_delay_alu instid0(VALU_DEP_1) | instskip(NEXT) | instid1(VALU_DEP_1)
	v_mul_f64 v[6:7], v[180:181], v[4:5]
	v_fma_f64 v[0:1], -v[0:1], v[6:7], v[180:181]
	s_delay_alu instid0(VALU_DEP_1) | instskip(NEXT) | instid1(VALU_DEP_1)
	v_div_fmas_f64 v[0:1], v[0:1], v[4:5], v[6:7]
	v_div_fixup_f64 v[0:1], v[0:1], v[178:179], v[176:177]
	s_delay_alu instid0(VALU_DEP_1) | instskip(NEXT) | instid1(VALU_DEP_1)
	v_fma_f64 v[4:5], v[176:177], v[0:1], v[178:179]
	v_div_scale_f64 v[6:7], null, v[4:5], v[4:5], 1.0
	s_delay_alu instid0(VALU_DEP_1) | instskip(SKIP_2) | instid1(VALU_DEP_1)
	v_rcp_f64_e32 v[176:177], v[6:7]
	s_waitcnt_depctr 0xfff
	v_fma_f64 v[178:179], -v[6:7], v[176:177], 1.0
	v_fma_f64 v[176:177], v[176:177], v[178:179], v[176:177]
	s_delay_alu instid0(VALU_DEP_1) | instskip(NEXT) | instid1(VALU_DEP_1)
	v_fma_f64 v[178:179], -v[6:7], v[176:177], 1.0
	v_fma_f64 v[176:177], v[176:177], v[178:179], v[176:177]
	v_div_scale_f64 v[178:179], vcc_lo, 1.0, v[4:5], 1.0
	s_delay_alu instid0(VALU_DEP_1) | instskip(NEXT) | instid1(VALU_DEP_1)
	v_mul_f64 v[180:181], v[178:179], v[176:177]
	v_fma_f64 v[6:7], -v[6:7], v[180:181], v[178:179]
	s_delay_alu instid0(VALU_DEP_1) | instskip(NEXT) | instid1(VALU_DEP_1)
	v_div_fmas_f64 v[6:7], v[6:7], v[176:177], v[180:181]
                                        ; implicit-def: $vgpr176_vgpr177
	v_div_fixup_f64 v[182:183], v[6:7], v[4:5], 1.0
	s_delay_alu instid0(VALU_DEP_1)
	v_mul_f64 v[0:1], v[0:1], v[182:183]
	v_xor_b32_e32 v183, 0x80000000, v183
.LBB121_524:
	s_and_not1_saveexec_b32 s3, s3
	s_cbranch_execz .LBB121_526
; %bb.525:
	v_div_scale_f64 v[0:1], null, v[176:177], v[176:177], v[178:179]
	v_div_scale_f64 v[180:181], vcc_lo, v[178:179], v[176:177], v[178:179]
	s_delay_alu instid0(VALU_DEP_2) | instskip(SKIP_2) | instid1(VALU_DEP_1)
	v_rcp_f64_e32 v[4:5], v[0:1]
	s_waitcnt_depctr 0xfff
	v_fma_f64 v[6:7], -v[0:1], v[4:5], 1.0
	v_fma_f64 v[4:5], v[4:5], v[6:7], v[4:5]
	s_delay_alu instid0(VALU_DEP_1) | instskip(NEXT) | instid1(VALU_DEP_1)
	v_fma_f64 v[6:7], -v[0:1], v[4:5], 1.0
	v_fma_f64 v[4:5], v[4:5], v[6:7], v[4:5]
	s_delay_alu instid0(VALU_DEP_1) | instskip(NEXT) | instid1(VALU_DEP_1)
	v_mul_f64 v[6:7], v[180:181], v[4:5]
	v_fma_f64 v[0:1], -v[0:1], v[6:7], v[180:181]
	s_delay_alu instid0(VALU_DEP_1) | instskip(NEXT) | instid1(VALU_DEP_1)
	v_div_fmas_f64 v[0:1], v[0:1], v[4:5], v[6:7]
	v_div_fixup_f64 v[4:5], v[0:1], v[176:177], v[178:179]
	s_delay_alu instid0(VALU_DEP_1) | instskip(NEXT) | instid1(VALU_DEP_1)
	v_fma_f64 v[0:1], v[178:179], v[4:5], v[176:177]
	v_div_scale_f64 v[6:7], null, v[0:1], v[0:1], 1.0
	s_delay_alu instid0(VALU_DEP_1) | instskip(SKIP_2) | instid1(VALU_DEP_1)
	v_rcp_f64_e32 v[176:177], v[6:7]
	s_waitcnt_depctr 0xfff
	v_fma_f64 v[178:179], -v[6:7], v[176:177], 1.0
	v_fma_f64 v[176:177], v[176:177], v[178:179], v[176:177]
	s_delay_alu instid0(VALU_DEP_1) | instskip(NEXT) | instid1(VALU_DEP_1)
	v_fma_f64 v[178:179], -v[6:7], v[176:177], 1.0
	v_fma_f64 v[176:177], v[176:177], v[178:179], v[176:177]
	v_div_scale_f64 v[178:179], vcc_lo, 1.0, v[0:1], 1.0
	s_delay_alu instid0(VALU_DEP_1) | instskip(NEXT) | instid1(VALU_DEP_1)
	v_mul_f64 v[180:181], v[178:179], v[176:177]
	v_fma_f64 v[6:7], -v[6:7], v[180:181], v[178:179]
	s_delay_alu instid0(VALU_DEP_1) | instskip(NEXT) | instid1(VALU_DEP_1)
	v_div_fmas_f64 v[6:7], v[6:7], v[176:177], v[180:181]
	v_div_fixup_f64 v[0:1], v[6:7], v[0:1], 1.0
	s_delay_alu instid0(VALU_DEP_1)
	v_mul_f64 v[182:183], v[4:5], -v[0:1]
.LBB121_526:
	s_or_b32 exec_lo, exec_lo, s3
	ds_store_2addr_b64 v251, v[0:1], v[182:183] offset1:1
.LBB121_527:
	s_or_b32 exec_lo, exec_lo, s4
	s_waitcnt lgkmcnt(0)
	s_barrier
	buffer_gl0_inv
	ds_load_2addr_b64 v[176:179], v251 offset1:1
	s_mov_b32 s3, exec_lo
	v_cmpx_lt_u32_e32 44, v254
	s_cbranch_execz .LBB121_529
; %bb.528:
	scratch_load_b128 v[180:183], off, off offset:704
	s_waitcnt vmcnt(0) lgkmcnt(0)
	v_mul_f64 v[0:1], v[178:179], v[182:183]
	s_delay_alu instid0(VALU_DEP_1) | instskip(SKIP_1) | instid1(VALU_DEP_1)
	v_fma_f64 v[184:185], v[176:177], v[180:181], -v[0:1]
	v_mul_f64 v[0:1], v[176:177], v[182:183]
	v_fma_f64 v[186:187], v[178:179], v[180:181], v[0:1]
	ds_load_2addr_b64 v[180:183], v244 offset0:90 offset1:91
	s_waitcnt lgkmcnt(0)
	v_mul_f64 v[0:1], v[182:183], v[186:187]
	v_mul_f64 v[4:5], v[180:181], v[186:187]
	s_delay_alu instid0(VALU_DEP_2) | instskip(NEXT) | instid1(VALU_DEP_2)
	v_fma_f64 v[0:1], v[180:181], v[184:185], -v[0:1]
	v_fma_f64 v[4:5], v[182:183], v[184:185], v[4:5]
	scratch_load_b128 v[180:183], off, off offset:720
	s_waitcnt vmcnt(0)
	v_add_f64 v[180:181], v[180:181], -v[0:1]
	v_add_f64 v[182:183], v[182:183], -v[4:5]
	s_clause 0x1
	scratch_store_b128 off, v[184:187], off offset:704
	scratch_store_b128 off, v[180:183], off offset:720
	ds_load_2addr_b64 v[180:183], v244 offset0:92 offset1:93
	s_waitcnt lgkmcnt(0)
	v_mul_f64 v[0:1], v[182:183], v[186:187]
	v_mul_f64 v[4:5], v[180:181], v[186:187]
	s_delay_alu instid0(VALU_DEP_2) | instskip(NEXT) | instid1(VALU_DEP_2)
	v_fma_f64 v[0:1], v[180:181], v[184:185], -v[0:1]
	v_fma_f64 v[4:5], v[182:183], v[184:185], v[4:5]
	scratch_load_b128 v[180:183], off, off offset:736
	s_waitcnt vmcnt(0)
	v_add_f64 v[180:181], v[180:181], -v[0:1]
	v_add_f64 v[182:183], v[182:183], -v[4:5]
	scratch_store_b128 off, v[180:183], off offset:736
	ds_load_2addr_b64 v[180:183], v244 offset0:94 offset1:95
	s_waitcnt lgkmcnt(0)
	v_mul_f64 v[0:1], v[182:183], v[186:187]
	v_mul_f64 v[4:5], v[180:181], v[186:187]
	s_delay_alu instid0(VALU_DEP_2) | instskip(NEXT) | instid1(VALU_DEP_2)
	v_fma_f64 v[0:1], v[180:181], v[184:185], -v[0:1]
	v_fma_f64 v[4:5], v[182:183], v[184:185], v[4:5]
	scratch_load_b128 v[180:183], off, off offset:752
	s_waitcnt vmcnt(0)
	v_add_f64 v[180:181], v[180:181], -v[0:1]
	v_add_f64 v[182:183], v[182:183], -v[4:5]
	;; [unrolled: 12-line block ×4, first 2 shown]
	scratch_store_b128 off, v[180:183], off offset:784
	ds_load_2addr_b64 v[180:183], v244 offset0:100 offset1:101
	s_waitcnt lgkmcnt(0)
	v_mul_f64 v[0:1], v[182:183], v[186:187]
	v_mul_f64 v[4:5], v[180:181], v[186:187]
	s_delay_alu instid0(VALU_DEP_2) | instskip(NEXT) | instid1(VALU_DEP_2)
	v_fma_f64 v[0:1], v[180:181], v[184:185], -v[0:1]
	v_fma_f64 v[4:5], v[182:183], v[184:185], v[4:5]
	scratch_load_b128 v[180:183], off, off offset:800
	ds_load_2addr_b64 v[184:187], v244 offset0:102 offset1:103
	s_waitcnt vmcnt(0)
	v_add_f64 v[180:181], v[180:181], -v[0:1]
	v_add_f64 v[182:183], v[182:183], -v[4:5]
	scratch_store_b128 off, v[180:183], off offset:800
	s_clause 0x1
	scratch_load_b64 v[0:1], off, off offset:704
	scratch_load_b128 v[180:183], off, off offset:704
	s_waitcnt vmcnt(0) lgkmcnt(0)
	v_mul_f64 v[4:5], v[186:187], v[182:183]
	v_mul_f64 v[6:7], v[184:185], v[182:183]
	s_delay_alu instid0(VALU_DEP_2) | instskip(NEXT) | instid1(VALU_DEP_2)
	v_fma_f64 v[4:5], v[184:185], v[0:1], -v[4:5]
	v_fma_f64 v[6:7], v[186:187], v[0:1], v[6:7]
	scratch_load_b128 v[184:187], off, off offset:816
	s_waitcnt vmcnt(0)
	v_add_f64 v[184:185], v[184:185], -v[4:5]
	v_add_f64 v[186:187], v[186:187], -v[6:7]
	scratch_store_b128 off, v[184:187], off offset:816
	ds_load_2addr_b64 v[184:187], v244 offset0:104 offset1:105
	s_waitcnt lgkmcnt(0)
	v_mul_f64 v[4:5], v[186:187], v[182:183]
	v_mul_f64 v[6:7], v[184:185], v[182:183]
	s_delay_alu instid0(VALU_DEP_2) | instskip(NEXT) | instid1(VALU_DEP_2)
	v_fma_f64 v[4:5], v[184:185], v[0:1], -v[4:5]
	v_fma_f64 v[6:7], v[186:187], v[0:1], v[6:7]
	scratch_load_b128 v[184:187], off, off offset:832
	s_waitcnt vmcnt(0)
	v_add_f64 v[184:185], v[184:185], -v[4:5]
	v_add_f64 v[186:187], v[186:187], -v[6:7]
	scratch_store_b128 off, v[184:187], off offset:832
	ds_load_2addr_b64 v[184:187], v244 offset0:106 offset1:107
	s_waitcnt lgkmcnt(0)
	;; [unrolled: 12-line block ×5, first 2 shown]
	v_mul_f64 v[4:5], v[186:187], v[182:183]
	v_mul_f64 v[6:7], v[184:185], v[182:183]
	s_delay_alu instid0(VALU_DEP_2) | instskip(SKIP_3) | instid1(VALU_DEP_1)
	v_fma_f64 v[4:5], v[184:185], v[0:1], -v[4:5]
	scratch_load_b128 v[182:185], off, off offset:896
	v_fma_f64 v[0:1], v[186:187], v[0:1], v[6:7]
	s_waitcnt vmcnt(0)
	v_add_f64 v[184:185], v[184:185], -v[0:1]
	scratch_load_b64 v[0:1], off, off offset:712
	v_add_f64 v[182:183], v[182:183], -v[4:5]
	scratch_store_b128 off, v[182:185], off offset:896
	ds_load_2addr_b64 v[182:185], v244 offset0:114 offset1:115
	s_waitcnt vmcnt(0) lgkmcnt(0)
	v_mul_f64 v[4:5], v[184:185], v[0:1]
	v_mul_f64 v[6:7], v[182:183], v[0:1]
	s_delay_alu instid0(VALU_DEP_2) | instskip(NEXT) | instid1(VALU_DEP_2)
	v_fma_f64 v[4:5], v[182:183], v[180:181], -v[4:5]
	v_fma_f64 v[6:7], v[184:185], v[180:181], v[6:7]
	scratch_load_b128 v[182:185], off, off offset:912
	s_waitcnt vmcnt(0)
	v_add_f64 v[182:183], v[182:183], -v[4:5]
	v_add_f64 v[184:185], v[184:185], -v[6:7]
	scratch_store_b128 off, v[182:185], off offset:912
	ds_load_2addr_b64 v[182:185], v244 offset0:116 offset1:117
	s_waitcnt lgkmcnt(0)
	v_mul_f64 v[4:5], v[184:185], v[0:1]
	v_mul_f64 v[6:7], v[182:183], v[0:1]
	s_delay_alu instid0(VALU_DEP_2) | instskip(NEXT) | instid1(VALU_DEP_2)
	v_fma_f64 v[4:5], v[182:183], v[180:181], -v[4:5]
	v_fma_f64 v[6:7], v[184:185], v[180:181], v[6:7]
	scratch_load_b128 v[182:185], off, off offset:928
	s_waitcnt vmcnt(0)
	v_add_f64 v[182:183], v[182:183], -v[4:5]
	v_add_f64 v[184:185], v[184:185], -v[6:7]
	scratch_store_b128 off, v[182:185], off offset:928
	ds_load_2addr_b64 v[182:185], v244 offset0:118 offset1:119
	s_waitcnt lgkmcnt(0)
	;; [unrolled: 12-line block ×3, first 2 shown]
	v_mul_f64 v[4:5], v[184:185], v[0:1]
	v_mul_f64 v[0:1], v[182:183], v[0:1]
	s_delay_alu instid0(VALU_DEP_2) | instskip(NEXT) | instid1(VALU_DEP_2)
	v_fma_f64 v[4:5], v[182:183], v[180:181], -v[4:5]
	v_fma_f64 v[0:1], v[184:185], v[180:181], v[0:1]
	scratch_load_b128 v[180:183], off, off offset:960
	s_waitcnt vmcnt(0)
	v_add_f64 v[180:181], v[180:181], -v[4:5]
	v_add_f64 v[182:183], v[182:183], -v[0:1]
	scratch_store_b128 off, v[180:183], off offset:960
.LBB121_529:
	s_or_b32 exec_lo, exec_lo, s3
	s_delay_alu instid0(SALU_CYCLE_1)
	s_mov_b32 s4, exec_lo
	s_waitcnt lgkmcnt(0)
	s_waitcnt_vscnt null, 0x0
	s_barrier
	buffer_gl0_inv
	v_cmpx_eq_u32_e32 45, v254
	s_cbranch_execz .LBB121_536
; %bb.530:
	scratch_load_b32 v0, off, off offset:1000 ; 4-byte Folded Reload
	s_waitcnt vmcnt(0)
	scratch_load_b128 v[180:183], v0, off
	scratch_load_b32 v0, off, off offset:996 ; 4-byte Folded Reload
	s_waitcnt vmcnt(1)
	ds_store_2addr_b64 v251, v[180:181], v[182:183] offset1:1
	s_waitcnt vmcnt(0)
	scratch_load_b128 v[180:183], v0, off
	scratch_load_b32 v0, off, off offset:992 ; 4-byte Folded Reload
	s_waitcnt vmcnt(1)
	ds_store_2addr_b64 v244, v[180:181], v[182:183] offset0:92 offset1:93
	s_waitcnt vmcnt(0)
	scratch_load_b128 v[180:183], v0, off
	scratch_load_b32 v0, off, off offset:988 ; 4-byte Folded Reload
	s_waitcnt vmcnt(1)
	ds_store_2addr_b64 v244, v[180:181], v[182:183] offset0:94 offset1:95
	;; [unrolled: 5-line block ×5, first 2 shown]
	s_waitcnt vmcnt(0)
	scratch_load_b128 v[180:183], v0, off
	s_waitcnt vmcnt(0)
	ds_store_2addr_b64 v244, v[180:181], v[182:183] offset0:102 offset1:103
	scratch_load_b128 v[180:183], v245, off
	s_waitcnt vmcnt(0)
	ds_store_2addr_b64 v244, v[180:181], v[182:183] offset0:104 offset1:105
	;; [unrolled: 3-line block ×10, first 2 shown]
	ds_load_2addr_b64 v[180:183], v251 offset1:1
	s_waitcnt lgkmcnt(0)
	v_cmp_neq_f64_e32 vcc_lo, 0, v[180:181]
	v_cmp_neq_f64_e64 s3, 0, v[182:183]
	s_delay_alu instid0(VALU_DEP_1) | instskip(NEXT) | instid1(SALU_CYCLE_1)
	s_or_b32 s3, vcc_lo, s3
	s_and_b32 exec_lo, exec_lo, s3
	s_cbranch_execz .LBB121_536
; %bb.531:
	v_cmp_gt_f64_e32 vcc_lo, 0, v[180:181]
	v_xor_b32_e32 v0, 0x80000000, v181
	v_xor_b32_e32 v4, 0x80000000, v183
	s_delay_alu instid0(VALU_DEP_2) | instskip(SKIP_2) | instid1(VALU_DEP_4)
	v_cndmask_b32_e32 v1, v181, v0, vcc_lo
	v_cndmask_b32_e32 v0, v180, v180, vcc_lo
	v_cmp_gt_f64_e32 vcc_lo, 0, v[182:183]
	v_dual_cndmask_b32 v5, v183, v4 :: v_dual_cndmask_b32 v4, v182, v182
	s_delay_alu instid0(VALU_DEP_1) | instskip(SKIP_1) | instid1(SALU_CYCLE_1)
	v_cmp_ngt_f64_e32 vcc_lo, v[0:1], v[4:5]
                                        ; implicit-def: $vgpr0_vgpr1
	s_and_saveexec_b32 s3, vcc_lo
	s_xor_b32 s3, exec_lo, s3
                                        ; implicit-def: $vgpr184_vgpr185_vgpr186_vgpr187
	s_cbranch_execz .LBB121_533
; %bb.532:
	v_div_scale_f64 v[0:1], null, v[182:183], v[182:183], v[180:181]
	v_div_scale_f64 v[184:185], vcc_lo, v[180:181], v[182:183], v[180:181]
	s_delay_alu instid0(VALU_DEP_2) | instskip(SKIP_2) | instid1(VALU_DEP_1)
	v_rcp_f64_e32 v[4:5], v[0:1]
	s_waitcnt_depctr 0xfff
	v_fma_f64 v[6:7], -v[0:1], v[4:5], 1.0
	v_fma_f64 v[4:5], v[4:5], v[6:7], v[4:5]
	s_delay_alu instid0(VALU_DEP_1) | instskip(NEXT) | instid1(VALU_DEP_1)
	v_fma_f64 v[6:7], -v[0:1], v[4:5], 1.0
	v_fma_f64 v[4:5], v[4:5], v[6:7], v[4:5]
	s_delay_alu instid0(VALU_DEP_1) | instskip(NEXT) | instid1(VALU_DEP_1)
	v_mul_f64 v[6:7], v[184:185], v[4:5]
	v_fma_f64 v[0:1], -v[0:1], v[6:7], v[184:185]
	s_delay_alu instid0(VALU_DEP_1) | instskip(NEXT) | instid1(VALU_DEP_1)
	v_div_fmas_f64 v[0:1], v[0:1], v[4:5], v[6:7]
	v_div_fixup_f64 v[0:1], v[0:1], v[182:183], v[180:181]
	s_delay_alu instid0(VALU_DEP_1) | instskip(NEXT) | instid1(VALU_DEP_1)
	v_fma_f64 v[4:5], v[180:181], v[0:1], v[182:183]
	v_div_scale_f64 v[6:7], null, v[4:5], v[4:5], 1.0
	s_delay_alu instid0(VALU_DEP_1) | instskip(SKIP_2) | instid1(VALU_DEP_1)
	v_rcp_f64_e32 v[180:181], v[6:7]
	s_waitcnt_depctr 0xfff
	v_fma_f64 v[182:183], -v[6:7], v[180:181], 1.0
	v_fma_f64 v[180:181], v[180:181], v[182:183], v[180:181]
	s_delay_alu instid0(VALU_DEP_1) | instskip(NEXT) | instid1(VALU_DEP_1)
	v_fma_f64 v[182:183], -v[6:7], v[180:181], 1.0
	v_fma_f64 v[180:181], v[180:181], v[182:183], v[180:181]
	v_div_scale_f64 v[182:183], vcc_lo, 1.0, v[4:5], 1.0
	s_delay_alu instid0(VALU_DEP_1) | instskip(NEXT) | instid1(VALU_DEP_1)
	v_mul_f64 v[184:185], v[182:183], v[180:181]
	v_fma_f64 v[6:7], -v[6:7], v[184:185], v[182:183]
	s_delay_alu instid0(VALU_DEP_1) | instskip(NEXT) | instid1(VALU_DEP_1)
	v_div_fmas_f64 v[6:7], v[6:7], v[180:181], v[184:185]
                                        ; implicit-def: $vgpr180_vgpr181
	v_div_fixup_f64 v[186:187], v[6:7], v[4:5], 1.0
	s_delay_alu instid0(VALU_DEP_1)
	v_mul_f64 v[0:1], v[0:1], v[186:187]
	v_xor_b32_e32 v187, 0x80000000, v187
.LBB121_533:
	s_and_not1_saveexec_b32 s3, s3
	s_cbranch_execz .LBB121_535
; %bb.534:
	v_div_scale_f64 v[0:1], null, v[180:181], v[180:181], v[182:183]
	v_div_scale_f64 v[184:185], vcc_lo, v[182:183], v[180:181], v[182:183]
	s_delay_alu instid0(VALU_DEP_2) | instskip(SKIP_2) | instid1(VALU_DEP_1)
	v_rcp_f64_e32 v[4:5], v[0:1]
	s_waitcnt_depctr 0xfff
	v_fma_f64 v[6:7], -v[0:1], v[4:5], 1.0
	v_fma_f64 v[4:5], v[4:5], v[6:7], v[4:5]
	s_delay_alu instid0(VALU_DEP_1) | instskip(NEXT) | instid1(VALU_DEP_1)
	v_fma_f64 v[6:7], -v[0:1], v[4:5], 1.0
	v_fma_f64 v[4:5], v[4:5], v[6:7], v[4:5]
	s_delay_alu instid0(VALU_DEP_1) | instskip(NEXT) | instid1(VALU_DEP_1)
	v_mul_f64 v[6:7], v[184:185], v[4:5]
	v_fma_f64 v[0:1], -v[0:1], v[6:7], v[184:185]
	s_delay_alu instid0(VALU_DEP_1) | instskip(NEXT) | instid1(VALU_DEP_1)
	v_div_fmas_f64 v[0:1], v[0:1], v[4:5], v[6:7]
	v_div_fixup_f64 v[4:5], v[0:1], v[180:181], v[182:183]
	s_delay_alu instid0(VALU_DEP_1) | instskip(NEXT) | instid1(VALU_DEP_1)
	v_fma_f64 v[0:1], v[182:183], v[4:5], v[180:181]
	v_div_scale_f64 v[6:7], null, v[0:1], v[0:1], 1.0
	s_delay_alu instid0(VALU_DEP_1) | instskip(SKIP_2) | instid1(VALU_DEP_1)
	v_rcp_f64_e32 v[180:181], v[6:7]
	s_waitcnt_depctr 0xfff
	v_fma_f64 v[182:183], -v[6:7], v[180:181], 1.0
	v_fma_f64 v[180:181], v[180:181], v[182:183], v[180:181]
	s_delay_alu instid0(VALU_DEP_1) | instskip(NEXT) | instid1(VALU_DEP_1)
	v_fma_f64 v[182:183], -v[6:7], v[180:181], 1.0
	v_fma_f64 v[180:181], v[180:181], v[182:183], v[180:181]
	v_div_scale_f64 v[182:183], vcc_lo, 1.0, v[0:1], 1.0
	s_delay_alu instid0(VALU_DEP_1) | instskip(NEXT) | instid1(VALU_DEP_1)
	v_mul_f64 v[184:185], v[182:183], v[180:181]
	v_fma_f64 v[6:7], -v[6:7], v[184:185], v[182:183]
	s_delay_alu instid0(VALU_DEP_1) | instskip(NEXT) | instid1(VALU_DEP_1)
	v_div_fmas_f64 v[6:7], v[6:7], v[180:181], v[184:185]
	v_div_fixup_f64 v[0:1], v[6:7], v[0:1], 1.0
	s_delay_alu instid0(VALU_DEP_1)
	v_mul_f64 v[186:187], v[4:5], -v[0:1]
.LBB121_535:
	s_or_b32 exec_lo, exec_lo, s3
	ds_store_2addr_b64 v251, v[0:1], v[186:187] offset1:1
.LBB121_536:
	s_or_b32 exec_lo, exec_lo, s4
	s_waitcnt lgkmcnt(0)
	s_barrier
	buffer_gl0_inv
	ds_load_2addr_b64 v[180:183], v251 offset1:1
	s_mov_b32 s3, exec_lo
	v_cmpx_lt_u32_e32 45, v254
	s_cbranch_execz .LBB121_538
; %bb.537:
	scratch_load_b128 v[184:187], off, off offset:720
	s_waitcnt vmcnt(0) lgkmcnt(0)
	v_mul_f64 v[0:1], v[182:183], v[186:187]
	s_delay_alu instid0(VALU_DEP_1) | instskip(SKIP_1) | instid1(VALU_DEP_1)
	v_fma_f64 v[188:189], v[180:181], v[184:185], -v[0:1]
	v_mul_f64 v[0:1], v[180:181], v[186:187]
	v_fma_f64 v[190:191], v[182:183], v[184:185], v[0:1]
	ds_load_2addr_b64 v[184:187], v244 offset0:92 offset1:93
	s_waitcnt lgkmcnt(0)
	v_mul_f64 v[0:1], v[186:187], v[190:191]
	v_mul_f64 v[4:5], v[184:185], v[190:191]
	s_delay_alu instid0(VALU_DEP_2) | instskip(NEXT) | instid1(VALU_DEP_2)
	v_fma_f64 v[0:1], v[184:185], v[188:189], -v[0:1]
	v_fma_f64 v[4:5], v[186:187], v[188:189], v[4:5]
	scratch_load_b128 v[184:187], off, off offset:736
	s_waitcnt vmcnt(0)
	v_add_f64 v[184:185], v[184:185], -v[0:1]
	v_add_f64 v[186:187], v[186:187], -v[4:5]
	s_clause 0x1
	scratch_store_b128 off, v[188:191], off offset:720
	scratch_store_b128 off, v[184:187], off offset:736
	ds_load_2addr_b64 v[184:187], v244 offset0:94 offset1:95
	s_waitcnt lgkmcnt(0)
	v_mul_f64 v[0:1], v[186:187], v[190:191]
	v_mul_f64 v[4:5], v[184:185], v[190:191]
	s_delay_alu instid0(VALU_DEP_2) | instskip(NEXT) | instid1(VALU_DEP_2)
	v_fma_f64 v[0:1], v[184:185], v[188:189], -v[0:1]
	v_fma_f64 v[4:5], v[186:187], v[188:189], v[4:5]
	scratch_load_b128 v[184:187], off, off offset:752
	s_waitcnt vmcnt(0)
	v_add_f64 v[184:185], v[184:185], -v[0:1]
	v_add_f64 v[186:187], v[186:187], -v[4:5]
	scratch_store_b128 off, v[184:187], off offset:752
	ds_load_2addr_b64 v[184:187], v244 offset0:96 offset1:97
	s_waitcnt lgkmcnt(0)
	v_mul_f64 v[0:1], v[186:187], v[190:191]
	v_mul_f64 v[4:5], v[184:185], v[190:191]
	s_delay_alu instid0(VALU_DEP_2) | instskip(NEXT) | instid1(VALU_DEP_2)
	v_fma_f64 v[0:1], v[184:185], v[188:189], -v[0:1]
	v_fma_f64 v[4:5], v[186:187], v[188:189], v[4:5]
	scratch_load_b128 v[184:187], off, off offset:768
	s_waitcnt vmcnt(0)
	v_add_f64 v[184:185], v[184:185], -v[0:1]
	v_add_f64 v[186:187], v[186:187], -v[4:5]
	;; [unrolled: 12-line block ×4, first 2 shown]
	scratch_store_b128 off, v[184:187], off offset:800
	ds_load_2addr_b64 v[184:187], v244 offset0:102 offset1:103
	s_waitcnt lgkmcnt(0)
	v_mul_f64 v[0:1], v[186:187], v[190:191]
	v_mul_f64 v[4:5], v[184:185], v[190:191]
	s_delay_alu instid0(VALU_DEP_2) | instskip(NEXT) | instid1(VALU_DEP_2)
	v_fma_f64 v[0:1], v[184:185], v[188:189], -v[0:1]
	v_fma_f64 v[4:5], v[186:187], v[188:189], v[4:5]
	scratch_load_b128 v[184:187], off, off offset:816
	ds_load_2addr_b64 v[188:191], v244 offset0:104 offset1:105
	s_waitcnt vmcnt(0)
	v_add_f64 v[184:185], v[184:185], -v[0:1]
	v_add_f64 v[186:187], v[186:187], -v[4:5]
	scratch_store_b128 off, v[184:187], off offset:816
	s_clause 0x1
	scratch_load_b64 v[0:1], off, off offset:720
	scratch_load_b128 v[184:187], off, off offset:720
	s_waitcnt vmcnt(0) lgkmcnt(0)
	v_mul_f64 v[4:5], v[190:191], v[186:187]
	v_mul_f64 v[6:7], v[188:189], v[186:187]
	s_delay_alu instid0(VALU_DEP_2) | instskip(NEXT) | instid1(VALU_DEP_2)
	v_fma_f64 v[4:5], v[188:189], v[0:1], -v[4:5]
	v_fma_f64 v[6:7], v[190:191], v[0:1], v[6:7]
	scratch_load_b128 v[188:191], off, off offset:832
	s_waitcnt vmcnt(0)
	v_add_f64 v[188:189], v[188:189], -v[4:5]
	v_add_f64 v[190:191], v[190:191], -v[6:7]
	scratch_store_b128 off, v[188:191], off offset:832
	ds_load_2addr_b64 v[188:191], v244 offset0:106 offset1:107
	s_waitcnt lgkmcnt(0)
	v_mul_f64 v[4:5], v[190:191], v[186:187]
	v_mul_f64 v[6:7], v[188:189], v[186:187]
	s_delay_alu instid0(VALU_DEP_2) | instskip(NEXT) | instid1(VALU_DEP_2)
	v_fma_f64 v[4:5], v[188:189], v[0:1], -v[4:5]
	v_fma_f64 v[6:7], v[190:191], v[0:1], v[6:7]
	scratch_load_b128 v[188:191], off, off offset:848
	s_waitcnt vmcnt(0)
	v_add_f64 v[188:189], v[188:189], -v[4:5]
	v_add_f64 v[190:191], v[190:191], -v[6:7]
	scratch_store_b128 off, v[188:191], off offset:848
	ds_load_2addr_b64 v[188:191], v244 offset0:108 offset1:109
	s_waitcnt lgkmcnt(0)
	;; [unrolled: 12-line block ×5, first 2 shown]
	v_mul_f64 v[4:5], v[190:191], v[186:187]
	v_mul_f64 v[6:7], v[188:189], v[186:187]
	s_delay_alu instid0(VALU_DEP_2) | instskip(SKIP_3) | instid1(VALU_DEP_1)
	v_fma_f64 v[4:5], v[188:189], v[0:1], -v[4:5]
	scratch_load_b128 v[186:189], off, off offset:912
	v_fma_f64 v[0:1], v[190:191], v[0:1], v[6:7]
	s_waitcnt vmcnt(0)
	v_add_f64 v[188:189], v[188:189], -v[0:1]
	scratch_load_b64 v[0:1], off, off offset:728
	v_add_f64 v[186:187], v[186:187], -v[4:5]
	scratch_store_b128 off, v[186:189], off offset:912
	ds_load_2addr_b64 v[186:189], v244 offset0:116 offset1:117
	s_waitcnt vmcnt(0) lgkmcnt(0)
	v_mul_f64 v[4:5], v[188:189], v[0:1]
	v_mul_f64 v[6:7], v[186:187], v[0:1]
	s_delay_alu instid0(VALU_DEP_2) | instskip(NEXT) | instid1(VALU_DEP_2)
	v_fma_f64 v[4:5], v[186:187], v[184:185], -v[4:5]
	v_fma_f64 v[6:7], v[188:189], v[184:185], v[6:7]
	scratch_load_b128 v[186:189], off, off offset:928
	s_waitcnt vmcnt(0)
	v_add_f64 v[186:187], v[186:187], -v[4:5]
	v_add_f64 v[188:189], v[188:189], -v[6:7]
	scratch_store_b128 off, v[186:189], off offset:928
	ds_load_2addr_b64 v[186:189], v244 offset0:118 offset1:119
	s_waitcnt lgkmcnt(0)
	v_mul_f64 v[4:5], v[188:189], v[0:1]
	v_mul_f64 v[6:7], v[186:187], v[0:1]
	s_delay_alu instid0(VALU_DEP_2) | instskip(NEXT) | instid1(VALU_DEP_2)
	v_fma_f64 v[4:5], v[186:187], v[184:185], -v[4:5]
	v_fma_f64 v[6:7], v[188:189], v[184:185], v[6:7]
	scratch_load_b128 v[186:189], off, off offset:944
	s_waitcnt vmcnt(0)
	v_add_f64 v[186:187], v[186:187], -v[4:5]
	v_add_f64 v[188:189], v[188:189], -v[6:7]
	scratch_store_b128 off, v[186:189], off offset:944
	ds_load_2addr_b64 v[186:189], v244 offset0:120 offset1:121
	s_waitcnt lgkmcnt(0)
	v_mul_f64 v[4:5], v[188:189], v[0:1]
	v_mul_f64 v[0:1], v[186:187], v[0:1]
	s_delay_alu instid0(VALU_DEP_2) | instskip(NEXT) | instid1(VALU_DEP_2)
	v_fma_f64 v[4:5], v[186:187], v[184:185], -v[4:5]
	v_fma_f64 v[0:1], v[188:189], v[184:185], v[0:1]
	scratch_load_b128 v[184:187], off, off offset:960
	s_waitcnt vmcnt(0)
	v_add_f64 v[184:185], v[184:185], -v[4:5]
	v_add_f64 v[186:187], v[186:187], -v[0:1]
	scratch_store_b128 off, v[184:187], off offset:960
.LBB121_538:
	s_or_b32 exec_lo, exec_lo, s3
	s_delay_alu instid0(SALU_CYCLE_1)
	s_mov_b32 s4, exec_lo
	s_waitcnt lgkmcnt(0)
	s_waitcnt_vscnt null, 0x0
	s_barrier
	buffer_gl0_inv
	v_cmpx_eq_u32_e32 46, v254
	s_cbranch_execz .LBB121_545
; %bb.539:
	scratch_load_b32 v0, off, off offset:996 ; 4-byte Folded Reload
	s_waitcnt vmcnt(0)
	scratch_load_b128 v[184:187], v0, off
	scratch_load_b32 v0, off, off offset:992 ; 4-byte Folded Reload
	s_waitcnt vmcnt(1)
	ds_store_2addr_b64 v251, v[184:185], v[186:187] offset1:1
	s_waitcnt vmcnt(0)
	scratch_load_b128 v[184:187], v0, off
	scratch_load_b32 v0, off, off offset:988 ; 4-byte Folded Reload
	s_waitcnt vmcnt(1)
	ds_store_2addr_b64 v244, v[184:185], v[186:187] offset0:94 offset1:95
	s_waitcnt vmcnt(0)
	scratch_load_b128 v[184:187], v0, off
	scratch_load_b32 v0, off, off offset:984 ; 4-byte Folded Reload
	s_waitcnt vmcnt(1)
	ds_store_2addr_b64 v244, v[184:185], v[186:187] offset0:96 offset1:97
	s_waitcnt vmcnt(0)
	scratch_load_b128 v[184:187], v0, off
	scratch_load_b32 v0, off, off offset:980 ; 4-byte Folded Reload
	s_waitcnt vmcnt(1)
	ds_store_2addr_b64 v244, v[184:185], v[186:187] offset0:98 offset1:99
	s_waitcnt vmcnt(0)
	scratch_load_b128 v[184:187], v0, off
	scratch_load_b32 v0, off, off offset:976 ; 4-byte Folded Reload
	s_waitcnt vmcnt(1)
	ds_store_2addr_b64 v244, v[184:185], v[186:187] offset0:100 offset1:101
	s_waitcnt vmcnt(0)
	scratch_load_b128 v[184:187], v0, off
	s_waitcnt vmcnt(0)
	ds_store_2addr_b64 v244, v[184:185], v[186:187] offset0:102 offset1:103
	scratch_load_b128 v[184:187], v245, off
	s_waitcnt vmcnt(0)
	ds_store_2addr_b64 v244, v[184:185], v[186:187] offset0:104 offset1:105
	;; [unrolled: 3-line block ×10, first 2 shown]
	ds_load_2addr_b64 v[184:187], v251 offset1:1
	s_waitcnt lgkmcnt(0)
	v_cmp_neq_f64_e32 vcc_lo, 0, v[184:185]
	v_cmp_neq_f64_e64 s3, 0, v[186:187]
	s_delay_alu instid0(VALU_DEP_1) | instskip(NEXT) | instid1(SALU_CYCLE_1)
	s_or_b32 s3, vcc_lo, s3
	s_and_b32 exec_lo, exec_lo, s3
	s_cbranch_execz .LBB121_545
; %bb.540:
	v_cmp_gt_f64_e32 vcc_lo, 0, v[184:185]
	v_xor_b32_e32 v0, 0x80000000, v185
	v_xor_b32_e32 v4, 0x80000000, v187
	s_delay_alu instid0(VALU_DEP_2) | instskip(SKIP_2) | instid1(VALU_DEP_4)
	v_cndmask_b32_e32 v1, v185, v0, vcc_lo
	v_cndmask_b32_e32 v0, v184, v184, vcc_lo
	v_cmp_gt_f64_e32 vcc_lo, 0, v[186:187]
	v_dual_cndmask_b32 v5, v187, v4 :: v_dual_cndmask_b32 v4, v186, v186
	s_delay_alu instid0(VALU_DEP_1) | instskip(SKIP_1) | instid1(SALU_CYCLE_1)
	v_cmp_ngt_f64_e32 vcc_lo, v[0:1], v[4:5]
                                        ; implicit-def: $vgpr0_vgpr1
	s_and_saveexec_b32 s3, vcc_lo
	s_xor_b32 s3, exec_lo, s3
                                        ; implicit-def: $vgpr188_vgpr189_vgpr190_vgpr191
	s_cbranch_execz .LBB121_542
; %bb.541:
	v_div_scale_f64 v[0:1], null, v[186:187], v[186:187], v[184:185]
	v_div_scale_f64 v[188:189], vcc_lo, v[184:185], v[186:187], v[184:185]
	s_delay_alu instid0(VALU_DEP_2) | instskip(SKIP_2) | instid1(VALU_DEP_1)
	v_rcp_f64_e32 v[4:5], v[0:1]
	s_waitcnt_depctr 0xfff
	v_fma_f64 v[6:7], -v[0:1], v[4:5], 1.0
	v_fma_f64 v[4:5], v[4:5], v[6:7], v[4:5]
	s_delay_alu instid0(VALU_DEP_1) | instskip(NEXT) | instid1(VALU_DEP_1)
	v_fma_f64 v[6:7], -v[0:1], v[4:5], 1.0
	v_fma_f64 v[4:5], v[4:5], v[6:7], v[4:5]
	s_delay_alu instid0(VALU_DEP_1) | instskip(NEXT) | instid1(VALU_DEP_1)
	v_mul_f64 v[6:7], v[188:189], v[4:5]
	v_fma_f64 v[0:1], -v[0:1], v[6:7], v[188:189]
	s_delay_alu instid0(VALU_DEP_1) | instskip(NEXT) | instid1(VALU_DEP_1)
	v_div_fmas_f64 v[0:1], v[0:1], v[4:5], v[6:7]
	v_div_fixup_f64 v[0:1], v[0:1], v[186:187], v[184:185]
	s_delay_alu instid0(VALU_DEP_1) | instskip(NEXT) | instid1(VALU_DEP_1)
	v_fma_f64 v[4:5], v[184:185], v[0:1], v[186:187]
	v_div_scale_f64 v[6:7], null, v[4:5], v[4:5], 1.0
	s_delay_alu instid0(VALU_DEP_1) | instskip(SKIP_2) | instid1(VALU_DEP_1)
	v_rcp_f64_e32 v[184:185], v[6:7]
	s_waitcnt_depctr 0xfff
	v_fma_f64 v[186:187], -v[6:7], v[184:185], 1.0
	v_fma_f64 v[184:185], v[184:185], v[186:187], v[184:185]
	s_delay_alu instid0(VALU_DEP_1) | instskip(NEXT) | instid1(VALU_DEP_1)
	v_fma_f64 v[186:187], -v[6:7], v[184:185], 1.0
	v_fma_f64 v[184:185], v[184:185], v[186:187], v[184:185]
	v_div_scale_f64 v[186:187], vcc_lo, 1.0, v[4:5], 1.0
	s_delay_alu instid0(VALU_DEP_1) | instskip(NEXT) | instid1(VALU_DEP_1)
	v_mul_f64 v[188:189], v[186:187], v[184:185]
	v_fma_f64 v[6:7], -v[6:7], v[188:189], v[186:187]
	s_delay_alu instid0(VALU_DEP_1) | instskip(NEXT) | instid1(VALU_DEP_1)
	v_div_fmas_f64 v[6:7], v[6:7], v[184:185], v[188:189]
                                        ; implicit-def: $vgpr184_vgpr185
	v_div_fixup_f64 v[190:191], v[6:7], v[4:5], 1.0
	s_delay_alu instid0(VALU_DEP_1)
	v_mul_f64 v[0:1], v[0:1], v[190:191]
	v_xor_b32_e32 v191, 0x80000000, v191
.LBB121_542:
	s_and_not1_saveexec_b32 s3, s3
	s_cbranch_execz .LBB121_544
; %bb.543:
	v_div_scale_f64 v[0:1], null, v[184:185], v[184:185], v[186:187]
	v_div_scale_f64 v[188:189], vcc_lo, v[186:187], v[184:185], v[186:187]
	s_delay_alu instid0(VALU_DEP_2) | instskip(SKIP_2) | instid1(VALU_DEP_1)
	v_rcp_f64_e32 v[4:5], v[0:1]
	s_waitcnt_depctr 0xfff
	v_fma_f64 v[6:7], -v[0:1], v[4:5], 1.0
	v_fma_f64 v[4:5], v[4:5], v[6:7], v[4:5]
	s_delay_alu instid0(VALU_DEP_1) | instskip(NEXT) | instid1(VALU_DEP_1)
	v_fma_f64 v[6:7], -v[0:1], v[4:5], 1.0
	v_fma_f64 v[4:5], v[4:5], v[6:7], v[4:5]
	s_delay_alu instid0(VALU_DEP_1) | instskip(NEXT) | instid1(VALU_DEP_1)
	v_mul_f64 v[6:7], v[188:189], v[4:5]
	v_fma_f64 v[0:1], -v[0:1], v[6:7], v[188:189]
	s_delay_alu instid0(VALU_DEP_1) | instskip(NEXT) | instid1(VALU_DEP_1)
	v_div_fmas_f64 v[0:1], v[0:1], v[4:5], v[6:7]
	v_div_fixup_f64 v[4:5], v[0:1], v[184:185], v[186:187]
	s_delay_alu instid0(VALU_DEP_1) | instskip(NEXT) | instid1(VALU_DEP_1)
	v_fma_f64 v[0:1], v[186:187], v[4:5], v[184:185]
	v_div_scale_f64 v[6:7], null, v[0:1], v[0:1], 1.0
	s_delay_alu instid0(VALU_DEP_1) | instskip(SKIP_2) | instid1(VALU_DEP_1)
	v_rcp_f64_e32 v[184:185], v[6:7]
	s_waitcnt_depctr 0xfff
	v_fma_f64 v[186:187], -v[6:7], v[184:185], 1.0
	v_fma_f64 v[184:185], v[184:185], v[186:187], v[184:185]
	s_delay_alu instid0(VALU_DEP_1) | instskip(NEXT) | instid1(VALU_DEP_1)
	v_fma_f64 v[186:187], -v[6:7], v[184:185], 1.0
	v_fma_f64 v[184:185], v[184:185], v[186:187], v[184:185]
	v_div_scale_f64 v[186:187], vcc_lo, 1.0, v[0:1], 1.0
	s_delay_alu instid0(VALU_DEP_1) | instskip(NEXT) | instid1(VALU_DEP_1)
	v_mul_f64 v[188:189], v[186:187], v[184:185]
	v_fma_f64 v[6:7], -v[6:7], v[188:189], v[186:187]
	s_delay_alu instid0(VALU_DEP_1) | instskip(NEXT) | instid1(VALU_DEP_1)
	v_div_fmas_f64 v[6:7], v[6:7], v[184:185], v[188:189]
	v_div_fixup_f64 v[0:1], v[6:7], v[0:1], 1.0
	s_delay_alu instid0(VALU_DEP_1)
	v_mul_f64 v[190:191], v[4:5], -v[0:1]
.LBB121_544:
	s_or_b32 exec_lo, exec_lo, s3
	ds_store_2addr_b64 v251, v[0:1], v[190:191] offset1:1
.LBB121_545:
	s_or_b32 exec_lo, exec_lo, s4
	s_waitcnt lgkmcnt(0)
	s_barrier
	buffer_gl0_inv
	ds_load_2addr_b64 v[184:187], v251 offset1:1
	s_mov_b32 s3, exec_lo
	v_cmpx_lt_u32_e32 46, v254
	s_cbranch_execz .LBB121_547
; %bb.546:
	scratch_load_b128 v[188:191], off, off offset:736
	s_waitcnt vmcnt(0) lgkmcnt(0)
	v_mul_f64 v[0:1], v[186:187], v[190:191]
	s_delay_alu instid0(VALU_DEP_1) | instskip(SKIP_1) | instid1(VALU_DEP_1)
	v_fma_f64 v[192:193], v[184:185], v[188:189], -v[0:1]
	v_mul_f64 v[0:1], v[184:185], v[190:191]
	v_fma_f64 v[194:195], v[186:187], v[188:189], v[0:1]
	ds_load_2addr_b64 v[188:191], v244 offset0:94 offset1:95
	s_waitcnt lgkmcnt(0)
	v_mul_f64 v[0:1], v[190:191], v[194:195]
	v_mul_f64 v[4:5], v[188:189], v[194:195]
	s_delay_alu instid0(VALU_DEP_2) | instskip(NEXT) | instid1(VALU_DEP_2)
	v_fma_f64 v[0:1], v[188:189], v[192:193], -v[0:1]
	v_fma_f64 v[4:5], v[190:191], v[192:193], v[4:5]
	scratch_load_b128 v[188:191], off, off offset:752
	s_waitcnt vmcnt(0)
	v_add_f64 v[188:189], v[188:189], -v[0:1]
	v_add_f64 v[190:191], v[190:191], -v[4:5]
	s_clause 0x1
	scratch_store_b128 off, v[192:195], off offset:736
	scratch_store_b128 off, v[188:191], off offset:752
	ds_load_2addr_b64 v[188:191], v244 offset0:96 offset1:97
	s_waitcnt lgkmcnt(0)
	v_mul_f64 v[0:1], v[190:191], v[194:195]
	v_mul_f64 v[4:5], v[188:189], v[194:195]
	s_delay_alu instid0(VALU_DEP_2) | instskip(NEXT) | instid1(VALU_DEP_2)
	v_fma_f64 v[0:1], v[188:189], v[192:193], -v[0:1]
	v_fma_f64 v[4:5], v[190:191], v[192:193], v[4:5]
	scratch_load_b128 v[188:191], off, off offset:768
	s_waitcnt vmcnt(0)
	v_add_f64 v[188:189], v[188:189], -v[0:1]
	v_add_f64 v[190:191], v[190:191], -v[4:5]
	scratch_store_b128 off, v[188:191], off offset:768
	ds_load_2addr_b64 v[188:191], v244 offset0:98 offset1:99
	s_waitcnt lgkmcnt(0)
	v_mul_f64 v[0:1], v[190:191], v[194:195]
	v_mul_f64 v[4:5], v[188:189], v[194:195]
	s_delay_alu instid0(VALU_DEP_2) | instskip(NEXT) | instid1(VALU_DEP_2)
	v_fma_f64 v[0:1], v[188:189], v[192:193], -v[0:1]
	v_fma_f64 v[4:5], v[190:191], v[192:193], v[4:5]
	scratch_load_b128 v[188:191], off, off offset:784
	s_waitcnt vmcnt(0)
	v_add_f64 v[188:189], v[188:189], -v[0:1]
	v_add_f64 v[190:191], v[190:191], -v[4:5]
	;; [unrolled: 12-line block ×4, first 2 shown]
	scratch_store_b128 off, v[188:191], off offset:816
	ds_load_2addr_b64 v[188:191], v244 offset0:104 offset1:105
	s_waitcnt lgkmcnt(0)
	v_mul_f64 v[0:1], v[190:191], v[194:195]
	v_mul_f64 v[4:5], v[188:189], v[194:195]
	s_delay_alu instid0(VALU_DEP_2) | instskip(NEXT) | instid1(VALU_DEP_2)
	v_fma_f64 v[0:1], v[188:189], v[192:193], -v[0:1]
	v_fma_f64 v[4:5], v[190:191], v[192:193], v[4:5]
	scratch_load_b128 v[188:191], off, off offset:832
	ds_load_2addr_b64 v[192:195], v244 offset0:106 offset1:107
	s_waitcnt vmcnt(0)
	v_add_f64 v[188:189], v[188:189], -v[0:1]
	v_add_f64 v[190:191], v[190:191], -v[4:5]
	scratch_store_b128 off, v[188:191], off offset:832
	s_clause 0x1
	scratch_load_b64 v[0:1], off, off offset:736
	scratch_load_b128 v[188:191], off, off offset:736
	s_waitcnt vmcnt(0) lgkmcnt(0)
	v_mul_f64 v[4:5], v[194:195], v[190:191]
	v_mul_f64 v[6:7], v[192:193], v[190:191]
	s_delay_alu instid0(VALU_DEP_2) | instskip(NEXT) | instid1(VALU_DEP_2)
	v_fma_f64 v[4:5], v[192:193], v[0:1], -v[4:5]
	v_fma_f64 v[6:7], v[194:195], v[0:1], v[6:7]
	scratch_load_b128 v[192:195], off, off offset:848
	s_waitcnt vmcnt(0)
	v_add_f64 v[192:193], v[192:193], -v[4:5]
	v_add_f64 v[194:195], v[194:195], -v[6:7]
	scratch_store_b128 off, v[192:195], off offset:848
	ds_load_2addr_b64 v[192:195], v244 offset0:108 offset1:109
	s_waitcnt lgkmcnt(0)
	v_mul_f64 v[4:5], v[194:195], v[190:191]
	v_mul_f64 v[6:7], v[192:193], v[190:191]
	s_delay_alu instid0(VALU_DEP_2) | instskip(NEXT) | instid1(VALU_DEP_2)
	v_fma_f64 v[4:5], v[192:193], v[0:1], -v[4:5]
	v_fma_f64 v[6:7], v[194:195], v[0:1], v[6:7]
	scratch_load_b128 v[192:195], off, off offset:864
	s_waitcnt vmcnt(0)
	v_add_f64 v[192:193], v[192:193], -v[4:5]
	v_add_f64 v[194:195], v[194:195], -v[6:7]
	scratch_store_b128 off, v[192:195], off offset:864
	ds_load_2addr_b64 v[192:195], v244 offset0:110 offset1:111
	s_waitcnt lgkmcnt(0)
	;; [unrolled: 12-line block ×5, first 2 shown]
	v_mul_f64 v[4:5], v[194:195], v[190:191]
	v_mul_f64 v[6:7], v[192:193], v[190:191]
	s_delay_alu instid0(VALU_DEP_2) | instskip(SKIP_3) | instid1(VALU_DEP_1)
	v_fma_f64 v[4:5], v[192:193], v[0:1], -v[4:5]
	scratch_load_b128 v[190:193], off, off offset:928
	v_fma_f64 v[0:1], v[194:195], v[0:1], v[6:7]
	s_waitcnt vmcnt(0)
	v_add_f64 v[192:193], v[192:193], -v[0:1]
	scratch_load_b64 v[0:1], off, off offset:744
	v_add_f64 v[190:191], v[190:191], -v[4:5]
	scratch_store_b128 off, v[190:193], off offset:928
	ds_load_2addr_b64 v[190:193], v244 offset0:118 offset1:119
	s_waitcnt vmcnt(0) lgkmcnt(0)
	v_mul_f64 v[4:5], v[192:193], v[0:1]
	v_mul_f64 v[6:7], v[190:191], v[0:1]
	s_delay_alu instid0(VALU_DEP_2) | instskip(NEXT) | instid1(VALU_DEP_2)
	v_fma_f64 v[4:5], v[190:191], v[188:189], -v[4:5]
	v_fma_f64 v[6:7], v[192:193], v[188:189], v[6:7]
	scratch_load_b128 v[190:193], off, off offset:944
	s_waitcnt vmcnt(0)
	v_add_f64 v[190:191], v[190:191], -v[4:5]
	v_add_f64 v[192:193], v[192:193], -v[6:7]
	scratch_store_b128 off, v[190:193], off offset:944
	ds_load_2addr_b64 v[190:193], v244 offset0:120 offset1:121
	s_waitcnt lgkmcnt(0)
	v_mul_f64 v[4:5], v[192:193], v[0:1]
	v_mul_f64 v[0:1], v[190:191], v[0:1]
	s_delay_alu instid0(VALU_DEP_2) | instskip(NEXT) | instid1(VALU_DEP_2)
	v_fma_f64 v[4:5], v[190:191], v[188:189], -v[4:5]
	v_fma_f64 v[0:1], v[192:193], v[188:189], v[0:1]
	scratch_load_b128 v[188:191], off, off offset:960
	s_waitcnt vmcnt(0)
	v_add_f64 v[188:189], v[188:189], -v[4:5]
	v_add_f64 v[190:191], v[190:191], -v[0:1]
	scratch_store_b128 off, v[188:191], off offset:960
.LBB121_547:
	s_or_b32 exec_lo, exec_lo, s3
	s_delay_alu instid0(SALU_CYCLE_1)
	s_mov_b32 s4, exec_lo
	s_waitcnt lgkmcnt(0)
	s_waitcnt_vscnt null, 0x0
	s_barrier
	buffer_gl0_inv
	v_cmpx_eq_u32_e32 47, v254
	s_cbranch_execz .LBB121_554
; %bb.548:
	scratch_load_b32 v0, off, off offset:992 ; 4-byte Folded Reload
	s_waitcnt vmcnt(0)
	scratch_load_b128 v[188:191], v0, off
	scratch_load_b32 v0, off, off offset:988 ; 4-byte Folded Reload
	s_waitcnt vmcnt(1)
	ds_store_2addr_b64 v251, v[188:189], v[190:191] offset1:1
	s_waitcnt vmcnt(0)
	scratch_load_b128 v[188:191], v0, off
	scratch_load_b32 v0, off, off offset:984 ; 4-byte Folded Reload
	s_waitcnt vmcnt(1)
	ds_store_2addr_b64 v244, v[188:189], v[190:191] offset0:96 offset1:97
	s_waitcnt vmcnt(0)
	scratch_load_b128 v[188:191], v0, off
	scratch_load_b32 v0, off, off offset:980 ; 4-byte Folded Reload
	s_waitcnt vmcnt(1)
	ds_store_2addr_b64 v244, v[188:189], v[190:191] offset0:98 offset1:99
	;; [unrolled: 5-line block ×3, first 2 shown]
	s_waitcnt vmcnt(0)
	scratch_load_b128 v[188:191], v0, off
	s_waitcnt vmcnt(0)
	ds_store_2addr_b64 v244, v[188:189], v[190:191] offset0:102 offset1:103
	scratch_load_b128 v[188:191], v245, off
	s_waitcnt vmcnt(0)
	ds_store_2addr_b64 v244, v[188:189], v[190:191] offset0:104 offset1:105
	;; [unrolled: 3-line block ×10, first 2 shown]
	ds_load_2addr_b64 v[188:191], v251 offset1:1
	s_waitcnt lgkmcnt(0)
	v_cmp_neq_f64_e32 vcc_lo, 0, v[188:189]
	v_cmp_neq_f64_e64 s3, 0, v[190:191]
	s_delay_alu instid0(VALU_DEP_1) | instskip(NEXT) | instid1(SALU_CYCLE_1)
	s_or_b32 s3, vcc_lo, s3
	s_and_b32 exec_lo, exec_lo, s3
	s_cbranch_execz .LBB121_554
; %bb.549:
	v_cmp_gt_f64_e32 vcc_lo, 0, v[188:189]
	v_xor_b32_e32 v0, 0x80000000, v189
	v_xor_b32_e32 v4, 0x80000000, v191
	s_delay_alu instid0(VALU_DEP_2) | instskip(SKIP_2) | instid1(VALU_DEP_4)
	v_cndmask_b32_e32 v1, v189, v0, vcc_lo
	v_cndmask_b32_e32 v0, v188, v188, vcc_lo
	v_cmp_gt_f64_e32 vcc_lo, 0, v[190:191]
	v_dual_cndmask_b32 v5, v191, v4 :: v_dual_cndmask_b32 v4, v190, v190
	s_delay_alu instid0(VALU_DEP_1) | instskip(SKIP_1) | instid1(SALU_CYCLE_1)
	v_cmp_ngt_f64_e32 vcc_lo, v[0:1], v[4:5]
                                        ; implicit-def: $vgpr0_vgpr1
	s_and_saveexec_b32 s3, vcc_lo
	s_xor_b32 s3, exec_lo, s3
                                        ; implicit-def: $vgpr192_vgpr193_vgpr194_vgpr195
	s_cbranch_execz .LBB121_551
; %bb.550:
	v_div_scale_f64 v[0:1], null, v[190:191], v[190:191], v[188:189]
	v_div_scale_f64 v[192:193], vcc_lo, v[188:189], v[190:191], v[188:189]
	s_delay_alu instid0(VALU_DEP_2) | instskip(SKIP_2) | instid1(VALU_DEP_1)
	v_rcp_f64_e32 v[4:5], v[0:1]
	s_waitcnt_depctr 0xfff
	v_fma_f64 v[6:7], -v[0:1], v[4:5], 1.0
	v_fma_f64 v[4:5], v[4:5], v[6:7], v[4:5]
	s_delay_alu instid0(VALU_DEP_1) | instskip(NEXT) | instid1(VALU_DEP_1)
	v_fma_f64 v[6:7], -v[0:1], v[4:5], 1.0
	v_fma_f64 v[4:5], v[4:5], v[6:7], v[4:5]
	s_delay_alu instid0(VALU_DEP_1) | instskip(NEXT) | instid1(VALU_DEP_1)
	v_mul_f64 v[6:7], v[192:193], v[4:5]
	v_fma_f64 v[0:1], -v[0:1], v[6:7], v[192:193]
	s_delay_alu instid0(VALU_DEP_1) | instskip(NEXT) | instid1(VALU_DEP_1)
	v_div_fmas_f64 v[0:1], v[0:1], v[4:5], v[6:7]
	v_div_fixup_f64 v[0:1], v[0:1], v[190:191], v[188:189]
	s_delay_alu instid0(VALU_DEP_1) | instskip(NEXT) | instid1(VALU_DEP_1)
	v_fma_f64 v[4:5], v[188:189], v[0:1], v[190:191]
	v_div_scale_f64 v[6:7], null, v[4:5], v[4:5], 1.0
	s_delay_alu instid0(VALU_DEP_1) | instskip(SKIP_2) | instid1(VALU_DEP_1)
	v_rcp_f64_e32 v[188:189], v[6:7]
	s_waitcnt_depctr 0xfff
	v_fma_f64 v[190:191], -v[6:7], v[188:189], 1.0
	v_fma_f64 v[188:189], v[188:189], v[190:191], v[188:189]
	s_delay_alu instid0(VALU_DEP_1) | instskip(NEXT) | instid1(VALU_DEP_1)
	v_fma_f64 v[190:191], -v[6:7], v[188:189], 1.0
	v_fma_f64 v[188:189], v[188:189], v[190:191], v[188:189]
	v_div_scale_f64 v[190:191], vcc_lo, 1.0, v[4:5], 1.0
	s_delay_alu instid0(VALU_DEP_1) | instskip(NEXT) | instid1(VALU_DEP_1)
	v_mul_f64 v[192:193], v[190:191], v[188:189]
	v_fma_f64 v[6:7], -v[6:7], v[192:193], v[190:191]
	s_delay_alu instid0(VALU_DEP_1) | instskip(NEXT) | instid1(VALU_DEP_1)
	v_div_fmas_f64 v[6:7], v[6:7], v[188:189], v[192:193]
                                        ; implicit-def: $vgpr188_vgpr189
	v_div_fixup_f64 v[194:195], v[6:7], v[4:5], 1.0
	s_delay_alu instid0(VALU_DEP_1)
	v_mul_f64 v[0:1], v[0:1], v[194:195]
	v_xor_b32_e32 v195, 0x80000000, v195
.LBB121_551:
	s_and_not1_saveexec_b32 s3, s3
	s_cbranch_execz .LBB121_553
; %bb.552:
	v_div_scale_f64 v[0:1], null, v[188:189], v[188:189], v[190:191]
	v_div_scale_f64 v[192:193], vcc_lo, v[190:191], v[188:189], v[190:191]
	s_delay_alu instid0(VALU_DEP_2) | instskip(SKIP_2) | instid1(VALU_DEP_1)
	v_rcp_f64_e32 v[4:5], v[0:1]
	s_waitcnt_depctr 0xfff
	v_fma_f64 v[6:7], -v[0:1], v[4:5], 1.0
	v_fma_f64 v[4:5], v[4:5], v[6:7], v[4:5]
	s_delay_alu instid0(VALU_DEP_1) | instskip(NEXT) | instid1(VALU_DEP_1)
	v_fma_f64 v[6:7], -v[0:1], v[4:5], 1.0
	v_fma_f64 v[4:5], v[4:5], v[6:7], v[4:5]
	s_delay_alu instid0(VALU_DEP_1) | instskip(NEXT) | instid1(VALU_DEP_1)
	v_mul_f64 v[6:7], v[192:193], v[4:5]
	v_fma_f64 v[0:1], -v[0:1], v[6:7], v[192:193]
	s_delay_alu instid0(VALU_DEP_1) | instskip(NEXT) | instid1(VALU_DEP_1)
	v_div_fmas_f64 v[0:1], v[0:1], v[4:5], v[6:7]
	v_div_fixup_f64 v[4:5], v[0:1], v[188:189], v[190:191]
	s_delay_alu instid0(VALU_DEP_1) | instskip(NEXT) | instid1(VALU_DEP_1)
	v_fma_f64 v[0:1], v[190:191], v[4:5], v[188:189]
	v_div_scale_f64 v[6:7], null, v[0:1], v[0:1], 1.0
	s_delay_alu instid0(VALU_DEP_1) | instskip(SKIP_2) | instid1(VALU_DEP_1)
	v_rcp_f64_e32 v[188:189], v[6:7]
	s_waitcnt_depctr 0xfff
	v_fma_f64 v[190:191], -v[6:7], v[188:189], 1.0
	v_fma_f64 v[188:189], v[188:189], v[190:191], v[188:189]
	s_delay_alu instid0(VALU_DEP_1) | instskip(NEXT) | instid1(VALU_DEP_1)
	v_fma_f64 v[190:191], -v[6:7], v[188:189], 1.0
	v_fma_f64 v[188:189], v[188:189], v[190:191], v[188:189]
	v_div_scale_f64 v[190:191], vcc_lo, 1.0, v[0:1], 1.0
	s_delay_alu instid0(VALU_DEP_1) | instskip(NEXT) | instid1(VALU_DEP_1)
	v_mul_f64 v[192:193], v[190:191], v[188:189]
	v_fma_f64 v[6:7], -v[6:7], v[192:193], v[190:191]
	s_delay_alu instid0(VALU_DEP_1) | instskip(NEXT) | instid1(VALU_DEP_1)
	v_div_fmas_f64 v[6:7], v[6:7], v[188:189], v[192:193]
	v_div_fixup_f64 v[0:1], v[6:7], v[0:1], 1.0
	s_delay_alu instid0(VALU_DEP_1)
	v_mul_f64 v[194:195], v[4:5], -v[0:1]
.LBB121_553:
	s_or_b32 exec_lo, exec_lo, s3
	ds_store_2addr_b64 v251, v[0:1], v[194:195] offset1:1
.LBB121_554:
	s_or_b32 exec_lo, exec_lo, s4
	s_waitcnt lgkmcnt(0)
	s_barrier
	buffer_gl0_inv
	ds_load_2addr_b64 v[188:191], v251 offset1:1
	s_mov_b32 s3, exec_lo
	v_cmpx_lt_u32_e32 47, v254
	s_cbranch_execz .LBB121_556
; %bb.555:
	scratch_load_b128 v[192:195], off, off offset:752
	s_waitcnt vmcnt(0) lgkmcnt(0)
	v_mul_f64 v[0:1], v[190:191], v[194:195]
	s_delay_alu instid0(VALU_DEP_1) | instskip(SKIP_1) | instid1(VALU_DEP_1)
	v_fma_f64 v[196:197], v[188:189], v[192:193], -v[0:1]
	v_mul_f64 v[0:1], v[188:189], v[194:195]
	v_fma_f64 v[198:199], v[190:191], v[192:193], v[0:1]
	ds_load_2addr_b64 v[192:195], v244 offset0:96 offset1:97
	s_waitcnt lgkmcnt(0)
	v_mul_f64 v[0:1], v[194:195], v[198:199]
	v_mul_f64 v[4:5], v[192:193], v[198:199]
	s_delay_alu instid0(VALU_DEP_2) | instskip(NEXT) | instid1(VALU_DEP_2)
	v_fma_f64 v[0:1], v[192:193], v[196:197], -v[0:1]
	v_fma_f64 v[4:5], v[194:195], v[196:197], v[4:5]
	scratch_load_b128 v[192:195], off, off offset:768
	s_waitcnt vmcnt(0)
	v_add_f64 v[192:193], v[192:193], -v[0:1]
	v_add_f64 v[194:195], v[194:195], -v[4:5]
	s_clause 0x1
	scratch_store_b128 off, v[196:199], off offset:752
	scratch_store_b128 off, v[192:195], off offset:768
	ds_load_2addr_b64 v[192:195], v244 offset0:98 offset1:99
	s_waitcnt lgkmcnt(0)
	v_mul_f64 v[0:1], v[194:195], v[198:199]
	v_mul_f64 v[4:5], v[192:193], v[198:199]
	s_delay_alu instid0(VALU_DEP_2) | instskip(NEXT) | instid1(VALU_DEP_2)
	v_fma_f64 v[0:1], v[192:193], v[196:197], -v[0:1]
	v_fma_f64 v[4:5], v[194:195], v[196:197], v[4:5]
	scratch_load_b128 v[192:195], off, off offset:784
	s_waitcnt vmcnt(0)
	v_add_f64 v[192:193], v[192:193], -v[0:1]
	v_add_f64 v[194:195], v[194:195], -v[4:5]
	scratch_store_b128 off, v[192:195], off offset:784
	ds_load_2addr_b64 v[192:195], v244 offset0:100 offset1:101
	s_waitcnt lgkmcnt(0)
	v_mul_f64 v[0:1], v[194:195], v[198:199]
	v_mul_f64 v[4:5], v[192:193], v[198:199]
	s_delay_alu instid0(VALU_DEP_2) | instskip(NEXT) | instid1(VALU_DEP_2)
	v_fma_f64 v[0:1], v[192:193], v[196:197], -v[0:1]
	v_fma_f64 v[4:5], v[194:195], v[196:197], v[4:5]
	scratch_load_b128 v[192:195], off, off offset:800
	s_waitcnt vmcnt(0)
	v_add_f64 v[192:193], v[192:193], -v[0:1]
	v_add_f64 v[194:195], v[194:195], -v[4:5]
	;; [unrolled: 12-line block ×5, first 2 shown]
	scratch_store_b128 off, v[192:195], off offset:848
	ds_load_2addr_b64 v[192:195], v244 offset0:108 offset1:109
	s_clause 0x1
	scratch_load_b64 v[0:1], off, off offset:752
	scratch_load_b128 v[196:199], off, off offset:752
	s_waitcnt vmcnt(0) lgkmcnt(0)
	v_mul_f64 v[4:5], v[194:195], v[198:199]
	v_mul_f64 v[6:7], v[192:193], v[198:199]
	s_delay_alu instid0(VALU_DEP_2) | instskip(NEXT) | instid1(VALU_DEP_2)
	v_fma_f64 v[4:5], v[192:193], v[0:1], -v[4:5]
	v_fma_f64 v[6:7], v[194:195], v[0:1], v[6:7]
	scratch_load_b128 v[192:195], off, off offset:864
	s_waitcnt vmcnt(0)
	v_add_f64 v[192:193], v[192:193], -v[4:5]
	v_add_f64 v[194:195], v[194:195], -v[6:7]
	scratch_store_b128 off, v[192:195], off offset:864
	ds_load_2addr_b64 v[192:195], v244 offset0:110 offset1:111
	s_waitcnt lgkmcnt(0)
	v_mul_f64 v[4:5], v[194:195], v[198:199]
	v_mul_f64 v[6:7], v[192:193], v[198:199]
	s_delay_alu instid0(VALU_DEP_2) | instskip(NEXT) | instid1(VALU_DEP_2)
	v_fma_f64 v[4:5], v[192:193], v[0:1], -v[4:5]
	v_fma_f64 v[6:7], v[194:195], v[0:1], v[6:7]
	scratch_load_b128 v[192:195], off, off offset:880
	s_waitcnt vmcnt(0)
	v_add_f64 v[192:193], v[192:193], -v[4:5]
	v_add_f64 v[194:195], v[194:195], -v[6:7]
	scratch_store_b128 off, v[192:195], off offset:880
	ds_load_2addr_b64 v[192:195], v244 offset0:112 offset1:113
	s_waitcnt lgkmcnt(0)
	v_mul_f64 v[4:5], v[194:195], v[198:199]
	v_mul_f64 v[6:7], v[192:193], v[198:199]
	s_delay_alu instid0(VALU_DEP_2) | instskip(NEXT) | instid1(VALU_DEP_2)
	v_fma_f64 v[4:5], v[192:193], v[0:1], -v[4:5]
	v_fma_f64 v[6:7], v[194:195], v[0:1], v[6:7]
	scratch_load_b128 v[192:195], off, off offset:896
	s_waitcnt vmcnt(0)
	v_add_f64 v[192:193], v[192:193], -v[4:5]
	v_add_f64 v[194:195], v[194:195], -v[6:7]
	scratch_store_b128 off, v[192:195], off offset:896
	ds_load_2addr_b64 v[192:195], v244 offset0:114 offset1:115
	s_waitcnt lgkmcnt(0)
	v_mul_f64 v[4:5], v[194:195], v[198:199]
	v_mul_f64 v[6:7], v[192:193], v[198:199]
	s_delay_alu instid0(VALU_DEP_2) | instskip(NEXT) | instid1(VALU_DEP_2)
	v_fma_f64 v[4:5], v[192:193], v[0:1], -v[4:5]
	v_fma_f64 v[6:7], v[194:195], v[0:1], v[6:7]
	scratch_load_b128 v[192:195], off, off offset:912
	s_waitcnt vmcnt(0)
	v_add_f64 v[192:193], v[192:193], -v[4:5]
	v_add_f64 v[194:195], v[194:195], -v[6:7]
	scratch_store_b128 off, v[192:195], off offset:912
	ds_load_2addr_b64 v[192:195], v244 offset0:116 offset1:117
	s_waitcnt lgkmcnt(0)
	v_mul_f64 v[4:5], v[194:195], v[198:199]
	v_mul_f64 v[6:7], v[192:193], v[198:199]
	s_delay_alu instid0(VALU_DEP_2) | instskip(NEXT) | instid1(VALU_DEP_2)
	v_fma_f64 v[4:5], v[192:193], v[0:1], -v[4:5]
	v_fma_f64 v[6:7], v[194:195], v[0:1], v[6:7]
	scratch_load_b128 v[192:195], off, off offset:928
	s_waitcnt vmcnt(0)
	v_add_f64 v[192:193], v[192:193], -v[4:5]
	v_add_f64 v[194:195], v[194:195], -v[6:7]
	scratch_store_b128 off, v[192:195], off offset:928
	ds_load_2addr_b64 v[192:195], v244 offset0:118 offset1:119
	s_waitcnt lgkmcnt(0)
	v_mul_f64 v[4:5], v[194:195], v[198:199]
	v_mul_f64 v[6:7], v[192:193], v[198:199]
	s_delay_alu instid0(VALU_DEP_2) | instskip(NEXT) | instid1(VALU_DEP_2)
	v_fma_f64 v[4:5], v[192:193], v[0:1], -v[4:5]
	v_fma_f64 v[0:1], v[194:195], v[0:1], v[6:7]
	scratch_load_b128 v[192:195], off, off offset:944
	s_waitcnt vmcnt(0)
	v_add_f64 v[194:195], v[194:195], -v[0:1]
	scratch_load_b64 v[0:1], off, off offset:760
	v_add_f64 v[192:193], v[192:193], -v[4:5]
	scratch_store_b128 off, v[192:195], off offset:944
	ds_load_2addr_b64 v[192:195], v244 offset0:120 offset1:121
	s_waitcnt vmcnt(0) lgkmcnt(0)
	v_mul_f64 v[4:5], v[194:195], v[0:1]
	v_mul_f64 v[0:1], v[192:193], v[0:1]
	s_delay_alu instid0(VALU_DEP_2) | instskip(NEXT) | instid1(VALU_DEP_2)
	v_fma_f64 v[4:5], v[192:193], v[196:197], -v[4:5]
	v_fma_f64 v[0:1], v[194:195], v[196:197], v[0:1]
	scratch_load_b128 v[192:195], off, off offset:960
	s_waitcnt vmcnt(0)
	v_add_f64 v[192:193], v[192:193], -v[4:5]
	v_add_f64 v[194:195], v[194:195], -v[0:1]
	scratch_store_b128 off, v[192:195], off offset:960
.LBB121_556:
	s_or_b32 exec_lo, exec_lo, s3
	s_delay_alu instid0(SALU_CYCLE_1)
	s_mov_b32 s4, exec_lo
	s_waitcnt lgkmcnt(0)
	s_waitcnt_vscnt null, 0x0
	s_barrier
	buffer_gl0_inv
	v_cmpx_eq_u32_e32 48, v254
	s_cbranch_execz .LBB121_563
; %bb.557:
	scratch_load_b32 v0, off, off offset:988 ; 4-byte Folded Reload
	s_waitcnt vmcnt(0)
	scratch_load_b128 v[192:195], v0, off
	scratch_load_b32 v0, off, off offset:984 ; 4-byte Folded Reload
	s_waitcnt vmcnt(1)
	ds_store_2addr_b64 v251, v[192:193], v[194:195] offset1:1
	s_waitcnt vmcnt(0)
	scratch_load_b128 v[192:195], v0, off
	scratch_load_b32 v0, off, off offset:980 ; 4-byte Folded Reload
	s_waitcnt vmcnt(1)
	ds_store_2addr_b64 v244, v[192:193], v[194:195] offset0:98 offset1:99
	s_waitcnt vmcnt(0)
	scratch_load_b128 v[192:195], v0, off
	scratch_load_b32 v0, off, off offset:976 ; 4-byte Folded Reload
	s_waitcnt vmcnt(1)
	ds_store_2addr_b64 v244, v[192:193], v[194:195] offset0:100 offset1:101
	s_waitcnt vmcnt(0)
	scratch_load_b128 v[192:195], v0, off
	s_waitcnt vmcnt(0)
	ds_store_2addr_b64 v244, v[192:193], v[194:195] offset0:102 offset1:103
	scratch_load_b128 v[192:195], v245, off
	s_waitcnt vmcnt(0)
	ds_store_2addr_b64 v244, v[192:193], v[194:195] offset0:104 offset1:105
	;; [unrolled: 3-line block ×10, first 2 shown]
	ds_load_2addr_b64 v[192:195], v251 offset1:1
	s_waitcnt lgkmcnt(0)
	v_cmp_neq_f64_e32 vcc_lo, 0, v[192:193]
	v_cmp_neq_f64_e64 s3, 0, v[194:195]
	s_delay_alu instid0(VALU_DEP_1) | instskip(NEXT) | instid1(SALU_CYCLE_1)
	s_or_b32 s3, vcc_lo, s3
	s_and_b32 exec_lo, exec_lo, s3
	s_cbranch_execz .LBB121_563
; %bb.558:
	v_cmp_gt_f64_e32 vcc_lo, 0, v[192:193]
	v_xor_b32_e32 v0, 0x80000000, v193
	v_xor_b32_e32 v4, 0x80000000, v195
	s_delay_alu instid0(VALU_DEP_2) | instskip(SKIP_2) | instid1(VALU_DEP_4)
	v_cndmask_b32_e32 v1, v193, v0, vcc_lo
	v_cndmask_b32_e32 v0, v192, v192, vcc_lo
	v_cmp_gt_f64_e32 vcc_lo, 0, v[194:195]
	v_dual_cndmask_b32 v5, v195, v4 :: v_dual_cndmask_b32 v4, v194, v194
	s_delay_alu instid0(VALU_DEP_1) | instskip(SKIP_1) | instid1(SALU_CYCLE_1)
	v_cmp_ngt_f64_e32 vcc_lo, v[0:1], v[4:5]
                                        ; implicit-def: $vgpr0_vgpr1
	s_and_saveexec_b32 s3, vcc_lo
	s_xor_b32 s3, exec_lo, s3
                                        ; implicit-def: $vgpr196_vgpr197_vgpr198_vgpr199
	s_cbranch_execz .LBB121_560
; %bb.559:
	v_div_scale_f64 v[0:1], null, v[194:195], v[194:195], v[192:193]
	v_div_scale_f64 v[196:197], vcc_lo, v[192:193], v[194:195], v[192:193]
	s_delay_alu instid0(VALU_DEP_2) | instskip(SKIP_2) | instid1(VALU_DEP_1)
	v_rcp_f64_e32 v[4:5], v[0:1]
	s_waitcnt_depctr 0xfff
	v_fma_f64 v[6:7], -v[0:1], v[4:5], 1.0
	v_fma_f64 v[4:5], v[4:5], v[6:7], v[4:5]
	s_delay_alu instid0(VALU_DEP_1) | instskip(NEXT) | instid1(VALU_DEP_1)
	v_fma_f64 v[6:7], -v[0:1], v[4:5], 1.0
	v_fma_f64 v[4:5], v[4:5], v[6:7], v[4:5]
	s_delay_alu instid0(VALU_DEP_1) | instskip(NEXT) | instid1(VALU_DEP_1)
	v_mul_f64 v[6:7], v[196:197], v[4:5]
	v_fma_f64 v[0:1], -v[0:1], v[6:7], v[196:197]
	s_delay_alu instid0(VALU_DEP_1) | instskip(NEXT) | instid1(VALU_DEP_1)
	v_div_fmas_f64 v[0:1], v[0:1], v[4:5], v[6:7]
	v_div_fixup_f64 v[0:1], v[0:1], v[194:195], v[192:193]
	s_delay_alu instid0(VALU_DEP_1) | instskip(NEXT) | instid1(VALU_DEP_1)
	v_fma_f64 v[4:5], v[192:193], v[0:1], v[194:195]
	v_div_scale_f64 v[6:7], null, v[4:5], v[4:5], 1.0
	s_delay_alu instid0(VALU_DEP_1) | instskip(SKIP_2) | instid1(VALU_DEP_1)
	v_rcp_f64_e32 v[192:193], v[6:7]
	s_waitcnt_depctr 0xfff
	v_fma_f64 v[194:195], -v[6:7], v[192:193], 1.0
	v_fma_f64 v[192:193], v[192:193], v[194:195], v[192:193]
	s_delay_alu instid0(VALU_DEP_1) | instskip(NEXT) | instid1(VALU_DEP_1)
	v_fma_f64 v[194:195], -v[6:7], v[192:193], 1.0
	v_fma_f64 v[192:193], v[192:193], v[194:195], v[192:193]
	v_div_scale_f64 v[194:195], vcc_lo, 1.0, v[4:5], 1.0
	s_delay_alu instid0(VALU_DEP_1) | instskip(NEXT) | instid1(VALU_DEP_1)
	v_mul_f64 v[196:197], v[194:195], v[192:193]
	v_fma_f64 v[6:7], -v[6:7], v[196:197], v[194:195]
	s_delay_alu instid0(VALU_DEP_1) | instskip(NEXT) | instid1(VALU_DEP_1)
	v_div_fmas_f64 v[6:7], v[6:7], v[192:193], v[196:197]
                                        ; implicit-def: $vgpr192_vgpr193
	v_div_fixup_f64 v[198:199], v[6:7], v[4:5], 1.0
	s_delay_alu instid0(VALU_DEP_1)
	v_mul_f64 v[0:1], v[0:1], v[198:199]
	v_xor_b32_e32 v199, 0x80000000, v199
.LBB121_560:
	s_and_not1_saveexec_b32 s3, s3
	s_cbranch_execz .LBB121_562
; %bb.561:
	v_div_scale_f64 v[0:1], null, v[192:193], v[192:193], v[194:195]
	v_div_scale_f64 v[196:197], vcc_lo, v[194:195], v[192:193], v[194:195]
	s_delay_alu instid0(VALU_DEP_2) | instskip(SKIP_2) | instid1(VALU_DEP_1)
	v_rcp_f64_e32 v[4:5], v[0:1]
	s_waitcnt_depctr 0xfff
	v_fma_f64 v[6:7], -v[0:1], v[4:5], 1.0
	v_fma_f64 v[4:5], v[4:5], v[6:7], v[4:5]
	s_delay_alu instid0(VALU_DEP_1) | instskip(NEXT) | instid1(VALU_DEP_1)
	v_fma_f64 v[6:7], -v[0:1], v[4:5], 1.0
	v_fma_f64 v[4:5], v[4:5], v[6:7], v[4:5]
	s_delay_alu instid0(VALU_DEP_1) | instskip(NEXT) | instid1(VALU_DEP_1)
	v_mul_f64 v[6:7], v[196:197], v[4:5]
	v_fma_f64 v[0:1], -v[0:1], v[6:7], v[196:197]
	s_delay_alu instid0(VALU_DEP_1) | instskip(NEXT) | instid1(VALU_DEP_1)
	v_div_fmas_f64 v[0:1], v[0:1], v[4:5], v[6:7]
	v_div_fixup_f64 v[4:5], v[0:1], v[192:193], v[194:195]
	s_delay_alu instid0(VALU_DEP_1) | instskip(NEXT) | instid1(VALU_DEP_1)
	v_fma_f64 v[0:1], v[194:195], v[4:5], v[192:193]
	v_div_scale_f64 v[6:7], null, v[0:1], v[0:1], 1.0
	s_delay_alu instid0(VALU_DEP_1) | instskip(SKIP_2) | instid1(VALU_DEP_1)
	v_rcp_f64_e32 v[192:193], v[6:7]
	s_waitcnt_depctr 0xfff
	v_fma_f64 v[194:195], -v[6:7], v[192:193], 1.0
	v_fma_f64 v[192:193], v[192:193], v[194:195], v[192:193]
	s_delay_alu instid0(VALU_DEP_1) | instskip(NEXT) | instid1(VALU_DEP_1)
	v_fma_f64 v[194:195], -v[6:7], v[192:193], 1.0
	v_fma_f64 v[192:193], v[192:193], v[194:195], v[192:193]
	v_div_scale_f64 v[194:195], vcc_lo, 1.0, v[0:1], 1.0
	s_delay_alu instid0(VALU_DEP_1) | instskip(NEXT) | instid1(VALU_DEP_1)
	v_mul_f64 v[196:197], v[194:195], v[192:193]
	v_fma_f64 v[6:7], -v[6:7], v[196:197], v[194:195]
	s_delay_alu instid0(VALU_DEP_1) | instskip(NEXT) | instid1(VALU_DEP_1)
	v_div_fmas_f64 v[6:7], v[6:7], v[192:193], v[196:197]
	v_div_fixup_f64 v[0:1], v[6:7], v[0:1], 1.0
	s_delay_alu instid0(VALU_DEP_1)
	v_mul_f64 v[198:199], v[4:5], -v[0:1]
.LBB121_562:
	s_or_b32 exec_lo, exec_lo, s3
	ds_store_2addr_b64 v251, v[0:1], v[198:199] offset1:1
.LBB121_563:
	s_or_b32 exec_lo, exec_lo, s4
	s_waitcnt lgkmcnt(0)
	s_barrier
	buffer_gl0_inv
	ds_load_2addr_b64 v[192:195], v251 offset1:1
	s_mov_b32 s3, exec_lo
	v_cmpx_lt_u32_e32 48, v254
	s_cbranch_execz .LBB121_565
; %bb.564:
	scratch_load_b128 v[196:199], off, off offset:768
	s_waitcnt vmcnt(0) lgkmcnt(0)
	v_mul_f64 v[0:1], v[194:195], v[198:199]
	s_delay_alu instid0(VALU_DEP_1) | instskip(SKIP_1) | instid1(VALU_DEP_1)
	v_fma_f64 v[200:201], v[192:193], v[196:197], -v[0:1]
	v_mul_f64 v[0:1], v[192:193], v[198:199]
	v_fma_f64 v[202:203], v[194:195], v[196:197], v[0:1]
	ds_load_2addr_b64 v[196:199], v244 offset0:98 offset1:99
	s_waitcnt lgkmcnt(0)
	v_mul_f64 v[0:1], v[198:199], v[202:203]
	v_mul_f64 v[4:5], v[196:197], v[202:203]
	s_delay_alu instid0(VALU_DEP_2) | instskip(NEXT) | instid1(VALU_DEP_2)
	v_fma_f64 v[0:1], v[196:197], v[200:201], -v[0:1]
	v_fma_f64 v[4:5], v[198:199], v[200:201], v[4:5]
	scratch_load_b128 v[196:199], off, off offset:784
	s_waitcnt vmcnt(0)
	v_add_f64 v[196:197], v[196:197], -v[0:1]
	v_add_f64 v[198:199], v[198:199], -v[4:5]
	s_clause 0x1
	scratch_store_b128 off, v[200:203], off offset:768
	scratch_store_b128 off, v[196:199], off offset:784
	ds_load_2addr_b64 v[196:199], v244 offset0:100 offset1:101
	s_waitcnt lgkmcnt(0)
	v_mul_f64 v[0:1], v[198:199], v[202:203]
	v_mul_f64 v[4:5], v[196:197], v[202:203]
	s_delay_alu instid0(VALU_DEP_2) | instskip(NEXT) | instid1(VALU_DEP_2)
	v_fma_f64 v[0:1], v[196:197], v[200:201], -v[0:1]
	v_fma_f64 v[4:5], v[198:199], v[200:201], v[4:5]
	scratch_load_b128 v[196:199], off, off offset:800
	s_waitcnt vmcnt(0)
	v_add_f64 v[196:197], v[196:197], -v[0:1]
	v_add_f64 v[198:199], v[198:199], -v[4:5]
	scratch_store_b128 off, v[196:199], off offset:800
	ds_load_2addr_b64 v[196:199], v244 offset0:102 offset1:103
	s_waitcnt lgkmcnt(0)
	v_mul_f64 v[0:1], v[198:199], v[202:203]
	v_mul_f64 v[4:5], v[196:197], v[202:203]
	s_delay_alu instid0(VALU_DEP_2) | instskip(NEXT) | instid1(VALU_DEP_2)
	v_fma_f64 v[0:1], v[196:197], v[200:201], -v[0:1]
	v_fma_f64 v[4:5], v[198:199], v[200:201], v[4:5]
	scratch_load_b128 v[196:199], off, off offset:816
	s_waitcnt vmcnt(0)
	v_add_f64 v[196:197], v[196:197], -v[0:1]
	v_add_f64 v[198:199], v[198:199], -v[4:5]
	;; [unrolled: 12-line block ×4, first 2 shown]
	scratch_store_b128 off, v[196:199], off offset:848
	ds_load_2addr_b64 v[196:199], v244 offset0:108 offset1:109
	s_waitcnt lgkmcnt(0)
	v_mul_f64 v[0:1], v[198:199], v[202:203]
	v_mul_f64 v[4:5], v[196:197], v[202:203]
	s_delay_alu instid0(VALU_DEP_2) | instskip(NEXT) | instid1(VALU_DEP_2)
	v_fma_f64 v[0:1], v[196:197], v[200:201], -v[0:1]
	v_fma_f64 v[4:5], v[198:199], v[200:201], v[4:5]
	s_clause 0x1
	scratch_load_b128 v[196:199], off, off offset:864
	scratch_load_b128 v[200:203], off, off offset:768
	s_waitcnt vmcnt(1)
	v_add_f64 v[196:197], v[196:197], -v[0:1]
	v_add_f64 v[198:199], v[198:199], -v[4:5]
	scratch_store_b128 off, v[196:199], off offset:864
	ds_load_2addr_b64 v[196:199], v244 offset0:110 offset1:111
	s_waitcnt vmcnt(0) lgkmcnt(0)
	v_mul_f64 v[0:1], v[198:199], v[202:203]
	v_mul_f64 v[4:5], v[196:197], v[202:203]
	s_delay_alu instid0(VALU_DEP_2) | instskip(NEXT) | instid1(VALU_DEP_2)
	v_fma_f64 v[0:1], v[196:197], v[200:201], -v[0:1]
	v_fma_f64 v[4:5], v[198:199], v[200:201], v[4:5]
	scratch_load_b128 v[196:199], off, off offset:880
	s_waitcnt vmcnt(0)
	v_add_f64 v[196:197], v[196:197], -v[0:1]
	v_add_f64 v[198:199], v[198:199], -v[4:5]
	scratch_store_b128 off, v[196:199], off offset:880
	ds_load_2addr_b64 v[196:199], v244 offset0:112 offset1:113
	s_waitcnt lgkmcnt(0)
	v_mul_f64 v[0:1], v[198:199], v[202:203]
	v_mul_f64 v[4:5], v[196:197], v[202:203]
	s_delay_alu instid0(VALU_DEP_2) | instskip(NEXT) | instid1(VALU_DEP_2)
	v_fma_f64 v[0:1], v[196:197], v[200:201], -v[0:1]
	v_fma_f64 v[4:5], v[198:199], v[200:201], v[4:5]
	scratch_load_b128 v[196:199], off, off offset:896
	s_waitcnt vmcnt(0)
	v_add_f64 v[196:197], v[196:197], -v[0:1]
	v_add_f64 v[198:199], v[198:199], -v[4:5]
	scratch_store_b128 off, v[196:199], off offset:896
	ds_load_2addr_b64 v[196:199], v244 offset0:114 offset1:115
	s_waitcnt lgkmcnt(0)
	;; [unrolled: 12-line block ×5, first 2 shown]
	v_mul_f64 v[0:1], v[198:199], v[202:203]
	v_mul_f64 v[4:5], v[196:197], v[202:203]
	s_delay_alu instid0(VALU_DEP_2) | instskip(NEXT) | instid1(VALU_DEP_2)
	v_fma_f64 v[0:1], v[196:197], v[200:201], -v[0:1]
	v_fma_f64 v[4:5], v[198:199], v[200:201], v[4:5]
	scratch_load_b128 v[196:199], off, off offset:960
	s_waitcnt vmcnt(0)
	v_add_f64 v[196:197], v[196:197], -v[0:1]
	v_add_f64 v[198:199], v[198:199], -v[4:5]
	scratch_store_b128 off, v[196:199], off offset:960
.LBB121_565:
	s_or_b32 exec_lo, exec_lo, s3
	s_delay_alu instid0(SALU_CYCLE_1)
	s_mov_b32 s4, exec_lo
	s_waitcnt lgkmcnt(0)
	s_waitcnt_vscnt null, 0x0
	s_barrier
	buffer_gl0_inv
	v_cmpx_eq_u32_e32 49, v254
	s_cbranch_execz .LBB121_572
; %bb.566:
	scratch_load_b32 v0, off, off offset:984 ; 4-byte Folded Reload
	s_waitcnt vmcnt(0)
	scratch_load_b128 v[196:199], v0, off
	scratch_load_b32 v0, off, off offset:980 ; 4-byte Folded Reload
	s_waitcnt vmcnt(1)
	ds_store_2addr_b64 v251, v[196:197], v[198:199] offset1:1
	s_waitcnt vmcnt(0)
	scratch_load_b128 v[196:199], v0, off
	scratch_load_b32 v0, off, off offset:976 ; 4-byte Folded Reload
	s_waitcnt vmcnt(1)
	ds_store_2addr_b64 v244, v[196:197], v[198:199] offset0:100 offset1:101
	s_waitcnt vmcnt(0)
	scratch_load_b128 v[196:199], v0, off
	s_waitcnt vmcnt(0)
	ds_store_2addr_b64 v244, v[196:197], v[198:199] offset0:102 offset1:103
	scratch_load_b128 v[196:199], v245, off
	s_waitcnt vmcnt(0)
	ds_store_2addr_b64 v244, v[196:197], v[198:199] offset0:104 offset1:105
	;; [unrolled: 3-line block ×10, first 2 shown]
	ds_load_2addr_b64 v[196:199], v251 offset1:1
	s_waitcnt lgkmcnt(0)
	v_cmp_neq_f64_e32 vcc_lo, 0, v[196:197]
	v_cmp_neq_f64_e64 s3, 0, v[198:199]
	s_delay_alu instid0(VALU_DEP_1) | instskip(NEXT) | instid1(SALU_CYCLE_1)
	s_or_b32 s3, vcc_lo, s3
	s_and_b32 exec_lo, exec_lo, s3
	s_cbranch_execz .LBB121_572
; %bb.567:
	v_cmp_gt_f64_e32 vcc_lo, 0, v[196:197]
	v_xor_b32_e32 v0, 0x80000000, v197
	v_xor_b32_e32 v4, 0x80000000, v199
	s_delay_alu instid0(VALU_DEP_2) | instskip(SKIP_2) | instid1(VALU_DEP_4)
	v_cndmask_b32_e32 v1, v197, v0, vcc_lo
	v_cndmask_b32_e32 v0, v196, v196, vcc_lo
	v_cmp_gt_f64_e32 vcc_lo, 0, v[198:199]
	v_dual_cndmask_b32 v5, v199, v4 :: v_dual_cndmask_b32 v4, v198, v198
	s_delay_alu instid0(VALU_DEP_1) | instskip(SKIP_1) | instid1(SALU_CYCLE_1)
	v_cmp_ngt_f64_e32 vcc_lo, v[0:1], v[4:5]
                                        ; implicit-def: $vgpr0_vgpr1
	s_and_saveexec_b32 s3, vcc_lo
	s_xor_b32 s3, exec_lo, s3
                                        ; implicit-def: $vgpr200_vgpr201_vgpr202_vgpr203
	s_cbranch_execz .LBB121_569
; %bb.568:
	v_div_scale_f64 v[0:1], null, v[198:199], v[198:199], v[196:197]
	v_div_scale_f64 v[200:201], vcc_lo, v[196:197], v[198:199], v[196:197]
	s_delay_alu instid0(VALU_DEP_2) | instskip(SKIP_2) | instid1(VALU_DEP_1)
	v_rcp_f64_e32 v[4:5], v[0:1]
	s_waitcnt_depctr 0xfff
	v_fma_f64 v[6:7], -v[0:1], v[4:5], 1.0
	v_fma_f64 v[4:5], v[4:5], v[6:7], v[4:5]
	s_delay_alu instid0(VALU_DEP_1) | instskip(NEXT) | instid1(VALU_DEP_1)
	v_fma_f64 v[6:7], -v[0:1], v[4:5], 1.0
	v_fma_f64 v[4:5], v[4:5], v[6:7], v[4:5]
	s_delay_alu instid0(VALU_DEP_1) | instskip(NEXT) | instid1(VALU_DEP_1)
	v_mul_f64 v[6:7], v[200:201], v[4:5]
	v_fma_f64 v[0:1], -v[0:1], v[6:7], v[200:201]
	s_delay_alu instid0(VALU_DEP_1) | instskip(NEXT) | instid1(VALU_DEP_1)
	v_div_fmas_f64 v[0:1], v[0:1], v[4:5], v[6:7]
	v_div_fixup_f64 v[0:1], v[0:1], v[198:199], v[196:197]
	s_delay_alu instid0(VALU_DEP_1) | instskip(NEXT) | instid1(VALU_DEP_1)
	v_fma_f64 v[4:5], v[196:197], v[0:1], v[198:199]
	v_div_scale_f64 v[6:7], null, v[4:5], v[4:5], 1.0
	s_delay_alu instid0(VALU_DEP_1) | instskip(SKIP_2) | instid1(VALU_DEP_1)
	v_rcp_f64_e32 v[196:197], v[6:7]
	s_waitcnt_depctr 0xfff
	v_fma_f64 v[198:199], -v[6:7], v[196:197], 1.0
	v_fma_f64 v[196:197], v[196:197], v[198:199], v[196:197]
	s_delay_alu instid0(VALU_DEP_1) | instskip(NEXT) | instid1(VALU_DEP_1)
	v_fma_f64 v[198:199], -v[6:7], v[196:197], 1.0
	v_fma_f64 v[196:197], v[196:197], v[198:199], v[196:197]
	v_div_scale_f64 v[198:199], vcc_lo, 1.0, v[4:5], 1.0
	s_delay_alu instid0(VALU_DEP_1) | instskip(NEXT) | instid1(VALU_DEP_1)
	v_mul_f64 v[200:201], v[198:199], v[196:197]
	v_fma_f64 v[6:7], -v[6:7], v[200:201], v[198:199]
	s_delay_alu instid0(VALU_DEP_1) | instskip(NEXT) | instid1(VALU_DEP_1)
	v_div_fmas_f64 v[6:7], v[6:7], v[196:197], v[200:201]
                                        ; implicit-def: $vgpr196_vgpr197
	v_div_fixup_f64 v[202:203], v[6:7], v[4:5], 1.0
	s_delay_alu instid0(VALU_DEP_1)
	v_mul_f64 v[0:1], v[0:1], v[202:203]
	v_xor_b32_e32 v203, 0x80000000, v203
.LBB121_569:
	s_and_not1_saveexec_b32 s3, s3
	s_cbranch_execz .LBB121_571
; %bb.570:
	v_div_scale_f64 v[0:1], null, v[196:197], v[196:197], v[198:199]
	v_div_scale_f64 v[200:201], vcc_lo, v[198:199], v[196:197], v[198:199]
	s_delay_alu instid0(VALU_DEP_2) | instskip(SKIP_2) | instid1(VALU_DEP_1)
	v_rcp_f64_e32 v[4:5], v[0:1]
	s_waitcnt_depctr 0xfff
	v_fma_f64 v[6:7], -v[0:1], v[4:5], 1.0
	v_fma_f64 v[4:5], v[4:5], v[6:7], v[4:5]
	s_delay_alu instid0(VALU_DEP_1) | instskip(NEXT) | instid1(VALU_DEP_1)
	v_fma_f64 v[6:7], -v[0:1], v[4:5], 1.0
	v_fma_f64 v[4:5], v[4:5], v[6:7], v[4:5]
	s_delay_alu instid0(VALU_DEP_1) | instskip(NEXT) | instid1(VALU_DEP_1)
	v_mul_f64 v[6:7], v[200:201], v[4:5]
	v_fma_f64 v[0:1], -v[0:1], v[6:7], v[200:201]
	s_delay_alu instid0(VALU_DEP_1) | instskip(NEXT) | instid1(VALU_DEP_1)
	v_div_fmas_f64 v[0:1], v[0:1], v[4:5], v[6:7]
	v_div_fixup_f64 v[4:5], v[0:1], v[196:197], v[198:199]
	s_delay_alu instid0(VALU_DEP_1) | instskip(NEXT) | instid1(VALU_DEP_1)
	v_fma_f64 v[0:1], v[198:199], v[4:5], v[196:197]
	v_div_scale_f64 v[6:7], null, v[0:1], v[0:1], 1.0
	s_delay_alu instid0(VALU_DEP_1) | instskip(SKIP_2) | instid1(VALU_DEP_1)
	v_rcp_f64_e32 v[196:197], v[6:7]
	s_waitcnt_depctr 0xfff
	v_fma_f64 v[198:199], -v[6:7], v[196:197], 1.0
	v_fma_f64 v[196:197], v[196:197], v[198:199], v[196:197]
	s_delay_alu instid0(VALU_DEP_1) | instskip(NEXT) | instid1(VALU_DEP_1)
	v_fma_f64 v[198:199], -v[6:7], v[196:197], 1.0
	v_fma_f64 v[196:197], v[196:197], v[198:199], v[196:197]
	v_div_scale_f64 v[198:199], vcc_lo, 1.0, v[0:1], 1.0
	s_delay_alu instid0(VALU_DEP_1) | instskip(NEXT) | instid1(VALU_DEP_1)
	v_mul_f64 v[200:201], v[198:199], v[196:197]
	v_fma_f64 v[6:7], -v[6:7], v[200:201], v[198:199]
	s_delay_alu instid0(VALU_DEP_1) | instskip(NEXT) | instid1(VALU_DEP_1)
	v_div_fmas_f64 v[6:7], v[6:7], v[196:197], v[200:201]
	v_div_fixup_f64 v[0:1], v[6:7], v[0:1], 1.0
	s_delay_alu instid0(VALU_DEP_1)
	v_mul_f64 v[202:203], v[4:5], -v[0:1]
.LBB121_571:
	s_or_b32 exec_lo, exec_lo, s3
	ds_store_2addr_b64 v251, v[0:1], v[202:203] offset1:1
.LBB121_572:
	s_or_b32 exec_lo, exec_lo, s4
	s_waitcnt lgkmcnt(0)
	s_barrier
	buffer_gl0_inv
	ds_load_2addr_b64 v[196:199], v251 offset1:1
	s_mov_b32 s3, exec_lo
	v_cmpx_lt_u32_e32 49, v254
	s_cbranch_execz .LBB121_574
; %bb.573:
	scratch_load_b128 v[200:203], off, off offset:784
	s_waitcnt vmcnt(0) lgkmcnt(0)
	v_mul_f64 v[0:1], v[198:199], v[202:203]
	s_delay_alu instid0(VALU_DEP_1) | instskip(SKIP_1) | instid1(VALU_DEP_1)
	v_fma_f64 v[204:205], v[196:197], v[200:201], -v[0:1]
	v_mul_f64 v[0:1], v[196:197], v[202:203]
	v_fma_f64 v[206:207], v[198:199], v[200:201], v[0:1]
	ds_load_2addr_b64 v[200:203], v244 offset0:100 offset1:101
	s_waitcnt lgkmcnt(0)
	v_mul_f64 v[0:1], v[202:203], v[206:207]
	v_mul_f64 v[4:5], v[200:201], v[206:207]
	s_delay_alu instid0(VALU_DEP_2) | instskip(NEXT) | instid1(VALU_DEP_2)
	v_fma_f64 v[0:1], v[200:201], v[204:205], -v[0:1]
	v_fma_f64 v[4:5], v[202:203], v[204:205], v[4:5]
	scratch_load_b128 v[200:203], off, off offset:800
	s_waitcnt vmcnt(0)
	v_add_f64 v[200:201], v[200:201], -v[0:1]
	v_add_f64 v[202:203], v[202:203], -v[4:5]
	s_clause 0x1
	scratch_store_b128 off, v[204:207], off offset:784
	scratch_store_b128 off, v[200:203], off offset:800
	ds_load_2addr_b64 v[200:203], v244 offset0:102 offset1:103
	s_waitcnt lgkmcnt(0)
	v_mul_f64 v[0:1], v[202:203], v[206:207]
	v_mul_f64 v[4:5], v[200:201], v[206:207]
	s_delay_alu instid0(VALU_DEP_2) | instskip(NEXT) | instid1(VALU_DEP_2)
	v_fma_f64 v[0:1], v[200:201], v[204:205], -v[0:1]
	v_fma_f64 v[4:5], v[202:203], v[204:205], v[4:5]
	scratch_load_b128 v[200:203], off, off offset:816
	s_waitcnt vmcnt(0)
	v_add_f64 v[200:201], v[200:201], -v[0:1]
	v_add_f64 v[202:203], v[202:203], -v[4:5]
	scratch_store_b128 off, v[200:203], off offset:816
	ds_load_2addr_b64 v[200:203], v244 offset0:104 offset1:105
	s_waitcnt lgkmcnt(0)
	v_mul_f64 v[0:1], v[202:203], v[206:207]
	v_mul_f64 v[4:5], v[200:201], v[206:207]
	s_delay_alu instid0(VALU_DEP_2) | instskip(NEXT) | instid1(VALU_DEP_2)
	v_fma_f64 v[0:1], v[200:201], v[204:205], -v[0:1]
	v_fma_f64 v[4:5], v[202:203], v[204:205], v[4:5]
	scratch_load_b128 v[200:203], off, off offset:832
	s_waitcnt vmcnt(0)
	v_add_f64 v[200:201], v[200:201], -v[0:1]
	v_add_f64 v[202:203], v[202:203], -v[4:5]
	;; [unrolled: 12-line block ×4, first 2 shown]
	scratch_store_b128 off, v[200:203], off offset:864
	ds_load_2addr_b64 v[200:203], v244 offset0:110 offset1:111
	s_waitcnt lgkmcnt(0)
	v_mul_f64 v[0:1], v[202:203], v[206:207]
	v_mul_f64 v[4:5], v[200:201], v[206:207]
	s_delay_alu instid0(VALU_DEP_2) | instskip(NEXT) | instid1(VALU_DEP_2)
	v_fma_f64 v[0:1], v[200:201], v[204:205], -v[0:1]
	v_fma_f64 v[4:5], v[202:203], v[204:205], v[4:5]
	s_clause 0x1
	scratch_load_b128 v[200:203], off, off offset:880
	scratch_load_b128 v[204:207], off, off offset:784
	s_waitcnt vmcnt(1)
	v_add_f64 v[200:201], v[200:201], -v[0:1]
	v_add_f64 v[202:203], v[202:203], -v[4:5]
	scratch_store_b128 off, v[200:203], off offset:880
	ds_load_2addr_b64 v[200:203], v244 offset0:112 offset1:113
	s_waitcnt vmcnt(0) lgkmcnt(0)
	v_mul_f64 v[0:1], v[202:203], v[206:207]
	v_mul_f64 v[4:5], v[200:201], v[206:207]
	s_delay_alu instid0(VALU_DEP_2) | instskip(NEXT) | instid1(VALU_DEP_2)
	v_fma_f64 v[0:1], v[200:201], v[204:205], -v[0:1]
	v_fma_f64 v[4:5], v[202:203], v[204:205], v[4:5]
	scratch_load_b128 v[200:203], off, off offset:896
	s_waitcnt vmcnt(0)
	v_add_f64 v[200:201], v[200:201], -v[0:1]
	v_add_f64 v[202:203], v[202:203], -v[4:5]
	scratch_store_b128 off, v[200:203], off offset:896
	ds_load_2addr_b64 v[200:203], v244 offset0:114 offset1:115
	s_waitcnt lgkmcnt(0)
	v_mul_f64 v[0:1], v[202:203], v[206:207]
	v_mul_f64 v[4:5], v[200:201], v[206:207]
	s_delay_alu instid0(VALU_DEP_2) | instskip(NEXT) | instid1(VALU_DEP_2)
	v_fma_f64 v[0:1], v[200:201], v[204:205], -v[0:1]
	v_fma_f64 v[4:5], v[202:203], v[204:205], v[4:5]
	scratch_load_b128 v[200:203], off, off offset:912
	s_waitcnt vmcnt(0)
	v_add_f64 v[200:201], v[200:201], -v[0:1]
	v_add_f64 v[202:203], v[202:203], -v[4:5]
	scratch_store_b128 off, v[200:203], off offset:912
	ds_load_2addr_b64 v[200:203], v244 offset0:116 offset1:117
	s_waitcnt lgkmcnt(0)
	v_mul_f64 v[0:1], v[202:203], v[206:207]
	v_mul_f64 v[4:5], v[200:201], v[206:207]
	s_delay_alu instid0(VALU_DEP_2) | instskip(NEXT) | instid1(VALU_DEP_2)
	v_fma_f64 v[0:1], v[200:201], v[204:205], -v[0:1]
	v_fma_f64 v[4:5], v[202:203], v[204:205], v[4:5]
	scratch_load_b128 v[200:203], off, off offset:928
	s_waitcnt vmcnt(0)
	v_add_f64 v[200:201], v[200:201], -v[0:1]
	v_add_f64 v[202:203], v[202:203], -v[4:5]
	scratch_store_b128 off, v[200:203], off offset:928
	ds_load_2addr_b64 v[200:203], v244 offset0:118 offset1:119
	s_waitcnt lgkmcnt(0)
	v_mul_f64 v[0:1], v[202:203], v[206:207]
	v_mul_f64 v[4:5], v[200:201], v[206:207]
	s_delay_alu instid0(VALU_DEP_2) | instskip(NEXT) | instid1(VALU_DEP_2)
	v_fma_f64 v[0:1], v[200:201], v[204:205], -v[0:1]
	v_fma_f64 v[4:5], v[202:203], v[204:205], v[4:5]
	scratch_load_b128 v[200:203], off, off offset:944
	s_waitcnt vmcnt(0)
	v_add_f64 v[200:201], v[200:201], -v[0:1]
	v_add_f64 v[202:203], v[202:203], -v[4:5]
	scratch_store_b128 off, v[200:203], off offset:944
	ds_load_2addr_b64 v[200:203], v244 offset0:120 offset1:121
	s_waitcnt lgkmcnt(0)
	v_mul_f64 v[0:1], v[202:203], v[206:207]
	v_mul_f64 v[4:5], v[200:201], v[206:207]
	s_delay_alu instid0(VALU_DEP_2) | instskip(NEXT) | instid1(VALU_DEP_2)
	v_fma_f64 v[0:1], v[200:201], v[204:205], -v[0:1]
	v_fma_f64 v[4:5], v[202:203], v[204:205], v[4:5]
	scratch_load_b128 v[200:203], off, off offset:960
	s_waitcnt vmcnt(0)
	v_add_f64 v[200:201], v[200:201], -v[0:1]
	v_add_f64 v[202:203], v[202:203], -v[4:5]
	scratch_store_b128 off, v[200:203], off offset:960
.LBB121_574:
	s_or_b32 exec_lo, exec_lo, s3
	s_delay_alu instid0(SALU_CYCLE_1)
	s_mov_b32 s4, exec_lo
	s_waitcnt lgkmcnt(0)
	s_waitcnt_vscnt null, 0x0
	s_barrier
	buffer_gl0_inv
	v_cmpx_eq_u32_e32 50, v254
	s_cbranch_execz .LBB121_581
; %bb.575:
	scratch_load_b32 v0, off, off offset:980 ; 4-byte Folded Reload
	s_waitcnt vmcnt(0)
	scratch_load_b128 v[200:203], v0, off
	scratch_load_b32 v0, off, off offset:976 ; 4-byte Folded Reload
	s_waitcnt vmcnt(1)
	ds_store_2addr_b64 v251, v[200:201], v[202:203] offset1:1
	s_waitcnt vmcnt(0)
	scratch_load_b128 v[200:203], v0, off
	s_waitcnt vmcnt(0)
	ds_store_2addr_b64 v244, v[200:201], v[202:203] offset0:102 offset1:103
	scratch_load_b128 v[200:203], v245, off
	s_waitcnt vmcnt(0)
	ds_store_2addr_b64 v244, v[200:201], v[202:203] offset0:104 offset1:105
	;; [unrolled: 3-line block ×10, first 2 shown]
	ds_load_2addr_b64 v[200:203], v251 offset1:1
	s_waitcnt lgkmcnt(0)
	v_cmp_neq_f64_e32 vcc_lo, 0, v[200:201]
	v_cmp_neq_f64_e64 s3, 0, v[202:203]
	s_delay_alu instid0(VALU_DEP_1) | instskip(NEXT) | instid1(SALU_CYCLE_1)
	s_or_b32 s3, vcc_lo, s3
	s_and_b32 exec_lo, exec_lo, s3
	s_cbranch_execz .LBB121_581
; %bb.576:
	v_cmp_gt_f64_e32 vcc_lo, 0, v[200:201]
	v_xor_b32_e32 v0, 0x80000000, v201
	v_xor_b32_e32 v4, 0x80000000, v203
	s_delay_alu instid0(VALU_DEP_2) | instskip(SKIP_2) | instid1(VALU_DEP_4)
	v_cndmask_b32_e32 v1, v201, v0, vcc_lo
	v_cndmask_b32_e32 v0, v200, v200, vcc_lo
	v_cmp_gt_f64_e32 vcc_lo, 0, v[202:203]
	v_dual_cndmask_b32 v5, v203, v4 :: v_dual_cndmask_b32 v4, v202, v202
	s_delay_alu instid0(VALU_DEP_1) | instskip(SKIP_1) | instid1(SALU_CYCLE_1)
	v_cmp_ngt_f64_e32 vcc_lo, v[0:1], v[4:5]
                                        ; implicit-def: $vgpr0_vgpr1
	s_and_saveexec_b32 s3, vcc_lo
	s_xor_b32 s3, exec_lo, s3
                                        ; implicit-def: $vgpr204_vgpr205_vgpr206_vgpr207
	s_cbranch_execz .LBB121_578
; %bb.577:
	v_div_scale_f64 v[0:1], null, v[202:203], v[202:203], v[200:201]
	v_div_scale_f64 v[204:205], vcc_lo, v[200:201], v[202:203], v[200:201]
	s_delay_alu instid0(VALU_DEP_2) | instskip(SKIP_2) | instid1(VALU_DEP_1)
	v_rcp_f64_e32 v[4:5], v[0:1]
	s_waitcnt_depctr 0xfff
	v_fma_f64 v[6:7], -v[0:1], v[4:5], 1.0
	v_fma_f64 v[4:5], v[4:5], v[6:7], v[4:5]
	s_delay_alu instid0(VALU_DEP_1) | instskip(NEXT) | instid1(VALU_DEP_1)
	v_fma_f64 v[6:7], -v[0:1], v[4:5], 1.0
	v_fma_f64 v[4:5], v[4:5], v[6:7], v[4:5]
	s_delay_alu instid0(VALU_DEP_1) | instskip(NEXT) | instid1(VALU_DEP_1)
	v_mul_f64 v[6:7], v[204:205], v[4:5]
	v_fma_f64 v[0:1], -v[0:1], v[6:7], v[204:205]
	s_delay_alu instid0(VALU_DEP_1) | instskip(NEXT) | instid1(VALU_DEP_1)
	v_div_fmas_f64 v[0:1], v[0:1], v[4:5], v[6:7]
	v_div_fixup_f64 v[0:1], v[0:1], v[202:203], v[200:201]
	s_delay_alu instid0(VALU_DEP_1) | instskip(NEXT) | instid1(VALU_DEP_1)
	v_fma_f64 v[4:5], v[200:201], v[0:1], v[202:203]
	v_div_scale_f64 v[6:7], null, v[4:5], v[4:5], 1.0
	s_delay_alu instid0(VALU_DEP_1) | instskip(SKIP_2) | instid1(VALU_DEP_1)
	v_rcp_f64_e32 v[200:201], v[6:7]
	s_waitcnt_depctr 0xfff
	v_fma_f64 v[202:203], -v[6:7], v[200:201], 1.0
	v_fma_f64 v[200:201], v[200:201], v[202:203], v[200:201]
	s_delay_alu instid0(VALU_DEP_1) | instskip(NEXT) | instid1(VALU_DEP_1)
	v_fma_f64 v[202:203], -v[6:7], v[200:201], 1.0
	v_fma_f64 v[200:201], v[200:201], v[202:203], v[200:201]
	v_div_scale_f64 v[202:203], vcc_lo, 1.0, v[4:5], 1.0
	s_delay_alu instid0(VALU_DEP_1) | instskip(NEXT) | instid1(VALU_DEP_1)
	v_mul_f64 v[204:205], v[202:203], v[200:201]
	v_fma_f64 v[6:7], -v[6:7], v[204:205], v[202:203]
	s_delay_alu instid0(VALU_DEP_1) | instskip(NEXT) | instid1(VALU_DEP_1)
	v_div_fmas_f64 v[6:7], v[6:7], v[200:201], v[204:205]
                                        ; implicit-def: $vgpr200_vgpr201
	v_div_fixup_f64 v[206:207], v[6:7], v[4:5], 1.0
	s_delay_alu instid0(VALU_DEP_1)
	v_mul_f64 v[0:1], v[0:1], v[206:207]
	v_xor_b32_e32 v207, 0x80000000, v207
.LBB121_578:
	s_and_not1_saveexec_b32 s3, s3
	s_cbranch_execz .LBB121_580
; %bb.579:
	v_div_scale_f64 v[0:1], null, v[200:201], v[200:201], v[202:203]
	v_div_scale_f64 v[204:205], vcc_lo, v[202:203], v[200:201], v[202:203]
	s_delay_alu instid0(VALU_DEP_2) | instskip(SKIP_2) | instid1(VALU_DEP_1)
	v_rcp_f64_e32 v[4:5], v[0:1]
	s_waitcnt_depctr 0xfff
	v_fma_f64 v[6:7], -v[0:1], v[4:5], 1.0
	v_fma_f64 v[4:5], v[4:5], v[6:7], v[4:5]
	s_delay_alu instid0(VALU_DEP_1) | instskip(NEXT) | instid1(VALU_DEP_1)
	v_fma_f64 v[6:7], -v[0:1], v[4:5], 1.0
	v_fma_f64 v[4:5], v[4:5], v[6:7], v[4:5]
	s_delay_alu instid0(VALU_DEP_1) | instskip(NEXT) | instid1(VALU_DEP_1)
	v_mul_f64 v[6:7], v[204:205], v[4:5]
	v_fma_f64 v[0:1], -v[0:1], v[6:7], v[204:205]
	s_delay_alu instid0(VALU_DEP_1) | instskip(NEXT) | instid1(VALU_DEP_1)
	v_div_fmas_f64 v[0:1], v[0:1], v[4:5], v[6:7]
	v_div_fixup_f64 v[4:5], v[0:1], v[200:201], v[202:203]
	s_delay_alu instid0(VALU_DEP_1) | instskip(NEXT) | instid1(VALU_DEP_1)
	v_fma_f64 v[0:1], v[202:203], v[4:5], v[200:201]
	v_div_scale_f64 v[6:7], null, v[0:1], v[0:1], 1.0
	s_delay_alu instid0(VALU_DEP_1) | instskip(SKIP_2) | instid1(VALU_DEP_1)
	v_rcp_f64_e32 v[200:201], v[6:7]
	s_waitcnt_depctr 0xfff
	v_fma_f64 v[202:203], -v[6:7], v[200:201], 1.0
	v_fma_f64 v[200:201], v[200:201], v[202:203], v[200:201]
	s_delay_alu instid0(VALU_DEP_1) | instskip(NEXT) | instid1(VALU_DEP_1)
	v_fma_f64 v[202:203], -v[6:7], v[200:201], 1.0
	v_fma_f64 v[200:201], v[200:201], v[202:203], v[200:201]
	v_div_scale_f64 v[202:203], vcc_lo, 1.0, v[0:1], 1.0
	s_delay_alu instid0(VALU_DEP_1) | instskip(NEXT) | instid1(VALU_DEP_1)
	v_mul_f64 v[204:205], v[202:203], v[200:201]
	v_fma_f64 v[6:7], -v[6:7], v[204:205], v[202:203]
	s_delay_alu instid0(VALU_DEP_1) | instskip(NEXT) | instid1(VALU_DEP_1)
	v_div_fmas_f64 v[6:7], v[6:7], v[200:201], v[204:205]
	v_div_fixup_f64 v[0:1], v[6:7], v[0:1], 1.0
	s_delay_alu instid0(VALU_DEP_1)
	v_mul_f64 v[206:207], v[4:5], -v[0:1]
.LBB121_580:
	s_or_b32 exec_lo, exec_lo, s3
	ds_store_2addr_b64 v251, v[0:1], v[206:207] offset1:1
.LBB121_581:
	s_or_b32 exec_lo, exec_lo, s4
	s_waitcnt lgkmcnt(0)
	s_barrier
	buffer_gl0_inv
	ds_load_2addr_b64 v[200:203], v251 offset1:1
	s_mov_b32 s3, exec_lo
	v_cmpx_lt_u32_e32 50, v254
	s_cbranch_execz .LBB121_583
; %bb.582:
	scratch_load_b128 v[204:207], off, off offset:800
	s_waitcnt vmcnt(0) lgkmcnt(0)
	v_mul_f64 v[0:1], v[202:203], v[206:207]
	s_delay_alu instid0(VALU_DEP_1) | instskip(SKIP_1) | instid1(VALU_DEP_1)
	v_fma_f64 v[208:209], v[200:201], v[204:205], -v[0:1]
	v_mul_f64 v[0:1], v[200:201], v[206:207]
	v_fma_f64 v[210:211], v[202:203], v[204:205], v[0:1]
	ds_load_2addr_b64 v[204:207], v244 offset0:102 offset1:103
	s_waitcnt lgkmcnt(0)
	v_mul_f64 v[0:1], v[206:207], v[210:211]
	v_mul_f64 v[4:5], v[204:205], v[210:211]
	s_delay_alu instid0(VALU_DEP_2) | instskip(NEXT) | instid1(VALU_DEP_2)
	v_fma_f64 v[0:1], v[204:205], v[208:209], -v[0:1]
	v_fma_f64 v[4:5], v[206:207], v[208:209], v[4:5]
	scratch_load_b128 v[204:207], off, off offset:816
	s_waitcnt vmcnt(0)
	v_add_f64 v[204:205], v[204:205], -v[0:1]
	v_add_f64 v[206:207], v[206:207], -v[4:5]
	s_clause 0x1
	scratch_store_b128 off, v[208:211], off offset:800
	scratch_store_b128 off, v[204:207], off offset:816
	ds_load_2addr_b64 v[204:207], v244 offset0:104 offset1:105
	s_waitcnt lgkmcnt(0)
	v_mul_f64 v[0:1], v[206:207], v[210:211]
	v_mul_f64 v[4:5], v[204:205], v[210:211]
	s_delay_alu instid0(VALU_DEP_2) | instskip(NEXT) | instid1(VALU_DEP_2)
	v_fma_f64 v[0:1], v[204:205], v[208:209], -v[0:1]
	v_fma_f64 v[4:5], v[206:207], v[208:209], v[4:5]
	scratch_load_b128 v[204:207], off, off offset:832
	s_waitcnt vmcnt(0)
	v_add_f64 v[204:205], v[204:205], -v[0:1]
	v_add_f64 v[206:207], v[206:207], -v[4:5]
	scratch_store_b128 off, v[204:207], off offset:832
	ds_load_2addr_b64 v[204:207], v244 offset0:106 offset1:107
	s_waitcnt lgkmcnt(0)
	v_mul_f64 v[0:1], v[206:207], v[210:211]
	v_mul_f64 v[4:5], v[204:205], v[210:211]
	s_delay_alu instid0(VALU_DEP_2) | instskip(NEXT) | instid1(VALU_DEP_2)
	v_fma_f64 v[0:1], v[204:205], v[208:209], -v[0:1]
	v_fma_f64 v[4:5], v[206:207], v[208:209], v[4:5]
	scratch_load_b128 v[204:207], off, off offset:848
	s_waitcnt vmcnt(0)
	v_add_f64 v[204:205], v[204:205], -v[0:1]
	v_add_f64 v[206:207], v[206:207], -v[4:5]
	;; [unrolled: 12-line block ×4, first 2 shown]
	scratch_store_b128 off, v[204:207], off offset:880
	ds_load_2addr_b64 v[204:207], v244 offset0:112 offset1:113
	s_waitcnt lgkmcnt(0)
	v_mul_f64 v[0:1], v[206:207], v[210:211]
	v_mul_f64 v[4:5], v[204:205], v[210:211]
	s_delay_alu instid0(VALU_DEP_2) | instskip(NEXT) | instid1(VALU_DEP_2)
	v_fma_f64 v[0:1], v[204:205], v[208:209], -v[0:1]
	v_fma_f64 v[4:5], v[206:207], v[208:209], v[4:5]
	s_clause 0x1
	scratch_load_b128 v[204:207], off, off offset:896
	scratch_load_b128 v[208:211], off, off offset:800
	s_waitcnt vmcnt(1)
	v_add_f64 v[204:205], v[204:205], -v[0:1]
	v_add_f64 v[206:207], v[206:207], -v[4:5]
	scratch_store_b128 off, v[204:207], off offset:896
	ds_load_2addr_b64 v[204:207], v244 offset0:114 offset1:115
	s_waitcnt vmcnt(0) lgkmcnt(0)
	v_mul_f64 v[0:1], v[206:207], v[210:211]
	v_mul_f64 v[4:5], v[204:205], v[210:211]
	s_delay_alu instid0(VALU_DEP_2) | instskip(NEXT) | instid1(VALU_DEP_2)
	v_fma_f64 v[0:1], v[204:205], v[208:209], -v[0:1]
	v_fma_f64 v[4:5], v[206:207], v[208:209], v[4:5]
	scratch_load_b128 v[204:207], off, off offset:912
	s_waitcnt vmcnt(0)
	v_add_f64 v[204:205], v[204:205], -v[0:1]
	v_add_f64 v[206:207], v[206:207], -v[4:5]
	scratch_store_b128 off, v[204:207], off offset:912
	ds_load_2addr_b64 v[204:207], v244 offset0:116 offset1:117
	s_waitcnt lgkmcnt(0)
	v_mul_f64 v[0:1], v[206:207], v[210:211]
	v_mul_f64 v[4:5], v[204:205], v[210:211]
	s_delay_alu instid0(VALU_DEP_2) | instskip(NEXT) | instid1(VALU_DEP_2)
	v_fma_f64 v[0:1], v[204:205], v[208:209], -v[0:1]
	v_fma_f64 v[4:5], v[206:207], v[208:209], v[4:5]
	scratch_load_b128 v[204:207], off, off offset:928
	s_waitcnt vmcnt(0)
	v_add_f64 v[204:205], v[204:205], -v[0:1]
	v_add_f64 v[206:207], v[206:207], -v[4:5]
	scratch_store_b128 off, v[204:207], off offset:928
	ds_load_2addr_b64 v[204:207], v244 offset0:118 offset1:119
	s_waitcnt lgkmcnt(0)
	;; [unrolled: 12-line block ×3, first 2 shown]
	v_mul_f64 v[0:1], v[206:207], v[210:211]
	v_mul_f64 v[4:5], v[204:205], v[210:211]
	s_delay_alu instid0(VALU_DEP_2) | instskip(NEXT) | instid1(VALU_DEP_2)
	v_fma_f64 v[0:1], v[204:205], v[208:209], -v[0:1]
	v_fma_f64 v[4:5], v[206:207], v[208:209], v[4:5]
	scratch_load_b128 v[204:207], off, off offset:960
	s_waitcnt vmcnt(0)
	v_add_f64 v[204:205], v[204:205], -v[0:1]
	v_add_f64 v[206:207], v[206:207], -v[4:5]
	scratch_store_b128 off, v[204:207], off offset:960
.LBB121_583:
	s_or_b32 exec_lo, exec_lo, s3
	s_delay_alu instid0(SALU_CYCLE_1)
	s_mov_b32 s4, exec_lo
	s_waitcnt lgkmcnt(0)
	s_waitcnt_vscnt null, 0x0
	s_barrier
	buffer_gl0_inv
	v_cmpx_eq_u32_e32 51, v254
	s_cbranch_execz .LBB121_590
; %bb.584:
	scratch_load_b32 v0, off, off offset:976 ; 4-byte Folded Reload
	s_waitcnt vmcnt(0)
	scratch_load_b128 v[204:207], v0, off
	s_waitcnt vmcnt(0)
	ds_store_2addr_b64 v251, v[204:205], v[206:207] offset1:1
	scratch_load_b128 v[204:207], v245, off
	s_waitcnt vmcnt(0)
	ds_store_2addr_b64 v244, v[204:205], v[206:207] offset0:104 offset1:105
	scratch_load_b128 v[204:207], v250, off
	s_waitcnt vmcnt(0)
	ds_store_2addr_b64 v244, v[204:205], v[206:207] offset0:106 offset1:107
	;; [unrolled: 3-line block ×9, first 2 shown]
	ds_load_2addr_b64 v[204:207], v251 offset1:1
	s_waitcnt lgkmcnt(0)
	v_cmp_neq_f64_e32 vcc_lo, 0, v[204:205]
	v_cmp_neq_f64_e64 s3, 0, v[206:207]
	s_delay_alu instid0(VALU_DEP_1) | instskip(NEXT) | instid1(SALU_CYCLE_1)
	s_or_b32 s3, vcc_lo, s3
	s_and_b32 exec_lo, exec_lo, s3
	s_cbranch_execz .LBB121_590
; %bb.585:
	v_cmp_gt_f64_e32 vcc_lo, 0, v[204:205]
	v_xor_b32_e32 v0, 0x80000000, v205
	v_xor_b32_e32 v4, 0x80000000, v207
	s_delay_alu instid0(VALU_DEP_2) | instskip(SKIP_2) | instid1(VALU_DEP_4)
	v_cndmask_b32_e32 v1, v205, v0, vcc_lo
	v_cndmask_b32_e32 v0, v204, v204, vcc_lo
	v_cmp_gt_f64_e32 vcc_lo, 0, v[206:207]
	v_dual_cndmask_b32 v5, v207, v4 :: v_dual_cndmask_b32 v4, v206, v206
	s_delay_alu instid0(VALU_DEP_1) | instskip(SKIP_1) | instid1(SALU_CYCLE_1)
	v_cmp_ngt_f64_e32 vcc_lo, v[0:1], v[4:5]
                                        ; implicit-def: $vgpr0_vgpr1
	s_and_saveexec_b32 s3, vcc_lo
	s_xor_b32 s3, exec_lo, s3
                                        ; implicit-def: $vgpr208_vgpr209_vgpr210_vgpr211
	s_cbranch_execz .LBB121_587
; %bb.586:
	v_div_scale_f64 v[0:1], null, v[206:207], v[206:207], v[204:205]
	v_div_scale_f64 v[208:209], vcc_lo, v[204:205], v[206:207], v[204:205]
	s_delay_alu instid0(VALU_DEP_2) | instskip(SKIP_2) | instid1(VALU_DEP_1)
	v_rcp_f64_e32 v[4:5], v[0:1]
	s_waitcnt_depctr 0xfff
	v_fma_f64 v[6:7], -v[0:1], v[4:5], 1.0
	v_fma_f64 v[4:5], v[4:5], v[6:7], v[4:5]
	s_delay_alu instid0(VALU_DEP_1) | instskip(NEXT) | instid1(VALU_DEP_1)
	v_fma_f64 v[6:7], -v[0:1], v[4:5], 1.0
	v_fma_f64 v[4:5], v[4:5], v[6:7], v[4:5]
	s_delay_alu instid0(VALU_DEP_1) | instskip(NEXT) | instid1(VALU_DEP_1)
	v_mul_f64 v[6:7], v[208:209], v[4:5]
	v_fma_f64 v[0:1], -v[0:1], v[6:7], v[208:209]
	s_delay_alu instid0(VALU_DEP_1) | instskip(NEXT) | instid1(VALU_DEP_1)
	v_div_fmas_f64 v[0:1], v[0:1], v[4:5], v[6:7]
	v_div_fixup_f64 v[0:1], v[0:1], v[206:207], v[204:205]
	s_delay_alu instid0(VALU_DEP_1) | instskip(NEXT) | instid1(VALU_DEP_1)
	v_fma_f64 v[4:5], v[204:205], v[0:1], v[206:207]
	v_div_scale_f64 v[6:7], null, v[4:5], v[4:5], 1.0
	s_delay_alu instid0(VALU_DEP_1) | instskip(SKIP_2) | instid1(VALU_DEP_1)
	v_rcp_f64_e32 v[204:205], v[6:7]
	s_waitcnt_depctr 0xfff
	v_fma_f64 v[206:207], -v[6:7], v[204:205], 1.0
	v_fma_f64 v[204:205], v[204:205], v[206:207], v[204:205]
	s_delay_alu instid0(VALU_DEP_1) | instskip(NEXT) | instid1(VALU_DEP_1)
	v_fma_f64 v[206:207], -v[6:7], v[204:205], 1.0
	v_fma_f64 v[204:205], v[204:205], v[206:207], v[204:205]
	v_div_scale_f64 v[206:207], vcc_lo, 1.0, v[4:5], 1.0
	s_delay_alu instid0(VALU_DEP_1) | instskip(NEXT) | instid1(VALU_DEP_1)
	v_mul_f64 v[208:209], v[206:207], v[204:205]
	v_fma_f64 v[6:7], -v[6:7], v[208:209], v[206:207]
	s_delay_alu instid0(VALU_DEP_1) | instskip(NEXT) | instid1(VALU_DEP_1)
	v_div_fmas_f64 v[6:7], v[6:7], v[204:205], v[208:209]
                                        ; implicit-def: $vgpr204_vgpr205
	v_div_fixup_f64 v[210:211], v[6:7], v[4:5], 1.0
	s_delay_alu instid0(VALU_DEP_1)
	v_mul_f64 v[0:1], v[0:1], v[210:211]
	v_xor_b32_e32 v211, 0x80000000, v211
.LBB121_587:
	s_and_not1_saveexec_b32 s3, s3
	s_cbranch_execz .LBB121_589
; %bb.588:
	v_div_scale_f64 v[0:1], null, v[204:205], v[204:205], v[206:207]
	v_div_scale_f64 v[208:209], vcc_lo, v[206:207], v[204:205], v[206:207]
	s_delay_alu instid0(VALU_DEP_2) | instskip(SKIP_2) | instid1(VALU_DEP_1)
	v_rcp_f64_e32 v[4:5], v[0:1]
	s_waitcnt_depctr 0xfff
	v_fma_f64 v[6:7], -v[0:1], v[4:5], 1.0
	v_fma_f64 v[4:5], v[4:5], v[6:7], v[4:5]
	s_delay_alu instid0(VALU_DEP_1) | instskip(NEXT) | instid1(VALU_DEP_1)
	v_fma_f64 v[6:7], -v[0:1], v[4:5], 1.0
	v_fma_f64 v[4:5], v[4:5], v[6:7], v[4:5]
	s_delay_alu instid0(VALU_DEP_1) | instskip(NEXT) | instid1(VALU_DEP_1)
	v_mul_f64 v[6:7], v[208:209], v[4:5]
	v_fma_f64 v[0:1], -v[0:1], v[6:7], v[208:209]
	s_delay_alu instid0(VALU_DEP_1) | instskip(NEXT) | instid1(VALU_DEP_1)
	v_div_fmas_f64 v[0:1], v[0:1], v[4:5], v[6:7]
	v_div_fixup_f64 v[4:5], v[0:1], v[204:205], v[206:207]
	s_delay_alu instid0(VALU_DEP_1) | instskip(NEXT) | instid1(VALU_DEP_1)
	v_fma_f64 v[0:1], v[206:207], v[4:5], v[204:205]
	v_div_scale_f64 v[6:7], null, v[0:1], v[0:1], 1.0
	s_delay_alu instid0(VALU_DEP_1) | instskip(SKIP_2) | instid1(VALU_DEP_1)
	v_rcp_f64_e32 v[204:205], v[6:7]
	s_waitcnt_depctr 0xfff
	v_fma_f64 v[206:207], -v[6:7], v[204:205], 1.0
	v_fma_f64 v[204:205], v[204:205], v[206:207], v[204:205]
	s_delay_alu instid0(VALU_DEP_1) | instskip(NEXT) | instid1(VALU_DEP_1)
	v_fma_f64 v[206:207], -v[6:7], v[204:205], 1.0
	v_fma_f64 v[204:205], v[204:205], v[206:207], v[204:205]
	v_div_scale_f64 v[206:207], vcc_lo, 1.0, v[0:1], 1.0
	s_delay_alu instid0(VALU_DEP_1) | instskip(NEXT) | instid1(VALU_DEP_1)
	v_mul_f64 v[208:209], v[206:207], v[204:205]
	v_fma_f64 v[6:7], -v[6:7], v[208:209], v[206:207]
	s_delay_alu instid0(VALU_DEP_1) | instskip(NEXT) | instid1(VALU_DEP_1)
	v_div_fmas_f64 v[6:7], v[6:7], v[204:205], v[208:209]
	v_div_fixup_f64 v[0:1], v[6:7], v[0:1], 1.0
	s_delay_alu instid0(VALU_DEP_1)
	v_mul_f64 v[210:211], v[4:5], -v[0:1]
.LBB121_589:
	s_or_b32 exec_lo, exec_lo, s3
	ds_store_2addr_b64 v251, v[0:1], v[210:211] offset1:1
.LBB121_590:
	s_or_b32 exec_lo, exec_lo, s4
	s_waitcnt lgkmcnt(0)
	s_barrier
	buffer_gl0_inv
	ds_load_2addr_b64 v[204:207], v251 offset1:1
	s_mov_b32 s3, exec_lo
	v_cmpx_lt_u32_e32 51, v254
	s_cbranch_execz .LBB121_592
; %bb.591:
	scratch_load_b128 v[208:211], off, off offset:816
	s_waitcnt vmcnt(0) lgkmcnt(0)
	v_mul_f64 v[0:1], v[206:207], v[210:211]
	s_delay_alu instid0(VALU_DEP_1) | instskip(SKIP_1) | instid1(VALU_DEP_1)
	v_fma_f64 v[212:213], v[204:205], v[208:209], -v[0:1]
	v_mul_f64 v[0:1], v[204:205], v[210:211]
	v_fma_f64 v[214:215], v[206:207], v[208:209], v[0:1]
	ds_load_2addr_b64 v[208:211], v244 offset0:104 offset1:105
	s_waitcnt lgkmcnt(0)
	v_mul_f64 v[0:1], v[210:211], v[214:215]
	v_mul_f64 v[4:5], v[208:209], v[214:215]
	s_delay_alu instid0(VALU_DEP_2) | instskip(NEXT) | instid1(VALU_DEP_2)
	v_fma_f64 v[0:1], v[208:209], v[212:213], -v[0:1]
	v_fma_f64 v[4:5], v[210:211], v[212:213], v[4:5]
	scratch_load_b128 v[208:211], off, off offset:832
	s_waitcnt vmcnt(0)
	v_add_f64 v[208:209], v[208:209], -v[0:1]
	v_add_f64 v[210:211], v[210:211], -v[4:5]
	s_clause 0x1
	scratch_store_b128 off, v[212:215], off offset:816
	scratch_store_b128 off, v[208:211], off offset:832
	ds_load_2addr_b64 v[208:211], v244 offset0:106 offset1:107
	s_waitcnt lgkmcnt(0)
	v_mul_f64 v[0:1], v[210:211], v[214:215]
	v_mul_f64 v[4:5], v[208:209], v[214:215]
	s_delay_alu instid0(VALU_DEP_2) | instskip(NEXT) | instid1(VALU_DEP_2)
	v_fma_f64 v[0:1], v[208:209], v[212:213], -v[0:1]
	v_fma_f64 v[4:5], v[210:211], v[212:213], v[4:5]
	scratch_load_b128 v[208:211], off, off offset:848
	s_waitcnt vmcnt(0)
	v_add_f64 v[208:209], v[208:209], -v[0:1]
	v_add_f64 v[210:211], v[210:211], -v[4:5]
	scratch_store_b128 off, v[208:211], off offset:848
	ds_load_2addr_b64 v[208:211], v244 offset0:108 offset1:109
	s_waitcnt lgkmcnt(0)
	v_mul_f64 v[0:1], v[210:211], v[214:215]
	v_mul_f64 v[4:5], v[208:209], v[214:215]
	s_delay_alu instid0(VALU_DEP_2) | instskip(NEXT) | instid1(VALU_DEP_2)
	v_fma_f64 v[0:1], v[208:209], v[212:213], -v[0:1]
	v_fma_f64 v[4:5], v[210:211], v[212:213], v[4:5]
	scratch_load_b128 v[208:211], off, off offset:864
	s_waitcnt vmcnt(0)
	v_add_f64 v[208:209], v[208:209], -v[0:1]
	v_add_f64 v[210:211], v[210:211], -v[4:5]
	;; [unrolled: 12-line block ×4, first 2 shown]
	scratch_store_b128 off, v[208:211], off offset:896
	ds_load_2addr_b64 v[208:211], v244 offset0:114 offset1:115
	s_waitcnt lgkmcnt(0)
	v_mul_f64 v[0:1], v[210:211], v[214:215]
	v_mul_f64 v[4:5], v[208:209], v[214:215]
	s_delay_alu instid0(VALU_DEP_2) | instskip(NEXT) | instid1(VALU_DEP_2)
	v_fma_f64 v[0:1], v[208:209], v[212:213], -v[0:1]
	v_fma_f64 v[4:5], v[210:211], v[212:213], v[4:5]
	s_clause 0x1
	scratch_load_b128 v[208:211], off, off offset:912
	scratch_load_b128 v[212:215], off, off offset:816
	s_waitcnt vmcnt(1)
	v_add_f64 v[208:209], v[208:209], -v[0:1]
	v_add_f64 v[210:211], v[210:211], -v[4:5]
	scratch_store_b128 off, v[208:211], off offset:912
	ds_load_2addr_b64 v[208:211], v244 offset0:116 offset1:117
	s_waitcnt vmcnt(0) lgkmcnt(0)
	v_mul_f64 v[0:1], v[210:211], v[214:215]
	v_mul_f64 v[4:5], v[208:209], v[214:215]
	s_delay_alu instid0(VALU_DEP_2) | instskip(NEXT) | instid1(VALU_DEP_2)
	v_fma_f64 v[0:1], v[208:209], v[212:213], -v[0:1]
	v_fma_f64 v[4:5], v[210:211], v[212:213], v[4:5]
	scratch_load_b128 v[208:211], off, off offset:928
	s_waitcnt vmcnt(0)
	v_add_f64 v[208:209], v[208:209], -v[0:1]
	v_add_f64 v[210:211], v[210:211], -v[4:5]
	scratch_store_b128 off, v[208:211], off offset:928
	ds_load_2addr_b64 v[208:211], v244 offset0:118 offset1:119
	s_waitcnt lgkmcnt(0)
	v_mul_f64 v[0:1], v[210:211], v[214:215]
	v_mul_f64 v[4:5], v[208:209], v[214:215]
	s_delay_alu instid0(VALU_DEP_2) | instskip(NEXT) | instid1(VALU_DEP_2)
	v_fma_f64 v[0:1], v[208:209], v[212:213], -v[0:1]
	v_fma_f64 v[4:5], v[210:211], v[212:213], v[4:5]
	scratch_load_b128 v[208:211], off, off offset:944
	s_waitcnt vmcnt(0)
	v_add_f64 v[208:209], v[208:209], -v[0:1]
	v_add_f64 v[210:211], v[210:211], -v[4:5]
	scratch_store_b128 off, v[208:211], off offset:944
	ds_load_2addr_b64 v[208:211], v244 offset0:120 offset1:121
	s_waitcnt lgkmcnt(0)
	v_mul_f64 v[0:1], v[210:211], v[214:215]
	v_mul_f64 v[4:5], v[208:209], v[214:215]
	s_delay_alu instid0(VALU_DEP_2) | instskip(NEXT) | instid1(VALU_DEP_2)
	v_fma_f64 v[0:1], v[208:209], v[212:213], -v[0:1]
	v_fma_f64 v[4:5], v[210:211], v[212:213], v[4:5]
	scratch_load_b128 v[208:211], off, off offset:960
	s_waitcnt vmcnt(0)
	v_add_f64 v[208:209], v[208:209], -v[0:1]
	v_add_f64 v[210:211], v[210:211], -v[4:5]
	scratch_store_b128 off, v[208:211], off offset:960
.LBB121_592:
	s_or_b32 exec_lo, exec_lo, s3
	s_delay_alu instid0(SALU_CYCLE_1)
	s_mov_b32 s4, exec_lo
	s_waitcnt lgkmcnt(0)
	s_waitcnt_vscnt null, 0x0
	s_barrier
	buffer_gl0_inv
	v_cmpx_eq_u32_e32 52, v254
	s_cbranch_execz .LBB121_599
; %bb.593:
	scratch_load_b128 v[208:211], v245, off
	s_waitcnt vmcnt(0)
	ds_store_2addr_b64 v251, v[208:209], v[210:211] offset1:1
	scratch_load_b128 v[208:211], v250, off
	s_waitcnt vmcnt(0)
	ds_store_2addr_b64 v244, v[208:209], v[210:211] offset0:106 offset1:107
	scratch_load_b128 v[208:211], v253, off
	s_waitcnt vmcnt(0)
	ds_store_2addr_b64 v244, v[208:209], v[210:211] offset0:108 offset1:109
	;; [unrolled: 3-line block ×8, first 2 shown]
	ds_load_2addr_b64 v[208:211], v251 offset1:1
	s_waitcnt lgkmcnt(0)
	v_cmp_neq_f64_e32 vcc_lo, 0, v[208:209]
	v_cmp_neq_f64_e64 s3, 0, v[210:211]
	s_delay_alu instid0(VALU_DEP_1) | instskip(NEXT) | instid1(SALU_CYCLE_1)
	s_or_b32 s3, vcc_lo, s3
	s_and_b32 exec_lo, exec_lo, s3
	s_cbranch_execz .LBB121_599
; %bb.594:
	v_cmp_gt_f64_e32 vcc_lo, 0, v[208:209]
	v_xor_b32_e32 v0, 0x80000000, v209
	v_xor_b32_e32 v4, 0x80000000, v211
	s_delay_alu instid0(VALU_DEP_2) | instskip(SKIP_2) | instid1(VALU_DEP_4)
	v_cndmask_b32_e32 v1, v209, v0, vcc_lo
	v_cndmask_b32_e32 v0, v208, v208, vcc_lo
	v_cmp_gt_f64_e32 vcc_lo, 0, v[210:211]
	v_dual_cndmask_b32 v5, v211, v4 :: v_dual_cndmask_b32 v4, v210, v210
	s_delay_alu instid0(VALU_DEP_1) | instskip(SKIP_1) | instid1(SALU_CYCLE_1)
	v_cmp_ngt_f64_e32 vcc_lo, v[0:1], v[4:5]
                                        ; implicit-def: $vgpr0_vgpr1
	s_and_saveexec_b32 s3, vcc_lo
	s_xor_b32 s3, exec_lo, s3
                                        ; implicit-def: $vgpr212_vgpr213_vgpr214_vgpr215
	s_cbranch_execz .LBB121_596
; %bb.595:
	v_div_scale_f64 v[0:1], null, v[210:211], v[210:211], v[208:209]
	v_div_scale_f64 v[212:213], vcc_lo, v[208:209], v[210:211], v[208:209]
	s_delay_alu instid0(VALU_DEP_2) | instskip(SKIP_2) | instid1(VALU_DEP_1)
	v_rcp_f64_e32 v[4:5], v[0:1]
	s_waitcnt_depctr 0xfff
	v_fma_f64 v[6:7], -v[0:1], v[4:5], 1.0
	v_fma_f64 v[4:5], v[4:5], v[6:7], v[4:5]
	s_delay_alu instid0(VALU_DEP_1) | instskip(NEXT) | instid1(VALU_DEP_1)
	v_fma_f64 v[6:7], -v[0:1], v[4:5], 1.0
	v_fma_f64 v[4:5], v[4:5], v[6:7], v[4:5]
	s_delay_alu instid0(VALU_DEP_1) | instskip(NEXT) | instid1(VALU_DEP_1)
	v_mul_f64 v[6:7], v[212:213], v[4:5]
	v_fma_f64 v[0:1], -v[0:1], v[6:7], v[212:213]
	s_delay_alu instid0(VALU_DEP_1) | instskip(NEXT) | instid1(VALU_DEP_1)
	v_div_fmas_f64 v[0:1], v[0:1], v[4:5], v[6:7]
	v_div_fixup_f64 v[0:1], v[0:1], v[210:211], v[208:209]
	s_delay_alu instid0(VALU_DEP_1) | instskip(NEXT) | instid1(VALU_DEP_1)
	v_fma_f64 v[4:5], v[208:209], v[0:1], v[210:211]
	v_div_scale_f64 v[6:7], null, v[4:5], v[4:5], 1.0
	s_delay_alu instid0(VALU_DEP_1) | instskip(SKIP_2) | instid1(VALU_DEP_1)
	v_rcp_f64_e32 v[208:209], v[6:7]
	s_waitcnt_depctr 0xfff
	v_fma_f64 v[210:211], -v[6:7], v[208:209], 1.0
	v_fma_f64 v[208:209], v[208:209], v[210:211], v[208:209]
	s_delay_alu instid0(VALU_DEP_1) | instskip(NEXT) | instid1(VALU_DEP_1)
	v_fma_f64 v[210:211], -v[6:7], v[208:209], 1.0
	v_fma_f64 v[208:209], v[208:209], v[210:211], v[208:209]
	v_div_scale_f64 v[210:211], vcc_lo, 1.0, v[4:5], 1.0
	s_delay_alu instid0(VALU_DEP_1) | instskip(NEXT) | instid1(VALU_DEP_1)
	v_mul_f64 v[212:213], v[210:211], v[208:209]
	v_fma_f64 v[6:7], -v[6:7], v[212:213], v[210:211]
	s_delay_alu instid0(VALU_DEP_1) | instskip(NEXT) | instid1(VALU_DEP_1)
	v_div_fmas_f64 v[6:7], v[6:7], v[208:209], v[212:213]
                                        ; implicit-def: $vgpr208_vgpr209
	v_div_fixup_f64 v[214:215], v[6:7], v[4:5], 1.0
	s_delay_alu instid0(VALU_DEP_1)
	v_mul_f64 v[0:1], v[0:1], v[214:215]
	v_xor_b32_e32 v215, 0x80000000, v215
.LBB121_596:
	s_and_not1_saveexec_b32 s3, s3
	s_cbranch_execz .LBB121_598
; %bb.597:
	v_div_scale_f64 v[0:1], null, v[208:209], v[208:209], v[210:211]
	v_div_scale_f64 v[212:213], vcc_lo, v[210:211], v[208:209], v[210:211]
	s_delay_alu instid0(VALU_DEP_2) | instskip(SKIP_2) | instid1(VALU_DEP_1)
	v_rcp_f64_e32 v[4:5], v[0:1]
	s_waitcnt_depctr 0xfff
	v_fma_f64 v[6:7], -v[0:1], v[4:5], 1.0
	v_fma_f64 v[4:5], v[4:5], v[6:7], v[4:5]
	s_delay_alu instid0(VALU_DEP_1) | instskip(NEXT) | instid1(VALU_DEP_1)
	v_fma_f64 v[6:7], -v[0:1], v[4:5], 1.0
	v_fma_f64 v[4:5], v[4:5], v[6:7], v[4:5]
	s_delay_alu instid0(VALU_DEP_1) | instskip(NEXT) | instid1(VALU_DEP_1)
	v_mul_f64 v[6:7], v[212:213], v[4:5]
	v_fma_f64 v[0:1], -v[0:1], v[6:7], v[212:213]
	s_delay_alu instid0(VALU_DEP_1) | instskip(NEXT) | instid1(VALU_DEP_1)
	v_div_fmas_f64 v[0:1], v[0:1], v[4:5], v[6:7]
	v_div_fixup_f64 v[4:5], v[0:1], v[208:209], v[210:211]
	s_delay_alu instid0(VALU_DEP_1) | instskip(NEXT) | instid1(VALU_DEP_1)
	v_fma_f64 v[0:1], v[210:211], v[4:5], v[208:209]
	v_div_scale_f64 v[6:7], null, v[0:1], v[0:1], 1.0
	s_delay_alu instid0(VALU_DEP_1) | instskip(SKIP_2) | instid1(VALU_DEP_1)
	v_rcp_f64_e32 v[208:209], v[6:7]
	s_waitcnt_depctr 0xfff
	v_fma_f64 v[210:211], -v[6:7], v[208:209], 1.0
	v_fma_f64 v[208:209], v[208:209], v[210:211], v[208:209]
	s_delay_alu instid0(VALU_DEP_1) | instskip(NEXT) | instid1(VALU_DEP_1)
	v_fma_f64 v[210:211], -v[6:7], v[208:209], 1.0
	v_fma_f64 v[208:209], v[208:209], v[210:211], v[208:209]
	v_div_scale_f64 v[210:211], vcc_lo, 1.0, v[0:1], 1.0
	s_delay_alu instid0(VALU_DEP_1) | instskip(NEXT) | instid1(VALU_DEP_1)
	v_mul_f64 v[212:213], v[210:211], v[208:209]
	v_fma_f64 v[6:7], -v[6:7], v[212:213], v[210:211]
	s_delay_alu instid0(VALU_DEP_1) | instskip(NEXT) | instid1(VALU_DEP_1)
	v_div_fmas_f64 v[6:7], v[6:7], v[208:209], v[212:213]
	v_div_fixup_f64 v[0:1], v[6:7], v[0:1], 1.0
	s_delay_alu instid0(VALU_DEP_1)
	v_mul_f64 v[214:215], v[4:5], -v[0:1]
.LBB121_598:
	s_or_b32 exec_lo, exec_lo, s3
	ds_store_2addr_b64 v251, v[0:1], v[214:215] offset1:1
.LBB121_599:
	s_or_b32 exec_lo, exec_lo, s4
	s_waitcnt lgkmcnt(0)
	s_barrier
	buffer_gl0_inv
	ds_load_2addr_b64 v[208:211], v251 offset1:1
	s_mov_b32 s3, exec_lo
	v_cmpx_lt_u32_e32 52, v254
	s_cbranch_execz .LBB121_601
; %bb.600:
	scratch_load_b128 v[212:215], off, off offset:832
	s_waitcnt vmcnt(0) lgkmcnt(0)
	v_mul_f64 v[0:1], v[210:211], v[214:215]
	s_delay_alu instid0(VALU_DEP_1) | instskip(SKIP_1) | instid1(VALU_DEP_1)
	v_fma_f64 v[216:217], v[208:209], v[212:213], -v[0:1]
	v_mul_f64 v[0:1], v[208:209], v[214:215]
	v_fma_f64 v[218:219], v[210:211], v[212:213], v[0:1]
	ds_load_2addr_b64 v[212:215], v244 offset0:106 offset1:107
	s_waitcnt lgkmcnt(0)
	v_mul_f64 v[0:1], v[214:215], v[218:219]
	v_mul_f64 v[4:5], v[212:213], v[218:219]
	s_delay_alu instid0(VALU_DEP_2) | instskip(NEXT) | instid1(VALU_DEP_2)
	v_fma_f64 v[0:1], v[212:213], v[216:217], -v[0:1]
	v_fma_f64 v[4:5], v[214:215], v[216:217], v[4:5]
	scratch_load_b128 v[212:215], off, off offset:848
	s_waitcnt vmcnt(0)
	v_add_f64 v[212:213], v[212:213], -v[0:1]
	v_add_f64 v[214:215], v[214:215], -v[4:5]
	s_clause 0x1
	scratch_store_b128 off, v[216:219], off offset:832
	scratch_store_b128 off, v[212:215], off offset:848
	ds_load_2addr_b64 v[212:215], v244 offset0:108 offset1:109
	s_waitcnt lgkmcnt(0)
	v_mul_f64 v[0:1], v[214:215], v[218:219]
	v_mul_f64 v[4:5], v[212:213], v[218:219]
	s_delay_alu instid0(VALU_DEP_2) | instskip(NEXT) | instid1(VALU_DEP_2)
	v_fma_f64 v[0:1], v[212:213], v[216:217], -v[0:1]
	v_fma_f64 v[4:5], v[214:215], v[216:217], v[4:5]
	scratch_load_b128 v[212:215], off, off offset:864
	s_waitcnt vmcnt(0)
	v_add_f64 v[212:213], v[212:213], -v[0:1]
	v_add_f64 v[214:215], v[214:215], -v[4:5]
	scratch_store_b128 off, v[212:215], off offset:864
	ds_load_2addr_b64 v[212:215], v244 offset0:110 offset1:111
	s_waitcnt lgkmcnt(0)
	v_mul_f64 v[0:1], v[214:215], v[218:219]
	v_mul_f64 v[4:5], v[212:213], v[218:219]
	s_delay_alu instid0(VALU_DEP_2) | instskip(NEXT) | instid1(VALU_DEP_2)
	v_fma_f64 v[0:1], v[212:213], v[216:217], -v[0:1]
	v_fma_f64 v[4:5], v[214:215], v[216:217], v[4:5]
	scratch_load_b128 v[212:215], off, off offset:880
	s_waitcnt vmcnt(0)
	v_add_f64 v[212:213], v[212:213], -v[0:1]
	v_add_f64 v[214:215], v[214:215], -v[4:5]
	;; [unrolled: 12-line block ×4, first 2 shown]
	scratch_store_b128 off, v[212:215], off offset:912
	ds_load_2addr_b64 v[212:215], v244 offset0:116 offset1:117
	s_waitcnt lgkmcnt(0)
	v_mul_f64 v[0:1], v[214:215], v[218:219]
	v_mul_f64 v[4:5], v[212:213], v[218:219]
	s_delay_alu instid0(VALU_DEP_2) | instskip(NEXT) | instid1(VALU_DEP_2)
	v_fma_f64 v[0:1], v[212:213], v[216:217], -v[0:1]
	v_fma_f64 v[4:5], v[214:215], v[216:217], v[4:5]
	s_clause 0x1
	scratch_load_b128 v[212:215], off, off offset:928
	scratch_load_b128 v[216:219], off, off offset:832
	s_waitcnt vmcnt(1)
	v_add_f64 v[212:213], v[212:213], -v[0:1]
	v_add_f64 v[214:215], v[214:215], -v[4:5]
	scratch_store_b128 off, v[212:215], off offset:928
	ds_load_2addr_b64 v[212:215], v244 offset0:118 offset1:119
	s_waitcnt vmcnt(0) lgkmcnt(0)
	v_mul_f64 v[0:1], v[214:215], v[218:219]
	v_mul_f64 v[4:5], v[212:213], v[218:219]
	s_delay_alu instid0(VALU_DEP_2) | instskip(NEXT) | instid1(VALU_DEP_2)
	v_fma_f64 v[0:1], v[212:213], v[216:217], -v[0:1]
	v_fma_f64 v[4:5], v[214:215], v[216:217], v[4:5]
	scratch_load_b128 v[212:215], off, off offset:944
	s_waitcnt vmcnt(0)
	v_add_f64 v[212:213], v[212:213], -v[0:1]
	v_add_f64 v[214:215], v[214:215], -v[4:5]
	scratch_store_b128 off, v[212:215], off offset:944
	ds_load_2addr_b64 v[212:215], v244 offset0:120 offset1:121
	s_waitcnt lgkmcnt(0)
	v_mul_f64 v[0:1], v[214:215], v[218:219]
	v_mul_f64 v[4:5], v[212:213], v[218:219]
	s_delay_alu instid0(VALU_DEP_2) | instskip(NEXT) | instid1(VALU_DEP_2)
	v_fma_f64 v[0:1], v[212:213], v[216:217], -v[0:1]
	v_fma_f64 v[4:5], v[214:215], v[216:217], v[4:5]
	scratch_load_b128 v[212:215], off, off offset:960
	s_waitcnt vmcnt(0)
	v_add_f64 v[212:213], v[212:213], -v[0:1]
	v_add_f64 v[214:215], v[214:215], -v[4:5]
	scratch_store_b128 off, v[212:215], off offset:960
.LBB121_601:
	s_or_b32 exec_lo, exec_lo, s3
	s_delay_alu instid0(SALU_CYCLE_1)
	s_mov_b32 s4, exec_lo
	s_waitcnt lgkmcnt(0)
	s_waitcnt_vscnt null, 0x0
	s_barrier
	buffer_gl0_inv
	v_cmpx_eq_u32_e32 53, v254
	s_cbranch_execz .LBB121_608
; %bb.602:
	scratch_load_b128 v[212:215], v250, off
	s_waitcnt vmcnt(0)
	ds_store_2addr_b64 v251, v[212:213], v[214:215] offset1:1
	scratch_load_b128 v[212:215], v253, off
	s_waitcnt vmcnt(0)
	ds_store_2addr_b64 v244, v[212:213], v[214:215] offset0:108 offset1:109
	scratch_load_b128 v[212:215], v252, off
	s_waitcnt vmcnt(0)
	ds_store_2addr_b64 v244, v[212:213], v[214:215] offset0:110 offset1:111
	;; [unrolled: 3-line block ×7, first 2 shown]
	ds_load_2addr_b64 v[212:215], v251 offset1:1
	s_waitcnt lgkmcnt(0)
	v_cmp_neq_f64_e32 vcc_lo, 0, v[212:213]
	v_cmp_neq_f64_e64 s3, 0, v[214:215]
	s_delay_alu instid0(VALU_DEP_1) | instskip(NEXT) | instid1(SALU_CYCLE_1)
	s_or_b32 s3, vcc_lo, s3
	s_and_b32 exec_lo, exec_lo, s3
	s_cbranch_execz .LBB121_608
; %bb.603:
	v_cmp_gt_f64_e32 vcc_lo, 0, v[212:213]
	v_xor_b32_e32 v0, 0x80000000, v213
	v_xor_b32_e32 v4, 0x80000000, v215
	s_delay_alu instid0(VALU_DEP_2) | instskip(SKIP_2) | instid1(VALU_DEP_4)
	v_cndmask_b32_e32 v1, v213, v0, vcc_lo
	v_cndmask_b32_e32 v0, v212, v212, vcc_lo
	v_cmp_gt_f64_e32 vcc_lo, 0, v[214:215]
	v_dual_cndmask_b32 v5, v215, v4 :: v_dual_cndmask_b32 v4, v214, v214
	s_delay_alu instid0(VALU_DEP_1) | instskip(SKIP_1) | instid1(SALU_CYCLE_1)
	v_cmp_ngt_f64_e32 vcc_lo, v[0:1], v[4:5]
                                        ; implicit-def: $vgpr0_vgpr1
	s_and_saveexec_b32 s3, vcc_lo
	s_xor_b32 s3, exec_lo, s3
                                        ; implicit-def: $vgpr216_vgpr217_vgpr218_vgpr219
	s_cbranch_execz .LBB121_605
; %bb.604:
	v_div_scale_f64 v[0:1], null, v[214:215], v[214:215], v[212:213]
	v_div_scale_f64 v[216:217], vcc_lo, v[212:213], v[214:215], v[212:213]
	s_delay_alu instid0(VALU_DEP_2) | instskip(SKIP_2) | instid1(VALU_DEP_1)
	v_rcp_f64_e32 v[4:5], v[0:1]
	s_waitcnt_depctr 0xfff
	v_fma_f64 v[6:7], -v[0:1], v[4:5], 1.0
	v_fma_f64 v[4:5], v[4:5], v[6:7], v[4:5]
	s_delay_alu instid0(VALU_DEP_1) | instskip(NEXT) | instid1(VALU_DEP_1)
	v_fma_f64 v[6:7], -v[0:1], v[4:5], 1.0
	v_fma_f64 v[4:5], v[4:5], v[6:7], v[4:5]
	s_delay_alu instid0(VALU_DEP_1) | instskip(NEXT) | instid1(VALU_DEP_1)
	v_mul_f64 v[6:7], v[216:217], v[4:5]
	v_fma_f64 v[0:1], -v[0:1], v[6:7], v[216:217]
	s_delay_alu instid0(VALU_DEP_1) | instskip(NEXT) | instid1(VALU_DEP_1)
	v_div_fmas_f64 v[0:1], v[0:1], v[4:5], v[6:7]
	v_div_fixup_f64 v[0:1], v[0:1], v[214:215], v[212:213]
	s_delay_alu instid0(VALU_DEP_1) | instskip(NEXT) | instid1(VALU_DEP_1)
	v_fma_f64 v[4:5], v[212:213], v[0:1], v[214:215]
	v_div_scale_f64 v[6:7], null, v[4:5], v[4:5], 1.0
	s_delay_alu instid0(VALU_DEP_1) | instskip(SKIP_2) | instid1(VALU_DEP_1)
	v_rcp_f64_e32 v[212:213], v[6:7]
	s_waitcnt_depctr 0xfff
	v_fma_f64 v[214:215], -v[6:7], v[212:213], 1.0
	v_fma_f64 v[212:213], v[212:213], v[214:215], v[212:213]
	s_delay_alu instid0(VALU_DEP_1) | instskip(NEXT) | instid1(VALU_DEP_1)
	v_fma_f64 v[214:215], -v[6:7], v[212:213], 1.0
	v_fma_f64 v[212:213], v[212:213], v[214:215], v[212:213]
	v_div_scale_f64 v[214:215], vcc_lo, 1.0, v[4:5], 1.0
	s_delay_alu instid0(VALU_DEP_1) | instskip(NEXT) | instid1(VALU_DEP_1)
	v_mul_f64 v[216:217], v[214:215], v[212:213]
	v_fma_f64 v[6:7], -v[6:7], v[216:217], v[214:215]
	s_delay_alu instid0(VALU_DEP_1) | instskip(NEXT) | instid1(VALU_DEP_1)
	v_div_fmas_f64 v[6:7], v[6:7], v[212:213], v[216:217]
                                        ; implicit-def: $vgpr212_vgpr213
	v_div_fixup_f64 v[218:219], v[6:7], v[4:5], 1.0
	s_delay_alu instid0(VALU_DEP_1)
	v_mul_f64 v[0:1], v[0:1], v[218:219]
	v_xor_b32_e32 v219, 0x80000000, v219
.LBB121_605:
	s_and_not1_saveexec_b32 s3, s3
	s_cbranch_execz .LBB121_607
; %bb.606:
	v_div_scale_f64 v[0:1], null, v[212:213], v[212:213], v[214:215]
	v_div_scale_f64 v[216:217], vcc_lo, v[214:215], v[212:213], v[214:215]
	s_delay_alu instid0(VALU_DEP_2) | instskip(SKIP_2) | instid1(VALU_DEP_1)
	v_rcp_f64_e32 v[4:5], v[0:1]
	s_waitcnt_depctr 0xfff
	v_fma_f64 v[6:7], -v[0:1], v[4:5], 1.0
	v_fma_f64 v[4:5], v[4:5], v[6:7], v[4:5]
	s_delay_alu instid0(VALU_DEP_1) | instskip(NEXT) | instid1(VALU_DEP_1)
	v_fma_f64 v[6:7], -v[0:1], v[4:5], 1.0
	v_fma_f64 v[4:5], v[4:5], v[6:7], v[4:5]
	s_delay_alu instid0(VALU_DEP_1) | instskip(NEXT) | instid1(VALU_DEP_1)
	v_mul_f64 v[6:7], v[216:217], v[4:5]
	v_fma_f64 v[0:1], -v[0:1], v[6:7], v[216:217]
	s_delay_alu instid0(VALU_DEP_1) | instskip(NEXT) | instid1(VALU_DEP_1)
	v_div_fmas_f64 v[0:1], v[0:1], v[4:5], v[6:7]
	v_div_fixup_f64 v[4:5], v[0:1], v[212:213], v[214:215]
	s_delay_alu instid0(VALU_DEP_1) | instskip(NEXT) | instid1(VALU_DEP_1)
	v_fma_f64 v[0:1], v[214:215], v[4:5], v[212:213]
	v_div_scale_f64 v[6:7], null, v[0:1], v[0:1], 1.0
	s_delay_alu instid0(VALU_DEP_1) | instskip(SKIP_2) | instid1(VALU_DEP_1)
	v_rcp_f64_e32 v[212:213], v[6:7]
	s_waitcnt_depctr 0xfff
	v_fma_f64 v[214:215], -v[6:7], v[212:213], 1.0
	v_fma_f64 v[212:213], v[212:213], v[214:215], v[212:213]
	s_delay_alu instid0(VALU_DEP_1) | instskip(NEXT) | instid1(VALU_DEP_1)
	v_fma_f64 v[214:215], -v[6:7], v[212:213], 1.0
	v_fma_f64 v[212:213], v[212:213], v[214:215], v[212:213]
	v_div_scale_f64 v[214:215], vcc_lo, 1.0, v[0:1], 1.0
	s_delay_alu instid0(VALU_DEP_1) | instskip(NEXT) | instid1(VALU_DEP_1)
	v_mul_f64 v[216:217], v[214:215], v[212:213]
	v_fma_f64 v[6:7], -v[6:7], v[216:217], v[214:215]
	s_delay_alu instid0(VALU_DEP_1) | instskip(NEXT) | instid1(VALU_DEP_1)
	v_div_fmas_f64 v[6:7], v[6:7], v[212:213], v[216:217]
	v_div_fixup_f64 v[0:1], v[6:7], v[0:1], 1.0
	s_delay_alu instid0(VALU_DEP_1)
	v_mul_f64 v[218:219], v[4:5], -v[0:1]
.LBB121_607:
	s_or_b32 exec_lo, exec_lo, s3
	ds_store_2addr_b64 v251, v[0:1], v[218:219] offset1:1
.LBB121_608:
	s_or_b32 exec_lo, exec_lo, s4
	s_waitcnt lgkmcnt(0)
	s_barrier
	buffer_gl0_inv
	ds_load_2addr_b64 v[212:215], v251 offset1:1
	s_mov_b32 s3, exec_lo
	v_cmpx_lt_u32_e32 53, v254
	s_cbranch_execz .LBB121_610
; %bb.609:
	scratch_load_b128 v[216:219], off, off offset:848
	s_waitcnt vmcnt(0) lgkmcnt(0)
	v_mul_f64 v[0:1], v[214:215], v[218:219]
	s_delay_alu instid0(VALU_DEP_1) | instskip(SKIP_1) | instid1(VALU_DEP_1)
	v_fma_f64 v[220:221], v[212:213], v[216:217], -v[0:1]
	v_mul_f64 v[0:1], v[212:213], v[218:219]
	v_fma_f64 v[222:223], v[214:215], v[216:217], v[0:1]
	ds_load_2addr_b64 v[216:219], v244 offset0:108 offset1:109
	s_waitcnt lgkmcnt(0)
	v_mul_f64 v[0:1], v[218:219], v[222:223]
	v_mul_f64 v[4:5], v[216:217], v[222:223]
	s_delay_alu instid0(VALU_DEP_2) | instskip(NEXT) | instid1(VALU_DEP_2)
	v_fma_f64 v[0:1], v[216:217], v[220:221], -v[0:1]
	v_fma_f64 v[4:5], v[218:219], v[220:221], v[4:5]
	scratch_load_b128 v[216:219], off, off offset:864
	s_waitcnt vmcnt(0)
	v_add_f64 v[216:217], v[216:217], -v[0:1]
	v_add_f64 v[218:219], v[218:219], -v[4:5]
	s_clause 0x1
	scratch_store_b128 off, v[220:223], off offset:848
	scratch_store_b128 off, v[216:219], off offset:864
	ds_load_2addr_b64 v[216:219], v244 offset0:110 offset1:111
	s_waitcnt lgkmcnt(0)
	v_mul_f64 v[0:1], v[218:219], v[222:223]
	v_mul_f64 v[4:5], v[216:217], v[222:223]
	s_delay_alu instid0(VALU_DEP_2) | instskip(NEXT) | instid1(VALU_DEP_2)
	v_fma_f64 v[0:1], v[216:217], v[220:221], -v[0:1]
	v_fma_f64 v[4:5], v[218:219], v[220:221], v[4:5]
	scratch_load_b128 v[216:219], off, off offset:880
	s_waitcnt vmcnt(0)
	v_add_f64 v[216:217], v[216:217], -v[0:1]
	v_add_f64 v[218:219], v[218:219], -v[4:5]
	scratch_store_b128 off, v[216:219], off offset:880
	ds_load_2addr_b64 v[216:219], v244 offset0:112 offset1:113
	s_waitcnt lgkmcnt(0)
	v_mul_f64 v[0:1], v[218:219], v[222:223]
	v_mul_f64 v[4:5], v[216:217], v[222:223]
	s_delay_alu instid0(VALU_DEP_2) | instskip(NEXT) | instid1(VALU_DEP_2)
	v_fma_f64 v[0:1], v[216:217], v[220:221], -v[0:1]
	v_fma_f64 v[4:5], v[218:219], v[220:221], v[4:5]
	scratch_load_b128 v[216:219], off, off offset:896
	s_waitcnt vmcnt(0)
	v_add_f64 v[216:217], v[216:217], -v[0:1]
	v_add_f64 v[218:219], v[218:219], -v[4:5]
	;; [unrolled: 12-line block ×4, first 2 shown]
	scratch_store_b128 off, v[216:219], off offset:928
	ds_load_2addr_b64 v[216:219], v244 offset0:118 offset1:119
	s_waitcnt lgkmcnt(0)
	v_mul_f64 v[0:1], v[218:219], v[222:223]
	v_mul_f64 v[4:5], v[216:217], v[222:223]
	s_delay_alu instid0(VALU_DEP_2) | instskip(NEXT) | instid1(VALU_DEP_2)
	v_fma_f64 v[0:1], v[216:217], v[220:221], -v[0:1]
	v_fma_f64 v[4:5], v[218:219], v[220:221], v[4:5]
	s_clause 0x1
	scratch_load_b128 v[216:219], off, off offset:944
	scratch_load_b128 v[220:223], off, off offset:848
	s_waitcnt vmcnt(1)
	v_add_f64 v[216:217], v[216:217], -v[0:1]
	v_add_f64 v[218:219], v[218:219], -v[4:5]
	scratch_store_b128 off, v[216:219], off offset:944
	ds_load_2addr_b64 v[216:219], v244 offset0:120 offset1:121
	s_waitcnt vmcnt(0) lgkmcnt(0)
	v_mul_f64 v[0:1], v[218:219], v[222:223]
	v_mul_f64 v[4:5], v[216:217], v[222:223]
	s_delay_alu instid0(VALU_DEP_2) | instskip(NEXT) | instid1(VALU_DEP_2)
	v_fma_f64 v[0:1], v[216:217], v[220:221], -v[0:1]
	v_fma_f64 v[4:5], v[218:219], v[220:221], v[4:5]
	scratch_load_b128 v[216:219], off, off offset:960
	s_waitcnt vmcnt(0)
	v_add_f64 v[216:217], v[216:217], -v[0:1]
	v_add_f64 v[218:219], v[218:219], -v[4:5]
	scratch_store_b128 off, v[216:219], off offset:960
.LBB121_610:
	s_or_b32 exec_lo, exec_lo, s3
	s_delay_alu instid0(SALU_CYCLE_1)
	s_mov_b32 s4, exec_lo
	s_waitcnt lgkmcnt(0)
	s_waitcnt_vscnt null, 0x0
	s_barrier
	buffer_gl0_inv
	v_cmpx_eq_u32_e32 54, v254
	s_cbranch_execz .LBB121_617
; %bb.611:
	scratch_load_b128 v[216:219], v253, off
	s_waitcnt vmcnt(0)
	ds_store_2addr_b64 v251, v[216:217], v[218:219] offset1:1
	scratch_load_b128 v[216:219], v252, off
	s_waitcnt vmcnt(0)
	ds_store_2addr_b64 v244, v[216:217], v[218:219] offset0:110 offset1:111
	scratch_load_b128 v[216:219], v249, off
	s_waitcnt vmcnt(0)
	ds_store_2addr_b64 v244, v[216:217], v[218:219] offset0:112 offset1:113
	;; [unrolled: 3-line block ×6, first 2 shown]
	ds_load_2addr_b64 v[216:219], v251 offset1:1
	s_waitcnt lgkmcnt(0)
	v_cmp_neq_f64_e32 vcc_lo, 0, v[216:217]
	v_cmp_neq_f64_e64 s3, 0, v[218:219]
	s_delay_alu instid0(VALU_DEP_1) | instskip(NEXT) | instid1(SALU_CYCLE_1)
	s_or_b32 s3, vcc_lo, s3
	s_and_b32 exec_lo, exec_lo, s3
	s_cbranch_execz .LBB121_617
; %bb.612:
	v_cmp_gt_f64_e32 vcc_lo, 0, v[216:217]
	v_xor_b32_e32 v0, 0x80000000, v217
	v_xor_b32_e32 v4, 0x80000000, v219
	s_delay_alu instid0(VALU_DEP_2) | instskip(SKIP_2) | instid1(VALU_DEP_4)
	v_cndmask_b32_e32 v1, v217, v0, vcc_lo
	v_cndmask_b32_e32 v0, v216, v216, vcc_lo
	v_cmp_gt_f64_e32 vcc_lo, 0, v[218:219]
	v_dual_cndmask_b32 v5, v219, v4 :: v_dual_cndmask_b32 v4, v218, v218
	s_delay_alu instid0(VALU_DEP_1) | instskip(SKIP_1) | instid1(SALU_CYCLE_1)
	v_cmp_ngt_f64_e32 vcc_lo, v[0:1], v[4:5]
                                        ; implicit-def: $vgpr0_vgpr1
	s_and_saveexec_b32 s3, vcc_lo
	s_xor_b32 s3, exec_lo, s3
                                        ; implicit-def: $vgpr220_vgpr221_vgpr222_vgpr223
	s_cbranch_execz .LBB121_614
; %bb.613:
	v_div_scale_f64 v[0:1], null, v[218:219], v[218:219], v[216:217]
	v_div_scale_f64 v[220:221], vcc_lo, v[216:217], v[218:219], v[216:217]
	s_delay_alu instid0(VALU_DEP_2) | instskip(SKIP_2) | instid1(VALU_DEP_1)
	v_rcp_f64_e32 v[4:5], v[0:1]
	s_waitcnt_depctr 0xfff
	v_fma_f64 v[6:7], -v[0:1], v[4:5], 1.0
	v_fma_f64 v[4:5], v[4:5], v[6:7], v[4:5]
	s_delay_alu instid0(VALU_DEP_1) | instskip(NEXT) | instid1(VALU_DEP_1)
	v_fma_f64 v[6:7], -v[0:1], v[4:5], 1.0
	v_fma_f64 v[4:5], v[4:5], v[6:7], v[4:5]
	s_delay_alu instid0(VALU_DEP_1) | instskip(NEXT) | instid1(VALU_DEP_1)
	v_mul_f64 v[6:7], v[220:221], v[4:5]
	v_fma_f64 v[0:1], -v[0:1], v[6:7], v[220:221]
	s_delay_alu instid0(VALU_DEP_1) | instskip(NEXT) | instid1(VALU_DEP_1)
	v_div_fmas_f64 v[0:1], v[0:1], v[4:5], v[6:7]
	v_div_fixup_f64 v[0:1], v[0:1], v[218:219], v[216:217]
	s_delay_alu instid0(VALU_DEP_1) | instskip(NEXT) | instid1(VALU_DEP_1)
	v_fma_f64 v[4:5], v[216:217], v[0:1], v[218:219]
	v_div_scale_f64 v[6:7], null, v[4:5], v[4:5], 1.0
	s_delay_alu instid0(VALU_DEP_1) | instskip(SKIP_2) | instid1(VALU_DEP_1)
	v_rcp_f64_e32 v[216:217], v[6:7]
	s_waitcnt_depctr 0xfff
	v_fma_f64 v[218:219], -v[6:7], v[216:217], 1.0
	v_fma_f64 v[216:217], v[216:217], v[218:219], v[216:217]
	s_delay_alu instid0(VALU_DEP_1) | instskip(NEXT) | instid1(VALU_DEP_1)
	v_fma_f64 v[218:219], -v[6:7], v[216:217], 1.0
	v_fma_f64 v[216:217], v[216:217], v[218:219], v[216:217]
	v_div_scale_f64 v[218:219], vcc_lo, 1.0, v[4:5], 1.0
	s_delay_alu instid0(VALU_DEP_1) | instskip(NEXT) | instid1(VALU_DEP_1)
	v_mul_f64 v[220:221], v[218:219], v[216:217]
	v_fma_f64 v[6:7], -v[6:7], v[220:221], v[218:219]
	s_delay_alu instid0(VALU_DEP_1) | instskip(NEXT) | instid1(VALU_DEP_1)
	v_div_fmas_f64 v[6:7], v[6:7], v[216:217], v[220:221]
                                        ; implicit-def: $vgpr216_vgpr217
	v_div_fixup_f64 v[222:223], v[6:7], v[4:5], 1.0
	s_delay_alu instid0(VALU_DEP_1)
	v_mul_f64 v[0:1], v[0:1], v[222:223]
	v_xor_b32_e32 v223, 0x80000000, v223
.LBB121_614:
	s_and_not1_saveexec_b32 s3, s3
	s_cbranch_execz .LBB121_616
; %bb.615:
	v_div_scale_f64 v[0:1], null, v[216:217], v[216:217], v[218:219]
	v_div_scale_f64 v[220:221], vcc_lo, v[218:219], v[216:217], v[218:219]
	s_delay_alu instid0(VALU_DEP_2) | instskip(SKIP_2) | instid1(VALU_DEP_1)
	v_rcp_f64_e32 v[4:5], v[0:1]
	s_waitcnt_depctr 0xfff
	v_fma_f64 v[6:7], -v[0:1], v[4:5], 1.0
	v_fma_f64 v[4:5], v[4:5], v[6:7], v[4:5]
	s_delay_alu instid0(VALU_DEP_1) | instskip(NEXT) | instid1(VALU_DEP_1)
	v_fma_f64 v[6:7], -v[0:1], v[4:5], 1.0
	v_fma_f64 v[4:5], v[4:5], v[6:7], v[4:5]
	s_delay_alu instid0(VALU_DEP_1) | instskip(NEXT) | instid1(VALU_DEP_1)
	v_mul_f64 v[6:7], v[220:221], v[4:5]
	v_fma_f64 v[0:1], -v[0:1], v[6:7], v[220:221]
	s_delay_alu instid0(VALU_DEP_1) | instskip(NEXT) | instid1(VALU_DEP_1)
	v_div_fmas_f64 v[0:1], v[0:1], v[4:5], v[6:7]
	v_div_fixup_f64 v[4:5], v[0:1], v[216:217], v[218:219]
	s_delay_alu instid0(VALU_DEP_1) | instskip(NEXT) | instid1(VALU_DEP_1)
	v_fma_f64 v[0:1], v[218:219], v[4:5], v[216:217]
	v_div_scale_f64 v[6:7], null, v[0:1], v[0:1], 1.0
	s_delay_alu instid0(VALU_DEP_1) | instskip(SKIP_2) | instid1(VALU_DEP_1)
	v_rcp_f64_e32 v[216:217], v[6:7]
	s_waitcnt_depctr 0xfff
	v_fma_f64 v[218:219], -v[6:7], v[216:217], 1.0
	v_fma_f64 v[216:217], v[216:217], v[218:219], v[216:217]
	s_delay_alu instid0(VALU_DEP_1) | instskip(NEXT) | instid1(VALU_DEP_1)
	v_fma_f64 v[218:219], -v[6:7], v[216:217], 1.0
	v_fma_f64 v[216:217], v[216:217], v[218:219], v[216:217]
	v_div_scale_f64 v[218:219], vcc_lo, 1.0, v[0:1], 1.0
	s_delay_alu instid0(VALU_DEP_1) | instskip(NEXT) | instid1(VALU_DEP_1)
	v_mul_f64 v[220:221], v[218:219], v[216:217]
	v_fma_f64 v[6:7], -v[6:7], v[220:221], v[218:219]
	s_delay_alu instid0(VALU_DEP_1) | instskip(NEXT) | instid1(VALU_DEP_1)
	v_div_fmas_f64 v[6:7], v[6:7], v[216:217], v[220:221]
	v_div_fixup_f64 v[0:1], v[6:7], v[0:1], 1.0
	s_delay_alu instid0(VALU_DEP_1)
	v_mul_f64 v[222:223], v[4:5], -v[0:1]
.LBB121_616:
	s_or_b32 exec_lo, exec_lo, s3
	ds_store_2addr_b64 v251, v[0:1], v[222:223] offset1:1
.LBB121_617:
	s_or_b32 exec_lo, exec_lo, s4
	s_waitcnt lgkmcnt(0)
	s_barrier
	buffer_gl0_inv
	ds_load_2addr_b64 v[216:219], v251 offset1:1
	s_mov_b32 s3, exec_lo
	v_cmpx_lt_u32_e32 54, v254
	s_cbranch_execz .LBB121_619
; %bb.618:
	scratch_load_b128 v[220:223], off, off offset:864
	s_waitcnt vmcnt(0) lgkmcnt(0)
	v_mul_f64 v[0:1], v[218:219], v[222:223]
	s_delay_alu instid0(VALU_DEP_1) | instskip(SKIP_1) | instid1(VALU_DEP_1)
	v_fma_f64 v[224:225], v[216:217], v[220:221], -v[0:1]
	v_mul_f64 v[0:1], v[216:217], v[222:223]
	v_fma_f64 v[226:227], v[218:219], v[220:221], v[0:1]
	ds_load_2addr_b64 v[220:223], v244 offset0:110 offset1:111
	s_waitcnt lgkmcnt(0)
	v_mul_f64 v[0:1], v[222:223], v[226:227]
	v_mul_f64 v[4:5], v[220:221], v[226:227]
	s_delay_alu instid0(VALU_DEP_2) | instskip(NEXT) | instid1(VALU_DEP_2)
	v_fma_f64 v[0:1], v[220:221], v[224:225], -v[0:1]
	v_fma_f64 v[4:5], v[222:223], v[224:225], v[4:5]
	scratch_load_b128 v[220:223], off, off offset:880
	s_waitcnt vmcnt(0)
	v_add_f64 v[220:221], v[220:221], -v[0:1]
	v_add_f64 v[222:223], v[222:223], -v[4:5]
	s_clause 0x1
	scratch_store_b128 off, v[224:227], off offset:864
	scratch_store_b128 off, v[220:223], off offset:880
	ds_load_2addr_b64 v[220:223], v244 offset0:112 offset1:113
	s_waitcnt lgkmcnt(0)
	v_mul_f64 v[0:1], v[222:223], v[226:227]
	v_mul_f64 v[4:5], v[220:221], v[226:227]
	s_delay_alu instid0(VALU_DEP_2) | instskip(NEXT) | instid1(VALU_DEP_2)
	v_fma_f64 v[0:1], v[220:221], v[224:225], -v[0:1]
	v_fma_f64 v[4:5], v[222:223], v[224:225], v[4:5]
	scratch_load_b128 v[220:223], off, off offset:896
	s_waitcnt vmcnt(0)
	v_add_f64 v[220:221], v[220:221], -v[0:1]
	v_add_f64 v[222:223], v[222:223], -v[4:5]
	scratch_store_b128 off, v[220:223], off offset:896
	ds_load_2addr_b64 v[220:223], v244 offset0:114 offset1:115
	s_waitcnt lgkmcnt(0)
	v_mul_f64 v[0:1], v[222:223], v[226:227]
	v_mul_f64 v[4:5], v[220:221], v[226:227]
	s_delay_alu instid0(VALU_DEP_2) | instskip(NEXT) | instid1(VALU_DEP_2)
	v_fma_f64 v[0:1], v[220:221], v[224:225], -v[0:1]
	v_fma_f64 v[4:5], v[222:223], v[224:225], v[4:5]
	scratch_load_b128 v[220:223], off, off offset:912
	s_waitcnt vmcnt(0)
	v_add_f64 v[220:221], v[220:221], -v[0:1]
	v_add_f64 v[222:223], v[222:223], -v[4:5]
	;; [unrolled: 12-line block ×5, first 2 shown]
	scratch_store_b128 off, v[220:223], off offset:960
.LBB121_619:
	s_or_b32 exec_lo, exec_lo, s3
	s_delay_alu instid0(SALU_CYCLE_1)
	s_mov_b32 s4, exec_lo
	s_waitcnt lgkmcnt(0)
	s_waitcnt_vscnt null, 0x0
	s_barrier
	buffer_gl0_inv
	v_cmpx_eq_u32_e32 55, v254
	s_cbranch_execz .LBB121_626
; %bb.620:
	scratch_load_b128 v[220:223], v252, off
	s_waitcnt vmcnt(0)
	ds_store_2addr_b64 v251, v[220:221], v[222:223] offset1:1
	scratch_load_b128 v[220:223], v249, off
	s_waitcnt vmcnt(0)
	ds_store_2addr_b64 v244, v[220:221], v[222:223] offset0:112 offset1:113
	scratch_load_b128 v[220:223], v248, off
	s_waitcnt vmcnt(0)
	ds_store_2addr_b64 v244, v[220:221], v[222:223] offset0:114 offset1:115
	;; [unrolled: 3-line block ×5, first 2 shown]
	ds_load_2addr_b64 v[220:223], v251 offset1:1
	s_waitcnt lgkmcnt(0)
	v_cmp_neq_f64_e32 vcc_lo, 0, v[220:221]
	v_cmp_neq_f64_e64 s3, 0, v[222:223]
	s_delay_alu instid0(VALU_DEP_1) | instskip(NEXT) | instid1(SALU_CYCLE_1)
	s_or_b32 s3, vcc_lo, s3
	s_and_b32 exec_lo, exec_lo, s3
	s_cbranch_execz .LBB121_626
; %bb.621:
	v_cmp_gt_f64_e32 vcc_lo, 0, v[220:221]
	v_xor_b32_e32 v0, 0x80000000, v221
	v_xor_b32_e32 v4, 0x80000000, v223
	s_delay_alu instid0(VALU_DEP_2) | instskip(SKIP_2) | instid1(VALU_DEP_4)
	v_cndmask_b32_e32 v1, v221, v0, vcc_lo
	v_cndmask_b32_e32 v0, v220, v220, vcc_lo
	v_cmp_gt_f64_e32 vcc_lo, 0, v[222:223]
	v_dual_cndmask_b32 v5, v223, v4 :: v_dual_cndmask_b32 v4, v222, v222
	s_delay_alu instid0(VALU_DEP_1) | instskip(SKIP_1) | instid1(SALU_CYCLE_1)
	v_cmp_ngt_f64_e32 vcc_lo, v[0:1], v[4:5]
                                        ; implicit-def: $vgpr0_vgpr1
	s_and_saveexec_b32 s3, vcc_lo
	s_xor_b32 s3, exec_lo, s3
                                        ; implicit-def: $vgpr224_vgpr225_vgpr226_vgpr227
	s_cbranch_execz .LBB121_623
; %bb.622:
	v_div_scale_f64 v[0:1], null, v[222:223], v[222:223], v[220:221]
	v_div_scale_f64 v[224:225], vcc_lo, v[220:221], v[222:223], v[220:221]
	s_delay_alu instid0(VALU_DEP_2) | instskip(SKIP_2) | instid1(VALU_DEP_1)
	v_rcp_f64_e32 v[4:5], v[0:1]
	s_waitcnt_depctr 0xfff
	v_fma_f64 v[6:7], -v[0:1], v[4:5], 1.0
	v_fma_f64 v[4:5], v[4:5], v[6:7], v[4:5]
	s_delay_alu instid0(VALU_DEP_1) | instskip(NEXT) | instid1(VALU_DEP_1)
	v_fma_f64 v[6:7], -v[0:1], v[4:5], 1.0
	v_fma_f64 v[4:5], v[4:5], v[6:7], v[4:5]
	s_delay_alu instid0(VALU_DEP_1) | instskip(NEXT) | instid1(VALU_DEP_1)
	v_mul_f64 v[6:7], v[224:225], v[4:5]
	v_fma_f64 v[0:1], -v[0:1], v[6:7], v[224:225]
	s_delay_alu instid0(VALU_DEP_1) | instskip(NEXT) | instid1(VALU_DEP_1)
	v_div_fmas_f64 v[0:1], v[0:1], v[4:5], v[6:7]
	v_div_fixup_f64 v[0:1], v[0:1], v[222:223], v[220:221]
	s_delay_alu instid0(VALU_DEP_1) | instskip(NEXT) | instid1(VALU_DEP_1)
	v_fma_f64 v[4:5], v[220:221], v[0:1], v[222:223]
	v_div_scale_f64 v[6:7], null, v[4:5], v[4:5], 1.0
	s_delay_alu instid0(VALU_DEP_1) | instskip(SKIP_2) | instid1(VALU_DEP_1)
	v_rcp_f64_e32 v[220:221], v[6:7]
	s_waitcnt_depctr 0xfff
	v_fma_f64 v[222:223], -v[6:7], v[220:221], 1.0
	v_fma_f64 v[220:221], v[220:221], v[222:223], v[220:221]
	s_delay_alu instid0(VALU_DEP_1) | instskip(NEXT) | instid1(VALU_DEP_1)
	v_fma_f64 v[222:223], -v[6:7], v[220:221], 1.0
	v_fma_f64 v[220:221], v[220:221], v[222:223], v[220:221]
	v_div_scale_f64 v[222:223], vcc_lo, 1.0, v[4:5], 1.0
	s_delay_alu instid0(VALU_DEP_1) | instskip(NEXT) | instid1(VALU_DEP_1)
	v_mul_f64 v[224:225], v[222:223], v[220:221]
	v_fma_f64 v[6:7], -v[6:7], v[224:225], v[222:223]
	s_delay_alu instid0(VALU_DEP_1) | instskip(NEXT) | instid1(VALU_DEP_1)
	v_div_fmas_f64 v[6:7], v[6:7], v[220:221], v[224:225]
                                        ; implicit-def: $vgpr220_vgpr221
	v_div_fixup_f64 v[226:227], v[6:7], v[4:5], 1.0
	s_delay_alu instid0(VALU_DEP_1)
	v_mul_f64 v[0:1], v[0:1], v[226:227]
	v_xor_b32_e32 v227, 0x80000000, v227
.LBB121_623:
	s_and_not1_saveexec_b32 s3, s3
	s_cbranch_execz .LBB121_625
; %bb.624:
	v_div_scale_f64 v[0:1], null, v[220:221], v[220:221], v[222:223]
	v_div_scale_f64 v[224:225], vcc_lo, v[222:223], v[220:221], v[222:223]
	s_delay_alu instid0(VALU_DEP_2) | instskip(SKIP_2) | instid1(VALU_DEP_1)
	v_rcp_f64_e32 v[4:5], v[0:1]
	s_waitcnt_depctr 0xfff
	v_fma_f64 v[6:7], -v[0:1], v[4:5], 1.0
	v_fma_f64 v[4:5], v[4:5], v[6:7], v[4:5]
	s_delay_alu instid0(VALU_DEP_1) | instskip(NEXT) | instid1(VALU_DEP_1)
	v_fma_f64 v[6:7], -v[0:1], v[4:5], 1.0
	v_fma_f64 v[4:5], v[4:5], v[6:7], v[4:5]
	s_delay_alu instid0(VALU_DEP_1) | instskip(NEXT) | instid1(VALU_DEP_1)
	v_mul_f64 v[6:7], v[224:225], v[4:5]
	v_fma_f64 v[0:1], -v[0:1], v[6:7], v[224:225]
	s_delay_alu instid0(VALU_DEP_1) | instskip(NEXT) | instid1(VALU_DEP_1)
	v_div_fmas_f64 v[0:1], v[0:1], v[4:5], v[6:7]
	v_div_fixup_f64 v[4:5], v[0:1], v[220:221], v[222:223]
	s_delay_alu instid0(VALU_DEP_1) | instskip(NEXT) | instid1(VALU_DEP_1)
	v_fma_f64 v[0:1], v[222:223], v[4:5], v[220:221]
	v_div_scale_f64 v[6:7], null, v[0:1], v[0:1], 1.0
	s_delay_alu instid0(VALU_DEP_1) | instskip(SKIP_2) | instid1(VALU_DEP_1)
	v_rcp_f64_e32 v[220:221], v[6:7]
	s_waitcnt_depctr 0xfff
	v_fma_f64 v[222:223], -v[6:7], v[220:221], 1.0
	v_fma_f64 v[220:221], v[220:221], v[222:223], v[220:221]
	s_delay_alu instid0(VALU_DEP_1) | instskip(NEXT) | instid1(VALU_DEP_1)
	v_fma_f64 v[222:223], -v[6:7], v[220:221], 1.0
	v_fma_f64 v[220:221], v[220:221], v[222:223], v[220:221]
	v_div_scale_f64 v[222:223], vcc_lo, 1.0, v[0:1], 1.0
	s_delay_alu instid0(VALU_DEP_1) | instskip(NEXT) | instid1(VALU_DEP_1)
	v_mul_f64 v[224:225], v[222:223], v[220:221]
	v_fma_f64 v[6:7], -v[6:7], v[224:225], v[222:223]
	s_delay_alu instid0(VALU_DEP_1) | instskip(NEXT) | instid1(VALU_DEP_1)
	v_div_fmas_f64 v[6:7], v[6:7], v[220:221], v[224:225]
	v_div_fixup_f64 v[0:1], v[6:7], v[0:1], 1.0
	s_delay_alu instid0(VALU_DEP_1)
	v_mul_f64 v[226:227], v[4:5], -v[0:1]
.LBB121_625:
	s_or_b32 exec_lo, exec_lo, s3
	ds_store_2addr_b64 v251, v[0:1], v[226:227] offset1:1
.LBB121_626:
	s_or_b32 exec_lo, exec_lo, s4
	s_waitcnt lgkmcnt(0)
	s_barrier
	buffer_gl0_inv
	ds_load_2addr_b64 v[220:223], v251 offset1:1
	s_mov_b32 s3, exec_lo
	v_cmpx_lt_u32_e32 55, v254
	s_cbranch_execz .LBB121_628
; %bb.627:
	scratch_load_b128 v[224:227], off, off offset:880
	s_waitcnt vmcnt(0) lgkmcnt(0)
	v_mul_f64 v[0:1], v[222:223], v[226:227]
	s_delay_alu instid0(VALU_DEP_1) | instskip(SKIP_1) | instid1(VALU_DEP_1)
	v_fma_f64 v[228:229], v[220:221], v[224:225], -v[0:1]
	v_mul_f64 v[0:1], v[220:221], v[226:227]
	v_fma_f64 v[230:231], v[222:223], v[224:225], v[0:1]
	ds_load_2addr_b64 v[224:227], v244 offset0:112 offset1:113
	s_waitcnt lgkmcnt(0)
	v_mul_f64 v[0:1], v[226:227], v[230:231]
	v_mul_f64 v[4:5], v[224:225], v[230:231]
	s_delay_alu instid0(VALU_DEP_2) | instskip(NEXT) | instid1(VALU_DEP_2)
	v_fma_f64 v[0:1], v[224:225], v[228:229], -v[0:1]
	v_fma_f64 v[4:5], v[226:227], v[228:229], v[4:5]
	scratch_load_b128 v[224:227], off, off offset:896
	s_waitcnt vmcnt(0)
	v_add_f64 v[224:225], v[224:225], -v[0:1]
	v_add_f64 v[226:227], v[226:227], -v[4:5]
	s_clause 0x1
	scratch_store_b128 off, v[228:231], off offset:880
	scratch_store_b128 off, v[224:227], off offset:896
	ds_load_2addr_b64 v[224:227], v244 offset0:114 offset1:115
	s_waitcnt lgkmcnt(0)
	v_mul_f64 v[0:1], v[226:227], v[230:231]
	v_mul_f64 v[4:5], v[224:225], v[230:231]
	s_delay_alu instid0(VALU_DEP_2) | instskip(NEXT) | instid1(VALU_DEP_2)
	v_fma_f64 v[0:1], v[224:225], v[228:229], -v[0:1]
	v_fma_f64 v[4:5], v[226:227], v[228:229], v[4:5]
	scratch_load_b128 v[224:227], off, off offset:912
	s_waitcnt vmcnt(0)
	v_add_f64 v[224:225], v[224:225], -v[0:1]
	v_add_f64 v[226:227], v[226:227], -v[4:5]
	scratch_store_b128 off, v[224:227], off offset:912
	ds_load_2addr_b64 v[224:227], v244 offset0:116 offset1:117
	s_waitcnt lgkmcnt(0)
	v_mul_f64 v[0:1], v[226:227], v[230:231]
	v_mul_f64 v[4:5], v[224:225], v[230:231]
	s_delay_alu instid0(VALU_DEP_2) | instskip(NEXT) | instid1(VALU_DEP_2)
	v_fma_f64 v[0:1], v[224:225], v[228:229], -v[0:1]
	v_fma_f64 v[4:5], v[226:227], v[228:229], v[4:5]
	scratch_load_b128 v[224:227], off, off offset:928
	s_waitcnt vmcnt(0)
	v_add_f64 v[224:225], v[224:225], -v[0:1]
	v_add_f64 v[226:227], v[226:227], -v[4:5]
	;; [unrolled: 12-line block ×4, first 2 shown]
	scratch_store_b128 off, v[224:227], off offset:960
.LBB121_628:
	s_or_b32 exec_lo, exec_lo, s3
	s_delay_alu instid0(SALU_CYCLE_1)
	s_mov_b32 s4, exec_lo
	s_waitcnt lgkmcnt(0)
	s_waitcnt_vscnt null, 0x0
	s_barrier
	buffer_gl0_inv
	v_cmpx_eq_u32_e32 56, v254
	s_cbranch_execz .LBB121_635
; %bb.629:
	scratch_load_b128 v[224:227], v249, off
	s_waitcnt vmcnt(0)
	ds_store_2addr_b64 v251, v[224:225], v[226:227] offset1:1
	scratch_load_b128 v[224:227], v248, off
	s_waitcnt vmcnt(0)
	ds_store_2addr_b64 v244, v[224:225], v[226:227] offset0:114 offset1:115
	scratch_load_b128 v[224:227], v255, off
	s_waitcnt vmcnt(0)
	ds_store_2addr_b64 v244, v[224:225], v[226:227] offset0:116 offset1:117
	;; [unrolled: 3-line block ×4, first 2 shown]
	ds_load_2addr_b64 v[224:227], v251 offset1:1
	s_waitcnt lgkmcnt(0)
	v_cmp_neq_f64_e32 vcc_lo, 0, v[224:225]
	v_cmp_neq_f64_e64 s3, 0, v[226:227]
	s_delay_alu instid0(VALU_DEP_1) | instskip(NEXT) | instid1(SALU_CYCLE_1)
	s_or_b32 s3, vcc_lo, s3
	s_and_b32 exec_lo, exec_lo, s3
	s_cbranch_execz .LBB121_635
; %bb.630:
	v_cmp_gt_f64_e32 vcc_lo, 0, v[224:225]
	v_xor_b32_e32 v0, 0x80000000, v225
	v_xor_b32_e32 v4, 0x80000000, v227
	s_delay_alu instid0(VALU_DEP_2) | instskip(SKIP_2) | instid1(VALU_DEP_4)
	v_cndmask_b32_e32 v1, v225, v0, vcc_lo
	v_cndmask_b32_e32 v0, v224, v224, vcc_lo
	v_cmp_gt_f64_e32 vcc_lo, 0, v[226:227]
	v_dual_cndmask_b32 v5, v227, v4 :: v_dual_cndmask_b32 v4, v226, v226
	s_delay_alu instid0(VALU_DEP_1) | instskip(SKIP_1) | instid1(SALU_CYCLE_1)
	v_cmp_ngt_f64_e32 vcc_lo, v[0:1], v[4:5]
                                        ; implicit-def: $vgpr0_vgpr1
	s_and_saveexec_b32 s3, vcc_lo
	s_xor_b32 s3, exec_lo, s3
                                        ; implicit-def: $vgpr228_vgpr229_vgpr230_vgpr231
	s_cbranch_execz .LBB121_632
; %bb.631:
	v_div_scale_f64 v[0:1], null, v[226:227], v[226:227], v[224:225]
	v_div_scale_f64 v[228:229], vcc_lo, v[224:225], v[226:227], v[224:225]
	s_delay_alu instid0(VALU_DEP_2) | instskip(SKIP_2) | instid1(VALU_DEP_1)
	v_rcp_f64_e32 v[4:5], v[0:1]
	s_waitcnt_depctr 0xfff
	v_fma_f64 v[6:7], -v[0:1], v[4:5], 1.0
	v_fma_f64 v[4:5], v[4:5], v[6:7], v[4:5]
	s_delay_alu instid0(VALU_DEP_1) | instskip(NEXT) | instid1(VALU_DEP_1)
	v_fma_f64 v[6:7], -v[0:1], v[4:5], 1.0
	v_fma_f64 v[4:5], v[4:5], v[6:7], v[4:5]
	s_delay_alu instid0(VALU_DEP_1) | instskip(NEXT) | instid1(VALU_DEP_1)
	v_mul_f64 v[6:7], v[228:229], v[4:5]
	v_fma_f64 v[0:1], -v[0:1], v[6:7], v[228:229]
	s_delay_alu instid0(VALU_DEP_1) | instskip(NEXT) | instid1(VALU_DEP_1)
	v_div_fmas_f64 v[0:1], v[0:1], v[4:5], v[6:7]
	v_div_fixup_f64 v[0:1], v[0:1], v[226:227], v[224:225]
	s_delay_alu instid0(VALU_DEP_1) | instskip(NEXT) | instid1(VALU_DEP_1)
	v_fma_f64 v[4:5], v[224:225], v[0:1], v[226:227]
	v_div_scale_f64 v[6:7], null, v[4:5], v[4:5], 1.0
	s_delay_alu instid0(VALU_DEP_1) | instskip(SKIP_2) | instid1(VALU_DEP_1)
	v_rcp_f64_e32 v[224:225], v[6:7]
	s_waitcnt_depctr 0xfff
	v_fma_f64 v[226:227], -v[6:7], v[224:225], 1.0
	v_fma_f64 v[224:225], v[224:225], v[226:227], v[224:225]
	s_delay_alu instid0(VALU_DEP_1) | instskip(NEXT) | instid1(VALU_DEP_1)
	v_fma_f64 v[226:227], -v[6:7], v[224:225], 1.0
	v_fma_f64 v[224:225], v[224:225], v[226:227], v[224:225]
	v_div_scale_f64 v[226:227], vcc_lo, 1.0, v[4:5], 1.0
	s_delay_alu instid0(VALU_DEP_1) | instskip(NEXT) | instid1(VALU_DEP_1)
	v_mul_f64 v[228:229], v[226:227], v[224:225]
	v_fma_f64 v[6:7], -v[6:7], v[228:229], v[226:227]
	s_delay_alu instid0(VALU_DEP_1) | instskip(NEXT) | instid1(VALU_DEP_1)
	v_div_fmas_f64 v[6:7], v[6:7], v[224:225], v[228:229]
                                        ; implicit-def: $vgpr224_vgpr225
	v_div_fixup_f64 v[230:231], v[6:7], v[4:5], 1.0
	s_delay_alu instid0(VALU_DEP_1)
	v_mul_f64 v[0:1], v[0:1], v[230:231]
	v_xor_b32_e32 v231, 0x80000000, v231
.LBB121_632:
	s_and_not1_saveexec_b32 s3, s3
	s_cbranch_execz .LBB121_634
; %bb.633:
	v_div_scale_f64 v[0:1], null, v[224:225], v[224:225], v[226:227]
	v_div_scale_f64 v[228:229], vcc_lo, v[226:227], v[224:225], v[226:227]
	s_delay_alu instid0(VALU_DEP_2) | instskip(SKIP_2) | instid1(VALU_DEP_1)
	v_rcp_f64_e32 v[4:5], v[0:1]
	s_waitcnt_depctr 0xfff
	v_fma_f64 v[6:7], -v[0:1], v[4:5], 1.0
	v_fma_f64 v[4:5], v[4:5], v[6:7], v[4:5]
	s_delay_alu instid0(VALU_DEP_1) | instskip(NEXT) | instid1(VALU_DEP_1)
	v_fma_f64 v[6:7], -v[0:1], v[4:5], 1.0
	v_fma_f64 v[4:5], v[4:5], v[6:7], v[4:5]
	s_delay_alu instid0(VALU_DEP_1) | instskip(NEXT) | instid1(VALU_DEP_1)
	v_mul_f64 v[6:7], v[228:229], v[4:5]
	v_fma_f64 v[0:1], -v[0:1], v[6:7], v[228:229]
	s_delay_alu instid0(VALU_DEP_1) | instskip(NEXT) | instid1(VALU_DEP_1)
	v_div_fmas_f64 v[0:1], v[0:1], v[4:5], v[6:7]
	v_div_fixup_f64 v[4:5], v[0:1], v[224:225], v[226:227]
	s_delay_alu instid0(VALU_DEP_1) | instskip(NEXT) | instid1(VALU_DEP_1)
	v_fma_f64 v[0:1], v[226:227], v[4:5], v[224:225]
	v_div_scale_f64 v[6:7], null, v[0:1], v[0:1], 1.0
	s_delay_alu instid0(VALU_DEP_1) | instskip(SKIP_2) | instid1(VALU_DEP_1)
	v_rcp_f64_e32 v[224:225], v[6:7]
	s_waitcnt_depctr 0xfff
	v_fma_f64 v[226:227], -v[6:7], v[224:225], 1.0
	v_fma_f64 v[224:225], v[224:225], v[226:227], v[224:225]
	s_delay_alu instid0(VALU_DEP_1) | instskip(NEXT) | instid1(VALU_DEP_1)
	v_fma_f64 v[226:227], -v[6:7], v[224:225], 1.0
	v_fma_f64 v[224:225], v[224:225], v[226:227], v[224:225]
	v_div_scale_f64 v[226:227], vcc_lo, 1.0, v[0:1], 1.0
	s_delay_alu instid0(VALU_DEP_1) | instskip(NEXT) | instid1(VALU_DEP_1)
	v_mul_f64 v[228:229], v[226:227], v[224:225]
	v_fma_f64 v[6:7], -v[6:7], v[228:229], v[226:227]
	s_delay_alu instid0(VALU_DEP_1) | instskip(NEXT) | instid1(VALU_DEP_1)
	v_div_fmas_f64 v[6:7], v[6:7], v[224:225], v[228:229]
	v_div_fixup_f64 v[0:1], v[6:7], v[0:1], 1.0
	s_delay_alu instid0(VALU_DEP_1)
	v_mul_f64 v[230:231], v[4:5], -v[0:1]
.LBB121_634:
	s_or_b32 exec_lo, exec_lo, s3
	ds_store_2addr_b64 v251, v[0:1], v[230:231] offset1:1
.LBB121_635:
	s_or_b32 exec_lo, exec_lo, s4
	s_waitcnt lgkmcnt(0)
	s_barrier
	buffer_gl0_inv
	ds_load_2addr_b64 v[224:227], v251 offset1:1
	s_mov_b32 s3, exec_lo
	v_cmpx_lt_u32_e32 56, v254
	s_cbranch_execz .LBB121_637
; %bb.636:
	scratch_load_b128 v[228:231], off, off offset:896
	s_waitcnt vmcnt(0) lgkmcnt(0)
	v_mul_f64 v[0:1], v[226:227], v[230:231]
	s_delay_alu instid0(VALU_DEP_1) | instskip(SKIP_1) | instid1(VALU_DEP_1)
	v_fma_f64 v[232:233], v[224:225], v[228:229], -v[0:1]
	v_mul_f64 v[0:1], v[224:225], v[230:231]
	v_fma_f64 v[234:235], v[226:227], v[228:229], v[0:1]
	ds_load_2addr_b64 v[228:231], v244 offset0:114 offset1:115
	s_waitcnt lgkmcnt(0)
	v_mul_f64 v[0:1], v[230:231], v[234:235]
	v_mul_f64 v[4:5], v[228:229], v[234:235]
	s_delay_alu instid0(VALU_DEP_2) | instskip(NEXT) | instid1(VALU_DEP_2)
	v_fma_f64 v[0:1], v[228:229], v[232:233], -v[0:1]
	v_fma_f64 v[4:5], v[230:231], v[232:233], v[4:5]
	scratch_load_b128 v[228:231], off, off offset:912
	s_waitcnt vmcnt(0)
	v_add_f64 v[228:229], v[228:229], -v[0:1]
	v_add_f64 v[230:231], v[230:231], -v[4:5]
	s_clause 0x1
	scratch_store_b128 off, v[232:235], off offset:896
	scratch_store_b128 off, v[228:231], off offset:912
	ds_load_2addr_b64 v[228:231], v244 offset0:116 offset1:117
	s_waitcnt lgkmcnt(0)
	v_mul_f64 v[0:1], v[230:231], v[234:235]
	v_mul_f64 v[4:5], v[228:229], v[234:235]
	s_delay_alu instid0(VALU_DEP_2) | instskip(NEXT) | instid1(VALU_DEP_2)
	v_fma_f64 v[0:1], v[228:229], v[232:233], -v[0:1]
	v_fma_f64 v[4:5], v[230:231], v[232:233], v[4:5]
	scratch_load_b128 v[228:231], off, off offset:928
	s_waitcnt vmcnt(0)
	v_add_f64 v[228:229], v[228:229], -v[0:1]
	v_add_f64 v[230:231], v[230:231], -v[4:5]
	scratch_store_b128 off, v[228:231], off offset:928
	ds_load_2addr_b64 v[228:231], v244 offset0:118 offset1:119
	s_waitcnt lgkmcnt(0)
	v_mul_f64 v[0:1], v[230:231], v[234:235]
	v_mul_f64 v[4:5], v[228:229], v[234:235]
	s_delay_alu instid0(VALU_DEP_2) | instskip(NEXT) | instid1(VALU_DEP_2)
	v_fma_f64 v[0:1], v[228:229], v[232:233], -v[0:1]
	v_fma_f64 v[4:5], v[230:231], v[232:233], v[4:5]
	scratch_load_b128 v[228:231], off, off offset:944
	s_waitcnt vmcnt(0)
	v_add_f64 v[228:229], v[228:229], -v[0:1]
	v_add_f64 v[230:231], v[230:231], -v[4:5]
	;; [unrolled: 12-line block ×3, first 2 shown]
	scratch_store_b128 off, v[228:231], off offset:960
.LBB121_637:
	s_or_b32 exec_lo, exec_lo, s3
	s_delay_alu instid0(SALU_CYCLE_1)
	s_mov_b32 s4, exec_lo
	s_waitcnt lgkmcnt(0)
	s_waitcnt_vscnt null, 0x0
	s_barrier
	buffer_gl0_inv
	v_cmpx_eq_u32_e32 57, v254
	s_cbranch_execz .LBB121_644
; %bb.638:
	scratch_load_b128 v[228:231], v248, off
	s_waitcnt vmcnt(0)
	ds_store_2addr_b64 v251, v[228:229], v[230:231] offset1:1
	scratch_load_b128 v[228:231], v255, off
	s_waitcnt vmcnt(0)
	ds_store_2addr_b64 v244, v[228:229], v[230:231] offset0:116 offset1:117
	scratch_load_b128 v[228:231], v3, off
	s_waitcnt vmcnt(0)
	ds_store_2addr_b64 v244, v[228:229], v[230:231] offset0:118 offset1:119
	;; [unrolled: 3-line block ×3, first 2 shown]
	ds_load_2addr_b64 v[228:231], v251 offset1:1
	s_waitcnt lgkmcnt(0)
	v_cmp_neq_f64_e32 vcc_lo, 0, v[228:229]
	v_cmp_neq_f64_e64 s3, 0, v[230:231]
	s_delay_alu instid0(VALU_DEP_1) | instskip(NEXT) | instid1(SALU_CYCLE_1)
	s_or_b32 s3, vcc_lo, s3
	s_and_b32 exec_lo, exec_lo, s3
	s_cbranch_execz .LBB121_644
; %bb.639:
	v_cmp_gt_f64_e32 vcc_lo, 0, v[228:229]
	v_xor_b32_e32 v0, 0x80000000, v229
	v_xor_b32_e32 v4, 0x80000000, v231
	s_delay_alu instid0(VALU_DEP_2) | instskip(SKIP_2) | instid1(VALU_DEP_4)
	v_cndmask_b32_e32 v1, v229, v0, vcc_lo
	v_cndmask_b32_e32 v0, v228, v228, vcc_lo
	v_cmp_gt_f64_e32 vcc_lo, 0, v[230:231]
	v_dual_cndmask_b32 v5, v231, v4 :: v_dual_cndmask_b32 v4, v230, v230
	s_delay_alu instid0(VALU_DEP_1) | instskip(SKIP_1) | instid1(SALU_CYCLE_1)
	v_cmp_ngt_f64_e32 vcc_lo, v[0:1], v[4:5]
                                        ; implicit-def: $vgpr0_vgpr1
	s_and_saveexec_b32 s3, vcc_lo
	s_xor_b32 s3, exec_lo, s3
                                        ; implicit-def: $vgpr232_vgpr233_vgpr234_vgpr235
	s_cbranch_execz .LBB121_641
; %bb.640:
	v_div_scale_f64 v[0:1], null, v[230:231], v[230:231], v[228:229]
	v_div_scale_f64 v[232:233], vcc_lo, v[228:229], v[230:231], v[228:229]
	s_delay_alu instid0(VALU_DEP_2) | instskip(SKIP_2) | instid1(VALU_DEP_1)
	v_rcp_f64_e32 v[4:5], v[0:1]
	s_waitcnt_depctr 0xfff
	v_fma_f64 v[6:7], -v[0:1], v[4:5], 1.0
	v_fma_f64 v[4:5], v[4:5], v[6:7], v[4:5]
	s_delay_alu instid0(VALU_DEP_1) | instskip(NEXT) | instid1(VALU_DEP_1)
	v_fma_f64 v[6:7], -v[0:1], v[4:5], 1.0
	v_fma_f64 v[4:5], v[4:5], v[6:7], v[4:5]
	s_delay_alu instid0(VALU_DEP_1) | instskip(NEXT) | instid1(VALU_DEP_1)
	v_mul_f64 v[6:7], v[232:233], v[4:5]
	v_fma_f64 v[0:1], -v[0:1], v[6:7], v[232:233]
	s_delay_alu instid0(VALU_DEP_1) | instskip(NEXT) | instid1(VALU_DEP_1)
	v_div_fmas_f64 v[0:1], v[0:1], v[4:5], v[6:7]
	v_div_fixup_f64 v[0:1], v[0:1], v[230:231], v[228:229]
	s_delay_alu instid0(VALU_DEP_1) | instskip(NEXT) | instid1(VALU_DEP_1)
	v_fma_f64 v[4:5], v[228:229], v[0:1], v[230:231]
	v_div_scale_f64 v[6:7], null, v[4:5], v[4:5], 1.0
	s_delay_alu instid0(VALU_DEP_1) | instskip(SKIP_2) | instid1(VALU_DEP_1)
	v_rcp_f64_e32 v[228:229], v[6:7]
	s_waitcnt_depctr 0xfff
	v_fma_f64 v[230:231], -v[6:7], v[228:229], 1.0
	v_fma_f64 v[228:229], v[228:229], v[230:231], v[228:229]
	s_delay_alu instid0(VALU_DEP_1) | instskip(NEXT) | instid1(VALU_DEP_1)
	v_fma_f64 v[230:231], -v[6:7], v[228:229], 1.0
	v_fma_f64 v[228:229], v[228:229], v[230:231], v[228:229]
	v_div_scale_f64 v[230:231], vcc_lo, 1.0, v[4:5], 1.0
	s_delay_alu instid0(VALU_DEP_1) | instskip(NEXT) | instid1(VALU_DEP_1)
	v_mul_f64 v[232:233], v[230:231], v[228:229]
	v_fma_f64 v[6:7], -v[6:7], v[232:233], v[230:231]
	s_delay_alu instid0(VALU_DEP_1) | instskip(NEXT) | instid1(VALU_DEP_1)
	v_div_fmas_f64 v[6:7], v[6:7], v[228:229], v[232:233]
                                        ; implicit-def: $vgpr228_vgpr229
	v_div_fixup_f64 v[234:235], v[6:7], v[4:5], 1.0
	s_delay_alu instid0(VALU_DEP_1)
	v_mul_f64 v[0:1], v[0:1], v[234:235]
	v_xor_b32_e32 v235, 0x80000000, v235
.LBB121_641:
	s_and_not1_saveexec_b32 s3, s3
	s_cbranch_execz .LBB121_643
; %bb.642:
	v_div_scale_f64 v[0:1], null, v[228:229], v[228:229], v[230:231]
	v_div_scale_f64 v[232:233], vcc_lo, v[230:231], v[228:229], v[230:231]
	s_delay_alu instid0(VALU_DEP_2) | instskip(SKIP_2) | instid1(VALU_DEP_1)
	v_rcp_f64_e32 v[4:5], v[0:1]
	s_waitcnt_depctr 0xfff
	v_fma_f64 v[6:7], -v[0:1], v[4:5], 1.0
	v_fma_f64 v[4:5], v[4:5], v[6:7], v[4:5]
	s_delay_alu instid0(VALU_DEP_1) | instskip(NEXT) | instid1(VALU_DEP_1)
	v_fma_f64 v[6:7], -v[0:1], v[4:5], 1.0
	v_fma_f64 v[4:5], v[4:5], v[6:7], v[4:5]
	s_delay_alu instid0(VALU_DEP_1) | instskip(NEXT) | instid1(VALU_DEP_1)
	v_mul_f64 v[6:7], v[232:233], v[4:5]
	v_fma_f64 v[0:1], -v[0:1], v[6:7], v[232:233]
	s_delay_alu instid0(VALU_DEP_1) | instskip(NEXT) | instid1(VALU_DEP_1)
	v_div_fmas_f64 v[0:1], v[0:1], v[4:5], v[6:7]
	v_div_fixup_f64 v[4:5], v[0:1], v[228:229], v[230:231]
	s_delay_alu instid0(VALU_DEP_1) | instskip(NEXT) | instid1(VALU_DEP_1)
	v_fma_f64 v[0:1], v[230:231], v[4:5], v[228:229]
	v_div_scale_f64 v[6:7], null, v[0:1], v[0:1], 1.0
	s_delay_alu instid0(VALU_DEP_1) | instskip(SKIP_2) | instid1(VALU_DEP_1)
	v_rcp_f64_e32 v[228:229], v[6:7]
	s_waitcnt_depctr 0xfff
	v_fma_f64 v[230:231], -v[6:7], v[228:229], 1.0
	v_fma_f64 v[228:229], v[228:229], v[230:231], v[228:229]
	s_delay_alu instid0(VALU_DEP_1) | instskip(NEXT) | instid1(VALU_DEP_1)
	v_fma_f64 v[230:231], -v[6:7], v[228:229], 1.0
	v_fma_f64 v[228:229], v[228:229], v[230:231], v[228:229]
	v_div_scale_f64 v[230:231], vcc_lo, 1.0, v[0:1], 1.0
	s_delay_alu instid0(VALU_DEP_1) | instskip(NEXT) | instid1(VALU_DEP_1)
	v_mul_f64 v[232:233], v[230:231], v[228:229]
	v_fma_f64 v[6:7], -v[6:7], v[232:233], v[230:231]
	s_delay_alu instid0(VALU_DEP_1) | instskip(NEXT) | instid1(VALU_DEP_1)
	v_div_fmas_f64 v[6:7], v[6:7], v[228:229], v[232:233]
	v_div_fixup_f64 v[0:1], v[6:7], v[0:1], 1.0
	s_delay_alu instid0(VALU_DEP_1)
	v_mul_f64 v[234:235], v[4:5], -v[0:1]
.LBB121_643:
	s_or_b32 exec_lo, exec_lo, s3
	ds_store_2addr_b64 v251, v[0:1], v[234:235] offset1:1
.LBB121_644:
	s_or_b32 exec_lo, exec_lo, s4
	s_waitcnt lgkmcnt(0)
	s_barrier
	buffer_gl0_inv
	ds_load_2addr_b64 v[228:231], v251 offset1:1
	s_mov_b32 s3, exec_lo
	v_cmpx_lt_u32_e32 57, v254
	s_cbranch_execz .LBB121_646
; %bb.645:
	scratch_load_b128 v[232:235], off, off offset:912
	s_waitcnt vmcnt(0) lgkmcnt(0)
	v_mul_f64 v[0:1], v[230:231], v[234:235]
	s_delay_alu instid0(VALU_DEP_1) | instskip(SKIP_1) | instid1(VALU_DEP_1)
	v_fma_f64 v[236:237], v[228:229], v[232:233], -v[0:1]
	v_mul_f64 v[0:1], v[228:229], v[234:235]
	v_fma_f64 v[238:239], v[230:231], v[232:233], v[0:1]
	ds_load_2addr_b64 v[232:235], v244 offset0:116 offset1:117
	s_waitcnt lgkmcnt(0)
	v_mul_f64 v[0:1], v[234:235], v[238:239]
	v_mul_f64 v[4:5], v[232:233], v[238:239]
	s_delay_alu instid0(VALU_DEP_2) | instskip(NEXT) | instid1(VALU_DEP_2)
	v_fma_f64 v[0:1], v[232:233], v[236:237], -v[0:1]
	v_fma_f64 v[4:5], v[234:235], v[236:237], v[4:5]
	scratch_load_b128 v[232:235], off, off offset:928
	s_waitcnt vmcnt(0)
	v_add_f64 v[232:233], v[232:233], -v[0:1]
	v_add_f64 v[234:235], v[234:235], -v[4:5]
	s_clause 0x1
	scratch_store_b128 off, v[236:239], off offset:912
	scratch_store_b128 off, v[232:235], off offset:928
	ds_load_2addr_b64 v[232:235], v244 offset0:118 offset1:119
	s_waitcnt lgkmcnt(0)
	v_mul_f64 v[0:1], v[234:235], v[238:239]
	v_mul_f64 v[4:5], v[232:233], v[238:239]
	s_delay_alu instid0(VALU_DEP_2) | instskip(NEXT) | instid1(VALU_DEP_2)
	v_fma_f64 v[0:1], v[232:233], v[236:237], -v[0:1]
	v_fma_f64 v[4:5], v[234:235], v[236:237], v[4:5]
	scratch_load_b128 v[232:235], off, off offset:944
	s_waitcnt vmcnt(0)
	v_add_f64 v[232:233], v[232:233], -v[0:1]
	v_add_f64 v[234:235], v[234:235], -v[4:5]
	scratch_store_b128 off, v[232:235], off offset:944
	ds_load_2addr_b64 v[232:235], v244 offset0:120 offset1:121
	s_waitcnt lgkmcnt(0)
	v_mul_f64 v[0:1], v[234:235], v[238:239]
	v_mul_f64 v[4:5], v[232:233], v[238:239]
	s_delay_alu instid0(VALU_DEP_2) | instskip(NEXT) | instid1(VALU_DEP_2)
	v_fma_f64 v[0:1], v[232:233], v[236:237], -v[0:1]
	v_fma_f64 v[4:5], v[234:235], v[236:237], v[4:5]
	scratch_load_b128 v[232:235], off, off offset:960
	s_waitcnt vmcnt(0)
	v_add_f64 v[232:233], v[232:233], -v[0:1]
	v_add_f64 v[234:235], v[234:235], -v[4:5]
	scratch_store_b128 off, v[232:235], off offset:960
.LBB121_646:
	s_or_b32 exec_lo, exec_lo, s3
	s_delay_alu instid0(SALU_CYCLE_1)
	s_mov_b32 s4, exec_lo
	s_waitcnt lgkmcnt(0)
	s_waitcnt_vscnt null, 0x0
	s_barrier
	buffer_gl0_inv
	v_cmpx_eq_u32_e32 58, v254
	s_cbranch_execz .LBB121_653
; %bb.647:
	scratch_load_b128 v[232:235], v255, off
	s_waitcnt vmcnt(0)
	ds_store_2addr_b64 v251, v[232:233], v[234:235] offset1:1
	scratch_load_b128 v[232:235], v3, off
	s_waitcnt vmcnt(0)
	ds_store_2addr_b64 v244, v[232:233], v[234:235] offset0:118 offset1:119
	scratch_load_b128 v[232:235], v2, off
	s_waitcnt vmcnt(0)
	ds_store_2addr_b64 v244, v[232:233], v[234:235] offset0:120 offset1:121
	ds_load_2addr_b64 v[232:235], v251 offset1:1
	s_waitcnt lgkmcnt(0)
	v_cmp_neq_f64_e32 vcc_lo, 0, v[232:233]
	v_cmp_neq_f64_e64 s3, 0, v[234:235]
	s_delay_alu instid0(VALU_DEP_1) | instskip(NEXT) | instid1(SALU_CYCLE_1)
	s_or_b32 s3, vcc_lo, s3
	s_and_b32 exec_lo, exec_lo, s3
	s_cbranch_execz .LBB121_653
; %bb.648:
	v_cmp_gt_f64_e32 vcc_lo, 0, v[232:233]
	v_xor_b32_e32 v0, 0x80000000, v233
	v_xor_b32_e32 v4, 0x80000000, v235
	s_delay_alu instid0(VALU_DEP_2) | instskip(SKIP_2) | instid1(VALU_DEP_4)
	v_cndmask_b32_e32 v1, v233, v0, vcc_lo
	v_cndmask_b32_e32 v0, v232, v232, vcc_lo
	v_cmp_gt_f64_e32 vcc_lo, 0, v[234:235]
	v_dual_cndmask_b32 v5, v235, v4 :: v_dual_cndmask_b32 v4, v234, v234
	s_delay_alu instid0(VALU_DEP_1) | instskip(SKIP_1) | instid1(SALU_CYCLE_1)
	v_cmp_ngt_f64_e32 vcc_lo, v[0:1], v[4:5]
                                        ; implicit-def: $vgpr0_vgpr1
	s_and_saveexec_b32 s3, vcc_lo
	s_xor_b32 s3, exec_lo, s3
                                        ; implicit-def: $vgpr236_vgpr237_vgpr238_vgpr239
	s_cbranch_execz .LBB121_650
; %bb.649:
	v_div_scale_f64 v[0:1], null, v[234:235], v[234:235], v[232:233]
	v_div_scale_f64 v[236:237], vcc_lo, v[232:233], v[234:235], v[232:233]
	s_delay_alu instid0(VALU_DEP_2) | instskip(SKIP_2) | instid1(VALU_DEP_1)
	v_rcp_f64_e32 v[4:5], v[0:1]
	s_waitcnt_depctr 0xfff
	v_fma_f64 v[6:7], -v[0:1], v[4:5], 1.0
	v_fma_f64 v[4:5], v[4:5], v[6:7], v[4:5]
	s_delay_alu instid0(VALU_DEP_1) | instskip(NEXT) | instid1(VALU_DEP_1)
	v_fma_f64 v[6:7], -v[0:1], v[4:5], 1.0
	v_fma_f64 v[4:5], v[4:5], v[6:7], v[4:5]
	s_delay_alu instid0(VALU_DEP_1) | instskip(NEXT) | instid1(VALU_DEP_1)
	v_mul_f64 v[6:7], v[236:237], v[4:5]
	v_fma_f64 v[0:1], -v[0:1], v[6:7], v[236:237]
	s_delay_alu instid0(VALU_DEP_1) | instskip(NEXT) | instid1(VALU_DEP_1)
	v_div_fmas_f64 v[0:1], v[0:1], v[4:5], v[6:7]
	v_div_fixup_f64 v[0:1], v[0:1], v[234:235], v[232:233]
	s_delay_alu instid0(VALU_DEP_1) | instskip(NEXT) | instid1(VALU_DEP_1)
	v_fma_f64 v[4:5], v[232:233], v[0:1], v[234:235]
	v_div_scale_f64 v[6:7], null, v[4:5], v[4:5], 1.0
	s_delay_alu instid0(VALU_DEP_1) | instskip(SKIP_2) | instid1(VALU_DEP_1)
	v_rcp_f64_e32 v[232:233], v[6:7]
	s_waitcnt_depctr 0xfff
	v_fma_f64 v[234:235], -v[6:7], v[232:233], 1.0
	v_fma_f64 v[232:233], v[232:233], v[234:235], v[232:233]
	s_delay_alu instid0(VALU_DEP_1) | instskip(NEXT) | instid1(VALU_DEP_1)
	v_fma_f64 v[234:235], -v[6:7], v[232:233], 1.0
	v_fma_f64 v[232:233], v[232:233], v[234:235], v[232:233]
	v_div_scale_f64 v[234:235], vcc_lo, 1.0, v[4:5], 1.0
	s_delay_alu instid0(VALU_DEP_1) | instskip(NEXT) | instid1(VALU_DEP_1)
	v_mul_f64 v[236:237], v[234:235], v[232:233]
	v_fma_f64 v[6:7], -v[6:7], v[236:237], v[234:235]
	s_delay_alu instid0(VALU_DEP_1) | instskip(NEXT) | instid1(VALU_DEP_1)
	v_div_fmas_f64 v[6:7], v[6:7], v[232:233], v[236:237]
                                        ; implicit-def: $vgpr232_vgpr233
	v_div_fixup_f64 v[238:239], v[6:7], v[4:5], 1.0
	s_delay_alu instid0(VALU_DEP_1)
	v_mul_f64 v[0:1], v[0:1], v[238:239]
	v_xor_b32_e32 v239, 0x80000000, v239
.LBB121_650:
	s_and_not1_saveexec_b32 s3, s3
	s_cbranch_execz .LBB121_652
; %bb.651:
	v_div_scale_f64 v[0:1], null, v[232:233], v[232:233], v[234:235]
	v_div_scale_f64 v[236:237], vcc_lo, v[234:235], v[232:233], v[234:235]
	s_delay_alu instid0(VALU_DEP_2) | instskip(SKIP_2) | instid1(VALU_DEP_1)
	v_rcp_f64_e32 v[4:5], v[0:1]
	s_waitcnt_depctr 0xfff
	v_fma_f64 v[6:7], -v[0:1], v[4:5], 1.0
	v_fma_f64 v[4:5], v[4:5], v[6:7], v[4:5]
	s_delay_alu instid0(VALU_DEP_1) | instskip(NEXT) | instid1(VALU_DEP_1)
	v_fma_f64 v[6:7], -v[0:1], v[4:5], 1.0
	v_fma_f64 v[4:5], v[4:5], v[6:7], v[4:5]
	s_delay_alu instid0(VALU_DEP_1) | instskip(NEXT) | instid1(VALU_DEP_1)
	v_mul_f64 v[6:7], v[236:237], v[4:5]
	v_fma_f64 v[0:1], -v[0:1], v[6:7], v[236:237]
	s_delay_alu instid0(VALU_DEP_1) | instskip(NEXT) | instid1(VALU_DEP_1)
	v_div_fmas_f64 v[0:1], v[0:1], v[4:5], v[6:7]
	v_div_fixup_f64 v[4:5], v[0:1], v[232:233], v[234:235]
	s_delay_alu instid0(VALU_DEP_1) | instskip(NEXT) | instid1(VALU_DEP_1)
	v_fma_f64 v[0:1], v[234:235], v[4:5], v[232:233]
	v_div_scale_f64 v[6:7], null, v[0:1], v[0:1], 1.0
	s_delay_alu instid0(VALU_DEP_1) | instskip(SKIP_2) | instid1(VALU_DEP_1)
	v_rcp_f64_e32 v[232:233], v[6:7]
	s_waitcnt_depctr 0xfff
	v_fma_f64 v[234:235], -v[6:7], v[232:233], 1.0
	v_fma_f64 v[232:233], v[232:233], v[234:235], v[232:233]
	s_delay_alu instid0(VALU_DEP_1) | instskip(NEXT) | instid1(VALU_DEP_1)
	v_fma_f64 v[234:235], -v[6:7], v[232:233], 1.0
	v_fma_f64 v[232:233], v[232:233], v[234:235], v[232:233]
	v_div_scale_f64 v[234:235], vcc_lo, 1.0, v[0:1], 1.0
	s_delay_alu instid0(VALU_DEP_1) | instskip(NEXT) | instid1(VALU_DEP_1)
	v_mul_f64 v[236:237], v[234:235], v[232:233]
	v_fma_f64 v[6:7], -v[6:7], v[236:237], v[234:235]
	s_delay_alu instid0(VALU_DEP_1) | instskip(NEXT) | instid1(VALU_DEP_1)
	v_div_fmas_f64 v[6:7], v[6:7], v[232:233], v[236:237]
	v_div_fixup_f64 v[0:1], v[6:7], v[0:1], 1.0
	s_delay_alu instid0(VALU_DEP_1)
	v_mul_f64 v[238:239], v[4:5], -v[0:1]
.LBB121_652:
	s_or_b32 exec_lo, exec_lo, s3
	ds_store_2addr_b64 v251, v[0:1], v[238:239] offset1:1
.LBB121_653:
	s_or_b32 exec_lo, exec_lo, s4
	s_waitcnt lgkmcnt(0)
	s_barrier
	buffer_gl0_inv
	ds_load_2addr_b64 v[232:235], v251 offset1:1
	s_mov_b32 s3, exec_lo
	v_cmpx_lt_u32_e32 58, v254
	s_cbranch_execz .LBB121_655
; %bb.654:
	scratch_load_b128 v[236:239], off, off offset:928
	s_waitcnt vmcnt(0) lgkmcnt(0)
	v_mul_f64 v[0:1], v[234:235], v[238:239]
	s_delay_alu instid0(VALU_DEP_1) | instskip(SKIP_1) | instid1(VALU_DEP_1)
	v_fma_f64 v[240:241], v[232:233], v[236:237], -v[0:1]
	v_mul_f64 v[0:1], v[232:233], v[238:239]
	v_fma_f64 v[242:243], v[234:235], v[236:237], v[0:1]
	ds_load_2addr_b64 v[236:239], v244 offset0:118 offset1:119
	s_waitcnt lgkmcnt(0)
	v_mul_f64 v[0:1], v[238:239], v[242:243]
	v_mul_f64 v[4:5], v[236:237], v[242:243]
	s_delay_alu instid0(VALU_DEP_2) | instskip(NEXT) | instid1(VALU_DEP_2)
	v_fma_f64 v[0:1], v[236:237], v[240:241], -v[0:1]
	v_fma_f64 v[4:5], v[238:239], v[240:241], v[4:5]
	scratch_load_b128 v[236:239], off, off offset:944
	s_waitcnt vmcnt(0)
	v_add_f64 v[236:237], v[236:237], -v[0:1]
	v_add_f64 v[238:239], v[238:239], -v[4:5]
	s_clause 0x1
	scratch_store_b128 off, v[240:243], off offset:928
	scratch_store_b128 off, v[236:239], off offset:944
	ds_load_2addr_b64 v[236:239], v244 offset0:120 offset1:121
	s_waitcnt lgkmcnt(0)
	v_mul_f64 v[0:1], v[238:239], v[242:243]
	v_mul_f64 v[4:5], v[236:237], v[242:243]
	s_delay_alu instid0(VALU_DEP_2) | instskip(NEXT) | instid1(VALU_DEP_2)
	v_fma_f64 v[0:1], v[236:237], v[240:241], -v[0:1]
	v_fma_f64 v[4:5], v[238:239], v[240:241], v[4:5]
	scratch_load_b128 v[236:239], off, off offset:960
	s_waitcnt vmcnt(0)
	v_add_f64 v[236:237], v[236:237], -v[0:1]
	v_add_f64 v[238:239], v[238:239], -v[4:5]
	scratch_store_b128 off, v[236:239], off offset:960
.LBB121_655:
	s_or_b32 exec_lo, exec_lo, s3
	s_delay_alu instid0(SALU_CYCLE_1)
	s_mov_b32 s4, exec_lo
	s_waitcnt lgkmcnt(0)
	s_waitcnt_vscnt null, 0x0
	s_barrier
	buffer_gl0_inv
	v_cmpx_eq_u32_e32 59, v254
	s_cbranch_execz .LBB121_662
; %bb.656:
	scratch_load_b128 v[236:239], v3, off
	s_waitcnt vmcnt(0)
	ds_store_2addr_b64 v251, v[236:237], v[238:239] offset1:1
	scratch_load_b128 v[236:239], v2, off
	s_waitcnt vmcnt(0)
	ds_store_2addr_b64 v244, v[236:237], v[238:239] offset0:120 offset1:121
	ds_load_2addr_b64 v[236:239], v251 offset1:1
	s_waitcnt lgkmcnt(0)
	v_cmp_neq_f64_e32 vcc_lo, 0, v[236:237]
	v_cmp_neq_f64_e64 s3, 0, v[238:239]
	s_delay_alu instid0(VALU_DEP_1) | instskip(NEXT) | instid1(SALU_CYCLE_1)
	s_or_b32 s3, vcc_lo, s3
	s_and_b32 exec_lo, exec_lo, s3
	s_cbranch_execz .LBB121_662
; %bb.657:
	v_cmp_gt_f64_e32 vcc_lo, 0, v[236:237]
	v_xor_b32_e32 v0, 0x80000000, v237
	v_xor_b32_e32 v4, 0x80000000, v239
	s_delay_alu instid0(VALU_DEP_2) | instskip(SKIP_2) | instid1(VALU_DEP_4)
	v_cndmask_b32_e32 v1, v237, v0, vcc_lo
	v_cndmask_b32_e32 v0, v236, v236, vcc_lo
	v_cmp_gt_f64_e32 vcc_lo, 0, v[238:239]
	v_dual_cndmask_b32 v5, v239, v4 :: v_dual_cndmask_b32 v4, v238, v238
	s_delay_alu instid0(VALU_DEP_1) | instskip(SKIP_1) | instid1(SALU_CYCLE_1)
	v_cmp_ngt_f64_e32 vcc_lo, v[0:1], v[4:5]
                                        ; implicit-def: $vgpr0_vgpr1
	s_and_saveexec_b32 s3, vcc_lo
	s_xor_b32 s3, exec_lo, s3
                                        ; implicit-def: $vgpr240_vgpr241_vgpr242_vgpr243
	s_cbranch_execz .LBB121_659
; %bb.658:
	v_div_scale_f64 v[0:1], null, v[238:239], v[238:239], v[236:237]
	v_div_scale_f64 v[240:241], vcc_lo, v[236:237], v[238:239], v[236:237]
	s_delay_alu instid0(VALU_DEP_2) | instskip(SKIP_2) | instid1(VALU_DEP_1)
	v_rcp_f64_e32 v[4:5], v[0:1]
	s_waitcnt_depctr 0xfff
	v_fma_f64 v[6:7], -v[0:1], v[4:5], 1.0
	v_fma_f64 v[4:5], v[4:5], v[6:7], v[4:5]
	s_delay_alu instid0(VALU_DEP_1) | instskip(NEXT) | instid1(VALU_DEP_1)
	v_fma_f64 v[6:7], -v[0:1], v[4:5], 1.0
	v_fma_f64 v[4:5], v[4:5], v[6:7], v[4:5]
	s_delay_alu instid0(VALU_DEP_1) | instskip(NEXT) | instid1(VALU_DEP_1)
	v_mul_f64 v[6:7], v[240:241], v[4:5]
	v_fma_f64 v[0:1], -v[0:1], v[6:7], v[240:241]
	s_delay_alu instid0(VALU_DEP_1) | instskip(NEXT) | instid1(VALU_DEP_1)
	v_div_fmas_f64 v[0:1], v[0:1], v[4:5], v[6:7]
	v_div_fixup_f64 v[0:1], v[0:1], v[238:239], v[236:237]
	s_delay_alu instid0(VALU_DEP_1) | instskip(NEXT) | instid1(VALU_DEP_1)
	v_fma_f64 v[4:5], v[236:237], v[0:1], v[238:239]
	v_div_scale_f64 v[6:7], null, v[4:5], v[4:5], 1.0
	s_delay_alu instid0(VALU_DEP_1) | instskip(SKIP_2) | instid1(VALU_DEP_1)
	v_rcp_f64_e32 v[236:237], v[6:7]
	s_waitcnt_depctr 0xfff
	v_fma_f64 v[238:239], -v[6:7], v[236:237], 1.0
	v_fma_f64 v[236:237], v[236:237], v[238:239], v[236:237]
	s_delay_alu instid0(VALU_DEP_1) | instskip(NEXT) | instid1(VALU_DEP_1)
	v_fma_f64 v[238:239], -v[6:7], v[236:237], 1.0
	v_fma_f64 v[236:237], v[236:237], v[238:239], v[236:237]
	v_div_scale_f64 v[238:239], vcc_lo, 1.0, v[4:5], 1.0
	s_delay_alu instid0(VALU_DEP_1) | instskip(NEXT) | instid1(VALU_DEP_1)
	v_mul_f64 v[240:241], v[238:239], v[236:237]
	v_fma_f64 v[6:7], -v[6:7], v[240:241], v[238:239]
	s_delay_alu instid0(VALU_DEP_1) | instskip(NEXT) | instid1(VALU_DEP_1)
	v_div_fmas_f64 v[6:7], v[6:7], v[236:237], v[240:241]
                                        ; implicit-def: $vgpr236_vgpr237
	v_div_fixup_f64 v[242:243], v[6:7], v[4:5], 1.0
	s_delay_alu instid0(VALU_DEP_1)
	v_mul_f64 v[0:1], v[0:1], v[242:243]
	v_xor_b32_e32 v243, 0x80000000, v243
.LBB121_659:
	s_and_not1_saveexec_b32 s3, s3
	s_cbranch_execz .LBB121_661
; %bb.660:
	v_div_scale_f64 v[0:1], null, v[236:237], v[236:237], v[238:239]
	v_div_scale_f64 v[240:241], vcc_lo, v[238:239], v[236:237], v[238:239]
	s_delay_alu instid0(VALU_DEP_2) | instskip(SKIP_2) | instid1(VALU_DEP_1)
	v_rcp_f64_e32 v[4:5], v[0:1]
	s_waitcnt_depctr 0xfff
	v_fma_f64 v[6:7], -v[0:1], v[4:5], 1.0
	v_fma_f64 v[4:5], v[4:5], v[6:7], v[4:5]
	s_delay_alu instid0(VALU_DEP_1) | instskip(NEXT) | instid1(VALU_DEP_1)
	v_fma_f64 v[6:7], -v[0:1], v[4:5], 1.0
	v_fma_f64 v[4:5], v[4:5], v[6:7], v[4:5]
	s_delay_alu instid0(VALU_DEP_1) | instskip(NEXT) | instid1(VALU_DEP_1)
	v_mul_f64 v[6:7], v[240:241], v[4:5]
	v_fma_f64 v[0:1], -v[0:1], v[6:7], v[240:241]
	s_delay_alu instid0(VALU_DEP_1) | instskip(NEXT) | instid1(VALU_DEP_1)
	v_div_fmas_f64 v[0:1], v[0:1], v[4:5], v[6:7]
	v_div_fixup_f64 v[4:5], v[0:1], v[236:237], v[238:239]
	s_delay_alu instid0(VALU_DEP_1) | instskip(NEXT) | instid1(VALU_DEP_1)
	v_fma_f64 v[0:1], v[238:239], v[4:5], v[236:237]
	v_div_scale_f64 v[6:7], null, v[0:1], v[0:1], 1.0
	s_delay_alu instid0(VALU_DEP_1) | instskip(SKIP_2) | instid1(VALU_DEP_1)
	v_rcp_f64_e32 v[236:237], v[6:7]
	s_waitcnt_depctr 0xfff
	v_fma_f64 v[238:239], -v[6:7], v[236:237], 1.0
	v_fma_f64 v[236:237], v[236:237], v[238:239], v[236:237]
	s_delay_alu instid0(VALU_DEP_1) | instskip(NEXT) | instid1(VALU_DEP_1)
	v_fma_f64 v[238:239], -v[6:7], v[236:237], 1.0
	v_fma_f64 v[236:237], v[236:237], v[238:239], v[236:237]
	v_div_scale_f64 v[238:239], vcc_lo, 1.0, v[0:1], 1.0
	s_delay_alu instid0(VALU_DEP_1) | instskip(NEXT) | instid1(VALU_DEP_1)
	v_mul_f64 v[240:241], v[238:239], v[236:237]
	v_fma_f64 v[6:7], -v[6:7], v[240:241], v[238:239]
	s_delay_alu instid0(VALU_DEP_1) | instskip(NEXT) | instid1(VALU_DEP_1)
	v_div_fmas_f64 v[6:7], v[6:7], v[236:237], v[240:241]
	v_div_fixup_f64 v[0:1], v[6:7], v[0:1], 1.0
	s_delay_alu instid0(VALU_DEP_1)
	v_mul_f64 v[242:243], v[4:5], -v[0:1]
.LBB121_661:
	s_or_b32 exec_lo, exec_lo, s3
	ds_store_2addr_b64 v251, v[0:1], v[242:243] offset1:1
.LBB121_662:
	s_or_b32 exec_lo, exec_lo, s4
	s_waitcnt lgkmcnt(0)
	s_barrier
	buffer_gl0_inv
	ds_load_2addr_b64 v[236:239], v251 offset1:1
	s_mov_b32 s3, exec_lo
	v_cmpx_lt_u32_e32 59, v254
	s_cbranch_execz .LBB121_664
; %bb.663:
	scratch_load_b128 v[240:243], off, off offset:944
	s_waitcnt vmcnt(0) lgkmcnt(0)
	v_mul_f64 v[0:1], v[238:239], v[242:243]
	s_delay_alu instid0(VALU_DEP_1) | instskip(SKIP_1) | instid1(VALU_DEP_1)
	v_fma_f64 v[4:5], v[236:237], v[240:241], -v[0:1]
	v_mul_f64 v[0:1], v[236:237], v[242:243]
	v_fma_f64 v[6:7], v[238:239], v[240:241], v[0:1]
	ds_load_2addr_b64 v[240:243], v244 offset0:120 offset1:121
	scratch_store_b128 off, v[4:7], off offset:944
	s_waitcnt lgkmcnt(0)
	v_mul_f64 v[0:1], v[242:243], v[6:7]
	v_mul_f64 v[6:7], v[240:241], v[6:7]
	s_delay_alu instid0(VALU_DEP_2) | instskip(NEXT) | instid1(VALU_DEP_2)
	v_fma_f64 v[0:1], v[240:241], v[4:5], -v[0:1]
	v_fma_f64 v[240:241], v[242:243], v[4:5], v[6:7]
	scratch_load_b128 v[4:7], off, off offset:960
	s_waitcnt vmcnt(0)
	v_add_f64 v[4:5], v[4:5], -v[0:1]
	v_add_f64 v[6:7], v[6:7], -v[240:241]
	scratch_store_b128 off, v[4:7], off offset:960
.LBB121_664:
	s_or_b32 exec_lo, exec_lo, s3
	s_delay_alu instid0(SALU_CYCLE_1)
	s_mov_b32 s4, exec_lo
	s_waitcnt lgkmcnt(0)
	s_waitcnt_vscnt null, 0x0
	s_barrier
	buffer_gl0_inv
	v_cmpx_eq_u32_e32 60, v254
	s_cbranch_execz .LBB121_671
; %bb.665:
	scratch_load_b128 v[240:243], v2, off
	s_waitcnt vmcnt(0)
	v_cmp_neq_f64_e32 vcc_lo, 0, v[240:241]
	v_cmp_neq_f64_e64 s3, 0, v[242:243]
	ds_store_2addr_b64 v251, v[240:241], v[242:243] offset1:1
	s_or_b32 s3, vcc_lo, s3
	s_delay_alu instid0(SALU_CYCLE_1)
	s_and_b32 exec_lo, exec_lo, s3
	s_cbranch_execz .LBB121_671
; %bb.666:
	v_cmp_gt_f64_e32 vcc_lo, 0, v[240:241]
	v_xor_b32_e32 v0, 0x80000000, v241
	v_xor_b32_e32 v4, 0x80000000, v243
	s_delay_alu instid0(VALU_DEP_2) | instskip(SKIP_2) | instid1(VALU_DEP_4)
	v_cndmask_b32_e32 v1, v241, v0, vcc_lo
	v_cndmask_b32_e32 v0, v240, v240, vcc_lo
	v_cmp_gt_f64_e32 vcc_lo, 0, v[242:243]
	v_dual_mov_b32 v8, v245 :: v_dual_cndmask_b32 v5, v243, v4
	v_cndmask_b32_e32 v4, v242, v242, vcc_lo
	s_delay_alu instid0(VALU_DEP_1) | instskip(SKIP_1) | instid1(SALU_CYCLE_1)
	v_cmp_ngt_f64_e32 vcc_lo, v[0:1], v[4:5]
                                        ; implicit-def: $vgpr0_vgpr1
	s_and_saveexec_b32 s3, vcc_lo
	s_xor_b32 s3, exec_lo, s3
                                        ; implicit-def: $vgpr244_vgpr245_vgpr246_vgpr247
	s_cbranch_execz .LBB121_668
; %bb.667:
	v_div_scale_f64 v[0:1], null, v[242:243], v[242:243], v[240:241]
	v_div_scale_f64 v[244:245], vcc_lo, v[240:241], v[242:243], v[240:241]
	s_delay_alu instid0(VALU_DEP_2) | instskip(SKIP_2) | instid1(VALU_DEP_1)
	v_rcp_f64_e32 v[4:5], v[0:1]
	s_waitcnt_depctr 0xfff
	v_fma_f64 v[6:7], -v[0:1], v[4:5], 1.0
	v_fma_f64 v[4:5], v[4:5], v[6:7], v[4:5]
	s_delay_alu instid0(VALU_DEP_1) | instskip(NEXT) | instid1(VALU_DEP_1)
	v_fma_f64 v[6:7], -v[0:1], v[4:5], 1.0
	v_fma_f64 v[4:5], v[4:5], v[6:7], v[4:5]
	s_delay_alu instid0(VALU_DEP_1) | instskip(NEXT) | instid1(VALU_DEP_1)
	v_mul_f64 v[6:7], v[244:245], v[4:5]
	v_fma_f64 v[0:1], -v[0:1], v[6:7], v[244:245]
	s_delay_alu instid0(VALU_DEP_1) | instskip(NEXT) | instid1(VALU_DEP_1)
	v_div_fmas_f64 v[0:1], v[0:1], v[4:5], v[6:7]
	v_div_fixup_f64 v[0:1], v[0:1], v[242:243], v[240:241]
	s_delay_alu instid0(VALU_DEP_1) | instskip(NEXT) | instid1(VALU_DEP_1)
	v_fma_f64 v[4:5], v[240:241], v[0:1], v[242:243]
	v_div_scale_f64 v[6:7], null, v[4:5], v[4:5], 1.0
	s_delay_alu instid0(VALU_DEP_1) | instskip(SKIP_2) | instid1(VALU_DEP_1)
	v_rcp_f64_e32 v[240:241], v[6:7]
	s_waitcnt_depctr 0xfff
	v_fma_f64 v[242:243], -v[6:7], v[240:241], 1.0
	v_fma_f64 v[240:241], v[240:241], v[242:243], v[240:241]
	s_delay_alu instid0(VALU_DEP_1) | instskip(NEXT) | instid1(VALU_DEP_1)
	v_fma_f64 v[242:243], -v[6:7], v[240:241], 1.0
	v_fma_f64 v[240:241], v[240:241], v[242:243], v[240:241]
	v_div_scale_f64 v[242:243], vcc_lo, 1.0, v[4:5], 1.0
	s_delay_alu instid0(VALU_DEP_1) | instskip(NEXT) | instid1(VALU_DEP_1)
	v_mul_f64 v[244:245], v[242:243], v[240:241]
	v_fma_f64 v[6:7], -v[6:7], v[244:245], v[242:243]
	s_delay_alu instid0(VALU_DEP_1) | instskip(NEXT) | instid1(VALU_DEP_1)
	v_div_fmas_f64 v[6:7], v[6:7], v[240:241], v[244:245]
                                        ; implicit-def: $vgpr240_vgpr241
	v_div_fixup_f64 v[246:247], v[6:7], v[4:5], 1.0
	s_delay_alu instid0(VALU_DEP_1)
	v_mul_f64 v[0:1], v[0:1], v[246:247]
	v_xor_b32_e32 v247, 0x80000000, v247
.LBB121_668:
	s_and_not1_saveexec_b32 s3, s3
	s_cbranch_execz .LBB121_670
; %bb.669:
	v_div_scale_f64 v[0:1], null, v[240:241], v[240:241], v[242:243]
	v_div_scale_f64 v[244:245], vcc_lo, v[242:243], v[240:241], v[242:243]
	s_delay_alu instid0(VALU_DEP_2) | instskip(SKIP_2) | instid1(VALU_DEP_1)
	v_rcp_f64_e32 v[4:5], v[0:1]
	s_waitcnt_depctr 0xfff
	v_fma_f64 v[6:7], -v[0:1], v[4:5], 1.0
	v_fma_f64 v[4:5], v[4:5], v[6:7], v[4:5]
	s_delay_alu instid0(VALU_DEP_1) | instskip(NEXT) | instid1(VALU_DEP_1)
	v_fma_f64 v[6:7], -v[0:1], v[4:5], 1.0
	v_fma_f64 v[4:5], v[4:5], v[6:7], v[4:5]
	s_delay_alu instid0(VALU_DEP_1) | instskip(NEXT) | instid1(VALU_DEP_1)
	v_mul_f64 v[6:7], v[244:245], v[4:5]
	v_fma_f64 v[0:1], -v[0:1], v[6:7], v[244:245]
	s_delay_alu instid0(VALU_DEP_1) | instskip(NEXT) | instid1(VALU_DEP_1)
	v_div_fmas_f64 v[0:1], v[0:1], v[4:5], v[6:7]
	v_div_fixup_f64 v[4:5], v[0:1], v[240:241], v[242:243]
	s_delay_alu instid0(VALU_DEP_1) | instskip(NEXT) | instid1(VALU_DEP_1)
	v_fma_f64 v[0:1], v[242:243], v[4:5], v[240:241]
	v_div_scale_f64 v[6:7], null, v[0:1], v[0:1], 1.0
	s_delay_alu instid0(VALU_DEP_1) | instskip(SKIP_2) | instid1(VALU_DEP_1)
	v_rcp_f64_e32 v[240:241], v[6:7]
	s_waitcnt_depctr 0xfff
	v_fma_f64 v[242:243], -v[6:7], v[240:241], 1.0
	v_fma_f64 v[240:241], v[240:241], v[242:243], v[240:241]
	s_delay_alu instid0(VALU_DEP_1) | instskip(NEXT) | instid1(VALU_DEP_1)
	v_fma_f64 v[242:243], -v[6:7], v[240:241], 1.0
	v_fma_f64 v[240:241], v[240:241], v[242:243], v[240:241]
	v_div_scale_f64 v[242:243], vcc_lo, 1.0, v[0:1], 1.0
	s_delay_alu instid0(VALU_DEP_1) | instskip(NEXT) | instid1(VALU_DEP_1)
	v_mul_f64 v[244:245], v[242:243], v[240:241]
	v_fma_f64 v[6:7], -v[6:7], v[244:245], v[242:243]
	s_delay_alu instid0(VALU_DEP_1) | instskip(NEXT) | instid1(VALU_DEP_1)
	v_div_fmas_f64 v[6:7], v[6:7], v[240:241], v[244:245]
	v_div_fixup_f64 v[0:1], v[6:7], v[0:1], 1.0
	s_delay_alu instid0(VALU_DEP_1)
	v_mul_f64 v[246:247], v[4:5], -v[0:1]
.LBB121_670:
	s_or_b32 exec_lo, exec_lo, s3
	v_mov_b32_e32 v245, v8
	ds_store_2addr_b64 v251, v[0:1], v[246:247] offset1:1
.LBB121_671:
	s_or_b32 exec_lo, exec_lo, s4
	s_waitcnt lgkmcnt(0)
	s_barrier
	buffer_gl0_inv
	ds_load_2addr_b64 v[240:243], v251 offset1:1
	s_mov_b32 s3, exec_lo
	v_cmpx_lt_u32_e32 60, v254
	s_cbranch_execz .LBB121_673
; %bb.672:
	scratch_load_b128 v[4:7], off, off offset:960
	v_mov_b32_e32 v8, v245
	s_waitcnt vmcnt(0) lgkmcnt(0)
	v_mul_f64 v[0:1], v[242:243], v[6:7]
	s_delay_alu instid0(VALU_DEP_1) | instskip(SKIP_1) | instid1(VALU_DEP_1)
	v_fma_f64 v[244:245], v[240:241], v[4:5], -v[0:1]
	v_mul_f64 v[0:1], v[240:241], v[6:7]
	v_fma_f64 v[246:247], v[242:243], v[4:5], v[0:1]
	scratch_store_b128 off, v[244:247], off offset:960
	v_mov_b32_e32 v245, v8
.LBB121_673:
	s_or_b32 exec_lo, exec_lo, s3
	s_waitcnt lgkmcnt(0)
	s_waitcnt_vscnt null, 0x0
	s_barrier
	buffer_gl0_inv
	s_mov_b32 s12, exec_lo
	v_mov_b32_e32 v244, v9
	s_and_b32 s2, s12, s2
	s_delay_alu instid0(SALU_CYCLE_1)
	s_mov_b32 exec_lo, s2
	s_cbranch_execz .LBB121_676
; %bb.674:
	scratch_load_b128 v[4:7], off, off offset:1656 ; 16-byte Folded Reload
	v_cmp_eq_f64_e64 s7, 0, v[12:13]
	v_cmp_eq_f64_e64 s8, 0, v[14:15]
	;; [unrolled: 1-line block ×4, first 2 shown]
	s_load_b64 s[14:15], s[0:1], 0x28
	s_waitcnt vmcnt(0)
	v_cmp_eq_f64_e32 vcc_lo, 0, v[4:5]
	v_cmp_eq_f64_e64 s2, 0, v[6:7]
	scratch_load_b128 v[4:7], off, off offset:1672 ; 16-byte Folded Reload
	s_and_b32 s2, vcc_lo, s2
	s_delay_alu instid0(SALU_CYCLE_1)
	v_cndmask_b32_e64 v0, 0, 1, s2
	s_waitcnt vmcnt(0)
	v_cmp_neq_f64_e64 s3, 0, v[4:5]
	v_cmp_neq_f64_e64 s4, 0, v[6:7]
	scratch_load_b128 v[4:7], off, off offset:1688 ; 16-byte Folded Reload
	s_or_b32 s3, s3, s4
	s_delay_alu instid0(SALU_CYCLE_1) | instskip(SKIP_3) | instid1(VALU_DEP_2)
	s_or_b32 vcc_lo, s3, s2
	v_cmp_eq_f64_e64 s2, 0, v[22:23]
	v_cndmask_b32_e32 v0, 2, v0, vcc_lo
	v_cmp_eq_f64_e32 vcc_lo, 0, v[20:21]
	v_cmp_eq_u32_e64 s3, 0, v0
	s_delay_alu instid0(VALU_DEP_4) | instskip(SKIP_4) | instid1(VALU_DEP_1)
	s_and_b32 s2, vcc_lo, s2
	v_cmp_eq_f64_e32 vcc_lo, 0, v[36:37]
	s_waitcnt vmcnt(0)
	v_cmp_eq_f64_e64 s5, 0, v[4:5]
	v_cmp_eq_f64_e64 s6, 0, v[6:7]
	s_and_b32 s4, s5, s6
	s_and_b32 s6, s7, s8
	;; [unrolled: 1-line block ×3, first 2 shown]
	v_cmp_eq_f64_e64 s4, 0, v[26:27]
	v_cndmask_b32_e64 v0, v0, 3, s3
	v_cmp_eq_f64_e64 s3, 0, v[24:25]
	s_and_b32 s8, s9, s10
	v_cmp_eq_f64_e64 s10, 0, v[124:125]
	s_delay_alu instid0(VALU_DEP_3) | instskip(NEXT) | instid1(VALU_DEP_1)
	v_cmp_eq_u32_e64 s5, 0, v0
	s_and_b32 s5, s6, s5
	v_cmp_eq_f64_e64 s6, 0, v[30:31]
	v_cndmask_b32_e64 v0, v0, 4, s5
	v_cmp_eq_f64_e64 s5, 0, v[28:29]
	s_delay_alu instid0(VALU_DEP_2) | instskip(NEXT) | instid1(VALU_DEP_1)
	v_cmp_eq_u32_e64 s7, 0, v0
	s_and_b32 s7, s8, s7
	v_cmp_eq_f64_e64 s8, 0, v[34:35]
	v_cndmask_b32_e64 v0, v0, 5, s7
	v_cmp_eq_f64_e64 s7, 0, v[32:33]
	s_delay_alu instid0(VALU_DEP_2) | instskip(NEXT) | instid1(VALU_DEP_1)
	v_cmp_eq_u32_e64 s9, 0, v0
	s_and_b32 s2, s2, s9
	s_delay_alu instid0(SALU_CYCLE_1) | instskip(SKIP_3) | instid1(VALU_DEP_3)
	v_cndmask_b32_e64 v0, v0, 6, s2
	v_cmp_eq_f64_e64 s2, 0, v[38:39]
	s_and_b32 s3, s3, s4
	v_cmp_eq_f64_e64 s4, 0, v[42:43]
	v_cmp_eq_u32_e64 s9, 0, v0
	s_delay_alu instid0(VALU_DEP_1) | instskip(NEXT) | instid1(SALU_CYCLE_1)
	s_and_b32 s3, s3, s9
	v_cndmask_b32_e64 v0, v0, 7, s3
	v_cmp_eq_f64_e64 s3, 0, v[40:41]
	s_and_b32 s5, s5, s6
	v_cmp_eq_f64_e64 s6, 0, v[46:47]
	s_delay_alu instid0(VALU_DEP_3) | instskip(NEXT) | instid1(VALU_DEP_1)
	v_cmp_eq_u32_e64 s9, 0, v0
	s_and_b32 s5, s5, s9
	s_delay_alu instid0(SALU_CYCLE_1) | instskip(SKIP_3) | instid1(VALU_DEP_3)
	v_cndmask_b32_e64 v0, v0, 8, s5
	v_cmp_eq_f64_e64 s5, 0, v[44:45]
	s_and_b32 s7, s7, s8
	v_cmp_eq_f64_e64 s8, 0, v[50:51]
	v_cmp_eq_u32_e64 s9, 0, v0
	s_delay_alu instid0(VALU_DEP_1) | instskip(NEXT) | instid1(SALU_CYCLE_1)
	s_and_b32 s7, s7, s9
	v_cndmask_b32_e64 v0, v0, 9, s7
	v_cmp_eq_f64_e64 s7, 0, v[48:49]
	s_and_b32 s2, vcc_lo, s2
	v_cmp_eq_f64_e32 vcc_lo, 0, v[52:53]
	s_delay_alu instid0(VALU_DEP_3) | instskip(NEXT) | instid1(VALU_DEP_1)
	v_cmp_eq_u32_e64 s9, 0, v0
	s_and_b32 s2, s2, s9
	s_delay_alu instid0(SALU_CYCLE_1) | instskip(SKIP_3) | instid1(VALU_DEP_3)
	v_cndmask_b32_e64 v0, v0, 10, s2
	v_cmp_eq_f64_e64 s2, 0, v[54:55]
	s_and_b32 s3, s3, s4
	v_cmp_eq_f64_e64 s4, 0, v[58:59]
	v_cmp_eq_u32_e64 s9, 0, v0
	s_delay_alu instid0(VALU_DEP_1) | instskip(NEXT) | instid1(SALU_CYCLE_1)
	s_and_b32 s3, s3, s9
	v_cndmask_b32_e64 v0, v0, 11, s3
	v_cmp_eq_f64_e64 s3, 0, v[56:57]
	s_and_b32 s5, s5, s6
	v_cmp_eq_f64_e64 s6, 0, v[62:63]
	s_delay_alu instid0(VALU_DEP_3) | instskip(NEXT) | instid1(VALU_DEP_1)
	v_cmp_eq_u32_e64 s9, 0, v0
	s_and_b32 s5, s5, s9
	s_delay_alu instid0(SALU_CYCLE_1) | instskip(SKIP_3) | instid1(VALU_DEP_3)
	v_cndmask_b32_e64 v0, v0, 12, s5
	v_cmp_eq_f64_e64 s5, 0, v[60:61]
	s_and_b32 s7, s7, s8
	v_cmp_eq_f64_e64 s8, 0, v[66:67]
	v_cmp_eq_u32_e64 s9, 0, v0
	s_delay_alu instid0(VALU_DEP_1) | instskip(NEXT) | instid1(SALU_CYCLE_1)
	s_and_b32 s7, s7, s9
	v_cndmask_b32_e64 v0, v0, 13, s7
	v_cmp_eq_f64_e64 s7, 0, v[64:65]
	s_and_b32 s2, vcc_lo, s2
	v_cmp_eq_f64_e32 vcc_lo, 0, v[68:69]
	s_delay_alu instid0(VALU_DEP_3) | instskip(NEXT) | instid1(VALU_DEP_1)
	;; [unrolled: 30-line block ×5, first 2 shown]
	v_cmp_eq_u32_e64 s9, 0, v0
	s_and_b32 s2, s2, s9
	s_delay_alu instid0(SALU_CYCLE_1) | instskip(SKIP_3) | instid1(VALU_DEP_3)
	v_cndmask_b32_e64 v0, v0, 26, s2
	v_cmp_eq_f64_e64 s2, 0, v[118:119]
	s_and_b32 s3, s3, s4
	v_cmp_eq_f64_e64 s4, 0, v[122:123]
	v_cmp_eq_u32_e64 s9, 0, v0
	s_delay_alu instid0(VALU_DEP_1) | instskip(NEXT) | instid1(SALU_CYCLE_1)
	s_and_b32 s3, s3, s9
	v_cndmask_b32_e64 v0, v0, 27, s3
	v_cmp_eq_f64_e64 s3, 0, v[120:121]
	s_and_b32 s6, s5, s6
	v_cmp_eq_f64_e64 s5, 0, v[126:127]
	s_delay_alu instid0(VALU_DEP_3) | instskip(NEXT) | instid1(VALU_DEP_1)
	v_cmp_eq_u32_e64 s9, 0, v0
	s_and_b32 s6, s6, s9
	v_cmp_eq_f64_e64 s9, 0, v[168:169]
	v_cndmask_b32_e64 v0, v0, 28, s6
	s_and_b32 s7, s7, s8
	s_delay_alu instid0(VALU_DEP_1) | instskip(NEXT) | instid1(VALU_DEP_1)
	v_cmp_eq_u32_e64 s6, 0, v0
	s_and_b32 s6, s7, s6
	v_cmp_eq_f64_e64 s7, 0, v[130:131]
	v_cndmask_b32_e64 v0, v0, 29, s6
	v_cmp_eq_f64_e64 s6, 0, v[128:129]
	s_and_b32 s2, vcc_lo, s2
	v_cmp_eq_f64_e32 vcc_lo, 0, v[132:133]
	s_delay_alu instid0(VALU_DEP_3) | instskip(NEXT) | instid1(VALU_DEP_1)
	v_cmp_eq_u32_e64 s8, 0, v0
	s_and_b32 s0, s2, s8
	v_cmp_eq_f64_e64 s8, 0, v[166:167]
	v_cndmask_b32_e64 v0, v0, 30, s0
	v_cmp_eq_f64_e64 s0, 0, v[134:135]
	s_and_b32 s2, s3, s4
	s_delay_alu instid0(VALU_DEP_2) | instskip(SKIP_2) | instid1(VALU_DEP_2)
	v_cmp_eq_u32_e64 s1, 0, v0
	s_and_b32 s5, s10, s5
	v_cmp_eq_f64_e64 s10, 0, v[170:171]
	s_and_b32 s1, s2, s1
	v_cmp_eq_f64_e64 s2, 0, v[138:139]
	v_cndmask_b32_e64 v4, v0, 31, s1
	scratch_load_b64 v[0:1], off, off offset:1648 ; 8-byte Folded Reload
	v_cmp_eq_f64_e64 s1, 0, v[136:137]
	v_cmp_eq_u32_e64 s3, 0, v4
	s_delay_alu instid0(VALU_DEP_1) | instskip(NEXT) | instid1(SALU_CYCLE_1)
	s_and_b32 s3, s5, s3
	v_cndmask_b32_e64 v5, v4, 32, s3
	v_cmp_eq_f64_e64 s3, 0, v[140:141]
	s_and_b32 s6, s6, s7
	s_delay_alu instid0(VALU_DEP_2) | instskip(NEXT) | instid1(VALU_DEP_1)
	v_cmp_eq_u32_e64 s5, 0, v5
	s_and_b32 s5, s6, s5
	v_cmp_eq_f64_e64 s6, 0, v[146:147]
	v_cndmask_b32_e64 v5, v5, 33, s5
	v_cmp_eq_f64_e64 s5, 0, v[144:145]
	s_and_b32 s0, vcc_lo, s0
	v_cmp_eq_f64_e32 vcc_lo, 0, v[148:149]
	s_delay_alu instid0(VALU_DEP_3) | instskip(NEXT) | instid1(VALU_DEP_1)
	v_cmp_eq_u32_e64 s7, 0, v5
	s_and_b32 s0, s0, s7
	s_delay_alu instid0(SALU_CYCLE_1) | instskip(SKIP_2) | instid1(VALU_DEP_2)
	v_cndmask_b32_e64 v5, v5, 34, s0
	v_cmp_eq_f64_e64 s0, 0, v[150:151]
	s_and_b32 s1, s1, s2
	v_cmp_eq_u32_e64 s7, 0, v5
	v_cmp_eq_f64_e64 s2, 0, v[154:155]
	s_delay_alu instid0(VALU_DEP_2) | instskip(NEXT) | instid1(SALU_CYCLE_1)
	s_and_b32 s1, s1, s7
	v_cndmask_b32_e64 v5, v5, 35, s1
	v_cmp_eq_f64_e64 s1, 0, v[152:153]
	s_delay_alu instid0(VALU_DEP_2)
	v_cmp_eq_u32_e64 s7, 0, v5
	s_and_b32 s5, s5, s6
	v_cmp_eq_f64_e64 s6, 0, v[162:163]
	s_and_b32 s0, vcc_lo, s0
	s_waitcnt vmcnt(0)
	v_lshlrev_b64 v[0:1], 2, v[0:1]
	s_waitcnt lgkmcnt(0)
	s_delay_alu instid0(VALU_DEP_1) | instskip(NEXT) | instid1(VALU_DEP_1)
	v_add_co_u32 v0, s4, s14, v0
	v_add_co_ci_u32_e64 v1, s4, s15, v1, s4
	v_cmp_eq_f64_e64 s4, 0, v[142:143]
	global_load_b32 v4, v[0:1], off
	s_and_b32 s3, s3, s4
	v_cmp_eq_f64_e64 s4, 0, v[158:159]
	s_and_b32 s3, s3, s7
	s_delay_alu instid0(SALU_CYCLE_1) | instskip(SKIP_1) | instid1(VALU_DEP_2)
	v_cndmask_b32_e64 v5, v5, 36, s3
	v_cmp_eq_f64_e64 s3, 0, v[156:157]
	v_cmp_eq_u32_e64 s7, 0, v5
	s_delay_alu instid0(VALU_DEP_1) | instskip(NEXT) | instid1(SALU_CYCLE_1)
	s_and_b32 s5, s5, s7
	v_cndmask_b32_e64 v5, v5, 37, s5
	v_cmp_eq_f64_e64 s5, 0, v[160:161]
	s_delay_alu instid0(VALU_DEP_2) | instskip(NEXT) | instid1(VALU_DEP_1)
	v_cmp_eq_u32_e64 s7, 0, v5
	s_and_b32 s0, s0, s7
	v_cmp_eq_f64_e64 s7, 0, v[164:165]
	v_cndmask_b32_e64 v5, v5, 38, s0
	s_and_b32 s0, s1, s2
	s_delay_alu instid0(VALU_DEP_1) | instskip(SKIP_1) | instid1(SALU_CYCLE_1)
	v_cmp_eq_u32_e32 vcc_lo, 0, v5
	s_and_b32 s0, s0, vcc_lo
	v_cndmask_b32_e64 v5, v5, 39, s0
	s_and_b32 s0, s3, s4
	s_delay_alu instid0(VALU_DEP_1)
	v_cmp_eq_u32_e32 vcc_lo, 0, v5
	s_and_b32 s0, s0, vcc_lo
	v_cmp_eq_f64_e32 vcc_lo, 0, v[172:173]
	v_cndmask_b32_e64 v5, v5, 40, s0
	v_cmp_eq_f64_e64 s0, 0, v[174:175]
	s_and_b32 s2, s5, s6
	s_and_b32 s6, s9, s10
	s_delay_alu instid0(VALU_DEP_2) | instskip(NEXT) | instid1(VALU_DEP_1)
	v_cmp_eq_u32_e64 s1, 0, v5
	s_and_b32 s1, s2, s1
	v_cmp_eq_f64_e64 s2, 0, v[178:179]
	v_cndmask_b32_e64 v5, v5, 41, s1
	v_cmp_eq_f64_e64 s1, 0, v[176:177]
	s_and_b32 s4, s7, s8
	s_delay_alu instid0(VALU_DEP_2) | instskip(NEXT) | instid1(VALU_DEP_1)
	v_cmp_eq_u32_e64 s3, 0, v5
	s_and_b32 s3, s4, s3
	v_cmp_eq_f64_e64 s4, 0, v[182:183]
	v_cndmask_b32_e64 v5, v5, 42, s3
	v_cmp_eq_f64_e64 s3, 0, v[180:181]
	s_delay_alu instid0(VALU_DEP_2) | instskip(NEXT) | instid1(VALU_DEP_1)
	v_cmp_eq_u32_e64 s5, 0, v5
	s_and_b32 s5, s6, s5
	v_cmp_eq_f64_e64 s6, 0, v[186:187]
	v_cndmask_b32_e64 v5, v5, 43, s5
	v_cmp_eq_f64_e64 s5, 0, v[184:185]
	s_and_b32 s0, vcc_lo, s0
	v_cmp_eq_f64_e32 vcc_lo, 0, v[188:189]
	s_delay_alu instid0(VALU_DEP_3) | instskip(NEXT) | instid1(VALU_DEP_1)
	v_cmp_eq_u32_e64 s7, 0, v5
	s_and_b32 s0, s0, s7
	s_delay_alu instid0(SALU_CYCLE_1) | instskip(SKIP_3) | instid1(VALU_DEP_3)
	v_cndmask_b32_e64 v5, v5, 44, s0
	v_cmp_eq_f64_e64 s0, 0, v[190:191]
	s_and_b32 s1, s1, s2
	v_cmp_eq_f64_e64 s2, 0, v[194:195]
	v_cmp_eq_u32_e64 s7, 0, v5
	s_delay_alu instid0(VALU_DEP_1) | instskip(NEXT) | instid1(SALU_CYCLE_1)
	s_and_b32 s1, s1, s7
	v_cndmask_b32_e64 v5, v5, 45, s1
	v_cmp_eq_f64_e64 s1, 0, v[192:193]
	s_and_b32 s3, s3, s4
	v_cmp_eq_f64_e64 s4, 0, v[198:199]
	s_delay_alu instid0(VALU_DEP_3) | instskip(NEXT) | instid1(VALU_DEP_1)
	v_cmp_eq_u32_e64 s7, 0, v5
	s_and_b32 s3, s3, s7
	s_delay_alu instid0(SALU_CYCLE_1) | instskip(SKIP_3) | instid1(VALU_DEP_3)
	v_cndmask_b32_e64 v5, v5, 46, s3
	v_cmp_eq_f64_e64 s3, 0, v[196:197]
	s_and_b32 s5, s5, s6
	v_cmp_eq_f64_e64 s6, 0, v[202:203]
	v_cmp_eq_u32_e64 s7, 0, v5
	s_delay_alu instid0(VALU_DEP_1) | instskip(NEXT) | instid1(SALU_CYCLE_1)
	s_and_b32 s5, s5, s7
	v_cndmask_b32_e64 v5, v5, 47, s5
	v_cmp_eq_f64_e64 s5, 0, v[200:201]
	s_and_b32 s0, vcc_lo, s0
	v_cmp_eq_f64_e32 vcc_lo, 0, v[204:205]
	s_delay_alu instid0(VALU_DEP_3) | instskip(NEXT) | instid1(VALU_DEP_1)
	v_cmp_eq_u32_e64 s7, 0, v5
	s_and_b32 s0, s0, s7
	s_delay_alu instid0(SALU_CYCLE_1) | instskip(SKIP_3) | instid1(VALU_DEP_3)
	v_cndmask_b32_e64 v5, v5, 48, s0
	v_cmp_eq_f64_e64 s0, 0, v[206:207]
	s_and_b32 s1, s1, s2
	v_cmp_eq_f64_e64 s2, 0, v[210:211]
	v_cmp_eq_u32_e64 s7, 0, v5
	s_delay_alu instid0(VALU_DEP_1) | instskip(NEXT) | instid1(SALU_CYCLE_1)
	s_and_b32 s1, s1, s7
	v_cndmask_b32_e64 v5, v5, 49, s1
	v_cmp_eq_f64_e64 s1, 0, v[208:209]
	s_and_b32 s3, s3, s4
	v_cmp_eq_f64_e64 s4, 0, v[214:215]
	s_delay_alu instid0(VALU_DEP_3) | instskip(NEXT) | instid1(VALU_DEP_1)
	v_cmp_eq_u32_e64 s7, 0, v5
	s_and_b32 s3, s3, s7
	s_delay_alu instid0(SALU_CYCLE_1) | instskip(SKIP_3) | instid1(VALU_DEP_3)
	v_cndmask_b32_e64 v5, v5, 50, s3
	v_cmp_eq_f64_e64 s3, 0, v[212:213]
	s_and_b32 s5, s5, s6
	v_cmp_eq_f64_e64 s6, 0, v[218:219]
	v_cmp_eq_u32_e64 s7, 0, v5
	s_delay_alu instid0(VALU_DEP_1) | instskip(NEXT) | instid1(SALU_CYCLE_1)
	s_and_b32 s5, s5, s7
	;; [unrolled: 30-line block ×3, first 2 shown]
	v_cndmask_b32_e64 v5, v5, 55, s5
	v_cmp_eq_f64_e64 s5, 0, v[232:233]
	s_and_b32 s0, vcc_lo, s0
	v_cmp_eq_f64_e32 vcc_lo, 0, v[236:237]
	s_delay_alu instid0(VALU_DEP_3) | instskip(NEXT) | instid1(VALU_DEP_1)
	v_cmp_eq_u32_e64 s7, 0, v5
	s_and_b32 s0, s0, s7
	s_delay_alu instid0(SALU_CYCLE_1) | instskip(SKIP_3) | instid1(VALU_DEP_3)
	v_cndmask_b32_e64 v5, v5, 56, s0
	v_cmp_eq_f64_e64 s0, 0, v[238:239]
	s_and_b32 s1, s1, s2
	v_cmp_eq_f64_e64 s2, 0, v[242:243]
	v_cmp_eq_u32_e64 s7, 0, v5
	s_delay_alu instid0(VALU_DEP_1) | instskip(NEXT) | instid1(SALU_CYCLE_1)
	s_and_b32 s1, s1, s7
	v_cndmask_b32_e64 v5, v5, 57, s1
	v_cmp_eq_f64_e64 s1, 0, v[240:241]
	s_and_b32 s3, s3, s4
	s_delay_alu instid0(VALU_DEP_2) | instskip(NEXT) | instid1(VALU_DEP_1)
	v_cmp_eq_u32_e64 s7, 0, v5
	s_and_b32 s3, s3, s7
	s_delay_alu instid0(SALU_CYCLE_1) | instskip(SKIP_1) | instid1(VALU_DEP_1)
	v_cndmask_b32_e64 v5, v5, 58, s3
	s_and_b32 s4, s5, s6
	v_cmp_eq_u32_e64 s3, 0, v5
	s_delay_alu instid0(VALU_DEP_1) | instskip(NEXT) | instid1(SALU_CYCLE_1)
	s_and_b32 s3, s4, s3
	v_cndmask_b32_e64 v5, v5, 59, s3
	s_and_b32 s0, vcc_lo, s0
	s_delay_alu instid0(VALU_DEP_1) | instskip(NEXT) | instid1(VALU_DEP_1)
	v_cmp_eq_u32_e64 s3, 0, v5
	s_and_b32 s0, s0, s3
	s_delay_alu instid0(SALU_CYCLE_1) | instskip(SKIP_1) | instid1(VALU_DEP_1)
	v_cndmask_b32_e64 v5, v5, 60, s0
	s_and_b32 s0, s1, s2
	v_cmp_eq_u32_e32 vcc_lo, 0, v5
	s_and_b32 s0, s0, vcc_lo
	s_waitcnt vmcnt(0)
	v_cmp_eq_u32_e32 vcc_lo, 0, v4
	v_cndmask_b32_e64 v5, v5, 61, s0
	s_delay_alu instid0(VALU_DEP_1) | instskip(NEXT) | instid1(VALU_DEP_1)
	v_cmp_lt_i32_e64 s0, 0, v5
	s_and_b32 s0, vcc_lo, s0
	s_delay_alu instid0(SALU_CYCLE_1)
	s_and_b32 exec_lo, exec_lo, s0
	s_cbranch_execz .LBB121_676
; %bb.675:
	v_add_nc_u32_e32 v4, s11, v5
	global_store_b32 v[0:1], v4, off
.LBB121_676:
	s_or_b32 exec_lo, exec_lo, s12
	v_add_nc_u32_e64 v0, 0, 32
	scratch_load_b128 v[4:7], off, off
	s_clause 0x1
	scratch_load_b128 v[8:11], v10, off
	scratch_load_b128 v[12:15], v0, off
	v_add_nc_u32_e64 v0, 0, 48
	scratch_load_b128 v[16:19], v0, off
	v_add_nc_u32_e64 v0, 0, 64
	scratch_load_b128 v[20:23], v0, off
	scratch_load_b32 v0, off, off offset:1644 ; 4-byte Folded Reload
	s_waitcnt vmcnt(0)
	s_clause 0x1
	scratch_load_b128 v[24:27], v0, off
	scratch_load_b128 v[28:31], v244, off
	scratch_load_b32 v0, off, off offset:1160 ; 4-byte Folded Reload
	s_waitcnt vmcnt(0)
	scratch_load_b128 v[32:35], v0, off
	scratch_load_b32 v0, off, off offset:1156 ; 4-byte Folded Reload
	s_waitcnt vmcnt(0)
	;; [unrolled: 3-line block ×16, first 2 shown]
	scratch_load_b128 v[92:95], v0, off
	scratch_load_b64 v[0:1], off, off offset:1084 ; 8-byte Folded Reload
	s_waitcnt vmcnt(0)
	global_store_b128 v[0:1], v[4:7], off
	scratch_load_b32 v0, off, off offset:1096 ; 4-byte Folded Reload
	s_waitcnt vmcnt(0)
	scratch_load_b128 v[4:7], v0, off
	scratch_load_b32 v0, off, off offset:1092 ; 4-byte Folded Reload
	s_waitcnt vmcnt(0)
	scratch_load_b128 v[96:99], v0, off
	scratch_load_b64 v[0:1], off, off offset:1636 ; 8-byte Folded Reload
	s_waitcnt vmcnt(0)
	global_store_b128 v[0:1], v[8:11], off
	scratch_load_b32 v0, off, off offset:1080 ; 4-byte Folded Reload
	s_waitcnt vmcnt(0)
	scratch_load_b128 v[8:11], v0, off
	scratch_load_b32 v0, off, off offset:1076 ; 4-byte Folded Reload
	s_waitcnt vmcnt(0)
	;; [unrolled: 9-line block ×14, first 2 shown]
	scratch_load_b128 v[148:151], v0, off
	scratch_load_b64 v[0:1], off, off offset:1236 ; 8-byte Folded Reload
	s_waitcnt vmcnt(0)
	global_store_b128 v[0:1], v[60:63], off
	scratch_load_b32 v0, off, off offset:976 ; 4-byte Folded Reload
	s_waitcnt vmcnt(0)
	s_clause 0x1
	scratch_load_b128 v[60:63], v0, off
	scratch_load_b128 v[152:155], v245, off
	scratch_load_b64 v[0:1], off, off offset:1228 ; 8-byte Folded Reload
	s_waitcnt vmcnt(0)
	global_store_b128 v[0:1], v[64:67], off
	s_clause 0x1
	scratch_load_b128 v[64:67], v250, off
	scratch_load_b128 v[156:159], v253, off
	scratch_load_b64 v[0:1], off, off offset:1220 ; 8-byte Folded Reload
	s_waitcnt vmcnt(0)
	global_store_b128 v[0:1], v[68:71], off
	;; [unrolled: 6-line block ×5, first 2 shown]
	scratch_load_b64 v[80:81], off, off offset:1172 ; 8-byte Folded Reload
	s_waitcnt vmcnt(0)
	global_store_b128 v[80:81], v[84:87], off
	scratch_load_b64 v[80:81], off, off offset:1180 ; 8-byte Folded Reload
	s_waitcnt vmcnt(0)
	global_store_b128 v[80:81], v[88:91], off
	;; [unrolled: 3-line block ×41, first 2 shown]
.LBB121_677:
	s_nop 0
	s_sendmsg sendmsg(MSG_DEALLOC_VGPRS)
	s_endpgm
	.section	.rodata,"a",@progbits
	.p2align	6, 0x0
	.amdhsa_kernel _ZN9rocsolver6v33100L23getf2_npvt_small_kernelILi61E19rocblas_complex_numIdEiiPKPS3_EEvT1_T3_lS7_lPT2_S7_S7_
		.amdhsa_group_segment_fixed_size 0
		.amdhsa_private_segment_fixed_size 1712
		.amdhsa_kernarg_size 312
		.amdhsa_user_sgpr_count 14
		.amdhsa_user_sgpr_dispatch_ptr 0
		.amdhsa_user_sgpr_queue_ptr 0
		.amdhsa_user_sgpr_kernarg_segment_ptr 1
		.amdhsa_user_sgpr_dispatch_id 0
		.amdhsa_user_sgpr_private_segment_size 0
		.amdhsa_wavefront_size32 1
		.amdhsa_uses_dynamic_stack 0
		.amdhsa_enable_private_segment 1
		.amdhsa_system_sgpr_workgroup_id_x 1
		.amdhsa_system_sgpr_workgroup_id_y 1
		.amdhsa_system_sgpr_workgroup_id_z 0
		.amdhsa_system_sgpr_workgroup_info 0
		.amdhsa_system_vgpr_workitem_id 1
		.amdhsa_next_free_vgpr 256
		.amdhsa_next_free_sgpr 79
		.amdhsa_reserve_vcc 1
		.amdhsa_float_round_mode_32 0
		.amdhsa_float_round_mode_16_64 0
		.amdhsa_float_denorm_mode_32 3
		.amdhsa_float_denorm_mode_16_64 3
		.amdhsa_dx10_clamp 1
		.amdhsa_ieee_mode 1
		.amdhsa_fp16_overflow 0
		.amdhsa_workgroup_processor_mode 1
		.amdhsa_memory_ordered 1
		.amdhsa_forward_progress 0
		.amdhsa_shared_vgpr_count 0
		.amdhsa_exception_fp_ieee_invalid_op 0
		.amdhsa_exception_fp_denorm_src 0
		.amdhsa_exception_fp_ieee_div_zero 0
		.amdhsa_exception_fp_ieee_overflow 0
		.amdhsa_exception_fp_ieee_underflow 0
		.amdhsa_exception_fp_ieee_inexact 0
		.amdhsa_exception_int_div_zero 0
	.end_amdhsa_kernel
	.section	.text._ZN9rocsolver6v33100L23getf2_npvt_small_kernelILi61E19rocblas_complex_numIdEiiPKPS3_EEvT1_T3_lS7_lPT2_S7_S7_,"axG",@progbits,_ZN9rocsolver6v33100L23getf2_npvt_small_kernelILi61E19rocblas_complex_numIdEiiPKPS3_EEvT1_T3_lS7_lPT2_S7_S7_,comdat
.Lfunc_end121:
	.size	_ZN9rocsolver6v33100L23getf2_npvt_small_kernelILi61E19rocblas_complex_numIdEiiPKPS3_EEvT1_T3_lS7_lPT2_S7_S7_, .Lfunc_end121-_ZN9rocsolver6v33100L23getf2_npvt_small_kernelILi61E19rocblas_complex_numIdEiiPKPS3_EEvT1_T3_lS7_lPT2_S7_S7_
                                        ; -- End function
	.section	.AMDGPU.csdata,"",@progbits
; Kernel info:
; codeLenInByte = 115164
; NumSgprs: 81
; NumVgprs: 256
; ScratchSize: 1712
; MemoryBound: 0
; FloatMode: 240
; IeeeMode: 1
; LDSByteSize: 0 bytes/workgroup (compile time only)
; SGPRBlocks: 10
; VGPRBlocks: 31
; NumSGPRsForWavesPerEU: 81
; NumVGPRsForWavesPerEU: 256
; Occupancy: 5
; WaveLimiterHint : 1
; COMPUTE_PGM_RSRC2:SCRATCH_EN: 1
; COMPUTE_PGM_RSRC2:USER_SGPR: 14
; COMPUTE_PGM_RSRC2:TRAP_HANDLER: 0
; COMPUTE_PGM_RSRC2:TGID_X_EN: 1
; COMPUTE_PGM_RSRC2:TGID_Y_EN: 1
; COMPUTE_PGM_RSRC2:TGID_Z_EN: 0
; COMPUTE_PGM_RSRC2:TIDIG_COMP_CNT: 1
	.section	.text._ZN9rocsolver6v33100L18getf2_small_kernelILi62E19rocblas_complex_numIdEiiPKPS3_EEvT1_T3_lS7_lPS7_llPT2_S7_S7_S9_l,"axG",@progbits,_ZN9rocsolver6v33100L18getf2_small_kernelILi62E19rocblas_complex_numIdEiiPKPS3_EEvT1_T3_lS7_lPS7_llPT2_S7_S7_S9_l,comdat
	.globl	_ZN9rocsolver6v33100L18getf2_small_kernelILi62E19rocblas_complex_numIdEiiPKPS3_EEvT1_T3_lS7_lPS7_llPT2_S7_S7_S9_l ; -- Begin function _ZN9rocsolver6v33100L18getf2_small_kernelILi62E19rocblas_complex_numIdEiiPKPS3_EEvT1_T3_lS7_lPS7_llPT2_S7_S7_S9_l
	.p2align	8
	.type	_ZN9rocsolver6v33100L18getf2_small_kernelILi62E19rocblas_complex_numIdEiiPKPS3_EEvT1_T3_lS7_lPS7_llPT2_S7_S7_S9_l,@function
_ZN9rocsolver6v33100L18getf2_small_kernelILi62E19rocblas_complex_numIdEiiPKPS3_EEvT1_T3_lS7_lPS7_llPT2_S7_S7_S9_l: ; @_ZN9rocsolver6v33100L18getf2_small_kernelILi62E19rocblas_complex_numIdEiiPKPS3_EEvT1_T3_lS7_lPS7_llPT2_S7_S7_S9_l
; %bb.0:
	s_clause 0x1
	s_load_b32 s2, s[0:1], 0x6c
	s_load_b64 s[12:13], s[0:1], 0x48
	v_bfe_u32 v1, v0, 10, 10
	s_waitcnt lgkmcnt(0)
	s_lshr_b32 s2, s2, 16
	s_delay_alu instid0(VALU_DEP_1) | instid1(SALU_CYCLE_1)
	v_mad_u64_u32 v[8:9], null, s15, s2, v[1:2]
	s_mov_b32 s2, exec_lo
	s_delay_alu instid0(VALU_DEP_1)
	v_cmpx_gt_i32_e64 s12, v8
	s_cbranch_execnz .LBB122_1
; %bb.1436:
	s_getpc_b64 s[70:71]
.Lpost_getpc29:
	s_add_u32 s70, s70, (.LBB122_1435-.Lpost_getpc29)&4294967295
	s_addc_u32 s71, s71, (.LBB122_1435-.Lpost_getpc29)>>32
	s_setpc_b64 s[70:71]
.LBB122_1:
	s_clause 0x1
	s_load_b128 s[4:7], s[0:1], 0x8
	s_load_b128 s[8:11], s[0:1], 0x50
	v_ashrrev_i32_e32 v9, 31, v8
	v_mov_b32_e32 v18, 0
	v_mov_b32_e32 v19, 0
	s_delay_alu instid0(VALU_DEP_3) | instskip(SKIP_1) | instid1(VALU_DEP_1)
	v_lshlrev_b64 v[2:3], 3, v[8:9]
	s_waitcnt lgkmcnt(0)
	v_add_co_u32 v2, vcc_lo, s4, v2
	s_delay_alu instid0(VALU_DEP_2)
	v_add_co_ci_u32_e32 v3, vcc_lo, s5, v3, vcc_lo
	s_cmp_eq_u64 s[8:9], 0
	s_cselect_b32 s4, -1, 0
	global_load_b64 v[2:3], v[2:3], off
	s_and_b32 vcc_lo, exec_lo, s4
	s_cbranch_vccnz .LBB122_3
; %bb.2:
	v_mul_lo_u32 v6, v9, s10
	v_mul_lo_u32 v7, v8, s11
	v_mad_u64_u32 v[4:5], null, v8, s10, 0
	s_delay_alu instid0(VALU_DEP_1) | instskip(NEXT) | instid1(VALU_DEP_1)
	v_add3_u32 v5, v5, v7, v6
	v_lshlrev_b64 v[4:5], 2, v[4:5]
	s_delay_alu instid0(VALU_DEP_1) | instskip(NEXT) | instid1(VALU_DEP_2)
	v_add_co_u32 v18, vcc_lo, s8, v4
	v_add_co_ci_u32_e32 v19, vcc_lo, s9, v5, vcc_lo
.LBB122_3:
	v_and_b32_e32 v5, 0x3ff, v0
	s_lshl_b64 s[2:3], s[6:7], 4
	scratch_store_b64 off, v[8:9], off offset:992 ; 8-byte Folded Spill
	s_waitcnt vmcnt(0)
	v_add_co_u32 v142, vcc_lo, v2, s2
	v_lshlrev_b32_e32 v4, 4, v5
	v_add_co_ci_u32_e32 v143, vcc_lo, s3, v3, vcc_lo
	s_clause 0x1
	s_load_b32 s8, s[0:1], 0x18
	s_load_b32 s5, s[0:1], 0x0
	v_add_co_u32 v2, vcc_lo, v142, v4
	v_add_co_ci_u32_e32 v3, vcc_lo, 0, v143, vcc_lo
	s_movk_i32 s6, 0x50
	s_movk_i32 s7, 0x60
	;; [unrolled: 1-line block ×3, first 2 shown]
	s_clause 0x1
	global_load_b128 v[7:10], v[2:3], off
	global_load_b128 v[11:14], v[2:3], off
	s_movk_i32 s14, 0x90
	s_movk_i32 s15, 0xa0
	;; [unrolled: 1-line block ×10, first 2 shown]
	s_waitcnt lgkmcnt(0)
	v_add3_u32 v0, s8, s8, v5
	s_max_i32 s2, s5, 62
	s_ashr_i32 s9, s8, 31
	v_mul_lo_u32 v6, s2, v1
	s_lshl_b64 s[10:11], s[8:9], 4
	v_add_nc_u32_e32 v21, s8, v0
	v_ashrrev_i32_e32 v1, 31, v0
	v_add_co_u32 v2, vcc_lo, v2, s10
	v_add_co_ci_u32_e32 v3, vcc_lo, s11, v3, vcc_lo
	s_delay_alu instid0(VALU_DEP_4)
	v_add_nc_u32_e32 v23, s8, v21
	v_ashrrev_i32_e32 v22, 31, v21
	v_lshlrev_b64 v[0:1], 4, v[0:1]
	v_lshl_add_u32 v20, v6, 4, 0
	s_movk_i32 s9, 0x70
	v_add_nc_u32_e32 v27, s8, v23
	v_ashrrev_i32_e32 v24, 31, v23
	v_lshlrev_b64 v[25:26], 4, v[21:22]
	v_add_co_u32 v21, vcc_lo, v142, v0
	s_delay_alu instid0(VALU_DEP_4) | instskip(SKIP_3) | instid1(VALU_DEP_4)
	v_add_nc_u32_e32 v31, s8, v27
	v_ashrrev_i32_e32 v28, 31, v27
	v_lshlrev_b64 v[29:30], 4, v[23:24]
	v_add_co_ci_u32_e32 v22, vcc_lo, v143, v1, vcc_lo
	v_add_nc_u32_e32 v35, s8, v31
	v_ashrrev_i32_e32 v32, 31, v31
	v_add_co_u32 v25, vcc_lo, v142, v25
	v_lshlrev_b64 v[33:34], 4, v[27:28]
	s_delay_alu instid0(VALU_DEP_4) | instskip(SKIP_3) | instid1(VALU_DEP_4)
	v_add_nc_u32_e32 v39, s8, v35
	v_ashrrev_i32_e32 v36, 31, v35
	v_add_co_ci_u32_e32 v26, vcc_lo, v143, v26, vcc_lo
	v_add_co_u32 v29, vcc_lo, v142, v29
	v_add_nc_u32_e32 v43, s8, v39
	v_lshlrev_b64 v[37:38], 4, v[31:32]
	v_ashrrev_i32_e32 v40, 31, v39
	v_add_co_ci_u32_e32 v30, vcc_lo, v143, v30, vcc_lo
	s_delay_alu instid0(VALU_DEP_4) | instskip(SKIP_3) | instid1(VALU_DEP_4)
	v_add_nc_u32_e32 v47, s8, v43
	v_add_co_u32 v33, vcc_lo, v142, v33
	v_lshlrev_b64 v[41:42], 4, v[35:36]
	v_ashrrev_i32_e32 v44, 31, v43
	v_add_nc_u32_e32 v51, s8, v47
	v_add_co_ci_u32_e32 v34, vcc_lo, v143, v34, vcc_lo
	v_add_co_u32 v37, vcc_lo, v142, v37
	s_delay_alu instid0(VALU_DEP_3) | instskip(SKIP_3) | instid1(VALU_DEP_4)
	v_add_nc_u32_e32 v55, s8, v51
	v_lshlrev_b64 v[45:46], 4, v[39:40]
	v_ashrrev_i32_e32 v48, 31, v47
	v_add_co_ci_u32_e32 v38, vcc_lo, v143, v38, vcc_lo
	v_add_nc_u32_e32 v59, s8, v55
	v_add_co_u32 v41, vcc_lo, v142, v41
	v_lshlrev_b64 v[49:50], 4, v[43:44]
	v_ashrrev_i32_e32 v52, 31, v51
	s_delay_alu instid0(VALU_DEP_4) | instskip(SKIP_2) | instid1(VALU_DEP_3)
	v_add_nc_u32_e32 v63, s8, v59
	v_add_co_ci_u32_e32 v42, vcc_lo, v143, v42, vcc_lo
	v_add_co_u32 v45, vcc_lo, v142, v45
	v_add_nc_u32_e32 v67, s8, v63
	v_lshlrev_b64 v[53:54], 4, v[47:48]
	v_ashrrev_i32_e32 v56, 31, v55
	v_add_co_ci_u32_e32 v46, vcc_lo, v143, v46, vcc_lo
	s_delay_alu instid0(VALU_DEP_4) | instskip(SKIP_3) | instid1(VALU_DEP_4)
	v_add_nc_u32_e32 v71, s8, v67
	v_add_co_u32 v49, vcc_lo, v142, v49
	v_lshlrev_b64 v[57:58], 4, v[51:52]
	v_ashrrev_i32_e32 v60, 31, v59
	v_add_nc_u32_e32 v75, s8, v71
	v_add_co_ci_u32_e32 v50, vcc_lo, v143, v50, vcc_lo
	v_add_co_u32 v53, vcc_lo, v142, v53
	s_delay_alu instid0(VALU_DEP_3) | instskip(SKIP_3) | instid1(VALU_DEP_4)
	v_add_nc_u32_e32 v79, s8, v75
	v_lshlrev_b64 v[61:62], 4, v[55:56]
	v_ashrrev_i32_e32 v64, 31, v63
	v_add_co_ci_u32_e32 v54, vcc_lo, v143, v54, vcc_lo
	v_add_nc_u32_e32 v83, s8, v79
	v_add_co_u32 v57, vcc_lo, v142, v57
	v_lshlrev_b64 v[65:66], 4, v[59:60]
	v_ashrrev_i32_e32 v68, 31, v67
	s_delay_alu instid0(VALU_DEP_4) | instskip(SKIP_2) | instid1(VALU_DEP_3)
	v_add_nc_u32_e32 v87, s8, v83
	v_add_co_ci_u32_e32 v58, vcc_lo, v143, v58, vcc_lo
	v_add_co_u32 v61, vcc_lo, v142, v61
	v_add_nc_u32_e32 v89, s8, v87
	v_lshlrev_b64 v[69:70], 4, v[63:64]
	v_ashrrev_i32_e32 v72, 31, v71
	v_add_co_ci_u32_e32 v62, vcc_lo, v143, v62, vcc_lo
	s_delay_alu instid0(VALU_DEP_4) | instskip(SKIP_3) | instid1(VALU_DEP_4)
	v_add_nc_u32_e32 v93, s8, v89
	v_add_co_u32 v65, vcc_lo, v142, v65
	v_lshlrev_b64 v[73:74], 4, v[67:68]
	v_ashrrev_i32_e32 v76, 31, v75
	v_add_nc_u32_e32 v99, s8, v93
	v_add_co_ci_u32_e32 v66, vcc_lo, v143, v66, vcc_lo
	v_add_co_u32 v69, vcc_lo, v142, v69
	s_delay_alu instid0(VALU_DEP_3)
	v_add_nc_u32_e32 v103, s8, v99
	v_lshlrev_b64 v[77:78], 4, v[71:72]
	v_ashrrev_i32_e32 v80, 31, v79
	v_add_co_ci_u32_e32 v70, vcc_lo, v143, v70, vcc_lo
	v_add_co_u32 v73, vcc_lo, v142, v73
	v_lshlrev_b64 v[81:82], 4, v[75:76]
	v_add_nc_u32_e32 v107, s8, v103
	v_ashrrev_i32_e32 v84, 31, v83
	v_add_co_ci_u32_e32 v74, vcc_lo, v143, v74, vcc_lo
	v_add_co_u32 v77, vcc_lo, v142, v77
	v_lshlrev_b64 v[85:86], 4, v[79:80]
	v_ashrrev_i32_e32 v88, 31, v87
	v_add_co_ci_u32_e32 v78, vcc_lo, v143, v78, vcc_lo
	v_add_nc_u32_e32 v111, s8, v107
	v_add_co_u32 v81, vcc_lo, v142, v81
	v_lshlrev_b64 v[91:92], 4, v[83:84]
	v_ashrrev_i32_e32 v90, 31, v89
	v_add_co_ci_u32_e32 v82, vcc_lo, v143, v82, vcc_lo
	v_add_co_u32 v85, vcc_lo, v142, v85
	v_lshlrev_b64 v[95:96], 4, v[87:88]
	v_ashrrev_i32_e32 v94, 31, v93
	v_add_nc_u32_e32 v113, s8, v111
	v_add_co_ci_u32_e32 v86, vcc_lo, v143, v86, vcc_lo
	v_add_co_u32 v91, vcc_lo, v142, v91
	v_lshlrev_b64 v[97:98], 4, v[89:90]
	v_ashrrev_i32_e32 v100, 31, v99
	v_add_co_ci_u32_e32 v92, vcc_lo, v143, v92, vcc_lo
	v_add_co_u32 v95, vcc_lo, v142, v95
	v_lshlrev_b64 v[101:102], 4, v[93:94]
	v_add_nc_u32_e32 v119, s8, v113
	v_ashrrev_i32_e32 v104, 31, v103
	v_add_co_ci_u32_e32 v96, vcc_lo, v143, v96, vcc_lo
	v_add_co_u32 v97, vcc_lo, v142, v97
	v_lshlrev_b64 v[105:106], 4, v[99:100]
	v_ashrrev_i32_e32 v108, 31, v107
	v_add_co_ci_u32_e32 v98, vcc_lo, v143, v98, vcc_lo
	v_add_nc_u32_e32 v123, s8, v119
	v_add_co_u32 v101, vcc_lo, v142, v101
	v_lshlrev_b64 v[109:110], 4, v[103:104]
	v_ashrrev_i32_e32 v112, 31, v111
	v_add_co_ci_u32_e32 v102, vcc_lo, v143, v102, vcc_lo
	v_add_co_u32 v105, vcc_lo, v142, v105
	v_lshlrev_b64 v[115:116], 4, v[107:108]
	v_ashrrev_i32_e32 v114, 31, v113
	v_add_nc_u32_e32 v127, s8, v123
	v_add_co_ci_u32_e32 v106, vcc_lo, v143, v106, vcc_lo
	v_add_co_u32 v109, vcc_lo, v142, v109
	v_lshlrev_b64 v[117:118], 4, v[111:112]
	v_ashrrev_i32_e32 v120, 31, v119
	v_add_co_ci_u32_e32 v110, vcc_lo, v143, v110, vcc_lo
	v_add_co_u32 v115, vcc_lo, v142, v115
	v_lshlrev_b64 v[121:122], 4, v[113:114]
	v_add_nc_u32_e32 v131, s8, v127
	v_ashrrev_i32_e32 v124, 31, v123
	v_add_co_ci_u32_e32 v116, vcc_lo, v143, v116, vcc_lo
	v_add_co_u32 v117, vcc_lo, v142, v117
	v_lshlrev_b64 v[125:126], 4, v[119:120]
	v_ashrrev_i32_e32 v128, 31, v127
	v_add_co_ci_u32_e32 v118, vcc_lo, v143, v118, vcc_lo
	v_add_nc_u32_e32 v133, s8, v131
	v_add_co_u32 v121, vcc_lo, v142, v121
	v_lshlrev_b64 v[129:130], 4, v[123:124]
	v_ashrrev_i32_e32 v132, 31, v131
	v_add_co_ci_u32_e32 v122, vcc_lo, v143, v122, vcc_lo
	v_add_co_u32 v125, vcc_lo, v142, v125
	v_lshlrev_b64 v[135:136], 4, v[127:128]
	v_add_nc_u32_e32 v137, s8, v133
	v_add_co_ci_u32_e32 v126, vcc_lo, v143, v126, vcc_lo
	v_add_co_u32 v129, vcc_lo, v142, v129
	v_lshlrev_b64 v[131:132], 4, v[131:132]
	v_add_co_ci_u32_e32 v130, vcc_lo, v143, v130, vcc_lo
	v_ashrrev_i32_e32 v134, 31, v133
	v_add_co_u32 v135, vcc_lo, v142, v135
	v_ashrrev_i32_e32 v138, 31, v137
	v_add_nc_u32_e32 v139, s8, v137
	v_add_co_ci_u32_e32 v136, vcc_lo, v143, v136, vcc_lo
	v_add_co_u32 v144, vcc_lo, v142, v131
	v_lshlrev_b64 v[133:134], 4, v[133:134]
	v_add_co_ci_u32_e32 v145, vcc_lo, v143, v132, vcc_lo
	v_lshlrev_b64 v[131:132], 4, v[137:138]
	v_add_nc_u32_e32 v137, s8, v139
	v_ashrrev_i32_e32 v140, 31, v139
	v_add_co_u32 v146, vcc_lo, v142, v133
	v_add_co_ci_u32_e32 v147, vcc_lo, v143, v134, vcc_lo
	s_delay_alu instid0(VALU_DEP_4)
	v_ashrrev_i32_e32 v138, 31, v137
	v_add_nc_u32_e32 v133, s8, v137
	v_add_co_u32 v148, vcc_lo, v142, v131
	v_lshlrev_b64 v[139:140], 4, v[139:140]
	v_add_co_ci_u32_e32 v149, vcc_lo, v143, v132, vcc_lo
	v_lshlrev_b64 v[131:132], 4, v[137:138]
	v_add_nc_u32_e32 v137, s8, v133
	v_ashrrev_i32_e32 v134, 31, v133
	v_add_co_u32 v150, vcc_lo, v142, v139
	v_add_co_ci_u32_e32 v151, vcc_lo, v143, v140, vcc_lo
	s_delay_alu instid0(VALU_DEP_4)
	v_ashrrev_i32_e32 v138, 31, v137
	v_add_nc_u32_e32 v139, s8, v137
	;; [unrolled: 11-line block ×4, first 2 shown]
	v_add_co_u32 v168, vcc_lo, v142, v131
	v_lshlrev_b64 v[133:134], 4, v[133:134]
	v_add_co_ci_u32_e32 v169, vcc_lo, v143, v132, vcc_lo
	v_lshlrev_b64 v[131:132], 4, v[137:138]
	v_add_nc_u32_e32 v137, s8, v139
	v_ashrrev_i32_e32 v140, 31, v139
	v_add_nc_u32_e32 v4, v20, v4
	v_add_co_u32 v172, vcc_lo, v142, v133
	s_delay_alu instid0(VALU_DEP_4)
	v_add_nc_u32_e32 v133, s8, v137
	v_ashrrev_i32_e32 v138, 31, v137
	v_lshlrev_b64 v[139:140], 4, v[139:140]
	s_clause 0x1b
	global_load_b128 v[0:3], v[2:3], off
	global_load_b128 v[21:24], v[21:22], off
	;; [unrolled: 1-line block ×28, first 2 shown]
	v_add_co_ci_u32_e32 v173, vcc_lo, v143, v134, vcc_lo
	v_add_co_u32 v176, vcc_lo, v142, v131
	s_waitcnt vmcnt(28)
	ds_store_2addr_b64 v4, v[11:12], v[13:14] offset1:1
	v_add_nc_u32_e32 v13, s8, v133
	v_lshlrev_b64 v[11:12], 4, v[137:138]
	v_add_co_ci_u32_e32 v177, vcc_lo, v143, v132, vcc_lo
	v_ashrrev_i32_e32 v134, 31, v133
	v_add_co_u32 v180, vcc_lo, v142, v139
	v_ashrrev_i32_e32 v14, 31, v13
	v_add_nc_u32_e32 v131, s8, v13
	v_add_co_ci_u32_e32 v181, vcc_lo, v143, v140, vcc_lo
	v_add_co_u32 v184, vcc_lo, v142, v11
	v_lshlrev_b64 v[133:134], 4, v[133:134]
	v_add_co_ci_u32_e32 v185, vcc_lo, v143, v12, vcc_lo
	v_lshlrev_b64 v[11:12], 4, v[13:14]
	v_add_nc_u32_e32 v13, s8, v131
	v_ashrrev_i32_e32 v132, 31, v131
	v_add_co_u32 v188, vcc_lo, v142, v133
	v_add_co_ci_u32_e32 v189, vcc_lo, v143, v134, vcc_lo
	s_delay_alu instid0(VALU_DEP_4) | instskip(SKIP_3) | instid1(VALU_DEP_4)
	v_ashrrev_i32_e32 v14, 31, v13
	v_add_nc_u32_e32 v133, s8, v13
	v_add_co_u32 v192, vcc_lo, v142, v11
	v_add_co_ci_u32_e32 v193, vcc_lo, v143, v12, vcc_lo
	v_lshlrev_b64 v[11:12], 4, v[13:14]
	s_delay_alu instid0(VALU_DEP_4)
	v_add_nc_u32_e32 v13, s8, v133
	v_lshlrev_b64 v[131:132], 4, v[131:132]
	v_ashrrev_i32_e32 v134, 31, v133
	v_mov_b32_e32 v4, 0
	s_movk_i32 s24, 0x130
	v_add_nc_u32_e32 v137, s8, v13
	v_ashrrev_i32_e32 v14, 31, v13
	v_add_co_u32 v196, vcc_lo, v142, v131
	v_add_co_ci_u32_e32 v197, vcc_lo, v143, v132, vcc_lo
	v_lshlrev_b64 v[131:132], 4, v[133:134]
	v_add_nc_u32_e32 v133, s8, v137
	v_add_co_u32 v200, vcc_lo, v142, v11
	v_ashrrev_i32_e32 v138, 31, v137
	v_add_co_ci_u32_e32 v201, vcc_lo, v143, v12, vcc_lo
	v_lshlrev_b64 v[139:140], 4, v[13:14]
	v_add_co_u32 v204, vcc_lo, v142, v131
	v_add_nc_u32_e32 v154, s8, v133
	v_add_co_ci_u32_e32 v205, vcc_lo, v143, v132, vcc_lo
	s_clause 0x1
	global_load_b128 v[11:14], v[129:130], off
	global_load_b128 v[129:132], v[135:136], off
	v_lshlrev_b64 v[135:136], 4, v[137:138]
	v_ashrrev_i32_e32 v134, 31, v133
	v_add_co_u32 v208, vcc_lo, v142, v139
	v_ashrrev_i32_e32 v155, 31, v154
	v_add_nc_u32_e32 v158, s8, v154
	v_add_co_ci_u32_e32 v209, vcc_lo, v143, v140, vcc_lo
	v_add_co_u32 v212, vcc_lo, v142, v135
	v_lshlrev_b64 v[162:163], 4, v[133:134]
	v_add_co_ci_u32_e32 v213, vcc_lo, v143, v136, vcc_lo
	s_clause 0x1
	global_load_b128 v[133:136], v[144:145], off
	global_load_b128 v[137:140], v[146:147], off
	v_lshlrev_b64 v[144:145], 4, v[154:155]
	v_add_nc_u32_e32 v154, s8, v158
	v_add_co_u32 v216, vcc_lo, v142, v162
	v_ashrrev_i32_e32 v159, 31, v158
	v_add_co_ci_u32_e32 v217, vcc_lo, v143, v163, vcc_lo
	s_delay_alu instid0(VALU_DEP_4) | instskip(SKIP_1) | instid1(VALU_DEP_4)
	v_add_nc_u32_e32 v162, s8, v154
	v_ashrrev_i32_e32 v155, 31, v154
	v_lshlrev_b64 v[158:159], 4, v[158:159]
	v_add_co_u32 v220, vcc_lo, v142, v144
	s_delay_alu instid0(VALU_DEP_4) | instskip(SKIP_3) | instid1(VALU_DEP_4)
	v_add_nc_u32_e32 v166, s8, v162
	v_ashrrev_i32_e32 v163, 31, v162
	v_lshlrev_b64 v[154:155], 4, v[154:155]
	v_add_co_ci_u32_e32 v221, vcc_lo, v143, v145, vcc_lo
	v_add_nc_u32_e32 v170, s8, v166
	v_ashrrev_i32_e32 v167, 31, v166
	v_add_co_u32 v224, vcc_lo, v142, v158
	v_lshlrev_b64 v[162:163], 4, v[162:163]
	s_delay_alu instid0(VALU_DEP_4)
	v_add_nc_u32_e32 v174, s8, v170
	v_ashrrev_i32_e32 v171, 31, v170
	v_add_co_ci_u32_e32 v225, vcc_lo, v143, v159, vcc_lo
	v_add_co_u32 v228, vcc_lo, v142, v154
	v_lshlrev_b64 v[166:167], 4, v[166:167]
	v_add_nc_u32_e32 v178, s8, v174
	v_add_co_ci_u32_e32 v229, vcc_lo, v143, v155, vcc_lo
	v_add_co_u32 v232, vcc_lo, v142, v162
	v_lshlrev_b64 v[170:171], 4, v[170:171]
	v_add_co_ci_u32_e32 v233, vcc_lo, v143, v163, vcc_lo
	v_ashrrev_i32_e32 v175, 31, v174
	v_add_co_u32 v236, vcc_lo, v142, v166
	v_ashrrev_i32_e32 v179, 31, v178
	v_add_nc_u32_e32 v182, s8, v178
	v_add_co_ci_u32_e32 v237, vcc_lo, v143, v167, vcc_lo
	v_add_co_u32 v240, vcc_lo, v142, v170
	v_lshlrev_b64 v[174:175], 4, v[174:175]
	v_add_co_ci_u32_e32 v241, vcc_lo, v143, v171, vcc_lo
	v_lshlrev_b64 v[170:171], 4, v[178:179]
	v_add_nc_u32_e32 v178, s8, v182
	v_ashrrev_i32_e32 v183, 31, v182
	v_add_co_u32 v244, vcc_lo, v142, v174
	v_add_co_ci_u32_e32 v245, vcc_lo, v143, v175, vcc_lo
	s_delay_alu instid0(VALU_DEP_4) | instskip(NEXT) | instid1(VALU_DEP_4)
	v_ashrrev_i32_e32 v179, 31, v178
	v_lshlrev_b64 v[174:175], 4, v[182:183]
	v_add_co_u32 v248, vcc_lo, v142, v170
	v_add_co_ci_u32_e32 v249, vcc_lo, v143, v171, vcc_lo
	s_delay_alu instid0(VALU_DEP_4) | instskip(NEXT) | instid1(VALU_DEP_4)
	v_lshlrev_b64 v[170:171], 4, v[178:179]
	v_add_co_u32 v252, vcc_lo, v142, v174
	v_add_co_ci_u32_e32 v253, vcc_lo, v143, v175, vcc_lo
	s_clause 0x1
	global_load_b128 v[144:147], v[148:149], off
	global_load_b128 v[148:151], v[150:151], off
	v_add_co_u32 v15, vcc_lo, v142, v170
	s_clause 0x3
	global_load_b128 v[152:155], v[152:153], off
	global_load_b128 v[156:159], v[156:157], off
	;; [unrolled: 1-line block ×4, first 2 shown]
	v_add_co_ci_u32_e32 v16, vcc_lo, v143, v171, vcc_lo
	s_clause 0x15
	global_load_b128 v[168:171], v[168:169], off
	global_load_b128 v[172:175], v[172:173], off
	global_load_b128 v[176:179], v[176:177], off
	global_load_b128 v[180:183], v[180:181], off
	global_load_b128 v[184:187], v[184:185], off
	global_load_b128 v[188:191], v[188:189], off
	global_load_b128 v[192:195], v[192:193], off
	global_load_b128 v[196:199], v[196:197], off
	global_load_b128 v[200:203], v[200:201], off
	global_load_b128 v[204:207], v[204:205], off
	global_load_b128 v[208:211], v[208:209], off
	global_load_b128 v[212:215], v[212:213], off
	global_load_b128 v[216:219], v[216:217], off
	global_load_b128 v[220:223], v[220:221], off
	global_load_b128 v[224:227], v[224:225], off
	global_load_b128 v[228:231], v[228:229], off
	global_load_b128 v[232:235], v[232:233], off
	global_load_b128 v[236:239], v[236:237], off
	global_load_b128 v[240:243], v[240:241], off
	global_load_b128 v[244:247], v[244:245], off
	global_load_b128 v[248:251], v[248:249], off
	global_load_b128 v[252:255], v[252:253], off
	scratch_store_b128 off, v[7:10], off
	s_movk_i32 s25, 0x140
	global_load_b128 v[7:10], v[15:16], off
	s_movk_i32 s26, 0x150
	s_movk_i32 s27, 0x160
	s_movk_i32 s28, 0x170
	s_movk_i32 s29, 0x180
	s_movk_i32 s30, 0x190
	s_movk_i32 s31, 0x1a0
	s_movk_i32 s33, 0x1b0
	s_movk_i32 s34, 0x1c0
	s_movk_i32 s35, 0x1d0
	s_movk_i32 s36, 0x1e0
	s_movk_i32 s37, 0x1f0
	s_movk_i32 s38, 0x200
	s_movk_i32 s39, 0x210
	s_movk_i32 s40, 0x220
	s_movk_i32 s41, 0x230
	s_movk_i32 s42, 0x240
	s_movk_i32 s43, 0x250
	s_movk_i32 s44, 0x260
	s_movk_i32 s45, 0x270
	s_movk_i32 s46, 0x280
	s_movk_i32 s47, 0x290
	s_movk_i32 s48, 0x2a0
	s_movk_i32 s49, 0x2b0
	s_movk_i32 s50, 0x2c0
	s_movk_i32 s51, 0x2d0
	s_movk_i32 s52, 0x2e0
	s_movk_i32 s53, 0x2f0
	s_movk_i32 s54, 0x300
	s_movk_i32 s55, 0x310
	s_movk_i32 s56, 0x320
	s_movk_i32 s57, 0x330
	s_movk_i32 s58, 0x340
	s_movk_i32 s59, 0x350
	s_movk_i32 s60, 0x360
	s_movk_i32 s61, 0x370
	s_movk_i32 s62, 0x380
	s_movk_i32 s63, 0x390
	s_movk_i32 s64, 0x3a0
	s_movk_i32 s65, 0x3b0
	s_movk_i32 s66, 0x3c0
	s_cmp_lt_i32 s5, 2
	s_movk_i32 s67, 0x3d0
	s_waitcnt vmcnt(60)
	scratch_store_b128 off, v[0:3], off offset:16
	s_waitcnt vmcnt(59)
	scratch_store_b128 off, v[21:24], off offset:32
	;; [unrolled: 2-line block ×61, first 2 shown]
	s_waitcnt lgkmcnt(0)
	s_waitcnt_vscnt null, 0x0
	s_barrier
	buffer_gl0_inv
	ds_load_2addr_b64 v[0:3], v20 offset1:1
	v_lshlrev_b32_e32 v37, 4, v6
	s_cbranch_scc1 .LBB122_6
; %bb.4:
	s_delay_alu instid0(VALU_DEP_1)
	v_add3_u32 v6, v37, 0, 16
	v_mov_b32_e32 v4, 0
	s_mov_b32 s68, 1
	s_set_inst_prefetch_distance 0x1
	.p2align	6
.LBB122_5:                              ; =>This Inner Loop Header: Depth=1
	ds_load_2addr_b64 v[7:10], v6 offset1:1
	s_waitcnt lgkmcnt(1)
	v_cmp_gt_f64_e32 vcc_lo, 0, v[0:1]
	v_xor_b32_e32 v11, 0x80000000, v1
	v_cmp_gt_f64_e64 s2, 0, v[2:3]
	v_xor_b32_e32 v13, 0x80000000, v3
	v_add_nc_u32_e32 v6, 16, v6
	s_waitcnt lgkmcnt(0)
	v_cmp_gt_f64_e64 s3, 0, v[7:8]
	v_mov_b32_e32 v15, v7
	v_mov_b32_e32 v21, v9
	v_cndmask_b32_e32 v12, v1, v11, vcc_lo
	v_xor_b32_e32 v11, 0x80000000, v8
	v_cndmask_b32_e64 v14, v3, v13, s2
	v_xor_b32_e32 v13, 0x80000000, v10
	s_delay_alu instid0(VALU_DEP_3) | instskip(SKIP_2) | instid1(VALU_DEP_2)
	v_cndmask_b32_e64 v16, v8, v11, s3
	v_cmp_gt_f64_e64 s3, 0, v[9:10]
	v_cndmask_b32_e32 v11, v0, v0, vcc_lo
	v_cndmask_b32_e64 v22, v10, v13, s3
	v_cndmask_b32_e64 v13, v2, v2, s2
	s_delay_alu instid0(VALU_DEP_2) | instskip(NEXT) | instid1(VALU_DEP_2)
	v_add_f64 v[15:16], v[15:16], v[21:22]
	v_add_f64 v[11:12], v[11:12], v[13:14]
	s_delay_alu instid0(VALU_DEP_1) | instskip(SKIP_4) | instid1(SALU_CYCLE_1)
	v_cmp_lt_f64_e32 vcc_lo, v[11:12], v[15:16]
	v_dual_cndmask_b32 v2, v2, v9 :: v_dual_cndmask_b32 v1, v1, v8
	v_dual_cndmask_b32 v0, v0, v7 :: v_dual_cndmask_b32 v3, v3, v10
	v_cndmask_b32_e64 v4, v4, s68, vcc_lo
	s_add_i32 s68, s68, 1
	s_cmp_eq_u32 s5, s68
	s_cbranch_scc0 .LBB122_5
.LBB122_6:
	s_set_inst_prefetch_distance 0x2
	s_waitcnt lgkmcnt(0)
	v_cmp_neq_f64_e32 vcc_lo, 0, v[0:1]
	v_cmp_neq_f64_e64 s2, 0, v[2:3]
	v_add_nc_u32_e64 v34, 0, 16
	v_add_nc_u32_e64 v33, 0, 32
	;; [unrolled: 1-line block ×61, first 2 shown]
	v_dual_mov_b32 v35, 1 :: v_dual_mov_b32 v6, 1
	s_or_b32 s2, vcc_lo, s2
	s_delay_alu instid0(SALU_CYCLE_1)
	s_and_saveexec_b32 s3, s2
	s_cbranch_execz .LBB122_12
; %bb.7:
	v_cmp_gt_f64_e32 vcc_lo, 0, v[0:1]
	v_cmp_gt_f64_e64 s2, 0, v[2:3]
	v_xor_b32_e32 v6, 0x80000000, v1
	v_xor_b32_e32 v8, 0x80000000, v3
                                        ; implicit-def: $sgpr6
                                        ; implicit-def: $sgpr7
	s_delay_alu instid0(VALU_DEP_2) | instskip(NEXT) | instid1(VALU_DEP_2)
	v_dual_cndmask_b32 v7, v1, v6 :: v_dual_cndmask_b32 v6, v0, v0
	v_cndmask_b32_e64 v9, v3, v8, s2
	v_cndmask_b32_e64 v8, v2, v2, s2
	s_mov_b32 s2, exec_lo
	s_delay_alu instid0(VALU_DEP_1)
	v_cmpx_ngt_f64_e32 v[6:7], v[8:9]
	s_xor_b32 s2, exec_lo, s2
	s_cbranch_execz .LBB122_9
; %bb.8:
	v_div_scale_f64 v[6:7], null, v[2:3], v[2:3], v[0:1]
	v_div_scale_f64 v[12:13], vcc_lo, v[0:1], v[2:3], v[0:1]
	s_mov_b32 s7, 2
	s_mov_b32 s6, 0
	s_delay_alu instid0(VALU_DEP_2) | instskip(SKIP_2) | instid1(VALU_DEP_1)
	v_rcp_f64_e32 v[8:9], v[6:7]
	s_waitcnt_depctr 0xfff
	v_fma_f64 v[10:11], -v[6:7], v[8:9], 1.0
	v_fma_f64 v[8:9], v[8:9], v[10:11], v[8:9]
	s_delay_alu instid0(VALU_DEP_1) | instskip(NEXT) | instid1(VALU_DEP_1)
	v_fma_f64 v[10:11], -v[6:7], v[8:9], 1.0
	v_fma_f64 v[8:9], v[8:9], v[10:11], v[8:9]
	s_delay_alu instid0(VALU_DEP_1) | instskip(NEXT) | instid1(VALU_DEP_1)
	v_mul_f64 v[10:11], v[12:13], v[8:9]
	v_fma_f64 v[6:7], -v[6:7], v[10:11], v[12:13]
	s_delay_alu instid0(VALU_DEP_1) | instskip(NEXT) | instid1(VALU_DEP_1)
	v_div_fmas_f64 v[6:7], v[6:7], v[8:9], v[10:11]
	v_div_fixup_f64 v[6:7], v[6:7], v[2:3], v[0:1]
	s_delay_alu instid0(VALU_DEP_1) | instskip(NEXT) | instid1(VALU_DEP_1)
	v_fma_f64 v[0:1], v[0:1], v[6:7], v[2:3]
	v_div_scale_f64 v[2:3], null, v[0:1], v[0:1], 1.0
	s_delay_alu instid0(VALU_DEP_1) | instskip(SKIP_2) | instid1(VALU_DEP_1)
	v_rcp_f64_e32 v[8:9], v[2:3]
	s_waitcnt_depctr 0xfff
	v_fma_f64 v[10:11], -v[2:3], v[8:9], 1.0
	v_fma_f64 v[8:9], v[8:9], v[10:11], v[8:9]
	s_delay_alu instid0(VALU_DEP_1) | instskip(NEXT) | instid1(VALU_DEP_1)
	v_fma_f64 v[10:11], -v[2:3], v[8:9], 1.0
	v_fma_f64 v[8:9], v[8:9], v[10:11], v[8:9]
	v_div_scale_f64 v[10:11], vcc_lo, 1.0, v[0:1], 1.0
	s_delay_alu instid0(VALU_DEP_1) | instskip(NEXT) | instid1(VALU_DEP_1)
	v_mul_f64 v[12:13], v[10:11], v[8:9]
	v_fma_f64 v[2:3], -v[2:3], v[12:13], v[10:11]
	s_delay_alu instid0(VALU_DEP_1) | instskip(NEXT) | instid1(VALU_DEP_1)
	v_div_fmas_f64 v[2:3], v[2:3], v[8:9], v[12:13]
	v_div_fixup_f64 v[2:3], v[2:3], v[0:1], 1.0
	s_delay_alu instid0(VALU_DEP_1)
	v_mul_f64 v[0:1], v[6:7], v[2:3]
	v_xor_b32_e32 v3, 0x80000000, v3
.LBB122_9:
	s_or_saveexec_b32 s2, s2
	v_dual_mov_b32 v6, s6 :: v_dual_mov_b32 v35, s7
	s_xor_b32 exec_lo, exec_lo, s2
	s_cbranch_execz .LBB122_11
; %bb.10:
	s_delay_alu instid0(VALU_DEP_3) | instskip(SKIP_2) | instid1(VALU_DEP_3)
	v_div_scale_f64 v[6:7], null, v[0:1], v[0:1], v[2:3]
	v_div_scale_f64 v[12:13], vcc_lo, v[2:3], v[0:1], v[2:3]
	v_mov_b32_e32 v35, 2
	v_rcp_f64_e32 v[8:9], v[6:7]
	s_waitcnt_depctr 0xfff
	v_fma_f64 v[10:11], -v[6:7], v[8:9], 1.0
	s_delay_alu instid0(VALU_DEP_1) | instskip(NEXT) | instid1(VALU_DEP_1)
	v_fma_f64 v[8:9], v[8:9], v[10:11], v[8:9]
	v_fma_f64 v[10:11], -v[6:7], v[8:9], 1.0
	s_delay_alu instid0(VALU_DEP_1) | instskip(NEXT) | instid1(VALU_DEP_1)
	v_fma_f64 v[8:9], v[8:9], v[10:11], v[8:9]
	v_mul_f64 v[10:11], v[12:13], v[8:9]
	s_delay_alu instid0(VALU_DEP_1) | instskip(NEXT) | instid1(VALU_DEP_1)
	v_fma_f64 v[6:7], -v[6:7], v[10:11], v[12:13]
	v_div_fmas_f64 v[6:7], v[6:7], v[8:9], v[10:11]
	s_delay_alu instid0(VALU_DEP_1) | instskip(NEXT) | instid1(VALU_DEP_1)
	v_div_fixup_f64 v[6:7], v[6:7], v[0:1], v[2:3]
	v_fma_f64 v[0:1], v[2:3], v[6:7], v[0:1]
	s_delay_alu instid0(VALU_DEP_1) | instskip(NEXT) | instid1(VALU_DEP_1)
	v_div_scale_f64 v[2:3], null, v[0:1], v[0:1], 1.0
	v_rcp_f64_e32 v[8:9], v[2:3]
	s_waitcnt_depctr 0xfff
	v_fma_f64 v[10:11], -v[2:3], v[8:9], 1.0
	s_delay_alu instid0(VALU_DEP_1) | instskip(NEXT) | instid1(VALU_DEP_1)
	v_fma_f64 v[8:9], v[8:9], v[10:11], v[8:9]
	v_fma_f64 v[10:11], -v[2:3], v[8:9], 1.0
	s_delay_alu instid0(VALU_DEP_1) | instskip(SKIP_1) | instid1(VALU_DEP_1)
	v_fma_f64 v[8:9], v[8:9], v[10:11], v[8:9]
	v_div_scale_f64 v[10:11], vcc_lo, 1.0, v[0:1], 1.0
	v_mul_f64 v[12:13], v[10:11], v[8:9]
	s_delay_alu instid0(VALU_DEP_1) | instskip(NEXT) | instid1(VALU_DEP_1)
	v_fma_f64 v[2:3], -v[2:3], v[12:13], v[10:11]
	v_div_fmas_f64 v[2:3], v[2:3], v[8:9], v[12:13]
	s_delay_alu instid0(VALU_DEP_1) | instskip(NEXT) | instid1(VALU_DEP_1)
	v_div_fixup_f64 v[0:1], v[2:3], v[0:1], 1.0
	v_mul_f64 v[2:3], v[6:7], -v[0:1]
	v_mov_b32_e32 v6, 0
.LBB122_11:
	s_or_b32 exec_lo, exec_lo, s2
.LBB122_12:
	s_delay_alu instid0(SALU_CYCLE_1) | instskip(NEXT) | instid1(SALU_CYCLE_1)
	s_or_b32 exec_lo, exec_lo, s3
	s_mov_b32 s2, exec_lo
                                        ; implicit-def: $vgpr39
	v_cmpx_ne_u32_e64 v5, v4
	s_xor_b32 s2, exec_lo, s2
	s_cbranch_execz .LBB122_18
; %bb.13:
	s_mov_b32 s3, exec_lo
	v_cmpx_eq_u32_e32 0, v5
	s_cbranch_execz .LBB122_17
; %bb.14:
	v_cmp_ne_u32_e32 vcc_lo, 0, v4
	s_xor_b32 s6, s4, -1
	s_delay_alu instid0(SALU_CYCLE_1) | instskip(NEXT) | instid1(SALU_CYCLE_1)
	s_and_b32 s7, s6, vcc_lo
	s_and_saveexec_b32 s6, s7
	s_cbranch_execz .LBB122_16
; %bb.15:
	v_ashrrev_i32_e32 v5, 31, v4
	s_delay_alu instid0(VALU_DEP_1) | instskip(NEXT) | instid1(VALU_DEP_1)
	v_lshlrev_b64 v[7:8], 2, v[4:5]
	v_add_co_u32 v7, vcc_lo, v18, v7
	s_delay_alu instid0(VALU_DEP_2)
	v_add_co_ci_u32_e32 v8, vcc_lo, v19, v8, vcc_lo
	s_clause 0x1
	flat_load_b32 v5, v[7:8]
	flat_load_b32 v9, v[18:19]
	s_waitcnt vmcnt(1) lgkmcnt(1)
	flat_store_b32 v[18:19], v5
	s_waitcnt vmcnt(0) lgkmcnt(1)
	flat_store_b32 v[7:8], v9
.LBB122_16:
	s_or_b32 exec_lo, exec_lo, s6
	v_mov_b32_e32 v5, v4
.LBB122_17:
	s_or_b32 exec_lo, exec_lo, s3
	s_delay_alu instid0(VALU_DEP_1)
	v_mov_b32_e32 v39, v5
                                        ; implicit-def: $vgpr5
.LBB122_18:
	s_or_saveexec_b32 s2, s2
	s_delay_alu instid0(VALU_DEP_1)
	v_mov_b32_e32 v38, v39
	s_xor_b32 exec_lo, exec_lo, s2
	s_cbranch_execz .LBB122_24
; %bb.19:
	v_add3_u32 v4, v37, 0, 16
	v_mov_b32_e32 v7, 0
	s_mov_b32 s3, 0
	s_branch .LBB122_21
.LBB122_20:                             ;   in Loop: Header=BB122_21 Depth=1
	s_and_not1_b32 vcc_lo, exec_lo, s7
	s_cbranch_vccz .LBB122_23
.LBB122_21:                             ; =>This Inner Loop Header: Depth=1
	s_delay_alu instid0(VALU_DEP_1) | instskip(SKIP_1) | instid1(VALU_DEP_2)
	v_readfirstlane_b32 s6, v7
	v_add_nc_u32_e32 v8, s3, v4
	s_add_i32 s6, s6, s3
	s_delay_alu instid0(SALU_CYCLE_1)
	s_add_i32 s7, s6, 16
	s_add_i32 s9, s6, 32
	s_add_i32 s12, s6, 48
	s_add_i32 s14, s6, 64
	s_add_i32 s15, s6, 0x50
	s_clause 0x4
	scratch_load_b128 v[9:12], off, s7
	scratch_load_b128 v[41:44], off, s9
	;; [unrolled: 1-line block ×5, first 2 shown]
	s_mov_b32 s7, -1
	s_cmpk_eq_i32 s3, 0x380
	s_waitcnt vmcnt(4)
	ds_store_2addr_b64 v8, v[9:10], v[11:12] offset1:1
	s_waitcnt vmcnt(3)
	ds_store_2addr_b64 v8, v[41:42], v[43:44] offset0:2 offset1:3
	s_waitcnt vmcnt(2)
	ds_store_2addr_b64 v8, v[45:46], v[47:48] offset0:4 offset1:5
	;; [unrolled: 2-line block ×4, first 2 shown]
	s_cbranch_scc1 .LBB122_20
; %bb.22:                               ;   in Loop: Header=BB122_21 Depth=1
	s_add_i32 s7, s6, 0x60
	s_add_i32 s9, s6, 0x70
	s_addk_i32 s6, 0x80
	s_clause 0x2
	scratch_load_b128 v[9:12], off, s7
	scratch_load_b128 v[41:44], off, s9
	;; [unrolled: 1-line block ×3, first 2 shown]
	s_addk_i32 s3, 0x80
	s_mov_b32 s7, 0
	s_waitcnt vmcnt(2)
	ds_store_2addr_b64 v8, v[9:10], v[11:12] offset0:10 offset1:11
	s_waitcnt vmcnt(1)
	ds_store_2addr_b64 v8, v[41:42], v[43:44] offset0:12 offset1:13
	;; [unrolled: 2-line block ×3, first 2 shown]
	s_branch .LBB122_20
.LBB122_23:
	v_dual_mov_b32 v39, 0 :: v_dual_mov_b32 v38, v5
.LBB122_24:
	s_or_b32 exec_lo, exec_lo, s2
	s_mov_b32 s2, 0
	s_mov_b32 s3, exec_lo
	s_waitcnt lgkmcnt(0)
	s_waitcnt_vscnt null, 0x0
	s_barrier
	buffer_gl0_inv
	v_cmpx_lt_i32_e32 0, v39
	s_cbranch_execz .LBB122_29
; %bb.25:
	scratch_load_b128 v[7:10], off, off
	s_waitcnt vmcnt(0)
	v_mul_f64 v[4:5], v[2:3], v[9:10]
	v_mul_f64 v[9:10], v[0:1], v[9:10]
	s_delay_alu instid0(VALU_DEP_2) | instskip(NEXT) | instid1(VALU_DEP_2)
	v_fma_f64 v[0:1], v[0:1], v[7:8], -v[4:5]
	v_fma_f64 v[2:3], v[2:3], v[7:8], v[9:10]
	v_add3_u32 v4, v37, 0, 16
	v_mov_b32_e32 v5, 0
	scratch_store_b128 off, v[0:3], off
	s_branch .LBB122_27
.LBB122_26:                             ;   in Loop: Header=BB122_27 Depth=1
	s_and_not1_b32 vcc_lo, exec_lo, s7
	s_cbranch_vccz .LBB122_29
.LBB122_27:                             ; =>This Inner Loop Header: Depth=1
	v_readfirstlane_b32 s6, v5
	v_add_nc_u32_e32 v7, s2, v4
	s_mov_b32 s7, -1
	s_delay_alu instid0(VALU_DEP_2) | instskip(NEXT) | instid1(SALU_CYCLE_1)
	s_add_i32 s6, s6, s2
	s_add_i32 s9, s6, 16
	;; [unrolled: 1-line block ×3, first 2 shown]
	s_clause 0x1
	scratch_load_b128 v[8:11], off, s9
	scratch_load_b128 v[12:15], off, s12
	s_add_i32 s14, s6, 48
	s_add_i32 s15, s6, 64
	scratch_load_b128 v[41:44], off, s14
	s_add_i32 s16, s6, 0x50
	s_clause 0x1
	scratch_load_b128 v[45:48], off, s15
	scratch_load_b128 v[53:56], off, s16
	ds_load_2addr_b64 v[61:64], v7 offset1:1
	ds_load_2addr_b64 v[69:72], v7 offset0:2 offset1:3
	ds_load_2addr_b64 v[77:80], v7 offset0:4 offset1:5
	;; [unrolled: 1-line block ×4, first 2 shown]
	s_cmpk_eq_i32 s2, 0x380
	s_waitcnt lgkmcnt(4)
	v_mul_f64 v[16:17], v[63:64], v[2:3]
	v_mul_f64 v[49:50], v[61:62], v[2:3]
	s_waitcnt lgkmcnt(3)
	v_mul_f64 v[57:58], v[71:72], v[2:3]
	v_mul_f64 v[65:66], v[69:70], v[2:3]
	;; [unrolled: 3-line block ×5, first 2 shown]
	v_fma_f64 v[16:17], v[61:62], v[0:1], -v[16:17]
	v_fma_f64 v[49:50], v[63:64], v[0:1], v[49:50]
	v_fma_f64 v[57:58], v[69:70], v[0:1], -v[57:58]
	v_fma_f64 v[61:62], v[71:72], v[0:1], v[65:66]
	;; [unrolled: 2-line block ×5, first 2 shown]
	s_waitcnt vmcnt(4)
	v_add_f64 v[8:9], v[8:9], -v[16:17]
	v_add_f64 v[10:11], v[10:11], -v[49:50]
	s_waitcnt vmcnt(3)
	v_add_f64 v[12:13], v[12:13], -v[57:58]
	v_add_f64 v[14:15], v[14:15], -v[61:62]
	;; [unrolled: 3-line block ×5, first 2 shown]
	s_clause 0x4
	scratch_store_b128 off, v[8:11], s9
	scratch_store_b128 off, v[12:15], s12
	;; [unrolled: 1-line block ×5, first 2 shown]
	s_cbranch_scc1 .LBB122_26
; %bb.28:                               ;   in Loop: Header=BB122_27 Depth=1
	s_add_i32 s9, s6, 0x60
	s_add_i32 s12, s6, 0x70
	scratch_load_b128 v[8:11], off, s9
	s_addk_i32 s6, 0x80
	s_clause 0x1
	scratch_load_b128 v[12:15], off, s12
	scratch_load_b128 v[41:44], off, s6
	ds_load_2addr_b64 v[45:48], v7 offset0:10 offset1:11
	ds_load_2addr_b64 v[53:56], v7 offset0:12 offset1:13
	;; [unrolled: 1-line block ×3, first 2 shown]
	s_addk_i32 s2, 0x80
	s_mov_b32 s7, 0
	s_waitcnt lgkmcnt(2)
	v_mul_f64 v[16:17], v[47:48], v[2:3]
	v_mul_f64 v[49:50], v[45:46], v[2:3]
	s_waitcnt lgkmcnt(1)
	v_mul_f64 v[57:58], v[55:56], v[2:3]
	v_mul_f64 v[65:66], v[53:54], v[2:3]
	;; [unrolled: 3-line block ×3, first 2 shown]
	v_fma_f64 v[16:17], v[45:46], v[0:1], -v[16:17]
	v_fma_f64 v[45:46], v[47:48], v[0:1], v[49:50]
	v_fma_f64 v[47:48], v[53:54], v[0:1], -v[57:58]
	v_fma_f64 v[49:50], v[55:56], v[0:1], v[65:66]
	;; [unrolled: 2-line block ×3, first 2 shown]
	s_waitcnt vmcnt(2)
	v_add_f64 v[7:8], v[8:9], -v[16:17]
	v_add_f64 v[9:10], v[10:11], -v[45:46]
	s_waitcnt vmcnt(1)
	v_add_f64 v[11:12], v[12:13], -v[47:48]
	v_add_f64 v[13:14], v[14:15], -v[49:50]
	;; [unrolled: 3-line block ×3, first 2 shown]
	s_clause 0x2
	scratch_store_b128 off, v[7:10], s9
	scratch_store_b128 off, v[11:14], s12
	;; [unrolled: 1-line block ×3, first 2 shown]
	s_branch .LBB122_26
.LBB122_29:
	s_or_b32 exec_lo, exec_lo, s3
	s_waitcnt_vscnt null, 0x0
	s_barrier
	buffer_gl0_inv
	scratch_load_b128 v[0:3], v34, off
	v_lshl_add_u32 v4, v39, 4, v20
	s_cmp_lt_i32 s5, 3
	s_waitcnt vmcnt(0)
	ds_store_2addr_b64 v4, v[0:1], v[2:3] offset1:1
	s_waitcnt lgkmcnt(0)
	s_barrier
	buffer_gl0_inv
	ds_load_2addr_b64 v[0:3], v20 offset0:2 offset1:3
	v_mov_b32_e32 v4, 1
	s_cbranch_scc1 .LBB122_32
; %bb.30:
	v_add3_u32 v5, v37, 0, 32
	v_mov_b32_e32 v4, 1
	s_mov_b32 s6, 2
	s_set_inst_prefetch_distance 0x1
	.p2align	6
.LBB122_31:                             ; =>This Inner Loop Header: Depth=1
	ds_load_2addr_b64 v[7:10], v5 offset1:1
	s_waitcnt lgkmcnt(1)
	v_cmp_gt_f64_e32 vcc_lo, 0, v[0:1]
	v_xor_b32_e32 v11, 0x80000000, v1
	v_cmp_gt_f64_e64 s2, 0, v[2:3]
	v_xor_b32_e32 v13, 0x80000000, v3
	v_add_nc_u32_e32 v5, 16, v5
	s_waitcnt lgkmcnt(0)
	v_cmp_gt_f64_e64 s3, 0, v[7:8]
	v_mov_b32_e32 v41, v9
	v_dual_mov_b32 v15, v7 :: v_dual_cndmask_b32 v12, v1, v11
	v_xor_b32_e32 v11, 0x80000000, v8
	v_cndmask_b32_e64 v14, v3, v13, s2
	v_xor_b32_e32 v13, 0x80000000, v10
	s_delay_alu instid0(VALU_DEP_3) | instskip(SKIP_2) | instid1(VALU_DEP_2)
	v_cndmask_b32_e64 v16, v8, v11, s3
	v_cmp_gt_f64_e64 s3, 0, v[9:10]
	v_cndmask_b32_e32 v11, v0, v0, vcc_lo
	v_cndmask_b32_e64 v42, v10, v13, s3
	v_cndmask_b32_e64 v13, v2, v2, s2
	s_delay_alu instid0(VALU_DEP_2) | instskip(NEXT) | instid1(VALU_DEP_2)
	v_add_f64 v[15:16], v[15:16], v[41:42]
	v_add_f64 v[11:12], v[11:12], v[13:14]
	s_delay_alu instid0(VALU_DEP_1) | instskip(SKIP_4) | instid1(SALU_CYCLE_1)
	v_cmp_lt_f64_e32 vcc_lo, v[11:12], v[15:16]
	v_dual_cndmask_b32 v2, v2, v9 :: v_dual_cndmask_b32 v1, v1, v8
	v_dual_cndmask_b32 v0, v0, v7 :: v_dual_cndmask_b32 v3, v3, v10
	v_cndmask_b32_e64 v4, v4, s6, vcc_lo
	s_add_i32 s6, s6, 1
	s_cmp_lg_u32 s5, s6
	s_cbranch_scc1 .LBB122_31
.LBB122_32:
	s_set_inst_prefetch_distance 0x2
	s_waitcnt lgkmcnt(0)
	v_cmp_neq_f64_e32 vcc_lo, 0, v[0:1]
	v_cmp_neq_f64_e64 s2, 0, v[2:3]
	s_delay_alu instid0(VALU_DEP_1) | instskip(NEXT) | instid1(SALU_CYCLE_1)
	s_or_b32 s2, vcc_lo, s2
	s_and_saveexec_b32 s3, s2
	s_cbranch_execz .LBB122_38
; %bb.33:
	v_cmp_gt_f64_e32 vcc_lo, 0, v[0:1]
	v_cmp_gt_f64_e64 s2, 0, v[2:3]
	v_xor_b32_e32 v5, 0x80000000, v1
	v_xor_b32_e32 v7, 0x80000000, v3
	s_delay_alu instid0(VALU_DEP_2) | instskip(NEXT) | instid1(VALU_DEP_2)
	v_cndmask_b32_e32 v8, v1, v5, vcc_lo
	v_cndmask_b32_e64 v10, v3, v7, s2
	v_cndmask_b32_e32 v7, v0, v0, vcc_lo
	v_cndmask_b32_e64 v9, v2, v2, s2
	s_mov_b32 s2, exec_lo
	s_delay_alu instid0(VALU_DEP_1)
	v_cmpx_ngt_f64_e32 v[7:8], v[9:10]
	s_xor_b32 s2, exec_lo, s2
	s_cbranch_execz .LBB122_35
; %bb.34:
	v_div_scale_f64 v[7:8], null, v[2:3], v[2:3], v[0:1]
	v_div_scale_f64 v[13:14], vcc_lo, v[0:1], v[2:3], v[0:1]
	s_delay_alu instid0(VALU_DEP_2) | instskip(SKIP_2) | instid1(VALU_DEP_1)
	v_rcp_f64_e32 v[9:10], v[7:8]
	s_waitcnt_depctr 0xfff
	v_fma_f64 v[11:12], -v[7:8], v[9:10], 1.0
	v_fma_f64 v[9:10], v[9:10], v[11:12], v[9:10]
	s_delay_alu instid0(VALU_DEP_1) | instskip(NEXT) | instid1(VALU_DEP_1)
	v_fma_f64 v[11:12], -v[7:8], v[9:10], 1.0
	v_fma_f64 v[9:10], v[9:10], v[11:12], v[9:10]
	s_delay_alu instid0(VALU_DEP_1) | instskip(NEXT) | instid1(VALU_DEP_1)
	v_mul_f64 v[11:12], v[13:14], v[9:10]
	v_fma_f64 v[7:8], -v[7:8], v[11:12], v[13:14]
	s_delay_alu instid0(VALU_DEP_1) | instskip(NEXT) | instid1(VALU_DEP_1)
	v_div_fmas_f64 v[7:8], v[7:8], v[9:10], v[11:12]
	v_div_fixup_f64 v[7:8], v[7:8], v[2:3], v[0:1]
	s_delay_alu instid0(VALU_DEP_1) | instskip(NEXT) | instid1(VALU_DEP_1)
	v_fma_f64 v[0:1], v[0:1], v[7:8], v[2:3]
	v_div_scale_f64 v[2:3], null, v[0:1], v[0:1], 1.0
	s_delay_alu instid0(VALU_DEP_1) | instskip(SKIP_2) | instid1(VALU_DEP_1)
	v_rcp_f64_e32 v[9:10], v[2:3]
	s_waitcnt_depctr 0xfff
	v_fma_f64 v[11:12], -v[2:3], v[9:10], 1.0
	v_fma_f64 v[9:10], v[9:10], v[11:12], v[9:10]
	s_delay_alu instid0(VALU_DEP_1) | instskip(NEXT) | instid1(VALU_DEP_1)
	v_fma_f64 v[11:12], -v[2:3], v[9:10], 1.0
	v_fma_f64 v[9:10], v[9:10], v[11:12], v[9:10]
	v_div_scale_f64 v[11:12], vcc_lo, 1.0, v[0:1], 1.0
	s_delay_alu instid0(VALU_DEP_1) | instskip(NEXT) | instid1(VALU_DEP_1)
	v_mul_f64 v[13:14], v[11:12], v[9:10]
	v_fma_f64 v[2:3], -v[2:3], v[13:14], v[11:12]
	s_delay_alu instid0(VALU_DEP_1) | instskip(NEXT) | instid1(VALU_DEP_1)
	v_div_fmas_f64 v[2:3], v[2:3], v[9:10], v[13:14]
	v_div_fixup_f64 v[2:3], v[2:3], v[0:1], 1.0
	s_delay_alu instid0(VALU_DEP_1)
	v_mul_f64 v[0:1], v[7:8], v[2:3]
	v_xor_b32_e32 v3, 0x80000000, v3
.LBB122_35:
	s_and_not1_saveexec_b32 s2, s2
	s_cbranch_execz .LBB122_37
; %bb.36:
	s_delay_alu instid0(VALU_DEP_1) | instskip(SKIP_1) | instid1(VALU_DEP_2)
	v_div_scale_f64 v[7:8], null, v[0:1], v[0:1], v[2:3]
	v_div_scale_f64 v[13:14], vcc_lo, v[2:3], v[0:1], v[2:3]
	v_rcp_f64_e32 v[9:10], v[7:8]
	s_waitcnt_depctr 0xfff
	v_fma_f64 v[11:12], -v[7:8], v[9:10], 1.0
	s_delay_alu instid0(VALU_DEP_1) | instskip(NEXT) | instid1(VALU_DEP_1)
	v_fma_f64 v[9:10], v[9:10], v[11:12], v[9:10]
	v_fma_f64 v[11:12], -v[7:8], v[9:10], 1.0
	s_delay_alu instid0(VALU_DEP_1) | instskip(NEXT) | instid1(VALU_DEP_1)
	v_fma_f64 v[9:10], v[9:10], v[11:12], v[9:10]
	v_mul_f64 v[11:12], v[13:14], v[9:10]
	s_delay_alu instid0(VALU_DEP_1) | instskip(NEXT) | instid1(VALU_DEP_1)
	v_fma_f64 v[7:8], -v[7:8], v[11:12], v[13:14]
	v_div_fmas_f64 v[7:8], v[7:8], v[9:10], v[11:12]
	s_delay_alu instid0(VALU_DEP_1) | instskip(NEXT) | instid1(VALU_DEP_1)
	v_div_fixup_f64 v[7:8], v[7:8], v[0:1], v[2:3]
	v_fma_f64 v[0:1], v[2:3], v[7:8], v[0:1]
	s_delay_alu instid0(VALU_DEP_1) | instskip(NEXT) | instid1(VALU_DEP_1)
	v_div_scale_f64 v[2:3], null, v[0:1], v[0:1], 1.0
	v_rcp_f64_e32 v[9:10], v[2:3]
	s_waitcnt_depctr 0xfff
	v_fma_f64 v[11:12], -v[2:3], v[9:10], 1.0
	s_delay_alu instid0(VALU_DEP_1) | instskip(NEXT) | instid1(VALU_DEP_1)
	v_fma_f64 v[9:10], v[9:10], v[11:12], v[9:10]
	v_fma_f64 v[11:12], -v[2:3], v[9:10], 1.0
	s_delay_alu instid0(VALU_DEP_1) | instskip(SKIP_1) | instid1(VALU_DEP_1)
	v_fma_f64 v[9:10], v[9:10], v[11:12], v[9:10]
	v_div_scale_f64 v[11:12], vcc_lo, 1.0, v[0:1], 1.0
	v_mul_f64 v[13:14], v[11:12], v[9:10]
	s_delay_alu instid0(VALU_DEP_1) | instskip(NEXT) | instid1(VALU_DEP_1)
	v_fma_f64 v[2:3], -v[2:3], v[13:14], v[11:12]
	v_div_fmas_f64 v[2:3], v[2:3], v[9:10], v[13:14]
	s_delay_alu instid0(VALU_DEP_1) | instskip(NEXT) | instid1(VALU_DEP_1)
	v_div_fixup_f64 v[0:1], v[2:3], v[0:1], 1.0
	v_mul_f64 v[2:3], v[7:8], -v[0:1]
.LBB122_37:
	s_or_b32 exec_lo, exec_lo, s2
	v_mov_b32_e32 v35, v6
.LBB122_38:
	s_or_b32 exec_lo, exec_lo, s3
	s_delay_alu instid0(SALU_CYCLE_1)
	s_mov_b32 s2, exec_lo
	v_cmpx_ne_u32_e64 v39, v4
	s_xor_b32 s2, exec_lo, s2
	s_cbranch_execz .LBB122_44
; %bb.39:
	s_mov_b32 s3, exec_lo
	v_cmpx_eq_u32_e32 1, v39
	s_cbranch_execz .LBB122_43
; %bb.40:
	v_cmp_ne_u32_e32 vcc_lo, 1, v4
	s_xor_b32 s6, s4, -1
	s_delay_alu instid0(SALU_CYCLE_1) | instskip(NEXT) | instid1(SALU_CYCLE_1)
	s_and_b32 s7, s6, vcc_lo
	s_and_saveexec_b32 s6, s7
	s_cbranch_execz .LBB122_42
; %bb.41:
	v_ashrrev_i32_e32 v5, 31, v4
	s_delay_alu instid0(VALU_DEP_1) | instskip(NEXT) | instid1(VALU_DEP_1)
	v_lshlrev_b64 v[5:6], 2, v[4:5]
	v_add_co_u32 v5, vcc_lo, v18, v5
	s_delay_alu instid0(VALU_DEP_2)
	v_add_co_ci_u32_e32 v6, vcc_lo, v19, v6, vcc_lo
	s_clause 0x1
	flat_load_b32 v7, v[5:6]
	flat_load_b32 v8, v[18:19] offset:4
	s_waitcnt vmcnt(1) lgkmcnt(1)
	flat_store_b32 v[18:19], v7 offset:4
	s_waitcnt vmcnt(0) lgkmcnt(1)
	flat_store_b32 v[5:6], v8
.LBB122_42:
	s_or_b32 exec_lo, exec_lo, s6
	v_mov_b32_e32 v39, v4
	v_mov_b32_e32 v38, v4
.LBB122_43:
	s_or_b32 exec_lo, exec_lo, s3
.LBB122_44:
	s_and_not1_saveexec_b32 s2, s2
	s_cbranch_execz .LBB122_48
; %bb.45:
	v_add3_u32 v4, v37, 0, 32
	v_mov_b32_e32 v5, 0
	s_mov_b32 s3, 0
.LBB122_46:                             ; =>This Inner Loop Header: Depth=1
	s_delay_alu instid0(VALU_DEP_1) | instskip(NEXT) | instid1(VALU_DEP_3)
	v_readfirstlane_b32 s6, v5
	v_add_nc_u32_e32 v14, s3, v4
	s_delay_alu instid0(VALU_DEP_2)
	s_add_i32 s6, s6, s3
	s_addk_i32 s3, 0xf0
	s_add_i32 s7, s6, 32
	s_add_i32 s9, s6, 48
	;; [unrolled: 1-line block ×14, first 2 shown]
	s_addk_i32 s6, 0x100
	s_clause 0xe
	scratch_load_b128 v[6:9], off, s7
	scratch_load_b128 v[10:13], off, s9
	;; [unrolled: 1-line block ×15, first 2 shown]
	s_cmpk_eq_i32 s3, 0x3c0
	s_waitcnt vmcnt(14)
	ds_store_2addr_b64 v14, v[6:7], v[8:9] offset1:1
	s_waitcnt vmcnt(13)
	ds_store_2addr_b64 v14, v[10:11], v[12:13] offset0:2 offset1:3
	s_waitcnt vmcnt(12)
	ds_store_2addr_b64 v14, v[41:42], v[43:44] offset0:4 offset1:5
	;; [unrolled: 2-line block ×14, first 2 shown]
	s_cbranch_scc0 .LBB122_46
; %bb.47:
	v_mov_b32_e32 v39, 1
.LBB122_48:
	s_or_b32 exec_lo, exec_lo, s2
	s_delay_alu instid0(SALU_CYCLE_1)
	s_mov_b32 s2, exec_lo
	s_waitcnt lgkmcnt(0)
	s_waitcnt_vscnt null, 0x0
	s_barrier
	buffer_gl0_inv
	v_cmpx_lt_i32_e32 1, v39
	s_cbranch_execz .LBB122_51
; %bb.49:
	scratch_load_b128 v[4:7], off, off offset:16
	s_mov_b32 s3, 0
	s_waitcnt vmcnt(0)
	v_mul_f64 v[8:9], v[2:3], v[6:7]
	v_mul_f64 v[6:7], v[0:1], v[6:7]
	s_delay_alu instid0(VALU_DEP_2) | instskip(NEXT) | instid1(VALU_DEP_2)
	v_fma_f64 v[0:1], v[0:1], v[4:5], -v[8:9]
	v_fma_f64 v[2:3], v[2:3], v[4:5], v[6:7]
	v_add3_u32 v4, v37, 0, 32
	v_mov_b32_e32 v5, 0
	scratch_store_b128 off, v[0:3], off offset:16
.LBB122_50:                             ; =>This Inner Loop Header: Depth=1
	scratch_load_b64 v[0:1], off, off offset:16
	v_readfirstlane_b32 s6, v5
	v_add_nc_u32_e32 v14, s3, v4
	s_delay_alu instid0(VALU_DEP_2)
	s_add_i32 s7, s6, s3
	s_addk_i32 s3, 0x60
	s_add_i32 s6, s7, 32
	s_add_i32 s9, s7, 48
	;; [unrolled: 1-line block ×5, first 2 shown]
	s_addk_i32 s7, 0x70
	s_clause 0x5
	scratch_load_b128 v[6:9], off, s6
	scratch_load_b128 v[10:13], off, s9
	;; [unrolled: 1-line block ×6, first 2 shown]
	ds_load_2addr_b64 v[69:72], v14 offset1:1
	ds_load_2addr_b64 v[77:80], v14 offset0:2 offset1:3
	ds_load_2addr_b64 v[126:129], v14 offset0:4 offset1:5
	;; [unrolled: 1-line block ×5, first 2 shown]
	s_cmpk_lg_i32 s3, 0x3c0
	s_waitcnt lgkmcnt(5)
	v_mul_f64 v[14:15], v[71:72], v[2:3]
	v_mul_f64 v[16:17], v[69:70], v[2:3]
	s_waitcnt lgkmcnt(4)
	v_mul_f64 v[49:50], v[79:80], v[2:3]
	v_mul_f64 v[57:58], v[77:78], v[2:3]
	;; [unrolled: 3-line block ×6, first 2 shown]
	s_waitcnt vmcnt(6)
	v_fma_f64 v[14:15], v[69:70], v[0:1], -v[14:15]
	v_fma_f64 v[16:17], v[71:72], v[0:1], v[16:17]
	v_fma_f64 v[49:50], v[77:78], v[0:1], -v[49:50]
	v_fma_f64 v[57:58], v[79:80], v[0:1], v[57:58]
	;; [unrolled: 2-line block ×6, first 2 shown]
	s_waitcnt vmcnt(5)
	v_add_f64 v[6:7], v[6:7], -v[14:15]
	v_add_f64 v[8:9], v[8:9], -v[16:17]
	s_waitcnt vmcnt(4)
	v_add_f64 v[10:11], v[10:11], -v[49:50]
	v_add_f64 v[12:13], v[12:13], -v[57:58]
	;; [unrolled: 3-line block ×6, first 2 shown]
	s_clause 0x5
	scratch_store_b128 off, v[6:9], s6
	scratch_store_b128 off, v[10:13], s9
	;; [unrolled: 1-line block ×6, first 2 shown]
	s_cbranch_scc1 .LBB122_50
.LBB122_51:
	s_or_b32 exec_lo, exec_lo, s2
	s_waitcnt_vscnt null, 0x0
	s_barrier
	buffer_gl0_inv
	scratch_load_b128 v[0:3], v33, off
	v_lshl_add_u32 v4, v39, 4, v20
	s_cmp_lt_i32 s5, 4
	s_waitcnt vmcnt(0)
	ds_store_2addr_b64 v4, v[0:1], v[2:3] offset1:1
	s_waitcnt lgkmcnt(0)
	s_barrier
	buffer_gl0_inv
	ds_load_2addr_b64 v[0:3], v20 offset0:4 offset1:5
	v_mov_b32_e32 v4, 2
	s_cbranch_scc1 .LBB122_54
; %bb.52:
	v_add3_u32 v5, v37, 0, 48
	v_mov_b32_e32 v4, 2
	s_mov_b32 s6, 3
	s_set_inst_prefetch_distance 0x1
	.p2align	6
.LBB122_53:                             ; =>This Inner Loop Header: Depth=1
	ds_load_2addr_b64 v[6:9], v5 offset1:1
	s_waitcnt lgkmcnt(1)
	v_cmp_gt_f64_e32 vcc_lo, 0, v[0:1]
	v_xor_b32_e32 v10, 0x80000000, v1
	v_cmp_gt_f64_e64 s2, 0, v[2:3]
	v_xor_b32_e32 v12, 0x80000000, v3
	v_add_nc_u32_e32 v5, 16, v5
	s_waitcnt lgkmcnt(0)
	v_cmp_gt_f64_e64 s3, 0, v[6:7]
	v_mov_b32_e32 v14, v6
	v_dual_mov_b32 v16, v8 :: v_dual_cndmask_b32 v11, v1, v10
	v_xor_b32_e32 v10, 0x80000000, v7
	v_cndmask_b32_e64 v13, v3, v12, s2
	v_xor_b32_e32 v12, 0x80000000, v9
	s_delay_alu instid0(VALU_DEP_3) | instskip(SKIP_2) | instid1(VALU_DEP_2)
	v_cndmask_b32_e64 v15, v7, v10, s3
	v_cmp_gt_f64_e64 s3, 0, v[8:9]
	v_cndmask_b32_e32 v10, v0, v0, vcc_lo
	v_cndmask_b32_e64 v17, v9, v12, s3
	v_cndmask_b32_e64 v12, v2, v2, s2
	s_delay_alu instid0(VALU_DEP_2) | instskip(NEXT) | instid1(VALU_DEP_2)
	v_add_f64 v[14:15], v[14:15], v[16:17]
	v_add_f64 v[10:11], v[10:11], v[12:13]
	s_delay_alu instid0(VALU_DEP_1)
	v_cmp_lt_f64_e32 vcc_lo, v[10:11], v[14:15]
	v_cndmask_b32_e32 v3, v3, v9, vcc_lo
	v_dual_cndmask_b32 v1, v1, v7 :: v_dual_cndmask_b32 v0, v0, v6
	v_cndmask_b32_e32 v2, v2, v8, vcc_lo
	v_cndmask_b32_e64 v4, v4, s6, vcc_lo
	s_add_i32 s6, s6, 1
	s_delay_alu instid0(SALU_CYCLE_1)
	s_cmp_lg_u32 s5, s6
	s_cbranch_scc1 .LBB122_53
.LBB122_54:
	s_set_inst_prefetch_distance 0x2
	s_waitcnt lgkmcnt(0)
	v_cmp_eq_f64_e32 vcc_lo, 0, v[0:1]
	v_cmp_eq_f64_e64 s2, 0, v[2:3]
	s_delay_alu instid0(VALU_DEP_1) | instskip(NEXT) | instid1(SALU_CYCLE_1)
	s_and_b32 s2, vcc_lo, s2
	s_and_saveexec_b32 s3, s2
	s_delay_alu instid0(SALU_CYCLE_1)
	s_xor_b32 s2, exec_lo, s3
; %bb.55:
	v_cmp_ne_u32_e32 vcc_lo, 0, v35
	v_cndmask_b32_e32 v35, 3, v35, vcc_lo
; %bb.56:
	s_and_not1_saveexec_b32 s3, s2
	s_cbranch_execz .LBB122_62
; %bb.57:
	v_cmp_gt_f64_e32 vcc_lo, 0, v[0:1]
	v_cmp_gt_f64_e64 s2, 0, v[2:3]
	v_xor_b32_e32 v5, 0x80000000, v1
	v_xor_b32_e32 v7, 0x80000000, v3
	s_delay_alu instid0(VALU_DEP_2) | instskip(NEXT) | instid1(VALU_DEP_2)
	v_dual_cndmask_b32 v6, v1, v5 :: v_dual_cndmask_b32 v5, v0, v0
	v_cndmask_b32_e64 v8, v3, v7, s2
	v_cndmask_b32_e64 v7, v2, v2, s2
	s_mov_b32 s2, exec_lo
	s_delay_alu instid0(VALU_DEP_1)
	v_cmpx_ngt_f64_e32 v[5:6], v[7:8]
	s_xor_b32 s2, exec_lo, s2
	s_cbranch_execz .LBB122_59
; %bb.58:
	v_div_scale_f64 v[5:6], null, v[2:3], v[2:3], v[0:1]
	v_div_scale_f64 v[11:12], vcc_lo, v[0:1], v[2:3], v[0:1]
	s_delay_alu instid0(VALU_DEP_2) | instskip(SKIP_2) | instid1(VALU_DEP_1)
	v_rcp_f64_e32 v[7:8], v[5:6]
	s_waitcnt_depctr 0xfff
	v_fma_f64 v[9:10], -v[5:6], v[7:8], 1.0
	v_fma_f64 v[7:8], v[7:8], v[9:10], v[7:8]
	s_delay_alu instid0(VALU_DEP_1) | instskip(NEXT) | instid1(VALU_DEP_1)
	v_fma_f64 v[9:10], -v[5:6], v[7:8], 1.0
	v_fma_f64 v[7:8], v[7:8], v[9:10], v[7:8]
	s_delay_alu instid0(VALU_DEP_1) | instskip(NEXT) | instid1(VALU_DEP_1)
	v_mul_f64 v[9:10], v[11:12], v[7:8]
	v_fma_f64 v[5:6], -v[5:6], v[9:10], v[11:12]
	s_delay_alu instid0(VALU_DEP_1) | instskip(NEXT) | instid1(VALU_DEP_1)
	v_div_fmas_f64 v[5:6], v[5:6], v[7:8], v[9:10]
	v_div_fixup_f64 v[5:6], v[5:6], v[2:3], v[0:1]
	s_delay_alu instid0(VALU_DEP_1) | instskip(NEXT) | instid1(VALU_DEP_1)
	v_fma_f64 v[0:1], v[0:1], v[5:6], v[2:3]
	v_div_scale_f64 v[2:3], null, v[0:1], v[0:1], 1.0
	s_delay_alu instid0(VALU_DEP_1) | instskip(SKIP_2) | instid1(VALU_DEP_1)
	v_rcp_f64_e32 v[7:8], v[2:3]
	s_waitcnt_depctr 0xfff
	v_fma_f64 v[9:10], -v[2:3], v[7:8], 1.0
	v_fma_f64 v[7:8], v[7:8], v[9:10], v[7:8]
	s_delay_alu instid0(VALU_DEP_1) | instskip(NEXT) | instid1(VALU_DEP_1)
	v_fma_f64 v[9:10], -v[2:3], v[7:8], 1.0
	v_fma_f64 v[7:8], v[7:8], v[9:10], v[7:8]
	v_div_scale_f64 v[9:10], vcc_lo, 1.0, v[0:1], 1.0
	s_delay_alu instid0(VALU_DEP_1) | instskip(NEXT) | instid1(VALU_DEP_1)
	v_mul_f64 v[11:12], v[9:10], v[7:8]
	v_fma_f64 v[2:3], -v[2:3], v[11:12], v[9:10]
	s_delay_alu instid0(VALU_DEP_1) | instskip(NEXT) | instid1(VALU_DEP_1)
	v_div_fmas_f64 v[2:3], v[2:3], v[7:8], v[11:12]
	v_div_fixup_f64 v[2:3], v[2:3], v[0:1], 1.0
	s_delay_alu instid0(VALU_DEP_1)
	v_mul_f64 v[0:1], v[5:6], v[2:3]
	v_xor_b32_e32 v3, 0x80000000, v3
.LBB122_59:
	s_and_not1_saveexec_b32 s2, s2
	s_cbranch_execz .LBB122_61
; %bb.60:
	s_delay_alu instid0(VALU_DEP_1) | instskip(SKIP_1) | instid1(VALU_DEP_2)
	v_div_scale_f64 v[5:6], null, v[0:1], v[0:1], v[2:3]
	v_div_scale_f64 v[11:12], vcc_lo, v[2:3], v[0:1], v[2:3]
	v_rcp_f64_e32 v[7:8], v[5:6]
	s_waitcnt_depctr 0xfff
	v_fma_f64 v[9:10], -v[5:6], v[7:8], 1.0
	s_delay_alu instid0(VALU_DEP_1) | instskip(NEXT) | instid1(VALU_DEP_1)
	v_fma_f64 v[7:8], v[7:8], v[9:10], v[7:8]
	v_fma_f64 v[9:10], -v[5:6], v[7:8], 1.0
	s_delay_alu instid0(VALU_DEP_1) | instskip(NEXT) | instid1(VALU_DEP_1)
	v_fma_f64 v[7:8], v[7:8], v[9:10], v[7:8]
	v_mul_f64 v[9:10], v[11:12], v[7:8]
	s_delay_alu instid0(VALU_DEP_1) | instskip(NEXT) | instid1(VALU_DEP_1)
	v_fma_f64 v[5:6], -v[5:6], v[9:10], v[11:12]
	v_div_fmas_f64 v[5:6], v[5:6], v[7:8], v[9:10]
	s_delay_alu instid0(VALU_DEP_1) | instskip(NEXT) | instid1(VALU_DEP_1)
	v_div_fixup_f64 v[5:6], v[5:6], v[0:1], v[2:3]
	v_fma_f64 v[0:1], v[2:3], v[5:6], v[0:1]
	s_delay_alu instid0(VALU_DEP_1) | instskip(NEXT) | instid1(VALU_DEP_1)
	v_div_scale_f64 v[2:3], null, v[0:1], v[0:1], 1.0
	v_rcp_f64_e32 v[7:8], v[2:3]
	s_waitcnt_depctr 0xfff
	v_fma_f64 v[9:10], -v[2:3], v[7:8], 1.0
	s_delay_alu instid0(VALU_DEP_1) | instskip(NEXT) | instid1(VALU_DEP_1)
	v_fma_f64 v[7:8], v[7:8], v[9:10], v[7:8]
	v_fma_f64 v[9:10], -v[2:3], v[7:8], 1.0
	s_delay_alu instid0(VALU_DEP_1) | instskip(SKIP_1) | instid1(VALU_DEP_1)
	v_fma_f64 v[7:8], v[7:8], v[9:10], v[7:8]
	v_div_scale_f64 v[9:10], vcc_lo, 1.0, v[0:1], 1.0
	v_mul_f64 v[11:12], v[9:10], v[7:8]
	s_delay_alu instid0(VALU_DEP_1) | instskip(NEXT) | instid1(VALU_DEP_1)
	v_fma_f64 v[2:3], -v[2:3], v[11:12], v[9:10]
	v_div_fmas_f64 v[2:3], v[2:3], v[7:8], v[11:12]
	s_delay_alu instid0(VALU_DEP_1) | instskip(NEXT) | instid1(VALU_DEP_1)
	v_div_fixup_f64 v[0:1], v[2:3], v[0:1], 1.0
	v_mul_f64 v[2:3], v[5:6], -v[0:1]
.LBB122_61:
	s_or_b32 exec_lo, exec_lo, s2
.LBB122_62:
	s_delay_alu instid0(SALU_CYCLE_1) | instskip(NEXT) | instid1(SALU_CYCLE_1)
	s_or_b32 exec_lo, exec_lo, s3
	s_mov_b32 s2, exec_lo
	v_cmpx_ne_u32_e64 v39, v4
	s_xor_b32 s2, exec_lo, s2
	s_cbranch_execz .LBB122_68
; %bb.63:
	s_mov_b32 s3, exec_lo
	v_cmpx_eq_u32_e32 2, v39
	s_cbranch_execz .LBB122_67
; %bb.64:
	v_cmp_ne_u32_e32 vcc_lo, 2, v4
	s_xor_b32 s6, s4, -1
	s_delay_alu instid0(SALU_CYCLE_1) | instskip(NEXT) | instid1(SALU_CYCLE_1)
	s_and_b32 s7, s6, vcc_lo
	s_and_saveexec_b32 s6, s7
	s_cbranch_execz .LBB122_66
; %bb.65:
	v_ashrrev_i32_e32 v5, 31, v4
	s_delay_alu instid0(VALU_DEP_1) | instskip(NEXT) | instid1(VALU_DEP_1)
	v_lshlrev_b64 v[5:6], 2, v[4:5]
	v_add_co_u32 v5, vcc_lo, v18, v5
	s_delay_alu instid0(VALU_DEP_2)
	v_add_co_ci_u32_e32 v6, vcc_lo, v19, v6, vcc_lo
	s_clause 0x1
	flat_load_b32 v7, v[5:6]
	flat_load_b32 v8, v[18:19] offset:8
	s_waitcnt vmcnt(1) lgkmcnt(1)
	flat_store_b32 v[18:19], v7 offset:8
	s_waitcnt vmcnt(0) lgkmcnt(1)
	flat_store_b32 v[5:6], v8
.LBB122_66:
	s_or_b32 exec_lo, exec_lo, s6
	v_mov_b32_e32 v39, v4
	v_mov_b32_e32 v38, v4
.LBB122_67:
	s_or_b32 exec_lo, exec_lo, s3
.LBB122_68:
	s_and_not1_saveexec_b32 s2, s2
	s_cbranch_execz .LBB122_74
; %bb.69:
	v_add3_u32 v4, v37, 0, 48
	v_mov_b32_e32 v5, 0
	s_mov_b32 s3, 0
	s_branch .LBB122_71
.LBB122_70:                             ;   in Loop: Header=BB122_71 Depth=1
	s_and_not1_b32 vcc_lo, exec_lo, s7
	s_cbranch_vccz .LBB122_73
.LBB122_71:                             ; =>This Inner Loop Header: Depth=1
	s_delay_alu instid0(VALU_DEP_1) | instskip(SKIP_1) | instid1(VALU_DEP_2)
	v_readfirstlane_b32 s6, v5
	v_add_nc_u32_e32 v6, s3, v4
	s_add_i32 s6, s6, s3
	s_delay_alu instid0(SALU_CYCLE_1)
	s_add_i32 s7, s6, 48
	s_add_i32 s9, s6, 64
	s_add_i32 s12, s6, 0x50
	s_clause 0x2
	scratch_load_b128 v[7:10], off, s7
	scratch_load_b128 v[11:14], off, s9
	scratch_load_b128 v[41:44], off, s12
	s_mov_b32 s7, -1
	s_cmpk_eq_i32 s3, 0x380
	s_waitcnt vmcnt(2)
	ds_store_2addr_b64 v6, v[7:8], v[9:10] offset1:1
	s_waitcnt vmcnt(1)
	ds_store_2addr_b64 v6, v[11:12], v[13:14] offset0:2 offset1:3
	s_waitcnt vmcnt(0)
	ds_store_2addr_b64 v6, v[41:42], v[43:44] offset0:4 offset1:5
	s_cbranch_scc1 .LBB122_70
; %bb.72:                               ;   in Loop: Header=BB122_71 Depth=1
	s_add_i32 s7, s6, 0x60
	s_add_i32 s9, s6, 0x70
	s_clause 0x1
	scratch_load_b128 v[7:10], off, s7
	scratch_load_b128 v[11:14], off, s9
	s_add_i32 s7, s6, 0x80
	s_add_i32 s9, s6, 0x90
	s_addk_i32 s6, 0xa0
	s_clause 0x2
	scratch_load_b128 v[41:44], off, s7
	scratch_load_b128 v[45:48], off, s9
	scratch_load_b128 v[53:56], off, s6
	s_addk_i32 s3, 0x80
	s_mov_b32 s7, 0
	s_waitcnt vmcnt(4)
	ds_store_2addr_b64 v6, v[7:8], v[9:10] offset0:6 offset1:7
	s_waitcnt vmcnt(3)
	ds_store_2addr_b64 v6, v[11:12], v[13:14] offset0:8 offset1:9
	;; [unrolled: 2-line block ×5, first 2 shown]
	s_branch .LBB122_70
.LBB122_73:
	v_mov_b32_e32 v39, 2
.LBB122_74:
	s_or_b32 exec_lo, exec_lo, s2
	s_delay_alu instid0(SALU_CYCLE_1)
	s_mov_b32 s2, exec_lo
	s_waitcnt lgkmcnt(0)
	s_waitcnt_vscnt null, 0x0
	s_barrier
	buffer_gl0_inv
	v_cmpx_lt_i32_e32 2, v39
	s_cbranch_execz .LBB122_79
; %bb.75:
	scratch_load_b128 v[4:7], off, off offset:32
	s_mov_b32 s3, 0
	s_waitcnt vmcnt(0)
	v_mul_f64 v[8:9], v[2:3], v[6:7]
	v_mul_f64 v[6:7], v[0:1], v[6:7]
	s_delay_alu instid0(VALU_DEP_2) | instskip(NEXT) | instid1(VALU_DEP_2)
	v_fma_f64 v[0:1], v[0:1], v[4:5], -v[8:9]
	v_fma_f64 v[2:3], v[2:3], v[4:5], v[6:7]
	v_add3_u32 v4, v37, 0, 48
	v_mov_b32_e32 v5, 0
	scratch_store_b128 off, v[0:3], off offset:32
	s_branch .LBB122_77
.LBB122_76:                             ;   in Loop: Header=BB122_77 Depth=1
	s_and_not1_b32 vcc_lo, exec_lo, s7
	s_cbranch_vccz .LBB122_79
.LBB122_77:                             ; =>This Inner Loop Header: Depth=1
	v_readfirstlane_b32 s6, v5
	v_add_nc_u32_e32 v6, s3, v4
	s_mov_b32 s7, -1
	s_delay_alu instid0(VALU_DEP_2) | instskip(NEXT) | instid1(SALU_CYCLE_1)
	s_add_i32 s6, s6, s3
	s_add_i32 s9, s6, 48
	;; [unrolled: 1-line block ×3, first 2 shown]
	scratch_load_b128 v[7:10], off, s9
	s_add_i32 s14, s6, 0x50
	s_clause 0x1
	scratch_load_b128 v[11:14], off, s12
	scratch_load_b128 v[41:44], off, s14
	ds_load_2addr_b64 v[45:48], v6 offset1:1
	ds_load_2addr_b64 v[53:56], v6 offset0:2 offset1:3
	ds_load_2addr_b64 v[61:64], v6 offset0:4 offset1:5
	s_cmpk_eq_i32 s3, 0x380
	s_waitcnt lgkmcnt(2)
	v_mul_f64 v[15:16], v[47:48], v[2:3]
	v_mul_f64 v[49:50], v[45:46], v[2:3]
	s_waitcnt lgkmcnt(1)
	v_mul_f64 v[57:58], v[55:56], v[2:3]
	v_mul_f64 v[65:66], v[53:54], v[2:3]
	;; [unrolled: 3-line block ×3, first 2 shown]
	v_fma_f64 v[15:16], v[45:46], v[0:1], -v[15:16]
	v_fma_f64 v[45:46], v[47:48], v[0:1], v[49:50]
	v_fma_f64 v[47:48], v[53:54], v[0:1], -v[57:58]
	v_fma_f64 v[49:50], v[55:56], v[0:1], v[65:66]
	;; [unrolled: 2-line block ×3, first 2 shown]
	s_waitcnt vmcnt(2)
	v_add_f64 v[7:8], v[7:8], -v[15:16]
	v_add_f64 v[9:10], v[9:10], -v[45:46]
	s_waitcnt vmcnt(1)
	v_add_f64 v[11:12], v[11:12], -v[47:48]
	v_add_f64 v[13:14], v[13:14], -v[49:50]
	;; [unrolled: 3-line block ×3, first 2 shown]
	s_clause 0x2
	scratch_store_b128 off, v[7:10], s9
	scratch_store_b128 off, v[11:14], s12
	;; [unrolled: 1-line block ×3, first 2 shown]
	s_cbranch_scc1 .LBB122_76
; %bb.78:                               ;   in Loop: Header=BB122_77 Depth=1
	s_addk_i32 s6, 0x60
	ds_load_2addr_b64 v[11:14], v6 offset0:6 offset1:7
	scratch_load_b128 v[7:10], off, s6
	s_add_i32 s3, s3, 64
	s_mov_b32 s7, 0
	s_waitcnt lgkmcnt(0)
	v_mul_f64 v[15:16], v[13:14], v[2:3]
	v_mul_f64 v[41:42], v[11:12], v[2:3]
	s_delay_alu instid0(VALU_DEP_2) | instskip(NEXT) | instid1(VALU_DEP_2)
	v_fma_f64 v[11:12], v[11:12], v[0:1], -v[15:16]
	v_fma_f64 v[13:14], v[13:14], v[0:1], v[41:42]
	s_waitcnt vmcnt(0)
	s_delay_alu instid0(VALU_DEP_2) | instskip(NEXT) | instid1(VALU_DEP_2)
	v_add_f64 v[6:7], v[7:8], -v[11:12]
	v_add_f64 v[8:9], v[9:10], -v[13:14]
	scratch_store_b128 off, v[6:9], s6
	s_branch .LBB122_76
.LBB122_79:
	s_or_b32 exec_lo, exec_lo, s2
	s_waitcnt_vscnt null, 0x0
	s_barrier
	buffer_gl0_inv
	scratch_load_b128 v[0:3], v32, off
	v_lshl_add_u32 v4, v39, 4, v20
	s_cmp_lt_i32 s5, 5
	s_mov_b32 s6, 4
	s_waitcnt vmcnt(0)
	ds_store_2addr_b64 v4, v[0:1], v[2:3] offset1:1
	s_waitcnt lgkmcnt(0)
	s_barrier
	buffer_gl0_inv
	ds_load_2addr_b64 v[0:3], v20 offset0:6 offset1:7
	v_mov_b32_e32 v4, 3
	s_cbranch_scc1 .LBB122_82
; %bb.80:
	v_add3_u32 v5, v37, 0, 64
	v_mov_b32_e32 v4, 3
	s_set_inst_prefetch_distance 0x1
	.p2align	6
.LBB122_81:                             ; =>This Inner Loop Header: Depth=1
	ds_load_2addr_b64 v[6:9], v5 offset1:1
	s_waitcnt lgkmcnt(1)
	v_cmp_gt_f64_e32 vcc_lo, 0, v[0:1]
	v_xor_b32_e32 v10, 0x80000000, v1
	v_cmp_gt_f64_e64 s2, 0, v[2:3]
	v_xor_b32_e32 v12, 0x80000000, v3
	v_add_nc_u32_e32 v5, 16, v5
	s_waitcnt lgkmcnt(0)
	v_cmp_gt_f64_e64 s3, 0, v[6:7]
	v_mov_b32_e32 v14, v6
	v_dual_mov_b32 v16, v8 :: v_dual_cndmask_b32 v11, v1, v10
	v_xor_b32_e32 v10, 0x80000000, v7
	v_cndmask_b32_e64 v13, v3, v12, s2
	v_xor_b32_e32 v12, 0x80000000, v9
	s_delay_alu instid0(VALU_DEP_3) | instskip(SKIP_2) | instid1(VALU_DEP_2)
	v_cndmask_b32_e64 v15, v7, v10, s3
	v_cmp_gt_f64_e64 s3, 0, v[8:9]
	v_cndmask_b32_e32 v10, v0, v0, vcc_lo
	v_cndmask_b32_e64 v17, v9, v12, s3
	v_cndmask_b32_e64 v12, v2, v2, s2
	s_delay_alu instid0(VALU_DEP_2) | instskip(NEXT) | instid1(VALU_DEP_2)
	v_add_f64 v[14:15], v[14:15], v[16:17]
	v_add_f64 v[10:11], v[10:11], v[12:13]
	s_delay_alu instid0(VALU_DEP_1)
	v_cmp_lt_f64_e32 vcc_lo, v[10:11], v[14:15]
	v_cndmask_b32_e32 v3, v3, v9, vcc_lo
	v_dual_cndmask_b32 v1, v1, v7 :: v_dual_cndmask_b32 v0, v0, v6
	v_cndmask_b32_e32 v2, v2, v8, vcc_lo
	v_cndmask_b32_e64 v4, v4, s6, vcc_lo
	s_add_i32 s6, s6, 1
	s_delay_alu instid0(SALU_CYCLE_1)
	s_cmp_lg_u32 s5, s6
	s_cbranch_scc1 .LBB122_81
.LBB122_82:
	s_set_inst_prefetch_distance 0x2
	s_waitcnt lgkmcnt(0)
	v_cmp_eq_f64_e32 vcc_lo, 0, v[0:1]
	v_cmp_eq_f64_e64 s2, 0, v[2:3]
	s_delay_alu instid0(VALU_DEP_1) | instskip(NEXT) | instid1(SALU_CYCLE_1)
	s_and_b32 s2, vcc_lo, s2
	s_and_saveexec_b32 s3, s2
	s_delay_alu instid0(SALU_CYCLE_1)
	s_xor_b32 s2, exec_lo, s3
; %bb.83:
	v_cmp_ne_u32_e32 vcc_lo, 0, v35
	v_cndmask_b32_e32 v35, 4, v35, vcc_lo
; %bb.84:
	s_and_not1_saveexec_b32 s3, s2
	s_cbranch_execz .LBB122_90
; %bb.85:
	v_cmp_gt_f64_e32 vcc_lo, 0, v[0:1]
	v_cmp_gt_f64_e64 s2, 0, v[2:3]
	v_xor_b32_e32 v5, 0x80000000, v1
	v_xor_b32_e32 v7, 0x80000000, v3
	s_delay_alu instid0(VALU_DEP_2) | instskip(NEXT) | instid1(VALU_DEP_2)
	v_dual_cndmask_b32 v6, v1, v5 :: v_dual_cndmask_b32 v5, v0, v0
	v_cndmask_b32_e64 v8, v3, v7, s2
	v_cndmask_b32_e64 v7, v2, v2, s2
	s_mov_b32 s2, exec_lo
	s_delay_alu instid0(VALU_DEP_1)
	v_cmpx_ngt_f64_e32 v[5:6], v[7:8]
	s_xor_b32 s2, exec_lo, s2
	s_cbranch_execz .LBB122_87
; %bb.86:
	v_div_scale_f64 v[5:6], null, v[2:3], v[2:3], v[0:1]
	v_div_scale_f64 v[11:12], vcc_lo, v[0:1], v[2:3], v[0:1]
	s_delay_alu instid0(VALU_DEP_2) | instskip(SKIP_2) | instid1(VALU_DEP_1)
	v_rcp_f64_e32 v[7:8], v[5:6]
	s_waitcnt_depctr 0xfff
	v_fma_f64 v[9:10], -v[5:6], v[7:8], 1.0
	v_fma_f64 v[7:8], v[7:8], v[9:10], v[7:8]
	s_delay_alu instid0(VALU_DEP_1) | instskip(NEXT) | instid1(VALU_DEP_1)
	v_fma_f64 v[9:10], -v[5:6], v[7:8], 1.0
	v_fma_f64 v[7:8], v[7:8], v[9:10], v[7:8]
	s_delay_alu instid0(VALU_DEP_1) | instskip(NEXT) | instid1(VALU_DEP_1)
	v_mul_f64 v[9:10], v[11:12], v[7:8]
	v_fma_f64 v[5:6], -v[5:6], v[9:10], v[11:12]
	s_delay_alu instid0(VALU_DEP_1) | instskip(NEXT) | instid1(VALU_DEP_1)
	v_div_fmas_f64 v[5:6], v[5:6], v[7:8], v[9:10]
	v_div_fixup_f64 v[5:6], v[5:6], v[2:3], v[0:1]
	s_delay_alu instid0(VALU_DEP_1) | instskip(NEXT) | instid1(VALU_DEP_1)
	v_fma_f64 v[0:1], v[0:1], v[5:6], v[2:3]
	v_div_scale_f64 v[2:3], null, v[0:1], v[0:1], 1.0
	s_delay_alu instid0(VALU_DEP_1) | instskip(SKIP_2) | instid1(VALU_DEP_1)
	v_rcp_f64_e32 v[7:8], v[2:3]
	s_waitcnt_depctr 0xfff
	v_fma_f64 v[9:10], -v[2:3], v[7:8], 1.0
	v_fma_f64 v[7:8], v[7:8], v[9:10], v[7:8]
	s_delay_alu instid0(VALU_DEP_1) | instskip(NEXT) | instid1(VALU_DEP_1)
	v_fma_f64 v[9:10], -v[2:3], v[7:8], 1.0
	v_fma_f64 v[7:8], v[7:8], v[9:10], v[7:8]
	v_div_scale_f64 v[9:10], vcc_lo, 1.0, v[0:1], 1.0
	s_delay_alu instid0(VALU_DEP_1) | instskip(NEXT) | instid1(VALU_DEP_1)
	v_mul_f64 v[11:12], v[9:10], v[7:8]
	v_fma_f64 v[2:3], -v[2:3], v[11:12], v[9:10]
	s_delay_alu instid0(VALU_DEP_1) | instskip(NEXT) | instid1(VALU_DEP_1)
	v_div_fmas_f64 v[2:3], v[2:3], v[7:8], v[11:12]
	v_div_fixup_f64 v[2:3], v[2:3], v[0:1], 1.0
	s_delay_alu instid0(VALU_DEP_1)
	v_mul_f64 v[0:1], v[5:6], v[2:3]
	v_xor_b32_e32 v3, 0x80000000, v3
.LBB122_87:
	s_and_not1_saveexec_b32 s2, s2
	s_cbranch_execz .LBB122_89
; %bb.88:
	s_delay_alu instid0(VALU_DEP_1) | instskip(SKIP_1) | instid1(VALU_DEP_2)
	v_div_scale_f64 v[5:6], null, v[0:1], v[0:1], v[2:3]
	v_div_scale_f64 v[11:12], vcc_lo, v[2:3], v[0:1], v[2:3]
	v_rcp_f64_e32 v[7:8], v[5:6]
	s_waitcnt_depctr 0xfff
	v_fma_f64 v[9:10], -v[5:6], v[7:8], 1.0
	s_delay_alu instid0(VALU_DEP_1) | instskip(NEXT) | instid1(VALU_DEP_1)
	v_fma_f64 v[7:8], v[7:8], v[9:10], v[7:8]
	v_fma_f64 v[9:10], -v[5:6], v[7:8], 1.0
	s_delay_alu instid0(VALU_DEP_1) | instskip(NEXT) | instid1(VALU_DEP_1)
	v_fma_f64 v[7:8], v[7:8], v[9:10], v[7:8]
	v_mul_f64 v[9:10], v[11:12], v[7:8]
	s_delay_alu instid0(VALU_DEP_1) | instskip(NEXT) | instid1(VALU_DEP_1)
	v_fma_f64 v[5:6], -v[5:6], v[9:10], v[11:12]
	v_div_fmas_f64 v[5:6], v[5:6], v[7:8], v[9:10]
	s_delay_alu instid0(VALU_DEP_1) | instskip(NEXT) | instid1(VALU_DEP_1)
	v_div_fixup_f64 v[5:6], v[5:6], v[0:1], v[2:3]
	v_fma_f64 v[0:1], v[2:3], v[5:6], v[0:1]
	s_delay_alu instid0(VALU_DEP_1) | instskip(NEXT) | instid1(VALU_DEP_1)
	v_div_scale_f64 v[2:3], null, v[0:1], v[0:1], 1.0
	v_rcp_f64_e32 v[7:8], v[2:3]
	s_waitcnt_depctr 0xfff
	v_fma_f64 v[9:10], -v[2:3], v[7:8], 1.0
	s_delay_alu instid0(VALU_DEP_1) | instskip(NEXT) | instid1(VALU_DEP_1)
	v_fma_f64 v[7:8], v[7:8], v[9:10], v[7:8]
	v_fma_f64 v[9:10], -v[2:3], v[7:8], 1.0
	s_delay_alu instid0(VALU_DEP_1) | instskip(SKIP_1) | instid1(VALU_DEP_1)
	v_fma_f64 v[7:8], v[7:8], v[9:10], v[7:8]
	v_div_scale_f64 v[9:10], vcc_lo, 1.0, v[0:1], 1.0
	v_mul_f64 v[11:12], v[9:10], v[7:8]
	s_delay_alu instid0(VALU_DEP_1) | instskip(NEXT) | instid1(VALU_DEP_1)
	v_fma_f64 v[2:3], -v[2:3], v[11:12], v[9:10]
	v_div_fmas_f64 v[2:3], v[2:3], v[7:8], v[11:12]
	s_delay_alu instid0(VALU_DEP_1) | instskip(NEXT) | instid1(VALU_DEP_1)
	v_div_fixup_f64 v[0:1], v[2:3], v[0:1], 1.0
	v_mul_f64 v[2:3], v[5:6], -v[0:1]
.LBB122_89:
	s_or_b32 exec_lo, exec_lo, s2
.LBB122_90:
	s_delay_alu instid0(SALU_CYCLE_1) | instskip(NEXT) | instid1(SALU_CYCLE_1)
	s_or_b32 exec_lo, exec_lo, s3
	s_mov_b32 s2, exec_lo
	v_cmpx_ne_u32_e64 v39, v4
	s_xor_b32 s2, exec_lo, s2
	s_cbranch_execz .LBB122_96
; %bb.91:
	s_mov_b32 s3, exec_lo
	v_cmpx_eq_u32_e32 3, v39
	s_cbranch_execz .LBB122_95
; %bb.92:
	v_cmp_ne_u32_e32 vcc_lo, 3, v4
	s_xor_b32 s6, s4, -1
	s_delay_alu instid0(SALU_CYCLE_1) | instskip(NEXT) | instid1(SALU_CYCLE_1)
	s_and_b32 s7, s6, vcc_lo
	s_and_saveexec_b32 s6, s7
	s_cbranch_execz .LBB122_94
; %bb.93:
	v_ashrrev_i32_e32 v5, 31, v4
	s_delay_alu instid0(VALU_DEP_1) | instskip(NEXT) | instid1(VALU_DEP_1)
	v_lshlrev_b64 v[5:6], 2, v[4:5]
	v_add_co_u32 v5, vcc_lo, v18, v5
	s_delay_alu instid0(VALU_DEP_2)
	v_add_co_ci_u32_e32 v6, vcc_lo, v19, v6, vcc_lo
	s_clause 0x1
	flat_load_b32 v7, v[5:6]
	flat_load_b32 v8, v[18:19] offset:12
	s_waitcnt vmcnt(1) lgkmcnt(1)
	flat_store_b32 v[18:19], v7 offset:12
	s_waitcnt vmcnt(0) lgkmcnt(1)
	flat_store_b32 v[5:6], v8
.LBB122_94:
	s_or_b32 exec_lo, exec_lo, s6
	v_mov_b32_e32 v39, v4
	v_mov_b32_e32 v38, v4
.LBB122_95:
	s_or_b32 exec_lo, exec_lo, s3
.LBB122_96:
	s_and_not1_saveexec_b32 s2, s2
	s_cbranch_execz .LBB122_100
; %bb.97:
	v_add3_u32 v4, v37, 0, 64
	s_mov_b32 s3, 0
	.p2align	6
.LBB122_98:                             ; =>This Inner Loop Header: Depth=1
	s_delay_alu instid0(SALU_CYCLE_1) | instskip(NEXT) | instid1(VALU_DEP_2)
	v_add_nc_u32_e64 v5, s3, 0
	v_add_nc_u32_e32 v13, s3, v4
	s_add_i32 s3, s3, 32
	s_delay_alu instid0(SALU_CYCLE_1) | instskip(NEXT) | instid1(VALU_DEP_2)
	s_cmpk_eq_i32 s3, 0x3a0
	v_add_nc_u32_e32 v6, 64, v5
	v_add_nc_u32_e32 v9, 0x50, v5
	s_clause 0x1
	scratch_load_b128 v[5:8], v6, off
	scratch_load_b128 v[9:12], v9, off
	s_waitcnt vmcnt(1)
	ds_store_2addr_b64 v13, v[5:6], v[7:8] offset1:1
	s_waitcnt vmcnt(0)
	ds_store_2addr_b64 v13, v[9:10], v[11:12] offset0:2 offset1:3
	s_cbranch_scc0 .LBB122_98
; %bb.99:
	v_mov_b32_e32 v39, 3
.LBB122_100:
	s_or_b32 exec_lo, exec_lo, s2
	s_delay_alu instid0(SALU_CYCLE_1)
	s_mov_b32 s2, exec_lo
	s_waitcnt lgkmcnt(0)
	s_waitcnt_vscnt null, 0x0
	s_barrier
	buffer_gl0_inv
	v_cmpx_lt_i32_e32 3, v39
	s_cbranch_execz .LBB122_103
; %bb.101:
	scratch_load_b128 v[4:7], off, off offset:48
	s_mov_b32 s3, 0
	s_waitcnt vmcnt(0)
	v_mul_f64 v[8:9], v[2:3], v[6:7]
	v_mul_f64 v[6:7], v[0:1], v[6:7]
	s_delay_alu instid0(VALU_DEP_2) | instskip(NEXT) | instid1(VALU_DEP_2)
	v_fma_f64 v[0:1], v[0:1], v[4:5], -v[8:9]
	v_fma_f64 v[2:3], v[2:3], v[4:5], v[6:7]
	v_add3_u32 v4, v37, 0, 64
	scratch_store_b128 off, v[0:3], off offset:48
	s_set_inst_prefetch_distance 0x1
	.p2align	6
.LBB122_102:                            ; =>This Inner Loop Header: Depth=1
	v_add_nc_u32_e64 v5, s3, 0
	v_add_nc_u32_e32 v13, s3, v4
	s_add_i32 s3, s3, 32
	s_delay_alu instid0(SALU_CYCLE_1) | instskip(NEXT) | instid1(VALU_DEP_2)
	s_cmpk_lg_i32 s3, 0x3a0
	v_add_nc_u32_e32 v17, 64, v5
	v_add_nc_u32_e32 v51, 0x50, v5
	s_clause 0x1
	scratch_load_b128 v[5:8], v17, off
	scratch_load_b128 v[9:12], v51, off
	ds_load_2addr_b64 v[41:44], v13 offset1:1
	ds_load_2addr_b64 v[45:48], v13 offset0:2 offset1:3
	s_waitcnt lgkmcnt(1)
	v_mul_f64 v[13:14], v[43:44], v[2:3]
	v_mul_f64 v[15:16], v[41:42], v[2:3]
	s_waitcnt lgkmcnt(0)
	v_mul_f64 v[49:50], v[47:48], v[2:3]
	v_mul_f64 v[53:54], v[45:46], v[2:3]
	s_delay_alu instid0(VALU_DEP_4) | instskip(NEXT) | instid1(VALU_DEP_4)
	v_fma_f64 v[13:14], v[41:42], v[0:1], -v[13:14]
	v_fma_f64 v[15:16], v[43:44], v[0:1], v[15:16]
	s_delay_alu instid0(VALU_DEP_4) | instskip(NEXT) | instid1(VALU_DEP_4)
	v_fma_f64 v[41:42], v[45:46], v[0:1], -v[49:50]
	v_fma_f64 v[43:44], v[47:48], v[0:1], v[53:54]
	s_waitcnt vmcnt(1)
	s_delay_alu instid0(VALU_DEP_4) | instskip(NEXT) | instid1(VALU_DEP_4)
	v_add_f64 v[5:6], v[5:6], -v[13:14]
	v_add_f64 v[7:8], v[7:8], -v[15:16]
	s_waitcnt vmcnt(0)
	s_delay_alu instid0(VALU_DEP_4) | instskip(NEXT) | instid1(VALU_DEP_4)
	v_add_f64 v[9:10], v[9:10], -v[41:42]
	v_add_f64 v[11:12], v[11:12], -v[43:44]
	s_clause 0x1
	scratch_store_b128 v17, v[5:8], off
	scratch_store_b128 v51, v[9:12], off
	s_cbranch_scc1 .LBB122_102
.LBB122_103:
	s_set_inst_prefetch_distance 0x2
	s_or_b32 exec_lo, exec_lo, s2
	s_waitcnt_vscnt null, 0x0
	s_barrier
	buffer_gl0_inv
	scratch_load_b128 v[0:3], v31, off
	v_lshl_add_u32 v4, v39, 4, v20
	s_cmp_lt_i32 s5, 6
	s_waitcnt vmcnt(0)
	ds_store_2addr_b64 v4, v[0:1], v[2:3] offset1:1
	s_waitcnt lgkmcnt(0)
	s_barrier
	buffer_gl0_inv
	ds_load_2addr_b64 v[0:3], v20 offset0:8 offset1:9
	v_mov_b32_e32 v4, 4
	s_cbranch_scc1 .LBB122_106
; %bb.104:
	v_add3_u32 v5, v37, 0, 0x50
	v_mov_b32_e32 v4, 4
	s_mov_b32 s6, 5
	s_set_inst_prefetch_distance 0x1
	.p2align	6
.LBB122_105:                            ; =>This Inner Loop Header: Depth=1
	ds_load_2addr_b64 v[6:9], v5 offset1:1
	s_waitcnt lgkmcnt(1)
	v_cmp_gt_f64_e32 vcc_lo, 0, v[0:1]
	v_xor_b32_e32 v10, 0x80000000, v1
	v_cmp_gt_f64_e64 s2, 0, v[2:3]
	v_xor_b32_e32 v12, 0x80000000, v3
	v_add_nc_u32_e32 v5, 16, v5
	s_waitcnt lgkmcnt(0)
	v_cmp_gt_f64_e64 s3, 0, v[6:7]
	v_mov_b32_e32 v14, v6
	v_dual_mov_b32 v16, v8 :: v_dual_cndmask_b32 v11, v1, v10
	v_xor_b32_e32 v10, 0x80000000, v7
	v_cndmask_b32_e64 v13, v3, v12, s2
	v_xor_b32_e32 v12, 0x80000000, v9
	s_delay_alu instid0(VALU_DEP_3) | instskip(SKIP_2) | instid1(VALU_DEP_2)
	v_cndmask_b32_e64 v15, v7, v10, s3
	v_cmp_gt_f64_e64 s3, 0, v[8:9]
	v_cndmask_b32_e32 v10, v0, v0, vcc_lo
	v_cndmask_b32_e64 v17, v9, v12, s3
	v_cndmask_b32_e64 v12, v2, v2, s2
	s_delay_alu instid0(VALU_DEP_2) | instskip(NEXT) | instid1(VALU_DEP_2)
	v_add_f64 v[14:15], v[14:15], v[16:17]
	v_add_f64 v[10:11], v[10:11], v[12:13]
	s_delay_alu instid0(VALU_DEP_1)
	v_cmp_lt_f64_e32 vcc_lo, v[10:11], v[14:15]
	v_cndmask_b32_e32 v3, v3, v9, vcc_lo
	v_dual_cndmask_b32 v1, v1, v7 :: v_dual_cndmask_b32 v0, v0, v6
	v_cndmask_b32_e32 v2, v2, v8, vcc_lo
	v_cndmask_b32_e64 v4, v4, s6, vcc_lo
	s_add_i32 s6, s6, 1
	s_delay_alu instid0(SALU_CYCLE_1)
	s_cmp_lg_u32 s5, s6
	s_cbranch_scc1 .LBB122_105
.LBB122_106:
	s_set_inst_prefetch_distance 0x2
	s_waitcnt lgkmcnt(0)
	v_cmp_eq_f64_e32 vcc_lo, 0, v[0:1]
	v_cmp_eq_f64_e64 s2, 0, v[2:3]
	s_delay_alu instid0(VALU_DEP_1) | instskip(NEXT) | instid1(SALU_CYCLE_1)
	s_and_b32 s2, vcc_lo, s2
	s_and_saveexec_b32 s3, s2
	s_delay_alu instid0(SALU_CYCLE_1)
	s_xor_b32 s2, exec_lo, s3
; %bb.107:
	v_cmp_ne_u32_e32 vcc_lo, 0, v35
	v_cndmask_b32_e32 v35, 5, v35, vcc_lo
; %bb.108:
	s_and_not1_saveexec_b32 s3, s2
	s_cbranch_execz .LBB122_114
; %bb.109:
	v_cmp_gt_f64_e32 vcc_lo, 0, v[0:1]
	v_cmp_gt_f64_e64 s2, 0, v[2:3]
	v_xor_b32_e32 v5, 0x80000000, v1
	v_xor_b32_e32 v7, 0x80000000, v3
	s_delay_alu instid0(VALU_DEP_2) | instskip(NEXT) | instid1(VALU_DEP_2)
	v_dual_cndmask_b32 v6, v1, v5 :: v_dual_cndmask_b32 v5, v0, v0
	v_cndmask_b32_e64 v8, v3, v7, s2
	v_cndmask_b32_e64 v7, v2, v2, s2
	s_mov_b32 s2, exec_lo
	s_delay_alu instid0(VALU_DEP_1)
	v_cmpx_ngt_f64_e32 v[5:6], v[7:8]
	s_xor_b32 s2, exec_lo, s2
	s_cbranch_execz .LBB122_111
; %bb.110:
	v_div_scale_f64 v[5:6], null, v[2:3], v[2:3], v[0:1]
	v_div_scale_f64 v[11:12], vcc_lo, v[0:1], v[2:3], v[0:1]
	s_delay_alu instid0(VALU_DEP_2) | instskip(SKIP_2) | instid1(VALU_DEP_1)
	v_rcp_f64_e32 v[7:8], v[5:6]
	s_waitcnt_depctr 0xfff
	v_fma_f64 v[9:10], -v[5:6], v[7:8], 1.0
	v_fma_f64 v[7:8], v[7:8], v[9:10], v[7:8]
	s_delay_alu instid0(VALU_DEP_1) | instskip(NEXT) | instid1(VALU_DEP_1)
	v_fma_f64 v[9:10], -v[5:6], v[7:8], 1.0
	v_fma_f64 v[7:8], v[7:8], v[9:10], v[7:8]
	s_delay_alu instid0(VALU_DEP_1) | instskip(NEXT) | instid1(VALU_DEP_1)
	v_mul_f64 v[9:10], v[11:12], v[7:8]
	v_fma_f64 v[5:6], -v[5:6], v[9:10], v[11:12]
	s_delay_alu instid0(VALU_DEP_1) | instskip(NEXT) | instid1(VALU_DEP_1)
	v_div_fmas_f64 v[5:6], v[5:6], v[7:8], v[9:10]
	v_div_fixup_f64 v[5:6], v[5:6], v[2:3], v[0:1]
	s_delay_alu instid0(VALU_DEP_1) | instskip(NEXT) | instid1(VALU_DEP_1)
	v_fma_f64 v[0:1], v[0:1], v[5:6], v[2:3]
	v_div_scale_f64 v[2:3], null, v[0:1], v[0:1], 1.0
	s_delay_alu instid0(VALU_DEP_1) | instskip(SKIP_2) | instid1(VALU_DEP_1)
	v_rcp_f64_e32 v[7:8], v[2:3]
	s_waitcnt_depctr 0xfff
	v_fma_f64 v[9:10], -v[2:3], v[7:8], 1.0
	v_fma_f64 v[7:8], v[7:8], v[9:10], v[7:8]
	s_delay_alu instid0(VALU_DEP_1) | instskip(NEXT) | instid1(VALU_DEP_1)
	v_fma_f64 v[9:10], -v[2:3], v[7:8], 1.0
	v_fma_f64 v[7:8], v[7:8], v[9:10], v[7:8]
	v_div_scale_f64 v[9:10], vcc_lo, 1.0, v[0:1], 1.0
	s_delay_alu instid0(VALU_DEP_1) | instskip(NEXT) | instid1(VALU_DEP_1)
	v_mul_f64 v[11:12], v[9:10], v[7:8]
	v_fma_f64 v[2:3], -v[2:3], v[11:12], v[9:10]
	s_delay_alu instid0(VALU_DEP_1) | instskip(NEXT) | instid1(VALU_DEP_1)
	v_div_fmas_f64 v[2:3], v[2:3], v[7:8], v[11:12]
	v_div_fixup_f64 v[2:3], v[2:3], v[0:1], 1.0
	s_delay_alu instid0(VALU_DEP_1)
	v_mul_f64 v[0:1], v[5:6], v[2:3]
	v_xor_b32_e32 v3, 0x80000000, v3
.LBB122_111:
	s_and_not1_saveexec_b32 s2, s2
	s_cbranch_execz .LBB122_113
; %bb.112:
	s_delay_alu instid0(VALU_DEP_1) | instskip(SKIP_1) | instid1(VALU_DEP_2)
	v_div_scale_f64 v[5:6], null, v[0:1], v[0:1], v[2:3]
	v_div_scale_f64 v[11:12], vcc_lo, v[2:3], v[0:1], v[2:3]
	v_rcp_f64_e32 v[7:8], v[5:6]
	s_waitcnt_depctr 0xfff
	v_fma_f64 v[9:10], -v[5:6], v[7:8], 1.0
	s_delay_alu instid0(VALU_DEP_1) | instskip(NEXT) | instid1(VALU_DEP_1)
	v_fma_f64 v[7:8], v[7:8], v[9:10], v[7:8]
	v_fma_f64 v[9:10], -v[5:6], v[7:8], 1.0
	s_delay_alu instid0(VALU_DEP_1) | instskip(NEXT) | instid1(VALU_DEP_1)
	v_fma_f64 v[7:8], v[7:8], v[9:10], v[7:8]
	v_mul_f64 v[9:10], v[11:12], v[7:8]
	s_delay_alu instid0(VALU_DEP_1) | instskip(NEXT) | instid1(VALU_DEP_1)
	v_fma_f64 v[5:6], -v[5:6], v[9:10], v[11:12]
	v_div_fmas_f64 v[5:6], v[5:6], v[7:8], v[9:10]
	s_delay_alu instid0(VALU_DEP_1) | instskip(NEXT) | instid1(VALU_DEP_1)
	v_div_fixup_f64 v[5:6], v[5:6], v[0:1], v[2:3]
	v_fma_f64 v[0:1], v[2:3], v[5:6], v[0:1]
	s_delay_alu instid0(VALU_DEP_1) | instskip(NEXT) | instid1(VALU_DEP_1)
	v_div_scale_f64 v[2:3], null, v[0:1], v[0:1], 1.0
	v_rcp_f64_e32 v[7:8], v[2:3]
	s_waitcnt_depctr 0xfff
	v_fma_f64 v[9:10], -v[2:3], v[7:8], 1.0
	s_delay_alu instid0(VALU_DEP_1) | instskip(NEXT) | instid1(VALU_DEP_1)
	v_fma_f64 v[7:8], v[7:8], v[9:10], v[7:8]
	v_fma_f64 v[9:10], -v[2:3], v[7:8], 1.0
	s_delay_alu instid0(VALU_DEP_1) | instskip(SKIP_1) | instid1(VALU_DEP_1)
	v_fma_f64 v[7:8], v[7:8], v[9:10], v[7:8]
	v_div_scale_f64 v[9:10], vcc_lo, 1.0, v[0:1], 1.0
	v_mul_f64 v[11:12], v[9:10], v[7:8]
	s_delay_alu instid0(VALU_DEP_1) | instskip(NEXT) | instid1(VALU_DEP_1)
	v_fma_f64 v[2:3], -v[2:3], v[11:12], v[9:10]
	v_div_fmas_f64 v[2:3], v[2:3], v[7:8], v[11:12]
	s_delay_alu instid0(VALU_DEP_1) | instskip(NEXT) | instid1(VALU_DEP_1)
	v_div_fixup_f64 v[0:1], v[2:3], v[0:1], 1.0
	v_mul_f64 v[2:3], v[5:6], -v[0:1]
.LBB122_113:
	s_or_b32 exec_lo, exec_lo, s2
.LBB122_114:
	s_delay_alu instid0(SALU_CYCLE_1) | instskip(NEXT) | instid1(SALU_CYCLE_1)
	s_or_b32 exec_lo, exec_lo, s3
	s_mov_b32 s2, exec_lo
	v_cmpx_ne_u32_e64 v39, v4
	s_xor_b32 s2, exec_lo, s2
	s_cbranch_execz .LBB122_120
; %bb.115:
	s_mov_b32 s3, exec_lo
	v_cmpx_eq_u32_e32 4, v39
	s_cbranch_execz .LBB122_119
; %bb.116:
	v_cmp_ne_u32_e32 vcc_lo, 4, v4
	s_xor_b32 s6, s4, -1
	s_delay_alu instid0(SALU_CYCLE_1) | instskip(NEXT) | instid1(SALU_CYCLE_1)
	s_and_b32 s7, s6, vcc_lo
	s_and_saveexec_b32 s6, s7
	s_cbranch_execz .LBB122_118
; %bb.117:
	v_ashrrev_i32_e32 v5, 31, v4
	s_delay_alu instid0(VALU_DEP_1) | instskip(NEXT) | instid1(VALU_DEP_1)
	v_lshlrev_b64 v[5:6], 2, v[4:5]
	v_add_co_u32 v5, vcc_lo, v18, v5
	s_delay_alu instid0(VALU_DEP_2)
	v_add_co_ci_u32_e32 v6, vcc_lo, v19, v6, vcc_lo
	s_clause 0x1
	flat_load_b32 v7, v[5:6]
	flat_load_b32 v8, v[18:19] offset:16
	s_waitcnt vmcnt(1) lgkmcnt(1)
	flat_store_b32 v[18:19], v7 offset:16
	s_waitcnt vmcnt(0) lgkmcnt(1)
	flat_store_b32 v[5:6], v8
.LBB122_118:
	s_or_b32 exec_lo, exec_lo, s6
	v_mov_b32_e32 v39, v4
	v_mov_b32_e32 v38, v4
.LBB122_119:
	s_or_b32 exec_lo, exec_lo, s3
.LBB122_120:
	s_and_not1_saveexec_b32 s2, s2
	s_cbranch_execz .LBB122_124
; %bb.121:
	v_add3_u32 v4, v37, 0, 0x50
	v_mov_b32_e32 v5, 0
	s_mov_b32 s3, 0
	.p2align	6
.LBB122_122:                            ; =>This Inner Loop Header: Depth=1
	s_delay_alu instid0(VALU_DEP_1) | instskip(NEXT) | instid1(VALU_DEP_3)
	v_readfirstlane_b32 s6, v5
	v_add_nc_u32_e32 v14, s3, v4
	s_delay_alu instid0(VALU_DEP_2)
	s_add_i32 s6, s6, s3
	s_add_i32 s3, s3, 48
	;; [unrolled: 1-line block ×4, first 2 shown]
	s_addk_i32 s6, 0x70
	s_clause 0x2
	scratch_load_b128 v[6:9], off, s7
	scratch_load_b128 v[10:13], off, s9
	;; [unrolled: 1-line block ×3, first 2 shown]
	s_cmpk_eq_i32 s3, 0x390
	s_waitcnt vmcnt(2)
	ds_store_2addr_b64 v14, v[6:7], v[8:9] offset1:1
	s_waitcnt vmcnt(1)
	ds_store_2addr_b64 v14, v[10:11], v[12:13] offset0:2 offset1:3
	s_waitcnt vmcnt(0)
	ds_store_2addr_b64 v14, v[41:42], v[43:44] offset0:4 offset1:5
	s_cbranch_scc0 .LBB122_122
; %bb.123:
	v_mov_b32_e32 v39, 4
.LBB122_124:
	s_or_b32 exec_lo, exec_lo, s2
	s_delay_alu instid0(SALU_CYCLE_1)
	s_mov_b32 s2, exec_lo
	s_waitcnt lgkmcnt(0)
	s_waitcnt_vscnt null, 0x0
	s_barrier
	buffer_gl0_inv
	v_cmpx_lt_i32_e32 4, v39
	s_cbranch_execz .LBB122_127
; %bb.125:
	scratch_load_b128 v[4:7], off, off offset:64
	s_mov_b32 s3, 0
	s_waitcnt vmcnt(0)
	v_mul_f64 v[8:9], v[2:3], v[6:7]
	v_mul_f64 v[6:7], v[0:1], v[6:7]
	s_delay_alu instid0(VALU_DEP_2) | instskip(NEXT) | instid1(VALU_DEP_2)
	v_fma_f64 v[0:1], v[0:1], v[4:5], -v[8:9]
	v_fma_f64 v[2:3], v[2:3], v[4:5], v[6:7]
	v_add3_u32 v4, v37, 0, 0x50
	v_mov_b32_e32 v5, 0
	scratch_store_b128 off, v[0:3], off offset:64
.LBB122_126:                            ; =>This Inner Loop Header: Depth=1
	v_readfirstlane_b32 s6, v5
	v_add_nc_u32_e32 v14, s3, v4
	s_delay_alu instid0(VALU_DEP_2)
	s_add_i32 s6, s6, s3
	s_add_i32 s3, s3, 48
	;; [unrolled: 1-line block ×4, first 2 shown]
	s_addk_i32 s6, 0x70
	s_clause 0x2
	scratch_load_b128 v[6:9], off, s7
	scratch_load_b128 v[10:13], off, s9
	scratch_load_b128 v[41:44], off, s6
	ds_load_2addr_b64 v[45:48], v14 offset1:1
	ds_load_2addr_b64 v[53:56], v14 offset0:2 offset1:3
	ds_load_2addr_b64 v[61:64], v14 offset0:4 offset1:5
	s_cmpk_lg_i32 s3, 0x390
	s_waitcnt lgkmcnt(2)
	v_mul_f64 v[14:15], v[47:48], v[2:3]
	v_mul_f64 v[16:17], v[45:46], v[2:3]
	s_waitcnt lgkmcnt(1)
	v_mul_f64 v[49:50], v[55:56], v[2:3]
	v_mul_f64 v[57:58], v[53:54], v[2:3]
	;; [unrolled: 3-line block ×3, first 2 shown]
	v_fma_f64 v[14:15], v[45:46], v[0:1], -v[14:15]
	v_fma_f64 v[16:17], v[47:48], v[0:1], v[16:17]
	v_fma_f64 v[45:46], v[53:54], v[0:1], -v[49:50]
	v_fma_f64 v[47:48], v[55:56], v[0:1], v[57:58]
	;; [unrolled: 2-line block ×3, first 2 shown]
	s_waitcnt vmcnt(2)
	v_add_f64 v[6:7], v[6:7], -v[14:15]
	v_add_f64 v[8:9], v[8:9], -v[16:17]
	s_waitcnt vmcnt(1)
	v_add_f64 v[10:11], v[10:11], -v[45:46]
	v_add_f64 v[12:13], v[12:13], -v[47:48]
	;; [unrolled: 3-line block ×3, first 2 shown]
	s_clause 0x2
	scratch_store_b128 off, v[6:9], s7
	scratch_store_b128 off, v[10:13], s9
	;; [unrolled: 1-line block ×3, first 2 shown]
	s_cbranch_scc1 .LBB122_126
.LBB122_127:
	s_or_b32 exec_lo, exec_lo, s2
	s_waitcnt_vscnt null, 0x0
	s_barrier
	buffer_gl0_inv
	scratch_load_b128 v[0:3], v30, off
	v_lshl_add_u32 v4, v39, 4, v20
	s_cmp_lt_i32 s5, 7
	s_waitcnt vmcnt(0)
	ds_store_2addr_b64 v4, v[0:1], v[2:3] offset1:1
	s_waitcnt lgkmcnt(0)
	s_barrier
	buffer_gl0_inv
	ds_load_2addr_b64 v[0:3], v20 offset0:10 offset1:11
	v_mov_b32_e32 v4, 5
	s_cbranch_scc1 .LBB122_130
; %bb.128:
	v_add3_u32 v5, v37, 0, 0x60
	v_mov_b32_e32 v4, 5
	s_mov_b32 s6, 6
	s_set_inst_prefetch_distance 0x1
	.p2align	6
.LBB122_129:                            ; =>This Inner Loop Header: Depth=1
	ds_load_2addr_b64 v[6:9], v5 offset1:1
	s_waitcnt lgkmcnt(1)
	v_cmp_gt_f64_e32 vcc_lo, 0, v[0:1]
	v_xor_b32_e32 v10, 0x80000000, v1
	v_cmp_gt_f64_e64 s2, 0, v[2:3]
	v_xor_b32_e32 v12, 0x80000000, v3
	v_add_nc_u32_e32 v5, 16, v5
	s_waitcnt lgkmcnt(0)
	v_cmp_gt_f64_e64 s3, 0, v[6:7]
	v_mov_b32_e32 v14, v6
	v_dual_mov_b32 v16, v8 :: v_dual_cndmask_b32 v11, v1, v10
	v_xor_b32_e32 v10, 0x80000000, v7
	v_cndmask_b32_e64 v13, v3, v12, s2
	v_xor_b32_e32 v12, 0x80000000, v9
	s_delay_alu instid0(VALU_DEP_3) | instskip(SKIP_2) | instid1(VALU_DEP_2)
	v_cndmask_b32_e64 v15, v7, v10, s3
	v_cmp_gt_f64_e64 s3, 0, v[8:9]
	v_cndmask_b32_e32 v10, v0, v0, vcc_lo
	v_cndmask_b32_e64 v17, v9, v12, s3
	v_cndmask_b32_e64 v12, v2, v2, s2
	s_delay_alu instid0(VALU_DEP_2) | instskip(NEXT) | instid1(VALU_DEP_2)
	v_add_f64 v[14:15], v[14:15], v[16:17]
	v_add_f64 v[10:11], v[10:11], v[12:13]
	s_delay_alu instid0(VALU_DEP_1)
	v_cmp_lt_f64_e32 vcc_lo, v[10:11], v[14:15]
	v_cndmask_b32_e32 v3, v3, v9, vcc_lo
	v_dual_cndmask_b32 v1, v1, v7 :: v_dual_cndmask_b32 v0, v0, v6
	v_cndmask_b32_e32 v2, v2, v8, vcc_lo
	v_cndmask_b32_e64 v4, v4, s6, vcc_lo
	s_add_i32 s6, s6, 1
	s_delay_alu instid0(SALU_CYCLE_1)
	s_cmp_lg_u32 s5, s6
	s_cbranch_scc1 .LBB122_129
.LBB122_130:
	s_set_inst_prefetch_distance 0x2
	s_waitcnt lgkmcnt(0)
	v_cmp_eq_f64_e32 vcc_lo, 0, v[0:1]
	v_cmp_eq_f64_e64 s2, 0, v[2:3]
	s_delay_alu instid0(VALU_DEP_1) | instskip(NEXT) | instid1(SALU_CYCLE_1)
	s_and_b32 s2, vcc_lo, s2
	s_and_saveexec_b32 s3, s2
	s_delay_alu instid0(SALU_CYCLE_1)
	s_xor_b32 s2, exec_lo, s3
; %bb.131:
	v_cmp_ne_u32_e32 vcc_lo, 0, v35
	v_cndmask_b32_e32 v35, 6, v35, vcc_lo
; %bb.132:
	s_and_not1_saveexec_b32 s3, s2
	s_cbranch_execz .LBB122_138
; %bb.133:
	v_cmp_gt_f64_e32 vcc_lo, 0, v[0:1]
	v_cmp_gt_f64_e64 s2, 0, v[2:3]
	v_xor_b32_e32 v5, 0x80000000, v1
	v_xor_b32_e32 v7, 0x80000000, v3
	s_delay_alu instid0(VALU_DEP_2) | instskip(NEXT) | instid1(VALU_DEP_2)
	v_dual_cndmask_b32 v6, v1, v5 :: v_dual_cndmask_b32 v5, v0, v0
	v_cndmask_b32_e64 v8, v3, v7, s2
	v_cndmask_b32_e64 v7, v2, v2, s2
	s_mov_b32 s2, exec_lo
	s_delay_alu instid0(VALU_DEP_1)
	v_cmpx_ngt_f64_e32 v[5:6], v[7:8]
	s_xor_b32 s2, exec_lo, s2
	s_cbranch_execz .LBB122_135
; %bb.134:
	v_div_scale_f64 v[5:6], null, v[2:3], v[2:3], v[0:1]
	v_div_scale_f64 v[11:12], vcc_lo, v[0:1], v[2:3], v[0:1]
	s_delay_alu instid0(VALU_DEP_2) | instskip(SKIP_2) | instid1(VALU_DEP_1)
	v_rcp_f64_e32 v[7:8], v[5:6]
	s_waitcnt_depctr 0xfff
	v_fma_f64 v[9:10], -v[5:6], v[7:8], 1.0
	v_fma_f64 v[7:8], v[7:8], v[9:10], v[7:8]
	s_delay_alu instid0(VALU_DEP_1) | instskip(NEXT) | instid1(VALU_DEP_1)
	v_fma_f64 v[9:10], -v[5:6], v[7:8], 1.0
	v_fma_f64 v[7:8], v[7:8], v[9:10], v[7:8]
	s_delay_alu instid0(VALU_DEP_1) | instskip(NEXT) | instid1(VALU_DEP_1)
	v_mul_f64 v[9:10], v[11:12], v[7:8]
	v_fma_f64 v[5:6], -v[5:6], v[9:10], v[11:12]
	s_delay_alu instid0(VALU_DEP_1) | instskip(NEXT) | instid1(VALU_DEP_1)
	v_div_fmas_f64 v[5:6], v[5:6], v[7:8], v[9:10]
	v_div_fixup_f64 v[5:6], v[5:6], v[2:3], v[0:1]
	s_delay_alu instid0(VALU_DEP_1) | instskip(NEXT) | instid1(VALU_DEP_1)
	v_fma_f64 v[0:1], v[0:1], v[5:6], v[2:3]
	v_div_scale_f64 v[2:3], null, v[0:1], v[0:1], 1.0
	s_delay_alu instid0(VALU_DEP_1) | instskip(SKIP_2) | instid1(VALU_DEP_1)
	v_rcp_f64_e32 v[7:8], v[2:3]
	s_waitcnt_depctr 0xfff
	v_fma_f64 v[9:10], -v[2:3], v[7:8], 1.0
	v_fma_f64 v[7:8], v[7:8], v[9:10], v[7:8]
	s_delay_alu instid0(VALU_DEP_1) | instskip(NEXT) | instid1(VALU_DEP_1)
	v_fma_f64 v[9:10], -v[2:3], v[7:8], 1.0
	v_fma_f64 v[7:8], v[7:8], v[9:10], v[7:8]
	v_div_scale_f64 v[9:10], vcc_lo, 1.0, v[0:1], 1.0
	s_delay_alu instid0(VALU_DEP_1) | instskip(NEXT) | instid1(VALU_DEP_1)
	v_mul_f64 v[11:12], v[9:10], v[7:8]
	v_fma_f64 v[2:3], -v[2:3], v[11:12], v[9:10]
	s_delay_alu instid0(VALU_DEP_1) | instskip(NEXT) | instid1(VALU_DEP_1)
	v_div_fmas_f64 v[2:3], v[2:3], v[7:8], v[11:12]
	v_div_fixup_f64 v[2:3], v[2:3], v[0:1], 1.0
	s_delay_alu instid0(VALU_DEP_1)
	v_mul_f64 v[0:1], v[5:6], v[2:3]
	v_xor_b32_e32 v3, 0x80000000, v3
.LBB122_135:
	s_and_not1_saveexec_b32 s2, s2
	s_cbranch_execz .LBB122_137
; %bb.136:
	s_delay_alu instid0(VALU_DEP_1) | instskip(SKIP_1) | instid1(VALU_DEP_2)
	v_div_scale_f64 v[5:6], null, v[0:1], v[0:1], v[2:3]
	v_div_scale_f64 v[11:12], vcc_lo, v[2:3], v[0:1], v[2:3]
	v_rcp_f64_e32 v[7:8], v[5:6]
	s_waitcnt_depctr 0xfff
	v_fma_f64 v[9:10], -v[5:6], v[7:8], 1.0
	s_delay_alu instid0(VALU_DEP_1) | instskip(NEXT) | instid1(VALU_DEP_1)
	v_fma_f64 v[7:8], v[7:8], v[9:10], v[7:8]
	v_fma_f64 v[9:10], -v[5:6], v[7:8], 1.0
	s_delay_alu instid0(VALU_DEP_1) | instskip(NEXT) | instid1(VALU_DEP_1)
	v_fma_f64 v[7:8], v[7:8], v[9:10], v[7:8]
	v_mul_f64 v[9:10], v[11:12], v[7:8]
	s_delay_alu instid0(VALU_DEP_1) | instskip(NEXT) | instid1(VALU_DEP_1)
	v_fma_f64 v[5:6], -v[5:6], v[9:10], v[11:12]
	v_div_fmas_f64 v[5:6], v[5:6], v[7:8], v[9:10]
	s_delay_alu instid0(VALU_DEP_1) | instskip(NEXT) | instid1(VALU_DEP_1)
	v_div_fixup_f64 v[5:6], v[5:6], v[0:1], v[2:3]
	v_fma_f64 v[0:1], v[2:3], v[5:6], v[0:1]
	s_delay_alu instid0(VALU_DEP_1) | instskip(NEXT) | instid1(VALU_DEP_1)
	v_div_scale_f64 v[2:3], null, v[0:1], v[0:1], 1.0
	v_rcp_f64_e32 v[7:8], v[2:3]
	s_waitcnt_depctr 0xfff
	v_fma_f64 v[9:10], -v[2:3], v[7:8], 1.0
	s_delay_alu instid0(VALU_DEP_1) | instskip(NEXT) | instid1(VALU_DEP_1)
	v_fma_f64 v[7:8], v[7:8], v[9:10], v[7:8]
	v_fma_f64 v[9:10], -v[2:3], v[7:8], 1.0
	s_delay_alu instid0(VALU_DEP_1) | instskip(SKIP_1) | instid1(VALU_DEP_1)
	v_fma_f64 v[7:8], v[7:8], v[9:10], v[7:8]
	v_div_scale_f64 v[9:10], vcc_lo, 1.0, v[0:1], 1.0
	v_mul_f64 v[11:12], v[9:10], v[7:8]
	s_delay_alu instid0(VALU_DEP_1) | instskip(NEXT) | instid1(VALU_DEP_1)
	v_fma_f64 v[2:3], -v[2:3], v[11:12], v[9:10]
	v_div_fmas_f64 v[2:3], v[2:3], v[7:8], v[11:12]
	s_delay_alu instid0(VALU_DEP_1) | instskip(NEXT) | instid1(VALU_DEP_1)
	v_div_fixup_f64 v[0:1], v[2:3], v[0:1], 1.0
	v_mul_f64 v[2:3], v[5:6], -v[0:1]
.LBB122_137:
	s_or_b32 exec_lo, exec_lo, s2
.LBB122_138:
	s_delay_alu instid0(SALU_CYCLE_1) | instskip(NEXT) | instid1(SALU_CYCLE_1)
	s_or_b32 exec_lo, exec_lo, s3
	s_mov_b32 s2, exec_lo
	v_cmpx_ne_u32_e64 v39, v4
	s_xor_b32 s2, exec_lo, s2
	s_cbranch_execz .LBB122_144
; %bb.139:
	s_mov_b32 s3, exec_lo
	v_cmpx_eq_u32_e32 5, v39
	s_cbranch_execz .LBB122_143
; %bb.140:
	v_cmp_ne_u32_e32 vcc_lo, 5, v4
	s_xor_b32 s6, s4, -1
	s_delay_alu instid0(SALU_CYCLE_1) | instskip(NEXT) | instid1(SALU_CYCLE_1)
	s_and_b32 s7, s6, vcc_lo
	s_and_saveexec_b32 s6, s7
	s_cbranch_execz .LBB122_142
; %bb.141:
	v_ashrrev_i32_e32 v5, 31, v4
	s_delay_alu instid0(VALU_DEP_1) | instskip(NEXT) | instid1(VALU_DEP_1)
	v_lshlrev_b64 v[5:6], 2, v[4:5]
	v_add_co_u32 v5, vcc_lo, v18, v5
	s_delay_alu instid0(VALU_DEP_2)
	v_add_co_ci_u32_e32 v6, vcc_lo, v19, v6, vcc_lo
	s_clause 0x1
	flat_load_b32 v7, v[5:6]
	flat_load_b32 v8, v[18:19] offset:20
	s_waitcnt vmcnt(1) lgkmcnt(1)
	flat_store_b32 v[18:19], v7 offset:20
	s_waitcnt vmcnt(0) lgkmcnt(1)
	flat_store_b32 v[5:6], v8
.LBB122_142:
	s_or_b32 exec_lo, exec_lo, s6
	v_mov_b32_e32 v39, v4
	v_mov_b32_e32 v38, v4
.LBB122_143:
	s_or_b32 exec_lo, exec_lo, s3
.LBB122_144:
	s_and_not1_saveexec_b32 s2, s2
	s_cbranch_execz .LBB122_148
; %bb.145:
	v_add3_u32 v4, v37, 0, 0x60
	v_mov_b32_e32 v5, 0
	s_mov_b32 s3, 0
.LBB122_146:                            ; =>This Inner Loop Header: Depth=1
	s_delay_alu instid0(VALU_DEP_1) | instskip(NEXT) | instid1(VALU_DEP_3)
	v_readfirstlane_b32 s6, v5
	v_add_nc_u32_e32 v14, s3, v4
	s_delay_alu instid0(VALU_DEP_2)
	s_add_i32 s6, s6, s3
	s_addk_i32 s3, 0xe0
	s_add_i32 s7, s6, 0x60
	s_add_i32 s9, s6, 0x70
	;; [unrolled: 1-line block ×13, first 2 shown]
	s_addk_i32 s6, 0x130
	s_clause 0xd
	scratch_load_b128 v[6:9], off, s7
	scratch_load_b128 v[10:13], off, s9
	;; [unrolled: 1-line block ×14, first 2 shown]
	s_cmpk_eq_i32 s3, 0x380
	s_waitcnt vmcnt(13)
	ds_store_2addr_b64 v14, v[6:7], v[8:9] offset1:1
	s_waitcnt vmcnt(12)
	ds_store_2addr_b64 v14, v[10:11], v[12:13] offset0:2 offset1:3
	s_waitcnt vmcnt(11)
	ds_store_2addr_b64 v14, v[41:42], v[43:44] offset0:4 offset1:5
	;; [unrolled: 2-line block ×13, first 2 shown]
	s_cbranch_scc0 .LBB122_146
; %bb.147:
	v_mov_b32_e32 v39, 5
.LBB122_148:
	s_or_b32 exec_lo, exec_lo, s2
	s_delay_alu instid0(SALU_CYCLE_1)
	s_mov_b32 s2, exec_lo
	s_waitcnt lgkmcnt(0)
	s_waitcnt_vscnt null, 0x0
	s_barrier
	buffer_gl0_inv
	v_cmpx_lt_i32_e32 5, v39
	s_cbranch_execz .LBB122_151
; %bb.149:
	scratch_load_b128 v[4:7], off, off offset:80
	s_mov_b32 s3, 0
	s_waitcnt vmcnt(0)
	v_mul_f64 v[8:9], v[2:3], v[6:7]
	v_mul_f64 v[6:7], v[0:1], v[6:7]
	s_delay_alu instid0(VALU_DEP_2) | instskip(NEXT) | instid1(VALU_DEP_2)
	v_fma_f64 v[0:1], v[0:1], v[4:5], -v[8:9]
	v_fma_f64 v[2:3], v[2:3], v[4:5], v[6:7]
	v_add3_u32 v4, v37, 0, 0x60
	v_mov_b32_e32 v5, 0
	scratch_store_b128 off, v[0:3], off offset:80
.LBB122_150:                            ; =>This Inner Loop Header: Depth=1
	v_readfirstlane_b32 s6, v5
	v_add_nc_u32_e32 v14, s3, v4
	s_delay_alu instid0(VALU_DEP_2)
	s_add_i32 s12, s6, s3
	s_addk_i32 s3, 0x70
	s_add_i32 s6, s12, 0x60
	s_add_i32 s7, s12, 0x70
	;; [unrolled: 1-line block ×6, first 2 shown]
	s_addk_i32 s12, 0xc0
	s_clause 0x6
	scratch_load_b128 v[6:9], off, s6
	scratch_load_b128 v[10:13], off, s7
	;; [unrolled: 1-line block ×7, first 2 shown]
	ds_load_2addr_b64 v[77:80], v14 offset1:1
	ds_load_2addr_b64 v[126:129], v14 offset0:2 offset1:3
	ds_load_2addr_b64 v[137:140], v14 offset0:4 offset1:5
	;; [unrolled: 1-line block ×6, first 2 shown]
	s_cmpk_lg_i32 s3, 0x380
	s_waitcnt lgkmcnt(6)
	v_mul_f64 v[14:15], v[79:80], v[2:3]
	v_mul_f64 v[16:17], v[77:78], v[2:3]
	s_waitcnt lgkmcnt(5)
	v_mul_f64 v[49:50], v[128:129], v[2:3]
	v_mul_f64 v[57:58], v[126:127], v[2:3]
	;; [unrolled: 3-line block ×7, first 2 shown]
	v_fma_f64 v[14:15], v[77:78], v[0:1], -v[14:15]
	v_fma_f64 v[16:17], v[79:80], v[0:1], v[16:17]
	v_fma_f64 v[49:50], v[126:127], v[0:1], -v[49:50]
	v_fma_f64 v[57:58], v[128:129], v[0:1], v[57:58]
	;; [unrolled: 2-line block ×7, first 2 shown]
	s_waitcnt vmcnt(6)
	v_add_f64 v[6:7], v[6:7], -v[14:15]
	v_add_f64 v[8:9], v[8:9], -v[16:17]
	s_waitcnt vmcnt(5)
	v_add_f64 v[10:11], v[10:11], -v[49:50]
	v_add_f64 v[12:13], v[12:13], -v[57:58]
	;; [unrolled: 3-line block ×7, first 2 shown]
	s_clause 0x6
	scratch_store_b128 off, v[6:9], s6
	scratch_store_b128 off, v[10:13], s7
	;; [unrolled: 1-line block ×7, first 2 shown]
	s_cbranch_scc1 .LBB122_150
.LBB122_151:
	s_or_b32 exec_lo, exec_lo, s2
	s_waitcnt_vscnt null, 0x0
	s_barrier
	buffer_gl0_inv
	scratch_load_b128 v[0:3], v29, off
	v_lshl_add_u32 v4, v39, 4, v20
	s_cmp_lt_i32 s5, 8
	s_waitcnt vmcnt(0)
	ds_store_2addr_b64 v4, v[0:1], v[2:3] offset1:1
	s_waitcnt lgkmcnt(0)
	s_barrier
	buffer_gl0_inv
	ds_load_2addr_b64 v[0:3], v20 offset0:12 offset1:13
	v_mov_b32_e32 v4, 6
	s_cbranch_scc1 .LBB122_154
; %bb.152:
	v_add3_u32 v5, v37, 0, 0x70
	v_mov_b32_e32 v4, 6
	s_mov_b32 s6, 7
	s_set_inst_prefetch_distance 0x1
	.p2align	6
.LBB122_153:                            ; =>This Inner Loop Header: Depth=1
	ds_load_2addr_b64 v[6:9], v5 offset1:1
	s_waitcnt lgkmcnt(1)
	v_cmp_gt_f64_e32 vcc_lo, 0, v[0:1]
	v_xor_b32_e32 v10, 0x80000000, v1
	v_cmp_gt_f64_e64 s2, 0, v[2:3]
	v_xor_b32_e32 v12, 0x80000000, v3
	v_add_nc_u32_e32 v5, 16, v5
	s_waitcnt lgkmcnt(0)
	v_cmp_gt_f64_e64 s3, 0, v[6:7]
	v_mov_b32_e32 v14, v6
	v_dual_mov_b32 v16, v8 :: v_dual_cndmask_b32 v11, v1, v10
	v_xor_b32_e32 v10, 0x80000000, v7
	v_cndmask_b32_e64 v13, v3, v12, s2
	v_xor_b32_e32 v12, 0x80000000, v9
	s_delay_alu instid0(VALU_DEP_3) | instskip(SKIP_2) | instid1(VALU_DEP_2)
	v_cndmask_b32_e64 v15, v7, v10, s3
	v_cmp_gt_f64_e64 s3, 0, v[8:9]
	v_cndmask_b32_e32 v10, v0, v0, vcc_lo
	v_cndmask_b32_e64 v17, v9, v12, s3
	v_cndmask_b32_e64 v12, v2, v2, s2
	s_delay_alu instid0(VALU_DEP_2) | instskip(NEXT) | instid1(VALU_DEP_2)
	v_add_f64 v[14:15], v[14:15], v[16:17]
	v_add_f64 v[10:11], v[10:11], v[12:13]
	s_delay_alu instid0(VALU_DEP_1)
	v_cmp_lt_f64_e32 vcc_lo, v[10:11], v[14:15]
	v_cndmask_b32_e32 v3, v3, v9, vcc_lo
	v_dual_cndmask_b32 v1, v1, v7 :: v_dual_cndmask_b32 v0, v0, v6
	v_cndmask_b32_e32 v2, v2, v8, vcc_lo
	v_cndmask_b32_e64 v4, v4, s6, vcc_lo
	s_add_i32 s6, s6, 1
	s_delay_alu instid0(SALU_CYCLE_1)
	s_cmp_lg_u32 s5, s6
	s_cbranch_scc1 .LBB122_153
.LBB122_154:
	s_set_inst_prefetch_distance 0x2
	s_waitcnt lgkmcnt(0)
	v_cmp_eq_f64_e32 vcc_lo, 0, v[0:1]
	v_cmp_eq_f64_e64 s2, 0, v[2:3]
	s_delay_alu instid0(VALU_DEP_1) | instskip(NEXT) | instid1(SALU_CYCLE_1)
	s_and_b32 s2, vcc_lo, s2
	s_and_saveexec_b32 s3, s2
	s_delay_alu instid0(SALU_CYCLE_1)
	s_xor_b32 s2, exec_lo, s3
; %bb.155:
	v_cmp_ne_u32_e32 vcc_lo, 0, v35
	v_cndmask_b32_e32 v35, 7, v35, vcc_lo
; %bb.156:
	s_and_not1_saveexec_b32 s3, s2
	s_cbranch_execz .LBB122_162
; %bb.157:
	v_cmp_gt_f64_e32 vcc_lo, 0, v[0:1]
	v_cmp_gt_f64_e64 s2, 0, v[2:3]
	v_xor_b32_e32 v5, 0x80000000, v1
	v_xor_b32_e32 v7, 0x80000000, v3
	s_delay_alu instid0(VALU_DEP_2) | instskip(NEXT) | instid1(VALU_DEP_2)
	v_dual_cndmask_b32 v6, v1, v5 :: v_dual_cndmask_b32 v5, v0, v0
	v_cndmask_b32_e64 v8, v3, v7, s2
	v_cndmask_b32_e64 v7, v2, v2, s2
	s_mov_b32 s2, exec_lo
	s_delay_alu instid0(VALU_DEP_1)
	v_cmpx_ngt_f64_e32 v[5:6], v[7:8]
	s_xor_b32 s2, exec_lo, s2
	s_cbranch_execz .LBB122_159
; %bb.158:
	v_div_scale_f64 v[5:6], null, v[2:3], v[2:3], v[0:1]
	v_div_scale_f64 v[11:12], vcc_lo, v[0:1], v[2:3], v[0:1]
	s_delay_alu instid0(VALU_DEP_2) | instskip(SKIP_2) | instid1(VALU_DEP_1)
	v_rcp_f64_e32 v[7:8], v[5:6]
	s_waitcnt_depctr 0xfff
	v_fma_f64 v[9:10], -v[5:6], v[7:8], 1.0
	v_fma_f64 v[7:8], v[7:8], v[9:10], v[7:8]
	s_delay_alu instid0(VALU_DEP_1) | instskip(NEXT) | instid1(VALU_DEP_1)
	v_fma_f64 v[9:10], -v[5:6], v[7:8], 1.0
	v_fma_f64 v[7:8], v[7:8], v[9:10], v[7:8]
	s_delay_alu instid0(VALU_DEP_1) | instskip(NEXT) | instid1(VALU_DEP_1)
	v_mul_f64 v[9:10], v[11:12], v[7:8]
	v_fma_f64 v[5:6], -v[5:6], v[9:10], v[11:12]
	s_delay_alu instid0(VALU_DEP_1) | instskip(NEXT) | instid1(VALU_DEP_1)
	v_div_fmas_f64 v[5:6], v[5:6], v[7:8], v[9:10]
	v_div_fixup_f64 v[5:6], v[5:6], v[2:3], v[0:1]
	s_delay_alu instid0(VALU_DEP_1) | instskip(NEXT) | instid1(VALU_DEP_1)
	v_fma_f64 v[0:1], v[0:1], v[5:6], v[2:3]
	v_div_scale_f64 v[2:3], null, v[0:1], v[0:1], 1.0
	s_delay_alu instid0(VALU_DEP_1) | instskip(SKIP_2) | instid1(VALU_DEP_1)
	v_rcp_f64_e32 v[7:8], v[2:3]
	s_waitcnt_depctr 0xfff
	v_fma_f64 v[9:10], -v[2:3], v[7:8], 1.0
	v_fma_f64 v[7:8], v[7:8], v[9:10], v[7:8]
	s_delay_alu instid0(VALU_DEP_1) | instskip(NEXT) | instid1(VALU_DEP_1)
	v_fma_f64 v[9:10], -v[2:3], v[7:8], 1.0
	v_fma_f64 v[7:8], v[7:8], v[9:10], v[7:8]
	v_div_scale_f64 v[9:10], vcc_lo, 1.0, v[0:1], 1.0
	s_delay_alu instid0(VALU_DEP_1) | instskip(NEXT) | instid1(VALU_DEP_1)
	v_mul_f64 v[11:12], v[9:10], v[7:8]
	v_fma_f64 v[2:3], -v[2:3], v[11:12], v[9:10]
	s_delay_alu instid0(VALU_DEP_1) | instskip(NEXT) | instid1(VALU_DEP_1)
	v_div_fmas_f64 v[2:3], v[2:3], v[7:8], v[11:12]
	v_div_fixup_f64 v[2:3], v[2:3], v[0:1], 1.0
	s_delay_alu instid0(VALU_DEP_1)
	v_mul_f64 v[0:1], v[5:6], v[2:3]
	v_xor_b32_e32 v3, 0x80000000, v3
.LBB122_159:
	s_and_not1_saveexec_b32 s2, s2
	s_cbranch_execz .LBB122_161
; %bb.160:
	s_delay_alu instid0(VALU_DEP_1) | instskip(SKIP_1) | instid1(VALU_DEP_2)
	v_div_scale_f64 v[5:6], null, v[0:1], v[0:1], v[2:3]
	v_div_scale_f64 v[11:12], vcc_lo, v[2:3], v[0:1], v[2:3]
	v_rcp_f64_e32 v[7:8], v[5:6]
	s_waitcnt_depctr 0xfff
	v_fma_f64 v[9:10], -v[5:6], v[7:8], 1.0
	s_delay_alu instid0(VALU_DEP_1) | instskip(NEXT) | instid1(VALU_DEP_1)
	v_fma_f64 v[7:8], v[7:8], v[9:10], v[7:8]
	v_fma_f64 v[9:10], -v[5:6], v[7:8], 1.0
	s_delay_alu instid0(VALU_DEP_1) | instskip(NEXT) | instid1(VALU_DEP_1)
	v_fma_f64 v[7:8], v[7:8], v[9:10], v[7:8]
	v_mul_f64 v[9:10], v[11:12], v[7:8]
	s_delay_alu instid0(VALU_DEP_1) | instskip(NEXT) | instid1(VALU_DEP_1)
	v_fma_f64 v[5:6], -v[5:6], v[9:10], v[11:12]
	v_div_fmas_f64 v[5:6], v[5:6], v[7:8], v[9:10]
	s_delay_alu instid0(VALU_DEP_1) | instskip(NEXT) | instid1(VALU_DEP_1)
	v_div_fixup_f64 v[5:6], v[5:6], v[0:1], v[2:3]
	v_fma_f64 v[0:1], v[2:3], v[5:6], v[0:1]
	s_delay_alu instid0(VALU_DEP_1) | instskip(NEXT) | instid1(VALU_DEP_1)
	v_div_scale_f64 v[2:3], null, v[0:1], v[0:1], 1.0
	v_rcp_f64_e32 v[7:8], v[2:3]
	s_waitcnt_depctr 0xfff
	v_fma_f64 v[9:10], -v[2:3], v[7:8], 1.0
	s_delay_alu instid0(VALU_DEP_1) | instskip(NEXT) | instid1(VALU_DEP_1)
	v_fma_f64 v[7:8], v[7:8], v[9:10], v[7:8]
	v_fma_f64 v[9:10], -v[2:3], v[7:8], 1.0
	s_delay_alu instid0(VALU_DEP_1) | instskip(SKIP_1) | instid1(VALU_DEP_1)
	v_fma_f64 v[7:8], v[7:8], v[9:10], v[7:8]
	v_div_scale_f64 v[9:10], vcc_lo, 1.0, v[0:1], 1.0
	v_mul_f64 v[11:12], v[9:10], v[7:8]
	s_delay_alu instid0(VALU_DEP_1) | instskip(NEXT) | instid1(VALU_DEP_1)
	v_fma_f64 v[2:3], -v[2:3], v[11:12], v[9:10]
	v_div_fmas_f64 v[2:3], v[2:3], v[7:8], v[11:12]
	s_delay_alu instid0(VALU_DEP_1) | instskip(NEXT) | instid1(VALU_DEP_1)
	v_div_fixup_f64 v[0:1], v[2:3], v[0:1], 1.0
	v_mul_f64 v[2:3], v[5:6], -v[0:1]
.LBB122_161:
	s_or_b32 exec_lo, exec_lo, s2
.LBB122_162:
	s_delay_alu instid0(SALU_CYCLE_1) | instskip(NEXT) | instid1(SALU_CYCLE_1)
	s_or_b32 exec_lo, exec_lo, s3
	s_mov_b32 s2, exec_lo
	v_cmpx_ne_u32_e64 v39, v4
	s_xor_b32 s2, exec_lo, s2
	s_cbranch_execz .LBB122_168
; %bb.163:
	s_mov_b32 s3, exec_lo
	v_cmpx_eq_u32_e32 6, v39
	s_cbranch_execz .LBB122_167
; %bb.164:
	v_cmp_ne_u32_e32 vcc_lo, 6, v4
	s_xor_b32 s6, s4, -1
	s_delay_alu instid0(SALU_CYCLE_1) | instskip(NEXT) | instid1(SALU_CYCLE_1)
	s_and_b32 s7, s6, vcc_lo
	s_and_saveexec_b32 s6, s7
	s_cbranch_execz .LBB122_166
; %bb.165:
	v_ashrrev_i32_e32 v5, 31, v4
	s_delay_alu instid0(VALU_DEP_1) | instskip(NEXT) | instid1(VALU_DEP_1)
	v_lshlrev_b64 v[5:6], 2, v[4:5]
	v_add_co_u32 v5, vcc_lo, v18, v5
	s_delay_alu instid0(VALU_DEP_2)
	v_add_co_ci_u32_e32 v6, vcc_lo, v19, v6, vcc_lo
	s_clause 0x1
	flat_load_b32 v7, v[5:6]
	flat_load_b32 v8, v[18:19] offset:24
	s_waitcnt vmcnt(1) lgkmcnt(1)
	flat_store_b32 v[18:19], v7 offset:24
	s_waitcnt vmcnt(0) lgkmcnt(1)
	flat_store_b32 v[5:6], v8
.LBB122_166:
	s_or_b32 exec_lo, exec_lo, s6
	v_mov_b32_e32 v39, v4
	v_mov_b32_e32 v38, v4
.LBB122_167:
	s_or_b32 exec_lo, exec_lo, s3
.LBB122_168:
	s_and_not1_saveexec_b32 s2, s2
	s_cbranch_execz .LBB122_172
; %bb.169:
	v_add3_u32 v4, v37, 0, 0x70
	v_mov_b32_e32 v5, 0
	s_mov_b32 s3, 0
.LBB122_170:                            ; =>This Inner Loop Header: Depth=1
	s_delay_alu instid0(VALU_DEP_1) | instskip(NEXT) | instid1(VALU_DEP_3)
	v_readfirstlane_b32 s6, v5
	v_add_nc_u32_e32 v14, s3, v4
	s_delay_alu instid0(VALU_DEP_2)
	s_add_i32 s6, s6, s3
	s_addk_i32 s3, 0xb0
	s_add_i32 s7, s6, 0x70
	s_add_i32 s9, s6, 0x80
	;; [unrolled: 1-line block ×10, first 2 shown]
	s_addk_i32 s6, 0x110
	s_clause 0xa
	scratch_load_b128 v[6:9], off, s7
	scratch_load_b128 v[10:13], off, s9
	;; [unrolled: 1-line block ×11, first 2 shown]
	s_cmpk_eq_i32 s3, 0x370
	s_waitcnt vmcnt(10)
	ds_store_2addr_b64 v14, v[6:7], v[8:9] offset1:1
	s_waitcnt vmcnt(9)
	ds_store_2addr_b64 v14, v[10:11], v[12:13] offset0:2 offset1:3
	s_waitcnt vmcnt(8)
	ds_store_2addr_b64 v14, v[41:42], v[43:44] offset0:4 offset1:5
	s_waitcnt vmcnt(7)
	ds_store_2addr_b64 v14, v[45:46], v[47:48] offset0:6 offset1:7
	s_waitcnt vmcnt(6)
	ds_store_2addr_b64 v14, v[53:54], v[55:56] offset0:8 offset1:9
	s_waitcnt vmcnt(5)
	ds_store_2addr_b64 v14, v[61:62], v[63:64] offset0:10 offset1:11
	s_waitcnt vmcnt(4)
	ds_store_2addr_b64 v14, v[69:70], v[71:72] offset0:12 offset1:13
	s_waitcnt vmcnt(3)
	ds_store_2addr_b64 v14, v[77:78], v[79:80] offset0:14 offset1:15
	s_waitcnt vmcnt(2)
	ds_store_2addr_b64 v14, v[126:127], v[128:129] offset0:16 offset1:17
	s_waitcnt vmcnt(1)
	ds_store_2addr_b64 v14, v[137:138], v[139:140] offset0:18 offset1:19
	s_waitcnt vmcnt(0)
	ds_store_2addr_b64 v14, v[171:172], v[173:174] offset0:20 offset1:21
	s_cbranch_scc0 .LBB122_170
; %bb.171:
	v_mov_b32_e32 v39, 6
.LBB122_172:
	s_or_b32 exec_lo, exec_lo, s2
	s_delay_alu instid0(SALU_CYCLE_1)
	s_mov_b32 s2, exec_lo
	s_waitcnt lgkmcnt(0)
	s_waitcnt_vscnt null, 0x0
	s_barrier
	buffer_gl0_inv
	v_cmpx_lt_i32_e32 6, v39
	s_cbranch_execz .LBB122_175
; %bb.173:
	scratch_load_b128 v[4:7], off, off offset:96
	s_mov_b32 s3, 0
	s_waitcnt vmcnt(0)
	v_mul_f64 v[8:9], v[2:3], v[6:7]
	v_mul_f64 v[6:7], v[0:1], v[6:7]
	s_delay_alu instid0(VALU_DEP_2) | instskip(NEXT) | instid1(VALU_DEP_2)
	v_fma_f64 v[0:1], v[0:1], v[4:5], -v[8:9]
	v_fma_f64 v[2:3], v[2:3], v[4:5], v[6:7]
	v_add3_u32 v4, v37, 0, 0x70
	v_mov_b32_e32 v5, 0
	scratch_store_b128 off, v[0:3], off offset:96
.LBB122_174:                            ; =>This Inner Loop Header: Depth=1
	v_readfirstlane_b32 s6, v5
	v_add_nc_u32_e32 v14, s3, v4
	s_delay_alu instid0(VALU_DEP_2)
	s_add_i32 s6, s6, s3
	s_addk_i32 s3, 0x50
	s_add_i32 s7, s6, 0x70
	s_add_i32 s9, s6, 0x80
	;; [unrolled: 1-line block ×4, first 2 shown]
	s_addk_i32 s6, 0xb0
	s_clause 0x4
	scratch_load_b128 v[6:9], off, s7
	scratch_load_b128 v[10:13], off, s9
	;; [unrolled: 1-line block ×5, first 2 shown]
	ds_load_2addr_b64 v[61:64], v14 offset1:1
	ds_load_2addr_b64 v[69:72], v14 offset0:2 offset1:3
	ds_load_2addr_b64 v[77:80], v14 offset0:4 offset1:5
	;; [unrolled: 1-line block ×4, first 2 shown]
	s_cmpk_lg_i32 s3, 0x370
	s_waitcnt lgkmcnt(4)
	v_mul_f64 v[14:15], v[63:64], v[2:3]
	v_mul_f64 v[16:17], v[61:62], v[2:3]
	s_waitcnt lgkmcnt(3)
	v_mul_f64 v[49:50], v[71:72], v[2:3]
	v_mul_f64 v[57:58], v[69:70], v[2:3]
	s_waitcnt lgkmcnt(2)
	v_mul_f64 v[65:66], v[79:80], v[2:3]
	v_mul_f64 v[73:74], v[77:78], v[2:3]
	s_waitcnt lgkmcnt(1)
	v_mul_f64 v[81:82], v[128:129], v[2:3]
	v_mul_f64 v[85:86], v[126:127], v[2:3]
	s_waitcnt lgkmcnt(0)
	v_mul_f64 v[87:88], v[139:140], v[2:3]
	v_mul_f64 v[89:90], v[137:138], v[2:3]
	v_fma_f64 v[14:15], v[61:62], v[0:1], -v[14:15]
	v_fma_f64 v[16:17], v[63:64], v[0:1], v[16:17]
	v_fma_f64 v[49:50], v[69:70], v[0:1], -v[49:50]
	v_fma_f64 v[57:58], v[71:72], v[0:1], v[57:58]
	;; [unrolled: 2-line block ×5, first 2 shown]
	s_waitcnt vmcnt(4)
	v_add_f64 v[6:7], v[6:7], -v[14:15]
	v_add_f64 v[8:9], v[8:9], -v[16:17]
	s_waitcnt vmcnt(3)
	v_add_f64 v[10:11], v[10:11], -v[49:50]
	v_add_f64 v[12:13], v[12:13], -v[57:58]
	;; [unrolled: 3-line block ×5, first 2 shown]
	s_clause 0x4
	scratch_store_b128 off, v[6:9], s7
	scratch_store_b128 off, v[10:13], s9
	;; [unrolled: 1-line block ×5, first 2 shown]
	s_cbranch_scc1 .LBB122_174
.LBB122_175:
	s_or_b32 exec_lo, exec_lo, s2
	s_waitcnt_vscnt null, 0x0
	s_barrier
	buffer_gl0_inv
	scratch_load_b128 v[0:3], v28, off
	v_lshl_add_u32 v4, v39, 4, v20
	s_cmp_lt_i32 s5, 9
	s_waitcnt vmcnt(0)
	ds_store_2addr_b64 v4, v[0:1], v[2:3] offset1:1
	s_waitcnt lgkmcnt(0)
	s_barrier
	buffer_gl0_inv
	ds_load_2addr_b64 v[0:3], v20 offset0:14 offset1:15
	v_mov_b32_e32 v4, 7
	s_cbranch_scc1 .LBB122_178
; %bb.176:
	v_add3_u32 v5, v37, 0, 0x80
	v_mov_b32_e32 v4, 7
	s_mov_b32 s6, 8
	s_set_inst_prefetch_distance 0x1
	.p2align	6
.LBB122_177:                            ; =>This Inner Loop Header: Depth=1
	ds_load_2addr_b64 v[6:9], v5 offset1:1
	s_waitcnt lgkmcnt(1)
	v_cmp_gt_f64_e32 vcc_lo, 0, v[0:1]
	v_xor_b32_e32 v10, 0x80000000, v1
	v_cmp_gt_f64_e64 s2, 0, v[2:3]
	v_xor_b32_e32 v12, 0x80000000, v3
	v_add_nc_u32_e32 v5, 16, v5
	s_waitcnt lgkmcnt(0)
	v_cmp_gt_f64_e64 s3, 0, v[6:7]
	v_mov_b32_e32 v14, v6
	v_dual_mov_b32 v16, v8 :: v_dual_cndmask_b32 v11, v1, v10
	v_xor_b32_e32 v10, 0x80000000, v7
	v_cndmask_b32_e64 v13, v3, v12, s2
	v_xor_b32_e32 v12, 0x80000000, v9
	s_delay_alu instid0(VALU_DEP_3) | instskip(SKIP_2) | instid1(VALU_DEP_2)
	v_cndmask_b32_e64 v15, v7, v10, s3
	v_cmp_gt_f64_e64 s3, 0, v[8:9]
	v_cndmask_b32_e32 v10, v0, v0, vcc_lo
	v_cndmask_b32_e64 v17, v9, v12, s3
	v_cndmask_b32_e64 v12, v2, v2, s2
	s_delay_alu instid0(VALU_DEP_2) | instskip(NEXT) | instid1(VALU_DEP_2)
	v_add_f64 v[14:15], v[14:15], v[16:17]
	v_add_f64 v[10:11], v[10:11], v[12:13]
	s_delay_alu instid0(VALU_DEP_1)
	v_cmp_lt_f64_e32 vcc_lo, v[10:11], v[14:15]
	v_cndmask_b32_e32 v3, v3, v9, vcc_lo
	v_dual_cndmask_b32 v1, v1, v7 :: v_dual_cndmask_b32 v0, v0, v6
	v_cndmask_b32_e32 v2, v2, v8, vcc_lo
	v_cndmask_b32_e64 v4, v4, s6, vcc_lo
	s_add_i32 s6, s6, 1
	s_delay_alu instid0(SALU_CYCLE_1)
	s_cmp_lg_u32 s5, s6
	s_cbranch_scc1 .LBB122_177
.LBB122_178:
	s_set_inst_prefetch_distance 0x2
	s_waitcnt lgkmcnt(0)
	v_cmp_eq_f64_e32 vcc_lo, 0, v[0:1]
	v_cmp_eq_f64_e64 s2, 0, v[2:3]
	s_delay_alu instid0(VALU_DEP_1) | instskip(NEXT) | instid1(SALU_CYCLE_1)
	s_and_b32 s2, vcc_lo, s2
	s_and_saveexec_b32 s3, s2
	s_delay_alu instid0(SALU_CYCLE_1)
	s_xor_b32 s2, exec_lo, s3
; %bb.179:
	v_cmp_ne_u32_e32 vcc_lo, 0, v35
	v_cndmask_b32_e32 v35, 8, v35, vcc_lo
; %bb.180:
	s_and_not1_saveexec_b32 s3, s2
	s_cbranch_execz .LBB122_186
; %bb.181:
	v_cmp_gt_f64_e32 vcc_lo, 0, v[0:1]
	v_cmp_gt_f64_e64 s2, 0, v[2:3]
	v_xor_b32_e32 v5, 0x80000000, v1
	v_xor_b32_e32 v7, 0x80000000, v3
	s_delay_alu instid0(VALU_DEP_2) | instskip(NEXT) | instid1(VALU_DEP_2)
	v_dual_cndmask_b32 v6, v1, v5 :: v_dual_cndmask_b32 v5, v0, v0
	v_cndmask_b32_e64 v8, v3, v7, s2
	v_cndmask_b32_e64 v7, v2, v2, s2
	s_mov_b32 s2, exec_lo
	s_delay_alu instid0(VALU_DEP_1)
	v_cmpx_ngt_f64_e32 v[5:6], v[7:8]
	s_xor_b32 s2, exec_lo, s2
	s_cbranch_execz .LBB122_183
; %bb.182:
	v_div_scale_f64 v[5:6], null, v[2:3], v[2:3], v[0:1]
	v_div_scale_f64 v[11:12], vcc_lo, v[0:1], v[2:3], v[0:1]
	s_delay_alu instid0(VALU_DEP_2) | instskip(SKIP_2) | instid1(VALU_DEP_1)
	v_rcp_f64_e32 v[7:8], v[5:6]
	s_waitcnt_depctr 0xfff
	v_fma_f64 v[9:10], -v[5:6], v[7:8], 1.0
	v_fma_f64 v[7:8], v[7:8], v[9:10], v[7:8]
	s_delay_alu instid0(VALU_DEP_1) | instskip(NEXT) | instid1(VALU_DEP_1)
	v_fma_f64 v[9:10], -v[5:6], v[7:8], 1.0
	v_fma_f64 v[7:8], v[7:8], v[9:10], v[7:8]
	s_delay_alu instid0(VALU_DEP_1) | instskip(NEXT) | instid1(VALU_DEP_1)
	v_mul_f64 v[9:10], v[11:12], v[7:8]
	v_fma_f64 v[5:6], -v[5:6], v[9:10], v[11:12]
	s_delay_alu instid0(VALU_DEP_1) | instskip(NEXT) | instid1(VALU_DEP_1)
	v_div_fmas_f64 v[5:6], v[5:6], v[7:8], v[9:10]
	v_div_fixup_f64 v[5:6], v[5:6], v[2:3], v[0:1]
	s_delay_alu instid0(VALU_DEP_1) | instskip(NEXT) | instid1(VALU_DEP_1)
	v_fma_f64 v[0:1], v[0:1], v[5:6], v[2:3]
	v_div_scale_f64 v[2:3], null, v[0:1], v[0:1], 1.0
	s_delay_alu instid0(VALU_DEP_1) | instskip(SKIP_2) | instid1(VALU_DEP_1)
	v_rcp_f64_e32 v[7:8], v[2:3]
	s_waitcnt_depctr 0xfff
	v_fma_f64 v[9:10], -v[2:3], v[7:8], 1.0
	v_fma_f64 v[7:8], v[7:8], v[9:10], v[7:8]
	s_delay_alu instid0(VALU_DEP_1) | instskip(NEXT) | instid1(VALU_DEP_1)
	v_fma_f64 v[9:10], -v[2:3], v[7:8], 1.0
	v_fma_f64 v[7:8], v[7:8], v[9:10], v[7:8]
	v_div_scale_f64 v[9:10], vcc_lo, 1.0, v[0:1], 1.0
	s_delay_alu instid0(VALU_DEP_1) | instskip(NEXT) | instid1(VALU_DEP_1)
	v_mul_f64 v[11:12], v[9:10], v[7:8]
	v_fma_f64 v[2:3], -v[2:3], v[11:12], v[9:10]
	s_delay_alu instid0(VALU_DEP_1) | instskip(NEXT) | instid1(VALU_DEP_1)
	v_div_fmas_f64 v[2:3], v[2:3], v[7:8], v[11:12]
	v_div_fixup_f64 v[2:3], v[2:3], v[0:1], 1.0
	s_delay_alu instid0(VALU_DEP_1)
	v_mul_f64 v[0:1], v[5:6], v[2:3]
	v_xor_b32_e32 v3, 0x80000000, v3
.LBB122_183:
	s_and_not1_saveexec_b32 s2, s2
	s_cbranch_execz .LBB122_185
; %bb.184:
	s_delay_alu instid0(VALU_DEP_1) | instskip(SKIP_1) | instid1(VALU_DEP_2)
	v_div_scale_f64 v[5:6], null, v[0:1], v[0:1], v[2:3]
	v_div_scale_f64 v[11:12], vcc_lo, v[2:3], v[0:1], v[2:3]
	v_rcp_f64_e32 v[7:8], v[5:6]
	s_waitcnt_depctr 0xfff
	v_fma_f64 v[9:10], -v[5:6], v[7:8], 1.0
	s_delay_alu instid0(VALU_DEP_1) | instskip(NEXT) | instid1(VALU_DEP_1)
	v_fma_f64 v[7:8], v[7:8], v[9:10], v[7:8]
	v_fma_f64 v[9:10], -v[5:6], v[7:8], 1.0
	s_delay_alu instid0(VALU_DEP_1) | instskip(NEXT) | instid1(VALU_DEP_1)
	v_fma_f64 v[7:8], v[7:8], v[9:10], v[7:8]
	v_mul_f64 v[9:10], v[11:12], v[7:8]
	s_delay_alu instid0(VALU_DEP_1) | instskip(NEXT) | instid1(VALU_DEP_1)
	v_fma_f64 v[5:6], -v[5:6], v[9:10], v[11:12]
	v_div_fmas_f64 v[5:6], v[5:6], v[7:8], v[9:10]
	s_delay_alu instid0(VALU_DEP_1) | instskip(NEXT) | instid1(VALU_DEP_1)
	v_div_fixup_f64 v[5:6], v[5:6], v[0:1], v[2:3]
	v_fma_f64 v[0:1], v[2:3], v[5:6], v[0:1]
	s_delay_alu instid0(VALU_DEP_1) | instskip(NEXT) | instid1(VALU_DEP_1)
	v_div_scale_f64 v[2:3], null, v[0:1], v[0:1], 1.0
	v_rcp_f64_e32 v[7:8], v[2:3]
	s_waitcnt_depctr 0xfff
	v_fma_f64 v[9:10], -v[2:3], v[7:8], 1.0
	s_delay_alu instid0(VALU_DEP_1) | instskip(NEXT) | instid1(VALU_DEP_1)
	v_fma_f64 v[7:8], v[7:8], v[9:10], v[7:8]
	v_fma_f64 v[9:10], -v[2:3], v[7:8], 1.0
	s_delay_alu instid0(VALU_DEP_1) | instskip(SKIP_1) | instid1(VALU_DEP_1)
	v_fma_f64 v[7:8], v[7:8], v[9:10], v[7:8]
	v_div_scale_f64 v[9:10], vcc_lo, 1.0, v[0:1], 1.0
	v_mul_f64 v[11:12], v[9:10], v[7:8]
	s_delay_alu instid0(VALU_DEP_1) | instskip(NEXT) | instid1(VALU_DEP_1)
	v_fma_f64 v[2:3], -v[2:3], v[11:12], v[9:10]
	v_div_fmas_f64 v[2:3], v[2:3], v[7:8], v[11:12]
	s_delay_alu instid0(VALU_DEP_1) | instskip(NEXT) | instid1(VALU_DEP_1)
	v_div_fixup_f64 v[0:1], v[2:3], v[0:1], 1.0
	v_mul_f64 v[2:3], v[5:6], -v[0:1]
.LBB122_185:
	s_or_b32 exec_lo, exec_lo, s2
.LBB122_186:
	s_delay_alu instid0(SALU_CYCLE_1) | instskip(NEXT) | instid1(SALU_CYCLE_1)
	s_or_b32 exec_lo, exec_lo, s3
	s_mov_b32 s2, exec_lo
	v_cmpx_ne_u32_e64 v39, v4
	s_xor_b32 s2, exec_lo, s2
	s_cbranch_execz .LBB122_192
; %bb.187:
	s_mov_b32 s3, exec_lo
	v_cmpx_eq_u32_e32 7, v39
	s_cbranch_execz .LBB122_191
; %bb.188:
	v_cmp_ne_u32_e32 vcc_lo, 7, v4
	s_xor_b32 s6, s4, -1
	s_delay_alu instid0(SALU_CYCLE_1) | instskip(NEXT) | instid1(SALU_CYCLE_1)
	s_and_b32 s7, s6, vcc_lo
	s_and_saveexec_b32 s6, s7
	s_cbranch_execz .LBB122_190
; %bb.189:
	v_ashrrev_i32_e32 v5, 31, v4
	s_delay_alu instid0(VALU_DEP_1) | instskip(NEXT) | instid1(VALU_DEP_1)
	v_lshlrev_b64 v[5:6], 2, v[4:5]
	v_add_co_u32 v5, vcc_lo, v18, v5
	s_delay_alu instid0(VALU_DEP_2)
	v_add_co_ci_u32_e32 v6, vcc_lo, v19, v6, vcc_lo
	s_clause 0x1
	flat_load_b32 v7, v[5:6]
	flat_load_b32 v8, v[18:19] offset:28
	s_waitcnt vmcnt(1) lgkmcnt(1)
	flat_store_b32 v[18:19], v7 offset:28
	s_waitcnt vmcnt(0) lgkmcnt(1)
	flat_store_b32 v[5:6], v8
.LBB122_190:
	s_or_b32 exec_lo, exec_lo, s6
	v_mov_b32_e32 v39, v4
	v_mov_b32_e32 v38, v4
.LBB122_191:
	s_or_b32 exec_lo, exec_lo, s3
.LBB122_192:
	s_and_not1_saveexec_b32 s2, s2
	s_cbranch_execz .LBB122_196
; %bb.193:
	v_add3_u32 v4, v37, 0, 0x80
	v_mov_b32_e32 v5, 0
	s_mov_b32 s3, 0
.LBB122_194:                            ; =>This Inner Loop Header: Depth=1
	s_delay_alu instid0(VALU_DEP_1) | instskip(NEXT) | instid1(VALU_DEP_3)
	v_readfirstlane_b32 s6, v5
	v_add_nc_u32_e32 v14, s3, v4
	s_delay_alu instid0(VALU_DEP_2)
	s_add_i32 s6, s6, s3
	s_addk_i32 s3, 0x120
	s_add_i32 s7, s6, 0x80
	s_add_i32 s9, s6, 0x90
	;; [unrolled: 1-line block ×17, first 2 shown]
	s_addk_i32 s6, 0x190
	s_clause 0x11
	scratch_load_b128 v[6:9], off, s7
	scratch_load_b128 v[10:13], off, s9
	;; [unrolled: 1-line block ×18, first 2 shown]
	s_cmpk_eq_i32 s3, 0x360
	s_waitcnt vmcnt(17)
	ds_store_2addr_b64 v14, v[6:7], v[8:9] offset1:1
	s_waitcnt vmcnt(16)
	ds_store_2addr_b64 v14, v[10:11], v[12:13] offset0:2 offset1:3
	s_waitcnt vmcnt(15)
	ds_store_2addr_b64 v14, v[41:42], v[43:44] offset0:4 offset1:5
	;; [unrolled: 2-line block ×17, first 2 shown]
	s_cbranch_scc0 .LBB122_194
; %bb.195:
	v_mov_b32_e32 v39, 7
.LBB122_196:
	s_or_b32 exec_lo, exec_lo, s2
	s_delay_alu instid0(SALU_CYCLE_1)
	s_mov_b32 s2, exec_lo
	s_waitcnt lgkmcnt(0)
	s_waitcnt_vscnt null, 0x0
	s_barrier
	buffer_gl0_inv
	v_cmpx_lt_i32_e32 7, v39
	s_cbranch_execz .LBB122_199
; %bb.197:
	scratch_load_b128 v[4:7], off, off offset:112
	s_mov_b32 s3, 0
	s_waitcnt vmcnt(0)
	v_mul_f64 v[8:9], v[2:3], v[6:7]
	v_mul_f64 v[6:7], v[0:1], v[6:7]
	s_delay_alu instid0(VALU_DEP_2) | instskip(NEXT) | instid1(VALU_DEP_2)
	v_fma_f64 v[0:1], v[0:1], v[4:5], -v[8:9]
	v_fma_f64 v[2:3], v[2:3], v[4:5], v[6:7]
	v_add3_u32 v4, v37, 0, 0x80
	v_mov_b32_e32 v5, 0
	scratch_store_b128 off, v[0:3], off offset:112
.LBB122_198:                            ; =>This Inner Loop Header: Depth=1
	v_readfirstlane_b32 s6, v5
	v_add_nc_u32_e32 v14, s3, v4
	s_delay_alu instid0(VALU_DEP_2)
	s_add_i32 s7, s6, s3
	s_addk_i32 s3, 0x60
	s_add_i32 s6, s7, 0x80
	s_add_i32 s9, s7, 0x90
	;; [unrolled: 1-line block ×5, first 2 shown]
	s_addk_i32 s7, 0xd0
	s_clause 0x5
	scratch_load_b128 v[6:9], off, s6
	scratch_load_b128 v[10:13], off, s9
	;; [unrolled: 1-line block ×6, first 2 shown]
	ds_load_2addr_b64 v[69:72], v14 offset1:1
	ds_load_2addr_b64 v[77:80], v14 offset0:2 offset1:3
	ds_load_2addr_b64 v[126:129], v14 offset0:4 offset1:5
	;; [unrolled: 1-line block ×5, first 2 shown]
	s_cmpk_lg_i32 s3, 0x360
	s_waitcnt lgkmcnt(5)
	v_mul_f64 v[14:15], v[71:72], v[2:3]
	v_mul_f64 v[16:17], v[69:70], v[2:3]
	s_waitcnt lgkmcnt(4)
	v_mul_f64 v[49:50], v[79:80], v[2:3]
	v_mul_f64 v[57:58], v[77:78], v[2:3]
	;; [unrolled: 3-line block ×6, first 2 shown]
	v_fma_f64 v[14:15], v[69:70], v[0:1], -v[14:15]
	v_fma_f64 v[16:17], v[71:72], v[0:1], v[16:17]
	v_fma_f64 v[49:50], v[77:78], v[0:1], -v[49:50]
	v_fma_f64 v[57:58], v[79:80], v[0:1], v[57:58]
	v_fma_f64 v[65:66], v[126:127], v[0:1], -v[65:66]
	v_fma_f64 v[69:70], v[128:129], v[0:1], v[73:74]
	v_fma_f64 v[71:72], v[137:138], v[0:1], -v[81:82]
	v_fma_f64 v[73:74], v[139:140], v[0:1], v[85:86]
	v_fma_f64 v[77:78], v[171:172], v[0:1], -v[87:88]
	v_fma_f64 v[79:80], v[173:174], v[0:1], v[89:90]
	v_fma_f64 v[81:82], v[175:176], v[0:1], -v[91:92]
	v_fma_f64 v[85:86], v[177:178], v[0:1], v[93:94]
	s_waitcnt vmcnt(5)
	v_add_f64 v[6:7], v[6:7], -v[14:15]
	v_add_f64 v[8:9], v[8:9], -v[16:17]
	s_waitcnt vmcnt(4)
	v_add_f64 v[10:11], v[10:11], -v[49:50]
	v_add_f64 v[12:13], v[12:13], -v[57:58]
	;; [unrolled: 3-line block ×6, first 2 shown]
	s_clause 0x5
	scratch_store_b128 off, v[6:9], s6
	scratch_store_b128 off, v[10:13], s9
	;; [unrolled: 1-line block ×6, first 2 shown]
	s_cbranch_scc1 .LBB122_198
.LBB122_199:
	s_or_b32 exec_lo, exec_lo, s2
	s_waitcnt_vscnt null, 0x0
	s_barrier
	buffer_gl0_inv
	scratch_load_b128 v[0:3], v27, off
	v_lshl_add_u32 v4, v39, 4, v20
	s_cmp_lt_i32 s5, 10
	s_waitcnt vmcnt(0)
	ds_store_2addr_b64 v4, v[0:1], v[2:3] offset1:1
	s_waitcnt lgkmcnt(0)
	s_barrier
	buffer_gl0_inv
	ds_load_2addr_b64 v[0:3], v20 offset0:16 offset1:17
	v_mov_b32_e32 v4, 8
	s_cbranch_scc1 .LBB122_202
; %bb.200:
	v_add3_u32 v5, v37, 0, 0x90
	v_mov_b32_e32 v4, 8
	s_mov_b32 s6, 9
	s_set_inst_prefetch_distance 0x1
	.p2align	6
.LBB122_201:                            ; =>This Inner Loop Header: Depth=1
	ds_load_2addr_b64 v[6:9], v5 offset1:1
	s_waitcnt lgkmcnt(1)
	v_cmp_gt_f64_e32 vcc_lo, 0, v[0:1]
	v_xor_b32_e32 v10, 0x80000000, v1
	v_cmp_gt_f64_e64 s2, 0, v[2:3]
	v_xor_b32_e32 v12, 0x80000000, v3
	v_add_nc_u32_e32 v5, 16, v5
	s_waitcnt lgkmcnt(0)
	v_cmp_gt_f64_e64 s3, 0, v[6:7]
	v_mov_b32_e32 v14, v6
	v_dual_mov_b32 v16, v8 :: v_dual_cndmask_b32 v11, v1, v10
	v_xor_b32_e32 v10, 0x80000000, v7
	v_cndmask_b32_e64 v13, v3, v12, s2
	v_xor_b32_e32 v12, 0x80000000, v9
	s_delay_alu instid0(VALU_DEP_3) | instskip(SKIP_2) | instid1(VALU_DEP_2)
	v_cndmask_b32_e64 v15, v7, v10, s3
	v_cmp_gt_f64_e64 s3, 0, v[8:9]
	v_cndmask_b32_e32 v10, v0, v0, vcc_lo
	v_cndmask_b32_e64 v17, v9, v12, s3
	v_cndmask_b32_e64 v12, v2, v2, s2
	s_delay_alu instid0(VALU_DEP_2) | instskip(NEXT) | instid1(VALU_DEP_2)
	v_add_f64 v[14:15], v[14:15], v[16:17]
	v_add_f64 v[10:11], v[10:11], v[12:13]
	s_delay_alu instid0(VALU_DEP_1)
	v_cmp_lt_f64_e32 vcc_lo, v[10:11], v[14:15]
	v_cndmask_b32_e32 v3, v3, v9, vcc_lo
	v_dual_cndmask_b32 v1, v1, v7 :: v_dual_cndmask_b32 v0, v0, v6
	v_cndmask_b32_e32 v2, v2, v8, vcc_lo
	v_cndmask_b32_e64 v4, v4, s6, vcc_lo
	s_add_i32 s6, s6, 1
	s_delay_alu instid0(SALU_CYCLE_1)
	s_cmp_lg_u32 s5, s6
	s_cbranch_scc1 .LBB122_201
.LBB122_202:
	s_set_inst_prefetch_distance 0x2
	s_waitcnt lgkmcnt(0)
	v_cmp_eq_f64_e32 vcc_lo, 0, v[0:1]
	v_cmp_eq_f64_e64 s2, 0, v[2:3]
	s_delay_alu instid0(VALU_DEP_1) | instskip(NEXT) | instid1(SALU_CYCLE_1)
	s_and_b32 s2, vcc_lo, s2
	s_and_saveexec_b32 s3, s2
	s_delay_alu instid0(SALU_CYCLE_1)
	s_xor_b32 s2, exec_lo, s3
; %bb.203:
	v_cmp_ne_u32_e32 vcc_lo, 0, v35
	v_cndmask_b32_e32 v35, 9, v35, vcc_lo
; %bb.204:
	s_and_not1_saveexec_b32 s3, s2
	s_cbranch_execz .LBB122_210
; %bb.205:
	v_cmp_gt_f64_e32 vcc_lo, 0, v[0:1]
	v_cmp_gt_f64_e64 s2, 0, v[2:3]
	v_xor_b32_e32 v5, 0x80000000, v1
	v_xor_b32_e32 v7, 0x80000000, v3
	s_delay_alu instid0(VALU_DEP_2) | instskip(NEXT) | instid1(VALU_DEP_2)
	v_dual_cndmask_b32 v6, v1, v5 :: v_dual_cndmask_b32 v5, v0, v0
	v_cndmask_b32_e64 v8, v3, v7, s2
	v_cndmask_b32_e64 v7, v2, v2, s2
	s_mov_b32 s2, exec_lo
	s_delay_alu instid0(VALU_DEP_1)
	v_cmpx_ngt_f64_e32 v[5:6], v[7:8]
	s_xor_b32 s2, exec_lo, s2
	s_cbranch_execz .LBB122_207
; %bb.206:
	v_div_scale_f64 v[5:6], null, v[2:3], v[2:3], v[0:1]
	v_div_scale_f64 v[11:12], vcc_lo, v[0:1], v[2:3], v[0:1]
	s_delay_alu instid0(VALU_DEP_2) | instskip(SKIP_2) | instid1(VALU_DEP_1)
	v_rcp_f64_e32 v[7:8], v[5:6]
	s_waitcnt_depctr 0xfff
	v_fma_f64 v[9:10], -v[5:6], v[7:8], 1.0
	v_fma_f64 v[7:8], v[7:8], v[9:10], v[7:8]
	s_delay_alu instid0(VALU_DEP_1) | instskip(NEXT) | instid1(VALU_DEP_1)
	v_fma_f64 v[9:10], -v[5:6], v[7:8], 1.0
	v_fma_f64 v[7:8], v[7:8], v[9:10], v[7:8]
	s_delay_alu instid0(VALU_DEP_1) | instskip(NEXT) | instid1(VALU_DEP_1)
	v_mul_f64 v[9:10], v[11:12], v[7:8]
	v_fma_f64 v[5:6], -v[5:6], v[9:10], v[11:12]
	s_delay_alu instid0(VALU_DEP_1) | instskip(NEXT) | instid1(VALU_DEP_1)
	v_div_fmas_f64 v[5:6], v[5:6], v[7:8], v[9:10]
	v_div_fixup_f64 v[5:6], v[5:6], v[2:3], v[0:1]
	s_delay_alu instid0(VALU_DEP_1) | instskip(NEXT) | instid1(VALU_DEP_1)
	v_fma_f64 v[0:1], v[0:1], v[5:6], v[2:3]
	v_div_scale_f64 v[2:3], null, v[0:1], v[0:1], 1.0
	s_delay_alu instid0(VALU_DEP_1) | instskip(SKIP_2) | instid1(VALU_DEP_1)
	v_rcp_f64_e32 v[7:8], v[2:3]
	s_waitcnt_depctr 0xfff
	v_fma_f64 v[9:10], -v[2:3], v[7:8], 1.0
	v_fma_f64 v[7:8], v[7:8], v[9:10], v[7:8]
	s_delay_alu instid0(VALU_DEP_1) | instskip(NEXT) | instid1(VALU_DEP_1)
	v_fma_f64 v[9:10], -v[2:3], v[7:8], 1.0
	v_fma_f64 v[7:8], v[7:8], v[9:10], v[7:8]
	v_div_scale_f64 v[9:10], vcc_lo, 1.0, v[0:1], 1.0
	s_delay_alu instid0(VALU_DEP_1) | instskip(NEXT) | instid1(VALU_DEP_1)
	v_mul_f64 v[11:12], v[9:10], v[7:8]
	v_fma_f64 v[2:3], -v[2:3], v[11:12], v[9:10]
	s_delay_alu instid0(VALU_DEP_1) | instskip(NEXT) | instid1(VALU_DEP_1)
	v_div_fmas_f64 v[2:3], v[2:3], v[7:8], v[11:12]
	v_div_fixup_f64 v[2:3], v[2:3], v[0:1], 1.0
	s_delay_alu instid0(VALU_DEP_1)
	v_mul_f64 v[0:1], v[5:6], v[2:3]
	v_xor_b32_e32 v3, 0x80000000, v3
.LBB122_207:
	s_and_not1_saveexec_b32 s2, s2
	s_cbranch_execz .LBB122_209
; %bb.208:
	s_delay_alu instid0(VALU_DEP_1) | instskip(SKIP_1) | instid1(VALU_DEP_2)
	v_div_scale_f64 v[5:6], null, v[0:1], v[0:1], v[2:3]
	v_div_scale_f64 v[11:12], vcc_lo, v[2:3], v[0:1], v[2:3]
	v_rcp_f64_e32 v[7:8], v[5:6]
	s_waitcnt_depctr 0xfff
	v_fma_f64 v[9:10], -v[5:6], v[7:8], 1.0
	s_delay_alu instid0(VALU_DEP_1) | instskip(NEXT) | instid1(VALU_DEP_1)
	v_fma_f64 v[7:8], v[7:8], v[9:10], v[7:8]
	v_fma_f64 v[9:10], -v[5:6], v[7:8], 1.0
	s_delay_alu instid0(VALU_DEP_1) | instskip(NEXT) | instid1(VALU_DEP_1)
	v_fma_f64 v[7:8], v[7:8], v[9:10], v[7:8]
	v_mul_f64 v[9:10], v[11:12], v[7:8]
	s_delay_alu instid0(VALU_DEP_1) | instskip(NEXT) | instid1(VALU_DEP_1)
	v_fma_f64 v[5:6], -v[5:6], v[9:10], v[11:12]
	v_div_fmas_f64 v[5:6], v[5:6], v[7:8], v[9:10]
	s_delay_alu instid0(VALU_DEP_1) | instskip(NEXT) | instid1(VALU_DEP_1)
	v_div_fixup_f64 v[5:6], v[5:6], v[0:1], v[2:3]
	v_fma_f64 v[0:1], v[2:3], v[5:6], v[0:1]
	s_delay_alu instid0(VALU_DEP_1) | instskip(NEXT) | instid1(VALU_DEP_1)
	v_div_scale_f64 v[2:3], null, v[0:1], v[0:1], 1.0
	v_rcp_f64_e32 v[7:8], v[2:3]
	s_waitcnt_depctr 0xfff
	v_fma_f64 v[9:10], -v[2:3], v[7:8], 1.0
	s_delay_alu instid0(VALU_DEP_1) | instskip(NEXT) | instid1(VALU_DEP_1)
	v_fma_f64 v[7:8], v[7:8], v[9:10], v[7:8]
	v_fma_f64 v[9:10], -v[2:3], v[7:8], 1.0
	s_delay_alu instid0(VALU_DEP_1) | instskip(SKIP_1) | instid1(VALU_DEP_1)
	v_fma_f64 v[7:8], v[7:8], v[9:10], v[7:8]
	v_div_scale_f64 v[9:10], vcc_lo, 1.0, v[0:1], 1.0
	v_mul_f64 v[11:12], v[9:10], v[7:8]
	s_delay_alu instid0(VALU_DEP_1) | instskip(NEXT) | instid1(VALU_DEP_1)
	v_fma_f64 v[2:3], -v[2:3], v[11:12], v[9:10]
	v_div_fmas_f64 v[2:3], v[2:3], v[7:8], v[11:12]
	s_delay_alu instid0(VALU_DEP_1) | instskip(NEXT) | instid1(VALU_DEP_1)
	v_div_fixup_f64 v[0:1], v[2:3], v[0:1], 1.0
	v_mul_f64 v[2:3], v[5:6], -v[0:1]
.LBB122_209:
	s_or_b32 exec_lo, exec_lo, s2
.LBB122_210:
	s_delay_alu instid0(SALU_CYCLE_1) | instskip(NEXT) | instid1(SALU_CYCLE_1)
	s_or_b32 exec_lo, exec_lo, s3
	s_mov_b32 s2, exec_lo
	v_cmpx_ne_u32_e64 v39, v4
	s_xor_b32 s2, exec_lo, s2
	s_cbranch_execz .LBB122_216
; %bb.211:
	s_mov_b32 s3, exec_lo
	v_cmpx_eq_u32_e32 8, v39
	s_cbranch_execz .LBB122_215
; %bb.212:
	v_cmp_ne_u32_e32 vcc_lo, 8, v4
	s_xor_b32 s6, s4, -1
	s_delay_alu instid0(SALU_CYCLE_1) | instskip(NEXT) | instid1(SALU_CYCLE_1)
	s_and_b32 s7, s6, vcc_lo
	s_and_saveexec_b32 s6, s7
	s_cbranch_execz .LBB122_214
; %bb.213:
	v_ashrrev_i32_e32 v5, 31, v4
	s_delay_alu instid0(VALU_DEP_1) | instskip(NEXT) | instid1(VALU_DEP_1)
	v_lshlrev_b64 v[5:6], 2, v[4:5]
	v_add_co_u32 v5, vcc_lo, v18, v5
	s_delay_alu instid0(VALU_DEP_2)
	v_add_co_ci_u32_e32 v6, vcc_lo, v19, v6, vcc_lo
	s_clause 0x1
	flat_load_b32 v7, v[5:6]
	flat_load_b32 v8, v[18:19] offset:32
	s_waitcnt vmcnt(1) lgkmcnt(1)
	flat_store_b32 v[18:19], v7 offset:32
	s_waitcnt vmcnt(0) lgkmcnt(1)
	flat_store_b32 v[5:6], v8
.LBB122_214:
	s_or_b32 exec_lo, exec_lo, s6
	v_mov_b32_e32 v39, v4
	v_mov_b32_e32 v38, v4
.LBB122_215:
	s_or_b32 exec_lo, exec_lo, s3
.LBB122_216:
	s_and_not1_saveexec_b32 s2, s2
	s_cbranch_execz .LBB122_222
; %bb.217:
	v_add3_u32 v4, v37, 0, 0x90
	v_mov_b32_e32 v5, 0
	s_mov_b32 s3, 0
	s_branch .LBB122_219
.LBB122_218:                            ;   in Loop: Header=BB122_219 Depth=1
	s_and_not1_b32 vcc_lo, exec_lo, s7
	s_cbranch_vccz .LBB122_221
.LBB122_219:                            ; =>This Inner Loop Header: Depth=1
	s_delay_alu instid0(VALU_DEP_1) | instskip(SKIP_1) | instid1(VALU_DEP_2)
	v_readfirstlane_b32 s6, v5
	v_add_nc_u32_e32 v6, s3, v4
	s_add_i32 s6, s6, s3
	s_delay_alu instid0(SALU_CYCLE_1)
	s_add_i32 s7, s6, 0x90
	s_add_i32 s9, s6, 0xa0
	;; [unrolled: 1-line block ×5, first 2 shown]
	s_clause 0x4
	scratch_load_b128 v[7:10], off, s7
	scratch_load_b128 v[11:14], off, s9
	;; [unrolled: 1-line block ×5, first 2 shown]
	s_mov_b32 s7, -1
	s_cmpk_eq_i32 s3, 0x300
	s_waitcnt vmcnt(4)
	ds_store_2addr_b64 v6, v[7:8], v[9:10] offset1:1
	s_waitcnt vmcnt(3)
	ds_store_2addr_b64 v6, v[11:12], v[13:14] offset0:2 offset1:3
	s_waitcnt vmcnt(2)
	ds_store_2addr_b64 v6, v[41:42], v[43:44] offset0:4 offset1:5
	;; [unrolled: 2-line block ×4, first 2 shown]
	s_cbranch_scc1 .LBB122_218
; %bb.220:                              ;   in Loop: Header=BB122_219 Depth=1
	s_add_i32 s7, s6, 0xe0
	s_add_i32 s9, s6, 0xf0
	s_addk_i32 s6, 0x100
	s_clause 0x2
	scratch_load_b128 v[7:10], off, s7
	scratch_load_b128 v[11:14], off, s9
	scratch_load_b128 v[41:44], off, s6
	s_addk_i32 s3, 0x80
	s_mov_b32 s7, 0
	s_waitcnt vmcnt(2)
	ds_store_2addr_b64 v6, v[7:8], v[9:10] offset0:10 offset1:11
	s_waitcnt vmcnt(1)
	ds_store_2addr_b64 v6, v[11:12], v[13:14] offset0:12 offset1:13
	;; [unrolled: 2-line block ×3, first 2 shown]
	s_branch .LBB122_218
.LBB122_221:
	v_mov_b32_e32 v39, 8
.LBB122_222:
	s_or_b32 exec_lo, exec_lo, s2
	s_delay_alu instid0(SALU_CYCLE_1)
	s_mov_b32 s2, exec_lo
	s_waitcnt lgkmcnt(0)
	s_waitcnt_vscnt null, 0x0
	s_barrier
	buffer_gl0_inv
	v_cmpx_lt_i32_e32 8, v39
	s_cbranch_execz .LBB122_227
; %bb.223:
	scratch_load_b128 v[4:7], off, off offset:128
	s_mov_b32 s3, 0
	s_waitcnt vmcnt(0)
	v_mul_f64 v[8:9], v[2:3], v[6:7]
	v_mul_f64 v[6:7], v[0:1], v[6:7]
	s_delay_alu instid0(VALU_DEP_2) | instskip(NEXT) | instid1(VALU_DEP_2)
	v_fma_f64 v[0:1], v[0:1], v[4:5], -v[8:9]
	v_fma_f64 v[2:3], v[2:3], v[4:5], v[6:7]
	v_add3_u32 v4, v37, 0, 0x90
	v_mov_b32_e32 v5, 0
	scratch_store_b128 off, v[0:3], off offset:128
	s_branch .LBB122_225
.LBB122_224:                            ;   in Loop: Header=BB122_225 Depth=1
	s_and_not1_b32 vcc_lo, exec_lo, s7
	s_cbranch_vccz .LBB122_227
.LBB122_225:                            ; =>This Inner Loop Header: Depth=1
	v_readfirstlane_b32 s6, v5
	v_add_nc_u32_e32 v6, s3, v4
	s_mov_b32 s7, -1
	s_delay_alu instid0(VALU_DEP_2)
	s_add_i32 s6, s6, s3
	ds_load_2addr_b64 v[11:14], v6 offset1:1
	s_add_i32 s9, s6, 0x90
	s_cmpk_eq_i32 s3, 0x340
	scratch_load_b128 v[7:10], off, s9
	s_waitcnt lgkmcnt(0)
	v_mul_f64 v[15:16], v[13:14], v[2:3]
	v_mul_f64 v[41:42], v[11:12], v[2:3]
	s_delay_alu instid0(VALU_DEP_2) | instskip(NEXT) | instid1(VALU_DEP_2)
	v_fma_f64 v[11:12], v[11:12], v[0:1], -v[15:16]
	v_fma_f64 v[13:14], v[13:14], v[0:1], v[41:42]
	s_waitcnt vmcnt(0)
	s_delay_alu instid0(VALU_DEP_2) | instskip(NEXT) | instid1(VALU_DEP_2)
	v_add_f64 v[7:8], v[7:8], -v[11:12]
	v_add_f64 v[9:10], v[9:10], -v[13:14]
	scratch_store_b128 off, v[7:10], s9
	s_cbranch_scc1 .LBB122_224
; %bb.226:                              ;   in Loop: Header=BB122_225 Depth=1
	s_add_i32 s9, s6, 0xa0
	s_add_i32 s12, s6, 0xb0
	scratch_load_b128 v[7:10], off, s9
	s_addk_i32 s6, 0xc0
	s_clause 0x1
	scratch_load_b128 v[11:14], off, s12
	scratch_load_b128 v[41:44], off, s6
	ds_load_2addr_b64 v[45:48], v6 offset0:2 offset1:3
	ds_load_2addr_b64 v[53:56], v6 offset0:4 offset1:5
	;; [unrolled: 1-line block ×3, first 2 shown]
	s_add_i32 s3, s3, 64
	s_mov_b32 s7, 0
	s_waitcnt lgkmcnt(2)
	v_mul_f64 v[15:16], v[47:48], v[2:3]
	v_mul_f64 v[49:50], v[45:46], v[2:3]
	s_waitcnt lgkmcnt(1)
	v_mul_f64 v[57:58], v[55:56], v[2:3]
	v_mul_f64 v[65:66], v[53:54], v[2:3]
	;; [unrolled: 3-line block ×3, first 2 shown]
	v_fma_f64 v[15:16], v[45:46], v[0:1], -v[15:16]
	v_fma_f64 v[45:46], v[47:48], v[0:1], v[49:50]
	v_fma_f64 v[47:48], v[53:54], v[0:1], -v[57:58]
	v_fma_f64 v[49:50], v[55:56], v[0:1], v[65:66]
	;; [unrolled: 2-line block ×3, first 2 shown]
	s_waitcnt vmcnt(2)
	v_add_f64 v[6:7], v[7:8], -v[15:16]
	v_add_f64 v[8:9], v[9:10], -v[45:46]
	s_waitcnt vmcnt(1)
	v_add_f64 v[10:11], v[11:12], -v[47:48]
	v_add_f64 v[12:13], v[13:14], -v[49:50]
	;; [unrolled: 3-line block ×3, first 2 shown]
	s_clause 0x2
	scratch_store_b128 off, v[6:9], s9
	scratch_store_b128 off, v[10:13], s12
	;; [unrolled: 1-line block ×3, first 2 shown]
	s_branch .LBB122_224
.LBB122_227:
	s_or_b32 exec_lo, exec_lo, s2
	s_waitcnt_vscnt null, 0x0
	s_barrier
	buffer_gl0_inv
	scratch_load_b128 v[0:3], v26, off
	v_lshl_add_u32 v4, v39, 4, v20
	s_cmp_lt_i32 s5, 11
	s_waitcnt vmcnt(0)
	ds_store_2addr_b64 v4, v[0:1], v[2:3] offset1:1
	s_waitcnt lgkmcnt(0)
	s_barrier
	buffer_gl0_inv
	ds_load_2addr_b64 v[0:3], v20 offset0:18 offset1:19
	v_mov_b32_e32 v4, 9
	s_cbranch_scc1 .LBB122_230
; %bb.228:
	v_add3_u32 v5, v37, 0, 0xa0
	v_mov_b32_e32 v4, 9
	s_mov_b32 s6, 10
	s_set_inst_prefetch_distance 0x1
	.p2align	6
.LBB122_229:                            ; =>This Inner Loop Header: Depth=1
	ds_load_2addr_b64 v[6:9], v5 offset1:1
	s_waitcnt lgkmcnt(1)
	v_cmp_gt_f64_e32 vcc_lo, 0, v[0:1]
	v_xor_b32_e32 v10, 0x80000000, v1
	v_cmp_gt_f64_e64 s2, 0, v[2:3]
	v_xor_b32_e32 v12, 0x80000000, v3
	v_add_nc_u32_e32 v5, 16, v5
	s_waitcnt lgkmcnt(0)
	v_cmp_gt_f64_e64 s3, 0, v[6:7]
	v_mov_b32_e32 v14, v6
	v_dual_mov_b32 v16, v8 :: v_dual_cndmask_b32 v11, v1, v10
	v_xor_b32_e32 v10, 0x80000000, v7
	v_cndmask_b32_e64 v13, v3, v12, s2
	v_xor_b32_e32 v12, 0x80000000, v9
	s_delay_alu instid0(VALU_DEP_3) | instskip(SKIP_2) | instid1(VALU_DEP_2)
	v_cndmask_b32_e64 v15, v7, v10, s3
	v_cmp_gt_f64_e64 s3, 0, v[8:9]
	v_cndmask_b32_e32 v10, v0, v0, vcc_lo
	v_cndmask_b32_e64 v17, v9, v12, s3
	v_cndmask_b32_e64 v12, v2, v2, s2
	s_delay_alu instid0(VALU_DEP_2) | instskip(NEXT) | instid1(VALU_DEP_2)
	v_add_f64 v[14:15], v[14:15], v[16:17]
	v_add_f64 v[10:11], v[10:11], v[12:13]
	s_delay_alu instid0(VALU_DEP_1)
	v_cmp_lt_f64_e32 vcc_lo, v[10:11], v[14:15]
	v_cndmask_b32_e32 v3, v3, v9, vcc_lo
	v_dual_cndmask_b32 v1, v1, v7 :: v_dual_cndmask_b32 v0, v0, v6
	v_cndmask_b32_e32 v2, v2, v8, vcc_lo
	v_cndmask_b32_e64 v4, v4, s6, vcc_lo
	s_add_i32 s6, s6, 1
	s_delay_alu instid0(SALU_CYCLE_1)
	s_cmp_lg_u32 s5, s6
	s_cbranch_scc1 .LBB122_229
.LBB122_230:
	s_set_inst_prefetch_distance 0x2
	s_waitcnt lgkmcnt(0)
	v_cmp_eq_f64_e32 vcc_lo, 0, v[0:1]
	v_cmp_eq_f64_e64 s2, 0, v[2:3]
	s_delay_alu instid0(VALU_DEP_1) | instskip(NEXT) | instid1(SALU_CYCLE_1)
	s_and_b32 s2, vcc_lo, s2
	s_and_saveexec_b32 s3, s2
	s_delay_alu instid0(SALU_CYCLE_1)
	s_xor_b32 s2, exec_lo, s3
; %bb.231:
	v_cmp_ne_u32_e32 vcc_lo, 0, v35
	v_cndmask_b32_e32 v35, 10, v35, vcc_lo
; %bb.232:
	s_and_not1_saveexec_b32 s3, s2
	s_cbranch_execz .LBB122_238
; %bb.233:
	v_cmp_gt_f64_e32 vcc_lo, 0, v[0:1]
	v_cmp_gt_f64_e64 s2, 0, v[2:3]
	v_xor_b32_e32 v5, 0x80000000, v1
	v_xor_b32_e32 v7, 0x80000000, v3
	s_delay_alu instid0(VALU_DEP_2) | instskip(NEXT) | instid1(VALU_DEP_2)
	v_dual_cndmask_b32 v6, v1, v5 :: v_dual_cndmask_b32 v5, v0, v0
	v_cndmask_b32_e64 v8, v3, v7, s2
	v_cndmask_b32_e64 v7, v2, v2, s2
	s_mov_b32 s2, exec_lo
	s_delay_alu instid0(VALU_DEP_1)
	v_cmpx_ngt_f64_e32 v[5:6], v[7:8]
	s_xor_b32 s2, exec_lo, s2
	s_cbranch_execz .LBB122_235
; %bb.234:
	v_div_scale_f64 v[5:6], null, v[2:3], v[2:3], v[0:1]
	v_div_scale_f64 v[11:12], vcc_lo, v[0:1], v[2:3], v[0:1]
	s_delay_alu instid0(VALU_DEP_2) | instskip(SKIP_2) | instid1(VALU_DEP_1)
	v_rcp_f64_e32 v[7:8], v[5:6]
	s_waitcnt_depctr 0xfff
	v_fma_f64 v[9:10], -v[5:6], v[7:8], 1.0
	v_fma_f64 v[7:8], v[7:8], v[9:10], v[7:8]
	s_delay_alu instid0(VALU_DEP_1) | instskip(NEXT) | instid1(VALU_DEP_1)
	v_fma_f64 v[9:10], -v[5:6], v[7:8], 1.0
	v_fma_f64 v[7:8], v[7:8], v[9:10], v[7:8]
	s_delay_alu instid0(VALU_DEP_1) | instskip(NEXT) | instid1(VALU_DEP_1)
	v_mul_f64 v[9:10], v[11:12], v[7:8]
	v_fma_f64 v[5:6], -v[5:6], v[9:10], v[11:12]
	s_delay_alu instid0(VALU_DEP_1) | instskip(NEXT) | instid1(VALU_DEP_1)
	v_div_fmas_f64 v[5:6], v[5:6], v[7:8], v[9:10]
	v_div_fixup_f64 v[5:6], v[5:6], v[2:3], v[0:1]
	s_delay_alu instid0(VALU_DEP_1) | instskip(NEXT) | instid1(VALU_DEP_1)
	v_fma_f64 v[0:1], v[0:1], v[5:6], v[2:3]
	v_div_scale_f64 v[2:3], null, v[0:1], v[0:1], 1.0
	s_delay_alu instid0(VALU_DEP_1) | instskip(SKIP_2) | instid1(VALU_DEP_1)
	v_rcp_f64_e32 v[7:8], v[2:3]
	s_waitcnt_depctr 0xfff
	v_fma_f64 v[9:10], -v[2:3], v[7:8], 1.0
	v_fma_f64 v[7:8], v[7:8], v[9:10], v[7:8]
	s_delay_alu instid0(VALU_DEP_1) | instskip(NEXT) | instid1(VALU_DEP_1)
	v_fma_f64 v[9:10], -v[2:3], v[7:8], 1.0
	v_fma_f64 v[7:8], v[7:8], v[9:10], v[7:8]
	v_div_scale_f64 v[9:10], vcc_lo, 1.0, v[0:1], 1.0
	s_delay_alu instid0(VALU_DEP_1) | instskip(NEXT) | instid1(VALU_DEP_1)
	v_mul_f64 v[11:12], v[9:10], v[7:8]
	v_fma_f64 v[2:3], -v[2:3], v[11:12], v[9:10]
	s_delay_alu instid0(VALU_DEP_1) | instskip(NEXT) | instid1(VALU_DEP_1)
	v_div_fmas_f64 v[2:3], v[2:3], v[7:8], v[11:12]
	v_div_fixup_f64 v[2:3], v[2:3], v[0:1], 1.0
	s_delay_alu instid0(VALU_DEP_1)
	v_mul_f64 v[0:1], v[5:6], v[2:3]
	v_xor_b32_e32 v3, 0x80000000, v3
.LBB122_235:
	s_and_not1_saveexec_b32 s2, s2
	s_cbranch_execz .LBB122_237
; %bb.236:
	s_delay_alu instid0(VALU_DEP_1) | instskip(SKIP_1) | instid1(VALU_DEP_2)
	v_div_scale_f64 v[5:6], null, v[0:1], v[0:1], v[2:3]
	v_div_scale_f64 v[11:12], vcc_lo, v[2:3], v[0:1], v[2:3]
	v_rcp_f64_e32 v[7:8], v[5:6]
	s_waitcnt_depctr 0xfff
	v_fma_f64 v[9:10], -v[5:6], v[7:8], 1.0
	s_delay_alu instid0(VALU_DEP_1) | instskip(NEXT) | instid1(VALU_DEP_1)
	v_fma_f64 v[7:8], v[7:8], v[9:10], v[7:8]
	v_fma_f64 v[9:10], -v[5:6], v[7:8], 1.0
	s_delay_alu instid0(VALU_DEP_1) | instskip(NEXT) | instid1(VALU_DEP_1)
	v_fma_f64 v[7:8], v[7:8], v[9:10], v[7:8]
	v_mul_f64 v[9:10], v[11:12], v[7:8]
	s_delay_alu instid0(VALU_DEP_1) | instskip(NEXT) | instid1(VALU_DEP_1)
	v_fma_f64 v[5:6], -v[5:6], v[9:10], v[11:12]
	v_div_fmas_f64 v[5:6], v[5:6], v[7:8], v[9:10]
	s_delay_alu instid0(VALU_DEP_1) | instskip(NEXT) | instid1(VALU_DEP_1)
	v_div_fixup_f64 v[5:6], v[5:6], v[0:1], v[2:3]
	v_fma_f64 v[0:1], v[2:3], v[5:6], v[0:1]
	s_delay_alu instid0(VALU_DEP_1) | instskip(NEXT) | instid1(VALU_DEP_1)
	v_div_scale_f64 v[2:3], null, v[0:1], v[0:1], 1.0
	v_rcp_f64_e32 v[7:8], v[2:3]
	s_waitcnt_depctr 0xfff
	v_fma_f64 v[9:10], -v[2:3], v[7:8], 1.0
	s_delay_alu instid0(VALU_DEP_1) | instskip(NEXT) | instid1(VALU_DEP_1)
	v_fma_f64 v[7:8], v[7:8], v[9:10], v[7:8]
	v_fma_f64 v[9:10], -v[2:3], v[7:8], 1.0
	s_delay_alu instid0(VALU_DEP_1) | instskip(SKIP_1) | instid1(VALU_DEP_1)
	v_fma_f64 v[7:8], v[7:8], v[9:10], v[7:8]
	v_div_scale_f64 v[9:10], vcc_lo, 1.0, v[0:1], 1.0
	v_mul_f64 v[11:12], v[9:10], v[7:8]
	s_delay_alu instid0(VALU_DEP_1) | instskip(NEXT) | instid1(VALU_DEP_1)
	v_fma_f64 v[2:3], -v[2:3], v[11:12], v[9:10]
	v_div_fmas_f64 v[2:3], v[2:3], v[7:8], v[11:12]
	s_delay_alu instid0(VALU_DEP_1) | instskip(NEXT) | instid1(VALU_DEP_1)
	v_div_fixup_f64 v[0:1], v[2:3], v[0:1], 1.0
	v_mul_f64 v[2:3], v[5:6], -v[0:1]
.LBB122_237:
	s_or_b32 exec_lo, exec_lo, s2
.LBB122_238:
	s_delay_alu instid0(SALU_CYCLE_1) | instskip(NEXT) | instid1(SALU_CYCLE_1)
	s_or_b32 exec_lo, exec_lo, s3
	s_mov_b32 s2, exec_lo
	v_cmpx_ne_u32_e64 v39, v4
	s_xor_b32 s2, exec_lo, s2
	s_cbranch_execz .LBB122_244
; %bb.239:
	s_mov_b32 s3, exec_lo
	v_cmpx_eq_u32_e32 9, v39
	s_cbranch_execz .LBB122_243
; %bb.240:
	v_cmp_ne_u32_e32 vcc_lo, 9, v4
	s_xor_b32 s6, s4, -1
	s_delay_alu instid0(SALU_CYCLE_1) | instskip(NEXT) | instid1(SALU_CYCLE_1)
	s_and_b32 s7, s6, vcc_lo
	s_and_saveexec_b32 s6, s7
	s_cbranch_execz .LBB122_242
; %bb.241:
	v_ashrrev_i32_e32 v5, 31, v4
	s_delay_alu instid0(VALU_DEP_1) | instskip(NEXT) | instid1(VALU_DEP_1)
	v_lshlrev_b64 v[5:6], 2, v[4:5]
	v_add_co_u32 v5, vcc_lo, v18, v5
	s_delay_alu instid0(VALU_DEP_2)
	v_add_co_ci_u32_e32 v6, vcc_lo, v19, v6, vcc_lo
	s_clause 0x1
	flat_load_b32 v7, v[5:6]
	flat_load_b32 v8, v[18:19] offset:36
	s_waitcnt vmcnt(1) lgkmcnt(1)
	flat_store_b32 v[18:19], v7 offset:36
	s_waitcnt vmcnt(0) lgkmcnt(1)
	flat_store_b32 v[5:6], v8
.LBB122_242:
	s_or_b32 exec_lo, exec_lo, s6
	v_mov_b32_e32 v39, v4
	v_mov_b32_e32 v38, v4
.LBB122_243:
	s_or_b32 exec_lo, exec_lo, s3
.LBB122_244:
	s_and_not1_saveexec_b32 s2, s2
	s_cbranch_execz .LBB122_248
; %bb.245:
	v_add3_u32 v4, v37, 0, 0xa0
	v_mov_b32_e32 v5, 0
	s_mov_b32 s3, 0
.LBB122_246:                            ; =>This Inner Loop Header: Depth=1
	s_delay_alu instid0(VALU_DEP_1) | instskip(NEXT) | instid1(VALU_DEP_3)
	v_readfirstlane_b32 s6, v5
	v_add_nc_u32_e32 v14, s3, v4
	s_delay_alu instid0(VALU_DEP_2)
	s_add_i32 s6, s6, s3
	s_addk_i32 s3, 0xd0
	s_add_i32 s7, s6, 0xa0
	s_add_i32 s9, s6, 0xb0
	;; [unrolled: 1-line block ×12, first 2 shown]
	s_addk_i32 s6, 0x160
	s_clause 0xc
	scratch_load_b128 v[6:9], off, s7
	scratch_load_b128 v[10:13], off, s9
	;; [unrolled: 1-line block ×13, first 2 shown]
	s_cmpk_eq_i32 s3, 0x340
	s_waitcnt vmcnt(12)
	ds_store_2addr_b64 v14, v[6:7], v[8:9] offset1:1
	s_waitcnt vmcnt(11)
	ds_store_2addr_b64 v14, v[10:11], v[12:13] offset0:2 offset1:3
	s_waitcnt vmcnt(10)
	ds_store_2addr_b64 v14, v[41:42], v[43:44] offset0:4 offset1:5
	;; [unrolled: 2-line block ×12, first 2 shown]
	s_cbranch_scc0 .LBB122_246
; %bb.247:
	v_mov_b32_e32 v39, 9
.LBB122_248:
	s_or_b32 exec_lo, exec_lo, s2
	s_delay_alu instid0(SALU_CYCLE_1)
	s_mov_b32 s2, exec_lo
	s_waitcnt lgkmcnt(0)
	s_waitcnt_vscnt null, 0x0
	s_barrier
	buffer_gl0_inv
	v_cmpx_lt_i32_e32 9, v39
	s_cbranch_execz .LBB122_251
; %bb.249:
	scratch_load_b128 v[4:7], off, off offset:144
	s_mov_b32 s3, 0
	s_waitcnt vmcnt(0)
	v_mul_f64 v[8:9], v[2:3], v[6:7]
	v_mul_f64 v[6:7], v[0:1], v[6:7]
	s_delay_alu instid0(VALU_DEP_2) | instskip(NEXT) | instid1(VALU_DEP_2)
	v_fma_f64 v[0:1], v[0:1], v[4:5], -v[8:9]
	v_fma_f64 v[2:3], v[2:3], v[4:5], v[6:7]
	v_add3_u32 v4, v37, 0, 0xa0
	v_mov_b32_e32 v5, 0
	scratch_store_b128 off, v[0:3], off offset:144
.LBB122_250:                            ; =>This Inner Loop Header: Depth=1
	v_readfirstlane_b32 s6, v5
	v_add_nc_u32_e32 v14, s3, v4
	s_delay_alu instid0(VALU_DEP_2)
	s_add_i32 s6, s6, s3
	s_add_i32 s3, s3, 64
	;; [unrolled: 1-line block ×5, first 2 shown]
	s_addk_i32 s6, 0xd0
	s_clause 0x3
	scratch_load_b128 v[6:9], off, s7
	scratch_load_b128 v[10:13], off, s9
	;; [unrolled: 1-line block ×4, first 2 shown]
	ds_load_2addr_b64 v[53:56], v14 offset1:1
	ds_load_2addr_b64 v[61:64], v14 offset0:2 offset1:3
	ds_load_2addr_b64 v[69:72], v14 offset0:4 offset1:5
	ds_load_2addr_b64 v[77:80], v14 offset0:6 offset1:7
	s_cmpk_lg_i32 s3, 0x340
	s_waitcnt lgkmcnt(3)
	v_mul_f64 v[14:15], v[55:56], v[2:3]
	v_mul_f64 v[16:17], v[53:54], v[2:3]
	s_waitcnt lgkmcnt(2)
	v_mul_f64 v[49:50], v[63:64], v[2:3]
	v_mul_f64 v[57:58], v[61:62], v[2:3]
	;; [unrolled: 3-line block ×4, first 2 shown]
	v_fma_f64 v[14:15], v[53:54], v[0:1], -v[14:15]
	v_fma_f64 v[16:17], v[55:56], v[0:1], v[16:17]
	v_fma_f64 v[49:50], v[61:62], v[0:1], -v[49:50]
	v_fma_f64 v[53:54], v[63:64], v[0:1], v[57:58]
	;; [unrolled: 2-line block ×4, first 2 shown]
	s_waitcnt vmcnt(3)
	v_add_f64 v[6:7], v[6:7], -v[14:15]
	v_add_f64 v[8:9], v[8:9], -v[16:17]
	s_waitcnt vmcnt(2)
	v_add_f64 v[10:11], v[10:11], -v[49:50]
	v_add_f64 v[12:13], v[12:13], -v[53:54]
	;; [unrolled: 3-line block ×4, first 2 shown]
	s_clause 0x3
	scratch_store_b128 off, v[6:9], s7
	scratch_store_b128 off, v[10:13], s9
	;; [unrolled: 1-line block ×4, first 2 shown]
	s_cbranch_scc1 .LBB122_250
.LBB122_251:
	s_or_b32 exec_lo, exec_lo, s2
	s_waitcnt_vscnt null, 0x0
	s_barrier
	buffer_gl0_inv
	scratch_load_b128 v[0:3], v25, off
	v_lshl_add_u32 v4, v39, 4, v20
	s_cmp_lt_i32 s5, 12
	s_waitcnt vmcnt(0)
	ds_store_2addr_b64 v4, v[0:1], v[2:3] offset1:1
	s_waitcnt lgkmcnt(0)
	s_barrier
	buffer_gl0_inv
	ds_load_2addr_b64 v[0:3], v20 offset0:20 offset1:21
	v_mov_b32_e32 v4, 10
	s_cbranch_scc1 .LBB122_254
; %bb.252:
	v_add3_u32 v5, v37, 0, 0xb0
	v_mov_b32_e32 v4, 10
	s_mov_b32 s6, 11
	s_set_inst_prefetch_distance 0x1
	.p2align	6
.LBB122_253:                            ; =>This Inner Loop Header: Depth=1
	ds_load_2addr_b64 v[6:9], v5 offset1:1
	s_waitcnt lgkmcnt(1)
	v_cmp_gt_f64_e32 vcc_lo, 0, v[0:1]
	v_xor_b32_e32 v10, 0x80000000, v1
	v_cmp_gt_f64_e64 s2, 0, v[2:3]
	v_xor_b32_e32 v12, 0x80000000, v3
	v_add_nc_u32_e32 v5, 16, v5
	s_waitcnt lgkmcnt(0)
	v_cmp_gt_f64_e64 s3, 0, v[6:7]
	v_mov_b32_e32 v14, v6
	v_dual_mov_b32 v16, v8 :: v_dual_cndmask_b32 v11, v1, v10
	v_xor_b32_e32 v10, 0x80000000, v7
	v_cndmask_b32_e64 v13, v3, v12, s2
	v_xor_b32_e32 v12, 0x80000000, v9
	s_delay_alu instid0(VALU_DEP_3) | instskip(SKIP_2) | instid1(VALU_DEP_2)
	v_cndmask_b32_e64 v15, v7, v10, s3
	v_cmp_gt_f64_e64 s3, 0, v[8:9]
	v_cndmask_b32_e32 v10, v0, v0, vcc_lo
	v_cndmask_b32_e64 v17, v9, v12, s3
	v_cndmask_b32_e64 v12, v2, v2, s2
	s_delay_alu instid0(VALU_DEP_2) | instskip(NEXT) | instid1(VALU_DEP_2)
	v_add_f64 v[14:15], v[14:15], v[16:17]
	v_add_f64 v[10:11], v[10:11], v[12:13]
	s_delay_alu instid0(VALU_DEP_1)
	v_cmp_lt_f64_e32 vcc_lo, v[10:11], v[14:15]
	v_cndmask_b32_e32 v3, v3, v9, vcc_lo
	v_dual_cndmask_b32 v1, v1, v7 :: v_dual_cndmask_b32 v0, v0, v6
	v_cndmask_b32_e32 v2, v2, v8, vcc_lo
	v_cndmask_b32_e64 v4, v4, s6, vcc_lo
	s_add_i32 s6, s6, 1
	s_delay_alu instid0(SALU_CYCLE_1)
	s_cmp_lg_u32 s5, s6
	s_cbranch_scc1 .LBB122_253
.LBB122_254:
	s_set_inst_prefetch_distance 0x2
	s_waitcnt lgkmcnt(0)
	v_cmp_eq_f64_e32 vcc_lo, 0, v[0:1]
	v_cmp_eq_f64_e64 s2, 0, v[2:3]
	s_delay_alu instid0(VALU_DEP_1) | instskip(NEXT) | instid1(SALU_CYCLE_1)
	s_and_b32 s2, vcc_lo, s2
	s_and_saveexec_b32 s3, s2
	s_delay_alu instid0(SALU_CYCLE_1)
	s_xor_b32 s2, exec_lo, s3
; %bb.255:
	v_cmp_ne_u32_e32 vcc_lo, 0, v35
	v_cndmask_b32_e32 v35, 11, v35, vcc_lo
; %bb.256:
	s_and_not1_saveexec_b32 s3, s2
	s_cbranch_execz .LBB122_262
; %bb.257:
	v_cmp_gt_f64_e32 vcc_lo, 0, v[0:1]
	v_cmp_gt_f64_e64 s2, 0, v[2:3]
	v_xor_b32_e32 v5, 0x80000000, v1
	v_xor_b32_e32 v7, 0x80000000, v3
	s_delay_alu instid0(VALU_DEP_2) | instskip(NEXT) | instid1(VALU_DEP_2)
	v_dual_cndmask_b32 v6, v1, v5 :: v_dual_cndmask_b32 v5, v0, v0
	v_cndmask_b32_e64 v8, v3, v7, s2
	v_cndmask_b32_e64 v7, v2, v2, s2
	s_mov_b32 s2, exec_lo
	s_delay_alu instid0(VALU_DEP_1)
	v_cmpx_ngt_f64_e32 v[5:6], v[7:8]
	s_xor_b32 s2, exec_lo, s2
	s_cbranch_execz .LBB122_259
; %bb.258:
	v_div_scale_f64 v[5:6], null, v[2:3], v[2:3], v[0:1]
	v_div_scale_f64 v[11:12], vcc_lo, v[0:1], v[2:3], v[0:1]
	s_delay_alu instid0(VALU_DEP_2) | instskip(SKIP_2) | instid1(VALU_DEP_1)
	v_rcp_f64_e32 v[7:8], v[5:6]
	s_waitcnt_depctr 0xfff
	v_fma_f64 v[9:10], -v[5:6], v[7:8], 1.0
	v_fma_f64 v[7:8], v[7:8], v[9:10], v[7:8]
	s_delay_alu instid0(VALU_DEP_1) | instskip(NEXT) | instid1(VALU_DEP_1)
	v_fma_f64 v[9:10], -v[5:6], v[7:8], 1.0
	v_fma_f64 v[7:8], v[7:8], v[9:10], v[7:8]
	s_delay_alu instid0(VALU_DEP_1) | instskip(NEXT) | instid1(VALU_DEP_1)
	v_mul_f64 v[9:10], v[11:12], v[7:8]
	v_fma_f64 v[5:6], -v[5:6], v[9:10], v[11:12]
	s_delay_alu instid0(VALU_DEP_1) | instskip(NEXT) | instid1(VALU_DEP_1)
	v_div_fmas_f64 v[5:6], v[5:6], v[7:8], v[9:10]
	v_div_fixup_f64 v[5:6], v[5:6], v[2:3], v[0:1]
	s_delay_alu instid0(VALU_DEP_1) | instskip(NEXT) | instid1(VALU_DEP_1)
	v_fma_f64 v[0:1], v[0:1], v[5:6], v[2:3]
	v_div_scale_f64 v[2:3], null, v[0:1], v[0:1], 1.0
	s_delay_alu instid0(VALU_DEP_1) | instskip(SKIP_2) | instid1(VALU_DEP_1)
	v_rcp_f64_e32 v[7:8], v[2:3]
	s_waitcnt_depctr 0xfff
	v_fma_f64 v[9:10], -v[2:3], v[7:8], 1.0
	v_fma_f64 v[7:8], v[7:8], v[9:10], v[7:8]
	s_delay_alu instid0(VALU_DEP_1) | instskip(NEXT) | instid1(VALU_DEP_1)
	v_fma_f64 v[9:10], -v[2:3], v[7:8], 1.0
	v_fma_f64 v[7:8], v[7:8], v[9:10], v[7:8]
	v_div_scale_f64 v[9:10], vcc_lo, 1.0, v[0:1], 1.0
	s_delay_alu instid0(VALU_DEP_1) | instskip(NEXT) | instid1(VALU_DEP_1)
	v_mul_f64 v[11:12], v[9:10], v[7:8]
	v_fma_f64 v[2:3], -v[2:3], v[11:12], v[9:10]
	s_delay_alu instid0(VALU_DEP_1) | instskip(NEXT) | instid1(VALU_DEP_1)
	v_div_fmas_f64 v[2:3], v[2:3], v[7:8], v[11:12]
	v_div_fixup_f64 v[2:3], v[2:3], v[0:1], 1.0
	s_delay_alu instid0(VALU_DEP_1)
	v_mul_f64 v[0:1], v[5:6], v[2:3]
	v_xor_b32_e32 v3, 0x80000000, v3
.LBB122_259:
	s_and_not1_saveexec_b32 s2, s2
	s_cbranch_execz .LBB122_261
; %bb.260:
	s_delay_alu instid0(VALU_DEP_1) | instskip(SKIP_1) | instid1(VALU_DEP_2)
	v_div_scale_f64 v[5:6], null, v[0:1], v[0:1], v[2:3]
	v_div_scale_f64 v[11:12], vcc_lo, v[2:3], v[0:1], v[2:3]
	v_rcp_f64_e32 v[7:8], v[5:6]
	s_waitcnt_depctr 0xfff
	v_fma_f64 v[9:10], -v[5:6], v[7:8], 1.0
	s_delay_alu instid0(VALU_DEP_1) | instskip(NEXT) | instid1(VALU_DEP_1)
	v_fma_f64 v[7:8], v[7:8], v[9:10], v[7:8]
	v_fma_f64 v[9:10], -v[5:6], v[7:8], 1.0
	s_delay_alu instid0(VALU_DEP_1) | instskip(NEXT) | instid1(VALU_DEP_1)
	v_fma_f64 v[7:8], v[7:8], v[9:10], v[7:8]
	v_mul_f64 v[9:10], v[11:12], v[7:8]
	s_delay_alu instid0(VALU_DEP_1) | instskip(NEXT) | instid1(VALU_DEP_1)
	v_fma_f64 v[5:6], -v[5:6], v[9:10], v[11:12]
	v_div_fmas_f64 v[5:6], v[5:6], v[7:8], v[9:10]
	s_delay_alu instid0(VALU_DEP_1) | instskip(NEXT) | instid1(VALU_DEP_1)
	v_div_fixup_f64 v[5:6], v[5:6], v[0:1], v[2:3]
	v_fma_f64 v[0:1], v[2:3], v[5:6], v[0:1]
	s_delay_alu instid0(VALU_DEP_1) | instskip(NEXT) | instid1(VALU_DEP_1)
	v_div_scale_f64 v[2:3], null, v[0:1], v[0:1], 1.0
	v_rcp_f64_e32 v[7:8], v[2:3]
	s_waitcnt_depctr 0xfff
	v_fma_f64 v[9:10], -v[2:3], v[7:8], 1.0
	s_delay_alu instid0(VALU_DEP_1) | instskip(NEXT) | instid1(VALU_DEP_1)
	v_fma_f64 v[7:8], v[7:8], v[9:10], v[7:8]
	v_fma_f64 v[9:10], -v[2:3], v[7:8], 1.0
	s_delay_alu instid0(VALU_DEP_1) | instskip(SKIP_1) | instid1(VALU_DEP_1)
	v_fma_f64 v[7:8], v[7:8], v[9:10], v[7:8]
	v_div_scale_f64 v[9:10], vcc_lo, 1.0, v[0:1], 1.0
	v_mul_f64 v[11:12], v[9:10], v[7:8]
	s_delay_alu instid0(VALU_DEP_1) | instskip(NEXT) | instid1(VALU_DEP_1)
	v_fma_f64 v[2:3], -v[2:3], v[11:12], v[9:10]
	v_div_fmas_f64 v[2:3], v[2:3], v[7:8], v[11:12]
	s_delay_alu instid0(VALU_DEP_1) | instskip(NEXT) | instid1(VALU_DEP_1)
	v_div_fixup_f64 v[0:1], v[2:3], v[0:1], 1.0
	v_mul_f64 v[2:3], v[5:6], -v[0:1]
.LBB122_261:
	s_or_b32 exec_lo, exec_lo, s2
.LBB122_262:
	s_delay_alu instid0(SALU_CYCLE_1) | instskip(NEXT) | instid1(SALU_CYCLE_1)
	s_or_b32 exec_lo, exec_lo, s3
	s_mov_b32 s2, exec_lo
	v_cmpx_ne_u32_e64 v39, v4
	s_xor_b32 s2, exec_lo, s2
	s_cbranch_execz .LBB122_268
; %bb.263:
	s_mov_b32 s3, exec_lo
	v_cmpx_eq_u32_e32 10, v39
	s_cbranch_execz .LBB122_267
; %bb.264:
	v_cmp_ne_u32_e32 vcc_lo, 10, v4
	s_xor_b32 s6, s4, -1
	s_delay_alu instid0(SALU_CYCLE_1) | instskip(NEXT) | instid1(SALU_CYCLE_1)
	s_and_b32 s7, s6, vcc_lo
	s_and_saveexec_b32 s6, s7
	s_cbranch_execz .LBB122_266
; %bb.265:
	v_ashrrev_i32_e32 v5, 31, v4
	s_delay_alu instid0(VALU_DEP_1) | instskip(NEXT) | instid1(VALU_DEP_1)
	v_lshlrev_b64 v[5:6], 2, v[4:5]
	v_add_co_u32 v5, vcc_lo, v18, v5
	s_delay_alu instid0(VALU_DEP_2)
	v_add_co_ci_u32_e32 v6, vcc_lo, v19, v6, vcc_lo
	s_clause 0x1
	flat_load_b32 v7, v[5:6]
	flat_load_b32 v8, v[18:19] offset:40
	s_waitcnt vmcnt(1) lgkmcnt(1)
	flat_store_b32 v[18:19], v7 offset:40
	s_waitcnt vmcnt(0) lgkmcnt(1)
	flat_store_b32 v[5:6], v8
.LBB122_266:
	s_or_b32 exec_lo, exec_lo, s6
	v_mov_b32_e32 v39, v4
	v_mov_b32_e32 v38, v4
.LBB122_267:
	s_or_b32 exec_lo, exec_lo, s3
.LBB122_268:
	s_and_not1_saveexec_b32 s2, s2
	s_cbranch_execz .LBB122_272
; %bb.269:
	v_add3_u32 v4, v37, 0, 0xb0
	v_mov_b32_e32 v5, 0
	s_mov_b32 s3, 0
.LBB122_270:                            ; =>This Inner Loop Header: Depth=1
	s_delay_alu instid0(VALU_DEP_1) | instskip(NEXT) | instid1(VALU_DEP_3)
	v_readfirstlane_b32 s6, v5
	v_add_nc_u32_e32 v14, s3, v4
	s_delay_alu instid0(VALU_DEP_2)
	s_add_i32 s6, s6, s3
	s_addk_i32 s3, 0x110
	s_add_i32 s7, s6, 0xb0
	s_add_i32 s9, s6, 0xc0
	;; [unrolled: 1-line block ×16, first 2 shown]
	s_addk_i32 s6, 0x1b0
	s_clause 0x10
	scratch_load_b128 v[6:9], off, s7
	scratch_load_b128 v[10:13], off, s9
	scratch_load_b128 v[41:44], off, s12
	scratch_load_b128 v[45:48], off, s14
	scratch_load_b128 v[53:56], off, s15
	scratch_load_b128 v[61:64], off, s16
	scratch_load_b128 v[69:72], off, s17
	scratch_load_b128 v[77:80], off, s18
	scratch_load_b128 v[126:129], off, s19
	scratch_load_b128 v[137:140], off, s20
	scratch_load_b128 v[171:174], off, s21
	scratch_load_b128 v[175:178], off, s22
	scratch_load_b128 v[179:182], off, s23
	scratch_load_b128 v[183:186], off, s24
	scratch_load_b128 v[187:190], off, s25
	scratch_load_b128 v[191:194], off, s26
	scratch_load_b128 v[195:198], off, s6
	s_cmpk_eq_i32 s3, 0x330
	s_waitcnt vmcnt(16)
	ds_store_2addr_b64 v14, v[6:7], v[8:9] offset1:1
	s_waitcnt vmcnt(15)
	ds_store_2addr_b64 v14, v[10:11], v[12:13] offset0:2 offset1:3
	s_waitcnt vmcnt(14)
	ds_store_2addr_b64 v14, v[41:42], v[43:44] offset0:4 offset1:5
	;; [unrolled: 2-line block ×16, first 2 shown]
	s_cbranch_scc0 .LBB122_270
; %bb.271:
	v_mov_b32_e32 v39, 10
.LBB122_272:
	s_or_b32 exec_lo, exec_lo, s2
	s_delay_alu instid0(SALU_CYCLE_1)
	s_mov_b32 s2, exec_lo
	s_waitcnt lgkmcnt(0)
	s_waitcnt_vscnt null, 0x0
	s_barrier
	buffer_gl0_inv
	v_cmpx_lt_i32_e32 10, v39
	s_cbranch_execz .LBB122_275
; %bb.273:
	scratch_load_b128 v[4:7], off, off offset:160
	s_mov_b32 s3, 0
	s_waitcnt vmcnt(0)
	v_mul_f64 v[8:9], v[2:3], v[6:7]
	v_mul_f64 v[6:7], v[0:1], v[6:7]
	s_delay_alu instid0(VALU_DEP_2) | instskip(NEXT) | instid1(VALU_DEP_2)
	v_fma_f64 v[0:1], v[0:1], v[4:5], -v[8:9]
	v_fma_f64 v[2:3], v[2:3], v[4:5], v[6:7]
	v_add3_u32 v4, v37, 0, 0xb0
	v_mov_b32_e32 v5, 0
	scratch_store_b128 off, v[0:3], off offset:160
.LBB122_274:                            ; =>This Inner Loop Header: Depth=1
	v_readfirstlane_b32 s6, v5
	v_add_nc_u32_e32 v14, s3, v4
	s_delay_alu instid0(VALU_DEP_2)
	s_add_i32 s6, s6, s3
	s_add_i32 s3, s3, 48
	;; [unrolled: 1-line block ×4, first 2 shown]
	s_addk_i32 s6, 0xd0
	s_clause 0x2
	scratch_load_b128 v[6:9], off, s7
	scratch_load_b128 v[10:13], off, s9
	;; [unrolled: 1-line block ×3, first 2 shown]
	ds_load_2addr_b64 v[45:48], v14 offset1:1
	ds_load_2addr_b64 v[53:56], v14 offset0:2 offset1:3
	ds_load_2addr_b64 v[61:64], v14 offset0:4 offset1:5
	s_cmpk_lg_i32 s3, 0x330
	s_waitcnt lgkmcnt(2)
	v_mul_f64 v[14:15], v[47:48], v[2:3]
	v_mul_f64 v[16:17], v[45:46], v[2:3]
	s_waitcnt lgkmcnt(1)
	v_mul_f64 v[49:50], v[55:56], v[2:3]
	v_mul_f64 v[57:58], v[53:54], v[2:3]
	;; [unrolled: 3-line block ×3, first 2 shown]
	v_fma_f64 v[14:15], v[45:46], v[0:1], -v[14:15]
	v_fma_f64 v[16:17], v[47:48], v[0:1], v[16:17]
	v_fma_f64 v[45:46], v[53:54], v[0:1], -v[49:50]
	v_fma_f64 v[47:48], v[55:56], v[0:1], v[57:58]
	;; [unrolled: 2-line block ×3, first 2 shown]
	s_waitcnt vmcnt(2)
	v_add_f64 v[6:7], v[6:7], -v[14:15]
	v_add_f64 v[8:9], v[8:9], -v[16:17]
	s_waitcnt vmcnt(1)
	v_add_f64 v[10:11], v[10:11], -v[45:46]
	v_add_f64 v[12:13], v[12:13], -v[47:48]
	;; [unrolled: 3-line block ×3, first 2 shown]
	s_clause 0x2
	scratch_store_b128 off, v[6:9], s7
	scratch_store_b128 off, v[10:13], s9
	;; [unrolled: 1-line block ×3, first 2 shown]
	s_cbranch_scc1 .LBB122_274
.LBB122_275:
	s_or_b32 exec_lo, exec_lo, s2
	s_waitcnt_vscnt null, 0x0
	s_barrier
	buffer_gl0_inv
	scratch_load_b128 v[0:3], v23, off
	v_lshl_add_u32 v4, v39, 4, v20
	s_cmp_lt_i32 s5, 13
	s_waitcnt vmcnt(0)
	ds_store_2addr_b64 v4, v[0:1], v[2:3] offset1:1
	s_waitcnt lgkmcnt(0)
	s_barrier
	buffer_gl0_inv
	ds_load_2addr_b64 v[0:3], v20 offset0:22 offset1:23
	v_mov_b32_e32 v4, 11
	s_cbranch_scc1 .LBB122_278
; %bb.276:
	v_add3_u32 v5, v37, 0, 0xc0
	v_mov_b32_e32 v4, 11
	s_mov_b32 s6, 12
	s_set_inst_prefetch_distance 0x1
	.p2align	6
.LBB122_277:                            ; =>This Inner Loop Header: Depth=1
	ds_load_2addr_b64 v[6:9], v5 offset1:1
	s_waitcnt lgkmcnt(1)
	v_cmp_gt_f64_e32 vcc_lo, 0, v[0:1]
	v_xor_b32_e32 v10, 0x80000000, v1
	v_cmp_gt_f64_e64 s2, 0, v[2:3]
	v_xor_b32_e32 v12, 0x80000000, v3
	v_add_nc_u32_e32 v5, 16, v5
	s_waitcnt lgkmcnt(0)
	v_cmp_gt_f64_e64 s3, 0, v[6:7]
	v_mov_b32_e32 v14, v6
	v_dual_mov_b32 v16, v8 :: v_dual_cndmask_b32 v11, v1, v10
	v_xor_b32_e32 v10, 0x80000000, v7
	v_cndmask_b32_e64 v13, v3, v12, s2
	v_xor_b32_e32 v12, 0x80000000, v9
	s_delay_alu instid0(VALU_DEP_3) | instskip(SKIP_2) | instid1(VALU_DEP_2)
	v_cndmask_b32_e64 v15, v7, v10, s3
	v_cmp_gt_f64_e64 s3, 0, v[8:9]
	v_cndmask_b32_e32 v10, v0, v0, vcc_lo
	v_cndmask_b32_e64 v17, v9, v12, s3
	v_cndmask_b32_e64 v12, v2, v2, s2
	s_delay_alu instid0(VALU_DEP_2) | instskip(NEXT) | instid1(VALU_DEP_2)
	v_add_f64 v[14:15], v[14:15], v[16:17]
	v_add_f64 v[10:11], v[10:11], v[12:13]
	s_delay_alu instid0(VALU_DEP_1)
	v_cmp_lt_f64_e32 vcc_lo, v[10:11], v[14:15]
	v_cndmask_b32_e32 v3, v3, v9, vcc_lo
	v_dual_cndmask_b32 v1, v1, v7 :: v_dual_cndmask_b32 v0, v0, v6
	v_cndmask_b32_e32 v2, v2, v8, vcc_lo
	v_cndmask_b32_e64 v4, v4, s6, vcc_lo
	s_add_i32 s6, s6, 1
	s_delay_alu instid0(SALU_CYCLE_1)
	s_cmp_lg_u32 s5, s6
	s_cbranch_scc1 .LBB122_277
.LBB122_278:
	s_set_inst_prefetch_distance 0x2
	s_waitcnt lgkmcnt(0)
	v_cmp_eq_f64_e32 vcc_lo, 0, v[0:1]
	v_cmp_eq_f64_e64 s2, 0, v[2:3]
	s_delay_alu instid0(VALU_DEP_1) | instskip(NEXT) | instid1(SALU_CYCLE_1)
	s_and_b32 s2, vcc_lo, s2
	s_and_saveexec_b32 s3, s2
	s_delay_alu instid0(SALU_CYCLE_1)
	s_xor_b32 s2, exec_lo, s3
; %bb.279:
	v_cmp_ne_u32_e32 vcc_lo, 0, v35
	v_cndmask_b32_e32 v35, 12, v35, vcc_lo
; %bb.280:
	s_and_not1_saveexec_b32 s3, s2
	s_cbranch_execz .LBB122_286
; %bb.281:
	v_cmp_gt_f64_e32 vcc_lo, 0, v[0:1]
	v_cmp_gt_f64_e64 s2, 0, v[2:3]
	v_xor_b32_e32 v5, 0x80000000, v1
	v_xor_b32_e32 v7, 0x80000000, v3
	s_delay_alu instid0(VALU_DEP_2) | instskip(NEXT) | instid1(VALU_DEP_2)
	v_dual_cndmask_b32 v6, v1, v5 :: v_dual_cndmask_b32 v5, v0, v0
	v_cndmask_b32_e64 v8, v3, v7, s2
	v_cndmask_b32_e64 v7, v2, v2, s2
	s_mov_b32 s2, exec_lo
	s_delay_alu instid0(VALU_DEP_1)
	v_cmpx_ngt_f64_e32 v[5:6], v[7:8]
	s_xor_b32 s2, exec_lo, s2
	s_cbranch_execz .LBB122_283
; %bb.282:
	v_div_scale_f64 v[5:6], null, v[2:3], v[2:3], v[0:1]
	v_div_scale_f64 v[11:12], vcc_lo, v[0:1], v[2:3], v[0:1]
	s_delay_alu instid0(VALU_DEP_2) | instskip(SKIP_2) | instid1(VALU_DEP_1)
	v_rcp_f64_e32 v[7:8], v[5:6]
	s_waitcnt_depctr 0xfff
	v_fma_f64 v[9:10], -v[5:6], v[7:8], 1.0
	v_fma_f64 v[7:8], v[7:8], v[9:10], v[7:8]
	s_delay_alu instid0(VALU_DEP_1) | instskip(NEXT) | instid1(VALU_DEP_1)
	v_fma_f64 v[9:10], -v[5:6], v[7:8], 1.0
	v_fma_f64 v[7:8], v[7:8], v[9:10], v[7:8]
	s_delay_alu instid0(VALU_DEP_1) | instskip(NEXT) | instid1(VALU_DEP_1)
	v_mul_f64 v[9:10], v[11:12], v[7:8]
	v_fma_f64 v[5:6], -v[5:6], v[9:10], v[11:12]
	s_delay_alu instid0(VALU_DEP_1) | instskip(NEXT) | instid1(VALU_DEP_1)
	v_div_fmas_f64 v[5:6], v[5:6], v[7:8], v[9:10]
	v_div_fixup_f64 v[5:6], v[5:6], v[2:3], v[0:1]
	s_delay_alu instid0(VALU_DEP_1) | instskip(NEXT) | instid1(VALU_DEP_1)
	v_fma_f64 v[0:1], v[0:1], v[5:6], v[2:3]
	v_div_scale_f64 v[2:3], null, v[0:1], v[0:1], 1.0
	s_delay_alu instid0(VALU_DEP_1) | instskip(SKIP_2) | instid1(VALU_DEP_1)
	v_rcp_f64_e32 v[7:8], v[2:3]
	s_waitcnt_depctr 0xfff
	v_fma_f64 v[9:10], -v[2:3], v[7:8], 1.0
	v_fma_f64 v[7:8], v[7:8], v[9:10], v[7:8]
	s_delay_alu instid0(VALU_DEP_1) | instskip(NEXT) | instid1(VALU_DEP_1)
	v_fma_f64 v[9:10], -v[2:3], v[7:8], 1.0
	v_fma_f64 v[7:8], v[7:8], v[9:10], v[7:8]
	v_div_scale_f64 v[9:10], vcc_lo, 1.0, v[0:1], 1.0
	s_delay_alu instid0(VALU_DEP_1) | instskip(NEXT) | instid1(VALU_DEP_1)
	v_mul_f64 v[11:12], v[9:10], v[7:8]
	v_fma_f64 v[2:3], -v[2:3], v[11:12], v[9:10]
	s_delay_alu instid0(VALU_DEP_1) | instskip(NEXT) | instid1(VALU_DEP_1)
	v_div_fmas_f64 v[2:3], v[2:3], v[7:8], v[11:12]
	v_div_fixup_f64 v[2:3], v[2:3], v[0:1], 1.0
	s_delay_alu instid0(VALU_DEP_1)
	v_mul_f64 v[0:1], v[5:6], v[2:3]
	v_xor_b32_e32 v3, 0x80000000, v3
.LBB122_283:
	s_and_not1_saveexec_b32 s2, s2
	s_cbranch_execz .LBB122_285
; %bb.284:
	s_delay_alu instid0(VALU_DEP_1) | instskip(SKIP_1) | instid1(VALU_DEP_2)
	v_div_scale_f64 v[5:6], null, v[0:1], v[0:1], v[2:3]
	v_div_scale_f64 v[11:12], vcc_lo, v[2:3], v[0:1], v[2:3]
	v_rcp_f64_e32 v[7:8], v[5:6]
	s_waitcnt_depctr 0xfff
	v_fma_f64 v[9:10], -v[5:6], v[7:8], 1.0
	s_delay_alu instid0(VALU_DEP_1) | instskip(NEXT) | instid1(VALU_DEP_1)
	v_fma_f64 v[7:8], v[7:8], v[9:10], v[7:8]
	v_fma_f64 v[9:10], -v[5:6], v[7:8], 1.0
	s_delay_alu instid0(VALU_DEP_1) | instskip(NEXT) | instid1(VALU_DEP_1)
	v_fma_f64 v[7:8], v[7:8], v[9:10], v[7:8]
	v_mul_f64 v[9:10], v[11:12], v[7:8]
	s_delay_alu instid0(VALU_DEP_1) | instskip(NEXT) | instid1(VALU_DEP_1)
	v_fma_f64 v[5:6], -v[5:6], v[9:10], v[11:12]
	v_div_fmas_f64 v[5:6], v[5:6], v[7:8], v[9:10]
	s_delay_alu instid0(VALU_DEP_1) | instskip(NEXT) | instid1(VALU_DEP_1)
	v_div_fixup_f64 v[5:6], v[5:6], v[0:1], v[2:3]
	v_fma_f64 v[0:1], v[2:3], v[5:6], v[0:1]
	s_delay_alu instid0(VALU_DEP_1) | instskip(NEXT) | instid1(VALU_DEP_1)
	v_div_scale_f64 v[2:3], null, v[0:1], v[0:1], 1.0
	v_rcp_f64_e32 v[7:8], v[2:3]
	s_waitcnt_depctr 0xfff
	v_fma_f64 v[9:10], -v[2:3], v[7:8], 1.0
	s_delay_alu instid0(VALU_DEP_1) | instskip(NEXT) | instid1(VALU_DEP_1)
	v_fma_f64 v[7:8], v[7:8], v[9:10], v[7:8]
	v_fma_f64 v[9:10], -v[2:3], v[7:8], 1.0
	s_delay_alu instid0(VALU_DEP_1) | instskip(SKIP_1) | instid1(VALU_DEP_1)
	v_fma_f64 v[7:8], v[7:8], v[9:10], v[7:8]
	v_div_scale_f64 v[9:10], vcc_lo, 1.0, v[0:1], 1.0
	v_mul_f64 v[11:12], v[9:10], v[7:8]
	s_delay_alu instid0(VALU_DEP_1) | instskip(NEXT) | instid1(VALU_DEP_1)
	v_fma_f64 v[2:3], -v[2:3], v[11:12], v[9:10]
	v_div_fmas_f64 v[2:3], v[2:3], v[7:8], v[11:12]
	s_delay_alu instid0(VALU_DEP_1) | instskip(NEXT) | instid1(VALU_DEP_1)
	v_div_fixup_f64 v[0:1], v[2:3], v[0:1], 1.0
	v_mul_f64 v[2:3], v[5:6], -v[0:1]
.LBB122_285:
	s_or_b32 exec_lo, exec_lo, s2
.LBB122_286:
	s_delay_alu instid0(SALU_CYCLE_1) | instskip(NEXT) | instid1(SALU_CYCLE_1)
	s_or_b32 exec_lo, exec_lo, s3
	s_mov_b32 s2, exec_lo
	v_cmpx_ne_u32_e64 v39, v4
	s_xor_b32 s2, exec_lo, s2
	s_cbranch_execz .LBB122_292
; %bb.287:
	s_mov_b32 s3, exec_lo
	v_cmpx_eq_u32_e32 11, v39
	s_cbranch_execz .LBB122_291
; %bb.288:
	v_cmp_ne_u32_e32 vcc_lo, 11, v4
	s_xor_b32 s6, s4, -1
	s_delay_alu instid0(SALU_CYCLE_1) | instskip(NEXT) | instid1(SALU_CYCLE_1)
	s_and_b32 s7, s6, vcc_lo
	s_and_saveexec_b32 s6, s7
	s_cbranch_execz .LBB122_290
; %bb.289:
	v_ashrrev_i32_e32 v5, 31, v4
	s_delay_alu instid0(VALU_DEP_1) | instskip(NEXT) | instid1(VALU_DEP_1)
	v_lshlrev_b64 v[5:6], 2, v[4:5]
	v_add_co_u32 v5, vcc_lo, v18, v5
	s_delay_alu instid0(VALU_DEP_2)
	v_add_co_ci_u32_e32 v6, vcc_lo, v19, v6, vcc_lo
	s_clause 0x1
	flat_load_b32 v7, v[5:6]
	flat_load_b32 v8, v[18:19] offset:44
	s_waitcnt vmcnt(1) lgkmcnt(1)
	flat_store_b32 v[18:19], v7 offset:44
	s_waitcnt vmcnt(0) lgkmcnt(1)
	flat_store_b32 v[5:6], v8
.LBB122_290:
	s_or_b32 exec_lo, exec_lo, s6
	v_mov_b32_e32 v39, v4
	v_mov_b32_e32 v38, v4
.LBB122_291:
	s_or_b32 exec_lo, exec_lo, s3
.LBB122_292:
	s_and_not1_saveexec_b32 s2, s2
	s_cbranch_execz .LBB122_296
; %bb.293:
	v_add3_u32 v4, v37, 0, 0xc0
	v_mov_b32_e32 v5, 0
	s_mov_b32 s3, 0
.LBB122_294:                            ; =>This Inner Loop Header: Depth=1
	s_delay_alu instid0(VALU_DEP_1) | instskip(NEXT) | instid1(VALU_DEP_3)
	v_readfirstlane_b32 s6, v5
	v_add_nc_u32_e32 v14, s3, v4
	s_delay_alu instid0(VALU_DEP_2)
	s_add_i32 s6, s6, s3
	s_addk_i32 s3, 0xa0
	s_add_i32 s7, s6, 0xc0
	s_add_i32 s9, s6, 0xd0
	;; [unrolled: 1-line block ×9, first 2 shown]
	s_addk_i32 s6, 0x150
	s_clause 0x9
	scratch_load_b128 v[6:9], off, s7
	scratch_load_b128 v[10:13], off, s9
	;; [unrolled: 1-line block ×10, first 2 shown]
	s_cmpk_eq_i32 s3, 0x320
	s_waitcnt vmcnt(9)
	ds_store_2addr_b64 v14, v[6:7], v[8:9] offset1:1
	s_waitcnt vmcnt(8)
	ds_store_2addr_b64 v14, v[10:11], v[12:13] offset0:2 offset1:3
	s_waitcnt vmcnt(7)
	ds_store_2addr_b64 v14, v[41:42], v[43:44] offset0:4 offset1:5
	s_waitcnt vmcnt(6)
	ds_store_2addr_b64 v14, v[45:46], v[47:48] offset0:6 offset1:7
	s_waitcnt vmcnt(5)
	ds_store_2addr_b64 v14, v[53:54], v[55:56] offset0:8 offset1:9
	s_waitcnt vmcnt(4)
	ds_store_2addr_b64 v14, v[61:62], v[63:64] offset0:10 offset1:11
	s_waitcnt vmcnt(3)
	ds_store_2addr_b64 v14, v[69:70], v[71:72] offset0:12 offset1:13
	s_waitcnt vmcnt(2)
	ds_store_2addr_b64 v14, v[77:78], v[79:80] offset0:14 offset1:15
	s_waitcnt vmcnt(1)
	ds_store_2addr_b64 v14, v[126:127], v[128:129] offset0:16 offset1:17
	s_waitcnt vmcnt(0)
	ds_store_2addr_b64 v14, v[137:138], v[139:140] offset0:18 offset1:19
	s_cbranch_scc0 .LBB122_294
; %bb.295:
	v_mov_b32_e32 v39, 11
.LBB122_296:
	s_or_b32 exec_lo, exec_lo, s2
	s_delay_alu instid0(SALU_CYCLE_1)
	s_mov_b32 s2, exec_lo
	s_waitcnt lgkmcnt(0)
	s_waitcnt_vscnt null, 0x0
	s_barrier
	buffer_gl0_inv
	v_cmpx_lt_i32_e32 11, v39
	s_cbranch_execz .LBB122_299
; %bb.297:
	scratch_load_b128 v[4:7], off, off offset:176
	s_mov_b32 s3, 0
	s_waitcnt vmcnt(0)
	v_mul_f64 v[8:9], v[2:3], v[6:7]
	v_mul_f64 v[6:7], v[0:1], v[6:7]
	s_delay_alu instid0(VALU_DEP_2) | instskip(NEXT) | instid1(VALU_DEP_2)
	v_fma_f64 v[0:1], v[0:1], v[4:5], -v[8:9]
	v_fma_f64 v[2:3], v[2:3], v[4:5], v[6:7]
	v_add3_u32 v4, v37, 0, 0xc0
	v_mov_b32_e32 v5, 0
	scratch_store_b128 off, v[0:3], off offset:176
.LBB122_298:                            ; =>This Inner Loop Header: Depth=1
	v_readfirstlane_b32 s6, v5
	v_add_nc_u32_e32 v14, s3, v4
	s_delay_alu instid0(VALU_DEP_2)
	s_add_i32 s6, s6, s3
	s_addk_i32 s3, 0x50
	s_add_i32 s7, s6, 0xc0
	s_add_i32 s9, s6, 0xd0
	;; [unrolled: 1-line block ×4, first 2 shown]
	s_addk_i32 s6, 0x100
	s_clause 0x4
	scratch_load_b128 v[6:9], off, s7
	scratch_load_b128 v[10:13], off, s9
	;; [unrolled: 1-line block ×5, first 2 shown]
	ds_load_2addr_b64 v[61:64], v14 offset1:1
	ds_load_2addr_b64 v[69:72], v14 offset0:2 offset1:3
	ds_load_2addr_b64 v[77:80], v14 offset0:4 offset1:5
	;; [unrolled: 1-line block ×4, first 2 shown]
	s_cmpk_lg_i32 s3, 0x320
	s_waitcnt lgkmcnt(4)
	v_mul_f64 v[14:15], v[63:64], v[2:3]
	v_mul_f64 v[16:17], v[61:62], v[2:3]
	s_waitcnt lgkmcnt(3)
	v_mul_f64 v[49:50], v[71:72], v[2:3]
	v_mul_f64 v[57:58], v[69:70], v[2:3]
	;; [unrolled: 3-line block ×5, first 2 shown]
	v_fma_f64 v[14:15], v[61:62], v[0:1], -v[14:15]
	v_fma_f64 v[16:17], v[63:64], v[0:1], v[16:17]
	v_fma_f64 v[49:50], v[69:70], v[0:1], -v[49:50]
	v_fma_f64 v[57:58], v[71:72], v[0:1], v[57:58]
	;; [unrolled: 2-line block ×5, first 2 shown]
	s_waitcnt vmcnt(4)
	v_add_f64 v[6:7], v[6:7], -v[14:15]
	v_add_f64 v[8:9], v[8:9], -v[16:17]
	s_waitcnt vmcnt(3)
	v_add_f64 v[10:11], v[10:11], -v[49:50]
	v_add_f64 v[12:13], v[12:13], -v[57:58]
	;; [unrolled: 3-line block ×5, first 2 shown]
	s_clause 0x4
	scratch_store_b128 off, v[6:9], s7
	scratch_store_b128 off, v[10:13], s9
	;; [unrolled: 1-line block ×5, first 2 shown]
	s_cbranch_scc1 .LBB122_298
.LBB122_299:
	s_or_b32 exec_lo, exec_lo, s2
	s_waitcnt_vscnt null, 0x0
	s_barrier
	buffer_gl0_inv
	scratch_load_b128 v[0:3], v22, off
	v_lshl_add_u32 v4, v39, 4, v20
	s_cmp_lt_i32 s5, 14
	s_waitcnt vmcnt(0)
	ds_store_2addr_b64 v4, v[0:1], v[2:3] offset1:1
	s_waitcnt lgkmcnt(0)
	s_barrier
	buffer_gl0_inv
	ds_load_2addr_b64 v[0:3], v20 offset0:24 offset1:25
	v_mov_b32_e32 v4, 12
	s_cbranch_scc1 .LBB122_302
; %bb.300:
	v_add3_u32 v5, v37, 0, 0xd0
	v_mov_b32_e32 v4, 12
	s_mov_b32 s6, 13
	s_set_inst_prefetch_distance 0x1
	.p2align	6
.LBB122_301:                            ; =>This Inner Loop Header: Depth=1
	ds_load_2addr_b64 v[6:9], v5 offset1:1
	s_waitcnt lgkmcnt(1)
	v_cmp_gt_f64_e32 vcc_lo, 0, v[0:1]
	v_xor_b32_e32 v10, 0x80000000, v1
	v_cmp_gt_f64_e64 s2, 0, v[2:3]
	v_xor_b32_e32 v12, 0x80000000, v3
	v_add_nc_u32_e32 v5, 16, v5
	s_waitcnt lgkmcnt(0)
	v_cmp_gt_f64_e64 s3, 0, v[6:7]
	v_mov_b32_e32 v14, v6
	v_dual_mov_b32 v16, v8 :: v_dual_cndmask_b32 v11, v1, v10
	v_xor_b32_e32 v10, 0x80000000, v7
	v_cndmask_b32_e64 v13, v3, v12, s2
	v_xor_b32_e32 v12, 0x80000000, v9
	s_delay_alu instid0(VALU_DEP_3) | instskip(SKIP_2) | instid1(VALU_DEP_2)
	v_cndmask_b32_e64 v15, v7, v10, s3
	v_cmp_gt_f64_e64 s3, 0, v[8:9]
	v_cndmask_b32_e32 v10, v0, v0, vcc_lo
	v_cndmask_b32_e64 v17, v9, v12, s3
	v_cndmask_b32_e64 v12, v2, v2, s2
	s_delay_alu instid0(VALU_DEP_2) | instskip(NEXT) | instid1(VALU_DEP_2)
	v_add_f64 v[14:15], v[14:15], v[16:17]
	v_add_f64 v[10:11], v[10:11], v[12:13]
	s_delay_alu instid0(VALU_DEP_1)
	v_cmp_lt_f64_e32 vcc_lo, v[10:11], v[14:15]
	v_cndmask_b32_e32 v3, v3, v9, vcc_lo
	v_dual_cndmask_b32 v1, v1, v7 :: v_dual_cndmask_b32 v0, v0, v6
	v_cndmask_b32_e32 v2, v2, v8, vcc_lo
	v_cndmask_b32_e64 v4, v4, s6, vcc_lo
	s_add_i32 s6, s6, 1
	s_delay_alu instid0(SALU_CYCLE_1)
	s_cmp_lg_u32 s5, s6
	s_cbranch_scc1 .LBB122_301
.LBB122_302:
	s_set_inst_prefetch_distance 0x2
	s_waitcnt lgkmcnt(0)
	v_cmp_eq_f64_e32 vcc_lo, 0, v[0:1]
	v_cmp_eq_f64_e64 s2, 0, v[2:3]
	s_delay_alu instid0(VALU_DEP_1) | instskip(NEXT) | instid1(SALU_CYCLE_1)
	s_and_b32 s2, vcc_lo, s2
	s_and_saveexec_b32 s3, s2
	s_delay_alu instid0(SALU_CYCLE_1)
	s_xor_b32 s2, exec_lo, s3
; %bb.303:
	v_cmp_ne_u32_e32 vcc_lo, 0, v35
	v_cndmask_b32_e32 v35, 13, v35, vcc_lo
; %bb.304:
	s_and_not1_saveexec_b32 s3, s2
	s_cbranch_execz .LBB122_310
; %bb.305:
	v_cmp_gt_f64_e32 vcc_lo, 0, v[0:1]
	v_cmp_gt_f64_e64 s2, 0, v[2:3]
	v_xor_b32_e32 v5, 0x80000000, v1
	v_xor_b32_e32 v7, 0x80000000, v3
	s_delay_alu instid0(VALU_DEP_2) | instskip(NEXT) | instid1(VALU_DEP_2)
	v_dual_cndmask_b32 v6, v1, v5 :: v_dual_cndmask_b32 v5, v0, v0
	v_cndmask_b32_e64 v8, v3, v7, s2
	v_cndmask_b32_e64 v7, v2, v2, s2
	s_mov_b32 s2, exec_lo
	s_delay_alu instid0(VALU_DEP_1)
	v_cmpx_ngt_f64_e32 v[5:6], v[7:8]
	s_xor_b32 s2, exec_lo, s2
	s_cbranch_execz .LBB122_307
; %bb.306:
	v_div_scale_f64 v[5:6], null, v[2:3], v[2:3], v[0:1]
	v_div_scale_f64 v[11:12], vcc_lo, v[0:1], v[2:3], v[0:1]
	s_delay_alu instid0(VALU_DEP_2) | instskip(SKIP_2) | instid1(VALU_DEP_1)
	v_rcp_f64_e32 v[7:8], v[5:6]
	s_waitcnt_depctr 0xfff
	v_fma_f64 v[9:10], -v[5:6], v[7:8], 1.0
	v_fma_f64 v[7:8], v[7:8], v[9:10], v[7:8]
	s_delay_alu instid0(VALU_DEP_1) | instskip(NEXT) | instid1(VALU_DEP_1)
	v_fma_f64 v[9:10], -v[5:6], v[7:8], 1.0
	v_fma_f64 v[7:8], v[7:8], v[9:10], v[7:8]
	s_delay_alu instid0(VALU_DEP_1) | instskip(NEXT) | instid1(VALU_DEP_1)
	v_mul_f64 v[9:10], v[11:12], v[7:8]
	v_fma_f64 v[5:6], -v[5:6], v[9:10], v[11:12]
	s_delay_alu instid0(VALU_DEP_1) | instskip(NEXT) | instid1(VALU_DEP_1)
	v_div_fmas_f64 v[5:6], v[5:6], v[7:8], v[9:10]
	v_div_fixup_f64 v[5:6], v[5:6], v[2:3], v[0:1]
	s_delay_alu instid0(VALU_DEP_1) | instskip(NEXT) | instid1(VALU_DEP_1)
	v_fma_f64 v[0:1], v[0:1], v[5:6], v[2:3]
	v_div_scale_f64 v[2:3], null, v[0:1], v[0:1], 1.0
	s_delay_alu instid0(VALU_DEP_1) | instskip(SKIP_2) | instid1(VALU_DEP_1)
	v_rcp_f64_e32 v[7:8], v[2:3]
	s_waitcnt_depctr 0xfff
	v_fma_f64 v[9:10], -v[2:3], v[7:8], 1.0
	v_fma_f64 v[7:8], v[7:8], v[9:10], v[7:8]
	s_delay_alu instid0(VALU_DEP_1) | instskip(NEXT) | instid1(VALU_DEP_1)
	v_fma_f64 v[9:10], -v[2:3], v[7:8], 1.0
	v_fma_f64 v[7:8], v[7:8], v[9:10], v[7:8]
	v_div_scale_f64 v[9:10], vcc_lo, 1.0, v[0:1], 1.0
	s_delay_alu instid0(VALU_DEP_1) | instskip(NEXT) | instid1(VALU_DEP_1)
	v_mul_f64 v[11:12], v[9:10], v[7:8]
	v_fma_f64 v[2:3], -v[2:3], v[11:12], v[9:10]
	s_delay_alu instid0(VALU_DEP_1) | instskip(NEXT) | instid1(VALU_DEP_1)
	v_div_fmas_f64 v[2:3], v[2:3], v[7:8], v[11:12]
	v_div_fixup_f64 v[2:3], v[2:3], v[0:1], 1.0
	s_delay_alu instid0(VALU_DEP_1)
	v_mul_f64 v[0:1], v[5:6], v[2:3]
	v_xor_b32_e32 v3, 0x80000000, v3
.LBB122_307:
	s_and_not1_saveexec_b32 s2, s2
	s_cbranch_execz .LBB122_309
; %bb.308:
	s_delay_alu instid0(VALU_DEP_1) | instskip(SKIP_1) | instid1(VALU_DEP_2)
	v_div_scale_f64 v[5:6], null, v[0:1], v[0:1], v[2:3]
	v_div_scale_f64 v[11:12], vcc_lo, v[2:3], v[0:1], v[2:3]
	v_rcp_f64_e32 v[7:8], v[5:6]
	s_waitcnt_depctr 0xfff
	v_fma_f64 v[9:10], -v[5:6], v[7:8], 1.0
	s_delay_alu instid0(VALU_DEP_1) | instskip(NEXT) | instid1(VALU_DEP_1)
	v_fma_f64 v[7:8], v[7:8], v[9:10], v[7:8]
	v_fma_f64 v[9:10], -v[5:6], v[7:8], 1.0
	s_delay_alu instid0(VALU_DEP_1) | instskip(NEXT) | instid1(VALU_DEP_1)
	v_fma_f64 v[7:8], v[7:8], v[9:10], v[7:8]
	v_mul_f64 v[9:10], v[11:12], v[7:8]
	s_delay_alu instid0(VALU_DEP_1) | instskip(NEXT) | instid1(VALU_DEP_1)
	v_fma_f64 v[5:6], -v[5:6], v[9:10], v[11:12]
	v_div_fmas_f64 v[5:6], v[5:6], v[7:8], v[9:10]
	s_delay_alu instid0(VALU_DEP_1) | instskip(NEXT) | instid1(VALU_DEP_1)
	v_div_fixup_f64 v[5:6], v[5:6], v[0:1], v[2:3]
	v_fma_f64 v[0:1], v[2:3], v[5:6], v[0:1]
	s_delay_alu instid0(VALU_DEP_1) | instskip(NEXT) | instid1(VALU_DEP_1)
	v_div_scale_f64 v[2:3], null, v[0:1], v[0:1], 1.0
	v_rcp_f64_e32 v[7:8], v[2:3]
	s_waitcnt_depctr 0xfff
	v_fma_f64 v[9:10], -v[2:3], v[7:8], 1.0
	s_delay_alu instid0(VALU_DEP_1) | instskip(NEXT) | instid1(VALU_DEP_1)
	v_fma_f64 v[7:8], v[7:8], v[9:10], v[7:8]
	v_fma_f64 v[9:10], -v[2:3], v[7:8], 1.0
	s_delay_alu instid0(VALU_DEP_1) | instskip(SKIP_1) | instid1(VALU_DEP_1)
	v_fma_f64 v[7:8], v[7:8], v[9:10], v[7:8]
	v_div_scale_f64 v[9:10], vcc_lo, 1.0, v[0:1], 1.0
	v_mul_f64 v[11:12], v[9:10], v[7:8]
	s_delay_alu instid0(VALU_DEP_1) | instskip(NEXT) | instid1(VALU_DEP_1)
	v_fma_f64 v[2:3], -v[2:3], v[11:12], v[9:10]
	v_div_fmas_f64 v[2:3], v[2:3], v[7:8], v[11:12]
	s_delay_alu instid0(VALU_DEP_1) | instskip(NEXT) | instid1(VALU_DEP_1)
	v_div_fixup_f64 v[0:1], v[2:3], v[0:1], 1.0
	v_mul_f64 v[2:3], v[5:6], -v[0:1]
.LBB122_309:
	s_or_b32 exec_lo, exec_lo, s2
.LBB122_310:
	s_delay_alu instid0(SALU_CYCLE_1) | instskip(NEXT) | instid1(SALU_CYCLE_1)
	s_or_b32 exec_lo, exec_lo, s3
	s_mov_b32 s2, exec_lo
	v_cmpx_ne_u32_e64 v39, v4
	s_xor_b32 s2, exec_lo, s2
	s_cbranch_execz .LBB122_316
; %bb.311:
	s_mov_b32 s3, exec_lo
	v_cmpx_eq_u32_e32 12, v39
	s_cbranch_execz .LBB122_315
; %bb.312:
	v_cmp_ne_u32_e32 vcc_lo, 12, v4
	s_xor_b32 s6, s4, -1
	s_delay_alu instid0(SALU_CYCLE_1) | instskip(NEXT) | instid1(SALU_CYCLE_1)
	s_and_b32 s7, s6, vcc_lo
	s_and_saveexec_b32 s6, s7
	s_cbranch_execz .LBB122_314
; %bb.313:
	v_ashrrev_i32_e32 v5, 31, v4
	s_delay_alu instid0(VALU_DEP_1) | instskip(NEXT) | instid1(VALU_DEP_1)
	v_lshlrev_b64 v[5:6], 2, v[4:5]
	v_add_co_u32 v5, vcc_lo, v18, v5
	s_delay_alu instid0(VALU_DEP_2)
	v_add_co_ci_u32_e32 v6, vcc_lo, v19, v6, vcc_lo
	s_clause 0x1
	flat_load_b32 v7, v[5:6]
	flat_load_b32 v8, v[18:19] offset:48
	s_waitcnt vmcnt(1) lgkmcnt(1)
	flat_store_b32 v[18:19], v7 offset:48
	s_waitcnt vmcnt(0) lgkmcnt(1)
	flat_store_b32 v[5:6], v8
.LBB122_314:
	s_or_b32 exec_lo, exec_lo, s6
	v_mov_b32_e32 v39, v4
	v_mov_b32_e32 v38, v4
.LBB122_315:
	s_or_b32 exec_lo, exec_lo, s3
.LBB122_316:
	s_and_not1_saveexec_b32 s2, s2
	s_cbranch_execz .LBB122_320
; %bb.317:
	v_add3_u32 v4, v37, 0, 0xd0
	v_mov_b32_e32 v5, 0
	s_mov_b32 s3, 0
	s_set_inst_prefetch_distance 0x1
	.p2align	6
.LBB122_318:                            ; =>This Inner Loop Header: Depth=1
	s_delay_alu instid0(VALU_DEP_1) | instskip(SKIP_1) | instid1(VALU_DEP_2)
	v_readfirstlane_b32 s6, v5
	v_add_nc_u32_e32 v14, s3, v4
	s_add_i32 s6, s6, s3
	s_addk_i32 s3, 0x70
	s_add_i32 s7, s6, 0xd0
	s_add_i32 s9, s6, 0xe0
	;; [unrolled: 1-line block ×6, first 2 shown]
	s_addk_i32 s6, 0x130
	s_clause 0x6
	scratch_load_b128 v[6:9], off, s7
	scratch_load_b128 v[10:13], off, s9
	;; [unrolled: 1-line block ×7, first 2 shown]
	s_cmpk_eq_i32 s3, 0x310
	s_waitcnt vmcnt(6)
	ds_store_2addr_b64 v14, v[6:7], v[8:9] offset1:1
	s_waitcnt vmcnt(5)
	ds_store_2addr_b64 v14, v[10:11], v[12:13] offset0:2 offset1:3
	s_waitcnt vmcnt(4)
	ds_store_2addr_b64 v14, v[41:42], v[43:44] offset0:4 offset1:5
	;; [unrolled: 2-line block ×6, first 2 shown]
	s_cbranch_scc0 .LBB122_318
; %bb.319:
	s_set_inst_prefetch_distance 0x2
	v_mov_b32_e32 v39, 12
.LBB122_320:
	s_or_b32 exec_lo, exec_lo, s2
	s_delay_alu instid0(SALU_CYCLE_1)
	s_mov_b32 s2, exec_lo
	s_waitcnt lgkmcnt(0)
	s_waitcnt_vscnt null, 0x0
	s_barrier
	buffer_gl0_inv
	v_cmpx_lt_i32_e32 12, v39
	s_cbranch_execz .LBB122_323
; %bb.321:
	scratch_load_b128 v[4:7], off, off offset:192
	s_mov_b32 s3, 0
	s_waitcnt vmcnt(0)
	v_mul_f64 v[8:9], v[2:3], v[6:7]
	v_mul_f64 v[6:7], v[0:1], v[6:7]
	s_delay_alu instid0(VALU_DEP_2) | instskip(NEXT) | instid1(VALU_DEP_2)
	v_fma_f64 v[0:1], v[0:1], v[4:5], -v[8:9]
	v_fma_f64 v[2:3], v[2:3], v[4:5], v[6:7]
	v_add3_u32 v4, v37, 0, 0xd0
	v_mov_b32_e32 v5, 0
	scratch_store_b128 off, v[0:3], off offset:192
.LBB122_322:                            ; =>This Inner Loop Header: Depth=1
	v_add_nc_u32_e32 v51, s3, v4
	v_readfirstlane_b32 s6, v5
	ds_load_2addr_b64 v[6:9], v51 offset1:1
	ds_load_2addr_b64 v[10:13], v51 offset0:2 offset1:3
	ds_load_2addr_b64 v[41:44], v51 offset0:4 offset1:5
	ds_load_2addr_b64 v[45:48], v51 offset0:6 offset1:7
	ds_load_2addr_b64 v[53:56], v51 offset0:8 offset1:9
	ds_load_2addr_b64 v[61:64], v51 offset0:10 offset1:11
	s_add_i32 s6, s6, s3
	s_addk_i32 s3, 0x70
	s_add_i32 s7, s6, 0xd0
	s_add_i32 s9, s6, 0xe0
	;; [unrolled: 1-line block ×6, first 2 shown]
	s_addk_i32 s6, 0x130
	s_cmpk_lg_i32 s3, 0x310
	s_waitcnt lgkmcnt(5)
	v_mul_f64 v[14:15], v[8:9], v[2:3]
	v_mul_f64 v[16:17], v[6:7], v[2:3]
	s_waitcnt lgkmcnt(4)
	v_mul_f64 v[49:50], v[12:13], v[2:3]
	v_mul_f64 v[57:58], v[10:11], v[2:3]
	;; [unrolled: 3-line block ×6, first 2 shown]
	v_fma_f64 v[14:15], v[6:7], v[0:1], -v[14:15]
	v_fma_f64 v[16:17], v[8:9], v[0:1], v[16:17]
	v_fma_f64 v[49:50], v[10:11], v[0:1], -v[49:50]
	v_fma_f64 v[57:58], v[12:13], v[0:1], v[57:58]
	v_fma_f64 v[65:66], v[41:42], v[0:1], -v[65:66]
	v_fma_f64 v[85:86], v[43:44], v[0:1], v[69:70]
	v_fma_f64 v[87:88], v[45:46], v[0:1], -v[71:72]
	v_fma_f64 v[73:74], v[47:48], v[0:1], v[73:74]
	v_fma_f64 v[89:90], v[53:54], v[0:1], -v[77:78]
	v_fma_f64 v[91:92], v[55:56], v[0:1], v[79:80]
	v_fma_f64 v[81:82], v[61:62], v[0:1], -v[81:82]
	v_fma_f64 v[93:94], v[63:64], v[0:1], v[2:3]
	scratch_load_b128 v[0:3], off, off offset:192
	s_clause 0x6
	scratch_load_b128 v[6:9], off, s7
	scratch_load_b128 v[10:13], off, s9
	;; [unrolled: 1-line block ×7, first 2 shown]
	ds_load_2addr_b64 v[77:80], v51 offset0:12 offset1:13
	s_waitcnt vmcnt(6)
	v_add_f64 v[6:7], v[6:7], -v[14:15]
	v_add_f64 v[8:9], v[8:9], -v[16:17]
	s_waitcnt vmcnt(5)
	v_add_f64 v[10:11], v[10:11], -v[49:50]
	v_add_f64 v[12:13], v[12:13], -v[57:58]
	s_waitcnt vmcnt(4)
	v_add_f64 v[41:42], v[41:42], -v[65:66]
	s_waitcnt lgkmcnt(0)
	v_mul_f64 v[95:96], v[79:80], v[2:3]
	v_mul_f64 v[97:98], v[77:78], v[2:3]
	v_add_f64 v[43:44], v[43:44], -v[85:86]
	s_waitcnt vmcnt(3)
	v_add_f64 v[45:46], v[45:46], -v[87:88]
	v_add_f64 v[47:48], v[47:48], -v[73:74]
	s_waitcnt vmcnt(2)
	v_add_f64 v[53:54], v[53:54], -v[89:90]
	;; [unrolled: 3-line block ×3, first 2 shown]
	v_add_f64 v[63:64], v[63:64], -v[93:94]
	v_fma_f64 v[77:78], v[77:78], v[0:1], -v[95:96]
	v_fma_f64 v[79:80], v[79:80], v[0:1], v[97:98]
	s_waitcnt vmcnt(0)
	s_delay_alu instid0(VALU_DEP_2) | instskip(NEXT) | instid1(VALU_DEP_2)
	v_add_f64 v[69:70], v[69:70], -v[77:78]
	v_add_f64 v[71:72], v[71:72], -v[79:80]
	s_clause 0x6
	scratch_store_b128 off, v[6:9], s7
	scratch_store_b128 off, v[10:13], s9
	;; [unrolled: 1-line block ×7, first 2 shown]
	s_cbranch_scc1 .LBB122_322
.LBB122_323:
	s_or_b32 exec_lo, exec_lo, s2
	s_waitcnt_vscnt null, 0x0
	s_barrier
	buffer_gl0_inv
	scratch_load_b128 v[0:3], v21, off
	v_lshl_add_u32 v4, v39, 4, v20
	s_cmp_lt_i32 s5, 15
	s_waitcnt vmcnt(0)
	ds_store_2addr_b64 v4, v[0:1], v[2:3] offset1:1
	s_waitcnt lgkmcnt(0)
	s_barrier
	buffer_gl0_inv
	ds_load_2addr_b64 v[0:3], v20 offset0:26 offset1:27
	v_mov_b32_e32 v4, 13
	s_cbranch_scc1 .LBB122_326
; %bb.324:
	v_add3_u32 v5, v37, 0, 0xe0
	v_mov_b32_e32 v4, 13
	s_mov_b32 s6, 14
	s_set_inst_prefetch_distance 0x1
	.p2align	6
.LBB122_325:                            ; =>This Inner Loop Header: Depth=1
	ds_load_2addr_b64 v[6:9], v5 offset1:1
	s_waitcnt lgkmcnt(1)
	v_cmp_gt_f64_e32 vcc_lo, 0, v[0:1]
	v_xor_b32_e32 v10, 0x80000000, v1
	v_cmp_gt_f64_e64 s2, 0, v[2:3]
	v_xor_b32_e32 v12, 0x80000000, v3
	v_add_nc_u32_e32 v5, 16, v5
	s_waitcnt lgkmcnt(0)
	v_cmp_gt_f64_e64 s3, 0, v[6:7]
	v_mov_b32_e32 v14, v6
	v_dual_mov_b32 v16, v8 :: v_dual_cndmask_b32 v11, v1, v10
	v_xor_b32_e32 v10, 0x80000000, v7
	v_cndmask_b32_e64 v13, v3, v12, s2
	v_xor_b32_e32 v12, 0x80000000, v9
	s_delay_alu instid0(VALU_DEP_3) | instskip(SKIP_2) | instid1(VALU_DEP_2)
	v_cndmask_b32_e64 v15, v7, v10, s3
	v_cmp_gt_f64_e64 s3, 0, v[8:9]
	v_cndmask_b32_e32 v10, v0, v0, vcc_lo
	v_cndmask_b32_e64 v17, v9, v12, s3
	v_cndmask_b32_e64 v12, v2, v2, s2
	s_delay_alu instid0(VALU_DEP_2) | instskip(NEXT) | instid1(VALU_DEP_2)
	v_add_f64 v[14:15], v[14:15], v[16:17]
	v_add_f64 v[10:11], v[10:11], v[12:13]
	s_delay_alu instid0(VALU_DEP_1)
	v_cmp_lt_f64_e32 vcc_lo, v[10:11], v[14:15]
	v_cndmask_b32_e32 v3, v3, v9, vcc_lo
	v_dual_cndmask_b32 v1, v1, v7 :: v_dual_cndmask_b32 v0, v0, v6
	v_cndmask_b32_e32 v2, v2, v8, vcc_lo
	v_cndmask_b32_e64 v4, v4, s6, vcc_lo
	s_add_i32 s6, s6, 1
	s_delay_alu instid0(SALU_CYCLE_1)
	s_cmp_lg_u32 s5, s6
	s_cbranch_scc1 .LBB122_325
.LBB122_326:
	s_set_inst_prefetch_distance 0x2
	s_waitcnt lgkmcnt(0)
	v_cmp_eq_f64_e32 vcc_lo, 0, v[0:1]
	v_cmp_eq_f64_e64 s2, 0, v[2:3]
	s_delay_alu instid0(VALU_DEP_1) | instskip(NEXT) | instid1(SALU_CYCLE_1)
	s_and_b32 s2, vcc_lo, s2
	s_and_saveexec_b32 s3, s2
	s_delay_alu instid0(SALU_CYCLE_1)
	s_xor_b32 s2, exec_lo, s3
; %bb.327:
	v_cmp_ne_u32_e32 vcc_lo, 0, v35
	v_cndmask_b32_e32 v35, 14, v35, vcc_lo
; %bb.328:
	s_and_not1_saveexec_b32 s3, s2
	s_cbranch_execz .LBB122_334
; %bb.329:
	v_cmp_gt_f64_e32 vcc_lo, 0, v[0:1]
	v_cmp_gt_f64_e64 s2, 0, v[2:3]
	v_xor_b32_e32 v5, 0x80000000, v1
	v_xor_b32_e32 v7, 0x80000000, v3
	s_delay_alu instid0(VALU_DEP_2) | instskip(NEXT) | instid1(VALU_DEP_2)
	v_dual_cndmask_b32 v6, v1, v5 :: v_dual_cndmask_b32 v5, v0, v0
	v_cndmask_b32_e64 v8, v3, v7, s2
	v_cndmask_b32_e64 v7, v2, v2, s2
	s_mov_b32 s2, exec_lo
	s_delay_alu instid0(VALU_DEP_1)
	v_cmpx_ngt_f64_e32 v[5:6], v[7:8]
	s_xor_b32 s2, exec_lo, s2
	s_cbranch_execz .LBB122_331
; %bb.330:
	v_div_scale_f64 v[5:6], null, v[2:3], v[2:3], v[0:1]
	v_div_scale_f64 v[11:12], vcc_lo, v[0:1], v[2:3], v[0:1]
	s_delay_alu instid0(VALU_DEP_2) | instskip(SKIP_2) | instid1(VALU_DEP_1)
	v_rcp_f64_e32 v[7:8], v[5:6]
	s_waitcnt_depctr 0xfff
	v_fma_f64 v[9:10], -v[5:6], v[7:8], 1.0
	v_fma_f64 v[7:8], v[7:8], v[9:10], v[7:8]
	s_delay_alu instid0(VALU_DEP_1) | instskip(NEXT) | instid1(VALU_DEP_1)
	v_fma_f64 v[9:10], -v[5:6], v[7:8], 1.0
	v_fma_f64 v[7:8], v[7:8], v[9:10], v[7:8]
	s_delay_alu instid0(VALU_DEP_1) | instskip(NEXT) | instid1(VALU_DEP_1)
	v_mul_f64 v[9:10], v[11:12], v[7:8]
	v_fma_f64 v[5:6], -v[5:6], v[9:10], v[11:12]
	s_delay_alu instid0(VALU_DEP_1) | instskip(NEXT) | instid1(VALU_DEP_1)
	v_div_fmas_f64 v[5:6], v[5:6], v[7:8], v[9:10]
	v_div_fixup_f64 v[5:6], v[5:6], v[2:3], v[0:1]
	s_delay_alu instid0(VALU_DEP_1) | instskip(NEXT) | instid1(VALU_DEP_1)
	v_fma_f64 v[0:1], v[0:1], v[5:6], v[2:3]
	v_div_scale_f64 v[2:3], null, v[0:1], v[0:1], 1.0
	s_delay_alu instid0(VALU_DEP_1) | instskip(SKIP_2) | instid1(VALU_DEP_1)
	v_rcp_f64_e32 v[7:8], v[2:3]
	s_waitcnt_depctr 0xfff
	v_fma_f64 v[9:10], -v[2:3], v[7:8], 1.0
	v_fma_f64 v[7:8], v[7:8], v[9:10], v[7:8]
	s_delay_alu instid0(VALU_DEP_1) | instskip(NEXT) | instid1(VALU_DEP_1)
	v_fma_f64 v[9:10], -v[2:3], v[7:8], 1.0
	v_fma_f64 v[7:8], v[7:8], v[9:10], v[7:8]
	v_div_scale_f64 v[9:10], vcc_lo, 1.0, v[0:1], 1.0
	s_delay_alu instid0(VALU_DEP_1) | instskip(NEXT) | instid1(VALU_DEP_1)
	v_mul_f64 v[11:12], v[9:10], v[7:8]
	v_fma_f64 v[2:3], -v[2:3], v[11:12], v[9:10]
	s_delay_alu instid0(VALU_DEP_1) | instskip(NEXT) | instid1(VALU_DEP_1)
	v_div_fmas_f64 v[2:3], v[2:3], v[7:8], v[11:12]
	v_div_fixup_f64 v[2:3], v[2:3], v[0:1], 1.0
	s_delay_alu instid0(VALU_DEP_1)
	v_mul_f64 v[0:1], v[5:6], v[2:3]
	v_xor_b32_e32 v3, 0x80000000, v3
.LBB122_331:
	s_and_not1_saveexec_b32 s2, s2
	s_cbranch_execz .LBB122_333
; %bb.332:
	s_delay_alu instid0(VALU_DEP_1) | instskip(SKIP_1) | instid1(VALU_DEP_2)
	v_div_scale_f64 v[5:6], null, v[0:1], v[0:1], v[2:3]
	v_div_scale_f64 v[11:12], vcc_lo, v[2:3], v[0:1], v[2:3]
	v_rcp_f64_e32 v[7:8], v[5:6]
	s_waitcnt_depctr 0xfff
	v_fma_f64 v[9:10], -v[5:6], v[7:8], 1.0
	s_delay_alu instid0(VALU_DEP_1) | instskip(NEXT) | instid1(VALU_DEP_1)
	v_fma_f64 v[7:8], v[7:8], v[9:10], v[7:8]
	v_fma_f64 v[9:10], -v[5:6], v[7:8], 1.0
	s_delay_alu instid0(VALU_DEP_1) | instskip(NEXT) | instid1(VALU_DEP_1)
	v_fma_f64 v[7:8], v[7:8], v[9:10], v[7:8]
	v_mul_f64 v[9:10], v[11:12], v[7:8]
	s_delay_alu instid0(VALU_DEP_1) | instskip(NEXT) | instid1(VALU_DEP_1)
	v_fma_f64 v[5:6], -v[5:6], v[9:10], v[11:12]
	v_div_fmas_f64 v[5:6], v[5:6], v[7:8], v[9:10]
	s_delay_alu instid0(VALU_DEP_1) | instskip(NEXT) | instid1(VALU_DEP_1)
	v_div_fixup_f64 v[5:6], v[5:6], v[0:1], v[2:3]
	v_fma_f64 v[0:1], v[2:3], v[5:6], v[0:1]
	s_delay_alu instid0(VALU_DEP_1) | instskip(NEXT) | instid1(VALU_DEP_1)
	v_div_scale_f64 v[2:3], null, v[0:1], v[0:1], 1.0
	v_rcp_f64_e32 v[7:8], v[2:3]
	s_waitcnt_depctr 0xfff
	v_fma_f64 v[9:10], -v[2:3], v[7:8], 1.0
	s_delay_alu instid0(VALU_DEP_1) | instskip(NEXT) | instid1(VALU_DEP_1)
	v_fma_f64 v[7:8], v[7:8], v[9:10], v[7:8]
	v_fma_f64 v[9:10], -v[2:3], v[7:8], 1.0
	s_delay_alu instid0(VALU_DEP_1) | instskip(SKIP_1) | instid1(VALU_DEP_1)
	v_fma_f64 v[7:8], v[7:8], v[9:10], v[7:8]
	v_div_scale_f64 v[9:10], vcc_lo, 1.0, v[0:1], 1.0
	v_mul_f64 v[11:12], v[9:10], v[7:8]
	s_delay_alu instid0(VALU_DEP_1) | instskip(NEXT) | instid1(VALU_DEP_1)
	v_fma_f64 v[2:3], -v[2:3], v[11:12], v[9:10]
	v_div_fmas_f64 v[2:3], v[2:3], v[7:8], v[11:12]
	s_delay_alu instid0(VALU_DEP_1) | instskip(NEXT) | instid1(VALU_DEP_1)
	v_div_fixup_f64 v[0:1], v[2:3], v[0:1], 1.0
	v_mul_f64 v[2:3], v[5:6], -v[0:1]
.LBB122_333:
	s_or_b32 exec_lo, exec_lo, s2
.LBB122_334:
	s_delay_alu instid0(SALU_CYCLE_1) | instskip(NEXT) | instid1(SALU_CYCLE_1)
	s_or_b32 exec_lo, exec_lo, s3
	s_mov_b32 s2, exec_lo
	v_cmpx_ne_u32_e64 v39, v4
	s_xor_b32 s2, exec_lo, s2
	s_cbranch_execz .LBB122_340
; %bb.335:
	s_mov_b32 s3, exec_lo
	v_cmpx_eq_u32_e32 13, v39
	s_cbranch_execz .LBB122_339
; %bb.336:
	v_cmp_ne_u32_e32 vcc_lo, 13, v4
	s_xor_b32 s6, s4, -1
	s_delay_alu instid0(SALU_CYCLE_1) | instskip(NEXT) | instid1(SALU_CYCLE_1)
	s_and_b32 s7, s6, vcc_lo
	s_and_saveexec_b32 s6, s7
	s_cbranch_execz .LBB122_338
; %bb.337:
	v_ashrrev_i32_e32 v5, 31, v4
	s_delay_alu instid0(VALU_DEP_1) | instskip(NEXT) | instid1(VALU_DEP_1)
	v_lshlrev_b64 v[5:6], 2, v[4:5]
	v_add_co_u32 v5, vcc_lo, v18, v5
	s_delay_alu instid0(VALU_DEP_2)
	v_add_co_ci_u32_e32 v6, vcc_lo, v19, v6, vcc_lo
	s_clause 0x1
	flat_load_b32 v7, v[5:6]
	flat_load_b32 v8, v[18:19] offset:52
	s_waitcnt vmcnt(1) lgkmcnt(1)
	flat_store_b32 v[18:19], v7 offset:52
	s_waitcnt vmcnt(0) lgkmcnt(1)
	flat_store_b32 v[5:6], v8
.LBB122_338:
	s_or_b32 exec_lo, exec_lo, s6
	v_mov_b32_e32 v39, v4
	v_mov_b32_e32 v38, v4
.LBB122_339:
	s_or_b32 exec_lo, exec_lo, s3
.LBB122_340:
	s_and_not1_saveexec_b32 s2, s2
	s_cbranch_execz .LBB122_344
; %bb.341:
	v_add3_u32 v4, v37, 0, 0xe0
	v_mov_b32_e32 v5, 0
	s_mov_b32 s3, 0
.LBB122_342:                            ; =>This Inner Loop Header: Depth=1
	s_delay_alu instid0(VALU_DEP_1) | instskip(NEXT) | instid1(VALU_DEP_3)
	v_readfirstlane_b32 s6, v5
	v_add_nc_u32_e32 v14, s3, v4
	s_delay_alu instid0(VALU_DEP_2)
	s_add_i32 s6, s6, s3
	s_addk_i32 s3, 0x100
	s_add_i32 s7, s6, 0xe0
	s_add_i32 s9, s6, 0xf0
	;; [unrolled: 1-line block ×15, first 2 shown]
	s_addk_i32 s6, 0x1d0
	s_clause 0xf
	scratch_load_b128 v[6:9], off, s7
	scratch_load_b128 v[10:13], off, s9
	;; [unrolled: 1-line block ×16, first 2 shown]
	s_cmpk_eq_i32 s3, 0x300
	s_waitcnt vmcnt(15)
	ds_store_2addr_b64 v14, v[6:7], v[8:9] offset1:1
	s_waitcnt vmcnt(14)
	ds_store_2addr_b64 v14, v[10:11], v[12:13] offset0:2 offset1:3
	s_waitcnt vmcnt(13)
	ds_store_2addr_b64 v14, v[41:42], v[43:44] offset0:4 offset1:5
	s_waitcnt vmcnt(12)
	ds_store_2addr_b64 v14, v[45:46], v[47:48] offset0:6 offset1:7
	s_waitcnt vmcnt(11)
	ds_store_2addr_b64 v14, v[53:54], v[55:56] offset0:8 offset1:9
	s_waitcnt vmcnt(10)
	ds_store_2addr_b64 v14, v[61:62], v[63:64] offset0:10 offset1:11
	s_waitcnt vmcnt(9)
	ds_store_2addr_b64 v14, v[69:70], v[71:72] offset0:12 offset1:13
	s_waitcnt vmcnt(8)
	ds_store_2addr_b64 v14, v[77:78], v[79:80] offset0:14 offset1:15
	s_waitcnt vmcnt(7)
	ds_store_2addr_b64 v14, v[126:127], v[128:129] offset0:16 offset1:17
	s_waitcnt vmcnt(6)
	ds_store_2addr_b64 v14, v[137:138], v[139:140] offset0:18 offset1:19
	s_waitcnt vmcnt(5)
	ds_store_2addr_b64 v14, v[171:172], v[173:174] offset0:20 offset1:21
	s_waitcnt vmcnt(4)
	ds_store_2addr_b64 v14, v[175:176], v[177:178] offset0:22 offset1:23
	s_waitcnt vmcnt(3)
	ds_store_2addr_b64 v14, v[179:180], v[181:182] offset0:24 offset1:25
	s_waitcnt vmcnt(2)
	ds_store_2addr_b64 v14, v[183:184], v[185:186] offset0:26 offset1:27
	s_waitcnt vmcnt(1)
	ds_store_2addr_b64 v14, v[187:188], v[189:190] offset0:28 offset1:29
	s_waitcnt vmcnt(0)
	ds_store_2addr_b64 v14, v[191:192], v[193:194] offset0:30 offset1:31
	s_cbranch_scc0 .LBB122_342
; %bb.343:
	v_mov_b32_e32 v39, 13
.LBB122_344:
	s_or_b32 exec_lo, exec_lo, s2
	s_delay_alu instid0(SALU_CYCLE_1)
	s_mov_b32 s2, exec_lo
	s_waitcnt lgkmcnt(0)
	s_waitcnt_vscnt null, 0x0
	s_barrier
	buffer_gl0_inv
	v_cmpx_lt_i32_e32 13, v39
	s_cbranch_execz .LBB122_347
; %bb.345:
	scratch_load_b128 v[4:7], off, off offset:208
	s_mov_b32 s3, 0
	s_waitcnt vmcnt(0)
	v_mul_f64 v[8:9], v[2:3], v[6:7]
	v_mul_f64 v[6:7], v[0:1], v[6:7]
	s_delay_alu instid0(VALU_DEP_2) | instskip(NEXT) | instid1(VALU_DEP_2)
	v_fma_f64 v[0:1], v[0:1], v[4:5], -v[8:9]
	v_fma_f64 v[2:3], v[2:3], v[4:5], v[6:7]
	v_add3_u32 v4, v37, 0, 0xe0
	v_mov_b32_e32 v5, 0
	scratch_store_b128 off, v[0:3], off offset:208
.LBB122_346:                            ; =>This Inner Loop Header: Depth=1
	v_readfirstlane_b32 s6, v5
	v_add_nc_u32_e32 v14, s3, v4
	s_delay_alu instid0(VALU_DEP_2)
	s_add_i32 s7, s6, s3
	s_addk_i32 s3, 0x60
	s_add_i32 s6, s7, 0xe0
	s_add_i32 s9, s7, 0xf0
	s_add_i32 s12, s7, 0x100
	s_add_i32 s14, s7, 0x110
	s_add_i32 s15, s7, 0x120
	s_addk_i32 s7, 0x130
	s_clause 0x5
	scratch_load_b128 v[6:9], off, s6
	scratch_load_b128 v[10:13], off, s9
	;; [unrolled: 1-line block ×6, first 2 shown]
	ds_load_2addr_b64 v[69:72], v14 offset1:1
	ds_load_2addr_b64 v[77:80], v14 offset0:2 offset1:3
	ds_load_2addr_b64 v[126:129], v14 offset0:4 offset1:5
	;; [unrolled: 1-line block ×5, first 2 shown]
	s_cmpk_lg_i32 s3, 0x300
	s_waitcnt lgkmcnt(5)
	v_mul_f64 v[14:15], v[71:72], v[2:3]
	v_mul_f64 v[16:17], v[69:70], v[2:3]
	s_waitcnt lgkmcnt(4)
	v_mul_f64 v[49:50], v[79:80], v[2:3]
	v_mul_f64 v[57:58], v[77:78], v[2:3]
	;; [unrolled: 3-line block ×6, first 2 shown]
	v_fma_f64 v[14:15], v[69:70], v[0:1], -v[14:15]
	v_fma_f64 v[16:17], v[71:72], v[0:1], v[16:17]
	v_fma_f64 v[49:50], v[77:78], v[0:1], -v[49:50]
	v_fma_f64 v[57:58], v[79:80], v[0:1], v[57:58]
	;; [unrolled: 2-line block ×6, first 2 shown]
	s_waitcnt vmcnt(5)
	v_add_f64 v[6:7], v[6:7], -v[14:15]
	v_add_f64 v[8:9], v[8:9], -v[16:17]
	s_waitcnt vmcnt(4)
	v_add_f64 v[10:11], v[10:11], -v[49:50]
	v_add_f64 v[12:13], v[12:13], -v[57:58]
	;; [unrolled: 3-line block ×6, first 2 shown]
	s_clause 0x5
	scratch_store_b128 off, v[6:9], s6
	scratch_store_b128 off, v[10:13], s9
	;; [unrolled: 1-line block ×6, first 2 shown]
	s_cbranch_scc1 .LBB122_346
.LBB122_347:
	s_or_b32 exec_lo, exec_lo, s2
	s_waitcnt_vscnt null, 0x0
	s_barrier
	buffer_gl0_inv
	scratch_load_b128 v[0:3], v24, off
	v_lshl_add_u32 v4, v39, 4, v20
	s_cmp_lt_i32 s5, 16
	s_waitcnt vmcnt(0)
	ds_store_2addr_b64 v4, v[0:1], v[2:3] offset1:1
	s_waitcnt lgkmcnt(0)
	s_barrier
	buffer_gl0_inv
	ds_load_2addr_b64 v[0:3], v20 offset0:28 offset1:29
	v_mov_b32_e32 v4, 14
	s_cbranch_scc1 .LBB122_350
; %bb.348:
	v_add3_u32 v5, v37, 0, 0xf0
	v_mov_b32_e32 v4, 14
	s_mov_b32 s6, 15
	s_set_inst_prefetch_distance 0x1
	.p2align	6
.LBB122_349:                            ; =>This Inner Loop Header: Depth=1
	ds_load_2addr_b64 v[6:9], v5 offset1:1
	s_waitcnt lgkmcnt(1)
	v_cmp_gt_f64_e32 vcc_lo, 0, v[0:1]
	v_xor_b32_e32 v10, 0x80000000, v1
	v_cmp_gt_f64_e64 s2, 0, v[2:3]
	v_xor_b32_e32 v12, 0x80000000, v3
	v_add_nc_u32_e32 v5, 16, v5
	s_waitcnt lgkmcnt(0)
	v_cmp_gt_f64_e64 s3, 0, v[6:7]
	v_mov_b32_e32 v14, v6
	v_dual_mov_b32 v16, v8 :: v_dual_cndmask_b32 v11, v1, v10
	v_xor_b32_e32 v10, 0x80000000, v7
	v_cndmask_b32_e64 v13, v3, v12, s2
	v_xor_b32_e32 v12, 0x80000000, v9
	s_delay_alu instid0(VALU_DEP_3) | instskip(SKIP_2) | instid1(VALU_DEP_2)
	v_cndmask_b32_e64 v15, v7, v10, s3
	v_cmp_gt_f64_e64 s3, 0, v[8:9]
	v_cndmask_b32_e32 v10, v0, v0, vcc_lo
	v_cndmask_b32_e64 v17, v9, v12, s3
	v_cndmask_b32_e64 v12, v2, v2, s2
	s_delay_alu instid0(VALU_DEP_2) | instskip(NEXT) | instid1(VALU_DEP_2)
	v_add_f64 v[14:15], v[14:15], v[16:17]
	v_add_f64 v[10:11], v[10:11], v[12:13]
	s_delay_alu instid0(VALU_DEP_1)
	v_cmp_lt_f64_e32 vcc_lo, v[10:11], v[14:15]
	v_cndmask_b32_e32 v3, v3, v9, vcc_lo
	v_dual_cndmask_b32 v1, v1, v7 :: v_dual_cndmask_b32 v0, v0, v6
	v_cndmask_b32_e32 v2, v2, v8, vcc_lo
	v_cndmask_b32_e64 v4, v4, s6, vcc_lo
	s_add_i32 s6, s6, 1
	s_delay_alu instid0(SALU_CYCLE_1)
	s_cmp_lg_u32 s5, s6
	s_cbranch_scc1 .LBB122_349
.LBB122_350:
	s_set_inst_prefetch_distance 0x2
	s_waitcnt lgkmcnt(0)
	v_cmp_eq_f64_e32 vcc_lo, 0, v[0:1]
	v_cmp_eq_f64_e64 s2, 0, v[2:3]
	s_delay_alu instid0(VALU_DEP_1) | instskip(NEXT) | instid1(SALU_CYCLE_1)
	s_and_b32 s2, vcc_lo, s2
	s_and_saveexec_b32 s3, s2
	s_delay_alu instid0(SALU_CYCLE_1)
	s_xor_b32 s2, exec_lo, s3
; %bb.351:
	v_cmp_ne_u32_e32 vcc_lo, 0, v35
	v_cndmask_b32_e32 v35, 15, v35, vcc_lo
; %bb.352:
	s_and_not1_saveexec_b32 s3, s2
	s_cbranch_execz .LBB122_358
; %bb.353:
	v_cmp_gt_f64_e32 vcc_lo, 0, v[0:1]
	v_cmp_gt_f64_e64 s2, 0, v[2:3]
	v_xor_b32_e32 v5, 0x80000000, v1
	v_xor_b32_e32 v7, 0x80000000, v3
	s_delay_alu instid0(VALU_DEP_2) | instskip(NEXT) | instid1(VALU_DEP_2)
	v_dual_cndmask_b32 v6, v1, v5 :: v_dual_cndmask_b32 v5, v0, v0
	v_cndmask_b32_e64 v8, v3, v7, s2
	v_cndmask_b32_e64 v7, v2, v2, s2
	s_mov_b32 s2, exec_lo
	s_delay_alu instid0(VALU_DEP_1)
	v_cmpx_ngt_f64_e32 v[5:6], v[7:8]
	s_xor_b32 s2, exec_lo, s2
	s_cbranch_execz .LBB122_355
; %bb.354:
	v_div_scale_f64 v[5:6], null, v[2:3], v[2:3], v[0:1]
	v_div_scale_f64 v[11:12], vcc_lo, v[0:1], v[2:3], v[0:1]
	s_delay_alu instid0(VALU_DEP_2) | instskip(SKIP_2) | instid1(VALU_DEP_1)
	v_rcp_f64_e32 v[7:8], v[5:6]
	s_waitcnt_depctr 0xfff
	v_fma_f64 v[9:10], -v[5:6], v[7:8], 1.0
	v_fma_f64 v[7:8], v[7:8], v[9:10], v[7:8]
	s_delay_alu instid0(VALU_DEP_1) | instskip(NEXT) | instid1(VALU_DEP_1)
	v_fma_f64 v[9:10], -v[5:6], v[7:8], 1.0
	v_fma_f64 v[7:8], v[7:8], v[9:10], v[7:8]
	s_delay_alu instid0(VALU_DEP_1) | instskip(NEXT) | instid1(VALU_DEP_1)
	v_mul_f64 v[9:10], v[11:12], v[7:8]
	v_fma_f64 v[5:6], -v[5:6], v[9:10], v[11:12]
	s_delay_alu instid0(VALU_DEP_1) | instskip(NEXT) | instid1(VALU_DEP_1)
	v_div_fmas_f64 v[5:6], v[5:6], v[7:8], v[9:10]
	v_div_fixup_f64 v[5:6], v[5:6], v[2:3], v[0:1]
	s_delay_alu instid0(VALU_DEP_1) | instskip(NEXT) | instid1(VALU_DEP_1)
	v_fma_f64 v[0:1], v[0:1], v[5:6], v[2:3]
	v_div_scale_f64 v[2:3], null, v[0:1], v[0:1], 1.0
	s_delay_alu instid0(VALU_DEP_1) | instskip(SKIP_2) | instid1(VALU_DEP_1)
	v_rcp_f64_e32 v[7:8], v[2:3]
	s_waitcnt_depctr 0xfff
	v_fma_f64 v[9:10], -v[2:3], v[7:8], 1.0
	v_fma_f64 v[7:8], v[7:8], v[9:10], v[7:8]
	s_delay_alu instid0(VALU_DEP_1) | instskip(NEXT) | instid1(VALU_DEP_1)
	v_fma_f64 v[9:10], -v[2:3], v[7:8], 1.0
	v_fma_f64 v[7:8], v[7:8], v[9:10], v[7:8]
	v_div_scale_f64 v[9:10], vcc_lo, 1.0, v[0:1], 1.0
	s_delay_alu instid0(VALU_DEP_1) | instskip(NEXT) | instid1(VALU_DEP_1)
	v_mul_f64 v[11:12], v[9:10], v[7:8]
	v_fma_f64 v[2:3], -v[2:3], v[11:12], v[9:10]
	s_delay_alu instid0(VALU_DEP_1) | instskip(NEXT) | instid1(VALU_DEP_1)
	v_div_fmas_f64 v[2:3], v[2:3], v[7:8], v[11:12]
	v_div_fixup_f64 v[2:3], v[2:3], v[0:1], 1.0
	s_delay_alu instid0(VALU_DEP_1)
	v_mul_f64 v[0:1], v[5:6], v[2:3]
	v_xor_b32_e32 v3, 0x80000000, v3
.LBB122_355:
	s_and_not1_saveexec_b32 s2, s2
	s_cbranch_execz .LBB122_357
; %bb.356:
	s_delay_alu instid0(VALU_DEP_1) | instskip(SKIP_1) | instid1(VALU_DEP_2)
	v_div_scale_f64 v[5:6], null, v[0:1], v[0:1], v[2:3]
	v_div_scale_f64 v[11:12], vcc_lo, v[2:3], v[0:1], v[2:3]
	v_rcp_f64_e32 v[7:8], v[5:6]
	s_waitcnt_depctr 0xfff
	v_fma_f64 v[9:10], -v[5:6], v[7:8], 1.0
	s_delay_alu instid0(VALU_DEP_1) | instskip(NEXT) | instid1(VALU_DEP_1)
	v_fma_f64 v[7:8], v[7:8], v[9:10], v[7:8]
	v_fma_f64 v[9:10], -v[5:6], v[7:8], 1.0
	s_delay_alu instid0(VALU_DEP_1) | instskip(NEXT) | instid1(VALU_DEP_1)
	v_fma_f64 v[7:8], v[7:8], v[9:10], v[7:8]
	v_mul_f64 v[9:10], v[11:12], v[7:8]
	s_delay_alu instid0(VALU_DEP_1) | instskip(NEXT) | instid1(VALU_DEP_1)
	v_fma_f64 v[5:6], -v[5:6], v[9:10], v[11:12]
	v_div_fmas_f64 v[5:6], v[5:6], v[7:8], v[9:10]
	s_delay_alu instid0(VALU_DEP_1) | instskip(NEXT) | instid1(VALU_DEP_1)
	v_div_fixup_f64 v[5:6], v[5:6], v[0:1], v[2:3]
	v_fma_f64 v[0:1], v[2:3], v[5:6], v[0:1]
	s_delay_alu instid0(VALU_DEP_1) | instskip(NEXT) | instid1(VALU_DEP_1)
	v_div_scale_f64 v[2:3], null, v[0:1], v[0:1], 1.0
	v_rcp_f64_e32 v[7:8], v[2:3]
	s_waitcnt_depctr 0xfff
	v_fma_f64 v[9:10], -v[2:3], v[7:8], 1.0
	s_delay_alu instid0(VALU_DEP_1) | instskip(NEXT) | instid1(VALU_DEP_1)
	v_fma_f64 v[7:8], v[7:8], v[9:10], v[7:8]
	v_fma_f64 v[9:10], -v[2:3], v[7:8], 1.0
	s_delay_alu instid0(VALU_DEP_1) | instskip(SKIP_1) | instid1(VALU_DEP_1)
	v_fma_f64 v[7:8], v[7:8], v[9:10], v[7:8]
	v_div_scale_f64 v[9:10], vcc_lo, 1.0, v[0:1], 1.0
	v_mul_f64 v[11:12], v[9:10], v[7:8]
	s_delay_alu instid0(VALU_DEP_1) | instskip(NEXT) | instid1(VALU_DEP_1)
	v_fma_f64 v[2:3], -v[2:3], v[11:12], v[9:10]
	v_div_fmas_f64 v[2:3], v[2:3], v[7:8], v[11:12]
	s_delay_alu instid0(VALU_DEP_1) | instskip(NEXT) | instid1(VALU_DEP_1)
	v_div_fixup_f64 v[0:1], v[2:3], v[0:1], 1.0
	v_mul_f64 v[2:3], v[5:6], -v[0:1]
.LBB122_357:
	s_or_b32 exec_lo, exec_lo, s2
.LBB122_358:
	s_delay_alu instid0(SALU_CYCLE_1) | instskip(NEXT) | instid1(SALU_CYCLE_1)
	s_or_b32 exec_lo, exec_lo, s3
	s_mov_b32 s2, exec_lo
	v_cmpx_ne_u32_e64 v39, v4
	s_xor_b32 s2, exec_lo, s2
	s_cbranch_execz .LBB122_364
; %bb.359:
	s_mov_b32 s3, exec_lo
	v_cmpx_eq_u32_e32 14, v39
	s_cbranch_execz .LBB122_363
; %bb.360:
	v_cmp_ne_u32_e32 vcc_lo, 14, v4
	s_xor_b32 s6, s4, -1
	s_delay_alu instid0(SALU_CYCLE_1) | instskip(NEXT) | instid1(SALU_CYCLE_1)
	s_and_b32 s7, s6, vcc_lo
	s_and_saveexec_b32 s6, s7
	s_cbranch_execz .LBB122_362
; %bb.361:
	v_ashrrev_i32_e32 v5, 31, v4
	s_delay_alu instid0(VALU_DEP_1) | instskip(NEXT) | instid1(VALU_DEP_1)
	v_lshlrev_b64 v[5:6], 2, v[4:5]
	v_add_co_u32 v5, vcc_lo, v18, v5
	s_delay_alu instid0(VALU_DEP_2)
	v_add_co_ci_u32_e32 v6, vcc_lo, v19, v6, vcc_lo
	s_clause 0x1
	flat_load_b32 v7, v[5:6]
	flat_load_b32 v8, v[18:19] offset:56
	s_waitcnt vmcnt(1) lgkmcnt(1)
	flat_store_b32 v[18:19], v7 offset:56
	s_waitcnt vmcnt(0) lgkmcnt(1)
	flat_store_b32 v[5:6], v8
.LBB122_362:
	s_or_b32 exec_lo, exec_lo, s6
	v_mov_b32_e32 v39, v4
	v_mov_b32_e32 v38, v4
.LBB122_363:
	s_or_b32 exec_lo, exec_lo, s3
.LBB122_364:
	s_and_not1_saveexec_b32 s2, s2
	s_cbranch_execz .LBB122_370
; %bb.365:
	v_add3_u32 v4, v37, 0, 0xf0
	v_mov_b32_e32 v5, 0
	s_mov_b32 s3, 0
	s_branch .LBB122_367
.LBB122_366:                            ;   in Loop: Header=BB122_367 Depth=1
	s_and_not1_b32 vcc_lo, exec_lo, s7
	s_cbranch_vccz .LBB122_369
.LBB122_367:                            ; =>This Inner Loop Header: Depth=1
	s_delay_alu instid0(VALU_DEP_1) | instskip(SKIP_1) | instid1(VALU_DEP_2)
	v_readfirstlane_b32 s6, v5
	v_add_nc_u32_e32 v6, s3, v4
	s_add_i32 s6, s6, s3
	s_delay_alu instid0(SALU_CYCLE_1)
	s_add_i32 s7, s6, 0xf0
	s_add_i32 s9, s6, 0x100
	;; [unrolled: 1-line block ×7, first 2 shown]
	s_clause 0x6
	scratch_load_b128 v[7:10], off, s7
	scratch_load_b128 v[11:14], off, s9
	;; [unrolled: 1-line block ×7, first 2 shown]
	s_mov_b32 s7, -1
	s_cmpk_eq_i32 s3, 0x280
	s_waitcnt vmcnt(6)
	ds_store_2addr_b64 v6, v[7:8], v[9:10] offset1:1
	s_waitcnt vmcnt(5)
	ds_store_2addr_b64 v6, v[11:12], v[13:14] offset0:2 offset1:3
	s_waitcnt vmcnt(4)
	ds_store_2addr_b64 v6, v[41:42], v[43:44] offset0:4 offset1:5
	;; [unrolled: 2-line block ×6, first 2 shown]
	s_cbranch_scc1 .LBB122_366
; %bb.368:                              ;   in Loop: Header=BB122_367 Depth=1
	s_addk_i32 s6, 0x160
	s_addk_i32 s3, 0x80
	scratch_load_b128 v[7:10], off, s6
	s_mov_b32 s7, 0
	s_waitcnt vmcnt(0)
	ds_store_2addr_b64 v6, v[7:8], v[9:10] offset0:14 offset1:15
	s_branch .LBB122_366
.LBB122_369:
	v_mov_b32_e32 v39, 14
.LBB122_370:
	s_or_b32 exec_lo, exec_lo, s2
	s_delay_alu instid0(SALU_CYCLE_1)
	s_mov_b32 s2, exec_lo
	s_waitcnt lgkmcnt(0)
	s_waitcnt_vscnt null, 0x0
	s_barrier
	buffer_gl0_inv
	v_cmpx_lt_i32_e32 14, v39
	s_cbranch_execz .LBB122_375
; %bb.371:
	scratch_load_b128 v[4:7], off, off offset:224
	s_mov_b32 s3, 0
	s_waitcnt vmcnt(0)
	v_mul_f64 v[8:9], v[2:3], v[6:7]
	v_mul_f64 v[6:7], v[0:1], v[6:7]
	s_delay_alu instid0(VALU_DEP_2) | instskip(NEXT) | instid1(VALU_DEP_2)
	v_fma_f64 v[0:1], v[0:1], v[4:5], -v[8:9]
	v_fma_f64 v[2:3], v[2:3], v[4:5], v[6:7]
	v_add3_u32 v4, v37, 0, 0xf0
	v_mov_b32_e32 v5, 0
	scratch_store_b128 off, v[0:3], off offset:224
	s_branch .LBB122_373
.LBB122_372:                            ;   in Loop: Header=BB122_373 Depth=1
	s_and_not1_b32 vcc_lo, exec_lo, s7
	s_cbranch_vccz .LBB122_375
.LBB122_373:                            ; =>This Inner Loop Header: Depth=1
	v_readfirstlane_b32 s6, v5
	v_add_nc_u32_e32 v6, s3, v4
	s_mov_b32 s7, -1
	s_delay_alu instid0(VALU_DEP_2) | instskip(NEXT) | instid1(SALU_CYCLE_1)
	s_add_i32 s6, s6, s3
	s_add_i32 s9, s6, 0xf0
	;; [unrolled: 1-line block ×3, first 2 shown]
	scratch_load_b128 v[7:10], off, s9
	s_add_i32 s14, s6, 0x110
	s_clause 0x1
	scratch_load_b128 v[11:14], off, s12
	scratch_load_b128 v[41:44], off, s14
	ds_load_2addr_b64 v[45:48], v6 offset1:1
	ds_load_2addr_b64 v[53:56], v6 offset0:2 offset1:3
	ds_load_2addr_b64 v[61:64], v6 offset0:4 offset1:5
	s_cmpk_eq_i32 s3, 0x2c0
	s_waitcnt lgkmcnt(2)
	v_mul_f64 v[15:16], v[47:48], v[2:3]
	v_mul_f64 v[49:50], v[45:46], v[2:3]
	s_waitcnt lgkmcnt(1)
	v_mul_f64 v[57:58], v[55:56], v[2:3]
	v_mul_f64 v[65:66], v[53:54], v[2:3]
	;; [unrolled: 3-line block ×3, first 2 shown]
	v_fma_f64 v[15:16], v[45:46], v[0:1], -v[15:16]
	v_fma_f64 v[45:46], v[47:48], v[0:1], v[49:50]
	v_fma_f64 v[47:48], v[53:54], v[0:1], -v[57:58]
	v_fma_f64 v[49:50], v[55:56], v[0:1], v[65:66]
	;; [unrolled: 2-line block ×3, first 2 shown]
	s_waitcnt vmcnt(2)
	v_add_f64 v[7:8], v[7:8], -v[15:16]
	v_add_f64 v[9:10], v[9:10], -v[45:46]
	s_waitcnt vmcnt(1)
	v_add_f64 v[11:12], v[11:12], -v[47:48]
	v_add_f64 v[13:14], v[13:14], -v[49:50]
	s_waitcnt vmcnt(0)
	v_add_f64 v[41:42], v[41:42], -v[53:54]
	v_add_f64 v[43:44], v[43:44], -v[55:56]
	s_clause 0x2
	scratch_store_b128 off, v[7:10], s9
	scratch_store_b128 off, v[11:14], s12
	;; [unrolled: 1-line block ×3, first 2 shown]
	s_cbranch_scc1 .LBB122_372
; %bb.374:                              ;   in Loop: Header=BB122_373 Depth=1
	s_addk_i32 s6, 0x120
	ds_load_2addr_b64 v[11:14], v6 offset0:6 offset1:7
	scratch_load_b128 v[7:10], off, s6
	s_add_i32 s3, s3, 64
	s_mov_b32 s7, 0
	s_waitcnt lgkmcnt(0)
	v_mul_f64 v[15:16], v[13:14], v[2:3]
	v_mul_f64 v[41:42], v[11:12], v[2:3]
	s_delay_alu instid0(VALU_DEP_2) | instskip(NEXT) | instid1(VALU_DEP_2)
	v_fma_f64 v[11:12], v[11:12], v[0:1], -v[15:16]
	v_fma_f64 v[13:14], v[13:14], v[0:1], v[41:42]
	s_waitcnt vmcnt(0)
	s_delay_alu instid0(VALU_DEP_2) | instskip(NEXT) | instid1(VALU_DEP_2)
	v_add_f64 v[6:7], v[7:8], -v[11:12]
	v_add_f64 v[8:9], v[9:10], -v[13:14]
	scratch_store_b128 off, v[6:9], s6
	s_branch .LBB122_372
.LBB122_375:
	s_or_b32 exec_lo, exec_lo, s2
	s_waitcnt_vscnt null, 0x0
	s_barrier
	buffer_gl0_inv
	scratch_load_b128 v[0:3], v36, off
	v_lshl_add_u32 v4, v39, 4, v20
	s_cmp_lt_i32 s5, 17
	s_waitcnt vmcnt(0)
	ds_store_2addr_b64 v4, v[0:1], v[2:3] offset1:1
	s_waitcnt lgkmcnt(0)
	s_barrier
	buffer_gl0_inv
	ds_load_2addr_b64 v[0:3], v20 offset0:30 offset1:31
	v_mov_b32_e32 v4, 15
	s_cbranch_scc1 .LBB122_378
; %bb.376:
	v_add3_u32 v5, v37, 0, 0x100
	v_mov_b32_e32 v4, 15
	s_mov_b32 s6, 16
	s_set_inst_prefetch_distance 0x1
	.p2align	6
.LBB122_377:                            ; =>This Inner Loop Header: Depth=1
	ds_load_2addr_b64 v[6:9], v5 offset1:1
	s_waitcnt lgkmcnt(1)
	v_cmp_gt_f64_e32 vcc_lo, 0, v[0:1]
	v_xor_b32_e32 v10, 0x80000000, v1
	v_cmp_gt_f64_e64 s2, 0, v[2:3]
	v_xor_b32_e32 v12, 0x80000000, v3
	v_add_nc_u32_e32 v5, 16, v5
	s_waitcnt lgkmcnt(0)
	v_cmp_gt_f64_e64 s3, 0, v[6:7]
	v_mov_b32_e32 v14, v6
	v_dual_mov_b32 v16, v8 :: v_dual_cndmask_b32 v11, v1, v10
	v_xor_b32_e32 v10, 0x80000000, v7
	v_cndmask_b32_e64 v13, v3, v12, s2
	v_xor_b32_e32 v12, 0x80000000, v9
	s_delay_alu instid0(VALU_DEP_3) | instskip(SKIP_2) | instid1(VALU_DEP_2)
	v_cndmask_b32_e64 v15, v7, v10, s3
	v_cmp_gt_f64_e64 s3, 0, v[8:9]
	v_cndmask_b32_e32 v10, v0, v0, vcc_lo
	v_cndmask_b32_e64 v17, v9, v12, s3
	v_cndmask_b32_e64 v12, v2, v2, s2
	s_delay_alu instid0(VALU_DEP_2) | instskip(NEXT) | instid1(VALU_DEP_2)
	v_add_f64 v[14:15], v[14:15], v[16:17]
	v_add_f64 v[10:11], v[10:11], v[12:13]
	s_delay_alu instid0(VALU_DEP_1)
	v_cmp_lt_f64_e32 vcc_lo, v[10:11], v[14:15]
	v_cndmask_b32_e32 v3, v3, v9, vcc_lo
	v_dual_cndmask_b32 v1, v1, v7 :: v_dual_cndmask_b32 v0, v0, v6
	v_cndmask_b32_e32 v2, v2, v8, vcc_lo
	v_cndmask_b32_e64 v4, v4, s6, vcc_lo
	s_add_i32 s6, s6, 1
	s_delay_alu instid0(SALU_CYCLE_1)
	s_cmp_lg_u32 s5, s6
	s_cbranch_scc1 .LBB122_377
.LBB122_378:
	s_set_inst_prefetch_distance 0x2
	s_waitcnt lgkmcnt(0)
	v_cmp_eq_f64_e32 vcc_lo, 0, v[0:1]
	v_cmp_eq_f64_e64 s2, 0, v[2:3]
	s_delay_alu instid0(VALU_DEP_1) | instskip(NEXT) | instid1(SALU_CYCLE_1)
	s_and_b32 s2, vcc_lo, s2
	s_and_saveexec_b32 s3, s2
	s_delay_alu instid0(SALU_CYCLE_1)
	s_xor_b32 s2, exec_lo, s3
; %bb.379:
	v_cmp_ne_u32_e32 vcc_lo, 0, v35
	v_cndmask_b32_e32 v35, 16, v35, vcc_lo
; %bb.380:
	s_and_not1_saveexec_b32 s3, s2
	s_cbranch_execz .LBB122_386
; %bb.381:
	v_cmp_gt_f64_e32 vcc_lo, 0, v[0:1]
	v_cmp_gt_f64_e64 s2, 0, v[2:3]
	v_xor_b32_e32 v5, 0x80000000, v1
	v_xor_b32_e32 v7, 0x80000000, v3
	s_delay_alu instid0(VALU_DEP_2) | instskip(NEXT) | instid1(VALU_DEP_2)
	v_dual_cndmask_b32 v6, v1, v5 :: v_dual_cndmask_b32 v5, v0, v0
	v_cndmask_b32_e64 v8, v3, v7, s2
	v_cndmask_b32_e64 v7, v2, v2, s2
	s_mov_b32 s2, exec_lo
	s_delay_alu instid0(VALU_DEP_1)
	v_cmpx_ngt_f64_e32 v[5:6], v[7:8]
	s_xor_b32 s2, exec_lo, s2
	s_cbranch_execz .LBB122_383
; %bb.382:
	v_div_scale_f64 v[5:6], null, v[2:3], v[2:3], v[0:1]
	v_div_scale_f64 v[11:12], vcc_lo, v[0:1], v[2:3], v[0:1]
	s_delay_alu instid0(VALU_DEP_2) | instskip(SKIP_2) | instid1(VALU_DEP_1)
	v_rcp_f64_e32 v[7:8], v[5:6]
	s_waitcnt_depctr 0xfff
	v_fma_f64 v[9:10], -v[5:6], v[7:8], 1.0
	v_fma_f64 v[7:8], v[7:8], v[9:10], v[7:8]
	s_delay_alu instid0(VALU_DEP_1) | instskip(NEXT) | instid1(VALU_DEP_1)
	v_fma_f64 v[9:10], -v[5:6], v[7:8], 1.0
	v_fma_f64 v[7:8], v[7:8], v[9:10], v[7:8]
	s_delay_alu instid0(VALU_DEP_1) | instskip(NEXT) | instid1(VALU_DEP_1)
	v_mul_f64 v[9:10], v[11:12], v[7:8]
	v_fma_f64 v[5:6], -v[5:6], v[9:10], v[11:12]
	s_delay_alu instid0(VALU_DEP_1) | instskip(NEXT) | instid1(VALU_DEP_1)
	v_div_fmas_f64 v[5:6], v[5:6], v[7:8], v[9:10]
	v_div_fixup_f64 v[5:6], v[5:6], v[2:3], v[0:1]
	s_delay_alu instid0(VALU_DEP_1) | instskip(NEXT) | instid1(VALU_DEP_1)
	v_fma_f64 v[0:1], v[0:1], v[5:6], v[2:3]
	v_div_scale_f64 v[2:3], null, v[0:1], v[0:1], 1.0
	s_delay_alu instid0(VALU_DEP_1) | instskip(SKIP_2) | instid1(VALU_DEP_1)
	v_rcp_f64_e32 v[7:8], v[2:3]
	s_waitcnt_depctr 0xfff
	v_fma_f64 v[9:10], -v[2:3], v[7:8], 1.0
	v_fma_f64 v[7:8], v[7:8], v[9:10], v[7:8]
	s_delay_alu instid0(VALU_DEP_1) | instskip(NEXT) | instid1(VALU_DEP_1)
	v_fma_f64 v[9:10], -v[2:3], v[7:8], 1.0
	v_fma_f64 v[7:8], v[7:8], v[9:10], v[7:8]
	v_div_scale_f64 v[9:10], vcc_lo, 1.0, v[0:1], 1.0
	s_delay_alu instid0(VALU_DEP_1) | instskip(NEXT) | instid1(VALU_DEP_1)
	v_mul_f64 v[11:12], v[9:10], v[7:8]
	v_fma_f64 v[2:3], -v[2:3], v[11:12], v[9:10]
	s_delay_alu instid0(VALU_DEP_1) | instskip(NEXT) | instid1(VALU_DEP_1)
	v_div_fmas_f64 v[2:3], v[2:3], v[7:8], v[11:12]
	v_div_fixup_f64 v[2:3], v[2:3], v[0:1], 1.0
	s_delay_alu instid0(VALU_DEP_1)
	v_mul_f64 v[0:1], v[5:6], v[2:3]
	v_xor_b32_e32 v3, 0x80000000, v3
.LBB122_383:
	s_and_not1_saveexec_b32 s2, s2
	s_cbranch_execz .LBB122_385
; %bb.384:
	s_delay_alu instid0(VALU_DEP_1) | instskip(SKIP_1) | instid1(VALU_DEP_2)
	v_div_scale_f64 v[5:6], null, v[0:1], v[0:1], v[2:3]
	v_div_scale_f64 v[11:12], vcc_lo, v[2:3], v[0:1], v[2:3]
	v_rcp_f64_e32 v[7:8], v[5:6]
	s_waitcnt_depctr 0xfff
	v_fma_f64 v[9:10], -v[5:6], v[7:8], 1.0
	s_delay_alu instid0(VALU_DEP_1) | instskip(NEXT) | instid1(VALU_DEP_1)
	v_fma_f64 v[7:8], v[7:8], v[9:10], v[7:8]
	v_fma_f64 v[9:10], -v[5:6], v[7:8], 1.0
	s_delay_alu instid0(VALU_DEP_1) | instskip(NEXT) | instid1(VALU_DEP_1)
	v_fma_f64 v[7:8], v[7:8], v[9:10], v[7:8]
	v_mul_f64 v[9:10], v[11:12], v[7:8]
	s_delay_alu instid0(VALU_DEP_1) | instskip(NEXT) | instid1(VALU_DEP_1)
	v_fma_f64 v[5:6], -v[5:6], v[9:10], v[11:12]
	v_div_fmas_f64 v[5:6], v[5:6], v[7:8], v[9:10]
	s_delay_alu instid0(VALU_DEP_1) | instskip(NEXT) | instid1(VALU_DEP_1)
	v_div_fixup_f64 v[5:6], v[5:6], v[0:1], v[2:3]
	v_fma_f64 v[0:1], v[2:3], v[5:6], v[0:1]
	s_delay_alu instid0(VALU_DEP_1) | instskip(NEXT) | instid1(VALU_DEP_1)
	v_div_scale_f64 v[2:3], null, v[0:1], v[0:1], 1.0
	v_rcp_f64_e32 v[7:8], v[2:3]
	s_waitcnt_depctr 0xfff
	v_fma_f64 v[9:10], -v[2:3], v[7:8], 1.0
	s_delay_alu instid0(VALU_DEP_1) | instskip(NEXT) | instid1(VALU_DEP_1)
	v_fma_f64 v[7:8], v[7:8], v[9:10], v[7:8]
	v_fma_f64 v[9:10], -v[2:3], v[7:8], 1.0
	s_delay_alu instid0(VALU_DEP_1) | instskip(SKIP_1) | instid1(VALU_DEP_1)
	v_fma_f64 v[7:8], v[7:8], v[9:10], v[7:8]
	v_div_scale_f64 v[9:10], vcc_lo, 1.0, v[0:1], 1.0
	v_mul_f64 v[11:12], v[9:10], v[7:8]
	s_delay_alu instid0(VALU_DEP_1) | instskip(NEXT) | instid1(VALU_DEP_1)
	v_fma_f64 v[2:3], -v[2:3], v[11:12], v[9:10]
	v_div_fmas_f64 v[2:3], v[2:3], v[7:8], v[11:12]
	s_delay_alu instid0(VALU_DEP_1) | instskip(NEXT) | instid1(VALU_DEP_1)
	v_div_fixup_f64 v[0:1], v[2:3], v[0:1], 1.0
	v_mul_f64 v[2:3], v[5:6], -v[0:1]
.LBB122_385:
	s_or_b32 exec_lo, exec_lo, s2
.LBB122_386:
	s_delay_alu instid0(SALU_CYCLE_1) | instskip(NEXT) | instid1(SALU_CYCLE_1)
	s_or_b32 exec_lo, exec_lo, s3
	s_mov_b32 s2, exec_lo
	v_cmpx_ne_u32_e64 v39, v4
	s_xor_b32 s2, exec_lo, s2
	s_cbranch_execz .LBB122_392
; %bb.387:
	s_mov_b32 s3, exec_lo
	v_cmpx_eq_u32_e32 15, v39
	s_cbranch_execz .LBB122_391
; %bb.388:
	v_cmp_ne_u32_e32 vcc_lo, 15, v4
	s_xor_b32 s6, s4, -1
	s_delay_alu instid0(SALU_CYCLE_1) | instskip(NEXT) | instid1(SALU_CYCLE_1)
	s_and_b32 s7, s6, vcc_lo
	s_and_saveexec_b32 s6, s7
	s_cbranch_execz .LBB122_390
; %bb.389:
	v_ashrrev_i32_e32 v5, 31, v4
	s_delay_alu instid0(VALU_DEP_1) | instskip(NEXT) | instid1(VALU_DEP_1)
	v_lshlrev_b64 v[5:6], 2, v[4:5]
	v_add_co_u32 v5, vcc_lo, v18, v5
	s_delay_alu instid0(VALU_DEP_2)
	v_add_co_ci_u32_e32 v6, vcc_lo, v19, v6, vcc_lo
	s_clause 0x1
	flat_load_b32 v7, v[5:6]
	flat_load_b32 v8, v[18:19] offset:60
	s_waitcnt vmcnt(1) lgkmcnt(1)
	flat_store_b32 v[18:19], v7 offset:60
	s_waitcnt vmcnt(0) lgkmcnt(1)
	flat_store_b32 v[5:6], v8
.LBB122_390:
	s_or_b32 exec_lo, exec_lo, s6
	v_mov_b32_e32 v39, v4
	v_mov_b32_e32 v38, v4
.LBB122_391:
	s_or_b32 exec_lo, exec_lo, s3
.LBB122_392:
	s_and_not1_saveexec_b32 s2, s2
	s_cbranch_execz .LBB122_396
; %bb.393:
	v_add3_u32 v4, v37, 0, 0x100
	s_mov_b32 s3, 0
	.p2align	6
.LBB122_394:                            ; =>This Inner Loop Header: Depth=1
	s_delay_alu instid0(SALU_CYCLE_1) | instskip(NEXT) | instid1(VALU_DEP_2)
	v_add_nc_u32_e64 v5, s3, 0
	v_add_nc_u32_e32 v13, s3, v4
	s_add_i32 s3, s3, 32
	s_delay_alu instid0(SALU_CYCLE_1) | instskip(NEXT) | instid1(VALU_DEP_2)
	s_cmpk_eq_i32 s3, 0x2e0
	v_add_nc_u32_e32 v6, 0x100, v5
	v_add_nc_u32_e32 v9, 0x110, v5
	s_clause 0x1
	scratch_load_b128 v[5:8], v6, off
	scratch_load_b128 v[9:12], v9, off
	s_waitcnt vmcnt(1)
	ds_store_2addr_b64 v13, v[5:6], v[7:8] offset1:1
	s_waitcnt vmcnt(0)
	ds_store_2addr_b64 v13, v[9:10], v[11:12] offset0:2 offset1:3
	s_cbranch_scc0 .LBB122_394
; %bb.395:
	v_mov_b32_e32 v39, 15
.LBB122_396:
	s_or_b32 exec_lo, exec_lo, s2
	s_delay_alu instid0(SALU_CYCLE_1)
	s_mov_b32 s2, exec_lo
	s_waitcnt lgkmcnt(0)
	s_waitcnt_vscnt null, 0x0
	s_barrier
	buffer_gl0_inv
	v_cmpx_lt_i32_e32 15, v39
	s_cbranch_execz .LBB122_399
; %bb.397:
	scratch_load_b128 v[4:7], off, off offset:240
	s_mov_b32 s3, 0
	s_waitcnt vmcnt(0)
	v_mul_f64 v[8:9], v[2:3], v[6:7]
	v_mul_f64 v[6:7], v[0:1], v[6:7]
	s_delay_alu instid0(VALU_DEP_2) | instskip(NEXT) | instid1(VALU_DEP_2)
	v_fma_f64 v[0:1], v[0:1], v[4:5], -v[8:9]
	v_fma_f64 v[2:3], v[2:3], v[4:5], v[6:7]
	v_add3_u32 v4, v37, 0, 0x100
	scratch_store_b128 off, v[0:3], off offset:240
	s_set_inst_prefetch_distance 0x1
	.p2align	6
.LBB122_398:                            ; =>This Inner Loop Header: Depth=1
	v_add_nc_u32_e64 v5, s3, 0
	v_add_nc_u32_e32 v13, s3, v4
	s_add_i32 s3, s3, 32
	s_delay_alu instid0(SALU_CYCLE_1) | instskip(NEXT) | instid1(VALU_DEP_2)
	s_cmpk_lg_i32 s3, 0x2e0
	v_add_nc_u32_e32 v17, 0x100, v5
	v_add_nc_u32_e32 v51, 0x110, v5
	s_clause 0x1
	scratch_load_b128 v[5:8], v17, off
	scratch_load_b128 v[9:12], v51, off
	ds_load_2addr_b64 v[41:44], v13 offset1:1
	ds_load_2addr_b64 v[45:48], v13 offset0:2 offset1:3
	s_waitcnt lgkmcnt(1)
	v_mul_f64 v[13:14], v[43:44], v[2:3]
	v_mul_f64 v[15:16], v[41:42], v[2:3]
	s_waitcnt lgkmcnt(0)
	v_mul_f64 v[49:50], v[47:48], v[2:3]
	v_mul_f64 v[53:54], v[45:46], v[2:3]
	s_delay_alu instid0(VALU_DEP_4) | instskip(NEXT) | instid1(VALU_DEP_4)
	v_fma_f64 v[13:14], v[41:42], v[0:1], -v[13:14]
	v_fma_f64 v[15:16], v[43:44], v[0:1], v[15:16]
	s_delay_alu instid0(VALU_DEP_4) | instskip(NEXT) | instid1(VALU_DEP_4)
	v_fma_f64 v[41:42], v[45:46], v[0:1], -v[49:50]
	v_fma_f64 v[43:44], v[47:48], v[0:1], v[53:54]
	s_waitcnt vmcnt(1)
	s_delay_alu instid0(VALU_DEP_4) | instskip(NEXT) | instid1(VALU_DEP_4)
	v_add_f64 v[5:6], v[5:6], -v[13:14]
	v_add_f64 v[7:8], v[7:8], -v[15:16]
	s_waitcnt vmcnt(0)
	s_delay_alu instid0(VALU_DEP_4) | instskip(NEXT) | instid1(VALU_DEP_4)
	v_add_f64 v[9:10], v[9:10], -v[41:42]
	v_add_f64 v[11:12], v[11:12], -v[43:44]
	s_clause 0x1
	scratch_store_b128 v17, v[5:8], off
	scratch_store_b128 v51, v[9:12], off
	s_cbranch_scc1 .LBB122_398
.LBB122_399:
	s_set_inst_prefetch_distance 0x2
	s_or_b32 exec_lo, exec_lo, s2
	s_waitcnt_vscnt null, 0x0
	s_barrier
	buffer_gl0_inv
	scratch_load_b128 v[0:3], v40, off
	v_lshl_add_u32 v4, v39, 4, v20
	s_cmp_lt_i32 s5, 18
	s_waitcnt vmcnt(0)
	ds_store_2addr_b64 v4, v[0:1], v[2:3] offset1:1
	s_waitcnt lgkmcnt(0)
	s_barrier
	buffer_gl0_inv
	ds_load_2addr_b64 v[0:3], v20 offset0:32 offset1:33
	v_mov_b32_e32 v4, 16
	s_cbranch_scc1 .LBB122_402
; %bb.400:
	v_add3_u32 v5, v37, 0, 0x110
	v_mov_b32_e32 v4, 16
	s_mov_b32 s6, 17
	s_set_inst_prefetch_distance 0x1
	.p2align	6
.LBB122_401:                            ; =>This Inner Loop Header: Depth=1
	ds_load_2addr_b64 v[6:9], v5 offset1:1
	s_waitcnt lgkmcnt(1)
	v_cmp_gt_f64_e32 vcc_lo, 0, v[0:1]
	v_xor_b32_e32 v10, 0x80000000, v1
	v_cmp_gt_f64_e64 s2, 0, v[2:3]
	v_xor_b32_e32 v12, 0x80000000, v3
	v_add_nc_u32_e32 v5, 16, v5
	s_waitcnt lgkmcnt(0)
	v_cmp_gt_f64_e64 s3, 0, v[6:7]
	v_mov_b32_e32 v14, v6
	v_dual_mov_b32 v16, v8 :: v_dual_cndmask_b32 v11, v1, v10
	v_xor_b32_e32 v10, 0x80000000, v7
	v_cndmask_b32_e64 v13, v3, v12, s2
	v_xor_b32_e32 v12, 0x80000000, v9
	s_delay_alu instid0(VALU_DEP_3) | instskip(SKIP_2) | instid1(VALU_DEP_2)
	v_cndmask_b32_e64 v15, v7, v10, s3
	v_cmp_gt_f64_e64 s3, 0, v[8:9]
	v_cndmask_b32_e32 v10, v0, v0, vcc_lo
	v_cndmask_b32_e64 v17, v9, v12, s3
	v_cndmask_b32_e64 v12, v2, v2, s2
	s_delay_alu instid0(VALU_DEP_2) | instskip(NEXT) | instid1(VALU_DEP_2)
	v_add_f64 v[14:15], v[14:15], v[16:17]
	v_add_f64 v[10:11], v[10:11], v[12:13]
	s_delay_alu instid0(VALU_DEP_1)
	v_cmp_lt_f64_e32 vcc_lo, v[10:11], v[14:15]
	v_cndmask_b32_e32 v3, v3, v9, vcc_lo
	v_dual_cndmask_b32 v1, v1, v7 :: v_dual_cndmask_b32 v0, v0, v6
	v_cndmask_b32_e32 v2, v2, v8, vcc_lo
	v_cndmask_b32_e64 v4, v4, s6, vcc_lo
	s_add_i32 s6, s6, 1
	s_delay_alu instid0(SALU_CYCLE_1)
	s_cmp_lg_u32 s5, s6
	s_cbranch_scc1 .LBB122_401
.LBB122_402:
	s_set_inst_prefetch_distance 0x2
	s_waitcnt lgkmcnt(0)
	v_cmp_eq_f64_e32 vcc_lo, 0, v[0:1]
	v_cmp_eq_f64_e64 s2, 0, v[2:3]
	s_delay_alu instid0(VALU_DEP_1) | instskip(NEXT) | instid1(SALU_CYCLE_1)
	s_and_b32 s2, vcc_lo, s2
	s_and_saveexec_b32 s3, s2
	s_delay_alu instid0(SALU_CYCLE_1)
	s_xor_b32 s2, exec_lo, s3
; %bb.403:
	v_cmp_ne_u32_e32 vcc_lo, 0, v35
	v_cndmask_b32_e32 v35, 17, v35, vcc_lo
; %bb.404:
	s_and_not1_saveexec_b32 s3, s2
	s_cbranch_execz .LBB122_410
; %bb.405:
	v_cmp_gt_f64_e32 vcc_lo, 0, v[0:1]
	v_cmp_gt_f64_e64 s2, 0, v[2:3]
	v_xor_b32_e32 v5, 0x80000000, v1
	v_xor_b32_e32 v7, 0x80000000, v3
	s_delay_alu instid0(VALU_DEP_2) | instskip(NEXT) | instid1(VALU_DEP_2)
	v_dual_cndmask_b32 v6, v1, v5 :: v_dual_cndmask_b32 v5, v0, v0
	v_cndmask_b32_e64 v8, v3, v7, s2
	v_cndmask_b32_e64 v7, v2, v2, s2
	s_mov_b32 s2, exec_lo
	s_delay_alu instid0(VALU_DEP_1)
	v_cmpx_ngt_f64_e32 v[5:6], v[7:8]
	s_xor_b32 s2, exec_lo, s2
	s_cbranch_execz .LBB122_407
; %bb.406:
	v_div_scale_f64 v[5:6], null, v[2:3], v[2:3], v[0:1]
	v_div_scale_f64 v[11:12], vcc_lo, v[0:1], v[2:3], v[0:1]
	s_delay_alu instid0(VALU_DEP_2) | instskip(SKIP_2) | instid1(VALU_DEP_1)
	v_rcp_f64_e32 v[7:8], v[5:6]
	s_waitcnt_depctr 0xfff
	v_fma_f64 v[9:10], -v[5:6], v[7:8], 1.0
	v_fma_f64 v[7:8], v[7:8], v[9:10], v[7:8]
	s_delay_alu instid0(VALU_DEP_1) | instskip(NEXT) | instid1(VALU_DEP_1)
	v_fma_f64 v[9:10], -v[5:6], v[7:8], 1.0
	v_fma_f64 v[7:8], v[7:8], v[9:10], v[7:8]
	s_delay_alu instid0(VALU_DEP_1) | instskip(NEXT) | instid1(VALU_DEP_1)
	v_mul_f64 v[9:10], v[11:12], v[7:8]
	v_fma_f64 v[5:6], -v[5:6], v[9:10], v[11:12]
	s_delay_alu instid0(VALU_DEP_1) | instskip(NEXT) | instid1(VALU_DEP_1)
	v_div_fmas_f64 v[5:6], v[5:6], v[7:8], v[9:10]
	v_div_fixup_f64 v[5:6], v[5:6], v[2:3], v[0:1]
	s_delay_alu instid0(VALU_DEP_1) | instskip(NEXT) | instid1(VALU_DEP_1)
	v_fma_f64 v[0:1], v[0:1], v[5:6], v[2:3]
	v_div_scale_f64 v[2:3], null, v[0:1], v[0:1], 1.0
	s_delay_alu instid0(VALU_DEP_1) | instskip(SKIP_2) | instid1(VALU_DEP_1)
	v_rcp_f64_e32 v[7:8], v[2:3]
	s_waitcnt_depctr 0xfff
	v_fma_f64 v[9:10], -v[2:3], v[7:8], 1.0
	v_fma_f64 v[7:8], v[7:8], v[9:10], v[7:8]
	s_delay_alu instid0(VALU_DEP_1) | instskip(NEXT) | instid1(VALU_DEP_1)
	v_fma_f64 v[9:10], -v[2:3], v[7:8], 1.0
	v_fma_f64 v[7:8], v[7:8], v[9:10], v[7:8]
	v_div_scale_f64 v[9:10], vcc_lo, 1.0, v[0:1], 1.0
	s_delay_alu instid0(VALU_DEP_1) | instskip(NEXT) | instid1(VALU_DEP_1)
	v_mul_f64 v[11:12], v[9:10], v[7:8]
	v_fma_f64 v[2:3], -v[2:3], v[11:12], v[9:10]
	s_delay_alu instid0(VALU_DEP_1) | instskip(NEXT) | instid1(VALU_DEP_1)
	v_div_fmas_f64 v[2:3], v[2:3], v[7:8], v[11:12]
	v_div_fixup_f64 v[2:3], v[2:3], v[0:1], 1.0
	s_delay_alu instid0(VALU_DEP_1)
	v_mul_f64 v[0:1], v[5:6], v[2:3]
	v_xor_b32_e32 v3, 0x80000000, v3
.LBB122_407:
	s_and_not1_saveexec_b32 s2, s2
	s_cbranch_execz .LBB122_409
; %bb.408:
	s_delay_alu instid0(VALU_DEP_1) | instskip(SKIP_1) | instid1(VALU_DEP_2)
	v_div_scale_f64 v[5:6], null, v[0:1], v[0:1], v[2:3]
	v_div_scale_f64 v[11:12], vcc_lo, v[2:3], v[0:1], v[2:3]
	v_rcp_f64_e32 v[7:8], v[5:6]
	s_waitcnt_depctr 0xfff
	v_fma_f64 v[9:10], -v[5:6], v[7:8], 1.0
	s_delay_alu instid0(VALU_DEP_1) | instskip(NEXT) | instid1(VALU_DEP_1)
	v_fma_f64 v[7:8], v[7:8], v[9:10], v[7:8]
	v_fma_f64 v[9:10], -v[5:6], v[7:8], 1.0
	s_delay_alu instid0(VALU_DEP_1) | instskip(NEXT) | instid1(VALU_DEP_1)
	v_fma_f64 v[7:8], v[7:8], v[9:10], v[7:8]
	v_mul_f64 v[9:10], v[11:12], v[7:8]
	s_delay_alu instid0(VALU_DEP_1) | instskip(NEXT) | instid1(VALU_DEP_1)
	v_fma_f64 v[5:6], -v[5:6], v[9:10], v[11:12]
	v_div_fmas_f64 v[5:6], v[5:6], v[7:8], v[9:10]
	s_delay_alu instid0(VALU_DEP_1) | instskip(NEXT) | instid1(VALU_DEP_1)
	v_div_fixup_f64 v[5:6], v[5:6], v[0:1], v[2:3]
	v_fma_f64 v[0:1], v[2:3], v[5:6], v[0:1]
	s_delay_alu instid0(VALU_DEP_1) | instskip(NEXT) | instid1(VALU_DEP_1)
	v_div_scale_f64 v[2:3], null, v[0:1], v[0:1], 1.0
	v_rcp_f64_e32 v[7:8], v[2:3]
	s_waitcnt_depctr 0xfff
	v_fma_f64 v[9:10], -v[2:3], v[7:8], 1.0
	s_delay_alu instid0(VALU_DEP_1) | instskip(NEXT) | instid1(VALU_DEP_1)
	v_fma_f64 v[7:8], v[7:8], v[9:10], v[7:8]
	v_fma_f64 v[9:10], -v[2:3], v[7:8], 1.0
	s_delay_alu instid0(VALU_DEP_1) | instskip(SKIP_1) | instid1(VALU_DEP_1)
	v_fma_f64 v[7:8], v[7:8], v[9:10], v[7:8]
	v_div_scale_f64 v[9:10], vcc_lo, 1.0, v[0:1], 1.0
	v_mul_f64 v[11:12], v[9:10], v[7:8]
	s_delay_alu instid0(VALU_DEP_1) | instskip(NEXT) | instid1(VALU_DEP_1)
	v_fma_f64 v[2:3], -v[2:3], v[11:12], v[9:10]
	v_div_fmas_f64 v[2:3], v[2:3], v[7:8], v[11:12]
	s_delay_alu instid0(VALU_DEP_1) | instskip(NEXT) | instid1(VALU_DEP_1)
	v_div_fixup_f64 v[0:1], v[2:3], v[0:1], 1.0
	v_mul_f64 v[2:3], v[5:6], -v[0:1]
.LBB122_409:
	s_or_b32 exec_lo, exec_lo, s2
.LBB122_410:
	s_delay_alu instid0(SALU_CYCLE_1) | instskip(NEXT) | instid1(SALU_CYCLE_1)
	s_or_b32 exec_lo, exec_lo, s3
	s_mov_b32 s2, exec_lo
	v_cmpx_ne_u32_e64 v39, v4
	s_xor_b32 s2, exec_lo, s2
	s_cbranch_execz .LBB122_416
; %bb.411:
	s_mov_b32 s3, exec_lo
	v_cmpx_eq_u32_e32 16, v39
	s_cbranch_execz .LBB122_415
; %bb.412:
	v_cmp_ne_u32_e32 vcc_lo, 16, v4
	s_xor_b32 s6, s4, -1
	s_delay_alu instid0(SALU_CYCLE_1) | instskip(NEXT) | instid1(SALU_CYCLE_1)
	s_and_b32 s7, s6, vcc_lo
	s_and_saveexec_b32 s6, s7
	s_cbranch_execz .LBB122_414
; %bb.413:
	v_ashrrev_i32_e32 v5, 31, v4
	s_delay_alu instid0(VALU_DEP_1) | instskip(NEXT) | instid1(VALU_DEP_1)
	v_lshlrev_b64 v[5:6], 2, v[4:5]
	v_add_co_u32 v5, vcc_lo, v18, v5
	s_delay_alu instid0(VALU_DEP_2)
	v_add_co_ci_u32_e32 v6, vcc_lo, v19, v6, vcc_lo
	s_clause 0x1
	flat_load_b32 v7, v[5:6]
	flat_load_b32 v8, v[18:19] offset:64
	s_waitcnt vmcnt(1) lgkmcnt(1)
	flat_store_b32 v[18:19], v7 offset:64
	s_waitcnt vmcnt(0) lgkmcnt(1)
	flat_store_b32 v[5:6], v8
.LBB122_414:
	s_or_b32 exec_lo, exec_lo, s6
	v_mov_b32_e32 v39, v4
	v_mov_b32_e32 v38, v4
.LBB122_415:
	s_or_b32 exec_lo, exec_lo, s3
.LBB122_416:
	s_and_not1_saveexec_b32 s2, s2
	s_cbranch_execz .LBB122_420
; %bb.417:
	v_add3_u32 v4, v37, 0, 0x110
	v_mov_b32_e32 v5, 0
	s_mov_b32 s3, 0
.LBB122_418:                            ; =>This Inner Loop Header: Depth=1
	s_delay_alu instid0(VALU_DEP_1) | instskip(NEXT) | instid1(VALU_DEP_3)
	v_readfirstlane_b32 s6, v5
	v_add_nc_u32_e32 v14, s3, v4
	s_delay_alu instid0(VALU_DEP_2)
	s_add_i32 s6, s6, s3
	s_addk_i32 s3, 0xf0
	s_add_i32 s7, s6, 0x110
	s_add_i32 s9, s6, 0x120
	s_add_i32 s12, s6, 0x130
	s_add_i32 s14, s6, 0x140
	s_add_i32 s15, s6, 0x150
	s_add_i32 s16, s6, 0x160
	s_add_i32 s17, s6, 0x170
	s_add_i32 s18, s6, 0x180
	s_add_i32 s19, s6, 0x190
	s_add_i32 s20, s6, 0x1a0
	s_add_i32 s21, s6, 0x1b0
	s_add_i32 s22, s6, 0x1c0
	s_add_i32 s23, s6, 0x1d0
	s_add_i32 s24, s6, 0x1e0
	s_addk_i32 s6, 0x1f0
	s_clause 0xe
	scratch_load_b128 v[6:9], off, s7
	scratch_load_b128 v[10:13], off, s9
	;; [unrolled: 1-line block ×15, first 2 shown]
	s_cmpk_eq_i32 s3, 0x2d0
	s_waitcnt vmcnt(14)
	ds_store_2addr_b64 v14, v[6:7], v[8:9] offset1:1
	s_waitcnt vmcnt(13)
	ds_store_2addr_b64 v14, v[10:11], v[12:13] offset0:2 offset1:3
	s_waitcnt vmcnt(12)
	ds_store_2addr_b64 v14, v[41:42], v[43:44] offset0:4 offset1:5
	;; [unrolled: 2-line block ×14, first 2 shown]
	s_cbranch_scc0 .LBB122_418
; %bb.419:
	v_mov_b32_e32 v39, 16
.LBB122_420:
	s_or_b32 exec_lo, exec_lo, s2
	s_delay_alu instid0(SALU_CYCLE_1)
	s_mov_b32 s2, exec_lo
	s_waitcnt lgkmcnt(0)
	s_waitcnt_vscnt null, 0x0
	s_barrier
	buffer_gl0_inv
	v_cmpx_lt_i32_e32 16, v39
	s_cbranch_execz .LBB122_423
; %bb.421:
	scratch_load_b128 v[4:7], off, off offset:256
	s_mov_b32 s3, 0
	s_waitcnt vmcnt(0)
	v_mul_f64 v[8:9], v[2:3], v[6:7]
	v_mul_f64 v[6:7], v[0:1], v[6:7]
	s_delay_alu instid0(VALU_DEP_2) | instskip(NEXT) | instid1(VALU_DEP_2)
	v_fma_f64 v[0:1], v[0:1], v[4:5], -v[8:9]
	v_fma_f64 v[2:3], v[2:3], v[4:5], v[6:7]
	v_add3_u32 v4, v37, 0, 0x110
	v_mov_b32_e32 v5, 0
	scratch_store_b128 off, v[0:3], off offset:256
.LBB122_422:                            ; =>This Inner Loop Header: Depth=1
	v_readfirstlane_b32 s6, v5
	v_add_nc_u32_e32 v14, s3, v4
	s_delay_alu instid0(VALU_DEP_2)
	s_add_i32 s6, s6, s3
	s_addk_i32 s3, 0x50
	s_add_i32 s7, s6, 0x110
	s_add_i32 s9, s6, 0x120
	;; [unrolled: 1-line block ×4, first 2 shown]
	s_addk_i32 s6, 0x150
	s_clause 0x4
	scratch_load_b128 v[6:9], off, s7
	scratch_load_b128 v[10:13], off, s9
	;; [unrolled: 1-line block ×5, first 2 shown]
	ds_load_2addr_b64 v[61:64], v14 offset1:1
	ds_load_2addr_b64 v[69:72], v14 offset0:2 offset1:3
	ds_load_2addr_b64 v[77:80], v14 offset0:4 offset1:5
	;; [unrolled: 1-line block ×4, first 2 shown]
	s_cmpk_lg_i32 s3, 0x2d0
	s_waitcnt lgkmcnt(4)
	v_mul_f64 v[14:15], v[63:64], v[2:3]
	v_mul_f64 v[16:17], v[61:62], v[2:3]
	s_waitcnt lgkmcnt(3)
	v_mul_f64 v[49:50], v[71:72], v[2:3]
	v_mul_f64 v[57:58], v[69:70], v[2:3]
	;; [unrolled: 3-line block ×5, first 2 shown]
	v_fma_f64 v[14:15], v[61:62], v[0:1], -v[14:15]
	v_fma_f64 v[16:17], v[63:64], v[0:1], v[16:17]
	v_fma_f64 v[49:50], v[69:70], v[0:1], -v[49:50]
	v_fma_f64 v[57:58], v[71:72], v[0:1], v[57:58]
	v_fma_f64 v[61:62], v[77:78], v[0:1], -v[65:66]
	v_fma_f64 v[63:64], v[79:80], v[0:1], v[73:74]
	v_fma_f64 v[65:66], v[126:127], v[0:1], -v[81:82]
	v_fma_f64 v[69:70], v[128:129], v[0:1], v[85:86]
	v_fma_f64 v[71:72], v[137:138], v[0:1], -v[87:88]
	v_fma_f64 v[73:74], v[139:140], v[0:1], v[89:90]
	s_waitcnt vmcnt(4)
	v_add_f64 v[6:7], v[6:7], -v[14:15]
	v_add_f64 v[8:9], v[8:9], -v[16:17]
	s_waitcnt vmcnt(3)
	v_add_f64 v[10:11], v[10:11], -v[49:50]
	v_add_f64 v[12:13], v[12:13], -v[57:58]
	;; [unrolled: 3-line block ×5, first 2 shown]
	s_clause 0x4
	scratch_store_b128 off, v[6:9], s7
	scratch_store_b128 off, v[10:13], s9
	;; [unrolled: 1-line block ×5, first 2 shown]
	s_cbranch_scc1 .LBB122_422
.LBB122_423:
	s_or_b32 exec_lo, exec_lo, s2
	s_waitcnt_vscnt null, 0x0
	s_barrier
	buffer_gl0_inv
	scratch_load_b128 v[0:3], v52, off
	v_lshl_add_u32 v4, v39, 4, v20
	s_cmp_lt_i32 s5, 19
	s_waitcnt vmcnt(0)
	ds_store_2addr_b64 v4, v[0:1], v[2:3] offset1:1
	s_waitcnt lgkmcnt(0)
	s_barrier
	buffer_gl0_inv
	ds_load_2addr_b64 v[0:3], v20 offset0:34 offset1:35
	v_mov_b32_e32 v4, 17
	s_cbranch_scc1 .LBB122_426
; %bb.424:
	v_add3_u32 v5, v37, 0, 0x120
	v_mov_b32_e32 v4, 17
	s_mov_b32 s6, 18
	s_set_inst_prefetch_distance 0x1
	.p2align	6
.LBB122_425:                            ; =>This Inner Loop Header: Depth=1
	ds_load_2addr_b64 v[6:9], v5 offset1:1
	s_waitcnt lgkmcnt(1)
	v_cmp_gt_f64_e32 vcc_lo, 0, v[0:1]
	v_xor_b32_e32 v10, 0x80000000, v1
	v_cmp_gt_f64_e64 s2, 0, v[2:3]
	v_xor_b32_e32 v12, 0x80000000, v3
	v_add_nc_u32_e32 v5, 16, v5
	s_waitcnt lgkmcnt(0)
	v_cmp_gt_f64_e64 s3, 0, v[6:7]
	v_mov_b32_e32 v14, v6
	v_dual_mov_b32 v16, v8 :: v_dual_cndmask_b32 v11, v1, v10
	v_xor_b32_e32 v10, 0x80000000, v7
	v_cndmask_b32_e64 v13, v3, v12, s2
	v_xor_b32_e32 v12, 0x80000000, v9
	s_delay_alu instid0(VALU_DEP_3) | instskip(SKIP_2) | instid1(VALU_DEP_2)
	v_cndmask_b32_e64 v15, v7, v10, s3
	v_cmp_gt_f64_e64 s3, 0, v[8:9]
	v_cndmask_b32_e32 v10, v0, v0, vcc_lo
	v_cndmask_b32_e64 v17, v9, v12, s3
	v_cndmask_b32_e64 v12, v2, v2, s2
	s_delay_alu instid0(VALU_DEP_2) | instskip(NEXT) | instid1(VALU_DEP_2)
	v_add_f64 v[14:15], v[14:15], v[16:17]
	v_add_f64 v[10:11], v[10:11], v[12:13]
	s_delay_alu instid0(VALU_DEP_1)
	v_cmp_lt_f64_e32 vcc_lo, v[10:11], v[14:15]
	v_cndmask_b32_e32 v3, v3, v9, vcc_lo
	v_dual_cndmask_b32 v1, v1, v7 :: v_dual_cndmask_b32 v0, v0, v6
	v_cndmask_b32_e32 v2, v2, v8, vcc_lo
	v_cndmask_b32_e64 v4, v4, s6, vcc_lo
	s_add_i32 s6, s6, 1
	s_delay_alu instid0(SALU_CYCLE_1)
	s_cmp_lg_u32 s5, s6
	s_cbranch_scc1 .LBB122_425
.LBB122_426:
	s_set_inst_prefetch_distance 0x2
	s_waitcnt lgkmcnt(0)
	v_cmp_eq_f64_e32 vcc_lo, 0, v[0:1]
	v_cmp_eq_f64_e64 s2, 0, v[2:3]
	s_delay_alu instid0(VALU_DEP_1) | instskip(NEXT) | instid1(SALU_CYCLE_1)
	s_and_b32 s2, vcc_lo, s2
	s_and_saveexec_b32 s3, s2
	s_delay_alu instid0(SALU_CYCLE_1)
	s_xor_b32 s2, exec_lo, s3
; %bb.427:
	v_cmp_ne_u32_e32 vcc_lo, 0, v35
	v_cndmask_b32_e32 v35, 18, v35, vcc_lo
; %bb.428:
	s_and_not1_saveexec_b32 s3, s2
	s_cbranch_execz .LBB122_434
; %bb.429:
	v_cmp_gt_f64_e32 vcc_lo, 0, v[0:1]
	v_cmp_gt_f64_e64 s2, 0, v[2:3]
	v_xor_b32_e32 v5, 0x80000000, v1
	v_xor_b32_e32 v7, 0x80000000, v3
	s_delay_alu instid0(VALU_DEP_2) | instskip(NEXT) | instid1(VALU_DEP_2)
	v_dual_cndmask_b32 v6, v1, v5 :: v_dual_cndmask_b32 v5, v0, v0
	v_cndmask_b32_e64 v8, v3, v7, s2
	v_cndmask_b32_e64 v7, v2, v2, s2
	s_mov_b32 s2, exec_lo
	s_delay_alu instid0(VALU_DEP_1)
	v_cmpx_ngt_f64_e32 v[5:6], v[7:8]
	s_xor_b32 s2, exec_lo, s2
	s_cbranch_execz .LBB122_431
; %bb.430:
	v_div_scale_f64 v[5:6], null, v[2:3], v[2:3], v[0:1]
	v_div_scale_f64 v[11:12], vcc_lo, v[0:1], v[2:3], v[0:1]
	s_delay_alu instid0(VALU_DEP_2) | instskip(SKIP_2) | instid1(VALU_DEP_1)
	v_rcp_f64_e32 v[7:8], v[5:6]
	s_waitcnt_depctr 0xfff
	v_fma_f64 v[9:10], -v[5:6], v[7:8], 1.0
	v_fma_f64 v[7:8], v[7:8], v[9:10], v[7:8]
	s_delay_alu instid0(VALU_DEP_1) | instskip(NEXT) | instid1(VALU_DEP_1)
	v_fma_f64 v[9:10], -v[5:6], v[7:8], 1.0
	v_fma_f64 v[7:8], v[7:8], v[9:10], v[7:8]
	s_delay_alu instid0(VALU_DEP_1) | instskip(NEXT) | instid1(VALU_DEP_1)
	v_mul_f64 v[9:10], v[11:12], v[7:8]
	v_fma_f64 v[5:6], -v[5:6], v[9:10], v[11:12]
	s_delay_alu instid0(VALU_DEP_1) | instskip(NEXT) | instid1(VALU_DEP_1)
	v_div_fmas_f64 v[5:6], v[5:6], v[7:8], v[9:10]
	v_div_fixup_f64 v[5:6], v[5:6], v[2:3], v[0:1]
	s_delay_alu instid0(VALU_DEP_1) | instskip(NEXT) | instid1(VALU_DEP_1)
	v_fma_f64 v[0:1], v[0:1], v[5:6], v[2:3]
	v_div_scale_f64 v[2:3], null, v[0:1], v[0:1], 1.0
	s_delay_alu instid0(VALU_DEP_1) | instskip(SKIP_2) | instid1(VALU_DEP_1)
	v_rcp_f64_e32 v[7:8], v[2:3]
	s_waitcnt_depctr 0xfff
	v_fma_f64 v[9:10], -v[2:3], v[7:8], 1.0
	v_fma_f64 v[7:8], v[7:8], v[9:10], v[7:8]
	s_delay_alu instid0(VALU_DEP_1) | instskip(NEXT) | instid1(VALU_DEP_1)
	v_fma_f64 v[9:10], -v[2:3], v[7:8], 1.0
	v_fma_f64 v[7:8], v[7:8], v[9:10], v[7:8]
	v_div_scale_f64 v[9:10], vcc_lo, 1.0, v[0:1], 1.0
	s_delay_alu instid0(VALU_DEP_1) | instskip(NEXT) | instid1(VALU_DEP_1)
	v_mul_f64 v[11:12], v[9:10], v[7:8]
	v_fma_f64 v[2:3], -v[2:3], v[11:12], v[9:10]
	s_delay_alu instid0(VALU_DEP_1) | instskip(NEXT) | instid1(VALU_DEP_1)
	v_div_fmas_f64 v[2:3], v[2:3], v[7:8], v[11:12]
	v_div_fixup_f64 v[2:3], v[2:3], v[0:1], 1.0
	s_delay_alu instid0(VALU_DEP_1)
	v_mul_f64 v[0:1], v[5:6], v[2:3]
	v_xor_b32_e32 v3, 0x80000000, v3
.LBB122_431:
	s_and_not1_saveexec_b32 s2, s2
	s_cbranch_execz .LBB122_433
; %bb.432:
	s_delay_alu instid0(VALU_DEP_1) | instskip(SKIP_1) | instid1(VALU_DEP_2)
	v_div_scale_f64 v[5:6], null, v[0:1], v[0:1], v[2:3]
	v_div_scale_f64 v[11:12], vcc_lo, v[2:3], v[0:1], v[2:3]
	v_rcp_f64_e32 v[7:8], v[5:6]
	s_waitcnt_depctr 0xfff
	v_fma_f64 v[9:10], -v[5:6], v[7:8], 1.0
	s_delay_alu instid0(VALU_DEP_1) | instskip(NEXT) | instid1(VALU_DEP_1)
	v_fma_f64 v[7:8], v[7:8], v[9:10], v[7:8]
	v_fma_f64 v[9:10], -v[5:6], v[7:8], 1.0
	s_delay_alu instid0(VALU_DEP_1) | instskip(NEXT) | instid1(VALU_DEP_1)
	v_fma_f64 v[7:8], v[7:8], v[9:10], v[7:8]
	v_mul_f64 v[9:10], v[11:12], v[7:8]
	s_delay_alu instid0(VALU_DEP_1) | instskip(NEXT) | instid1(VALU_DEP_1)
	v_fma_f64 v[5:6], -v[5:6], v[9:10], v[11:12]
	v_div_fmas_f64 v[5:6], v[5:6], v[7:8], v[9:10]
	s_delay_alu instid0(VALU_DEP_1) | instskip(NEXT) | instid1(VALU_DEP_1)
	v_div_fixup_f64 v[5:6], v[5:6], v[0:1], v[2:3]
	v_fma_f64 v[0:1], v[2:3], v[5:6], v[0:1]
	s_delay_alu instid0(VALU_DEP_1) | instskip(NEXT) | instid1(VALU_DEP_1)
	v_div_scale_f64 v[2:3], null, v[0:1], v[0:1], 1.0
	v_rcp_f64_e32 v[7:8], v[2:3]
	s_waitcnt_depctr 0xfff
	v_fma_f64 v[9:10], -v[2:3], v[7:8], 1.0
	s_delay_alu instid0(VALU_DEP_1) | instskip(NEXT) | instid1(VALU_DEP_1)
	v_fma_f64 v[7:8], v[7:8], v[9:10], v[7:8]
	v_fma_f64 v[9:10], -v[2:3], v[7:8], 1.0
	s_delay_alu instid0(VALU_DEP_1) | instskip(SKIP_1) | instid1(VALU_DEP_1)
	v_fma_f64 v[7:8], v[7:8], v[9:10], v[7:8]
	v_div_scale_f64 v[9:10], vcc_lo, 1.0, v[0:1], 1.0
	v_mul_f64 v[11:12], v[9:10], v[7:8]
	s_delay_alu instid0(VALU_DEP_1) | instskip(NEXT) | instid1(VALU_DEP_1)
	v_fma_f64 v[2:3], -v[2:3], v[11:12], v[9:10]
	v_div_fmas_f64 v[2:3], v[2:3], v[7:8], v[11:12]
	s_delay_alu instid0(VALU_DEP_1) | instskip(NEXT) | instid1(VALU_DEP_1)
	v_div_fixup_f64 v[0:1], v[2:3], v[0:1], 1.0
	v_mul_f64 v[2:3], v[5:6], -v[0:1]
.LBB122_433:
	s_or_b32 exec_lo, exec_lo, s2
.LBB122_434:
	s_delay_alu instid0(SALU_CYCLE_1) | instskip(NEXT) | instid1(SALU_CYCLE_1)
	s_or_b32 exec_lo, exec_lo, s3
	s_mov_b32 s2, exec_lo
	v_cmpx_ne_u32_e64 v39, v4
	s_xor_b32 s2, exec_lo, s2
	s_cbranch_execz .LBB122_440
; %bb.435:
	s_mov_b32 s3, exec_lo
	v_cmpx_eq_u32_e32 17, v39
	s_cbranch_execz .LBB122_439
; %bb.436:
	v_cmp_ne_u32_e32 vcc_lo, 17, v4
	s_xor_b32 s6, s4, -1
	s_delay_alu instid0(SALU_CYCLE_1) | instskip(NEXT) | instid1(SALU_CYCLE_1)
	s_and_b32 s7, s6, vcc_lo
	s_and_saveexec_b32 s6, s7
	s_cbranch_execz .LBB122_438
; %bb.437:
	v_ashrrev_i32_e32 v5, 31, v4
	s_delay_alu instid0(VALU_DEP_1) | instskip(NEXT) | instid1(VALU_DEP_1)
	v_lshlrev_b64 v[5:6], 2, v[4:5]
	v_add_co_u32 v5, vcc_lo, v18, v5
	s_delay_alu instid0(VALU_DEP_2)
	v_add_co_ci_u32_e32 v6, vcc_lo, v19, v6, vcc_lo
	s_clause 0x1
	flat_load_b32 v7, v[5:6]
	flat_load_b32 v8, v[18:19] offset:68
	s_waitcnt vmcnt(1) lgkmcnt(1)
	flat_store_b32 v[18:19], v7 offset:68
	s_waitcnt vmcnt(0) lgkmcnt(1)
	flat_store_b32 v[5:6], v8
.LBB122_438:
	s_or_b32 exec_lo, exec_lo, s6
	v_mov_b32_e32 v39, v4
	v_mov_b32_e32 v38, v4
.LBB122_439:
	s_or_b32 exec_lo, exec_lo, s3
.LBB122_440:
	s_and_not1_saveexec_b32 s2, s2
	s_cbranch_execz .LBB122_444
; %bb.441:
	v_add3_u32 v4, v37, 0, 0x120
	v_mov_b32_e32 v5, 0
	s_mov_b32 s3, 0
.LBB122_442:                            ; =>This Inner Loop Header: Depth=1
	s_delay_alu instid0(VALU_DEP_1) | instskip(NEXT) | instid1(VALU_DEP_3)
	v_readfirstlane_b32 s6, v5
	v_add_nc_u32_e32 v14, s3, v4
	s_delay_alu instid0(VALU_DEP_2)
	s_add_i32 s6, s6, s3
	s_addk_i32 s3, 0xb0
	s_add_i32 s7, s6, 0x120
	s_add_i32 s9, s6, 0x130
	;; [unrolled: 1-line block ×10, first 2 shown]
	s_addk_i32 s6, 0x1c0
	s_clause 0xa
	scratch_load_b128 v[6:9], off, s7
	scratch_load_b128 v[10:13], off, s9
	;; [unrolled: 1-line block ×11, first 2 shown]
	s_cmpk_eq_i32 s3, 0x2c0
	s_waitcnt vmcnt(10)
	ds_store_2addr_b64 v14, v[6:7], v[8:9] offset1:1
	s_waitcnt vmcnt(9)
	ds_store_2addr_b64 v14, v[10:11], v[12:13] offset0:2 offset1:3
	s_waitcnt vmcnt(8)
	ds_store_2addr_b64 v14, v[41:42], v[43:44] offset0:4 offset1:5
	;; [unrolled: 2-line block ×10, first 2 shown]
	s_cbranch_scc0 .LBB122_442
; %bb.443:
	v_mov_b32_e32 v39, 17
.LBB122_444:
	s_or_b32 exec_lo, exec_lo, s2
	s_delay_alu instid0(SALU_CYCLE_1)
	s_mov_b32 s2, exec_lo
	s_waitcnt lgkmcnt(0)
	s_waitcnt_vscnt null, 0x0
	s_barrier
	buffer_gl0_inv
	v_cmpx_lt_i32_e32 17, v39
	s_cbranch_execz .LBB122_447
; %bb.445:
	scratch_load_b128 v[4:7], off, off offset:272
	s_mov_b32 s3, 0
	s_waitcnt vmcnt(0)
	v_mul_f64 v[8:9], v[2:3], v[6:7]
	v_mul_f64 v[6:7], v[0:1], v[6:7]
	s_delay_alu instid0(VALU_DEP_2) | instskip(NEXT) | instid1(VALU_DEP_2)
	v_fma_f64 v[0:1], v[0:1], v[4:5], -v[8:9]
	v_fma_f64 v[2:3], v[2:3], v[4:5], v[6:7]
	v_add3_u32 v4, v37, 0, 0x120
	v_mov_b32_e32 v5, 0
	scratch_store_b128 off, v[0:3], off offset:272
.LBB122_446:                            ; =>This Inner Loop Header: Depth=1
	v_readfirstlane_b32 s6, v5
	v_add_nc_u32_e32 v14, s3, v4
	s_delay_alu instid0(VALU_DEP_2)
	s_add_i32 s6, s6, s3
	s_add_i32 s3, s3, 64
	;; [unrolled: 1-line block ×5, first 2 shown]
	s_addk_i32 s6, 0x150
	s_clause 0x3
	scratch_load_b128 v[6:9], off, s7
	scratch_load_b128 v[10:13], off, s9
	;; [unrolled: 1-line block ×4, first 2 shown]
	ds_load_2addr_b64 v[53:56], v14 offset1:1
	ds_load_2addr_b64 v[61:64], v14 offset0:2 offset1:3
	ds_load_2addr_b64 v[69:72], v14 offset0:4 offset1:5
	;; [unrolled: 1-line block ×3, first 2 shown]
	s_cmpk_lg_i32 s3, 0x2c0
	s_waitcnt lgkmcnt(3)
	v_mul_f64 v[14:15], v[55:56], v[2:3]
	v_mul_f64 v[16:17], v[53:54], v[2:3]
	s_waitcnt lgkmcnt(2)
	v_mul_f64 v[49:50], v[63:64], v[2:3]
	v_mul_f64 v[57:58], v[61:62], v[2:3]
	;; [unrolled: 3-line block ×4, first 2 shown]
	v_fma_f64 v[14:15], v[53:54], v[0:1], -v[14:15]
	v_fma_f64 v[16:17], v[55:56], v[0:1], v[16:17]
	v_fma_f64 v[49:50], v[61:62], v[0:1], -v[49:50]
	v_fma_f64 v[53:54], v[63:64], v[0:1], v[57:58]
	;; [unrolled: 2-line block ×4, first 2 shown]
	s_waitcnt vmcnt(3)
	v_add_f64 v[6:7], v[6:7], -v[14:15]
	v_add_f64 v[8:9], v[8:9], -v[16:17]
	s_waitcnt vmcnt(2)
	v_add_f64 v[10:11], v[10:11], -v[49:50]
	v_add_f64 v[12:13], v[12:13], -v[53:54]
	;; [unrolled: 3-line block ×4, first 2 shown]
	s_clause 0x3
	scratch_store_b128 off, v[6:9], s7
	scratch_store_b128 off, v[10:13], s9
	;; [unrolled: 1-line block ×4, first 2 shown]
	s_cbranch_scc1 .LBB122_446
.LBB122_447:
	s_or_b32 exec_lo, exec_lo, s2
	s_waitcnt_vscnt null, 0x0
	s_barrier
	buffer_gl0_inv
	scratch_load_b128 v[0:3], v60, off
	v_lshl_add_u32 v4, v39, 4, v20
	s_cmp_lt_i32 s5, 20
	s_waitcnt vmcnt(0)
	ds_store_2addr_b64 v4, v[0:1], v[2:3] offset1:1
	s_waitcnt lgkmcnt(0)
	s_barrier
	buffer_gl0_inv
	ds_load_2addr_b64 v[0:3], v20 offset0:36 offset1:37
	v_mov_b32_e32 v4, 18
	s_cbranch_scc1 .LBB122_450
; %bb.448:
	v_add3_u32 v5, v37, 0, 0x130
	v_mov_b32_e32 v4, 18
	s_mov_b32 s6, 19
	s_set_inst_prefetch_distance 0x1
	.p2align	6
.LBB122_449:                            ; =>This Inner Loop Header: Depth=1
	ds_load_2addr_b64 v[6:9], v5 offset1:1
	s_waitcnt lgkmcnt(1)
	v_cmp_gt_f64_e32 vcc_lo, 0, v[0:1]
	v_xor_b32_e32 v10, 0x80000000, v1
	v_cmp_gt_f64_e64 s2, 0, v[2:3]
	v_xor_b32_e32 v12, 0x80000000, v3
	v_add_nc_u32_e32 v5, 16, v5
	s_waitcnt lgkmcnt(0)
	v_cmp_gt_f64_e64 s3, 0, v[6:7]
	v_mov_b32_e32 v14, v6
	v_dual_mov_b32 v16, v8 :: v_dual_cndmask_b32 v11, v1, v10
	v_xor_b32_e32 v10, 0x80000000, v7
	v_cndmask_b32_e64 v13, v3, v12, s2
	v_xor_b32_e32 v12, 0x80000000, v9
	s_delay_alu instid0(VALU_DEP_3) | instskip(SKIP_2) | instid1(VALU_DEP_2)
	v_cndmask_b32_e64 v15, v7, v10, s3
	v_cmp_gt_f64_e64 s3, 0, v[8:9]
	v_cndmask_b32_e32 v10, v0, v0, vcc_lo
	v_cndmask_b32_e64 v17, v9, v12, s3
	v_cndmask_b32_e64 v12, v2, v2, s2
	s_delay_alu instid0(VALU_DEP_2) | instskip(NEXT) | instid1(VALU_DEP_2)
	v_add_f64 v[14:15], v[14:15], v[16:17]
	v_add_f64 v[10:11], v[10:11], v[12:13]
	s_delay_alu instid0(VALU_DEP_1)
	v_cmp_lt_f64_e32 vcc_lo, v[10:11], v[14:15]
	v_cndmask_b32_e32 v3, v3, v9, vcc_lo
	v_dual_cndmask_b32 v1, v1, v7 :: v_dual_cndmask_b32 v0, v0, v6
	v_cndmask_b32_e32 v2, v2, v8, vcc_lo
	v_cndmask_b32_e64 v4, v4, s6, vcc_lo
	s_add_i32 s6, s6, 1
	s_delay_alu instid0(SALU_CYCLE_1)
	s_cmp_lg_u32 s5, s6
	s_cbranch_scc1 .LBB122_449
.LBB122_450:
	s_set_inst_prefetch_distance 0x2
	s_waitcnt lgkmcnt(0)
	v_cmp_eq_f64_e32 vcc_lo, 0, v[0:1]
	v_cmp_eq_f64_e64 s2, 0, v[2:3]
	s_delay_alu instid0(VALU_DEP_1) | instskip(NEXT) | instid1(SALU_CYCLE_1)
	s_and_b32 s2, vcc_lo, s2
	s_and_saveexec_b32 s3, s2
	s_delay_alu instid0(SALU_CYCLE_1)
	s_xor_b32 s2, exec_lo, s3
; %bb.451:
	v_cmp_ne_u32_e32 vcc_lo, 0, v35
	v_cndmask_b32_e32 v35, 19, v35, vcc_lo
; %bb.452:
	s_and_not1_saveexec_b32 s3, s2
	s_cbranch_execz .LBB122_458
; %bb.453:
	v_cmp_gt_f64_e32 vcc_lo, 0, v[0:1]
	v_cmp_gt_f64_e64 s2, 0, v[2:3]
	v_xor_b32_e32 v5, 0x80000000, v1
	v_xor_b32_e32 v7, 0x80000000, v3
	s_delay_alu instid0(VALU_DEP_2) | instskip(NEXT) | instid1(VALU_DEP_2)
	v_dual_cndmask_b32 v6, v1, v5 :: v_dual_cndmask_b32 v5, v0, v0
	v_cndmask_b32_e64 v8, v3, v7, s2
	v_cndmask_b32_e64 v7, v2, v2, s2
	s_mov_b32 s2, exec_lo
	s_delay_alu instid0(VALU_DEP_1)
	v_cmpx_ngt_f64_e32 v[5:6], v[7:8]
	s_xor_b32 s2, exec_lo, s2
	s_cbranch_execz .LBB122_455
; %bb.454:
	v_div_scale_f64 v[5:6], null, v[2:3], v[2:3], v[0:1]
	v_div_scale_f64 v[11:12], vcc_lo, v[0:1], v[2:3], v[0:1]
	s_delay_alu instid0(VALU_DEP_2) | instskip(SKIP_2) | instid1(VALU_DEP_1)
	v_rcp_f64_e32 v[7:8], v[5:6]
	s_waitcnt_depctr 0xfff
	v_fma_f64 v[9:10], -v[5:6], v[7:8], 1.0
	v_fma_f64 v[7:8], v[7:8], v[9:10], v[7:8]
	s_delay_alu instid0(VALU_DEP_1) | instskip(NEXT) | instid1(VALU_DEP_1)
	v_fma_f64 v[9:10], -v[5:6], v[7:8], 1.0
	v_fma_f64 v[7:8], v[7:8], v[9:10], v[7:8]
	s_delay_alu instid0(VALU_DEP_1) | instskip(NEXT) | instid1(VALU_DEP_1)
	v_mul_f64 v[9:10], v[11:12], v[7:8]
	v_fma_f64 v[5:6], -v[5:6], v[9:10], v[11:12]
	s_delay_alu instid0(VALU_DEP_1) | instskip(NEXT) | instid1(VALU_DEP_1)
	v_div_fmas_f64 v[5:6], v[5:6], v[7:8], v[9:10]
	v_div_fixup_f64 v[5:6], v[5:6], v[2:3], v[0:1]
	s_delay_alu instid0(VALU_DEP_1) | instskip(NEXT) | instid1(VALU_DEP_1)
	v_fma_f64 v[0:1], v[0:1], v[5:6], v[2:3]
	v_div_scale_f64 v[2:3], null, v[0:1], v[0:1], 1.0
	s_delay_alu instid0(VALU_DEP_1) | instskip(SKIP_2) | instid1(VALU_DEP_1)
	v_rcp_f64_e32 v[7:8], v[2:3]
	s_waitcnt_depctr 0xfff
	v_fma_f64 v[9:10], -v[2:3], v[7:8], 1.0
	v_fma_f64 v[7:8], v[7:8], v[9:10], v[7:8]
	s_delay_alu instid0(VALU_DEP_1) | instskip(NEXT) | instid1(VALU_DEP_1)
	v_fma_f64 v[9:10], -v[2:3], v[7:8], 1.0
	v_fma_f64 v[7:8], v[7:8], v[9:10], v[7:8]
	v_div_scale_f64 v[9:10], vcc_lo, 1.0, v[0:1], 1.0
	s_delay_alu instid0(VALU_DEP_1) | instskip(NEXT) | instid1(VALU_DEP_1)
	v_mul_f64 v[11:12], v[9:10], v[7:8]
	v_fma_f64 v[2:3], -v[2:3], v[11:12], v[9:10]
	s_delay_alu instid0(VALU_DEP_1) | instskip(NEXT) | instid1(VALU_DEP_1)
	v_div_fmas_f64 v[2:3], v[2:3], v[7:8], v[11:12]
	v_div_fixup_f64 v[2:3], v[2:3], v[0:1], 1.0
	s_delay_alu instid0(VALU_DEP_1)
	v_mul_f64 v[0:1], v[5:6], v[2:3]
	v_xor_b32_e32 v3, 0x80000000, v3
.LBB122_455:
	s_and_not1_saveexec_b32 s2, s2
	s_cbranch_execz .LBB122_457
; %bb.456:
	s_delay_alu instid0(VALU_DEP_1) | instskip(SKIP_1) | instid1(VALU_DEP_2)
	v_div_scale_f64 v[5:6], null, v[0:1], v[0:1], v[2:3]
	v_div_scale_f64 v[11:12], vcc_lo, v[2:3], v[0:1], v[2:3]
	v_rcp_f64_e32 v[7:8], v[5:6]
	s_waitcnt_depctr 0xfff
	v_fma_f64 v[9:10], -v[5:6], v[7:8], 1.0
	s_delay_alu instid0(VALU_DEP_1) | instskip(NEXT) | instid1(VALU_DEP_1)
	v_fma_f64 v[7:8], v[7:8], v[9:10], v[7:8]
	v_fma_f64 v[9:10], -v[5:6], v[7:8], 1.0
	s_delay_alu instid0(VALU_DEP_1) | instskip(NEXT) | instid1(VALU_DEP_1)
	v_fma_f64 v[7:8], v[7:8], v[9:10], v[7:8]
	v_mul_f64 v[9:10], v[11:12], v[7:8]
	s_delay_alu instid0(VALU_DEP_1) | instskip(NEXT) | instid1(VALU_DEP_1)
	v_fma_f64 v[5:6], -v[5:6], v[9:10], v[11:12]
	v_div_fmas_f64 v[5:6], v[5:6], v[7:8], v[9:10]
	s_delay_alu instid0(VALU_DEP_1) | instskip(NEXT) | instid1(VALU_DEP_1)
	v_div_fixup_f64 v[5:6], v[5:6], v[0:1], v[2:3]
	v_fma_f64 v[0:1], v[2:3], v[5:6], v[0:1]
	s_delay_alu instid0(VALU_DEP_1) | instskip(NEXT) | instid1(VALU_DEP_1)
	v_div_scale_f64 v[2:3], null, v[0:1], v[0:1], 1.0
	v_rcp_f64_e32 v[7:8], v[2:3]
	s_waitcnt_depctr 0xfff
	v_fma_f64 v[9:10], -v[2:3], v[7:8], 1.0
	s_delay_alu instid0(VALU_DEP_1) | instskip(NEXT) | instid1(VALU_DEP_1)
	v_fma_f64 v[7:8], v[7:8], v[9:10], v[7:8]
	v_fma_f64 v[9:10], -v[2:3], v[7:8], 1.0
	s_delay_alu instid0(VALU_DEP_1) | instskip(SKIP_1) | instid1(VALU_DEP_1)
	v_fma_f64 v[7:8], v[7:8], v[9:10], v[7:8]
	v_div_scale_f64 v[9:10], vcc_lo, 1.0, v[0:1], 1.0
	v_mul_f64 v[11:12], v[9:10], v[7:8]
	s_delay_alu instid0(VALU_DEP_1) | instskip(NEXT) | instid1(VALU_DEP_1)
	v_fma_f64 v[2:3], -v[2:3], v[11:12], v[9:10]
	v_div_fmas_f64 v[2:3], v[2:3], v[7:8], v[11:12]
	s_delay_alu instid0(VALU_DEP_1) | instskip(NEXT) | instid1(VALU_DEP_1)
	v_div_fixup_f64 v[0:1], v[2:3], v[0:1], 1.0
	v_mul_f64 v[2:3], v[5:6], -v[0:1]
.LBB122_457:
	s_or_b32 exec_lo, exec_lo, s2
.LBB122_458:
	s_delay_alu instid0(SALU_CYCLE_1) | instskip(NEXT) | instid1(SALU_CYCLE_1)
	s_or_b32 exec_lo, exec_lo, s3
	s_mov_b32 s2, exec_lo
	v_cmpx_ne_u32_e64 v39, v4
	s_xor_b32 s2, exec_lo, s2
	s_cbranch_execz .LBB122_464
; %bb.459:
	s_mov_b32 s3, exec_lo
	v_cmpx_eq_u32_e32 18, v39
	s_cbranch_execz .LBB122_463
; %bb.460:
	v_cmp_ne_u32_e32 vcc_lo, 18, v4
	s_xor_b32 s6, s4, -1
	s_delay_alu instid0(SALU_CYCLE_1) | instskip(NEXT) | instid1(SALU_CYCLE_1)
	s_and_b32 s7, s6, vcc_lo
	s_and_saveexec_b32 s6, s7
	s_cbranch_execz .LBB122_462
; %bb.461:
	v_ashrrev_i32_e32 v5, 31, v4
	s_delay_alu instid0(VALU_DEP_1) | instskip(NEXT) | instid1(VALU_DEP_1)
	v_lshlrev_b64 v[5:6], 2, v[4:5]
	v_add_co_u32 v5, vcc_lo, v18, v5
	s_delay_alu instid0(VALU_DEP_2)
	v_add_co_ci_u32_e32 v6, vcc_lo, v19, v6, vcc_lo
	s_clause 0x1
	flat_load_b32 v7, v[5:6]
	flat_load_b32 v8, v[18:19] offset:72
	s_waitcnt vmcnt(1) lgkmcnt(1)
	flat_store_b32 v[18:19], v7 offset:72
	s_waitcnt vmcnt(0) lgkmcnt(1)
	flat_store_b32 v[5:6], v8
.LBB122_462:
	s_or_b32 exec_lo, exec_lo, s6
	v_mov_b32_e32 v39, v4
	v_mov_b32_e32 v38, v4
.LBB122_463:
	s_or_b32 exec_lo, exec_lo, s3
.LBB122_464:
	s_and_not1_saveexec_b32 s2, s2
	s_cbranch_execz .LBB122_470
; %bb.465:
	v_add3_u32 v4, v37, 0, 0x130
	v_mov_b32_e32 v5, 0
	s_mov_b32 s3, 0
	s_branch .LBB122_467
.LBB122_466:                            ;   in Loop: Header=BB122_467 Depth=1
	s_and_not1_b32 vcc_lo, exec_lo, s7
	s_cbranch_vccz .LBB122_469
.LBB122_467:                            ; =>This Inner Loop Header: Depth=1
	s_delay_alu instid0(VALU_DEP_1) | instskip(SKIP_1) | instid1(VALU_DEP_2)
	v_readfirstlane_b32 s6, v5
	v_add_nc_u32_e32 v6, s3, v4
	s_add_i32 s6, s6, s3
	s_delay_alu instid0(SALU_CYCLE_1)
	s_add_i32 s7, s6, 0x130
	s_add_i32 s9, s6, 0x140
	;; [unrolled: 1-line block ×3, first 2 shown]
	s_clause 0x2
	scratch_load_b128 v[7:10], off, s7
	scratch_load_b128 v[11:14], off, s9
	;; [unrolled: 1-line block ×3, first 2 shown]
	s_mov_b32 s7, -1
	s_cmpk_eq_i32 s3, 0x280
	s_waitcnt vmcnt(2)
	ds_store_2addr_b64 v6, v[7:8], v[9:10] offset1:1
	s_waitcnt vmcnt(1)
	ds_store_2addr_b64 v6, v[11:12], v[13:14] offset0:2 offset1:3
	s_waitcnt vmcnt(0)
	ds_store_2addr_b64 v6, v[41:42], v[43:44] offset0:4 offset1:5
	s_cbranch_scc1 .LBB122_466
; %bb.468:                              ;   in Loop: Header=BB122_467 Depth=1
	s_add_i32 s7, s6, 0x160
	s_add_i32 s9, s6, 0x170
	s_clause 0x1
	scratch_load_b128 v[7:10], off, s7
	scratch_load_b128 v[11:14], off, s9
	s_add_i32 s7, s6, 0x180
	s_add_i32 s9, s6, 0x190
	s_addk_i32 s6, 0x1a0
	s_clause 0x2
	scratch_load_b128 v[41:44], off, s7
	scratch_load_b128 v[45:48], off, s9
	;; [unrolled: 1-line block ×3, first 2 shown]
	s_addk_i32 s3, 0x80
	s_mov_b32 s7, 0
	s_waitcnt vmcnt(4)
	ds_store_2addr_b64 v6, v[7:8], v[9:10] offset0:6 offset1:7
	s_waitcnt vmcnt(3)
	ds_store_2addr_b64 v6, v[11:12], v[13:14] offset0:8 offset1:9
	s_waitcnt vmcnt(2)
	ds_store_2addr_b64 v6, v[41:42], v[43:44] offset0:10 offset1:11
	s_waitcnt vmcnt(1)
	ds_store_2addr_b64 v6, v[45:46], v[47:48] offset0:12 offset1:13
	s_waitcnt vmcnt(0)
	ds_store_2addr_b64 v6, v[53:54], v[55:56] offset0:14 offset1:15
	s_branch .LBB122_466
.LBB122_469:
	v_mov_b32_e32 v39, 18
.LBB122_470:
	s_or_b32 exec_lo, exec_lo, s2
	s_delay_alu instid0(SALU_CYCLE_1)
	s_mov_b32 s2, exec_lo
	s_waitcnt lgkmcnt(0)
	s_waitcnt_vscnt null, 0x0
	s_barrier
	buffer_gl0_inv
	v_cmpx_lt_i32_e32 18, v39
	s_cbranch_execz .LBB122_475
; %bb.471:
	scratch_load_b128 v[4:7], off, off offset:288
	s_mov_b32 s3, 0
	s_waitcnt vmcnt(0)
	v_mul_f64 v[8:9], v[2:3], v[6:7]
	v_mul_f64 v[6:7], v[0:1], v[6:7]
	s_delay_alu instid0(VALU_DEP_2) | instskip(NEXT) | instid1(VALU_DEP_2)
	v_fma_f64 v[0:1], v[0:1], v[4:5], -v[8:9]
	v_fma_f64 v[2:3], v[2:3], v[4:5], v[6:7]
	v_add3_u32 v4, v37, 0, 0x130
	v_mov_b32_e32 v5, 0
	scratch_store_b128 off, v[0:3], off offset:288
	s_branch .LBB122_473
.LBB122_472:                            ;   in Loop: Header=BB122_473 Depth=1
	s_and_not1_b32 vcc_lo, exec_lo, s7
	s_cbranch_vccz .LBB122_475
.LBB122_473:                            ; =>This Inner Loop Header: Depth=1
	v_readfirstlane_b32 s6, v5
	v_add_nc_u32_e32 v6, s3, v4
	s_mov_b32 s7, -1
	s_delay_alu instid0(VALU_DEP_2) | instskip(NEXT) | instid1(SALU_CYCLE_1)
	s_add_i32 s6, s6, s3
	s_add_i32 s9, s6, 0x130
	;; [unrolled: 1-line block ×3, first 2 shown]
	scratch_load_b128 v[7:10], off, s9
	s_add_i32 s14, s6, 0x150
	s_clause 0x1
	scratch_load_b128 v[11:14], off, s12
	scratch_load_b128 v[41:44], off, s14
	ds_load_2addr_b64 v[45:48], v6 offset1:1
	ds_load_2addr_b64 v[53:56], v6 offset0:2 offset1:3
	ds_load_2addr_b64 v[61:64], v6 offset0:4 offset1:5
	s_cmpk_eq_i32 s3, 0x280
	s_waitcnt lgkmcnt(2)
	v_mul_f64 v[15:16], v[47:48], v[2:3]
	v_mul_f64 v[49:50], v[45:46], v[2:3]
	s_waitcnt lgkmcnt(1)
	v_mul_f64 v[57:58], v[55:56], v[2:3]
	v_mul_f64 v[65:66], v[53:54], v[2:3]
	;; [unrolled: 3-line block ×3, first 2 shown]
	v_fma_f64 v[15:16], v[45:46], v[0:1], -v[15:16]
	v_fma_f64 v[45:46], v[47:48], v[0:1], v[49:50]
	v_fma_f64 v[47:48], v[53:54], v[0:1], -v[57:58]
	v_fma_f64 v[49:50], v[55:56], v[0:1], v[65:66]
	;; [unrolled: 2-line block ×3, first 2 shown]
	s_waitcnt vmcnt(2)
	v_add_f64 v[7:8], v[7:8], -v[15:16]
	v_add_f64 v[9:10], v[9:10], -v[45:46]
	s_waitcnt vmcnt(1)
	v_add_f64 v[11:12], v[11:12], -v[47:48]
	v_add_f64 v[13:14], v[13:14], -v[49:50]
	;; [unrolled: 3-line block ×3, first 2 shown]
	s_clause 0x2
	scratch_store_b128 off, v[7:10], s9
	scratch_store_b128 off, v[11:14], s12
	;; [unrolled: 1-line block ×3, first 2 shown]
	s_cbranch_scc1 .LBB122_472
; %bb.474:                              ;   in Loop: Header=BB122_473 Depth=1
	s_addk_i32 s6, 0x160
	ds_load_2addr_b64 v[11:14], v6 offset0:6 offset1:7
	scratch_load_b128 v[7:10], off, s6
	s_add_i32 s3, s3, 64
	s_mov_b32 s7, 0
	s_waitcnt lgkmcnt(0)
	v_mul_f64 v[15:16], v[13:14], v[2:3]
	v_mul_f64 v[41:42], v[11:12], v[2:3]
	s_delay_alu instid0(VALU_DEP_2) | instskip(NEXT) | instid1(VALU_DEP_2)
	v_fma_f64 v[11:12], v[11:12], v[0:1], -v[15:16]
	v_fma_f64 v[13:14], v[13:14], v[0:1], v[41:42]
	s_waitcnt vmcnt(0)
	s_delay_alu instid0(VALU_DEP_2) | instskip(NEXT) | instid1(VALU_DEP_2)
	v_add_f64 v[6:7], v[7:8], -v[11:12]
	v_add_f64 v[8:9], v[9:10], -v[13:14]
	scratch_store_b128 off, v[6:9], s6
	s_branch .LBB122_472
.LBB122_475:
	s_or_b32 exec_lo, exec_lo, s2
	s_waitcnt_vscnt null, 0x0
	s_barrier
	buffer_gl0_inv
	scratch_load_b128 v[0:3], v68, off
	v_lshl_add_u32 v4, v39, 4, v20
	s_cmp_lt_i32 s5, 21
	s_waitcnt vmcnt(0)
	ds_store_2addr_b64 v4, v[0:1], v[2:3] offset1:1
	s_waitcnt lgkmcnt(0)
	s_barrier
	buffer_gl0_inv
	ds_load_2addr_b64 v[0:3], v20 offset0:38 offset1:39
	v_mov_b32_e32 v4, 19
	s_cbranch_scc1 .LBB122_478
; %bb.476:
	v_add3_u32 v5, v37, 0, 0x140
	v_mov_b32_e32 v4, 19
	s_mov_b32 s6, 20
	s_set_inst_prefetch_distance 0x1
	.p2align	6
.LBB122_477:                            ; =>This Inner Loop Header: Depth=1
	ds_load_2addr_b64 v[6:9], v5 offset1:1
	s_waitcnt lgkmcnt(1)
	v_cmp_gt_f64_e32 vcc_lo, 0, v[0:1]
	v_xor_b32_e32 v10, 0x80000000, v1
	v_cmp_gt_f64_e64 s2, 0, v[2:3]
	v_xor_b32_e32 v12, 0x80000000, v3
	v_add_nc_u32_e32 v5, 16, v5
	s_waitcnt lgkmcnt(0)
	v_cmp_gt_f64_e64 s3, 0, v[6:7]
	v_mov_b32_e32 v14, v6
	v_dual_mov_b32 v16, v8 :: v_dual_cndmask_b32 v11, v1, v10
	v_xor_b32_e32 v10, 0x80000000, v7
	v_cndmask_b32_e64 v13, v3, v12, s2
	v_xor_b32_e32 v12, 0x80000000, v9
	s_delay_alu instid0(VALU_DEP_3) | instskip(SKIP_2) | instid1(VALU_DEP_2)
	v_cndmask_b32_e64 v15, v7, v10, s3
	v_cmp_gt_f64_e64 s3, 0, v[8:9]
	v_cndmask_b32_e32 v10, v0, v0, vcc_lo
	v_cndmask_b32_e64 v17, v9, v12, s3
	v_cndmask_b32_e64 v12, v2, v2, s2
	s_delay_alu instid0(VALU_DEP_2) | instskip(NEXT) | instid1(VALU_DEP_2)
	v_add_f64 v[14:15], v[14:15], v[16:17]
	v_add_f64 v[10:11], v[10:11], v[12:13]
	s_delay_alu instid0(VALU_DEP_1)
	v_cmp_lt_f64_e32 vcc_lo, v[10:11], v[14:15]
	v_cndmask_b32_e32 v3, v3, v9, vcc_lo
	v_dual_cndmask_b32 v1, v1, v7 :: v_dual_cndmask_b32 v0, v0, v6
	v_cndmask_b32_e32 v2, v2, v8, vcc_lo
	v_cndmask_b32_e64 v4, v4, s6, vcc_lo
	s_add_i32 s6, s6, 1
	s_delay_alu instid0(SALU_CYCLE_1)
	s_cmp_lg_u32 s5, s6
	s_cbranch_scc1 .LBB122_477
.LBB122_478:
	s_set_inst_prefetch_distance 0x2
	s_waitcnt lgkmcnt(0)
	v_cmp_eq_f64_e32 vcc_lo, 0, v[0:1]
	v_cmp_eq_f64_e64 s2, 0, v[2:3]
	s_delay_alu instid0(VALU_DEP_1) | instskip(NEXT) | instid1(SALU_CYCLE_1)
	s_and_b32 s2, vcc_lo, s2
	s_and_saveexec_b32 s3, s2
	s_delay_alu instid0(SALU_CYCLE_1)
	s_xor_b32 s2, exec_lo, s3
; %bb.479:
	v_cmp_ne_u32_e32 vcc_lo, 0, v35
	v_cndmask_b32_e32 v35, 20, v35, vcc_lo
; %bb.480:
	s_and_not1_saveexec_b32 s3, s2
	s_cbranch_execz .LBB122_486
; %bb.481:
	v_cmp_gt_f64_e32 vcc_lo, 0, v[0:1]
	v_cmp_gt_f64_e64 s2, 0, v[2:3]
	v_xor_b32_e32 v5, 0x80000000, v1
	v_xor_b32_e32 v7, 0x80000000, v3
	s_delay_alu instid0(VALU_DEP_2) | instskip(NEXT) | instid1(VALU_DEP_2)
	v_dual_cndmask_b32 v6, v1, v5 :: v_dual_cndmask_b32 v5, v0, v0
	v_cndmask_b32_e64 v8, v3, v7, s2
	v_cndmask_b32_e64 v7, v2, v2, s2
	s_mov_b32 s2, exec_lo
	s_delay_alu instid0(VALU_DEP_1)
	v_cmpx_ngt_f64_e32 v[5:6], v[7:8]
	s_xor_b32 s2, exec_lo, s2
	s_cbranch_execz .LBB122_483
; %bb.482:
	v_div_scale_f64 v[5:6], null, v[2:3], v[2:3], v[0:1]
	v_div_scale_f64 v[11:12], vcc_lo, v[0:1], v[2:3], v[0:1]
	s_delay_alu instid0(VALU_DEP_2) | instskip(SKIP_2) | instid1(VALU_DEP_1)
	v_rcp_f64_e32 v[7:8], v[5:6]
	s_waitcnt_depctr 0xfff
	v_fma_f64 v[9:10], -v[5:6], v[7:8], 1.0
	v_fma_f64 v[7:8], v[7:8], v[9:10], v[7:8]
	s_delay_alu instid0(VALU_DEP_1) | instskip(NEXT) | instid1(VALU_DEP_1)
	v_fma_f64 v[9:10], -v[5:6], v[7:8], 1.0
	v_fma_f64 v[7:8], v[7:8], v[9:10], v[7:8]
	s_delay_alu instid0(VALU_DEP_1) | instskip(NEXT) | instid1(VALU_DEP_1)
	v_mul_f64 v[9:10], v[11:12], v[7:8]
	v_fma_f64 v[5:6], -v[5:6], v[9:10], v[11:12]
	s_delay_alu instid0(VALU_DEP_1) | instskip(NEXT) | instid1(VALU_DEP_1)
	v_div_fmas_f64 v[5:6], v[5:6], v[7:8], v[9:10]
	v_div_fixup_f64 v[5:6], v[5:6], v[2:3], v[0:1]
	s_delay_alu instid0(VALU_DEP_1) | instskip(NEXT) | instid1(VALU_DEP_1)
	v_fma_f64 v[0:1], v[0:1], v[5:6], v[2:3]
	v_div_scale_f64 v[2:3], null, v[0:1], v[0:1], 1.0
	s_delay_alu instid0(VALU_DEP_1) | instskip(SKIP_2) | instid1(VALU_DEP_1)
	v_rcp_f64_e32 v[7:8], v[2:3]
	s_waitcnt_depctr 0xfff
	v_fma_f64 v[9:10], -v[2:3], v[7:8], 1.0
	v_fma_f64 v[7:8], v[7:8], v[9:10], v[7:8]
	s_delay_alu instid0(VALU_DEP_1) | instskip(NEXT) | instid1(VALU_DEP_1)
	v_fma_f64 v[9:10], -v[2:3], v[7:8], 1.0
	v_fma_f64 v[7:8], v[7:8], v[9:10], v[7:8]
	v_div_scale_f64 v[9:10], vcc_lo, 1.0, v[0:1], 1.0
	s_delay_alu instid0(VALU_DEP_1) | instskip(NEXT) | instid1(VALU_DEP_1)
	v_mul_f64 v[11:12], v[9:10], v[7:8]
	v_fma_f64 v[2:3], -v[2:3], v[11:12], v[9:10]
	s_delay_alu instid0(VALU_DEP_1) | instskip(NEXT) | instid1(VALU_DEP_1)
	v_div_fmas_f64 v[2:3], v[2:3], v[7:8], v[11:12]
	v_div_fixup_f64 v[2:3], v[2:3], v[0:1], 1.0
	s_delay_alu instid0(VALU_DEP_1)
	v_mul_f64 v[0:1], v[5:6], v[2:3]
	v_xor_b32_e32 v3, 0x80000000, v3
.LBB122_483:
	s_and_not1_saveexec_b32 s2, s2
	s_cbranch_execz .LBB122_485
; %bb.484:
	s_delay_alu instid0(VALU_DEP_1) | instskip(SKIP_1) | instid1(VALU_DEP_2)
	v_div_scale_f64 v[5:6], null, v[0:1], v[0:1], v[2:3]
	v_div_scale_f64 v[11:12], vcc_lo, v[2:3], v[0:1], v[2:3]
	v_rcp_f64_e32 v[7:8], v[5:6]
	s_waitcnt_depctr 0xfff
	v_fma_f64 v[9:10], -v[5:6], v[7:8], 1.0
	s_delay_alu instid0(VALU_DEP_1) | instskip(NEXT) | instid1(VALU_DEP_1)
	v_fma_f64 v[7:8], v[7:8], v[9:10], v[7:8]
	v_fma_f64 v[9:10], -v[5:6], v[7:8], 1.0
	s_delay_alu instid0(VALU_DEP_1) | instskip(NEXT) | instid1(VALU_DEP_1)
	v_fma_f64 v[7:8], v[7:8], v[9:10], v[7:8]
	v_mul_f64 v[9:10], v[11:12], v[7:8]
	s_delay_alu instid0(VALU_DEP_1) | instskip(NEXT) | instid1(VALU_DEP_1)
	v_fma_f64 v[5:6], -v[5:6], v[9:10], v[11:12]
	v_div_fmas_f64 v[5:6], v[5:6], v[7:8], v[9:10]
	s_delay_alu instid0(VALU_DEP_1) | instskip(NEXT) | instid1(VALU_DEP_1)
	v_div_fixup_f64 v[5:6], v[5:6], v[0:1], v[2:3]
	v_fma_f64 v[0:1], v[2:3], v[5:6], v[0:1]
	s_delay_alu instid0(VALU_DEP_1) | instskip(NEXT) | instid1(VALU_DEP_1)
	v_div_scale_f64 v[2:3], null, v[0:1], v[0:1], 1.0
	v_rcp_f64_e32 v[7:8], v[2:3]
	s_waitcnt_depctr 0xfff
	v_fma_f64 v[9:10], -v[2:3], v[7:8], 1.0
	s_delay_alu instid0(VALU_DEP_1) | instskip(NEXT) | instid1(VALU_DEP_1)
	v_fma_f64 v[7:8], v[7:8], v[9:10], v[7:8]
	v_fma_f64 v[9:10], -v[2:3], v[7:8], 1.0
	s_delay_alu instid0(VALU_DEP_1) | instskip(SKIP_1) | instid1(VALU_DEP_1)
	v_fma_f64 v[7:8], v[7:8], v[9:10], v[7:8]
	v_div_scale_f64 v[9:10], vcc_lo, 1.0, v[0:1], 1.0
	v_mul_f64 v[11:12], v[9:10], v[7:8]
	s_delay_alu instid0(VALU_DEP_1) | instskip(NEXT) | instid1(VALU_DEP_1)
	v_fma_f64 v[2:3], -v[2:3], v[11:12], v[9:10]
	v_div_fmas_f64 v[2:3], v[2:3], v[7:8], v[11:12]
	s_delay_alu instid0(VALU_DEP_1) | instskip(NEXT) | instid1(VALU_DEP_1)
	v_div_fixup_f64 v[0:1], v[2:3], v[0:1], 1.0
	v_mul_f64 v[2:3], v[5:6], -v[0:1]
.LBB122_485:
	s_or_b32 exec_lo, exec_lo, s2
.LBB122_486:
	s_delay_alu instid0(SALU_CYCLE_1) | instskip(NEXT) | instid1(SALU_CYCLE_1)
	s_or_b32 exec_lo, exec_lo, s3
	s_mov_b32 s2, exec_lo
	v_cmpx_ne_u32_e64 v39, v4
	s_xor_b32 s2, exec_lo, s2
	s_cbranch_execz .LBB122_492
; %bb.487:
	s_mov_b32 s3, exec_lo
	v_cmpx_eq_u32_e32 19, v39
	s_cbranch_execz .LBB122_491
; %bb.488:
	v_cmp_ne_u32_e32 vcc_lo, 19, v4
	s_xor_b32 s6, s4, -1
	s_delay_alu instid0(SALU_CYCLE_1) | instskip(NEXT) | instid1(SALU_CYCLE_1)
	s_and_b32 s7, s6, vcc_lo
	s_and_saveexec_b32 s6, s7
	s_cbranch_execz .LBB122_490
; %bb.489:
	v_ashrrev_i32_e32 v5, 31, v4
	s_delay_alu instid0(VALU_DEP_1) | instskip(NEXT) | instid1(VALU_DEP_1)
	v_lshlrev_b64 v[5:6], 2, v[4:5]
	v_add_co_u32 v5, vcc_lo, v18, v5
	s_delay_alu instid0(VALU_DEP_2)
	v_add_co_ci_u32_e32 v6, vcc_lo, v19, v6, vcc_lo
	s_clause 0x1
	flat_load_b32 v7, v[5:6]
	flat_load_b32 v8, v[18:19] offset:76
	s_waitcnt vmcnt(1) lgkmcnt(1)
	flat_store_b32 v[18:19], v7 offset:76
	s_waitcnt vmcnt(0) lgkmcnt(1)
	flat_store_b32 v[5:6], v8
.LBB122_490:
	s_or_b32 exec_lo, exec_lo, s6
	v_mov_b32_e32 v39, v4
	v_mov_b32_e32 v38, v4
.LBB122_491:
	s_or_b32 exec_lo, exec_lo, s3
.LBB122_492:
	s_and_not1_saveexec_b32 s2, s2
	s_cbranch_execz .LBB122_496
; %bb.493:
	v_add3_u32 v4, v37, 0, 0x140
	v_mov_b32_e32 v5, 0
	s_mov_b32 s3, 0
.LBB122_494:                            ; =>This Inner Loop Header: Depth=1
	s_delay_alu instid0(VALU_DEP_1) | instskip(NEXT) | instid1(VALU_DEP_3)
	v_readfirstlane_b32 s6, v5
	v_add_nc_u32_e32 v14, s3, v4
	s_delay_alu instid0(VALU_DEP_2)
	s_add_i32 s6, s6, s3
	s_addk_i32 s3, 0xe0
	s_add_i32 s7, s6, 0x140
	s_add_i32 s9, s6, 0x150
	;; [unrolled: 1-line block ×13, first 2 shown]
	s_addk_i32 s6, 0x210
	s_clause 0xd
	scratch_load_b128 v[6:9], off, s7
	scratch_load_b128 v[10:13], off, s9
	;; [unrolled: 1-line block ×14, first 2 shown]
	s_cmpk_eq_i32 s3, 0x2a0
	s_waitcnt vmcnt(13)
	ds_store_2addr_b64 v14, v[6:7], v[8:9] offset1:1
	s_waitcnt vmcnt(12)
	ds_store_2addr_b64 v14, v[10:11], v[12:13] offset0:2 offset1:3
	s_waitcnt vmcnt(11)
	ds_store_2addr_b64 v14, v[41:42], v[43:44] offset0:4 offset1:5
	;; [unrolled: 2-line block ×13, first 2 shown]
	s_cbranch_scc0 .LBB122_494
; %bb.495:
	v_mov_b32_e32 v39, 19
.LBB122_496:
	s_or_b32 exec_lo, exec_lo, s2
	s_delay_alu instid0(SALU_CYCLE_1)
	s_mov_b32 s2, exec_lo
	s_waitcnt lgkmcnt(0)
	s_waitcnt_vscnt null, 0x0
	s_barrier
	buffer_gl0_inv
	v_cmpx_lt_i32_e32 19, v39
	s_cbranch_execz .LBB122_499
; %bb.497:
	scratch_load_b128 v[4:7], off, off offset:304
	s_mov_b32 s3, 0
	s_waitcnt vmcnt(0)
	v_mul_f64 v[8:9], v[2:3], v[6:7]
	v_mul_f64 v[6:7], v[0:1], v[6:7]
	s_delay_alu instid0(VALU_DEP_2) | instskip(NEXT) | instid1(VALU_DEP_2)
	v_fma_f64 v[0:1], v[0:1], v[4:5], -v[8:9]
	v_fma_f64 v[2:3], v[2:3], v[4:5], v[6:7]
	v_add3_u32 v4, v37, 0, 0x140
	v_mov_b32_e32 v5, 0
	scratch_store_b128 off, v[0:3], off offset:304
.LBB122_498:                            ; =>This Inner Loop Header: Depth=1
	v_add_nc_u32_e32 v51, s3, v4
	v_readfirstlane_b32 s6, v5
	ds_load_2addr_b64 v[6:9], v51 offset1:1
	ds_load_2addr_b64 v[10:13], v51 offset0:2 offset1:3
	ds_load_2addr_b64 v[41:44], v51 offset0:4 offset1:5
	;; [unrolled: 1-line block ×5, first 2 shown]
	s_add_i32 s6, s6, s3
	s_addk_i32 s3, 0x70
	s_add_i32 s7, s6, 0x140
	s_add_i32 s9, s6, 0x150
	;; [unrolled: 1-line block ×6, first 2 shown]
	s_addk_i32 s6, 0x1a0
	s_cmpk_lg_i32 s3, 0x2a0
	s_waitcnt lgkmcnt(5)
	v_mul_f64 v[14:15], v[8:9], v[2:3]
	v_mul_f64 v[16:17], v[6:7], v[2:3]
	s_waitcnt lgkmcnt(4)
	v_mul_f64 v[49:50], v[12:13], v[2:3]
	v_mul_f64 v[57:58], v[10:11], v[2:3]
	;; [unrolled: 3-line block ×6, first 2 shown]
	v_fma_f64 v[14:15], v[6:7], v[0:1], -v[14:15]
	v_fma_f64 v[16:17], v[8:9], v[0:1], v[16:17]
	v_fma_f64 v[49:50], v[10:11], v[0:1], -v[49:50]
	v_fma_f64 v[57:58], v[12:13], v[0:1], v[57:58]
	;; [unrolled: 2-line block ×6, first 2 shown]
	scratch_load_b128 v[0:3], off, off offset:304
	s_clause 0x6
	scratch_load_b128 v[6:9], off, s7
	scratch_load_b128 v[10:13], off, s9
	;; [unrolled: 1-line block ×7, first 2 shown]
	ds_load_2addr_b64 v[77:80], v51 offset0:12 offset1:13
	s_waitcnt vmcnt(6)
	v_add_f64 v[6:7], v[6:7], -v[14:15]
	v_add_f64 v[8:9], v[8:9], -v[16:17]
	s_waitcnt vmcnt(5)
	v_add_f64 v[10:11], v[10:11], -v[49:50]
	v_add_f64 v[12:13], v[12:13], -v[57:58]
	s_waitcnt vmcnt(4)
	v_add_f64 v[41:42], v[41:42], -v[65:66]
	s_waitcnt lgkmcnt(0)
	v_mul_f64 v[95:96], v[79:80], v[2:3]
	v_mul_f64 v[97:98], v[77:78], v[2:3]
	v_add_f64 v[43:44], v[43:44], -v[85:86]
	s_waitcnt vmcnt(3)
	v_add_f64 v[45:46], v[45:46], -v[87:88]
	v_add_f64 v[47:48], v[47:48], -v[73:74]
	s_waitcnt vmcnt(2)
	v_add_f64 v[53:54], v[53:54], -v[89:90]
	;; [unrolled: 3-line block ×3, first 2 shown]
	v_add_f64 v[63:64], v[63:64], -v[93:94]
	v_fma_f64 v[77:78], v[77:78], v[0:1], -v[95:96]
	v_fma_f64 v[79:80], v[79:80], v[0:1], v[97:98]
	s_waitcnt vmcnt(0)
	s_delay_alu instid0(VALU_DEP_2) | instskip(NEXT) | instid1(VALU_DEP_2)
	v_add_f64 v[69:70], v[69:70], -v[77:78]
	v_add_f64 v[71:72], v[71:72], -v[79:80]
	s_clause 0x6
	scratch_store_b128 off, v[6:9], s7
	scratch_store_b128 off, v[10:13], s9
	;; [unrolled: 1-line block ×7, first 2 shown]
	s_cbranch_scc1 .LBB122_498
.LBB122_499:
	s_or_b32 exec_lo, exec_lo, s2
	s_waitcnt_vscnt null, 0x0
	s_barrier
	buffer_gl0_inv
	scratch_load_b128 v[0:3], v76, off
	v_lshl_add_u32 v4, v39, 4, v20
	s_cmp_lt_i32 s5, 22
	s_waitcnt vmcnt(0)
	ds_store_2addr_b64 v4, v[0:1], v[2:3] offset1:1
	s_waitcnt lgkmcnt(0)
	s_barrier
	buffer_gl0_inv
	ds_load_2addr_b64 v[0:3], v20 offset0:40 offset1:41
	v_mov_b32_e32 v4, 20
	s_cbranch_scc1 .LBB122_502
; %bb.500:
	v_add3_u32 v5, v37, 0, 0x150
	v_mov_b32_e32 v4, 20
	s_mov_b32 s6, 21
	s_set_inst_prefetch_distance 0x1
	.p2align	6
.LBB122_501:                            ; =>This Inner Loop Header: Depth=1
	ds_load_2addr_b64 v[6:9], v5 offset1:1
	s_waitcnt lgkmcnt(1)
	v_cmp_gt_f64_e32 vcc_lo, 0, v[0:1]
	v_xor_b32_e32 v10, 0x80000000, v1
	v_cmp_gt_f64_e64 s2, 0, v[2:3]
	v_xor_b32_e32 v12, 0x80000000, v3
	v_add_nc_u32_e32 v5, 16, v5
	s_waitcnt lgkmcnt(0)
	v_cmp_gt_f64_e64 s3, 0, v[6:7]
	v_mov_b32_e32 v14, v6
	v_dual_mov_b32 v16, v8 :: v_dual_cndmask_b32 v11, v1, v10
	v_xor_b32_e32 v10, 0x80000000, v7
	v_cndmask_b32_e64 v13, v3, v12, s2
	v_xor_b32_e32 v12, 0x80000000, v9
	s_delay_alu instid0(VALU_DEP_3) | instskip(SKIP_2) | instid1(VALU_DEP_2)
	v_cndmask_b32_e64 v15, v7, v10, s3
	v_cmp_gt_f64_e64 s3, 0, v[8:9]
	v_cndmask_b32_e32 v10, v0, v0, vcc_lo
	v_cndmask_b32_e64 v17, v9, v12, s3
	v_cndmask_b32_e64 v12, v2, v2, s2
	s_delay_alu instid0(VALU_DEP_2) | instskip(NEXT) | instid1(VALU_DEP_2)
	v_add_f64 v[14:15], v[14:15], v[16:17]
	v_add_f64 v[10:11], v[10:11], v[12:13]
	s_delay_alu instid0(VALU_DEP_1)
	v_cmp_lt_f64_e32 vcc_lo, v[10:11], v[14:15]
	v_cndmask_b32_e32 v3, v3, v9, vcc_lo
	v_dual_cndmask_b32 v1, v1, v7 :: v_dual_cndmask_b32 v0, v0, v6
	v_cndmask_b32_e32 v2, v2, v8, vcc_lo
	v_cndmask_b32_e64 v4, v4, s6, vcc_lo
	s_add_i32 s6, s6, 1
	s_delay_alu instid0(SALU_CYCLE_1)
	s_cmp_lg_u32 s5, s6
	s_cbranch_scc1 .LBB122_501
.LBB122_502:
	s_set_inst_prefetch_distance 0x2
	s_waitcnt lgkmcnt(0)
	v_cmp_eq_f64_e32 vcc_lo, 0, v[0:1]
	v_cmp_eq_f64_e64 s2, 0, v[2:3]
	s_delay_alu instid0(VALU_DEP_1) | instskip(NEXT) | instid1(SALU_CYCLE_1)
	s_and_b32 s2, vcc_lo, s2
	s_and_saveexec_b32 s3, s2
	s_delay_alu instid0(SALU_CYCLE_1)
	s_xor_b32 s2, exec_lo, s3
; %bb.503:
	v_cmp_ne_u32_e32 vcc_lo, 0, v35
	v_cndmask_b32_e32 v35, 21, v35, vcc_lo
; %bb.504:
	s_and_not1_saveexec_b32 s3, s2
	s_cbranch_execz .LBB122_510
; %bb.505:
	v_cmp_gt_f64_e32 vcc_lo, 0, v[0:1]
	v_cmp_gt_f64_e64 s2, 0, v[2:3]
	v_xor_b32_e32 v5, 0x80000000, v1
	v_xor_b32_e32 v7, 0x80000000, v3
	s_delay_alu instid0(VALU_DEP_2) | instskip(NEXT) | instid1(VALU_DEP_2)
	v_dual_cndmask_b32 v6, v1, v5 :: v_dual_cndmask_b32 v5, v0, v0
	v_cndmask_b32_e64 v8, v3, v7, s2
	v_cndmask_b32_e64 v7, v2, v2, s2
	s_mov_b32 s2, exec_lo
	s_delay_alu instid0(VALU_DEP_1)
	v_cmpx_ngt_f64_e32 v[5:6], v[7:8]
	s_xor_b32 s2, exec_lo, s2
	s_cbranch_execz .LBB122_507
; %bb.506:
	v_div_scale_f64 v[5:6], null, v[2:3], v[2:3], v[0:1]
	v_div_scale_f64 v[11:12], vcc_lo, v[0:1], v[2:3], v[0:1]
	s_delay_alu instid0(VALU_DEP_2) | instskip(SKIP_2) | instid1(VALU_DEP_1)
	v_rcp_f64_e32 v[7:8], v[5:6]
	s_waitcnt_depctr 0xfff
	v_fma_f64 v[9:10], -v[5:6], v[7:8], 1.0
	v_fma_f64 v[7:8], v[7:8], v[9:10], v[7:8]
	s_delay_alu instid0(VALU_DEP_1) | instskip(NEXT) | instid1(VALU_DEP_1)
	v_fma_f64 v[9:10], -v[5:6], v[7:8], 1.0
	v_fma_f64 v[7:8], v[7:8], v[9:10], v[7:8]
	s_delay_alu instid0(VALU_DEP_1) | instskip(NEXT) | instid1(VALU_DEP_1)
	v_mul_f64 v[9:10], v[11:12], v[7:8]
	v_fma_f64 v[5:6], -v[5:6], v[9:10], v[11:12]
	s_delay_alu instid0(VALU_DEP_1) | instskip(NEXT) | instid1(VALU_DEP_1)
	v_div_fmas_f64 v[5:6], v[5:6], v[7:8], v[9:10]
	v_div_fixup_f64 v[5:6], v[5:6], v[2:3], v[0:1]
	s_delay_alu instid0(VALU_DEP_1) | instskip(NEXT) | instid1(VALU_DEP_1)
	v_fma_f64 v[0:1], v[0:1], v[5:6], v[2:3]
	v_div_scale_f64 v[2:3], null, v[0:1], v[0:1], 1.0
	s_delay_alu instid0(VALU_DEP_1) | instskip(SKIP_2) | instid1(VALU_DEP_1)
	v_rcp_f64_e32 v[7:8], v[2:3]
	s_waitcnt_depctr 0xfff
	v_fma_f64 v[9:10], -v[2:3], v[7:8], 1.0
	v_fma_f64 v[7:8], v[7:8], v[9:10], v[7:8]
	s_delay_alu instid0(VALU_DEP_1) | instskip(NEXT) | instid1(VALU_DEP_1)
	v_fma_f64 v[9:10], -v[2:3], v[7:8], 1.0
	v_fma_f64 v[7:8], v[7:8], v[9:10], v[7:8]
	v_div_scale_f64 v[9:10], vcc_lo, 1.0, v[0:1], 1.0
	s_delay_alu instid0(VALU_DEP_1) | instskip(NEXT) | instid1(VALU_DEP_1)
	v_mul_f64 v[11:12], v[9:10], v[7:8]
	v_fma_f64 v[2:3], -v[2:3], v[11:12], v[9:10]
	s_delay_alu instid0(VALU_DEP_1) | instskip(NEXT) | instid1(VALU_DEP_1)
	v_div_fmas_f64 v[2:3], v[2:3], v[7:8], v[11:12]
	v_div_fixup_f64 v[2:3], v[2:3], v[0:1], 1.0
	s_delay_alu instid0(VALU_DEP_1)
	v_mul_f64 v[0:1], v[5:6], v[2:3]
	v_xor_b32_e32 v3, 0x80000000, v3
.LBB122_507:
	s_and_not1_saveexec_b32 s2, s2
	s_cbranch_execz .LBB122_509
; %bb.508:
	s_delay_alu instid0(VALU_DEP_1) | instskip(SKIP_1) | instid1(VALU_DEP_2)
	v_div_scale_f64 v[5:6], null, v[0:1], v[0:1], v[2:3]
	v_div_scale_f64 v[11:12], vcc_lo, v[2:3], v[0:1], v[2:3]
	v_rcp_f64_e32 v[7:8], v[5:6]
	s_waitcnt_depctr 0xfff
	v_fma_f64 v[9:10], -v[5:6], v[7:8], 1.0
	s_delay_alu instid0(VALU_DEP_1) | instskip(NEXT) | instid1(VALU_DEP_1)
	v_fma_f64 v[7:8], v[7:8], v[9:10], v[7:8]
	v_fma_f64 v[9:10], -v[5:6], v[7:8], 1.0
	s_delay_alu instid0(VALU_DEP_1) | instskip(NEXT) | instid1(VALU_DEP_1)
	v_fma_f64 v[7:8], v[7:8], v[9:10], v[7:8]
	v_mul_f64 v[9:10], v[11:12], v[7:8]
	s_delay_alu instid0(VALU_DEP_1) | instskip(NEXT) | instid1(VALU_DEP_1)
	v_fma_f64 v[5:6], -v[5:6], v[9:10], v[11:12]
	v_div_fmas_f64 v[5:6], v[5:6], v[7:8], v[9:10]
	s_delay_alu instid0(VALU_DEP_1) | instskip(NEXT) | instid1(VALU_DEP_1)
	v_div_fixup_f64 v[5:6], v[5:6], v[0:1], v[2:3]
	v_fma_f64 v[0:1], v[2:3], v[5:6], v[0:1]
	s_delay_alu instid0(VALU_DEP_1) | instskip(NEXT) | instid1(VALU_DEP_1)
	v_div_scale_f64 v[2:3], null, v[0:1], v[0:1], 1.0
	v_rcp_f64_e32 v[7:8], v[2:3]
	s_waitcnt_depctr 0xfff
	v_fma_f64 v[9:10], -v[2:3], v[7:8], 1.0
	s_delay_alu instid0(VALU_DEP_1) | instskip(NEXT) | instid1(VALU_DEP_1)
	v_fma_f64 v[7:8], v[7:8], v[9:10], v[7:8]
	v_fma_f64 v[9:10], -v[2:3], v[7:8], 1.0
	s_delay_alu instid0(VALU_DEP_1) | instskip(SKIP_1) | instid1(VALU_DEP_1)
	v_fma_f64 v[7:8], v[7:8], v[9:10], v[7:8]
	v_div_scale_f64 v[9:10], vcc_lo, 1.0, v[0:1], 1.0
	v_mul_f64 v[11:12], v[9:10], v[7:8]
	s_delay_alu instid0(VALU_DEP_1) | instskip(NEXT) | instid1(VALU_DEP_1)
	v_fma_f64 v[2:3], -v[2:3], v[11:12], v[9:10]
	v_div_fmas_f64 v[2:3], v[2:3], v[7:8], v[11:12]
	s_delay_alu instid0(VALU_DEP_1) | instskip(NEXT) | instid1(VALU_DEP_1)
	v_div_fixup_f64 v[0:1], v[2:3], v[0:1], 1.0
	v_mul_f64 v[2:3], v[5:6], -v[0:1]
.LBB122_509:
	s_or_b32 exec_lo, exec_lo, s2
.LBB122_510:
	s_delay_alu instid0(SALU_CYCLE_1) | instskip(NEXT) | instid1(SALU_CYCLE_1)
	s_or_b32 exec_lo, exec_lo, s3
	s_mov_b32 s2, exec_lo
	v_cmpx_ne_u32_e64 v39, v4
	s_xor_b32 s2, exec_lo, s2
	s_cbranch_execz .LBB122_516
; %bb.511:
	s_mov_b32 s3, exec_lo
	v_cmpx_eq_u32_e32 20, v39
	s_cbranch_execz .LBB122_515
; %bb.512:
	v_cmp_ne_u32_e32 vcc_lo, 20, v4
	s_xor_b32 s6, s4, -1
	s_delay_alu instid0(SALU_CYCLE_1) | instskip(NEXT) | instid1(SALU_CYCLE_1)
	s_and_b32 s7, s6, vcc_lo
	s_and_saveexec_b32 s6, s7
	s_cbranch_execz .LBB122_514
; %bb.513:
	v_ashrrev_i32_e32 v5, 31, v4
	s_delay_alu instid0(VALU_DEP_1) | instskip(NEXT) | instid1(VALU_DEP_1)
	v_lshlrev_b64 v[5:6], 2, v[4:5]
	v_add_co_u32 v5, vcc_lo, v18, v5
	s_delay_alu instid0(VALU_DEP_2)
	v_add_co_ci_u32_e32 v6, vcc_lo, v19, v6, vcc_lo
	s_clause 0x1
	flat_load_b32 v7, v[5:6]
	flat_load_b32 v8, v[18:19] offset:80
	s_waitcnt vmcnt(1) lgkmcnt(1)
	flat_store_b32 v[18:19], v7 offset:80
	s_waitcnt vmcnt(0) lgkmcnt(1)
	flat_store_b32 v[5:6], v8
.LBB122_514:
	s_or_b32 exec_lo, exec_lo, s6
	v_mov_b32_e32 v39, v4
	v_mov_b32_e32 v38, v4
.LBB122_515:
	s_or_b32 exec_lo, exec_lo, s3
.LBB122_516:
	s_and_not1_saveexec_b32 s2, s2
	s_cbranch_execz .LBB122_522
; %bb.517:
	v_add3_u32 v4, v37, 0, 0x150
	v_mov_b32_e32 v5, 0
	s_mov_b32 s3, 0
	s_branch .LBB122_519
.LBB122_518:                            ;   in Loop: Header=BB122_519 Depth=1
	s_and_not1_b32 vcc_lo, exec_lo, s7
	s_cbranch_vccz .LBB122_521
.LBB122_519:                            ; =>This Inner Loop Header: Depth=1
	s_delay_alu instid0(VALU_DEP_1) | instskip(SKIP_1) | instid1(VALU_DEP_2)
	v_readfirstlane_b32 s6, v5
	v_add_nc_u32_e32 v6, s3, v4
	s_add_i32 s6, s6, s3
	s_delay_alu instid0(SALU_CYCLE_1)
	s_add_i32 s7, s6, 0x150
	s_cmpk_eq_i32 s3, 0x280
	scratch_load_b128 v[7:10], off, s7
	s_mov_b32 s7, -1
	s_waitcnt vmcnt(0)
	ds_store_2addr_b64 v6, v[7:8], v[9:10] offset1:1
	s_cbranch_scc1 .LBB122_518
; %bb.520:                              ;   in Loop: Header=BB122_519 Depth=1
	s_add_i32 s7, s6, 0x160
	s_add_i32 s9, s6, 0x170
	s_clause 0x1
	scratch_load_b128 v[7:10], off, s7
	scratch_load_b128 v[11:14], off, s9
	s_add_i32 s7, s6, 0x180
	s_add_i32 s9, s6, 0x190
	s_clause 0x1
	scratch_load_b128 v[41:44], off, s7
	scratch_load_b128 v[45:48], off, s9
	s_add_i32 s7, s6, 0x1a0
	s_add_i32 s9, s6, 0x1b0
	s_addk_i32 s6, 0x1c0
	s_clause 0x2
	scratch_load_b128 v[53:56], off, s7
	scratch_load_b128 v[61:64], off, s9
	;; [unrolled: 1-line block ×3, first 2 shown]
	s_addk_i32 s3, 0x80
	s_mov_b32 s7, 0
	s_waitcnt vmcnt(6)
	ds_store_2addr_b64 v6, v[7:8], v[9:10] offset0:2 offset1:3
	s_waitcnt vmcnt(5)
	ds_store_2addr_b64 v6, v[11:12], v[13:14] offset0:4 offset1:5
	;; [unrolled: 2-line block ×7, first 2 shown]
	s_branch .LBB122_518
.LBB122_521:
	v_mov_b32_e32 v39, 20
.LBB122_522:
	s_or_b32 exec_lo, exec_lo, s2
	s_delay_alu instid0(SALU_CYCLE_1)
	s_mov_b32 s2, exec_lo
	s_waitcnt lgkmcnt(0)
	s_waitcnt_vscnt null, 0x0
	s_barrier
	buffer_gl0_inv
	v_cmpx_lt_i32_e32 20, v39
	s_cbranch_execz .LBB122_527
; %bb.523:
	scratch_load_b128 v[4:7], off, off offset:320
	s_mov_b32 s3, 0
	s_waitcnt vmcnt(0)
	v_mul_f64 v[8:9], v[2:3], v[6:7]
	v_mul_f64 v[6:7], v[0:1], v[6:7]
	s_delay_alu instid0(VALU_DEP_2) | instskip(NEXT) | instid1(VALU_DEP_2)
	v_fma_f64 v[0:1], v[0:1], v[4:5], -v[8:9]
	v_fma_f64 v[2:3], v[2:3], v[4:5], v[6:7]
	v_add3_u32 v4, v37, 0, 0x150
	v_mov_b32_e32 v5, 0
	scratch_store_b128 off, v[0:3], off offset:320
	s_branch .LBB122_525
.LBB122_524:                            ;   in Loop: Header=BB122_525 Depth=1
	s_and_not1_b32 vcc_lo, exec_lo, s7
	s_cbranch_vccz .LBB122_527
.LBB122_525:                            ; =>This Inner Loop Header: Depth=1
	v_readfirstlane_b32 s6, v5
	v_add_nc_u32_e32 v6, s3, v4
	s_mov_b32 s7, -1
	s_delay_alu instid0(VALU_DEP_2)
	s_add_i32 s6, s6, s3
	ds_load_2addr_b64 v[11:14], v6 offset1:1
	s_add_i32 s9, s6, 0x150
	s_cmpk_eq_i32 s3, 0x280
	scratch_load_b128 v[7:10], off, s9
	s_waitcnt lgkmcnt(0)
	v_mul_f64 v[15:16], v[13:14], v[2:3]
	v_mul_f64 v[41:42], v[11:12], v[2:3]
	s_delay_alu instid0(VALU_DEP_2) | instskip(NEXT) | instid1(VALU_DEP_2)
	v_fma_f64 v[11:12], v[11:12], v[0:1], -v[15:16]
	v_fma_f64 v[13:14], v[13:14], v[0:1], v[41:42]
	s_waitcnt vmcnt(0)
	s_delay_alu instid0(VALU_DEP_2) | instskip(NEXT) | instid1(VALU_DEP_2)
	v_add_f64 v[7:8], v[7:8], -v[11:12]
	v_add_f64 v[9:10], v[9:10], -v[13:14]
	scratch_store_b128 off, v[7:10], s9
	s_cbranch_scc1 .LBB122_524
; %bb.526:                              ;   in Loop: Header=BB122_525 Depth=1
	s_add_i32 s9, s6, 0x160
	s_add_i32 s12, s6, 0x170
	scratch_load_b128 v[7:10], off, s9
	s_addk_i32 s6, 0x180
	s_clause 0x1
	scratch_load_b128 v[11:14], off, s12
	scratch_load_b128 v[41:44], off, s6
	ds_load_2addr_b64 v[45:48], v6 offset0:2 offset1:3
	ds_load_2addr_b64 v[53:56], v6 offset0:4 offset1:5
	;; [unrolled: 1-line block ×3, first 2 shown]
	s_add_i32 s3, s3, 64
	s_mov_b32 s7, 0
	s_waitcnt lgkmcnt(2)
	v_mul_f64 v[15:16], v[47:48], v[2:3]
	v_mul_f64 v[49:50], v[45:46], v[2:3]
	s_waitcnt lgkmcnt(1)
	v_mul_f64 v[57:58], v[55:56], v[2:3]
	v_mul_f64 v[65:66], v[53:54], v[2:3]
	;; [unrolled: 3-line block ×3, first 2 shown]
	v_fma_f64 v[15:16], v[45:46], v[0:1], -v[15:16]
	v_fma_f64 v[45:46], v[47:48], v[0:1], v[49:50]
	v_fma_f64 v[47:48], v[53:54], v[0:1], -v[57:58]
	v_fma_f64 v[49:50], v[55:56], v[0:1], v[65:66]
	;; [unrolled: 2-line block ×3, first 2 shown]
	s_waitcnt vmcnt(2)
	v_add_f64 v[6:7], v[7:8], -v[15:16]
	v_add_f64 v[8:9], v[9:10], -v[45:46]
	s_waitcnt vmcnt(1)
	v_add_f64 v[10:11], v[11:12], -v[47:48]
	v_add_f64 v[12:13], v[13:14], -v[49:50]
	;; [unrolled: 3-line block ×3, first 2 shown]
	s_clause 0x2
	scratch_store_b128 off, v[6:9], s9
	scratch_store_b128 off, v[10:13], s12
	;; [unrolled: 1-line block ×3, first 2 shown]
	s_branch .LBB122_524
.LBB122_527:
	s_or_b32 exec_lo, exec_lo, s2
	s_waitcnt_vscnt null, 0x0
	s_barrier
	buffer_gl0_inv
	scratch_load_b128 v[0:3], v84, off
	v_lshl_add_u32 v4, v39, 4, v20
	s_cmp_lt_i32 s5, 23
	s_waitcnt vmcnt(0)
	ds_store_2addr_b64 v4, v[0:1], v[2:3] offset1:1
	s_waitcnt lgkmcnt(0)
	s_barrier
	buffer_gl0_inv
	ds_load_2addr_b64 v[0:3], v20 offset0:42 offset1:43
	v_mov_b32_e32 v4, 21
	s_cbranch_scc1 .LBB122_530
; %bb.528:
	v_add3_u32 v5, v37, 0, 0x160
	v_mov_b32_e32 v4, 21
	s_mov_b32 s6, 22
	s_set_inst_prefetch_distance 0x1
	.p2align	6
.LBB122_529:                            ; =>This Inner Loop Header: Depth=1
	ds_load_2addr_b64 v[6:9], v5 offset1:1
	s_waitcnt lgkmcnt(1)
	v_cmp_gt_f64_e32 vcc_lo, 0, v[0:1]
	v_xor_b32_e32 v10, 0x80000000, v1
	v_cmp_gt_f64_e64 s2, 0, v[2:3]
	v_xor_b32_e32 v12, 0x80000000, v3
	v_add_nc_u32_e32 v5, 16, v5
	s_waitcnt lgkmcnt(0)
	v_cmp_gt_f64_e64 s3, 0, v[6:7]
	v_mov_b32_e32 v14, v6
	v_dual_mov_b32 v16, v8 :: v_dual_cndmask_b32 v11, v1, v10
	v_xor_b32_e32 v10, 0x80000000, v7
	v_cndmask_b32_e64 v13, v3, v12, s2
	v_xor_b32_e32 v12, 0x80000000, v9
	s_delay_alu instid0(VALU_DEP_3) | instskip(SKIP_2) | instid1(VALU_DEP_2)
	v_cndmask_b32_e64 v15, v7, v10, s3
	v_cmp_gt_f64_e64 s3, 0, v[8:9]
	v_cndmask_b32_e32 v10, v0, v0, vcc_lo
	v_cndmask_b32_e64 v17, v9, v12, s3
	v_cndmask_b32_e64 v12, v2, v2, s2
	s_delay_alu instid0(VALU_DEP_2) | instskip(NEXT) | instid1(VALU_DEP_2)
	v_add_f64 v[14:15], v[14:15], v[16:17]
	v_add_f64 v[10:11], v[10:11], v[12:13]
	s_delay_alu instid0(VALU_DEP_1)
	v_cmp_lt_f64_e32 vcc_lo, v[10:11], v[14:15]
	v_cndmask_b32_e32 v3, v3, v9, vcc_lo
	v_dual_cndmask_b32 v1, v1, v7 :: v_dual_cndmask_b32 v0, v0, v6
	v_cndmask_b32_e32 v2, v2, v8, vcc_lo
	v_cndmask_b32_e64 v4, v4, s6, vcc_lo
	s_add_i32 s6, s6, 1
	s_delay_alu instid0(SALU_CYCLE_1)
	s_cmp_lg_u32 s5, s6
	s_cbranch_scc1 .LBB122_529
.LBB122_530:
	s_set_inst_prefetch_distance 0x2
	s_waitcnt lgkmcnt(0)
	v_cmp_eq_f64_e32 vcc_lo, 0, v[0:1]
	v_cmp_eq_f64_e64 s2, 0, v[2:3]
	s_delay_alu instid0(VALU_DEP_1) | instskip(NEXT) | instid1(SALU_CYCLE_1)
	s_and_b32 s2, vcc_lo, s2
	s_and_saveexec_b32 s3, s2
	s_delay_alu instid0(SALU_CYCLE_1)
	s_xor_b32 s2, exec_lo, s3
; %bb.531:
	v_cmp_ne_u32_e32 vcc_lo, 0, v35
	v_cndmask_b32_e32 v35, 22, v35, vcc_lo
; %bb.532:
	s_and_not1_saveexec_b32 s3, s2
	s_cbranch_execz .LBB122_538
; %bb.533:
	v_cmp_gt_f64_e32 vcc_lo, 0, v[0:1]
	v_cmp_gt_f64_e64 s2, 0, v[2:3]
	v_xor_b32_e32 v5, 0x80000000, v1
	v_xor_b32_e32 v7, 0x80000000, v3
	s_delay_alu instid0(VALU_DEP_2) | instskip(NEXT) | instid1(VALU_DEP_2)
	v_dual_cndmask_b32 v6, v1, v5 :: v_dual_cndmask_b32 v5, v0, v0
	v_cndmask_b32_e64 v8, v3, v7, s2
	v_cndmask_b32_e64 v7, v2, v2, s2
	s_mov_b32 s2, exec_lo
	s_delay_alu instid0(VALU_DEP_1)
	v_cmpx_ngt_f64_e32 v[5:6], v[7:8]
	s_xor_b32 s2, exec_lo, s2
	s_cbranch_execz .LBB122_535
; %bb.534:
	v_div_scale_f64 v[5:6], null, v[2:3], v[2:3], v[0:1]
	v_div_scale_f64 v[11:12], vcc_lo, v[0:1], v[2:3], v[0:1]
	s_delay_alu instid0(VALU_DEP_2) | instskip(SKIP_2) | instid1(VALU_DEP_1)
	v_rcp_f64_e32 v[7:8], v[5:6]
	s_waitcnt_depctr 0xfff
	v_fma_f64 v[9:10], -v[5:6], v[7:8], 1.0
	v_fma_f64 v[7:8], v[7:8], v[9:10], v[7:8]
	s_delay_alu instid0(VALU_DEP_1) | instskip(NEXT) | instid1(VALU_DEP_1)
	v_fma_f64 v[9:10], -v[5:6], v[7:8], 1.0
	v_fma_f64 v[7:8], v[7:8], v[9:10], v[7:8]
	s_delay_alu instid0(VALU_DEP_1) | instskip(NEXT) | instid1(VALU_DEP_1)
	v_mul_f64 v[9:10], v[11:12], v[7:8]
	v_fma_f64 v[5:6], -v[5:6], v[9:10], v[11:12]
	s_delay_alu instid0(VALU_DEP_1) | instskip(NEXT) | instid1(VALU_DEP_1)
	v_div_fmas_f64 v[5:6], v[5:6], v[7:8], v[9:10]
	v_div_fixup_f64 v[5:6], v[5:6], v[2:3], v[0:1]
	s_delay_alu instid0(VALU_DEP_1) | instskip(NEXT) | instid1(VALU_DEP_1)
	v_fma_f64 v[0:1], v[0:1], v[5:6], v[2:3]
	v_div_scale_f64 v[2:3], null, v[0:1], v[0:1], 1.0
	s_delay_alu instid0(VALU_DEP_1) | instskip(SKIP_2) | instid1(VALU_DEP_1)
	v_rcp_f64_e32 v[7:8], v[2:3]
	s_waitcnt_depctr 0xfff
	v_fma_f64 v[9:10], -v[2:3], v[7:8], 1.0
	v_fma_f64 v[7:8], v[7:8], v[9:10], v[7:8]
	s_delay_alu instid0(VALU_DEP_1) | instskip(NEXT) | instid1(VALU_DEP_1)
	v_fma_f64 v[9:10], -v[2:3], v[7:8], 1.0
	v_fma_f64 v[7:8], v[7:8], v[9:10], v[7:8]
	v_div_scale_f64 v[9:10], vcc_lo, 1.0, v[0:1], 1.0
	s_delay_alu instid0(VALU_DEP_1) | instskip(NEXT) | instid1(VALU_DEP_1)
	v_mul_f64 v[11:12], v[9:10], v[7:8]
	v_fma_f64 v[2:3], -v[2:3], v[11:12], v[9:10]
	s_delay_alu instid0(VALU_DEP_1) | instskip(NEXT) | instid1(VALU_DEP_1)
	v_div_fmas_f64 v[2:3], v[2:3], v[7:8], v[11:12]
	v_div_fixup_f64 v[2:3], v[2:3], v[0:1], 1.0
	s_delay_alu instid0(VALU_DEP_1)
	v_mul_f64 v[0:1], v[5:6], v[2:3]
	v_xor_b32_e32 v3, 0x80000000, v3
.LBB122_535:
	s_and_not1_saveexec_b32 s2, s2
	s_cbranch_execz .LBB122_537
; %bb.536:
	s_delay_alu instid0(VALU_DEP_1) | instskip(SKIP_1) | instid1(VALU_DEP_2)
	v_div_scale_f64 v[5:6], null, v[0:1], v[0:1], v[2:3]
	v_div_scale_f64 v[11:12], vcc_lo, v[2:3], v[0:1], v[2:3]
	v_rcp_f64_e32 v[7:8], v[5:6]
	s_waitcnt_depctr 0xfff
	v_fma_f64 v[9:10], -v[5:6], v[7:8], 1.0
	s_delay_alu instid0(VALU_DEP_1) | instskip(NEXT) | instid1(VALU_DEP_1)
	v_fma_f64 v[7:8], v[7:8], v[9:10], v[7:8]
	v_fma_f64 v[9:10], -v[5:6], v[7:8], 1.0
	s_delay_alu instid0(VALU_DEP_1) | instskip(NEXT) | instid1(VALU_DEP_1)
	v_fma_f64 v[7:8], v[7:8], v[9:10], v[7:8]
	v_mul_f64 v[9:10], v[11:12], v[7:8]
	s_delay_alu instid0(VALU_DEP_1) | instskip(NEXT) | instid1(VALU_DEP_1)
	v_fma_f64 v[5:6], -v[5:6], v[9:10], v[11:12]
	v_div_fmas_f64 v[5:6], v[5:6], v[7:8], v[9:10]
	s_delay_alu instid0(VALU_DEP_1) | instskip(NEXT) | instid1(VALU_DEP_1)
	v_div_fixup_f64 v[5:6], v[5:6], v[0:1], v[2:3]
	v_fma_f64 v[0:1], v[2:3], v[5:6], v[0:1]
	s_delay_alu instid0(VALU_DEP_1) | instskip(NEXT) | instid1(VALU_DEP_1)
	v_div_scale_f64 v[2:3], null, v[0:1], v[0:1], 1.0
	v_rcp_f64_e32 v[7:8], v[2:3]
	s_waitcnt_depctr 0xfff
	v_fma_f64 v[9:10], -v[2:3], v[7:8], 1.0
	s_delay_alu instid0(VALU_DEP_1) | instskip(NEXT) | instid1(VALU_DEP_1)
	v_fma_f64 v[7:8], v[7:8], v[9:10], v[7:8]
	v_fma_f64 v[9:10], -v[2:3], v[7:8], 1.0
	s_delay_alu instid0(VALU_DEP_1) | instskip(SKIP_1) | instid1(VALU_DEP_1)
	v_fma_f64 v[7:8], v[7:8], v[9:10], v[7:8]
	v_div_scale_f64 v[9:10], vcc_lo, 1.0, v[0:1], 1.0
	v_mul_f64 v[11:12], v[9:10], v[7:8]
	s_delay_alu instid0(VALU_DEP_1) | instskip(NEXT) | instid1(VALU_DEP_1)
	v_fma_f64 v[2:3], -v[2:3], v[11:12], v[9:10]
	v_div_fmas_f64 v[2:3], v[2:3], v[7:8], v[11:12]
	s_delay_alu instid0(VALU_DEP_1) | instskip(NEXT) | instid1(VALU_DEP_1)
	v_div_fixup_f64 v[0:1], v[2:3], v[0:1], 1.0
	v_mul_f64 v[2:3], v[5:6], -v[0:1]
.LBB122_537:
	s_or_b32 exec_lo, exec_lo, s2
.LBB122_538:
	s_delay_alu instid0(SALU_CYCLE_1) | instskip(NEXT) | instid1(SALU_CYCLE_1)
	s_or_b32 exec_lo, exec_lo, s3
	s_mov_b32 s2, exec_lo
	v_cmpx_ne_u32_e64 v39, v4
	s_xor_b32 s2, exec_lo, s2
	s_cbranch_execz .LBB122_544
; %bb.539:
	s_mov_b32 s3, exec_lo
	v_cmpx_eq_u32_e32 21, v39
	s_cbranch_execz .LBB122_543
; %bb.540:
	v_cmp_ne_u32_e32 vcc_lo, 21, v4
	s_xor_b32 s6, s4, -1
	s_delay_alu instid0(SALU_CYCLE_1) | instskip(NEXT) | instid1(SALU_CYCLE_1)
	s_and_b32 s7, s6, vcc_lo
	s_and_saveexec_b32 s6, s7
	s_cbranch_execz .LBB122_542
; %bb.541:
	v_ashrrev_i32_e32 v5, 31, v4
	s_delay_alu instid0(VALU_DEP_1) | instskip(NEXT) | instid1(VALU_DEP_1)
	v_lshlrev_b64 v[5:6], 2, v[4:5]
	v_add_co_u32 v5, vcc_lo, v18, v5
	s_delay_alu instid0(VALU_DEP_2)
	v_add_co_ci_u32_e32 v6, vcc_lo, v19, v6, vcc_lo
	s_clause 0x1
	flat_load_b32 v7, v[5:6]
	flat_load_b32 v8, v[18:19] offset:84
	s_waitcnt vmcnt(1) lgkmcnt(1)
	flat_store_b32 v[18:19], v7 offset:84
	s_waitcnt vmcnt(0) lgkmcnt(1)
	flat_store_b32 v[5:6], v8
.LBB122_542:
	s_or_b32 exec_lo, exec_lo, s6
	v_mov_b32_e32 v39, v4
	v_mov_b32_e32 v38, v4
.LBB122_543:
	s_or_b32 exec_lo, exec_lo, s3
.LBB122_544:
	s_and_not1_saveexec_b32 s2, s2
	s_cbranch_execz .LBB122_548
; %bb.545:
	v_add3_u32 v4, v37, 0, 0x160
	v_mov_b32_e32 v5, 0
	s_mov_b32 s3, 0
.LBB122_546:                            ; =>This Inner Loop Header: Depth=1
	s_delay_alu instid0(VALU_DEP_1) | instskip(NEXT) | instid1(VALU_DEP_3)
	v_readfirstlane_b32 s6, v5
	v_add_nc_u32_e32 v14, s3, v4
	s_delay_alu instid0(VALU_DEP_2)
	s_add_i32 s6, s6, s3
	s_addk_i32 s3, 0xa0
	s_add_i32 s7, s6, 0x160
	s_add_i32 s9, s6, 0x170
	;; [unrolled: 1-line block ×9, first 2 shown]
	s_addk_i32 s6, 0x1f0
	s_clause 0x9
	scratch_load_b128 v[6:9], off, s7
	scratch_load_b128 v[10:13], off, s9
	;; [unrolled: 1-line block ×10, first 2 shown]
	s_cmpk_eq_i32 s3, 0x280
	s_waitcnt vmcnt(9)
	ds_store_2addr_b64 v14, v[6:7], v[8:9] offset1:1
	s_waitcnt vmcnt(8)
	ds_store_2addr_b64 v14, v[10:11], v[12:13] offset0:2 offset1:3
	s_waitcnt vmcnt(7)
	ds_store_2addr_b64 v14, v[41:42], v[43:44] offset0:4 offset1:5
	;; [unrolled: 2-line block ×9, first 2 shown]
	s_cbranch_scc0 .LBB122_546
; %bb.547:
	v_mov_b32_e32 v39, 21
.LBB122_548:
	s_or_b32 exec_lo, exec_lo, s2
	s_delay_alu instid0(SALU_CYCLE_1)
	s_mov_b32 s2, exec_lo
	s_waitcnt lgkmcnt(0)
	s_waitcnt_vscnt null, 0x0
	s_barrier
	buffer_gl0_inv
	v_cmpx_lt_i32_e32 21, v39
	s_cbranch_execz .LBB122_551
; %bb.549:
	scratch_load_b128 v[4:7], off, off offset:336
	s_mov_b32 s3, 0
	s_waitcnt vmcnt(0)
	v_mul_f64 v[8:9], v[2:3], v[6:7]
	v_mul_f64 v[6:7], v[0:1], v[6:7]
	s_delay_alu instid0(VALU_DEP_2) | instskip(NEXT) | instid1(VALU_DEP_2)
	v_fma_f64 v[0:1], v[0:1], v[4:5], -v[8:9]
	v_fma_f64 v[2:3], v[2:3], v[4:5], v[6:7]
	v_add3_u32 v4, v37, 0, 0x160
	v_mov_b32_e32 v5, 0
	scratch_store_b128 off, v[0:3], off offset:336
.LBB122_550:                            ; =>This Inner Loop Header: Depth=1
	v_readfirstlane_b32 s6, v5
	v_add_nc_u32_e32 v14, s3, v4
	s_delay_alu instid0(VALU_DEP_2)
	s_add_i32 s6, s6, s3
	s_addk_i32 s3, 0x50
	s_add_i32 s7, s6, 0x160
	s_add_i32 s9, s6, 0x170
	;; [unrolled: 1-line block ×4, first 2 shown]
	s_addk_i32 s6, 0x1a0
	s_clause 0x4
	scratch_load_b128 v[6:9], off, s7
	scratch_load_b128 v[10:13], off, s9
	;; [unrolled: 1-line block ×5, first 2 shown]
	ds_load_2addr_b64 v[61:64], v14 offset1:1
	ds_load_2addr_b64 v[69:72], v14 offset0:2 offset1:3
	ds_load_2addr_b64 v[77:80], v14 offset0:4 offset1:5
	;; [unrolled: 1-line block ×4, first 2 shown]
	s_cmpk_lg_i32 s3, 0x280
	s_waitcnt lgkmcnt(4)
	v_mul_f64 v[14:15], v[63:64], v[2:3]
	v_mul_f64 v[16:17], v[61:62], v[2:3]
	s_waitcnt lgkmcnt(3)
	v_mul_f64 v[49:50], v[71:72], v[2:3]
	v_mul_f64 v[57:58], v[69:70], v[2:3]
	;; [unrolled: 3-line block ×5, first 2 shown]
	v_fma_f64 v[14:15], v[61:62], v[0:1], -v[14:15]
	v_fma_f64 v[16:17], v[63:64], v[0:1], v[16:17]
	v_fma_f64 v[49:50], v[69:70], v[0:1], -v[49:50]
	v_fma_f64 v[57:58], v[71:72], v[0:1], v[57:58]
	;; [unrolled: 2-line block ×5, first 2 shown]
	s_waitcnt vmcnt(4)
	v_add_f64 v[6:7], v[6:7], -v[14:15]
	v_add_f64 v[8:9], v[8:9], -v[16:17]
	s_waitcnt vmcnt(3)
	v_add_f64 v[10:11], v[10:11], -v[49:50]
	v_add_f64 v[12:13], v[12:13], -v[57:58]
	;; [unrolled: 3-line block ×5, first 2 shown]
	s_clause 0x4
	scratch_store_b128 off, v[6:9], s7
	scratch_store_b128 off, v[10:13], s9
	;; [unrolled: 1-line block ×5, first 2 shown]
	s_cbranch_scc1 .LBB122_550
.LBB122_551:
	s_or_b32 exec_lo, exec_lo, s2
	s_waitcnt_vscnt null, 0x0
	s_barrier
	buffer_gl0_inv
	scratch_load_b128 v[0:3], v105, off
	v_lshl_add_u32 v4, v39, 4, v20
	s_cmp_lt_i32 s5, 24
	s_waitcnt vmcnt(0)
	ds_store_2addr_b64 v4, v[0:1], v[2:3] offset1:1
	s_waitcnt lgkmcnt(0)
	s_barrier
	buffer_gl0_inv
	ds_load_2addr_b64 v[0:3], v20 offset0:44 offset1:45
	v_mov_b32_e32 v4, 22
	s_cbranch_scc1 .LBB122_554
; %bb.552:
	v_add3_u32 v5, v37, 0, 0x170
	v_mov_b32_e32 v4, 22
	s_mov_b32 s6, 23
	s_set_inst_prefetch_distance 0x1
	.p2align	6
.LBB122_553:                            ; =>This Inner Loop Header: Depth=1
	ds_load_2addr_b64 v[6:9], v5 offset1:1
	s_waitcnt lgkmcnt(1)
	v_cmp_gt_f64_e32 vcc_lo, 0, v[0:1]
	v_xor_b32_e32 v10, 0x80000000, v1
	v_cmp_gt_f64_e64 s2, 0, v[2:3]
	v_xor_b32_e32 v12, 0x80000000, v3
	v_add_nc_u32_e32 v5, 16, v5
	s_waitcnt lgkmcnt(0)
	v_cmp_gt_f64_e64 s3, 0, v[6:7]
	v_mov_b32_e32 v14, v6
	v_dual_mov_b32 v16, v8 :: v_dual_cndmask_b32 v11, v1, v10
	v_xor_b32_e32 v10, 0x80000000, v7
	v_cndmask_b32_e64 v13, v3, v12, s2
	v_xor_b32_e32 v12, 0x80000000, v9
	s_delay_alu instid0(VALU_DEP_3) | instskip(SKIP_2) | instid1(VALU_DEP_2)
	v_cndmask_b32_e64 v15, v7, v10, s3
	v_cmp_gt_f64_e64 s3, 0, v[8:9]
	v_cndmask_b32_e32 v10, v0, v0, vcc_lo
	v_cndmask_b32_e64 v17, v9, v12, s3
	v_cndmask_b32_e64 v12, v2, v2, s2
	s_delay_alu instid0(VALU_DEP_2) | instskip(NEXT) | instid1(VALU_DEP_2)
	v_add_f64 v[14:15], v[14:15], v[16:17]
	v_add_f64 v[10:11], v[10:11], v[12:13]
	s_delay_alu instid0(VALU_DEP_1)
	v_cmp_lt_f64_e32 vcc_lo, v[10:11], v[14:15]
	v_cndmask_b32_e32 v3, v3, v9, vcc_lo
	v_dual_cndmask_b32 v1, v1, v7 :: v_dual_cndmask_b32 v0, v0, v6
	v_cndmask_b32_e32 v2, v2, v8, vcc_lo
	v_cndmask_b32_e64 v4, v4, s6, vcc_lo
	s_add_i32 s6, s6, 1
	s_delay_alu instid0(SALU_CYCLE_1)
	s_cmp_lg_u32 s5, s6
	s_cbranch_scc1 .LBB122_553
.LBB122_554:
	s_set_inst_prefetch_distance 0x2
	s_waitcnt lgkmcnt(0)
	v_cmp_eq_f64_e32 vcc_lo, 0, v[0:1]
	v_cmp_eq_f64_e64 s2, 0, v[2:3]
	s_delay_alu instid0(VALU_DEP_1) | instskip(NEXT) | instid1(SALU_CYCLE_1)
	s_and_b32 s2, vcc_lo, s2
	s_and_saveexec_b32 s3, s2
	s_delay_alu instid0(SALU_CYCLE_1)
	s_xor_b32 s2, exec_lo, s3
; %bb.555:
	v_cmp_ne_u32_e32 vcc_lo, 0, v35
	v_cndmask_b32_e32 v35, 23, v35, vcc_lo
; %bb.556:
	s_and_not1_saveexec_b32 s3, s2
	s_cbranch_execz .LBB122_562
; %bb.557:
	v_cmp_gt_f64_e32 vcc_lo, 0, v[0:1]
	v_cmp_gt_f64_e64 s2, 0, v[2:3]
	v_xor_b32_e32 v5, 0x80000000, v1
	v_xor_b32_e32 v7, 0x80000000, v3
	s_delay_alu instid0(VALU_DEP_2) | instskip(NEXT) | instid1(VALU_DEP_2)
	v_dual_cndmask_b32 v6, v1, v5 :: v_dual_cndmask_b32 v5, v0, v0
	v_cndmask_b32_e64 v8, v3, v7, s2
	v_cndmask_b32_e64 v7, v2, v2, s2
	s_mov_b32 s2, exec_lo
	s_delay_alu instid0(VALU_DEP_1)
	v_cmpx_ngt_f64_e32 v[5:6], v[7:8]
	s_xor_b32 s2, exec_lo, s2
	s_cbranch_execz .LBB122_559
; %bb.558:
	v_div_scale_f64 v[5:6], null, v[2:3], v[2:3], v[0:1]
	v_div_scale_f64 v[11:12], vcc_lo, v[0:1], v[2:3], v[0:1]
	s_delay_alu instid0(VALU_DEP_2) | instskip(SKIP_2) | instid1(VALU_DEP_1)
	v_rcp_f64_e32 v[7:8], v[5:6]
	s_waitcnt_depctr 0xfff
	v_fma_f64 v[9:10], -v[5:6], v[7:8], 1.0
	v_fma_f64 v[7:8], v[7:8], v[9:10], v[7:8]
	s_delay_alu instid0(VALU_DEP_1) | instskip(NEXT) | instid1(VALU_DEP_1)
	v_fma_f64 v[9:10], -v[5:6], v[7:8], 1.0
	v_fma_f64 v[7:8], v[7:8], v[9:10], v[7:8]
	s_delay_alu instid0(VALU_DEP_1) | instskip(NEXT) | instid1(VALU_DEP_1)
	v_mul_f64 v[9:10], v[11:12], v[7:8]
	v_fma_f64 v[5:6], -v[5:6], v[9:10], v[11:12]
	s_delay_alu instid0(VALU_DEP_1) | instskip(NEXT) | instid1(VALU_DEP_1)
	v_div_fmas_f64 v[5:6], v[5:6], v[7:8], v[9:10]
	v_div_fixup_f64 v[5:6], v[5:6], v[2:3], v[0:1]
	s_delay_alu instid0(VALU_DEP_1) | instskip(NEXT) | instid1(VALU_DEP_1)
	v_fma_f64 v[0:1], v[0:1], v[5:6], v[2:3]
	v_div_scale_f64 v[2:3], null, v[0:1], v[0:1], 1.0
	s_delay_alu instid0(VALU_DEP_1) | instskip(SKIP_2) | instid1(VALU_DEP_1)
	v_rcp_f64_e32 v[7:8], v[2:3]
	s_waitcnt_depctr 0xfff
	v_fma_f64 v[9:10], -v[2:3], v[7:8], 1.0
	v_fma_f64 v[7:8], v[7:8], v[9:10], v[7:8]
	s_delay_alu instid0(VALU_DEP_1) | instskip(NEXT) | instid1(VALU_DEP_1)
	v_fma_f64 v[9:10], -v[2:3], v[7:8], 1.0
	v_fma_f64 v[7:8], v[7:8], v[9:10], v[7:8]
	v_div_scale_f64 v[9:10], vcc_lo, 1.0, v[0:1], 1.0
	s_delay_alu instid0(VALU_DEP_1) | instskip(NEXT) | instid1(VALU_DEP_1)
	v_mul_f64 v[11:12], v[9:10], v[7:8]
	v_fma_f64 v[2:3], -v[2:3], v[11:12], v[9:10]
	s_delay_alu instid0(VALU_DEP_1) | instskip(NEXT) | instid1(VALU_DEP_1)
	v_div_fmas_f64 v[2:3], v[2:3], v[7:8], v[11:12]
	v_div_fixup_f64 v[2:3], v[2:3], v[0:1], 1.0
	s_delay_alu instid0(VALU_DEP_1)
	v_mul_f64 v[0:1], v[5:6], v[2:3]
	v_xor_b32_e32 v3, 0x80000000, v3
.LBB122_559:
	s_and_not1_saveexec_b32 s2, s2
	s_cbranch_execz .LBB122_561
; %bb.560:
	s_delay_alu instid0(VALU_DEP_1) | instskip(SKIP_1) | instid1(VALU_DEP_2)
	v_div_scale_f64 v[5:6], null, v[0:1], v[0:1], v[2:3]
	v_div_scale_f64 v[11:12], vcc_lo, v[2:3], v[0:1], v[2:3]
	v_rcp_f64_e32 v[7:8], v[5:6]
	s_waitcnt_depctr 0xfff
	v_fma_f64 v[9:10], -v[5:6], v[7:8], 1.0
	s_delay_alu instid0(VALU_DEP_1) | instskip(NEXT) | instid1(VALU_DEP_1)
	v_fma_f64 v[7:8], v[7:8], v[9:10], v[7:8]
	v_fma_f64 v[9:10], -v[5:6], v[7:8], 1.0
	s_delay_alu instid0(VALU_DEP_1) | instskip(NEXT) | instid1(VALU_DEP_1)
	v_fma_f64 v[7:8], v[7:8], v[9:10], v[7:8]
	v_mul_f64 v[9:10], v[11:12], v[7:8]
	s_delay_alu instid0(VALU_DEP_1) | instskip(NEXT) | instid1(VALU_DEP_1)
	v_fma_f64 v[5:6], -v[5:6], v[9:10], v[11:12]
	v_div_fmas_f64 v[5:6], v[5:6], v[7:8], v[9:10]
	s_delay_alu instid0(VALU_DEP_1) | instskip(NEXT) | instid1(VALU_DEP_1)
	v_div_fixup_f64 v[5:6], v[5:6], v[0:1], v[2:3]
	v_fma_f64 v[0:1], v[2:3], v[5:6], v[0:1]
	s_delay_alu instid0(VALU_DEP_1) | instskip(NEXT) | instid1(VALU_DEP_1)
	v_div_scale_f64 v[2:3], null, v[0:1], v[0:1], 1.0
	v_rcp_f64_e32 v[7:8], v[2:3]
	s_waitcnt_depctr 0xfff
	v_fma_f64 v[9:10], -v[2:3], v[7:8], 1.0
	s_delay_alu instid0(VALU_DEP_1) | instskip(NEXT) | instid1(VALU_DEP_1)
	v_fma_f64 v[7:8], v[7:8], v[9:10], v[7:8]
	v_fma_f64 v[9:10], -v[2:3], v[7:8], 1.0
	s_delay_alu instid0(VALU_DEP_1) | instskip(SKIP_1) | instid1(VALU_DEP_1)
	v_fma_f64 v[7:8], v[7:8], v[9:10], v[7:8]
	v_div_scale_f64 v[9:10], vcc_lo, 1.0, v[0:1], 1.0
	v_mul_f64 v[11:12], v[9:10], v[7:8]
	s_delay_alu instid0(VALU_DEP_1) | instskip(NEXT) | instid1(VALU_DEP_1)
	v_fma_f64 v[2:3], -v[2:3], v[11:12], v[9:10]
	v_div_fmas_f64 v[2:3], v[2:3], v[7:8], v[11:12]
	s_delay_alu instid0(VALU_DEP_1) | instskip(NEXT) | instid1(VALU_DEP_1)
	v_div_fixup_f64 v[0:1], v[2:3], v[0:1], 1.0
	v_mul_f64 v[2:3], v[5:6], -v[0:1]
.LBB122_561:
	s_or_b32 exec_lo, exec_lo, s2
.LBB122_562:
	s_delay_alu instid0(SALU_CYCLE_1) | instskip(NEXT) | instid1(SALU_CYCLE_1)
	s_or_b32 exec_lo, exec_lo, s3
	s_mov_b32 s2, exec_lo
	v_cmpx_ne_u32_e64 v39, v4
	s_xor_b32 s2, exec_lo, s2
	s_cbranch_execz .LBB122_568
; %bb.563:
	s_mov_b32 s3, exec_lo
	v_cmpx_eq_u32_e32 22, v39
	s_cbranch_execz .LBB122_567
; %bb.564:
	v_cmp_ne_u32_e32 vcc_lo, 22, v4
	s_xor_b32 s6, s4, -1
	s_delay_alu instid0(SALU_CYCLE_1) | instskip(NEXT) | instid1(SALU_CYCLE_1)
	s_and_b32 s7, s6, vcc_lo
	s_and_saveexec_b32 s6, s7
	s_cbranch_execz .LBB122_566
; %bb.565:
	v_ashrrev_i32_e32 v5, 31, v4
	s_delay_alu instid0(VALU_DEP_1) | instskip(NEXT) | instid1(VALU_DEP_1)
	v_lshlrev_b64 v[5:6], 2, v[4:5]
	v_add_co_u32 v5, vcc_lo, v18, v5
	s_delay_alu instid0(VALU_DEP_2)
	v_add_co_ci_u32_e32 v6, vcc_lo, v19, v6, vcc_lo
	s_clause 0x1
	flat_load_b32 v7, v[5:6]
	flat_load_b32 v8, v[18:19] offset:88
	s_waitcnt vmcnt(1) lgkmcnt(1)
	flat_store_b32 v[18:19], v7 offset:88
	s_waitcnt vmcnt(0) lgkmcnt(1)
	flat_store_b32 v[5:6], v8
.LBB122_566:
	s_or_b32 exec_lo, exec_lo, s6
	v_mov_b32_e32 v39, v4
	v_mov_b32_e32 v38, v4
.LBB122_567:
	s_or_b32 exec_lo, exec_lo, s3
.LBB122_568:
	s_and_not1_saveexec_b32 s2, s2
	s_cbranch_execz .LBB122_572
; %bb.569:
	v_add3_u32 v4, v37, 0, 0x170
	v_mov_b32_e32 v5, 0
	s_mov_b32 s3, 0
.LBB122_570:                            ; =>This Inner Loop Header: Depth=1
	s_delay_alu instid0(VALU_DEP_1) | instskip(NEXT) | instid1(VALU_DEP_3)
	v_readfirstlane_b32 s6, v5
	v_add_nc_u32_e32 v14, s3, v4
	s_delay_alu instid0(VALU_DEP_2)
	s_add_i32 s6, s6, s3
	s_addk_i32 s3, 0xd0
	s_add_i32 s7, s6, 0x170
	s_add_i32 s9, s6, 0x180
	;; [unrolled: 1-line block ×12, first 2 shown]
	s_addk_i32 s6, 0x230
	s_clause 0xc
	scratch_load_b128 v[6:9], off, s7
	scratch_load_b128 v[10:13], off, s9
	scratch_load_b128 v[41:44], off, s12
	scratch_load_b128 v[45:48], off, s14
	scratch_load_b128 v[53:56], off, s15
	scratch_load_b128 v[61:64], off, s16
	scratch_load_b128 v[69:72], off, s17
	scratch_load_b128 v[77:80], off, s18
	scratch_load_b128 v[126:129], off, s19
	scratch_load_b128 v[137:140], off, s20
	scratch_load_b128 v[171:174], off, s21
	scratch_load_b128 v[175:178], off, s22
	scratch_load_b128 v[179:182], off, s6
	s_cmpk_eq_i32 s3, 0x270
	s_waitcnt vmcnt(12)
	ds_store_2addr_b64 v14, v[6:7], v[8:9] offset1:1
	s_waitcnt vmcnt(11)
	ds_store_2addr_b64 v14, v[10:11], v[12:13] offset0:2 offset1:3
	s_waitcnt vmcnt(10)
	ds_store_2addr_b64 v14, v[41:42], v[43:44] offset0:4 offset1:5
	;; [unrolled: 2-line block ×12, first 2 shown]
	s_cbranch_scc0 .LBB122_570
; %bb.571:
	v_mov_b32_e32 v39, 22
.LBB122_572:
	s_or_b32 exec_lo, exec_lo, s2
	s_delay_alu instid0(SALU_CYCLE_1)
	s_mov_b32 s2, exec_lo
	s_waitcnt lgkmcnt(0)
	s_waitcnt_vscnt null, 0x0
	s_barrier
	buffer_gl0_inv
	v_cmpx_lt_i32_e32 22, v39
	s_cbranch_execz .LBB122_575
; %bb.573:
	scratch_load_b128 v[4:7], off, off offset:352
	s_mov_b32 s3, 0
	s_waitcnt vmcnt(0)
	v_mul_f64 v[8:9], v[2:3], v[6:7]
	v_mul_f64 v[6:7], v[0:1], v[6:7]
	s_delay_alu instid0(VALU_DEP_2) | instskip(NEXT) | instid1(VALU_DEP_2)
	v_fma_f64 v[0:1], v[0:1], v[4:5], -v[8:9]
	v_fma_f64 v[2:3], v[2:3], v[4:5], v[6:7]
	v_add3_u32 v4, v37, 0, 0x170
	v_mov_b32_e32 v5, 0
	scratch_store_b128 off, v[0:3], off offset:352
.LBB122_574:                            ; =>This Inner Loop Header: Depth=1
	v_readfirstlane_b32 s6, v5
	v_add_nc_u32_e32 v14, s3, v4
	s_delay_alu instid0(VALU_DEP_2)
	s_add_i32 s6, s6, s3
	s_add_i32 s3, s3, 48
	;; [unrolled: 1-line block ×4, first 2 shown]
	s_addk_i32 s6, 0x190
	s_clause 0x2
	scratch_load_b128 v[6:9], off, s7
	scratch_load_b128 v[10:13], off, s9
	;; [unrolled: 1-line block ×3, first 2 shown]
	ds_load_2addr_b64 v[45:48], v14 offset1:1
	ds_load_2addr_b64 v[53:56], v14 offset0:2 offset1:3
	ds_load_2addr_b64 v[61:64], v14 offset0:4 offset1:5
	s_cmpk_lg_i32 s3, 0x270
	s_waitcnt lgkmcnt(2)
	v_mul_f64 v[14:15], v[47:48], v[2:3]
	v_mul_f64 v[16:17], v[45:46], v[2:3]
	s_waitcnt lgkmcnt(1)
	v_mul_f64 v[49:50], v[55:56], v[2:3]
	v_mul_f64 v[57:58], v[53:54], v[2:3]
	;; [unrolled: 3-line block ×3, first 2 shown]
	v_fma_f64 v[14:15], v[45:46], v[0:1], -v[14:15]
	v_fma_f64 v[16:17], v[47:48], v[0:1], v[16:17]
	v_fma_f64 v[45:46], v[53:54], v[0:1], -v[49:50]
	v_fma_f64 v[47:48], v[55:56], v[0:1], v[57:58]
	;; [unrolled: 2-line block ×3, first 2 shown]
	s_waitcnt vmcnt(2)
	v_add_f64 v[6:7], v[6:7], -v[14:15]
	v_add_f64 v[8:9], v[8:9], -v[16:17]
	s_waitcnt vmcnt(1)
	v_add_f64 v[10:11], v[10:11], -v[45:46]
	v_add_f64 v[12:13], v[12:13], -v[47:48]
	s_waitcnt vmcnt(0)
	v_add_f64 v[41:42], v[41:42], -v[49:50]
	v_add_f64 v[43:44], v[43:44], -v[53:54]
	s_clause 0x2
	scratch_store_b128 off, v[6:9], s7
	scratch_store_b128 off, v[10:13], s9
	;; [unrolled: 1-line block ×3, first 2 shown]
	s_cbranch_scc1 .LBB122_574
.LBB122_575:
	s_or_b32 exec_lo, exec_lo, s2
	s_waitcnt_vscnt null, 0x0
	s_barrier
	buffer_gl0_inv
	scratch_load_b128 v[0:3], v103, off
	v_lshl_add_u32 v4, v39, 4, v20
	s_cmp_lt_i32 s5, 25
	s_waitcnt vmcnt(0)
	ds_store_2addr_b64 v4, v[0:1], v[2:3] offset1:1
	s_waitcnt lgkmcnt(0)
	s_barrier
	buffer_gl0_inv
	ds_load_2addr_b64 v[0:3], v20 offset0:46 offset1:47
	v_mov_b32_e32 v4, 23
	s_cbranch_scc1 .LBB122_578
; %bb.576:
	v_add3_u32 v5, v37, 0, 0x180
	v_mov_b32_e32 v4, 23
	s_mov_b32 s6, 24
	s_set_inst_prefetch_distance 0x1
	.p2align	6
.LBB122_577:                            ; =>This Inner Loop Header: Depth=1
	ds_load_2addr_b64 v[6:9], v5 offset1:1
	s_waitcnt lgkmcnt(1)
	v_cmp_gt_f64_e32 vcc_lo, 0, v[0:1]
	v_xor_b32_e32 v10, 0x80000000, v1
	v_cmp_gt_f64_e64 s2, 0, v[2:3]
	v_xor_b32_e32 v12, 0x80000000, v3
	v_add_nc_u32_e32 v5, 16, v5
	s_waitcnt lgkmcnt(0)
	v_cmp_gt_f64_e64 s3, 0, v[6:7]
	v_mov_b32_e32 v14, v6
	v_dual_mov_b32 v16, v8 :: v_dual_cndmask_b32 v11, v1, v10
	v_xor_b32_e32 v10, 0x80000000, v7
	v_cndmask_b32_e64 v13, v3, v12, s2
	v_xor_b32_e32 v12, 0x80000000, v9
	s_delay_alu instid0(VALU_DEP_3) | instskip(SKIP_2) | instid1(VALU_DEP_2)
	v_cndmask_b32_e64 v15, v7, v10, s3
	v_cmp_gt_f64_e64 s3, 0, v[8:9]
	v_cndmask_b32_e32 v10, v0, v0, vcc_lo
	v_cndmask_b32_e64 v17, v9, v12, s3
	v_cndmask_b32_e64 v12, v2, v2, s2
	s_delay_alu instid0(VALU_DEP_2) | instskip(NEXT) | instid1(VALU_DEP_2)
	v_add_f64 v[14:15], v[14:15], v[16:17]
	v_add_f64 v[10:11], v[10:11], v[12:13]
	s_delay_alu instid0(VALU_DEP_1)
	v_cmp_lt_f64_e32 vcc_lo, v[10:11], v[14:15]
	v_cndmask_b32_e32 v3, v3, v9, vcc_lo
	v_dual_cndmask_b32 v1, v1, v7 :: v_dual_cndmask_b32 v0, v0, v6
	v_cndmask_b32_e32 v2, v2, v8, vcc_lo
	v_cndmask_b32_e64 v4, v4, s6, vcc_lo
	s_add_i32 s6, s6, 1
	s_delay_alu instid0(SALU_CYCLE_1)
	s_cmp_lg_u32 s5, s6
	s_cbranch_scc1 .LBB122_577
.LBB122_578:
	s_set_inst_prefetch_distance 0x2
	s_waitcnt lgkmcnt(0)
	v_cmp_eq_f64_e32 vcc_lo, 0, v[0:1]
	v_cmp_eq_f64_e64 s2, 0, v[2:3]
	s_delay_alu instid0(VALU_DEP_1) | instskip(NEXT) | instid1(SALU_CYCLE_1)
	s_and_b32 s2, vcc_lo, s2
	s_and_saveexec_b32 s3, s2
	s_delay_alu instid0(SALU_CYCLE_1)
	s_xor_b32 s2, exec_lo, s3
; %bb.579:
	v_cmp_ne_u32_e32 vcc_lo, 0, v35
	v_cndmask_b32_e32 v35, 24, v35, vcc_lo
; %bb.580:
	s_and_not1_saveexec_b32 s3, s2
	s_cbranch_execz .LBB122_586
; %bb.581:
	v_cmp_gt_f64_e32 vcc_lo, 0, v[0:1]
	v_cmp_gt_f64_e64 s2, 0, v[2:3]
	v_xor_b32_e32 v5, 0x80000000, v1
	v_xor_b32_e32 v7, 0x80000000, v3
	s_delay_alu instid0(VALU_DEP_2) | instskip(NEXT) | instid1(VALU_DEP_2)
	v_dual_cndmask_b32 v6, v1, v5 :: v_dual_cndmask_b32 v5, v0, v0
	v_cndmask_b32_e64 v8, v3, v7, s2
	v_cndmask_b32_e64 v7, v2, v2, s2
	s_mov_b32 s2, exec_lo
	s_delay_alu instid0(VALU_DEP_1)
	v_cmpx_ngt_f64_e32 v[5:6], v[7:8]
	s_xor_b32 s2, exec_lo, s2
	s_cbranch_execz .LBB122_583
; %bb.582:
	v_div_scale_f64 v[5:6], null, v[2:3], v[2:3], v[0:1]
	v_div_scale_f64 v[11:12], vcc_lo, v[0:1], v[2:3], v[0:1]
	s_delay_alu instid0(VALU_DEP_2) | instskip(SKIP_2) | instid1(VALU_DEP_1)
	v_rcp_f64_e32 v[7:8], v[5:6]
	s_waitcnt_depctr 0xfff
	v_fma_f64 v[9:10], -v[5:6], v[7:8], 1.0
	v_fma_f64 v[7:8], v[7:8], v[9:10], v[7:8]
	s_delay_alu instid0(VALU_DEP_1) | instskip(NEXT) | instid1(VALU_DEP_1)
	v_fma_f64 v[9:10], -v[5:6], v[7:8], 1.0
	v_fma_f64 v[7:8], v[7:8], v[9:10], v[7:8]
	s_delay_alu instid0(VALU_DEP_1) | instskip(NEXT) | instid1(VALU_DEP_1)
	v_mul_f64 v[9:10], v[11:12], v[7:8]
	v_fma_f64 v[5:6], -v[5:6], v[9:10], v[11:12]
	s_delay_alu instid0(VALU_DEP_1) | instskip(NEXT) | instid1(VALU_DEP_1)
	v_div_fmas_f64 v[5:6], v[5:6], v[7:8], v[9:10]
	v_div_fixup_f64 v[5:6], v[5:6], v[2:3], v[0:1]
	s_delay_alu instid0(VALU_DEP_1) | instskip(NEXT) | instid1(VALU_DEP_1)
	v_fma_f64 v[0:1], v[0:1], v[5:6], v[2:3]
	v_div_scale_f64 v[2:3], null, v[0:1], v[0:1], 1.0
	s_delay_alu instid0(VALU_DEP_1) | instskip(SKIP_2) | instid1(VALU_DEP_1)
	v_rcp_f64_e32 v[7:8], v[2:3]
	s_waitcnt_depctr 0xfff
	v_fma_f64 v[9:10], -v[2:3], v[7:8], 1.0
	v_fma_f64 v[7:8], v[7:8], v[9:10], v[7:8]
	s_delay_alu instid0(VALU_DEP_1) | instskip(NEXT) | instid1(VALU_DEP_1)
	v_fma_f64 v[9:10], -v[2:3], v[7:8], 1.0
	v_fma_f64 v[7:8], v[7:8], v[9:10], v[7:8]
	v_div_scale_f64 v[9:10], vcc_lo, 1.0, v[0:1], 1.0
	s_delay_alu instid0(VALU_DEP_1) | instskip(NEXT) | instid1(VALU_DEP_1)
	v_mul_f64 v[11:12], v[9:10], v[7:8]
	v_fma_f64 v[2:3], -v[2:3], v[11:12], v[9:10]
	s_delay_alu instid0(VALU_DEP_1) | instskip(NEXT) | instid1(VALU_DEP_1)
	v_div_fmas_f64 v[2:3], v[2:3], v[7:8], v[11:12]
	v_div_fixup_f64 v[2:3], v[2:3], v[0:1], 1.0
	s_delay_alu instid0(VALU_DEP_1)
	v_mul_f64 v[0:1], v[5:6], v[2:3]
	v_xor_b32_e32 v3, 0x80000000, v3
.LBB122_583:
	s_and_not1_saveexec_b32 s2, s2
	s_cbranch_execz .LBB122_585
; %bb.584:
	s_delay_alu instid0(VALU_DEP_1) | instskip(SKIP_1) | instid1(VALU_DEP_2)
	v_div_scale_f64 v[5:6], null, v[0:1], v[0:1], v[2:3]
	v_div_scale_f64 v[11:12], vcc_lo, v[2:3], v[0:1], v[2:3]
	v_rcp_f64_e32 v[7:8], v[5:6]
	s_waitcnt_depctr 0xfff
	v_fma_f64 v[9:10], -v[5:6], v[7:8], 1.0
	s_delay_alu instid0(VALU_DEP_1) | instskip(NEXT) | instid1(VALU_DEP_1)
	v_fma_f64 v[7:8], v[7:8], v[9:10], v[7:8]
	v_fma_f64 v[9:10], -v[5:6], v[7:8], 1.0
	s_delay_alu instid0(VALU_DEP_1) | instskip(NEXT) | instid1(VALU_DEP_1)
	v_fma_f64 v[7:8], v[7:8], v[9:10], v[7:8]
	v_mul_f64 v[9:10], v[11:12], v[7:8]
	s_delay_alu instid0(VALU_DEP_1) | instskip(NEXT) | instid1(VALU_DEP_1)
	v_fma_f64 v[5:6], -v[5:6], v[9:10], v[11:12]
	v_div_fmas_f64 v[5:6], v[5:6], v[7:8], v[9:10]
	s_delay_alu instid0(VALU_DEP_1) | instskip(NEXT) | instid1(VALU_DEP_1)
	v_div_fixup_f64 v[5:6], v[5:6], v[0:1], v[2:3]
	v_fma_f64 v[0:1], v[2:3], v[5:6], v[0:1]
	s_delay_alu instid0(VALU_DEP_1) | instskip(NEXT) | instid1(VALU_DEP_1)
	v_div_scale_f64 v[2:3], null, v[0:1], v[0:1], 1.0
	v_rcp_f64_e32 v[7:8], v[2:3]
	s_waitcnt_depctr 0xfff
	v_fma_f64 v[9:10], -v[2:3], v[7:8], 1.0
	s_delay_alu instid0(VALU_DEP_1) | instskip(NEXT) | instid1(VALU_DEP_1)
	v_fma_f64 v[7:8], v[7:8], v[9:10], v[7:8]
	v_fma_f64 v[9:10], -v[2:3], v[7:8], 1.0
	s_delay_alu instid0(VALU_DEP_1) | instskip(SKIP_1) | instid1(VALU_DEP_1)
	v_fma_f64 v[7:8], v[7:8], v[9:10], v[7:8]
	v_div_scale_f64 v[9:10], vcc_lo, 1.0, v[0:1], 1.0
	v_mul_f64 v[11:12], v[9:10], v[7:8]
	s_delay_alu instid0(VALU_DEP_1) | instskip(NEXT) | instid1(VALU_DEP_1)
	v_fma_f64 v[2:3], -v[2:3], v[11:12], v[9:10]
	v_div_fmas_f64 v[2:3], v[2:3], v[7:8], v[11:12]
	s_delay_alu instid0(VALU_DEP_1) | instskip(NEXT) | instid1(VALU_DEP_1)
	v_div_fixup_f64 v[0:1], v[2:3], v[0:1], 1.0
	v_mul_f64 v[2:3], v[5:6], -v[0:1]
.LBB122_585:
	s_or_b32 exec_lo, exec_lo, s2
.LBB122_586:
	s_delay_alu instid0(SALU_CYCLE_1) | instskip(NEXT) | instid1(SALU_CYCLE_1)
	s_or_b32 exec_lo, exec_lo, s3
	s_mov_b32 s2, exec_lo
	v_cmpx_ne_u32_e64 v39, v4
	s_xor_b32 s2, exec_lo, s2
	s_cbranch_execz .LBB122_592
; %bb.587:
	s_mov_b32 s3, exec_lo
	v_cmpx_eq_u32_e32 23, v39
	s_cbranch_execz .LBB122_591
; %bb.588:
	v_cmp_ne_u32_e32 vcc_lo, 23, v4
	s_xor_b32 s6, s4, -1
	s_delay_alu instid0(SALU_CYCLE_1) | instskip(NEXT) | instid1(SALU_CYCLE_1)
	s_and_b32 s7, s6, vcc_lo
	s_and_saveexec_b32 s6, s7
	s_cbranch_execz .LBB122_590
; %bb.589:
	v_ashrrev_i32_e32 v5, 31, v4
	s_delay_alu instid0(VALU_DEP_1) | instskip(NEXT) | instid1(VALU_DEP_1)
	v_lshlrev_b64 v[5:6], 2, v[4:5]
	v_add_co_u32 v5, vcc_lo, v18, v5
	s_delay_alu instid0(VALU_DEP_2)
	v_add_co_ci_u32_e32 v6, vcc_lo, v19, v6, vcc_lo
	s_clause 0x1
	flat_load_b32 v7, v[5:6]
	flat_load_b32 v8, v[18:19] offset:92
	s_waitcnt vmcnt(1) lgkmcnt(1)
	flat_store_b32 v[18:19], v7 offset:92
	s_waitcnt vmcnt(0) lgkmcnt(1)
	flat_store_b32 v[5:6], v8
.LBB122_590:
	s_or_b32 exec_lo, exec_lo, s6
	v_mov_b32_e32 v39, v4
	v_mov_b32_e32 v38, v4
.LBB122_591:
	s_or_b32 exec_lo, exec_lo, s3
.LBB122_592:
	s_and_not1_saveexec_b32 s2, s2
	s_cbranch_execz .LBB122_596
; %bb.593:
	v_add3_u32 v4, v37, 0, 0x180
	s_mov_b32 s3, 0
	.p2align	6
.LBB122_594:                            ; =>This Inner Loop Header: Depth=1
	s_delay_alu instid0(SALU_CYCLE_1) | instskip(NEXT) | instid1(VALU_DEP_2)
	v_add_nc_u32_e64 v5, s3, 0
	v_add_nc_u32_e32 v13, s3, v4
	s_add_i32 s3, s3, 32
	s_delay_alu instid0(SALU_CYCLE_1) | instskip(NEXT) | instid1(VALU_DEP_2)
	s_cmpk_eq_i32 s3, 0x260
	v_add_nc_u32_e32 v6, 0x180, v5
	v_add_nc_u32_e32 v9, 0x190, v5
	s_clause 0x1
	scratch_load_b128 v[5:8], v6, off
	scratch_load_b128 v[9:12], v9, off
	s_waitcnt vmcnt(1)
	ds_store_2addr_b64 v13, v[5:6], v[7:8] offset1:1
	s_waitcnt vmcnt(0)
	ds_store_2addr_b64 v13, v[9:10], v[11:12] offset0:2 offset1:3
	s_cbranch_scc0 .LBB122_594
; %bb.595:
	v_mov_b32_e32 v39, 23
.LBB122_596:
	s_or_b32 exec_lo, exec_lo, s2
	s_delay_alu instid0(SALU_CYCLE_1)
	s_mov_b32 s2, exec_lo
	s_waitcnt lgkmcnt(0)
	s_waitcnt_vscnt null, 0x0
	s_barrier
	buffer_gl0_inv
	v_cmpx_lt_i32_e32 23, v39
	s_cbranch_execz .LBB122_599
; %bb.597:
	scratch_load_b128 v[4:7], off, off offset:368
	s_mov_b32 s3, 0
	s_waitcnt vmcnt(0)
	v_mul_f64 v[8:9], v[2:3], v[6:7]
	v_mul_f64 v[6:7], v[0:1], v[6:7]
	s_delay_alu instid0(VALU_DEP_2) | instskip(NEXT) | instid1(VALU_DEP_2)
	v_fma_f64 v[0:1], v[0:1], v[4:5], -v[8:9]
	v_fma_f64 v[2:3], v[2:3], v[4:5], v[6:7]
	v_add3_u32 v4, v37, 0, 0x180
	scratch_store_b128 off, v[0:3], off offset:368
	s_set_inst_prefetch_distance 0x1
	.p2align	6
.LBB122_598:                            ; =>This Inner Loop Header: Depth=1
	v_add_nc_u32_e64 v5, s3, 0
	v_add_nc_u32_e32 v13, s3, v4
	s_add_i32 s3, s3, 32
	s_delay_alu instid0(SALU_CYCLE_1) | instskip(NEXT) | instid1(VALU_DEP_2)
	s_cmpk_lg_i32 s3, 0x260
	v_add_nc_u32_e32 v17, 0x180, v5
	v_add_nc_u32_e32 v51, 0x190, v5
	s_clause 0x1
	scratch_load_b128 v[5:8], v17, off
	scratch_load_b128 v[9:12], v51, off
	ds_load_2addr_b64 v[41:44], v13 offset1:1
	ds_load_2addr_b64 v[45:48], v13 offset0:2 offset1:3
	s_waitcnt lgkmcnt(1)
	v_mul_f64 v[13:14], v[43:44], v[2:3]
	v_mul_f64 v[15:16], v[41:42], v[2:3]
	s_waitcnt lgkmcnt(0)
	v_mul_f64 v[49:50], v[47:48], v[2:3]
	v_mul_f64 v[53:54], v[45:46], v[2:3]
	s_delay_alu instid0(VALU_DEP_4) | instskip(NEXT) | instid1(VALU_DEP_4)
	v_fma_f64 v[13:14], v[41:42], v[0:1], -v[13:14]
	v_fma_f64 v[15:16], v[43:44], v[0:1], v[15:16]
	s_delay_alu instid0(VALU_DEP_4) | instskip(NEXT) | instid1(VALU_DEP_4)
	v_fma_f64 v[41:42], v[45:46], v[0:1], -v[49:50]
	v_fma_f64 v[43:44], v[47:48], v[0:1], v[53:54]
	s_waitcnt vmcnt(1)
	s_delay_alu instid0(VALU_DEP_4) | instskip(NEXT) | instid1(VALU_DEP_4)
	v_add_f64 v[5:6], v[5:6], -v[13:14]
	v_add_f64 v[7:8], v[7:8], -v[15:16]
	s_waitcnt vmcnt(0)
	s_delay_alu instid0(VALU_DEP_4) | instskip(NEXT) | instid1(VALU_DEP_4)
	v_add_f64 v[9:10], v[9:10], -v[41:42]
	v_add_f64 v[11:12], v[11:12], -v[43:44]
	s_clause 0x1
	scratch_store_b128 v17, v[5:8], off
	scratch_store_b128 v51, v[9:12], off
	s_cbranch_scc1 .LBB122_598
.LBB122_599:
	s_set_inst_prefetch_distance 0x2
	s_or_b32 exec_lo, exec_lo, s2
	s_waitcnt_vscnt null, 0x0
	s_barrier
	buffer_gl0_inv
	scratch_load_b128 v[0:3], v102, off
	v_lshl_add_u32 v4, v39, 4, v20
	s_cmp_lt_i32 s5, 26
	s_waitcnt vmcnt(0)
	ds_store_2addr_b64 v4, v[0:1], v[2:3] offset1:1
	s_waitcnt lgkmcnt(0)
	s_barrier
	buffer_gl0_inv
	ds_load_2addr_b64 v[0:3], v20 offset0:48 offset1:49
	v_mov_b32_e32 v4, 24
	s_cbranch_scc1 .LBB122_602
; %bb.600:
	v_add3_u32 v5, v37, 0, 0x190
	v_mov_b32_e32 v4, 24
	s_mov_b32 s6, 25
	s_set_inst_prefetch_distance 0x1
	.p2align	6
.LBB122_601:                            ; =>This Inner Loop Header: Depth=1
	ds_load_2addr_b64 v[6:9], v5 offset1:1
	s_waitcnt lgkmcnt(1)
	v_cmp_gt_f64_e32 vcc_lo, 0, v[0:1]
	v_xor_b32_e32 v10, 0x80000000, v1
	v_cmp_gt_f64_e64 s2, 0, v[2:3]
	v_xor_b32_e32 v12, 0x80000000, v3
	v_add_nc_u32_e32 v5, 16, v5
	s_waitcnt lgkmcnt(0)
	v_cmp_gt_f64_e64 s3, 0, v[6:7]
	v_mov_b32_e32 v14, v6
	v_dual_mov_b32 v16, v8 :: v_dual_cndmask_b32 v11, v1, v10
	v_xor_b32_e32 v10, 0x80000000, v7
	v_cndmask_b32_e64 v13, v3, v12, s2
	v_xor_b32_e32 v12, 0x80000000, v9
	s_delay_alu instid0(VALU_DEP_3) | instskip(SKIP_2) | instid1(VALU_DEP_2)
	v_cndmask_b32_e64 v15, v7, v10, s3
	v_cmp_gt_f64_e64 s3, 0, v[8:9]
	v_cndmask_b32_e32 v10, v0, v0, vcc_lo
	v_cndmask_b32_e64 v17, v9, v12, s3
	v_cndmask_b32_e64 v12, v2, v2, s2
	s_delay_alu instid0(VALU_DEP_2) | instskip(NEXT) | instid1(VALU_DEP_2)
	v_add_f64 v[14:15], v[14:15], v[16:17]
	v_add_f64 v[10:11], v[10:11], v[12:13]
	s_delay_alu instid0(VALU_DEP_1)
	v_cmp_lt_f64_e32 vcc_lo, v[10:11], v[14:15]
	v_cndmask_b32_e32 v3, v3, v9, vcc_lo
	v_dual_cndmask_b32 v1, v1, v7 :: v_dual_cndmask_b32 v0, v0, v6
	v_cndmask_b32_e32 v2, v2, v8, vcc_lo
	v_cndmask_b32_e64 v4, v4, s6, vcc_lo
	s_add_i32 s6, s6, 1
	s_delay_alu instid0(SALU_CYCLE_1)
	s_cmp_lg_u32 s5, s6
	s_cbranch_scc1 .LBB122_601
.LBB122_602:
	s_set_inst_prefetch_distance 0x2
	s_waitcnt lgkmcnt(0)
	v_cmp_eq_f64_e32 vcc_lo, 0, v[0:1]
	v_cmp_eq_f64_e64 s2, 0, v[2:3]
	s_delay_alu instid0(VALU_DEP_1) | instskip(NEXT) | instid1(SALU_CYCLE_1)
	s_and_b32 s2, vcc_lo, s2
	s_and_saveexec_b32 s3, s2
	s_delay_alu instid0(SALU_CYCLE_1)
	s_xor_b32 s2, exec_lo, s3
; %bb.603:
	v_cmp_ne_u32_e32 vcc_lo, 0, v35
	v_cndmask_b32_e32 v35, 25, v35, vcc_lo
; %bb.604:
	s_and_not1_saveexec_b32 s3, s2
	s_cbranch_execz .LBB122_610
; %bb.605:
	v_cmp_gt_f64_e32 vcc_lo, 0, v[0:1]
	v_cmp_gt_f64_e64 s2, 0, v[2:3]
	v_xor_b32_e32 v5, 0x80000000, v1
	v_xor_b32_e32 v7, 0x80000000, v3
	s_delay_alu instid0(VALU_DEP_2) | instskip(NEXT) | instid1(VALU_DEP_2)
	v_dual_cndmask_b32 v6, v1, v5 :: v_dual_cndmask_b32 v5, v0, v0
	v_cndmask_b32_e64 v8, v3, v7, s2
	v_cndmask_b32_e64 v7, v2, v2, s2
	s_mov_b32 s2, exec_lo
	s_delay_alu instid0(VALU_DEP_1)
	v_cmpx_ngt_f64_e32 v[5:6], v[7:8]
	s_xor_b32 s2, exec_lo, s2
	s_cbranch_execz .LBB122_607
; %bb.606:
	v_div_scale_f64 v[5:6], null, v[2:3], v[2:3], v[0:1]
	v_div_scale_f64 v[11:12], vcc_lo, v[0:1], v[2:3], v[0:1]
	s_delay_alu instid0(VALU_DEP_2) | instskip(SKIP_2) | instid1(VALU_DEP_1)
	v_rcp_f64_e32 v[7:8], v[5:6]
	s_waitcnt_depctr 0xfff
	v_fma_f64 v[9:10], -v[5:6], v[7:8], 1.0
	v_fma_f64 v[7:8], v[7:8], v[9:10], v[7:8]
	s_delay_alu instid0(VALU_DEP_1) | instskip(NEXT) | instid1(VALU_DEP_1)
	v_fma_f64 v[9:10], -v[5:6], v[7:8], 1.0
	v_fma_f64 v[7:8], v[7:8], v[9:10], v[7:8]
	s_delay_alu instid0(VALU_DEP_1) | instskip(NEXT) | instid1(VALU_DEP_1)
	v_mul_f64 v[9:10], v[11:12], v[7:8]
	v_fma_f64 v[5:6], -v[5:6], v[9:10], v[11:12]
	s_delay_alu instid0(VALU_DEP_1) | instskip(NEXT) | instid1(VALU_DEP_1)
	v_div_fmas_f64 v[5:6], v[5:6], v[7:8], v[9:10]
	v_div_fixup_f64 v[5:6], v[5:6], v[2:3], v[0:1]
	s_delay_alu instid0(VALU_DEP_1) | instskip(NEXT) | instid1(VALU_DEP_1)
	v_fma_f64 v[0:1], v[0:1], v[5:6], v[2:3]
	v_div_scale_f64 v[2:3], null, v[0:1], v[0:1], 1.0
	s_delay_alu instid0(VALU_DEP_1) | instskip(SKIP_2) | instid1(VALU_DEP_1)
	v_rcp_f64_e32 v[7:8], v[2:3]
	s_waitcnt_depctr 0xfff
	v_fma_f64 v[9:10], -v[2:3], v[7:8], 1.0
	v_fma_f64 v[7:8], v[7:8], v[9:10], v[7:8]
	s_delay_alu instid0(VALU_DEP_1) | instskip(NEXT) | instid1(VALU_DEP_1)
	v_fma_f64 v[9:10], -v[2:3], v[7:8], 1.0
	v_fma_f64 v[7:8], v[7:8], v[9:10], v[7:8]
	v_div_scale_f64 v[9:10], vcc_lo, 1.0, v[0:1], 1.0
	s_delay_alu instid0(VALU_DEP_1) | instskip(NEXT) | instid1(VALU_DEP_1)
	v_mul_f64 v[11:12], v[9:10], v[7:8]
	v_fma_f64 v[2:3], -v[2:3], v[11:12], v[9:10]
	s_delay_alu instid0(VALU_DEP_1) | instskip(NEXT) | instid1(VALU_DEP_1)
	v_div_fmas_f64 v[2:3], v[2:3], v[7:8], v[11:12]
	v_div_fixup_f64 v[2:3], v[2:3], v[0:1], 1.0
	s_delay_alu instid0(VALU_DEP_1)
	v_mul_f64 v[0:1], v[5:6], v[2:3]
	v_xor_b32_e32 v3, 0x80000000, v3
.LBB122_607:
	s_and_not1_saveexec_b32 s2, s2
	s_cbranch_execz .LBB122_609
; %bb.608:
	s_delay_alu instid0(VALU_DEP_1) | instskip(SKIP_1) | instid1(VALU_DEP_2)
	v_div_scale_f64 v[5:6], null, v[0:1], v[0:1], v[2:3]
	v_div_scale_f64 v[11:12], vcc_lo, v[2:3], v[0:1], v[2:3]
	v_rcp_f64_e32 v[7:8], v[5:6]
	s_waitcnt_depctr 0xfff
	v_fma_f64 v[9:10], -v[5:6], v[7:8], 1.0
	s_delay_alu instid0(VALU_DEP_1) | instskip(NEXT) | instid1(VALU_DEP_1)
	v_fma_f64 v[7:8], v[7:8], v[9:10], v[7:8]
	v_fma_f64 v[9:10], -v[5:6], v[7:8], 1.0
	s_delay_alu instid0(VALU_DEP_1) | instskip(NEXT) | instid1(VALU_DEP_1)
	v_fma_f64 v[7:8], v[7:8], v[9:10], v[7:8]
	v_mul_f64 v[9:10], v[11:12], v[7:8]
	s_delay_alu instid0(VALU_DEP_1) | instskip(NEXT) | instid1(VALU_DEP_1)
	v_fma_f64 v[5:6], -v[5:6], v[9:10], v[11:12]
	v_div_fmas_f64 v[5:6], v[5:6], v[7:8], v[9:10]
	s_delay_alu instid0(VALU_DEP_1) | instskip(NEXT) | instid1(VALU_DEP_1)
	v_div_fixup_f64 v[5:6], v[5:6], v[0:1], v[2:3]
	v_fma_f64 v[0:1], v[2:3], v[5:6], v[0:1]
	s_delay_alu instid0(VALU_DEP_1) | instskip(NEXT) | instid1(VALU_DEP_1)
	v_div_scale_f64 v[2:3], null, v[0:1], v[0:1], 1.0
	v_rcp_f64_e32 v[7:8], v[2:3]
	s_waitcnt_depctr 0xfff
	v_fma_f64 v[9:10], -v[2:3], v[7:8], 1.0
	s_delay_alu instid0(VALU_DEP_1) | instskip(NEXT) | instid1(VALU_DEP_1)
	v_fma_f64 v[7:8], v[7:8], v[9:10], v[7:8]
	v_fma_f64 v[9:10], -v[2:3], v[7:8], 1.0
	s_delay_alu instid0(VALU_DEP_1) | instskip(SKIP_1) | instid1(VALU_DEP_1)
	v_fma_f64 v[7:8], v[7:8], v[9:10], v[7:8]
	v_div_scale_f64 v[9:10], vcc_lo, 1.0, v[0:1], 1.0
	v_mul_f64 v[11:12], v[9:10], v[7:8]
	s_delay_alu instid0(VALU_DEP_1) | instskip(NEXT) | instid1(VALU_DEP_1)
	v_fma_f64 v[2:3], -v[2:3], v[11:12], v[9:10]
	v_div_fmas_f64 v[2:3], v[2:3], v[7:8], v[11:12]
	s_delay_alu instid0(VALU_DEP_1) | instskip(NEXT) | instid1(VALU_DEP_1)
	v_div_fixup_f64 v[0:1], v[2:3], v[0:1], 1.0
	v_mul_f64 v[2:3], v[5:6], -v[0:1]
.LBB122_609:
	s_or_b32 exec_lo, exec_lo, s2
.LBB122_610:
	s_delay_alu instid0(SALU_CYCLE_1) | instskip(NEXT) | instid1(SALU_CYCLE_1)
	s_or_b32 exec_lo, exec_lo, s3
	s_mov_b32 s2, exec_lo
	v_cmpx_ne_u32_e64 v39, v4
	s_xor_b32 s2, exec_lo, s2
	s_cbranch_execz .LBB122_616
; %bb.611:
	s_mov_b32 s3, exec_lo
	v_cmpx_eq_u32_e32 24, v39
	s_cbranch_execz .LBB122_615
; %bb.612:
	v_cmp_ne_u32_e32 vcc_lo, 24, v4
	s_xor_b32 s6, s4, -1
	s_delay_alu instid0(SALU_CYCLE_1) | instskip(NEXT) | instid1(SALU_CYCLE_1)
	s_and_b32 s7, s6, vcc_lo
	s_and_saveexec_b32 s6, s7
	s_cbranch_execz .LBB122_614
; %bb.613:
	v_ashrrev_i32_e32 v5, 31, v4
	s_delay_alu instid0(VALU_DEP_1) | instskip(NEXT) | instid1(VALU_DEP_1)
	v_lshlrev_b64 v[5:6], 2, v[4:5]
	v_add_co_u32 v5, vcc_lo, v18, v5
	s_delay_alu instid0(VALU_DEP_2)
	v_add_co_ci_u32_e32 v6, vcc_lo, v19, v6, vcc_lo
	s_clause 0x1
	flat_load_b32 v7, v[5:6]
	flat_load_b32 v8, v[18:19] offset:96
	s_waitcnt vmcnt(1) lgkmcnt(1)
	flat_store_b32 v[18:19], v7 offset:96
	s_waitcnt vmcnt(0) lgkmcnt(1)
	flat_store_b32 v[5:6], v8
.LBB122_614:
	s_or_b32 exec_lo, exec_lo, s6
	v_mov_b32_e32 v39, v4
	v_mov_b32_e32 v38, v4
.LBB122_615:
	s_or_b32 exec_lo, exec_lo, s3
.LBB122_616:
	s_and_not1_saveexec_b32 s2, s2
	s_cbranch_execz .LBB122_622
; %bb.617:
	v_add3_u32 v4, v37, 0, 0x190
	v_mov_b32_e32 v5, 0
	s_mov_b32 s3, 0
	s_branch .LBB122_619
.LBB122_618:                            ;   in Loop: Header=BB122_619 Depth=1
	s_and_not1_b32 vcc_lo, exec_lo, s7
	s_cbranch_vccz .LBB122_621
.LBB122_619:                            ; =>This Inner Loop Header: Depth=1
	s_delay_alu instid0(VALU_DEP_1) | instskip(SKIP_1) | instid1(VALU_DEP_2)
	v_readfirstlane_b32 s6, v5
	v_add_nc_u32_e32 v6, s3, v4
	s_add_i32 s6, s6, s3
	s_delay_alu instid0(SALU_CYCLE_1)
	s_add_i32 s7, s6, 0x190
	s_add_i32 s9, s6, 0x1a0
	;; [unrolled: 1-line block ×5, first 2 shown]
	s_clause 0x4
	scratch_load_b128 v[7:10], off, s7
	scratch_load_b128 v[11:14], off, s9
	;; [unrolled: 1-line block ×5, first 2 shown]
	s_mov_b32 s7, -1
	s_cmpk_eq_i32 s3, 0x200
	s_waitcnt vmcnt(4)
	ds_store_2addr_b64 v6, v[7:8], v[9:10] offset1:1
	s_waitcnt vmcnt(3)
	ds_store_2addr_b64 v6, v[11:12], v[13:14] offset0:2 offset1:3
	s_waitcnt vmcnt(2)
	ds_store_2addr_b64 v6, v[41:42], v[43:44] offset0:4 offset1:5
	;; [unrolled: 2-line block ×4, first 2 shown]
	s_cbranch_scc1 .LBB122_618
; %bb.620:                              ;   in Loop: Header=BB122_619 Depth=1
	s_add_i32 s7, s6, 0x1e0
	s_add_i32 s9, s6, 0x1f0
	s_addk_i32 s6, 0x200
	s_clause 0x2
	scratch_load_b128 v[7:10], off, s7
	scratch_load_b128 v[11:14], off, s9
	scratch_load_b128 v[41:44], off, s6
	s_addk_i32 s3, 0x80
	s_mov_b32 s7, 0
	s_waitcnt vmcnt(2)
	ds_store_2addr_b64 v6, v[7:8], v[9:10] offset0:10 offset1:11
	s_waitcnt vmcnt(1)
	ds_store_2addr_b64 v6, v[11:12], v[13:14] offset0:12 offset1:13
	;; [unrolled: 2-line block ×3, first 2 shown]
	s_branch .LBB122_618
.LBB122_621:
	v_mov_b32_e32 v39, 24
.LBB122_622:
	s_or_b32 exec_lo, exec_lo, s2
	s_delay_alu instid0(SALU_CYCLE_1)
	s_mov_b32 s2, exec_lo
	s_waitcnt lgkmcnt(0)
	s_waitcnt_vscnt null, 0x0
	s_barrier
	buffer_gl0_inv
	v_cmpx_lt_i32_e32 24, v39
	s_cbranch_execz .LBB122_627
; %bb.623:
	scratch_load_b128 v[4:7], off, off offset:384
	s_mov_b32 s3, 0
	s_waitcnt vmcnt(0)
	v_mul_f64 v[8:9], v[2:3], v[6:7]
	v_mul_f64 v[6:7], v[0:1], v[6:7]
	s_delay_alu instid0(VALU_DEP_2) | instskip(NEXT) | instid1(VALU_DEP_2)
	v_fma_f64 v[0:1], v[0:1], v[4:5], -v[8:9]
	v_fma_f64 v[2:3], v[2:3], v[4:5], v[6:7]
	v_add3_u32 v4, v37, 0, 0x190
	v_mov_b32_e32 v5, 0
	scratch_store_b128 off, v[0:3], off offset:384
	s_branch .LBB122_625
.LBB122_624:                            ;   in Loop: Header=BB122_625 Depth=1
	s_and_not1_b32 vcc_lo, exec_lo, s7
	s_cbranch_vccz .LBB122_627
.LBB122_625:                            ; =>This Inner Loop Header: Depth=1
	v_readfirstlane_b32 s6, v5
	v_add_nc_u32_e32 v6, s3, v4
	s_mov_b32 s7, -1
	s_delay_alu instid0(VALU_DEP_2)
	s_add_i32 s6, s6, s3
	ds_load_2addr_b64 v[11:14], v6 offset1:1
	s_add_i32 s9, s6, 0x190
	s_cmpk_eq_i32 s3, 0x240
	scratch_load_b128 v[7:10], off, s9
	s_waitcnt lgkmcnt(0)
	v_mul_f64 v[15:16], v[13:14], v[2:3]
	v_mul_f64 v[41:42], v[11:12], v[2:3]
	s_delay_alu instid0(VALU_DEP_2) | instskip(NEXT) | instid1(VALU_DEP_2)
	v_fma_f64 v[11:12], v[11:12], v[0:1], -v[15:16]
	v_fma_f64 v[13:14], v[13:14], v[0:1], v[41:42]
	s_waitcnt vmcnt(0)
	s_delay_alu instid0(VALU_DEP_2) | instskip(NEXT) | instid1(VALU_DEP_2)
	v_add_f64 v[7:8], v[7:8], -v[11:12]
	v_add_f64 v[9:10], v[9:10], -v[13:14]
	scratch_store_b128 off, v[7:10], s9
	s_cbranch_scc1 .LBB122_624
; %bb.626:                              ;   in Loop: Header=BB122_625 Depth=1
	s_add_i32 s9, s6, 0x1a0
	s_add_i32 s12, s6, 0x1b0
	scratch_load_b128 v[7:10], off, s9
	s_addk_i32 s6, 0x1c0
	s_clause 0x1
	scratch_load_b128 v[11:14], off, s12
	scratch_load_b128 v[41:44], off, s6
	ds_load_2addr_b64 v[45:48], v6 offset0:2 offset1:3
	ds_load_2addr_b64 v[53:56], v6 offset0:4 offset1:5
	;; [unrolled: 1-line block ×3, first 2 shown]
	s_add_i32 s3, s3, 64
	s_mov_b32 s7, 0
	s_waitcnt lgkmcnt(2)
	v_mul_f64 v[15:16], v[47:48], v[2:3]
	v_mul_f64 v[49:50], v[45:46], v[2:3]
	s_waitcnt lgkmcnt(1)
	v_mul_f64 v[57:58], v[55:56], v[2:3]
	v_mul_f64 v[65:66], v[53:54], v[2:3]
	;; [unrolled: 3-line block ×3, first 2 shown]
	v_fma_f64 v[15:16], v[45:46], v[0:1], -v[15:16]
	v_fma_f64 v[45:46], v[47:48], v[0:1], v[49:50]
	v_fma_f64 v[47:48], v[53:54], v[0:1], -v[57:58]
	v_fma_f64 v[49:50], v[55:56], v[0:1], v[65:66]
	;; [unrolled: 2-line block ×3, first 2 shown]
	s_waitcnt vmcnt(2)
	v_add_f64 v[6:7], v[7:8], -v[15:16]
	v_add_f64 v[8:9], v[9:10], -v[45:46]
	s_waitcnt vmcnt(1)
	v_add_f64 v[10:11], v[11:12], -v[47:48]
	v_add_f64 v[12:13], v[13:14], -v[49:50]
	;; [unrolled: 3-line block ×3, first 2 shown]
	s_clause 0x2
	scratch_store_b128 off, v[6:9], s9
	scratch_store_b128 off, v[10:13], s12
	;; [unrolled: 1-line block ×3, first 2 shown]
	s_branch .LBB122_624
.LBB122_627:
	s_or_b32 exec_lo, exec_lo, s2
	s_waitcnt_vscnt null, 0x0
	s_barrier
	buffer_gl0_inv
	scratch_load_b128 v[0:3], v101, off
	v_lshl_add_u32 v4, v39, 4, v20
	s_cmp_lt_i32 s5, 27
	s_waitcnt vmcnt(0)
	ds_store_2addr_b64 v4, v[0:1], v[2:3] offset1:1
	s_waitcnt lgkmcnt(0)
	s_barrier
	buffer_gl0_inv
	ds_load_2addr_b64 v[0:3], v20 offset0:50 offset1:51
	v_mov_b32_e32 v4, 25
	s_cbranch_scc1 .LBB122_630
; %bb.628:
	v_add3_u32 v5, v37, 0, 0x1a0
	v_mov_b32_e32 v4, 25
	s_mov_b32 s6, 26
	s_set_inst_prefetch_distance 0x1
	.p2align	6
.LBB122_629:                            ; =>This Inner Loop Header: Depth=1
	ds_load_2addr_b64 v[6:9], v5 offset1:1
	s_waitcnt lgkmcnt(1)
	v_cmp_gt_f64_e32 vcc_lo, 0, v[0:1]
	v_xor_b32_e32 v10, 0x80000000, v1
	v_cmp_gt_f64_e64 s2, 0, v[2:3]
	v_xor_b32_e32 v12, 0x80000000, v3
	v_add_nc_u32_e32 v5, 16, v5
	s_waitcnt lgkmcnt(0)
	v_cmp_gt_f64_e64 s3, 0, v[6:7]
	v_mov_b32_e32 v14, v6
	v_dual_mov_b32 v16, v8 :: v_dual_cndmask_b32 v11, v1, v10
	v_xor_b32_e32 v10, 0x80000000, v7
	v_cndmask_b32_e64 v13, v3, v12, s2
	v_xor_b32_e32 v12, 0x80000000, v9
	s_delay_alu instid0(VALU_DEP_3) | instskip(SKIP_2) | instid1(VALU_DEP_2)
	v_cndmask_b32_e64 v15, v7, v10, s3
	v_cmp_gt_f64_e64 s3, 0, v[8:9]
	v_cndmask_b32_e32 v10, v0, v0, vcc_lo
	v_cndmask_b32_e64 v17, v9, v12, s3
	v_cndmask_b32_e64 v12, v2, v2, s2
	s_delay_alu instid0(VALU_DEP_2) | instskip(NEXT) | instid1(VALU_DEP_2)
	v_add_f64 v[14:15], v[14:15], v[16:17]
	v_add_f64 v[10:11], v[10:11], v[12:13]
	s_delay_alu instid0(VALU_DEP_1)
	v_cmp_lt_f64_e32 vcc_lo, v[10:11], v[14:15]
	v_cndmask_b32_e32 v3, v3, v9, vcc_lo
	v_dual_cndmask_b32 v1, v1, v7 :: v_dual_cndmask_b32 v0, v0, v6
	v_cndmask_b32_e32 v2, v2, v8, vcc_lo
	v_cndmask_b32_e64 v4, v4, s6, vcc_lo
	s_add_i32 s6, s6, 1
	s_delay_alu instid0(SALU_CYCLE_1)
	s_cmp_lg_u32 s5, s6
	s_cbranch_scc1 .LBB122_629
.LBB122_630:
	s_set_inst_prefetch_distance 0x2
	s_waitcnt lgkmcnt(0)
	v_cmp_eq_f64_e32 vcc_lo, 0, v[0:1]
	v_cmp_eq_f64_e64 s2, 0, v[2:3]
	s_delay_alu instid0(VALU_DEP_1) | instskip(NEXT) | instid1(SALU_CYCLE_1)
	s_and_b32 s2, vcc_lo, s2
	s_and_saveexec_b32 s3, s2
	s_delay_alu instid0(SALU_CYCLE_1)
	s_xor_b32 s2, exec_lo, s3
; %bb.631:
	v_cmp_ne_u32_e32 vcc_lo, 0, v35
	v_cndmask_b32_e32 v35, 26, v35, vcc_lo
; %bb.632:
	s_and_not1_saveexec_b32 s3, s2
	s_cbranch_execz .LBB122_638
; %bb.633:
	v_cmp_gt_f64_e32 vcc_lo, 0, v[0:1]
	v_cmp_gt_f64_e64 s2, 0, v[2:3]
	v_xor_b32_e32 v5, 0x80000000, v1
	v_xor_b32_e32 v7, 0x80000000, v3
	s_delay_alu instid0(VALU_DEP_2) | instskip(NEXT) | instid1(VALU_DEP_2)
	v_dual_cndmask_b32 v6, v1, v5 :: v_dual_cndmask_b32 v5, v0, v0
	v_cndmask_b32_e64 v8, v3, v7, s2
	v_cndmask_b32_e64 v7, v2, v2, s2
	s_mov_b32 s2, exec_lo
	s_delay_alu instid0(VALU_DEP_1)
	v_cmpx_ngt_f64_e32 v[5:6], v[7:8]
	s_xor_b32 s2, exec_lo, s2
	s_cbranch_execz .LBB122_635
; %bb.634:
	v_div_scale_f64 v[5:6], null, v[2:3], v[2:3], v[0:1]
	v_div_scale_f64 v[11:12], vcc_lo, v[0:1], v[2:3], v[0:1]
	s_delay_alu instid0(VALU_DEP_2) | instskip(SKIP_2) | instid1(VALU_DEP_1)
	v_rcp_f64_e32 v[7:8], v[5:6]
	s_waitcnt_depctr 0xfff
	v_fma_f64 v[9:10], -v[5:6], v[7:8], 1.0
	v_fma_f64 v[7:8], v[7:8], v[9:10], v[7:8]
	s_delay_alu instid0(VALU_DEP_1) | instskip(NEXT) | instid1(VALU_DEP_1)
	v_fma_f64 v[9:10], -v[5:6], v[7:8], 1.0
	v_fma_f64 v[7:8], v[7:8], v[9:10], v[7:8]
	s_delay_alu instid0(VALU_DEP_1) | instskip(NEXT) | instid1(VALU_DEP_1)
	v_mul_f64 v[9:10], v[11:12], v[7:8]
	v_fma_f64 v[5:6], -v[5:6], v[9:10], v[11:12]
	s_delay_alu instid0(VALU_DEP_1) | instskip(NEXT) | instid1(VALU_DEP_1)
	v_div_fmas_f64 v[5:6], v[5:6], v[7:8], v[9:10]
	v_div_fixup_f64 v[5:6], v[5:6], v[2:3], v[0:1]
	s_delay_alu instid0(VALU_DEP_1) | instskip(NEXT) | instid1(VALU_DEP_1)
	v_fma_f64 v[0:1], v[0:1], v[5:6], v[2:3]
	v_div_scale_f64 v[2:3], null, v[0:1], v[0:1], 1.0
	s_delay_alu instid0(VALU_DEP_1) | instskip(SKIP_2) | instid1(VALU_DEP_1)
	v_rcp_f64_e32 v[7:8], v[2:3]
	s_waitcnt_depctr 0xfff
	v_fma_f64 v[9:10], -v[2:3], v[7:8], 1.0
	v_fma_f64 v[7:8], v[7:8], v[9:10], v[7:8]
	s_delay_alu instid0(VALU_DEP_1) | instskip(NEXT) | instid1(VALU_DEP_1)
	v_fma_f64 v[9:10], -v[2:3], v[7:8], 1.0
	v_fma_f64 v[7:8], v[7:8], v[9:10], v[7:8]
	v_div_scale_f64 v[9:10], vcc_lo, 1.0, v[0:1], 1.0
	s_delay_alu instid0(VALU_DEP_1) | instskip(NEXT) | instid1(VALU_DEP_1)
	v_mul_f64 v[11:12], v[9:10], v[7:8]
	v_fma_f64 v[2:3], -v[2:3], v[11:12], v[9:10]
	s_delay_alu instid0(VALU_DEP_1) | instskip(NEXT) | instid1(VALU_DEP_1)
	v_div_fmas_f64 v[2:3], v[2:3], v[7:8], v[11:12]
	v_div_fixup_f64 v[2:3], v[2:3], v[0:1], 1.0
	s_delay_alu instid0(VALU_DEP_1)
	v_mul_f64 v[0:1], v[5:6], v[2:3]
	v_xor_b32_e32 v3, 0x80000000, v3
.LBB122_635:
	s_and_not1_saveexec_b32 s2, s2
	s_cbranch_execz .LBB122_637
; %bb.636:
	s_delay_alu instid0(VALU_DEP_1) | instskip(SKIP_1) | instid1(VALU_DEP_2)
	v_div_scale_f64 v[5:6], null, v[0:1], v[0:1], v[2:3]
	v_div_scale_f64 v[11:12], vcc_lo, v[2:3], v[0:1], v[2:3]
	v_rcp_f64_e32 v[7:8], v[5:6]
	s_waitcnt_depctr 0xfff
	v_fma_f64 v[9:10], -v[5:6], v[7:8], 1.0
	s_delay_alu instid0(VALU_DEP_1) | instskip(NEXT) | instid1(VALU_DEP_1)
	v_fma_f64 v[7:8], v[7:8], v[9:10], v[7:8]
	v_fma_f64 v[9:10], -v[5:6], v[7:8], 1.0
	s_delay_alu instid0(VALU_DEP_1) | instskip(NEXT) | instid1(VALU_DEP_1)
	v_fma_f64 v[7:8], v[7:8], v[9:10], v[7:8]
	v_mul_f64 v[9:10], v[11:12], v[7:8]
	s_delay_alu instid0(VALU_DEP_1) | instskip(NEXT) | instid1(VALU_DEP_1)
	v_fma_f64 v[5:6], -v[5:6], v[9:10], v[11:12]
	v_div_fmas_f64 v[5:6], v[5:6], v[7:8], v[9:10]
	s_delay_alu instid0(VALU_DEP_1) | instskip(NEXT) | instid1(VALU_DEP_1)
	v_div_fixup_f64 v[5:6], v[5:6], v[0:1], v[2:3]
	v_fma_f64 v[0:1], v[2:3], v[5:6], v[0:1]
	s_delay_alu instid0(VALU_DEP_1) | instskip(NEXT) | instid1(VALU_DEP_1)
	v_div_scale_f64 v[2:3], null, v[0:1], v[0:1], 1.0
	v_rcp_f64_e32 v[7:8], v[2:3]
	s_waitcnt_depctr 0xfff
	v_fma_f64 v[9:10], -v[2:3], v[7:8], 1.0
	s_delay_alu instid0(VALU_DEP_1) | instskip(NEXT) | instid1(VALU_DEP_1)
	v_fma_f64 v[7:8], v[7:8], v[9:10], v[7:8]
	v_fma_f64 v[9:10], -v[2:3], v[7:8], 1.0
	s_delay_alu instid0(VALU_DEP_1) | instskip(SKIP_1) | instid1(VALU_DEP_1)
	v_fma_f64 v[7:8], v[7:8], v[9:10], v[7:8]
	v_div_scale_f64 v[9:10], vcc_lo, 1.0, v[0:1], 1.0
	v_mul_f64 v[11:12], v[9:10], v[7:8]
	s_delay_alu instid0(VALU_DEP_1) | instskip(NEXT) | instid1(VALU_DEP_1)
	v_fma_f64 v[2:3], -v[2:3], v[11:12], v[9:10]
	v_div_fmas_f64 v[2:3], v[2:3], v[7:8], v[11:12]
	s_delay_alu instid0(VALU_DEP_1) | instskip(NEXT) | instid1(VALU_DEP_1)
	v_div_fixup_f64 v[0:1], v[2:3], v[0:1], 1.0
	v_mul_f64 v[2:3], v[5:6], -v[0:1]
.LBB122_637:
	s_or_b32 exec_lo, exec_lo, s2
.LBB122_638:
	s_delay_alu instid0(SALU_CYCLE_1) | instskip(NEXT) | instid1(SALU_CYCLE_1)
	s_or_b32 exec_lo, exec_lo, s3
	s_mov_b32 s2, exec_lo
	v_cmpx_ne_u32_e64 v39, v4
	s_xor_b32 s2, exec_lo, s2
	s_cbranch_execz .LBB122_644
; %bb.639:
	s_mov_b32 s3, exec_lo
	v_cmpx_eq_u32_e32 25, v39
	s_cbranch_execz .LBB122_643
; %bb.640:
	v_cmp_ne_u32_e32 vcc_lo, 25, v4
	s_xor_b32 s6, s4, -1
	s_delay_alu instid0(SALU_CYCLE_1) | instskip(NEXT) | instid1(SALU_CYCLE_1)
	s_and_b32 s7, s6, vcc_lo
	s_and_saveexec_b32 s6, s7
	s_cbranch_execz .LBB122_642
; %bb.641:
	v_ashrrev_i32_e32 v5, 31, v4
	s_delay_alu instid0(VALU_DEP_1) | instskip(NEXT) | instid1(VALU_DEP_1)
	v_lshlrev_b64 v[5:6], 2, v[4:5]
	v_add_co_u32 v5, vcc_lo, v18, v5
	s_delay_alu instid0(VALU_DEP_2)
	v_add_co_ci_u32_e32 v6, vcc_lo, v19, v6, vcc_lo
	s_clause 0x1
	flat_load_b32 v7, v[5:6]
	flat_load_b32 v8, v[18:19] offset:100
	s_waitcnt vmcnt(1) lgkmcnt(1)
	flat_store_b32 v[18:19], v7 offset:100
	s_waitcnt vmcnt(0) lgkmcnt(1)
	flat_store_b32 v[5:6], v8
.LBB122_642:
	s_or_b32 exec_lo, exec_lo, s6
	v_mov_b32_e32 v39, v4
	v_mov_b32_e32 v38, v4
.LBB122_643:
	s_or_b32 exec_lo, exec_lo, s3
.LBB122_644:
	s_and_not1_saveexec_b32 s2, s2
	s_cbranch_execz .LBB122_646
; %bb.645:
	s_clause 0x1f
	scratch_load_b128 v[4:7], v104, off
	scratch_load_b128 v[8:11], v108, off
	;; [unrolled: 1-line block ×32, first 2 shown]
	s_clause 0x3
	scratch_load_b128 v[97:100], v147, off
	scratch_load_b128 v[93:96], v146, off
	scratch_load_b128 v[89:92], v145, off
	scratch_load_b128 v[85:88], v144, off
	v_mov_b32_e32 v39, 25
	s_waitcnt vmcnt(35)
	ds_store_2addr_b64 v20, v[4:5], v[6:7] offset0:52 offset1:53
	s_waitcnt vmcnt(34)
	ds_store_2addr_b64 v20, v[8:9], v[10:11] offset0:54 offset1:55
	;; [unrolled: 2-line block ×36, first 2 shown]
.LBB122_646:
	s_or_b32 exec_lo, exec_lo, s2
	s_delay_alu instid0(SALU_CYCLE_1)
	s_mov_b32 s2, exec_lo
	s_waitcnt lgkmcnt(0)
	s_waitcnt_vscnt null, 0x0
	s_barrier
	buffer_gl0_inv
	v_cmpx_lt_i32_e32 25, v39
	s_cbranch_execz .LBB122_649
; %bb.647:
	scratch_load_b128 v[4:7], off, off offset:400
	s_mov_b32 s3, 0
	s_waitcnt vmcnt(0)
	v_mul_f64 v[8:9], v[2:3], v[6:7]
	v_mul_f64 v[6:7], v[0:1], v[6:7]
	s_delay_alu instid0(VALU_DEP_2) | instskip(NEXT) | instid1(VALU_DEP_2)
	v_fma_f64 v[0:1], v[0:1], v[4:5], -v[8:9]
	v_fma_f64 v[2:3], v[2:3], v[4:5], v[6:7]
	v_add3_u32 v4, v37, 0, 0x1a0
	v_mov_b32_e32 v5, 0
	scratch_store_b128 off, v[0:3], off offset:400
.LBB122_648:                            ; =>This Inner Loop Header: Depth=1
	v_readfirstlane_b32 s6, v5
	v_add_nc_u32_e32 v14, s3, v4
	s_delay_alu instid0(VALU_DEP_2)
	s_add_i32 s7, s6, s3
	s_addk_i32 s3, 0x60
	s_add_i32 s6, s7, 0x1a0
	s_add_i32 s9, s7, 0x1b0
	;; [unrolled: 1-line block ×5, first 2 shown]
	s_addk_i32 s7, 0x1f0
	s_clause 0x5
	scratch_load_b128 v[6:9], off, s6
	scratch_load_b128 v[10:13], off, s9
	;; [unrolled: 1-line block ×6, first 2 shown]
	ds_load_2addr_b64 v[69:72], v14 offset1:1
	ds_load_2addr_b64 v[77:80], v14 offset0:2 offset1:3
	ds_load_2addr_b64 v[85:88], v14 offset0:4 offset1:5
	;; [unrolled: 1-line block ×5, first 2 shown]
	s_cmpk_lg_i32 s3, 0x240
	s_waitcnt lgkmcnt(5)
	v_mul_f64 v[14:15], v[71:72], v[2:3]
	v_mul_f64 v[16:17], v[69:70], v[2:3]
	s_waitcnt lgkmcnt(4)
	v_mul_f64 v[49:50], v[79:80], v[2:3]
	v_mul_f64 v[57:58], v[77:78], v[2:3]
	;; [unrolled: 3-line block ×6, first 2 shown]
	v_fma_f64 v[14:15], v[69:70], v[0:1], -v[14:15]
	v_fma_f64 v[16:17], v[71:72], v[0:1], v[16:17]
	v_fma_f64 v[49:50], v[77:78], v[0:1], -v[49:50]
	v_fma_f64 v[57:58], v[79:80], v[0:1], v[57:58]
	;; [unrolled: 2-line block ×6, first 2 shown]
	s_waitcnt vmcnt(5)
	v_add_f64 v[6:7], v[6:7], -v[14:15]
	v_add_f64 v[8:9], v[8:9], -v[16:17]
	s_waitcnt vmcnt(4)
	v_add_f64 v[10:11], v[10:11], -v[49:50]
	v_add_f64 v[12:13], v[12:13], -v[57:58]
	;; [unrolled: 3-line block ×6, first 2 shown]
	s_clause 0x5
	scratch_store_b128 off, v[6:9], s6
	scratch_store_b128 off, v[10:13], s9
	;; [unrolled: 1-line block ×6, first 2 shown]
	s_cbranch_scc1 .LBB122_648
.LBB122_649:
	s_or_b32 exec_lo, exec_lo, s2
	s_waitcnt_vscnt null, 0x0
	s_barrier
	buffer_gl0_inv
	scratch_load_b128 v[0:3], v104, off
	v_lshl_add_u32 v4, v39, 4, v20
	s_cmp_lt_i32 s5, 28
	s_waitcnt vmcnt(0)
	ds_store_2addr_b64 v4, v[0:1], v[2:3] offset1:1
	s_waitcnt lgkmcnt(0)
	s_barrier
	buffer_gl0_inv
	ds_load_2addr_b64 v[0:3], v20 offset0:52 offset1:53
	v_mov_b32_e32 v4, 26
	s_cbranch_scc1 .LBB122_652
; %bb.650:
	v_add3_u32 v5, v37, 0, 0x1b0
	v_mov_b32_e32 v4, 26
	s_mov_b32 s6, 27
	s_set_inst_prefetch_distance 0x1
	.p2align	6
.LBB122_651:                            ; =>This Inner Loop Header: Depth=1
	ds_load_2addr_b64 v[6:9], v5 offset1:1
	s_waitcnt lgkmcnt(1)
	v_cmp_gt_f64_e32 vcc_lo, 0, v[0:1]
	v_xor_b32_e32 v10, 0x80000000, v1
	v_cmp_gt_f64_e64 s2, 0, v[2:3]
	v_xor_b32_e32 v12, 0x80000000, v3
	v_add_nc_u32_e32 v5, 16, v5
	s_waitcnt lgkmcnt(0)
	v_cmp_gt_f64_e64 s3, 0, v[6:7]
	v_mov_b32_e32 v14, v6
	v_dual_mov_b32 v16, v8 :: v_dual_cndmask_b32 v11, v1, v10
	v_xor_b32_e32 v10, 0x80000000, v7
	v_cndmask_b32_e64 v13, v3, v12, s2
	v_xor_b32_e32 v12, 0x80000000, v9
	s_delay_alu instid0(VALU_DEP_3) | instskip(SKIP_2) | instid1(VALU_DEP_2)
	v_cndmask_b32_e64 v15, v7, v10, s3
	v_cmp_gt_f64_e64 s3, 0, v[8:9]
	v_cndmask_b32_e32 v10, v0, v0, vcc_lo
	v_cndmask_b32_e64 v17, v9, v12, s3
	v_cndmask_b32_e64 v12, v2, v2, s2
	s_delay_alu instid0(VALU_DEP_2) | instskip(NEXT) | instid1(VALU_DEP_2)
	v_add_f64 v[14:15], v[14:15], v[16:17]
	v_add_f64 v[10:11], v[10:11], v[12:13]
	s_delay_alu instid0(VALU_DEP_1)
	v_cmp_lt_f64_e32 vcc_lo, v[10:11], v[14:15]
	v_cndmask_b32_e32 v3, v3, v9, vcc_lo
	v_dual_cndmask_b32 v1, v1, v7 :: v_dual_cndmask_b32 v0, v0, v6
	v_cndmask_b32_e32 v2, v2, v8, vcc_lo
	v_cndmask_b32_e64 v4, v4, s6, vcc_lo
	s_add_i32 s6, s6, 1
	s_delay_alu instid0(SALU_CYCLE_1)
	s_cmp_lg_u32 s5, s6
	s_cbranch_scc1 .LBB122_651
.LBB122_652:
	s_set_inst_prefetch_distance 0x2
	s_waitcnt lgkmcnt(0)
	v_cmp_eq_f64_e32 vcc_lo, 0, v[0:1]
	v_cmp_eq_f64_e64 s2, 0, v[2:3]
	s_delay_alu instid0(VALU_DEP_1) | instskip(NEXT) | instid1(SALU_CYCLE_1)
	s_and_b32 s2, vcc_lo, s2
	s_and_saveexec_b32 s3, s2
	s_delay_alu instid0(SALU_CYCLE_1)
	s_xor_b32 s2, exec_lo, s3
; %bb.653:
	v_cmp_ne_u32_e32 vcc_lo, 0, v35
	v_cndmask_b32_e32 v35, 27, v35, vcc_lo
; %bb.654:
	s_and_not1_saveexec_b32 s3, s2
	s_cbranch_execz .LBB122_660
; %bb.655:
	v_cmp_gt_f64_e32 vcc_lo, 0, v[0:1]
	v_cmp_gt_f64_e64 s2, 0, v[2:3]
	v_xor_b32_e32 v5, 0x80000000, v1
	v_xor_b32_e32 v7, 0x80000000, v3
	s_delay_alu instid0(VALU_DEP_2) | instskip(NEXT) | instid1(VALU_DEP_2)
	v_dual_cndmask_b32 v6, v1, v5 :: v_dual_cndmask_b32 v5, v0, v0
	v_cndmask_b32_e64 v8, v3, v7, s2
	v_cndmask_b32_e64 v7, v2, v2, s2
	s_mov_b32 s2, exec_lo
	s_delay_alu instid0(VALU_DEP_1)
	v_cmpx_ngt_f64_e32 v[5:6], v[7:8]
	s_xor_b32 s2, exec_lo, s2
	s_cbranch_execz .LBB122_657
; %bb.656:
	v_div_scale_f64 v[5:6], null, v[2:3], v[2:3], v[0:1]
	v_div_scale_f64 v[11:12], vcc_lo, v[0:1], v[2:3], v[0:1]
	s_delay_alu instid0(VALU_DEP_2) | instskip(SKIP_2) | instid1(VALU_DEP_1)
	v_rcp_f64_e32 v[7:8], v[5:6]
	s_waitcnt_depctr 0xfff
	v_fma_f64 v[9:10], -v[5:6], v[7:8], 1.0
	v_fma_f64 v[7:8], v[7:8], v[9:10], v[7:8]
	s_delay_alu instid0(VALU_DEP_1) | instskip(NEXT) | instid1(VALU_DEP_1)
	v_fma_f64 v[9:10], -v[5:6], v[7:8], 1.0
	v_fma_f64 v[7:8], v[7:8], v[9:10], v[7:8]
	s_delay_alu instid0(VALU_DEP_1) | instskip(NEXT) | instid1(VALU_DEP_1)
	v_mul_f64 v[9:10], v[11:12], v[7:8]
	v_fma_f64 v[5:6], -v[5:6], v[9:10], v[11:12]
	s_delay_alu instid0(VALU_DEP_1) | instskip(NEXT) | instid1(VALU_DEP_1)
	v_div_fmas_f64 v[5:6], v[5:6], v[7:8], v[9:10]
	v_div_fixup_f64 v[5:6], v[5:6], v[2:3], v[0:1]
	s_delay_alu instid0(VALU_DEP_1) | instskip(NEXT) | instid1(VALU_DEP_1)
	v_fma_f64 v[0:1], v[0:1], v[5:6], v[2:3]
	v_div_scale_f64 v[2:3], null, v[0:1], v[0:1], 1.0
	s_delay_alu instid0(VALU_DEP_1) | instskip(SKIP_2) | instid1(VALU_DEP_1)
	v_rcp_f64_e32 v[7:8], v[2:3]
	s_waitcnt_depctr 0xfff
	v_fma_f64 v[9:10], -v[2:3], v[7:8], 1.0
	v_fma_f64 v[7:8], v[7:8], v[9:10], v[7:8]
	s_delay_alu instid0(VALU_DEP_1) | instskip(NEXT) | instid1(VALU_DEP_1)
	v_fma_f64 v[9:10], -v[2:3], v[7:8], 1.0
	v_fma_f64 v[7:8], v[7:8], v[9:10], v[7:8]
	v_div_scale_f64 v[9:10], vcc_lo, 1.0, v[0:1], 1.0
	s_delay_alu instid0(VALU_DEP_1) | instskip(NEXT) | instid1(VALU_DEP_1)
	v_mul_f64 v[11:12], v[9:10], v[7:8]
	v_fma_f64 v[2:3], -v[2:3], v[11:12], v[9:10]
	s_delay_alu instid0(VALU_DEP_1) | instskip(NEXT) | instid1(VALU_DEP_1)
	v_div_fmas_f64 v[2:3], v[2:3], v[7:8], v[11:12]
	v_div_fixup_f64 v[2:3], v[2:3], v[0:1], 1.0
	s_delay_alu instid0(VALU_DEP_1)
	v_mul_f64 v[0:1], v[5:6], v[2:3]
	v_xor_b32_e32 v3, 0x80000000, v3
.LBB122_657:
	s_and_not1_saveexec_b32 s2, s2
	s_cbranch_execz .LBB122_659
; %bb.658:
	s_delay_alu instid0(VALU_DEP_1) | instskip(SKIP_1) | instid1(VALU_DEP_2)
	v_div_scale_f64 v[5:6], null, v[0:1], v[0:1], v[2:3]
	v_div_scale_f64 v[11:12], vcc_lo, v[2:3], v[0:1], v[2:3]
	v_rcp_f64_e32 v[7:8], v[5:6]
	s_waitcnt_depctr 0xfff
	v_fma_f64 v[9:10], -v[5:6], v[7:8], 1.0
	s_delay_alu instid0(VALU_DEP_1) | instskip(NEXT) | instid1(VALU_DEP_1)
	v_fma_f64 v[7:8], v[7:8], v[9:10], v[7:8]
	v_fma_f64 v[9:10], -v[5:6], v[7:8], 1.0
	s_delay_alu instid0(VALU_DEP_1) | instskip(NEXT) | instid1(VALU_DEP_1)
	v_fma_f64 v[7:8], v[7:8], v[9:10], v[7:8]
	v_mul_f64 v[9:10], v[11:12], v[7:8]
	s_delay_alu instid0(VALU_DEP_1) | instskip(NEXT) | instid1(VALU_DEP_1)
	v_fma_f64 v[5:6], -v[5:6], v[9:10], v[11:12]
	v_div_fmas_f64 v[5:6], v[5:6], v[7:8], v[9:10]
	s_delay_alu instid0(VALU_DEP_1) | instskip(NEXT) | instid1(VALU_DEP_1)
	v_div_fixup_f64 v[5:6], v[5:6], v[0:1], v[2:3]
	v_fma_f64 v[0:1], v[2:3], v[5:6], v[0:1]
	s_delay_alu instid0(VALU_DEP_1) | instskip(NEXT) | instid1(VALU_DEP_1)
	v_div_scale_f64 v[2:3], null, v[0:1], v[0:1], 1.0
	v_rcp_f64_e32 v[7:8], v[2:3]
	s_waitcnt_depctr 0xfff
	v_fma_f64 v[9:10], -v[2:3], v[7:8], 1.0
	s_delay_alu instid0(VALU_DEP_1) | instskip(NEXT) | instid1(VALU_DEP_1)
	v_fma_f64 v[7:8], v[7:8], v[9:10], v[7:8]
	v_fma_f64 v[9:10], -v[2:3], v[7:8], 1.0
	s_delay_alu instid0(VALU_DEP_1) | instskip(SKIP_1) | instid1(VALU_DEP_1)
	v_fma_f64 v[7:8], v[7:8], v[9:10], v[7:8]
	v_div_scale_f64 v[9:10], vcc_lo, 1.0, v[0:1], 1.0
	v_mul_f64 v[11:12], v[9:10], v[7:8]
	s_delay_alu instid0(VALU_DEP_1) | instskip(NEXT) | instid1(VALU_DEP_1)
	v_fma_f64 v[2:3], -v[2:3], v[11:12], v[9:10]
	v_div_fmas_f64 v[2:3], v[2:3], v[7:8], v[11:12]
	s_delay_alu instid0(VALU_DEP_1) | instskip(NEXT) | instid1(VALU_DEP_1)
	v_div_fixup_f64 v[0:1], v[2:3], v[0:1], 1.0
	v_mul_f64 v[2:3], v[5:6], -v[0:1]
.LBB122_659:
	s_or_b32 exec_lo, exec_lo, s2
.LBB122_660:
	s_delay_alu instid0(SALU_CYCLE_1) | instskip(NEXT) | instid1(SALU_CYCLE_1)
	s_or_b32 exec_lo, exec_lo, s3
	s_mov_b32 s2, exec_lo
	v_cmpx_ne_u32_e64 v39, v4
	s_xor_b32 s2, exec_lo, s2
	s_cbranch_execz .LBB122_666
; %bb.661:
	s_mov_b32 s3, exec_lo
	v_cmpx_eq_u32_e32 26, v39
	s_cbranch_execz .LBB122_665
; %bb.662:
	v_cmp_ne_u32_e32 vcc_lo, 26, v4
	s_xor_b32 s6, s4, -1
	s_delay_alu instid0(SALU_CYCLE_1) | instskip(NEXT) | instid1(SALU_CYCLE_1)
	s_and_b32 s7, s6, vcc_lo
	s_and_saveexec_b32 s6, s7
	s_cbranch_execz .LBB122_664
; %bb.663:
	v_ashrrev_i32_e32 v5, 31, v4
	s_delay_alu instid0(VALU_DEP_1) | instskip(NEXT) | instid1(VALU_DEP_1)
	v_lshlrev_b64 v[5:6], 2, v[4:5]
	v_add_co_u32 v5, vcc_lo, v18, v5
	s_delay_alu instid0(VALU_DEP_2)
	v_add_co_ci_u32_e32 v6, vcc_lo, v19, v6, vcc_lo
	s_clause 0x1
	flat_load_b32 v7, v[5:6]
	flat_load_b32 v8, v[18:19] offset:104
	s_waitcnt vmcnt(1) lgkmcnt(1)
	flat_store_b32 v[18:19], v7 offset:104
	s_waitcnt vmcnt(0) lgkmcnt(1)
	flat_store_b32 v[5:6], v8
.LBB122_664:
	s_or_b32 exec_lo, exec_lo, s6
	v_mov_b32_e32 v39, v4
	v_mov_b32_e32 v38, v4
.LBB122_665:
	s_or_b32 exec_lo, exec_lo, s3
.LBB122_666:
	s_and_not1_saveexec_b32 s2, s2
	s_cbranch_execz .LBB122_668
; %bb.667:
	s_clause 0x1f
	scratch_load_b128 v[4:7], v108, off
	scratch_load_b128 v[8:11], v112, off
	;; [unrolled: 1-line block ×32, first 2 shown]
	s_clause 0x2
	scratch_load_b128 v[239:242], v146, off
	scratch_load_b128 v[243:246], v145, off
	;; [unrolled: 1-line block ×3, first 2 shown]
	v_mov_b32_e32 v39, 26
	s_waitcnt vmcnt(34)
	ds_store_2addr_b64 v20, v[4:5], v[6:7] offset0:54 offset1:55
	s_waitcnt vmcnt(33)
	ds_store_2addr_b64 v20, v[8:9], v[10:11] offset0:56 offset1:57
	;; [unrolled: 2-line block ×35, first 2 shown]
.LBB122_668:
	s_or_b32 exec_lo, exec_lo, s2
	s_delay_alu instid0(SALU_CYCLE_1)
	s_mov_b32 s2, exec_lo
	s_waitcnt lgkmcnt(0)
	s_waitcnt_vscnt null, 0x0
	s_barrier
	buffer_gl0_inv
	v_cmpx_lt_i32_e32 26, v39
	s_cbranch_execz .LBB122_671
; %bb.669:
	scratch_load_b128 v[4:7], off, off offset:416
	s_mov_b32 s3, 0
	s_waitcnt vmcnt(0)
	v_mul_f64 v[8:9], v[2:3], v[6:7]
	v_mul_f64 v[6:7], v[0:1], v[6:7]
	s_delay_alu instid0(VALU_DEP_2) | instskip(NEXT) | instid1(VALU_DEP_2)
	v_fma_f64 v[0:1], v[0:1], v[4:5], -v[8:9]
	v_fma_f64 v[2:3], v[2:3], v[4:5], v[6:7]
	v_add3_u32 v4, v37, 0, 0x1b0
	v_mov_b32_e32 v5, 0
	scratch_store_b128 off, v[0:3], off offset:416
.LBB122_670:                            ; =>This Inner Loop Header: Depth=1
	v_add_nc_u32_e32 v51, s3, v4
	v_readfirstlane_b32 s6, v5
	ds_load_2addr_b64 v[6:9], v51 offset1:1
	ds_load_2addr_b64 v[10:13], v51 offset0:2 offset1:3
	ds_load_2addr_b64 v[41:44], v51 offset0:4 offset1:5
	ds_load_2addr_b64 v[45:48], v51 offset0:6 offset1:7
	ds_load_2addr_b64 v[53:56], v51 offset0:8 offset1:9
	ds_load_2addr_b64 v[61:64], v51 offset0:10 offset1:11
	s_add_i32 s6, s6, s3
	s_addk_i32 s3, 0x70
	s_add_i32 s7, s6, 0x1b0
	s_add_i32 s9, s6, 0x1c0
	;; [unrolled: 1-line block ×6, first 2 shown]
	s_addk_i32 s6, 0x210
	s_cmpk_lg_i32 s3, 0x230
	s_waitcnt lgkmcnt(5)
	v_mul_f64 v[14:15], v[8:9], v[2:3]
	v_mul_f64 v[16:17], v[6:7], v[2:3]
	s_waitcnt lgkmcnt(4)
	v_mul_f64 v[49:50], v[12:13], v[2:3]
	v_mul_f64 v[57:58], v[10:11], v[2:3]
	;; [unrolled: 3-line block ×6, first 2 shown]
	v_fma_f64 v[14:15], v[6:7], v[0:1], -v[14:15]
	v_fma_f64 v[16:17], v[8:9], v[0:1], v[16:17]
	v_fma_f64 v[49:50], v[10:11], v[0:1], -v[49:50]
	v_fma_f64 v[57:58], v[12:13], v[0:1], v[57:58]
	;; [unrolled: 2-line block ×6, first 2 shown]
	scratch_load_b128 v[0:3], off, off offset:416
	s_clause 0x6
	scratch_load_b128 v[6:9], off, s7
	scratch_load_b128 v[10:13], off, s9
	;; [unrolled: 1-line block ×7, first 2 shown]
	ds_load_2addr_b64 v[77:80], v51 offset0:12 offset1:13
	s_waitcnt vmcnt(6)
	v_add_f64 v[6:7], v[6:7], -v[14:15]
	v_add_f64 v[8:9], v[8:9], -v[16:17]
	s_waitcnt vmcnt(5)
	v_add_f64 v[10:11], v[10:11], -v[49:50]
	v_add_f64 v[12:13], v[12:13], -v[57:58]
	s_waitcnt vmcnt(4)
	v_add_f64 v[41:42], v[41:42], -v[65:66]
	s_waitcnt lgkmcnt(0)
	v_mul_f64 v[95:96], v[79:80], v[2:3]
	v_mul_f64 v[97:98], v[77:78], v[2:3]
	v_add_f64 v[43:44], v[43:44], -v[85:86]
	s_waitcnt vmcnt(3)
	v_add_f64 v[45:46], v[45:46], -v[87:88]
	v_add_f64 v[47:48], v[47:48], -v[73:74]
	s_waitcnt vmcnt(2)
	v_add_f64 v[53:54], v[53:54], -v[89:90]
	;; [unrolled: 3-line block ×3, first 2 shown]
	v_add_f64 v[63:64], v[63:64], -v[93:94]
	v_fma_f64 v[77:78], v[77:78], v[0:1], -v[95:96]
	v_fma_f64 v[79:80], v[79:80], v[0:1], v[97:98]
	s_waitcnt vmcnt(0)
	s_delay_alu instid0(VALU_DEP_2) | instskip(NEXT) | instid1(VALU_DEP_2)
	v_add_f64 v[69:70], v[69:70], -v[77:78]
	v_add_f64 v[71:72], v[71:72], -v[79:80]
	s_clause 0x6
	scratch_store_b128 off, v[6:9], s7
	scratch_store_b128 off, v[10:13], s9
	scratch_store_b128 off, v[41:44], s12
	scratch_store_b128 off, v[45:48], s14
	scratch_store_b128 off, v[53:56], s15
	scratch_store_b128 off, v[61:64], s16
	scratch_store_b128 off, v[69:72], s6
	s_cbranch_scc1 .LBB122_670
.LBB122_671:
	s_or_b32 exec_lo, exec_lo, s2
	s_waitcnt_vscnt null, 0x0
	s_barrier
	buffer_gl0_inv
	scratch_load_b128 v[0:3], v108, off
	v_lshl_add_u32 v4, v39, 4, v20
	s_cmp_lt_i32 s5, 29
	s_waitcnt vmcnt(0)
	ds_store_2addr_b64 v4, v[0:1], v[2:3] offset1:1
	s_waitcnt lgkmcnt(0)
	s_barrier
	buffer_gl0_inv
	ds_load_2addr_b64 v[0:3], v20 offset0:54 offset1:55
	v_mov_b32_e32 v4, 27
	s_cbranch_scc1 .LBB122_674
; %bb.672:
	v_add3_u32 v5, v37, 0, 0x1c0
	v_mov_b32_e32 v4, 27
	s_mov_b32 s6, 28
	s_set_inst_prefetch_distance 0x1
	.p2align	6
.LBB122_673:                            ; =>This Inner Loop Header: Depth=1
	ds_load_2addr_b64 v[6:9], v5 offset1:1
	s_waitcnt lgkmcnt(1)
	v_cmp_gt_f64_e32 vcc_lo, 0, v[0:1]
	v_xor_b32_e32 v10, 0x80000000, v1
	v_cmp_gt_f64_e64 s2, 0, v[2:3]
	v_xor_b32_e32 v12, 0x80000000, v3
	v_add_nc_u32_e32 v5, 16, v5
	s_waitcnt lgkmcnt(0)
	v_cmp_gt_f64_e64 s3, 0, v[6:7]
	v_mov_b32_e32 v14, v6
	v_dual_mov_b32 v16, v8 :: v_dual_cndmask_b32 v11, v1, v10
	v_xor_b32_e32 v10, 0x80000000, v7
	v_cndmask_b32_e64 v13, v3, v12, s2
	v_xor_b32_e32 v12, 0x80000000, v9
	s_delay_alu instid0(VALU_DEP_3) | instskip(SKIP_2) | instid1(VALU_DEP_2)
	v_cndmask_b32_e64 v15, v7, v10, s3
	v_cmp_gt_f64_e64 s3, 0, v[8:9]
	v_cndmask_b32_e32 v10, v0, v0, vcc_lo
	v_cndmask_b32_e64 v17, v9, v12, s3
	v_cndmask_b32_e64 v12, v2, v2, s2
	s_delay_alu instid0(VALU_DEP_2) | instskip(NEXT) | instid1(VALU_DEP_2)
	v_add_f64 v[14:15], v[14:15], v[16:17]
	v_add_f64 v[10:11], v[10:11], v[12:13]
	s_delay_alu instid0(VALU_DEP_1)
	v_cmp_lt_f64_e32 vcc_lo, v[10:11], v[14:15]
	v_cndmask_b32_e32 v3, v3, v9, vcc_lo
	v_dual_cndmask_b32 v1, v1, v7 :: v_dual_cndmask_b32 v0, v0, v6
	v_cndmask_b32_e32 v2, v2, v8, vcc_lo
	v_cndmask_b32_e64 v4, v4, s6, vcc_lo
	s_add_i32 s6, s6, 1
	s_delay_alu instid0(SALU_CYCLE_1)
	s_cmp_lg_u32 s5, s6
	s_cbranch_scc1 .LBB122_673
.LBB122_674:
	s_set_inst_prefetch_distance 0x2
	s_waitcnt lgkmcnt(0)
	v_cmp_eq_f64_e32 vcc_lo, 0, v[0:1]
	v_cmp_eq_f64_e64 s2, 0, v[2:3]
	s_delay_alu instid0(VALU_DEP_1) | instskip(NEXT) | instid1(SALU_CYCLE_1)
	s_and_b32 s2, vcc_lo, s2
	s_and_saveexec_b32 s3, s2
	s_delay_alu instid0(SALU_CYCLE_1)
	s_xor_b32 s2, exec_lo, s3
; %bb.675:
	v_cmp_ne_u32_e32 vcc_lo, 0, v35
	v_cndmask_b32_e32 v35, 28, v35, vcc_lo
; %bb.676:
	s_and_not1_saveexec_b32 s3, s2
	s_cbranch_execz .LBB122_682
; %bb.677:
	v_cmp_gt_f64_e32 vcc_lo, 0, v[0:1]
	v_cmp_gt_f64_e64 s2, 0, v[2:3]
	v_xor_b32_e32 v5, 0x80000000, v1
	v_xor_b32_e32 v7, 0x80000000, v3
	s_delay_alu instid0(VALU_DEP_2) | instskip(NEXT) | instid1(VALU_DEP_2)
	v_dual_cndmask_b32 v6, v1, v5 :: v_dual_cndmask_b32 v5, v0, v0
	v_cndmask_b32_e64 v8, v3, v7, s2
	v_cndmask_b32_e64 v7, v2, v2, s2
	s_mov_b32 s2, exec_lo
	s_delay_alu instid0(VALU_DEP_1)
	v_cmpx_ngt_f64_e32 v[5:6], v[7:8]
	s_xor_b32 s2, exec_lo, s2
	s_cbranch_execz .LBB122_679
; %bb.678:
	v_div_scale_f64 v[5:6], null, v[2:3], v[2:3], v[0:1]
	v_div_scale_f64 v[11:12], vcc_lo, v[0:1], v[2:3], v[0:1]
	s_delay_alu instid0(VALU_DEP_2) | instskip(SKIP_2) | instid1(VALU_DEP_1)
	v_rcp_f64_e32 v[7:8], v[5:6]
	s_waitcnt_depctr 0xfff
	v_fma_f64 v[9:10], -v[5:6], v[7:8], 1.0
	v_fma_f64 v[7:8], v[7:8], v[9:10], v[7:8]
	s_delay_alu instid0(VALU_DEP_1) | instskip(NEXT) | instid1(VALU_DEP_1)
	v_fma_f64 v[9:10], -v[5:6], v[7:8], 1.0
	v_fma_f64 v[7:8], v[7:8], v[9:10], v[7:8]
	s_delay_alu instid0(VALU_DEP_1) | instskip(NEXT) | instid1(VALU_DEP_1)
	v_mul_f64 v[9:10], v[11:12], v[7:8]
	v_fma_f64 v[5:6], -v[5:6], v[9:10], v[11:12]
	s_delay_alu instid0(VALU_DEP_1) | instskip(NEXT) | instid1(VALU_DEP_1)
	v_div_fmas_f64 v[5:6], v[5:6], v[7:8], v[9:10]
	v_div_fixup_f64 v[5:6], v[5:6], v[2:3], v[0:1]
	s_delay_alu instid0(VALU_DEP_1) | instskip(NEXT) | instid1(VALU_DEP_1)
	v_fma_f64 v[0:1], v[0:1], v[5:6], v[2:3]
	v_div_scale_f64 v[2:3], null, v[0:1], v[0:1], 1.0
	s_delay_alu instid0(VALU_DEP_1) | instskip(SKIP_2) | instid1(VALU_DEP_1)
	v_rcp_f64_e32 v[7:8], v[2:3]
	s_waitcnt_depctr 0xfff
	v_fma_f64 v[9:10], -v[2:3], v[7:8], 1.0
	v_fma_f64 v[7:8], v[7:8], v[9:10], v[7:8]
	s_delay_alu instid0(VALU_DEP_1) | instskip(NEXT) | instid1(VALU_DEP_1)
	v_fma_f64 v[9:10], -v[2:3], v[7:8], 1.0
	v_fma_f64 v[7:8], v[7:8], v[9:10], v[7:8]
	v_div_scale_f64 v[9:10], vcc_lo, 1.0, v[0:1], 1.0
	s_delay_alu instid0(VALU_DEP_1) | instskip(NEXT) | instid1(VALU_DEP_1)
	v_mul_f64 v[11:12], v[9:10], v[7:8]
	v_fma_f64 v[2:3], -v[2:3], v[11:12], v[9:10]
	s_delay_alu instid0(VALU_DEP_1) | instskip(NEXT) | instid1(VALU_DEP_1)
	v_div_fmas_f64 v[2:3], v[2:3], v[7:8], v[11:12]
	v_div_fixup_f64 v[2:3], v[2:3], v[0:1], 1.0
	s_delay_alu instid0(VALU_DEP_1)
	v_mul_f64 v[0:1], v[5:6], v[2:3]
	v_xor_b32_e32 v3, 0x80000000, v3
.LBB122_679:
	s_and_not1_saveexec_b32 s2, s2
	s_cbranch_execz .LBB122_681
; %bb.680:
	s_delay_alu instid0(VALU_DEP_1) | instskip(SKIP_1) | instid1(VALU_DEP_2)
	v_div_scale_f64 v[5:6], null, v[0:1], v[0:1], v[2:3]
	v_div_scale_f64 v[11:12], vcc_lo, v[2:3], v[0:1], v[2:3]
	v_rcp_f64_e32 v[7:8], v[5:6]
	s_waitcnt_depctr 0xfff
	v_fma_f64 v[9:10], -v[5:6], v[7:8], 1.0
	s_delay_alu instid0(VALU_DEP_1) | instskip(NEXT) | instid1(VALU_DEP_1)
	v_fma_f64 v[7:8], v[7:8], v[9:10], v[7:8]
	v_fma_f64 v[9:10], -v[5:6], v[7:8], 1.0
	s_delay_alu instid0(VALU_DEP_1) | instskip(NEXT) | instid1(VALU_DEP_1)
	v_fma_f64 v[7:8], v[7:8], v[9:10], v[7:8]
	v_mul_f64 v[9:10], v[11:12], v[7:8]
	s_delay_alu instid0(VALU_DEP_1) | instskip(NEXT) | instid1(VALU_DEP_1)
	v_fma_f64 v[5:6], -v[5:6], v[9:10], v[11:12]
	v_div_fmas_f64 v[5:6], v[5:6], v[7:8], v[9:10]
	s_delay_alu instid0(VALU_DEP_1) | instskip(NEXT) | instid1(VALU_DEP_1)
	v_div_fixup_f64 v[5:6], v[5:6], v[0:1], v[2:3]
	v_fma_f64 v[0:1], v[2:3], v[5:6], v[0:1]
	s_delay_alu instid0(VALU_DEP_1) | instskip(NEXT) | instid1(VALU_DEP_1)
	v_div_scale_f64 v[2:3], null, v[0:1], v[0:1], 1.0
	v_rcp_f64_e32 v[7:8], v[2:3]
	s_waitcnt_depctr 0xfff
	v_fma_f64 v[9:10], -v[2:3], v[7:8], 1.0
	s_delay_alu instid0(VALU_DEP_1) | instskip(NEXT) | instid1(VALU_DEP_1)
	v_fma_f64 v[7:8], v[7:8], v[9:10], v[7:8]
	v_fma_f64 v[9:10], -v[2:3], v[7:8], 1.0
	s_delay_alu instid0(VALU_DEP_1) | instskip(SKIP_1) | instid1(VALU_DEP_1)
	v_fma_f64 v[7:8], v[7:8], v[9:10], v[7:8]
	v_div_scale_f64 v[9:10], vcc_lo, 1.0, v[0:1], 1.0
	v_mul_f64 v[11:12], v[9:10], v[7:8]
	s_delay_alu instid0(VALU_DEP_1) | instskip(NEXT) | instid1(VALU_DEP_1)
	v_fma_f64 v[2:3], -v[2:3], v[11:12], v[9:10]
	v_div_fmas_f64 v[2:3], v[2:3], v[7:8], v[11:12]
	s_delay_alu instid0(VALU_DEP_1) | instskip(NEXT) | instid1(VALU_DEP_1)
	v_div_fixup_f64 v[0:1], v[2:3], v[0:1], 1.0
	v_mul_f64 v[2:3], v[5:6], -v[0:1]
.LBB122_681:
	s_or_b32 exec_lo, exec_lo, s2
.LBB122_682:
	s_delay_alu instid0(SALU_CYCLE_1) | instskip(NEXT) | instid1(SALU_CYCLE_1)
	s_or_b32 exec_lo, exec_lo, s3
	s_mov_b32 s2, exec_lo
	v_cmpx_ne_u32_e64 v39, v4
	s_xor_b32 s2, exec_lo, s2
	s_cbranch_execz .LBB122_688
; %bb.683:
	s_mov_b32 s3, exec_lo
	v_cmpx_eq_u32_e32 27, v39
	s_cbranch_execz .LBB122_687
; %bb.684:
	v_cmp_ne_u32_e32 vcc_lo, 27, v4
	s_xor_b32 s6, s4, -1
	s_delay_alu instid0(SALU_CYCLE_1) | instskip(NEXT) | instid1(SALU_CYCLE_1)
	s_and_b32 s7, s6, vcc_lo
	s_and_saveexec_b32 s6, s7
	s_cbranch_execz .LBB122_686
; %bb.685:
	v_ashrrev_i32_e32 v5, 31, v4
	s_delay_alu instid0(VALU_DEP_1) | instskip(NEXT) | instid1(VALU_DEP_1)
	v_lshlrev_b64 v[5:6], 2, v[4:5]
	v_add_co_u32 v5, vcc_lo, v18, v5
	s_delay_alu instid0(VALU_DEP_2)
	v_add_co_ci_u32_e32 v6, vcc_lo, v19, v6, vcc_lo
	s_clause 0x1
	flat_load_b32 v7, v[5:6]
	flat_load_b32 v8, v[18:19] offset:108
	s_waitcnt vmcnt(1) lgkmcnt(1)
	flat_store_b32 v[18:19], v7 offset:108
	s_waitcnt vmcnt(0) lgkmcnt(1)
	flat_store_b32 v[5:6], v8
.LBB122_686:
	s_or_b32 exec_lo, exec_lo, s6
	v_mov_b32_e32 v39, v4
	v_mov_b32_e32 v38, v4
.LBB122_687:
	s_or_b32 exec_lo, exec_lo, s3
.LBB122_688:
	s_and_not1_saveexec_b32 s2, s2
	s_cbranch_execz .LBB122_690
; %bb.689:
	s_clause 0x1f
	scratch_load_b128 v[4:7], v112, off
	scratch_load_b128 v[8:11], v116, off
	;; [unrolled: 1-line block ×32, first 2 shown]
	s_clause 0x1
	scratch_load_b128 v[239:242], v145, off
	scratch_load_b128 v[243:246], v144, off
	v_mov_b32_e32 v39, 27
	s_waitcnt vmcnt(33)
	ds_store_2addr_b64 v20, v[4:5], v[6:7] offset0:56 offset1:57
	s_waitcnt vmcnt(32)
	ds_store_2addr_b64 v20, v[8:9], v[10:11] offset0:58 offset1:59
	;; [unrolled: 2-line block ×34, first 2 shown]
.LBB122_690:
	s_or_b32 exec_lo, exec_lo, s2
	s_delay_alu instid0(SALU_CYCLE_1)
	s_mov_b32 s2, exec_lo
	s_waitcnt lgkmcnt(0)
	s_waitcnt_vscnt null, 0x0
	s_barrier
	buffer_gl0_inv
	v_cmpx_lt_i32_e32 27, v39
	s_cbranch_execz .LBB122_693
; %bb.691:
	scratch_load_b128 v[4:7], off, off offset:432
	s_mov_b32 s3, 0
	s_waitcnt vmcnt(0)
	v_mul_f64 v[8:9], v[2:3], v[6:7]
	v_mul_f64 v[6:7], v[0:1], v[6:7]
	s_delay_alu instid0(VALU_DEP_2) | instskip(NEXT) | instid1(VALU_DEP_2)
	v_fma_f64 v[0:1], v[0:1], v[4:5], -v[8:9]
	v_fma_f64 v[2:3], v[2:3], v[4:5], v[6:7]
	v_add3_u32 v4, v37, 0, 0x1c0
	scratch_store_b128 off, v[0:3], off offset:432
	s_set_inst_prefetch_distance 0x1
	.p2align	6
.LBB122_692:                            ; =>This Inner Loop Header: Depth=1
	v_add_nc_u32_e64 v5, s3, 0
	v_add_nc_u32_e32 v13, s3, v4
	s_add_i32 s3, s3, 32
	s_delay_alu instid0(SALU_CYCLE_1) | instskip(NEXT) | instid1(VALU_DEP_2)
	s_cmpk_lg_i32 s3, 0x220
	v_add_nc_u32_e32 v17, 0x1c0, v5
	v_add_nc_u32_e32 v51, 0x1d0, v5
	s_clause 0x1
	scratch_load_b128 v[5:8], v17, off
	scratch_load_b128 v[9:12], v51, off
	ds_load_2addr_b64 v[41:44], v13 offset1:1
	ds_load_2addr_b64 v[45:48], v13 offset0:2 offset1:3
	s_waitcnt lgkmcnt(1)
	v_mul_f64 v[13:14], v[43:44], v[2:3]
	v_mul_f64 v[15:16], v[41:42], v[2:3]
	s_waitcnt lgkmcnt(0)
	v_mul_f64 v[49:50], v[47:48], v[2:3]
	v_mul_f64 v[53:54], v[45:46], v[2:3]
	s_delay_alu instid0(VALU_DEP_4) | instskip(NEXT) | instid1(VALU_DEP_4)
	v_fma_f64 v[13:14], v[41:42], v[0:1], -v[13:14]
	v_fma_f64 v[15:16], v[43:44], v[0:1], v[15:16]
	s_delay_alu instid0(VALU_DEP_4) | instskip(NEXT) | instid1(VALU_DEP_4)
	v_fma_f64 v[41:42], v[45:46], v[0:1], -v[49:50]
	v_fma_f64 v[43:44], v[47:48], v[0:1], v[53:54]
	s_waitcnt vmcnt(1)
	s_delay_alu instid0(VALU_DEP_4) | instskip(NEXT) | instid1(VALU_DEP_4)
	v_add_f64 v[5:6], v[5:6], -v[13:14]
	v_add_f64 v[7:8], v[7:8], -v[15:16]
	s_waitcnt vmcnt(0)
	s_delay_alu instid0(VALU_DEP_4) | instskip(NEXT) | instid1(VALU_DEP_4)
	v_add_f64 v[9:10], v[9:10], -v[41:42]
	v_add_f64 v[11:12], v[11:12], -v[43:44]
	s_clause 0x1
	scratch_store_b128 v17, v[5:8], off
	scratch_store_b128 v51, v[9:12], off
	s_cbranch_scc1 .LBB122_692
.LBB122_693:
	s_set_inst_prefetch_distance 0x2
	s_or_b32 exec_lo, exec_lo, s2
	s_waitcnt_vscnt null, 0x0
	s_barrier
	buffer_gl0_inv
	scratch_load_b128 v[0:3], v112, off
	v_lshl_add_u32 v4, v39, 4, v20
	s_cmp_lt_i32 s5, 30
	s_waitcnt vmcnt(0)
	ds_store_2addr_b64 v4, v[0:1], v[2:3] offset1:1
	s_waitcnt lgkmcnt(0)
	s_barrier
	buffer_gl0_inv
	ds_load_2addr_b64 v[0:3], v20 offset0:56 offset1:57
	v_mov_b32_e32 v4, 28
	s_cbranch_scc1 .LBB122_696
; %bb.694:
	v_add3_u32 v5, v37, 0, 0x1d0
	v_mov_b32_e32 v4, 28
	s_mov_b32 s6, 29
	s_set_inst_prefetch_distance 0x1
	.p2align	6
.LBB122_695:                            ; =>This Inner Loop Header: Depth=1
	ds_load_2addr_b64 v[6:9], v5 offset1:1
	s_waitcnt lgkmcnt(1)
	v_cmp_gt_f64_e32 vcc_lo, 0, v[0:1]
	v_xor_b32_e32 v10, 0x80000000, v1
	v_cmp_gt_f64_e64 s2, 0, v[2:3]
	v_xor_b32_e32 v12, 0x80000000, v3
	v_add_nc_u32_e32 v5, 16, v5
	s_waitcnt lgkmcnt(0)
	v_cmp_gt_f64_e64 s3, 0, v[6:7]
	v_mov_b32_e32 v14, v6
	v_dual_mov_b32 v16, v8 :: v_dual_cndmask_b32 v11, v1, v10
	v_xor_b32_e32 v10, 0x80000000, v7
	v_cndmask_b32_e64 v13, v3, v12, s2
	v_xor_b32_e32 v12, 0x80000000, v9
	s_delay_alu instid0(VALU_DEP_3) | instskip(SKIP_2) | instid1(VALU_DEP_2)
	v_cndmask_b32_e64 v15, v7, v10, s3
	v_cmp_gt_f64_e64 s3, 0, v[8:9]
	v_cndmask_b32_e32 v10, v0, v0, vcc_lo
	v_cndmask_b32_e64 v17, v9, v12, s3
	v_cndmask_b32_e64 v12, v2, v2, s2
	s_delay_alu instid0(VALU_DEP_2) | instskip(NEXT) | instid1(VALU_DEP_2)
	v_add_f64 v[14:15], v[14:15], v[16:17]
	v_add_f64 v[10:11], v[10:11], v[12:13]
	s_delay_alu instid0(VALU_DEP_1)
	v_cmp_lt_f64_e32 vcc_lo, v[10:11], v[14:15]
	v_cndmask_b32_e32 v3, v3, v9, vcc_lo
	v_dual_cndmask_b32 v1, v1, v7 :: v_dual_cndmask_b32 v0, v0, v6
	v_cndmask_b32_e32 v2, v2, v8, vcc_lo
	v_cndmask_b32_e64 v4, v4, s6, vcc_lo
	s_add_i32 s6, s6, 1
	s_delay_alu instid0(SALU_CYCLE_1)
	s_cmp_lg_u32 s5, s6
	s_cbranch_scc1 .LBB122_695
.LBB122_696:
	s_set_inst_prefetch_distance 0x2
	s_waitcnt lgkmcnt(0)
	v_cmp_eq_f64_e32 vcc_lo, 0, v[0:1]
	v_cmp_eq_f64_e64 s2, 0, v[2:3]
	s_delay_alu instid0(VALU_DEP_1) | instskip(NEXT) | instid1(SALU_CYCLE_1)
	s_and_b32 s2, vcc_lo, s2
	s_and_saveexec_b32 s3, s2
	s_delay_alu instid0(SALU_CYCLE_1)
	s_xor_b32 s2, exec_lo, s3
; %bb.697:
	v_cmp_ne_u32_e32 vcc_lo, 0, v35
	v_cndmask_b32_e32 v35, 29, v35, vcc_lo
; %bb.698:
	s_and_not1_saveexec_b32 s3, s2
	s_cbranch_execz .LBB122_704
; %bb.699:
	v_cmp_gt_f64_e32 vcc_lo, 0, v[0:1]
	v_cmp_gt_f64_e64 s2, 0, v[2:3]
	v_xor_b32_e32 v5, 0x80000000, v1
	v_xor_b32_e32 v7, 0x80000000, v3
	s_delay_alu instid0(VALU_DEP_2) | instskip(NEXT) | instid1(VALU_DEP_2)
	v_dual_cndmask_b32 v6, v1, v5 :: v_dual_cndmask_b32 v5, v0, v0
	v_cndmask_b32_e64 v8, v3, v7, s2
	v_cndmask_b32_e64 v7, v2, v2, s2
	s_mov_b32 s2, exec_lo
	s_delay_alu instid0(VALU_DEP_1)
	v_cmpx_ngt_f64_e32 v[5:6], v[7:8]
	s_xor_b32 s2, exec_lo, s2
	s_cbranch_execz .LBB122_701
; %bb.700:
	v_div_scale_f64 v[5:6], null, v[2:3], v[2:3], v[0:1]
	v_div_scale_f64 v[11:12], vcc_lo, v[0:1], v[2:3], v[0:1]
	s_delay_alu instid0(VALU_DEP_2) | instskip(SKIP_2) | instid1(VALU_DEP_1)
	v_rcp_f64_e32 v[7:8], v[5:6]
	s_waitcnt_depctr 0xfff
	v_fma_f64 v[9:10], -v[5:6], v[7:8], 1.0
	v_fma_f64 v[7:8], v[7:8], v[9:10], v[7:8]
	s_delay_alu instid0(VALU_DEP_1) | instskip(NEXT) | instid1(VALU_DEP_1)
	v_fma_f64 v[9:10], -v[5:6], v[7:8], 1.0
	v_fma_f64 v[7:8], v[7:8], v[9:10], v[7:8]
	s_delay_alu instid0(VALU_DEP_1) | instskip(NEXT) | instid1(VALU_DEP_1)
	v_mul_f64 v[9:10], v[11:12], v[7:8]
	v_fma_f64 v[5:6], -v[5:6], v[9:10], v[11:12]
	s_delay_alu instid0(VALU_DEP_1) | instskip(NEXT) | instid1(VALU_DEP_1)
	v_div_fmas_f64 v[5:6], v[5:6], v[7:8], v[9:10]
	v_div_fixup_f64 v[5:6], v[5:6], v[2:3], v[0:1]
	s_delay_alu instid0(VALU_DEP_1) | instskip(NEXT) | instid1(VALU_DEP_1)
	v_fma_f64 v[0:1], v[0:1], v[5:6], v[2:3]
	v_div_scale_f64 v[2:3], null, v[0:1], v[0:1], 1.0
	s_delay_alu instid0(VALU_DEP_1) | instskip(SKIP_2) | instid1(VALU_DEP_1)
	v_rcp_f64_e32 v[7:8], v[2:3]
	s_waitcnt_depctr 0xfff
	v_fma_f64 v[9:10], -v[2:3], v[7:8], 1.0
	v_fma_f64 v[7:8], v[7:8], v[9:10], v[7:8]
	s_delay_alu instid0(VALU_DEP_1) | instskip(NEXT) | instid1(VALU_DEP_1)
	v_fma_f64 v[9:10], -v[2:3], v[7:8], 1.0
	v_fma_f64 v[7:8], v[7:8], v[9:10], v[7:8]
	v_div_scale_f64 v[9:10], vcc_lo, 1.0, v[0:1], 1.0
	s_delay_alu instid0(VALU_DEP_1) | instskip(NEXT) | instid1(VALU_DEP_1)
	v_mul_f64 v[11:12], v[9:10], v[7:8]
	v_fma_f64 v[2:3], -v[2:3], v[11:12], v[9:10]
	s_delay_alu instid0(VALU_DEP_1) | instskip(NEXT) | instid1(VALU_DEP_1)
	v_div_fmas_f64 v[2:3], v[2:3], v[7:8], v[11:12]
	v_div_fixup_f64 v[2:3], v[2:3], v[0:1], 1.0
	s_delay_alu instid0(VALU_DEP_1)
	v_mul_f64 v[0:1], v[5:6], v[2:3]
	v_xor_b32_e32 v3, 0x80000000, v3
.LBB122_701:
	s_and_not1_saveexec_b32 s2, s2
	s_cbranch_execz .LBB122_703
; %bb.702:
	s_delay_alu instid0(VALU_DEP_1) | instskip(SKIP_1) | instid1(VALU_DEP_2)
	v_div_scale_f64 v[5:6], null, v[0:1], v[0:1], v[2:3]
	v_div_scale_f64 v[11:12], vcc_lo, v[2:3], v[0:1], v[2:3]
	v_rcp_f64_e32 v[7:8], v[5:6]
	s_waitcnt_depctr 0xfff
	v_fma_f64 v[9:10], -v[5:6], v[7:8], 1.0
	s_delay_alu instid0(VALU_DEP_1) | instskip(NEXT) | instid1(VALU_DEP_1)
	v_fma_f64 v[7:8], v[7:8], v[9:10], v[7:8]
	v_fma_f64 v[9:10], -v[5:6], v[7:8], 1.0
	s_delay_alu instid0(VALU_DEP_1) | instskip(NEXT) | instid1(VALU_DEP_1)
	v_fma_f64 v[7:8], v[7:8], v[9:10], v[7:8]
	v_mul_f64 v[9:10], v[11:12], v[7:8]
	s_delay_alu instid0(VALU_DEP_1) | instskip(NEXT) | instid1(VALU_DEP_1)
	v_fma_f64 v[5:6], -v[5:6], v[9:10], v[11:12]
	v_div_fmas_f64 v[5:6], v[5:6], v[7:8], v[9:10]
	s_delay_alu instid0(VALU_DEP_1) | instskip(NEXT) | instid1(VALU_DEP_1)
	v_div_fixup_f64 v[5:6], v[5:6], v[0:1], v[2:3]
	v_fma_f64 v[0:1], v[2:3], v[5:6], v[0:1]
	s_delay_alu instid0(VALU_DEP_1) | instskip(NEXT) | instid1(VALU_DEP_1)
	v_div_scale_f64 v[2:3], null, v[0:1], v[0:1], 1.0
	v_rcp_f64_e32 v[7:8], v[2:3]
	s_waitcnt_depctr 0xfff
	v_fma_f64 v[9:10], -v[2:3], v[7:8], 1.0
	s_delay_alu instid0(VALU_DEP_1) | instskip(NEXT) | instid1(VALU_DEP_1)
	v_fma_f64 v[7:8], v[7:8], v[9:10], v[7:8]
	v_fma_f64 v[9:10], -v[2:3], v[7:8], 1.0
	s_delay_alu instid0(VALU_DEP_1) | instskip(SKIP_1) | instid1(VALU_DEP_1)
	v_fma_f64 v[7:8], v[7:8], v[9:10], v[7:8]
	v_div_scale_f64 v[9:10], vcc_lo, 1.0, v[0:1], 1.0
	v_mul_f64 v[11:12], v[9:10], v[7:8]
	s_delay_alu instid0(VALU_DEP_1) | instskip(NEXT) | instid1(VALU_DEP_1)
	v_fma_f64 v[2:3], -v[2:3], v[11:12], v[9:10]
	v_div_fmas_f64 v[2:3], v[2:3], v[7:8], v[11:12]
	s_delay_alu instid0(VALU_DEP_1) | instskip(NEXT) | instid1(VALU_DEP_1)
	v_div_fixup_f64 v[0:1], v[2:3], v[0:1], 1.0
	v_mul_f64 v[2:3], v[5:6], -v[0:1]
.LBB122_703:
	s_or_b32 exec_lo, exec_lo, s2
.LBB122_704:
	s_delay_alu instid0(SALU_CYCLE_1) | instskip(NEXT) | instid1(SALU_CYCLE_1)
	s_or_b32 exec_lo, exec_lo, s3
	s_mov_b32 s2, exec_lo
	v_cmpx_ne_u32_e64 v39, v4
	s_xor_b32 s2, exec_lo, s2
	s_cbranch_execz .LBB122_710
; %bb.705:
	s_mov_b32 s3, exec_lo
	v_cmpx_eq_u32_e32 28, v39
	s_cbranch_execz .LBB122_709
; %bb.706:
	v_cmp_ne_u32_e32 vcc_lo, 28, v4
	s_xor_b32 s6, s4, -1
	s_delay_alu instid0(SALU_CYCLE_1) | instskip(NEXT) | instid1(SALU_CYCLE_1)
	s_and_b32 s7, s6, vcc_lo
	s_and_saveexec_b32 s6, s7
	s_cbranch_execz .LBB122_708
; %bb.707:
	v_ashrrev_i32_e32 v5, 31, v4
	s_delay_alu instid0(VALU_DEP_1) | instskip(NEXT) | instid1(VALU_DEP_1)
	v_lshlrev_b64 v[5:6], 2, v[4:5]
	v_add_co_u32 v5, vcc_lo, v18, v5
	s_delay_alu instid0(VALU_DEP_2)
	v_add_co_ci_u32_e32 v6, vcc_lo, v19, v6, vcc_lo
	s_clause 0x1
	flat_load_b32 v7, v[5:6]
	flat_load_b32 v8, v[18:19] offset:112
	s_waitcnt vmcnt(1) lgkmcnt(1)
	flat_store_b32 v[18:19], v7 offset:112
	s_waitcnt vmcnt(0) lgkmcnt(1)
	flat_store_b32 v[5:6], v8
.LBB122_708:
	s_or_b32 exec_lo, exec_lo, s6
	v_mov_b32_e32 v39, v4
	v_mov_b32_e32 v38, v4
.LBB122_709:
	s_or_b32 exec_lo, exec_lo, s3
.LBB122_710:
	s_and_not1_saveexec_b32 s2, s2
	s_cbranch_execz .LBB122_712
; %bb.711:
	s_clause 0x1f
	scratch_load_b128 v[4:7], v116, off
	scratch_load_b128 v[8:11], v120, off
	;; [unrolled: 1-line block ×33, first 2 shown]
	v_mov_b32_e32 v39, 28
	s_waitcnt vmcnt(32)
	ds_store_2addr_b64 v20, v[4:5], v[6:7] offset0:58 offset1:59
	s_waitcnt vmcnt(31)
	ds_store_2addr_b64 v20, v[8:9], v[10:11] offset0:60 offset1:61
	s_waitcnt vmcnt(30)
	ds_store_2addr_b64 v20, v[12:13], v[14:15] offset0:62 offset1:63
	s_waitcnt vmcnt(29)
	ds_store_2addr_b64 v20, v[41:42], v[43:44] offset0:64 offset1:65
	s_waitcnt vmcnt(28)
	ds_store_2addr_b64 v20, v[45:46], v[47:48] offset0:66 offset1:67
	s_waitcnt vmcnt(27)
	ds_store_2addr_b64 v20, v[53:54], v[55:56] offset0:68 offset1:69
	s_waitcnt vmcnt(26)
	ds_store_2addr_b64 v20, v[61:62], v[63:64] offset0:70 offset1:71
	s_waitcnt vmcnt(25)
	ds_store_2addr_b64 v20, v[69:70], v[71:72] offset0:72 offset1:73
	s_waitcnt vmcnt(24)
	ds_store_2addr_b64 v20, v[77:78], v[79:80] offset0:74 offset1:75
	s_waitcnt vmcnt(23)
	ds_store_2addr_b64 v20, v[85:86], v[87:88] offset0:76 offset1:77
	s_waitcnt vmcnt(22)
	ds_store_2addr_b64 v20, v[89:90], v[91:92] offset0:78 offset1:79
	s_waitcnt vmcnt(21)
	ds_store_2addr_b64 v20, v[93:94], v[95:96] offset0:80 offset1:81
	s_waitcnt vmcnt(20)
	ds_store_2addr_b64 v20, v[97:98], v[99:100] offset0:82 offset1:83
	s_waitcnt vmcnt(19)
	ds_store_2addr_b64 v20, v[126:127], v[128:129] offset0:84 offset1:85
	s_waitcnt vmcnt(18)
	ds_store_2addr_b64 v20, v[137:138], v[139:140] offset0:86 offset1:87
	s_waitcnt vmcnt(17)
	ds_store_2addr_b64 v20, v[171:172], v[173:174] offset0:88 offset1:89
	s_waitcnt vmcnt(16)
	ds_store_2addr_b64 v20, v[175:176], v[177:178] offset0:90 offset1:91
	s_waitcnt vmcnt(15)
	ds_store_2addr_b64 v20, v[179:180], v[181:182] offset0:92 offset1:93
	s_waitcnt vmcnt(14)
	ds_store_2addr_b64 v20, v[183:184], v[185:186] offset0:94 offset1:95
	s_waitcnt vmcnt(13)
	ds_store_2addr_b64 v20, v[187:188], v[189:190] offset0:96 offset1:97
	s_waitcnt vmcnt(12)
	ds_store_2addr_b64 v20, v[191:192], v[193:194] offset0:98 offset1:99
	s_waitcnt vmcnt(11)
	ds_store_2addr_b64 v20, v[195:196], v[197:198] offset0:100 offset1:101
	s_waitcnt vmcnt(10)
	ds_store_2addr_b64 v20, v[199:200], v[201:202] offset0:102 offset1:103
	s_waitcnt vmcnt(9)
	ds_store_2addr_b64 v20, v[203:204], v[205:206] offset0:104 offset1:105
	s_waitcnt vmcnt(8)
	ds_store_2addr_b64 v20, v[207:208], v[209:210] offset0:106 offset1:107
	s_waitcnt vmcnt(7)
	ds_store_2addr_b64 v20, v[211:212], v[213:214] offset0:108 offset1:109
	s_waitcnt vmcnt(6)
	ds_store_2addr_b64 v20, v[215:216], v[217:218] offset0:110 offset1:111
	s_waitcnt vmcnt(5)
	ds_store_2addr_b64 v20, v[219:220], v[221:222] offset0:112 offset1:113
	s_waitcnt vmcnt(4)
	ds_store_2addr_b64 v20, v[223:224], v[225:226] offset0:114 offset1:115
	s_waitcnt vmcnt(3)
	ds_store_2addr_b64 v20, v[227:228], v[229:230] offset0:116 offset1:117
	s_waitcnt vmcnt(2)
	ds_store_2addr_b64 v20, v[231:232], v[233:234] offset0:118 offset1:119
	s_waitcnt vmcnt(1)
	ds_store_2addr_b64 v20, v[235:236], v[237:238] offset0:120 offset1:121
	s_waitcnt vmcnt(0)
	ds_store_2addr_b64 v20, v[239:240], v[241:242] offset0:122 offset1:123
.LBB122_712:
	s_or_b32 exec_lo, exec_lo, s2
	s_delay_alu instid0(SALU_CYCLE_1)
	s_mov_b32 s2, exec_lo
	s_waitcnt lgkmcnt(0)
	s_waitcnt_vscnt null, 0x0
	s_barrier
	buffer_gl0_inv
	v_cmpx_lt_i32_e32 28, v39
	s_cbranch_execz .LBB122_715
; %bb.713:
	scratch_load_b128 v[4:7], off, off offset:448
	s_mov_b32 s3, 0
	s_waitcnt vmcnt(0)
	v_mul_f64 v[8:9], v[2:3], v[6:7]
	v_mul_f64 v[6:7], v[0:1], v[6:7]
	s_delay_alu instid0(VALU_DEP_2) | instskip(NEXT) | instid1(VALU_DEP_2)
	v_fma_f64 v[0:1], v[0:1], v[4:5], -v[8:9]
	v_fma_f64 v[2:3], v[2:3], v[4:5], v[6:7]
	v_add3_u32 v4, v37, 0, 0x1d0
	v_mov_b32_e32 v5, 0
	scratch_store_b128 off, v[0:3], off offset:448
.LBB122_714:                            ; =>This Inner Loop Header: Depth=1
	v_readfirstlane_b32 s6, v5
	v_add_nc_u32_e32 v14, s3, v4
	s_delay_alu instid0(VALU_DEP_2)
	s_add_i32 s6, s6, s3
	s_add_i32 s3, s3, 48
	;; [unrolled: 1-line block ×4, first 2 shown]
	s_addk_i32 s6, 0x1f0
	s_clause 0x2
	scratch_load_b128 v[6:9], off, s7
	scratch_load_b128 v[10:13], off, s9
	;; [unrolled: 1-line block ×3, first 2 shown]
	ds_load_2addr_b64 v[45:48], v14 offset1:1
	ds_load_2addr_b64 v[53:56], v14 offset0:2 offset1:3
	ds_load_2addr_b64 v[61:64], v14 offset0:4 offset1:5
	s_cmpk_lg_i32 s3, 0x210
	s_waitcnt lgkmcnt(2)
	v_mul_f64 v[14:15], v[47:48], v[2:3]
	v_mul_f64 v[16:17], v[45:46], v[2:3]
	s_waitcnt lgkmcnt(1)
	v_mul_f64 v[49:50], v[55:56], v[2:3]
	v_mul_f64 v[57:58], v[53:54], v[2:3]
	s_waitcnt lgkmcnt(0)
	v_mul_f64 v[65:66], v[63:64], v[2:3]
	v_mul_f64 v[69:70], v[61:62], v[2:3]
	v_fma_f64 v[14:15], v[45:46], v[0:1], -v[14:15]
	v_fma_f64 v[16:17], v[47:48], v[0:1], v[16:17]
	v_fma_f64 v[45:46], v[53:54], v[0:1], -v[49:50]
	v_fma_f64 v[47:48], v[55:56], v[0:1], v[57:58]
	;; [unrolled: 2-line block ×3, first 2 shown]
	s_waitcnt vmcnt(2)
	v_add_f64 v[6:7], v[6:7], -v[14:15]
	v_add_f64 v[8:9], v[8:9], -v[16:17]
	s_waitcnt vmcnt(1)
	v_add_f64 v[10:11], v[10:11], -v[45:46]
	v_add_f64 v[12:13], v[12:13], -v[47:48]
	s_waitcnt vmcnt(0)
	v_add_f64 v[41:42], v[41:42], -v[49:50]
	v_add_f64 v[43:44], v[43:44], -v[53:54]
	s_clause 0x2
	scratch_store_b128 off, v[6:9], s7
	scratch_store_b128 off, v[10:13], s9
	;; [unrolled: 1-line block ×3, first 2 shown]
	s_cbranch_scc1 .LBB122_714
.LBB122_715:
	s_or_b32 exec_lo, exec_lo, s2
	s_waitcnt_vscnt null, 0x0
	s_barrier
	buffer_gl0_inv
	scratch_load_b128 v[0:3], v116, off
	v_lshl_add_u32 v4, v39, 4, v20
	s_cmp_lt_i32 s5, 31
	s_waitcnt vmcnt(0)
	ds_store_2addr_b64 v4, v[0:1], v[2:3] offset1:1
	s_waitcnt lgkmcnt(0)
	s_barrier
	buffer_gl0_inv
	ds_load_2addr_b64 v[0:3], v20 offset0:58 offset1:59
	v_mov_b32_e32 v4, 29
	s_cbranch_scc1 .LBB122_718
; %bb.716:
	v_add3_u32 v5, v37, 0, 0x1e0
	v_mov_b32_e32 v4, 29
	s_mov_b32 s6, 30
	s_set_inst_prefetch_distance 0x1
	.p2align	6
.LBB122_717:                            ; =>This Inner Loop Header: Depth=1
	ds_load_2addr_b64 v[6:9], v5 offset1:1
	s_waitcnt lgkmcnt(1)
	v_cmp_gt_f64_e32 vcc_lo, 0, v[0:1]
	v_xor_b32_e32 v10, 0x80000000, v1
	v_cmp_gt_f64_e64 s2, 0, v[2:3]
	v_xor_b32_e32 v12, 0x80000000, v3
	v_add_nc_u32_e32 v5, 16, v5
	s_waitcnt lgkmcnt(0)
	v_cmp_gt_f64_e64 s3, 0, v[6:7]
	v_mov_b32_e32 v14, v6
	v_dual_mov_b32 v16, v8 :: v_dual_cndmask_b32 v11, v1, v10
	v_xor_b32_e32 v10, 0x80000000, v7
	v_cndmask_b32_e64 v13, v3, v12, s2
	v_xor_b32_e32 v12, 0x80000000, v9
	s_delay_alu instid0(VALU_DEP_3) | instskip(SKIP_2) | instid1(VALU_DEP_2)
	v_cndmask_b32_e64 v15, v7, v10, s3
	v_cmp_gt_f64_e64 s3, 0, v[8:9]
	v_cndmask_b32_e32 v10, v0, v0, vcc_lo
	v_cndmask_b32_e64 v17, v9, v12, s3
	v_cndmask_b32_e64 v12, v2, v2, s2
	s_delay_alu instid0(VALU_DEP_2) | instskip(NEXT) | instid1(VALU_DEP_2)
	v_add_f64 v[14:15], v[14:15], v[16:17]
	v_add_f64 v[10:11], v[10:11], v[12:13]
	s_delay_alu instid0(VALU_DEP_1)
	v_cmp_lt_f64_e32 vcc_lo, v[10:11], v[14:15]
	v_cndmask_b32_e32 v3, v3, v9, vcc_lo
	v_dual_cndmask_b32 v1, v1, v7 :: v_dual_cndmask_b32 v0, v0, v6
	v_cndmask_b32_e32 v2, v2, v8, vcc_lo
	v_cndmask_b32_e64 v4, v4, s6, vcc_lo
	s_add_i32 s6, s6, 1
	s_delay_alu instid0(SALU_CYCLE_1)
	s_cmp_lg_u32 s5, s6
	s_cbranch_scc1 .LBB122_717
.LBB122_718:
	s_set_inst_prefetch_distance 0x2
	s_waitcnt lgkmcnt(0)
	v_cmp_eq_f64_e32 vcc_lo, 0, v[0:1]
	v_cmp_eq_f64_e64 s2, 0, v[2:3]
	s_delay_alu instid0(VALU_DEP_1) | instskip(NEXT) | instid1(SALU_CYCLE_1)
	s_and_b32 s2, vcc_lo, s2
	s_and_saveexec_b32 s3, s2
	s_delay_alu instid0(SALU_CYCLE_1)
	s_xor_b32 s2, exec_lo, s3
; %bb.719:
	v_cmp_ne_u32_e32 vcc_lo, 0, v35
	v_cndmask_b32_e32 v35, 30, v35, vcc_lo
; %bb.720:
	s_and_not1_saveexec_b32 s3, s2
	s_cbranch_execz .LBB122_726
; %bb.721:
	v_cmp_gt_f64_e32 vcc_lo, 0, v[0:1]
	v_cmp_gt_f64_e64 s2, 0, v[2:3]
	v_xor_b32_e32 v5, 0x80000000, v1
	v_xor_b32_e32 v7, 0x80000000, v3
	s_delay_alu instid0(VALU_DEP_2) | instskip(NEXT) | instid1(VALU_DEP_2)
	v_dual_cndmask_b32 v6, v1, v5 :: v_dual_cndmask_b32 v5, v0, v0
	v_cndmask_b32_e64 v8, v3, v7, s2
	v_cndmask_b32_e64 v7, v2, v2, s2
	s_mov_b32 s2, exec_lo
	s_delay_alu instid0(VALU_DEP_1)
	v_cmpx_ngt_f64_e32 v[5:6], v[7:8]
	s_xor_b32 s2, exec_lo, s2
	s_cbranch_execz .LBB122_723
; %bb.722:
	v_div_scale_f64 v[5:6], null, v[2:3], v[2:3], v[0:1]
	v_div_scale_f64 v[11:12], vcc_lo, v[0:1], v[2:3], v[0:1]
	s_delay_alu instid0(VALU_DEP_2) | instskip(SKIP_2) | instid1(VALU_DEP_1)
	v_rcp_f64_e32 v[7:8], v[5:6]
	s_waitcnt_depctr 0xfff
	v_fma_f64 v[9:10], -v[5:6], v[7:8], 1.0
	v_fma_f64 v[7:8], v[7:8], v[9:10], v[7:8]
	s_delay_alu instid0(VALU_DEP_1) | instskip(NEXT) | instid1(VALU_DEP_1)
	v_fma_f64 v[9:10], -v[5:6], v[7:8], 1.0
	v_fma_f64 v[7:8], v[7:8], v[9:10], v[7:8]
	s_delay_alu instid0(VALU_DEP_1) | instskip(NEXT) | instid1(VALU_DEP_1)
	v_mul_f64 v[9:10], v[11:12], v[7:8]
	v_fma_f64 v[5:6], -v[5:6], v[9:10], v[11:12]
	s_delay_alu instid0(VALU_DEP_1) | instskip(NEXT) | instid1(VALU_DEP_1)
	v_div_fmas_f64 v[5:6], v[5:6], v[7:8], v[9:10]
	v_div_fixup_f64 v[5:6], v[5:6], v[2:3], v[0:1]
	s_delay_alu instid0(VALU_DEP_1) | instskip(NEXT) | instid1(VALU_DEP_1)
	v_fma_f64 v[0:1], v[0:1], v[5:6], v[2:3]
	v_div_scale_f64 v[2:3], null, v[0:1], v[0:1], 1.0
	s_delay_alu instid0(VALU_DEP_1) | instskip(SKIP_2) | instid1(VALU_DEP_1)
	v_rcp_f64_e32 v[7:8], v[2:3]
	s_waitcnt_depctr 0xfff
	v_fma_f64 v[9:10], -v[2:3], v[7:8], 1.0
	v_fma_f64 v[7:8], v[7:8], v[9:10], v[7:8]
	s_delay_alu instid0(VALU_DEP_1) | instskip(NEXT) | instid1(VALU_DEP_1)
	v_fma_f64 v[9:10], -v[2:3], v[7:8], 1.0
	v_fma_f64 v[7:8], v[7:8], v[9:10], v[7:8]
	v_div_scale_f64 v[9:10], vcc_lo, 1.0, v[0:1], 1.0
	s_delay_alu instid0(VALU_DEP_1) | instskip(NEXT) | instid1(VALU_DEP_1)
	v_mul_f64 v[11:12], v[9:10], v[7:8]
	v_fma_f64 v[2:3], -v[2:3], v[11:12], v[9:10]
	s_delay_alu instid0(VALU_DEP_1) | instskip(NEXT) | instid1(VALU_DEP_1)
	v_div_fmas_f64 v[2:3], v[2:3], v[7:8], v[11:12]
	v_div_fixup_f64 v[2:3], v[2:3], v[0:1], 1.0
	s_delay_alu instid0(VALU_DEP_1)
	v_mul_f64 v[0:1], v[5:6], v[2:3]
	v_xor_b32_e32 v3, 0x80000000, v3
.LBB122_723:
	s_and_not1_saveexec_b32 s2, s2
	s_cbranch_execz .LBB122_725
; %bb.724:
	s_delay_alu instid0(VALU_DEP_1) | instskip(SKIP_1) | instid1(VALU_DEP_2)
	v_div_scale_f64 v[5:6], null, v[0:1], v[0:1], v[2:3]
	v_div_scale_f64 v[11:12], vcc_lo, v[2:3], v[0:1], v[2:3]
	v_rcp_f64_e32 v[7:8], v[5:6]
	s_waitcnt_depctr 0xfff
	v_fma_f64 v[9:10], -v[5:6], v[7:8], 1.0
	s_delay_alu instid0(VALU_DEP_1) | instskip(NEXT) | instid1(VALU_DEP_1)
	v_fma_f64 v[7:8], v[7:8], v[9:10], v[7:8]
	v_fma_f64 v[9:10], -v[5:6], v[7:8], 1.0
	s_delay_alu instid0(VALU_DEP_1) | instskip(NEXT) | instid1(VALU_DEP_1)
	v_fma_f64 v[7:8], v[7:8], v[9:10], v[7:8]
	v_mul_f64 v[9:10], v[11:12], v[7:8]
	s_delay_alu instid0(VALU_DEP_1) | instskip(NEXT) | instid1(VALU_DEP_1)
	v_fma_f64 v[5:6], -v[5:6], v[9:10], v[11:12]
	v_div_fmas_f64 v[5:6], v[5:6], v[7:8], v[9:10]
	s_delay_alu instid0(VALU_DEP_1) | instskip(NEXT) | instid1(VALU_DEP_1)
	v_div_fixup_f64 v[5:6], v[5:6], v[0:1], v[2:3]
	v_fma_f64 v[0:1], v[2:3], v[5:6], v[0:1]
	s_delay_alu instid0(VALU_DEP_1) | instskip(NEXT) | instid1(VALU_DEP_1)
	v_div_scale_f64 v[2:3], null, v[0:1], v[0:1], 1.0
	v_rcp_f64_e32 v[7:8], v[2:3]
	s_waitcnt_depctr 0xfff
	v_fma_f64 v[9:10], -v[2:3], v[7:8], 1.0
	s_delay_alu instid0(VALU_DEP_1) | instskip(NEXT) | instid1(VALU_DEP_1)
	v_fma_f64 v[7:8], v[7:8], v[9:10], v[7:8]
	v_fma_f64 v[9:10], -v[2:3], v[7:8], 1.0
	s_delay_alu instid0(VALU_DEP_1) | instskip(SKIP_1) | instid1(VALU_DEP_1)
	v_fma_f64 v[7:8], v[7:8], v[9:10], v[7:8]
	v_div_scale_f64 v[9:10], vcc_lo, 1.0, v[0:1], 1.0
	v_mul_f64 v[11:12], v[9:10], v[7:8]
	s_delay_alu instid0(VALU_DEP_1) | instskip(NEXT) | instid1(VALU_DEP_1)
	v_fma_f64 v[2:3], -v[2:3], v[11:12], v[9:10]
	v_div_fmas_f64 v[2:3], v[2:3], v[7:8], v[11:12]
	s_delay_alu instid0(VALU_DEP_1) | instskip(NEXT) | instid1(VALU_DEP_1)
	v_div_fixup_f64 v[0:1], v[2:3], v[0:1], 1.0
	v_mul_f64 v[2:3], v[5:6], -v[0:1]
.LBB122_725:
	s_or_b32 exec_lo, exec_lo, s2
.LBB122_726:
	s_delay_alu instid0(SALU_CYCLE_1) | instskip(NEXT) | instid1(SALU_CYCLE_1)
	s_or_b32 exec_lo, exec_lo, s3
	s_mov_b32 s2, exec_lo
	v_cmpx_ne_u32_e64 v39, v4
	s_xor_b32 s2, exec_lo, s2
	s_cbranch_execz .LBB122_732
; %bb.727:
	s_mov_b32 s3, exec_lo
	v_cmpx_eq_u32_e32 29, v39
	s_cbranch_execz .LBB122_731
; %bb.728:
	v_cmp_ne_u32_e32 vcc_lo, 29, v4
	s_xor_b32 s6, s4, -1
	s_delay_alu instid0(SALU_CYCLE_1) | instskip(NEXT) | instid1(SALU_CYCLE_1)
	s_and_b32 s7, s6, vcc_lo
	s_and_saveexec_b32 s6, s7
	s_cbranch_execz .LBB122_730
; %bb.729:
	v_ashrrev_i32_e32 v5, 31, v4
	s_delay_alu instid0(VALU_DEP_1) | instskip(NEXT) | instid1(VALU_DEP_1)
	v_lshlrev_b64 v[5:6], 2, v[4:5]
	v_add_co_u32 v5, vcc_lo, v18, v5
	s_delay_alu instid0(VALU_DEP_2)
	v_add_co_ci_u32_e32 v6, vcc_lo, v19, v6, vcc_lo
	s_clause 0x1
	flat_load_b32 v7, v[5:6]
	flat_load_b32 v8, v[18:19] offset:116
	s_waitcnt vmcnt(1) lgkmcnt(1)
	flat_store_b32 v[18:19], v7 offset:116
	s_waitcnt vmcnt(0) lgkmcnt(1)
	flat_store_b32 v[5:6], v8
.LBB122_730:
	s_or_b32 exec_lo, exec_lo, s6
	v_mov_b32_e32 v39, v4
	v_mov_b32_e32 v38, v4
.LBB122_731:
	s_or_b32 exec_lo, exec_lo, s3
.LBB122_732:
	s_and_not1_saveexec_b32 s2, s2
	s_cbranch_execz .LBB122_734
; %bb.733:
	s_clause 0x1f
	scratch_load_b128 v[4:7], v120, off
	scratch_load_b128 v[8:11], v125, off
	;; [unrolled: 1-line block ×32, first 2 shown]
	v_mov_b32_e32 v39, 29
	s_waitcnt vmcnt(31)
	ds_store_2addr_b64 v20, v[4:5], v[6:7] offset0:60 offset1:61
	s_waitcnt vmcnt(30)
	ds_store_2addr_b64 v20, v[8:9], v[10:11] offset0:62 offset1:63
	;; [unrolled: 2-line block ×32, first 2 shown]
.LBB122_734:
	s_or_b32 exec_lo, exec_lo, s2
	s_delay_alu instid0(SALU_CYCLE_1)
	s_mov_b32 s2, exec_lo
	s_waitcnt lgkmcnt(0)
	s_waitcnt_vscnt null, 0x0
	s_barrier
	buffer_gl0_inv
	v_cmpx_lt_i32_e32 29, v39
	s_cbranch_execz .LBB122_737
; %bb.735:
	scratch_load_b128 v[4:7], off, off offset:464
	s_mov_b32 s3, 0
	s_waitcnt vmcnt(0)
	v_mul_f64 v[8:9], v[2:3], v[6:7]
	v_mul_f64 v[6:7], v[0:1], v[6:7]
	s_delay_alu instid0(VALU_DEP_2) | instskip(NEXT) | instid1(VALU_DEP_2)
	v_fma_f64 v[0:1], v[0:1], v[4:5], -v[8:9]
	v_fma_f64 v[2:3], v[2:3], v[4:5], v[6:7]
	v_add3_u32 v4, v37, 0, 0x1e0
	v_mov_b32_e32 v5, 0
	scratch_store_b128 off, v[0:3], off offset:464
.LBB122_736:                            ; =>This Inner Loop Header: Depth=1
	v_readfirstlane_b32 s6, v5
	v_add_nc_u32_e32 v14, s3, v4
	s_delay_alu instid0(VALU_DEP_2)
	s_add_i32 s6, s6, s3
	s_add_i32 s3, s3, 64
	s_add_i32 s7, s6, 0x1e0
	s_add_i32 s9, s6, 0x1f0
	s_add_i32 s12, s6, 0x200
	s_addk_i32 s6, 0x210
	s_clause 0x3
	scratch_load_b128 v[6:9], off, s7
	scratch_load_b128 v[10:13], off, s9
	;; [unrolled: 1-line block ×4, first 2 shown]
	ds_load_2addr_b64 v[53:56], v14 offset1:1
	ds_load_2addr_b64 v[61:64], v14 offset0:2 offset1:3
	ds_load_2addr_b64 v[69:72], v14 offset0:4 offset1:5
	;; [unrolled: 1-line block ×3, first 2 shown]
	s_cmpk_lg_i32 s3, 0x200
	s_waitcnt lgkmcnt(3)
	v_mul_f64 v[14:15], v[55:56], v[2:3]
	v_mul_f64 v[16:17], v[53:54], v[2:3]
	s_waitcnt lgkmcnt(2)
	v_mul_f64 v[49:50], v[63:64], v[2:3]
	v_mul_f64 v[57:58], v[61:62], v[2:3]
	;; [unrolled: 3-line block ×4, first 2 shown]
	v_fma_f64 v[14:15], v[53:54], v[0:1], -v[14:15]
	v_fma_f64 v[16:17], v[55:56], v[0:1], v[16:17]
	v_fma_f64 v[49:50], v[61:62], v[0:1], -v[49:50]
	v_fma_f64 v[53:54], v[63:64], v[0:1], v[57:58]
	;; [unrolled: 2-line block ×4, first 2 shown]
	s_waitcnt vmcnt(3)
	v_add_f64 v[6:7], v[6:7], -v[14:15]
	v_add_f64 v[8:9], v[8:9], -v[16:17]
	s_waitcnt vmcnt(2)
	v_add_f64 v[10:11], v[10:11], -v[49:50]
	v_add_f64 v[12:13], v[12:13], -v[53:54]
	;; [unrolled: 3-line block ×4, first 2 shown]
	s_clause 0x3
	scratch_store_b128 off, v[6:9], s7
	scratch_store_b128 off, v[10:13], s9
	scratch_store_b128 off, v[41:44], s12
	scratch_store_b128 off, v[45:48], s6
	s_cbranch_scc1 .LBB122_736
.LBB122_737:
	s_or_b32 exec_lo, exec_lo, s2
	s_waitcnt_vscnt null, 0x0
	s_barrier
	buffer_gl0_inv
	scratch_load_b128 v[0:3], v120, off
	v_lshl_add_u32 v4, v39, 4, v20
	s_cmp_lt_i32 s5, 32
	s_waitcnt vmcnt(0)
	ds_store_2addr_b64 v4, v[0:1], v[2:3] offset1:1
	s_waitcnt lgkmcnt(0)
	s_barrier
	buffer_gl0_inv
	ds_load_2addr_b64 v[0:3], v20 offset0:60 offset1:61
	v_mov_b32_e32 v4, 30
	s_cbranch_scc1 .LBB122_740
; %bb.738:
	v_add3_u32 v5, v37, 0, 0x1f0
	v_mov_b32_e32 v4, 30
	s_mov_b32 s6, 31
	s_set_inst_prefetch_distance 0x1
	.p2align	6
.LBB122_739:                            ; =>This Inner Loop Header: Depth=1
	ds_load_2addr_b64 v[6:9], v5 offset1:1
	s_waitcnt lgkmcnt(1)
	v_cmp_gt_f64_e32 vcc_lo, 0, v[0:1]
	v_xor_b32_e32 v10, 0x80000000, v1
	v_cmp_gt_f64_e64 s2, 0, v[2:3]
	v_xor_b32_e32 v12, 0x80000000, v3
	v_add_nc_u32_e32 v5, 16, v5
	s_waitcnt lgkmcnt(0)
	v_cmp_gt_f64_e64 s3, 0, v[6:7]
	v_mov_b32_e32 v14, v6
	v_dual_mov_b32 v16, v8 :: v_dual_cndmask_b32 v11, v1, v10
	v_xor_b32_e32 v10, 0x80000000, v7
	v_cndmask_b32_e64 v13, v3, v12, s2
	v_xor_b32_e32 v12, 0x80000000, v9
	s_delay_alu instid0(VALU_DEP_3) | instskip(SKIP_2) | instid1(VALU_DEP_2)
	v_cndmask_b32_e64 v15, v7, v10, s3
	v_cmp_gt_f64_e64 s3, 0, v[8:9]
	v_cndmask_b32_e32 v10, v0, v0, vcc_lo
	v_cndmask_b32_e64 v17, v9, v12, s3
	v_cndmask_b32_e64 v12, v2, v2, s2
	s_delay_alu instid0(VALU_DEP_2) | instskip(NEXT) | instid1(VALU_DEP_2)
	v_add_f64 v[14:15], v[14:15], v[16:17]
	v_add_f64 v[10:11], v[10:11], v[12:13]
	s_delay_alu instid0(VALU_DEP_1)
	v_cmp_lt_f64_e32 vcc_lo, v[10:11], v[14:15]
	v_cndmask_b32_e32 v3, v3, v9, vcc_lo
	v_dual_cndmask_b32 v1, v1, v7 :: v_dual_cndmask_b32 v0, v0, v6
	v_cndmask_b32_e32 v2, v2, v8, vcc_lo
	v_cndmask_b32_e64 v4, v4, s6, vcc_lo
	s_add_i32 s6, s6, 1
	s_delay_alu instid0(SALU_CYCLE_1)
	s_cmp_lg_u32 s5, s6
	s_cbranch_scc1 .LBB122_739
.LBB122_740:
	s_set_inst_prefetch_distance 0x2
	s_waitcnt lgkmcnt(0)
	v_cmp_eq_f64_e32 vcc_lo, 0, v[0:1]
	v_cmp_eq_f64_e64 s2, 0, v[2:3]
	s_delay_alu instid0(VALU_DEP_1) | instskip(NEXT) | instid1(SALU_CYCLE_1)
	s_and_b32 s2, vcc_lo, s2
	s_and_saveexec_b32 s3, s2
	s_delay_alu instid0(SALU_CYCLE_1)
	s_xor_b32 s2, exec_lo, s3
; %bb.741:
	v_cmp_ne_u32_e32 vcc_lo, 0, v35
	v_cndmask_b32_e32 v35, 31, v35, vcc_lo
; %bb.742:
	s_and_not1_saveexec_b32 s3, s2
	s_cbranch_execz .LBB122_748
; %bb.743:
	v_cmp_gt_f64_e32 vcc_lo, 0, v[0:1]
	v_cmp_gt_f64_e64 s2, 0, v[2:3]
	v_xor_b32_e32 v5, 0x80000000, v1
	v_xor_b32_e32 v7, 0x80000000, v3
	s_delay_alu instid0(VALU_DEP_2) | instskip(NEXT) | instid1(VALU_DEP_2)
	v_dual_cndmask_b32 v6, v1, v5 :: v_dual_cndmask_b32 v5, v0, v0
	v_cndmask_b32_e64 v8, v3, v7, s2
	v_cndmask_b32_e64 v7, v2, v2, s2
	s_mov_b32 s2, exec_lo
	s_delay_alu instid0(VALU_DEP_1)
	v_cmpx_ngt_f64_e32 v[5:6], v[7:8]
	s_xor_b32 s2, exec_lo, s2
	s_cbranch_execz .LBB122_745
; %bb.744:
	v_div_scale_f64 v[5:6], null, v[2:3], v[2:3], v[0:1]
	v_div_scale_f64 v[11:12], vcc_lo, v[0:1], v[2:3], v[0:1]
	s_delay_alu instid0(VALU_DEP_2) | instskip(SKIP_2) | instid1(VALU_DEP_1)
	v_rcp_f64_e32 v[7:8], v[5:6]
	s_waitcnt_depctr 0xfff
	v_fma_f64 v[9:10], -v[5:6], v[7:8], 1.0
	v_fma_f64 v[7:8], v[7:8], v[9:10], v[7:8]
	s_delay_alu instid0(VALU_DEP_1) | instskip(NEXT) | instid1(VALU_DEP_1)
	v_fma_f64 v[9:10], -v[5:6], v[7:8], 1.0
	v_fma_f64 v[7:8], v[7:8], v[9:10], v[7:8]
	s_delay_alu instid0(VALU_DEP_1) | instskip(NEXT) | instid1(VALU_DEP_1)
	v_mul_f64 v[9:10], v[11:12], v[7:8]
	v_fma_f64 v[5:6], -v[5:6], v[9:10], v[11:12]
	s_delay_alu instid0(VALU_DEP_1) | instskip(NEXT) | instid1(VALU_DEP_1)
	v_div_fmas_f64 v[5:6], v[5:6], v[7:8], v[9:10]
	v_div_fixup_f64 v[5:6], v[5:6], v[2:3], v[0:1]
	s_delay_alu instid0(VALU_DEP_1) | instskip(NEXT) | instid1(VALU_DEP_1)
	v_fma_f64 v[0:1], v[0:1], v[5:6], v[2:3]
	v_div_scale_f64 v[2:3], null, v[0:1], v[0:1], 1.0
	s_delay_alu instid0(VALU_DEP_1) | instskip(SKIP_2) | instid1(VALU_DEP_1)
	v_rcp_f64_e32 v[7:8], v[2:3]
	s_waitcnt_depctr 0xfff
	v_fma_f64 v[9:10], -v[2:3], v[7:8], 1.0
	v_fma_f64 v[7:8], v[7:8], v[9:10], v[7:8]
	s_delay_alu instid0(VALU_DEP_1) | instskip(NEXT) | instid1(VALU_DEP_1)
	v_fma_f64 v[9:10], -v[2:3], v[7:8], 1.0
	v_fma_f64 v[7:8], v[7:8], v[9:10], v[7:8]
	v_div_scale_f64 v[9:10], vcc_lo, 1.0, v[0:1], 1.0
	s_delay_alu instid0(VALU_DEP_1) | instskip(NEXT) | instid1(VALU_DEP_1)
	v_mul_f64 v[11:12], v[9:10], v[7:8]
	v_fma_f64 v[2:3], -v[2:3], v[11:12], v[9:10]
	s_delay_alu instid0(VALU_DEP_1) | instskip(NEXT) | instid1(VALU_DEP_1)
	v_div_fmas_f64 v[2:3], v[2:3], v[7:8], v[11:12]
	v_div_fixup_f64 v[2:3], v[2:3], v[0:1], 1.0
	s_delay_alu instid0(VALU_DEP_1)
	v_mul_f64 v[0:1], v[5:6], v[2:3]
	v_xor_b32_e32 v3, 0x80000000, v3
.LBB122_745:
	s_and_not1_saveexec_b32 s2, s2
	s_cbranch_execz .LBB122_747
; %bb.746:
	s_delay_alu instid0(VALU_DEP_1) | instskip(SKIP_1) | instid1(VALU_DEP_2)
	v_div_scale_f64 v[5:6], null, v[0:1], v[0:1], v[2:3]
	v_div_scale_f64 v[11:12], vcc_lo, v[2:3], v[0:1], v[2:3]
	v_rcp_f64_e32 v[7:8], v[5:6]
	s_waitcnt_depctr 0xfff
	v_fma_f64 v[9:10], -v[5:6], v[7:8], 1.0
	s_delay_alu instid0(VALU_DEP_1) | instskip(NEXT) | instid1(VALU_DEP_1)
	v_fma_f64 v[7:8], v[7:8], v[9:10], v[7:8]
	v_fma_f64 v[9:10], -v[5:6], v[7:8], 1.0
	s_delay_alu instid0(VALU_DEP_1) | instskip(NEXT) | instid1(VALU_DEP_1)
	v_fma_f64 v[7:8], v[7:8], v[9:10], v[7:8]
	v_mul_f64 v[9:10], v[11:12], v[7:8]
	s_delay_alu instid0(VALU_DEP_1) | instskip(NEXT) | instid1(VALU_DEP_1)
	v_fma_f64 v[5:6], -v[5:6], v[9:10], v[11:12]
	v_div_fmas_f64 v[5:6], v[5:6], v[7:8], v[9:10]
	s_delay_alu instid0(VALU_DEP_1) | instskip(NEXT) | instid1(VALU_DEP_1)
	v_div_fixup_f64 v[5:6], v[5:6], v[0:1], v[2:3]
	v_fma_f64 v[0:1], v[2:3], v[5:6], v[0:1]
	s_delay_alu instid0(VALU_DEP_1) | instskip(NEXT) | instid1(VALU_DEP_1)
	v_div_scale_f64 v[2:3], null, v[0:1], v[0:1], 1.0
	v_rcp_f64_e32 v[7:8], v[2:3]
	s_waitcnt_depctr 0xfff
	v_fma_f64 v[9:10], -v[2:3], v[7:8], 1.0
	s_delay_alu instid0(VALU_DEP_1) | instskip(NEXT) | instid1(VALU_DEP_1)
	v_fma_f64 v[7:8], v[7:8], v[9:10], v[7:8]
	v_fma_f64 v[9:10], -v[2:3], v[7:8], 1.0
	s_delay_alu instid0(VALU_DEP_1) | instskip(SKIP_1) | instid1(VALU_DEP_1)
	v_fma_f64 v[7:8], v[7:8], v[9:10], v[7:8]
	v_div_scale_f64 v[9:10], vcc_lo, 1.0, v[0:1], 1.0
	v_mul_f64 v[11:12], v[9:10], v[7:8]
	s_delay_alu instid0(VALU_DEP_1) | instskip(NEXT) | instid1(VALU_DEP_1)
	v_fma_f64 v[2:3], -v[2:3], v[11:12], v[9:10]
	v_div_fmas_f64 v[2:3], v[2:3], v[7:8], v[11:12]
	s_delay_alu instid0(VALU_DEP_1) | instskip(NEXT) | instid1(VALU_DEP_1)
	v_div_fixup_f64 v[0:1], v[2:3], v[0:1], 1.0
	v_mul_f64 v[2:3], v[5:6], -v[0:1]
.LBB122_747:
	s_or_b32 exec_lo, exec_lo, s2
.LBB122_748:
	s_delay_alu instid0(SALU_CYCLE_1) | instskip(NEXT) | instid1(SALU_CYCLE_1)
	s_or_b32 exec_lo, exec_lo, s3
	s_mov_b32 s2, exec_lo
	v_cmpx_ne_u32_e64 v39, v4
	s_xor_b32 s2, exec_lo, s2
	s_cbranch_execz .LBB122_754
; %bb.749:
	s_mov_b32 s3, exec_lo
	v_cmpx_eq_u32_e32 30, v39
	s_cbranch_execz .LBB122_753
; %bb.750:
	v_cmp_ne_u32_e32 vcc_lo, 30, v4
	s_xor_b32 s6, s4, -1
	s_delay_alu instid0(SALU_CYCLE_1) | instskip(NEXT) | instid1(SALU_CYCLE_1)
	s_and_b32 s7, s6, vcc_lo
	s_and_saveexec_b32 s6, s7
	s_cbranch_execz .LBB122_752
; %bb.751:
	v_ashrrev_i32_e32 v5, 31, v4
	s_delay_alu instid0(VALU_DEP_1) | instskip(NEXT) | instid1(VALU_DEP_1)
	v_lshlrev_b64 v[5:6], 2, v[4:5]
	v_add_co_u32 v5, vcc_lo, v18, v5
	s_delay_alu instid0(VALU_DEP_2)
	v_add_co_ci_u32_e32 v6, vcc_lo, v19, v6, vcc_lo
	s_clause 0x1
	flat_load_b32 v7, v[5:6]
	flat_load_b32 v8, v[18:19] offset:120
	s_waitcnt vmcnt(1) lgkmcnt(1)
	flat_store_b32 v[18:19], v7 offset:120
	s_waitcnt vmcnt(0) lgkmcnt(1)
	flat_store_b32 v[5:6], v8
.LBB122_752:
	s_or_b32 exec_lo, exec_lo, s6
	v_mov_b32_e32 v39, v4
	v_mov_b32_e32 v38, v4
.LBB122_753:
	s_or_b32 exec_lo, exec_lo, s3
.LBB122_754:
	s_and_not1_saveexec_b32 s2, s2
	s_cbranch_execz .LBB122_756
; %bb.755:
	s_clause 0x1e
	scratch_load_b128 v[4:7], v125, off
	scratch_load_b128 v[8:11], v124, off
	;; [unrolled: 1-line block ×31, first 2 shown]
	v_mov_b32_e32 v39, 30
	s_waitcnt vmcnt(30)
	ds_store_2addr_b64 v20, v[4:5], v[6:7] offset0:62 offset1:63
	s_waitcnt vmcnt(29)
	ds_store_2addr_b64 v20, v[8:9], v[10:11] offset0:64 offset1:65
	;; [unrolled: 2-line block ×31, first 2 shown]
.LBB122_756:
	s_or_b32 exec_lo, exec_lo, s2
	s_delay_alu instid0(SALU_CYCLE_1)
	s_mov_b32 s2, exec_lo
	s_waitcnt lgkmcnt(0)
	s_waitcnt_vscnt null, 0x0
	s_barrier
	buffer_gl0_inv
	v_cmpx_lt_i32_e32 30, v39
	s_cbranch_execz .LBB122_761
; %bb.757:
	scratch_load_b128 v[4:7], off, off offset:480
	s_mov_b32 s3, 0
	s_waitcnt vmcnt(0)
	v_mul_f64 v[8:9], v[2:3], v[6:7]
	v_mul_f64 v[6:7], v[0:1], v[6:7]
	s_delay_alu instid0(VALU_DEP_2) | instskip(NEXT) | instid1(VALU_DEP_2)
	v_fma_f64 v[0:1], v[0:1], v[4:5], -v[8:9]
	v_fma_f64 v[2:3], v[2:3], v[4:5], v[6:7]
	v_add3_u32 v4, v37, 0, 0x1f0
	v_mov_b32_e32 v5, 0
	scratch_store_b128 off, v[0:3], off offset:480
	s_branch .LBB122_759
.LBB122_758:                            ;   in Loop: Header=BB122_759 Depth=1
	s_and_not1_b32 vcc_lo, exec_lo, s7
	s_cbranch_vccz .LBB122_761
.LBB122_759:                            ; =>This Inner Loop Header: Depth=1
	v_readfirstlane_b32 s6, v5
	v_add_nc_u32_e32 v6, s3, v4
	s_mov_b32 s7, -1
	s_delay_alu instid0(VALU_DEP_2) | instskip(NEXT) | instid1(SALU_CYCLE_1)
	s_add_i32 s6, s6, s3
	s_add_i32 s9, s6, 0x1f0
	;; [unrolled: 1-line block ×3, first 2 shown]
	scratch_load_b128 v[7:10], off, s9
	s_add_i32 s14, s6, 0x210
	s_clause 0x1
	scratch_load_b128 v[11:14], off, s12
	scratch_load_b128 v[41:44], off, s14
	ds_load_2addr_b64 v[45:48], v6 offset1:1
	ds_load_2addr_b64 v[53:56], v6 offset0:2 offset1:3
	ds_load_2addr_b64 v[61:64], v6 offset0:4 offset1:5
	s_cmpk_eq_i32 s3, 0x1c0
	s_waitcnt lgkmcnt(2)
	v_mul_f64 v[15:16], v[47:48], v[2:3]
	v_mul_f64 v[49:50], v[45:46], v[2:3]
	s_waitcnt lgkmcnt(1)
	v_mul_f64 v[57:58], v[55:56], v[2:3]
	v_mul_f64 v[65:66], v[53:54], v[2:3]
	;; [unrolled: 3-line block ×3, first 2 shown]
	v_fma_f64 v[15:16], v[45:46], v[0:1], -v[15:16]
	v_fma_f64 v[45:46], v[47:48], v[0:1], v[49:50]
	v_fma_f64 v[47:48], v[53:54], v[0:1], -v[57:58]
	v_fma_f64 v[49:50], v[55:56], v[0:1], v[65:66]
	;; [unrolled: 2-line block ×3, first 2 shown]
	s_waitcnt vmcnt(2)
	v_add_f64 v[7:8], v[7:8], -v[15:16]
	v_add_f64 v[9:10], v[9:10], -v[45:46]
	s_waitcnt vmcnt(1)
	v_add_f64 v[11:12], v[11:12], -v[47:48]
	v_add_f64 v[13:14], v[13:14], -v[49:50]
	;; [unrolled: 3-line block ×3, first 2 shown]
	s_clause 0x2
	scratch_store_b128 off, v[7:10], s9
	scratch_store_b128 off, v[11:14], s12
	;; [unrolled: 1-line block ×3, first 2 shown]
	s_cbranch_scc1 .LBB122_758
; %bb.760:                              ;   in Loop: Header=BB122_759 Depth=1
	s_addk_i32 s6, 0x220
	ds_load_2addr_b64 v[11:14], v6 offset0:6 offset1:7
	scratch_load_b128 v[7:10], off, s6
	s_add_i32 s3, s3, 64
	s_mov_b32 s7, 0
	s_waitcnt lgkmcnt(0)
	v_mul_f64 v[15:16], v[13:14], v[2:3]
	v_mul_f64 v[41:42], v[11:12], v[2:3]
	s_delay_alu instid0(VALU_DEP_2) | instskip(NEXT) | instid1(VALU_DEP_2)
	v_fma_f64 v[11:12], v[11:12], v[0:1], -v[15:16]
	v_fma_f64 v[13:14], v[13:14], v[0:1], v[41:42]
	s_waitcnt vmcnt(0)
	s_delay_alu instid0(VALU_DEP_2) | instskip(NEXT) | instid1(VALU_DEP_2)
	v_add_f64 v[6:7], v[7:8], -v[11:12]
	v_add_f64 v[8:9], v[9:10], -v[13:14]
	scratch_store_b128 off, v[6:9], s6
	s_branch .LBB122_758
.LBB122_761:
	s_or_b32 exec_lo, exec_lo, s2
	s_waitcnt_vscnt null, 0x0
	s_barrier
	buffer_gl0_inv
	scratch_load_b128 v[0:3], v125, off
	v_lshl_add_u32 v4, v39, 4, v20
	s_cmp_lt_i32 s5, 33
	s_waitcnt vmcnt(0)
	ds_store_2addr_b64 v4, v[0:1], v[2:3] offset1:1
	s_waitcnt lgkmcnt(0)
	s_barrier
	buffer_gl0_inv
	ds_load_2addr_b64 v[0:3], v20 offset0:62 offset1:63
	v_mov_b32_e32 v4, 31
	s_cbranch_scc1 .LBB122_764
; %bb.762:
	v_add3_u32 v5, v37, 0, 0x200
	v_mov_b32_e32 v4, 31
	s_mov_b32 s6, 32
	s_set_inst_prefetch_distance 0x1
	.p2align	6
.LBB122_763:                            ; =>This Inner Loop Header: Depth=1
	ds_load_2addr_b64 v[6:9], v5 offset1:1
	s_waitcnt lgkmcnt(1)
	v_cmp_gt_f64_e32 vcc_lo, 0, v[0:1]
	v_xor_b32_e32 v10, 0x80000000, v1
	v_cmp_gt_f64_e64 s2, 0, v[2:3]
	v_xor_b32_e32 v12, 0x80000000, v3
	v_add_nc_u32_e32 v5, 16, v5
	s_waitcnt lgkmcnt(0)
	v_cmp_gt_f64_e64 s3, 0, v[6:7]
	v_mov_b32_e32 v14, v6
	v_dual_mov_b32 v16, v8 :: v_dual_cndmask_b32 v11, v1, v10
	v_xor_b32_e32 v10, 0x80000000, v7
	v_cndmask_b32_e64 v13, v3, v12, s2
	v_xor_b32_e32 v12, 0x80000000, v9
	s_delay_alu instid0(VALU_DEP_3) | instskip(SKIP_2) | instid1(VALU_DEP_2)
	v_cndmask_b32_e64 v15, v7, v10, s3
	v_cmp_gt_f64_e64 s3, 0, v[8:9]
	v_cndmask_b32_e32 v10, v0, v0, vcc_lo
	v_cndmask_b32_e64 v17, v9, v12, s3
	v_cndmask_b32_e64 v12, v2, v2, s2
	s_delay_alu instid0(VALU_DEP_2) | instskip(NEXT) | instid1(VALU_DEP_2)
	v_add_f64 v[14:15], v[14:15], v[16:17]
	v_add_f64 v[10:11], v[10:11], v[12:13]
	s_delay_alu instid0(VALU_DEP_1)
	v_cmp_lt_f64_e32 vcc_lo, v[10:11], v[14:15]
	v_cndmask_b32_e32 v3, v3, v9, vcc_lo
	v_dual_cndmask_b32 v1, v1, v7 :: v_dual_cndmask_b32 v0, v0, v6
	v_cndmask_b32_e32 v2, v2, v8, vcc_lo
	v_cndmask_b32_e64 v4, v4, s6, vcc_lo
	s_add_i32 s6, s6, 1
	s_delay_alu instid0(SALU_CYCLE_1)
	s_cmp_lg_u32 s5, s6
	s_cbranch_scc1 .LBB122_763
.LBB122_764:
	s_set_inst_prefetch_distance 0x2
	s_waitcnt lgkmcnt(0)
	v_cmp_eq_f64_e32 vcc_lo, 0, v[0:1]
	v_cmp_eq_f64_e64 s2, 0, v[2:3]
	s_delay_alu instid0(VALU_DEP_1) | instskip(NEXT) | instid1(SALU_CYCLE_1)
	s_and_b32 s2, vcc_lo, s2
	s_and_saveexec_b32 s3, s2
	s_delay_alu instid0(SALU_CYCLE_1)
	s_xor_b32 s2, exec_lo, s3
; %bb.765:
	v_cmp_ne_u32_e32 vcc_lo, 0, v35
	v_cndmask_b32_e32 v35, 32, v35, vcc_lo
; %bb.766:
	s_and_not1_saveexec_b32 s3, s2
	s_cbranch_execz .LBB122_772
; %bb.767:
	v_cmp_gt_f64_e32 vcc_lo, 0, v[0:1]
	v_cmp_gt_f64_e64 s2, 0, v[2:3]
	v_xor_b32_e32 v5, 0x80000000, v1
	v_xor_b32_e32 v7, 0x80000000, v3
	s_delay_alu instid0(VALU_DEP_2) | instskip(NEXT) | instid1(VALU_DEP_2)
	v_dual_cndmask_b32 v6, v1, v5 :: v_dual_cndmask_b32 v5, v0, v0
	v_cndmask_b32_e64 v8, v3, v7, s2
	v_cndmask_b32_e64 v7, v2, v2, s2
	s_mov_b32 s2, exec_lo
	s_delay_alu instid0(VALU_DEP_1)
	v_cmpx_ngt_f64_e32 v[5:6], v[7:8]
	s_xor_b32 s2, exec_lo, s2
	s_cbranch_execz .LBB122_769
; %bb.768:
	v_div_scale_f64 v[5:6], null, v[2:3], v[2:3], v[0:1]
	v_div_scale_f64 v[11:12], vcc_lo, v[0:1], v[2:3], v[0:1]
	s_delay_alu instid0(VALU_DEP_2) | instskip(SKIP_2) | instid1(VALU_DEP_1)
	v_rcp_f64_e32 v[7:8], v[5:6]
	s_waitcnt_depctr 0xfff
	v_fma_f64 v[9:10], -v[5:6], v[7:8], 1.0
	v_fma_f64 v[7:8], v[7:8], v[9:10], v[7:8]
	s_delay_alu instid0(VALU_DEP_1) | instskip(NEXT) | instid1(VALU_DEP_1)
	v_fma_f64 v[9:10], -v[5:6], v[7:8], 1.0
	v_fma_f64 v[7:8], v[7:8], v[9:10], v[7:8]
	s_delay_alu instid0(VALU_DEP_1) | instskip(NEXT) | instid1(VALU_DEP_1)
	v_mul_f64 v[9:10], v[11:12], v[7:8]
	v_fma_f64 v[5:6], -v[5:6], v[9:10], v[11:12]
	s_delay_alu instid0(VALU_DEP_1) | instskip(NEXT) | instid1(VALU_DEP_1)
	v_div_fmas_f64 v[5:6], v[5:6], v[7:8], v[9:10]
	v_div_fixup_f64 v[5:6], v[5:6], v[2:3], v[0:1]
	s_delay_alu instid0(VALU_DEP_1) | instskip(NEXT) | instid1(VALU_DEP_1)
	v_fma_f64 v[0:1], v[0:1], v[5:6], v[2:3]
	v_div_scale_f64 v[2:3], null, v[0:1], v[0:1], 1.0
	s_delay_alu instid0(VALU_DEP_1) | instskip(SKIP_2) | instid1(VALU_DEP_1)
	v_rcp_f64_e32 v[7:8], v[2:3]
	s_waitcnt_depctr 0xfff
	v_fma_f64 v[9:10], -v[2:3], v[7:8], 1.0
	v_fma_f64 v[7:8], v[7:8], v[9:10], v[7:8]
	s_delay_alu instid0(VALU_DEP_1) | instskip(NEXT) | instid1(VALU_DEP_1)
	v_fma_f64 v[9:10], -v[2:3], v[7:8], 1.0
	v_fma_f64 v[7:8], v[7:8], v[9:10], v[7:8]
	v_div_scale_f64 v[9:10], vcc_lo, 1.0, v[0:1], 1.0
	s_delay_alu instid0(VALU_DEP_1) | instskip(NEXT) | instid1(VALU_DEP_1)
	v_mul_f64 v[11:12], v[9:10], v[7:8]
	v_fma_f64 v[2:3], -v[2:3], v[11:12], v[9:10]
	s_delay_alu instid0(VALU_DEP_1) | instskip(NEXT) | instid1(VALU_DEP_1)
	v_div_fmas_f64 v[2:3], v[2:3], v[7:8], v[11:12]
	v_div_fixup_f64 v[2:3], v[2:3], v[0:1], 1.0
	s_delay_alu instid0(VALU_DEP_1)
	v_mul_f64 v[0:1], v[5:6], v[2:3]
	v_xor_b32_e32 v3, 0x80000000, v3
.LBB122_769:
	s_and_not1_saveexec_b32 s2, s2
	s_cbranch_execz .LBB122_771
; %bb.770:
	s_delay_alu instid0(VALU_DEP_1) | instskip(SKIP_1) | instid1(VALU_DEP_2)
	v_div_scale_f64 v[5:6], null, v[0:1], v[0:1], v[2:3]
	v_div_scale_f64 v[11:12], vcc_lo, v[2:3], v[0:1], v[2:3]
	v_rcp_f64_e32 v[7:8], v[5:6]
	s_waitcnt_depctr 0xfff
	v_fma_f64 v[9:10], -v[5:6], v[7:8], 1.0
	s_delay_alu instid0(VALU_DEP_1) | instskip(NEXT) | instid1(VALU_DEP_1)
	v_fma_f64 v[7:8], v[7:8], v[9:10], v[7:8]
	v_fma_f64 v[9:10], -v[5:6], v[7:8], 1.0
	s_delay_alu instid0(VALU_DEP_1) | instskip(NEXT) | instid1(VALU_DEP_1)
	v_fma_f64 v[7:8], v[7:8], v[9:10], v[7:8]
	v_mul_f64 v[9:10], v[11:12], v[7:8]
	s_delay_alu instid0(VALU_DEP_1) | instskip(NEXT) | instid1(VALU_DEP_1)
	v_fma_f64 v[5:6], -v[5:6], v[9:10], v[11:12]
	v_div_fmas_f64 v[5:6], v[5:6], v[7:8], v[9:10]
	s_delay_alu instid0(VALU_DEP_1) | instskip(NEXT) | instid1(VALU_DEP_1)
	v_div_fixup_f64 v[5:6], v[5:6], v[0:1], v[2:3]
	v_fma_f64 v[0:1], v[2:3], v[5:6], v[0:1]
	s_delay_alu instid0(VALU_DEP_1) | instskip(NEXT) | instid1(VALU_DEP_1)
	v_div_scale_f64 v[2:3], null, v[0:1], v[0:1], 1.0
	v_rcp_f64_e32 v[7:8], v[2:3]
	s_waitcnt_depctr 0xfff
	v_fma_f64 v[9:10], -v[2:3], v[7:8], 1.0
	s_delay_alu instid0(VALU_DEP_1) | instskip(NEXT) | instid1(VALU_DEP_1)
	v_fma_f64 v[7:8], v[7:8], v[9:10], v[7:8]
	v_fma_f64 v[9:10], -v[2:3], v[7:8], 1.0
	s_delay_alu instid0(VALU_DEP_1) | instskip(SKIP_1) | instid1(VALU_DEP_1)
	v_fma_f64 v[7:8], v[7:8], v[9:10], v[7:8]
	v_div_scale_f64 v[9:10], vcc_lo, 1.0, v[0:1], 1.0
	v_mul_f64 v[11:12], v[9:10], v[7:8]
	s_delay_alu instid0(VALU_DEP_1) | instskip(NEXT) | instid1(VALU_DEP_1)
	v_fma_f64 v[2:3], -v[2:3], v[11:12], v[9:10]
	v_div_fmas_f64 v[2:3], v[2:3], v[7:8], v[11:12]
	s_delay_alu instid0(VALU_DEP_1) | instskip(NEXT) | instid1(VALU_DEP_1)
	v_div_fixup_f64 v[0:1], v[2:3], v[0:1], 1.0
	v_mul_f64 v[2:3], v[5:6], -v[0:1]
.LBB122_771:
	s_or_b32 exec_lo, exec_lo, s2
.LBB122_772:
	s_delay_alu instid0(SALU_CYCLE_1) | instskip(NEXT) | instid1(SALU_CYCLE_1)
	s_or_b32 exec_lo, exec_lo, s3
	s_mov_b32 s2, exec_lo
	v_cmpx_ne_u32_e64 v39, v4
	s_xor_b32 s2, exec_lo, s2
	s_cbranch_execz .LBB122_778
; %bb.773:
	s_mov_b32 s3, exec_lo
	v_cmpx_eq_u32_e32 31, v39
	s_cbranch_execz .LBB122_777
; %bb.774:
	v_cmp_ne_u32_e32 vcc_lo, 31, v4
	s_xor_b32 s6, s4, -1
	s_delay_alu instid0(SALU_CYCLE_1) | instskip(NEXT) | instid1(SALU_CYCLE_1)
	s_and_b32 s7, s6, vcc_lo
	s_and_saveexec_b32 s6, s7
	s_cbranch_execz .LBB122_776
; %bb.775:
	v_ashrrev_i32_e32 v5, 31, v4
	s_delay_alu instid0(VALU_DEP_1) | instskip(NEXT) | instid1(VALU_DEP_1)
	v_lshlrev_b64 v[5:6], 2, v[4:5]
	v_add_co_u32 v5, vcc_lo, v18, v5
	s_delay_alu instid0(VALU_DEP_2)
	v_add_co_ci_u32_e32 v6, vcc_lo, v19, v6, vcc_lo
	s_clause 0x1
	flat_load_b32 v7, v[5:6]
	flat_load_b32 v8, v[18:19] offset:124
	s_waitcnt vmcnt(1) lgkmcnt(1)
	flat_store_b32 v[18:19], v7 offset:124
	s_waitcnt vmcnt(0) lgkmcnt(1)
	flat_store_b32 v[5:6], v8
.LBB122_776:
	s_or_b32 exec_lo, exec_lo, s6
	v_mov_b32_e32 v39, v4
	v_mov_b32_e32 v38, v4
.LBB122_777:
	s_or_b32 exec_lo, exec_lo, s3
.LBB122_778:
	s_and_not1_saveexec_b32 s2, s2
	s_cbranch_execz .LBB122_780
; %bb.779:
	s_clause 0x1d
	scratch_load_b128 v[4:7], v124, off
	scratch_load_b128 v[8:11], v132, off
	;; [unrolled: 1-line block ×30, first 2 shown]
	v_mov_b32_e32 v39, 31
	s_waitcnt vmcnt(29)
	ds_store_2addr_b64 v20, v[4:5], v[6:7] offset0:64 offset1:65
	s_waitcnt vmcnt(28)
	ds_store_2addr_b64 v20, v[8:9], v[10:11] offset0:66 offset1:67
	;; [unrolled: 2-line block ×30, first 2 shown]
.LBB122_780:
	s_or_b32 exec_lo, exec_lo, s2
	s_delay_alu instid0(SALU_CYCLE_1)
	s_mov_b32 s2, exec_lo
	s_waitcnt lgkmcnt(0)
	s_waitcnt_vscnt null, 0x0
	s_barrier
	buffer_gl0_inv
	v_cmpx_lt_i32_e32 31, v39
	s_cbranch_execz .LBB122_783
; %bb.781:
	scratch_load_b128 v[4:7], off, off offset:496
	s_mov_b32 s3, 0
	s_waitcnt vmcnt(0)
	v_mul_f64 v[8:9], v[2:3], v[6:7]
	v_mul_f64 v[6:7], v[0:1], v[6:7]
	s_delay_alu instid0(VALU_DEP_2) | instskip(NEXT) | instid1(VALU_DEP_2)
	v_fma_f64 v[0:1], v[0:1], v[4:5], -v[8:9]
	v_fma_f64 v[2:3], v[2:3], v[4:5], v[6:7]
	v_add3_u32 v4, v37, 0, 0x200
	v_mov_b32_e32 v5, 0
	scratch_store_b128 off, v[0:3], off offset:496
.LBB122_782:                            ; =>This Inner Loop Header: Depth=1
	v_readfirstlane_b32 s6, v5
	v_add_nc_u32_e32 v14, s3, v4
	s_delay_alu instid0(VALU_DEP_2)
	s_add_i32 s7, s6, s3
	s_addk_i32 s3, 0x60
	s_add_i32 s6, s7, 0x200
	s_add_i32 s9, s7, 0x210
	;; [unrolled: 1-line block ×5, first 2 shown]
	s_addk_i32 s7, 0x250
	s_clause 0x5
	scratch_load_b128 v[6:9], off, s6
	scratch_load_b128 v[10:13], off, s9
	;; [unrolled: 1-line block ×6, first 2 shown]
	ds_load_2addr_b64 v[69:72], v14 offset1:1
	ds_load_2addr_b64 v[77:80], v14 offset0:2 offset1:3
	ds_load_2addr_b64 v[85:88], v14 offset0:4 offset1:5
	;; [unrolled: 1-line block ×5, first 2 shown]
	s_cmpk_lg_i32 s3, 0x1e0
	s_waitcnt lgkmcnt(5)
	v_mul_f64 v[14:15], v[71:72], v[2:3]
	v_mul_f64 v[16:17], v[69:70], v[2:3]
	s_waitcnt lgkmcnt(4)
	v_mul_f64 v[49:50], v[79:80], v[2:3]
	v_mul_f64 v[57:58], v[77:78], v[2:3]
	;; [unrolled: 3-line block ×6, first 2 shown]
	v_fma_f64 v[14:15], v[69:70], v[0:1], -v[14:15]
	v_fma_f64 v[16:17], v[71:72], v[0:1], v[16:17]
	v_fma_f64 v[49:50], v[77:78], v[0:1], -v[49:50]
	v_fma_f64 v[57:58], v[79:80], v[0:1], v[57:58]
	;; [unrolled: 2-line block ×6, first 2 shown]
	s_waitcnt vmcnt(5)
	v_add_f64 v[6:7], v[6:7], -v[14:15]
	v_add_f64 v[8:9], v[8:9], -v[16:17]
	s_waitcnt vmcnt(4)
	v_add_f64 v[10:11], v[10:11], -v[49:50]
	v_add_f64 v[12:13], v[12:13], -v[57:58]
	;; [unrolled: 3-line block ×6, first 2 shown]
	s_clause 0x5
	scratch_store_b128 off, v[6:9], s6
	scratch_store_b128 off, v[10:13], s9
	;; [unrolled: 1-line block ×6, first 2 shown]
	s_cbranch_scc1 .LBB122_782
.LBB122_783:
	s_or_b32 exec_lo, exec_lo, s2
	s_waitcnt_vscnt null, 0x0
	s_barrier
	buffer_gl0_inv
	scratch_load_b128 v[0:3], v124, off
	v_lshl_add_u32 v4, v39, 4, v20
	s_cmp_lt_i32 s5, 34
	s_waitcnt vmcnt(0)
	ds_store_2addr_b64 v4, v[0:1], v[2:3] offset1:1
	s_waitcnt lgkmcnt(0)
	s_barrier
	buffer_gl0_inv
	ds_load_2addr_b64 v[0:3], v20 offset0:64 offset1:65
	v_mov_b32_e32 v4, 32
	s_cbranch_scc1 .LBB122_786
; %bb.784:
	v_add3_u32 v5, v37, 0, 0x210
	v_mov_b32_e32 v4, 32
	s_mov_b32 s6, 33
	s_set_inst_prefetch_distance 0x1
	.p2align	6
.LBB122_785:                            ; =>This Inner Loop Header: Depth=1
	ds_load_2addr_b64 v[6:9], v5 offset1:1
	s_waitcnt lgkmcnt(1)
	v_cmp_gt_f64_e32 vcc_lo, 0, v[0:1]
	v_xor_b32_e32 v10, 0x80000000, v1
	v_cmp_gt_f64_e64 s2, 0, v[2:3]
	v_xor_b32_e32 v12, 0x80000000, v3
	v_add_nc_u32_e32 v5, 16, v5
	s_waitcnt lgkmcnt(0)
	v_cmp_gt_f64_e64 s3, 0, v[6:7]
	v_mov_b32_e32 v14, v6
	v_dual_mov_b32 v16, v8 :: v_dual_cndmask_b32 v11, v1, v10
	v_xor_b32_e32 v10, 0x80000000, v7
	v_cndmask_b32_e64 v13, v3, v12, s2
	v_xor_b32_e32 v12, 0x80000000, v9
	s_delay_alu instid0(VALU_DEP_3) | instskip(SKIP_2) | instid1(VALU_DEP_2)
	v_cndmask_b32_e64 v15, v7, v10, s3
	v_cmp_gt_f64_e64 s3, 0, v[8:9]
	v_cndmask_b32_e32 v10, v0, v0, vcc_lo
	v_cndmask_b32_e64 v17, v9, v12, s3
	v_cndmask_b32_e64 v12, v2, v2, s2
	s_delay_alu instid0(VALU_DEP_2) | instskip(NEXT) | instid1(VALU_DEP_2)
	v_add_f64 v[14:15], v[14:15], v[16:17]
	v_add_f64 v[10:11], v[10:11], v[12:13]
	s_delay_alu instid0(VALU_DEP_1)
	v_cmp_lt_f64_e32 vcc_lo, v[10:11], v[14:15]
	v_cndmask_b32_e32 v3, v3, v9, vcc_lo
	v_dual_cndmask_b32 v1, v1, v7 :: v_dual_cndmask_b32 v0, v0, v6
	v_cndmask_b32_e32 v2, v2, v8, vcc_lo
	v_cndmask_b32_e64 v4, v4, s6, vcc_lo
	s_add_i32 s6, s6, 1
	s_delay_alu instid0(SALU_CYCLE_1)
	s_cmp_lg_u32 s5, s6
	s_cbranch_scc1 .LBB122_785
.LBB122_786:
	s_set_inst_prefetch_distance 0x2
	s_waitcnt lgkmcnt(0)
	v_cmp_eq_f64_e32 vcc_lo, 0, v[0:1]
	v_cmp_eq_f64_e64 s2, 0, v[2:3]
	s_delay_alu instid0(VALU_DEP_1) | instskip(NEXT) | instid1(SALU_CYCLE_1)
	s_and_b32 s2, vcc_lo, s2
	s_and_saveexec_b32 s3, s2
	s_delay_alu instid0(SALU_CYCLE_1)
	s_xor_b32 s2, exec_lo, s3
; %bb.787:
	v_cmp_ne_u32_e32 vcc_lo, 0, v35
	v_cndmask_b32_e32 v35, 33, v35, vcc_lo
; %bb.788:
	s_and_not1_saveexec_b32 s3, s2
	s_cbranch_execz .LBB122_794
; %bb.789:
	v_cmp_gt_f64_e32 vcc_lo, 0, v[0:1]
	v_cmp_gt_f64_e64 s2, 0, v[2:3]
	v_xor_b32_e32 v5, 0x80000000, v1
	v_xor_b32_e32 v7, 0x80000000, v3
	s_delay_alu instid0(VALU_DEP_2) | instskip(NEXT) | instid1(VALU_DEP_2)
	v_dual_cndmask_b32 v6, v1, v5 :: v_dual_cndmask_b32 v5, v0, v0
	v_cndmask_b32_e64 v8, v3, v7, s2
	v_cndmask_b32_e64 v7, v2, v2, s2
	s_mov_b32 s2, exec_lo
	s_delay_alu instid0(VALU_DEP_1)
	v_cmpx_ngt_f64_e32 v[5:6], v[7:8]
	s_xor_b32 s2, exec_lo, s2
	s_cbranch_execz .LBB122_791
; %bb.790:
	v_div_scale_f64 v[5:6], null, v[2:3], v[2:3], v[0:1]
	v_div_scale_f64 v[11:12], vcc_lo, v[0:1], v[2:3], v[0:1]
	s_delay_alu instid0(VALU_DEP_2) | instskip(SKIP_2) | instid1(VALU_DEP_1)
	v_rcp_f64_e32 v[7:8], v[5:6]
	s_waitcnt_depctr 0xfff
	v_fma_f64 v[9:10], -v[5:6], v[7:8], 1.0
	v_fma_f64 v[7:8], v[7:8], v[9:10], v[7:8]
	s_delay_alu instid0(VALU_DEP_1) | instskip(NEXT) | instid1(VALU_DEP_1)
	v_fma_f64 v[9:10], -v[5:6], v[7:8], 1.0
	v_fma_f64 v[7:8], v[7:8], v[9:10], v[7:8]
	s_delay_alu instid0(VALU_DEP_1) | instskip(NEXT) | instid1(VALU_DEP_1)
	v_mul_f64 v[9:10], v[11:12], v[7:8]
	v_fma_f64 v[5:6], -v[5:6], v[9:10], v[11:12]
	s_delay_alu instid0(VALU_DEP_1) | instskip(NEXT) | instid1(VALU_DEP_1)
	v_div_fmas_f64 v[5:6], v[5:6], v[7:8], v[9:10]
	v_div_fixup_f64 v[5:6], v[5:6], v[2:3], v[0:1]
	s_delay_alu instid0(VALU_DEP_1) | instskip(NEXT) | instid1(VALU_DEP_1)
	v_fma_f64 v[0:1], v[0:1], v[5:6], v[2:3]
	v_div_scale_f64 v[2:3], null, v[0:1], v[0:1], 1.0
	s_delay_alu instid0(VALU_DEP_1) | instskip(SKIP_2) | instid1(VALU_DEP_1)
	v_rcp_f64_e32 v[7:8], v[2:3]
	s_waitcnt_depctr 0xfff
	v_fma_f64 v[9:10], -v[2:3], v[7:8], 1.0
	v_fma_f64 v[7:8], v[7:8], v[9:10], v[7:8]
	s_delay_alu instid0(VALU_DEP_1) | instskip(NEXT) | instid1(VALU_DEP_1)
	v_fma_f64 v[9:10], -v[2:3], v[7:8], 1.0
	v_fma_f64 v[7:8], v[7:8], v[9:10], v[7:8]
	v_div_scale_f64 v[9:10], vcc_lo, 1.0, v[0:1], 1.0
	s_delay_alu instid0(VALU_DEP_1) | instskip(NEXT) | instid1(VALU_DEP_1)
	v_mul_f64 v[11:12], v[9:10], v[7:8]
	v_fma_f64 v[2:3], -v[2:3], v[11:12], v[9:10]
	s_delay_alu instid0(VALU_DEP_1) | instskip(NEXT) | instid1(VALU_DEP_1)
	v_div_fmas_f64 v[2:3], v[2:3], v[7:8], v[11:12]
	v_div_fixup_f64 v[2:3], v[2:3], v[0:1], 1.0
	s_delay_alu instid0(VALU_DEP_1)
	v_mul_f64 v[0:1], v[5:6], v[2:3]
	v_xor_b32_e32 v3, 0x80000000, v3
.LBB122_791:
	s_and_not1_saveexec_b32 s2, s2
	s_cbranch_execz .LBB122_793
; %bb.792:
	s_delay_alu instid0(VALU_DEP_1) | instskip(SKIP_1) | instid1(VALU_DEP_2)
	v_div_scale_f64 v[5:6], null, v[0:1], v[0:1], v[2:3]
	v_div_scale_f64 v[11:12], vcc_lo, v[2:3], v[0:1], v[2:3]
	v_rcp_f64_e32 v[7:8], v[5:6]
	s_waitcnt_depctr 0xfff
	v_fma_f64 v[9:10], -v[5:6], v[7:8], 1.0
	s_delay_alu instid0(VALU_DEP_1) | instskip(NEXT) | instid1(VALU_DEP_1)
	v_fma_f64 v[7:8], v[7:8], v[9:10], v[7:8]
	v_fma_f64 v[9:10], -v[5:6], v[7:8], 1.0
	s_delay_alu instid0(VALU_DEP_1) | instskip(NEXT) | instid1(VALU_DEP_1)
	v_fma_f64 v[7:8], v[7:8], v[9:10], v[7:8]
	v_mul_f64 v[9:10], v[11:12], v[7:8]
	s_delay_alu instid0(VALU_DEP_1) | instskip(NEXT) | instid1(VALU_DEP_1)
	v_fma_f64 v[5:6], -v[5:6], v[9:10], v[11:12]
	v_div_fmas_f64 v[5:6], v[5:6], v[7:8], v[9:10]
	s_delay_alu instid0(VALU_DEP_1) | instskip(NEXT) | instid1(VALU_DEP_1)
	v_div_fixup_f64 v[5:6], v[5:6], v[0:1], v[2:3]
	v_fma_f64 v[0:1], v[2:3], v[5:6], v[0:1]
	s_delay_alu instid0(VALU_DEP_1) | instskip(NEXT) | instid1(VALU_DEP_1)
	v_div_scale_f64 v[2:3], null, v[0:1], v[0:1], 1.0
	v_rcp_f64_e32 v[7:8], v[2:3]
	s_waitcnt_depctr 0xfff
	v_fma_f64 v[9:10], -v[2:3], v[7:8], 1.0
	s_delay_alu instid0(VALU_DEP_1) | instskip(NEXT) | instid1(VALU_DEP_1)
	v_fma_f64 v[7:8], v[7:8], v[9:10], v[7:8]
	v_fma_f64 v[9:10], -v[2:3], v[7:8], 1.0
	s_delay_alu instid0(VALU_DEP_1) | instskip(SKIP_1) | instid1(VALU_DEP_1)
	v_fma_f64 v[7:8], v[7:8], v[9:10], v[7:8]
	v_div_scale_f64 v[9:10], vcc_lo, 1.0, v[0:1], 1.0
	v_mul_f64 v[11:12], v[9:10], v[7:8]
	s_delay_alu instid0(VALU_DEP_1) | instskip(NEXT) | instid1(VALU_DEP_1)
	v_fma_f64 v[2:3], -v[2:3], v[11:12], v[9:10]
	v_div_fmas_f64 v[2:3], v[2:3], v[7:8], v[11:12]
	s_delay_alu instid0(VALU_DEP_1) | instskip(NEXT) | instid1(VALU_DEP_1)
	v_div_fixup_f64 v[0:1], v[2:3], v[0:1], 1.0
	v_mul_f64 v[2:3], v[5:6], -v[0:1]
.LBB122_793:
	s_or_b32 exec_lo, exec_lo, s2
.LBB122_794:
	s_delay_alu instid0(SALU_CYCLE_1) | instskip(NEXT) | instid1(SALU_CYCLE_1)
	s_or_b32 exec_lo, exec_lo, s3
	s_mov_b32 s2, exec_lo
	v_cmpx_ne_u32_e64 v39, v4
	s_xor_b32 s2, exec_lo, s2
	s_cbranch_execz .LBB122_800
; %bb.795:
	s_mov_b32 s3, exec_lo
	v_cmpx_eq_u32_e32 32, v39
	s_cbranch_execz .LBB122_799
; %bb.796:
	v_cmp_ne_u32_e32 vcc_lo, 32, v4
	s_xor_b32 s6, s4, -1
	s_delay_alu instid0(SALU_CYCLE_1) | instskip(NEXT) | instid1(SALU_CYCLE_1)
	s_and_b32 s7, s6, vcc_lo
	s_and_saveexec_b32 s6, s7
	s_cbranch_execz .LBB122_798
; %bb.797:
	v_ashrrev_i32_e32 v5, 31, v4
	s_delay_alu instid0(VALU_DEP_1) | instskip(NEXT) | instid1(VALU_DEP_1)
	v_lshlrev_b64 v[5:6], 2, v[4:5]
	v_add_co_u32 v5, vcc_lo, v18, v5
	s_delay_alu instid0(VALU_DEP_2)
	v_add_co_ci_u32_e32 v6, vcc_lo, v19, v6, vcc_lo
	s_clause 0x1
	flat_load_b32 v7, v[5:6]
	flat_load_b32 v8, v[18:19] offset:128
	s_waitcnt vmcnt(1) lgkmcnt(1)
	flat_store_b32 v[18:19], v7 offset:128
	s_waitcnt vmcnt(0) lgkmcnt(1)
	flat_store_b32 v[5:6], v8
.LBB122_798:
	s_or_b32 exec_lo, exec_lo, s6
	v_mov_b32_e32 v39, v4
	v_mov_b32_e32 v38, v4
.LBB122_799:
	s_or_b32 exec_lo, exec_lo, s3
.LBB122_800:
	s_and_not1_saveexec_b32 s2, s2
	s_cbranch_execz .LBB122_802
; %bb.801:
	s_clause 0x1c
	scratch_load_b128 v[4:7], v132, off
	scratch_load_b128 v[8:11], v136, off
	;; [unrolled: 1-line block ×29, first 2 shown]
	v_mov_b32_e32 v39, 32
	s_waitcnt vmcnt(28)
	ds_store_2addr_b64 v20, v[4:5], v[6:7] offset0:66 offset1:67
	s_waitcnt vmcnt(27)
	ds_store_2addr_b64 v20, v[8:9], v[10:11] offset0:68 offset1:69
	;; [unrolled: 2-line block ×29, first 2 shown]
.LBB122_802:
	s_or_b32 exec_lo, exec_lo, s2
	s_delay_alu instid0(SALU_CYCLE_1)
	s_mov_b32 s2, exec_lo
	s_waitcnt lgkmcnt(0)
	s_waitcnt_vscnt null, 0x0
	s_barrier
	buffer_gl0_inv
	v_cmpx_lt_i32_e32 32, v39
	s_cbranch_execz .LBB122_807
; %bb.803:
	scratch_load_b128 v[4:7], off, off offset:512
	s_mov_b32 s3, 0
	s_waitcnt vmcnt(0)
	v_mul_f64 v[8:9], v[2:3], v[6:7]
	v_mul_f64 v[6:7], v[0:1], v[6:7]
	s_delay_alu instid0(VALU_DEP_2) | instskip(NEXT) | instid1(VALU_DEP_2)
	v_fma_f64 v[0:1], v[0:1], v[4:5], -v[8:9]
	v_fma_f64 v[2:3], v[2:3], v[4:5], v[6:7]
	v_add3_u32 v4, v37, 0, 0x210
	v_mov_b32_e32 v5, 0
	scratch_store_b128 off, v[0:3], off offset:512
	s_branch .LBB122_805
.LBB122_804:                            ;   in Loop: Header=BB122_805 Depth=1
	s_and_not1_b32 vcc_lo, exec_lo, s7
	s_cbranch_vccz .LBB122_807
.LBB122_805:                            ; =>This Inner Loop Header: Depth=1
	v_readfirstlane_b32 s6, v5
	v_add_nc_u32_e32 v6, s3, v4
	s_mov_b32 s7, -1
	s_delay_alu instid0(VALU_DEP_2)
	s_add_i32 s6, s6, s3
	ds_load_2addr_b64 v[11:14], v6 offset1:1
	s_add_i32 s9, s6, 0x210
	s_cmpk_eq_i32 s3, 0x1c0
	scratch_load_b128 v[7:10], off, s9
	s_waitcnt lgkmcnt(0)
	v_mul_f64 v[15:16], v[13:14], v[2:3]
	v_mul_f64 v[41:42], v[11:12], v[2:3]
	s_delay_alu instid0(VALU_DEP_2) | instskip(NEXT) | instid1(VALU_DEP_2)
	v_fma_f64 v[11:12], v[11:12], v[0:1], -v[15:16]
	v_fma_f64 v[13:14], v[13:14], v[0:1], v[41:42]
	s_waitcnt vmcnt(0)
	s_delay_alu instid0(VALU_DEP_2) | instskip(NEXT) | instid1(VALU_DEP_2)
	v_add_f64 v[7:8], v[7:8], -v[11:12]
	v_add_f64 v[9:10], v[9:10], -v[13:14]
	scratch_store_b128 off, v[7:10], s9
	s_cbranch_scc1 .LBB122_804
; %bb.806:                              ;   in Loop: Header=BB122_805 Depth=1
	s_add_i32 s9, s6, 0x220
	s_add_i32 s12, s6, 0x230
	scratch_load_b128 v[7:10], off, s9
	s_addk_i32 s6, 0x240
	s_clause 0x1
	scratch_load_b128 v[11:14], off, s12
	scratch_load_b128 v[41:44], off, s6
	ds_load_2addr_b64 v[45:48], v6 offset0:2 offset1:3
	ds_load_2addr_b64 v[53:56], v6 offset0:4 offset1:5
	;; [unrolled: 1-line block ×3, first 2 shown]
	s_add_i32 s3, s3, 64
	s_mov_b32 s7, 0
	s_waitcnt lgkmcnt(2)
	v_mul_f64 v[15:16], v[47:48], v[2:3]
	v_mul_f64 v[49:50], v[45:46], v[2:3]
	s_waitcnt lgkmcnt(1)
	v_mul_f64 v[57:58], v[55:56], v[2:3]
	v_mul_f64 v[65:66], v[53:54], v[2:3]
	;; [unrolled: 3-line block ×3, first 2 shown]
	v_fma_f64 v[15:16], v[45:46], v[0:1], -v[15:16]
	v_fma_f64 v[45:46], v[47:48], v[0:1], v[49:50]
	v_fma_f64 v[47:48], v[53:54], v[0:1], -v[57:58]
	v_fma_f64 v[49:50], v[55:56], v[0:1], v[65:66]
	;; [unrolled: 2-line block ×3, first 2 shown]
	s_waitcnt vmcnt(2)
	v_add_f64 v[6:7], v[7:8], -v[15:16]
	v_add_f64 v[8:9], v[9:10], -v[45:46]
	s_waitcnt vmcnt(1)
	v_add_f64 v[10:11], v[11:12], -v[47:48]
	v_add_f64 v[12:13], v[13:14], -v[49:50]
	s_waitcnt vmcnt(0)
	v_add_f64 v[41:42], v[41:42], -v[53:54]
	v_add_f64 v[43:44], v[43:44], -v[55:56]
	s_clause 0x2
	scratch_store_b128 off, v[6:9], s9
	scratch_store_b128 off, v[10:13], s12
	scratch_store_b128 off, v[41:44], s6
	s_branch .LBB122_804
.LBB122_807:
	s_or_b32 exec_lo, exec_lo, s2
	s_waitcnt_vscnt null, 0x0
	s_barrier
	buffer_gl0_inv
	scratch_load_b128 v[0:3], v132, off
	v_lshl_add_u32 v4, v39, 4, v20
	s_cmp_lt_i32 s5, 35
	s_waitcnt vmcnt(0)
	ds_store_2addr_b64 v4, v[0:1], v[2:3] offset1:1
	s_waitcnt lgkmcnt(0)
	s_barrier
	buffer_gl0_inv
	ds_load_2addr_b64 v[0:3], v20 offset0:66 offset1:67
	v_mov_b32_e32 v4, 33
	s_cbranch_scc1 .LBB122_810
; %bb.808:
	v_add3_u32 v5, v37, 0, 0x220
	v_mov_b32_e32 v4, 33
	s_mov_b32 s6, 34
	s_set_inst_prefetch_distance 0x1
	.p2align	6
.LBB122_809:                            ; =>This Inner Loop Header: Depth=1
	ds_load_2addr_b64 v[6:9], v5 offset1:1
	s_waitcnt lgkmcnt(1)
	v_cmp_gt_f64_e32 vcc_lo, 0, v[0:1]
	v_xor_b32_e32 v10, 0x80000000, v1
	v_cmp_gt_f64_e64 s2, 0, v[2:3]
	v_xor_b32_e32 v12, 0x80000000, v3
	v_add_nc_u32_e32 v5, 16, v5
	s_waitcnt lgkmcnt(0)
	v_cmp_gt_f64_e64 s3, 0, v[6:7]
	v_mov_b32_e32 v14, v6
	v_dual_mov_b32 v16, v8 :: v_dual_cndmask_b32 v11, v1, v10
	v_xor_b32_e32 v10, 0x80000000, v7
	v_cndmask_b32_e64 v13, v3, v12, s2
	v_xor_b32_e32 v12, 0x80000000, v9
	s_delay_alu instid0(VALU_DEP_3) | instskip(SKIP_2) | instid1(VALU_DEP_2)
	v_cndmask_b32_e64 v15, v7, v10, s3
	v_cmp_gt_f64_e64 s3, 0, v[8:9]
	v_cndmask_b32_e32 v10, v0, v0, vcc_lo
	v_cndmask_b32_e64 v17, v9, v12, s3
	v_cndmask_b32_e64 v12, v2, v2, s2
	s_delay_alu instid0(VALU_DEP_2) | instskip(NEXT) | instid1(VALU_DEP_2)
	v_add_f64 v[14:15], v[14:15], v[16:17]
	v_add_f64 v[10:11], v[10:11], v[12:13]
	s_delay_alu instid0(VALU_DEP_1)
	v_cmp_lt_f64_e32 vcc_lo, v[10:11], v[14:15]
	v_cndmask_b32_e32 v3, v3, v9, vcc_lo
	v_dual_cndmask_b32 v1, v1, v7 :: v_dual_cndmask_b32 v0, v0, v6
	v_cndmask_b32_e32 v2, v2, v8, vcc_lo
	v_cndmask_b32_e64 v4, v4, s6, vcc_lo
	s_add_i32 s6, s6, 1
	s_delay_alu instid0(SALU_CYCLE_1)
	s_cmp_lg_u32 s5, s6
	s_cbranch_scc1 .LBB122_809
.LBB122_810:
	s_set_inst_prefetch_distance 0x2
	s_waitcnt lgkmcnt(0)
	v_cmp_eq_f64_e32 vcc_lo, 0, v[0:1]
	v_cmp_eq_f64_e64 s2, 0, v[2:3]
	s_delay_alu instid0(VALU_DEP_1) | instskip(NEXT) | instid1(SALU_CYCLE_1)
	s_and_b32 s2, vcc_lo, s2
	s_and_saveexec_b32 s3, s2
	s_delay_alu instid0(SALU_CYCLE_1)
	s_xor_b32 s2, exec_lo, s3
; %bb.811:
	v_cmp_ne_u32_e32 vcc_lo, 0, v35
	v_cndmask_b32_e32 v35, 34, v35, vcc_lo
; %bb.812:
	s_and_not1_saveexec_b32 s3, s2
	s_cbranch_execz .LBB122_818
; %bb.813:
	v_cmp_gt_f64_e32 vcc_lo, 0, v[0:1]
	v_cmp_gt_f64_e64 s2, 0, v[2:3]
	v_xor_b32_e32 v5, 0x80000000, v1
	v_xor_b32_e32 v7, 0x80000000, v3
	s_delay_alu instid0(VALU_DEP_2) | instskip(NEXT) | instid1(VALU_DEP_2)
	v_dual_cndmask_b32 v6, v1, v5 :: v_dual_cndmask_b32 v5, v0, v0
	v_cndmask_b32_e64 v8, v3, v7, s2
	v_cndmask_b32_e64 v7, v2, v2, s2
	s_mov_b32 s2, exec_lo
	s_delay_alu instid0(VALU_DEP_1)
	v_cmpx_ngt_f64_e32 v[5:6], v[7:8]
	s_xor_b32 s2, exec_lo, s2
	s_cbranch_execz .LBB122_815
; %bb.814:
	v_div_scale_f64 v[5:6], null, v[2:3], v[2:3], v[0:1]
	v_div_scale_f64 v[11:12], vcc_lo, v[0:1], v[2:3], v[0:1]
	s_delay_alu instid0(VALU_DEP_2) | instskip(SKIP_2) | instid1(VALU_DEP_1)
	v_rcp_f64_e32 v[7:8], v[5:6]
	s_waitcnt_depctr 0xfff
	v_fma_f64 v[9:10], -v[5:6], v[7:8], 1.0
	v_fma_f64 v[7:8], v[7:8], v[9:10], v[7:8]
	s_delay_alu instid0(VALU_DEP_1) | instskip(NEXT) | instid1(VALU_DEP_1)
	v_fma_f64 v[9:10], -v[5:6], v[7:8], 1.0
	v_fma_f64 v[7:8], v[7:8], v[9:10], v[7:8]
	s_delay_alu instid0(VALU_DEP_1) | instskip(NEXT) | instid1(VALU_DEP_1)
	v_mul_f64 v[9:10], v[11:12], v[7:8]
	v_fma_f64 v[5:6], -v[5:6], v[9:10], v[11:12]
	s_delay_alu instid0(VALU_DEP_1) | instskip(NEXT) | instid1(VALU_DEP_1)
	v_div_fmas_f64 v[5:6], v[5:6], v[7:8], v[9:10]
	v_div_fixup_f64 v[5:6], v[5:6], v[2:3], v[0:1]
	s_delay_alu instid0(VALU_DEP_1) | instskip(NEXT) | instid1(VALU_DEP_1)
	v_fma_f64 v[0:1], v[0:1], v[5:6], v[2:3]
	v_div_scale_f64 v[2:3], null, v[0:1], v[0:1], 1.0
	s_delay_alu instid0(VALU_DEP_1) | instskip(SKIP_2) | instid1(VALU_DEP_1)
	v_rcp_f64_e32 v[7:8], v[2:3]
	s_waitcnt_depctr 0xfff
	v_fma_f64 v[9:10], -v[2:3], v[7:8], 1.0
	v_fma_f64 v[7:8], v[7:8], v[9:10], v[7:8]
	s_delay_alu instid0(VALU_DEP_1) | instskip(NEXT) | instid1(VALU_DEP_1)
	v_fma_f64 v[9:10], -v[2:3], v[7:8], 1.0
	v_fma_f64 v[7:8], v[7:8], v[9:10], v[7:8]
	v_div_scale_f64 v[9:10], vcc_lo, 1.0, v[0:1], 1.0
	s_delay_alu instid0(VALU_DEP_1) | instskip(NEXT) | instid1(VALU_DEP_1)
	v_mul_f64 v[11:12], v[9:10], v[7:8]
	v_fma_f64 v[2:3], -v[2:3], v[11:12], v[9:10]
	s_delay_alu instid0(VALU_DEP_1) | instskip(NEXT) | instid1(VALU_DEP_1)
	v_div_fmas_f64 v[2:3], v[2:3], v[7:8], v[11:12]
	v_div_fixup_f64 v[2:3], v[2:3], v[0:1], 1.0
	s_delay_alu instid0(VALU_DEP_1)
	v_mul_f64 v[0:1], v[5:6], v[2:3]
	v_xor_b32_e32 v3, 0x80000000, v3
.LBB122_815:
	s_and_not1_saveexec_b32 s2, s2
	s_cbranch_execz .LBB122_817
; %bb.816:
	s_delay_alu instid0(VALU_DEP_1) | instskip(SKIP_1) | instid1(VALU_DEP_2)
	v_div_scale_f64 v[5:6], null, v[0:1], v[0:1], v[2:3]
	v_div_scale_f64 v[11:12], vcc_lo, v[2:3], v[0:1], v[2:3]
	v_rcp_f64_e32 v[7:8], v[5:6]
	s_waitcnt_depctr 0xfff
	v_fma_f64 v[9:10], -v[5:6], v[7:8], 1.0
	s_delay_alu instid0(VALU_DEP_1) | instskip(NEXT) | instid1(VALU_DEP_1)
	v_fma_f64 v[7:8], v[7:8], v[9:10], v[7:8]
	v_fma_f64 v[9:10], -v[5:6], v[7:8], 1.0
	s_delay_alu instid0(VALU_DEP_1) | instskip(NEXT) | instid1(VALU_DEP_1)
	v_fma_f64 v[7:8], v[7:8], v[9:10], v[7:8]
	v_mul_f64 v[9:10], v[11:12], v[7:8]
	s_delay_alu instid0(VALU_DEP_1) | instskip(NEXT) | instid1(VALU_DEP_1)
	v_fma_f64 v[5:6], -v[5:6], v[9:10], v[11:12]
	v_div_fmas_f64 v[5:6], v[5:6], v[7:8], v[9:10]
	s_delay_alu instid0(VALU_DEP_1) | instskip(NEXT) | instid1(VALU_DEP_1)
	v_div_fixup_f64 v[5:6], v[5:6], v[0:1], v[2:3]
	v_fma_f64 v[0:1], v[2:3], v[5:6], v[0:1]
	s_delay_alu instid0(VALU_DEP_1) | instskip(NEXT) | instid1(VALU_DEP_1)
	v_div_scale_f64 v[2:3], null, v[0:1], v[0:1], 1.0
	v_rcp_f64_e32 v[7:8], v[2:3]
	s_waitcnt_depctr 0xfff
	v_fma_f64 v[9:10], -v[2:3], v[7:8], 1.0
	s_delay_alu instid0(VALU_DEP_1) | instskip(NEXT) | instid1(VALU_DEP_1)
	v_fma_f64 v[7:8], v[7:8], v[9:10], v[7:8]
	v_fma_f64 v[9:10], -v[2:3], v[7:8], 1.0
	s_delay_alu instid0(VALU_DEP_1) | instskip(SKIP_1) | instid1(VALU_DEP_1)
	v_fma_f64 v[7:8], v[7:8], v[9:10], v[7:8]
	v_div_scale_f64 v[9:10], vcc_lo, 1.0, v[0:1], 1.0
	v_mul_f64 v[11:12], v[9:10], v[7:8]
	s_delay_alu instid0(VALU_DEP_1) | instskip(NEXT) | instid1(VALU_DEP_1)
	v_fma_f64 v[2:3], -v[2:3], v[11:12], v[9:10]
	v_div_fmas_f64 v[2:3], v[2:3], v[7:8], v[11:12]
	s_delay_alu instid0(VALU_DEP_1) | instskip(NEXT) | instid1(VALU_DEP_1)
	v_div_fixup_f64 v[0:1], v[2:3], v[0:1], 1.0
	v_mul_f64 v[2:3], v[5:6], -v[0:1]
.LBB122_817:
	s_or_b32 exec_lo, exec_lo, s2
.LBB122_818:
	s_delay_alu instid0(SALU_CYCLE_1) | instskip(NEXT) | instid1(SALU_CYCLE_1)
	s_or_b32 exec_lo, exec_lo, s3
	s_mov_b32 s2, exec_lo
	v_cmpx_ne_u32_e64 v39, v4
	s_xor_b32 s2, exec_lo, s2
	s_cbranch_execz .LBB122_824
; %bb.819:
	s_mov_b32 s3, exec_lo
	v_cmpx_eq_u32_e32 33, v39
	s_cbranch_execz .LBB122_823
; %bb.820:
	v_cmp_ne_u32_e32 vcc_lo, 33, v4
	s_xor_b32 s6, s4, -1
	s_delay_alu instid0(SALU_CYCLE_1) | instskip(NEXT) | instid1(SALU_CYCLE_1)
	s_and_b32 s7, s6, vcc_lo
	s_and_saveexec_b32 s6, s7
	s_cbranch_execz .LBB122_822
; %bb.821:
	v_ashrrev_i32_e32 v5, 31, v4
	s_delay_alu instid0(VALU_DEP_1) | instskip(NEXT) | instid1(VALU_DEP_1)
	v_lshlrev_b64 v[5:6], 2, v[4:5]
	v_add_co_u32 v5, vcc_lo, v18, v5
	s_delay_alu instid0(VALU_DEP_2)
	v_add_co_ci_u32_e32 v6, vcc_lo, v19, v6, vcc_lo
	s_clause 0x1
	flat_load_b32 v7, v[5:6]
	flat_load_b32 v8, v[18:19] offset:132
	s_waitcnt vmcnt(1) lgkmcnt(1)
	flat_store_b32 v[18:19], v7 offset:132
	s_waitcnt vmcnt(0) lgkmcnt(1)
	flat_store_b32 v[5:6], v8
.LBB122_822:
	s_or_b32 exec_lo, exec_lo, s6
	v_mov_b32_e32 v39, v4
	v_mov_b32_e32 v38, v4
.LBB122_823:
	s_or_b32 exec_lo, exec_lo, s3
.LBB122_824:
	s_and_not1_saveexec_b32 s2, s2
	s_cbranch_execz .LBB122_826
; %bb.825:
	s_clause 0x1b
	scratch_load_b128 v[4:7], v136, off
	scratch_load_b128 v[8:11], v170, off
	;; [unrolled: 1-line block ×28, first 2 shown]
	v_mov_b32_e32 v39, 33
	s_waitcnt vmcnt(27)
	ds_store_2addr_b64 v20, v[4:5], v[6:7] offset0:68 offset1:69
	s_waitcnt vmcnt(26)
	ds_store_2addr_b64 v20, v[8:9], v[10:11] offset0:70 offset1:71
	;; [unrolled: 2-line block ×28, first 2 shown]
.LBB122_826:
	s_or_b32 exec_lo, exec_lo, s2
	s_delay_alu instid0(SALU_CYCLE_1)
	s_mov_b32 s2, exec_lo
	s_waitcnt lgkmcnt(0)
	s_waitcnt_vscnt null, 0x0
	s_barrier
	buffer_gl0_inv
	v_cmpx_lt_i32_e32 33, v39
	s_cbranch_execz .LBB122_829
; %bb.827:
	scratch_load_b128 v[4:7], off, off offset:528
	s_mov_b32 s3, 0
	s_waitcnt vmcnt(0)
	v_mul_f64 v[8:9], v[2:3], v[6:7]
	v_mul_f64 v[6:7], v[0:1], v[6:7]
	s_delay_alu instid0(VALU_DEP_2) | instskip(NEXT) | instid1(VALU_DEP_2)
	v_fma_f64 v[0:1], v[0:1], v[4:5], -v[8:9]
	v_fma_f64 v[2:3], v[2:3], v[4:5], v[6:7]
	v_add3_u32 v4, v37, 0, 0x220
	v_mov_b32_e32 v5, 0
	scratch_store_b128 off, v[0:3], off offset:528
.LBB122_828:                            ; =>This Inner Loop Header: Depth=1
	v_add_nc_u32_e32 v51, s3, v4
	v_readfirstlane_b32 s6, v5
	ds_load_2addr_b64 v[6:9], v51 offset1:1
	ds_load_2addr_b64 v[10:13], v51 offset0:2 offset1:3
	ds_load_2addr_b64 v[41:44], v51 offset0:4 offset1:5
	;; [unrolled: 1-line block ×5, first 2 shown]
	s_add_i32 s6, s6, s3
	s_addk_i32 s3, 0x70
	s_add_i32 s7, s6, 0x220
	s_add_i32 s9, s6, 0x230
	;; [unrolled: 1-line block ×6, first 2 shown]
	s_addk_i32 s6, 0x280
	s_cmpk_lg_i32 s3, 0x1c0
	s_waitcnt lgkmcnt(5)
	v_mul_f64 v[14:15], v[8:9], v[2:3]
	v_mul_f64 v[16:17], v[6:7], v[2:3]
	s_waitcnt lgkmcnt(4)
	v_mul_f64 v[49:50], v[12:13], v[2:3]
	v_mul_f64 v[57:58], v[10:11], v[2:3]
	;; [unrolled: 3-line block ×6, first 2 shown]
	v_fma_f64 v[14:15], v[6:7], v[0:1], -v[14:15]
	v_fma_f64 v[16:17], v[8:9], v[0:1], v[16:17]
	v_fma_f64 v[49:50], v[10:11], v[0:1], -v[49:50]
	v_fma_f64 v[57:58], v[12:13], v[0:1], v[57:58]
	;; [unrolled: 2-line block ×6, first 2 shown]
	scratch_load_b128 v[0:3], off, off offset:528
	s_clause 0x6
	scratch_load_b128 v[6:9], off, s7
	scratch_load_b128 v[10:13], off, s9
	;; [unrolled: 1-line block ×7, first 2 shown]
	ds_load_2addr_b64 v[77:80], v51 offset0:12 offset1:13
	s_waitcnt vmcnt(6)
	v_add_f64 v[6:7], v[6:7], -v[14:15]
	v_add_f64 v[8:9], v[8:9], -v[16:17]
	s_waitcnt vmcnt(5)
	v_add_f64 v[10:11], v[10:11], -v[49:50]
	v_add_f64 v[12:13], v[12:13], -v[57:58]
	s_waitcnt vmcnt(4)
	v_add_f64 v[41:42], v[41:42], -v[65:66]
	s_waitcnt lgkmcnt(0)
	v_mul_f64 v[95:96], v[79:80], v[2:3]
	v_mul_f64 v[97:98], v[77:78], v[2:3]
	v_add_f64 v[43:44], v[43:44], -v[85:86]
	s_waitcnt vmcnt(3)
	v_add_f64 v[45:46], v[45:46], -v[87:88]
	v_add_f64 v[47:48], v[47:48], -v[73:74]
	s_waitcnt vmcnt(2)
	v_add_f64 v[53:54], v[53:54], -v[89:90]
	v_add_f64 v[55:56], v[55:56], -v[91:92]
	s_waitcnt vmcnt(1)
	v_add_f64 v[61:62], v[61:62], -v[81:82]
	v_add_f64 v[63:64], v[63:64], -v[93:94]
	v_fma_f64 v[77:78], v[77:78], v[0:1], -v[95:96]
	v_fma_f64 v[79:80], v[79:80], v[0:1], v[97:98]
	s_waitcnt vmcnt(0)
	s_delay_alu instid0(VALU_DEP_2) | instskip(NEXT) | instid1(VALU_DEP_2)
	v_add_f64 v[69:70], v[69:70], -v[77:78]
	v_add_f64 v[71:72], v[71:72], -v[79:80]
	s_clause 0x6
	scratch_store_b128 off, v[6:9], s7
	scratch_store_b128 off, v[10:13], s9
	;; [unrolled: 1-line block ×7, first 2 shown]
	s_cbranch_scc1 .LBB122_828
.LBB122_829:
	s_or_b32 exec_lo, exec_lo, s2
	s_waitcnt_vscnt null, 0x0
	s_barrier
	buffer_gl0_inv
	scratch_load_b128 v[0:3], v136, off
	v_lshl_add_u32 v4, v39, 4, v20
	s_cmp_lt_i32 s5, 36
	s_waitcnt vmcnt(0)
	ds_store_2addr_b64 v4, v[0:1], v[2:3] offset1:1
	s_waitcnt lgkmcnt(0)
	s_barrier
	buffer_gl0_inv
	ds_load_2addr_b64 v[0:3], v20 offset0:68 offset1:69
	v_mov_b32_e32 v4, 34
	s_cbranch_scc1 .LBB122_832
; %bb.830:
	v_add3_u32 v5, v37, 0, 0x230
	v_mov_b32_e32 v4, 34
	s_mov_b32 s6, 35
	s_set_inst_prefetch_distance 0x1
	.p2align	6
.LBB122_831:                            ; =>This Inner Loop Header: Depth=1
	ds_load_2addr_b64 v[6:9], v5 offset1:1
	s_waitcnt lgkmcnt(1)
	v_cmp_gt_f64_e32 vcc_lo, 0, v[0:1]
	v_xor_b32_e32 v10, 0x80000000, v1
	v_cmp_gt_f64_e64 s2, 0, v[2:3]
	v_xor_b32_e32 v12, 0x80000000, v3
	v_add_nc_u32_e32 v5, 16, v5
	s_waitcnt lgkmcnt(0)
	v_cmp_gt_f64_e64 s3, 0, v[6:7]
	v_mov_b32_e32 v14, v6
	v_dual_mov_b32 v16, v8 :: v_dual_cndmask_b32 v11, v1, v10
	v_xor_b32_e32 v10, 0x80000000, v7
	v_cndmask_b32_e64 v13, v3, v12, s2
	v_xor_b32_e32 v12, 0x80000000, v9
	s_delay_alu instid0(VALU_DEP_3) | instskip(SKIP_2) | instid1(VALU_DEP_2)
	v_cndmask_b32_e64 v15, v7, v10, s3
	v_cmp_gt_f64_e64 s3, 0, v[8:9]
	v_cndmask_b32_e32 v10, v0, v0, vcc_lo
	v_cndmask_b32_e64 v17, v9, v12, s3
	v_cndmask_b32_e64 v12, v2, v2, s2
	s_delay_alu instid0(VALU_DEP_2) | instskip(NEXT) | instid1(VALU_DEP_2)
	v_add_f64 v[14:15], v[14:15], v[16:17]
	v_add_f64 v[10:11], v[10:11], v[12:13]
	s_delay_alu instid0(VALU_DEP_1)
	v_cmp_lt_f64_e32 vcc_lo, v[10:11], v[14:15]
	v_cndmask_b32_e32 v3, v3, v9, vcc_lo
	v_dual_cndmask_b32 v1, v1, v7 :: v_dual_cndmask_b32 v0, v0, v6
	v_cndmask_b32_e32 v2, v2, v8, vcc_lo
	v_cndmask_b32_e64 v4, v4, s6, vcc_lo
	s_add_i32 s6, s6, 1
	s_delay_alu instid0(SALU_CYCLE_1)
	s_cmp_lg_u32 s5, s6
	s_cbranch_scc1 .LBB122_831
.LBB122_832:
	s_set_inst_prefetch_distance 0x2
	s_waitcnt lgkmcnt(0)
	v_cmp_eq_f64_e32 vcc_lo, 0, v[0:1]
	v_cmp_eq_f64_e64 s2, 0, v[2:3]
	s_delay_alu instid0(VALU_DEP_1) | instskip(NEXT) | instid1(SALU_CYCLE_1)
	s_and_b32 s2, vcc_lo, s2
	s_and_saveexec_b32 s3, s2
	s_delay_alu instid0(SALU_CYCLE_1)
	s_xor_b32 s2, exec_lo, s3
; %bb.833:
	v_cmp_ne_u32_e32 vcc_lo, 0, v35
	v_cndmask_b32_e32 v35, 35, v35, vcc_lo
; %bb.834:
	s_and_not1_saveexec_b32 s3, s2
	s_cbranch_execz .LBB122_840
; %bb.835:
	v_cmp_gt_f64_e32 vcc_lo, 0, v[0:1]
	v_cmp_gt_f64_e64 s2, 0, v[2:3]
	v_xor_b32_e32 v5, 0x80000000, v1
	v_xor_b32_e32 v7, 0x80000000, v3
	s_delay_alu instid0(VALU_DEP_2) | instskip(NEXT) | instid1(VALU_DEP_2)
	v_dual_cndmask_b32 v6, v1, v5 :: v_dual_cndmask_b32 v5, v0, v0
	v_cndmask_b32_e64 v8, v3, v7, s2
	v_cndmask_b32_e64 v7, v2, v2, s2
	s_mov_b32 s2, exec_lo
	s_delay_alu instid0(VALU_DEP_1)
	v_cmpx_ngt_f64_e32 v[5:6], v[7:8]
	s_xor_b32 s2, exec_lo, s2
	s_cbranch_execz .LBB122_837
; %bb.836:
	v_div_scale_f64 v[5:6], null, v[2:3], v[2:3], v[0:1]
	v_div_scale_f64 v[11:12], vcc_lo, v[0:1], v[2:3], v[0:1]
	s_delay_alu instid0(VALU_DEP_2) | instskip(SKIP_2) | instid1(VALU_DEP_1)
	v_rcp_f64_e32 v[7:8], v[5:6]
	s_waitcnt_depctr 0xfff
	v_fma_f64 v[9:10], -v[5:6], v[7:8], 1.0
	v_fma_f64 v[7:8], v[7:8], v[9:10], v[7:8]
	s_delay_alu instid0(VALU_DEP_1) | instskip(NEXT) | instid1(VALU_DEP_1)
	v_fma_f64 v[9:10], -v[5:6], v[7:8], 1.0
	v_fma_f64 v[7:8], v[7:8], v[9:10], v[7:8]
	s_delay_alu instid0(VALU_DEP_1) | instskip(NEXT) | instid1(VALU_DEP_1)
	v_mul_f64 v[9:10], v[11:12], v[7:8]
	v_fma_f64 v[5:6], -v[5:6], v[9:10], v[11:12]
	s_delay_alu instid0(VALU_DEP_1) | instskip(NEXT) | instid1(VALU_DEP_1)
	v_div_fmas_f64 v[5:6], v[5:6], v[7:8], v[9:10]
	v_div_fixup_f64 v[5:6], v[5:6], v[2:3], v[0:1]
	s_delay_alu instid0(VALU_DEP_1) | instskip(NEXT) | instid1(VALU_DEP_1)
	v_fma_f64 v[0:1], v[0:1], v[5:6], v[2:3]
	v_div_scale_f64 v[2:3], null, v[0:1], v[0:1], 1.0
	s_delay_alu instid0(VALU_DEP_1) | instskip(SKIP_2) | instid1(VALU_DEP_1)
	v_rcp_f64_e32 v[7:8], v[2:3]
	s_waitcnt_depctr 0xfff
	v_fma_f64 v[9:10], -v[2:3], v[7:8], 1.0
	v_fma_f64 v[7:8], v[7:8], v[9:10], v[7:8]
	s_delay_alu instid0(VALU_DEP_1) | instskip(NEXT) | instid1(VALU_DEP_1)
	v_fma_f64 v[9:10], -v[2:3], v[7:8], 1.0
	v_fma_f64 v[7:8], v[7:8], v[9:10], v[7:8]
	v_div_scale_f64 v[9:10], vcc_lo, 1.0, v[0:1], 1.0
	s_delay_alu instid0(VALU_DEP_1) | instskip(NEXT) | instid1(VALU_DEP_1)
	v_mul_f64 v[11:12], v[9:10], v[7:8]
	v_fma_f64 v[2:3], -v[2:3], v[11:12], v[9:10]
	s_delay_alu instid0(VALU_DEP_1) | instskip(NEXT) | instid1(VALU_DEP_1)
	v_div_fmas_f64 v[2:3], v[2:3], v[7:8], v[11:12]
	v_div_fixup_f64 v[2:3], v[2:3], v[0:1], 1.0
	s_delay_alu instid0(VALU_DEP_1)
	v_mul_f64 v[0:1], v[5:6], v[2:3]
	v_xor_b32_e32 v3, 0x80000000, v3
.LBB122_837:
	s_and_not1_saveexec_b32 s2, s2
	s_cbranch_execz .LBB122_839
; %bb.838:
	s_delay_alu instid0(VALU_DEP_1) | instskip(SKIP_1) | instid1(VALU_DEP_2)
	v_div_scale_f64 v[5:6], null, v[0:1], v[0:1], v[2:3]
	v_div_scale_f64 v[11:12], vcc_lo, v[2:3], v[0:1], v[2:3]
	v_rcp_f64_e32 v[7:8], v[5:6]
	s_waitcnt_depctr 0xfff
	v_fma_f64 v[9:10], -v[5:6], v[7:8], 1.0
	s_delay_alu instid0(VALU_DEP_1) | instskip(NEXT) | instid1(VALU_DEP_1)
	v_fma_f64 v[7:8], v[7:8], v[9:10], v[7:8]
	v_fma_f64 v[9:10], -v[5:6], v[7:8], 1.0
	s_delay_alu instid0(VALU_DEP_1) | instskip(NEXT) | instid1(VALU_DEP_1)
	v_fma_f64 v[7:8], v[7:8], v[9:10], v[7:8]
	v_mul_f64 v[9:10], v[11:12], v[7:8]
	s_delay_alu instid0(VALU_DEP_1) | instskip(NEXT) | instid1(VALU_DEP_1)
	v_fma_f64 v[5:6], -v[5:6], v[9:10], v[11:12]
	v_div_fmas_f64 v[5:6], v[5:6], v[7:8], v[9:10]
	s_delay_alu instid0(VALU_DEP_1) | instskip(NEXT) | instid1(VALU_DEP_1)
	v_div_fixup_f64 v[5:6], v[5:6], v[0:1], v[2:3]
	v_fma_f64 v[0:1], v[2:3], v[5:6], v[0:1]
	s_delay_alu instid0(VALU_DEP_1) | instskip(NEXT) | instid1(VALU_DEP_1)
	v_div_scale_f64 v[2:3], null, v[0:1], v[0:1], 1.0
	v_rcp_f64_e32 v[7:8], v[2:3]
	s_waitcnt_depctr 0xfff
	v_fma_f64 v[9:10], -v[2:3], v[7:8], 1.0
	s_delay_alu instid0(VALU_DEP_1) | instskip(NEXT) | instid1(VALU_DEP_1)
	v_fma_f64 v[7:8], v[7:8], v[9:10], v[7:8]
	v_fma_f64 v[9:10], -v[2:3], v[7:8], 1.0
	s_delay_alu instid0(VALU_DEP_1) | instskip(SKIP_1) | instid1(VALU_DEP_1)
	v_fma_f64 v[7:8], v[7:8], v[9:10], v[7:8]
	v_div_scale_f64 v[9:10], vcc_lo, 1.0, v[0:1], 1.0
	v_mul_f64 v[11:12], v[9:10], v[7:8]
	s_delay_alu instid0(VALU_DEP_1) | instskip(NEXT) | instid1(VALU_DEP_1)
	v_fma_f64 v[2:3], -v[2:3], v[11:12], v[9:10]
	v_div_fmas_f64 v[2:3], v[2:3], v[7:8], v[11:12]
	s_delay_alu instid0(VALU_DEP_1) | instskip(NEXT) | instid1(VALU_DEP_1)
	v_div_fixup_f64 v[0:1], v[2:3], v[0:1], 1.0
	v_mul_f64 v[2:3], v[5:6], -v[0:1]
.LBB122_839:
	s_or_b32 exec_lo, exec_lo, s2
.LBB122_840:
	s_delay_alu instid0(SALU_CYCLE_1) | instskip(NEXT) | instid1(SALU_CYCLE_1)
	s_or_b32 exec_lo, exec_lo, s3
	s_mov_b32 s2, exec_lo
	v_cmpx_ne_u32_e64 v39, v4
	s_xor_b32 s2, exec_lo, s2
	s_cbranch_execz .LBB122_846
; %bb.841:
	s_mov_b32 s3, exec_lo
	v_cmpx_eq_u32_e32 34, v39
	s_cbranch_execz .LBB122_845
; %bb.842:
	v_cmp_ne_u32_e32 vcc_lo, 34, v4
	s_xor_b32 s6, s4, -1
	s_delay_alu instid0(SALU_CYCLE_1) | instskip(NEXT) | instid1(SALU_CYCLE_1)
	s_and_b32 s7, s6, vcc_lo
	s_and_saveexec_b32 s6, s7
	s_cbranch_execz .LBB122_844
; %bb.843:
	v_ashrrev_i32_e32 v5, 31, v4
	s_delay_alu instid0(VALU_DEP_1) | instskip(NEXT) | instid1(VALU_DEP_1)
	v_lshlrev_b64 v[5:6], 2, v[4:5]
	v_add_co_u32 v5, vcc_lo, v18, v5
	s_delay_alu instid0(VALU_DEP_2)
	v_add_co_ci_u32_e32 v6, vcc_lo, v19, v6, vcc_lo
	s_clause 0x1
	flat_load_b32 v7, v[5:6]
	flat_load_b32 v8, v[18:19] offset:136
	s_waitcnt vmcnt(1) lgkmcnt(1)
	flat_store_b32 v[18:19], v7 offset:136
	s_waitcnt vmcnt(0) lgkmcnt(1)
	flat_store_b32 v[5:6], v8
.LBB122_844:
	s_or_b32 exec_lo, exec_lo, s6
	v_mov_b32_e32 v39, v4
	v_mov_b32_e32 v38, v4
.LBB122_845:
	s_or_b32 exec_lo, exec_lo, s3
.LBB122_846:
	s_and_not1_saveexec_b32 s2, s2
	s_cbranch_execz .LBB122_848
; %bb.847:
	s_clause 0x1a
	scratch_load_b128 v[4:7], v170, off
	scratch_load_b128 v[8:11], v169, off
	;; [unrolled: 1-line block ×27, first 2 shown]
	v_mov_b32_e32 v39, 34
	s_waitcnt vmcnt(26)
	ds_store_2addr_b64 v20, v[4:5], v[6:7] offset0:70 offset1:71
	s_waitcnt vmcnt(25)
	ds_store_2addr_b64 v20, v[8:9], v[10:11] offset0:72 offset1:73
	;; [unrolled: 2-line block ×27, first 2 shown]
.LBB122_848:
	s_or_b32 exec_lo, exec_lo, s2
	s_delay_alu instid0(SALU_CYCLE_1)
	s_mov_b32 s2, exec_lo
	s_waitcnt lgkmcnt(0)
	s_waitcnt_vscnt null, 0x0
	s_barrier
	buffer_gl0_inv
	v_cmpx_lt_i32_e32 34, v39
	s_cbranch_execz .LBB122_851
; %bb.849:
	scratch_load_b128 v[4:7], off, off offset:544
	s_mov_b32 s3, 0
	s_waitcnt vmcnt(0)
	v_mul_f64 v[8:9], v[2:3], v[6:7]
	v_mul_f64 v[6:7], v[0:1], v[6:7]
	s_delay_alu instid0(VALU_DEP_2) | instskip(NEXT) | instid1(VALU_DEP_2)
	v_fma_f64 v[0:1], v[0:1], v[4:5], -v[8:9]
	v_fma_f64 v[2:3], v[2:3], v[4:5], v[6:7]
	v_add3_u32 v4, v37, 0, 0x230
	v_mov_b32_e32 v5, 0
	scratch_store_b128 off, v[0:3], off offset:544
.LBB122_850:                            ; =>This Inner Loop Header: Depth=1
	v_readfirstlane_b32 s6, v5
	v_add_nc_u32_e32 v14, s3, v4
	s_delay_alu instid0(VALU_DEP_2)
	s_add_i32 s6, s6, s3
	s_add_i32 s3, s3, 48
	;; [unrolled: 1-line block ×4, first 2 shown]
	s_addk_i32 s6, 0x250
	s_clause 0x2
	scratch_load_b128 v[6:9], off, s7
	scratch_load_b128 v[10:13], off, s9
	;; [unrolled: 1-line block ×3, first 2 shown]
	ds_load_2addr_b64 v[45:48], v14 offset1:1
	ds_load_2addr_b64 v[53:56], v14 offset0:2 offset1:3
	ds_load_2addr_b64 v[61:64], v14 offset0:4 offset1:5
	s_cmpk_lg_i32 s3, 0x1b0
	s_waitcnt lgkmcnt(2)
	v_mul_f64 v[14:15], v[47:48], v[2:3]
	v_mul_f64 v[16:17], v[45:46], v[2:3]
	s_waitcnt lgkmcnt(1)
	v_mul_f64 v[49:50], v[55:56], v[2:3]
	v_mul_f64 v[57:58], v[53:54], v[2:3]
	;; [unrolled: 3-line block ×3, first 2 shown]
	v_fma_f64 v[14:15], v[45:46], v[0:1], -v[14:15]
	v_fma_f64 v[16:17], v[47:48], v[0:1], v[16:17]
	v_fma_f64 v[45:46], v[53:54], v[0:1], -v[49:50]
	v_fma_f64 v[47:48], v[55:56], v[0:1], v[57:58]
	;; [unrolled: 2-line block ×3, first 2 shown]
	s_waitcnt vmcnt(2)
	v_add_f64 v[6:7], v[6:7], -v[14:15]
	v_add_f64 v[8:9], v[8:9], -v[16:17]
	s_waitcnt vmcnt(1)
	v_add_f64 v[10:11], v[10:11], -v[45:46]
	v_add_f64 v[12:13], v[12:13], -v[47:48]
	;; [unrolled: 3-line block ×3, first 2 shown]
	s_clause 0x2
	scratch_store_b128 off, v[6:9], s7
	scratch_store_b128 off, v[10:13], s9
	;; [unrolled: 1-line block ×3, first 2 shown]
	s_cbranch_scc1 .LBB122_850
.LBB122_851:
	s_or_b32 exec_lo, exec_lo, s2
	s_waitcnt_vscnt null, 0x0
	s_barrier
	buffer_gl0_inv
	scratch_load_b128 v[0:3], v170, off
	v_lshl_add_u32 v4, v39, 4, v20
	s_cmp_lt_i32 s5, 37
	s_waitcnt vmcnt(0)
	ds_store_2addr_b64 v4, v[0:1], v[2:3] offset1:1
	s_waitcnt lgkmcnt(0)
	s_barrier
	buffer_gl0_inv
	ds_load_2addr_b64 v[0:3], v20 offset0:70 offset1:71
	v_mov_b32_e32 v4, 35
	s_cbranch_scc1 .LBB122_854
; %bb.852:
	v_add3_u32 v5, v37, 0, 0x240
	v_mov_b32_e32 v4, 35
	s_mov_b32 s6, 36
	s_set_inst_prefetch_distance 0x1
	.p2align	6
.LBB122_853:                            ; =>This Inner Loop Header: Depth=1
	ds_load_2addr_b64 v[6:9], v5 offset1:1
	s_waitcnt lgkmcnt(1)
	v_cmp_gt_f64_e32 vcc_lo, 0, v[0:1]
	v_xor_b32_e32 v10, 0x80000000, v1
	v_cmp_gt_f64_e64 s2, 0, v[2:3]
	v_xor_b32_e32 v12, 0x80000000, v3
	v_add_nc_u32_e32 v5, 16, v5
	s_waitcnt lgkmcnt(0)
	v_cmp_gt_f64_e64 s3, 0, v[6:7]
	v_mov_b32_e32 v14, v6
	v_dual_mov_b32 v16, v8 :: v_dual_cndmask_b32 v11, v1, v10
	v_xor_b32_e32 v10, 0x80000000, v7
	v_cndmask_b32_e64 v13, v3, v12, s2
	v_xor_b32_e32 v12, 0x80000000, v9
	s_delay_alu instid0(VALU_DEP_3) | instskip(SKIP_2) | instid1(VALU_DEP_2)
	v_cndmask_b32_e64 v15, v7, v10, s3
	v_cmp_gt_f64_e64 s3, 0, v[8:9]
	v_cndmask_b32_e32 v10, v0, v0, vcc_lo
	v_cndmask_b32_e64 v17, v9, v12, s3
	v_cndmask_b32_e64 v12, v2, v2, s2
	s_delay_alu instid0(VALU_DEP_2) | instskip(NEXT) | instid1(VALU_DEP_2)
	v_add_f64 v[14:15], v[14:15], v[16:17]
	v_add_f64 v[10:11], v[10:11], v[12:13]
	s_delay_alu instid0(VALU_DEP_1)
	v_cmp_lt_f64_e32 vcc_lo, v[10:11], v[14:15]
	v_cndmask_b32_e32 v3, v3, v9, vcc_lo
	v_dual_cndmask_b32 v1, v1, v7 :: v_dual_cndmask_b32 v0, v0, v6
	v_cndmask_b32_e32 v2, v2, v8, vcc_lo
	v_cndmask_b32_e64 v4, v4, s6, vcc_lo
	s_add_i32 s6, s6, 1
	s_delay_alu instid0(SALU_CYCLE_1)
	s_cmp_lg_u32 s5, s6
	s_cbranch_scc1 .LBB122_853
.LBB122_854:
	s_set_inst_prefetch_distance 0x2
	s_waitcnt lgkmcnt(0)
	v_cmp_eq_f64_e32 vcc_lo, 0, v[0:1]
	v_cmp_eq_f64_e64 s2, 0, v[2:3]
	s_delay_alu instid0(VALU_DEP_1) | instskip(NEXT) | instid1(SALU_CYCLE_1)
	s_and_b32 s2, vcc_lo, s2
	s_and_saveexec_b32 s3, s2
	s_delay_alu instid0(SALU_CYCLE_1)
	s_xor_b32 s2, exec_lo, s3
; %bb.855:
	v_cmp_ne_u32_e32 vcc_lo, 0, v35
	v_cndmask_b32_e32 v35, 36, v35, vcc_lo
; %bb.856:
	s_and_not1_saveexec_b32 s3, s2
	s_cbranch_execz .LBB122_862
; %bb.857:
	v_cmp_gt_f64_e32 vcc_lo, 0, v[0:1]
	v_cmp_gt_f64_e64 s2, 0, v[2:3]
	v_xor_b32_e32 v5, 0x80000000, v1
	v_xor_b32_e32 v7, 0x80000000, v3
	s_delay_alu instid0(VALU_DEP_2) | instskip(NEXT) | instid1(VALU_DEP_2)
	v_dual_cndmask_b32 v6, v1, v5 :: v_dual_cndmask_b32 v5, v0, v0
	v_cndmask_b32_e64 v8, v3, v7, s2
	v_cndmask_b32_e64 v7, v2, v2, s2
	s_mov_b32 s2, exec_lo
	s_delay_alu instid0(VALU_DEP_1)
	v_cmpx_ngt_f64_e32 v[5:6], v[7:8]
	s_xor_b32 s2, exec_lo, s2
	s_cbranch_execz .LBB122_859
; %bb.858:
	v_div_scale_f64 v[5:6], null, v[2:3], v[2:3], v[0:1]
	v_div_scale_f64 v[11:12], vcc_lo, v[0:1], v[2:3], v[0:1]
	s_delay_alu instid0(VALU_DEP_2) | instskip(SKIP_2) | instid1(VALU_DEP_1)
	v_rcp_f64_e32 v[7:8], v[5:6]
	s_waitcnt_depctr 0xfff
	v_fma_f64 v[9:10], -v[5:6], v[7:8], 1.0
	v_fma_f64 v[7:8], v[7:8], v[9:10], v[7:8]
	s_delay_alu instid0(VALU_DEP_1) | instskip(NEXT) | instid1(VALU_DEP_1)
	v_fma_f64 v[9:10], -v[5:6], v[7:8], 1.0
	v_fma_f64 v[7:8], v[7:8], v[9:10], v[7:8]
	s_delay_alu instid0(VALU_DEP_1) | instskip(NEXT) | instid1(VALU_DEP_1)
	v_mul_f64 v[9:10], v[11:12], v[7:8]
	v_fma_f64 v[5:6], -v[5:6], v[9:10], v[11:12]
	s_delay_alu instid0(VALU_DEP_1) | instskip(NEXT) | instid1(VALU_DEP_1)
	v_div_fmas_f64 v[5:6], v[5:6], v[7:8], v[9:10]
	v_div_fixup_f64 v[5:6], v[5:6], v[2:3], v[0:1]
	s_delay_alu instid0(VALU_DEP_1) | instskip(NEXT) | instid1(VALU_DEP_1)
	v_fma_f64 v[0:1], v[0:1], v[5:6], v[2:3]
	v_div_scale_f64 v[2:3], null, v[0:1], v[0:1], 1.0
	s_delay_alu instid0(VALU_DEP_1) | instskip(SKIP_2) | instid1(VALU_DEP_1)
	v_rcp_f64_e32 v[7:8], v[2:3]
	s_waitcnt_depctr 0xfff
	v_fma_f64 v[9:10], -v[2:3], v[7:8], 1.0
	v_fma_f64 v[7:8], v[7:8], v[9:10], v[7:8]
	s_delay_alu instid0(VALU_DEP_1) | instskip(NEXT) | instid1(VALU_DEP_1)
	v_fma_f64 v[9:10], -v[2:3], v[7:8], 1.0
	v_fma_f64 v[7:8], v[7:8], v[9:10], v[7:8]
	v_div_scale_f64 v[9:10], vcc_lo, 1.0, v[0:1], 1.0
	s_delay_alu instid0(VALU_DEP_1) | instskip(NEXT) | instid1(VALU_DEP_1)
	v_mul_f64 v[11:12], v[9:10], v[7:8]
	v_fma_f64 v[2:3], -v[2:3], v[11:12], v[9:10]
	s_delay_alu instid0(VALU_DEP_1) | instskip(NEXT) | instid1(VALU_DEP_1)
	v_div_fmas_f64 v[2:3], v[2:3], v[7:8], v[11:12]
	v_div_fixup_f64 v[2:3], v[2:3], v[0:1], 1.0
	s_delay_alu instid0(VALU_DEP_1)
	v_mul_f64 v[0:1], v[5:6], v[2:3]
	v_xor_b32_e32 v3, 0x80000000, v3
.LBB122_859:
	s_and_not1_saveexec_b32 s2, s2
	s_cbranch_execz .LBB122_861
; %bb.860:
	s_delay_alu instid0(VALU_DEP_1) | instskip(SKIP_1) | instid1(VALU_DEP_2)
	v_div_scale_f64 v[5:6], null, v[0:1], v[0:1], v[2:3]
	v_div_scale_f64 v[11:12], vcc_lo, v[2:3], v[0:1], v[2:3]
	v_rcp_f64_e32 v[7:8], v[5:6]
	s_waitcnt_depctr 0xfff
	v_fma_f64 v[9:10], -v[5:6], v[7:8], 1.0
	s_delay_alu instid0(VALU_DEP_1) | instskip(NEXT) | instid1(VALU_DEP_1)
	v_fma_f64 v[7:8], v[7:8], v[9:10], v[7:8]
	v_fma_f64 v[9:10], -v[5:6], v[7:8], 1.0
	s_delay_alu instid0(VALU_DEP_1) | instskip(NEXT) | instid1(VALU_DEP_1)
	v_fma_f64 v[7:8], v[7:8], v[9:10], v[7:8]
	v_mul_f64 v[9:10], v[11:12], v[7:8]
	s_delay_alu instid0(VALU_DEP_1) | instskip(NEXT) | instid1(VALU_DEP_1)
	v_fma_f64 v[5:6], -v[5:6], v[9:10], v[11:12]
	v_div_fmas_f64 v[5:6], v[5:6], v[7:8], v[9:10]
	s_delay_alu instid0(VALU_DEP_1) | instskip(NEXT) | instid1(VALU_DEP_1)
	v_div_fixup_f64 v[5:6], v[5:6], v[0:1], v[2:3]
	v_fma_f64 v[0:1], v[2:3], v[5:6], v[0:1]
	s_delay_alu instid0(VALU_DEP_1) | instskip(NEXT) | instid1(VALU_DEP_1)
	v_div_scale_f64 v[2:3], null, v[0:1], v[0:1], 1.0
	v_rcp_f64_e32 v[7:8], v[2:3]
	s_waitcnt_depctr 0xfff
	v_fma_f64 v[9:10], -v[2:3], v[7:8], 1.0
	s_delay_alu instid0(VALU_DEP_1) | instskip(NEXT) | instid1(VALU_DEP_1)
	v_fma_f64 v[7:8], v[7:8], v[9:10], v[7:8]
	v_fma_f64 v[9:10], -v[2:3], v[7:8], 1.0
	s_delay_alu instid0(VALU_DEP_1) | instskip(SKIP_1) | instid1(VALU_DEP_1)
	v_fma_f64 v[7:8], v[7:8], v[9:10], v[7:8]
	v_div_scale_f64 v[9:10], vcc_lo, 1.0, v[0:1], 1.0
	v_mul_f64 v[11:12], v[9:10], v[7:8]
	s_delay_alu instid0(VALU_DEP_1) | instskip(NEXT) | instid1(VALU_DEP_1)
	v_fma_f64 v[2:3], -v[2:3], v[11:12], v[9:10]
	v_div_fmas_f64 v[2:3], v[2:3], v[7:8], v[11:12]
	s_delay_alu instid0(VALU_DEP_1) | instskip(NEXT) | instid1(VALU_DEP_1)
	v_div_fixup_f64 v[0:1], v[2:3], v[0:1], 1.0
	v_mul_f64 v[2:3], v[5:6], -v[0:1]
.LBB122_861:
	s_or_b32 exec_lo, exec_lo, s2
.LBB122_862:
	s_delay_alu instid0(SALU_CYCLE_1) | instskip(NEXT) | instid1(SALU_CYCLE_1)
	s_or_b32 exec_lo, exec_lo, s3
	s_mov_b32 s2, exec_lo
	v_cmpx_ne_u32_e64 v39, v4
	s_xor_b32 s2, exec_lo, s2
	s_cbranch_execz .LBB122_868
; %bb.863:
	s_mov_b32 s3, exec_lo
	v_cmpx_eq_u32_e32 35, v39
	s_cbranch_execz .LBB122_867
; %bb.864:
	v_cmp_ne_u32_e32 vcc_lo, 35, v4
	s_xor_b32 s6, s4, -1
	s_delay_alu instid0(SALU_CYCLE_1) | instskip(NEXT) | instid1(SALU_CYCLE_1)
	s_and_b32 s7, s6, vcc_lo
	s_and_saveexec_b32 s6, s7
	s_cbranch_execz .LBB122_866
; %bb.865:
	v_ashrrev_i32_e32 v5, 31, v4
	s_delay_alu instid0(VALU_DEP_1) | instskip(NEXT) | instid1(VALU_DEP_1)
	v_lshlrev_b64 v[5:6], 2, v[4:5]
	v_add_co_u32 v5, vcc_lo, v18, v5
	s_delay_alu instid0(VALU_DEP_2)
	v_add_co_ci_u32_e32 v6, vcc_lo, v19, v6, vcc_lo
	s_clause 0x1
	flat_load_b32 v7, v[5:6]
	flat_load_b32 v8, v[18:19] offset:140
	s_waitcnt vmcnt(1) lgkmcnt(1)
	flat_store_b32 v[18:19], v7 offset:140
	s_waitcnt vmcnt(0) lgkmcnt(1)
	flat_store_b32 v[5:6], v8
.LBB122_866:
	s_or_b32 exec_lo, exec_lo, s6
	v_mov_b32_e32 v39, v4
	v_mov_b32_e32 v38, v4
.LBB122_867:
	s_or_b32 exec_lo, exec_lo, s3
.LBB122_868:
	s_and_not1_saveexec_b32 s2, s2
	s_cbranch_execz .LBB122_870
; %bb.869:
	s_clause 0x19
	scratch_load_b128 v[4:7], v169, off
	scratch_load_b128 v[8:11], v168, off
	;; [unrolled: 1-line block ×26, first 2 shown]
	v_mov_b32_e32 v39, 35
	s_waitcnt vmcnt(25)
	ds_store_2addr_b64 v20, v[4:5], v[6:7] offset0:72 offset1:73
	s_waitcnt vmcnt(24)
	ds_store_2addr_b64 v20, v[8:9], v[10:11] offset0:74 offset1:75
	;; [unrolled: 2-line block ×26, first 2 shown]
.LBB122_870:
	s_or_b32 exec_lo, exec_lo, s2
	s_delay_alu instid0(SALU_CYCLE_1)
	s_mov_b32 s2, exec_lo
	s_waitcnt lgkmcnt(0)
	s_waitcnt_vscnt null, 0x0
	s_barrier
	buffer_gl0_inv
	v_cmpx_lt_i32_e32 35, v39
	s_cbranch_execz .LBB122_873
; %bb.871:
	scratch_load_b128 v[4:7], off, off offset:560
	s_mov_b32 s3, 0
	s_waitcnt vmcnt(0)
	v_mul_f64 v[8:9], v[2:3], v[6:7]
	v_mul_f64 v[6:7], v[0:1], v[6:7]
	s_delay_alu instid0(VALU_DEP_2) | instskip(NEXT) | instid1(VALU_DEP_2)
	v_fma_f64 v[0:1], v[0:1], v[4:5], -v[8:9]
	v_fma_f64 v[2:3], v[2:3], v[4:5], v[6:7]
	v_add3_u32 v4, v37, 0, 0x240
	scratch_store_b128 off, v[0:3], off offset:560
	s_set_inst_prefetch_distance 0x1
	.p2align	6
.LBB122_872:                            ; =>This Inner Loop Header: Depth=1
	v_add_nc_u32_e64 v5, s3, 0
	v_add_nc_u32_e32 v13, s3, v4
	s_add_i32 s3, s3, 32
	s_delay_alu instid0(SALU_CYCLE_1) | instskip(NEXT) | instid1(VALU_DEP_2)
	s_cmpk_lg_i32 s3, 0x1a0
	v_add_nc_u32_e32 v17, 0x240, v5
	v_add_nc_u32_e32 v51, 0x250, v5
	s_clause 0x1
	scratch_load_b128 v[5:8], v17, off
	scratch_load_b128 v[9:12], v51, off
	ds_load_2addr_b64 v[41:44], v13 offset1:1
	ds_load_2addr_b64 v[45:48], v13 offset0:2 offset1:3
	s_waitcnt lgkmcnt(1)
	v_mul_f64 v[13:14], v[43:44], v[2:3]
	v_mul_f64 v[15:16], v[41:42], v[2:3]
	s_waitcnt lgkmcnt(0)
	v_mul_f64 v[49:50], v[47:48], v[2:3]
	v_mul_f64 v[53:54], v[45:46], v[2:3]
	s_delay_alu instid0(VALU_DEP_4) | instskip(NEXT) | instid1(VALU_DEP_4)
	v_fma_f64 v[13:14], v[41:42], v[0:1], -v[13:14]
	v_fma_f64 v[15:16], v[43:44], v[0:1], v[15:16]
	s_delay_alu instid0(VALU_DEP_4) | instskip(NEXT) | instid1(VALU_DEP_4)
	v_fma_f64 v[41:42], v[45:46], v[0:1], -v[49:50]
	v_fma_f64 v[43:44], v[47:48], v[0:1], v[53:54]
	s_waitcnt vmcnt(1)
	s_delay_alu instid0(VALU_DEP_4) | instskip(NEXT) | instid1(VALU_DEP_4)
	v_add_f64 v[5:6], v[5:6], -v[13:14]
	v_add_f64 v[7:8], v[7:8], -v[15:16]
	s_waitcnt vmcnt(0)
	s_delay_alu instid0(VALU_DEP_4) | instskip(NEXT) | instid1(VALU_DEP_4)
	v_add_f64 v[9:10], v[9:10], -v[41:42]
	v_add_f64 v[11:12], v[11:12], -v[43:44]
	s_clause 0x1
	scratch_store_b128 v17, v[5:8], off
	scratch_store_b128 v51, v[9:12], off
	s_cbranch_scc1 .LBB122_872
.LBB122_873:
	s_set_inst_prefetch_distance 0x2
	s_or_b32 exec_lo, exec_lo, s2
	s_waitcnt_vscnt null, 0x0
	s_barrier
	buffer_gl0_inv
	scratch_load_b128 v[0:3], v169, off
	v_lshl_add_u32 v4, v39, 4, v20
	s_cmp_lt_i32 s5, 38
	s_waitcnt vmcnt(0)
	ds_store_2addr_b64 v4, v[0:1], v[2:3] offset1:1
	s_waitcnt lgkmcnt(0)
	s_barrier
	buffer_gl0_inv
	ds_load_2addr_b64 v[0:3], v20 offset0:72 offset1:73
	v_mov_b32_e32 v4, 36
	s_cbranch_scc1 .LBB122_876
; %bb.874:
	v_add3_u32 v5, v37, 0, 0x250
	v_mov_b32_e32 v4, 36
	s_mov_b32 s6, 37
	s_set_inst_prefetch_distance 0x1
	.p2align	6
.LBB122_875:                            ; =>This Inner Loop Header: Depth=1
	ds_load_2addr_b64 v[6:9], v5 offset1:1
	s_waitcnt lgkmcnt(1)
	v_cmp_gt_f64_e32 vcc_lo, 0, v[0:1]
	v_xor_b32_e32 v10, 0x80000000, v1
	v_cmp_gt_f64_e64 s2, 0, v[2:3]
	v_xor_b32_e32 v12, 0x80000000, v3
	v_add_nc_u32_e32 v5, 16, v5
	s_waitcnt lgkmcnt(0)
	v_cmp_gt_f64_e64 s3, 0, v[6:7]
	v_mov_b32_e32 v14, v6
	v_dual_mov_b32 v16, v8 :: v_dual_cndmask_b32 v11, v1, v10
	v_xor_b32_e32 v10, 0x80000000, v7
	v_cndmask_b32_e64 v13, v3, v12, s2
	v_xor_b32_e32 v12, 0x80000000, v9
	s_delay_alu instid0(VALU_DEP_3) | instskip(SKIP_2) | instid1(VALU_DEP_2)
	v_cndmask_b32_e64 v15, v7, v10, s3
	v_cmp_gt_f64_e64 s3, 0, v[8:9]
	v_cndmask_b32_e32 v10, v0, v0, vcc_lo
	v_cndmask_b32_e64 v17, v9, v12, s3
	v_cndmask_b32_e64 v12, v2, v2, s2
	s_delay_alu instid0(VALU_DEP_2) | instskip(NEXT) | instid1(VALU_DEP_2)
	v_add_f64 v[14:15], v[14:15], v[16:17]
	v_add_f64 v[10:11], v[10:11], v[12:13]
	s_delay_alu instid0(VALU_DEP_1)
	v_cmp_lt_f64_e32 vcc_lo, v[10:11], v[14:15]
	v_cndmask_b32_e32 v3, v3, v9, vcc_lo
	v_dual_cndmask_b32 v1, v1, v7 :: v_dual_cndmask_b32 v0, v0, v6
	v_cndmask_b32_e32 v2, v2, v8, vcc_lo
	v_cndmask_b32_e64 v4, v4, s6, vcc_lo
	s_add_i32 s6, s6, 1
	s_delay_alu instid0(SALU_CYCLE_1)
	s_cmp_lg_u32 s5, s6
	s_cbranch_scc1 .LBB122_875
.LBB122_876:
	s_set_inst_prefetch_distance 0x2
	s_waitcnt lgkmcnt(0)
	v_cmp_eq_f64_e32 vcc_lo, 0, v[0:1]
	v_cmp_eq_f64_e64 s2, 0, v[2:3]
	s_delay_alu instid0(VALU_DEP_1) | instskip(NEXT) | instid1(SALU_CYCLE_1)
	s_and_b32 s2, vcc_lo, s2
	s_and_saveexec_b32 s3, s2
	s_delay_alu instid0(SALU_CYCLE_1)
	s_xor_b32 s2, exec_lo, s3
; %bb.877:
	v_cmp_ne_u32_e32 vcc_lo, 0, v35
	v_cndmask_b32_e32 v35, 37, v35, vcc_lo
; %bb.878:
	s_and_not1_saveexec_b32 s3, s2
	s_cbranch_execz .LBB122_884
; %bb.879:
	v_cmp_gt_f64_e32 vcc_lo, 0, v[0:1]
	v_cmp_gt_f64_e64 s2, 0, v[2:3]
	v_xor_b32_e32 v5, 0x80000000, v1
	v_xor_b32_e32 v7, 0x80000000, v3
	s_delay_alu instid0(VALU_DEP_2) | instskip(NEXT) | instid1(VALU_DEP_2)
	v_dual_cndmask_b32 v6, v1, v5 :: v_dual_cndmask_b32 v5, v0, v0
	v_cndmask_b32_e64 v8, v3, v7, s2
	v_cndmask_b32_e64 v7, v2, v2, s2
	s_mov_b32 s2, exec_lo
	s_delay_alu instid0(VALU_DEP_1)
	v_cmpx_ngt_f64_e32 v[5:6], v[7:8]
	s_xor_b32 s2, exec_lo, s2
	s_cbranch_execz .LBB122_881
; %bb.880:
	v_div_scale_f64 v[5:6], null, v[2:3], v[2:3], v[0:1]
	v_div_scale_f64 v[11:12], vcc_lo, v[0:1], v[2:3], v[0:1]
	s_delay_alu instid0(VALU_DEP_2) | instskip(SKIP_2) | instid1(VALU_DEP_1)
	v_rcp_f64_e32 v[7:8], v[5:6]
	s_waitcnt_depctr 0xfff
	v_fma_f64 v[9:10], -v[5:6], v[7:8], 1.0
	v_fma_f64 v[7:8], v[7:8], v[9:10], v[7:8]
	s_delay_alu instid0(VALU_DEP_1) | instskip(NEXT) | instid1(VALU_DEP_1)
	v_fma_f64 v[9:10], -v[5:6], v[7:8], 1.0
	v_fma_f64 v[7:8], v[7:8], v[9:10], v[7:8]
	s_delay_alu instid0(VALU_DEP_1) | instskip(NEXT) | instid1(VALU_DEP_1)
	v_mul_f64 v[9:10], v[11:12], v[7:8]
	v_fma_f64 v[5:6], -v[5:6], v[9:10], v[11:12]
	s_delay_alu instid0(VALU_DEP_1) | instskip(NEXT) | instid1(VALU_DEP_1)
	v_div_fmas_f64 v[5:6], v[5:6], v[7:8], v[9:10]
	v_div_fixup_f64 v[5:6], v[5:6], v[2:3], v[0:1]
	s_delay_alu instid0(VALU_DEP_1) | instskip(NEXT) | instid1(VALU_DEP_1)
	v_fma_f64 v[0:1], v[0:1], v[5:6], v[2:3]
	v_div_scale_f64 v[2:3], null, v[0:1], v[0:1], 1.0
	s_delay_alu instid0(VALU_DEP_1) | instskip(SKIP_2) | instid1(VALU_DEP_1)
	v_rcp_f64_e32 v[7:8], v[2:3]
	s_waitcnt_depctr 0xfff
	v_fma_f64 v[9:10], -v[2:3], v[7:8], 1.0
	v_fma_f64 v[7:8], v[7:8], v[9:10], v[7:8]
	s_delay_alu instid0(VALU_DEP_1) | instskip(NEXT) | instid1(VALU_DEP_1)
	v_fma_f64 v[9:10], -v[2:3], v[7:8], 1.0
	v_fma_f64 v[7:8], v[7:8], v[9:10], v[7:8]
	v_div_scale_f64 v[9:10], vcc_lo, 1.0, v[0:1], 1.0
	s_delay_alu instid0(VALU_DEP_1) | instskip(NEXT) | instid1(VALU_DEP_1)
	v_mul_f64 v[11:12], v[9:10], v[7:8]
	v_fma_f64 v[2:3], -v[2:3], v[11:12], v[9:10]
	s_delay_alu instid0(VALU_DEP_1) | instskip(NEXT) | instid1(VALU_DEP_1)
	v_div_fmas_f64 v[2:3], v[2:3], v[7:8], v[11:12]
	v_div_fixup_f64 v[2:3], v[2:3], v[0:1], 1.0
	s_delay_alu instid0(VALU_DEP_1)
	v_mul_f64 v[0:1], v[5:6], v[2:3]
	v_xor_b32_e32 v3, 0x80000000, v3
.LBB122_881:
	s_and_not1_saveexec_b32 s2, s2
	s_cbranch_execz .LBB122_883
; %bb.882:
	s_delay_alu instid0(VALU_DEP_1) | instskip(SKIP_1) | instid1(VALU_DEP_2)
	v_div_scale_f64 v[5:6], null, v[0:1], v[0:1], v[2:3]
	v_div_scale_f64 v[11:12], vcc_lo, v[2:3], v[0:1], v[2:3]
	v_rcp_f64_e32 v[7:8], v[5:6]
	s_waitcnt_depctr 0xfff
	v_fma_f64 v[9:10], -v[5:6], v[7:8], 1.0
	s_delay_alu instid0(VALU_DEP_1) | instskip(NEXT) | instid1(VALU_DEP_1)
	v_fma_f64 v[7:8], v[7:8], v[9:10], v[7:8]
	v_fma_f64 v[9:10], -v[5:6], v[7:8], 1.0
	s_delay_alu instid0(VALU_DEP_1) | instskip(NEXT) | instid1(VALU_DEP_1)
	v_fma_f64 v[7:8], v[7:8], v[9:10], v[7:8]
	v_mul_f64 v[9:10], v[11:12], v[7:8]
	s_delay_alu instid0(VALU_DEP_1) | instskip(NEXT) | instid1(VALU_DEP_1)
	v_fma_f64 v[5:6], -v[5:6], v[9:10], v[11:12]
	v_div_fmas_f64 v[5:6], v[5:6], v[7:8], v[9:10]
	s_delay_alu instid0(VALU_DEP_1) | instskip(NEXT) | instid1(VALU_DEP_1)
	v_div_fixup_f64 v[5:6], v[5:6], v[0:1], v[2:3]
	v_fma_f64 v[0:1], v[2:3], v[5:6], v[0:1]
	s_delay_alu instid0(VALU_DEP_1) | instskip(NEXT) | instid1(VALU_DEP_1)
	v_div_scale_f64 v[2:3], null, v[0:1], v[0:1], 1.0
	v_rcp_f64_e32 v[7:8], v[2:3]
	s_waitcnt_depctr 0xfff
	v_fma_f64 v[9:10], -v[2:3], v[7:8], 1.0
	s_delay_alu instid0(VALU_DEP_1) | instskip(NEXT) | instid1(VALU_DEP_1)
	v_fma_f64 v[7:8], v[7:8], v[9:10], v[7:8]
	v_fma_f64 v[9:10], -v[2:3], v[7:8], 1.0
	s_delay_alu instid0(VALU_DEP_1) | instskip(SKIP_1) | instid1(VALU_DEP_1)
	v_fma_f64 v[7:8], v[7:8], v[9:10], v[7:8]
	v_div_scale_f64 v[9:10], vcc_lo, 1.0, v[0:1], 1.0
	v_mul_f64 v[11:12], v[9:10], v[7:8]
	s_delay_alu instid0(VALU_DEP_1) | instskip(NEXT) | instid1(VALU_DEP_1)
	v_fma_f64 v[2:3], -v[2:3], v[11:12], v[9:10]
	v_div_fmas_f64 v[2:3], v[2:3], v[7:8], v[11:12]
	s_delay_alu instid0(VALU_DEP_1) | instskip(NEXT) | instid1(VALU_DEP_1)
	v_div_fixup_f64 v[0:1], v[2:3], v[0:1], 1.0
	v_mul_f64 v[2:3], v[5:6], -v[0:1]
.LBB122_883:
	s_or_b32 exec_lo, exec_lo, s2
.LBB122_884:
	s_delay_alu instid0(SALU_CYCLE_1) | instskip(NEXT) | instid1(SALU_CYCLE_1)
	s_or_b32 exec_lo, exec_lo, s3
	s_mov_b32 s2, exec_lo
	v_cmpx_ne_u32_e64 v39, v4
	s_xor_b32 s2, exec_lo, s2
	s_cbranch_execz .LBB122_890
; %bb.885:
	s_mov_b32 s3, exec_lo
	v_cmpx_eq_u32_e32 36, v39
	s_cbranch_execz .LBB122_889
; %bb.886:
	v_cmp_ne_u32_e32 vcc_lo, 36, v4
	s_xor_b32 s6, s4, -1
	s_delay_alu instid0(SALU_CYCLE_1) | instskip(NEXT) | instid1(SALU_CYCLE_1)
	s_and_b32 s7, s6, vcc_lo
	s_and_saveexec_b32 s6, s7
	s_cbranch_execz .LBB122_888
; %bb.887:
	v_ashrrev_i32_e32 v5, 31, v4
	s_delay_alu instid0(VALU_DEP_1) | instskip(NEXT) | instid1(VALU_DEP_1)
	v_lshlrev_b64 v[5:6], 2, v[4:5]
	v_add_co_u32 v5, vcc_lo, v18, v5
	s_delay_alu instid0(VALU_DEP_2)
	v_add_co_ci_u32_e32 v6, vcc_lo, v19, v6, vcc_lo
	s_clause 0x1
	flat_load_b32 v7, v[5:6]
	flat_load_b32 v8, v[18:19] offset:144
	s_waitcnt vmcnt(1) lgkmcnt(1)
	flat_store_b32 v[18:19], v7 offset:144
	s_waitcnt vmcnt(0) lgkmcnt(1)
	flat_store_b32 v[5:6], v8
.LBB122_888:
	s_or_b32 exec_lo, exec_lo, s6
	v_mov_b32_e32 v39, v4
	v_mov_b32_e32 v38, v4
.LBB122_889:
	s_or_b32 exec_lo, exec_lo, s3
.LBB122_890:
	s_and_not1_saveexec_b32 s2, s2
	s_cbranch_execz .LBB122_892
; %bb.891:
	s_clause 0x18
	scratch_load_b128 v[4:7], v168, off
	scratch_load_b128 v[8:11], v167, off
	;; [unrolled: 1-line block ×25, first 2 shown]
	v_mov_b32_e32 v39, 36
	s_waitcnt vmcnt(24)
	ds_store_2addr_b64 v20, v[4:5], v[6:7] offset0:74 offset1:75
	s_waitcnt vmcnt(23)
	ds_store_2addr_b64 v20, v[8:9], v[10:11] offset0:76 offset1:77
	;; [unrolled: 2-line block ×25, first 2 shown]
.LBB122_892:
	s_or_b32 exec_lo, exec_lo, s2
	s_delay_alu instid0(SALU_CYCLE_1)
	s_mov_b32 s2, exec_lo
	s_waitcnt lgkmcnt(0)
	s_waitcnt_vscnt null, 0x0
	s_barrier
	buffer_gl0_inv
	v_cmpx_lt_i32_e32 36, v39
	s_cbranch_execz .LBB122_895
; %bb.893:
	scratch_load_b128 v[4:7], off, off offset:576
	s_mov_b32 s3, 0
	s_waitcnt vmcnt(0)
	v_mul_f64 v[8:9], v[2:3], v[6:7]
	v_mul_f64 v[6:7], v[0:1], v[6:7]
	s_delay_alu instid0(VALU_DEP_2) | instskip(NEXT) | instid1(VALU_DEP_2)
	v_fma_f64 v[0:1], v[0:1], v[4:5], -v[8:9]
	v_fma_f64 v[2:3], v[2:3], v[4:5], v[6:7]
	v_add3_u32 v4, v37, 0, 0x250
	v_mov_b32_e32 v5, 0
	scratch_store_b128 off, v[0:3], off offset:576
.LBB122_894:                            ; =>This Inner Loop Header: Depth=1
	v_readfirstlane_b32 s6, v5
	v_add_nc_u32_e32 v14, s3, v4
	s_delay_alu instid0(VALU_DEP_2)
	s_add_i32 s6, s6, s3
	s_addk_i32 s3, 0x50
	s_add_i32 s7, s6, 0x250
	s_add_i32 s9, s6, 0x260
	;; [unrolled: 1-line block ×4, first 2 shown]
	s_addk_i32 s6, 0x290
	s_clause 0x4
	scratch_load_b128 v[6:9], off, s7
	scratch_load_b128 v[10:13], off, s9
	;; [unrolled: 1-line block ×5, first 2 shown]
	ds_load_2addr_b64 v[61:64], v14 offset1:1
	ds_load_2addr_b64 v[69:72], v14 offset0:2 offset1:3
	ds_load_2addr_b64 v[77:80], v14 offset0:4 offset1:5
	;; [unrolled: 1-line block ×4, first 2 shown]
	s_cmpk_lg_i32 s3, 0x190
	s_waitcnt lgkmcnt(4)
	v_mul_f64 v[14:15], v[63:64], v[2:3]
	v_mul_f64 v[16:17], v[61:62], v[2:3]
	s_waitcnt lgkmcnt(3)
	v_mul_f64 v[49:50], v[71:72], v[2:3]
	v_mul_f64 v[57:58], v[69:70], v[2:3]
	;; [unrolled: 3-line block ×5, first 2 shown]
	v_fma_f64 v[14:15], v[61:62], v[0:1], -v[14:15]
	v_fma_f64 v[16:17], v[63:64], v[0:1], v[16:17]
	v_fma_f64 v[49:50], v[69:70], v[0:1], -v[49:50]
	v_fma_f64 v[57:58], v[71:72], v[0:1], v[57:58]
	;; [unrolled: 2-line block ×5, first 2 shown]
	s_waitcnt vmcnt(4)
	v_add_f64 v[6:7], v[6:7], -v[14:15]
	v_add_f64 v[8:9], v[8:9], -v[16:17]
	s_waitcnt vmcnt(3)
	v_add_f64 v[10:11], v[10:11], -v[49:50]
	v_add_f64 v[12:13], v[12:13], -v[57:58]
	;; [unrolled: 3-line block ×5, first 2 shown]
	s_clause 0x4
	scratch_store_b128 off, v[6:9], s7
	scratch_store_b128 off, v[10:13], s9
	;; [unrolled: 1-line block ×5, first 2 shown]
	s_cbranch_scc1 .LBB122_894
.LBB122_895:
	s_or_b32 exec_lo, exec_lo, s2
	s_waitcnt_vscnt null, 0x0
	s_barrier
	buffer_gl0_inv
	scratch_load_b128 v[0:3], v168, off
	v_lshl_add_u32 v4, v39, 4, v20
	s_cmp_lt_i32 s5, 39
	s_waitcnt vmcnt(0)
	ds_store_2addr_b64 v4, v[0:1], v[2:3] offset1:1
	s_waitcnt lgkmcnt(0)
	s_barrier
	buffer_gl0_inv
	ds_load_2addr_b64 v[0:3], v20 offset0:74 offset1:75
	v_mov_b32_e32 v4, 37
	s_cbranch_scc1 .LBB122_898
; %bb.896:
	v_add3_u32 v5, v37, 0, 0x260
	v_mov_b32_e32 v4, 37
	s_mov_b32 s6, 38
	s_set_inst_prefetch_distance 0x1
	.p2align	6
.LBB122_897:                            ; =>This Inner Loop Header: Depth=1
	ds_load_2addr_b64 v[6:9], v5 offset1:1
	s_waitcnt lgkmcnt(1)
	v_cmp_gt_f64_e32 vcc_lo, 0, v[0:1]
	v_xor_b32_e32 v10, 0x80000000, v1
	v_cmp_gt_f64_e64 s2, 0, v[2:3]
	v_xor_b32_e32 v12, 0x80000000, v3
	v_add_nc_u32_e32 v5, 16, v5
	s_waitcnt lgkmcnt(0)
	v_cmp_gt_f64_e64 s3, 0, v[6:7]
	v_mov_b32_e32 v14, v6
	v_dual_mov_b32 v16, v8 :: v_dual_cndmask_b32 v11, v1, v10
	v_xor_b32_e32 v10, 0x80000000, v7
	v_cndmask_b32_e64 v13, v3, v12, s2
	v_xor_b32_e32 v12, 0x80000000, v9
	s_delay_alu instid0(VALU_DEP_3) | instskip(SKIP_2) | instid1(VALU_DEP_2)
	v_cndmask_b32_e64 v15, v7, v10, s3
	v_cmp_gt_f64_e64 s3, 0, v[8:9]
	v_cndmask_b32_e32 v10, v0, v0, vcc_lo
	v_cndmask_b32_e64 v17, v9, v12, s3
	v_cndmask_b32_e64 v12, v2, v2, s2
	s_delay_alu instid0(VALU_DEP_2) | instskip(NEXT) | instid1(VALU_DEP_2)
	v_add_f64 v[14:15], v[14:15], v[16:17]
	v_add_f64 v[10:11], v[10:11], v[12:13]
	s_delay_alu instid0(VALU_DEP_1)
	v_cmp_lt_f64_e32 vcc_lo, v[10:11], v[14:15]
	v_cndmask_b32_e32 v3, v3, v9, vcc_lo
	v_dual_cndmask_b32 v1, v1, v7 :: v_dual_cndmask_b32 v0, v0, v6
	v_cndmask_b32_e32 v2, v2, v8, vcc_lo
	v_cndmask_b32_e64 v4, v4, s6, vcc_lo
	s_add_i32 s6, s6, 1
	s_delay_alu instid0(SALU_CYCLE_1)
	s_cmp_lg_u32 s5, s6
	s_cbranch_scc1 .LBB122_897
.LBB122_898:
	s_set_inst_prefetch_distance 0x2
	s_waitcnt lgkmcnt(0)
	v_cmp_eq_f64_e32 vcc_lo, 0, v[0:1]
	v_cmp_eq_f64_e64 s2, 0, v[2:3]
	s_delay_alu instid0(VALU_DEP_1) | instskip(NEXT) | instid1(SALU_CYCLE_1)
	s_and_b32 s2, vcc_lo, s2
	s_and_saveexec_b32 s3, s2
	s_delay_alu instid0(SALU_CYCLE_1)
	s_xor_b32 s2, exec_lo, s3
; %bb.899:
	v_cmp_ne_u32_e32 vcc_lo, 0, v35
	v_cndmask_b32_e32 v35, 38, v35, vcc_lo
; %bb.900:
	s_and_not1_saveexec_b32 s3, s2
	s_cbranch_execz .LBB122_906
; %bb.901:
	v_cmp_gt_f64_e32 vcc_lo, 0, v[0:1]
	v_cmp_gt_f64_e64 s2, 0, v[2:3]
	v_xor_b32_e32 v5, 0x80000000, v1
	v_xor_b32_e32 v7, 0x80000000, v3
	s_delay_alu instid0(VALU_DEP_2) | instskip(NEXT) | instid1(VALU_DEP_2)
	v_dual_cndmask_b32 v6, v1, v5 :: v_dual_cndmask_b32 v5, v0, v0
	v_cndmask_b32_e64 v8, v3, v7, s2
	v_cndmask_b32_e64 v7, v2, v2, s2
	s_mov_b32 s2, exec_lo
	s_delay_alu instid0(VALU_DEP_1)
	v_cmpx_ngt_f64_e32 v[5:6], v[7:8]
	s_xor_b32 s2, exec_lo, s2
	s_cbranch_execz .LBB122_903
; %bb.902:
	v_div_scale_f64 v[5:6], null, v[2:3], v[2:3], v[0:1]
	v_div_scale_f64 v[11:12], vcc_lo, v[0:1], v[2:3], v[0:1]
	s_delay_alu instid0(VALU_DEP_2) | instskip(SKIP_2) | instid1(VALU_DEP_1)
	v_rcp_f64_e32 v[7:8], v[5:6]
	s_waitcnt_depctr 0xfff
	v_fma_f64 v[9:10], -v[5:6], v[7:8], 1.0
	v_fma_f64 v[7:8], v[7:8], v[9:10], v[7:8]
	s_delay_alu instid0(VALU_DEP_1) | instskip(NEXT) | instid1(VALU_DEP_1)
	v_fma_f64 v[9:10], -v[5:6], v[7:8], 1.0
	v_fma_f64 v[7:8], v[7:8], v[9:10], v[7:8]
	s_delay_alu instid0(VALU_DEP_1) | instskip(NEXT) | instid1(VALU_DEP_1)
	v_mul_f64 v[9:10], v[11:12], v[7:8]
	v_fma_f64 v[5:6], -v[5:6], v[9:10], v[11:12]
	s_delay_alu instid0(VALU_DEP_1) | instskip(NEXT) | instid1(VALU_DEP_1)
	v_div_fmas_f64 v[5:6], v[5:6], v[7:8], v[9:10]
	v_div_fixup_f64 v[5:6], v[5:6], v[2:3], v[0:1]
	s_delay_alu instid0(VALU_DEP_1) | instskip(NEXT) | instid1(VALU_DEP_1)
	v_fma_f64 v[0:1], v[0:1], v[5:6], v[2:3]
	v_div_scale_f64 v[2:3], null, v[0:1], v[0:1], 1.0
	s_delay_alu instid0(VALU_DEP_1) | instskip(SKIP_2) | instid1(VALU_DEP_1)
	v_rcp_f64_e32 v[7:8], v[2:3]
	s_waitcnt_depctr 0xfff
	v_fma_f64 v[9:10], -v[2:3], v[7:8], 1.0
	v_fma_f64 v[7:8], v[7:8], v[9:10], v[7:8]
	s_delay_alu instid0(VALU_DEP_1) | instskip(NEXT) | instid1(VALU_DEP_1)
	v_fma_f64 v[9:10], -v[2:3], v[7:8], 1.0
	v_fma_f64 v[7:8], v[7:8], v[9:10], v[7:8]
	v_div_scale_f64 v[9:10], vcc_lo, 1.0, v[0:1], 1.0
	s_delay_alu instid0(VALU_DEP_1) | instskip(NEXT) | instid1(VALU_DEP_1)
	v_mul_f64 v[11:12], v[9:10], v[7:8]
	v_fma_f64 v[2:3], -v[2:3], v[11:12], v[9:10]
	s_delay_alu instid0(VALU_DEP_1) | instskip(NEXT) | instid1(VALU_DEP_1)
	v_div_fmas_f64 v[2:3], v[2:3], v[7:8], v[11:12]
	v_div_fixup_f64 v[2:3], v[2:3], v[0:1], 1.0
	s_delay_alu instid0(VALU_DEP_1)
	v_mul_f64 v[0:1], v[5:6], v[2:3]
	v_xor_b32_e32 v3, 0x80000000, v3
.LBB122_903:
	s_and_not1_saveexec_b32 s2, s2
	s_cbranch_execz .LBB122_905
; %bb.904:
	s_delay_alu instid0(VALU_DEP_1) | instskip(SKIP_1) | instid1(VALU_DEP_2)
	v_div_scale_f64 v[5:6], null, v[0:1], v[0:1], v[2:3]
	v_div_scale_f64 v[11:12], vcc_lo, v[2:3], v[0:1], v[2:3]
	v_rcp_f64_e32 v[7:8], v[5:6]
	s_waitcnt_depctr 0xfff
	v_fma_f64 v[9:10], -v[5:6], v[7:8], 1.0
	s_delay_alu instid0(VALU_DEP_1) | instskip(NEXT) | instid1(VALU_DEP_1)
	v_fma_f64 v[7:8], v[7:8], v[9:10], v[7:8]
	v_fma_f64 v[9:10], -v[5:6], v[7:8], 1.0
	s_delay_alu instid0(VALU_DEP_1) | instskip(NEXT) | instid1(VALU_DEP_1)
	v_fma_f64 v[7:8], v[7:8], v[9:10], v[7:8]
	v_mul_f64 v[9:10], v[11:12], v[7:8]
	s_delay_alu instid0(VALU_DEP_1) | instskip(NEXT) | instid1(VALU_DEP_1)
	v_fma_f64 v[5:6], -v[5:6], v[9:10], v[11:12]
	v_div_fmas_f64 v[5:6], v[5:6], v[7:8], v[9:10]
	s_delay_alu instid0(VALU_DEP_1) | instskip(NEXT) | instid1(VALU_DEP_1)
	v_div_fixup_f64 v[5:6], v[5:6], v[0:1], v[2:3]
	v_fma_f64 v[0:1], v[2:3], v[5:6], v[0:1]
	s_delay_alu instid0(VALU_DEP_1) | instskip(NEXT) | instid1(VALU_DEP_1)
	v_div_scale_f64 v[2:3], null, v[0:1], v[0:1], 1.0
	v_rcp_f64_e32 v[7:8], v[2:3]
	s_waitcnt_depctr 0xfff
	v_fma_f64 v[9:10], -v[2:3], v[7:8], 1.0
	s_delay_alu instid0(VALU_DEP_1) | instskip(NEXT) | instid1(VALU_DEP_1)
	v_fma_f64 v[7:8], v[7:8], v[9:10], v[7:8]
	v_fma_f64 v[9:10], -v[2:3], v[7:8], 1.0
	s_delay_alu instid0(VALU_DEP_1) | instskip(SKIP_1) | instid1(VALU_DEP_1)
	v_fma_f64 v[7:8], v[7:8], v[9:10], v[7:8]
	v_div_scale_f64 v[9:10], vcc_lo, 1.0, v[0:1], 1.0
	v_mul_f64 v[11:12], v[9:10], v[7:8]
	s_delay_alu instid0(VALU_DEP_1) | instskip(NEXT) | instid1(VALU_DEP_1)
	v_fma_f64 v[2:3], -v[2:3], v[11:12], v[9:10]
	v_div_fmas_f64 v[2:3], v[2:3], v[7:8], v[11:12]
	s_delay_alu instid0(VALU_DEP_1) | instskip(NEXT) | instid1(VALU_DEP_1)
	v_div_fixup_f64 v[0:1], v[2:3], v[0:1], 1.0
	v_mul_f64 v[2:3], v[5:6], -v[0:1]
.LBB122_905:
	s_or_b32 exec_lo, exec_lo, s2
.LBB122_906:
	s_delay_alu instid0(SALU_CYCLE_1) | instskip(NEXT) | instid1(SALU_CYCLE_1)
	s_or_b32 exec_lo, exec_lo, s3
	s_mov_b32 s2, exec_lo
	v_cmpx_ne_u32_e64 v39, v4
	s_xor_b32 s2, exec_lo, s2
	s_cbranch_execz .LBB122_912
; %bb.907:
	s_mov_b32 s3, exec_lo
	v_cmpx_eq_u32_e32 37, v39
	s_cbranch_execz .LBB122_911
; %bb.908:
	v_cmp_ne_u32_e32 vcc_lo, 37, v4
	s_xor_b32 s6, s4, -1
	s_delay_alu instid0(SALU_CYCLE_1) | instskip(NEXT) | instid1(SALU_CYCLE_1)
	s_and_b32 s7, s6, vcc_lo
	s_and_saveexec_b32 s6, s7
	s_cbranch_execz .LBB122_910
; %bb.909:
	v_ashrrev_i32_e32 v5, 31, v4
	s_delay_alu instid0(VALU_DEP_1) | instskip(NEXT) | instid1(VALU_DEP_1)
	v_lshlrev_b64 v[5:6], 2, v[4:5]
	v_add_co_u32 v5, vcc_lo, v18, v5
	s_delay_alu instid0(VALU_DEP_2)
	v_add_co_ci_u32_e32 v6, vcc_lo, v19, v6, vcc_lo
	s_clause 0x1
	flat_load_b32 v7, v[5:6]
	flat_load_b32 v8, v[18:19] offset:148
	s_waitcnt vmcnt(1) lgkmcnt(1)
	flat_store_b32 v[18:19], v7 offset:148
	s_waitcnt vmcnt(0) lgkmcnt(1)
	flat_store_b32 v[5:6], v8
.LBB122_910:
	s_or_b32 exec_lo, exec_lo, s6
	v_mov_b32_e32 v39, v4
	v_mov_b32_e32 v38, v4
.LBB122_911:
	s_or_b32 exec_lo, exec_lo, s3
.LBB122_912:
	s_and_not1_saveexec_b32 s2, s2
	s_cbranch_execz .LBB122_914
; %bb.913:
	s_clause 0x17
	scratch_load_b128 v[4:7], v167, off
	scratch_load_b128 v[8:11], v166, off
	;; [unrolled: 1-line block ×24, first 2 shown]
	v_mov_b32_e32 v39, 37
	s_waitcnt vmcnt(23)
	ds_store_2addr_b64 v20, v[4:5], v[6:7] offset0:76 offset1:77
	s_waitcnt vmcnt(22)
	ds_store_2addr_b64 v20, v[8:9], v[10:11] offset0:78 offset1:79
	;; [unrolled: 2-line block ×24, first 2 shown]
.LBB122_914:
	s_or_b32 exec_lo, exec_lo, s2
	s_delay_alu instid0(SALU_CYCLE_1)
	s_mov_b32 s2, exec_lo
	s_waitcnt lgkmcnt(0)
	s_waitcnt_vscnt null, 0x0
	s_barrier
	buffer_gl0_inv
	v_cmpx_lt_i32_e32 37, v39
	s_cbranch_execz .LBB122_917
; %bb.915:
	scratch_load_b128 v[4:7], off, off offset:592
	s_mov_b32 s3, 0
	s_waitcnt vmcnt(0)
	v_mul_f64 v[8:9], v[2:3], v[6:7]
	v_mul_f64 v[6:7], v[0:1], v[6:7]
	s_delay_alu instid0(VALU_DEP_2) | instskip(NEXT) | instid1(VALU_DEP_2)
	v_fma_f64 v[0:1], v[0:1], v[4:5], -v[8:9]
	v_fma_f64 v[2:3], v[2:3], v[4:5], v[6:7]
	v_add3_u32 v4, v37, 0, 0x260
	v_mov_b32_e32 v5, 0
	scratch_store_b128 off, v[0:3], off offset:592
.LBB122_916:                            ; =>This Inner Loop Header: Depth=1
	v_readfirstlane_b32 s6, v5
	v_add_nc_u32_e32 v14, s3, v4
	s_delay_alu instid0(VALU_DEP_2)
	s_add_i32 s7, s6, s3
	s_addk_i32 s3, 0x60
	s_add_i32 s6, s7, 0x260
	s_add_i32 s9, s7, 0x270
	;; [unrolled: 1-line block ×5, first 2 shown]
	s_addk_i32 s7, 0x2b0
	s_clause 0x5
	scratch_load_b128 v[6:9], off, s6
	scratch_load_b128 v[10:13], off, s9
	;; [unrolled: 1-line block ×6, first 2 shown]
	ds_load_2addr_b64 v[69:72], v14 offset1:1
	ds_load_2addr_b64 v[77:80], v14 offset0:2 offset1:3
	ds_load_2addr_b64 v[85:88], v14 offset0:4 offset1:5
	;; [unrolled: 1-line block ×5, first 2 shown]
	s_cmpk_lg_i32 s3, 0x180
	s_waitcnt lgkmcnt(5)
	v_mul_f64 v[14:15], v[71:72], v[2:3]
	v_mul_f64 v[16:17], v[69:70], v[2:3]
	s_waitcnt lgkmcnt(4)
	v_mul_f64 v[49:50], v[79:80], v[2:3]
	v_mul_f64 v[57:58], v[77:78], v[2:3]
	;; [unrolled: 3-line block ×6, first 2 shown]
	v_fma_f64 v[14:15], v[69:70], v[0:1], -v[14:15]
	v_fma_f64 v[16:17], v[71:72], v[0:1], v[16:17]
	v_fma_f64 v[49:50], v[77:78], v[0:1], -v[49:50]
	v_fma_f64 v[57:58], v[79:80], v[0:1], v[57:58]
	;; [unrolled: 2-line block ×6, first 2 shown]
	s_waitcnt vmcnt(5)
	v_add_f64 v[6:7], v[6:7], -v[14:15]
	v_add_f64 v[8:9], v[8:9], -v[16:17]
	s_waitcnt vmcnt(4)
	v_add_f64 v[10:11], v[10:11], -v[49:50]
	v_add_f64 v[12:13], v[12:13], -v[57:58]
	;; [unrolled: 3-line block ×6, first 2 shown]
	s_clause 0x5
	scratch_store_b128 off, v[6:9], s6
	scratch_store_b128 off, v[10:13], s9
	;; [unrolled: 1-line block ×6, first 2 shown]
	s_cbranch_scc1 .LBB122_916
.LBB122_917:
	s_or_b32 exec_lo, exec_lo, s2
	s_waitcnt_vscnt null, 0x0
	s_barrier
	buffer_gl0_inv
	scratch_load_b128 v[0:3], v167, off
	v_lshl_add_u32 v4, v39, 4, v20
	s_cmp_lt_i32 s5, 40
	s_waitcnt vmcnt(0)
	ds_store_2addr_b64 v4, v[0:1], v[2:3] offset1:1
	s_waitcnt lgkmcnt(0)
	s_barrier
	buffer_gl0_inv
	ds_load_2addr_b64 v[0:3], v20 offset0:76 offset1:77
	v_mov_b32_e32 v4, 38
	s_cbranch_scc1 .LBB122_920
; %bb.918:
	v_add3_u32 v5, v37, 0, 0x270
	v_mov_b32_e32 v4, 38
	s_mov_b32 s6, 39
	s_set_inst_prefetch_distance 0x1
	.p2align	6
.LBB122_919:                            ; =>This Inner Loop Header: Depth=1
	ds_load_2addr_b64 v[6:9], v5 offset1:1
	s_waitcnt lgkmcnt(1)
	v_cmp_gt_f64_e32 vcc_lo, 0, v[0:1]
	v_xor_b32_e32 v10, 0x80000000, v1
	v_cmp_gt_f64_e64 s2, 0, v[2:3]
	v_xor_b32_e32 v12, 0x80000000, v3
	v_add_nc_u32_e32 v5, 16, v5
	s_waitcnt lgkmcnt(0)
	v_cmp_gt_f64_e64 s3, 0, v[6:7]
	v_mov_b32_e32 v14, v6
	v_dual_mov_b32 v16, v8 :: v_dual_cndmask_b32 v11, v1, v10
	v_xor_b32_e32 v10, 0x80000000, v7
	v_cndmask_b32_e64 v13, v3, v12, s2
	v_xor_b32_e32 v12, 0x80000000, v9
	s_delay_alu instid0(VALU_DEP_3) | instskip(SKIP_2) | instid1(VALU_DEP_2)
	v_cndmask_b32_e64 v15, v7, v10, s3
	v_cmp_gt_f64_e64 s3, 0, v[8:9]
	v_cndmask_b32_e32 v10, v0, v0, vcc_lo
	v_cndmask_b32_e64 v17, v9, v12, s3
	v_cndmask_b32_e64 v12, v2, v2, s2
	s_delay_alu instid0(VALU_DEP_2) | instskip(NEXT) | instid1(VALU_DEP_2)
	v_add_f64 v[14:15], v[14:15], v[16:17]
	v_add_f64 v[10:11], v[10:11], v[12:13]
	s_delay_alu instid0(VALU_DEP_1)
	v_cmp_lt_f64_e32 vcc_lo, v[10:11], v[14:15]
	v_cndmask_b32_e32 v3, v3, v9, vcc_lo
	v_dual_cndmask_b32 v1, v1, v7 :: v_dual_cndmask_b32 v0, v0, v6
	v_cndmask_b32_e32 v2, v2, v8, vcc_lo
	v_cndmask_b32_e64 v4, v4, s6, vcc_lo
	s_add_i32 s6, s6, 1
	s_delay_alu instid0(SALU_CYCLE_1)
	s_cmp_lg_u32 s5, s6
	s_cbranch_scc1 .LBB122_919
.LBB122_920:
	s_set_inst_prefetch_distance 0x2
	s_waitcnt lgkmcnt(0)
	v_cmp_eq_f64_e32 vcc_lo, 0, v[0:1]
	v_cmp_eq_f64_e64 s2, 0, v[2:3]
	s_delay_alu instid0(VALU_DEP_1) | instskip(NEXT) | instid1(SALU_CYCLE_1)
	s_and_b32 s2, vcc_lo, s2
	s_and_saveexec_b32 s3, s2
	s_delay_alu instid0(SALU_CYCLE_1)
	s_xor_b32 s2, exec_lo, s3
; %bb.921:
	v_cmp_ne_u32_e32 vcc_lo, 0, v35
	v_cndmask_b32_e32 v35, 39, v35, vcc_lo
; %bb.922:
	s_and_not1_saveexec_b32 s3, s2
	s_cbranch_execz .LBB122_928
; %bb.923:
	v_cmp_gt_f64_e32 vcc_lo, 0, v[0:1]
	v_cmp_gt_f64_e64 s2, 0, v[2:3]
	v_xor_b32_e32 v5, 0x80000000, v1
	v_xor_b32_e32 v7, 0x80000000, v3
	s_delay_alu instid0(VALU_DEP_2) | instskip(NEXT) | instid1(VALU_DEP_2)
	v_dual_cndmask_b32 v6, v1, v5 :: v_dual_cndmask_b32 v5, v0, v0
	v_cndmask_b32_e64 v8, v3, v7, s2
	v_cndmask_b32_e64 v7, v2, v2, s2
	s_mov_b32 s2, exec_lo
	s_delay_alu instid0(VALU_DEP_1)
	v_cmpx_ngt_f64_e32 v[5:6], v[7:8]
	s_xor_b32 s2, exec_lo, s2
	s_cbranch_execz .LBB122_925
; %bb.924:
	v_div_scale_f64 v[5:6], null, v[2:3], v[2:3], v[0:1]
	v_div_scale_f64 v[11:12], vcc_lo, v[0:1], v[2:3], v[0:1]
	s_delay_alu instid0(VALU_DEP_2) | instskip(SKIP_2) | instid1(VALU_DEP_1)
	v_rcp_f64_e32 v[7:8], v[5:6]
	s_waitcnt_depctr 0xfff
	v_fma_f64 v[9:10], -v[5:6], v[7:8], 1.0
	v_fma_f64 v[7:8], v[7:8], v[9:10], v[7:8]
	s_delay_alu instid0(VALU_DEP_1) | instskip(NEXT) | instid1(VALU_DEP_1)
	v_fma_f64 v[9:10], -v[5:6], v[7:8], 1.0
	v_fma_f64 v[7:8], v[7:8], v[9:10], v[7:8]
	s_delay_alu instid0(VALU_DEP_1) | instskip(NEXT) | instid1(VALU_DEP_1)
	v_mul_f64 v[9:10], v[11:12], v[7:8]
	v_fma_f64 v[5:6], -v[5:6], v[9:10], v[11:12]
	s_delay_alu instid0(VALU_DEP_1) | instskip(NEXT) | instid1(VALU_DEP_1)
	v_div_fmas_f64 v[5:6], v[5:6], v[7:8], v[9:10]
	v_div_fixup_f64 v[5:6], v[5:6], v[2:3], v[0:1]
	s_delay_alu instid0(VALU_DEP_1) | instskip(NEXT) | instid1(VALU_DEP_1)
	v_fma_f64 v[0:1], v[0:1], v[5:6], v[2:3]
	v_div_scale_f64 v[2:3], null, v[0:1], v[0:1], 1.0
	s_delay_alu instid0(VALU_DEP_1) | instskip(SKIP_2) | instid1(VALU_DEP_1)
	v_rcp_f64_e32 v[7:8], v[2:3]
	s_waitcnt_depctr 0xfff
	v_fma_f64 v[9:10], -v[2:3], v[7:8], 1.0
	v_fma_f64 v[7:8], v[7:8], v[9:10], v[7:8]
	s_delay_alu instid0(VALU_DEP_1) | instskip(NEXT) | instid1(VALU_DEP_1)
	v_fma_f64 v[9:10], -v[2:3], v[7:8], 1.0
	v_fma_f64 v[7:8], v[7:8], v[9:10], v[7:8]
	v_div_scale_f64 v[9:10], vcc_lo, 1.0, v[0:1], 1.0
	s_delay_alu instid0(VALU_DEP_1) | instskip(NEXT) | instid1(VALU_DEP_1)
	v_mul_f64 v[11:12], v[9:10], v[7:8]
	v_fma_f64 v[2:3], -v[2:3], v[11:12], v[9:10]
	s_delay_alu instid0(VALU_DEP_1) | instskip(NEXT) | instid1(VALU_DEP_1)
	v_div_fmas_f64 v[2:3], v[2:3], v[7:8], v[11:12]
	v_div_fixup_f64 v[2:3], v[2:3], v[0:1], 1.0
	s_delay_alu instid0(VALU_DEP_1)
	v_mul_f64 v[0:1], v[5:6], v[2:3]
	v_xor_b32_e32 v3, 0x80000000, v3
.LBB122_925:
	s_and_not1_saveexec_b32 s2, s2
	s_cbranch_execz .LBB122_927
; %bb.926:
	s_delay_alu instid0(VALU_DEP_1) | instskip(SKIP_1) | instid1(VALU_DEP_2)
	v_div_scale_f64 v[5:6], null, v[0:1], v[0:1], v[2:3]
	v_div_scale_f64 v[11:12], vcc_lo, v[2:3], v[0:1], v[2:3]
	v_rcp_f64_e32 v[7:8], v[5:6]
	s_waitcnt_depctr 0xfff
	v_fma_f64 v[9:10], -v[5:6], v[7:8], 1.0
	s_delay_alu instid0(VALU_DEP_1) | instskip(NEXT) | instid1(VALU_DEP_1)
	v_fma_f64 v[7:8], v[7:8], v[9:10], v[7:8]
	v_fma_f64 v[9:10], -v[5:6], v[7:8], 1.0
	s_delay_alu instid0(VALU_DEP_1) | instskip(NEXT) | instid1(VALU_DEP_1)
	v_fma_f64 v[7:8], v[7:8], v[9:10], v[7:8]
	v_mul_f64 v[9:10], v[11:12], v[7:8]
	s_delay_alu instid0(VALU_DEP_1) | instskip(NEXT) | instid1(VALU_DEP_1)
	v_fma_f64 v[5:6], -v[5:6], v[9:10], v[11:12]
	v_div_fmas_f64 v[5:6], v[5:6], v[7:8], v[9:10]
	s_delay_alu instid0(VALU_DEP_1) | instskip(NEXT) | instid1(VALU_DEP_1)
	v_div_fixup_f64 v[5:6], v[5:6], v[0:1], v[2:3]
	v_fma_f64 v[0:1], v[2:3], v[5:6], v[0:1]
	s_delay_alu instid0(VALU_DEP_1) | instskip(NEXT) | instid1(VALU_DEP_1)
	v_div_scale_f64 v[2:3], null, v[0:1], v[0:1], 1.0
	v_rcp_f64_e32 v[7:8], v[2:3]
	s_waitcnt_depctr 0xfff
	v_fma_f64 v[9:10], -v[2:3], v[7:8], 1.0
	s_delay_alu instid0(VALU_DEP_1) | instskip(NEXT) | instid1(VALU_DEP_1)
	v_fma_f64 v[7:8], v[7:8], v[9:10], v[7:8]
	v_fma_f64 v[9:10], -v[2:3], v[7:8], 1.0
	s_delay_alu instid0(VALU_DEP_1) | instskip(SKIP_1) | instid1(VALU_DEP_1)
	v_fma_f64 v[7:8], v[7:8], v[9:10], v[7:8]
	v_div_scale_f64 v[9:10], vcc_lo, 1.0, v[0:1], 1.0
	v_mul_f64 v[11:12], v[9:10], v[7:8]
	s_delay_alu instid0(VALU_DEP_1) | instskip(NEXT) | instid1(VALU_DEP_1)
	v_fma_f64 v[2:3], -v[2:3], v[11:12], v[9:10]
	v_div_fmas_f64 v[2:3], v[2:3], v[7:8], v[11:12]
	s_delay_alu instid0(VALU_DEP_1) | instskip(NEXT) | instid1(VALU_DEP_1)
	v_div_fixup_f64 v[0:1], v[2:3], v[0:1], 1.0
	v_mul_f64 v[2:3], v[5:6], -v[0:1]
.LBB122_927:
	s_or_b32 exec_lo, exec_lo, s2
.LBB122_928:
	s_delay_alu instid0(SALU_CYCLE_1) | instskip(NEXT) | instid1(SALU_CYCLE_1)
	s_or_b32 exec_lo, exec_lo, s3
	s_mov_b32 s2, exec_lo
	v_cmpx_ne_u32_e64 v39, v4
	s_xor_b32 s2, exec_lo, s2
	s_cbranch_execz .LBB122_934
; %bb.929:
	s_mov_b32 s3, exec_lo
	v_cmpx_eq_u32_e32 38, v39
	s_cbranch_execz .LBB122_933
; %bb.930:
	v_cmp_ne_u32_e32 vcc_lo, 38, v4
	s_xor_b32 s6, s4, -1
	s_delay_alu instid0(SALU_CYCLE_1) | instskip(NEXT) | instid1(SALU_CYCLE_1)
	s_and_b32 s7, s6, vcc_lo
	s_and_saveexec_b32 s6, s7
	s_cbranch_execz .LBB122_932
; %bb.931:
	v_ashrrev_i32_e32 v5, 31, v4
	s_delay_alu instid0(VALU_DEP_1) | instskip(NEXT) | instid1(VALU_DEP_1)
	v_lshlrev_b64 v[5:6], 2, v[4:5]
	v_add_co_u32 v5, vcc_lo, v18, v5
	s_delay_alu instid0(VALU_DEP_2)
	v_add_co_ci_u32_e32 v6, vcc_lo, v19, v6, vcc_lo
	s_clause 0x1
	flat_load_b32 v7, v[5:6]
	flat_load_b32 v8, v[18:19] offset:152
	s_waitcnt vmcnt(1) lgkmcnt(1)
	flat_store_b32 v[18:19], v7 offset:152
	s_waitcnt vmcnt(0) lgkmcnt(1)
	flat_store_b32 v[5:6], v8
.LBB122_932:
	s_or_b32 exec_lo, exec_lo, s6
	v_mov_b32_e32 v39, v4
	v_mov_b32_e32 v38, v4
.LBB122_933:
	s_or_b32 exec_lo, exec_lo, s3
.LBB122_934:
	s_and_not1_saveexec_b32 s2, s2
	s_cbranch_execz .LBB122_936
; %bb.935:
	s_clause 0x16
	scratch_load_b128 v[4:7], v166, off
	scratch_load_b128 v[8:11], v165, off
	;; [unrolled: 1-line block ×23, first 2 shown]
	v_mov_b32_e32 v39, 38
	s_waitcnt vmcnt(22)
	ds_store_2addr_b64 v20, v[4:5], v[6:7] offset0:78 offset1:79
	s_waitcnt vmcnt(21)
	ds_store_2addr_b64 v20, v[8:9], v[10:11] offset0:80 offset1:81
	;; [unrolled: 2-line block ×23, first 2 shown]
.LBB122_936:
	s_or_b32 exec_lo, exec_lo, s2
	s_delay_alu instid0(SALU_CYCLE_1)
	s_mov_b32 s2, exec_lo
	s_waitcnt lgkmcnt(0)
	s_waitcnt_vscnt null, 0x0
	s_barrier
	buffer_gl0_inv
	v_cmpx_lt_i32_e32 38, v39
	s_cbranch_execz .LBB122_941
; %bb.937:
	scratch_load_b128 v[4:7], off, off offset:608
	s_mov_b32 s3, 0
	s_waitcnt vmcnt(0)
	v_mul_f64 v[8:9], v[2:3], v[6:7]
	v_mul_f64 v[6:7], v[0:1], v[6:7]
	s_delay_alu instid0(VALU_DEP_2) | instskip(NEXT) | instid1(VALU_DEP_2)
	v_fma_f64 v[0:1], v[0:1], v[4:5], -v[8:9]
	v_fma_f64 v[2:3], v[2:3], v[4:5], v[6:7]
	v_add3_u32 v4, v37, 0, 0x270
	v_mov_b32_e32 v5, 0
	scratch_store_b128 off, v[0:3], off offset:608
	s_branch .LBB122_939
.LBB122_938:                            ;   in Loop: Header=BB122_939 Depth=1
	s_and_not1_b32 vcc_lo, exec_lo, s7
	s_cbranch_vccz .LBB122_941
.LBB122_939:                            ; =>This Inner Loop Header: Depth=1
	v_readfirstlane_b32 s6, v5
	v_add_nc_u32_e32 v6, s3, v4
	s_mov_b32 s7, -1
	s_delay_alu instid0(VALU_DEP_2) | instskip(NEXT) | instid1(SALU_CYCLE_1)
	s_add_i32 s6, s6, s3
	s_add_i32 s9, s6, 0x270
	;; [unrolled: 1-line block ×3, first 2 shown]
	scratch_load_b128 v[7:10], off, s9
	s_add_i32 s14, s6, 0x290
	s_clause 0x1
	scratch_load_b128 v[11:14], off, s12
	scratch_load_b128 v[41:44], off, s14
	ds_load_2addr_b64 v[45:48], v6 offset1:1
	ds_load_2addr_b64 v[53:56], v6 offset0:2 offset1:3
	ds_load_2addr_b64 v[61:64], v6 offset0:4 offset1:5
	s_cmpk_eq_i32 s3, 0x140
	s_waitcnt lgkmcnt(2)
	v_mul_f64 v[15:16], v[47:48], v[2:3]
	v_mul_f64 v[49:50], v[45:46], v[2:3]
	s_waitcnt lgkmcnt(1)
	v_mul_f64 v[57:58], v[55:56], v[2:3]
	v_mul_f64 v[65:66], v[53:54], v[2:3]
	;; [unrolled: 3-line block ×3, first 2 shown]
	v_fma_f64 v[15:16], v[45:46], v[0:1], -v[15:16]
	v_fma_f64 v[45:46], v[47:48], v[0:1], v[49:50]
	v_fma_f64 v[47:48], v[53:54], v[0:1], -v[57:58]
	v_fma_f64 v[49:50], v[55:56], v[0:1], v[65:66]
	;; [unrolled: 2-line block ×3, first 2 shown]
	s_waitcnt vmcnt(2)
	v_add_f64 v[7:8], v[7:8], -v[15:16]
	v_add_f64 v[9:10], v[9:10], -v[45:46]
	s_waitcnt vmcnt(1)
	v_add_f64 v[11:12], v[11:12], -v[47:48]
	v_add_f64 v[13:14], v[13:14], -v[49:50]
	;; [unrolled: 3-line block ×3, first 2 shown]
	s_clause 0x2
	scratch_store_b128 off, v[7:10], s9
	scratch_store_b128 off, v[11:14], s12
	;; [unrolled: 1-line block ×3, first 2 shown]
	s_cbranch_scc1 .LBB122_938
; %bb.940:                              ;   in Loop: Header=BB122_939 Depth=1
	s_addk_i32 s6, 0x2a0
	ds_load_2addr_b64 v[11:14], v6 offset0:6 offset1:7
	scratch_load_b128 v[7:10], off, s6
	s_add_i32 s3, s3, 64
	s_mov_b32 s7, 0
	s_waitcnt lgkmcnt(0)
	v_mul_f64 v[15:16], v[13:14], v[2:3]
	v_mul_f64 v[41:42], v[11:12], v[2:3]
	s_delay_alu instid0(VALU_DEP_2) | instskip(NEXT) | instid1(VALU_DEP_2)
	v_fma_f64 v[11:12], v[11:12], v[0:1], -v[15:16]
	v_fma_f64 v[13:14], v[13:14], v[0:1], v[41:42]
	s_waitcnt vmcnt(0)
	s_delay_alu instid0(VALU_DEP_2) | instskip(NEXT) | instid1(VALU_DEP_2)
	v_add_f64 v[6:7], v[7:8], -v[11:12]
	v_add_f64 v[8:9], v[9:10], -v[13:14]
	scratch_store_b128 off, v[6:9], s6
	s_branch .LBB122_938
.LBB122_941:
	s_or_b32 exec_lo, exec_lo, s2
	s_waitcnt_vscnt null, 0x0
	s_barrier
	buffer_gl0_inv
	scratch_load_b128 v[0:3], v166, off
	v_lshl_add_u32 v4, v39, 4, v20
	s_cmp_lt_i32 s5, 41
	s_waitcnt vmcnt(0)
	ds_store_2addr_b64 v4, v[0:1], v[2:3] offset1:1
	s_waitcnt lgkmcnt(0)
	s_barrier
	buffer_gl0_inv
	ds_load_2addr_b64 v[0:3], v20 offset0:78 offset1:79
	v_mov_b32_e32 v4, 39
	s_cbranch_scc1 .LBB122_944
; %bb.942:
	v_add3_u32 v5, v37, 0, 0x280
	v_mov_b32_e32 v4, 39
	s_mov_b32 s6, 40
	s_set_inst_prefetch_distance 0x1
	.p2align	6
.LBB122_943:                            ; =>This Inner Loop Header: Depth=1
	ds_load_2addr_b64 v[6:9], v5 offset1:1
	s_waitcnt lgkmcnt(1)
	v_cmp_gt_f64_e32 vcc_lo, 0, v[0:1]
	v_xor_b32_e32 v10, 0x80000000, v1
	v_cmp_gt_f64_e64 s2, 0, v[2:3]
	v_xor_b32_e32 v12, 0x80000000, v3
	v_add_nc_u32_e32 v5, 16, v5
	s_waitcnt lgkmcnt(0)
	v_cmp_gt_f64_e64 s3, 0, v[6:7]
	v_mov_b32_e32 v14, v6
	v_dual_mov_b32 v16, v8 :: v_dual_cndmask_b32 v11, v1, v10
	v_xor_b32_e32 v10, 0x80000000, v7
	v_cndmask_b32_e64 v13, v3, v12, s2
	v_xor_b32_e32 v12, 0x80000000, v9
	s_delay_alu instid0(VALU_DEP_3) | instskip(SKIP_2) | instid1(VALU_DEP_2)
	v_cndmask_b32_e64 v15, v7, v10, s3
	v_cmp_gt_f64_e64 s3, 0, v[8:9]
	v_cndmask_b32_e32 v10, v0, v0, vcc_lo
	v_cndmask_b32_e64 v17, v9, v12, s3
	v_cndmask_b32_e64 v12, v2, v2, s2
	s_delay_alu instid0(VALU_DEP_2) | instskip(NEXT) | instid1(VALU_DEP_2)
	v_add_f64 v[14:15], v[14:15], v[16:17]
	v_add_f64 v[10:11], v[10:11], v[12:13]
	s_delay_alu instid0(VALU_DEP_1)
	v_cmp_lt_f64_e32 vcc_lo, v[10:11], v[14:15]
	v_cndmask_b32_e32 v3, v3, v9, vcc_lo
	v_dual_cndmask_b32 v1, v1, v7 :: v_dual_cndmask_b32 v0, v0, v6
	v_cndmask_b32_e32 v2, v2, v8, vcc_lo
	v_cndmask_b32_e64 v4, v4, s6, vcc_lo
	s_add_i32 s6, s6, 1
	s_delay_alu instid0(SALU_CYCLE_1)
	s_cmp_lg_u32 s5, s6
	s_cbranch_scc1 .LBB122_943
.LBB122_944:
	s_set_inst_prefetch_distance 0x2
	s_waitcnt lgkmcnt(0)
	v_cmp_eq_f64_e32 vcc_lo, 0, v[0:1]
	v_cmp_eq_f64_e64 s2, 0, v[2:3]
	s_delay_alu instid0(VALU_DEP_1) | instskip(NEXT) | instid1(SALU_CYCLE_1)
	s_and_b32 s2, vcc_lo, s2
	s_and_saveexec_b32 s3, s2
	s_delay_alu instid0(SALU_CYCLE_1)
	s_xor_b32 s2, exec_lo, s3
; %bb.945:
	v_cmp_ne_u32_e32 vcc_lo, 0, v35
	v_cndmask_b32_e32 v35, 40, v35, vcc_lo
; %bb.946:
	s_and_not1_saveexec_b32 s3, s2
	s_cbranch_execz .LBB122_952
; %bb.947:
	v_cmp_gt_f64_e32 vcc_lo, 0, v[0:1]
	v_cmp_gt_f64_e64 s2, 0, v[2:3]
	v_xor_b32_e32 v5, 0x80000000, v1
	v_xor_b32_e32 v7, 0x80000000, v3
	s_delay_alu instid0(VALU_DEP_2) | instskip(NEXT) | instid1(VALU_DEP_2)
	v_dual_cndmask_b32 v6, v1, v5 :: v_dual_cndmask_b32 v5, v0, v0
	v_cndmask_b32_e64 v8, v3, v7, s2
	v_cndmask_b32_e64 v7, v2, v2, s2
	s_mov_b32 s2, exec_lo
	s_delay_alu instid0(VALU_DEP_1)
	v_cmpx_ngt_f64_e32 v[5:6], v[7:8]
	s_xor_b32 s2, exec_lo, s2
	s_cbranch_execz .LBB122_949
; %bb.948:
	v_div_scale_f64 v[5:6], null, v[2:3], v[2:3], v[0:1]
	v_div_scale_f64 v[11:12], vcc_lo, v[0:1], v[2:3], v[0:1]
	s_delay_alu instid0(VALU_DEP_2) | instskip(SKIP_2) | instid1(VALU_DEP_1)
	v_rcp_f64_e32 v[7:8], v[5:6]
	s_waitcnt_depctr 0xfff
	v_fma_f64 v[9:10], -v[5:6], v[7:8], 1.0
	v_fma_f64 v[7:8], v[7:8], v[9:10], v[7:8]
	s_delay_alu instid0(VALU_DEP_1) | instskip(NEXT) | instid1(VALU_DEP_1)
	v_fma_f64 v[9:10], -v[5:6], v[7:8], 1.0
	v_fma_f64 v[7:8], v[7:8], v[9:10], v[7:8]
	s_delay_alu instid0(VALU_DEP_1) | instskip(NEXT) | instid1(VALU_DEP_1)
	v_mul_f64 v[9:10], v[11:12], v[7:8]
	v_fma_f64 v[5:6], -v[5:6], v[9:10], v[11:12]
	s_delay_alu instid0(VALU_DEP_1) | instskip(NEXT) | instid1(VALU_DEP_1)
	v_div_fmas_f64 v[5:6], v[5:6], v[7:8], v[9:10]
	v_div_fixup_f64 v[5:6], v[5:6], v[2:3], v[0:1]
	s_delay_alu instid0(VALU_DEP_1) | instskip(NEXT) | instid1(VALU_DEP_1)
	v_fma_f64 v[0:1], v[0:1], v[5:6], v[2:3]
	v_div_scale_f64 v[2:3], null, v[0:1], v[0:1], 1.0
	s_delay_alu instid0(VALU_DEP_1) | instskip(SKIP_2) | instid1(VALU_DEP_1)
	v_rcp_f64_e32 v[7:8], v[2:3]
	s_waitcnt_depctr 0xfff
	v_fma_f64 v[9:10], -v[2:3], v[7:8], 1.0
	v_fma_f64 v[7:8], v[7:8], v[9:10], v[7:8]
	s_delay_alu instid0(VALU_DEP_1) | instskip(NEXT) | instid1(VALU_DEP_1)
	v_fma_f64 v[9:10], -v[2:3], v[7:8], 1.0
	v_fma_f64 v[7:8], v[7:8], v[9:10], v[7:8]
	v_div_scale_f64 v[9:10], vcc_lo, 1.0, v[0:1], 1.0
	s_delay_alu instid0(VALU_DEP_1) | instskip(NEXT) | instid1(VALU_DEP_1)
	v_mul_f64 v[11:12], v[9:10], v[7:8]
	v_fma_f64 v[2:3], -v[2:3], v[11:12], v[9:10]
	s_delay_alu instid0(VALU_DEP_1) | instskip(NEXT) | instid1(VALU_DEP_1)
	v_div_fmas_f64 v[2:3], v[2:3], v[7:8], v[11:12]
	v_div_fixup_f64 v[2:3], v[2:3], v[0:1], 1.0
	s_delay_alu instid0(VALU_DEP_1)
	v_mul_f64 v[0:1], v[5:6], v[2:3]
	v_xor_b32_e32 v3, 0x80000000, v3
.LBB122_949:
	s_and_not1_saveexec_b32 s2, s2
	s_cbranch_execz .LBB122_951
; %bb.950:
	s_delay_alu instid0(VALU_DEP_1) | instskip(SKIP_1) | instid1(VALU_DEP_2)
	v_div_scale_f64 v[5:6], null, v[0:1], v[0:1], v[2:3]
	v_div_scale_f64 v[11:12], vcc_lo, v[2:3], v[0:1], v[2:3]
	v_rcp_f64_e32 v[7:8], v[5:6]
	s_waitcnt_depctr 0xfff
	v_fma_f64 v[9:10], -v[5:6], v[7:8], 1.0
	s_delay_alu instid0(VALU_DEP_1) | instskip(NEXT) | instid1(VALU_DEP_1)
	v_fma_f64 v[7:8], v[7:8], v[9:10], v[7:8]
	v_fma_f64 v[9:10], -v[5:6], v[7:8], 1.0
	s_delay_alu instid0(VALU_DEP_1) | instskip(NEXT) | instid1(VALU_DEP_1)
	v_fma_f64 v[7:8], v[7:8], v[9:10], v[7:8]
	v_mul_f64 v[9:10], v[11:12], v[7:8]
	s_delay_alu instid0(VALU_DEP_1) | instskip(NEXT) | instid1(VALU_DEP_1)
	v_fma_f64 v[5:6], -v[5:6], v[9:10], v[11:12]
	v_div_fmas_f64 v[5:6], v[5:6], v[7:8], v[9:10]
	s_delay_alu instid0(VALU_DEP_1) | instskip(NEXT) | instid1(VALU_DEP_1)
	v_div_fixup_f64 v[5:6], v[5:6], v[0:1], v[2:3]
	v_fma_f64 v[0:1], v[2:3], v[5:6], v[0:1]
	s_delay_alu instid0(VALU_DEP_1) | instskip(NEXT) | instid1(VALU_DEP_1)
	v_div_scale_f64 v[2:3], null, v[0:1], v[0:1], 1.0
	v_rcp_f64_e32 v[7:8], v[2:3]
	s_waitcnt_depctr 0xfff
	v_fma_f64 v[9:10], -v[2:3], v[7:8], 1.0
	s_delay_alu instid0(VALU_DEP_1) | instskip(NEXT) | instid1(VALU_DEP_1)
	v_fma_f64 v[7:8], v[7:8], v[9:10], v[7:8]
	v_fma_f64 v[9:10], -v[2:3], v[7:8], 1.0
	s_delay_alu instid0(VALU_DEP_1) | instskip(SKIP_1) | instid1(VALU_DEP_1)
	v_fma_f64 v[7:8], v[7:8], v[9:10], v[7:8]
	v_div_scale_f64 v[9:10], vcc_lo, 1.0, v[0:1], 1.0
	v_mul_f64 v[11:12], v[9:10], v[7:8]
	s_delay_alu instid0(VALU_DEP_1) | instskip(NEXT) | instid1(VALU_DEP_1)
	v_fma_f64 v[2:3], -v[2:3], v[11:12], v[9:10]
	v_div_fmas_f64 v[2:3], v[2:3], v[7:8], v[11:12]
	s_delay_alu instid0(VALU_DEP_1) | instskip(NEXT) | instid1(VALU_DEP_1)
	v_div_fixup_f64 v[0:1], v[2:3], v[0:1], 1.0
	v_mul_f64 v[2:3], v[5:6], -v[0:1]
.LBB122_951:
	s_or_b32 exec_lo, exec_lo, s2
.LBB122_952:
	s_delay_alu instid0(SALU_CYCLE_1) | instskip(NEXT) | instid1(SALU_CYCLE_1)
	s_or_b32 exec_lo, exec_lo, s3
	s_mov_b32 s2, exec_lo
	v_cmpx_ne_u32_e64 v39, v4
	s_xor_b32 s2, exec_lo, s2
	s_cbranch_execz .LBB122_958
; %bb.953:
	s_mov_b32 s3, exec_lo
	v_cmpx_eq_u32_e32 39, v39
	s_cbranch_execz .LBB122_957
; %bb.954:
	v_cmp_ne_u32_e32 vcc_lo, 39, v4
	s_xor_b32 s6, s4, -1
	s_delay_alu instid0(SALU_CYCLE_1) | instskip(NEXT) | instid1(SALU_CYCLE_1)
	s_and_b32 s7, s6, vcc_lo
	s_and_saveexec_b32 s6, s7
	s_cbranch_execz .LBB122_956
; %bb.955:
	v_ashrrev_i32_e32 v5, 31, v4
	s_delay_alu instid0(VALU_DEP_1) | instskip(NEXT) | instid1(VALU_DEP_1)
	v_lshlrev_b64 v[5:6], 2, v[4:5]
	v_add_co_u32 v5, vcc_lo, v18, v5
	s_delay_alu instid0(VALU_DEP_2)
	v_add_co_ci_u32_e32 v6, vcc_lo, v19, v6, vcc_lo
	s_clause 0x1
	flat_load_b32 v7, v[5:6]
	flat_load_b32 v8, v[18:19] offset:156
	s_waitcnt vmcnt(1) lgkmcnt(1)
	flat_store_b32 v[18:19], v7 offset:156
	s_waitcnt vmcnt(0) lgkmcnt(1)
	flat_store_b32 v[5:6], v8
.LBB122_956:
	s_or_b32 exec_lo, exec_lo, s6
	v_mov_b32_e32 v39, v4
	v_mov_b32_e32 v38, v4
.LBB122_957:
	s_or_b32 exec_lo, exec_lo, s3
.LBB122_958:
	s_and_not1_saveexec_b32 s2, s2
	s_cbranch_execz .LBB122_960
; %bb.959:
	s_clause 0x15
	scratch_load_b128 v[4:7], v165, off
	scratch_load_b128 v[8:11], v164, off
	;; [unrolled: 1-line block ×22, first 2 shown]
	v_mov_b32_e32 v39, 39
	s_waitcnt vmcnt(21)
	ds_store_2addr_b64 v20, v[4:5], v[6:7] offset0:80 offset1:81
	s_waitcnt vmcnt(20)
	ds_store_2addr_b64 v20, v[8:9], v[10:11] offset0:82 offset1:83
	s_waitcnt vmcnt(19)
	ds_store_2addr_b64 v20, v[12:13], v[14:15] offset0:84 offset1:85
	s_waitcnt vmcnt(18)
	ds_store_2addr_b64 v20, v[41:42], v[43:44] offset0:86 offset1:87
	s_waitcnt vmcnt(17)
	ds_store_2addr_b64 v20, v[45:46], v[47:48] offset0:88 offset1:89
	s_waitcnt vmcnt(16)
	ds_store_2addr_b64 v20, v[53:54], v[55:56] offset0:90 offset1:91
	s_waitcnt vmcnt(15)
	ds_store_2addr_b64 v20, v[61:62], v[63:64] offset0:92 offset1:93
	s_waitcnt vmcnt(14)
	ds_store_2addr_b64 v20, v[69:70], v[71:72] offset0:94 offset1:95
	s_waitcnt vmcnt(13)
	ds_store_2addr_b64 v20, v[77:78], v[79:80] offset0:96 offset1:97
	s_waitcnt vmcnt(12)
	ds_store_2addr_b64 v20, v[85:86], v[87:88] offset0:98 offset1:99
	s_waitcnt vmcnt(11)
	ds_store_2addr_b64 v20, v[89:90], v[91:92] offset0:100 offset1:101
	s_waitcnt vmcnt(10)
	ds_store_2addr_b64 v20, v[93:94], v[95:96] offset0:102 offset1:103
	s_waitcnt vmcnt(9)
	ds_store_2addr_b64 v20, v[97:98], v[99:100] offset0:104 offset1:105
	s_waitcnt vmcnt(8)
	ds_store_2addr_b64 v20, v[126:127], v[128:129] offset0:106 offset1:107
	s_waitcnt vmcnt(7)
	ds_store_2addr_b64 v20, v[137:138], v[139:140] offset0:108 offset1:109
	s_waitcnt vmcnt(6)
	ds_store_2addr_b64 v20, v[171:172], v[173:174] offset0:110 offset1:111
	s_waitcnt vmcnt(5)
	ds_store_2addr_b64 v20, v[175:176], v[177:178] offset0:112 offset1:113
	s_waitcnt vmcnt(4)
	ds_store_2addr_b64 v20, v[179:180], v[181:182] offset0:114 offset1:115
	s_waitcnt vmcnt(3)
	ds_store_2addr_b64 v20, v[183:184], v[185:186] offset0:116 offset1:117
	s_waitcnt vmcnt(2)
	ds_store_2addr_b64 v20, v[187:188], v[189:190] offset0:118 offset1:119
	s_waitcnt vmcnt(1)
	ds_store_2addr_b64 v20, v[191:192], v[193:194] offset0:120 offset1:121
	s_waitcnt vmcnt(0)
	ds_store_2addr_b64 v20, v[195:196], v[197:198] offset0:122 offset1:123
.LBB122_960:
	s_or_b32 exec_lo, exec_lo, s2
	s_delay_alu instid0(SALU_CYCLE_1)
	s_mov_b32 s2, exec_lo
	s_waitcnt lgkmcnt(0)
	s_waitcnt_vscnt null, 0x0
	s_barrier
	buffer_gl0_inv
	v_cmpx_lt_i32_e32 39, v39
	s_cbranch_execz .LBB122_963
; %bb.961:
	scratch_load_b128 v[4:7], off, off offset:624
	s_mov_b32 s3, 0
	s_waitcnt vmcnt(0)
	v_mul_f64 v[8:9], v[2:3], v[6:7]
	v_mul_f64 v[6:7], v[0:1], v[6:7]
	s_delay_alu instid0(VALU_DEP_2) | instskip(NEXT) | instid1(VALU_DEP_2)
	v_fma_f64 v[0:1], v[0:1], v[4:5], -v[8:9]
	v_fma_f64 v[2:3], v[2:3], v[4:5], v[6:7]
	v_add3_u32 v4, v37, 0, 0x280
	scratch_store_b128 off, v[0:3], off offset:624
	s_set_inst_prefetch_distance 0x1
	.p2align	6
.LBB122_962:                            ; =>This Inner Loop Header: Depth=1
	v_add_nc_u32_e64 v5, s3, 0
	v_add_nc_u32_e32 v13, s3, v4
	s_add_i32 s3, s3, 32
	s_delay_alu instid0(SALU_CYCLE_1) | instskip(NEXT) | instid1(VALU_DEP_2)
	s_cmpk_lg_i32 s3, 0x160
	v_add_nc_u32_e32 v17, 0x280, v5
	v_add_nc_u32_e32 v51, 0x290, v5
	s_clause 0x1
	scratch_load_b128 v[5:8], v17, off
	scratch_load_b128 v[9:12], v51, off
	ds_load_2addr_b64 v[41:44], v13 offset1:1
	ds_load_2addr_b64 v[45:48], v13 offset0:2 offset1:3
	s_waitcnt lgkmcnt(1)
	v_mul_f64 v[13:14], v[43:44], v[2:3]
	v_mul_f64 v[15:16], v[41:42], v[2:3]
	s_waitcnt lgkmcnt(0)
	v_mul_f64 v[49:50], v[47:48], v[2:3]
	v_mul_f64 v[53:54], v[45:46], v[2:3]
	s_delay_alu instid0(VALU_DEP_4) | instskip(NEXT) | instid1(VALU_DEP_4)
	v_fma_f64 v[13:14], v[41:42], v[0:1], -v[13:14]
	v_fma_f64 v[15:16], v[43:44], v[0:1], v[15:16]
	s_delay_alu instid0(VALU_DEP_4) | instskip(NEXT) | instid1(VALU_DEP_4)
	v_fma_f64 v[41:42], v[45:46], v[0:1], -v[49:50]
	v_fma_f64 v[43:44], v[47:48], v[0:1], v[53:54]
	s_waitcnt vmcnt(1)
	s_delay_alu instid0(VALU_DEP_4) | instskip(NEXT) | instid1(VALU_DEP_4)
	v_add_f64 v[5:6], v[5:6], -v[13:14]
	v_add_f64 v[7:8], v[7:8], -v[15:16]
	s_waitcnt vmcnt(0)
	s_delay_alu instid0(VALU_DEP_4) | instskip(NEXT) | instid1(VALU_DEP_4)
	v_add_f64 v[9:10], v[9:10], -v[41:42]
	v_add_f64 v[11:12], v[11:12], -v[43:44]
	s_clause 0x1
	scratch_store_b128 v17, v[5:8], off
	scratch_store_b128 v51, v[9:12], off
	s_cbranch_scc1 .LBB122_962
.LBB122_963:
	s_set_inst_prefetch_distance 0x2
	s_or_b32 exec_lo, exec_lo, s2
	s_waitcnt_vscnt null, 0x0
	s_barrier
	buffer_gl0_inv
	scratch_load_b128 v[0:3], v165, off
	v_lshl_add_u32 v4, v39, 4, v20
	s_cmp_lt_i32 s5, 42
	s_waitcnt vmcnt(0)
	ds_store_2addr_b64 v4, v[0:1], v[2:3] offset1:1
	s_waitcnt lgkmcnt(0)
	s_barrier
	buffer_gl0_inv
	ds_load_2addr_b64 v[0:3], v20 offset0:80 offset1:81
	v_mov_b32_e32 v4, 40
	s_cbranch_scc1 .LBB122_966
; %bb.964:
	v_add3_u32 v5, v37, 0, 0x290
	v_mov_b32_e32 v4, 40
	s_mov_b32 s6, 41
	s_set_inst_prefetch_distance 0x1
	.p2align	6
.LBB122_965:                            ; =>This Inner Loop Header: Depth=1
	ds_load_2addr_b64 v[6:9], v5 offset1:1
	s_waitcnt lgkmcnt(1)
	v_cmp_gt_f64_e32 vcc_lo, 0, v[0:1]
	v_xor_b32_e32 v10, 0x80000000, v1
	v_cmp_gt_f64_e64 s2, 0, v[2:3]
	v_xor_b32_e32 v12, 0x80000000, v3
	v_add_nc_u32_e32 v5, 16, v5
	s_waitcnt lgkmcnt(0)
	v_cmp_gt_f64_e64 s3, 0, v[6:7]
	v_mov_b32_e32 v14, v6
	v_dual_mov_b32 v16, v8 :: v_dual_cndmask_b32 v11, v1, v10
	v_xor_b32_e32 v10, 0x80000000, v7
	v_cndmask_b32_e64 v13, v3, v12, s2
	v_xor_b32_e32 v12, 0x80000000, v9
	s_delay_alu instid0(VALU_DEP_3) | instskip(SKIP_2) | instid1(VALU_DEP_2)
	v_cndmask_b32_e64 v15, v7, v10, s3
	v_cmp_gt_f64_e64 s3, 0, v[8:9]
	v_cndmask_b32_e32 v10, v0, v0, vcc_lo
	v_cndmask_b32_e64 v17, v9, v12, s3
	v_cndmask_b32_e64 v12, v2, v2, s2
	s_delay_alu instid0(VALU_DEP_2) | instskip(NEXT) | instid1(VALU_DEP_2)
	v_add_f64 v[14:15], v[14:15], v[16:17]
	v_add_f64 v[10:11], v[10:11], v[12:13]
	s_delay_alu instid0(VALU_DEP_1)
	v_cmp_lt_f64_e32 vcc_lo, v[10:11], v[14:15]
	v_cndmask_b32_e32 v3, v3, v9, vcc_lo
	v_dual_cndmask_b32 v1, v1, v7 :: v_dual_cndmask_b32 v0, v0, v6
	v_cndmask_b32_e32 v2, v2, v8, vcc_lo
	v_cndmask_b32_e64 v4, v4, s6, vcc_lo
	s_add_i32 s6, s6, 1
	s_delay_alu instid0(SALU_CYCLE_1)
	s_cmp_lg_u32 s5, s6
	s_cbranch_scc1 .LBB122_965
.LBB122_966:
	s_set_inst_prefetch_distance 0x2
	s_waitcnt lgkmcnt(0)
	v_cmp_eq_f64_e32 vcc_lo, 0, v[0:1]
	v_cmp_eq_f64_e64 s2, 0, v[2:3]
	s_delay_alu instid0(VALU_DEP_1) | instskip(NEXT) | instid1(SALU_CYCLE_1)
	s_and_b32 s2, vcc_lo, s2
	s_and_saveexec_b32 s3, s2
	s_delay_alu instid0(SALU_CYCLE_1)
	s_xor_b32 s2, exec_lo, s3
; %bb.967:
	v_cmp_ne_u32_e32 vcc_lo, 0, v35
	v_cndmask_b32_e32 v35, 41, v35, vcc_lo
; %bb.968:
	s_and_not1_saveexec_b32 s3, s2
	s_cbranch_execz .LBB122_974
; %bb.969:
	v_cmp_gt_f64_e32 vcc_lo, 0, v[0:1]
	v_cmp_gt_f64_e64 s2, 0, v[2:3]
	v_xor_b32_e32 v5, 0x80000000, v1
	v_xor_b32_e32 v7, 0x80000000, v3
	s_delay_alu instid0(VALU_DEP_2) | instskip(NEXT) | instid1(VALU_DEP_2)
	v_dual_cndmask_b32 v6, v1, v5 :: v_dual_cndmask_b32 v5, v0, v0
	v_cndmask_b32_e64 v8, v3, v7, s2
	v_cndmask_b32_e64 v7, v2, v2, s2
	s_mov_b32 s2, exec_lo
	s_delay_alu instid0(VALU_DEP_1)
	v_cmpx_ngt_f64_e32 v[5:6], v[7:8]
	s_xor_b32 s2, exec_lo, s2
	s_cbranch_execz .LBB122_971
; %bb.970:
	v_div_scale_f64 v[5:6], null, v[2:3], v[2:3], v[0:1]
	v_div_scale_f64 v[11:12], vcc_lo, v[0:1], v[2:3], v[0:1]
	s_delay_alu instid0(VALU_DEP_2) | instskip(SKIP_2) | instid1(VALU_DEP_1)
	v_rcp_f64_e32 v[7:8], v[5:6]
	s_waitcnt_depctr 0xfff
	v_fma_f64 v[9:10], -v[5:6], v[7:8], 1.0
	v_fma_f64 v[7:8], v[7:8], v[9:10], v[7:8]
	s_delay_alu instid0(VALU_DEP_1) | instskip(NEXT) | instid1(VALU_DEP_1)
	v_fma_f64 v[9:10], -v[5:6], v[7:8], 1.0
	v_fma_f64 v[7:8], v[7:8], v[9:10], v[7:8]
	s_delay_alu instid0(VALU_DEP_1) | instskip(NEXT) | instid1(VALU_DEP_1)
	v_mul_f64 v[9:10], v[11:12], v[7:8]
	v_fma_f64 v[5:6], -v[5:6], v[9:10], v[11:12]
	s_delay_alu instid0(VALU_DEP_1) | instskip(NEXT) | instid1(VALU_DEP_1)
	v_div_fmas_f64 v[5:6], v[5:6], v[7:8], v[9:10]
	v_div_fixup_f64 v[5:6], v[5:6], v[2:3], v[0:1]
	s_delay_alu instid0(VALU_DEP_1) | instskip(NEXT) | instid1(VALU_DEP_1)
	v_fma_f64 v[0:1], v[0:1], v[5:6], v[2:3]
	v_div_scale_f64 v[2:3], null, v[0:1], v[0:1], 1.0
	s_delay_alu instid0(VALU_DEP_1) | instskip(SKIP_2) | instid1(VALU_DEP_1)
	v_rcp_f64_e32 v[7:8], v[2:3]
	s_waitcnt_depctr 0xfff
	v_fma_f64 v[9:10], -v[2:3], v[7:8], 1.0
	v_fma_f64 v[7:8], v[7:8], v[9:10], v[7:8]
	s_delay_alu instid0(VALU_DEP_1) | instskip(NEXT) | instid1(VALU_DEP_1)
	v_fma_f64 v[9:10], -v[2:3], v[7:8], 1.0
	v_fma_f64 v[7:8], v[7:8], v[9:10], v[7:8]
	v_div_scale_f64 v[9:10], vcc_lo, 1.0, v[0:1], 1.0
	s_delay_alu instid0(VALU_DEP_1) | instskip(NEXT) | instid1(VALU_DEP_1)
	v_mul_f64 v[11:12], v[9:10], v[7:8]
	v_fma_f64 v[2:3], -v[2:3], v[11:12], v[9:10]
	s_delay_alu instid0(VALU_DEP_1) | instskip(NEXT) | instid1(VALU_DEP_1)
	v_div_fmas_f64 v[2:3], v[2:3], v[7:8], v[11:12]
	v_div_fixup_f64 v[2:3], v[2:3], v[0:1], 1.0
	s_delay_alu instid0(VALU_DEP_1)
	v_mul_f64 v[0:1], v[5:6], v[2:3]
	v_xor_b32_e32 v3, 0x80000000, v3
.LBB122_971:
	s_and_not1_saveexec_b32 s2, s2
	s_cbranch_execz .LBB122_973
; %bb.972:
	s_delay_alu instid0(VALU_DEP_1) | instskip(SKIP_1) | instid1(VALU_DEP_2)
	v_div_scale_f64 v[5:6], null, v[0:1], v[0:1], v[2:3]
	v_div_scale_f64 v[11:12], vcc_lo, v[2:3], v[0:1], v[2:3]
	v_rcp_f64_e32 v[7:8], v[5:6]
	s_waitcnt_depctr 0xfff
	v_fma_f64 v[9:10], -v[5:6], v[7:8], 1.0
	s_delay_alu instid0(VALU_DEP_1) | instskip(NEXT) | instid1(VALU_DEP_1)
	v_fma_f64 v[7:8], v[7:8], v[9:10], v[7:8]
	v_fma_f64 v[9:10], -v[5:6], v[7:8], 1.0
	s_delay_alu instid0(VALU_DEP_1) | instskip(NEXT) | instid1(VALU_DEP_1)
	v_fma_f64 v[7:8], v[7:8], v[9:10], v[7:8]
	v_mul_f64 v[9:10], v[11:12], v[7:8]
	s_delay_alu instid0(VALU_DEP_1) | instskip(NEXT) | instid1(VALU_DEP_1)
	v_fma_f64 v[5:6], -v[5:6], v[9:10], v[11:12]
	v_div_fmas_f64 v[5:6], v[5:6], v[7:8], v[9:10]
	s_delay_alu instid0(VALU_DEP_1) | instskip(NEXT) | instid1(VALU_DEP_1)
	v_div_fixup_f64 v[5:6], v[5:6], v[0:1], v[2:3]
	v_fma_f64 v[0:1], v[2:3], v[5:6], v[0:1]
	s_delay_alu instid0(VALU_DEP_1) | instskip(NEXT) | instid1(VALU_DEP_1)
	v_div_scale_f64 v[2:3], null, v[0:1], v[0:1], 1.0
	v_rcp_f64_e32 v[7:8], v[2:3]
	s_waitcnt_depctr 0xfff
	v_fma_f64 v[9:10], -v[2:3], v[7:8], 1.0
	s_delay_alu instid0(VALU_DEP_1) | instskip(NEXT) | instid1(VALU_DEP_1)
	v_fma_f64 v[7:8], v[7:8], v[9:10], v[7:8]
	v_fma_f64 v[9:10], -v[2:3], v[7:8], 1.0
	s_delay_alu instid0(VALU_DEP_1) | instskip(SKIP_1) | instid1(VALU_DEP_1)
	v_fma_f64 v[7:8], v[7:8], v[9:10], v[7:8]
	v_div_scale_f64 v[9:10], vcc_lo, 1.0, v[0:1], 1.0
	v_mul_f64 v[11:12], v[9:10], v[7:8]
	s_delay_alu instid0(VALU_DEP_1) | instskip(NEXT) | instid1(VALU_DEP_1)
	v_fma_f64 v[2:3], -v[2:3], v[11:12], v[9:10]
	v_div_fmas_f64 v[2:3], v[2:3], v[7:8], v[11:12]
	s_delay_alu instid0(VALU_DEP_1) | instskip(NEXT) | instid1(VALU_DEP_1)
	v_div_fixup_f64 v[0:1], v[2:3], v[0:1], 1.0
	v_mul_f64 v[2:3], v[5:6], -v[0:1]
.LBB122_973:
	s_or_b32 exec_lo, exec_lo, s2
.LBB122_974:
	s_delay_alu instid0(SALU_CYCLE_1) | instskip(NEXT) | instid1(SALU_CYCLE_1)
	s_or_b32 exec_lo, exec_lo, s3
	s_mov_b32 s2, exec_lo
	v_cmpx_ne_u32_e64 v39, v4
	s_xor_b32 s2, exec_lo, s2
	s_cbranch_execz .LBB122_980
; %bb.975:
	s_mov_b32 s3, exec_lo
	v_cmpx_eq_u32_e32 40, v39
	s_cbranch_execz .LBB122_979
; %bb.976:
	v_cmp_ne_u32_e32 vcc_lo, 40, v4
	s_xor_b32 s6, s4, -1
	s_delay_alu instid0(SALU_CYCLE_1) | instskip(NEXT) | instid1(SALU_CYCLE_1)
	s_and_b32 s7, s6, vcc_lo
	s_and_saveexec_b32 s6, s7
	s_cbranch_execz .LBB122_978
; %bb.977:
	v_ashrrev_i32_e32 v5, 31, v4
	s_delay_alu instid0(VALU_DEP_1) | instskip(NEXT) | instid1(VALU_DEP_1)
	v_lshlrev_b64 v[5:6], 2, v[4:5]
	v_add_co_u32 v5, vcc_lo, v18, v5
	s_delay_alu instid0(VALU_DEP_2)
	v_add_co_ci_u32_e32 v6, vcc_lo, v19, v6, vcc_lo
	s_clause 0x1
	flat_load_b32 v7, v[5:6]
	flat_load_b32 v8, v[18:19] offset:160
	s_waitcnt vmcnt(1) lgkmcnt(1)
	flat_store_b32 v[18:19], v7 offset:160
	s_waitcnt vmcnt(0) lgkmcnt(1)
	flat_store_b32 v[5:6], v8
.LBB122_978:
	s_or_b32 exec_lo, exec_lo, s6
	v_mov_b32_e32 v39, v4
	v_mov_b32_e32 v38, v4
.LBB122_979:
	s_or_b32 exec_lo, exec_lo, s3
.LBB122_980:
	s_and_not1_saveexec_b32 s2, s2
	s_cbranch_execz .LBB122_982
; %bb.981:
	s_clause 0x14
	scratch_load_b128 v[4:7], v164, off
	scratch_load_b128 v[8:11], v163, off
	;; [unrolled: 1-line block ×21, first 2 shown]
	v_mov_b32_e32 v39, 40
	s_waitcnt vmcnt(20)
	ds_store_2addr_b64 v20, v[4:5], v[6:7] offset0:82 offset1:83
	s_waitcnt vmcnt(19)
	ds_store_2addr_b64 v20, v[8:9], v[10:11] offset0:84 offset1:85
	;; [unrolled: 2-line block ×21, first 2 shown]
.LBB122_982:
	s_or_b32 exec_lo, exec_lo, s2
	s_delay_alu instid0(SALU_CYCLE_1)
	s_mov_b32 s2, exec_lo
	s_waitcnt lgkmcnt(0)
	s_waitcnt_vscnt null, 0x0
	s_barrier
	buffer_gl0_inv
	v_cmpx_lt_i32_e32 40, v39
	s_cbranch_execz .LBB122_985
; %bb.983:
	scratch_load_b128 v[4:7], off, off offset:640
	s_mov_b32 s3, 0
	s_waitcnt vmcnt(0)
	v_mul_f64 v[8:9], v[2:3], v[6:7]
	v_mul_f64 v[6:7], v[0:1], v[6:7]
	s_delay_alu instid0(VALU_DEP_2) | instskip(NEXT) | instid1(VALU_DEP_2)
	v_fma_f64 v[0:1], v[0:1], v[4:5], -v[8:9]
	v_fma_f64 v[2:3], v[2:3], v[4:5], v[6:7]
	v_add3_u32 v4, v37, 0, 0x290
	v_mov_b32_e32 v5, 0
	scratch_store_b128 off, v[0:3], off offset:640
.LBB122_984:                            ; =>This Inner Loop Header: Depth=1
	v_add_nc_u32_e32 v51, s3, v4
	v_readfirstlane_b32 s6, v5
	ds_load_2addr_b64 v[6:9], v51 offset1:1
	ds_load_2addr_b64 v[10:13], v51 offset0:2 offset1:3
	ds_load_2addr_b64 v[41:44], v51 offset0:4 offset1:5
	;; [unrolled: 1-line block ×5, first 2 shown]
	s_add_i32 s6, s6, s3
	s_addk_i32 s3, 0x70
	s_add_i32 s7, s6, 0x290
	s_add_i32 s9, s6, 0x2a0
	;; [unrolled: 1-line block ×6, first 2 shown]
	s_addk_i32 s6, 0x2f0
	s_cmpk_lg_i32 s3, 0x150
	s_waitcnt lgkmcnt(5)
	v_mul_f64 v[14:15], v[8:9], v[2:3]
	v_mul_f64 v[16:17], v[6:7], v[2:3]
	s_waitcnt lgkmcnt(4)
	v_mul_f64 v[49:50], v[12:13], v[2:3]
	v_mul_f64 v[57:58], v[10:11], v[2:3]
	;; [unrolled: 3-line block ×6, first 2 shown]
	v_fma_f64 v[14:15], v[6:7], v[0:1], -v[14:15]
	v_fma_f64 v[16:17], v[8:9], v[0:1], v[16:17]
	v_fma_f64 v[49:50], v[10:11], v[0:1], -v[49:50]
	v_fma_f64 v[57:58], v[12:13], v[0:1], v[57:58]
	;; [unrolled: 2-line block ×6, first 2 shown]
	scratch_load_b128 v[0:3], off, off offset:640
	s_clause 0x6
	scratch_load_b128 v[6:9], off, s7
	scratch_load_b128 v[10:13], off, s9
	;; [unrolled: 1-line block ×7, first 2 shown]
	ds_load_2addr_b64 v[77:80], v51 offset0:12 offset1:13
	s_waitcnt vmcnt(6)
	v_add_f64 v[6:7], v[6:7], -v[14:15]
	v_add_f64 v[8:9], v[8:9], -v[16:17]
	s_waitcnt vmcnt(5)
	v_add_f64 v[10:11], v[10:11], -v[49:50]
	v_add_f64 v[12:13], v[12:13], -v[57:58]
	s_waitcnt vmcnt(4)
	v_add_f64 v[41:42], v[41:42], -v[65:66]
	s_waitcnt lgkmcnt(0)
	v_mul_f64 v[95:96], v[79:80], v[2:3]
	v_mul_f64 v[97:98], v[77:78], v[2:3]
	v_add_f64 v[43:44], v[43:44], -v[85:86]
	s_waitcnt vmcnt(3)
	v_add_f64 v[45:46], v[45:46], -v[87:88]
	v_add_f64 v[47:48], v[47:48], -v[73:74]
	s_waitcnt vmcnt(2)
	v_add_f64 v[53:54], v[53:54], -v[89:90]
	;; [unrolled: 3-line block ×3, first 2 shown]
	v_add_f64 v[63:64], v[63:64], -v[93:94]
	v_fma_f64 v[77:78], v[77:78], v[0:1], -v[95:96]
	v_fma_f64 v[79:80], v[79:80], v[0:1], v[97:98]
	s_waitcnt vmcnt(0)
	s_delay_alu instid0(VALU_DEP_2) | instskip(NEXT) | instid1(VALU_DEP_2)
	v_add_f64 v[69:70], v[69:70], -v[77:78]
	v_add_f64 v[71:72], v[71:72], -v[79:80]
	s_clause 0x6
	scratch_store_b128 off, v[6:9], s7
	scratch_store_b128 off, v[10:13], s9
	;; [unrolled: 1-line block ×7, first 2 shown]
	s_cbranch_scc1 .LBB122_984
.LBB122_985:
	s_or_b32 exec_lo, exec_lo, s2
	s_waitcnt_vscnt null, 0x0
	s_barrier
	buffer_gl0_inv
	scratch_load_b128 v[0:3], v164, off
	v_lshl_add_u32 v4, v39, 4, v20
	s_cmp_lt_i32 s5, 43
	s_waitcnt vmcnt(0)
	ds_store_2addr_b64 v4, v[0:1], v[2:3] offset1:1
	s_waitcnt lgkmcnt(0)
	s_barrier
	buffer_gl0_inv
	ds_load_2addr_b64 v[0:3], v20 offset0:82 offset1:83
	v_mov_b32_e32 v4, 41
	s_cbranch_scc1 .LBB122_988
; %bb.986:
	v_add3_u32 v5, v37, 0, 0x2a0
	v_mov_b32_e32 v4, 41
	s_mov_b32 s6, 42
	s_set_inst_prefetch_distance 0x1
	.p2align	6
.LBB122_987:                            ; =>This Inner Loop Header: Depth=1
	ds_load_2addr_b64 v[6:9], v5 offset1:1
	s_waitcnt lgkmcnt(1)
	v_cmp_gt_f64_e32 vcc_lo, 0, v[0:1]
	v_xor_b32_e32 v10, 0x80000000, v1
	v_cmp_gt_f64_e64 s2, 0, v[2:3]
	v_xor_b32_e32 v12, 0x80000000, v3
	v_add_nc_u32_e32 v5, 16, v5
	s_waitcnt lgkmcnt(0)
	v_cmp_gt_f64_e64 s3, 0, v[6:7]
	v_mov_b32_e32 v14, v6
	v_dual_mov_b32 v16, v8 :: v_dual_cndmask_b32 v11, v1, v10
	v_xor_b32_e32 v10, 0x80000000, v7
	v_cndmask_b32_e64 v13, v3, v12, s2
	v_xor_b32_e32 v12, 0x80000000, v9
	s_delay_alu instid0(VALU_DEP_3) | instskip(SKIP_2) | instid1(VALU_DEP_2)
	v_cndmask_b32_e64 v15, v7, v10, s3
	v_cmp_gt_f64_e64 s3, 0, v[8:9]
	v_cndmask_b32_e32 v10, v0, v0, vcc_lo
	v_cndmask_b32_e64 v17, v9, v12, s3
	v_cndmask_b32_e64 v12, v2, v2, s2
	s_delay_alu instid0(VALU_DEP_2) | instskip(NEXT) | instid1(VALU_DEP_2)
	v_add_f64 v[14:15], v[14:15], v[16:17]
	v_add_f64 v[10:11], v[10:11], v[12:13]
	s_delay_alu instid0(VALU_DEP_1)
	v_cmp_lt_f64_e32 vcc_lo, v[10:11], v[14:15]
	v_cndmask_b32_e32 v3, v3, v9, vcc_lo
	v_dual_cndmask_b32 v1, v1, v7 :: v_dual_cndmask_b32 v0, v0, v6
	v_cndmask_b32_e32 v2, v2, v8, vcc_lo
	v_cndmask_b32_e64 v4, v4, s6, vcc_lo
	s_add_i32 s6, s6, 1
	s_delay_alu instid0(SALU_CYCLE_1)
	s_cmp_lg_u32 s5, s6
	s_cbranch_scc1 .LBB122_987
.LBB122_988:
	s_set_inst_prefetch_distance 0x2
	s_waitcnt lgkmcnt(0)
	v_cmp_eq_f64_e32 vcc_lo, 0, v[0:1]
	v_cmp_eq_f64_e64 s2, 0, v[2:3]
	s_delay_alu instid0(VALU_DEP_1) | instskip(NEXT) | instid1(SALU_CYCLE_1)
	s_and_b32 s2, vcc_lo, s2
	s_and_saveexec_b32 s3, s2
	s_delay_alu instid0(SALU_CYCLE_1)
	s_xor_b32 s2, exec_lo, s3
; %bb.989:
	v_cmp_ne_u32_e32 vcc_lo, 0, v35
	v_cndmask_b32_e32 v35, 42, v35, vcc_lo
; %bb.990:
	s_and_not1_saveexec_b32 s3, s2
	s_cbranch_execz .LBB122_996
; %bb.991:
	v_cmp_gt_f64_e32 vcc_lo, 0, v[0:1]
	v_cmp_gt_f64_e64 s2, 0, v[2:3]
	v_xor_b32_e32 v5, 0x80000000, v1
	v_xor_b32_e32 v7, 0x80000000, v3
	s_delay_alu instid0(VALU_DEP_2) | instskip(NEXT) | instid1(VALU_DEP_2)
	v_dual_cndmask_b32 v6, v1, v5 :: v_dual_cndmask_b32 v5, v0, v0
	v_cndmask_b32_e64 v8, v3, v7, s2
	v_cndmask_b32_e64 v7, v2, v2, s2
	s_mov_b32 s2, exec_lo
	s_delay_alu instid0(VALU_DEP_1)
	v_cmpx_ngt_f64_e32 v[5:6], v[7:8]
	s_xor_b32 s2, exec_lo, s2
	s_cbranch_execz .LBB122_993
; %bb.992:
	v_div_scale_f64 v[5:6], null, v[2:3], v[2:3], v[0:1]
	v_div_scale_f64 v[11:12], vcc_lo, v[0:1], v[2:3], v[0:1]
	s_delay_alu instid0(VALU_DEP_2) | instskip(SKIP_2) | instid1(VALU_DEP_1)
	v_rcp_f64_e32 v[7:8], v[5:6]
	s_waitcnt_depctr 0xfff
	v_fma_f64 v[9:10], -v[5:6], v[7:8], 1.0
	v_fma_f64 v[7:8], v[7:8], v[9:10], v[7:8]
	s_delay_alu instid0(VALU_DEP_1) | instskip(NEXT) | instid1(VALU_DEP_1)
	v_fma_f64 v[9:10], -v[5:6], v[7:8], 1.0
	v_fma_f64 v[7:8], v[7:8], v[9:10], v[7:8]
	s_delay_alu instid0(VALU_DEP_1) | instskip(NEXT) | instid1(VALU_DEP_1)
	v_mul_f64 v[9:10], v[11:12], v[7:8]
	v_fma_f64 v[5:6], -v[5:6], v[9:10], v[11:12]
	s_delay_alu instid0(VALU_DEP_1) | instskip(NEXT) | instid1(VALU_DEP_1)
	v_div_fmas_f64 v[5:6], v[5:6], v[7:8], v[9:10]
	v_div_fixup_f64 v[5:6], v[5:6], v[2:3], v[0:1]
	s_delay_alu instid0(VALU_DEP_1) | instskip(NEXT) | instid1(VALU_DEP_1)
	v_fma_f64 v[0:1], v[0:1], v[5:6], v[2:3]
	v_div_scale_f64 v[2:3], null, v[0:1], v[0:1], 1.0
	s_delay_alu instid0(VALU_DEP_1) | instskip(SKIP_2) | instid1(VALU_DEP_1)
	v_rcp_f64_e32 v[7:8], v[2:3]
	s_waitcnt_depctr 0xfff
	v_fma_f64 v[9:10], -v[2:3], v[7:8], 1.0
	v_fma_f64 v[7:8], v[7:8], v[9:10], v[7:8]
	s_delay_alu instid0(VALU_DEP_1) | instskip(NEXT) | instid1(VALU_DEP_1)
	v_fma_f64 v[9:10], -v[2:3], v[7:8], 1.0
	v_fma_f64 v[7:8], v[7:8], v[9:10], v[7:8]
	v_div_scale_f64 v[9:10], vcc_lo, 1.0, v[0:1], 1.0
	s_delay_alu instid0(VALU_DEP_1) | instskip(NEXT) | instid1(VALU_DEP_1)
	v_mul_f64 v[11:12], v[9:10], v[7:8]
	v_fma_f64 v[2:3], -v[2:3], v[11:12], v[9:10]
	s_delay_alu instid0(VALU_DEP_1) | instskip(NEXT) | instid1(VALU_DEP_1)
	v_div_fmas_f64 v[2:3], v[2:3], v[7:8], v[11:12]
	v_div_fixup_f64 v[2:3], v[2:3], v[0:1], 1.0
	s_delay_alu instid0(VALU_DEP_1)
	v_mul_f64 v[0:1], v[5:6], v[2:3]
	v_xor_b32_e32 v3, 0x80000000, v3
.LBB122_993:
	s_and_not1_saveexec_b32 s2, s2
	s_cbranch_execz .LBB122_995
; %bb.994:
	s_delay_alu instid0(VALU_DEP_1) | instskip(SKIP_1) | instid1(VALU_DEP_2)
	v_div_scale_f64 v[5:6], null, v[0:1], v[0:1], v[2:3]
	v_div_scale_f64 v[11:12], vcc_lo, v[2:3], v[0:1], v[2:3]
	v_rcp_f64_e32 v[7:8], v[5:6]
	s_waitcnt_depctr 0xfff
	v_fma_f64 v[9:10], -v[5:6], v[7:8], 1.0
	s_delay_alu instid0(VALU_DEP_1) | instskip(NEXT) | instid1(VALU_DEP_1)
	v_fma_f64 v[7:8], v[7:8], v[9:10], v[7:8]
	v_fma_f64 v[9:10], -v[5:6], v[7:8], 1.0
	s_delay_alu instid0(VALU_DEP_1) | instskip(NEXT) | instid1(VALU_DEP_1)
	v_fma_f64 v[7:8], v[7:8], v[9:10], v[7:8]
	v_mul_f64 v[9:10], v[11:12], v[7:8]
	s_delay_alu instid0(VALU_DEP_1) | instskip(NEXT) | instid1(VALU_DEP_1)
	v_fma_f64 v[5:6], -v[5:6], v[9:10], v[11:12]
	v_div_fmas_f64 v[5:6], v[5:6], v[7:8], v[9:10]
	s_delay_alu instid0(VALU_DEP_1) | instskip(NEXT) | instid1(VALU_DEP_1)
	v_div_fixup_f64 v[5:6], v[5:6], v[0:1], v[2:3]
	v_fma_f64 v[0:1], v[2:3], v[5:6], v[0:1]
	s_delay_alu instid0(VALU_DEP_1) | instskip(NEXT) | instid1(VALU_DEP_1)
	v_div_scale_f64 v[2:3], null, v[0:1], v[0:1], 1.0
	v_rcp_f64_e32 v[7:8], v[2:3]
	s_waitcnt_depctr 0xfff
	v_fma_f64 v[9:10], -v[2:3], v[7:8], 1.0
	s_delay_alu instid0(VALU_DEP_1) | instskip(NEXT) | instid1(VALU_DEP_1)
	v_fma_f64 v[7:8], v[7:8], v[9:10], v[7:8]
	v_fma_f64 v[9:10], -v[2:3], v[7:8], 1.0
	s_delay_alu instid0(VALU_DEP_1) | instskip(SKIP_1) | instid1(VALU_DEP_1)
	v_fma_f64 v[7:8], v[7:8], v[9:10], v[7:8]
	v_div_scale_f64 v[9:10], vcc_lo, 1.0, v[0:1], 1.0
	v_mul_f64 v[11:12], v[9:10], v[7:8]
	s_delay_alu instid0(VALU_DEP_1) | instskip(NEXT) | instid1(VALU_DEP_1)
	v_fma_f64 v[2:3], -v[2:3], v[11:12], v[9:10]
	v_div_fmas_f64 v[2:3], v[2:3], v[7:8], v[11:12]
	s_delay_alu instid0(VALU_DEP_1) | instskip(NEXT) | instid1(VALU_DEP_1)
	v_div_fixup_f64 v[0:1], v[2:3], v[0:1], 1.0
	v_mul_f64 v[2:3], v[5:6], -v[0:1]
.LBB122_995:
	s_or_b32 exec_lo, exec_lo, s2
.LBB122_996:
	s_delay_alu instid0(SALU_CYCLE_1) | instskip(NEXT) | instid1(SALU_CYCLE_1)
	s_or_b32 exec_lo, exec_lo, s3
	s_mov_b32 s2, exec_lo
	v_cmpx_ne_u32_e64 v39, v4
	s_xor_b32 s2, exec_lo, s2
	s_cbranch_execz .LBB122_1002
; %bb.997:
	s_mov_b32 s3, exec_lo
	v_cmpx_eq_u32_e32 41, v39
	s_cbranch_execz .LBB122_1001
; %bb.998:
	v_cmp_ne_u32_e32 vcc_lo, 41, v4
	s_xor_b32 s6, s4, -1
	s_delay_alu instid0(SALU_CYCLE_1) | instskip(NEXT) | instid1(SALU_CYCLE_1)
	s_and_b32 s7, s6, vcc_lo
	s_and_saveexec_b32 s6, s7
	s_cbranch_execz .LBB122_1000
; %bb.999:
	v_ashrrev_i32_e32 v5, 31, v4
	s_delay_alu instid0(VALU_DEP_1) | instskip(NEXT) | instid1(VALU_DEP_1)
	v_lshlrev_b64 v[5:6], 2, v[4:5]
	v_add_co_u32 v5, vcc_lo, v18, v5
	s_delay_alu instid0(VALU_DEP_2)
	v_add_co_ci_u32_e32 v6, vcc_lo, v19, v6, vcc_lo
	s_clause 0x1
	flat_load_b32 v7, v[5:6]
	flat_load_b32 v8, v[18:19] offset:164
	s_waitcnt vmcnt(1) lgkmcnt(1)
	flat_store_b32 v[18:19], v7 offset:164
	s_waitcnt vmcnt(0) lgkmcnt(1)
	flat_store_b32 v[5:6], v8
.LBB122_1000:
	s_or_b32 exec_lo, exec_lo, s6
	v_mov_b32_e32 v39, v4
	v_mov_b32_e32 v38, v4
.LBB122_1001:
	s_or_b32 exec_lo, exec_lo, s3
.LBB122_1002:
	s_and_not1_saveexec_b32 s2, s2
	s_cbranch_execz .LBB122_1004
; %bb.1003:
	s_clause 0x13
	scratch_load_b128 v[4:7], v163, off
	scratch_load_b128 v[8:11], v162, off
	;; [unrolled: 1-line block ×20, first 2 shown]
	v_mov_b32_e32 v39, 41
	s_waitcnt vmcnt(19)
	ds_store_2addr_b64 v20, v[4:5], v[6:7] offset0:84 offset1:85
	s_waitcnt vmcnt(18)
	ds_store_2addr_b64 v20, v[8:9], v[10:11] offset0:86 offset1:87
	;; [unrolled: 2-line block ×20, first 2 shown]
.LBB122_1004:
	s_or_b32 exec_lo, exec_lo, s2
	s_delay_alu instid0(SALU_CYCLE_1)
	s_mov_b32 s2, exec_lo
	s_waitcnt lgkmcnt(0)
	s_waitcnt_vscnt null, 0x0
	s_barrier
	buffer_gl0_inv
	v_cmpx_lt_i32_e32 41, v39
	s_cbranch_execz .LBB122_1007
; %bb.1005:
	scratch_load_b128 v[4:7], off, off offset:656
	s_mov_b32 s3, 0
	s_waitcnt vmcnt(0)
	v_mul_f64 v[8:9], v[2:3], v[6:7]
	v_mul_f64 v[6:7], v[0:1], v[6:7]
	s_delay_alu instid0(VALU_DEP_2) | instskip(NEXT) | instid1(VALU_DEP_2)
	v_fma_f64 v[0:1], v[0:1], v[4:5], -v[8:9]
	v_fma_f64 v[2:3], v[2:3], v[4:5], v[6:7]
	v_add3_u32 v4, v37, 0, 0x2a0
	v_mov_b32_e32 v5, 0
	scratch_store_b128 off, v[0:3], off offset:656
.LBB122_1006:                           ; =>This Inner Loop Header: Depth=1
	v_readfirstlane_b32 s6, v5
	v_add_nc_u32_e32 v14, s3, v4
	s_delay_alu instid0(VALU_DEP_2)
	s_add_i32 s6, s6, s3
	s_addk_i32 s3, 0x50
	s_add_i32 s7, s6, 0x2a0
	s_add_i32 s9, s6, 0x2b0
	;; [unrolled: 1-line block ×4, first 2 shown]
	s_addk_i32 s6, 0x2e0
	s_clause 0x4
	scratch_load_b128 v[6:9], off, s7
	scratch_load_b128 v[10:13], off, s9
	;; [unrolled: 1-line block ×5, first 2 shown]
	ds_load_2addr_b64 v[61:64], v14 offset1:1
	ds_load_2addr_b64 v[69:72], v14 offset0:2 offset1:3
	ds_load_2addr_b64 v[77:80], v14 offset0:4 offset1:5
	;; [unrolled: 1-line block ×4, first 2 shown]
	s_cmpk_lg_i32 s3, 0x140
	s_waitcnt lgkmcnt(4)
	v_mul_f64 v[14:15], v[63:64], v[2:3]
	v_mul_f64 v[16:17], v[61:62], v[2:3]
	s_waitcnt lgkmcnt(3)
	v_mul_f64 v[49:50], v[71:72], v[2:3]
	v_mul_f64 v[57:58], v[69:70], v[2:3]
	;; [unrolled: 3-line block ×5, first 2 shown]
	v_fma_f64 v[14:15], v[61:62], v[0:1], -v[14:15]
	v_fma_f64 v[16:17], v[63:64], v[0:1], v[16:17]
	v_fma_f64 v[49:50], v[69:70], v[0:1], -v[49:50]
	v_fma_f64 v[57:58], v[71:72], v[0:1], v[57:58]
	;; [unrolled: 2-line block ×5, first 2 shown]
	s_waitcnt vmcnt(4)
	v_add_f64 v[6:7], v[6:7], -v[14:15]
	v_add_f64 v[8:9], v[8:9], -v[16:17]
	s_waitcnt vmcnt(3)
	v_add_f64 v[10:11], v[10:11], -v[49:50]
	v_add_f64 v[12:13], v[12:13], -v[57:58]
	;; [unrolled: 3-line block ×5, first 2 shown]
	s_clause 0x4
	scratch_store_b128 off, v[6:9], s7
	scratch_store_b128 off, v[10:13], s9
	scratch_store_b128 off, v[41:44], s12
	scratch_store_b128 off, v[45:48], s14
	scratch_store_b128 off, v[53:56], s6
	s_cbranch_scc1 .LBB122_1006
.LBB122_1007:
	s_or_b32 exec_lo, exec_lo, s2
	s_waitcnt_vscnt null, 0x0
	s_barrier
	buffer_gl0_inv
	scratch_load_b128 v[0:3], v163, off
	v_lshl_add_u32 v4, v39, 4, v20
	s_cmp_lt_i32 s5, 44
	s_waitcnt vmcnt(0)
	ds_store_2addr_b64 v4, v[0:1], v[2:3] offset1:1
	s_waitcnt lgkmcnt(0)
	s_barrier
	buffer_gl0_inv
	ds_load_2addr_b64 v[0:3], v20 offset0:84 offset1:85
	v_mov_b32_e32 v4, 42
	s_cbranch_scc1 .LBB122_1010
; %bb.1008:
	v_add3_u32 v5, v37, 0, 0x2b0
	v_mov_b32_e32 v4, 42
	s_mov_b32 s6, 43
	s_set_inst_prefetch_distance 0x1
	.p2align	6
.LBB122_1009:                           ; =>This Inner Loop Header: Depth=1
	ds_load_2addr_b64 v[6:9], v5 offset1:1
	s_waitcnt lgkmcnt(1)
	v_cmp_gt_f64_e32 vcc_lo, 0, v[0:1]
	v_xor_b32_e32 v10, 0x80000000, v1
	v_cmp_gt_f64_e64 s2, 0, v[2:3]
	v_xor_b32_e32 v12, 0x80000000, v3
	v_add_nc_u32_e32 v5, 16, v5
	s_waitcnt lgkmcnt(0)
	v_cmp_gt_f64_e64 s3, 0, v[6:7]
	v_mov_b32_e32 v14, v6
	v_dual_mov_b32 v16, v8 :: v_dual_cndmask_b32 v11, v1, v10
	v_xor_b32_e32 v10, 0x80000000, v7
	v_cndmask_b32_e64 v13, v3, v12, s2
	v_xor_b32_e32 v12, 0x80000000, v9
	s_delay_alu instid0(VALU_DEP_3) | instskip(SKIP_2) | instid1(VALU_DEP_2)
	v_cndmask_b32_e64 v15, v7, v10, s3
	v_cmp_gt_f64_e64 s3, 0, v[8:9]
	v_cndmask_b32_e32 v10, v0, v0, vcc_lo
	v_cndmask_b32_e64 v17, v9, v12, s3
	v_cndmask_b32_e64 v12, v2, v2, s2
	s_delay_alu instid0(VALU_DEP_2) | instskip(NEXT) | instid1(VALU_DEP_2)
	v_add_f64 v[14:15], v[14:15], v[16:17]
	v_add_f64 v[10:11], v[10:11], v[12:13]
	s_delay_alu instid0(VALU_DEP_1)
	v_cmp_lt_f64_e32 vcc_lo, v[10:11], v[14:15]
	v_cndmask_b32_e32 v3, v3, v9, vcc_lo
	v_dual_cndmask_b32 v1, v1, v7 :: v_dual_cndmask_b32 v0, v0, v6
	v_cndmask_b32_e32 v2, v2, v8, vcc_lo
	v_cndmask_b32_e64 v4, v4, s6, vcc_lo
	s_add_i32 s6, s6, 1
	s_delay_alu instid0(SALU_CYCLE_1)
	s_cmp_lg_u32 s5, s6
	s_cbranch_scc1 .LBB122_1009
.LBB122_1010:
	s_set_inst_prefetch_distance 0x2
	s_waitcnt lgkmcnt(0)
	v_cmp_eq_f64_e32 vcc_lo, 0, v[0:1]
	v_cmp_eq_f64_e64 s2, 0, v[2:3]
	s_delay_alu instid0(VALU_DEP_1) | instskip(NEXT) | instid1(SALU_CYCLE_1)
	s_and_b32 s2, vcc_lo, s2
	s_and_saveexec_b32 s3, s2
	s_delay_alu instid0(SALU_CYCLE_1)
	s_xor_b32 s2, exec_lo, s3
; %bb.1011:
	v_cmp_ne_u32_e32 vcc_lo, 0, v35
	v_cndmask_b32_e32 v35, 43, v35, vcc_lo
; %bb.1012:
	s_and_not1_saveexec_b32 s3, s2
	s_cbranch_execz .LBB122_1018
; %bb.1013:
	v_cmp_gt_f64_e32 vcc_lo, 0, v[0:1]
	v_cmp_gt_f64_e64 s2, 0, v[2:3]
	v_xor_b32_e32 v5, 0x80000000, v1
	v_xor_b32_e32 v7, 0x80000000, v3
	s_delay_alu instid0(VALU_DEP_2) | instskip(NEXT) | instid1(VALU_DEP_2)
	v_dual_cndmask_b32 v6, v1, v5 :: v_dual_cndmask_b32 v5, v0, v0
	v_cndmask_b32_e64 v8, v3, v7, s2
	v_cndmask_b32_e64 v7, v2, v2, s2
	s_mov_b32 s2, exec_lo
	s_delay_alu instid0(VALU_DEP_1)
	v_cmpx_ngt_f64_e32 v[5:6], v[7:8]
	s_xor_b32 s2, exec_lo, s2
	s_cbranch_execz .LBB122_1015
; %bb.1014:
	v_div_scale_f64 v[5:6], null, v[2:3], v[2:3], v[0:1]
	v_div_scale_f64 v[11:12], vcc_lo, v[0:1], v[2:3], v[0:1]
	s_delay_alu instid0(VALU_DEP_2) | instskip(SKIP_2) | instid1(VALU_DEP_1)
	v_rcp_f64_e32 v[7:8], v[5:6]
	s_waitcnt_depctr 0xfff
	v_fma_f64 v[9:10], -v[5:6], v[7:8], 1.0
	v_fma_f64 v[7:8], v[7:8], v[9:10], v[7:8]
	s_delay_alu instid0(VALU_DEP_1) | instskip(NEXT) | instid1(VALU_DEP_1)
	v_fma_f64 v[9:10], -v[5:6], v[7:8], 1.0
	v_fma_f64 v[7:8], v[7:8], v[9:10], v[7:8]
	s_delay_alu instid0(VALU_DEP_1) | instskip(NEXT) | instid1(VALU_DEP_1)
	v_mul_f64 v[9:10], v[11:12], v[7:8]
	v_fma_f64 v[5:6], -v[5:6], v[9:10], v[11:12]
	s_delay_alu instid0(VALU_DEP_1) | instskip(NEXT) | instid1(VALU_DEP_1)
	v_div_fmas_f64 v[5:6], v[5:6], v[7:8], v[9:10]
	v_div_fixup_f64 v[5:6], v[5:6], v[2:3], v[0:1]
	s_delay_alu instid0(VALU_DEP_1) | instskip(NEXT) | instid1(VALU_DEP_1)
	v_fma_f64 v[0:1], v[0:1], v[5:6], v[2:3]
	v_div_scale_f64 v[2:3], null, v[0:1], v[0:1], 1.0
	s_delay_alu instid0(VALU_DEP_1) | instskip(SKIP_2) | instid1(VALU_DEP_1)
	v_rcp_f64_e32 v[7:8], v[2:3]
	s_waitcnt_depctr 0xfff
	v_fma_f64 v[9:10], -v[2:3], v[7:8], 1.0
	v_fma_f64 v[7:8], v[7:8], v[9:10], v[7:8]
	s_delay_alu instid0(VALU_DEP_1) | instskip(NEXT) | instid1(VALU_DEP_1)
	v_fma_f64 v[9:10], -v[2:3], v[7:8], 1.0
	v_fma_f64 v[7:8], v[7:8], v[9:10], v[7:8]
	v_div_scale_f64 v[9:10], vcc_lo, 1.0, v[0:1], 1.0
	s_delay_alu instid0(VALU_DEP_1) | instskip(NEXT) | instid1(VALU_DEP_1)
	v_mul_f64 v[11:12], v[9:10], v[7:8]
	v_fma_f64 v[2:3], -v[2:3], v[11:12], v[9:10]
	s_delay_alu instid0(VALU_DEP_1) | instskip(NEXT) | instid1(VALU_DEP_1)
	v_div_fmas_f64 v[2:3], v[2:3], v[7:8], v[11:12]
	v_div_fixup_f64 v[2:3], v[2:3], v[0:1], 1.0
	s_delay_alu instid0(VALU_DEP_1)
	v_mul_f64 v[0:1], v[5:6], v[2:3]
	v_xor_b32_e32 v3, 0x80000000, v3
.LBB122_1015:
	s_and_not1_saveexec_b32 s2, s2
	s_cbranch_execz .LBB122_1017
; %bb.1016:
	s_delay_alu instid0(VALU_DEP_1) | instskip(SKIP_1) | instid1(VALU_DEP_2)
	v_div_scale_f64 v[5:6], null, v[0:1], v[0:1], v[2:3]
	v_div_scale_f64 v[11:12], vcc_lo, v[2:3], v[0:1], v[2:3]
	v_rcp_f64_e32 v[7:8], v[5:6]
	s_waitcnt_depctr 0xfff
	v_fma_f64 v[9:10], -v[5:6], v[7:8], 1.0
	s_delay_alu instid0(VALU_DEP_1) | instskip(NEXT) | instid1(VALU_DEP_1)
	v_fma_f64 v[7:8], v[7:8], v[9:10], v[7:8]
	v_fma_f64 v[9:10], -v[5:6], v[7:8], 1.0
	s_delay_alu instid0(VALU_DEP_1) | instskip(NEXT) | instid1(VALU_DEP_1)
	v_fma_f64 v[7:8], v[7:8], v[9:10], v[7:8]
	v_mul_f64 v[9:10], v[11:12], v[7:8]
	s_delay_alu instid0(VALU_DEP_1) | instskip(NEXT) | instid1(VALU_DEP_1)
	v_fma_f64 v[5:6], -v[5:6], v[9:10], v[11:12]
	v_div_fmas_f64 v[5:6], v[5:6], v[7:8], v[9:10]
	s_delay_alu instid0(VALU_DEP_1) | instskip(NEXT) | instid1(VALU_DEP_1)
	v_div_fixup_f64 v[5:6], v[5:6], v[0:1], v[2:3]
	v_fma_f64 v[0:1], v[2:3], v[5:6], v[0:1]
	s_delay_alu instid0(VALU_DEP_1) | instskip(NEXT) | instid1(VALU_DEP_1)
	v_div_scale_f64 v[2:3], null, v[0:1], v[0:1], 1.0
	v_rcp_f64_e32 v[7:8], v[2:3]
	s_waitcnt_depctr 0xfff
	v_fma_f64 v[9:10], -v[2:3], v[7:8], 1.0
	s_delay_alu instid0(VALU_DEP_1) | instskip(NEXT) | instid1(VALU_DEP_1)
	v_fma_f64 v[7:8], v[7:8], v[9:10], v[7:8]
	v_fma_f64 v[9:10], -v[2:3], v[7:8], 1.0
	s_delay_alu instid0(VALU_DEP_1) | instskip(SKIP_1) | instid1(VALU_DEP_1)
	v_fma_f64 v[7:8], v[7:8], v[9:10], v[7:8]
	v_div_scale_f64 v[9:10], vcc_lo, 1.0, v[0:1], 1.0
	v_mul_f64 v[11:12], v[9:10], v[7:8]
	s_delay_alu instid0(VALU_DEP_1) | instskip(NEXT) | instid1(VALU_DEP_1)
	v_fma_f64 v[2:3], -v[2:3], v[11:12], v[9:10]
	v_div_fmas_f64 v[2:3], v[2:3], v[7:8], v[11:12]
	s_delay_alu instid0(VALU_DEP_1) | instskip(NEXT) | instid1(VALU_DEP_1)
	v_div_fixup_f64 v[0:1], v[2:3], v[0:1], 1.0
	v_mul_f64 v[2:3], v[5:6], -v[0:1]
.LBB122_1017:
	s_or_b32 exec_lo, exec_lo, s2
.LBB122_1018:
	s_delay_alu instid0(SALU_CYCLE_1) | instskip(NEXT) | instid1(SALU_CYCLE_1)
	s_or_b32 exec_lo, exec_lo, s3
	s_mov_b32 s2, exec_lo
	v_cmpx_ne_u32_e64 v39, v4
	s_xor_b32 s2, exec_lo, s2
	s_cbranch_execz .LBB122_1024
; %bb.1019:
	s_mov_b32 s3, exec_lo
	v_cmpx_eq_u32_e32 42, v39
	s_cbranch_execz .LBB122_1023
; %bb.1020:
	v_cmp_ne_u32_e32 vcc_lo, 42, v4
	s_xor_b32 s6, s4, -1
	s_delay_alu instid0(SALU_CYCLE_1) | instskip(NEXT) | instid1(SALU_CYCLE_1)
	s_and_b32 s7, s6, vcc_lo
	s_and_saveexec_b32 s6, s7
	s_cbranch_execz .LBB122_1022
; %bb.1021:
	v_ashrrev_i32_e32 v5, 31, v4
	s_delay_alu instid0(VALU_DEP_1) | instskip(NEXT) | instid1(VALU_DEP_1)
	v_lshlrev_b64 v[5:6], 2, v[4:5]
	v_add_co_u32 v5, vcc_lo, v18, v5
	s_delay_alu instid0(VALU_DEP_2)
	v_add_co_ci_u32_e32 v6, vcc_lo, v19, v6, vcc_lo
	s_clause 0x1
	flat_load_b32 v7, v[5:6]
	flat_load_b32 v8, v[18:19] offset:168
	s_waitcnt vmcnt(1) lgkmcnt(1)
	flat_store_b32 v[18:19], v7 offset:168
	s_waitcnt vmcnt(0) lgkmcnt(1)
	flat_store_b32 v[5:6], v8
.LBB122_1022:
	s_or_b32 exec_lo, exec_lo, s6
	v_mov_b32_e32 v39, v4
	v_mov_b32_e32 v38, v4
.LBB122_1023:
	s_or_b32 exec_lo, exec_lo, s3
.LBB122_1024:
	s_and_not1_saveexec_b32 s2, s2
	s_cbranch_execz .LBB122_1026
; %bb.1025:
	s_clause 0x12
	scratch_load_b128 v[4:7], v162, off
	scratch_load_b128 v[8:11], v161, off
	;; [unrolled: 1-line block ×19, first 2 shown]
	v_mov_b32_e32 v39, 42
	s_waitcnt vmcnt(18)
	ds_store_2addr_b64 v20, v[4:5], v[6:7] offset0:86 offset1:87
	s_waitcnt vmcnt(17)
	ds_store_2addr_b64 v20, v[8:9], v[10:11] offset0:88 offset1:89
	;; [unrolled: 2-line block ×19, first 2 shown]
.LBB122_1026:
	s_or_b32 exec_lo, exec_lo, s2
	s_delay_alu instid0(SALU_CYCLE_1)
	s_mov_b32 s2, exec_lo
	s_waitcnt lgkmcnt(0)
	s_waitcnt_vscnt null, 0x0
	s_barrier
	buffer_gl0_inv
	v_cmpx_lt_i32_e32 42, v39
	s_cbranch_execz .LBB122_1031
; %bb.1027:
	scratch_load_b128 v[4:7], off, off offset:672
	s_mov_b32 s3, 0
	s_waitcnt vmcnt(0)
	v_mul_f64 v[8:9], v[2:3], v[6:7]
	v_mul_f64 v[6:7], v[0:1], v[6:7]
	s_delay_alu instid0(VALU_DEP_2) | instskip(NEXT) | instid1(VALU_DEP_2)
	v_fma_f64 v[0:1], v[0:1], v[4:5], -v[8:9]
	v_fma_f64 v[2:3], v[2:3], v[4:5], v[6:7]
	v_add3_u32 v4, v37, 0, 0x2b0
	v_mov_b32_e32 v5, 0
	scratch_store_b128 off, v[0:3], off offset:672
	s_branch .LBB122_1029
.LBB122_1028:                           ;   in Loop: Header=BB122_1029 Depth=1
	s_and_not1_b32 vcc_lo, exec_lo, s7
	s_cbranch_vccz .LBB122_1031
.LBB122_1029:                           ; =>This Inner Loop Header: Depth=1
	v_readfirstlane_b32 s6, v5
	v_add_nc_u32_e32 v6, s3, v4
	s_mov_b32 s7, -1
	s_delay_alu instid0(VALU_DEP_2) | instskip(NEXT) | instid1(SALU_CYCLE_1)
	s_add_i32 s6, s6, s3
	s_add_i32 s9, s6, 0x2b0
	;; [unrolled: 1-line block ×3, first 2 shown]
	scratch_load_b128 v[7:10], off, s9
	s_add_i32 s14, s6, 0x2d0
	s_clause 0x1
	scratch_load_b128 v[11:14], off, s12
	scratch_load_b128 v[41:44], off, s14
	ds_load_2addr_b64 v[45:48], v6 offset1:1
	ds_load_2addr_b64 v[53:56], v6 offset0:2 offset1:3
	ds_load_2addr_b64 v[61:64], v6 offset0:4 offset1:5
	s_cmpk_eq_i32 s3, 0x100
	s_waitcnt lgkmcnt(2)
	v_mul_f64 v[15:16], v[47:48], v[2:3]
	v_mul_f64 v[49:50], v[45:46], v[2:3]
	s_waitcnt lgkmcnt(1)
	v_mul_f64 v[57:58], v[55:56], v[2:3]
	v_mul_f64 v[65:66], v[53:54], v[2:3]
	;; [unrolled: 3-line block ×3, first 2 shown]
	v_fma_f64 v[15:16], v[45:46], v[0:1], -v[15:16]
	v_fma_f64 v[45:46], v[47:48], v[0:1], v[49:50]
	v_fma_f64 v[47:48], v[53:54], v[0:1], -v[57:58]
	v_fma_f64 v[49:50], v[55:56], v[0:1], v[65:66]
	;; [unrolled: 2-line block ×3, first 2 shown]
	s_waitcnt vmcnt(2)
	v_add_f64 v[7:8], v[7:8], -v[15:16]
	v_add_f64 v[9:10], v[9:10], -v[45:46]
	s_waitcnt vmcnt(1)
	v_add_f64 v[11:12], v[11:12], -v[47:48]
	v_add_f64 v[13:14], v[13:14], -v[49:50]
	;; [unrolled: 3-line block ×3, first 2 shown]
	s_clause 0x2
	scratch_store_b128 off, v[7:10], s9
	scratch_store_b128 off, v[11:14], s12
	scratch_store_b128 off, v[41:44], s14
	s_cbranch_scc1 .LBB122_1028
; %bb.1030:                             ;   in Loop: Header=BB122_1029 Depth=1
	s_addk_i32 s6, 0x2e0
	ds_load_2addr_b64 v[11:14], v6 offset0:6 offset1:7
	scratch_load_b128 v[7:10], off, s6
	s_add_i32 s3, s3, 64
	s_mov_b32 s7, 0
	s_waitcnt lgkmcnt(0)
	v_mul_f64 v[15:16], v[13:14], v[2:3]
	v_mul_f64 v[41:42], v[11:12], v[2:3]
	s_delay_alu instid0(VALU_DEP_2) | instskip(NEXT) | instid1(VALU_DEP_2)
	v_fma_f64 v[11:12], v[11:12], v[0:1], -v[15:16]
	v_fma_f64 v[13:14], v[13:14], v[0:1], v[41:42]
	s_waitcnt vmcnt(0)
	s_delay_alu instid0(VALU_DEP_2) | instskip(NEXT) | instid1(VALU_DEP_2)
	v_add_f64 v[6:7], v[7:8], -v[11:12]
	v_add_f64 v[8:9], v[9:10], -v[13:14]
	scratch_store_b128 off, v[6:9], s6
	s_branch .LBB122_1028
.LBB122_1031:
	s_or_b32 exec_lo, exec_lo, s2
	s_waitcnt_vscnt null, 0x0
	s_barrier
	buffer_gl0_inv
	scratch_load_b128 v[0:3], v162, off
	v_lshl_add_u32 v4, v39, 4, v20
	s_cmp_lt_i32 s5, 45
	s_waitcnt vmcnt(0)
	ds_store_2addr_b64 v4, v[0:1], v[2:3] offset1:1
	s_waitcnt lgkmcnt(0)
	s_barrier
	buffer_gl0_inv
	ds_load_2addr_b64 v[0:3], v20 offset0:86 offset1:87
	v_mov_b32_e32 v4, 43
	s_cbranch_scc1 .LBB122_1034
; %bb.1032:
	v_add3_u32 v5, v37, 0, 0x2c0
	v_mov_b32_e32 v4, 43
	s_mov_b32 s6, 44
	s_set_inst_prefetch_distance 0x1
	.p2align	6
.LBB122_1033:                           ; =>This Inner Loop Header: Depth=1
	ds_load_2addr_b64 v[6:9], v5 offset1:1
	s_waitcnt lgkmcnt(1)
	v_cmp_gt_f64_e32 vcc_lo, 0, v[0:1]
	v_xor_b32_e32 v10, 0x80000000, v1
	v_cmp_gt_f64_e64 s2, 0, v[2:3]
	v_xor_b32_e32 v12, 0x80000000, v3
	v_add_nc_u32_e32 v5, 16, v5
	s_waitcnt lgkmcnt(0)
	v_cmp_gt_f64_e64 s3, 0, v[6:7]
	v_mov_b32_e32 v14, v6
	v_dual_mov_b32 v16, v8 :: v_dual_cndmask_b32 v11, v1, v10
	v_xor_b32_e32 v10, 0x80000000, v7
	v_cndmask_b32_e64 v13, v3, v12, s2
	v_xor_b32_e32 v12, 0x80000000, v9
	s_delay_alu instid0(VALU_DEP_3) | instskip(SKIP_2) | instid1(VALU_DEP_2)
	v_cndmask_b32_e64 v15, v7, v10, s3
	v_cmp_gt_f64_e64 s3, 0, v[8:9]
	v_cndmask_b32_e32 v10, v0, v0, vcc_lo
	v_cndmask_b32_e64 v17, v9, v12, s3
	v_cndmask_b32_e64 v12, v2, v2, s2
	s_delay_alu instid0(VALU_DEP_2) | instskip(NEXT) | instid1(VALU_DEP_2)
	v_add_f64 v[14:15], v[14:15], v[16:17]
	v_add_f64 v[10:11], v[10:11], v[12:13]
	s_delay_alu instid0(VALU_DEP_1)
	v_cmp_lt_f64_e32 vcc_lo, v[10:11], v[14:15]
	v_cndmask_b32_e32 v3, v3, v9, vcc_lo
	v_dual_cndmask_b32 v1, v1, v7 :: v_dual_cndmask_b32 v0, v0, v6
	v_cndmask_b32_e32 v2, v2, v8, vcc_lo
	v_cndmask_b32_e64 v4, v4, s6, vcc_lo
	s_add_i32 s6, s6, 1
	s_delay_alu instid0(SALU_CYCLE_1)
	s_cmp_lg_u32 s5, s6
	s_cbranch_scc1 .LBB122_1033
.LBB122_1034:
	s_set_inst_prefetch_distance 0x2
	s_waitcnt lgkmcnt(0)
	v_cmp_eq_f64_e32 vcc_lo, 0, v[0:1]
	v_cmp_eq_f64_e64 s2, 0, v[2:3]
	s_delay_alu instid0(VALU_DEP_1) | instskip(NEXT) | instid1(SALU_CYCLE_1)
	s_and_b32 s2, vcc_lo, s2
	s_and_saveexec_b32 s3, s2
	s_delay_alu instid0(SALU_CYCLE_1)
	s_xor_b32 s2, exec_lo, s3
; %bb.1035:
	v_cmp_ne_u32_e32 vcc_lo, 0, v35
	v_cndmask_b32_e32 v35, 44, v35, vcc_lo
; %bb.1036:
	s_and_not1_saveexec_b32 s3, s2
	s_cbranch_execz .LBB122_1042
; %bb.1037:
	v_cmp_gt_f64_e32 vcc_lo, 0, v[0:1]
	v_cmp_gt_f64_e64 s2, 0, v[2:3]
	v_xor_b32_e32 v5, 0x80000000, v1
	v_xor_b32_e32 v7, 0x80000000, v3
	s_delay_alu instid0(VALU_DEP_2) | instskip(NEXT) | instid1(VALU_DEP_2)
	v_dual_cndmask_b32 v6, v1, v5 :: v_dual_cndmask_b32 v5, v0, v0
	v_cndmask_b32_e64 v8, v3, v7, s2
	v_cndmask_b32_e64 v7, v2, v2, s2
	s_mov_b32 s2, exec_lo
	s_delay_alu instid0(VALU_DEP_1)
	v_cmpx_ngt_f64_e32 v[5:6], v[7:8]
	s_xor_b32 s2, exec_lo, s2
	s_cbranch_execz .LBB122_1039
; %bb.1038:
	v_div_scale_f64 v[5:6], null, v[2:3], v[2:3], v[0:1]
	v_div_scale_f64 v[11:12], vcc_lo, v[0:1], v[2:3], v[0:1]
	s_delay_alu instid0(VALU_DEP_2) | instskip(SKIP_2) | instid1(VALU_DEP_1)
	v_rcp_f64_e32 v[7:8], v[5:6]
	s_waitcnt_depctr 0xfff
	v_fma_f64 v[9:10], -v[5:6], v[7:8], 1.0
	v_fma_f64 v[7:8], v[7:8], v[9:10], v[7:8]
	s_delay_alu instid0(VALU_DEP_1) | instskip(NEXT) | instid1(VALU_DEP_1)
	v_fma_f64 v[9:10], -v[5:6], v[7:8], 1.0
	v_fma_f64 v[7:8], v[7:8], v[9:10], v[7:8]
	s_delay_alu instid0(VALU_DEP_1) | instskip(NEXT) | instid1(VALU_DEP_1)
	v_mul_f64 v[9:10], v[11:12], v[7:8]
	v_fma_f64 v[5:6], -v[5:6], v[9:10], v[11:12]
	s_delay_alu instid0(VALU_DEP_1) | instskip(NEXT) | instid1(VALU_DEP_1)
	v_div_fmas_f64 v[5:6], v[5:6], v[7:8], v[9:10]
	v_div_fixup_f64 v[5:6], v[5:6], v[2:3], v[0:1]
	s_delay_alu instid0(VALU_DEP_1) | instskip(NEXT) | instid1(VALU_DEP_1)
	v_fma_f64 v[0:1], v[0:1], v[5:6], v[2:3]
	v_div_scale_f64 v[2:3], null, v[0:1], v[0:1], 1.0
	s_delay_alu instid0(VALU_DEP_1) | instskip(SKIP_2) | instid1(VALU_DEP_1)
	v_rcp_f64_e32 v[7:8], v[2:3]
	s_waitcnt_depctr 0xfff
	v_fma_f64 v[9:10], -v[2:3], v[7:8], 1.0
	v_fma_f64 v[7:8], v[7:8], v[9:10], v[7:8]
	s_delay_alu instid0(VALU_DEP_1) | instskip(NEXT) | instid1(VALU_DEP_1)
	v_fma_f64 v[9:10], -v[2:3], v[7:8], 1.0
	v_fma_f64 v[7:8], v[7:8], v[9:10], v[7:8]
	v_div_scale_f64 v[9:10], vcc_lo, 1.0, v[0:1], 1.0
	s_delay_alu instid0(VALU_DEP_1) | instskip(NEXT) | instid1(VALU_DEP_1)
	v_mul_f64 v[11:12], v[9:10], v[7:8]
	v_fma_f64 v[2:3], -v[2:3], v[11:12], v[9:10]
	s_delay_alu instid0(VALU_DEP_1) | instskip(NEXT) | instid1(VALU_DEP_1)
	v_div_fmas_f64 v[2:3], v[2:3], v[7:8], v[11:12]
	v_div_fixup_f64 v[2:3], v[2:3], v[0:1], 1.0
	s_delay_alu instid0(VALU_DEP_1)
	v_mul_f64 v[0:1], v[5:6], v[2:3]
	v_xor_b32_e32 v3, 0x80000000, v3
.LBB122_1039:
	s_and_not1_saveexec_b32 s2, s2
	s_cbranch_execz .LBB122_1041
; %bb.1040:
	s_delay_alu instid0(VALU_DEP_1) | instskip(SKIP_1) | instid1(VALU_DEP_2)
	v_div_scale_f64 v[5:6], null, v[0:1], v[0:1], v[2:3]
	v_div_scale_f64 v[11:12], vcc_lo, v[2:3], v[0:1], v[2:3]
	v_rcp_f64_e32 v[7:8], v[5:6]
	s_waitcnt_depctr 0xfff
	v_fma_f64 v[9:10], -v[5:6], v[7:8], 1.0
	s_delay_alu instid0(VALU_DEP_1) | instskip(NEXT) | instid1(VALU_DEP_1)
	v_fma_f64 v[7:8], v[7:8], v[9:10], v[7:8]
	v_fma_f64 v[9:10], -v[5:6], v[7:8], 1.0
	s_delay_alu instid0(VALU_DEP_1) | instskip(NEXT) | instid1(VALU_DEP_1)
	v_fma_f64 v[7:8], v[7:8], v[9:10], v[7:8]
	v_mul_f64 v[9:10], v[11:12], v[7:8]
	s_delay_alu instid0(VALU_DEP_1) | instskip(NEXT) | instid1(VALU_DEP_1)
	v_fma_f64 v[5:6], -v[5:6], v[9:10], v[11:12]
	v_div_fmas_f64 v[5:6], v[5:6], v[7:8], v[9:10]
	s_delay_alu instid0(VALU_DEP_1) | instskip(NEXT) | instid1(VALU_DEP_1)
	v_div_fixup_f64 v[5:6], v[5:6], v[0:1], v[2:3]
	v_fma_f64 v[0:1], v[2:3], v[5:6], v[0:1]
	s_delay_alu instid0(VALU_DEP_1) | instskip(NEXT) | instid1(VALU_DEP_1)
	v_div_scale_f64 v[2:3], null, v[0:1], v[0:1], 1.0
	v_rcp_f64_e32 v[7:8], v[2:3]
	s_waitcnt_depctr 0xfff
	v_fma_f64 v[9:10], -v[2:3], v[7:8], 1.0
	s_delay_alu instid0(VALU_DEP_1) | instskip(NEXT) | instid1(VALU_DEP_1)
	v_fma_f64 v[7:8], v[7:8], v[9:10], v[7:8]
	v_fma_f64 v[9:10], -v[2:3], v[7:8], 1.0
	s_delay_alu instid0(VALU_DEP_1) | instskip(SKIP_1) | instid1(VALU_DEP_1)
	v_fma_f64 v[7:8], v[7:8], v[9:10], v[7:8]
	v_div_scale_f64 v[9:10], vcc_lo, 1.0, v[0:1], 1.0
	v_mul_f64 v[11:12], v[9:10], v[7:8]
	s_delay_alu instid0(VALU_DEP_1) | instskip(NEXT) | instid1(VALU_DEP_1)
	v_fma_f64 v[2:3], -v[2:3], v[11:12], v[9:10]
	v_div_fmas_f64 v[2:3], v[2:3], v[7:8], v[11:12]
	s_delay_alu instid0(VALU_DEP_1) | instskip(NEXT) | instid1(VALU_DEP_1)
	v_div_fixup_f64 v[0:1], v[2:3], v[0:1], 1.0
	v_mul_f64 v[2:3], v[5:6], -v[0:1]
.LBB122_1041:
	s_or_b32 exec_lo, exec_lo, s2
.LBB122_1042:
	s_delay_alu instid0(SALU_CYCLE_1) | instskip(NEXT) | instid1(SALU_CYCLE_1)
	s_or_b32 exec_lo, exec_lo, s3
	s_mov_b32 s2, exec_lo
	v_cmpx_ne_u32_e64 v39, v4
	s_xor_b32 s2, exec_lo, s2
	s_cbranch_execz .LBB122_1048
; %bb.1043:
	s_mov_b32 s3, exec_lo
	v_cmpx_eq_u32_e32 43, v39
	s_cbranch_execz .LBB122_1047
; %bb.1044:
	v_cmp_ne_u32_e32 vcc_lo, 43, v4
	s_xor_b32 s6, s4, -1
	s_delay_alu instid0(SALU_CYCLE_1) | instskip(NEXT) | instid1(SALU_CYCLE_1)
	s_and_b32 s7, s6, vcc_lo
	s_and_saveexec_b32 s6, s7
	s_cbranch_execz .LBB122_1046
; %bb.1045:
	v_ashrrev_i32_e32 v5, 31, v4
	s_delay_alu instid0(VALU_DEP_1) | instskip(NEXT) | instid1(VALU_DEP_1)
	v_lshlrev_b64 v[5:6], 2, v[4:5]
	v_add_co_u32 v5, vcc_lo, v18, v5
	s_delay_alu instid0(VALU_DEP_2)
	v_add_co_ci_u32_e32 v6, vcc_lo, v19, v6, vcc_lo
	s_clause 0x1
	flat_load_b32 v7, v[5:6]
	flat_load_b32 v8, v[18:19] offset:172
	s_waitcnt vmcnt(1) lgkmcnt(1)
	flat_store_b32 v[18:19], v7 offset:172
	s_waitcnt vmcnt(0) lgkmcnt(1)
	flat_store_b32 v[5:6], v8
.LBB122_1046:
	s_or_b32 exec_lo, exec_lo, s6
	v_mov_b32_e32 v39, v4
	v_mov_b32_e32 v38, v4
.LBB122_1047:
	s_or_b32 exec_lo, exec_lo, s3
.LBB122_1048:
	s_and_not1_saveexec_b32 s2, s2
	s_cbranch_execz .LBB122_1050
; %bb.1049:
	s_clause 0x11
	scratch_load_b128 v[4:7], v161, off
	scratch_load_b128 v[8:11], v160, off
	scratch_load_b128 v[12:15], v159, off
	scratch_load_b128 v[41:44], v158, off
	scratch_load_b128 v[45:48], v157, off
	scratch_load_b128 v[53:56], v156, off
	scratch_load_b128 v[61:64], v155, off
	scratch_load_b128 v[69:72], v154, off
	scratch_load_b128 v[77:80], v153, off
	scratch_load_b128 v[85:88], v152, off
	scratch_load_b128 v[89:92], v151, off
	scratch_load_b128 v[93:96], v150, off
	scratch_load_b128 v[97:100], v149, off
	scratch_load_b128 v[126:129], v148, off
	scratch_load_b128 v[137:140], v147, off
	scratch_load_b128 v[171:174], v146, off
	scratch_load_b128 v[175:178], v145, off
	scratch_load_b128 v[179:182], v144, off
	v_mov_b32_e32 v39, 43
	s_waitcnt vmcnt(17)
	ds_store_2addr_b64 v20, v[4:5], v[6:7] offset0:88 offset1:89
	s_waitcnt vmcnt(16)
	ds_store_2addr_b64 v20, v[8:9], v[10:11] offset0:90 offset1:91
	;; [unrolled: 2-line block ×18, first 2 shown]
.LBB122_1050:
	s_or_b32 exec_lo, exec_lo, s2
	s_delay_alu instid0(SALU_CYCLE_1)
	s_mov_b32 s2, exec_lo
	s_waitcnt lgkmcnt(0)
	s_waitcnt_vscnt null, 0x0
	s_barrier
	buffer_gl0_inv
	v_cmpx_lt_i32_e32 43, v39
	s_cbranch_execz .LBB122_1053
; %bb.1051:
	scratch_load_b128 v[4:7], off, off offset:688
	s_mov_b32 s3, 0
	s_waitcnt vmcnt(0)
	v_mul_f64 v[8:9], v[2:3], v[6:7]
	v_mul_f64 v[6:7], v[0:1], v[6:7]
	s_delay_alu instid0(VALU_DEP_2) | instskip(NEXT) | instid1(VALU_DEP_2)
	v_fma_f64 v[0:1], v[0:1], v[4:5], -v[8:9]
	v_fma_f64 v[2:3], v[2:3], v[4:5], v[6:7]
	v_add3_u32 v4, v37, 0, 0x2c0
	v_mov_b32_e32 v5, 0
	scratch_store_b128 off, v[0:3], off offset:688
.LBB122_1052:                           ; =>This Inner Loop Header: Depth=1
	v_readfirstlane_b32 s6, v5
	v_add_nc_u32_e32 v14, s3, v4
	s_delay_alu instid0(VALU_DEP_2)
	s_add_i32 s7, s6, s3
	s_addk_i32 s3, 0x60
	s_add_i32 s6, s7, 0x2c0
	s_add_i32 s9, s7, 0x2d0
	;; [unrolled: 1-line block ×5, first 2 shown]
	s_addk_i32 s7, 0x310
	s_clause 0x5
	scratch_load_b128 v[6:9], off, s6
	scratch_load_b128 v[10:13], off, s9
	;; [unrolled: 1-line block ×6, first 2 shown]
	ds_load_2addr_b64 v[69:72], v14 offset1:1
	ds_load_2addr_b64 v[77:80], v14 offset0:2 offset1:3
	ds_load_2addr_b64 v[85:88], v14 offset0:4 offset1:5
	;; [unrolled: 1-line block ×5, first 2 shown]
	s_cmpk_lg_i32 s3, 0x120
	s_waitcnt lgkmcnt(5)
	v_mul_f64 v[14:15], v[71:72], v[2:3]
	v_mul_f64 v[16:17], v[69:70], v[2:3]
	s_waitcnt lgkmcnt(4)
	v_mul_f64 v[49:50], v[79:80], v[2:3]
	v_mul_f64 v[57:58], v[77:78], v[2:3]
	s_waitcnt lgkmcnt(3)
	v_mul_f64 v[65:66], v[87:88], v[2:3]
	v_mul_f64 v[73:74], v[85:86], v[2:3]
	s_waitcnt lgkmcnt(2)
	v_mul_f64 v[81:82], v[91:92], v[2:3]
	v_mul_f64 v[106:107], v[89:90], v[2:3]
	s_waitcnt lgkmcnt(1)
	v_mul_f64 v[109:110], v[95:96], v[2:3]
	v_mul_f64 v[113:114], v[93:94], v[2:3]
	s_waitcnt lgkmcnt(0)
	v_mul_f64 v[117:118], v[99:100], v[2:3]
	v_mul_f64 v[121:122], v[97:98], v[2:3]
	v_fma_f64 v[14:15], v[69:70], v[0:1], -v[14:15]
	v_fma_f64 v[16:17], v[71:72], v[0:1], v[16:17]
	v_fma_f64 v[49:50], v[77:78], v[0:1], -v[49:50]
	v_fma_f64 v[57:58], v[79:80], v[0:1], v[57:58]
	v_fma_f64 v[65:66], v[85:86], v[0:1], -v[65:66]
	v_fma_f64 v[69:70], v[87:88], v[0:1], v[73:74]
	v_fma_f64 v[71:72], v[89:90], v[0:1], -v[81:82]
	v_fma_f64 v[73:74], v[91:92], v[0:1], v[106:107]
	v_fma_f64 v[77:78], v[93:94], v[0:1], -v[109:110]
	v_fma_f64 v[79:80], v[95:96], v[0:1], v[113:114]
	v_fma_f64 v[81:82], v[97:98], v[0:1], -v[117:118]
	v_fma_f64 v[85:86], v[99:100], v[0:1], v[121:122]
	s_waitcnt vmcnt(5)
	v_add_f64 v[6:7], v[6:7], -v[14:15]
	v_add_f64 v[8:9], v[8:9], -v[16:17]
	s_waitcnt vmcnt(4)
	v_add_f64 v[10:11], v[10:11], -v[49:50]
	v_add_f64 v[12:13], v[12:13], -v[57:58]
	;; [unrolled: 3-line block ×6, first 2 shown]
	s_clause 0x5
	scratch_store_b128 off, v[6:9], s6
	scratch_store_b128 off, v[10:13], s9
	;; [unrolled: 1-line block ×6, first 2 shown]
	s_cbranch_scc1 .LBB122_1052
.LBB122_1053:
	s_or_b32 exec_lo, exec_lo, s2
	s_waitcnt_vscnt null, 0x0
	s_barrier
	buffer_gl0_inv
	scratch_load_b128 v[0:3], v161, off
	v_lshl_add_u32 v4, v39, 4, v20
	s_cmp_lt_i32 s5, 46
	s_waitcnt vmcnt(0)
	ds_store_2addr_b64 v4, v[0:1], v[2:3] offset1:1
	s_waitcnt lgkmcnt(0)
	s_barrier
	buffer_gl0_inv
	ds_load_2addr_b64 v[0:3], v20 offset0:88 offset1:89
	v_mov_b32_e32 v4, 44
	s_cbranch_scc1 .LBB122_1056
; %bb.1054:
	v_add3_u32 v5, v37, 0, 0x2d0
	v_mov_b32_e32 v4, 44
	s_mov_b32 s6, 45
	s_set_inst_prefetch_distance 0x1
	.p2align	6
.LBB122_1055:                           ; =>This Inner Loop Header: Depth=1
	ds_load_2addr_b64 v[6:9], v5 offset1:1
	s_waitcnt lgkmcnt(1)
	v_cmp_gt_f64_e32 vcc_lo, 0, v[0:1]
	v_xor_b32_e32 v10, 0x80000000, v1
	v_cmp_gt_f64_e64 s2, 0, v[2:3]
	v_xor_b32_e32 v12, 0x80000000, v3
	v_add_nc_u32_e32 v5, 16, v5
	s_waitcnt lgkmcnt(0)
	v_cmp_gt_f64_e64 s3, 0, v[6:7]
	v_mov_b32_e32 v14, v6
	v_dual_mov_b32 v16, v8 :: v_dual_cndmask_b32 v11, v1, v10
	v_xor_b32_e32 v10, 0x80000000, v7
	v_cndmask_b32_e64 v13, v3, v12, s2
	v_xor_b32_e32 v12, 0x80000000, v9
	s_delay_alu instid0(VALU_DEP_3) | instskip(SKIP_2) | instid1(VALU_DEP_2)
	v_cndmask_b32_e64 v15, v7, v10, s3
	v_cmp_gt_f64_e64 s3, 0, v[8:9]
	v_cndmask_b32_e32 v10, v0, v0, vcc_lo
	v_cndmask_b32_e64 v17, v9, v12, s3
	v_cndmask_b32_e64 v12, v2, v2, s2
	s_delay_alu instid0(VALU_DEP_2) | instskip(NEXT) | instid1(VALU_DEP_2)
	v_add_f64 v[14:15], v[14:15], v[16:17]
	v_add_f64 v[10:11], v[10:11], v[12:13]
	s_delay_alu instid0(VALU_DEP_1)
	v_cmp_lt_f64_e32 vcc_lo, v[10:11], v[14:15]
	v_cndmask_b32_e32 v3, v3, v9, vcc_lo
	v_dual_cndmask_b32 v1, v1, v7 :: v_dual_cndmask_b32 v0, v0, v6
	v_cndmask_b32_e32 v2, v2, v8, vcc_lo
	v_cndmask_b32_e64 v4, v4, s6, vcc_lo
	s_add_i32 s6, s6, 1
	s_delay_alu instid0(SALU_CYCLE_1)
	s_cmp_lg_u32 s5, s6
	s_cbranch_scc1 .LBB122_1055
.LBB122_1056:
	s_set_inst_prefetch_distance 0x2
	s_waitcnt lgkmcnt(0)
	v_cmp_eq_f64_e32 vcc_lo, 0, v[0:1]
	v_cmp_eq_f64_e64 s2, 0, v[2:3]
	s_delay_alu instid0(VALU_DEP_1) | instskip(NEXT) | instid1(SALU_CYCLE_1)
	s_and_b32 s2, vcc_lo, s2
	s_and_saveexec_b32 s3, s2
	s_delay_alu instid0(SALU_CYCLE_1)
	s_xor_b32 s2, exec_lo, s3
; %bb.1057:
	v_cmp_ne_u32_e32 vcc_lo, 0, v35
	v_cndmask_b32_e32 v35, 45, v35, vcc_lo
; %bb.1058:
	s_and_not1_saveexec_b32 s3, s2
	s_cbranch_execz .LBB122_1064
; %bb.1059:
	v_cmp_gt_f64_e32 vcc_lo, 0, v[0:1]
	v_cmp_gt_f64_e64 s2, 0, v[2:3]
	v_xor_b32_e32 v5, 0x80000000, v1
	v_xor_b32_e32 v7, 0x80000000, v3
	s_delay_alu instid0(VALU_DEP_2) | instskip(NEXT) | instid1(VALU_DEP_2)
	v_dual_cndmask_b32 v6, v1, v5 :: v_dual_cndmask_b32 v5, v0, v0
	v_cndmask_b32_e64 v8, v3, v7, s2
	v_cndmask_b32_e64 v7, v2, v2, s2
	s_mov_b32 s2, exec_lo
	s_delay_alu instid0(VALU_DEP_1)
	v_cmpx_ngt_f64_e32 v[5:6], v[7:8]
	s_xor_b32 s2, exec_lo, s2
	s_cbranch_execz .LBB122_1061
; %bb.1060:
	v_div_scale_f64 v[5:6], null, v[2:3], v[2:3], v[0:1]
	v_div_scale_f64 v[11:12], vcc_lo, v[0:1], v[2:3], v[0:1]
	s_delay_alu instid0(VALU_DEP_2) | instskip(SKIP_2) | instid1(VALU_DEP_1)
	v_rcp_f64_e32 v[7:8], v[5:6]
	s_waitcnt_depctr 0xfff
	v_fma_f64 v[9:10], -v[5:6], v[7:8], 1.0
	v_fma_f64 v[7:8], v[7:8], v[9:10], v[7:8]
	s_delay_alu instid0(VALU_DEP_1) | instskip(NEXT) | instid1(VALU_DEP_1)
	v_fma_f64 v[9:10], -v[5:6], v[7:8], 1.0
	v_fma_f64 v[7:8], v[7:8], v[9:10], v[7:8]
	s_delay_alu instid0(VALU_DEP_1) | instskip(NEXT) | instid1(VALU_DEP_1)
	v_mul_f64 v[9:10], v[11:12], v[7:8]
	v_fma_f64 v[5:6], -v[5:6], v[9:10], v[11:12]
	s_delay_alu instid0(VALU_DEP_1) | instskip(NEXT) | instid1(VALU_DEP_1)
	v_div_fmas_f64 v[5:6], v[5:6], v[7:8], v[9:10]
	v_div_fixup_f64 v[5:6], v[5:6], v[2:3], v[0:1]
	s_delay_alu instid0(VALU_DEP_1) | instskip(NEXT) | instid1(VALU_DEP_1)
	v_fma_f64 v[0:1], v[0:1], v[5:6], v[2:3]
	v_div_scale_f64 v[2:3], null, v[0:1], v[0:1], 1.0
	s_delay_alu instid0(VALU_DEP_1) | instskip(SKIP_2) | instid1(VALU_DEP_1)
	v_rcp_f64_e32 v[7:8], v[2:3]
	s_waitcnt_depctr 0xfff
	v_fma_f64 v[9:10], -v[2:3], v[7:8], 1.0
	v_fma_f64 v[7:8], v[7:8], v[9:10], v[7:8]
	s_delay_alu instid0(VALU_DEP_1) | instskip(NEXT) | instid1(VALU_DEP_1)
	v_fma_f64 v[9:10], -v[2:3], v[7:8], 1.0
	v_fma_f64 v[7:8], v[7:8], v[9:10], v[7:8]
	v_div_scale_f64 v[9:10], vcc_lo, 1.0, v[0:1], 1.0
	s_delay_alu instid0(VALU_DEP_1) | instskip(NEXT) | instid1(VALU_DEP_1)
	v_mul_f64 v[11:12], v[9:10], v[7:8]
	v_fma_f64 v[2:3], -v[2:3], v[11:12], v[9:10]
	s_delay_alu instid0(VALU_DEP_1) | instskip(NEXT) | instid1(VALU_DEP_1)
	v_div_fmas_f64 v[2:3], v[2:3], v[7:8], v[11:12]
	v_div_fixup_f64 v[2:3], v[2:3], v[0:1], 1.0
	s_delay_alu instid0(VALU_DEP_1)
	v_mul_f64 v[0:1], v[5:6], v[2:3]
	v_xor_b32_e32 v3, 0x80000000, v3
.LBB122_1061:
	s_and_not1_saveexec_b32 s2, s2
	s_cbranch_execz .LBB122_1063
; %bb.1062:
	s_delay_alu instid0(VALU_DEP_1) | instskip(SKIP_1) | instid1(VALU_DEP_2)
	v_div_scale_f64 v[5:6], null, v[0:1], v[0:1], v[2:3]
	v_div_scale_f64 v[11:12], vcc_lo, v[2:3], v[0:1], v[2:3]
	v_rcp_f64_e32 v[7:8], v[5:6]
	s_waitcnt_depctr 0xfff
	v_fma_f64 v[9:10], -v[5:6], v[7:8], 1.0
	s_delay_alu instid0(VALU_DEP_1) | instskip(NEXT) | instid1(VALU_DEP_1)
	v_fma_f64 v[7:8], v[7:8], v[9:10], v[7:8]
	v_fma_f64 v[9:10], -v[5:6], v[7:8], 1.0
	s_delay_alu instid0(VALU_DEP_1) | instskip(NEXT) | instid1(VALU_DEP_1)
	v_fma_f64 v[7:8], v[7:8], v[9:10], v[7:8]
	v_mul_f64 v[9:10], v[11:12], v[7:8]
	s_delay_alu instid0(VALU_DEP_1) | instskip(NEXT) | instid1(VALU_DEP_1)
	v_fma_f64 v[5:6], -v[5:6], v[9:10], v[11:12]
	v_div_fmas_f64 v[5:6], v[5:6], v[7:8], v[9:10]
	s_delay_alu instid0(VALU_DEP_1) | instskip(NEXT) | instid1(VALU_DEP_1)
	v_div_fixup_f64 v[5:6], v[5:6], v[0:1], v[2:3]
	v_fma_f64 v[0:1], v[2:3], v[5:6], v[0:1]
	s_delay_alu instid0(VALU_DEP_1) | instskip(NEXT) | instid1(VALU_DEP_1)
	v_div_scale_f64 v[2:3], null, v[0:1], v[0:1], 1.0
	v_rcp_f64_e32 v[7:8], v[2:3]
	s_waitcnt_depctr 0xfff
	v_fma_f64 v[9:10], -v[2:3], v[7:8], 1.0
	s_delay_alu instid0(VALU_DEP_1) | instskip(NEXT) | instid1(VALU_DEP_1)
	v_fma_f64 v[7:8], v[7:8], v[9:10], v[7:8]
	v_fma_f64 v[9:10], -v[2:3], v[7:8], 1.0
	s_delay_alu instid0(VALU_DEP_1) | instskip(SKIP_1) | instid1(VALU_DEP_1)
	v_fma_f64 v[7:8], v[7:8], v[9:10], v[7:8]
	v_div_scale_f64 v[9:10], vcc_lo, 1.0, v[0:1], 1.0
	v_mul_f64 v[11:12], v[9:10], v[7:8]
	s_delay_alu instid0(VALU_DEP_1) | instskip(NEXT) | instid1(VALU_DEP_1)
	v_fma_f64 v[2:3], -v[2:3], v[11:12], v[9:10]
	v_div_fmas_f64 v[2:3], v[2:3], v[7:8], v[11:12]
	s_delay_alu instid0(VALU_DEP_1) | instskip(NEXT) | instid1(VALU_DEP_1)
	v_div_fixup_f64 v[0:1], v[2:3], v[0:1], 1.0
	v_mul_f64 v[2:3], v[5:6], -v[0:1]
.LBB122_1063:
	s_or_b32 exec_lo, exec_lo, s2
.LBB122_1064:
	s_delay_alu instid0(SALU_CYCLE_1) | instskip(NEXT) | instid1(SALU_CYCLE_1)
	s_or_b32 exec_lo, exec_lo, s3
	s_mov_b32 s2, exec_lo
	v_cmpx_ne_u32_e64 v39, v4
	s_xor_b32 s2, exec_lo, s2
	s_cbranch_execz .LBB122_1070
; %bb.1065:
	s_mov_b32 s3, exec_lo
	v_cmpx_eq_u32_e32 44, v39
	s_cbranch_execz .LBB122_1069
; %bb.1066:
	v_cmp_ne_u32_e32 vcc_lo, 44, v4
	s_xor_b32 s6, s4, -1
	s_delay_alu instid0(SALU_CYCLE_1) | instskip(NEXT) | instid1(SALU_CYCLE_1)
	s_and_b32 s7, s6, vcc_lo
	s_and_saveexec_b32 s6, s7
	s_cbranch_execz .LBB122_1068
; %bb.1067:
	v_ashrrev_i32_e32 v5, 31, v4
	s_delay_alu instid0(VALU_DEP_1) | instskip(NEXT) | instid1(VALU_DEP_1)
	v_lshlrev_b64 v[5:6], 2, v[4:5]
	v_add_co_u32 v5, vcc_lo, v18, v5
	s_delay_alu instid0(VALU_DEP_2)
	v_add_co_ci_u32_e32 v6, vcc_lo, v19, v6, vcc_lo
	s_clause 0x1
	flat_load_b32 v7, v[5:6]
	flat_load_b32 v8, v[18:19] offset:176
	s_waitcnt vmcnt(1) lgkmcnt(1)
	flat_store_b32 v[18:19], v7 offset:176
	s_waitcnt vmcnt(0) lgkmcnt(1)
	flat_store_b32 v[5:6], v8
.LBB122_1068:
	s_or_b32 exec_lo, exec_lo, s6
	v_mov_b32_e32 v39, v4
	v_mov_b32_e32 v38, v4
.LBB122_1069:
	s_or_b32 exec_lo, exec_lo, s3
.LBB122_1070:
	s_and_not1_saveexec_b32 s2, s2
	s_cbranch_execz .LBB122_1072
; %bb.1071:
	s_clause 0x10
	scratch_load_b128 v[4:7], v160, off
	scratch_load_b128 v[8:11], v159, off
	;; [unrolled: 1-line block ×17, first 2 shown]
	v_mov_b32_e32 v39, 44
	s_waitcnt vmcnt(16)
	ds_store_2addr_b64 v20, v[4:5], v[6:7] offset0:90 offset1:91
	s_waitcnt vmcnt(15)
	ds_store_2addr_b64 v20, v[8:9], v[10:11] offset0:92 offset1:93
	;; [unrolled: 2-line block ×17, first 2 shown]
.LBB122_1072:
	s_or_b32 exec_lo, exec_lo, s2
	s_delay_alu instid0(SALU_CYCLE_1)
	s_mov_b32 s2, exec_lo
	s_waitcnt lgkmcnt(0)
	s_waitcnt_vscnt null, 0x0
	s_barrier
	buffer_gl0_inv
	v_cmpx_lt_i32_e32 44, v39
	s_cbranch_execz .LBB122_1074
; %bb.1073:
	s_clause 0x1
	scratch_load_b128 v[4:7], off, off offset:704
	scratch_load_b128 v[8:11], off, off offset:720
	s_waitcnt vmcnt(1)
	v_mul_f64 v[12:13], v[0:1], v[6:7]
	v_mul_f64 v[6:7], v[2:3], v[6:7]
	s_delay_alu instid0(VALU_DEP_2)
	v_fma_f64 v[2:3], v[2:3], v[4:5], v[12:13]
	ds_load_2addr_b64 v[12:15], v20 offset0:90 offset1:91
	ds_load_2addr_b64 v[41:44], v20 offset0:94 offset1:95
	;; [unrolled: 1-line block ×3, first 2 shown]
	v_fma_f64 v[0:1], v[0:1], v[4:5], -v[6:7]
	ds_load_2addr_b64 v[4:7], v20 offset0:96 offset1:97
	ds_load_2addr_b64 v[53:56], v20 offset0:98 offset1:99
	s_waitcnt lgkmcnt(4)
	v_mul_f64 v[16:17], v[14:15], v[2:3]
	v_mul_f64 v[49:50], v[12:13], v[2:3]
	s_waitcnt lgkmcnt(3)
	v_mul_f64 v[57:58], v[43:44], v[2:3]
	v_mul_f64 v[61:62], v[41:42], v[2:3]
	;; [unrolled: 3-line block ×4, first 2 shown]
	scratch_store_b128 off, v[0:3], off offset:704
	v_fma_f64 v[16:17], v[12:13], v[0:1], -v[16:17]
	v_fma_f64 v[49:50], v[14:15], v[0:1], v[49:50]
	ds_load_2addr_b64 v[12:15], v20 offset0:100 offset1:101
	v_fma_f64 v[57:58], v[41:42], v[0:1], -v[57:58]
	v_mul_f64 v[41:42], v[53:54], v[2:3]
	v_fma_f64 v[61:62], v[43:44], v[0:1], v[61:62]
	v_fma_f64 v[63:64], v[4:5], v[0:1], -v[63:64]
	v_fma_f64 v[65:66], v[6:7], v[0:1], v[65:66]
	v_fma_f64 v[69:70], v[53:54], v[0:1], -v[69:70]
	v_fma_f64 v[71:72], v[45:46], v[0:1], -v[71:72]
	s_waitcnt lgkmcnt(0)
	v_mul_f64 v[43:44], v[14:15], v[2:3]
	v_mul_f64 v[4:5], v[12:13], v[2:3]
	s_waitcnt vmcnt(0)
	v_add_f64 v[8:9], v[8:9], -v[16:17]
	v_add_f64 v[10:11], v[10:11], -v[49:50]
	s_clause 0x1
	scratch_load_b64 v[49:50], off, off offset:712
	scratch_load_b64 v[16:17], off, off offset:704
	v_fma_f64 v[73:74], v[55:56], v[0:1], v[41:42]
	v_mul_f64 v[41:42], v[45:46], v[2:3]
	scratch_load_b128 v[53:56], off, off offset:736
	v_fma_f64 v[77:78], v[12:13], v[0:1], -v[43:44]
	v_fma_f64 v[79:80], v[14:15], v[0:1], v[4:5]
	s_clause 0x1
	scratch_load_b128 v[4:7], off, off offset:752
	scratch_load_b128 v[12:15], off, off offset:768
	v_fma_f64 v[81:82], v[47:48], v[0:1], v[41:42]
	s_clause 0x2
	scratch_load_b128 v[41:44], off, off offset:784
	scratch_load_b128 v[45:48], off, off offset:800
	;; [unrolled: 1-line block ×3, first 2 shown]
	s_waitcnt vmcnt(5)
	v_add_f64 v[53:54], v[53:54], -v[71:72]
	v_add_f64 v[55:56], v[55:56], -v[81:82]
	s_waitcnt vmcnt(4)
	v_add_f64 v[6:7], v[6:7], -v[61:62]
	s_waitcnt vmcnt(3)
	v_add_f64 v[12:13], v[12:13], -v[63:64]
	ds_load_2addr_b64 v[61:64], v20 offset0:102 offset1:103
	v_add_f64 v[4:5], v[4:5], -v[57:58]
	v_add_f64 v[14:15], v[14:15], -v[65:66]
	s_waitcnt vmcnt(2)
	v_add_f64 v[41:42], v[41:42], -v[69:70]
	ds_load_2addr_b64 v[69:72], v20 offset0:104 offset1:105
	s_waitcnt vmcnt(0) lgkmcnt(1)
	v_mul_f64 v[57:58], v[63:64], v[2:3]
	v_add_f64 v[43:44], v[43:44], -v[73:74]
	v_add_f64 v[45:46], v[45:46], -v[77:78]
	;; [unrolled: 1-line block ×3, first 2 shown]
	s_delay_alu instid0(VALU_DEP_4) | instskip(SKIP_1) | instid1(VALU_DEP_1)
	v_fma_f64 v[57:58], v[61:62], v[16:17], -v[57:58]
	v_mul_f64 v[61:62], v[61:62], v[2:3]
	v_fma_f64 v[65:66], v[63:64], v[16:17], v[61:62]
	s_waitcnt lgkmcnt(0)
	v_mul_f64 v[61:62], v[71:72], v[2:3]
	s_delay_alu instid0(VALU_DEP_1) | instskip(SKIP_1) | instid1(VALU_DEP_1)
	v_fma_f64 v[73:74], v[69:70], v[16:17], -v[61:62]
	v_mul_f64 v[61:62], v[69:70], v[2:3]
	v_fma_f64 v[81:82], v[71:72], v[16:17], v[61:62]
	ds_load_2addr_b64 v[61:64], v20 offset0:106 offset1:107
	ds_load_2addr_b64 v[69:72], v20 offset0:108 offset1:109
	s_waitcnt lgkmcnt(1)
	v_mul_f64 v[77:78], v[63:64], v[2:3]
	s_delay_alu instid0(VALU_DEP_1) | instskip(SKIP_1) | instid1(VALU_DEP_1)
	v_fma_f64 v[85:86], v[61:62], v[16:17], -v[77:78]
	v_mul_f64 v[61:62], v[61:62], v[2:3]
	v_fma_f64 v[87:88], v[63:64], v[16:17], v[61:62]
	s_waitcnt lgkmcnt(0)
	v_mul_f64 v[61:62], v[71:72], v[2:3]
	s_delay_alu instid0(VALU_DEP_1) | instskip(SKIP_1) | instid1(VALU_DEP_1)
	v_fma_f64 v[89:90], v[69:70], v[16:17], -v[61:62]
	v_mul_f64 v[61:62], v[69:70], v[2:3]
	v_fma_f64 v[91:92], v[71:72], v[16:17], v[61:62]
	ds_load_2addr_b64 v[61:64], v20 offset0:110 offset1:111
	ds_load_2addr_b64 v[69:72], v20 offset0:112 offset1:113
	s_waitcnt lgkmcnt(1)
	v_mul_f64 v[77:78], v[63:64], v[2:3]
	s_delay_alu instid0(VALU_DEP_1) | instskip(SKIP_1) | instid1(VALU_DEP_1)
	v_fma_f64 v[93:94], v[61:62], v[16:17], -v[77:78]
	v_mul_f64 v[61:62], v[61:62], v[2:3]
	v_fma_f64 v[95:96], v[63:64], v[16:17], v[61:62]
	ds_load_2addr_b64 v[61:64], v20 offset0:114 offset1:115
	ds_load_2addr_b64 v[77:80], v20 offset0:116 offset1:117
	s_waitcnt lgkmcnt(1)
	v_mul_f64 v[97:98], v[63:64], v[49:50]
	s_delay_alu instid0(VALU_DEP_1) | instskip(SKIP_1) | instid1(VALU_DEP_1)
	v_fma_f64 v[106:107], v[61:62], v[0:1], -v[97:98]
	v_mul_f64 v[61:62], v[61:62], v[49:50]
	v_fma_f64 v[109:110], v[63:64], v[0:1], v[61:62]
	s_waitcnt lgkmcnt(0)
	v_mul_f64 v[61:62], v[79:80], v[49:50]
	s_delay_alu instid0(VALU_DEP_1) | instskip(SKIP_1) | instid1(VALU_DEP_1)
	v_fma_f64 v[113:114], v[77:78], v[0:1], -v[61:62]
	v_mul_f64 v[61:62], v[77:78], v[49:50]
	v_fma_f64 v[117:118], v[79:80], v[0:1], v[61:62]
	ds_load_2addr_b64 v[61:64], v20 offset0:118 offset1:119
	ds_load_2addr_b64 v[77:80], v20 offset0:120 offset1:121
	s_waitcnt lgkmcnt(1)
	v_mul_f64 v[97:98], v[63:64], v[49:50]
	s_delay_alu instid0(VALU_DEP_1) | instskip(SKIP_1) | instid1(VALU_DEP_1)
	v_fma_f64 v[121:122], v[61:62], v[0:1], -v[97:98]
	v_mul_f64 v[61:62], v[61:62], v[49:50]
	v_fma_f64 v[130:131], v[63:64], v[0:1], v[61:62]
	s_waitcnt lgkmcnt(0)
	v_mul_f64 v[61:62], v[79:80], v[49:50]
	s_delay_alu instid0(VALU_DEP_1) | instskip(SKIP_1) | instid1(VALU_DEP_1)
	v_fma_f64 v[133:134], v[77:78], v[0:1], -v[61:62]
	v_mul_f64 v[61:62], v[77:78], v[49:50]
	v_fma_f64 v[171:172], v[79:80], v[0:1], v[61:62]
	ds_load_2addr_b64 v[61:64], v20 offset0:122 offset1:123
	s_waitcnt lgkmcnt(0)
	v_mul_f64 v[77:78], v[63:64], v[49:50]
	v_mul_f64 v[49:50], v[61:62], v[49:50]
	s_delay_alu instid0(VALU_DEP_2) | instskip(NEXT) | instid1(VALU_DEP_2)
	v_fma_f64 v[175:176], v[61:62], v[0:1], -v[77:78]
	v_fma_f64 v[49:50], v[63:64], v[0:1], v[49:50]
	v_mul_f64 v[0:1], v[71:72], v[2:3]
	v_mul_f64 v[2:3], v[69:70], v[2:3]
	s_delay_alu instid0(VALU_DEP_2) | instskip(NEXT) | instid1(VALU_DEP_2)
	v_fma_f64 v[97:98], v[69:70], v[16:17], -v[0:1]
	v_fma_f64 v[16:17], v[71:72], v[16:17], v[2:3]
	s_clause 0x3
	scratch_load_b128 v[0:3], off, off offset:816
	scratch_load_b128 v[61:64], off, off offset:832
	scratch_load_b128 v[69:72], off, off offset:848
	scratch_load_b128 v[77:80], off, off offset:864
	s_waitcnt vmcnt(3)
	v_add_f64 v[0:1], v[0:1], -v[57:58]
	s_waitcnt vmcnt(1)
	v_add_f64 v[69:70], v[69:70], -v[85:86]
	v_add_f64 v[71:72], v[71:72], -v[87:88]
	s_waitcnt vmcnt(0)
	v_add_f64 v[77:78], v[77:78], -v[89:90]
	v_add_f64 v[79:80], v[79:80], -v[91:92]
	s_clause 0x1
	scratch_load_b128 v[85:88], off, off offset:880
	scratch_load_b128 v[89:92], off, off offset:896
	v_add_f64 v[2:3], v[2:3], -v[65:66]
	v_add_f64 v[61:62], v[61:62], -v[73:74]
	;; [unrolled: 1-line block ×3, first 2 shown]
	s_waitcnt vmcnt(1)
	v_add_f64 v[85:86], v[85:86], -v[93:94]
	v_add_f64 v[87:88], v[87:88], -v[95:96]
	s_waitcnt vmcnt(0)
	v_add_f64 v[89:90], v[89:90], -v[97:98]
	s_clause 0x3
	scratch_load_b128 v[93:96], off, off offset:912
	scratch_load_b128 v[97:100], off, off offset:928
	;; [unrolled: 1-line block ×4, first 2 shown]
	v_add_f64 v[91:92], v[91:92], -v[16:17]
	s_waitcnt vmcnt(3)
	v_add_f64 v[93:94], v[93:94], -v[106:107]
	v_add_f64 v[95:96], v[95:96], -v[109:110]
	s_waitcnt vmcnt(0)
	v_add_f64 v[139:140], v[139:140], -v[171:172]
	scratch_load_b128 v[171:174], off, off offset:976
	v_add_f64 v[97:98], v[97:98], -v[113:114]
	v_add_f64 v[99:100], v[99:100], -v[117:118]
	v_add_f64 v[126:127], v[126:127], -v[121:122]
	v_add_f64 v[128:129], v[128:129], -v[130:131]
	v_add_f64 v[137:138], v[137:138], -v[133:134]
	s_waitcnt vmcnt(0)
	v_add_f64 v[171:172], v[171:172], -v[175:176]
	v_add_f64 v[173:174], v[173:174], -v[49:50]
	s_clause 0x10
	scratch_store_b128 off, v[8:11], off offset:720
	scratch_store_b128 off, v[12:15], off offset:768
	;; [unrolled: 1-line block ×17, first 2 shown]
.LBB122_1074:
	s_or_b32 exec_lo, exec_lo, s2
	s_waitcnt_vscnt null, 0x0
	s_barrier
	buffer_gl0_inv
	scratch_load_b128 v[0:3], v160, off
	v_lshl_add_u32 v4, v39, 4, v20
	s_cmp_lt_i32 s5, 47
	s_waitcnt vmcnt(0)
	ds_store_2addr_b64 v4, v[0:1], v[2:3] offset1:1
	s_waitcnt lgkmcnt(0)
	s_barrier
	buffer_gl0_inv
	ds_load_2addr_b64 v[0:3], v20 offset0:90 offset1:91
	v_mov_b32_e32 v4, 45
	s_cbranch_scc1 .LBB122_1077
; %bb.1075:
	v_add3_u32 v5, v37, 0, 0x2e0
	v_mov_b32_e32 v4, 45
	s_mov_b32 s6, 46
	s_set_inst_prefetch_distance 0x1
	.p2align	6
.LBB122_1076:                           ; =>This Inner Loop Header: Depth=1
	ds_load_2addr_b64 v[6:9], v5 offset1:1
	s_waitcnt lgkmcnt(1)
	v_cmp_gt_f64_e32 vcc_lo, 0, v[0:1]
	v_xor_b32_e32 v10, 0x80000000, v1
	v_cmp_gt_f64_e64 s2, 0, v[2:3]
	v_xor_b32_e32 v12, 0x80000000, v3
	v_add_nc_u32_e32 v5, 16, v5
	s_waitcnt lgkmcnt(0)
	v_cmp_gt_f64_e64 s3, 0, v[6:7]
	v_mov_b32_e32 v14, v6
	v_dual_mov_b32 v16, v8 :: v_dual_cndmask_b32 v11, v1, v10
	v_xor_b32_e32 v10, 0x80000000, v7
	v_cndmask_b32_e64 v13, v3, v12, s2
	v_xor_b32_e32 v12, 0x80000000, v9
	s_delay_alu instid0(VALU_DEP_3) | instskip(SKIP_2) | instid1(VALU_DEP_2)
	v_cndmask_b32_e64 v15, v7, v10, s3
	v_cmp_gt_f64_e64 s3, 0, v[8:9]
	v_cndmask_b32_e32 v10, v0, v0, vcc_lo
	v_cndmask_b32_e64 v17, v9, v12, s3
	v_cndmask_b32_e64 v12, v2, v2, s2
	s_delay_alu instid0(VALU_DEP_2) | instskip(NEXT) | instid1(VALU_DEP_2)
	v_add_f64 v[14:15], v[14:15], v[16:17]
	v_add_f64 v[10:11], v[10:11], v[12:13]
	s_delay_alu instid0(VALU_DEP_1)
	v_cmp_lt_f64_e32 vcc_lo, v[10:11], v[14:15]
	v_cndmask_b32_e32 v3, v3, v9, vcc_lo
	v_dual_cndmask_b32 v1, v1, v7 :: v_dual_cndmask_b32 v0, v0, v6
	v_cndmask_b32_e32 v2, v2, v8, vcc_lo
	v_cndmask_b32_e64 v4, v4, s6, vcc_lo
	s_add_i32 s6, s6, 1
	s_delay_alu instid0(SALU_CYCLE_1)
	s_cmp_lg_u32 s5, s6
	s_cbranch_scc1 .LBB122_1076
.LBB122_1077:
	s_set_inst_prefetch_distance 0x2
	s_waitcnt lgkmcnt(0)
	v_cmp_eq_f64_e32 vcc_lo, 0, v[0:1]
	v_cmp_eq_f64_e64 s2, 0, v[2:3]
	s_delay_alu instid0(VALU_DEP_1) | instskip(NEXT) | instid1(SALU_CYCLE_1)
	s_and_b32 s2, vcc_lo, s2
	s_and_saveexec_b32 s3, s2
	s_delay_alu instid0(SALU_CYCLE_1)
	s_xor_b32 s2, exec_lo, s3
; %bb.1078:
	v_cmp_ne_u32_e32 vcc_lo, 0, v35
	v_cndmask_b32_e32 v35, 46, v35, vcc_lo
; %bb.1079:
	s_and_not1_saveexec_b32 s3, s2
	s_cbranch_execz .LBB122_1085
; %bb.1080:
	v_cmp_gt_f64_e32 vcc_lo, 0, v[0:1]
	v_cmp_gt_f64_e64 s2, 0, v[2:3]
	v_xor_b32_e32 v5, 0x80000000, v1
	v_xor_b32_e32 v7, 0x80000000, v3
	s_delay_alu instid0(VALU_DEP_2) | instskip(NEXT) | instid1(VALU_DEP_2)
	v_dual_cndmask_b32 v6, v1, v5 :: v_dual_cndmask_b32 v5, v0, v0
	v_cndmask_b32_e64 v8, v3, v7, s2
	v_cndmask_b32_e64 v7, v2, v2, s2
	s_mov_b32 s2, exec_lo
	s_delay_alu instid0(VALU_DEP_1)
	v_cmpx_ngt_f64_e32 v[5:6], v[7:8]
	s_xor_b32 s2, exec_lo, s2
	s_cbranch_execz .LBB122_1082
; %bb.1081:
	v_div_scale_f64 v[5:6], null, v[2:3], v[2:3], v[0:1]
	v_div_scale_f64 v[11:12], vcc_lo, v[0:1], v[2:3], v[0:1]
	s_delay_alu instid0(VALU_DEP_2) | instskip(SKIP_2) | instid1(VALU_DEP_1)
	v_rcp_f64_e32 v[7:8], v[5:6]
	s_waitcnt_depctr 0xfff
	v_fma_f64 v[9:10], -v[5:6], v[7:8], 1.0
	v_fma_f64 v[7:8], v[7:8], v[9:10], v[7:8]
	s_delay_alu instid0(VALU_DEP_1) | instskip(NEXT) | instid1(VALU_DEP_1)
	v_fma_f64 v[9:10], -v[5:6], v[7:8], 1.0
	v_fma_f64 v[7:8], v[7:8], v[9:10], v[7:8]
	s_delay_alu instid0(VALU_DEP_1) | instskip(NEXT) | instid1(VALU_DEP_1)
	v_mul_f64 v[9:10], v[11:12], v[7:8]
	v_fma_f64 v[5:6], -v[5:6], v[9:10], v[11:12]
	s_delay_alu instid0(VALU_DEP_1) | instskip(NEXT) | instid1(VALU_DEP_1)
	v_div_fmas_f64 v[5:6], v[5:6], v[7:8], v[9:10]
	v_div_fixup_f64 v[5:6], v[5:6], v[2:3], v[0:1]
	s_delay_alu instid0(VALU_DEP_1) | instskip(NEXT) | instid1(VALU_DEP_1)
	v_fma_f64 v[0:1], v[0:1], v[5:6], v[2:3]
	v_div_scale_f64 v[2:3], null, v[0:1], v[0:1], 1.0
	s_delay_alu instid0(VALU_DEP_1) | instskip(SKIP_2) | instid1(VALU_DEP_1)
	v_rcp_f64_e32 v[7:8], v[2:3]
	s_waitcnt_depctr 0xfff
	v_fma_f64 v[9:10], -v[2:3], v[7:8], 1.0
	v_fma_f64 v[7:8], v[7:8], v[9:10], v[7:8]
	s_delay_alu instid0(VALU_DEP_1) | instskip(NEXT) | instid1(VALU_DEP_1)
	v_fma_f64 v[9:10], -v[2:3], v[7:8], 1.0
	v_fma_f64 v[7:8], v[7:8], v[9:10], v[7:8]
	v_div_scale_f64 v[9:10], vcc_lo, 1.0, v[0:1], 1.0
	s_delay_alu instid0(VALU_DEP_1) | instskip(NEXT) | instid1(VALU_DEP_1)
	v_mul_f64 v[11:12], v[9:10], v[7:8]
	v_fma_f64 v[2:3], -v[2:3], v[11:12], v[9:10]
	s_delay_alu instid0(VALU_DEP_1) | instskip(NEXT) | instid1(VALU_DEP_1)
	v_div_fmas_f64 v[2:3], v[2:3], v[7:8], v[11:12]
	v_div_fixup_f64 v[2:3], v[2:3], v[0:1], 1.0
	s_delay_alu instid0(VALU_DEP_1)
	v_mul_f64 v[0:1], v[5:6], v[2:3]
	v_xor_b32_e32 v3, 0x80000000, v3
.LBB122_1082:
	s_and_not1_saveexec_b32 s2, s2
	s_cbranch_execz .LBB122_1084
; %bb.1083:
	s_delay_alu instid0(VALU_DEP_1) | instskip(SKIP_1) | instid1(VALU_DEP_2)
	v_div_scale_f64 v[5:6], null, v[0:1], v[0:1], v[2:3]
	v_div_scale_f64 v[11:12], vcc_lo, v[2:3], v[0:1], v[2:3]
	v_rcp_f64_e32 v[7:8], v[5:6]
	s_waitcnt_depctr 0xfff
	v_fma_f64 v[9:10], -v[5:6], v[7:8], 1.0
	s_delay_alu instid0(VALU_DEP_1) | instskip(NEXT) | instid1(VALU_DEP_1)
	v_fma_f64 v[7:8], v[7:8], v[9:10], v[7:8]
	v_fma_f64 v[9:10], -v[5:6], v[7:8], 1.0
	s_delay_alu instid0(VALU_DEP_1) | instskip(NEXT) | instid1(VALU_DEP_1)
	v_fma_f64 v[7:8], v[7:8], v[9:10], v[7:8]
	v_mul_f64 v[9:10], v[11:12], v[7:8]
	s_delay_alu instid0(VALU_DEP_1) | instskip(NEXT) | instid1(VALU_DEP_1)
	v_fma_f64 v[5:6], -v[5:6], v[9:10], v[11:12]
	v_div_fmas_f64 v[5:6], v[5:6], v[7:8], v[9:10]
	s_delay_alu instid0(VALU_DEP_1) | instskip(NEXT) | instid1(VALU_DEP_1)
	v_div_fixup_f64 v[5:6], v[5:6], v[0:1], v[2:3]
	v_fma_f64 v[0:1], v[2:3], v[5:6], v[0:1]
	s_delay_alu instid0(VALU_DEP_1) | instskip(NEXT) | instid1(VALU_DEP_1)
	v_div_scale_f64 v[2:3], null, v[0:1], v[0:1], 1.0
	v_rcp_f64_e32 v[7:8], v[2:3]
	s_waitcnt_depctr 0xfff
	v_fma_f64 v[9:10], -v[2:3], v[7:8], 1.0
	s_delay_alu instid0(VALU_DEP_1) | instskip(NEXT) | instid1(VALU_DEP_1)
	v_fma_f64 v[7:8], v[7:8], v[9:10], v[7:8]
	v_fma_f64 v[9:10], -v[2:3], v[7:8], 1.0
	s_delay_alu instid0(VALU_DEP_1) | instskip(SKIP_1) | instid1(VALU_DEP_1)
	v_fma_f64 v[7:8], v[7:8], v[9:10], v[7:8]
	v_div_scale_f64 v[9:10], vcc_lo, 1.0, v[0:1], 1.0
	v_mul_f64 v[11:12], v[9:10], v[7:8]
	s_delay_alu instid0(VALU_DEP_1) | instskip(NEXT) | instid1(VALU_DEP_1)
	v_fma_f64 v[2:3], -v[2:3], v[11:12], v[9:10]
	v_div_fmas_f64 v[2:3], v[2:3], v[7:8], v[11:12]
	s_delay_alu instid0(VALU_DEP_1) | instskip(NEXT) | instid1(VALU_DEP_1)
	v_div_fixup_f64 v[0:1], v[2:3], v[0:1], 1.0
	v_mul_f64 v[2:3], v[5:6], -v[0:1]
.LBB122_1084:
	s_or_b32 exec_lo, exec_lo, s2
.LBB122_1085:
	s_delay_alu instid0(SALU_CYCLE_1) | instskip(NEXT) | instid1(SALU_CYCLE_1)
	s_or_b32 exec_lo, exec_lo, s3
	s_mov_b32 s2, exec_lo
	v_cmpx_ne_u32_e64 v39, v4
	s_xor_b32 s2, exec_lo, s2
	s_cbranch_execz .LBB122_1091
; %bb.1086:
	s_mov_b32 s3, exec_lo
	v_cmpx_eq_u32_e32 45, v39
	s_cbranch_execz .LBB122_1090
; %bb.1087:
	v_cmp_ne_u32_e32 vcc_lo, 45, v4
	s_xor_b32 s6, s4, -1
	s_delay_alu instid0(SALU_CYCLE_1) | instskip(NEXT) | instid1(SALU_CYCLE_1)
	s_and_b32 s7, s6, vcc_lo
	s_and_saveexec_b32 s6, s7
	s_cbranch_execz .LBB122_1089
; %bb.1088:
	v_ashrrev_i32_e32 v5, 31, v4
	s_delay_alu instid0(VALU_DEP_1) | instskip(NEXT) | instid1(VALU_DEP_1)
	v_lshlrev_b64 v[5:6], 2, v[4:5]
	v_add_co_u32 v5, vcc_lo, v18, v5
	s_delay_alu instid0(VALU_DEP_2)
	v_add_co_ci_u32_e32 v6, vcc_lo, v19, v6, vcc_lo
	s_clause 0x1
	flat_load_b32 v7, v[5:6]
	flat_load_b32 v8, v[18:19] offset:180
	s_waitcnt vmcnt(1) lgkmcnt(1)
	flat_store_b32 v[18:19], v7 offset:180
	s_waitcnt vmcnt(0) lgkmcnt(1)
	flat_store_b32 v[5:6], v8
.LBB122_1089:
	s_or_b32 exec_lo, exec_lo, s6
	v_mov_b32_e32 v39, v4
	v_mov_b32_e32 v38, v4
.LBB122_1090:
	s_or_b32 exec_lo, exec_lo, s3
.LBB122_1091:
	s_and_not1_saveexec_b32 s2, s2
	s_cbranch_execz .LBB122_1093
; %bb.1092:
	s_clause 0xf
	scratch_load_b128 v[4:7], v159, off
	scratch_load_b128 v[8:11], v158, off
	;; [unrolled: 1-line block ×16, first 2 shown]
	v_mov_b32_e32 v39, 45
	s_waitcnt vmcnt(15)
	ds_store_2addr_b64 v20, v[4:5], v[6:7] offset0:92 offset1:93
	s_waitcnt vmcnt(14)
	ds_store_2addr_b64 v20, v[8:9], v[10:11] offset0:94 offset1:95
	;; [unrolled: 2-line block ×16, first 2 shown]
.LBB122_1093:
	s_or_b32 exec_lo, exec_lo, s2
	s_delay_alu instid0(SALU_CYCLE_1)
	s_mov_b32 s2, exec_lo
	s_waitcnt lgkmcnt(0)
	s_waitcnt_vscnt null, 0x0
	s_barrier
	buffer_gl0_inv
	v_cmpx_lt_i32_e32 45, v39
	s_cbranch_execz .LBB122_1095
; %bb.1094:
	s_clause 0x1
	scratch_load_b128 v[4:7], off, off offset:720
	scratch_load_b128 v[8:11], off, off offset:736
	s_waitcnt vmcnt(1)
	v_mul_f64 v[12:13], v[0:1], v[6:7]
	v_mul_f64 v[6:7], v[2:3], v[6:7]
	s_delay_alu instid0(VALU_DEP_2)
	v_fma_f64 v[2:3], v[2:3], v[4:5], v[12:13]
	ds_load_2addr_b64 v[12:15], v20 offset0:92 offset1:93
	ds_load_2addr_b64 v[41:44], v20 offset0:96 offset1:97
	;; [unrolled: 1-line block ×3, first 2 shown]
	v_fma_f64 v[0:1], v[0:1], v[4:5], -v[6:7]
	ds_load_2addr_b64 v[4:7], v20 offset0:98 offset1:99
	ds_load_2addr_b64 v[53:56], v20 offset0:100 offset1:101
	s_waitcnt lgkmcnt(4)
	v_mul_f64 v[16:17], v[14:15], v[2:3]
	v_mul_f64 v[49:50], v[12:13], v[2:3]
	s_waitcnt lgkmcnt(3)
	v_mul_f64 v[57:58], v[43:44], v[2:3]
	v_mul_f64 v[61:62], v[41:42], v[2:3]
	;; [unrolled: 3-line block ×4, first 2 shown]
	scratch_store_b128 off, v[0:3], off offset:720
	v_fma_f64 v[16:17], v[12:13], v[0:1], -v[16:17]
	v_fma_f64 v[49:50], v[14:15], v[0:1], v[49:50]
	ds_load_2addr_b64 v[12:15], v20 offset0:102 offset1:103
	v_fma_f64 v[57:58], v[41:42], v[0:1], -v[57:58]
	v_mul_f64 v[41:42], v[53:54], v[2:3]
	v_fma_f64 v[61:62], v[43:44], v[0:1], v[61:62]
	v_fma_f64 v[63:64], v[4:5], v[0:1], -v[63:64]
	v_fma_f64 v[65:66], v[6:7], v[0:1], v[65:66]
	v_fma_f64 v[69:70], v[53:54], v[0:1], -v[69:70]
	v_fma_f64 v[71:72], v[45:46], v[0:1], -v[71:72]
	s_waitcnt lgkmcnt(0)
	v_mul_f64 v[43:44], v[14:15], v[2:3]
	v_mul_f64 v[4:5], v[12:13], v[2:3]
	s_waitcnt vmcnt(0)
	v_add_f64 v[8:9], v[8:9], -v[16:17]
	v_add_f64 v[10:11], v[10:11], -v[49:50]
	s_clause 0x1
	scratch_load_b64 v[49:50], off, off offset:728
	scratch_load_b64 v[16:17], off, off offset:720
	v_fma_f64 v[73:74], v[55:56], v[0:1], v[41:42]
	v_mul_f64 v[41:42], v[45:46], v[2:3]
	scratch_load_b128 v[53:56], off, off offset:752
	v_fma_f64 v[77:78], v[12:13], v[0:1], -v[43:44]
	v_fma_f64 v[79:80], v[14:15], v[0:1], v[4:5]
	s_clause 0x1
	scratch_load_b128 v[4:7], off, off offset:768
	scratch_load_b128 v[12:15], off, off offset:784
	v_fma_f64 v[81:82], v[47:48], v[0:1], v[41:42]
	s_clause 0x2
	scratch_load_b128 v[41:44], off, off offset:800
	scratch_load_b128 v[45:48], off, off offset:816
	;; [unrolled: 1-line block ×3, first 2 shown]
	s_waitcnt vmcnt(5)
	v_add_f64 v[53:54], v[53:54], -v[71:72]
	v_add_f64 v[55:56], v[55:56], -v[81:82]
	s_waitcnt vmcnt(4)
	v_add_f64 v[6:7], v[6:7], -v[61:62]
	s_waitcnt vmcnt(3)
	v_add_f64 v[12:13], v[12:13], -v[63:64]
	ds_load_2addr_b64 v[61:64], v20 offset0:104 offset1:105
	v_add_f64 v[4:5], v[4:5], -v[57:58]
	v_add_f64 v[14:15], v[14:15], -v[65:66]
	s_waitcnt vmcnt(2)
	v_add_f64 v[41:42], v[41:42], -v[69:70]
	ds_load_2addr_b64 v[69:72], v20 offset0:106 offset1:107
	s_waitcnt vmcnt(0) lgkmcnt(1)
	v_mul_f64 v[57:58], v[63:64], v[2:3]
	v_add_f64 v[43:44], v[43:44], -v[73:74]
	v_add_f64 v[45:46], v[45:46], -v[77:78]
	;; [unrolled: 1-line block ×3, first 2 shown]
	s_delay_alu instid0(VALU_DEP_4) | instskip(SKIP_1) | instid1(VALU_DEP_1)
	v_fma_f64 v[57:58], v[61:62], v[16:17], -v[57:58]
	v_mul_f64 v[61:62], v[61:62], v[2:3]
	v_fma_f64 v[65:66], v[63:64], v[16:17], v[61:62]
	s_waitcnt lgkmcnt(0)
	v_mul_f64 v[61:62], v[71:72], v[2:3]
	s_delay_alu instid0(VALU_DEP_1) | instskip(SKIP_1) | instid1(VALU_DEP_1)
	v_fma_f64 v[73:74], v[69:70], v[16:17], -v[61:62]
	v_mul_f64 v[61:62], v[69:70], v[2:3]
	v_fma_f64 v[81:82], v[71:72], v[16:17], v[61:62]
	ds_load_2addr_b64 v[61:64], v20 offset0:108 offset1:109
	ds_load_2addr_b64 v[69:72], v20 offset0:110 offset1:111
	s_waitcnt lgkmcnt(1)
	v_mul_f64 v[77:78], v[63:64], v[2:3]
	s_delay_alu instid0(VALU_DEP_1) | instskip(SKIP_1) | instid1(VALU_DEP_1)
	v_fma_f64 v[85:86], v[61:62], v[16:17], -v[77:78]
	v_mul_f64 v[61:62], v[61:62], v[2:3]
	v_fma_f64 v[87:88], v[63:64], v[16:17], v[61:62]
	s_waitcnt lgkmcnt(0)
	v_mul_f64 v[61:62], v[71:72], v[2:3]
	s_delay_alu instid0(VALU_DEP_1) | instskip(SKIP_1) | instid1(VALU_DEP_1)
	v_fma_f64 v[89:90], v[69:70], v[16:17], -v[61:62]
	v_mul_f64 v[61:62], v[69:70], v[2:3]
	v_fma_f64 v[91:92], v[71:72], v[16:17], v[61:62]
	ds_load_2addr_b64 v[61:64], v20 offset0:112 offset1:113
	ds_load_2addr_b64 v[69:72], v20 offset0:114 offset1:115
	s_waitcnt lgkmcnt(1)
	v_mul_f64 v[77:78], v[63:64], v[2:3]
	s_delay_alu instid0(VALU_DEP_1) | instskip(SKIP_1) | instid1(VALU_DEP_1)
	v_fma_f64 v[93:94], v[61:62], v[16:17], -v[77:78]
	v_mul_f64 v[61:62], v[61:62], v[2:3]
	v_fma_f64 v[95:96], v[63:64], v[16:17], v[61:62]
	ds_load_2addr_b64 v[61:64], v20 offset0:116 offset1:117
	ds_load_2addr_b64 v[77:80], v20 offset0:118 offset1:119
	s_waitcnt lgkmcnt(1)
	v_mul_f64 v[97:98], v[63:64], v[49:50]
	s_delay_alu instid0(VALU_DEP_1) | instskip(SKIP_1) | instid1(VALU_DEP_1)
	v_fma_f64 v[106:107], v[61:62], v[0:1], -v[97:98]
	v_mul_f64 v[61:62], v[61:62], v[49:50]
	v_fma_f64 v[109:110], v[63:64], v[0:1], v[61:62]
	s_waitcnt lgkmcnt(0)
	v_mul_f64 v[61:62], v[79:80], v[49:50]
	s_delay_alu instid0(VALU_DEP_1) | instskip(SKIP_1) | instid1(VALU_DEP_1)
	v_fma_f64 v[113:114], v[77:78], v[0:1], -v[61:62]
	v_mul_f64 v[61:62], v[77:78], v[49:50]
	v_fma_f64 v[117:118], v[79:80], v[0:1], v[61:62]
	ds_load_2addr_b64 v[61:64], v20 offset0:120 offset1:121
	ds_load_2addr_b64 v[77:80], v20 offset0:122 offset1:123
	s_waitcnt lgkmcnt(1)
	v_mul_f64 v[97:98], v[63:64], v[49:50]
	s_delay_alu instid0(VALU_DEP_1) | instskip(SKIP_1) | instid1(VALU_DEP_1)
	v_fma_f64 v[121:122], v[61:62], v[0:1], -v[97:98]
	v_mul_f64 v[61:62], v[61:62], v[49:50]
	v_fma_f64 v[130:131], v[63:64], v[0:1], v[61:62]
	s_waitcnt lgkmcnt(0)
	v_mul_f64 v[61:62], v[79:80], v[49:50]
	v_mul_f64 v[49:50], v[77:78], v[49:50]
	s_delay_alu instid0(VALU_DEP_2) | instskip(NEXT) | instid1(VALU_DEP_2)
	v_fma_f64 v[133:134], v[77:78], v[0:1], -v[61:62]
	v_fma_f64 v[49:50], v[79:80], v[0:1], v[49:50]
	v_mul_f64 v[0:1], v[71:72], v[2:3]
	v_mul_f64 v[2:3], v[69:70], v[2:3]
	s_delay_alu instid0(VALU_DEP_2) | instskip(NEXT) | instid1(VALU_DEP_2)
	v_fma_f64 v[97:98], v[69:70], v[16:17], -v[0:1]
	v_fma_f64 v[16:17], v[71:72], v[16:17], v[2:3]
	s_clause 0x3
	scratch_load_b128 v[0:3], off, off offset:832
	scratch_load_b128 v[61:64], off, off offset:848
	;; [unrolled: 1-line block ×4, first 2 shown]
	s_waitcnt vmcnt(3)
	v_add_f64 v[0:1], v[0:1], -v[57:58]
	s_waitcnt vmcnt(1)
	v_add_f64 v[69:70], v[69:70], -v[85:86]
	v_add_f64 v[71:72], v[71:72], -v[87:88]
	s_waitcnt vmcnt(0)
	v_add_f64 v[77:78], v[77:78], -v[89:90]
	v_add_f64 v[79:80], v[79:80], -v[91:92]
	s_clause 0x1
	scratch_load_b128 v[85:88], off, off offset:896
	scratch_load_b128 v[89:92], off, off offset:912
	v_add_f64 v[2:3], v[2:3], -v[65:66]
	v_add_f64 v[61:62], v[61:62], -v[73:74]
	;; [unrolled: 1-line block ×3, first 2 shown]
	s_waitcnt vmcnt(1)
	v_add_f64 v[85:86], v[85:86], -v[93:94]
	v_add_f64 v[87:88], v[87:88], -v[95:96]
	s_waitcnt vmcnt(0)
	v_add_f64 v[89:90], v[89:90], -v[97:98]
	s_clause 0x3
	scratch_load_b128 v[93:96], off, off offset:928
	scratch_load_b128 v[97:100], off, off offset:944
	;; [unrolled: 1-line block ×4, first 2 shown]
	v_add_f64 v[91:92], v[91:92], -v[16:17]
	s_waitcnt vmcnt(3)
	v_add_f64 v[93:94], v[93:94], -v[106:107]
	v_add_f64 v[95:96], v[95:96], -v[109:110]
	s_waitcnt vmcnt(2)
	v_add_f64 v[97:98], v[97:98], -v[113:114]
	;; [unrolled: 3-line block ×4, first 2 shown]
	v_add_f64 v[139:140], v[139:140], -v[49:50]
	s_clause 0xf
	scratch_store_b128 off, v[8:11], off offset:736
	scratch_store_b128 off, v[12:15], off offset:784
	;; [unrolled: 1-line block ×16, first 2 shown]
.LBB122_1095:
	s_or_b32 exec_lo, exec_lo, s2
	s_waitcnt_vscnt null, 0x0
	s_barrier
	buffer_gl0_inv
	scratch_load_b128 v[0:3], v159, off
	v_lshl_add_u32 v4, v39, 4, v20
	s_cmp_lt_i32 s5, 48
	s_waitcnt vmcnt(0)
	ds_store_2addr_b64 v4, v[0:1], v[2:3] offset1:1
	s_waitcnt lgkmcnt(0)
	s_barrier
	buffer_gl0_inv
	ds_load_2addr_b64 v[0:3], v20 offset0:92 offset1:93
	v_mov_b32_e32 v4, 46
	s_cbranch_scc1 .LBB122_1098
; %bb.1096:
	v_add3_u32 v5, v37, 0, 0x2f0
	v_mov_b32_e32 v4, 46
	s_mov_b32 s6, 47
	s_set_inst_prefetch_distance 0x1
	.p2align	6
.LBB122_1097:                           ; =>This Inner Loop Header: Depth=1
	ds_load_2addr_b64 v[6:9], v5 offset1:1
	s_waitcnt lgkmcnt(1)
	v_cmp_gt_f64_e32 vcc_lo, 0, v[0:1]
	v_xor_b32_e32 v10, 0x80000000, v1
	v_cmp_gt_f64_e64 s2, 0, v[2:3]
	v_xor_b32_e32 v12, 0x80000000, v3
	v_add_nc_u32_e32 v5, 16, v5
	s_waitcnt lgkmcnt(0)
	v_cmp_gt_f64_e64 s3, 0, v[6:7]
	v_mov_b32_e32 v14, v6
	v_dual_mov_b32 v16, v8 :: v_dual_cndmask_b32 v11, v1, v10
	v_xor_b32_e32 v10, 0x80000000, v7
	v_cndmask_b32_e64 v13, v3, v12, s2
	v_xor_b32_e32 v12, 0x80000000, v9
	s_delay_alu instid0(VALU_DEP_3) | instskip(SKIP_2) | instid1(VALU_DEP_2)
	v_cndmask_b32_e64 v15, v7, v10, s3
	v_cmp_gt_f64_e64 s3, 0, v[8:9]
	v_cndmask_b32_e32 v10, v0, v0, vcc_lo
	v_cndmask_b32_e64 v17, v9, v12, s3
	v_cndmask_b32_e64 v12, v2, v2, s2
	s_delay_alu instid0(VALU_DEP_2) | instskip(NEXT) | instid1(VALU_DEP_2)
	v_add_f64 v[14:15], v[14:15], v[16:17]
	v_add_f64 v[10:11], v[10:11], v[12:13]
	s_delay_alu instid0(VALU_DEP_1)
	v_cmp_lt_f64_e32 vcc_lo, v[10:11], v[14:15]
	v_cndmask_b32_e32 v3, v3, v9, vcc_lo
	v_dual_cndmask_b32 v1, v1, v7 :: v_dual_cndmask_b32 v0, v0, v6
	v_cndmask_b32_e32 v2, v2, v8, vcc_lo
	v_cndmask_b32_e64 v4, v4, s6, vcc_lo
	s_add_i32 s6, s6, 1
	s_delay_alu instid0(SALU_CYCLE_1)
	s_cmp_lg_u32 s5, s6
	s_cbranch_scc1 .LBB122_1097
.LBB122_1098:
	s_set_inst_prefetch_distance 0x2
	s_waitcnt lgkmcnt(0)
	v_cmp_eq_f64_e32 vcc_lo, 0, v[0:1]
	v_cmp_eq_f64_e64 s2, 0, v[2:3]
	s_delay_alu instid0(VALU_DEP_1) | instskip(NEXT) | instid1(SALU_CYCLE_1)
	s_and_b32 s2, vcc_lo, s2
	s_and_saveexec_b32 s3, s2
	s_delay_alu instid0(SALU_CYCLE_1)
	s_xor_b32 s2, exec_lo, s3
; %bb.1099:
	v_cmp_ne_u32_e32 vcc_lo, 0, v35
	v_cndmask_b32_e32 v35, 47, v35, vcc_lo
; %bb.1100:
	s_and_not1_saveexec_b32 s3, s2
	s_cbranch_execz .LBB122_1106
; %bb.1101:
	v_cmp_gt_f64_e32 vcc_lo, 0, v[0:1]
	v_cmp_gt_f64_e64 s2, 0, v[2:3]
	v_xor_b32_e32 v5, 0x80000000, v1
	v_xor_b32_e32 v7, 0x80000000, v3
	s_delay_alu instid0(VALU_DEP_2) | instskip(NEXT) | instid1(VALU_DEP_2)
	v_dual_cndmask_b32 v6, v1, v5 :: v_dual_cndmask_b32 v5, v0, v0
	v_cndmask_b32_e64 v8, v3, v7, s2
	v_cndmask_b32_e64 v7, v2, v2, s2
	s_mov_b32 s2, exec_lo
	s_delay_alu instid0(VALU_DEP_1)
	v_cmpx_ngt_f64_e32 v[5:6], v[7:8]
	s_xor_b32 s2, exec_lo, s2
	s_cbranch_execz .LBB122_1103
; %bb.1102:
	v_div_scale_f64 v[5:6], null, v[2:3], v[2:3], v[0:1]
	v_div_scale_f64 v[11:12], vcc_lo, v[0:1], v[2:3], v[0:1]
	s_delay_alu instid0(VALU_DEP_2) | instskip(SKIP_2) | instid1(VALU_DEP_1)
	v_rcp_f64_e32 v[7:8], v[5:6]
	s_waitcnt_depctr 0xfff
	v_fma_f64 v[9:10], -v[5:6], v[7:8], 1.0
	v_fma_f64 v[7:8], v[7:8], v[9:10], v[7:8]
	s_delay_alu instid0(VALU_DEP_1) | instskip(NEXT) | instid1(VALU_DEP_1)
	v_fma_f64 v[9:10], -v[5:6], v[7:8], 1.0
	v_fma_f64 v[7:8], v[7:8], v[9:10], v[7:8]
	s_delay_alu instid0(VALU_DEP_1) | instskip(NEXT) | instid1(VALU_DEP_1)
	v_mul_f64 v[9:10], v[11:12], v[7:8]
	v_fma_f64 v[5:6], -v[5:6], v[9:10], v[11:12]
	s_delay_alu instid0(VALU_DEP_1) | instskip(NEXT) | instid1(VALU_DEP_1)
	v_div_fmas_f64 v[5:6], v[5:6], v[7:8], v[9:10]
	v_div_fixup_f64 v[5:6], v[5:6], v[2:3], v[0:1]
	s_delay_alu instid0(VALU_DEP_1) | instskip(NEXT) | instid1(VALU_DEP_1)
	v_fma_f64 v[0:1], v[0:1], v[5:6], v[2:3]
	v_div_scale_f64 v[2:3], null, v[0:1], v[0:1], 1.0
	s_delay_alu instid0(VALU_DEP_1) | instskip(SKIP_2) | instid1(VALU_DEP_1)
	v_rcp_f64_e32 v[7:8], v[2:3]
	s_waitcnt_depctr 0xfff
	v_fma_f64 v[9:10], -v[2:3], v[7:8], 1.0
	v_fma_f64 v[7:8], v[7:8], v[9:10], v[7:8]
	s_delay_alu instid0(VALU_DEP_1) | instskip(NEXT) | instid1(VALU_DEP_1)
	v_fma_f64 v[9:10], -v[2:3], v[7:8], 1.0
	v_fma_f64 v[7:8], v[7:8], v[9:10], v[7:8]
	v_div_scale_f64 v[9:10], vcc_lo, 1.0, v[0:1], 1.0
	s_delay_alu instid0(VALU_DEP_1) | instskip(NEXT) | instid1(VALU_DEP_1)
	v_mul_f64 v[11:12], v[9:10], v[7:8]
	v_fma_f64 v[2:3], -v[2:3], v[11:12], v[9:10]
	s_delay_alu instid0(VALU_DEP_1) | instskip(NEXT) | instid1(VALU_DEP_1)
	v_div_fmas_f64 v[2:3], v[2:3], v[7:8], v[11:12]
	v_div_fixup_f64 v[2:3], v[2:3], v[0:1], 1.0
	s_delay_alu instid0(VALU_DEP_1)
	v_mul_f64 v[0:1], v[5:6], v[2:3]
	v_xor_b32_e32 v3, 0x80000000, v3
.LBB122_1103:
	s_and_not1_saveexec_b32 s2, s2
	s_cbranch_execz .LBB122_1105
; %bb.1104:
	s_delay_alu instid0(VALU_DEP_1) | instskip(SKIP_1) | instid1(VALU_DEP_2)
	v_div_scale_f64 v[5:6], null, v[0:1], v[0:1], v[2:3]
	v_div_scale_f64 v[11:12], vcc_lo, v[2:3], v[0:1], v[2:3]
	v_rcp_f64_e32 v[7:8], v[5:6]
	s_waitcnt_depctr 0xfff
	v_fma_f64 v[9:10], -v[5:6], v[7:8], 1.0
	s_delay_alu instid0(VALU_DEP_1) | instskip(NEXT) | instid1(VALU_DEP_1)
	v_fma_f64 v[7:8], v[7:8], v[9:10], v[7:8]
	v_fma_f64 v[9:10], -v[5:6], v[7:8], 1.0
	s_delay_alu instid0(VALU_DEP_1) | instskip(NEXT) | instid1(VALU_DEP_1)
	v_fma_f64 v[7:8], v[7:8], v[9:10], v[7:8]
	v_mul_f64 v[9:10], v[11:12], v[7:8]
	s_delay_alu instid0(VALU_DEP_1) | instskip(NEXT) | instid1(VALU_DEP_1)
	v_fma_f64 v[5:6], -v[5:6], v[9:10], v[11:12]
	v_div_fmas_f64 v[5:6], v[5:6], v[7:8], v[9:10]
	s_delay_alu instid0(VALU_DEP_1) | instskip(NEXT) | instid1(VALU_DEP_1)
	v_div_fixup_f64 v[5:6], v[5:6], v[0:1], v[2:3]
	v_fma_f64 v[0:1], v[2:3], v[5:6], v[0:1]
	s_delay_alu instid0(VALU_DEP_1) | instskip(NEXT) | instid1(VALU_DEP_1)
	v_div_scale_f64 v[2:3], null, v[0:1], v[0:1], 1.0
	v_rcp_f64_e32 v[7:8], v[2:3]
	s_waitcnt_depctr 0xfff
	v_fma_f64 v[9:10], -v[2:3], v[7:8], 1.0
	s_delay_alu instid0(VALU_DEP_1) | instskip(NEXT) | instid1(VALU_DEP_1)
	v_fma_f64 v[7:8], v[7:8], v[9:10], v[7:8]
	v_fma_f64 v[9:10], -v[2:3], v[7:8], 1.0
	s_delay_alu instid0(VALU_DEP_1) | instskip(SKIP_1) | instid1(VALU_DEP_1)
	v_fma_f64 v[7:8], v[7:8], v[9:10], v[7:8]
	v_div_scale_f64 v[9:10], vcc_lo, 1.0, v[0:1], 1.0
	v_mul_f64 v[11:12], v[9:10], v[7:8]
	s_delay_alu instid0(VALU_DEP_1) | instskip(NEXT) | instid1(VALU_DEP_1)
	v_fma_f64 v[2:3], -v[2:3], v[11:12], v[9:10]
	v_div_fmas_f64 v[2:3], v[2:3], v[7:8], v[11:12]
	s_delay_alu instid0(VALU_DEP_1) | instskip(NEXT) | instid1(VALU_DEP_1)
	v_div_fixup_f64 v[0:1], v[2:3], v[0:1], 1.0
	v_mul_f64 v[2:3], v[5:6], -v[0:1]
.LBB122_1105:
	s_or_b32 exec_lo, exec_lo, s2
.LBB122_1106:
	s_delay_alu instid0(SALU_CYCLE_1) | instskip(NEXT) | instid1(SALU_CYCLE_1)
	s_or_b32 exec_lo, exec_lo, s3
	s_mov_b32 s2, exec_lo
	v_cmpx_ne_u32_e64 v39, v4
	s_xor_b32 s2, exec_lo, s2
	s_cbranch_execz .LBB122_1112
; %bb.1107:
	s_mov_b32 s3, exec_lo
	v_cmpx_eq_u32_e32 46, v39
	s_cbranch_execz .LBB122_1111
; %bb.1108:
	v_cmp_ne_u32_e32 vcc_lo, 46, v4
	s_xor_b32 s6, s4, -1
	s_delay_alu instid0(SALU_CYCLE_1) | instskip(NEXT) | instid1(SALU_CYCLE_1)
	s_and_b32 s7, s6, vcc_lo
	s_and_saveexec_b32 s6, s7
	s_cbranch_execz .LBB122_1110
; %bb.1109:
	v_ashrrev_i32_e32 v5, 31, v4
	s_delay_alu instid0(VALU_DEP_1) | instskip(NEXT) | instid1(VALU_DEP_1)
	v_lshlrev_b64 v[5:6], 2, v[4:5]
	v_add_co_u32 v5, vcc_lo, v18, v5
	s_delay_alu instid0(VALU_DEP_2)
	v_add_co_ci_u32_e32 v6, vcc_lo, v19, v6, vcc_lo
	s_clause 0x1
	flat_load_b32 v7, v[5:6]
	flat_load_b32 v8, v[18:19] offset:184
	s_waitcnt vmcnt(1) lgkmcnt(1)
	flat_store_b32 v[18:19], v7 offset:184
	s_waitcnt vmcnt(0) lgkmcnt(1)
	flat_store_b32 v[5:6], v8
.LBB122_1110:
	s_or_b32 exec_lo, exec_lo, s6
	v_mov_b32_e32 v39, v4
	v_mov_b32_e32 v38, v4
.LBB122_1111:
	s_or_b32 exec_lo, exec_lo, s3
.LBB122_1112:
	s_and_not1_saveexec_b32 s2, s2
	s_cbranch_execz .LBB122_1114
; %bb.1113:
	s_clause 0xe
	scratch_load_b128 v[4:7], v158, off
	scratch_load_b128 v[8:11], v157, off
	;; [unrolled: 1-line block ×15, first 2 shown]
	v_mov_b32_e32 v39, 46
	s_waitcnt vmcnt(14)
	ds_store_2addr_b64 v20, v[4:5], v[6:7] offset0:94 offset1:95
	s_waitcnt vmcnt(13)
	ds_store_2addr_b64 v20, v[8:9], v[10:11] offset0:96 offset1:97
	;; [unrolled: 2-line block ×15, first 2 shown]
.LBB122_1114:
	s_or_b32 exec_lo, exec_lo, s2
	s_delay_alu instid0(SALU_CYCLE_1)
	s_mov_b32 s2, exec_lo
	s_waitcnt lgkmcnt(0)
	s_waitcnt_vscnt null, 0x0
	s_barrier
	buffer_gl0_inv
	v_cmpx_lt_i32_e32 46, v39
	s_cbranch_execz .LBB122_1116
; %bb.1115:
	s_clause 0x1
	scratch_load_b128 v[4:7], off, off offset:736
	scratch_load_b128 v[8:11], off, off offset:752
	s_waitcnt vmcnt(1)
	v_mul_f64 v[12:13], v[0:1], v[6:7]
	v_mul_f64 v[6:7], v[2:3], v[6:7]
	s_delay_alu instid0(VALU_DEP_2)
	v_fma_f64 v[2:3], v[2:3], v[4:5], v[12:13]
	ds_load_2addr_b64 v[12:15], v20 offset0:94 offset1:95
	ds_load_2addr_b64 v[41:44], v20 offset0:98 offset1:99
	;; [unrolled: 1-line block ×3, first 2 shown]
	v_fma_f64 v[0:1], v[0:1], v[4:5], -v[6:7]
	ds_load_2addr_b64 v[4:7], v20 offset0:100 offset1:101
	ds_load_2addr_b64 v[53:56], v20 offset0:102 offset1:103
	;; [unrolled: 1-line block ×3, first 2 shown]
	s_waitcnt lgkmcnt(5)
	v_mul_f64 v[16:17], v[14:15], v[2:3]
	v_mul_f64 v[49:50], v[12:13], v[2:3]
	s_waitcnt lgkmcnt(4)
	v_mul_f64 v[57:58], v[43:44], v[2:3]
	v_mul_f64 v[65:66], v[41:42], v[2:3]
	s_waitcnt lgkmcnt(2)
	v_mul_f64 v[69:70], v[6:7], v[2:3]
	scratch_store_b128 off, v[0:3], off offset:736
	v_fma_f64 v[16:17], v[12:13], v[0:1], -v[16:17]
	v_fma_f64 v[49:50], v[14:15], v[0:1], v[49:50]
	v_mul_f64 v[12:13], v[4:5], v[2:3]
	s_waitcnt lgkmcnt(1)
	v_mul_f64 v[14:15], v[55:56], v[2:3]
	v_fma_f64 v[57:58], v[41:42], v[0:1], -v[57:58]
	v_fma_f64 v[65:66], v[43:44], v[0:1], v[65:66]
	v_mul_f64 v[41:42], v[53:54], v[2:3]
	s_waitcnt lgkmcnt(0)
	v_mul_f64 v[43:44], v[63:64], v[2:3]
	v_fma_f64 v[69:70], v[4:5], v[0:1], -v[69:70]
	v_mul_f64 v[4:5], v[61:62], v[2:3]
	s_waitcnt vmcnt(0)
	v_add_f64 v[8:9], v[8:9], -v[16:17]
	scratch_load_b64 v[16:17], off, off offset:736
	v_fma_f64 v[71:72], v[6:7], v[0:1], v[12:13]
	v_mul_f64 v[12:13], v[47:48], v[2:3]
	v_fma_f64 v[73:74], v[53:54], v[0:1], -v[14:15]
	v_mul_f64 v[14:15], v[45:46], v[2:3]
	v_fma_f64 v[77:78], v[55:56], v[0:1], v[41:42]
	v_fma_f64 v[61:62], v[61:62], v[0:1], -v[43:44]
	scratch_load_b128 v[53:56], off, off offset:736
	v_fma_f64 v[63:64], v[63:64], v[0:1], v[4:5]
	scratch_load_b128 v[4:7], off, off offset:784
	v_add_f64 v[10:11], v[10:11], -v[49:50]
	scratch_load_b128 v[41:44], off, off offset:816
	v_fma_f64 v[79:80], v[45:46], v[0:1], -v[12:13]
	v_fma_f64 v[81:82], v[47:48], v[0:1], v[14:15]
	s_clause 0x2
	scratch_load_b128 v[45:48], off, off offset:768
	scratch_load_b128 v[0:3], off, off offset:832
	;; [unrolled: 1-line block ×3, first 2 shown]
	s_waitcnt vmcnt(4)
	v_add_f64 v[4:5], v[4:5], -v[57:58]
	v_add_f64 v[6:7], v[6:7], -v[65:66]
	s_waitcnt vmcnt(3)
	v_add_f64 v[41:42], v[41:42], -v[73:74]
	v_add_f64 v[43:44], v[43:44], -v[77:78]
	s_waitcnt vmcnt(2)
	v_add_f64 v[47:48], v[47:48], -v[81:82]
	s_waitcnt vmcnt(1)
	v_add_f64 v[0:1], v[0:1], -v[61:62]
	v_add_f64 v[2:3], v[2:3], -v[63:64]
	ds_load_2addr_b64 v[61:64], v20 offset0:106 offset1:107
	s_waitcnt vmcnt(0)
	v_add_f64 v[12:13], v[12:13], -v[69:70]
	v_add_f64 v[14:15], v[14:15], -v[71:72]
	ds_load_2addr_b64 v[69:72], v20 offset0:108 offset1:109
	v_add_f64 v[45:46], v[45:46], -v[79:80]
	s_waitcnt lgkmcnt(1)
	v_mul_f64 v[49:50], v[63:64], v[55:56]
	v_mul_f64 v[57:58], v[61:62], v[55:56]
	s_delay_alu instid0(VALU_DEP_2) | instskip(NEXT) | instid1(VALU_DEP_2)
	v_fma_f64 v[49:50], v[61:62], v[16:17], -v[49:50]
	v_fma_f64 v[57:58], v[63:64], v[16:17], v[57:58]
	s_waitcnt lgkmcnt(0)
	v_mul_f64 v[61:62], v[71:72], v[55:56]
	v_mul_f64 v[63:64], v[69:70], v[55:56]
	s_delay_alu instid0(VALU_DEP_2) | instskip(NEXT) | instid1(VALU_DEP_2)
	v_fma_f64 v[65:66], v[69:70], v[16:17], -v[61:62]
	v_fma_f64 v[73:74], v[71:72], v[16:17], v[63:64]
	ds_load_2addr_b64 v[61:64], v20 offset0:110 offset1:111
	ds_load_2addr_b64 v[69:72], v20 offset0:112 offset1:113
	s_waitcnt lgkmcnt(1)
	v_mul_f64 v[77:78], v[63:64], v[55:56]
	s_delay_alu instid0(VALU_DEP_1) | instskip(SKIP_1) | instid1(VALU_DEP_1)
	v_fma_f64 v[81:82], v[61:62], v[16:17], -v[77:78]
	v_mul_f64 v[61:62], v[61:62], v[55:56]
	v_fma_f64 v[85:86], v[63:64], v[16:17], v[61:62]
	s_waitcnt lgkmcnt(0)
	v_mul_f64 v[61:62], v[71:72], v[55:56]
	s_delay_alu instid0(VALU_DEP_1) | instskip(SKIP_1) | instid1(VALU_DEP_1)
	v_fma_f64 v[87:88], v[69:70], v[16:17], -v[61:62]
	v_mul_f64 v[61:62], v[69:70], v[55:56]
	v_fma_f64 v[89:90], v[71:72], v[16:17], v[61:62]
	ds_load_2addr_b64 v[61:64], v20 offset0:114 offset1:115
	ds_load_2addr_b64 v[69:72], v20 offset0:116 offset1:117
	scratch_load_b64 v[91:92], off, off offset:744
	s_waitcnt lgkmcnt(1)
	v_mul_f64 v[77:78], v[63:64], v[55:56]
	s_delay_alu instid0(VALU_DEP_1) | instskip(SKIP_1) | instid1(VALU_DEP_1)
	v_fma_f64 v[93:94], v[61:62], v[16:17], -v[77:78]
	v_mul_f64 v[61:62], v[61:62], v[55:56]
	v_fma_f64 v[95:96], v[63:64], v[16:17], v[61:62]
	ds_load_2addr_b64 v[61:64], v20 offset0:118 offset1:119
	ds_load_2addr_b64 v[77:80], v20 offset0:120 offset1:121
	s_waitcnt vmcnt(0) lgkmcnt(1)
	v_mul_f64 v[97:98], v[63:64], v[91:92]
	s_delay_alu instid0(VALU_DEP_1) | instskip(SKIP_1) | instid1(VALU_DEP_1)
	v_fma_f64 v[106:107], v[61:62], v[53:54], -v[97:98]
	v_mul_f64 v[61:62], v[61:62], v[91:92]
	v_fma_f64 v[109:110], v[63:64], v[53:54], v[61:62]
	s_waitcnt lgkmcnt(0)
	v_mul_f64 v[61:62], v[79:80], v[91:92]
	s_delay_alu instid0(VALU_DEP_1) | instskip(SKIP_1) | instid1(VALU_DEP_1)
	v_fma_f64 v[113:114], v[77:78], v[53:54], -v[61:62]
	v_mul_f64 v[61:62], v[77:78], v[91:92]
	v_fma_f64 v[117:118], v[79:80], v[53:54], v[61:62]
	ds_load_2addr_b64 v[61:64], v20 offset0:122 offset1:123
	s_waitcnt lgkmcnt(0)
	v_mul_f64 v[77:78], v[63:64], v[91:92]
	v_mul_f64 v[79:80], v[61:62], v[91:92]
	s_delay_alu instid0(VALU_DEP_2) | instskip(NEXT) | instid1(VALU_DEP_2)
	v_fma_f64 v[121:122], v[61:62], v[53:54], -v[77:78]
	v_fma_f64 v[130:131], v[63:64], v[53:54], v[79:80]
	v_mul_f64 v[53:54], v[71:72], v[55:56]
	v_mul_f64 v[55:56], v[69:70], v[55:56]
	s_delay_alu instid0(VALU_DEP_2) | instskip(NEXT) | instid1(VALU_DEP_2)
	v_fma_f64 v[97:98], v[69:70], v[16:17], -v[53:54]
	v_fma_f64 v[16:17], v[71:72], v[16:17], v[55:56]
	s_clause 0x3
	scratch_load_b128 v[53:56], off, off offset:848
	scratch_load_b128 v[61:64], off, off offset:864
	;; [unrolled: 1-line block ×4, first 2 shown]
	s_waitcnt vmcnt(3)
	v_add_f64 v[53:54], v[53:54], -v[49:50]
	s_waitcnt vmcnt(1)
	v_add_f64 v[71:72], v[71:72], -v[85:86]
	;; [unrolled: 2-line block ×3, first 2 shown]
	v_add_f64 v[79:80], v[79:80], -v[89:90]
	s_clause 0x1
	scratch_load_b128 v[85:88], off, off offset:912
	scratch_load_b128 v[89:92], off, off offset:928
	v_add_f64 v[55:56], v[55:56], -v[57:58]
	v_add_f64 v[61:62], v[61:62], -v[65:66]
	;; [unrolled: 1-line block ×4, first 2 shown]
	s_waitcnt vmcnt(1)
	v_add_f64 v[85:86], v[85:86], -v[93:94]
	v_add_f64 v[87:88], v[87:88], -v[95:96]
	s_waitcnt vmcnt(0)
	v_add_f64 v[89:90], v[89:90], -v[97:98]
	s_clause 0x2
	scratch_load_b128 v[93:96], off, off offset:944
	scratch_load_b128 v[97:100], off, off offset:960
	;; [unrolled: 1-line block ×3, first 2 shown]
	v_add_f64 v[91:92], v[91:92], -v[16:17]
	s_waitcnt vmcnt(2)
	v_add_f64 v[93:94], v[93:94], -v[106:107]
	v_add_f64 v[95:96], v[95:96], -v[109:110]
	s_waitcnt vmcnt(1)
	v_add_f64 v[97:98], v[97:98], -v[113:114]
	;; [unrolled: 3-line block ×3, first 2 shown]
	v_add_f64 v[128:129], v[128:129], -v[130:131]
	s_clause 0xe
	scratch_store_b128 off, v[8:11], off offset:752
	scratch_store_b128 off, v[12:15], off offset:800
	;; [unrolled: 1-line block ×15, first 2 shown]
.LBB122_1116:
	s_or_b32 exec_lo, exec_lo, s2
	s_waitcnt_vscnt null, 0x0
	s_barrier
	buffer_gl0_inv
	scratch_load_b128 v[0:3], v158, off
	v_lshl_add_u32 v4, v39, 4, v20
	s_cmp_lt_i32 s5, 49
	s_waitcnt vmcnt(0)
	ds_store_2addr_b64 v4, v[0:1], v[2:3] offset1:1
	s_waitcnt lgkmcnt(0)
	s_barrier
	buffer_gl0_inv
	ds_load_2addr_b64 v[0:3], v20 offset0:94 offset1:95
	v_mov_b32_e32 v4, 47
	s_cbranch_scc1 .LBB122_1119
; %bb.1117:
	v_add3_u32 v5, v37, 0, 0x300
	v_mov_b32_e32 v4, 47
	s_mov_b32 s6, 48
	s_set_inst_prefetch_distance 0x1
	.p2align	6
.LBB122_1118:                           ; =>This Inner Loop Header: Depth=1
	ds_load_2addr_b64 v[6:9], v5 offset1:1
	s_waitcnt lgkmcnt(1)
	v_cmp_gt_f64_e32 vcc_lo, 0, v[0:1]
	v_xor_b32_e32 v10, 0x80000000, v1
	v_cmp_gt_f64_e64 s2, 0, v[2:3]
	v_xor_b32_e32 v12, 0x80000000, v3
	v_add_nc_u32_e32 v5, 16, v5
	s_waitcnt lgkmcnt(0)
	v_cmp_gt_f64_e64 s3, 0, v[6:7]
	v_mov_b32_e32 v14, v6
	v_dual_mov_b32 v16, v8 :: v_dual_cndmask_b32 v11, v1, v10
	v_xor_b32_e32 v10, 0x80000000, v7
	v_cndmask_b32_e64 v13, v3, v12, s2
	v_xor_b32_e32 v12, 0x80000000, v9
	s_delay_alu instid0(VALU_DEP_3) | instskip(SKIP_2) | instid1(VALU_DEP_2)
	v_cndmask_b32_e64 v15, v7, v10, s3
	v_cmp_gt_f64_e64 s3, 0, v[8:9]
	v_cndmask_b32_e32 v10, v0, v0, vcc_lo
	v_cndmask_b32_e64 v17, v9, v12, s3
	v_cndmask_b32_e64 v12, v2, v2, s2
	s_delay_alu instid0(VALU_DEP_2) | instskip(NEXT) | instid1(VALU_DEP_2)
	v_add_f64 v[14:15], v[14:15], v[16:17]
	v_add_f64 v[10:11], v[10:11], v[12:13]
	s_delay_alu instid0(VALU_DEP_1)
	v_cmp_lt_f64_e32 vcc_lo, v[10:11], v[14:15]
	v_cndmask_b32_e32 v3, v3, v9, vcc_lo
	v_dual_cndmask_b32 v1, v1, v7 :: v_dual_cndmask_b32 v0, v0, v6
	v_cndmask_b32_e32 v2, v2, v8, vcc_lo
	v_cndmask_b32_e64 v4, v4, s6, vcc_lo
	s_add_i32 s6, s6, 1
	s_delay_alu instid0(SALU_CYCLE_1)
	s_cmp_lg_u32 s5, s6
	s_cbranch_scc1 .LBB122_1118
.LBB122_1119:
	s_set_inst_prefetch_distance 0x2
	s_waitcnt lgkmcnt(0)
	v_cmp_eq_f64_e32 vcc_lo, 0, v[0:1]
	v_cmp_eq_f64_e64 s2, 0, v[2:3]
	s_delay_alu instid0(VALU_DEP_1) | instskip(NEXT) | instid1(SALU_CYCLE_1)
	s_and_b32 s2, vcc_lo, s2
	s_and_saveexec_b32 s3, s2
	s_delay_alu instid0(SALU_CYCLE_1)
	s_xor_b32 s2, exec_lo, s3
; %bb.1120:
	v_cmp_ne_u32_e32 vcc_lo, 0, v35
	v_cndmask_b32_e32 v35, 48, v35, vcc_lo
; %bb.1121:
	s_and_not1_saveexec_b32 s3, s2
	s_cbranch_execz .LBB122_1127
; %bb.1122:
	v_cmp_gt_f64_e32 vcc_lo, 0, v[0:1]
	v_cmp_gt_f64_e64 s2, 0, v[2:3]
	v_xor_b32_e32 v5, 0x80000000, v1
	v_xor_b32_e32 v7, 0x80000000, v3
	s_delay_alu instid0(VALU_DEP_2) | instskip(NEXT) | instid1(VALU_DEP_2)
	v_dual_cndmask_b32 v6, v1, v5 :: v_dual_cndmask_b32 v5, v0, v0
	v_cndmask_b32_e64 v8, v3, v7, s2
	v_cndmask_b32_e64 v7, v2, v2, s2
	s_mov_b32 s2, exec_lo
	s_delay_alu instid0(VALU_DEP_1)
	v_cmpx_ngt_f64_e32 v[5:6], v[7:8]
	s_xor_b32 s2, exec_lo, s2
	s_cbranch_execz .LBB122_1124
; %bb.1123:
	v_div_scale_f64 v[5:6], null, v[2:3], v[2:3], v[0:1]
	v_div_scale_f64 v[11:12], vcc_lo, v[0:1], v[2:3], v[0:1]
	s_delay_alu instid0(VALU_DEP_2) | instskip(SKIP_2) | instid1(VALU_DEP_1)
	v_rcp_f64_e32 v[7:8], v[5:6]
	s_waitcnt_depctr 0xfff
	v_fma_f64 v[9:10], -v[5:6], v[7:8], 1.0
	v_fma_f64 v[7:8], v[7:8], v[9:10], v[7:8]
	s_delay_alu instid0(VALU_DEP_1) | instskip(NEXT) | instid1(VALU_DEP_1)
	v_fma_f64 v[9:10], -v[5:6], v[7:8], 1.0
	v_fma_f64 v[7:8], v[7:8], v[9:10], v[7:8]
	s_delay_alu instid0(VALU_DEP_1) | instskip(NEXT) | instid1(VALU_DEP_1)
	v_mul_f64 v[9:10], v[11:12], v[7:8]
	v_fma_f64 v[5:6], -v[5:6], v[9:10], v[11:12]
	s_delay_alu instid0(VALU_DEP_1) | instskip(NEXT) | instid1(VALU_DEP_1)
	v_div_fmas_f64 v[5:6], v[5:6], v[7:8], v[9:10]
	v_div_fixup_f64 v[5:6], v[5:6], v[2:3], v[0:1]
	s_delay_alu instid0(VALU_DEP_1) | instskip(NEXT) | instid1(VALU_DEP_1)
	v_fma_f64 v[0:1], v[0:1], v[5:6], v[2:3]
	v_div_scale_f64 v[2:3], null, v[0:1], v[0:1], 1.0
	s_delay_alu instid0(VALU_DEP_1) | instskip(SKIP_2) | instid1(VALU_DEP_1)
	v_rcp_f64_e32 v[7:8], v[2:3]
	s_waitcnt_depctr 0xfff
	v_fma_f64 v[9:10], -v[2:3], v[7:8], 1.0
	v_fma_f64 v[7:8], v[7:8], v[9:10], v[7:8]
	s_delay_alu instid0(VALU_DEP_1) | instskip(NEXT) | instid1(VALU_DEP_1)
	v_fma_f64 v[9:10], -v[2:3], v[7:8], 1.0
	v_fma_f64 v[7:8], v[7:8], v[9:10], v[7:8]
	v_div_scale_f64 v[9:10], vcc_lo, 1.0, v[0:1], 1.0
	s_delay_alu instid0(VALU_DEP_1) | instskip(NEXT) | instid1(VALU_DEP_1)
	v_mul_f64 v[11:12], v[9:10], v[7:8]
	v_fma_f64 v[2:3], -v[2:3], v[11:12], v[9:10]
	s_delay_alu instid0(VALU_DEP_1) | instskip(NEXT) | instid1(VALU_DEP_1)
	v_div_fmas_f64 v[2:3], v[2:3], v[7:8], v[11:12]
	v_div_fixup_f64 v[2:3], v[2:3], v[0:1], 1.0
	s_delay_alu instid0(VALU_DEP_1)
	v_mul_f64 v[0:1], v[5:6], v[2:3]
	v_xor_b32_e32 v3, 0x80000000, v3
.LBB122_1124:
	s_and_not1_saveexec_b32 s2, s2
	s_cbranch_execz .LBB122_1126
; %bb.1125:
	s_delay_alu instid0(VALU_DEP_1) | instskip(SKIP_1) | instid1(VALU_DEP_2)
	v_div_scale_f64 v[5:6], null, v[0:1], v[0:1], v[2:3]
	v_div_scale_f64 v[11:12], vcc_lo, v[2:3], v[0:1], v[2:3]
	v_rcp_f64_e32 v[7:8], v[5:6]
	s_waitcnt_depctr 0xfff
	v_fma_f64 v[9:10], -v[5:6], v[7:8], 1.0
	s_delay_alu instid0(VALU_DEP_1) | instskip(NEXT) | instid1(VALU_DEP_1)
	v_fma_f64 v[7:8], v[7:8], v[9:10], v[7:8]
	v_fma_f64 v[9:10], -v[5:6], v[7:8], 1.0
	s_delay_alu instid0(VALU_DEP_1) | instskip(NEXT) | instid1(VALU_DEP_1)
	v_fma_f64 v[7:8], v[7:8], v[9:10], v[7:8]
	v_mul_f64 v[9:10], v[11:12], v[7:8]
	s_delay_alu instid0(VALU_DEP_1) | instskip(NEXT) | instid1(VALU_DEP_1)
	v_fma_f64 v[5:6], -v[5:6], v[9:10], v[11:12]
	v_div_fmas_f64 v[5:6], v[5:6], v[7:8], v[9:10]
	s_delay_alu instid0(VALU_DEP_1) | instskip(NEXT) | instid1(VALU_DEP_1)
	v_div_fixup_f64 v[5:6], v[5:6], v[0:1], v[2:3]
	v_fma_f64 v[0:1], v[2:3], v[5:6], v[0:1]
	s_delay_alu instid0(VALU_DEP_1) | instskip(NEXT) | instid1(VALU_DEP_1)
	v_div_scale_f64 v[2:3], null, v[0:1], v[0:1], 1.0
	v_rcp_f64_e32 v[7:8], v[2:3]
	s_waitcnt_depctr 0xfff
	v_fma_f64 v[9:10], -v[2:3], v[7:8], 1.0
	s_delay_alu instid0(VALU_DEP_1) | instskip(NEXT) | instid1(VALU_DEP_1)
	v_fma_f64 v[7:8], v[7:8], v[9:10], v[7:8]
	v_fma_f64 v[9:10], -v[2:3], v[7:8], 1.0
	s_delay_alu instid0(VALU_DEP_1) | instskip(SKIP_1) | instid1(VALU_DEP_1)
	v_fma_f64 v[7:8], v[7:8], v[9:10], v[7:8]
	v_div_scale_f64 v[9:10], vcc_lo, 1.0, v[0:1], 1.0
	v_mul_f64 v[11:12], v[9:10], v[7:8]
	s_delay_alu instid0(VALU_DEP_1) | instskip(NEXT) | instid1(VALU_DEP_1)
	v_fma_f64 v[2:3], -v[2:3], v[11:12], v[9:10]
	v_div_fmas_f64 v[2:3], v[2:3], v[7:8], v[11:12]
	s_delay_alu instid0(VALU_DEP_1) | instskip(NEXT) | instid1(VALU_DEP_1)
	v_div_fixup_f64 v[0:1], v[2:3], v[0:1], 1.0
	v_mul_f64 v[2:3], v[5:6], -v[0:1]
.LBB122_1126:
	s_or_b32 exec_lo, exec_lo, s2
.LBB122_1127:
	s_delay_alu instid0(SALU_CYCLE_1) | instskip(NEXT) | instid1(SALU_CYCLE_1)
	s_or_b32 exec_lo, exec_lo, s3
	s_mov_b32 s2, exec_lo
	v_cmpx_ne_u32_e64 v39, v4
	s_xor_b32 s2, exec_lo, s2
	s_cbranch_execz .LBB122_1133
; %bb.1128:
	s_mov_b32 s3, exec_lo
	v_cmpx_eq_u32_e32 47, v39
	s_cbranch_execz .LBB122_1132
; %bb.1129:
	v_cmp_ne_u32_e32 vcc_lo, 47, v4
	s_xor_b32 s6, s4, -1
	s_delay_alu instid0(SALU_CYCLE_1) | instskip(NEXT) | instid1(SALU_CYCLE_1)
	s_and_b32 s7, s6, vcc_lo
	s_and_saveexec_b32 s6, s7
	s_cbranch_execz .LBB122_1131
; %bb.1130:
	v_ashrrev_i32_e32 v5, 31, v4
	s_delay_alu instid0(VALU_DEP_1) | instskip(NEXT) | instid1(VALU_DEP_1)
	v_lshlrev_b64 v[5:6], 2, v[4:5]
	v_add_co_u32 v5, vcc_lo, v18, v5
	s_delay_alu instid0(VALU_DEP_2)
	v_add_co_ci_u32_e32 v6, vcc_lo, v19, v6, vcc_lo
	s_clause 0x1
	flat_load_b32 v7, v[5:6]
	flat_load_b32 v8, v[18:19] offset:188
	s_waitcnt vmcnt(1) lgkmcnt(1)
	flat_store_b32 v[18:19], v7 offset:188
	s_waitcnt vmcnt(0) lgkmcnt(1)
	flat_store_b32 v[5:6], v8
.LBB122_1131:
	s_or_b32 exec_lo, exec_lo, s6
	v_mov_b32_e32 v39, v4
	v_mov_b32_e32 v38, v4
.LBB122_1132:
	s_or_b32 exec_lo, exec_lo, s3
.LBB122_1133:
	s_and_not1_saveexec_b32 s2, s2
	s_cbranch_execz .LBB122_1135
; %bb.1134:
	s_clause 0xd
	scratch_load_b128 v[4:7], v157, off
	scratch_load_b128 v[8:11], v156, off
	;; [unrolled: 1-line block ×14, first 2 shown]
	v_mov_b32_e32 v39, 47
	s_waitcnt vmcnt(13)
	ds_store_2addr_b64 v20, v[4:5], v[6:7] offset0:96 offset1:97
	s_waitcnt vmcnt(12)
	ds_store_2addr_b64 v20, v[8:9], v[10:11] offset0:98 offset1:99
	;; [unrolled: 2-line block ×14, first 2 shown]
.LBB122_1135:
	s_or_b32 exec_lo, exec_lo, s2
	s_delay_alu instid0(SALU_CYCLE_1)
	s_mov_b32 s2, exec_lo
	s_waitcnt lgkmcnt(0)
	s_waitcnt_vscnt null, 0x0
	s_barrier
	buffer_gl0_inv
	v_cmpx_lt_i32_e32 47, v39
	s_cbranch_execz .LBB122_1137
; %bb.1136:
	s_clause 0x1
	scratch_load_b128 v[4:7], off, off offset:752
	scratch_load_b128 v[8:11], off, off offset:768
	s_waitcnt vmcnt(1)
	v_mul_f64 v[12:13], v[0:1], v[6:7]
	v_mul_f64 v[16:17], v[2:3], v[6:7]
	s_delay_alu instid0(VALU_DEP_2)
	v_fma_f64 v[6:7], v[2:3], v[4:5], v[12:13]
	ds_load_2addr_b64 v[12:15], v20 offset0:96 offset1:97
	ds_load_2addr_b64 v[41:44], v20 offset0:98 offset1:99
	v_fma_f64 v[4:5], v[0:1], v[4:5], -v[16:17]
	s_waitcnt lgkmcnt(1)
	v_mul_f64 v[0:1], v[14:15], v[6:7]
	v_mul_f64 v[2:3], v[12:13], v[6:7]
	scratch_store_b128 off, v[4:7], off offset:752
	s_waitcnt lgkmcnt(0)
	v_mul_f64 v[121:122], v[43:44], v[6:7]
	v_fma_f64 v[0:1], v[12:13], v[4:5], -v[0:1]
	v_fma_f64 v[2:3], v[14:15], v[4:5], v[2:3]
	s_delay_alu instid0(VALU_DEP_3) | instskip(SKIP_1) | instid1(VALU_DEP_3)
	v_fma_f64 v[121:122], v[41:42], v[4:5], -v[121:122]
	s_waitcnt vmcnt(0)
	v_add_f64 v[0:1], v[8:9], -v[0:1]
	s_delay_alu instid0(VALU_DEP_3)
	v_add_f64 v[2:3], v[10:11], -v[2:3]
	s_clause 0xf
	scratch_load_b128 v[8:11], off, off offset:752
	scratch_load_b64 v[16:17], off, off offset:760
	scratch_load_b64 v[49:50], off, off offset:752
	scratch_load_b128 v[12:15], off, off offset:800
	scratch_load_b128 v[45:48], off, off offset:816
	scratch_load_b128 v[53:56], off, off offset:832
	scratch_load_b128 v[61:64], off, off offset:848
	scratch_load_b128 v[69:72], off, off offset:784
	scratch_load_b128 v[77:80], off, off offset:864
	scratch_load_b128 v[85:88], off, off offset:880
	scratch_load_b128 v[89:92], off, off offset:896
	scratch_load_b128 v[93:96], off, off offset:912
	scratch_load_b128 v[97:100], off, off offset:928
	scratch_load_b128 v[126:129], off, off offset:944
	scratch_load_b128 v[137:140], off, off offset:960
	scratch_load_b128 v[171:174], off, off offset:976
	ds_load_2addr_b64 v[175:178], v20 offset0:100 offset1:101
	ds_load_2addr_b64 v[179:182], v20 offset0:102 offset1:103
	;; [unrolled: 1-line block ×12, first 2 shown]
	s_waitcnt lgkmcnt(11)
	v_mul_f64 v[57:58], v[177:178], v[6:7]
	s_waitcnt lgkmcnt(10)
	v_mul_f64 v[73:74], v[181:182], v[6:7]
	v_mul_f64 v[81:82], v[179:180], v[6:7]
	;; [unrolled: 1-line block ×3, first 2 shown]
	s_waitcnt lgkmcnt(9)
	v_mul_f64 v[106:107], v[185:186], v[6:7]
	v_mul_f64 v[109:110], v[183:184], v[6:7]
	s_waitcnt lgkmcnt(8)
	v_mul_f64 v[113:114], v[189:190], v[6:7]
	v_mul_f64 v[117:118], v[187:188], v[6:7]
	;; [unrolled: 1-line block ×3, first 2 shown]
	v_fma_f64 v[57:58], v[175:176], v[4:5], -v[57:58]
	v_fma_f64 v[73:74], v[179:180], v[4:5], -v[73:74]
	v_fma_f64 v[81:82], v[181:182], v[4:5], v[81:82]
	v_fma_f64 v[65:66], v[177:178], v[4:5], v[65:66]
	v_fma_f64 v[106:107], v[183:184], v[4:5], -v[106:107]
	v_fma_f64 v[109:110], v[185:186], v[4:5], v[109:110]
	v_fma_f64 v[113:114], v[187:188], v[4:5], -v[113:114]
	v_fma_f64 v[117:118], v[189:190], v[4:5], v[117:118]
	v_fma_f64 v[175:176], v[43:44], v[4:5], v[6:7]
	s_waitcnt vmcnt(15) lgkmcnt(7)
	v_mul_f64 v[130:131], v[193:194], v[10:11]
	v_mul_f64 v[133:134], v[191:192], v[10:11]
	s_waitcnt lgkmcnt(6)
	v_mul_f64 v[223:224], v[197:198], v[10:11]
	v_mul_f64 v[225:226], v[195:196], v[10:11]
	s_waitcnt lgkmcnt(5)
	v_mul_f64 v[227:228], v[201:202], v[10:11]
	v_mul_f64 v[229:230], v[199:200], v[10:11]
	s_waitcnt lgkmcnt(4)
	v_mul_f64 v[231:232], v[205:206], v[10:11]
	v_mul_f64 v[233:234], v[203:204], v[10:11]
	s_waitcnt lgkmcnt(3)
	v_mul_f64 v[235:236], v[209:210], v[10:11]
	v_mul_f64 v[237:238], v[207:208], v[10:11]
	s_waitcnt lgkmcnt(2)
	v_mul_f64 v[239:240], v[213:214], v[10:11]
	v_mul_f64 v[10:11], v[211:212], v[10:11]
	s_waitcnt vmcnt(14) lgkmcnt(1)
	v_mul_f64 v[241:242], v[217:218], v[16:17]
	v_mul_f64 v[243:244], v[215:216], v[16:17]
	s_waitcnt lgkmcnt(0)
	v_mul_f64 v[245:246], v[221:222], v[16:17]
	v_mul_f64 v[16:17], v[219:220], v[16:17]
	s_waitcnt vmcnt(12)
	v_add_f64 v[4:5], v[12:13], -v[57:58]
	v_add_f64 v[6:7], v[14:15], -v[65:66]
	s_waitcnt vmcnt(10)
	v_add_f64 v[12:13], v[53:54], -v[106:107]
	v_add_f64 v[14:15], v[55:56], -v[109:110]
	;; [unrolled: 3-line block ×3, first 2 shown]
	v_fma_f64 v[130:131], v[191:192], v[49:50], -v[130:131]
	v_fma_f64 v[133:134], v[193:194], v[49:50], v[133:134]
	v_fma_f64 v[177:178], v[195:196], v[49:50], -v[223:224]
	v_fma_f64 v[179:180], v[197:198], v[49:50], v[225:226]
	;; [unrolled: 2-line block ×8, first 2 shown]
	v_add_f64 v[8:9], v[45:46], -v[73:74]
	v_add_f64 v[10:11], v[47:48], -v[81:82]
	s_waitcnt vmcnt(8)
	v_add_f64 v[45:46], v[69:70], -v[121:122]
	v_add_f64 v[47:48], v[71:72], -v[175:176]
	s_waitcnt vmcnt(7)
	;; [unrolled: 3-line block ×9, first 2 shown]
	v_add_f64 v[97:98], v[171:172], -v[199:200]
	v_add_f64 v[99:100], v[173:174], -v[16:17]
	s_clause 0xd
	scratch_store_b128 off, v[0:3], off offset:768
	scratch_store_b128 off, v[8:11], off offset:816
	;; [unrolled: 1-line block ×14, first 2 shown]
.LBB122_1137:
	s_or_b32 exec_lo, exec_lo, s2
	s_waitcnt_vscnt null, 0x0
	s_barrier
	buffer_gl0_inv
	scratch_load_b128 v[0:3], v157, off
	v_lshl_add_u32 v4, v39, 4, v20
	s_cmp_lt_i32 s5, 50
	s_waitcnt vmcnt(0)
	ds_store_2addr_b64 v4, v[0:1], v[2:3] offset1:1
	s_waitcnt lgkmcnt(0)
	s_barrier
	buffer_gl0_inv
	ds_load_2addr_b64 v[0:3], v20 offset0:96 offset1:97
	v_mov_b32_e32 v4, 48
	s_cbranch_scc1 .LBB122_1140
; %bb.1138:
	v_add3_u32 v5, v37, 0, 0x310
	v_mov_b32_e32 v4, 48
	s_mov_b32 s6, 49
	s_set_inst_prefetch_distance 0x1
	.p2align	6
.LBB122_1139:                           ; =>This Inner Loop Header: Depth=1
	ds_load_2addr_b64 v[6:9], v5 offset1:1
	s_waitcnt lgkmcnt(1)
	v_cmp_gt_f64_e32 vcc_lo, 0, v[0:1]
	v_xor_b32_e32 v10, 0x80000000, v1
	v_cmp_gt_f64_e64 s2, 0, v[2:3]
	v_xor_b32_e32 v12, 0x80000000, v3
	v_add_nc_u32_e32 v5, 16, v5
	s_waitcnt lgkmcnt(0)
	v_cmp_gt_f64_e64 s3, 0, v[6:7]
	v_mov_b32_e32 v14, v6
	v_dual_mov_b32 v16, v8 :: v_dual_cndmask_b32 v11, v1, v10
	v_xor_b32_e32 v10, 0x80000000, v7
	v_cndmask_b32_e64 v13, v3, v12, s2
	v_xor_b32_e32 v12, 0x80000000, v9
	s_delay_alu instid0(VALU_DEP_3) | instskip(SKIP_2) | instid1(VALU_DEP_2)
	v_cndmask_b32_e64 v15, v7, v10, s3
	v_cmp_gt_f64_e64 s3, 0, v[8:9]
	v_cndmask_b32_e32 v10, v0, v0, vcc_lo
	v_cndmask_b32_e64 v17, v9, v12, s3
	v_cndmask_b32_e64 v12, v2, v2, s2
	s_delay_alu instid0(VALU_DEP_2) | instskip(NEXT) | instid1(VALU_DEP_2)
	v_add_f64 v[14:15], v[14:15], v[16:17]
	v_add_f64 v[10:11], v[10:11], v[12:13]
	s_delay_alu instid0(VALU_DEP_1)
	v_cmp_lt_f64_e32 vcc_lo, v[10:11], v[14:15]
	v_cndmask_b32_e32 v3, v3, v9, vcc_lo
	v_dual_cndmask_b32 v1, v1, v7 :: v_dual_cndmask_b32 v0, v0, v6
	v_cndmask_b32_e32 v2, v2, v8, vcc_lo
	v_cndmask_b32_e64 v4, v4, s6, vcc_lo
	s_add_i32 s6, s6, 1
	s_delay_alu instid0(SALU_CYCLE_1)
	s_cmp_lg_u32 s5, s6
	s_cbranch_scc1 .LBB122_1139
.LBB122_1140:
	s_set_inst_prefetch_distance 0x2
	s_waitcnt lgkmcnt(0)
	v_cmp_eq_f64_e32 vcc_lo, 0, v[0:1]
	v_cmp_eq_f64_e64 s2, 0, v[2:3]
	s_delay_alu instid0(VALU_DEP_1) | instskip(NEXT) | instid1(SALU_CYCLE_1)
	s_and_b32 s2, vcc_lo, s2
	s_and_saveexec_b32 s3, s2
	s_delay_alu instid0(SALU_CYCLE_1)
	s_xor_b32 s2, exec_lo, s3
; %bb.1141:
	v_cmp_ne_u32_e32 vcc_lo, 0, v35
	v_cndmask_b32_e32 v35, 49, v35, vcc_lo
; %bb.1142:
	s_and_not1_saveexec_b32 s3, s2
	s_cbranch_execz .LBB122_1148
; %bb.1143:
	v_cmp_gt_f64_e32 vcc_lo, 0, v[0:1]
	v_cmp_gt_f64_e64 s2, 0, v[2:3]
	v_xor_b32_e32 v5, 0x80000000, v1
	v_xor_b32_e32 v7, 0x80000000, v3
	s_delay_alu instid0(VALU_DEP_2) | instskip(NEXT) | instid1(VALU_DEP_2)
	v_dual_cndmask_b32 v6, v1, v5 :: v_dual_cndmask_b32 v5, v0, v0
	v_cndmask_b32_e64 v8, v3, v7, s2
	v_cndmask_b32_e64 v7, v2, v2, s2
	s_mov_b32 s2, exec_lo
	s_delay_alu instid0(VALU_DEP_1)
	v_cmpx_ngt_f64_e32 v[5:6], v[7:8]
	s_xor_b32 s2, exec_lo, s2
	s_cbranch_execz .LBB122_1145
; %bb.1144:
	v_div_scale_f64 v[5:6], null, v[2:3], v[2:3], v[0:1]
	v_div_scale_f64 v[11:12], vcc_lo, v[0:1], v[2:3], v[0:1]
	s_delay_alu instid0(VALU_DEP_2) | instskip(SKIP_2) | instid1(VALU_DEP_1)
	v_rcp_f64_e32 v[7:8], v[5:6]
	s_waitcnt_depctr 0xfff
	v_fma_f64 v[9:10], -v[5:6], v[7:8], 1.0
	v_fma_f64 v[7:8], v[7:8], v[9:10], v[7:8]
	s_delay_alu instid0(VALU_DEP_1) | instskip(NEXT) | instid1(VALU_DEP_1)
	v_fma_f64 v[9:10], -v[5:6], v[7:8], 1.0
	v_fma_f64 v[7:8], v[7:8], v[9:10], v[7:8]
	s_delay_alu instid0(VALU_DEP_1) | instskip(NEXT) | instid1(VALU_DEP_1)
	v_mul_f64 v[9:10], v[11:12], v[7:8]
	v_fma_f64 v[5:6], -v[5:6], v[9:10], v[11:12]
	s_delay_alu instid0(VALU_DEP_1) | instskip(NEXT) | instid1(VALU_DEP_1)
	v_div_fmas_f64 v[5:6], v[5:6], v[7:8], v[9:10]
	v_div_fixup_f64 v[5:6], v[5:6], v[2:3], v[0:1]
	s_delay_alu instid0(VALU_DEP_1) | instskip(NEXT) | instid1(VALU_DEP_1)
	v_fma_f64 v[0:1], v[0:1], v[5:6], v[2:3]
	v_div_scale_f64 v[2:3], null, v[0:1], v[0:1], 1.0
	s_delay_alu instid0(VALU_DEP_1) | instskip(SKIP_2) | instid1(VALU_DEP_1)
	v_rcp_f64_e32 v[7:8], v[2:3]
	s_waitcnt_depctr 0xfff
	v_fma_f64 v[9:10], -v[2:3], v[7:8], 1.0
	v_fma_f64 v[7:8], v[7:8], v[9:10], v[7:8]
	s_delay_alu instid0(VALU_DEP_1) | instskip(NEXT) | instid1(VALU_DEP_1)
	v_fma_f64 v[9:10], -v[2:3], v[7:8], 1.0
	v_fma_f64 v[7:8], v[7:8], v[9:10], v[7:8]
	v_div_scale_f64 v[9:10], vcc_lo, 1.0, v[0:1], 1.0
	s_delay_alu instid0(VALU_DEP_1) | instskip(NEXT) | instid1(VALU_DEP_1)
	v_mul_f64 v[11:12], v[9:10], v[7:8]
	v_fma_f64 v[2:3], -v[2:3], v[11:12], v[9:10]
	s_delay_alu instid0(VALU_DEP_1) | instskip(NEXT) | instid1(VALU_DEP_1)
	v_div_fmas_f64 v[2:3], v[2:3], v[7:8], v[11:12]
	v_div_fixup_f64 v[2:3], v[2:3], v[0:1], 1.0
	s_delay_alu instid0(VALU_DEP_1)
	v_mul_f64 v[0:1], v[5:6], v[2:3]
	v_xor_b32_e32 v3, 0x80000000, v3
.LBB122_1145:
	s_and_not1_saveexec_b32 s2, s2
	s_cbranch_execz .LBB122_1147
; %bb.1146:
	s_delay_alu instid0(VALU_DEP_1) | instskip(SKIP_1) | instid1(VALU_DEP_2)
	v_div_scale_f64 v[5:6], null, v[0:1], v[0:1], v[2:3]
	v_div_scale_f64 v[11:12], vcc_lo, v[2:3], v[0:1], v[2:3]
	v_rcp_f64_e32 v[7:8], v[5:6]
	s_waitcnt_depctr 0xfff
	v_fma_f64 v[9:10], -v[5:6], v[7:8], 1.0
	s_delay_alu instid0(VALU_DEP_1) | instskip(NEXT) | instid1(VALU_DEP_1)
	v_fma_f64 v[7:8], v[7:8], v[9:10], v[7:8]
	v_fma_f64 v[9:10], -v[5:6], v[7:8], 1.0
	s_delay_alu instid0(VALU_DEP_1) | instskip(NEXT) | instid1(VALU_DEP_1)
	v_fma_f64 v[7:8], v[7:8], v[9:10], v[7:8]
	v_mul_f64 v[9:10], v[11:12], v[7:8]
	s_delay_alu instid0(VALU_DEP_1) | instskip(NEXT) | instid1(VALU_DEP_1)
	v_fma_f64 v[5:6], -v[5:6], v[9:10], v[11:12]
	v_div_fmas_f64 v[5:6], v[5:6], v[7:8], v[9:10]
	s_delay_alu instid0(VALU_DEP_1) | instskip(NEXT) | instid1(VALU_DEP_1)
	v_div_fixup_f64 v[5:6], v[5:6], v[0:1], v[2:3]
	v_fma_f64 v[0:1], v[2:3], v[5:6], v[0:1]
	s_delay_alu instid0(VALU_DEP_1) | instskip(NEXT) | instid1(VALU_DEP_1)
	v_div_scale_f64 v[2:3], null, v[0:1], v[0:1], 1.0
	v_rcp_f64_e32 v[7:8], v[2:3]
	s_waitcnt_depctr 0xfff
	v_fma_f64 v[9:10], -v[2:3], v[7:8], 1.0
	s_delay_alu instid0(VALU_DEP_1) | instskip(NEXT) | instid1(VALU_DEP_1)
	v_fma_f64 v[7:8], v[7:8], v[9:10], v[7:8]
	v_fma_f64 v[9:10], -v[2:3], v[7:8], 1.0
	s_delay_alu instid0(VALU_DEP_1) | instskip(SKIP_1) | instid1(VALU_DEP_1)
	v_fma_f64 v[7:8], v[7:8], v[9:10], v[7:8]
	v_div_scale_f64 v[9:10], vcc_lo, 1.0, v[0:1], 1.0
	v_mul_f64 v[11:12], v[9:10], v[7:8]
	s_delay_alu instid0(VALU_DEP_1) | instskip(NEXT) | instid1(VALU_DEP_1)
	v_fma_f64 v[2:3], -v[2:3], v[11:12], v[9:10]
	v_div_fmas_f64 v[2:3], v[2:3], v[7:8], v[11:12]
	s_delay_alu instid0(VALU_DEP_1) | instskip(NEXT) | instid1(VALU_DEP_1)
	v_div_fixup_f64 v[0:1], v[2:3], v[0:1], 1.0
	v_mul_f64 v[2:3], v[5:6], -v[0:1]
.LBB122_1147:
	s_or_b32 exec_lo, exec_lo, s2
.LBB122_1148:
	s_delay_alu instid0(SALU_CYCLE_1) | instskip(NEXT) | instid1(SALU_CYCLE_1)
	s_or_b32 exec_lo, exec_lo, s3
	s_mov_b32 s2, exec_lo
	v_cmpx_ne_u32_e64 v39, v4
	s_xor_b32 s2, exec_lo, s2
	s_cbranch_execz .LBB122_1154
; %bb.1149:
	s_mov_b32 s3, exec_lo
	v_cmpx_eq_u32_e32 48, v39
	s_cbranch_execz .LBB122_1153
; %bb.1150:
	v_cmp_ne_u32_e32 vcc_lo, 48, v4
	s_xor_b32 s6, s4, -1
	s_delay_alu instid0(SALU_CYCLE_1) | instskip(NEXT) | instid1(SALU_CYCLE_1)
	s_and_b32 s7, s6, vcc_lo
	s_and_saveexec_b32 s6, s7
	s_cbranch_execz .LBB122_1152
; %bb.1151:
	v_ashrrev_i32_e32 v5, 31, v4
	s_delay_alu instid0(VALU_DEP_1) | instskip(NEXT) | instid1(VALU_DEP_1)
	v_lshlrev_b64 v[5:6], 2, v[4:5]
	v_add_co_u32 v5, vcc_lo, v18, v5
	s_delay_alu instid0(VALU_DEP_2)
	v_add_co_ci_u32_e32 v6, vcc_lo, v19, v6, vcc_lo
	s_clause 0x1
	flat_load_b32 v7, v[5:6]
	flat_load_b32 v8, v[18:19] offset:192
	s_waitcnt vmcnt(1) lgkmcnt(1)
	flat_store_b32 v[18:19], v7 offset:192
	s_waitcnt vmcnt(0) lgkmcnt(1)
	flat_store_b32 v[5:6], v8
.LBB122_1152:
	s_or_b32 exec_lo, exec_lo, s6
	v_mov_b32_e32 v39, v4
	v_mov_b32_e32 v38, v4
.LBB122_1153:
	s_or_b32 exec_lo, exec_lo, s3
.LBB122_1154:
	s_and_not1_saveexec_b32 s2, s2
	s_cbranch_execz .LBB122_1156
; %bb.1155:
	s_clause 0xc
	scratch_load_b128 v[4:7], v156, off
	scratch_load_b128 v[8:11], v155, off
	;; [unrolled: 1-line block ×13, first 2 shown]
	v_mov_b32_e32 v39, 48
	s_waitcnt vmcnt(12)
	ds_store_2addr_b64 v20, v[4:5], v[6:7] offset0:98 offset1:99
	s_waitcnt vmcnt(11)
	ds_store_2addr_b64 v20, v[8:9], v[10:11] offset0:100 offset1:101
	;; [unrolled: 2-line block ×13, first 2 shown]
.LBB122_1156:
	s_or_b32 exec_lo, exec_lo, s2
	s_delay_alu instid0(SALU_CYCLE_1)
	s_mov_b32 s2, exec_lo
	s_waitcnt lgkmcnt(0)
	s_waitcnt_vscnt null, 0x0
	s_barrier
	buffer_gl0_inv
	v_cmpx_lt_i32_e32 48, v39
	s_cbranch_execz .LBB122_1158
; %bb.1157:
	s_clause 0x1
	scratch_load_b128 v[4:7], off, off offset:768
	scratch_load_b128 v[8:11], off, off offset:784
	s_waitcnt vmcnt(1)
	v_mul_f64 v[12:13], v[0:1], v[6:7]
	v_mul_f64 v[6:7], v[2:3], v[6:7]
	s_delay_alu instid0(VALU_DEP_2)
	v_fma_f64 v[2:3], v[2:3], v[4:5], v[12:13]
	ds_load_2addr_b64 v[12:15], v20 offset0:98 offset1:99
	ds_load_2addr_b64 v[41:44], v20 offset0:100 offset1:101
	v_fma_f64 v[0:1], v[0:1], v[4:5], -v[6:7]
	s_waitcnt lgkmcnt(1)
	v_mul_f64 v[4:5], v[14:15], v[2:3]
	v_mul_f64 v[6:7], v[12:13], v[2:3]
	scratch_store_b128 off, v[0:3], off offset:768
	s_waitcnt lgkmcnt(0)
	v_mul_f64 v[121:122], v[43:44], v[2:3]
	v_fma_f64 v[4:5], v[12:13], v[0:1], -v[4:5]
	v_fma_f64 v[6:7], v[14:15], v[0:1], v[6:7]
	s_delay_alu instid0(VALU_DEP_3) | instskip(SKIP_1) | instid1(VALU_DEP_3)
	v_fma_f64 v[121:122], v[41:42], v[0:1], -v[121:122]
	s_waitcnt vmcnt(0)
	v_add_f64 v[4:5], v[8:9], -v[4:5]
	s_delay_alu instid0(VALU_DEP_3)
	v_add_f64 v[6:7], v[10:11], -v[6:7]
	s_clause 0xe
	scratch_load_b128 v[8:11], off, off offset:768
	scratch_load_b64 v[16:17], off, off offset:776
	scratch_load_b64 v[49:50], off, off offset:768
	scratch_load_b128 v[12:15], off, off offset:816
	scratch_load_b128 v[45:48], off, off offset:832
	;; [unrolled: 1-line block ×12, first 2 shown]
	ds_load_2addr_b64 v[171:174], v20 offset0:102 offset1:103
	ds_load_2addr_b64 v[175:178], v20 offset0:104 offset1:105
	;; [unrolled: 1-line block ×11, first 2 shown]
	s_waitcnt lgkmcnt(10)
	v_mul_f64 v[57:58], v[173:174], v[2:3]
	s_waitcnt lgkmcnt(9)
	v_mul_f64 v[73:74], v[177:178], v[2:3]
	v_mul_f64 v[81:82], v[175:176], v[2:3]
	;; [unrolled: 1-line block ×3, first 2 shown]
	s_waitcnt lgkmcnt(8)
	v_mul_f64 v[106:107], v[181:182], v[2:3]
	v_mul_f64 v[109:110], v[179:180], v[2:3]
	s_waitcnt lgkmcnt(7)
	v_mul_f64 v[113:114], v[185:186], v[2:3]
	v_mul_f64 v[117:118], v[183:184], v[2:3]
	;; [unrolled: 1-line block ×3, first 2 shown]
	v_fma_f64 v[57:58], v[171:172], v[0:1], -v[57:58]
	v_fma_f64 v[73:74], v[175:176], v[0:1], -v[73:74]
	v_fma_f64 v[81:82], v[177:178], v[0:1], v[81:82]
	v_fma_f64 v[65:66], v[173:174], v[0:1], v[65:66]
	v_fma_f64 v[106:107], v[179:180], v[0:1], -v[106:107]
	v_fma_f64 v[109:110], v[181:182], v[0:1], v[109:110]
	v_fma_f64 v[113:114], v[183:184], v[0:1], -v[113:114]
	v_fma_f64 v[117:118], v[185:186], v[0:1], v[117:118]
	v_fma_f64 v[171:172], v[43:44], v[0:1], v[2:3]
	s_waitcnt vmcnt(14) lgkmcnt(6)
	v_mul_f64 v[130:131], v[189:190], v[10:11]
	v_mul_f64 v[133:134], v[187:188], v[10:11]
	s_waitcnt lgkmcnt(5)
	v_mul_f64 v[215:216], v[193:194], v[10:11]
	v_mul_f64 v[217:218], v[191:192], v[10:11]
	s_waitcnt lgkmcnt(4)
	;; [unrolled: 3-line block ×5, first 2 shown]
	v_mul_f64 v[231:232], v[209:210], v[10:11]
	v_mul_f64 v[10:11], v[207:208], v[10:11]
	s_waitcnt vmcnt(13) lgkmcnt(0)
	v_mul_f64 v[233:234], v[213:214], v[16:17]
	v_mul_f64 v[16:17], v[211:212], v[16:17]
	s_waitcnt vmcnt(11)
	v_add_f64 v[0:1], v[12:13], -v[57:58]
	v_add_f64 v[2:3], v[14:15], -v[65:66]
	s_waitcnt vmcnt(9)
	v_add_f64 v[12:13], v[53:54], -v[106:107]
	v_add_f64 v[14:15], v[55:56], -v[109:110]
	;; [unrolled: 3-line block ×3, first 2 shown]
	v_fma_f64 v[130:131], v[187:188], v[49:50], -v[130:131]
	v_fma_f64 v[133:134], v[189:190], v[49:50], v[133:134]
	v_fma_f64 v[173:174], v[191:192], v[49:50], -v[215:216]
	v_fma_f64 v[175:176], v[193:194], v[49:50], v[217:218]
	;; [unrolled: 2-line block ×7, first 2 shown]
	v_add_f64 v[8:9], v[45:46], -v[73:74]
	v_add_f64 v[10:11], v[47:48], -v[81:82]
	s_waitcnt vmcnt(7)
	v_add_f64 v[45:46], v[69:70], -v[121:122]
	v_add_f64 v[47:48], v[71:72], -v[171:172]
	s_waitcnt vmcnt(6)
	v_add_f64 v[53:54], v[77:78], -v[130:131]
	v_add_f64 v[55:56], v[79:80], -v[133:134]
	s_waitcnt vmcnt(5)
	v_add_f64 v[61:62], v[85:86], -v[173:174]
	v_add_f64 v[63:64], v[87:88], -v[175:176]
	s_waitcnt vmcnt(4)
	v_add_f64 v[69:70], v[89:90], -v[177:178]
	v_add_f64 v[71:72], v[91:92], -v[179:180]
	s_waitcnt vmcnt(3)
	v_add_f64 v[77:78], v[93:94], -v[181:182]
	v_add_f64 v[79:80], v[95:96], -v[183:184]
	s_waitcnt vmcnt(2)
	v_add_f64 v[85:86], v[97:98], -v[185:186]
	v_add_f64 v[87:88], v[99:100], -v[187:188]
	s_waitcnt vmcnt(1)
	v_add_f64 v[89:90], v[126:127], -v[189:190]
	v_add_f64 v[91:92], v[128:129], -v[49:50]
	s_waitcnt vmcnt(0)
	v_add_f64 v[93:94], v[137:138], -v[191:192]
	v_add_f64 v[95:96], v[139:140], -v[16:17]
	s_clause 0xc
	scratch_store_b128 off, v[4:7], off offset:784
	scratch_store_b128 off, v[8:11], off offset:832
	scratch_store_b128 off, v[12:15], off offset:848
	scratch_store_b128 off, v[45:48], off offset:800
	scratch_store_b128 off, v[0:3], off offset:816
	scratch_store_b128 off, v[41:44], off offset:864
	scratch_store_b128 off, v[53:56], off offset:880
	scratch_store_b128 off, v[61:64], off offset:896
	scratch_store_b128 off, v[69:72], off offset:912
	scratch_store_b128 off, v[77:80], off offset:928
	scratch_store_b128 off, v[85:88], off offset:944
	scratch_store_b128 off, v[89:92], off offset:960
	scratch_store_b128 off, v[93:96], off offset:976
.LBB122_1158:
	s_or_b32 exec_lo, exec_lo, s2
	s_waitcnt_vscnt null, 0x0
	s_barrier
	buffer_gl0_inv
	scratch_load_b128 v[0:3], v156, off
	v_lshl_add_u32 v4, v39, 4, v20
	s_cmp_lt_i32 s5, 51
	s_waitcnt vmcnt(0)
	ds_store_2addr_b64 v4, v[0:1], v[2:3] offset1:1
	s_waitcnt lgkmcnt(0)
	s_barrier
	buffer_gl0_inv
	ds_load_2addr_b64 v[0:3], v20 offset0:98 offset1:99
	v_mov_b32_e32 v4, 49
	s_cbranch_scc1 .LBB122_1161
; %bb.1159:
	v_add3_u32 v5, v37, 0, 0x320
	v_mov_b32_e32 v4, 49
	s_mov_b32 s6, 50
	s_set_inst_prefetch_distance 0x1
	.p2align	6
.LBB122_1160:                           ; =>This Inner Loop Header: Depth=1
	ds_load_2addr_b64 v[6:9], v5 offset1:1
	s_waitcnt lgkmcnt(1)
	v_cmp_gt_f64_e32 vcc_lo, 0, v[0:1]
	v_xor_b32_e32 v10, 0x80000000, v1
	v_cmp_gt_f64_e64 s2, 0, v[2:3]
	v_xor_b32_e32 v12, 0x80000000, v3
	v_add_nc_u32_e32 v5, 16, v5
	s_waitcnt lgkmcnt(0)
	v_cmp_gt_f64_e64 s3, 0, v[6:7]
	v_mov_b32_e32 v14, v6
	v_dual_mov_b32 v16, v8 :: v_dual_cndmask_b32 v11, v1, v10
	v_xor_b32_e32 v10, 0x80000000, v7
	v_cndmask_b32_e64 v13, v3, v12, s2
	v_xor_b32_e32 v12, 0x80000000, v9
	s_delay_alu instid0(VALU_DEP_3) | instskip(SKIP_2) | instid1(VALU_DEP_2)
	v_cndmask_b32_e64 v15, v7, v10, s3
	v_cmp_gt_f64_e64 s3, 0, v[8:9]
	v_cndmask_b32_e32 v10, v0, v0, vcc_lo
	v_cndmask_b32_e64 v17, v9, v12, s3
	v_cndmask_b32_e64 v12, v2, v2, s2
	s_delay_alu instid0(VALU_DEP_2) | instskip(NEXT) | instid1(VALU_DEP_2)
	v_add_f64 v[14:15], v[14:15], v[16:17]
	v_add_f64 v[10:11], v[10:11], v[12:13]
	s_delay_alu instid0(VALU_DEP_1)
	v_cmp_lt_f64_e32 vcc_lo, v[10:11], v[14:15]
	v_cndmask_b32_e32 v3, v3, v9, vcc_lo
	v_dual_cndmask_b32 v1, v1, v7 :: v_dual_cndmask_b32 v0, v0, v6
	v_cndmask_b32_e32 v2, v2, v8, vcc_lo
	v_cndmask_b32_e64 v4, v4, s6, vcc_lo
	s_add_i32 s6, s6, 1
	s_delay_alu instid0(SALU_CYCLE_1)
	s_cmp_lg_u32 s5, s6
	s_cbranch_scc1 .LBB122_1160
.LBB122_1161:
	s_set_inst_prefetch_distance 0x2
	s_waitcnt lgkmcnt(0)
	v_cmp_eq_f64_e32 vcc_lo, 0, v[0:1]
	v_cmp_eq_f64_e64 s2, 0, v[2:3]
	s_delay_alu instid0(VALU_DEP_1) | instskip(NEXT) | instid1(SALU_CYCLE_1)
	s_and_b32 s2, vcc_lo, s2
	s_and_saveexec_b32 s3, s2
	s_delay_alu instid0(SALU_CYCLE_1)
	s_xor_b32 s2, exec_lo, s3
; %bb.1162:
	v_cmp_ne_u32_e32 vcc_lo, 0, v35
	v_cndmask_b32_e32 v35, 50, v35, vcc_lo
; %bb.1163:
	s_and_not1_saveexec_b32 s3, s2
	s_cbranch_execz .LBB122_1169
; %bb.1164:
	v_cmp_gt_f64_e32 vcc_lo, 0, v[0:1]
	v_cmp_gt_f64_e64 s2, 0, v[2:3]
	v_xor_b32_e32 v5, 0x80000000, v1
	v_xor_b32_e32 v7, 0x80000000, v3
	s_delay_alu instid0(VALU_DEP_2) | instskip(NEXT) | instid1(VALU_DEP_2)
	v_dual_cndmask_b32 v6, v1, v5 :: v_dual_cndmask_b32 v5, v0, v0
	v_cndmask_b32_e64 v8, v3, v7, s2
	v_cndmask_b32_e64 v7, v2, v2, s2
	s_mov_b32 s2, exec_lo
	s_delay_alu instid0(VALU_DEP_1)
	v_cmpx_ngt_f64_e32 v[5:6], v[7:8]
	s_xor_b32 s2, exec_lo, s2
	s_cbranch_execz .LBB122_1166
; %bb.1165:
	v_div_scale_f64 v[5:6], null, v[2:3], v[2:3], v[0:1]
	v_div_scale_f64 v[11:12], vcc_lo, v[0:1], v[2:3], v[0:1]
	s_delay_alu instid0(VALU_DEP_2) | instskip(SKIP_2) | instid1(VALU_DEP_1)
	v_rcp_f64_e32 v[7:8], v[5:6]
	s_waitcnt_depctr 0xfff
	v_fma_f64 v[9:10], -v[5:6], v[7:8], 1.0
	v_fma_f64 v[7:8], v[7:8], v[9:10], v[7:8]
	s_delay_alu instid0(VALU_DEP_1) | instskip(NEXT) | instid1(VALU_DEP_1)
	v_fma_f64 v[9:10], -v[5:6], v[7:8], 1.0
	v_fma_f64 v[7:8], v[7:8], v[9:10], v[7:8]
	s_delay_alu instid0(VALU_DEP_1) | instskip(NEXT) | instid1(VALU_DEP_1)
	v_mul_f64 v[9:10], v[11:12], v[7:8]
	v_fma_f64 v[5:6], -v[5:6], v[9:10], v[11:12]
	s_delay_alu instid0(VALU_DEP_1) | instskip(NEXT) | instid1(VALU_DEP_1)
	v_div_fmas_f64 v[5:6], v[5:6], v[7:8], v[9:10]
	v_div_fixup_f64 v[5:6], v[5:6], v[2:3], v[0:1]
	s_delay_alu instid0(VALU_DEP_1) | instskip(NEXT) | instid1(VALU_DEP_1)
	v_fma_f64 v[0:1], v[0:1], v[5:6], v[2:3]
	v_div_scale_f64 v[2:3], null, v[0:1], v[0:1], 1.0
	s_delay_alu instid0(VALU_DEP_1) | instskip(SKIP_2) | instid1(VALU_DEP_1)
	v_rcp_f64_e32 v[7:8], v[2:3]
	s_waitcnt_depctr 0xfff
	v_fma_f64 v[9:10], -v[2:3], v[7:8], 1.0
	v_fma_f64 v[7:8], v[7:8], v[9:10], v[7:8]
	s_delay_alu instid0(VALU_DEP_1) | instskip(NEXT) | instid1(VALU_DEP_1)
	v_fma_f64 v[9:10], -v[2:3], v[7:8], 1.0
	v_fma_f64 v[7:8], v[7:8], v[9:10], v[7:8]
	v_div_scale_f64 v[9:10], vcc_lo, 1.0, v[0:1], 1.0
	s_delay_alu instid0(VALU_DEP_1) | instskip(NEXT) | instid1(VALU_DEP_1)
	v_mul_f64 v[11:12], v[9:10], v[7:8]
	v_fma_f64 v[2:3], -v[2:3], v[11:12], v[9:10]
	s_delay_alu instid0(VALU_DEP_1) | instskip(NEXT) | instid1(VALU_DEP_1)
	v_div_fmas_f64 v[2:3], v[2:3], v[7:8], v[11:12]
	v_div_fixup_f64 v[2:3], v[2:3], v[0:1], 1.0
	s_delay_alu instid0(VALU_DEP_1)
	v_mul_f64 v[0:1], v[5:6], v[2:3]
	v_xor_b32_e32 v3, 0x80000000, v3
.LBB122_1166:
	s_and_not1_saveexec_b32 s2, s2
	s_cbranch_execz .LBB122_1168
; %bb.1167:
	s_delay_alu instid0(VALU_DEP_1) | instskip(SKIP_1) | instid1(VALU_DEP_2)
	v_div_scale_f64 v[5:6], null, v[0:1], v[0:1], v[2:3]
	v_div_scale_f64 v[11:12], vcc_lo, v[2:3], v[0:1], v[2:3]
	v_rcp_f64_e32 v[7:8], v[5:6]
	s_waitcnt_depctr 0xfff
	v_fma_f64 v[9:10], -v[5:6], v[7:8], 1.0
	s_delay_alu instid0(VALU_DEP_1) | instskip(NEXT) | instid1(VALU_DEP_1)
	v_fma_f64 v[7:8], v[7:8], v[9:10], v[7:8]
	v_fma_f64 v[9:10], -v[5:6], v[7:8], 1.0
	s_delay_alu instid0(VALU_DEP_1) | instskip(NEXT) | instid1(VALU_DEP_1)
	v_fma_f64 v[7:8], v[7:8], v[9:10], v[7:8]
	v_mul_f64 v[9:10], v[11:12], v[7:8]
	s_delay_alu instid0(VALU_DEP_1) | instskip(NEXT) | instid1(VALU_DEP_1)
	v_fma_f64 v[5:6], -v[5:6], v[9:10], v[11:12]
	v_div_fmas_f64 v[5:6], v[5:6], v[7:8], v[9:10]
	s_delay_alu instid0(VALU_DEP_1) | instskip(NEXT) | instid1(VALU_DEP_1)
	v_div_fixup_f64 v[5:6], v[5:6], v[0:1], v[2:3]
	v_fma_f64 v[0:1], v[2:3], v[5:6], v[0:1]
	s_delay_alu instid0(VALU_DEP_1) | instskip(NEXT) | instid1(VALU_DEP_1)
	v_div_scale_f64 v[2:3], null, v[0:1], v[0:1], 1.0
	v_rcp_f64_e32 v[7:8], v[2:3]
	s_waitcnt_depctr 0xfff
	v_fma_f64 v[9:10], -v[2:3], v[7:8], 1.0
	s_delay_alu instid0(VALU_DEP_1) | instskip(NEXT) | instid1(VALU_DEP_1)
	v_fma_f64 v[7:8], v[7:8], v[9:10], v[7:8]
	v_fma_f64 v[9:10], -v[2:3], v[7:8], 1.0
	s_delay_alu instid0(VALU_DEP_1) | instskip(SKIP_1) | instid1(VALU_DEP_1)
	v_fma_f64 v[7:8], v[7:8], v[9:10], v[7:8]
	v_div_scale_f64 v[9:10], vcc_lo, 1.0, v[0:1], 1.0
	v_mul_f64 v[11:12], v[9:10], v[7:8]
	s_delay_alu instid0(VALU_DEP_1) | instskip(NEXT) | instid1(VALU_DEP_1)
	v_fma_f64 v[2:3], -v[2:3], v[11:12], v[9:10]
	v_div_fmas_f64 v[2:3], v[2:3], v[7:8], v[11:12]
	s_delay_alu instid0(VALU_DEP_1) | instskip(NEXT) | instid1(VALU_DEP_1)
	v_div_fixup_f64 v[0:1], v[2:3], v[0:1], 1.0
	v_mul_f64 v[2:3], v[5:6], -v[0:1]
.LBB122_1168:
	s_or_b32 exec_lo, exec_lo, s2
.LBB122_1169:
	s_delay_alu instid0(SALU_CYCLE_1) | instskip(NEXT) | instid1(SALU_CYCLE_1)
	s_or_b32 exec_lo, exec_lo, s3
	s_mov_b32 s2, exec_lo
	v_cmpx_ne_u32_e64 v39, v4
	s_xor_b32 s2, exec_lo, s2
	s_cbranch_execz .LBB122_1175
; %bb.1170:
	s_mov_b32 s3, exec_lo
	v_cmpx_eq_u32_e32 49, v39
	s_cbranch_execz .LBB122_1174
; %bb.1171:
	v_cmp_ne_u32_e32 vcc_lo, 49, v4
	s_xor_b32 s6, s4, -1
	s_delay_alu instid0(SALU_CYCLE_1) | instskip(NEXT) | instid1(SALU_CYCLE_1)
	s_and_b32 s7, s6, vcc_lo
	s_and_saveexec_b32 s6, s7
	s_cbranch_execz .LBB122_1173
; %bb.1172:
	v_ashrrev_i32_e32 v5, 31, v4
	s_delay_alu instid0(VALU_DEP_1) | instskip(NEXT) | instid1(VALU_DEP_1)
	v_lshlrev_b64 v[5:6], 2, v[4:5]
	v_add_co_u32 v5, vcc_lo, v18, v5
	s_delay_alu instid0(VALU_DEP_2)
	v_add_co_ci_u32_e32 v6, vcc_lo, v19, v6, vcc_lo
	s_clause 0x1
	flat_load_b32 v7, v[5:6]
	flat_load_b32 v8, v[18:19] offset:196
	s_waitcnt vmcnt(1) lgkmcnt(1)
	flat_store_b32 v[18:19], v7 offset:196
	s_waitcnt vmcnt(0) lgkmcnt(1)
	flat_store_b32 v[5:6], v8
.LBB122_1173:
	s_or_b32 exec_lo, exec_lo, s6
	v_mov_b32_e32 v39, v4
	v_mov_b32_e32 v38, v4
.LBB122_1174:
	s_or_b32 exec_lo, exec_lo, s3
.LBB122_1175:
	s_and_not1_saveexec_b32 s2, s2
	s_cbranch_execz .LBB122_1177
; %bb.1176:
	s_clause 0xb
	scratch_load_b128 v[4:7], v155, off
	scratch_load_b128 v[8:11], v154, off
	;; [unrolled: 1-line block ×12, first 2 shown]
	v_mov_b32_e32 v39, 49
	s_waitcnt vmcnt(11)
	ds_store_2addr_b64 v20, v[4:5], v[6:7] offset0:100 offset1:101
	s_waitcnt vmcnt(10)
	ds_store_2addr_b64 v20, v[8:9], v[10:11] offset0:102 offset1:103
	;; [unrolled: 2-line block ×12, first 2 shown]
.LBB122_1177:
	s_or_b32 exec_lo, exec_lo, s2
	s_delay_alu instid0(SALU_CYCLE_1)
	s_mov_b32 s2, exec_lo
	s_waitcnt lgkmcnt(0)
	s_waitcnt_vscnt null, 0x0
	s_barrier
	buffer_gl0_inv
	v_cmpx_lt_i32_e32 49, v39
	s_cbranch_execz .LBB122_1179
; %bb.1178:
	s_clause 0x1
	scratch_load_b128 v[4:7], off, off offset:784
	scratch_load_b128 v[8:11], off, off offset:800
	s_waitcnt vmcnt(1)
	v_mul_f64 v[12:13], v[0:1], v[6:7]
	v_mul_f64 v[6:7], v[2:3], v[6:7]
	s_delay_alu instid0(VALU_DEP_2)
	v_fma_f64 v[2:3], v[2:3], v[4:5], v[12:13]
	ds_load_2addr_b64 v[12:15], v20 offset0:100 offset1:101
	ds_load_2addr_b64 v[41:44], v20 offset0:102 offset1:103
	v_fma_f64 v[0:1], v[0:1], v[4:5], -v[6:7]
	s_waitcnt lgkmcnt(1)
	v_mul_f64 v[4:5], v[14:15], v[2:3]
	v_mul_f64 v[6:7], v[12:13], v[2:3]
	scratch_store_b128 off, v[0:3], off offset:784
	s_waitcnt lgkmcnt(0)
	v_mul_f64 v[113:114], v[43:44], v[2:3]
	v_fma_f64 v[4:5], v[12:13], v[0:1], -v[4:5]
	v_fma_f64 v[6:7], v[14:15], v[0:1], v[6:7]
	s_delay_alu instid0(VALU_DEP_3) | instskip(SKIP_1) | instid1(VALU_DEP_3)
	v_fma_f64 v[113:114], v[41:42], v[0:1], -v[113:114]
	s_waitcnt vmcnt(0)
	v_add_f64 v[4:5], v[8:9], -v[4:5]
	s_delay_alu instid0(VALU_DEP_3)
	v_add_f64 v[6:7], v[10:11], -v[6:7]
	s_clause 0xb
	scratch_load_b128 v[8:11], off, off offset:784
	scratch_load_b128 v[12:15], off, off offset:832
	;; [unrolled: 1-line block ×12, first 2 shown]
	ds_load_2addr_b64 v[137:140], v20 offset0:104 offset1:105
	ds_load_2addr_b64 v[171:174], v20 offset0:106 offset1:107
	;; [unrolled: 1-line block ×10, first 2 shown]
	s_waitcnt lgkmcnt(9)
	v_mul_f64 v[16:17], v[139:140], v[2:3]
	s_waitcnt lgkmcnt(8)
	v_mul_f64 v[57:58], v[173:174], v[2:3]
	v_mul_f64 v[65:66], v[171:172], v[2:3]
	;; [unrolled: 1-line block ×3, first 2 shown]
	s_waitcnt lgkmcnt(7)
	v_mul_f64 v[73:74], v[177:178], v[2:3]
	v_mul_f64 v[81:82], v[175:176], v[2:3]
	s_waitcnt lgkmcnt(6)
	v_mul_f64 v[106:107], v[181:182], v[2:3]
	v_mul_f64 v[109:110], v[179:180], v[2:3]
	;; [unrolled: 1-line block ×3, first 2 shown]
	v_fma_f64 v[16:17], v[137:138], v[0:1], -v[16:17]
	v_fma_f64 v[57:58], v[171:172], v[0:1], -v[57:58]
	v_fma_f64 v[65:66], v[173:174], v[0:1], v[65:66]
	v_fma_f64 v[49:50], v[139:140], v[0:1], v[49:50]
	v_fma_f64 v[73:74], v[175:176], v[0:1], -v[73:74]
	v_fma_f64 v[81:82], v[177:178], v[0:1], v[81:82]
	v_fma_f64 v[106:107], v[179:180], v[0:1], -v[106:107]
	v_fma_f64 v[109:110], v[181:182], v[0:1], v[109:110]
	v_fma_f64 v[137:138], v[43:44], v[0:1], v[2:3]
	s_waitcnt vmcnt(11) lgkmcnt(5)
	v_mul_f64 v[117:118], v[185:186], v[10:11]
	v_mul_f64 v[121:122], v[183:184], v[10:11]
	s_waitcnt lgkmcnt(4)
	v_mul_f64 v[130:131], v[189:190], v[10:11]
	v_mul_f64 v[133:134], v[187:188], v[10:11]
	s_waitcnt lgkmcnt(3)
	;; [unrolled: 3-line block ×5, first 2 shown]
	v_mul_f64 v[219:220], v[205:206], v[10:11]
	v_mul_f64 v[10:11], v[203:204], v[10:11]
	s_waitcnt vmcnt(10)
	v_add_f64 v[0:1], v[12:13], -v[16:17]
	v_add_f64 v[2:3], v[14:15], -v[49:50]
	s_waitcnt vmcnt(8)
	v_add_f64 v[12:13], v[53:54], -v[73:74]
	v_add_f64 v[14:15], v[55:56], -v[81:82]
	;; [unrolled: 3-line block ×3, first 2 shown]
	v_fma_f64 v[117:118], v[183:184], v[8:9], -v[117:118]
	v_fma_f64 v[121:122], v[185:186], v[8:9], v[121:122]
	v_fma_f64 v[130:131], v[187:188], v[8:9], -v[130:131]
	v_fma_f64 v[133:134], v[189:190], v[8:9], v[133:134]
	;; [unrolled: 2-line block ×6, first 2 shown]
	v_add_f64 v[8:9], v[45:46], -v[57:58]
	v_add_f64 v[10:11], v[47:48], -v[65:66]
	s_waitcnt vmcnt(6)
	v_add_f64 v[45:46], v[69:70], -v[113:114]
	v_add_f64 v[47:48], v[71:72], -v[137:138]
	s_waitcnt vmcnt(5)
	;; [unrolled: 3-line block ×7, first 2 shown]
	v_add_f64 v[89:90], v[126:127], -v[181:182]
	v_add_f64 v[91:92], v[128:129], -v[183:184]
	s_clause 0xb
	scratch_store_b128 off, v[4:7], off offset:800
	scratch_store_b128 off, v[8:11], off offset:848
	;; [unrolled: 1-line block ×12, first 2 shown]
.LBB122_1179:
	s_or_b32 exec_lo, exec_lo, s2
	s_waitcnt_vscnt null, 0x0
	s_barrier
	buffer_gl0_inv
	scratch_load_b128 v[0:3], v155, off
	v_lshl_add_u32 v4, v39, 4, v20
	s_cmp_lt_i32 s5, 52
	s_waitcnt vmcnt(0)
	ds_store_2addr_b64 v4, v[0:1], v[2:3] offset1:1
	s_waitcnt lgkmcnt(0)
	s_barrier
	buffer_gl0_inv
	ds_load_2addr_b64 v[0:3], v20 offset0:100 offset1:101
	v_mov_b32_e32 v4, 50
	s_cbranch_scc1 .LBB122_1182
; %bb.1180:
	v_add3_u32 v5, v37, 0, 0x330
	v_mov_b32_e32 v4, 50
	s_mov_b32 s6, 51
	s_set_inst_prefetch_distance 0x1
	.p2align	6
.LBB122_1181:                           ; =>This Inner Loop Header: Depth=1
	ds_load_2addr_b64 v[6:9], v5 offset1:1
	s_waitcnt lgkmcnt(1)
	v_cmp_gt_f64_e32 vcc_lo, 0, v[0:1]
	v_xor_b32_e32 v10, 0x80000000, v1
	v_cmp_gt_f64_e64 s2, 0, v[2:3]
	v_xor_b32_e32 v12, 0x80000000, v3
	v_add_nc_u32_e32 v5, 16, v5
	s_waitcnt lgkmcnt(0)
	v_cmp_gt_f64_e64 s3, 0, v[6:7]
	v_mov_b32_e32 v14, v6
	v_dual_mov_b32 v16, v8 :: v_dual_cndmask_b32 v11, v1, v10
	v_xor_b32_e32 v10, 0x80000000, v7
	v_cndmask_b32_e64 v13, v3, v12, s2
	v_xor_b32_e32 v12, 0x80000000, v9
	s_delay_alu instid0(VALU_DEP_3) | instskip(SKIP_2) | instid1(VALU_DEP_2)
	v_cndmask_b32_e64 v15, v7, v10, s3
	v_cmp_gt_f64_e64 s3, 0, v[8:9]
	v_cndmask_b32_e32 v10, v0, v0, vcc_lo
	v_cndmask_b32_e64 v17, v9, v12, s3
	v_cndmask_b32_e64 v12, v2, v2, s2
	s_delay_alu instid0(VALU_DEP_2) | instskip(NEXT) | instid1(VALU_DEP_2)
	v_add_f64 v[14:15], v[14:15], v[16:17]
	v_add_f64 v[10:11], v[10:11], v[12:13]
	s_delay_alu instid0(VALU_DEP_1)
	v_cmp_lt_f64_e32 vcc_lo, v[10:11], v[14:15]
	v_cndmask_b32_e32 v3, v3, v9, vcc_lo
	v_dual_cndmask_b32 v1, v1, v7 :: v_dual_cndmask_b32 v0, v0, v6
	v_cndmask_b32_e32 v2, v2, v8, vcc_lo
	v_cndmask_b32_e64 v4, v4, s6, vcc_lo
	s_add_i32 s6, s6, 1
	s_delay_alu instid0(SALU_CYCLE_1)
	s_cmp_lg_u32 s5, s6
	s_cbranch_scc1 .LBB122_1181
.LBB122_1182:
	s_set_inst_prefetch_distance 0x2
	s_waitcnt lgkmcnt(0)
	v_cmp_eq_f64_e32 vcc_lo, 0, v[0:1]
	v_cmp_eq_f64_e64 s2, 0, v[2:3]
	s_delay_alu instid0(VALU_DEP_1) | instskip(NEXT) | instid1(SALU_CYCLE_1)
	s_and_b32 s2, vcc_lo, s2
	s_and_saveexec_b32 s3, s2
	s_delay_alu instid0(SALU_CYCLE_1)
	s_xor_b32 s2, exec_lo, s3
; %bb.1183:
	v_cmp_ne_u32_e32 vcc_lo, 0, v35
	v_cndmask_b32_e32 v35, 51, v35, vcc_lo
; %bb.1184:
	s_and_not1_saveexec_b32 s3, s2
	s_cbranch_execz .LBB122_1190
; %bb.1185:
	v_cmp_gt_f64_e32 vcc_lo, 0, v[0:1]
	v_cmp_gt_f64_e64 s2, 0, v[2:3]
	v_xor_b32_e32 v5, 0x80000000, v1
	v_xor_b32_e32 v7, 0x80000000, v3
	s_delay_alu instid0(VALU_DEP_2) | instskip(NEXT) | instid1(VALU_DEP_2)
	v_dual_cndmask_b32 v6, v1, v5 :: v_dual_cndmask_b32 v5, v0, v0
	v_cndmask_b32_e64 v8, v3, v7, s2
	v_cndmask_b32_e64 v7, v2, v2, s2
	s_mov_b32 s2, exec_lo
	s_delay_alu instid0(VALU_DEP_1)
	v_cmpx_ngt_f64_e32 v[5:6], v[7:8]
	s_xor_b32 s2, exec_lo, s2
	s_cbranch_execz .LBB122_1187
; %bb.1186:
	v_div_scale_f64 v[5:6], null, v[2:3], v[2:3], v[0:1]
	v_div_scale_f64 v[11:12], vcc_lo, v[0:1], v[2:3], v[0:1]
	s_delay_alu instid0(VALU_DEP_2) | instskip(SKIP_2) | instid1(VALU_DEP_1)
	v_rcp_f64_e32 v[7:8], v[5:6]
	s_waitcnt_depctr 0xfff
	v_fma_f64 v[9:10], -v[5:6], v[7:8], 1.0
	v_fma_f64 v[7:8], v[7:8], v[9:10], v[7:8]
	s_delay_alu instid0(VALU_DEP_1) | instskip(NEXT) | instid1(VALU_DEP_1)
	v_fma_f64 v[9:10], -v[5:6], v[7:8], 1.0
	v_fma_f64 v[7:8], v[7:8], v[9:10], v[7:8]
	s_delay_alu instid0(VALU_DEP_1) | instskip(NEXT) | instid1(VALU_DEP_1)
	v_mul_f64 v[9:10], v[11:12], v[7:8]
	v_fma_f64 v[5:6], -v[5:6], v[9:10], v[11:12]
	s_delay_alu instid0(VALU_DEP_1) | instskip(NEXT) | instid1(VALU_DEP_1)
	v_div_fmas_f64 v[5:6], v[5:6], v[7:8], v[9:10]
	v_div_fixup_f64 v[5:6], v[5:6], v[2:3], v[0:1]
	s_delay_alu instid0(VALU_DEP_1) | instskip(NEXT) | instid1(VALU_DEP_1)
	v_fma_f64 v[0:1], v[0:1], v[5:6], v[2:3]
	v_div_scale_f64 v[2:3], null, v[0:1], v[0:1], 1.0
	s_delay_alu instid0(VALU_DEP_1) | instskip(SKIP_2) | instid1(VALU_DEP_1)
	v_rcp_f64_e32 v[7:8], v[2:3]
	s_waitcnt_depctr 0xfff
	v_fma_f64 v[9:10], -v[2:3], v[7:8], 1.0
	v_fma_f64 v[7:8], v[7:8], v[9:10], v[7:8]
	s_delay_alu instid0(VALU_DEP_1) | instskip(NEXT) | instid1(VALU_DEP_1)
	v_fma_f64 v[9:10], -v[2:3], v[7:8], 1.0
	v_fma_f64 v[7:8], v[7:8], v[9:10], v[7:8]
	v_div_scale_f64 v[9:10], vcc_lo, 1.0, v[0:1], 1.0
	s_delay_alu instid0(VALU_DEP_1) | instskip(NEXT) | instid1(VALU_DEP_1)
	v_mul_f64 v[11:12], v[9:10], v[7:8]
	v_fma_f64 v[2:3], -v[2:3], v[11:12], v[9:10]
	s_delay_alu instid0(VALU_DEP_1) | instskip(NEXT) | instid1(VALU_DEP_1)
	v_div_fmas_f64 v[2:3], v[2:3], v[7:8], v[11:12]
	v_div_fixup_f64 v[2:3], v[2:3], v[0:1], 1.0
	s_delay_alu instid0(VALU_DEP_1)
	v_mul_f64 v[0:1], v[5:6], v[2:3]
	v_xor_b32_e32 v3, 0x80000000, v3
.LBB122_1187:
	s_and_not1_saveexec_b32 s2, s2
	s_cbranch_execz .LBB122_1189
; %bb.1188:
	s_delay_alu instid0(VALU_DEP_1) | instskip(SKIP_1) | instid1(VALU_DEP_2)
	v_div_scale_f64 v[5:6], null, v[0:1], v[0:1], v[2:3]
	v_div_scale_f64 v[11:12], vcc_lo, v[2:3], v[0:1], v[2:3]
	v_rcp_f64_e32 v[7:8], v[5:6]
	s_waitcnt_depctr 0xfff
	v_fma_f64 v[9:10], -v[5:6], v[7:8], 1.0
	s_delay_alu instid0(VALU_DEP_1) | instskip(NEXT) | instid1(VALU_DEP_1)
	v_fma_f64 v[7:8], v[7:8], v[9:10], v[7:8]
	v_fma_f64 v[9:10], -v[5:6], v[7:8], 1.0
	s_delay_alu instid0(VALU_DEP_1) | instskip(NEXT) | instid1(VALU_DEP_1)
	v_fma_f64 v[7:8], v[7:8], v[9:10], v[7:8]
	v_mul_f64 v[9:10], v[11:12], v[7:8]
	s_delay_alu instid0(VALU_DEP_1) | instskip(NEXT) | instid1(VALU_DEP_1)
	v_fma_f64 v[5:6], -v[5:6], v[9:10], v[11:12]
	v_div_fmas_f64 v[5:6], v[5:6], v[7:8], v[9:10]
	s_delay_alu instid0(VALU_DEP_1) | instskip(NEXT) | instid1(VALU_DEP_1)
	v_div_fixup_f64 v[5:6], v[5:6], v[0:1], v[2:3]
	v_fma_f64 v[0:1], v[2:3], v[5:6], v[0:1]
	s_delay_alu instid0(VALU_DEP_1) | instskip(NEXT) | instid1(VALU_DEP_1)
	v_div_scale_f64 v[2:3], null, v[0:1], v[0:1], 1.0
	v_rcp_f64_e32 v[7:8], v[2:3]
	s_waitcnt_depctr 0xfff
	v_fma_f64 v[9:10], -v[2:3], v[7:8], 1.0
	s_delay_alu instid0(VALU_DEP_1) | instskip(NEXT) | instid1(VALU_DEP_1)
	v_fma_f64 v[7:8], v[7:8], v[9:10], v[7:8]
	v_fma_f64 v[9:10], -v[2:3], v[7:8], 1.0
	s_delay_alu instid0(VALU_DEP_1) | instskip(SKIP_1) | instid1(VALU_DEP_1)
	v_fma_f64 v[7:8], v[7:8], v[9:10], v[7:8]
	v_div_scale_f64 v[9:10], vcc_lo, 1.0, v[0:1], 1.0
	v_mul_f64 v[11:12], v[9:10], v[7:8]
	s_delay_alu instid0(VALU_DEP_1) | instskip(NEXT) | instid1(VALU_DEP_1)
	v_fma_f64 v[2:3], -v[2:3], v[11:12], v[9:10]
	v_div_fmas_f64 v[2:3], v[2:3], v[7:8], v[11:12]
	s_delay_alu instid0(VALU_DEP_1) | instskip(NEXT) | instid1(VALU_DEP_1)
	v_div_fixup_f64 v[0:1], v[2:3], v[0:1], 1.0
	v_mul_f64 v[2:3], v[5:6], -v[0:1]
.LBB122_1189:
	s_or_b32 exec_lo, exec_lo, s2
.LBB122_1190:
	s_delay_alu instid0(SALU_CYCLE_1) | instskip(NEXT) | instid1(SALU_CYCLE_1)
	s_or_b32 exec_lo, exec_lo, s3
	s_mov_b32 s2, exec_lo
	v_cmpx_ne_u32_e64 v39, v4
	s_xor_b32 s2, exec_lo, s2
	s_cbranch_execz .LBB122_1196
; %bb.1191:
	s_mov_b32 s3, exec_lo
	v_cmpx_eq_u32_e32 50, v39
	s_cbranch_execz .LBB122_1195
; %bb.1192:
	v_cmp_ne_u32_e32 vcc_lo, 50, v4
	s_xor_b32 s6, s4, -1
	s_delay_alu instid0(SALU_CYCLE_1) | instskip(NEXT) | instid1(SALU_CYCLE_1)
	s_and_b32 s7, s6, vcc_lo
	s_and_saveexec_b32 s6, s7
	s_cbranch_execz .LBB122_1194
; %bb.1193:
	v_ashrrev_i32_e32 v5, 31, v4
	s_delay_alu instid0(VALU_DEP_1) | instskip(NEXT) | instid1(VALU_DEP_1)
	v_lshlrev_b64 v[5:6], 2, v[4:5]
	v_add_co_u32 v5, vcc_lo, v18, v5
	s_delay_alu instid0(VALU_DEP_2)
	v_add_co_ci_u32_e32 v6, vcc_lo, v19, v6, vcc_lo
	s_clause 0x1
	flat_load_b32 v7, v[5:6]
	flat_load_b32 v8, v[18:19] offset:200
	s_waitcnt vmcnt(1) lgkmcnt(1)
	flat_store_b32 v[18:19], v7 offset:200
	s_waitcnt vmcnt(0) lgkmcnt(1)
	flat_store_b32 v[5:6], v8
.LBB122_1194:
	s_or_b32 exec_lo, exec_lo, s6
	v_mov_b32_e32 v39, v4
	v_mov_b32_e32 v38, v4
.LBB122_1195:
	s_or_b32 exec_lo, exec_lo, s3
.LBB122_1196:
	s_and_not1_saveexec_b32 s2, s2
	s_cbranch_execz .LBB122_1198
; %bb.1197:
	s_clause 0xa
	scratch_load_b128 v[4:7], v154, off
	scratch_load_b128 v[8:11], v153, off
	;; [unrolled: 1-line block ×11, first 2 shown]
	v_mov_b32_e32 v39, 50
	s_waitcnt vmcnt(10)
	ds_store_2addr_b64 v20, v[4:5], v[6:7] offset0:102 offset1:103
	s_waitcnt vmcnt(9)
	ds_store_2addr_b64 v20, v[8:9], v[10:11] offset0:104 offset1:105
	;; [unrolled: 2-line block ×11, first 2 shown]
.LBB122_1198:
	s_or_b32 exec_lo, exec_lo, s2
	s_delay_alu instid0(SALU_CYCLE_1)
	s_mov_b32 s2, exec_lo
	s_waitcnt lgkmcnt(0)
	s_waitcnt_vscnt null, 0x0
	s_barrier
	buffer_gl0_inv
	v_cmpx_lt_i32_e32 50, v39
	s_cbranch_execz .LBB122_1200
; %bb.1199:
	s_clause 0x1
	scratch_load_b128 v[4:7], off, off offset:800
	scratch_load_b128 v[8:11], off, off offset:816
	s_waitcnt vmcnt(1)
	v_mul_f64 v[12:13], v[0:1], v[6:7]
	v_mul_f64 v[6:7], v[2:3], v[6:7]
	s_delay_alu instid0(VALU_DEP_2)
	v_fma_f64 v[2:3], v[2:3], v[4:5], v[12:13]
	ds_load_2addr_b64 v[12:15], v20 offset0:102 offset1:103
	ds_load_2addr_b64 v[41:44], v20 offset0:104 offset1:105
	v_fma_f64 v[0:1], v[0:1], v[4:5], -v[6:7]
	s_waitcnt lgkmcnt(1)
	v_mul_f64 v[4:5], v[14:15], v[2:3]
	v_mul_f64 v[6:7], v[12:13], v[2:3]
	scratch_store_b128 off, v[0:3], off offset:800
	s_waitcnt lgkmcnt(0)
	v_mul_f64 v[113:114], v[43:44], v[2:3]
	v_fma_f64 v[4:5], v[12:13], v[0:1], -v[4:5]
	v_fma_f64 v[6:7], v[14:15], v[0:1], v[6:7]
	s_delay_alu instid0(VALU_DEP_3) | instskip(SKIP_1) | instid1(VALU_DEP_3)
	v_fma_f64 v[113:114], v[41:42], v[0:1], -v[113:114]
	s_waitcnt vmcnt(0)
	v_add_f64 v[4:5], v[8:9], -v[4:5]
	s_delay_alu instid0(VALU_DEP_3)
	v_add_f64 v[6:7], v[10:11], -v[6:7]
	s_clause 0xa
	scratch_load_b128 v[8:11], off, off offset:800
	scratch_load_b128 v[12:15], off, off offset:848
	;; [unrolled: 1-line block ×11, first 2 shown]
	ds_load_2addr_b64 v[126:129], v20 offset0:106 offset1:107
	ds_load_2addr_b64 v[137:140], v20 offset0:108 offset1:109
	;; [unrolled: 1-line block ×9, first 2 shown]
	s_waitcnt lgkmcnt(8)
	v_mul_f64 v[16:17], v[128:129], v[2:3]
	s_waitcnt lgkmcnt(7)
	v_mul_f64 v[57:58], v[139:140], v[2:3]
	v_mul_f64 v[65:66], v[137:138], v[2:3]
	;; [unrolled: 1-line block ×3, first 2 shown]
	s_waitcnt lgkmcnt(6)
	v_mul_f64 v[73:74], v[173:174], v[2:3]
	v_mul_f64 v[81:82], v[171:172], v[2:3]
	s_waitcnt lgkmcnt(5)
	v_mul_f64 v[106:107], v[177:178], v[2:3]
	v_mul_f64 v[109:110], v[175:176], v[2:3]
	;; [unrolled: 1-line block ×3, first 2 shown]
	v_fma_f64 v[16:17], v[126:127], v[0:1], -v[16:17]
	v_fma_f64 v[57:58], v[137:138], v[0:1], -v[57:58]
	v_fma_f64 v[65:66], v[139:140], v[0:1], v[65:66]
	v_fma_f64 v[49:50], v[128:129], v[0:1], v[49:50]
	v_fma_f64 v[73:74], v[171:172], v[0:1], -v[73:74]
	v_fma_f64 v[81:82], v[173:174], v[0:1], v[81:82]
	v_fma_f64 v[106:107], v[175:176], v[0:1], -v[106:107]
	v_fma_f64 v[109:110], v[177:178], v[0:1], v[109:110]
	v_fma_f64 v[126:127], v[43:44], v[0:1], v[2:3]
	s_waitcnt vmcnt(10) lgkmcnt(4)
	v_mul_f64 v[117:118], v[181:182], v[10:11]
	v_mul_f64 v[121:122], v[179:180], v[10:11]
	s_waitcnt lgkmcnt(3)
	v_mul_f64 v[130:131], v[185:186], v[10:11]
	v_mul_f64 v[133:134], v[183:184], v[10:11]
	s_waitcnt lgkmcnt(2)
	;; [unrolled: 3-line block ×4, first 2 shown]
	v_mul_f64 v[207:208], v[197:198], v[10:11]
	v_mul_f64 v[10:11], v[195:196], v[10:11]
	s_waitcnt vmcnt(9)
	v_add_f64 v[0:1], v[12:13], -v[16:17]
	v_add_f64 v[2:3], v[14:15], -v[49:50]
	s_waitcnt vmcnt(7)
	v_add_f64 v[12:13], v[53:54], -v[73:74]
	v_add_f64 v[14:15], v[55:56], -v[81:82]
	;; [unrolled: 3-line block ×3, first 2 shown]
	v_fma_f64 v[117:118], v[179:180], v[8:9], -v[117:118]
	v_fma_f64 v[121:122], v[181:182], v[8:9], v[121:122]
	v_fma_f64 v[128:129], v[183:184], v[8:9], -v[130:131]
	v_fma_f64 v[130:131], v[185:186], v[8:9], v[133:134]
	;; [unrolled: 2-line block ×5, first 2 shown]
	v_add_f64 v[8:9], v[45:46], -v[57:58]
	v_add_f64 v[10:11], v[47:48], -v[65:66]
	s_waitcnt vmcnt(5)
	v_add_f64 v[45:46], v[69:70], -v[113:114]
	v_add_f64 v[47:48], v[71:72], -v[126:127]
	s_waitcnt vmcnt(4)
	;; [unrolled: 3-line block ×6, first 2 shown]
	v_add_f64 v[85:86], v[97:98], -v[173:174]
	v_add_f64 v[87:88], v[99:100], -v[175:176]
	s_clause 0xa
	scratch_store_b128 off, v[4:7], off offset:816
	scratch_store_b128 off, v[8:11], off offset:864
	;; [unrolled: 1-line block ×11, first 2 shown]
.LBB122_1200:
	s_or_b32 exec_lo, exec_lo, s2
	s_waitcnt_vscnt null, 0x0
	s_barrier
	buffer_gl0_inv
	scratch_load_b128 v[0:3], v154, off
	v_lshl_add_u32 v4, v39, 4, v20
	s_cmp_lt_i32 s5, 53
	s_waitcnt vmcnt(0)
	ds_store_2addr_b64 v4, v[0:1], v[2:3] offset1:1
	s_waitcnt lgkmcnt(0)
	s_barrier
	buffer_gl0_inv
	ds_load_2addr_b64 v[0:3], v20 offset0:102 offset1:103
	v_mov_b32_e32 v4, 51
	s_cbranch_scc1 .LBB122_1203
; %bb.1201:
	v_add3_u32 v5, v37, 0, 0x340
	v_mov_b32_e32 v4, 51
	s_mov_b32 s6, 52
	s_set_inst_prefetch_distance 0x1
	.p2align	6
.LBB122_1202:                           ; =>This Inner Loop Header: Depth=1
	ds_load_2addr_b64 v[6:9], v5 offset1:1
	s_waitcnt lgkmcnt(1)
	v_cmp_gt_f64_e32 vcc_lo, 0, v[0:1]
	v_xor_b32_e32 v10, 0x80000000, v1
	v_cmp_gt_f64_e64 s2, 0, v[2:3]
	v_xor_b32_e32 v12, 0x80000000, v3
	v_add_nc_u32_e32 v5, 16, v5
	s_waitcnt lgkmcnt(0)
	v_cmp_gt_f64_e64 s3, 0, v[6:7]
	v_mov_b32_e32 v14, v6
	v_dual_mov_b32 v16, v8 :: v_dual_cndmask_b32 v11, v1, v10
	v_xor_b32_e32 v10, 0x80000000, v7
	v_cndmask_b32_e64 v13, v3, v12, s2
	v_xor_b32_e32 v12, 0x80000000, v9
	s_delay_alu instid0(VALU_DEP_3) | instskip(SKIP_2) | instid1(VALU_DEP_2)
	v_cndmask_b32_e64 v15, v7, v10, s3
	v_cmp_gt_f64_e64 s3, 0, v[8:9]
	v_cndmask_b32_e32 v10, v0, v0, vcc_lo
	v_cndmask_b32_e64 v17, v9, v12, s3
	v_cndmask_b32_e64 v12, v2, v2, s2
	s_delay_alu instid0(VALU_DEP_2) | instskip(NEXT) | instid1(VALU_DEP_2)
	v_add_f64 v[14:15], v[14:15], v[16:17]
	v_add_f64 v[10:11], v[10:11], v[12:13]
	s_delay_alu instid0(VALU_DEP_1)
	v_cmp_lt_f64_e32 vcc_lo, v[10:11], v[14:15]
	v_cndmask_b32_e32 v3, v3, v9, vcc_lo
	v_dual_cndmask_b32 v1, v1, v7 :: v_dual_cndmask_b32 v0, v0, v6
	v_cndmask_b32_e32 v2, v2, v8, vcc_lo
	v_cndmask_b32_e64 v4, v4, s6, vcc_lo
	s_add_i32 s6, s6, 1
	s_delay_alu instid0(SALU_CYCLE_1)
	s_cmp_lg_u32 s5, s6
	s_cbranch_scc1 .LBB122_1202
.LBB122_1203:
	s_set_inst_prefetch_distance 0x2
	s_waitcnt lgkmcnt(0)
	v_cmp_eq_f64_e32 vcc_lo, 0, v[0:1]
	v_cmp_eq_f64_e64 s2, 0, v[2:3]
	s_delay_alu instid0(VALU_DEP_1) | instskip(NEXT) | instid1(SALU_CYCLE_1)
	s_and_b32 s2, vcc_lo, s2
	s_and_saveexec_b32 s3, s2
	s_delay_alu instid0(SALU_CYCLE_1)
	s_xor_b32 s2, exec_lo, s3
; %bb.1204:
	v_cmp_ne_u32_e32 vcc_lo, 0, v35
	v_cndmask_b32_e32 v35, 52, v35, vcc_lo
; %bb.1205:
	s_and_not1_saveexec_b32 s3, s2
	s_cbranch_execz .LBB122_1211
; %bb.1206:
	v_cmp_gt_f64_e32 vcc_lo, 0, v[0:1]
	v_cmp_gt_f64_e64 s2, 0, v[2:3]
	v_xor_b32_e32 v5, 0x80000000, v1
	v_xor_b32_e32 v7, 0x80000000, v3
	s_delay_alu instid0(VALU_DEP_2) | instskip(NEXT) | instid1(VALU_DEP_2)
	v_dual_cndmask_b32 v6, v1, v5 :: v_dual_cndmask_b32 v5, v0, v0
	v_cndmask_b32_e64 v8, v3, v7, s2
	v_cndmask_b32_e64 v7, v2, v2, s2
	s_mov_b32 s2, exec_lo
	s_delay_alu instid0(VALU_DEP_1)
	v_cmpx_ngt_f64_e32 v[5:6], v[7:8]
	s_xor_b32 s2, exec_lo, s2
	s_cbranch_execz .LBB122_1208
; %bb.1207:
	v_div_scale_f64 v[5:6], null, v[2:3], v[2:3], v[0:1]
	v_div_scale_f64 v[11:12], vcc_lo, v[0:1], v[2:3], v[0:1]
	s_delay_alu instid0(VALU_DEP_2) | instskip(SKIP_2) | instid1(VALU_DEP_1)
	v_rcp_f64_e32 v[7:8], v[5:6]
	s_waitcnt_depctr 0xfff
	v_fma_f64 v[9:10], -v[5:6], v[7:8], 1.0
	v_fma_f64 v[7:8], v[7:8], v[9:10], v[7:8]
	s_delay_alu instid0(VALU_DEP_1) | instskip(NEXT) | instid1(VALU_DEP_1)
	v_fma_f64 v[9:10], -v[5:6], v[7:8], 1.0
	v_fma_f64 v[7:8], v[7:8], v[9:10], v[7:8]
	s_delay_alu instid0(VALU_DEP_1) | instskip(NEXT) | instid1(VALU_DEP_1)
	v_mul_f64 v[9:10], v[11:12], v[7:8]
	v_fma_f64 v[5:6], -v[5:6], v[9:10], v[11:12]
	s_delay_alu instid0(VALU_DEP_1) | instskip(NEXT) | instid1(VALU_DEP_1)
	v_div_fmas_f64 v[5:6], v[5:6], v[7:8], v[9:10]
	v_div_fixup_f64 v[5:6], v[5:6], v[2:3], v[0:1]
	s_delay_alu instid0(VALU_DEP_1) | instskip(NEXT) | instid1(VALU_DEP_1)
	v_fma_f64 v[0:1], v[0:1], v[5:6], v[2:3]
	v_div_scale_f64 v[2:3], null, v[0:1], v[0:1], 1.0
	s_delay_alu instid0(VALU_DEP_1) | instskip(SKIP_2) | instid1(VALU_DEP_1)
	v_rcp_f64_e32 v[7:8], v[2:3]
	s_waitcnt_depctr 0xfff
	v_fma_f64 v[9:10], -v[2:3], v[7:8], 1.0
	v_fma_f64 v[7:8], v[7:8], v[9:10], v[7:8]
	s_delay_alu instid0(VALU_DEP_1) | instskip(NEXT) | instid1(VALU_DEP_1)
	v_fma_f64 v[9:10], -v[2:3], v[7:8], 1.0
	v_fma_f64 v[7:8], v[7:8], v[9:10], v[7:8]
	v_div_scale_f64 v[9:10], vcc_lo, 1.0, v[0:1], 1.0
	s_delay_alu instid0(VALU_DEP_1) | instskip(NEXT) | instid1(VALU_DEP_1)
	v_mul_f64 v[11:12], v[9:10], v[7:8]
	v_fma_f64 v[2:3], -v[2:3], v[11:12], v[9:10]
	s_delay_alu instid0(VALU_DEP_1) | instskip(NEXT) | instid1(VALU_DEP_1)
	v_div_fmas_f64 v[2:3], v[2:3], v[7:8], v[11:12]
	v_div_fixup_f64 v[2:3], v[2:3], v[0:1], 1.0
	s_delay_alu instid0(VALU_DEP_1)
	v_mul_f64 v[0:1], v[5:6], v[2:3]
	v_xor_b32_e32 v3, 0x80000000, v3
.LBB122_1208:
	s_and_not1_saveexec_b32 s2, s2
	s_cbranch_execz .LBB122_1210
; %bb.1209:
	s_delay_alu instid0(VALU_DEP_1) | instskip(SKIP_1) | instid1(VALU_DEP_2)
	v_div_scale_f64 v[5:6], null, v[0:1], v[0:1], v[2:3]
	v_div_scale_f64 v[11:12], vcc_lo, v[2:3], v[0:1], v[2:3]
	v_rcp_f64_e32 v[7:8], v[5:6]
	s_waitcnt_depctr 0xfff
	v_fma_f64 v[9:10], -v[5:6], v[7:8], 1.0
	s_delay_alu instid0(VALU_DEP_1) | instskip(NEXT) | instid1(VALU_DEP_1)
	v_fma_f64 v[7:8], v[7:8], v[9:10], v[7:8]
	v_fma_f64 v[9:10], -v[5:6], v[7:8], 1.0
	s_delay_alu instid0(VALU_DEP_1) | instskip(NEXT) | instid1(VALU_DEP_1)
	v_fma_f64 v[7:8], v[7:8], v[9:10], v[7:8]
	v_mul_f64 v[9:10], v[11:12], v[7:8]
	s_delay_alu instid0(VALU_DEP_1) | instskip(NEXT) | instid1(VALU_DEP_1)
	v_fma_f64 v[5:6], -v[5:6], v[9:10], v[11:12]
	v_div_fmas_f64 v[5:6], v[5:6], v[7:8], v[9:10]
	s_delay_alu instid0(VALU_DEP_1) | instskip(NEXT) | instid1(VALU_DEP_1)
	v_div_fixup_f64 v[5:6], v[5:6], v[0:1], v[2:3]
	v_fma_f64 v[0:1], v[2:3], v[5:6], v[0:1]
	s_delay_alu instid0(VALU_DEP_1) | instskip(NEXT) | instid1(VALU_DEP_1)
	v_div_scale_f64 v[2:3], null, v[0:1], v[0:1], 1.0
	v_rcp_f64_e32 v[7:8], v[2:3]
	s_waitcnt_depctr 0xfff
	v_fma_f64 v[9:10], -v[2:3], v[7:8], 1.0
	s_delay_alu instid0(VALU_DEP_1) | instskip(NEXT) | instid1(VALU_DEP_1)
	v_fma_f64 v[7:8], v[7:8], v[9:10], v[7:8]
	v_fma_f64 v[9:10], -v[2:3], v[7:8], 1.0
	s_delay_alu instid0(VALU_DEP_1) | instskip(SKIP_1) | instid1(VALU_DEP_1)
	v_fma_f64 v[7:8], v[7:8], v[9:10], v[7:8]
	v_div_scale_f64 v[9:10], vcc_lo, 1.0, v[0:1], 1.0
	v_mul_f64 v[11:12], v[9:10], v[7:8]
	s_delay_alu instid0(VALU_DEP_1) | instskip(NEXT) | instid1(VALU_DEP_1)
	v_fma_f64 v[2:3], -v[2:3], v[11:12], v[9:10]
	v_div_fmas_f64 v[2:3], v[2:3], v[7:8], v[11:12]
	s_delay_alu instid0(VALU_DEP_1) | instskip(NEXT) | instid1(VALU_DEP_1)
	v_div_fixup_f64 v[0:1], v[2:3], v[0:1], 1.0
	v_mul_f64 v[2:3], v[5:6], -v[0:1]
.LBB122_1210:
	s_or_b32 exec_lo, exec_lo, s2
.LBB122_1211:
	s_delay_alu instid0(SALU_CYCLE_1) | instskip(NEXT) | instid1(SALU_CYCLE_1)
	s_or_b32 exec_lo, exec_lo, s3
	s_mov_b32 s2, exec_lo
	v_cmpx_ne_u32_e64 v39, v4
	s_xor_b32 s2, exec_lo, s2
	s_cbranch_execz .LBB122_1217
; %bb.1212:
	s_mov_b32 s3, exec_lo
	v_cmpx_eq_u32_e32 51, v39
	s_cbranch_execz .LBB122_1216
; %bb.1213:
	v_cmp_ne_u32_e32 vcc_lo, 51, v4
	s_xor_b32 s6, s4, -1
	s_delay_alu instid0(SALU_CYCLE_1) | instskip(NEXT) | instid1(SALU_CYCLE_1)
	s_and_b32 s7, s6, vcc_lo
	s_and_saveexec_b32 s6, s7
	s_cbranch_execz .LBB122_1215
; %bb.1214:
	v_ashrrev_i32_e32 v5, 31, v4
	s_delay_alu instid0(VALU_DEP_1) | instskip(NEXT) | instid1(VALU_DEP_1)
	v_lshlrev_b64 v[5:6], 2, v[4:5]
	v_add_co_u32 v5, vcc_lo, v18, v5
	s_delay_alu instid0(VALU_DEP_2)
	v_add_co_ci_u32_e32 v6, vcc_lo, v19, v6, vcc_lo
	s_clause 0x1
	flat_load_b32 v7, v[5:6]
	flat_load_b32 v8, v[18:19] offset:204
	s_waitcnt vmcnt(1) lgkmcnt(1)
	flat_store_b32 v[18:19], v7 offset:204
	s_waitcnt vmcnt(0) lgkmcnt(1)
	flat_store_b32 v[5:6], v8
.LBB122_1215:
	s_or_b32 exec_lo, exec_lo, s6
	v_mov_b32_e32 v39, v4
	v_mov_b32_e32 v38, v4
.LBB122_1216:
	s_or_b32 exec_lo, exec_lo, s3
.LBB122_1217:
	s_and_not1_saveexec_b32 s2, s2
	s_cbranch_execz .LBB122_1219
; %bb.1218:
	s_clause 0x9
	scratch_load_b128 v[4:7], v153, off
	scratch_load_b128 v[8:11], v152, off
	;; [unrolled: 1-line block ×10, first 2 shown]
	v_mov_b32_e32 v39, 51
	s_waitcnt vmcnt(9)
	ds_store_2addr_b64 v20, v[4:5], v[6:7] offset0:104 offset1:105
	s_waitcnt vmcnt(8)
	ds_store_2addr_b64 v20, v[8:9], v[10:11] offset0:106 offset1:107
	;; [unrolled: 2-line block ×10, first 2 shown]
.LBB122_1219:
	s_or_b32 exec_lo, exec_lo, s2
	s_delay_alu instid0(SALU_CYCLE_1)
	s_mov_b32 s2, exec_lo
	s_waitcnt lgkmcnt(0)
	s_waitcnt_vscnt null, 0x0
	s_barrier
	buffer_gl0_inv
	v_cmpx_lt_i32_e32 51, v39
	s_cbranch_execz .LBB122_1221
; %bb.1220:
	s_clause 0x1
	scratch_load_b128 v[4:7], off, off offset:816
	scratch_load_b128 v[8:11], off, off offset:832
	s_waitcnt vmcnt(1)
	v_mul_f64 v[12:13], v[0:1], v[6:7]
	v_mul_f64 v[6:7], v[2:3], v[6:7]
	s_delay_alu instid0(VALU_DEP_2)
	v_fma_f64 v[2:3], v[2:3], v[4:5], v[12:13]
	ds_load_2addr_b64 v[12:15], v20 offset0:104 offset1:105
	ds_load_2addr_b64 v[41:44], v20 offset0:106 offset1:107
	v_fma_f64 v[0:1], v[0:1], v[4:5], -v[6:7]
	s_waitcnt lgkmcnt(1)
	v_mul_f64 v[4:5], v[14:15], v[2:3]
	v_mul_f64 v[6:7], v[12:13], v[2:3]
	scratch_store_b128 off, v[0:3], off offset:816
	s_waitcnt lgkmcnt(0)
	v_mul_f64 v[113:114], v[43:44], v[2:3]
	v_fma_f64 v[4:5], v[12:13], v[0:1], -v[4:5]
	v_fma_f64 v[6:7], v[14:15], v[0:1], v[6:7]
	s_waitcnt vmcnt(0)
	s_delay_alu instid0(VALU_DEP_2) | instskip(NEXT) | instid1(VALU_DEP_2)
	v_add_f64 v[4:5], v[8:9], -v[4:5]
	v_add_f64 v[6:7], v[10:11], -v[6:7]
	s_clause 0x9
	scratch_load_b128 v[8:11], off, off offset:816
	scratch_load_b128 v[12:15], off, off offset:864
	;; [unrolled: 1-line block ×10, first 2 shown]
	ds_load_2addr_b64 v[97:100], v20 offset0:108 offset1:109
	ds_load_2addr_b64 v[126:129], v20 offset0:110 offset1:111
	;; [unrolled: 1-line block ×8, first 2 shown]
	s_waitcnt lgkmcnt(7)
	v_mul_f64 v[16:17], v[99:100], v[2:3]
	s_waitcnt lgkmcnt(6)
	v_mul_f64 v[57:58], v[128:129], v[2:3]
	v_mul_f64 v[65:66], v[126:127], v[2:3]
	;; [unrolled: 1-line block ×3, first 2 shown]
	s_waitcnt lgkmcnt(5)
	v_mul_f64 v[73:74], v[139:140], v[2:3]
	v_mul_f64 v[81:82], v[137:138], v[2:3]
	s_waitcnt lgkmcnt(4)
	v_mul_f64 v[106:107], v[173:174], v[2:3]
	v_mul_f64 v[109:110], v[171:172], v[2:3]
	;; [unrolled: 1-line block ×3, first 2 shown]
	v_fma_f64 v[16:17], v[97:98], v[0:1], -v[16:17]
	v_fma_f64 v[57:58], v[126:127], v[0:1], -v[57:58]
	v_fma_f64 v[65:66], v[128:129], v[0:1], v[65:66]
	v_fma_f64 v[49:50], v[99:100], v[0:1], v[49:50]
	v_fma_f64 v[73:74], v[137:138], v[0:1], -v[73:74]
	v_fma_f64 v[81:82], v[139:140], v[0:1], v[81:82]
	v_fma_f64 v[97:98], v[171:172], v[0:1], -v[106:107]
	;; [unrolled: 2-line block ×3, first 2 shown]
	v_fma_f64 v[109:110], v[43:44], v[0:1], v[2:3]
	s_waitcnt vmcnt(9) lgkmcnt(3)
	v_mul_f64 v[117:118], v[177:178], v[10:11]
	v_mul_f64 v[121:122], v[175:176], v[10:11]
	s_waitcnt lgkmcnt(2)
	v_mul_f64 v[130:131], v[181:182], v[10:11]
	v_mul_f64 v[133:134], v[179:180], v[10:11]
	s_waitcnt lgkmcnt(1)
	;; [unrolled: 3-line block ×3, first 2 shown]
	v_mul_f64 v[195:196], v[189:190], v[10:11]
	v_mul_f64 v[10:11], v[187:188], v[10:11]
	s_waitcnt vmcnt(8)
	v_add_f64 v[0:1], v[12:13], -v[16:17]
	v_add_f64 v[2:3], v[14:15], -v[49:50]
	s_waitcnt vmcnt(6)
	v_add_f64 v[12:13], v[53:54], -v[73:74]
	v_add_f64 v[14:15], v[55:56], -v[81:82]
	;; [unrolled: 3-line block ×3, first 2 shown]
	v_fma_f64 v[113:114], v[175:176], v[8:9], -v[117:118]
	v_fma_f64 v[117:118], v[177:178], v[8:9], v[121:122]
	v_fma_f64 v[121:122], v[179:180], v[8:9], -v[130:131]
	v_fma_f64 v[126:127], v[181:182], v[8:9], v[133:134]
	;; [unrolled: 2-line block ×4, first 2 shown]
	v_add_f64 v[8:9], v[45:46], -v[57:58]
	v_add_f64 v[10:11], v[47:48], -v[65:66]
	s_waitcnt vmcnt(4)
	v_add_f64 v[45:46], v[69:70], -v[106:107]
	v_add_f64 v[47:48], v[71:72], -v[109:110]
	s_waitcnt vmcnt(3)
	;; [unrolled: 3-line block ×5, first 2 shown]
	v_add_f64 v[77:78], v[93:94], -v[133:134]
	v_add_f64 v[79:80], v[95:96], -v[137:138]
	s_clause 0x9
	scratch_store_b128 off, v[4:7], off offset:832
	scratch_store_b128 off, v[8:11], off offset:880
	;; [unrolled: 1-line block ×10, first 2 shown]
.LBB122_1221:
	s_or_b32 exec_lo, exec_lo, s2
	s_waitcnt_vscnt null, 0x0
	s_barrier
	buffer_gl0_inv
	scratch_load_b128 v[0:3], v153, off
	v_lshl_add_u32 v4, v39, 4, v20
	s_cmp_lt_i32 s5, 54
	s_waitcnt vmcnt(0)
	ds_store_2addr_b64 v4, v[0:1], v[2:3] offset1:1
	s_waitcnt lgkmcnt(0)
	s_barrier
	buffer_gl0_inv
	ds_load_2addr_b64 v[0:3], v20 offset0:104 offset1:105
	v_mov_b32_e32 v4, 52
	s_cbranch_scc1 .LBB122_1224
; %bb.1222:
	v_add3_u32 v5, v37, 0, 0x350
	v_mov_b32_e32 v4, 52
	s_mov_b32 s6, 53
	s_set_inst_prefetch_distance 0x1
	.p2align	6
.LBB122_1223:                           ; =>This Inner Loop Header: Depth=1
	ds_load_2addr_b64 v[6:9], v5 offset1:1
	s_waitcnt lgkmcnt(1)
	v_cmp_gt_f64_e32 vcc_lo, 0, v[0:1]
	v_xor_b32_e32 v10, 0x80000000, v1
	v_cmp_gt_f64_e64 s2, 0, v[2:3]
	v_xor_b32_e32 v12, 0x80000000, v3
	v_add_nc_u32_e32 v5, 16, v5
	s_waitcnt lgkmcnt(0)
	v_cmp_gt_f64_e64 s3, 0, v[6:7]
	v_mov_b32_e32 v14, v6
	v_dual_mov_b32 v16, v8 :: v_dual_cndmask_b32 v11, v1, v10
	v_xor_b32_e32 v10, 0x80000000, v7
	v_cndmask_b32_e64 v13, v3, v12, s2
	v_xor_b32_e32 v12, 0x80000000, v9
	s_delay_alu instid0(VALU_DEP_3) | instskip(SKIP_2) | instid1(VALU_DEP_2)
	v_cndmask_b32_e64 v15, v7, v10, s3
	v_cmp_gt_f64_e64 s3, 0, v[8:9]
	v_cndmask_b32_e32 v10, v0, v0, vcc_lo
	v_cndmask_b32_e64 v17, v9, v12, s3
	v_cndmask_b32_e64 v12, v2, v2, s2
	s_delay_alu instid0(VALU_DEP_2) | instskip(NEXT) | instid1(VALU_DEP_2)
	v_add_f64 v[14:15], v[14:15], v[16:17]
	v_add_f64 v[10:11], v[10:11], v[12:13]
	s_delay_alu instid0(VALU_DEP_1)
	v_cmp_lt_f64_e32 vcc_lo, v[10:11], v[14:15]
	v_cndmask_b32_e32 v3, v3, v9, vcc_lo
	v_dual_cndmask_b32 v1, v1, v7 :: v_dual_cndmask_b32 v0, v0, v6
	v_cndmask_b32_e32 v2, v2, v8, vcc_lo
	v_cndmask_b32_e64 v4, v4, s6, vcc_lo
	s_add_i32 s6, s6, 1
	s_delay_alu instid0(SALU_CYCLE_1)
	s_cmp_lg_u32 s5, s6
	s_cbranch_scc1 .LBB122_1223
.LBB122_1224:
	s_set_inst_prefetch_distance 0x2
	s_waitcnt lgkmcnt(0)
	v_cmp_eq_f64_e32 vcc_lo, 0, v[0:1]
	v_cmp_eq_f64_e64 s2, 0, v[2:3]
	s_delay_alu instid0(VALU_DEP_1) | instskip(NEXT) | instid1(SALU_CYCLE_1)
	s_and_b32 s2, vcc_lo, s2
	s_and_saveexec_b32 s3, s2
	s_delay_alu instid0(SALU_CYCLE_1)
	s_xor_b32 s2, exec_lo, s3
; %bb.1225:
	v_cmp_ne_u32_e32 vcc_lo, 0, v35
	v_cndmask_b32_e32 v35, 53, v35, vcc_lo
; %bb.1226:
	s_and_not1_saveexec_b32 s3, s2
	s_cbranch_execz .LBB122_1232
; %bb.1227:
	v_cmp_gt_f64_e32 vcc_lo, 0, v[0:1]
	v_cmp_gt_f64_e64 s2, 0, v[2:3]
	v_xor_b32_e32 v5, 0x80000000, v1
	v_xor_b32_e32 v7, 0x80000000, v3
	s_delay_alu instid0(VALU_DEP_2) | instskip(NEXT) | instid1(VALU_DEP_2)
	v_dual_cndmask_b32 v6, v1, v5 :: v_dual_cndmask_b32 v5, v0, v0
	v_cndmask_b32_e64 v8, v3, v7, s2
	v_cndmask_b32_e64 v7, v2, v2, s2
	s_mov_b32 s2, exec_lo
	s_delay_alu instid0(VALU_DEP_1)
	v_cmpx_ngt_f64_e32 v[5:6], v[7:8]
	s_xor_b32 s2, exec_lo, s2
	s_cbranch_execz .LBB122_1229
; %bb.1228:
	v_div_scale_f64 v[5:6], null, v[2:3], v[2:3], v[0:1]
	v_div_scale_f64 v[11:12], vcc_lo, v[0:1], v[2:3], v[0:1]
	s_delay_alu instid0(VALU_DEP_2) | instskip(SKIP_2) | instid1(VALU_DEP_1)
	v_rcp_f64_e32 v[7:8], v[5:6]
	s_waitcnt_depctr 0xfff
	v_fma_f64 v[9:10], -v[5:6], v[7:8], 1.0
	v_fma_f64 v[7:8], v[7:8], v[9:10], v[7:8]
	s_delay_alu instid0(VALU_DEP_1) | instskip(NEXT) | instid1(VALU_DEP_1)
	v_fma_f64 v[9:10], -v[5:6], v[7:8], 1.0
	v_fma_f64 v[7:8], v[7:8], v[9:10], v[7:8]
	s_delay_alu instid0(VALU_DEP_1) | instskip(NEXT) | instid1(VALU_DEP_1)
	v_mul_f64 v[9:10], v[11:12], v[7:8]
	v_fma_f64 v[5:6], -v[5:6], v[9:10], v[11:12]
	s_delay_alu instid0(VALU_DEP_1) | instskip(NEXT) | instid1(VALU_DEP_1)
	v_div_fmas_f64 v[5:6], v[5:6], v[7:8], v[9:10]
	v_div_fixup_f64 v[5:6], v[5:6], v[2:3], v[0:1]
	s_delay_alu instid0(VALU_DEP_1) | instskip(NEXT) | instid1(VALU_DEP_1)
	v_fma_f64 v[0:1], v[0:1], v[5:6], v[2:3]
	v_div_scale_f64 v[2:3], null, v[0:1], v[0:1], 1.0
	s_delay_alu instid0(VALU_DEP_1) | instskip(SKIP_2) | instid1(VALU_DEP_1)
	v_rcp_f64_e32 v[7:8], v[2:3]
	s_waitcnt_depctr 0xfff
	v_fma_f64 v[9:10], -v[2:3], v[7:8], 1.0
	v_fma_f64 v[7:8], v[7:8], v[9:10], v[7:8]
	s_delay_alu instid0(VALU_DEP_1) | instskip(NEXT) | instid1(VALU_DEP_1)
	v_fma_f64 v[9:10], -v[2:3], v[7:8], 1.0
	v_fma_f64 v[7:8], v[7:8], v[9:10], v[7:8]
	v_div_scale_f64 v[9:10], vcc_lo, 1.0, v[0:1], 1.0
	s_delay_alu instid0(VALU_DEP_1) | instskip(NEXT) | instid1(VALU_DEP_1)
	v_mul_f64 v[11:12], v[9:10], v[7:8]
	v_fma_f64 v[2:3], -v[2:3], v[11:12], v[9:10]
	s_delay_alu instid0(VALU_DEP_1) | instskip(NEXT) | instid1(VALU_DEP_1)
	v_div_fmas_f64 v[2:3], v[2:3], v[7:8], v[11:12]
	v_div_fixup_f64 v[2:3], v[2:3], v[0:1], 1.0
	s_delay_alu instid0(VALU_DEP_1)
	v_mul_f64 v[0:1], v[5:6], v[2:3]
	v_xor_b32_e32 v3, 0x80000000, v3
.LBB122_1229:
	s_and_not1_saveexec_b32 s2, s2
	s_cbranch_execz .LBB122_1231
; %bb.1230:
	s_delay_alu instid0(VALU_DEP_1) | instskip(SKIP_1) | instid1(VALU_DEP_2)
	v_div_scale_f64 v[5:6], null, v[0:1], v[0:1], v[2:3]
	v_div_scale_f64 v[11:12], vcc_lo, v[2:3], v[0:1], v[2:3]
	v_rcp_f64_e32 v[7:8], v[5:6]
	s_waitcnt_depctr 0xfff
	v_fma_f64 v[9:10], -v[5:6], v[7:8], 1.0
	s_delay_alu instid0(VALU_DEP_1) | instskip(NEXT) | instid1(VALU_DEP_1)
	v_fma_f64 v[7:8], v[7:8], v[9:10], v[7:8]
	v_fma_f64 v[9:10], -v[5:6], v[7:8], 1.0
	s_delay_alu instid0(VALU_DEP_1) | instskip(NEXT) | instid1(VALU_DEP_1)
	v_fma_f64 v[7:8], v[7:8], v[9:10], v[7:8]
	v_mul_f64 v[9:10], v[11:12], v[7:8]
	s_delay_alu instid0(VALU_DEP_1) | instskip(NEXT) | instid1(VALU_DEP_1)
	v_fma_f64 v[5:6], -v[5:6], v[9:10], v[11:12]
	v_div_fmas_f64 v[5:6], v[5:6], v[7:8], v[9:10]
	s_delay_alu instid0(VALU_DEP_1) | instskip(NEXT) | instid1(VALU_DEP_1)
	v_div_fixup_f64 v[5:6], v[5:6], v[0:1], v[2:3]
	v_fma_f64 v[0:1], v[2:3], v[5:6], v[0:1]
	s_delay_alu instid0(VALU_DEP_1) | instskip(NEXT) | instid1(VALU_DEP_1)
	v_div_scale_f64 v[2:3], null, v[0:1], v[0:1], 1.0
	v_rcp_f64_e32 v[7:8], v[2:3]
	s_waitcnt_depctr 0xfff
	v_fma_f64 v[9:10], -v[2:3], v[7:8], 1.0
	s_delay_alu instid0(VALU_DEP_1) | instskip(NEXT) | instid1(VALU_DEP_1)
	v_fma_f64 v[7:8], v[7:8], v[9:10], v[7:8]
	v_fma_f64 v[9:10], -v[2:3], v[7:8], 1.0
	s_delay_alu instid0(VALU_DEP_1) | instskip(SKIP_1) | instid1(VALU_DEP_1)
	v_fma_f64 v[7:8], v[7:8], v[9:10], v[7:8]
	v_div_scale_f64 v[9:10], vcc_lo, 1.0, v[0:1], 1.0
	v_mul_f64 v[11:12], v[9:10], v[7:8]
	s_delay_alu instid0(VALU_DEP_1) | instskip(NEXT) | instid1(VALU_DEP_1)
	v_fma_f64 v[2:3], -v[2:3], v[11:12], v[9:10]
	v_div_fmas_f64 v[2:3], v[2:3], v[7:8], v[11:12]
	s_delay_alu instid0(VALU_DEP_1) | instskip(NEXT) | instid1(VALU_DEP_1)
	v_div_fixup_f64 v[0:1], v[2:3], v[0:1], 1.0
	v_mul_f64 v[2:3], v[5:6], -v[0:1]
.LBB122_1231:
	s_or_b32 exec_lo, exec_lo, s2
.LBB122_1232:
	s_delay_alu instid0(SALU_CYCLE_1) | instskip(NEXT) | instid1(SALU_CYCLE_1)
	s_or_b32 exec_lo, exec_lo, s3
	s_mov_b32 s2, exec_lo
	v_cmpx_ne_u32_e64 v39, v4
	s_xor_b32 s2, exec_lo, s2
	s_cbranch_execz .LBB122_1238
; %bb.1233:
	s_mov_b32 s3, exec_lo
	v_cmpx_eq_u32_e32 52, v39
	s_cbranch_execz .LBB122_1237
; %bb.1234:
	v_cmp_ne_u32_e32 vcc_lo, 52, v4
	s_xor_b32 s6, s4, -1
	s_delay_alu instid0(SALU_CYCLE_1) | instskip(NEXT) | instid1(SALU_CYCLE_1)
	s_and_b32 s7, s6, vcc_lo
	s_and_saveexec_b32 s6, s7
	s_cbranch_execz .LBB122_1236
; %bb.1235:
	v_ashrrev_i32_e32 v5, 31, v4
	s_delay_alu instid0(VALU_DEP_1) | instskip(NEXT) | instid1(VALU_DEP_1)
	v_lshlrev_b64 v[5:6], 2, v[4:5]
	v_add_co_u32 v5, vcc_lo, v18, v5
	s_delay_alu instid0(VALU_DEP_2)
	v_add_co_ci_u32_e32 v6, vcc_lo, v19, v6, vcc_lo
	s_clause 0x1
	flat_load_b32 v7, v[5:6]
	flat_load_b32 v8, v[18:19] offset:208
	s_waitcnt vmcnt(1) lgkmcnt(1)
	flat_store_b32 v[18:19], v7 offset:208
	s_waitcnt vmcnt(0) lgkmcnt(1)
	flat_store_b32 v[5:6], v8
.LBB122_1236:
	s_or_b32 exec_lo, exec_lo, s6
	v_mov_b32_e32 v39, v4
	v_mov_b32_e32 v38, v4
.LBB122_1237:
	s_or_b32 exec_lo, exec_lo, s3
.LBB122_1238:
	s_and_not1_saveexec_b32 s2, s2
	s_cbranch_execz .LBB122_1240
; %bb.1239:
	s_clause 0x8
	scratch_load_b128 v[4:7], v152, off
	scratch_load_b128 v[8:11], v151, off
	;; [unrolled: 1-line block ×9, first 2 shown]
	v_mov_b32_e32 v39, 52
	s_waitcnt vmcnt(8)
	ds_store_2addr_b64 v20, v[4:5], v[6:7] offset0:106 offset1:107
	s_waitcnt vmcnt(7)
	ds_store_2addr_b64 v20, v[8:9], v[10:11] offset0:108 offset1:109
	;; [unrolled: 2-line block ×9, first 2 shown]
.LBB122_1240:
	s_or_b32 exec_lo, exec_lo, s2
	s_delay_alu instid0(SALU_CYCLE_1)
	s_mov_b32 s2, exec_lo
	s_waitcnt lgkmcnt(0)
	s_waitcnt_vscnt null, 0x0
	s_barrier
	buffer_gl0_inv
	v_cmpx_lt_i32_e32 52, v39
	s_cbranch_execz .LBB122_1242
; %bb.1241:
	s_clause 0x1
	scratch_load_b128 v[4:7], off, off offset:832
	scratch_load_b128 v[8:11], off, off offset:848
	s_waitcnt vmcnt(1)
	v_mul_f64 v[12:13], v[0:1], v[6:7]
	v_mul_f64 v[6:7], v[2:3], v[6:7]
	s_delay_alu instid0(VALU_DEP_2)
	v_fma_f64 v[2:3], v[2:3], v[4:5], v[12:13]
	ds_load_2addr_b64 v[12:15], v20 offset0:106 offset1:107
	ds_load_2addr_b64 v[41:44], v20 offset0:108 offset1:109
	v_fma_f64 v[0:1], v[0:1], v[4:5], -v[6:7]
	s_waitcnt lgkmcnt(1)
	v_mul_f64 v[4:5], v[14:15], v[2:3]
	v_mul_f64 v[6:7], v[12:13], v[2:3]
	scratch_store_b128 off, v[0:3], off offset:832
	s_waitcnt lgkmcnt(0)
	v_mul_f64 v[113:114], v[43:44], v[2:3]
	v_fma_f64 v[4:5], v[12:13], v[0:1], -v[4:5]
	v_fma_f64 v[6:7], v[14:15], v[0:1], v[6:7]
	s_waitcnt vmcnt(0)
	s_delay_alu instid0(VALU_DEP_2) | instskip(NEXT) | instid1(VALU_DEP_2)
	v_add_f64 v[4:5], v[8:9], -v[4:5]
	v_add_f64 v[6:7], v[10:11], -v[6:7]
	s_clause 0x8
	scratch_load_b128 v[8:11], off, off offset:832
	scratch_load_b128 v[12:15], off, off offset:880
	;; [unrolled: 1-line block ×9, first 2 shown]
	ds_load_2addr_b64 v[93:96], v20 offset0:110 offset1:111
	ds_load_2addr_b64 v[97:100], v20 offset0:112 offset1:113
	;; [unrolled: 1-line block ×7, first 2 shown]
	s_waitcnt lgkmcnt(6)
	v_mul_f64 v[16:17], v[95:96], v[2:3]
	s_waitcnt lgkmcnt(5)
	v_mul_f64 v[57:58], v[99:100], v[2:3]
	v_mul_f64 v[65:66], v[97:98], v[2:3]
	;; [unrolled: 1-line block ×3, first 2 shown]
	s_waitcnt lgkmcnt(4)
	v_mul_f64 v[73:74], v[128:129], v[2:3]
	v_mul_f64 v[81:82], v[126:127], v[2:3]
	s_waitcnt lgkmcnt(3)
	v_mul_f64 v[106:107], v[139:140], v[2:3]
	v_mul_f64 v[109:110], v[137:138], v[2:3]
	;; [unrolled: 1-line block ×3, first 2 shown]
	v_fma_f64 v[16:17], v[93:94], v[0:1], -v[16:17]
	v_fma_f64 v[57:58], v[97:98], v[0:1], -v[57:58]
	v_fma_f64 v[65:66], v[99:100], v[0:1], v[65:66]
	v_fma_f64 v[49:50], v[95:96], v[0:1], v[49:50]
	v_fma_f64 v[73:74], v[126:127], v[0:1], -v[73:74]
	v_fma_f64 v[81:82], v[128:129], v[0:1], v[81:82]
	v_fma_f64 v[97:98], v[41:42], v[0:1], -v[113:114]
	v_fma_f64 v[93:94], v[137:138], v[0:1], -v[106:107]
	v_fma_f64 v[99:100], v[43:44], v[0:1], v[2:3]
	v_fma_f64 v[95:96], v[139:140], v[0:1], v[109:110]
	s_waitcnt vmcnt(8) lgkmcnt(2)
	v_mul_f64 v[117:118], v[173:174], v[10:11]
	v_mul_f64 v[121:122], v[171:172], v[10:11]
	s_waitcnt lgkmcnt(1)
	v_mul_f64 v[130:131], v[177:178], v[10:11]
	v_mul_f64 v[133:134], v[175:176], v[10:11]
	s_waitcnt lgkmcnt(0)
	v_mul_f64 v[183:184], v[181:182], v[10:11]
	v_mul_f64 v[10:11], v[179:180], v[10:11]
	s_waitcnt vmcnt(7)
	v_add_f64 v[0:1], v[12:13], -v[16:17]
	v_add_f64 v[2:3], v[14:15], -v[49:50]
	s_waitcnt vmcnt(5)
	v_add_f64 v[12:13], v[53:54], -v[73:74]
	v_add_f64 v[14:15], v[55:56], -v[81:82]
	s_waitcnt vmcnt(4)
	v_add_f64 v[41:42], v[61:62], -v[93:94]
	v_add_f64 v[43:44], v[63:64], -v[95:96]
	v_fma_f64 v[106:107], v[171:172], v[8:9], -v[117:118]
	v_fma_f64 v[109:110], v[173:174], v[8:9], v[121:122]
	v_fma_f64 v[113:114], v[175:176], v[8:9], -v[130:131]
	v_fma_f64 v[117:118], v[177:178], v[8:9], v[133:134]
	;; [unrolled: 2-line block ×3, first 2 shown]
	v_add_f64 v[8:9], v[45:46], -v[57:58]
	v_add_f64 v[10:11], v[47:48], -v[65:66]
	s_waitcnt vmcnt(3)
	v_add_f64 v[45:46], v[69:70], -v[97:98]
	v_add_f64 v[47:48], v[71:72], -v[99:100]
	s_waitcnt vmcnt(2)
	;; [unrolled: 3-line block ×4, first 2 shown]
	v_add_f64 v[69:70], v[89:90], -v[121:122]
	v_add_f64 v[71:72], v[91:92], -v[126:127]
	s_clause 0x8
	scratch_store_b128 off, v[4:7], off offset:848
	scratch_store_b128 off, v[8:11], off offset:896
	scratch_store_b128 off, v[12:15], off offset:912
	scratch_store_b128 off, v[45:48], off offset:864
	scratch_store_b128 off, v[0:3], off offset:880
	scratch_store_b128 off, v[41:44], off offset:928
	scratch_store_b128 off, v[53:56], off offset:944
	scratch_store_b128 off, v[61:64], off offset:960
	scratch_store_b128 off, v[69:72], off offset:976
.LBB122_1242:
	s_or_b32 exec_lo, exec_lo, s2
	s_waitcnt_vscnt null, 0x0
	s_barrier
	buffer_gl0_inv
	scratch_load_b128 v[0:3], v152, off
	v_lshl_add_u32 v4, v39, 4, v20
	s_cmp_lt_i32 s5, 55
	s_waitcnt vmcnt(0)
	ds_store_2addr_b64 v4, v[0:1], v[2:3] offset1:1
	s_waitcnt lgkmcnt(0)
	s_barrier
	buffer_gl0_inv
	ds_load_2addr_b64 v[0:3], v20 offset0:106 offset1:107
	v_mov_b32_e32 v4, 53
	s_cbranch_scc1 .LBB122_1245
; %bb.1243:
	v_add3_u32 v5, v37, 0, 0x360
	v_mov_b32_e32 v4, 53
	s_mov_b32 s6, 54
	s_set_inst_prefetch_distance 0x1
	.p2align	6
.LBB122_1244:                           ; =>This Inner Loop Header: Depth=1
	ds_load_2addr_b64 v[6:9], v5 offset1:1
	s_waitcnt lgkmcnt(1)
	v_cmp_gt_f64_e32 vcc_lo, 0, v[0:1]
	v_xor_b32_e32 v10, 0x80000000, v1
	v_cmp_gt_f64_e64 s2, 0, v[2:3]
	v_xor_b32_e32 v12, 0x80000000, v3
	v_add_nc_u32_e32 v5, 16, v5
	s_waitcnt lgkmcnt(0)
	v_cmp_gt_f64_e64 s3, 0, v[6:7]
	v_mov_b32_e32 v14, v6
	v_dual_mov_b32 v16, v8 :: v_dual_cndmask_b32 v11, v1, v10
	v_xor_b32_e32 v10, 0x80000000, v7
	v_cndmask_b32_e64 v13, v3, v12, s2
	v_xor_b32_e32 v12, 0x80000000, v9
	s_delay_alu instid0(VALU_DEP_3) | instskip(SKIP_2) | instid1(VALU_DEP_2)
	v_cndmask_b32_e64 v15, v7, v10, s3
	v_cmp_gt_f64_e64 s3, 0, v[8:9]
	v_cndmask_b32_e32 v10, v0, v0, vcc_lo
	v_cndmask_b32_e64 v17, v9, v12, s3
	v_cndmask_b32_e64 v12, v2, v2, s2
	s_delay_alu instid0(VALU_DEP_2) | instskip(NEXT) | instid1(VALU_DEP_2)
	v_add_f64 v[14:15], v[14:15], v[16:17]
	v_add_f64 v[10:11], v[10:11], v[12:13]
	s_delay_alu instid0(VALU_DEP_1)
	v_cmp_lt_f64_e32 vcc_lo, v[10:11], v[14:15]
	v_cndmask_b32_e32 v3, v3, v9, vcc_lo
	v_dual_cndmask_b32 v1, v1, v7 :: v_dual_cndmask_b32 v0, v0, v6
	v_cndmask_b32_e32 v2, v2, v8, vcc_lo
	v_cndmask_b32_e64 v4, v4, s6, vcc_lo
	s_add_i32 s6, s6, 1
	s_delay_alu instid0(SALU_CYCLE_1)
	s_cmp_lg_u32 s5, s6
	s_cbranch_scc1 .LBB122_1244
.LBB122_1245:
	s_set_inst_prefetch_distance 0x2
	s_waitcnt lgkmcnt(0)
	v_cmp_eq_f64_e32 vcc_lo, 0, v[0:1]
	v_cmp_eq_f64_e64 s2, 0, v[2:3]
	s_delay_alu instid0(VALU_DEP_1) | instskip(NEXT) | instid1(SALU_CYCLE_1)
	s_and_b32 s2, vcc_lo, s2
	s_and_saveexec_b32 s3, s2
	s_delay_alu instid0(SALU_CYCLE_1)
	s_xor_b32 s2, exec_lo, s3
; %bb.1246:
	v_cmp_ne_u32_e32 vcc_lo, 0, v35
	v_cndmask_b32_e32 v35, 54, v35, vcc_lo
; %bb.1247:
	s_and_not1_saveexec_b32 s3, s2
	s_cbranch_execz .LBB122_1253
; %bb.1248:
	v_cmp_gt_f64_e32 vcc_lo, 0, v[0:1]
	v_cmp_gt_f64_e64 s2, 0, v[2:3]
	v_xor_b32_e32 v5, 0x80000000, v1
	v_xor_b32_e32 v7, 0x80000000, v3
	s_delay_alu instid0(VALU_DEP_2) | instskip(NEXT) | instid1(VALU_DEP_2)
	v_dual_cndmask_b32 v6, v1, v5 :: v_dual_cndmask_b32 v5, v0, v0
	v_cndmask_b32_e64 v8, v3, v7, s2
	v_cndmask_b32_e64 v7, v2, v2, s2
	s_mov_b32 s2, exec_lo
	s_delay_alu instid0(VALU_DEP_1)
	v_cmpx_ngt_f64_e32 v[5:6], v[7:8]
	s_xor_b32 s2, exec_lo, s2
	s_cbranch_execz .LBB122_1250
; %bb.1249:
	v_div_scale_f64 v[5:6], null, v[2:3], v[2:3], v[0:1]
	v_div_scale_f64 v[11:12], vcc_lo, v[0:1], v[2:3], v[0:1]
	s_delay_alu instid0(VALU_DEP_2) | instskip(SKIP_2) | instid1(VALU_DEP_1)
	v_rcp_f64_e32 v[7:8], v[5:6]
	s_waitcnt_depctr 0xfff
	v_fma_f64 v[9:10], -v[5:6], v[7:8], 1.0
	v_fma_f64 v[7:8], v[7:8], v[9:10], v[7:8]
	s_delay_alu instid0(VALU_DEP_1) | instskip(NEXT) | instid1(VALU_DEP_1)
	v_fma_f64 v[9:10], -v[5:6], v[7:8], 1.0
	v_fma_f64 v[7:8], v[7:8], v[9:10], v[7:8]
	s_delay_alu instid0(VALU_DEP_1) | instskip(NEXT) | instid1(VALU_DEP_1)
	v_mul_f64 v[9:10], v[11:12], v[7:8]
	v_fma_f64 v[5:6], -v[5:6], v[9:10], v[11:12]
	s_delay_alu instid0(VALU_DEP_1) | instskip(NEXT) | instid1(VALU_DEP_1)
	v_div_fmas_f64 v[5:6], v[5:6], v[7:8], v[9:10]
	v_div_fixup_f64 v[5:6], v[5:6], v[2:3], v[0:1]
	s_delay_alu instid0(VALU_DEP_1) | instskip(NEXT) | instid1(VALU_DEP_1)
	v_fma_f64 v[0:1], v[0:1], v[5:6], v[2:3]
	v_div_scale_f64 v[2:3], null, v[0:1], v[0:1], 1.0
	s_delay_alu instid0(VALU_DEP_1) | instskip(SKIP_2) | instid1(VALU_DEP_1)
	v_rcp_f64_e32 v[7:8], v[2:3]
	s_waitcnt_depctr 0xfff
	v_fma_f64 v[9:10], -v[2:3], v[7:8], 1.0
	v_fma_f64 v[7:8], v[7:8], v[9:10], v[7:8]
	s_delay_alu instid0(VALU_DEP_1) | instskip(NEXT) | instid1(VALU_DEP_1)
	v_fma_f64 v[9:10], -v[2:3], v[7:8], 1.0
	v_fma_f64 v[7:8], v[7:8], v[9:10], v[7:8]
	v_div_scale_f64 v[9:10], vcc_lo, 1.0, v[0:1], 1.0
	s_delay_alu instid0(VALU_DEP_1) | instskip(NEXT) | instid1(VALU_DEP_1)
	v_mul_f64 v[11:12], v[9:10], v[7:8]
	v_fma_f64 v[2:3], -v[2:3], v[11:12], v[9:10]
	s_delay_alu instid0(VALU_DEP_1) | instskip(NEXT) | instid1(VALU_DEP_1)
	v_div_fmas_f64 v[2:3], v[2:3], v[7:8], v[11:12]
	v_div_fixup_f64 v[2:3], v[2:3], v[0:1], 1.0
	s_delay_alu instid0(VALU_DEP_1)
	v_mul_f64 v[0:1], v[5:6], v[2:3]
	v_xor_b32_e32 v3, 0x80000000, v3
.LBB122_1250:
	s_and_not1_saveexec_b32 s2, s2
	s_cbranch_execz .LBB122_1252
; %bb.1251:
	s_delay_alu instid0(VALU_DEP_1) | instskip(SKIP_1) | instid1(VALU_DEP_2)
	v_div_scale_f64 v[5:6], null, v[0:1], v[0:1], v[2:3]
	v_div_scale_f64 v[11:12], vcc_lo, v[2:3], v[0:1], v[2:3]
	v_rcp_f64_e32 v[7:8], v[5:6]
	s_waitcnt_depctr 0xfff
	v_fma_f64 v[9:10], -v[5:6], v[7:8], 1.0
	s_delay_alu instid0(VALU_DEP_1) | instskip(NEXT) | instid1(VALU_DEP_1)
	v_fma_f64 v[7:8], v[7:8], v[9:10], v[7:8]
	v_fma_f64 v[9:10], -v[5:6], v[7:8], 1.0
	s_delay_alu instid0(VALU_DEP_1) | instskip(NEXT) | instid1(VALU_DEP_1)
	v_fma_f64 v[7:8], v[7:8], v[9:10], v[7:8]
	v_mul_f64 v[9:10], v[11:12], v[7:8]
	s_delay_alu instid0(VALU_DEP_1) | instskip(NEXT) | instid1(VALU_DEP_1)
	v_fma_f64 v[5:6], -v[5:6], v[9:10], v[11:12]
	v_div_fmas_f64 v[5:6], v[5:6], v[7:8], v[9:10]
	s_delay_alu instid0(VALU_DEP_1) | instskip(NEXT) | instid1(VALU_DEP_1)
	v_div_fixup_f64 v[5:6], v[5:6], v[0:1], v[2:3]
	v_fma_f64 v[0:1], v[2:3], v[5:6], v[0:1]
	s_delay_alu instid0(VALU_DEP_1) | instskip(NEXT) | instid1(VALU_DEP_1)
	v_div_scale_f64 v[2:3], null, v[0:1], v[0:1], 1.0
	v_rcp_f64_e32 v[7:8], v[2:3]
	s_waitcnt_depctr 0xfff
	v_fma_f64 v[9:10], -v[2:3], v[7:8], 1.0
	s_delay_alu instid0(VALU_DEP_1) | instskip(NEXT) | instid1(VALU_DEP_1)
	v_fma_f64 v[7:8], v[7:8], v[9:10], v[7:8]
	v_fma_f64 v[9:10], -v[2:3], v[7:8], 1.0
	s_delay_alu instid0(VALU_DEP_1) | instskip(SKIP_1) | instid1(VALU_DEP_1)
	v_fma_f64 v[7:8], v[7:8], v[9:10], v[7:8]
	v_div_scale_f64 v[9:10], vcc_lo, 1.0, v[0:1], 1.0
	v_mul_f64 v[11:12], v[9:10], v[7:8]
	s_delay_alu instid0(VALU_DEP_1) | instskip(NEXT) | instid1(VALU_DEP_1)
	v_fma_f64 v[2:3], -v[2:3], v[11:12], v[9:10]
	v_div_fmas_f64 v[2:3], v[2:3], v[7:8], v[11:12]
	s_delay_alu instid0(VALU_DEP_1) | instskip(NEXT) | instid1(VALU_DEP_1)
	v_div_fixup_f64 v[0:1], v[2:3], v[0:1], 1.0
	v_mul_f64 v[2:3], v[5:6], -v[0:1]
.LBB122_1252:
	s_or_b32 exec_lo, exec_lo, s2
.LBB122_1253:
	s_delay_alu instid0(SALU_CYCLE_1) | instskip(NEXT) | instid1(SALU_CYCLE_1)
	s_or_b32 exec_lo, exec_lo, s3
	s_mov_b32 s2, exec_lo
	v_cmpx_ne_u32_e64 v39, v4
	s_xor_b32 s2, exec_lo, s2
	s_cbranch_execz .LBB122_1259
; %bb.1254:
	s_mov_b32 s3, exec_lo
	v_cmpx_eq_u32_e32 53, v39
	s_cbranch_execz .LBB122_1258
; %bb.1255:
	v_cmp_ne_u32_e32 vcc_lo, 53, v4
	s_xor_b32 s6, s4, -1
	s_delay_alu instid0(SALU_CYCLE_1) | instskip(NEXT) | instid1(SALU_CYCLE_1)
	s_and_b32 s7, s6, vcc_lo
	s_and_saveexec_b32 s6, s7
	s_cbranch_execz .LBB122_1257
; %bb.1256:
	v_ashrrev_i32_e32 v5, 31, v4
	s_delay_alu instid0(VALU_DEP_1) | instskip(NEXT) | instid1(VALU_DEP_1)
	v_lshlrev_b64 v[5:6], 2, v[4:5]
	v_add_co_u32 v5, vcc_lo, v18, v5
	s_delay_alu instid0(VALU_DEP_2)
	v_add_co_ci_u32_e32 v6, vcc_lo, v19, v6, vcc_lo
	s_clause 0x1
	flat_load_b32 v7, v[5:6]
	flat_load_b32 v8, v[18:19] offset:212
	s_waitcnt vmcnt(1) lgkmcnt(1)
	flat_store_b32 v[18:19], v7 offset:212
	s_waitcnt vmcnt(0) lgkmcnt(1)
	flat_store_b32 v[5:6], v8
.LBB122_1257:
	s_or_b32 exec_lo, exec_lo, s6
	v_mov_b32_e32 v39, v4
	v_mov_b32_e32 v38, v4
.LBB122_1258:
	s_or_b32 exec_lo, exec_lo, s3
.LBB122_1259:
	s_and_not1_saveexec_b32 s2, s2
	s_cbranch_execz .LBB122_1261
; %bb.1260:
	s_clause 0x7
	scratch_load_b128 v[4:7], v151, off
	scratch_load_b128 v[8:11], v150, off
	;; [unrolled: 1-line block ×8, first 2 shown]
	v_mov_b32_e32 v39, 53
	s_waitcnt vmcnt(7)
	ds_store_2addr_b64 v20, v[4:5], v[6:7] offset0:108 offset1:109
	s_waitcnt vmcnt(6)
	ds_store_2addr_b64 v20, v[8:9], v[10:11] offset0:110 offset1:111
	;; [unrolled: 2-line block ×8, first 2 shown]
.LBB122_1261:
	s_or_b32 exec_lo, exec_lo, s2
	s_delay_alu instid0(SALU_CYCLE_1)
	s_mov_b32 s2, exec_lo
	s_waitcnt lgkmcnt(0)
	s_waitcnt_vscnt null, 0x0
	s_barrier
	buffer_gl0_inv
	v_cmpx_lt_i32_e32 53, v39
	s_cbranch_execz .LBB122_1263
; %bb.1262:
	s_clause 0x1
	scratch_load_b128 v[4:7], off, off offset:848
	scratch_load_b128 v[8:11], off, off offset:864
	s_waitcnt vmcnt(1)
	v_mul_f64 v[12:13], v[0:1], v[6:7]
	v_mul_f64 v[6:7], v[2:3], v[6:7]
	s_delay_alu instid0(VALU_DEP_2)
	v_fma_f64 v[2:3], v[2:3], v[4:5], v[12:13]
	ds_load_2addr_b64 v[12:15], v20 offset0:108 offset1:109
	ds_load_2addr_b64 v[41:44], v20 offset0:110 offset1:111
	v_fma_f64 v[0:1], v[0:1], v[4:5], -v[6:7]
	s_waitcnt lgkmcnt(1)
	v_mul_f64 v[4:5], v[14:15], v[2:3]
	v_mul_f64 v[6:7], v[12:13], v[2:3]
	scratch_store_b128 off, v[0:3], off offset:848
	s_waitcnt lgkmcnt(0)
	v_mul_f64 v[113:114], v[43:44], v[2:3]
	v_fma_f64 v[4:5], v[12:13], v[0:1], -v[4:5]
	v_fma_f64 v[6:7], v[14:15], v[0:1], v[6:7]
	s_waitcnt vmcnt(0)
	s_delay_alu instid0(VALU_DEP_2) | instskip(NEXT) | instid1(VALU_DEP_2)
	v_add_f64 v[4:5], v[8:9], -v[4:5]
	v_add_f64 v[6:7], v[10:11], -v[6:7]
	s_clause 0x7
	scratch_load_b128 v[8:11], off, off offset:848
	scratch_load_b128 v[12:15], off, off offset:896
	;; [unrolled: 1-line block ×8, first 2 shown]
	ds_load_2addr_b64 v[89:92], v20 offset0:112 offset1:113
	ds_load_2addr_b64 v[93:96], v20 offset0:114 offset1:115
	;; [unrolled: 1-line block ×6, first 2 shown]
	s_waitcnt lgkmcnt(5)
	v_mul_f64 v[16:17], v[91:92], v[2:3]
	s_waitcnt lgkmcnt(4)
	v_mul_f64 v[57:58], v[95:96], v[2:3]
	v_mul_f64 v[65:66], v[93:94], v[2:3]
	;; [unrolled: 1-line block ×3, first 2 shown]
	s_waitcnt lgkmcnt(3)
	v_mul_f64 v[73:74], v[99:100], v[2:3]
	v_mul_f64 v[81:82], v[97:98], v[2:3]
	s_waitcnt lgkmcnt(2)
	v_mul_f64 v[106:107], v[128:129], v[2:3]
	v_mul_f64 v[109:110], v[126:127], v[2:3]
	;; [unrolled: 1-line block ×3, first 2 shown]
	v_fma_f64 v[16:17], v[89:90], v[0:1], -v[16:17]
	v_fma_f64 v[57:58], v[93:94], v[0:1], -v[57:58]
	v_fma_f64 v[65:66], v[95:96], v[0:1], v[65:66]
	v_fma_f64 v[49:50], v[91:92], v[0:1], v[49:50]
	v_fma_f64 v[73:74], v[97:98], v[0:1], -v[73:74]
	v_fma_f64 v[81:82], v[99:100], v[0:1], v[81:82]
	v_fma_f64 v[93:94], v[41:42], v[0:1], -v[113:114]
	v_fma_f64 v[89:90], v[126:127], v[0:1], -v[106:107]
	v_fma_f64 v[95:96], v[43:44], v[0:1], v[2:3]
	v_fma_f64 v[91:92], v[128:129], v[0:1], v[109:110]
	s_waitcnt vmcnt(7) lgkmcnt(1)
	v_mul_f64 v[117:118], v[139:140], v[10:11]
	v_mul_f64 v[121:122], v[137:138], v[10:11]
	s_waitcnt lgkmcnt(0)
	v_mul_f64 v[130:131], v[173:174], v[10:11]
	v_mul_f64 v[10:11], v[171:172], v[10:11]
	s_waitcnt vmcnt(6)
	v_add_f64 v[0:1], v[12:13], -v[16:17]
	v_add_f64 v[2:3], v[14:15], -v[49:50]
	s_waitcnt vmcnt(4)
	v_add_f64 v[12:13], v[53:54], -v[73:74]
	v_add_f64 v[14:15], v[55:56], -v[81:82]
	;; [unrolled: 3-line block ×3, first 2 shown]
	v_fma_f64 v[97:98], v[137:138], v[8:9], -v[117:118]
	v_fma_f64 v[99:100], v[139:140], v[8:9], v[121:122]
	v_fma_f64 v[106:107], v[171:172], v[8:9], -v[130:131]
	v_fma_f64 v[109:110], v[173:174], v[8:9], v[10:11]
	v_add_f64 v[8:9], v[45:46], -v[57:58]
	v_add_f64 v[10:11], v[47:48], -v[65:66]
	s_waitcnt vmcnt(2)
	v_add_f64 v[45:46], v[69:70], -v[93:94]
	v_add_f64 v[47:48], v[71:72], -v[95:96]
	s_waitcnt vmcnt(1)
	;; [unrolled: 3-line block ×3, first 2 shown]
	v_add_f64 v[61:62], v[85:86], -v[106:107]
	v_add_f64 v[63:64], v[87:88], -v[109:110]
	s_clause 0x7
	scratch_store_b128 off, v[4:7], off offset:864
	scratch_store_b128 off, v[8:11], off offset:912
	;; [unrolled: 1-line block ×8, first 2 shown]
.LBB122_1263:
	s_or_b32 exec_lo, exec_lo, s2
	s_waitcnt_vscnt null, 0x0
	s_barrier
	buffer_gl0_inv
	scratch_load_b128 v[0:3], v151, off
	v_lshl_add_u32 v4, v39, 4, v20
	s_cmp_lt_i32 s5, 56
	s_waitcnt vmcnt(0)
	ds_store_2addr_b64 v4, v[0:1], v[2:3] offset1:1
	s_waitcnt lgkmcnt(0)
	s_barrier
	buffer_gl0_inv
	ds_load_2addr_b64 v[0:3], v20 offset0:108 offset1:109
	v_mov_b32_e32 v4, 54
	s_cbranch_scc1 .LBB122_1266
; %bb.1264:
	v_add3_u32 v5, v37, 0, 0x370
	v_mov_b32_e32 v4, 54
	s_mov_b32 s6, 55
	s_set_inst_prefetch_distance 0x1
	.p2align	6
.LBB122_1265:                           ; =>This Inner Loop Header: Depth=1
	ds_load_2addr_b64 v[6:9], v5 offset1:1
	s_waitcnt lgkmcnt(1)
	v_cmp_gt_f64_e32 vcc_lo, 0, v[0:1]
	v_xor_b32_e32 v10, 0x80000000, v1
	v_cmp_gt_f64_e64 s2, 0, v[2:3]
	v_xor_b32_e32 v12, 0x80000000, v3
	v_add_nc_u32_e32 v5, 16, v5
	s_waitcnt lgkmcnt(0)
	v_cmp_gt_f64_e64 s3, 0, v[6:7]
	v_mov_b32_e32 v14, v6
	v_dual_mov_b32 v16, v8 :: v_dual_cndmask_b32 v11, v1, v10
	v_xor_b32_e32 v10, 0x80000000, v7
	v_cndmask_b32_e64 v13, v3, v12, s2
	v_xor_b32_e32 v12, 0x80000000, v9
	s_delay_alu instid0(VALU_DEP_3) | instskip(SKIP_2) | instid1(VALU_DEP_2)
	v_cndmask_b32_e64 v15, v7, v10, s3
	v_cmp_gt_f64_e64 s3, 0, v[8:9]
	v_cndmask_b32_e32 v10, v0, v0, vcc_lo
	v_cndmask_b32_e64 v17, v9, v12, s3
	v_cndmask_b32_e64 v12, v2, v2, s2
	s_delay_alu instid0(VALU_DEP_2) | instskip(NEXT) | instid1(VALU_DEP_2)
	v_add_f64 v[14:15], v[14:15], v[16:17]
	v_add_f64 v[10:11], v[10:11], v[12:13]
	s_delay_alu instid0(VALU_DEP_1)
	v_cmp_lt_f64_e32 vcc_lo, v[10:11], v[14:15]
	v_cndmask_b32_e32 v3, v3, v9, vcc_lo
	v_dual_cndmask_b32 v1, v1, v7 :: v_dual_cndmask_b32 v0, v0, v6
	v_cndmask_b32_e32 v2, v2, v8, vcc_lo
	v_cndmask_b32_e64 v4, v4, s6, vcc_lo
	s_add_i32 s6, s6, 1
	s_delay_alu instid0(SALU_CYCLE_1)
	s_cmp_lg_u32 s5, s6
	s_cbranch_scc1 .LBB122_1265
.LBB122_1266:
	s_set_inst_prefetch_distance 0x2
	s_waitcnt lgkmcnt(0)
	v_cmp_eq_f64_e32 vcc_lo, 0, v[0:1]
	v_cmp_eq_f64_e64 s2, 0, v[2:3]
	s_delay_alu instid0(VALU_DEP_1) | instskip(NEXT) | instid1(SALU_CYCLE_1)
	s_and_b32 s2, vcc_lo, s2
	s_and_saveexec_b32 s3, s2
	s_delay_alu instid0(SALU_CYCLE_1)
	s_xor_b32 s2, exec_lo, s3
; %bb.1267:
	v_cmp_ne_u32_e32 vcc_lo, 0, v35
	v_cndmask_b32_e32 v35, 55, v35, vcc_lo
; %bb.1268:
	s_and_not1_saveexec_b32 s3, s2
	s_cbranch_execz .LBB122_1274
; %bb.1269:
	v_cmp_gt_f64_e32 vcc_lo, 0, v[0:1]
	v_cmp_gt_f64_e64 s2, 0, v[2:3]
	v_xor_b32_e32 v5, 0x80000000, v1
	v_xor_b32_e32 v7, 0x80000000, v3
	s_delay_alu instid0(VALU_DEP_2) | instskip(NEXT) | instid1(VALU_DEP_2)
	v_dual_cndmask_b32 v6, v1, v5 :: v_dual_cndmask_b32 v5, v0, v0
	v_cndmask_b32_e64 v8, v3, v7, s2
	v_cndmask_b32_e64 v7, v2, v2, s2
	s_mov_b32 s2, exec_lo
	s_delay_alu instid0(VALU_DEP_1)
	v_cmpx_ngt_f64_e32 v[5:6], v[7:8]
	s_xor_b32 s2, exec_lo, s2
	s_cbranch_execz .LBB122_1271
; %bb.1270:
	v_div_scale_f64 v[5:6], null, v[2:3], v[2:3], v[0:1]
	v_div_scale_f64 v[11:12], vcc_lo, v[0:1], v[2:3], v[0:1]
	s_delay_alu instid0(VALU_DEP_2) | instskip(SKIP_2) | instid1(VALU_DEP_1)
	v_rcp_f64_e32 v[7:8], v[5:6]
	s_waitcnt_depctr 0xfff
	v_fma_f64 v[9:10], -v[5:6], v[7:8], 1.0
	v_fma_f64 v[7:8], v[7:8], v[9:10], v[7:8]
	s_delay_alu instid0(VALU_DEP_1) | instskip(NEXT) | instid1(VALU_DEP_1)
	v_fma_f64 v[9:10], -v[5:6], v[7:8], 1.0
	v_fma_f64 v[7:8], v[7:8], v[9:10], v[7:8]
	s_delay_alu instid0(VALU_DEP_1) | instskip(NEXT) | instid1(VALU_DEP_1)
	v_mul_f64 v[9:10], v[11:12], v[7:8]
	v_fma_f64 v[5:6], -v[5:6], v[9:10], v[11:12]
	s_delay_alu instid0(VALU_DEP_1) | instskip(NEXT) | instid1(VALU_DEP_1)
	v_div_fmas_f64 v[5:6], v[5:6], v[7:8], v[9:10]
	v_div_fixup_f64 v[5:6], v[5:6], v[2:3], v[0:1]
	s_delay_alu instid0(VALU_DEP_1) | instskip(NEXT) | instid1(VALU_DEP_1)
	v_fma_f64 v[0:1], v[0:1], v[5:6], v[2:3]
	v_div_scale_f64 v[2:3], null, v[0:1], v[0:1], 1.0
	s_delay_alu instid0(VALU_DEP_1) | instskip(SKIP_2) | instid1(VALU_DEP_1)
	v_rcp_f64_e32 v[7:8], v[2:3]
	s_waitcnt_depctr 0xfff
	v_fma_f64 v[9:10], -v[2:3], v[7:8], 1.0
	v_fma_f64 v[7:8], v[7:8], v[9:10], v[7:8]
	s_delay_alu instid0(VALU_DEP_1) | instskip(NEXT) | instid1(VALU_DEP_1)
	v_fma_f64 v[9:10], -v[2:3], v[7:8], 1.0
	v_fma_f64 v[7:8], v[7:8], v[9:10], v[7:8]
	v_div_scale_f64 v[9:10], vcc_lo, 1.0, v[0:1], 1.0
	s_delay_alu instid0(VALU_DEP_1) | instskip(NEXT) | instid1(VALU_DEP_1)
	v_mul_f64 v[11:12], v[9:10], v[7:8]
	v_fma_f64 v[2:3], -v[2:3], v[11:12], v[9:10]
	s_delay_alu instid0(VALU_DEP_1) | instskip(NEXT) | instid1(VALU_DEP_1)
	v_div_fmas_f64 v[2:3], v[2:3], v[7:8], v[11:12]
	v_div_fixup_f64 v[2:3], v[2:3], v[0:1], 1.0
	s_delay_alu instid0(VALU_DEP_1)
	v_mul_f64 v[0:1], v[5:6], v[2:3]
	v_xor_b32_e32 v3, 0x80000000, v3
.LBB122_1271:
	s_and_not1_saveexec_b32 s2, s2
	s_cbranch_execz .LBB122_1273
; %bb.1272:
	s_delay_alu instid0(VALU_DEP_1) | instskip(SKIP_1) | instid1(VALU_DEP_2)
	v_div_scale_f64 v[5:6], null, v[0:1], v[0:1], v[2:3]
	v_div_scale_f64 v[11:12], vcc_lo, v[2:3], v[0:1], v[2:3]
	v_rcp_f64_e32 v[7:8], v[5:6]
	s_waitcnt_depctr 0xfff
	v_fma_f64 v[9:10], -v[5:6], v[7:8], 1.0
	s_delay_alu instid0(VALU_DEP_1) | instskip(NEXT) | instid1(VALU_DEP_1)
	v_fma_f64 v[7:8], v[7:8], v[9:10], v[7:8]
	v_fma_f64 v[9:10], -v[5:6], v[7:8], 1.0
	s_delay_alu instid0(VALU_DEP_1) | instskip(NEXT) | instid1(VALU_DEP_1)
	v_fma_f64 v[7:8], v[7:8], v[9:10], v[7:8]
	v_mul_f64 v[9:10], v[11:12], v[7:8]
	s_delay_alu instid0(VALU_DEP_1) | instskip(NEXT) | instid1(VALU_DEP_1)
	v_fma_f64 v[5:6], -v[5:6], v[9:10], v[11:12]
	v_div_fmas_f64 v[5:6], v[5:6], v[7:8], v[9:10]
	s_delay_alu instid0(VALU_DEP_1) | instskip(NEXT) | instid1(VALU_DEP_1)
	v_div_fixup_f64 v[5:6], v[5:6], v[0:1], v[2:3]
	v_fma_f64 v[0:1], v[2:3], v[5:6], v[0:1]
	s_delay_alu instid0(VALU_DEP_1) | instskip(NEXT) | instid1(VALU_DEP_1)
	v_div_scale_f64 v[2:3], null, v[0:1], v[0:1], 1.0
	v_rcp_f64_e32 v[7:8], v[2:3]
	s_waitcnt_depctr 0xfff
	v_fma_f64 v[9:10], -v[2:3], v[7:8], 1.0
	s_delay_alu instid0(VALU_DEP_1) | instskip(NEXT) | instid1(VALU_DEP_1)
	v_fma_f64 v[7:8], v[7:8], v[9:10], v[7:8]
	v_fma_f64 v[9:10], -v[2:3], v[7:8], 1.0
	s_delay_alu instid0(VALU_DEP_1) | instskip(SKIP_1) | instid1(VALU_DEP_1)
	v_fma_f64 v[7:8], v[7:8], v[9:10], v[7:8]
	v_div_scale_f64 v[9:10], vcc_lo, 1.0, v[0:1], 1.0
	v_mul_f64 v[11:12], v[9:10], v[7:8]
	s_delay_alu instid0(VALU_DEP_1) | instskip(NEXT) | instid1(VALU_DEP_1)
	v_fma_f64 v[2:3], -v[2:3], v[11:12], v[9:10]
	v_div_fmas_f64 v[2:3], v[2:3], v[7:8], v[11:12]
	s_delay_alu instid0(VALU_DEP_1) | instskip(NEXT) | instid1(VALU_DEP_1)
	v_div_fixup_f64 v[0:1], v[2:3], v[0:1], 1.0
	v_mul_f64 v[2:3], v[5:6], -v[0:1]
.LBB122_1273:
	s_or_b32 exec_lo, exec_lo, s2
.LBB122_1274:
	s_delay_alu instid0(SALU_CYCLE_1) | instskip(NEXT) | instid1(SALU_CYCLE_1)
	s_or_b32 exec_lo, exec_lo, s3
	s_mov_b32 s2, exec_lo
	v_cmpx_ne_u32_e64 v39, v4
	s_xor_b32 s2, exec_lo, s2
	s_cbranch_execz .LBB122_1280
; %bb.1275:
	s_mov_b32 s3, exec_lo
	v_cmpx_eq_u32_e32 54, v39
	s_cbranch_execz .LBB122_1279
; %bb.1276:
	v_cmp_ne_u32_e32 vcc_lo, 54, v4
	s_xor_b32 s6, s4, -1
	s_delay_alu instid0(SALU_CYCLE_1) | instskip(NEXT) | instid1(SALU_CYCLE_1)
	s_and_b32 s7, s6, vcc_lo
	s_and_saveexec_b32 s6, s7
	s_cbranch_execz .LBB122_1278
; %bb.1277:
	v_ashrrev_i32_e32 v5, 31, v4
	s_delay_alu instid0(VALU_DEP_1) | instskip(NEXT) | instid1(VALU_DEP_1)
	v_lshlrev_b64 v[5:6], 2, v[4:5]
	v_add_co_u32 v5, vcc_lo, v18, v5
	s_delay_alu instid0(VALU_DEP_2)
	v_add_co_ci_u32_e32 v6, vcc_lo, v19, v6, vcc_lo
	s_clause 0x1
	flat_load_b32 v7, v[5:6]
	flat_load_b32 v8, v[18:19] offset:216
	s_waitcnt vmcnt(1) lgkmcnt(1)
	flat_store_b32 v[18:19], v7 offset:216
	s_waitcnt vmcnt(0) lgkmcnt(1)
	flat_store_b32 v[5:6], v8
.LBB122_1278:
	s_or_b32 exec_lo, exec_lo, s6
	v_mov_b32_e32 v39, v4
	v_mov_b32_e32 v38, v4
.LBB122_1279:
	s_or_b32 exec_lo, exec_lo, s3
.LBB122_1280:
	s_and_not1_saveexec_b32 s2, s2
	s_cbranch_execz .LBB122_1282
; %bb.1281:
	s_clause 0x6
	scratch_load_b128 v[4:7], v150, off
	scratch_load_b128 v[8:11], v149, off
	;; [unrolled: 1-line block ×7, first 2 shown]
	v_mov_b32_e32 v39, 54
	s_waitcnt vmcnt(6)
	ds_store_2addr_b64 v20, v[4:5], v[6:7] offset0:110 offset1:111
	s_waitcnt vmcnt(5)
	ds_store_2addr_b64 v20, v[8:9], v[10:11] offset0:112 offset1:113
	;; [unrolled: 2-line block ×7, first 2 shown]
.LBB122_1282:
	s_or_b32 exec_lo, exec_lo, s2
	s_delay_alu instid0(SALU_CYCLE_1)
	s_mov_b32 s2, exec_lo
	s_waitcnt lgkmcnt(0)
	s_waitcnt_vscnt null, 0x0
	s_barrier
	buffer_gl0_inv
	v_cmpx_lt_i32_e32 54, v39
	s_cbranch_execz .LBB122_1284
; %bb.1283:
	s_clause 0x1
	scratch_load_b128 v[4:7], off, off offset:864
	scratch_load_b128 v[8:11], off, off offset:880
	s_waitcnt vmcnt(1)
	v_mul_f64 v[12:13], v[0:1], v[6:7]
	v_mul_f64 v[6:7], v[2:3], v[6:7]
	s_delay_alu instid0(VALU_DEP_2)
	v_fma_f64 v[2:3], v[2:3], v[4:5], v[12:13]
	ds_load_2addr_b64 v[12:15], v20 offset0:110 offset1:111
	ds_load_2addr_b64 v[41:44], v20 offset0:112 offset1:113
	v_fma_f64 v[0:1], v[0:1], v[4:5], -v[6:7]
	s_waitcnt lgkmcnt(1)
	v_mul_f64 v[4:5], v[14:15], v[2:3]
	v_mul_f64 v[6:7], v[12:13], v[2:3]
	scratch_store_b128 off, v[0:3], off offset:864
	s_waitcnt lgkmcnt(0)
	v_mul_f64 v[81:82], v[43:44], v[2:3]
	v_mul_f64 v[106:107], v[41:42], v[2:3]
	v_fma_f64 v[4:5], v[12:13], v[0:1], -v[4:5]
	v_fma_f64 v[6:7], v[14:15], v[0:1], v[6:7]
	s_delay_alu instid0(VALU_DEP_4) | instskip(NEXT) | instid1(VALU_DEP_4)
	v_fma_f64 v[41:42], v[41:42], v[0:1], -v[81:82]
	v_fma_f64 v[43:44], v[43:44], v[0:1], v[106:107]
	s_waitcnt vmcnt(0)
	s_delay_alu instid0(VALU_DEP_4) | instskip(NEXT) | instid1(VALU_DEP_4)
	v_add_f64 v[4:5], v[8:9], -v[4:5]
	v_add_f64 v[6:7], v[10:11], -v[6:7]
	s_clause 0x6
	scratch_load_b128 v[8:11], off, off offset:864
	scratch_load_b128 v[12:15], off, off offset:912
	;; [unrolled: 1-line block ×7, first 2 shown]
	ds_load_2addr_b64 v[85:88], v20 offset0:114 offset1:115
	ds_load_2addr_b64 v[89:92], v20 offset0:116 offset1:117
	ds_load_2addr_b64 v[93:96], v20 offset0:118 offset1:119
	ds_load_2addr_b64 v[97:100], v20 offset0:120 offset1:121
	ds_load_2addr_b64 v[126:129], v20 offset0:122 offset1:123
	s_waitcnt lgkmcnt(4)
	v_mul_f64 v[16:17], v[87:88], v[2:3]
	v_mul_f64 v[49:50], v[85:86], v[2:3]
	s_waitcnt lgkmcnt(3)
	v_mul_f64 v[57:58], v[91:92], v[2:3]
	v_mul_f64 v[65:66], v[89:90], v[2:3]
	;; [unrolled: 3-line block ×4, first 2 shown]
	v_fma_f64 v[16:17], v[85:86], v[0:1], -v[16:17]
	v_fma_f64 v[49:50], v[87:88], v[0:1], v[49:50]
	v_fma_f64 v[57:58], v[89:90], v[0:1], -v[57:58]
	v_fma_f64 v[65:66], v[91:92], v[0:1], v[65:66]
	;; [unrolled: 2-line block ×4, first 2 shown]
	s_waitcnt vmcnt(6) lgkmcnt(0)
	v_mul_f64 v[117:118], v[128:129], v[10:11]
	v_mul_f64 v[10:11], v[126:127], v[10:11]
	s_waitcnt vmcnt(5)
	v_add_f64 v[0:1], v[12:13], -v[16:17]
	v_add_f64 v[2:3], v[14:15], -v[49:50]
	s_waitcnt vmcnt(2)
	v_add_f64 v[41:42], v[61:62], -v[41:42]
	v_add_f64 v[43:44], v[63:64], -v[43:44]
	;; [unrolled: 1-line block ×4, first 2 shown]
	v_fma_f64 v[89:90], v[126:127], v[8:9], -v[117:118]
	v_fma_f64 v[91:92], v[128:129], v[8:9], v[10:11]
	v_add_f64 v[8:9], v[45:46], -v[57:58]
	v_add_f64 v[10:11], v[47:48], -v[65:66]
	s_waitcnt vmcnt(1)
	v_add_f64 v[45:46], v[69:70], -v[85:86]
	v_add_f64 v[47:48], v[71:72], -v[87:88]
	s_waitcnt vmcnt(0)
	v_add_f64 v[53:54], v[77:78], -v[89:90]
	v_add_f64 v[55:56], v[79:80], -v[91:92]
	s_clause 0x6
	scratch_store_b128 off, v[4:7], off offset:880
	scratch_store_b128 off, v[41:44], off offset:896
	;; [unrolled: 1-line block ×7, first 2 shown]
.LBB122_1284:
	s_or_b32 exec_lo, exec_lo, s2
	s_waitcnt_vscnt null, 0x0
	s_barrier
	buffer_gl0_inv
	scratch_load_b128 v[0:3], v150, off
	v_lshl_add_u32 v4, v39, 4, v20
	s_cmp_lt_i32 s5, 57
	s_waitcnt vmcnt(0)
	ds_store_2addr_b64 v4, v[0:1], v[2:3] offset1:1
	s_waitcnt lgkmcnt(0)
	s_barrier
	buffer_gl0_inv
	ds_load_2addr_b64 v[0:3], v20 offset0:110 offset1:111
	v_mov_b32_e32 v4, 55
	s_cbranch_scc1 .LBB122_1287
; %bb.1285:
	v_add3_u32 v5, v37, 0, 0x380
	v_mov_b32_e32 v4, 55
	s_mov_b32 s6, 56
	s_set_inst_prefetch_distance 0x1
	.p2align	6
.LBB122_1286:                           ; =>This Inner Loop Header: Depth=1
	ds_load_2addr_b64 v[6:9], v5 offset1:1
	s_waitcnt lgkmcnt(1)
	v_cmp_gt_f64_e32 vcc_lo, 0, v[0:1]
	v_xor_b32_e32 v10, 0x80000000, v1
	v_cmp_gt_f64_e64 s2, 0, v[2:3]
	v_xor_b32_e32 v12, 0x80000000, v3
	v_add_nc_u32_e32 v5, 16, v5
	s_waitcnt lgkmcnt(0)
	v_cmp_gt_f64_e64 s3, 0, v[6:7]
	v_mov_b32_e32 v14, v6
	v_dual_mov_b32 v16, v8 :: v_dual_cndmask_b32 v11, v1, v10
	v_xor_b32_e32 v10, 0x80000000, v7
	v_cndmask_b32_e64 v13, v3, v12, s2
	v_xor_b32_e32 v12, 0x80000000, v9
	s_delay_alu instid0(VALU_DEP_3) | instskip(SKIP_2) | instid1(VALU_DEP_2)
	v_cndmask_b32_e64 v15, v7, v10, s3
	v_cmp_gt_f64_e64 s3, 0, v[8:9]
	v_cndmask_b32_e32 v10, v0, v0, vcc_lo
	v_cndmask_b32_e64 v17, v9, v12, s3
	v_cndmask_b32_e64 v12, v2, v2, s2
	s_delay_alu instid0(VALU_DEP_2) | instskip(NEXT) | instid1(VALU_DEP_2)
	v_add_f64 v[14:15], v[14:15], v[16:17]
	v_add_f64 v[10:11], v[10:11], v[12:13]
	s_delay_alu instid0(VALU_DEP_1)
	v_cmp_lt_f64_e32 vcc_lo, v[10:11], v[14:15]
	v_cndmask_b32_e32 v3, v3, v9, vcc_lo
	v_dual_cndmask_b32 v1, v1, v7 :: v_dual_cndmask_b32 v0, v0, v6
	v_cndmask_b32_e32 v2, v2, v8, vcc_lo
	v_cndmask_b32_e64 v4, v4, s6, vcc_lo
	s_add_i32 s6, s6, 1
	s_delay_alu instid0(SALU_CYCLE_1)
	s_cmp_lg_u32 s5, s6
	s_cbranch_scc1 .LBB122_1286
.LBB122_1287:
	s_set_inst_prefetch_distance 0x2
	s_waitcnt lgkmcnt(0)
	v_cmp_eq_f64_e32 vcc_lo, 0, v[0:1]
	v_cmp_eq_f64_e64 s2, 0, v[2:3]
	s_delay_alu instid0(VALU_DEP_1) | instskip(NEXT) | instid1(SALU_CYCLE_1)
	s_and_b32 s2, vcc_lo, s2
	s_and_saveexec_b32 s3, s2
	s_delay_alu instid0(SALU_CYCLE_1)
	s_xor_b32 s2, exec_lo, s3
; %bb.1288:
	v_cmp_ne_u32_e32 vcc_lo, 0, v35
	v_cndmask_b32_e32 v35, 56, v35, vcc_lo
; %bb.1289:
	s_and_not1_saveexec_b32 s3, s2
	s_cbranch_execz .LBB122_1295
; %bb.1290:
	v_cmp_gt_f64_e32 vcc_lo, 0, v[0:1]
	v_cmp_gt_f64_e64 s2, 0, v[2:3]
	v_xor_b32_e32 v5, 0x80000000, v1
	v_xor_b32_e32 v7, 0x80000000, v3
	s_delay_alu instid0(VALU_DEP_2) | instskip(NEXT) | instid1(VALU_DEP_2)
	v_dual_cndmask_b32 v6, v1, v5 :: v_dual_cndmask_b32 v5, v0, v0
	v_cndmask_b32_e64 v8, v3, v7, s2
	v_cndmask_b32_e64 v7, v2, v2, s2
	s_mov_b32 s2, exec_lo
	s_delay_alu instid0(VALU_DEP_1)
	v_cmpx_ngt_f64_e32 v[5:6], v[7:8]
	s_xor_b32 s2, exec_lo, s2
	s_cbranch_execz .LBB122_1292
; %bb.1291:
	v_div_scale_f64 v[5:6], null, v[2:3], v[2:3], v[0:1]
	v_div_scale_f64 v[11:12], vcc_lo, v[0:1], v[2:3], v[0:1]
	s_delay_alu instid0(VALU_DEP_2) | instskip(SKIP_2) | instid1(VALU_DEP_1)
	v_rcp_f64_e32 v[7:8], v[5:6]
	s_waitcnt_depctr 0xfff
	v_fma_f64 v[9:10], -v[5:6], v[7:8], 1.0
	v_fma_f64 v[7:8], v[7:8], v[9:10], v[7:8]
	s_delay_alu instid0(VALU_DEP_1) | instskip(NEXT) | instid1(VALU_DEP_1)
	v_fma_f64 v[9:10], -v[5:6], v[7:8], 1.0
	v_fma_f64 v[7:8], v[7:8], v[9:10], v[7:8]
	s_delay_alu instid0(VALU_DEP_1) | instskip(NEXT) | instid1(VALU_DEP_1)
	v_mul_f64 v[9:10], v[11:12], v[7:8]
	v_fma_f64 v[5:6], -v[5:6], v[9:10], v[11:12]
	s_delay_alu instid0(VALU_DEP_1) | instskip(NEXT) | instid1(VALU_DEP_1)
	v_div_fmas_f64 v[5:6], v[5:6], v[7:8], v[9:10]
	v_div_fixup_f64 v[5:6], v[5:6], v[2:3], v[0:1]
	s_delay_alu instid0(VALU_DEP_1) | instskip(NEXT) | instid1(VALU_DEP_1)
	v_fma_f64 v[0:1], v[0:1], v[5:6], v[2:3]
	v_div_scale_f64 v[2:3], null, v[0:1], v[0:1], 1.0
	s_delay_alu instid0(VALU_DEP_1) | instskip(SKIP_2) | instid1(VALU_DEP_1)
	v_rcp_f64_e32 v[7:8], v[2:3]
	s_waitcnt_depctr 0xfff
	v_fma_f64 v[9:10], -v[2:3], v[7:8], 1.0
	v_fma_f64 v[7:8], v[7:8], v[9:10], v[7:8]
	s_delay_alu instid0(VALU_DEP_1) | instskip(NEXT) | instid1(VALU_DEP_1)
	v_fma_f64 v[9:10], -v[2:3], v[7:8], 1.0
	v_fma_f64 v[7:8], v[7:8], v[9:10], v[7:8]
	v_div_scale_f64 v[9:10], vcc_lo, 1.0, v[0:1], 1.0
	s_delay_alu instid0(VALU_DEP_1) | instskip(NEXT) | instid1(VALU_DEP_1)
	v_mul_f64 v[11:12], v[9:10], v[7:8]
	v_fma_f64 v[2:3], -v[2:3], v[11:12], v[9:10]
	s_delay_alu instid0(VALU_DEP_1) | instskip(NEXT) | instid1(VALU_DEP_1)
	v_div_fmas_f64 v[2:3], v[2:3], v[7:8], v[11:12]
	v_div_fixup_f64 v[2:3], v[2:3], v[0:1], 1.0
	s_delay_alu instid0(VALU_DEP_1)
	v_mul_f64 v[0:1], v[5:6], v[2:3]
	v_xor_b32_e32 v3, 0x80000000, v3
.LBB122_1292:
	s_and_not1_saveexec_b32 s2, s2
	s_cbranch_execz .LBB122_1294
; %bb.1293:
	s_delay_alu instid0(VALU_DEP_1) | instskip(SKIP_1) | instid1(VALU_DEP_2)
	v_div_scale_f64 v[5:6], null, v[0:1], v[0:1], v[2:3]
	v_div_scale_f64 v[11:12], vcc_lo, v[2:3], v[0:1], v[2:3]
	v_rcp_f64_e32 v[7:8], v[5:6]
	s_waitcnt_depctr 0xfff
	v_fma_f64 v[9:10], -v[5:6], v[7:8], 1.0
	s_delay_alu instid0(VALU_DEP_1) | instskip(NEXT) | instid1(VALU_DEP_1)
	v_fma_f64 v[7:8], v[7:8], v[9:10], v[7:8]
	v_fma_f64 v[9:10], -v[5:6], v[7:8], 1.0
	s_delay_alu instid0(VALU_DEP_1) | instskip(NEXT) | instid1(VALU_DEP_1)
	v_fma_f64 v[7:8], v[7:8], v[9:10], v[7:8]
	v_mul_f64 v[9:10], v[11:12], v[7:8]
	s_delay_alu instid0(VALU_DEP_1) | instskip(NEXT) | instid1(VALU_DEP_1)
	v_fma_f64 v[5:6], -v[5:6], v[9:10], v[11:12]
	v_div_fmas_f64 v[5:6], v[5:6], v[7:8], v[9:10]
	s_delay_alu instid0(VALU_DEP_1) | instskip(NEXT) | instid1(VALU_DEP_1)
	v_div_fixup_f64 v[5:6], v[5:6], v[0:1], v[2:3]
	v_fma_f64 v[0:1], v[2:3], v[5:6], v[0:1]
	s_delay_alu instid0(VALU_DEP_1) | instskip(NEXT) | instid1(VALU_DEP_1)
	v_div_scale_f64 v[2:3], null, v[0:1], v[0:1], 1.0
	v_rcp_f64_e32 v[7:8], v[2:3]
	s_waitcnt_depctr 0xfff
	v_fma_f64 v[9:10], -v[2:3], v[7:8], 1.0
	s_delay_alu instid0(VALU_DEP_1) | instskip(NEXT) | instid1(VALU_DEP_1)
	v_fma_f64 v[7:8], v[7:8], v[9:10], v[7:8]
	v_fma_f64 v[9:10], -v[2:3], v[7:8], 1.0
	s_delay_alu instid0(VALU_DEP_1) | instskip(SKIP_1) | instid1(VALU_DEP_1)
	v_fma_f64 v[7:8], v[7:8], v[9:10], v[7:8]
	v_div_scale_f64 v[9:10], vcc_lo, 1.0, v[0:1], 1.0
	v_mul_f64 v[11:12], v[9:10], v[7:8]
	s_delay_alu instid0(VALU_DEP_1) | instskip(NEXT) | instid1(VALU_DEP_1)
	v_fma_f64 v[2:3], -v[2:3], v[11:12], v[9:10]
	v_div_fmas_f64 v[2:3], v[2:3], v[7:8], v[11:12]
	s_delay_alu instid0(VALU_DEP_1) | instskip(NEXT) | instid1(VALU_DEP_1)
	v_div_fixup_f64 v[0:1], v[2:3], v[0:1], 1.0
	v_mul_f64 v[2:3], v[5:6], -v[0:1]
.LBB122_1294:
	s_or_b32 exec_lo, exec_lo, s2
.LBB122_1295:
	s_delay_alu instid0(SALU_CYCLE_1) | instskip(NEXT) | instid1(SALU_CYCLE_1)
	s_or_b32 exec_lo, exec_lo, s3
	s_mov_b32 s2, exec_lo
	v_cmpx_ne_u32_e64 v39, v4
	s_xor_b32 s2, exec_lo, s2
	s_cbranch_execz .LBB122_1301
; %bb.1296:
	s_mov_b32 s3, exec_lo
	v_cmpx_eq_u32_e32 55, v39
	s_cbranch_execz .LBB122_1300
; %bb.1297:
	v_cmp_ne_u32_e32 vcc_lo, 55, v4
	s_xor_b32 s6, s4, -1
	s_delay_alu instid0(SALU_CYCLE_1) | instskip(NEXT) | instid1(SALU_CYCLE_1)
	s_and_b32 s7, s6, vcc_lo
	s_and_saveexec_b32 s6, s7
	s_cbranch_execz .LBB122_1299
; %bb.1298:
	v_ashrrev_i32_e32 v5, 31, v4
	s_delay_alu instid0(VALU_DEP_1) | instskip(NEXT) | instid1(VALU_DEP_1)
	v_lshlrev_b64 v[5:6], 2, v[4:5]
	v_add_co_u32 v5, vcc_lo, v18, v5
	s_delay_alu instid0(VALU_DEP_2)
	v_add_co_ci_u32_e32 v6, vcc_lo, v19, v6, vcc_lo
	s_clause 0x1
	flat_load_b32 v7, v[5:6]
	flat_load_b32 v8, v[18:19] offset:220
	s_waitcnt vmcnt(1) lgkmcnt(1)
	flat_store_b32 v[18:19], v7 offset:220
	s_waitcnt vmcnt(0) lgkmcnt(1)
	flat_store_b32 v[5:6], v8
.LBB122_1299:
	s_or_b32 exec_lo, exec_lo, s6
	v_mov_b32_e32 v39, v4
	v_mov_b32_e32 v38, v4
.LBB122_1300:
	s_or_b32 exec_lo, exec_lo, s3
.LBB122_1301:
	s_and_not1_saveexec_b32 s2, s2
	s_cbranch_execz .LBB122_1303
; %bb.1302:
	s_clause 0x5
	scratch_load_b128 v[4:7], v149, off
	scratch_load_b128 v[8:11], v148, off
	;; [unrolled: 1-line block ×6, first 2 shown]
	v_mov_b32_e32 v39, 55
	s_waitcnt vmcnt(5)
	ds_store_2addr_b64 v20, v[4:5], v[6:7] offset0:112 offset1:113
	s_waitcnt vmcnt(4)
	ds_store_2addr_b64 v20, v[8:9], v[10:11] offset0:114 offset1:115
	;; [unrolled: 2-line block ×6, first 2 shown]
.LBB122_1303:
	s_or_b32 exec_lo, exec_lo, s2
	s_delay_alu instid0(SALU_CYCLE_1)
	s_mov_b32 s2, exec_lo
	s_waitcnt lgkmcnt(0)
	s_waitcnt_vscnt null, 0x0
	s_barrier
	buffer_gl0_inv
	v_cmpx_lt_i32_e32 55, v39
	s_cbranch_execz .LBB122_1305
; %bb.1304:
	s_clause 0x6
	scratch_load_b128 v[4:7], off, off offset:880
	scratch_load_b128 v[8:11], off, off offset:896
	;; [unrolled: 1-line block ×7, first 2 shown]
	ds_load_2addr_b64 v[69:72], v20 offset0:112 offset1:113
	ds_load_2addr_b64 v[77:80], v20 offset0:114 offset1:115
	ds_load_2addr_b64 v[85:88], v20 offset0:116 offset1:117
	ds_load_2addr_b64 v[89:92], v20 offset0:118 offset1:119
	ds_load_2addr_b64 v[93:96], v20 offset0:120 offset1:121
	ds_load_2addr_b64 v[97:100], v20 offset0:122 offset1:123
	s_waitcnt vmcnt(6)
	v_mul_f64 v[16:17], v[0:1], v[6:7]
	v_mul_f64 v[6:7], v[2:3], v[6:7]
	s_delay_alu instid0(VALU_DEP_2) | instskip(NEXT) | instid1(VALU_DEP_2)
	v_fma_f64 v[2:3], v[2:3], v[4:5], v[16:17]
	v_fma_f64 v[0:1], v[0:1], v[4:5], -v[6:7]
	s_waitcnt lgkmcnt(5)
	s_delay_alu instid0(VALU_DEP_2)
	v_mul_f64 v[4:5], v[71:72], v[2:3]
	v_mul_f64 v[6:7], v[69:70], v[2:3]
	s_waitcnt lgkmcnt(4)
	v_mul_f64 v[16:17], v[79:80], v[2:3]
	v_mul_f64 v[49:50], v[77:78], v[2:3]
	s_waitcnt lgkmcnt(3)
	;; [unrolled: 3-line block ×5, first 2 shown]
	v_mul_f64 v[113:114], v[99:100], v[2:3]
	v_mul_f64 v[117:118], v[97:98], v[2:3]
	v_fma_f64 v[4:5], v[69:70], v[0:1], -v[4:5]
	v_fma_f64 v[6:7], v[71:72], v[0:1], v[6:7]
	v_fma_f64 v[16:17], v[77:78], v[0:1], -v[16:17]
	v_fma_f64 v[49:50], v[79:80], v[0:1], v[49:50]
	;; [unrolled: 2-line block ×6, first 2 shown]
	s_waitcnt vmcnt(5)
	v_add_f64 v[4:5], v[8:9], -v[4:5]
	v_add_f64 v[6:7], v[10:11], -v[6:7]
	s_waitcnt vmcnt(4)
	v_add_f64 v[8:9], v[12:13], -v[16:17]
	v_add_f64 v[10:11], v[14:15], -v[49:50]
	;; [unrolled: 3-line block ×6, first 2 shown]
	s_clause 0x6
	scratch_store_b128 off, v[0:3], off offset:880
	scratch_store_b128 off, v[4:7], off offset:896
	;; [unrolled: 1-line block ×7, first 2 shown]
.LBB122_1305:
	s_or_b32 exec_lo, exec_lo, s2
	s_waitcnt_vscnt null, 0x0
	s_barrier
	buffer_gl0_inv
	scratch_load_b128 v[0:3], v149, off
	v_lshl_add_u32 v4, v39, 4, v20
	s_cmp_lt_i32 s5, 58
	s_waitcnt vmcnt(0)
	ds_store_2addr_b64 v4, v[0:1], v[2:3] offset1:1
	s_waitcnt lgkmcnt(0)
	s_barrier
	buffer_gl0_inv
	ds_load_2addr_b64 v[0:3], v20 offset0:112 offset1:113
	v_mov_b32_e32 v4, 56
	s_cbranch_scc1 .LBB122_1308
; %bb.1306:
	v_add3_u32 v5, v37, 0, 0x390
	v_mov_b32_e32 v4, 56
	s_mov_b32 s6, 57
	s_set_inst_prefetch_distance 0x1
	.p2align	6
.LBB122_1307:                           ; =>This Inner Loop Header: Depth=1
	ds_load_2addr_b64 v[6:9], v5 offset1:1
	s_waitcnt lgkmcnt(1)
	v_cmp_gt_f64_e32 vcc_lo, 0, v[0:1]
	v_xor_b32_e32 v10, 0x80000000, v1
	v_cmp_gt_f64_e64 s2, 0, v[2:3]
	v_xor_b32_e32 v12, 0x80000000, v3
	v_add_nc_u32_e32 v5, 16, v5
	s_waitcnt lgkmcnt(0)
	v_cmp_gt_f64_e64 s3, 0, v[6:7]
	v_mov_b32_e32 v14, v6
	v_dual_mov_b32 v16, v8 :: v_dual_cndmask_b32 v11, v1, v10
	v_xor_b32_e32 v10, 0x80000000, v7
	v_cndmask_b32_e64 v13, v3, v12, s2
	v_xor_b32_e32 v12, 0x80000000, v9
	s_delay_alu instid0(VALU_DEP_3) | instskip(SKIP_2) | instid1(VALU_DEP_2)
	v_cndmask_b32_e64 v15, v7, v10, s3
	v_cmp_gt_f64_e64 s3, 0, v[8:9]
	v_cndmask_b32_e32 v10, v0, v0, vcc_lo
	v_cndmask_b32_e64 v17, v9, v12, s3
	v_cndmask_b32_e64 v12, v2, v2, s2
	s_delay_alu instid0(VALU_DEP_2) | instskip(NEXT) | instid1(VALU_DEP_2)
	v_add_f64 v[14:15], v[14:15], v[16:17]
	v_add_f64 v[10:11], v[10:11], v[12:13]
	s_delay_alu instid0(VALU_DEP_1)
	v_cmp_lt_f64_e32 vcc_lo, v[10:11], v[14:15]
	v_cndmask_b32_e32 v3, v3, v9, vcc_lo
	v_dual_cndmask_b32 v1, v1, v7 :: v_dual_cndmask_b32 v0, v0, v6
	v_cndmask_b32_e32 v2, v2, v8, vcc_lo
	v_cndmask_b32_e64 v4, v4, s6, vcc_lo
	s_add_i32 s6, s6, 1
	s_delay_alu instid0(SALU_CYCLE_1)
	s_cmp_lg_u32 s5, s6
	s_cbranch_scc1 .LBB122_1307
.LBB122_1308:
	s_set_inst_prefetch_distance 0x2
	s_waitcnt lgkmcnt(0)
	v_cmp_eq_f64_e32 vcc_lo, 0, v[0:1]
	v_cmp_eq_f64_e64 s2, 0, v[2:3]
	s_delay_alu instid0(VALU_DEP_1) | instskip(NEXT) | instid1(SALU_CYCLE_1)
	s_and_b32 s2, vcc_lo, s2
	s_and_saveexec_b32 s3, s2
	s_delay_alu instid0(SALU_CYCLE_1)
	s_xor_b32 s2, exec_lo, s3
; %bb.1309:
	v_cmp_ne_u32_e32 vcc_lo, 0, v35
	v_cndmask_b32_e32 v35, 57, v35, vcc_lo
; %bb.1310:
	s_and_not1_saveexec_b32 s3, s2
	s_cbranch_execz .LBB122_1316
; %bb.1311:
	v_cmp_gt_f64_e32 vcc_lo, 0, v[0:1]
	v_cmp_gt_f64_e64 s2, 0, v[2:3]
	v_xor_b32_e32 v5, 0x80000000, v1
	v_xor_b32_e32 v7, 0x80000000, v3
	s_delay_alu instid0(VALU_DEP_2) | instskip(NEXT) | instid1(VALU_DEP_2)
	v_dual_cndmask_b32 v6, v1, v5 :: v_dual_cndmask_b32 v5, v0, v0
	v_cndmask_b32_e64 v8, v3, v7, s2
	v_cndmask_b32_e64 v7, v2, v2, s2
	s_mov_b32 s2, exec_lo
	s_delay_alu instid0(VALU_DEP_1)
	v_cmpx_ngt_f64_e32 v[5:6], v[7:8]
	s_xor_b32 s2, exec_lo, s2
	s_cbranch_execz .LBB122_1313
; %bb.1312:
	v_div_scale_f64 v[5:6], null, v[2:3], v[2:3], v[0:1]
	v_div_scale_f64 v[11:12], vcc_lo, v[0:1], v[2:3], v[0:1]
	s_delay_alu instid0(VALU_DEP_2) | instskip(SKIP_2) | instid1(VALU_DEP_1)
	v_rcp_f64_e32 v[7:8], v[5:6]
	s_waitcnt_depctr 0xfff
	v_fma_f64 v[9:10], -v[5:6], v[7:8], 1.0
	v_fma_f64 v[7:8], v[7:8], v[9:10], v[7:8]
	s_delay_alu instid0(VALU_DEP_1) | instskip(NEXT) | instid1(VALU_DEP_1)
	v_fma_f64 v[9:10], -v[5:6], v[7:8], 1.0
	v_fma_f64 v[7:8], v[7:8], v[9:10], v[7:8]
	s_delay_alu instid0(VALU_DEP_1) | instskip(NEXT) | instid1(VALU_DEP_1)
	v_mul_f64 v[9:10], v[11:12], v[7:8]
	v_fma_f64 v[5:6], -v[5:6], v[9:10], v[11:12]
	s_delay_alu instid0(VALU_DEP_1) | instskip(NEXT) | instid1(VALU_DEP_1)
	v_div_fmas_f64 v[5:6], v[5:6], v[7:8], v[9:10]
	v_div_fixup_f64 v[5:6], v[5:6], v[2:3], v[0:1]
	s_delay_alu instid0(VALU_DEP_1) | instskip(NEXT) | instid1(VALU_DEP_1)
	v_fma_f64 v[0:1], v[0:1], v[5:6], v[2:3]
	v_div_scale_f64 v[2:3], null, v[0:1], v[0:1], 1.0
	s_delay_alu instid0(VALU_DEP_1) | instskip(SKIP_2) | instid1(VALU_DEP_1)
	v_rcp_f64_e32 v[7:8], v[2:3]
	s_waitcnt_depctr 0xfff
	v_fma_f64 v[9:10], -v[2:3], v[7:8], 1.0
	v_fma_f64 v[7:8], v[7:8], v[9:10], v[7:8]
	s_delay_alu instid0(VALU_DEP_1) | instskip(NEXT) | instid1(VALU_DEP_1)
	v_fma_f64 v[9:10], -v[2:3], v[7:8], 1.0
	v_fma_f64 v[7:8], v[7:8], v[9:10], v[7:8]
	v_div_scale_f64 v[9:10], vcc_lo, 1.0, v[0:1], 1.0
	s_delay_alu instid0(VALU_DEP_1) | instskip(NEXT) | instid1(VALU_DEP_1)
	v_mul_f64 v[11:12], v[9:10], v[7:8]
	v_fma_f64 v[2:3], -v[2:3], v[11:12], v[9:10]
	s_delay_alu instid0(VALU_DEP_1) | instskip(NEXT) | instid1(VALU_DEP_1)
	v_div_fmas_f64 v[2:3], v[2:3], v[7:8], v[11:12]
	v_div_fixup_f64 v[2:3], v[2:3], v[0:1], 1.0
	s_delay_alu instid0(VALU_DEP_1)
	v_mul_f64 v[0:1], v[5:6], v[2:3]
	v_xor_b32_e32 v3, 0x80000000, v3
.LBB122_1313:
	s_and_not1_saveexec_b32 s2, s2
	s_cbranch_execz .LBB122_1315
; %bb.1314:
	s_delay_alu instid0(VALU_DEP_1) | instskip(SKIP_1) | instid1(VALU_DEP_2)
	v_div_scale_f64 v[5:6], null, v[0:1], v[0:1], v[2:3]
	v_div_scale_f64 v[11:12], vcc_lo, v[2:3], v[0:1], v[2:3]
	v_rcp_f64_e32 v[7:8], v[5:6]
	s_waitcnt_depctr 0xfff
	v_fma_f64 v[9:10], -v[5:6], v[7:8], 1.0
	s_delay_alu instid0(VALU_DEP_1) | instskip(NEXT) | instid1(VALU_DEP_1)
	v_fma_f64 v[7:8], v[7:8], v[9:10], v[7:8]
	v_fma_f64 v[9:10], -v[5:6], v[7:8], 1.0
	s_delay_alu instid0(VALU_DEP_1) | instskip(NEXT) | instid1(VALU_DEP_1)
	v_fma_f64 v[7:8], v[7:8], v[9:10], v[7:8]
	v_mul_f64 v[9:10], v[11:12], v[7:8]
	s_delay_alu instid0(VALU_DEP_1) | instskip(NEXT) | instid1(VALU_DEP_1)
	v_fma_f64 v[5:6], -v[5:6], v[9:10], v[11:12]
	v_div_fmas_f64 v[5:6], v[5:6], v[7:8], v[9:10]
	s_delay_alu instid0(VALU_DEP_1) | instskip(NEXT) | instid1(VALU_DEP_1)
	v_div_fixup_f64 v[5:6], v[5:6], v[0:1], v[2:3]
	v_fma_f64 v[0:1], v[2:3], v[5:6], v[0:1]
	s_delay_alu instid0(VALU_DEP_1) | instskip(NEXT) | instid1(VALU_DEP_1)
	v_div_scale_f64 v[2:3], null, v[0:1], v[0:1], 1.0
	v_rcp_f64_e32 v[7:8], v[2:3]
	s_waitcnt_depctr 0xfff
	v_fma_f64 v[9:10], -v[2:3], v[7:8], 1.0
	s_delay_alu instid0(VALU_DEP_1) | instskip(NEXT) | instid1(VALU_DEP_1)
	v_fma_f64 v[7:8], v[7:8], v[9:10], v[7:8]
	v_fma_f64 v[9:10], -v[2:3], v[7:8], 1.0
	s_delay_alu instid0(VALU_DEP_1) | instskip(SKIP_1) | instid1(VALU_DEP_1)
	v_fma_f64 v[7:8], v[7:8], v[9:10], v[7:8]
	v_div_scale_f64 v[9:10], vcc_lo, 1.0, v[0:1], 1.0
	v_mul_f64 v[11:12], v[9:10], v[7:8]
	s_delay_alu instid0(VALU_DEP_1) | instskip(NEXT) | instid1(VALU_DEP_1)
	v_fma_f64 v[2:3], -v[2:3], v[11:12], v[9:10]
	v_div_fmas_f64 v[2:3], v[2:3], v[7:8], v[11:12]
	s_delay_alu instid0(VALU_DEP_1) | instskip(NEXT) | instid1(VALU_DEP_1)
	v_div_fixup_f64 v[0:1], v[2:3], v[0:1], 1.0
	v_mul_f64 v[2:3], v[5:6], -v[0:1]
.LBB122_1315:
	s_or_b32 exec_lo, exec_lo, s2
.LBB122_1316:
	s_delay_alu instid0(SALU_CYCLE_1) | instskip(NEXT) | instid1(SALU_CYCLE_1)
	s_or_b32 exec_lo, exec_lo, s3
	s_mov_b32 s2, exec_lo
	v_cmpx_ne_u32_e64 v39, v4
	s_xor_b32 s2, exec_lo, s2
	s_cbranch_execz .LBB122_1322
; %bb.1317:
	s_mov_b32 s3, exec_lo
	v_cmpx_eq_u32_e32 56, v39
	s_cbranch_execz .LBB122_1321
; %bb.1318:
	v_cmp_ne_u32_e32 vcc_lo, 56, v4
	s_xor_b32 s6, s4, -1
	s_delay_alu instid0(SALU_CYCLE_1) | instskip(NEXT) | instid1(SALU_CYCLE_1)
	s_and_b32 s7, s6, vcc_lo
	s_and_saveexec_b32 s6, s7
	s_cbranch_execz .LBB122_1320
; %bb.1319:
	v_ashrrev_i32_e32 v5, 31, v4
	s_delay_alu instid0(VALU_DEP_1) | instskip(NEXT) | instid1(VALU_DEP_1)
	v_lshlrev_b64 v[5:6], 2, v[4:5]
	v_add_co_u32 v5, vcc_lo, v18, v5
	s_delay_alu instid0(VALU_DEP_2)
	v_add_co_ci_u32_e32 v6, vcc_lo, v19, v6, vcc_lo
	s_clause 0x1
	flat_load_b32 v7, v[5:6]
	flat_load_b32 v8, v[18:19] offset:224
	s_waitcnt vmcnt(1) lgkmcnt(1)
	flat_store_b32 v[18:19], v7 offset:224
	s_waitcnt vmcnt(0) lgkmcnt(1)
	flat_store_b32 v[5:6], v8
.LBB122_1320:
	s_or_b32 exec_lo, exec_lo, s6
	v_mov_b32_e32 v39, v4
	v_mov_b32_e32 v38, v4
.LBB122_1321:
	s_or_b32 exec_lo, exec_lo, s3
.LBB122_1322:
	s_and_not1_saveexec_b32 s2, s2
	s_cbranch_execz .LBB122_1324
; %bb.1323:
	s_clause 0x4
	scratch_load_b128 v[4:7], v148, off
	scratch_load_b128 v[8:11], v147, off
	;; [unrolled: 1-line block ×5, first 2 shown]
	v_mov_b32_e32 v39, 56
	s_waitcnt vmcnt(4)
	ds_store_2addr_b64 v20, v[4:5], v[6:7] offset0:114 offset1:115
	s_waitcnt vmcnt(3)
	ds_store_2addr_b64 v20, v[8:9], v[10:11] offset0:116 offset1:117
	;; [unrolled: 2-line block ×5, first 2 shown]
.LBB122_1324:
	s_or_b32 exec_lo, exec_lo, s2
	s_delay_alu instid0(SALU_CYCLE_1)
	s_mov_b32 s2, exec_lo
	s_waitcnt lgkmcnt(0)
	s_waitcnt_vscnt null, 0x0
	s_barrier
	buffer_gl0_inv
	v_cmpx_lt_i32_e32 56, v39
	s_cbranch_execz .LBB122_1326
; %bb.1325:
	s_clause 0x5
	scratch_load_b128 v[4:7], off, off offset:896
	scratch_load_b128 v[8:11], off, off offset:912
	;; [unrolled: 1-line block ×6, first 2 shown]
	ds_load_2addr_b64 v[61:64], v20 offset0:114 offset1:115
	ds_load_2addr_b64 v[69:72], v20 offset0:116 offset1:117
	;; [unrolled: 1-line block ×5, first 2 shown]
	s_waitcnt vmcnt(5)
	v_mul_f64 v[16:17], v[0:1], v[6:7]
	v_mul_f64 v[6:7], v[2:3], v[6:7]
	s_delay_alu instid0(VALU_DEP_2) | instskip(NEXT) | instid1(VALU_DEP_2)
	v_fma_f64 v[2:3], v[2:3], v[4:5], v[16:17]
	v_fma_f64 v[0:1], v[0:1], v[4:5], -v[6:7]
	s_waitcnt lgkmcnt(4)
	s_delay_alu instid0(VALU_DEP_2)
	v_mul_f64 v[4:5], v[63:64], v[2:3]
	v_mul_f64 v[6:7], v[61:62], v[2:3]
	s_waitcnt lgkmcnt(3)
	v_mul_f64 v[16:17], v[71:72], v[2:3]
	v_mul_f64 v[49:50], v[69:70], v[2:3]
	s_waitcnt lgkmcnt(2)
	;; [unrolled: 3-line block ×4, first 2 shown]
	v_mul_f64 v[93:94], v[91:92], v[2:3]
	v_mul_f64 v[95:96], v[89:90], v[2:3]
	v_fma_f64 v[4:5], v[61:62], v[0:1], -v[4:5]
	v_fma_f64 v[6:7], v[63:64], v[0:1], v[6:7]
	v_fma_f64 v[16:17], v[69:70], v[0:1], -v[16:17]
	v_fma_f64 v[49:50], v[71:72], v[0:1], v[49:50]
	v_fma_f64 v[57:58], v[77:78], v[0:1], -v[57:58]
	v_fma_f64 v[61:62], v[79:80], v[0:1], v[65:66]
	v_fma_f64 v[63:64], v[85:86], v[0:1], -v[73:74]
	v_fma_f64 v[65:66], v[87:88], v[0:1], v[81:82]
	v_fma_f64 v[69:70], v[89:90], v[0:1], -v[93:94]
	v_fma_f64 v[71:72], v[91:92], v[0:1], v[95:96]
	s_waitcnt vmcnt(4)
	v_add_f64 v[4:5], v[8:9], -v[4:5]
	v_add_f64 v[6:7], v[10:11], -v[6:7]
	s_waitcnt vmcnt(3)
	v_add_f64 v[8:9], v[12:13], -v[16:17]
	v_add_f64 v[10:11], v[14:15], -v[49:50]
	;; [unrolled: 3-line block ×5, first 2 shown]
	s_clause 0x5
	scratch_store_b128 off, v[0:3], off offset:896
	scratch_store_b128 off, v[4:7], off offset:912
	;; [unrolled: 1-line block ×6, first 2 shown]
.LBB122_1326:
	s_or_b32 exec_lo, exec_lo, s2
	s_waitcnt_vscnt null, 0x0
	s_barrier
	buffer_gl0_inv
	scratch_load_b128 v[0:3], v148, off
	v_lshl_add_u32 v4, v39, 4, v20
	s_cmp_lt_i32 s5, 59
	s_waitcnt vmcnt(0)
	ds_store_2addr_b64 v4, v[0:1], v[2:3] offset1:1
	s_waitcnt lgkmcnt(0)
	s_barrier
	buffer_gl0_inv
	ds_load_2addr_b64 v[0:3], v20 offset0:114 offset1:115
	v_mov_b32_e32 v4, 57
	s_cbranch_scc1 .LBB122_1329
; %bb.1327:
	v_add3_u32 v5, v37, 0, 0x3a0
	v_mov_b32_e32 v4, 57
	s_mov_b32 s6, 58
	s_set_inst_prefetch_distance 0x1
	.p2align	6
.LBB122_1328:                           ; =>This Inner Loop Header: Depth=1
	ds_load_2addr_b64 v[6:9], v5 offset1:1
	s_waitcnt lgkmcnt(1)
	v_cmp_gt_f64_e32 vcc_lo, 0, v[0:1]
	v_xor_b32_e32 v10, 0x80000000, v1
	v_cmp_gt_f64_e64 s2, 0, v[2:3]
	v_xor_b32_e32 v12, 0x80000000, v3
	v_add_nc_u32_e32 v5, 16, v5
	s_waitcnt lgkmcnt(0)
	v_cmp_gt_f64_e64 s3, 0, v[6:7]
	v_mov_b32_e32 v14, v6
	v_dual_mov_b32 v16, v8 :: v_dual_cndmask_b32 v11, v1, v10
	v_xor_b32_e32 v10, 0x80000000, v7
	v_cndmask_b32_e64 v13, v3, v12, s2
	v_xor_b32_e32 v12, 0x80000000, v9
	s_delay_alu instid0(VALU_DEP_3) | instskip(SKIP_2) | instid1(VALU_DEP_2)
	v_cndmask_b32_e64 v15, v7, v10, s3
	v_cmp_gt_f64_e64 s3, 0, v[8:9]
	v_cndmask_b32_e32 v10, v0, v0, vcc_lo
	v_cndmask_b32_e64 v17, v9, v12, s3
	v_cndmask_b32_e64 v12, v2, v2, s2
	s_delay_alu instid0(VALU_DEP_2) | instskip(NEXT) | instid1(VALU_DEP_2)
	v_add_f64 v[14:15], v[14:15], v[16:17]
	v_add_f64 v[10:11], v[10:11], v[12:13]
	s_delay_alu instid0(VALU_DEP_1)
	v_cmp_lt_f64_e32 vcc_lo, v[10:11], v[14:15]
	v_cndmask_b32_e32 v3, v3, v9, vcc_lo
	v_dual_cndmask_b32 v1, v1, v7 :: v_dual_cndmask_b32 v0, v0, v6
	v_cndmask_b32_e32 v2, v2, v8, vcc_lo
	v_cndmask_b32_e64 v4, v4, s6, vcc_lo
	s_add_i32 s6, s6, 1
	s_delay_alu instid0(SALU_CYCLE_1)
	s_cmp_lg_u32 s5, s6
	s_cbranch_scc1 .LBB122_1328
.LBB122_1329:
	s_set_inst_prefetch_distance 0x2
	s_waitcnt lgkmcnt(0)
	v_cmp_eq_f64_e32 vcc_lo, 0, v[0:1]
	v_cmp_eq_f64_e64 s2, 0, v[2:3]
	s_delay_alu instid0(VALU_DEP_1) | instskip(NEXT) | instid1(SALU_CYCLE_1)
	s_and_b32 s2, vcc_lo, s2
	s_and_saveexec_b32 s3, s2
	s_delay_alu instid0(SALU_CYCLE_1)
	s_xor_b32 s2, exec_lo, s3
; %bb.1330:
	v_cmp_ne_u32_e32 vcc_lo, 0, v35
	v_cndmask_b32_e32 v35, 58, v35, vcc_lo
; %bb.1331:
	s_and_not1_saveexec_b32 s3, s2
	s_cbranch_execz .LBB122_1337
; %bb.1332:
	v_cmp_gt_f64_e32 vcc_lo, 0, v[0:1]
	v_cmp_gt_f64_e64 s2, 0, v[2:3]
	v_xor_b32_e32 v5, 0x80000000, v1
	v_xor_b32_e32 v7, 0x80000000, v3
	s_delay_alu instid0(VALU_DEP_2) | instskip(NEXT) | instid1(VALU_DEP_2)
	v_dual_cndmask_b32 v6, v1, v5 :: v_dual_cndmask_b32 v5, v0, v0
	v_cndmask_b32_e64 v8, v3, v7, s2
	v_cndmask_b32_e64 v7, v2, v2, s2
	s_mov_b32 s2, exec_lo
	s_delay_alu instid0(VALU_DEP_1)
	v_cmpx_ngt_f64_e32 v[5:6], v[7:8]
	s_xor_b32 s2, exec_lo, s2
	s_cbranch_execz .LBB122_1334
; %bb.1333:
	v_div_scale_f64 v[5:6], null, v[2:3], v[2:3], v[0:1]
	v_div_scale_f64 v[11:12], vcc_lo, v[0:1], v[2:3], v[0:1]
	s_delay_alu instid0(VALU_DEP_2) | instskip(SKIP_2) | instid1(VALU_DEP_1)
	v_rcp_f64_e32 v[7:8], v[5:6]
	s_waitcnt_depctr 0xfff
	v_fma_f64 v[9:10], -v[5:6], v[7:8], 1.0
	v_fma_f64 v[7:8], v[7:8], v[9:10], v[7:8]
	s_delay_alu instid0(VALU_DEP_1) | instskip(NEXT) | instid1(VALU_DEP_1)
	v_fma_f64 v[9:10], -v[5:6], v[7:8], 1.0
	v_fma_f64 v[7:8], v[7:8], v[9:10], v[7:8]
	s_delay_alu instid0(VALU_DEP_1) | instskip(NEXT) | instid1(VALU_DEP_1)
	v_mul_f64 v[9:10], v[11:12], v[7:8]
	v_fma_f64 v[5:6], -v[5:6], v[9:10], v[11:12]
	s_delay_alu instid0(VALU_DEP_1) | instskip(NEXT) | instid1(VALU_DEP_1)
	v_div_fmas_f64 v[5:6], v[5:6], v[7:8], v[9:10]
	v_div_fixup_f64 v[5:6], v[5:6], v[2:3], v[0:1]
	s_delay_alu instid0(VALU_DEP_1) | instskip(NEXT) | instid1(VALU_DEP_1)
	v_fma_f64 v[0:1], v[0:1], v[5:6], v[2:3]
	v_div_scale_f64 v[2:3], null, v[0:1], v[0:1], 1.0
	s_delay_alu instid0(VALU_DEP_1) | instskip(SKIP_2) | instid1(VALU_DEP_1)
	v_rcp_f64_e32 v[7:8], v[2:3]
	s_waitcnt_depctr 0xfff
	v_fma_f64 v[9:10], -v[2:3], v[7:8], 1.0
	v_fma_f64 v[7:8], v[7:8], v[9:10], v[7:8]
	s_delay_alu instid0(VALU_DEP_1) | instskip(NEXT) | instid1(VALU_DEP_1)
	v_fma_f64 v[9:10], -v[2:3], v[7:8], 1.0
	v_fma_f64 v[7:8], v[7:8], v[9:10], v[7:8]
	v_div_scale_f64 v[9:10], vcc_lo, 1.0, v[0:1], 1.0
	s_delay_alu instid0(VALU_DEP_1) | instskip(NEXT) | instid1(VALU_DEP_1)
	v_mul_f64 v[11:12], v[9:10], v[7:8]
	v_fma_f64 v[2:3], -v[2:3], v[11:12], v[9:10]
	s_delay_alu instid0(VALU_DEP_1) | instskip(NEXT) | instid1(VALU_DEP_1)
	v_div_fmas_f64 v[2:3], v[2:3], v[7:8], v[11:12]
	v_div_fixup_f64 v[2:3], v[2:3], v[0:1], 1.0
	s_delay_alu instid0(VALU_DEP_1)
	v_mul_f64 v[0:1], v[5:6], v[2:3]
	v_xor_b32_e32 v3, 0x80000000, v3
.LBB122_1334:
	s_and_not1_saveexec_b32 s2, s2
	s_cbranch_execz .LBB122_1336
; %bb.1335:
	s_delay_alu instid0(VALU_DEP_1) | instskip(SKIP_1) | instid1(VALU_DEP_2)
	v_div_scale_f64 v[5:6], null, v[0:1], v[0:1], v[2:3]
	v_div_scale_f64 v[11:12], vcc_lo, v[2:3], v[0:1], v[2:3]
	v_rcp_f64_e32 v[7:8], v[5:6]
	s_waitcnt_depctr 0xfff
	v_fma_f64 v[9:10], -v[5:6], v[7:8], 1.0
	s_delay_alu instid0(VALU_DEP_1) | instskip(NEXT) | instid1(VALU_DEP_1)
	v_fma_f64 v[7:8], v[7:8], v[9:10], v[7:8]
	v_fma_f64 v[9:10], -v[5:6], v[7:8], 1.0
	s_delay_alu instid0(VALU_DEP_1) | instskip(NEXT) | instid1(VALU_DEP_1)
	v_fma_f64 v[7:8], v[7:8], v[9:10], v[7:8]
	v_mul_f64 v[9:10], v[11:12], v[7:8]
	s_delay_alu instid0(VALU_DEP_1) | instskip(NEXT) | instid1(VALU_DEP_1)
	v_fma_f64 v[5:6], -v[5:6], v[9:10], v[11:12]
	v_div_fmas_f64 v[5:6], v[5:6], v[7:8], v[9:10]
	s_delay_alu instid0(VALU_DEP_1) | instskip(NEXT) | instid1(VALU_DEP_1)
	v_div_fixup_f64 v[5:6], v[5:6], v[0:1], v[2:3]
	v_fma_f64 v[0:1], v[2:3], v[5:6], v[0:1]
	s_delay_alu instid0(VALU_DEP_1) | instskip(NEXT) | instid1(VALU_DEP_1)
	v_div_scale_f64 v[2:3], null, v[0:1], v[0:1], 1.0
	v_rcp_f64_e32 v[7:8], v[2:3]
	s_waitcnt_depctr 0xfff
	v_fma_f64 v[9:10], -v[2:3], v[7:8], 1.0
	s_delay_alu instid0(VALU_DEP_1) | instskip(NEXT) | instid1(VALU_DEP_1)
	v_fma_f64 v[7:8], v[7:8], v[9:10], v[7:8]
	v_fma_f64 v[9:10], -v[2:3], v[7:8], 1.0
	s_delay_alu instid0(VALU_DEP_1) | instskip(SKIP_1) | instid1(VALU_DEP_1)
	v_fma_f64 v[7:8], v[7:8], v[9:10], v[7:8]
	v_div_scale_f64 v[9:10], vcc_lo, 1.0, v[0:1], 1.0
	v_mul_f64 v[11:12], v[9:10], v[7:8]
	s_delay_alu instid0(VALU_DEP_1) | instskip(NEXT) | instid1(VALU_DEP_1)
	v_fma_f64 v[2:3], -v[2:3], v[11:12], v[9:10]
	v_div_fmas_f64 v[2:3], v[2:3], v[7:8], v[11:12]
	s_delay_alu instid0(VALU_DEP_1) | instskip(NEXT) | instid1(VALU_DEP_1)
	v_div_fixup_f64 v[0:1], v[2:3], v[0:1], 1.0
	v_mul_f64 v[2:3], v[5:6], -v[0:1]
.LBB122_1336:
	s_or_b32 exec_lo, exec_lo, s2
.LBB122_1337:
	s_delay_alu instid0(SALU_CYCLE_1) | instskip(NEXT) | instid1(SALU_CYCLE_1)
	s_or_b32 exec_lo, exec_lo, s3
	s_mov_b32 s2, exec_lo
	v_cmpx_ne_u32_e64 v39, v4
	s_xor_b32 s2, exec_lo, s2
	s_cbranch_execz .LBB122_1343
; %bb.1338:
	s_mov_b32 s3, exec_lo
	v_cmpx_eq_u32_e32 57, v39
	s_cbranch_execz .LBB122_1342
; %bb.1339:
	v_cmp_ne_u32_e32 vcc_lo, 57, v4
	s_xor_b32 s6, s4, -1
	s_delay_alu instid0(SALU_CYCLE_1) | instskip(NEXT) | instid1(SALU_CYCLE_1)
	s_and_b32 s7, s6, vcc_lo
	s_and_saveexec_b32 s6, s7
	s_cbranch_execz .LBB122_1341
; %bb.1340:
	v_ashrrev_i32_e32 v5, 31, v4
	s_delay_alu instid0(VALU_DEP_1) | instskip(NEXT) | instid1(VALU_DEP_1)
	v_lshlrev_b64 v[5:6], 2, v[4:5]
	v_add_co_u32 v5, vcc_lo, v18, v5
	s_delay_alu instid0(VALU_DEP_2)
	v_add_co_ci_u32_e32 v6, vcc_lo, v19, v6, vcc_lo
	s_clause 0x1
	flat_load_b32 v7, v[5:6]
	flat_load_b32 v8, v[18:19] offset:228
	s_waitcnt vmcnt(1) lgkmcnt(1)
	flat_store_b32 v[18:19], v7 offset:228
	s_waitcnt vmcnt(0) lgkmcnt(1)
	flat_store_b32 v[5:6], v8
.LBB122_1341:
	s_or_b32 exec_lo, exec_lo, s6
	v_mov_b32_e32 v39, v4
	v_mov_b32_e32 v38, v4
.LBB122_1342:
	s_or_b32 exec_lo, exec_lo, s3
.LBB122_1343:
	s_and_not1_saveexec_b32 s2, s2
	s_cbranch_execz .LBB122_1345
; %bb.1344:
	s_clause 0x3
	scratch_load_b128 v[4:7], v147, off
	scratch_load_b128 v[8:11], v146, off
	;; [unrolled: 1-line block ×4, first 2 shown]
	v_mov_b32_e32 v39, 57
	s_waitcnt vmcnt(3)
	ds_store_2addr_b64 v20, v[4:5], v[6:7] offset0:116 offset1:117
	s_waitcnt vmcnt(2)
	ds_store_2addr_b64 v20, v[8:9], v[10:11] offset0:118 offset1:119
	;; [unrolled: 2-line block ×4, first 2 shown]
.LBB122_1345:
	s_or_b32 exec_lo, exec_lo, s2
	s_delay_alu instid0(SALU_CYCLE_1)
	s_mov_b32 s2, exec_lo
	s_waitcnt lgkmcnt(0)
	s_waitcnt_vscnt null, 0x0
	s_barrier
	buffer_gl0_inv
	v_cmpx_lt_i32_e32 57, v39
	s_cbranch_execz .LBB122_1347
; %bb.1346:
	s_clause 0x4
	scratch_load_b128 v[4:7], off, off offset:912
	scratch_load_b128 v[8:11], off, off offset:928
	scratch_load_b128 v[12:15], off, off offset:944
	scratch_load_b128 v[41:44], off, off offset:960
	scratch_load_b128 v[45:48], off, off offset:976
	ds_load_2addr_b64 v[53:56], v20 offset0:116 offset1:117
	ds_load_2addr_b64 v[61:64], v20 offset0:118 offset1:119
	;; [unrolled: 1-line block ×4, first 2 shown]
	s_waitcnt vmcnt(4)
	v_mul_f64 v[16:17], v[0:1], v[6:7]
	v_mul_f64 v[6:7], v[2:3], v[6:7]
	s_delay_alu instid0(VALU_DEP_2) | instskip(NEXT) | instid1(VALU_DEP_2)
	v_fma_f64 v[2:3], v[2:3], v[4:5], v[16:17]
	v_fma_f64 v[0:1], v[0:1], v[4:5], -v[6:7]
	s_waitcnt lgkmcnt(3)
	s_delay_alu instid0(VALU_DEP_2)
	v_mul_f64 v[4:5], v[55:56], v[2:3]
	v_mul_f64 v[6:7], v[53:54], v[2:3]
	s_waitcnt lgkmcnt(2)
	v_mul_f64 v[16:17], v[63:64], v[2:3]
	v_mul_f64 v[49:50], v[61:62], v[2:3]
	s_waitcnt lgkmcnt(1)
	;; [unrolled: 3-line block ×3, first 2 shown]
	v_mul_f64 v[73:74], v[79:80], v[2:3]
	v_mul_f64 v[81:82], v[77:78], v[2:3]
	v_fma_f64 v[4:5], v[53:54], v[0:1], -v[4:5]
	v_fma_f64 v[6:7], v[55:56], v[0:1], v[6:7]
	v_fma_f64 v[16:17], v[61:62], v[0:1], -v[16:17]
	v_fma_f64 v[49:50], v[63:64], v[0:1], v[49:50]
	;; [unrolled: 2-line block ×4, first 2 shown]
	s_waitcnt vmcnt(3)
	v_add_f64 v[4:5], v[8:9], -v[4:5]
	v_add_f64 v[6:7], v[10:11], -v[6:7]
	s_waitcnt vmcnt(2)
	v_add_f64 v[8:9], v[12:13], -v[16:17]
	v_add_f64 v[10:11], v[14:15], -v[49:50]
	;; [unrolled: 3-line block ×4, first 2 shown]
	s_clause 0x4
	scratch_store_b128 off, v[0:3], off offset:912
	scratch_store_b128 off, v[4:7], off offset:928
	;; [unrolled: 1-line block ×5, first 2 shown]
.LBB122_1347:
	s_or_b32 exec_lo, exec_lo, s2
	s_waitcnt_vscnt null, 0x0
	s_barrier
	buffer_gl0_inv
	scratch_load_b128 v[0:3], v147, off
	v_lshl_add_u32 v4, v39, 4, v20
	s_cmp_lt_i32 s5, 60
	s_waitcnt vmcnt(0)
	ds_store_2addr_b64 v4, v[0:1], v[2:3] offset1:1
	s_waitcnt lgkmcnt(0)
	s_barrier
	buffer_gl0_inv
	ds_load_2addr_b64 v[0:3], v20 offset0:116 offset1:117
	v_mov_b32_e32 v4, 58
	s_cbranch_scc1 .LBB122_1350
; %bb.1348:
	v_add3_u32 v5, v37, 0, 0x3b0
	v_mov_b32_e32 v4, 58
	s_mov_b32 s6, 59
	s_set_inst_prefetch_distance 0x1
	.p2align	6
.LBB122_1349:                           ; =>This Inner Loop Header: Depth=1
	ds_load_2addr_b64 v[6:9], v5 offset1:1
	s_waitcnt lgkmcnt(1)
	v_cmp_gt_f64_e32 vcc_lo, 0, v[0:1]
	v_xor_b32_e32 v10, 0x80000000, v1
	v_cmp_gt_f64_e64 s2, 0, v[2:3]
	v_xor_b32_e32 v12, 0x80000000, v3
	v_add_nc_u32_e32 v5, 16, v5
	s_waitcnt lgkmcnt(0)
	v_cmp_gt_f64_e64 s3, 0, v[6:7]
	v_mov_b32_e32 v14, v6
	v_dual_mov_b32 v16, v8 :: v_dual_cndmask_b32 v11, v1, v10
	v_xor_b32_e32 v10, 0x80000000, v7
	v_cndmask_b32_e64 v13, v3, v12, s2
	v_xor_b32_e32 v12, 0x80000000, v9
	s_delay_alu instid0(VALU_DEP_3) | instskip(SKIP_2) | instid1(VALU_DEP_2)
	v_cndmask_b32_e64 v15, v7, v10, s3
	v_cmp_gt_f64_e64 s3, 0, v[8:9]
	v_cndmask_b32_e32 v10, v0, v0, vcc_lo
	v_cndmask_b32_e64 v17, v9, v12, s3
	v_cndmask_b32_e64 v12, v2, v2, s2
	s_delay_alu instid0(VALU_DEP_2) | instskip(NEXT) | instid1(VALU_DEP_2)
	v_add_f64 v[14:15], v[14:15], v[16:17]
	v_add_f64 v[10:11], v[10:11], v[12:13]
	s_delay_alu instid0(VALU_DEP_1)
	v_cmp_lt_f64_e32 vcc_lo, v[10:11], v[14:15]
	v_cndmask_b32_e32 v3, v3, v9, vcc_lo
	v_dual_cndmask_b32 v1, v1, v7 :: v_dual_cndmask_b32 v0, v0, v6
	v_cndmask_b32_e32 v2, v2, v8, vcc_lo
	v_cndmask_b32_e64 v4, v4, s6, vcc_lo
	s_add_i32 s6, s6, 1
	s_delay_alu instid0(SALU_CYCLE_1)
	s_cmp_lg_u32 s5, s6
	s_cbranch_scc1 .LBB122_1349
.LBB122_1350:
	s_set_inst_prefetch_distance 0x2
	s_waitcnt lgkmcnt(0)
	v_cmp_eq_f64_e32 vcc_lo, 0, v[0:1]
	v_cmp_eq_f64_e64 s2, 0, v[2:3]
	s_delay_alu instid0(VALU_DEP_1) | instskip(NEXT) | instid1(SALU_CYCLE_1)
	s_and_b32 s2, vcc_lo, s2
	s_and_saveexec_b32 s3, s2
	s_delay_alu instid0(SALU_CYCLE_1)
	s_xor_b32 s2, exec_lo, s3
; %bb.1351:
	v_cmp_ne_u32_e32 vcc_lo, 0, v35
	v_cndmask_b32_e32 v35, 59, v35, vcc_lo
; %bb.1352:
	s_and_not1_saveexec_b32 s3, s2
	s_cbranch_execz .LBB122_1358
; %bb.1353:
	v_cmp_gt_f64_e32 vcc_lo, 0, v[0:1]
	v_cmp_gt_f64_e64 s2, 0, v[2:3]
	v_xor_b32_e32 v5, 0x80000000, v1
	v_xor_b32_e32 v7, 0x80000000, v3
	s_delay_alu instid0(VALU_DEP_2) | instskip(NEXT) | instid1(VALU_DEP_2)
	v_dual_cndmask_b32 v6, v1, v5 :: v_dual_cndmask_b32 v5, v0, v0
	v_cndmask_b32_e64 v8, v3, v7, s2
	v_cndmask_b32_e64 v7, v2, v2, s2
	s_mov_b32 s2, exec_lo
	s_delay_alu instid0(VALU_DEP_1)
	v_cmpx_ngt_f64_e32 v[5:6], v[7:8]
	s_xor_b32 s2, exec_lo, s2
	s_cbranch_execz .LBB122_1355
; %bb.1354:
	v_div_scale_f64 v[5:6], null, v[2:3], v[2:3], v[0:1]
	v_div_scale_f64 v[11:12], vcc_lo, v[0:1], v[2:3], v[0:1]
	s_delay_alu instid0(VALU_DEP_2) | instskip(SKIP_2) | instid1(VALU_DEP_1)
	v_rcp_f64_e32 v[7:8], v[5:6]
	s_waitcnt_depctr 0xfff
	v_fma_f64 v[9:10], -v[5:6], v[7:8], 1.0
	v_fma_f64 v[7:8], v[7:8], v[9:10], v[7:8]
	s_delay_alu instid0(VALU_DEP_1) | instskip(NEXT) | instid1(VALU_DEP_1)
	v_fma_f64 v[9:10], -v[5:6], v[7:8], 1.0
	v_fma_f64 v[7:8], v[7:8], v[9:10], v[7:8]
	s_delay_alu instid0(VALU_DEP_1) | instskip(NEXT) | instid1(VALU_DEP_1)
	v_mul_f64 v[9:10], v[11:12], v[7:8]
	v_fma_f64 v[5:6], -v[5:6], v[9:10], v[11:12]
	s_delay_alu instid0(VALU_DEP_1) | instskip(NEXT) | instid1(VALU_DEP_1)
	v_div_fmas_f64 v[5:6], v[5:6], v[7:8], v[9:10]
	v_div_fixup_f64 v[5:6], v[5:6], v[2:3], v[0:1]
	s_delay_alu instid0(VALU_DEP_1) | instskip(NEXT) | instid1(VALU_DEP_1)
	v_fma_f64 v[0:1], v[0:1], v[5:6], v[2:3]
	v_div_scale_f64 v[2:3], null, v[0:1], v[0:1], 1.0
	s_delay_alu instid0(VALU_DEP_1) | instskip(SKIP_2) | instid1(VALU_DEP_1)
	v_rcp_f64_e32 v[7:8], v[2:3]
	s_waitcnt_depctr 0xfff
	v_fma_f64 v[9:10], -v[2:3], v[7:8], 1.0
	v_fma_f64 v[7:8], v[7:8], v[9:10], v[7:8]
	s_delay_alu instid0(VALU_DEP_1) | instskip(NEXT) | instid1(VALU_DEP_1)
	v_fma_f64 v[9:10], -v[2:3], v[7:8], 1.0
	v_fma_f64 v[7:8], v[7:8], v[9:10], v[7:8]
	v_div_scale_f64 v[9:10], vcc_lo, 1.0, v[0:1], 1.0
	s_delay_alu instid0(VALU_DEP_1) | instskip(NEXT) | instid1(VALU_DEP_1)
	v_mul_f64 v[11:12], v[9:10], v[7:8]
	v_fma_f64 v[2:3], -v[2:3], v[11:12], v[9:10]
	s_delay_alu instid0(VALU_DEP_1) | instskip(NEXT) | instid1(VALU_DEP_1)
	v_div_fmas_f64 v[2:3], v[2:3], v[7:8], v[11:12]
	v_div_fixup_f64 v[2:3], v[2:3], v[0:1], 1.0
	s_delay_alu instid0(VALU_DEP_1)
	v_mul_f64 v[0:1], v[5:6], v[2:3]
	v_xor_b32_e32 v3, 0x80000000, v3
.LBB122_1355:
	s_and_not1_saveexec_b32 s2, s2
	s_cbranch_execz .LBB122_1357
; %bb.1356:
	s_delay_alu instid0(VALU_DEP_1) | instskip(SKIP_1) | instid1(VALU_DEP_2)
	v_div_scale_f64 v[5:6], null, v[0:1], v[0:1], v[2:3]
	v_div_scale_f64 v[11:12], vcc_lo, v[2:3], v[0:1], v[2:3]
	v_rcp_f64_e32 v[7:8], v[5:6]
	s_waitcnt_depctr 0xfff
	v_fma_f64 v[9:10], -v[5:6], v[7:8], 1.0
	s_delay_alu instid0(VALU_DEP_1) | instskip(NEXT) | instid1(VALU_DEP_1)
	v_fma_f64 v[7:8], v[7:8], v[9:10], v[7:8]
	v_fma_f64 v[9:10], -v[5:6], v[7:8], 1.0
	s_delay_alu instid0(VALU_DEP_1) | instskip(NEXT) | instid1(VALU_DEP_1)
	v_fma_f64 v[7:8], v[7:8], v[9:10], v[7:8]
	v_mul_f64 v[9:10], v[11:12], v[7:8]
	s_delay_alu instid0(VALU_DEP_1) | instskip(NEXT) | instid1(VALU_DEP_1)
	v_fma_f64 v[5:6], -v[5:6], v[9:10], v[11:12]
	v_div_fmas_f64 v[5:6], v[5:6], v[7:8], v[9:10]
	s_delay_alu instid0(VALU_DEP_1) | instskip(NEXT) | instid1(VALU_DEP_1)
	v_div_fixup_f64 v[5:6], v[5:6], v[0:1], v[2:3]
	v_fma_f64 v[0:1], v[2:3], v[5:6], v[0:1]
	s_delay_alu instid0(VALU_DEP_1) | instskip(NEXT) | instid1(VALU_DEP_1)
	v_div_scale_f64 v[2:3], null, v[0:1], v[0:1], 1.0
	v_rcp_f64_e32 v[7:8], v[2:3]
	s_waitcnt_depctr 0xfff
	v_fma_f64 v[9:10], -v[2:3], v[7:8], 1.0
	s_delay_alu instid0(VALU_DEP_1) | instskip(NEXT) | instid1(VALU_DEP_1)
	v_fma_f64 v[7:8], v[7:8], v[9:10], v[7:8]
	v_fma_f64 v[9:10], -v[2:3], v[7:8], 1.0
	s_delay_alu instid0(VALU_DEP_1) | instskip(SKIP_1) | instid1(VALU_DEP_1)
	v_fma_f64 v[7:8], v[7:8], v[9:10], v[7:8]
	v_div_scale_f64 v[9:10], vcc_lo, 1.0, v[0:1], 1.0
	v_mul_f64 v[11:12], v[9:10], v[7:8]
	s_delay_alu instid0(VALU_DEP_1) | instskip(NEXT) | instid1(VALU_DEP_1)
	v_fma_f64 v[2:3], -v[2:3], v[11:12], v[9:10]
	v_div_fmas_f64 v[2:3], v[2:3], v[7:8], v[11:12]
	s_delay_alu instid0(VALU_DEP_1) | instskip(NEXT) | instid1(VALU_DEP_1)
	v_div_fixup_f64 v[0:1], v[2:3], v[0:1], 1.0
	v_mul_f64 v[2:3], v[5:6], -v[0:1]
.LBB122_1357:
	s_or_b32 exec_lo, exec_lo, s2
.LBB122_1358:
	s_delay_alu instid0(SALU_CYCLE_1) | instskip(NEXT) | instid1(SALU_CYCLE_1)
	s_or_b32 exec_lo, exec_lo, s3
	s_mov_b32 s2, exec_lo
	v_cmpx_ne_u32_e64 v39, v4
	s_xor_b32 s2, exec_lo, s2
	s_cbranch_execz .LBB122_1364
; %bb.1359:
	s_mov_b32 s3, exec_lo
	v_cmpx_eq_u32_e32 58, v39
	s_cbranch_execz .LBB122_1363
; %bb.1360:
	v_cmp_ne_u32_e32 vcc_lo, 58, v4
	s_xor_b32 s6, s4, -1
	s_delay_alu instid0(SALU_CYCLE_1) | instskip(NEXT) | instid1(SALU_CYCLE_1)
	s_and_b32 s7, s6, vcc_lo
	s_and_saveexec_b32 s6, s7
	s_cbranch_execz .LBB122_1362
; %bb.1361:
	v_ashrrev_i32_e32 v5, 31, v4
	s_delay_alu instid0(VALU_DEP_1) | instskip(NEXT) | instid1(VALU_DEP_1)
	v_lshlrev_b64 v[5:6], 2, v[4:5]
	v_add_co_u32 v5, vcc_lo, v18, v5
	s_delay_alu instid0(VALU_DEP_2)
	v_add_co_ci_u32_e32 v6, vcc_lo, v19, v6, vcc_lo
	s_clause 0x1
	flat_load_b32 v7, v[5:6]
	flat_load_b32 v8, v[18:19] offset:232
	s_waitcnt vmcnt(1) lgkmcnt(1)
	flat_store_b32 v[18:19], v7 offset:232
	s_waitcnt vmcnt(0) lgkmcnt(1)
	flat_store_b32 v[5:6], v8
.LBB122_1362:
	s_or_b32 exec_lo, exec_lo, s6
	v_mov_b32_e32 v39, v4
	v_mov_b32_e32 v38, v4
.LBB122_1363:
	s_or_b32 exec_lo, exec_lo, s3
.LBB122_1364:
	s_and_not1_saveexec_b32 s2, s2
	s_cbranch_execz .LBB122_1366
; %bb.1365:
	s_clause 0x2
	scratch_load_b128 v[4:7], v146, off
	scratch_load_b128 v[8:11], v145, off
	;; [unrolled: 1-line block ×3, first 2 shown]
	v_mov_b32_e32 v39, 58
	s_waitcnt vmcnt(2)
	ds_store_2addr_b64 v20, v[4:5], v[6:7] offset0:118 offset1:119
	s_waitcnt vmcnt(1)
	ds_store_2addr_b64 v20, v[8:9], v[10:11] offset0:120 offset1:121
	;; [unrolled: 2-line block ×3, first 2 shown]
.LBB122_1366:
	s_or_b32 exec_lo, exec_lo, s2
	s_delay_alu instid0(SALU_CYCLE_1)
	s_mov_b32 s2, exec_lo
	s_waitcnt lgkmcnt(0)
	s_waitcnt_vscnt null, 0x0
	s_barrier
	buffer_gl0_inv
	v_cmpx_lt_i32_e32 58, v39
	s_cbranch_execz .LBB122_1368
; %bb.1367:
	s_clause 0x3
	scratch_load_b128 v[4:7], off, off offset:928
	scratch_load_b128 v[8:11], off, off offset:944
	;; [unrolled: 1-line block ×4, first 2 shown]
	ds_load_2addr_b64 v[45:48], v20 offset0:118 offset1:119
	ds_load_2addr_b64 v[53:56], v20 offset0:120 offset1:121
	;; [unrolled: 1-line block ×3, first 2 shown]
	s_waitcnt vmcnt(3)
	v_mul_f64 v[16:17], v[0:1], v[6:7]
	v_mul_f64 v[6:7], v[2:3], v[6:7]
	s_delay_alu instid0(VALU_DEP_2) | instskip(NEXT) | instid1(VALU_DEP_2)
	v_fma_f64 v[2:3], v[2:3], v[4:5], v[16:17]
	v_fma_f64 v[0:1], v[0:1], v[4:5], -v[6:7]
	s_waitcnt lgkmcnt(2)
	s_delay_alu instid0(VALU_DEP_2)
	v_mul_f64 v[4:5], v[47:48], v[2:3]
	v_mul_f64 v[6:7], v[45:46], v[2:3]
	s_waitcnt lgkmcnt(1)
	v_mul_f64 v[16:17], v[55:56], v[2:3]
	v_mul_f64 v[49:50], v[53:54], v[2:3]
	s_waitcnt lgkmcnt(0)
	v_mul_f64 v[57:58], v[63:64], v[2:3]
	v_mul_f64 v[65:66], v[61:62], v[2:3]
	v_fma_f64 v[4:5], v[45:46], v[0:1], -v[4:5]
	v_fma_f64 v[6:7], v[47:48], v[0:1], v[6:7]
	v_fma_f64 v[16:17], v[53:54], v[0:1], -v[16:17]
	v_fma_f64 v[45:46], v[55:56], v[0:1], v[49:50]
	v_fma_f64 v[47:48], v[61:62], v[0:1], -v[57:58]
	v_fma_f64 v[49:50], v[63:64], v[0:1], v[65:66]
	s_waitcnt vmcnt(2)
	v_add_f64 v[4:5], v[8:9], -v[4:5]
	v_add_f64 v[6:7], v[10:11], -v[6:7]
	s_waitcnt vmcnt(1)
	v_add_f64 v[8:9], v[12:13], -v[16:17]
	v_add_f64 v[10:11], v[14:15], -v[45:46]
	;; [unrolled: 3-line block ×3, first 2 shown]
	s_clause 0x3
	scratch_store_b128 off, v[0:3], off offset:928
	scratch_store_b128 off, v[4:7], off offset:944
	;; [unrolled: 1-line block ×4, first 2 shown]
.LBB122_1368:
	s_or_b32 exec_lo, exec_lo, s2
	s_waitcnt_vscnt null, 0x0
	s_barrier
	buffer_gl0_inv
	scratch_load_b128 v[0:3], v146, off
	v_lshl_add_u32 v4, v39, 4, v20
	s_cmp_lt_i32 s5, 61
	s_waitcnt vmcnt(0)
	ds_store_2addr_b64 v4, v[0:1], v[2:3] offset1:1
	s_waitcnt lgkmcnt(0)
	s_barrier
	buffer_gl0_inv
	ds_load_2addr_b64 v[0:3], v20 offset0:118 offset1:119
	v_mov_b32_e32 v4, 59
	s_cbranch_scc1 .LBB122_1371
; %bb.1369:
	v_add3_u32 v5, v37, 0, 0x3c0
	v_mov_b32_e32 v4, 59
	s_mov_b32 s6, 60
	s_set_inst_prefetch_distance 0x1
	.p2align	6
.LBB122_1370:                           ; =>This Inner Loop Header: Depth=1
	ds_load_2addr_b64 v[6:9], v5 offset1:1
	s_waitcnt lgkmcnt(1)
	v_cmp_gt_f64_e32 vcc_lo, 0, v[0:1]
	v_xor_b32_e32 v10, 0x80000000, v1
	v_cmp_gt_f64_e64 s2, 0, v[2:3]
	v_xor_b32_e32 v12, 0x80000000, v3
	v_add_nc_u32_e32 v5, 16, v5
	s_waitcnt lgkmcnt(0)
	v_cmp_gt_f64_e64 s3, 0, v[6:7]
	v_mov_b32_e32 v14, v6
	v_dual_mov_b32 v16, v8 :: v_dual_cndmask_b32 v11, v1, v10
	v_xor_b32_e32 v10, 0x80000000, v7
	v_cndmask_b32_e64 v13, v3, v12, s2
	v_xor_b32_e32 v12, 0x80000000, v9
	s_delay_alu instid0(VALU_DEP_3) | instskip(SKIP_2) | instid1(VALU_DEP_2)
	v_cndmask_b32_e64 v15, v7, v10, s3
	v_cmp_gt_f64_e64 s3, 0, v[8:9]
	v_cndmask_b32_e32 v10, v0, v0, vcc_lo
	v_cndmask_b32_e64 v17, v9, v12, s3
	v_cndmask_b32_e64 v12, v2, v2, s2
	s_delay_alu instid0(VALU_DEP_2) | instskip(NEXT) | instid1(VALU_DEP_2)
	v_add_f64 v[14:15], v[14:15], v[16:17]
	v_add_f64 v[10:11], v[10:11], v[12:13]
	s_delay_alu instid0(VALU_DEP_1)
	v_cmp_lt_f64_e32 vcc_lo, v[10:11], v[14:15]
	v_cndmask_b32_e32 v3, v3, v9, vcc_lo
	v_dual_cndmask_b32 v1, v1, v7 :: v_dual_cndmask_b32 v0, v0, v6
	v_cndmask_b32_e32 v2, v2, v8, vcc_lo
	v_cndmask_b32_e64 v4, v4, s6, vcc_lo
	s_add_i32 s6, s6, 1
	s_delay_alu instid0(SALU_CYCLE_1)
	s_cmp_lg_u32 s5, s6
	s_cbranch_scc1 .LBB122_1370
.LBB122_1371:
	s_set_inst_prefetch_distance 0x2
	s_waitcnt lgkmcnt(0)
	v_cmp_eq_f64_e32 vcc_lo, 0, v[0:1]
	v_cmp_eq_f64_e64 s2, 0, v[2:3]
	s_delay_alu instid0(VALU_DEP_1) | instskip(NEXT) | instid1(SALU_CYCLE_1)
	s_and_b32 s2, vcc_lo, s2
	s_and_saveexec_b32 s3, s2
	s_delay_alu instid0(SALU_CYCLE_1)
	s_xor_b32 s2, exec_lo, s3
; %bb.1372:
	v_cmp_ne_u32_e32 vcc_lo, 0, v35
	v_cndmask_b32_e32 v35, 60, v35, vcc_lo
; %bb.1373:
	s_and_not1_saveexec_b32 s3, s2
	s_cbranch_execz .LBB122_1379
; %bb.1374:
	v_cmp_gt_f64_e32 vcc_lo, 0, v[0:1]
	v_cmp_gt_f64_e64 s2, 0, v[2:3]
	v_xor_b32_e32 v5, 0x80000000, v1
	v_xor_b32_e32 v7, 0x80000000, v3
	s_delay_alu instid0(VALU_DEP_2) | instskip(NEXT) | instid1(VALU_DEP_2)
	v_dual_cndmask_b32 v6, v1, v5 :: v_dual_cndmask_b32 v5, v0, v0
	v_cndmask_b32_e64 v8, v3, v7, s2
	v_cndmask_b32_e64 v7, v2, v2, s2
	s_mov_b32 s2, exec_lo
	s_delay_alu instid0(VALU_DEP_1)
	v_cmpx_ngt_f64_e32 v[5:6], v[7:8]
	s_xor_b32 s2, exec_lo, s2
	s_cbranch_execz .LBB122_1376
; %bb.1375:
	v_div_scale_f64 v[5:6], null, v[2:3], v[2:3], v[0:1]
	v_div_scale_f64 v[11:12], vcc_lo, v[0:1], v[2:3], v[0:1]
	s_delay_alu instid0(VALU_DEP_2) | instskip(SKIP_2) | instid1(VALU_DEP_1)
	v_rcp_f64_e32 v[7:8], v[5:6]
	s_waitcnt_depctr 0xfff
	v_fma_f64 v[9:10], -v[5:6], v[7:8], 1.0
	v_fma_f64 v[7:8], v[7:8], v[9:10], v[7:8]
	s_delay_alu instid0(VALU_DEP_1) | instskip(NEXT) | instid1(VALU_DEP_1)
	v_fma_f64 v[9:10], -v[5:6], v[7:8], 1.0
	v_fma_f64 v[7:8], v[7:8], v[9:10], v[7:8]
	s_delay_alu instid0(VALU_DEP_1) | instskip(NEXT) | instid1(VALU_DEP_1)
	v_mul_f64 v[9:10], v[11:12], v[7:8]
	v_fma_f64 v[5:6], -v[5:6], v[9:10], v[11:12]
	s_delay_alu instid0(VALU_DEP_1) | instskip(NEXT) | instid1(VALU_DEP_1)
	v_div_fmas_f64 v[5:6], v[5:6], v[7:8], v[9:10]
	v_div_fixup_f64 v[5:6], v[5:6], v[2:3], v[0:1]
	s_delay_alu instid0(VALU_DEP_1) | instskip(NEXT) | instid1(VALU_DEP_1)
	v_fma_f64 v[0:1], v[0:1], v[5:6], v[2:3]
	v_div_scale_f64 v[2:3], null, v[0:1], v[0:1], 1.0
	s_delay_alu instid0(VALU_DEP_1) | instskip(SKIP_2) | instid1(VALU_DEP_1)
	v_rcp_f64_e32 v[7:8], v[2:3]
	s_waitcnt_depctr 0xfff
	v_fma_f64 v[9:10], -v[2:3], v[7:8], 1.0
	v_fma_f64 v[7:8], v[7:8], v[9:10], v[7:8]
	s_delay_alu instid0(VALU_DEP_1) | instskip(NEXT) | instid1(VALU_DEP_1)
	v_fma_f64 v[9:10], -v[2:3], v[7:8], 1.0
	v_fma_f64 v[7:8], v[7:8], v[9:10], v[7:8]
	v_div_scale_f64 v[9:10], vcc_lo, 1.0, v[0:1], 1.0
	s_delay_alu instid0(VALU_DEP_1) | instskip(NEXT) | instid1(VALU_DEP_1)
	v_mul_f64 v[11:12], v[9:10], v[7:8]
	v_fma_f64 v[2:3], -v[2:3], v[11:12], v[9:10]
	s_delay_alu instid0(VALU_DEP_1) | instskip(NEXT) | instid1(VALU_DEP_1)
	v_div_fmas_f64 v[2:3], v[2:3], v[7:8], v[11:12]
	v_div_fixup_f64 v[2:3], v[2:3], v[0:1], 1.0
	s_delay_alu instid0(VALU_DEP_1)
	v_mul_f64 v[0:1], v[5:6], v[2:3]
	v_xor_b32_e32 v3, 0x80000000, v3
.LBB122_1376:
	s_and_not1_saveexec_b32 s2, s2
	s_cbranch_execz .LBB122_1378
; %bb.1377:
	s_delay_alu instid0(VALU_DEP_1) | instskip(SKIP_1) | instid1(VALU_DEP_2)
	v_div_scale_f64 v[5:6], null, v[0:1], v[0:1], v[2:3]
	v_div_scale_f64 v[11:12], vcc_lo, v[2:3], v[0:1], v[2:3]
	v_rcp_f64_e32 v[7:8], v[5:6]
	s_waitcnt_depctr 0xfff
	v_fma_f64 v[9:10], -v[5:6], v[7:8], 1.0
	s_delay_alu instid0(VALU_DEP_1) | instskip(NEXT) | instid1(VALU_DEP_1)
	v_fma_f64 v[7:8], v[7:8], v[9:10], v[7:8]
	v_fma_f64 v[9:10], -v[5:6], v[7:8], 1.0
	s_delay_alu instid0(VALU_DEP_1) | instskip(NEXT) | instid1(VALU_DEP_1)
	v_fma_f64 v[7:8], v[7:8], v[9:10], v[7:8]
	v_mul_f64 v[9:10], v[11:12], v[7:8]
	s_delay_alu instid0(VALU_DEP_1) | instskip(NEXT) | instid1(VALU_DEP_1)
	v_fma_f64 v[5:6], -v[5:6], v[9:10], v[11:12]
	v_div_fmas_f64 v[5:6], v[5:6], v[7:8], v[9:10]
	s_delay_alu instid0(VALU_DEP_1) | instskip(NEXT) | instid1(VALU_DEP_1)
	v_div_fixup_f64 v[5:6], v[5:6], v[0:1], v[2:3]
	v_fma_f64 v[0:1], v[2:3], v[5:6], v[0:1]
	s_delay_alu instid0(VALU_DEP_1) | instskip(NEXT) | instid1(VALU_DEP_1)
	v_div_scale_f64 v[2:3], null, v[0:1], v[0:1], 1.0
	v_rcp_f64_e32 v[7:8], v[2:3]
	s_waitcnt_depctr 0xfff
	v_fma_f64 v[9:10], -v[2:3], v[7:8], 1.0
	s_delay_alu instid0(VALU_DEP_1) | instskip(NEXT) | instid1(VALU_DEP_1)
	v_fma_f64 v[7:8], v[7:8], v[9:10], v[7:8]
	v_fma_f64 v[9:10], -v[2:3], v[7:8], 1.0
	s_delay_alu instid0(VALU_DEP_1) | instskip(SKIP_1) | instid1(VALU_DEP_1)
	v_fma_f64 v[7:8], v[7:8], v[9:10], v[7:8]
	v_div_scale_f64 v[9:10], vcc_lo, 1.0, v[0:1], 1.0
	v_mul_f64 v[11:12], v[9:10], v[7:8]
	s_delay_alu instid0(VALU_DEP_1) | instskip(NEXT) | instid1(VALU_DEP_1)
	v_fma_f64 v[2:3], -v[2:3], v[11:12], v[9:10]
	v_div_fmas_f64 v[2:3], v[2:3], v[7:8], v[11:12]
	s_delay_alu instid0(VALU_DEP_1) | instskip(NEXT) | instid1(VALU_DEP_1)
	v_div_fixup_f64 v[0:1], v[2:3], v[0:1], 1.0
	v_mul_f64 v[2:3], v[5:6], -v[0:1]
.LBB122_1378:
	s_or_b32 exec_lo, exec_lo, s2
.LBB122_1379:
	s_delay_alu instid0(SALU_CYCLE_1) | instskip(NEXT) | instid1(SALU_CYCLE_1)
	s_or_b32 exec_lo, exec_lo, s3
	s_mov_b32 s2, exec_lo
	v_cmpx_ne_u32_e64 v39, v4
	s_xor_b32 s2, exec_lo, s2
	s_cbranch_execz .LBB122_1385
; %bb.1380:
	s_mov_b32 s3, exec_lo
	v_cmpx_eq_u32_e32 59, v39
	s_cbranch_execz .LBB122_1384
; %bb.1381:
	v_cmp_ne_u32_e32 vcc_lo, 59, v4
	s_xor_b32 s6, s4, -1
	s_delay_alu instid0(SALU_CYCLE_1) | instskip(NEXT) | instid1(SALU_CYCLE_1)
	s_and_b32 s7, s6, vcc_lo
	s_and_saveexec_b32 s6, s7
	s_cbranch_execz .LBB122_1383
; %bb.1382:
	v_ashrrev_i32_e32 v5, 31, v4
	s_delay_alu instid0(VALU_DEP_1) | instskip(NEXT) | instid1(VALU_DEP_1)
	v_lshlrev_b64 v[5:6], 2, v[4:5]
	v_add_co_u32 v5, vcc_lo, v18, v5
	s_delay_alu instid0(VALU_DEP_2)
	v_add_co_ci_u32_e32 v6, vcc_lo, v19, v6, vcc_lo
	s_clause 0x1
	flat_load_b32 v7, v[5:6]
	flat_load_b32 v8, v[18:19] offset:236
	s_waitcnt vmcnt(1) lgkmcnt(1)
	flat_store_b32 v[18:19], v7 offset:236
	s_waitcnt vmcnt(0) lgkmcnt(1)
	flat_store_b32 v[5:6], v8
.LBB122_1383:
	s_or_b32 exec_lo, exec_lo, s6
	v_mov_b32_e32 v39, v4
	v_mov_b32_e32 v38, v4
.LBB122_1384:
	s_or_b32 exec_lo, exec_lo, s3
.LBB122_1385:
	s_and_not1_saveexec_b32 s2, s2
	s_cbranch_execz .LBB122_1387
; %bb.1386:
	s_clause 0x1
	scratch_load_b128 v[4:7], v145, off
	scratch_load_b128 v[8:11], v144, off
	v_mov_b32_e32 v39, 59
	s_waitcnt vmcnt(1)
	ds_store_2addr_b64 v20, v[4:5], v[6:7] offset0:120 offset1:121
	s_waitcnt vmcnt(0)
	ds_store_2addr_b64 v20, v[8:9], v[10:11] offset0:122 offset1:123
.LBB122_1387:
	s_or_b32 exec_lo, exec_lo, s2
	s_delay_alu instid0(SALU_CYCLE_1)
	s_mov_b32 s2, exec_lo
	s_waitcnt lgkmcnt(0)
	s_waitcnt_vscnt null, 0x0
	s_barrier
	buffer_gl0_inv
	v_cmpx_lt_i32_e32 59, v39
	s_cbranch_execz .LBB122_1389
; %bb.1388:
	s_clause 0x2
	scratch_load_b128 v[4:7], off, off offset:944
	scratch_load_b128 v[8:11], off, off offset:960
	;; [unrolled: 1-line block ×3, first 2 shown]
	ds_load_2addr_b64 v[41:44], v20 offset0:120 offset1:121
	ds_load_2addr_b64 v[45:48], v20 offset0:122 offset1:123
	s_waitcnt vmcnt(2)
	v_mul_f64 v[16:17], v[0:1], v[6:7]
	v_mul_f64 v[6:7], v[2:3], v[6:7]
	s_delay_alu instid0(VALU_DEP_2) | instskip(NEXT) | instid1(VALU_DEP_2)
	v_fma_f64 v[2:3], v[2:3], v[4:5], v[16:17]
	v_fma_f64 v[0:1], v[0:1], v[4:5], -v[6:7]
	s_waitcnt lgkmcnt(1)
	s_delay_alu instid0(VALU_DEP_2) | instskip(SKIP_4) | instid1(VALU_DEP_4)
	v_mul_f64 v[4:5], v[43:44], v[2:3]
	v_mul_f64 v[6:7], v[41:42], v[2:3]
	s_waitcnt lgkmcnt(0)
	v_mul_f64 v[16:17], v[47:48], v[2:3]
	v_mul_f64 v[49:50], v[45:46], v[2:3]
	v_fma_f64 v[4:5], v[41:42], v[0:1], -v[4:5]
	s_delay_alu instid0(VALU_DEP_4) | instskip(NEXT) | instid1(VALU_DEP_4)
	v_fma_f64 v[6:7], v[43:44], v[0:1], v[6:7]
	v_fma_f64 v[16:17], v[45:46], v[0:1], -v[16:17]
	s_delay_alu instid0(VALU_DEP_4) | instskip(SKIP_1) | instid1(VALU_DEP_4)
	v_fma_f64 v[41:42], v[47:48], v[0:1], v[49:50]
	s_waitcnt vmcnt(1)
	v_add_f64 v[4:5], v[8:9], -v[4:5]
	s_delay_alu instid0(VALU_DEP_4) | instskip(SKIP_1) | instid1(VALU_DEP_4)
	v_add_f64 v[6:7], v[10:11], -v[6:7]
	s_waitcnt vmcnt(0)
	v_add_f64 v[8:9], v[12:13], -v[16:17]
	s_delay_alu instid0(VALU_DEP_4)
	v_add_f64 v[10:11], v[14:15], -v[41:42]
	s_clause 0x2
	scratch_store_b128 off, v[0:3], off offset:944
	scratch_store_b128 off, v[4:7], off offset:960
	;; [unrolled: 1-line block ×3, first 2 shown]
.LBB122_1389:
	s_or_b32 exec_lo, exec_lo, s2
	s_waitcnt_vscnt null, 0x0
	s_barrier
	buffer_gl0_inv
	scratch_load_b128 v[0:3], v145, off
	v_lshl_add_u32 v4, v39, 4, v20
	s_cmp_lt_i32 s5, 62
	s_waitcnt vmcnt(0)
	ds_store_2addr_b64 v4, v[0:1], v[2:3] offset1:1
	s_waitcnt lgkmcnt(0)
	s_barrier
	buffer_gl0_inv
	ds_load_2addr_b64 v[0:3], v20 offset0:120 offset1:121
	v_mov_b32_e32 v4, 60
	s_cbranch_scc1 .LBB122_1392
; %bb.1390:
	v_add3_u32 v5, v37, 0, 0x3d0
	v_mov_b32_e32 v4, 60
	s_mov_b32 s6, 61
	s_set_inst_prefetch_distance 0x1
	.p2align	6
.LBB122_1391:                           ; =>This Inner Loop Header: Depth=1
	ds_load_2addr_b64 v[6:9], v5 offset1:1
	s_waitcnt lgkmcnt(1)
	v_cmp_gt_f64_e32 vcc_lo, 0, v[0:1]
	v_xor_b32_e32 v10, 0x80000000, v1
	v_cmp_gt_f64_e64 s2, 0, v[2:3]
	v_xor_b32_e32 v12, 0x80000000, v3
	v_add_nc_u32_e32 v5, 16, v5
	s_waitcnt lgkmcnt(0)
	v_cmp_gt_f64_e64 s3, 0, v[6:7]
	v_mov_b32_e32 v14, v6
	v_dual_mov_b32 v16, v8 :: v_dual_cndmask_b32 v11, v1, v10
	v_xor_b32_e32 v10, 0x80000000, v7
	v_cndmask_b32_e64 v13, v3, v12, s2
	v_xor_b32_e32 v12, 0x80000000, v9
	s_delay_alu instid0(VALU_DEP_3) | instskip(SKIP_2) | instid1(VALU_DEP_2)
	v_cndmask_b32_e64 v15, v7, v10, s3
	v_cmp_gt_f64_e64 s3, 0, v[8:9]
	v_cndmask_b32_e32 v10, v0, v0, vcc_lo
	v_cndmask_b32_e64 v17, v9, v12, s3
	v_cndmask_b32_e64 v12, v2, v2, s2
	s_delay_alu instid0(VALU_DEP_2) | instskip(NEXT) | instid1(VALU_DEP_2)
	v_add_f64 v[14:15], v[14:15], v[16:17]
	v_add_f64 v[10:11], v[10:11], v[12:13]
	s_delay_alu instid0(VALU_DEP_1)
	v_cmp_lt_f64_e32 vcc_lo, v[10:11], v[14:15]
	v_cndmask_b32_e32 v3, v3, v9, vcc_lo
	v_dual_cndmask_b32 v1, v1, v7 :: v_dual_cndmask_b32 v0, v0, v6
	v_cndmask_b32_e32 v2, v2, v8, vcc_lo
	v_cndmask_b32_e64 v4, v4, s6, vcc_lo
	s_add_i32 s6, s6, 1
	s_delay_alu instid0(SALU_CYCLE_1)
	s_cmp_lg_u32 s5, s6
	s_cbranch_scc1 .LBB122_1391
.LBB122_1392:
	s_set_inst_prefetch_distance 0x2
	s_waitcnt lgkmcnt(0)
	v_cmp_eq_f64_e32 vcc_lo, 0, v[0:1]
	v_cmp_eq_f64_e64 s2, 0, v[2:3]
	s_delay_alu instid0(VALU_DEP_1) | instskip(NEXT) | instid1(SALU_CYCLE_1)
	s_and_b32 s2, vcc_lo, s2
	s_and_saveexec_b32 s3, s2
	s_delay_alu instid0(SALU_CYCLE_1)
	s_xor_b32 s2, exec_lo, s3
; %bb.1393:
	v_cmp_ne_u32_e32 vcc_lo, 0, v35
	v_cndmask_b32_e32 v35, 61, v35, vcc_lo
; %bb.1394:
	s_and_not1_saveexec_b32 s3, s2
	s_cbranch_execz .LBB122_1400
; %bb.1395:
	v_cmp_gt_f64_e32 vcc_lo, 0, v[0:1]
	v_cmp_gt_f64_e64 s2, 0, v[2:3]
	v_xor_b32_e32 v5, 0x80000000, v1
	v_xor_b32_e32 v7, 0x80000000, v3
	s_delay_alu instid0(VALU_DEP_2) | instskip(NEXT) | instid1(VALU_DEP_2)
	v_dual_cndmask_b32 v6, v1, v5 :: v_dual_cndmask_b32 v5, v0, v0
	v_cndmask_b32_e64 v8, v3, v7, s2
	v_cndmask_b32_e64 v7, v2, v2, s2
	s_mov_b32 s2, exec_lo
	s_delay_alu instid0(VALU_DEP_1)
	v_cmpx_ngt_f64_e32 v[5:6], v[7:8]
	s_xor_b32 s2, exec_lo, s2
	s_cbranch_execz .LBB122_1397
; %bb.1396:
	v_div_scale_f64 v[5:6], null, v[2:3], v[2:3], v[0:1]
	v_div_scale_f64 v[11:12], vcc_lo, v[0:1], v[2:3], v[0:1]
	s_delay_alu instid0(VALU_DEP_2) | instskip(SKIP_2) | instid1(VALU_DEP_1)
	v_rcp_f64_e32 v[7:8], v[5:6]
	s_waitcnt_depctr 0xfff
	v_fma_f64 v[9:10], -v[5:6], v[7:8], 1.0
	v_fma_f64 v[7:8], v[7:8], v[9:10], v[7:8]
	s_delay_alu instid0(VALU_DEP_1) | instskip(NEXT) | instid1(VALU_DEP_1)
	v_fma_f64 v[9:10], -v[5:6], v[7:8], 1.0
	v_fma_f64 v[7:8], v[7:8], v[9:10], v[7:8]
	s_delay_alu instid0(VALU_DEP_1) | instskip(NEXT) | instid1(VALU_DEP_1)
	v_mul_f64 v[9:10], v[11:12], v[7:8]
	v_fma_f64 v[5:6], -v[5:6], v[9:10], v[11:12]
	s_delay_alu instid0(VALU_DEP_1) | instskip(NEXT) | instid1(VALU_DEP_1)
	v_div_fmas_f64 v[5:6], v[5:6], v[7:8], v[9:10]
	v_div_fixup_f64 v[5:6], v[5:6], v[2:3], v[0:1]
	s_delay_alu instid0(VALU_DEP_1) | instskip(NEXT) | instid1(VALU_DEP_1)
	v_fma_f64 v[0:1], v[0:1], v[5:6], v[2:3]
	v_div_scale_f64 v[2:3], null, v[0:1], v[0:1], 1.0
	s_delay_alu instid0(VALU_DEP_1) | instskip(SKIP_2) | instid1(VALU_DEP_1)
	v_rcp_f64_e32 v[7:8], v[2:3]
	s_waitcnt_depctr 0xfff
	v_fma_f64 v[9:10], -v[2:3], v[7:8], 1.0
	v_fma_f64 v[7:8], v[7:8], v[9:10], v[7:8]
	s_delay_alu instid0(VALU_DEP_1) | instskip(NEXT) | instid1(VALU_DEP_1)
	v_fma_f64 v[9:10], -v[2:3], v[7:8], 1.0
	v_fma_f64 v[7:8], v[7:8], v[9:10], v[7:8]
	v_div_scale_f64 v[9:10], vcc_lo, 1.0, v[0:1], 1.0
	s_delay_alu instid0(VALU_DEP_1) | instskip(NEXT) | instid1(VALU_DEP_1)
	v_mul_f64 v[11:12], v[9:10], v[7:8]
	v_fma_f64 v[2:3], -v[2:3], v[11:12], v[9:10]
	s_delay_alu instid0(VALU_DEP_1) | instskip(NEXT) | instid1(VALU_DEP_1)
	v_div_fmas_f64 v[2:3], v[2:3], v[7:8], v[11:12]
	v_div_fixup_f64 v[2:3], v[2:3], v[0:1], 1.0
	s_delay_alu instid0(VALU_DEP_1)
	v_mul_f64 v[0:1], v[5:6], v[2:3]
	v_xor_b32_e32 v3, 0x80000000, v3
.LBB122_1397:
	s_and_not1_saveexec_b32 s2, s2
	s_cbranch_execz .LBB122_1399
; %bb.1398:
	s_delay_alu instid0(VALU_DEP_1) | instskip(SKIP_1) | instid1(VALU_DEP_2)
	v_div_scale_f64 v[5:6], null, v[0:1], v[0:1], v[2:3]
	v_div_scale_f64 v[11:12], vcc_lo, v[2:3], v[0:1], v[2:3]
	v_rcp_f64_e32 v[7:8], v[5:6]
	s_waitcnt_depctr 0xfff
	v_fma_f64 v[9:10], -v[5:6], v[7:8], 1.0
	s_delay_alu instid0(VALU_DEP_1) | instskip(NEXT) | instid1(VALU_DEP_1)
	v_fma_f64 v[7:8], v[7:8], v[9:10], v[7:8]
	v_fma_f64 v[9:10], -v[5:6], v[7:8], 1.0
	s_delay_alu instid0(VALU_DEP_1) | instskip(NEXT) | instid1(VALU_DEP_1)
	v_fma_f64 v[7:8], v[7:8], v[9:10], v[7:8]
	v_mul_f64 v[9:10], v[11:12], v[7:8]
	s_delay_alu instid0(VALU_DEP_1) | instskip(NEXT) | instid1(VALU_DEP_1)
	v_fma_f64 v[5:6], -v[5:6], v[9:10], v[11:12]
	v_div_fmas_f64 v[5:6], v[5:6], v[7:8], v[9:10]
	s_delay_alu instid0(VALU_DEP_1) | instskip(NEXT) | instid1(VALU_DEP_1)
	v_div_fixup_f64 v[5:6], v[5:6], v[0:1], v[2:3]
	v_fma_f64 v[0:1], v[2:3], v[5:6], v[0:1]
	s_delay_alu instid0(VALU_DEP_1) | instskip(NEXT) | instid1(VALU_DEP_1)
	v_div_scale_f64 v[2:3], null, v[0:1], v[0:1], 1.0
	v_rcp_f64_e32 v[7:8], v[2:3]
	s_waitcnt_depctr 0xfff
	v_fma_f64 v[9:10], -v[2:3], v[7:8], 1.0
	s_delay_alu instid0(VALU_DEP_1) | instskip(NEXT) | instid1(VALU_DEP_1)
	v_fma_f64 v[7:8], v[7:8], v[9:10], v[7:8]
	v_fma_f64 v[9:10], -v[2:3], v[7:8], 1.0
	s_delay_alu instid0(VALU_DEP_1) | instskip(SKIP_1) | instid1(VALU_DEP_1)
	v_fma_f64 v[7:8], v[7:8], v[9:10], v[7:8]
	v_div_scale_f64 v[9:10], vcc_lo, 1.0, v[0:1], 1.0
	v_mul_f64 v[11:12], v[9:10], v[7:8]
	s_delay_alu instid0(VALU_DEP_1) | instskip(NEXT) | instid1(VALU_DEP_1)
	v_fma_f64 v[2:3], -v[2:3], v[11:12], v[9:10]
	v_div_fmas_f64 v[2:3], v[2:3], v[7:8], v[11:12]
	s_delay_alu instid0(VALU_DEP_1) | instskip(NEXT) | instid1(VALU_DEP_1)
	v_div_fixup_f64 v[0:1], v[2:3], v[0:1], 1.0
	v_mul_f64 v[2:3], v[5:6], -v[0:1]
.LBB122_1399:
	s_or_b32 exec_lo, exec_lo, s2
.LBB122_1400:
	s_delay_alu instid0(SALU_CYCLE_1) | instskip(NEXT) | instid1(SALU_CYCLE_1)
	s_or_b32 exec_lo, exec_lo, s3
	s_mov_b32 s2, exec_lo
	v_cmpx_ne_u32_e64 v39, v4
	s_xor_b32 s2, exec_lo, s2
	s_cbranch_execz .LBB122_1406
; %bb.1401:
	s_mov_b32 s3, exec_lo
	v_cmpx_eq_u32_e32 60, v39
	s_cbranch_execz .LBB122_1405
; %bb.1402:
	v_cmp_ne_u32_e32 vcc_lo, 60, v4
	s_xor_b32 s6, s4, -1
	s_delay_alu instid0(SALU_CYCLE_1) | instskip(NEXT) | instid1(SALU_CYCLE_1)
	s_and_b32 s7, s6, vcc_lo
	s_and_saveexec_b32 s6, s7
	s_cbranch_execz .LBB122_1404
; %bb.1403:
	v_ashrrev_i32_e32 v5, 31, v4
	s_delay_alu instid0(VALU_DEP_1) | instskip(NEXT) | instid1(VALU_DEP_1)
	v_lshlrev_b64 v[5:6], 2, v[4:5]
	v_add_co_u32 v5, vcc_lo, v18, v5
	s_delay_alu instid0(VALU_DEP_2)
	v_add_co_ci_u32_e32 v6, vcc_lo, v19, v6, vcc_lo
	s_clause 0x1
	flat_load_b32 v7, v[5:6]
	flat_load_b32 v8, v[18:19] offset:240
	s_waitcnt vmcnt(1) lgkmcnt(1)
	flat_store_b32 v[18:19], v7 offset:240
	s_waitcnt vmcnt(0) lgkmcnt(1)
	flat_store_b32 v[5:6], v8
.LBB122_1404:
	s_or_b32 exec_lo, exec_lo, s6
	v_mov_b32_e32 v39, v4
	v_mov_b32_e32 v38, v4
.LBB122_1405:
	s_or_b32 exec_lo, exec_lo, s3
.LBB122_1406:
	s_and_not1_saveexec_b32 s2, s2
	s_cbranch_execz .LBB122_1408
; %bb.1407:
	scratch_load_b128 v[4:7], v144, off
	v_mov_b32_e32 v39, 60
	s_waitcnt vmcnt(0)
	ds_store_2addr_b64 v20, v[4:5], v[6:7] offset0:122 offset1:123
.LBB122_1408:
	s_or_b32 exec_lo, exec_lo, s2
	s_delay_alu instid0(SALU_CYCLE_1)
	s_mov_b32 s2, exec_lo
	s_waitcnt lgkmcnt(0)
	s_waitcnt_vscnt null, 0x0
	s_barrier
	buffer_gl0_inv
	v_cmpx_lt_i32_e32 60, v39
	s_cbranch_execz .LBB122_1410
; %bb.1409:
	s_clause 0x1
	scratch_load_b128 v[4:7], off, off offset:960
	scratch_load_b128 v[8:11], off, off offset:976
	s_waitcnt vmcnt(1)
	v_mul_f64 v[12:13], v[0:1], v[6:7]
	v_mul_f64 v[6:7], v[2:3], v[6:7]
	s_delay_alu instid0(VALU_DEP_2)
	v_fma_f64 v[2:3], v[2:3], v[4:5], v[12:13]
	ds_load_2addr_b64 v[12:15], v20 offset0:122 offset1:123
	v_fma_f64 v[0:1], v[0:1], v[4:5], -v[6:7]
	s_waitcnt lgkmcnt(0)
	v_mul_f64 v[4:5], v[14:15], v[2:3]
	v_mul_f64 v[6:7], v[12:13], v[2:3]
	s_delay_alu instid0(VALU_DEP_2) | instskip(NEXT) | instid1(VALU_DEP_2)
	v_fma_f64 v[4:5], v[12:13], v[0:1], -v[4:5]
	v_fma_f64 v[6:7], v[14:15], v[0:1], v[6:7]
	s_waitcnt vmcnt(0)
	s_delay_alu instid0(VALU_DEP_2) | instskip(NEXT) | instid1(VALU_DEP_2)
	v_add_f64 v[4:5], v[8:9], -v[4:5]
	v_add_f64 v[6:7], v[10:11], -v[6:7]
	s_clause 0x1
	scratch_store_b128 off, v[0:3], off offset:960
	scratch_store_b128 off, v[4:7], off offset:976
.LBB122_1410:
	s_or_b32 exec_lo, exec_lo, s2
	s_waitcnt_vscnt null, 0x0
	s_barrier
	buffer_gl0_inv
	scratch_load_b128 v[0:3], v144, off
	v_lshl_add_u32 v4, v39, 4, v20
	s_cmp_lt_i32 s5, 63
	s_waitcnt vmcnt(0)
	ds_store_2addr_b64 v4, v[0:1], v[2:3] offset1:1
	s_waitcnt lgkmcnt(0)
	s_barrier
	buffer_gl0_inv
	ds_load_2addr_b64 v[0:3], v20 offset0:122 offset1:123
	v_mov_b32_e32 v4, 61
	s_cbranch_scc1 .LBB122_1413
; %bb.1411:
	v_add3_u32 v5, v37, 0, 0x3e0
	v_mov_b32_e32 v4, 61
	s_mov_b32 s6, 62
	s_set_inst_prefetch_distance 0x1
	.p2align	6
.LBB122_1412:                           ; =>This Inner Loop Header: Depth=1
	ds_load_2addr_b64 v[6:9], v5 offset1:1
	s_waitcnt lgkmcnt(1)
	v_cmp_gt_f64_e32 vcc_lo, 0, v[0:1]
	v_xor_b32_e32 v10, 0x80000000, v1
	v_cmp_gt_f64_e64 s2, 0, v[2:3]
	v_xor_b32_e32 v12, 0x80000000, v3
	v_add_nc_u32_e32 v5, 16, v5
	s_waitcnt lgkmcnt(0)
	v_cmp_gt_f64_e64 s3, 0, v[6:7]
	v_mov_b32_e32 v14, v6
	v_dual_mov_b32 v16, v8 :: v_dual_cndmask_b32 v11, v1, v10
	v_xor_b32_e32 v10, 0x80000000, v7
	v_cndmask_b32_e64 v13, v3, v12, s2
	v_xor_b32_e32 v12, 0x80000000, v9
	s_delay_alu instid0(VALU_DEP_3) | instskip(SKIP_2) | instid1(VALU_DEP_2)
	v_cndmask_b32_e64 v15, v7, v10, s3
	v_cmp_gt_f64_e64 s3, 0, v[8:9]
	v_cndmask_b32_e32 v10, v0, v0, vcc_lo
	v_cndmask_b32_e64 v17, v9, v12, s3
	v_cndmask_b32_e64 v12, v2, v2, s2
	s_delay_alu instid0(VALU_DEP_2) | instskip(NEXT) | instid1(VALU_DEP_2)
	v_add_f64 v[14:15], v[14:15], v[16:17]
	v_add_f64 v[10:11], v[10:11], v[12:13]
	s_delay_alu instid0(VALU_DEP_1)
	v_cmp_lt_f64_e32 vcc_lo, v[10:11], v[14:15]
	v_cndmask_b32_e32 v3, v3, v9, vcc_lo
	v_dual_cndmask_b32 v1, v1, v7 :: v_dual_cndmask_b32 v0, v0, v6
	v_cndmask_b32_e32 v2, v2, v8, vcc_lo
	v_cndmask_b32_e64 v4, v4, s6, vcc_lo
	s_add_i32 s6, s6, 1
	s_delay_alu instid0(SALU_CYCLE_1)
	s_cmp_lg_u32 s5, s6
	s_cbranch_scc1 .LBB122_1412
.LBB122_1413:
	s_set_inst_prefetch_distance 0x2
	s_waitcnt lgkmcnt(0)
	v_cmp_eq_f64_e32 vcc_lo, 0, v[0:1]
	v_cmp_eq_f64_e64 s2, 0, v[2:3]
	s_delay_alu instid0(VALU_DEP_1) | instskip(NEXT) | instid1(SALU_CYCLE_1)
	s_and_b32 s2, vcc_lo, s2
	s_and_saveexec_b32 s3, s2
	s_delay_alu instid0(SALU_CYCLE_1)
	s_xor_b32 s2, exec_lo, s3
; %bb.1414:
	v_cmp_ne_u32_e32 vcc_lo, 0, v35
	v_cndmask_b32_e32 v35, 62, v35, vcc_lo
; %bb.1415:
	s_and_not1_saveexec_b32 s3, s2
	s_cbranch_execz .LBB122_1421
; %bb.1416:
	v_cmp_gt_f64_e32 vcc_lo, 0, v[0:1]
	v_cmp_gt_f64_e64 s2, 0, v[2:3]
	v_xor_b32_e32 v5, 0x80000000, v1
	v_xor_b32_e32 v7, 0x80000000, v3
	s_delay_alu instid0(VALU_DEP_2) | instskip(NEXT) | instid1(VALU_DEP_2)
	v_dual_cndmask_b32 v6, v1, v5 :: v_dual_cndmask_b32 v5, v0, v0
	v_cndmask_b32_e64 v8, v3, v7, s2
	v_cndmask_b32_e64 v7, v2, v2, s2
	s_mov_b32 s2, exec_lo
	s_delay_alu instid0(VALU_DEP_1)
	v_cmpx_ngt_f64_e32 v[5:6], v[7:8]
	s_xor_b32 s2, exec_lo, s2
	s_cbranch_execz .LBB122_1418
; %bb.1417:
	v_div_scale_f64 v[5:6], null, v[2:3], v[2:3], v[0:1]
	v_div_scale_f64 v[11:12], vcc_lo, v[0:1], v[2:3], v[0:1]
	s_delay_alu instid0(VALU_DEP_2) | instskip(SKIP_2) | instid1(VALU_DEP_1)
	v_rcp_f64_e32 v[7:8], v[5:6]
	s_waitcnt_depctr 0xfff
	v_fma_f64 v[9:10], -v[5:6], v[7:8], 1.0
	v_fma_f64 v[7:8], v[7:8], v[9:10], v[7:8]
	s_delay_alu instid0(VALU_DEP_1) | instskip(NEXT) | instid1(VALU_DEP_1)
	v_fma_f64 v[9:10], -v[5:6], v[7:8], 1.0
	v_fma_f64 v[7:8], v[7:8], v[9:10], v[7:8]
	s_delay_alu instid0(VALU_DEP_1) | instskip(NEXT) | instid1(VALU_DEP_1)
	v_mul_f64 v[9:10], v[11:12], v[7:8]
	v_fma_f64 v[5:6], -v[5:6], v[9:10], v[11:12]
	s_delay_alu instid0(VALU_DEP_1) | instskip(NEXT) | instid1(VALU_DEP_1)
	v_div_fmas_f64 v[5:6], v[5:6], v[7:8], v[9:10]
	v_div_fixup_f64 v[5:6], v[5:6], v[2:3], v[0:1]
	s_delay_alu instid0(VALU_DEP_1) | instskip(NEXT) | instid1(VALU_DEP_1)
	v_fma_f64 v[0:1], v[0:1], v[5:6], v[2:3]
	v_div_scale_f64 v[2:3], null, v[0:1], v[0:1], 1.0
	s_delay_alu instid0(VALU_DEP_1) | instskip(SKIP_2) | instid1(VALU_DEP_1)
	v_rcp_f64_e32 v[7:8], v[2:3]
	s_waitcnt_depctr 0xfff
	v_fma_f64 v[9:10], -v[2:3], v[7:8], 1.0
	v_fma_f64 v[7:8], v[7:8], v[9:10], v[7:8]
	s_delay_alu instid0(VALU_DEP_1) | instskip(NEXT) | instid1(VALU_DEP_1)
	v_fma_f64 v[9:10], -v[2:3], v[7:8], 1.0
	v_fma_f64 v[7:8], v[7:8], v[9:10], v[7:8]
	v_div_scale_f64 v[9:10], vcc_lo, 1.0, v[0:1], 1.0
	s_delay_alu instid0(VALU_DEP_1) | instskip(NEXT) | instid1(VALU_DEP_1)
	v_mul_f64 v[11:12], v[9:10], v[7:8]
	v_fma_f64 v[2:3], -v[2:3], v[11:12], v[9:10]
	s_delay_alu instid0(VALU_DEP_1) | instskip(NEXT) | instid1(VALU_DEP_1)
	v_div_fmas_f64 v[2:3], v[2:3], v[7:8], v[11:12]
	v_div_fixup_f64 v[2:3], v[2:3], v[0:1], 1.0
	s_delay_alu instid0(VALU_DEP_1)
	v_mul_f64 v[0:1], v[5:6], v[2:3]
	v_xor_b32_e32 v3, 0x80000000, v3
.LBB122_1418:
	s_and_not1_saveexec_b32 s2, s2
	s_cbranch_execz .LBB122_1420
; %bb.1419:
	s_delay_alu instid0(VALU_DEP_1) | instskip(SKIP_1) | instid1(VALU_DEP_2)
	v_div_scale_f64 v[5:6], null, v[0:1], v[0:1], v[2:3]
	v_div_scale_f64 v[11:12], vcc_lo, v[2:3], v[0:1], v[2:3]
	v_rcp_f64_e32 v[7:8], v[5:6]
	s_waitcnt_depctr 0xfff
	v_fma_f64 v[9:10], -v[5:6], v[7:8], 1.0
	s_delay_alu instid0(VALU_DEP_1) | instskip(NEXT) | instid1(VALU_DEP_1)
	v_fma_f64 v[7:8], v[7:8], v[9:10], v[7:8]
	v_fma_f64 v[9:10], -v[5:6], v[7:8], 1.0
	s_delay_alu instid0(VALU_DEP_1) | instskip(NEXT) | instid1(VALU_DEP_1)
	v_fma_f64 v[7:8], v[7:8], v[9:10], v[7:8]
	v_mul_f64 v[9:10], v[11:12], v[7:8]
	s_delay_alu instid0(VALU_DEP_1) | instskip(NEXT) | instid1(VALU_DEP_1)
	v_fma_f64 v[5:6], -v[5:6], v[9:10], v[11:12]
	v_div_fmas_f64 v[5:6], v[5:6], v[7:8], v[9:10]
	s_delay_alu instid0(VALU_DEP_1) | instskip(NEXT) | instid1(VALU_DEP_1)
	v_div_fixup_f64 v[5:6], v[5:6], v[0:1], v[2:3]
	v_fma_f64 v[0:1], v[2:3], v[5:6], v[0:1]
	s_delay_alu instid0(VALU_DEP_1) | instskip(NEXT) | instid1(VALU_DEP_1)
	v_div_scale_f64 v[2:3], null, v[0:1], v[0:1], 1.0
	v_rcp_f64_e32 v[7:8], v[2:3]
	s_waitcnt_depctr 0xfff
	v_fma_f64 v[9:10], -v[2:3], v[7:8], 1.0
	s_delay_alu instid0(VALU_DEP_1) | instskip(NEXT) | instid1(VALU_DEP_1)
	v_fma_f64 v[7:8], v[7:8], v[9:10], v[7:8]
	v_fma_f64 v[9:10], -v[2:3], v[7:8], 1.0
	s_delay_alu instid0(VALU_DEP_1) | instskip(SKIP_1) | instid1(VALU_DEP_1)
	v_fma_f64 v[7:8], v[7:8], v[9:10], v[7:8]
	v_div_scale_f64 v[9:10], vcc_lo, 1.0, v[0:1], 1.0
	v_mul_f64 v[11:12], v[9:10], v[7:8]
	s_delay_alu instid0(VALU_DEP_1) | instskip(NEXT) | instid1(VALU_DEP_1)
	v_fma_f64 v[2:3], -v[2:3], v[11:12], v[9:10]
	v_div_fmas_f64 v[2:3], v[2:3], v[7:8], v[11:12]
	s_delay_alu instid0(VALU_DEP_1) | instskip(NEXT) | instid1(VALU_DEP_1)
	v_div_fixup_f64 v[0:1], v[2:3], v[0:1], 1.0
	v_mul_f64 v[2:3], v[5:6], -v[0:1]
.LBB122_1420:
	s_or_b32 exec_lo, exec_lo, s2
.LBB122_1421:
	s_delay_alu instid0(SALU_CYCLE_1)
	s_or_b32 exec_lo, exec_lo, s3
	v_mov_b32_e32 v140, 61
	s_mov_b32 s2, exec_lo
	v_cmpx_ne_u32_e64 v39, v4
	s_cbranch_execz .LBB122_1427
; %bb.1422:
	s_mov_b32 s3, exec_lo
	v_cmpx_eq_u32_e32 61, v39
	s_cbranch_execz .LBB122_1426
; %bb.1423:
	v_cmp_ne_u32_e32 vcc_lo, 61, v4
	s_xor_b32 s4, s4, -1
	s_delay_alu instid0(SALU_CYCLE_1) | instskip(NEXT) | instid1(SALU_CYCLE_1)
	s_and_b32 s5, s4, vcc_lo
	s_and_saveexec_b32 s4, s5
	s_cbranch_execz .LBB122_1425
; %bb.1424:
	v_ashrrev_i32_e32 v5, 31, v4
	s_delay_alu instid0(VALU_DEP_1) | instskip(NEXT) | instid1(VALU_DEP_1)
	v_lshlrev_b64 v[5:6], 2, v[4:5]
	v_add_co_u32 v5, vcc_lo, v18, v5
	s_delay_alu instid0(VALU_DEP_2)
	v_add_co_ci_u32_e32 v6, vcc_lo, v19, v6, vcc_lo
	s_clause 0x1
	flat_load_b32 v7, v[5:6]
	flat_load_b32 v8, v[18:19] offset:244
	s_waitcnt vmcnt(1) lgkmcnt(1)
	flat_store_b32 v[18:19], v7 offset:244
	s_waitcnt vmcnt(0) lgkmcnt(1)
	flat_store_b32 v[5:6], v8
.LBB122_1425:
	s_or_b32 exec_lo, exec_lo, s4
	v_mov_b32_e32 v39, v4
	v_mov_b32_e32 v38, v4
.LBB122_1426:
	s_or_b32 exec_lo, exec_lo, s3
	s_delay_alu instid0(VALU_DEP_2)
	v_mov_b32_e32 v140, v39
.LBB122_1427:
	s_or_b32 exec_lo, exec_lo, s2
	s_delay_alu instid0(SALU_CYCLE_1)
	s_mov_b32 s2, exec_lo
	s_waitcnt lgkmcnt(0)
	s_waitcnt_vscnt null, 0x0
	s_barrier
	buffer_gl0_inv
	v_cmpx_lt_i32_e32 61, v140
	s_cbranch_execz .LBB122_1429
; %bb.1428:
	scratch_load_b128 v[4:7], off, off offset:976
	s_waitcnt vmcnt(0)
	v_mul_f64 v[8:9], v[2:3], v[6:7]
	v_mul_f64 v[6:7], v[0:1], v[6:7]
	s_delay_alu instid0(VALU_DEP_2) | instskip(NEXT) | instid1(VALU_DEP_2)
	v_fma_f64 v[0:1], v[0:1], v[4:5], -v[8:9]
	v_fma_f64 v[2:3], v[2:3], v[4:5], v[6:7]
	scratch_store_b128 off, v[0:3], off offset:976
.LBB122_1429:
	s_or_b32 exec_lo, exec_lo, s2
	s_load_b256 s[0:7], s[0:1], 0x28
	v_ashrrev_i32_e32 v141, 31, v140
	s_mov_b32 s9, exec_lo
	s_waitcnt lgkmcnt(0)
	s_waitcnt_vscnt null, 0x0
	s_barrier
	buffer_gl0_inv
	v_cmpx_gt_i32_e32 62, v140
	s_cbranch_execz .LBB122_1431
; %bb.1430:
	scratch_load_b64 v[4:5], off, off offset:992 ; 8-byte Folded Reload
	s_lshl_b64 s[2:3], s[2:3], 2
	s_delay_alu instid0(SALU_CYCLE_1)
	s_add_u32 s0, s2, s0
	s_addc_u32 s1, s3, s1
	s_waitcnt vmcnt(0)
	v_mul_lo_u32 v2, v5, s4
	v_mul_lo_u32 v3, v4, s5
	v_mad_u64_u32 v[0:1], null, v4, s4, 0
	s_delay_alu instid0(VALU_DEP_1) | instskip(SKIP_1) | instid1(VALU_DEP_2)
	v_add3_u32 v1, v1, v3, v2
	v_lshlrev_b64 v[2:3], 2, v[140:141]
	v_lshlrev_b64 v[0:1], 2, v[0:1]
	s_delay_alu instid0(VALU_DEP_1) | instskip(NEXT) | instid1(VALU_DEP_2)
	v_add_co_u32 v0, vcc_lo, s0, v0
	v_add_co_ci_u32_e32 v1, vcc_lo, s1, v1, vcc_lo
	s_delay_alu instid0(VALU_DEP_2) | instskip(NEXT) | instid1(VALU_DEP_2)
	v_add_co_u32 v0, vcc_lo, v0, v2
	v_add_co_ci_u32_e32 v1, vcc_lo, v1, v3, vcc_lo
	v_add3_u32 v2, v38, s13, 1
	global_store_b32 v[0:1], v2, off
.LBB122_1431:
	s_or_b32 exec_lo, exec_lo, s9
	s_delay_alu instid0(SALU_CYCLE_1)
	s_mov_b32 s1, exec_lo
	v_cmpx_eq_u32_e32 0, v140
	s_cbranch_execz .LBB122_1434
; %bb.1432:
	scratch_load_b64 v[0:1], off, off offset:992 ; 8-byte Folded Reload
	v_cmp_lt_i32_e64 s0, 0, v35
	s_waitcnt vmcnt(0)
	v_lshlrev_b64 v[0:1], 2, v[0:1]
	s_delay_alu instid0(VALU_DEP_1) | instskip(NEXT) | instid1(VALU_DEP_2)
	v_add_co_u32 v0, vcc_lo, s6, v0
	v_add_co_ci_u32_e32 v1, vcc_lo, s7, v1, vcc_lo
	global_load_b32 v2, v[0:1], off
	s_waitcnt vmcnt(0)
	v_cmp_eq_u32_e32 vcc_lo, 0, v2
	s_and_b32 s0, vcc_lo, s0
	s_delay_alu instid0(SALU_CYCLE_1)
	s_and_b32 exec_lo, exec_lo, s0
	s_cbranch_execz .LBB122_1434
; %bb.1433:
	v_add_nc_u32_e32 v2, s13, v35
	global_store_b32 v[0:1], v2, off
.LBB122_1434:
	s_or_b32 exec_lo, exec_lo, s1
	scratch_load_b128 v[80:83], off, off
	s_clause 0x1f
	scratch_load_b128 v[72:75], v34, off
	scratch_load_b128 v[64:67], v33, off
	;; [unrolled: 1-line block ×32, first 2 shown]
	s_clause 0x10
	scratch_load_b128 v[132:135], v132, off
	scratch_load_b128 v[136:139], v136, off
	;; [unrolled: 1-line block ×17, first 2 shown]
	v_lshlrev_b64 v[230:231], 4, v[140:141]
	v_add3_u32 v140, s8, s8, v140
	s_clause 0x3
	scratch_load_b128 v[218:221], v155, off
	scratch_load_b128 v[154:157], v154, off
	;; [unrolled: 1-line block ×4, first 2 shown]
	v_add_nc_u32_e32 v232, s8, v140
	v_ashrrev_i32_e32 v141, 31, v140
	v_add_co_u32 v230, vcc_lo, v142, v230
	v_add_co_ci_u32_e32 v231, vcc_lo, v143, v231, vcc_lo
	s_delay_alu instid0(VALU_DEP_4) | instskip(SKIP_2) | instid1(VALU_DEP_3)
	v_add_nc_u32_e32 v152, s8, v232
	v_ashrrev_i32_e32 v233, 31, v232
	v_lshlrev_b64 v[140:141], 4, v[140:141]
	v_add_nc_u32_e32 v234, s8, v152
	v_ashrrev_i32_e32 v153, 31, v152
	s_delay_alu instid0(VALU_DEP_4) | instskip(NEXT) | instid1(VALU_DEP_4)
	v_lshlrev_b64 v[232:233], 4, v[232:233]
	v_add_co_u32 v140, vcc_lo, v142, v140
	s_delay_alu instid0(VALU_DEP_4) | instskip(SKIP_3) | instid1(VALU_DEP_4)
	v_add_nc_u32_e32 v236, s8, v234
	v_ashrrev_i32_e32 v235, 31, v234
	v_lshlrev_b64 v[152:153], 4, v[152:153]
	v_add_co_ci_u32_e32 v141, vcc_lo, v143, v141, vcc_lo
	v_add_nc_u32_e32 v238, s8, v236
	v_ashrrev_i32_e32 v237, 31, v236
	v_add_co_u32 v232, vcc_lo, v142, v232
	v_lshlrev_b64 v[234:235], 4, v[234:235]
	s_delay_alu instid0(VALU_DEP_4) | instskip(SKIP_3) | instid1(VALU_DEP_4)
	v_add_nc_u32_e32 v240, s8, v238
	v_ashrrev_i32_e32 v239, 31, v238
	v_add_co_ci_u32_e32 v233, vcc_lo, v143, v233, vcc_lo
	v_add_co_u32 v152, vcc_lo, v142, v152
	v_add_nc_u32_e32 v242, s8, v240
	v_lshlrev_b64 v[236:237], 4, v[236:237]
	v_ashrrev_i32_e32 v241, 31, v240
	v_add_co_ci_u32_e32 v153, vcc_lo, v143, v153, vcc_lo
	v_add_co_u32 v234, vcc_lo, v142, v234
	v_lshlrev_b64 v[238:239], 4, v[238:239]
	v_add_nc_u32_e32 v244, s8, v242
	v_ashrrev_i32_e32 v243, 31, v242
	v_add_co_ci_u32_e32 v235, vcc_lo, v143, v235, vcc_lo
	v_add_co_u32 v236, vcc_lo, v142, v236
	v_lshlrev_b64 v[240:241], 4, v[240:241]
	v_add_co_ci_u32_e32 v237, vcc_lo, v143, v237, vcc_lo
	v_add_nc_u32_e32 v246, s8, v244
	v_add_co_u32 v238, vcc_lo, v142, v238
	v_lshlrev_b64 v[242:243], 4, v[242:243]
	v_add_co_ci_u32_e32 v239, vcc_lo, v143, v239, vcc_lo
	v_add_co_u32 v240, vcc_lo, v142, v240
	v_add_nc_u32_e32 v248, s8, v246
	v_ashrrev_i32_e32 v245, 31, v244
	v_add_co_ci_u32_e32 v241, vcc_lo, v143, v241, vcc_lo
	v_add_co_u32 v242, vcc_lo, v142, v242
	v_ashrrev_i32_e32 v247, 31, v246
	v_add_co_ci_u32_e32 v243, vcc_lo, v143, v243, vcc_lo
	v_add_co_u32 v250, vcc_lo, v230, s10
	v_ashrrev_i32_e32 v249, 31, v248
	v_lshlrev_b64 v[244:245], 4, v[244:245]
	v_lshlrev_b64 v[246:247], 4, v[246:247]
	v_add_co_ci_u32_e32 v251, vcc_lo, s11, v231, vcc_lo
	s_delay_alu instid0(VALU_DEP_3) | instskip(NEXT) | instid1(VALU_DEP_4)
	v_add_co_u32 v244, vcc_lo, v142, v244
	v_add_co_ci_u32_e32 v245, vcc_lo, v143, v245, vcc_lo
	s_delay_alu instid0(VALU_DEP_4)
	v_add_co_u32 v246, vcc_lo, v142, v246
	v_add_co_ci_u32_e32 v247, vcc_lo, v143, v247, vcc_lo
	s_waitcnt vmcnt(53)
	global_store_b128 v[230:231], v[80:83], off
	v_add_nc_u32_e32 v230, s8, v248
	v_lshlrev_b64 v[80:81], 4, v[248:249]
	s_waitcnt vmcnt(52)
	global_store_b128 v[250:251], v[72:75], off
	v_add_nc_u32_e32 v248, s8, v230
	v_ashrrev_i32_e32 v231, 31, v230
	v_add_co_u32 v252, vcc_lo, v142, v80
	v_add_co_ci_u32_e32 v253, vcc_lo, v143, v81, vcc_lo
	s_delay_alu instid0(VALU_DEP_4)
	v_add_nc_u32_e32 v254, s8, v248
	v_ashrrev_i32_e32 v249, 31, v248
	s_clause 0x1
	scratch_load_b128 v[72:75], v151, off
	scratch_load_b128 v[80:83], v150, off
	s_waitcnt vmcnt(53)
	global_store_b128 v[140:141], v[64:67], off
	v_lshlrev_b64 v[150:151], 4, v[230:231]
	v_add_nc_u32_e32 v140, s8, v254
	v_ashrrev_i32_e32 v255, 31, v254
	v_lshlrev_b64 v[230:231], 4, v[248:249]
	s_waitcnt vmcnt(52)
	global_store_b128 v[232:233], v[56:59], off
	v_add_nc_u32_e32 v248, s8, v140
	v_add_co_u32 v150, vcc_lo, v142, v150
	v_lshlrev_b64 v[64:65], 4, v[254:255]
	v_add_co_ci_u32_e32 v151, vcc_lo, v143, v151, vcc_lo
	v_ashrrev_i32_e32 v141, 31, v140
	v_add_co_u32 v230, vcc_lo, v142, v230
	v_add_nc_u32_e32 v254, s8, v248
	v_add_co_ci_u32_e32 v231, vcc_lo, v143, v231, vcc_lo
	v_ashrrev_i32_e32 v249, 31, v248
	v_add_co_u32 v250, vcc_lo, v142, v64
	v_add_co_ci_u32_e32 v251, vcc_lo, v143, v65, vcc_lo
	s_clause 0x1
	scratch_load_b128 v[56:59], v149, off
	scratch_load_b128 v[64:67], v148, off
	v_lshlrev_b64 v[140:141], 4, v[140:141]
	s_waitcnt vmcnt(53)
	global_store_b128 v[152:153], v[48:51], off
	v_add_nc_u32_e32 v152, s8, v254
	v_ashrrev_i32_e32 v255, 31, v254
	v_lshlrev_b64 v[148:149], 4, v[248:249]
	s_waitcnt vmcnt(52)
	global_store_b128 v[234:235], v[44:47], off
	v_add_co_u32 v140, vcc_lo, v142, v140
	v_add_nc_u32_e32 v232, s8, v152
	v_lshlrev_b64 v[48:49], 4, v[254:255]
	v_add_co_ci_u32_e32 v141, vcc_lo, v143, v141, vcc_lo
	v_ashrrev_i32_e32 v153, 31, v152
	v_add_co_u32 v148, vcc_lo, v142, v148
	v_add_nc_u32_e32 v254, s8, v232
	v_add_co_ci_u32_e32 v149, vcc_lo, v143, v149, vcc_lo
	v_ashrrev_i32_e32 v233, 31, v232
	v_add_co_u32 v248, vcc_lo, v142, v48
	v_add_co_ci_u32_e32 v249, vcc_lo, v143, v49, vcc_lo
	s_clause 0x1
	scratch_load_b128 v[44:47], v147, off
	scratch_load_b128 v[48:51], v146, off
	v_lshlrev_b64 v[146:147], 4, v[152:153]
	v_ashrrev_i32_e32 v255, 31, v254
	v_lshlrev_b64 v[152:153], 4, v[232:233]
	s_waitcnt vmcnt(53)
	global_store_b128 v[236:237], v[32:35], off
	s_waitcnt vmcnt(52)
	global_store_b128 v[238:239], v[28:31], off
	v_add_nc_u32_e32 v232, s8, v254
	v_add_co_u32 v146, vcc_lo, v142, v146
	v_lshlrev_b64 v[32:33], 4, v[254:255]
	v_add_co_ci_u32_e32 v147, vcc_lo, v143, v147, vcc_lo
	v_add_co_u32 v152, vcc_lo, v142, v152
	v_add_co_ci_u32_e32 v153, vcc_lo, v143, v153, vcc_lo
	s_delay_alu instid0(VALU_DEP_4)
	v_add_co_u32 v236, vcc_lo, v142, v32
	v_add_co_ci_u32_e32 v237, vcc_lo, v143, v33, vcc_lo
	s_clause 0x1
	scratch_load_b128 v[28:31], v145, off
	scratch_load_b128 v[32:35], v144, off
	v_add_nc_u32_e32 v234, s8, v232
	v_ashrrev_i32_e32 v233, 31, v232
	s_waitcnt vmcnt(53)
	global_store_b128 v[240:241], v[16:19], off
	s_waitcnt vmcnt(52)
	global_store_b128 v[242:243], v[12:15], off
	;; [unrolled: 2-line block ×3, first 2 shown]
	v_add_nc_u32_e32 v254, s8, v234
	v_ashrrev_i32_e32 v235, 31, v234
	v_lshlrev_b64 v[144:145], 4, v[232:233]
	s_waitcnt vmcnt(50)
	global_store_b128 v[246:247], v[0:3], off
	v_add_nc_u32_e32 v16, s8, v254
	v_ashrrev_i32_e32 v255, 31, v254
	v_lshlrev_b64 v[232:233], 4, v[234:235]
	v_add_co_u32 v18, vcc_lo, v142, v144
	s_delay_alu instid0(VALU_DEP_4) | instskip(SKIP_3) | instid1(VALU_DEP_4)
	v_add_nc_u32_e32 v234, s8, v16
	v_ashrrev_i32_e32 v17, 31, v16
	v_add_co_ci_u32_e32 v19, vcc_lo, v143, v145, vcc_lo
	v_lshlrev_b64 v[144:145], 4, v[254:255]
	v_add_nc_u32_e32 v238, s8, v234
	v_add_co_u32 v232, vcc_lo, v142, v232
	v_lshlrev_b64 v[16:17], 4, v[16:17]
	v_add_co_ci_u32_e32 v233, vcc_lo, v143, v233, vcc_lo
	v_add_co_u32 v144, vcc_lo, v142, v144
	v_ashrrev_i32_e32 v239, 31, v238
	v_add_nc_u32_e32 v12, s8, v238
	v_ashrrev_i32_e32 v235, 31, v234
	v_add_co_ci_u32_e32 v145, vcc_lo, v143, v145, vcc_lo
	v_add_co_u32 v14, vcc_lo, v142, v16
	v_add_co_ci_u32_e32 v15, vcc_lo, v143, v17, vcc_lo
	v_lshlrev_b64 v[16:17], 4, v[238:239]
	v_add_nc_u32_e32 v238, s8, v12
	v_lshlrev_b64 v[234:235], 4, v[234:235]
	v_ashrrev_i32_e32 v13, 31, v12
	s_delay_alu instid0(VALU_DEP_3) | instskip(SKIP_1) | instid1(VALU_DEP_4)
	v_add_nc_u32_e32 v240, s8, v238
	v_ashrrev_i32_e32 v239, 31, v238
	v_add_co_u32 v234, vcc_lo, v142, v234
	s_delay_alu instid0(VALU_DEP_4)
	v_lshlrev_b64 v[12:13], 4, v[12:13]
	v_add_co_ci_u32_e32 v235, vcc_lo, v143, v235, vcc_lo
	v_add_co_u32 v16, vcc_lo, v142, v16
	v_ashrrev_i32_e32 v241, 31, v240
	v_add_nc_u32_e32 v4, s8, v240
	v_add_co_ci_u32_e32 v17, vcc_lo, v143, v17, vcc_lo
	v_add_co_u32 v6, vcc_lo, v142, v12
	v_add_co_ci_u32_e32 v7, vcc_lo, v143, v13, vcc_lo
	v_lshlrev_b64 v[12:13], 4, v[240:241]
	v_add_nc_u32_e32 v240, s8, v4
	v_lshlrev_b64 v[238:239], 4, v[238:239]
	v_ashrrev_i32_e32 v5, 31, v4
	s_delay_alu instid0(VALU_DEP_3) | instskip(SKIP_1) | instid1(VALU_DEP_4)
	v_add_nc_u32_e32 v242, s8, v240
	v_ashrrev_i32_e32 v241, 31, v240
	v_add_co_u32 v238, vcc_lo, v142, v238
	s_delay_alu instid0(VALU_DEP_4) | instskip(NEXT) | instid1(VALU_DEP_4)
	v_lshlrev_b64 v[4:5], 4, v[4:5]
	v_add_nc_u32_e32 v0, s8, v242
	v_add_co_ci_u32_e32 v239, vcc_lo, v143, v239, vcc_lo
	v_add_co_u32 v12, vcc_lo, v142, v12
	v_ashrrev_i32_e32 v243, 31, v242
	v_add_co_ci_u32_e32 v13, vcc_lo, v143, v13, vcc_lo
	v_lshlrev_b64 v[240:241], 4, v[240:241]
	v_add_co_u32 v2, vcc_lo, v142, v4
	v_ashrrev_i32_e32 v1, 31, v0
	v_add_co_ci_u32_e32 v3, vcc_lo, v143, v5, vcc_lo
	v_lshlrev_b64 v[4:5], 4, v[242:243]
	s_waitcnt vmcnt(49)
	global_store_b128 v[252:253], v[8:11], off
	s_waitcnt vmcnt(48)
	global_store_b128 v[150:151], v[20:23], off
	;; [unrolled: 2-line block ×20, first 2 shown]
	v_add_co_u32 v2, vcc_lo, v142, v240
	v_lshlrev_b64 v[6:7], 4, v[0:1]
	v_add_co_ci_u32_e32 v3, vcc_lo, v143, v241, vcc_lo
	v_add_nc_u32_e32 v0, s8, v0
	v_add_co_u32 v4, vcc_lo, v142, v4
	v_add_co_ci_u32_e32 v5, vcc_lo, v143, v5, vcc_lo
	v_add_co_u32 v6, vcc_lo, v142, v6
	s_delay_alu instid0(VALU_DEP_4)
	v_add_nc_u32_e32 v8, s8, v0
	v_add_co_ci_u32_e32 v7, vcc_lo, v143, v7, vcc_lo
	v_ashrrev_i32_e32 v1, 31, v0
	s_waitcnt vmcnt(29)
	global_store_b128 v[2:3], v[124:127], off
	v_ashrrev_i32_e32 v9, 31, v8
	s_waitcnt vmcnt(28)
	global_store_b128 v[4:5], v[132:135], off
	s_waitcnt vmcnt(27)
	global_store_b128 v[6:7], v[136:139], off
	v_add_nc_u32_e32 v4, s8, v8
	v_lshlrev_b64 v[0:1], 4, v[0:1]
	v_lshlrev_b64 v[2:3], 4, v[8:9]
	s_delay_alu instid0(VALU_DEP_3) | instskip(SKIP_1) | instid1(VALU_DEP_4)
	v_add_nc_u32_e32 v6, s8, v4
	v_ashrrev_i32_e32 v5, 31, v4
	v_add_co_u32 v0, vcc_lo, v142, v0
	v_add_co_ci_u32_e32 v1, vcc_lo, v143, v1, vcc_lo
	s_delay_alu instid0(VALU_DEP_4)
	v_add_nc_u32_e32 v8, s8, v6
	v_add_co_u32 v2, vcc_lo, v142, v2
	v_ashrrev_i32_e32 v7, 31, v6
	v_lshlrev_b64 v[4:5], 4, v[4:5]
	v_add_co_ci_u32_e32 v3, vcc_lo, v143, v3, vcc_lo
	v_ashrrev_i32_e32 v9, 31, v8
	s_waitcnt vmcnt(26)
	global_store_b128 v[0:1], v[170:173], off
	s_waitcnt vmcnt(25)
	global_store_b128 v[2:3], v[174:177], off
	v_lshlrev_b64 v[0:1], 4, v[6:7]
	v_add_co_u32 v2, vcc_lo, v142, v4
	v_add_co_ci_u32_e32 v3, vcc_lo, v143, v5, vcc_lo
	v_lshlrev_b64 v[4:5], 4, v[8:9]
	v_add_nc_u32_e32 v6, s8, v8
	v_add_co_u32 v0, vcc_lo, v142, v0
	v_add_co_ci_u32_e32 v1, vcc_lo, v143, v1, vcc_lo
	s_delay_alu instid0(VALU_DEP_4) | instskip(NEXT) | instid1(VALU_DEP_4)
	v_add_co_u32 v4, vcc_lo, v142, v4
	v_add_nc_u32_e32 v8, s8, v6
	v_add_co_ci_u32_e32 v5, vcc_lo, v143, v5, vcc_lo
	v_ashrrev_i32_e32 v7, 31, v6
	s_waitcnt vmcnt(24)
	global_store_b128 v[2:3], v[178:181], off
	v_ashrrev_i32_e32 v9, 31, v8
	s_waitcnt vmcnt(23)
	global_store_b128 v[0:1], v[182:185], off
	s_waitcnt vmcnt(22)
	global_store_b128 v[4:5], v[166:169], off
	v_add_nc_u32_e32 v4, s8, v8
	v_lshlrev_b64 v[2:3], 4, v[6:7]
	v_lshlrev_b64 v[0:1], 4, v[8:9]
	s_delay_alu instid0(VALU_DEP_3) | instskip(SKIP_1) | instid1(VALU_DEP_4)
	v_add_nc_u32_e32 v6, s8, v4
	v_ashrrev_i32_e32 v5, 31, v4
	v_add_co_u32 v2, vcc_lo, v142, v2
	v_add_co_ci_u32_e32 v3, vcc_lo, v143, v3, vcc_lo
	s_delay_alu instid0(VALU_DEP_4)
	v_add_nc_u32_e32 v8, s8, v6
	v_add_co_u32 v0, vcc_lo, v142, v0
	v_ashrrev_i32_e32 v7, 31, v6
	v_lshlrev_b64 v[4:5], 4, v[4:5]
	v_add_co_ci_u32_e32 v1, vcc_lo, v143, v1, vcc_lo
	v_ashrrev_i32_e32 v9, 31, v8
	s_waitcnt vmcnt(21)
	global_store_b128 v[2:3], v[186:189], off
	s_waitcnt vmcnt(20)
	global_store_b128 v[0:1], v[190:193], off
	v_lshlrev_b64 v[0:1], 4, v[6:7]
	v_add_co_u32 v2, vcc_lo, v142, v4
	v_add_co_ci_u32_e32 v3, vcc_lo, v143, v5, vcc_lo
	v_lshlrev_b64 v[4:5], 4, v[8:9]
	v_add_nc_u32_e32 v6, s8, v8
	v_add_co_u32 v0, vcc_lo, v142, v0
	v_add_co_ci_u32_e32 v1, vcc_lo, v143, v1, vcc_lo
	s_delay_alu instid0(VALU_DEP_4) | instskip(NEXT) | instid1(VALU_DEP_4)
	v_add_co_u32 v4, vcc_lo, v142, v4
	;; [unrolled: 38-line block ×4, first 2 shown]
	v_add_nc_u32_e32 v8, s8, v6
	v_add_co_ci_u32_e32 v5, vcc_lo, v143, v5, vcc_lo
	v_ashrrev_i32_e32 v7, 31, v6
	s_waitcnt vmcnt(9)
	global_store_b128 v[2:3], v[222:225], off
	s_waitcnt vmcnt(8)
	global_store_b128 v[0:1], v[226:229], off
	;; [unrolled: 2-line block ×3, first 2 shown]
	v_add_nc_u32_e32 v4, s8, v8
	v_ashrrev_i32_e32 v9, 31, v8
	v_lshlrev_b64 v[2:3], 4, v[6:7]
	s_delay_alu instid0(VALU_DEP_3) | instskip(NEXT) | instid1(VALU_DEP_3)
	v_add_nc_u32_e32 v6, s8, v4
	v_lshlrev_b64 v[0:1], 4, v[8:9]
	v_ashrrev_i32_e32 v5, 31, v4
	s_delay_alu instid0(VALU_DEP_4)
	v_add_co_u32 v2, vcc_lo, v142, v2
	v_add_co_ci_u32_e32 v3, vcc_lo, v143, v3, vcc_lo
	v_add_nc_u32_e32 v8, s8, v6
	v_add_co_u32 v0, vcc_lo, v142, v0
	v_add_co_ci_u32_e32 v1, vcc_lo, v143, v1, vcc_lo
	v_ashrrev_i32_e32 v7, 31, v6
	s_waitcnt vmcnt(6)
	global_store_b128 v[2:3], v[80:83], off
	v_lshlrev_b64 v[2:3], 4, v[4:5]
	v_ashrrev_i32_e32 v9, 31, v8
	v_add_nc_u32_e32 v4, s8, v8
	s_waitcnt vmcnt(5)
	global_store_b128 v[0:1], v[56:59], off
	v_lshlrev_b64 v[0:1], 4, v[6:7]
	v_lshlrev_b64 v[6:7], 4, v[8:9]
	v_add_nc_u32_e32 v8, s8, v4
	v_ashrrev_i32_e32 v5, 31, v4
	v_add_co_u32 v2, vcc_lo, v142, v2
	v_add_co_ci_u32_e32 v3, vcc_lo, v143, v3, vcc_lo
	s_delay_alu instid0(VALU_DEP_4)
	v_ashrrev_i32_e32 v9, 31, v8
	v_add_co_u32 v0, vcc_lo, v142, v0
	v_lshlrev_b64 v[4:5], 4, v[4:5]
	v_add_co_ci_u32_e32 v1, vcc_lo, v143, v1, vcc_lo
	v_add_co_u32 v6, vcc_lo, v142, v6
	v_lshlrev_b64 v[8:9], 4, v[8:9]
	v_add_co_ci_u32_e32 v7, vcc_lo, v143, v7, vcc_lo
	v_add_co_u32 v4, vcc_lo, v142, v4
	v_add_co_ci_u32_e32 v5, vcc_lo, v143, v5, vcc_lo
	s_delay_alu instid0(VALU_DEP_4)
	v_add_co_u32 v8, vcc_lo, v142, v8
	v_add_co_ci_u32_e32 v9, vcc_lo, v143, v9, vcc_lo
	s_waitcnt vmcnt(4)
	global_store_b128 v[2:3], v[64:67], off
	s_waitcnt vmcnt(3)
	global_store_b128 v[0:1], v[44:47], off
	;; [unrolled: 2-line block ×5, first 2 shown]
.LBB122_1435:
	s_nop 0
	s_sendmsg sendmsg(MSG_DEALLOC_VGPRS)
	s_endpgm
	.section	.rodata,"a",@progbits
	.p2align	6, 0x0
	.amdhsa_kernel _ZN9rocsolver6v33100L18getf2_small_kernelILi62E19rocblas_complex_numIdEiiPKPS3_EEvT1_T3_lS7_lPS7_llPT2_S7_S7_S9_l
		.amdhsa_group_segment_fixed_size 0
		.amdhsa_private_segment_fixed_size 1008
		.amdhsa_kernarg_size 352
		.amdhsa_user_sgpr_count 14
		.amdhsa_user_sgpr_dispatch_ptr 0
		.amdhsa_user_sgpr_queue_ptr 0
		.amdhsa_user_sgpr_kernarg_segment_ptr 1
		.amdhsa_user_sgpr_dispatch_id 0
		.amdhsa_user_sgpr_private_segment_size 0
		.amdhsa_wavefront_size32 1
		.amdhsa_uses_dynamic_stack 0
		.amdhsa_enable_private_segment 1
		.amdhsa_system_sgpr_workgroup_id_x 1
		.amdhsa_system_sgpr_workgroup_id_y 1
		.amdhsa_system_sgpr_workgroup_id_z 0
		.amdhsa_system_sgpr_workgroup_info 0
		.amdhsa_system_vgpr_workitem_id 1
		.amdhsa_next_free_vgpr 256
		.amdhsa_next_free_sgpr 72
		.amdhsa_reserve_vcc 1
		.amdhsa_float_round_mode_32 0
		.amdhsa_float_round_mode_16_64 0
		.amdhsa_float_denorm_mode_32 3
		.amdhsa_float_denorm_mode_16_64 3
		.amdhsa_dx10_clamp 1
		.amdhsa_ieee_mode 1
		.amdhsa_fp16_overflow 0
		.amdhsa_workgroup_processor_mode 1
		.amdhsa_memory_ordered 1
		.amdhsa_forward_progress 0
		.amdhsa_shared_vgpr_count 0
		.amdhsa_exception_fp_ieee_invalid_op 0
		.amdhsa_exception_fp_denorm_src 0
		.amdhsa_exception_fp_ieee_div_zero 0
		.amdhsa_exception_fp_ieee_overflow 0
		.amdhsa_exception_fp_ieee_underflow 0
		.amdhsa_exception_fp_ieee_inexact 0
		.amdhsa_exception_int_div_zero 0
	.end_amdhsa_kernel
	.section	.text._ZN9rocsolver6v33100L18getf2_small_kernelILi62E19rocblas_complex_numIdEiiPKPS3_EEvT1_T3_lS7_lPS7_llPT2_S7_S7_S9_l,"axG",@progbits,_ZN9rocsolver6v33100L18getf2_small_kernelILi62E19rocblas_complex_numIdEiiPKPS3_EEvT1_T3_lS7_lPS7_llPT2_S7_S7_S9_l,comdat
.Lfunc_end122:
	.size	_ZN9rocsolver6v33100L18getf2_small_kernelILi62E19rocblas_complex_numIdEiiPKPS3_EEvT1_T3_lS7_lPS7_llPT2_S7_S7_S9_l, .Lfunc_end122-_ZN9rocsolver6v33100L18getf2_small_kernelILi62E19rocblas_complex_numIdEiiPKPS3_EEvT1_T3_lS7_lPS7_llPT2_S7_S7_S9_l
                                        ; -- End function
	.section	.AMDGPU.csdata,"",@progbits
; Kernel info:
; codeLenInByte = 136284
; NumSgprs: 74
; NumVgprs: 256
; ScratchSize: 1008
; MemoryBound: 0
; FloatMode: 240
; IeeeMode: 1
; LDSByteSize: 0 bytes/workgroup (compile time only)
; SGPRBlocks: 9
; VGPRBlocks: 31
; NumSGPRsForWavesPerEU: 74
; NumVGPRsForWavesPerEU: 256
; Occupancy: 5
; WaveLimiterHint : 1
; COMPUTE_PGM_RSRC2:SCRATCH_EN: 1
; COMPUTE_PGM_RSRC2:USER_SGPR: 14
; COMPUTE_PGM_RSRC2:TRAP_HANDLER: 0
; COMPUTE_PGM_RSRC2:TGID_X_EN: 1
; COMPUTE_PGM_RSRC2:TGID_Y_EN: 1
; COMPUTE_PGM_RSRC2:TGID_Z_EN: 0
; COMPUTE_PGM_RSRC2:TIDIG_COMP_CNT: 1
	.section	.text._ZN9rocsolver6v33100L23getf2_npvt_small_kernelILi62E19rocblas_complex_numIdEiiPKPS3_EEvT1_T3_lS7_lPT2_S7_S7_,"axG",@progbits,_ZN9rocsolver6v33100L23getf2_npvt_small_kernelILi62E19rocblas_complex_numIdEiiPKPS3_EEvT1_T3_lS7_lPT2_S7_S7_,comdat
	.globl	_ZN9rocsolver6v33100L23getf2_npvt_small_kernelILi62E19rocblas_complex_numIdEiiPKPS3_EEvT1_T3_lS7_lPT2_S7_S7_ ; -- Begin function _ZN9rocsolver6v33100L23getf2_npvt_small_kernelILi62E19rocblas_complex_numIdEiiPKPS3_EEvT1_T3_lS7_lPT2_S7_S7_
	.p2align	8
	.type	_ZN9rocsolver6v33100L23getf2_npvt_small_kernelILi62E19rocblas_complex_numIdEiiPKPS3_EEvT1_T3_lS7_lPT2_S7_S7_,@function
_ZN9rocsolver6v33100L23getf2_npvt_small_kernelILi62E19rocblas_complex_numIdEiiPKPS3_EEvT1_T3_lS7_lPT2_S7_S7_: ; @_ZN9rocsolver6v33100L23getf2_npvt_small_kernelILi62E19rocblas_complex_numIdEiiPKPS3_EEvT1_T3_lS7_lPT2_S7_S7_
; %bb.0:
	s_clause 0x1
	s_load_b32 s2, s[0:1], 0x44
	s_load_b64 s[10:11], s[0:1], 0x30
	v_bfe_u32 v1, v0, 10, 10
	s_waitcnt lgkmcnt(0)
	s_lshr_b32 s8, s2, 16
	s_mov_b32 s2, exec_lo
	s_delay_alu instid0(VALU_DEP_1) | instskip(NEXT) | instid1(VALU_DEP_1)
	v_mad_u64_u32 v[2:3], null, s15, s8, v[1:2]
	v_cmpx_gt_i32_e64 s10, v2
	s_cbranch_execz .LBB123_693
; %bb.1:
	s_clause 0x1
	s_load_b128 s[4:7], s[0:1], 0x8
	s_load_b32 s2, s[0:1], 0x18
	v_ashrrev_i32_e32 v3, 31, v2
	v_and_b32_e32 v252, 0x3ff, v0
	s_movk_i32 s9, 0x90
	s_movk_i32 s10, 0xa0
	;; [unrolled: 1-line block ×3, first 2 shown]
	scratch_store_b64 off, v[2:3], off offset:1692 ; 8-byte Folded Spill
	v_lshlrev_b64 v[2:3], 3, v[2:3]
	s_movk_i32 s13, 0xc0
	s_movk_i32 s14, 0xd0
	s_movk_i32 s15, 0xe0
	s_movk_i32 s16, 0xf0
	s_movk_i32 s17, 0x100
	s_movk_i32 s18, 0x110
	s_movk_i32 s19, 0x120
	s_movk_i32 s20, 0x130
	s_movk_i32 s21, 0x140
	s_movk_i32 s22, 0x150
	s_movk_i32 s23, 0x160
	s_waitcnt lgkmcnt(0)
	v_add_co_u32 v2, vcc_lo, s4, v2
	v_add_co_ci_u32_e32 v3, vcc_lo, s5, v3, vcc_lo
	v_add3_u32 v4, s2, s2, v252
	s_lshl_b64 s[4:5], s[6:7], 4
	s_ashr_i32 s3, s2, 31
	global_load_b64 v[2:3], v[2:3], off
	s_movk_i32 s6, 0x60
	v_add_nc_u32_e32 v6, s2, v4
	v_ashrrev_i32_e32 v5, 31, v4
	s_movk_i32 s7, 0x70
	s_movk_i32 s24, 0x170
	;; [unrolled: 1-line block ×3, first 2 shown]
	v_add_nc_u32_e32 v10, s2, v6
	v_ashrrev_i32_e32 v7, 31, v6
	v_lshlrev_b64 v[69:70], 4, v[4:5]
	s_movk_i32 s26, 0x190
	s_movk_i32 s27, 0x1a0
	v_add_nc_u32_e32 v12, s2, v10
	v_ashrrev_i32_e32 v11, 31, v10
	v_lshlrev_b64 v[8:9], 4, v[6:7]
	s_movk_i32 s28, 0x1b0
	s_movk_i32 s29, 0x1c0
	v_add_nc_u32_e32 v14, s2, v12
	v_ashrrev_i32_e32 v13, 31, v12
	v_lshlrev_b64 v[6:7], 4, v[10:11]
	s_movk_i32 s30, 0x1d0
	s_movk_i32 s31, 0x1e0
	v_add_nc_u32_e32 v18, s2, v14
	v_ashrrev_i32_e32 v15, 31, v14
	v_lshlrev_b64 v[4:5], 4, v[12:13]
	s_movk_i32 s33, 0x1f0
	s_movk_i32 s34, 0x200
	v_add_nc_u32_e32 v20, s2, v18
	v_ashrrev_i32_e32 v19, 31, v18
	v_lshlrev_b64 v[16:17], 4, v[14:15]
	s_movk_i32 s35, 0x210
	s_movk_i32 s36, 0x220
	v_add_nc_u32_e32 v22, s2, v20
	v_ashrrev_i32_e32 v21, 31, v20
	v_lshlrev_b64 v[14:15], 4, v[18:19]
	s_movk_i32 s37, 0x230
	s_movk_i32 s38, 0x240
	v_add_nc_u32_e32 v24, s2, v22
	v_ashrrev_i32_e32 v23, 31, v22
	v_lshlrev_b64 v[12:13], 4, v[20:21]
	s_movk_i32 s39, 0x250
	s_movk_i32 s40, 0x260
	v_add_nc_u32_e32 v39, s2, v24
	v_ashrrev_i32_e32 v25, 31, v24
	v_lshlrev_b64 v[10:11], 4, v[22:23]
	s_movk_i32 s41, 0x270
	s_movk_i32 s42, 0x280
	v_add_nc_u32_e32 v41, s2, v39
	v_ashrrev_i32_e32 v40, 31, v39
	v_lshlrev_b64 v[24:25], 4, v[24:25]
	s_movk_i32 s43, 0x290
	s_movk_i32 s44, 0x2a0
	v_add_nc_u32_e32 v43, s2, v41
	v_ashrrev_i32_e32 v42, 31, v41
	v_lshlrev_b64 v[22:23], 4, v[39:40]
	s_movk_i32 s45, 0x2b0
	s_movk_i32 s46, 0x2c0
	v_add_nc_u32_e32 v26, s2, v43
	v_ashrrev_i32_e32 v44, 31, v43
	v_lshlrev_b64 v[20:21], 4, v[41:42]
	s_movk_i32 s47, 0x2d0
	s_movk_i32 s48, 0x2e0
	v_ashrrev_i32_e32 v27, 31, v26
	v_add_nc_u32_e32 v28, s2, v26
	v_lshlrev_b64 v[18:19], 4, v[43:44]
	s_movk_i32 s49, 0x2f0
	s_movk_i32 s50, 0x300
	v_lshlrev_b64 v[79:80], 4, v[26:27]
	v_add_nc_u32_e32 v31, s2, v28
	v_ashrrev_i32_e32 v29, 31, v28
	s_movk_i32 s51, 0x310
	s_movk_i32 s52, 0x320
	;; [unrolled: 1-line block ×3, first 2 shown]
	v_add_nc_u32_e32 v36, s2, v31
	v_ashrrev_i32_e32 v32, 31, v31
	v_lshlrev_b64 v[81:82], 4, v[28:29]
	s_movk_i32 s54, 0x340
	s_movk_i32 s55, 0x350
	v_add_nc_u32_e32 v30, s2, v36
	v_ashrrev_i32_e32 v37, 31, v36
	v_lshlrev_b64 v[83:84], 4, v[31:32]
	s_movk_i32 s56, 0x360
	s_movk_i32 s57, 0x370
	;; [unrolled: 5-line block ×4, first 2 shown]
	v_ashrrev_i32_e32 v39, 31, v38
	v_lshlrev_b64 v[87:88], 4, v[33:34]
	v_add_nc_u32_e32 v45, s2, v38
	s_movk_i32 s62, 0x3c0
	s_movk_i32 s63, 0x3d0
	v_lshlrev_b64 v[89:90], 4, v[38:39]
	s_delay_alu instid0(VALU_DEP_2) | instskip(SKIP_1) | instid1(VALU_DEP_2)
	v_add_nc_u32_e32 v35, s2, v45
	v_ashrrev_i32_e32 v46, 31, v45
	v_add_nc_u32_e32 v47, s2, v35
	v_ashrrev_i32_e32 v36, 31, v35
	s_delay_alu instid0(VALU_DEP_3) | instskip(NEXT) | instid1(VALU_DEP_3)
	v_lshlrev_b64 v[44:45], 4, v[45:46]
	v_add_nc_u32_e32 v49, s2, v47
	v_ashrrev_i32_e32 v48, 31, v47
	s_delay_alu instid0(VALU_DEP_4) | instskip(NEXT) | instid1(VALU_DEP_3)
	v_lshlrev_b64 v[91:92], 4, v[35:36]
	v_add_nc_u32_e32 v51, s2, v49
	v_ashrrev_i32_e32 v50, 31, v49
	s_delay_alu instid0(VALU_DEP_4) | instskip(NEXT) | instid1(VALU_DEP_3)
	v_lshlrev_b64 v[46:47], 4, v[47:48]
	v_add_nc_u32_e32 v53, s2, v51
	v_ashrrev_i32_e32 v52, 31, v51
	s_delay_alu instid0(VALU_DEP_4) | instskip(NEXT) | instid1(VALU_DEP_3)
	v_lshlrev_b64 v[48:49], 4, v[49:50]
	v_add_nc_u32_e32 v55, s2, v53
	v_ashrrev_i32_e32 v54, 31, v53
	s_delay_alu instid0(VALU_DEP_4) | instskip(NEXT) | instid1(VALU_DEP_3)
	v_lshlrev_b64 v[50:51], 4, v[51:52]
	v_add_nc_u32_e32 v57, s2, v55
	v_ashrrev_i32_e32 v56, 31, v55
	s_delay_alu instid0(VALU_DEP_4) | instskip(NEXT) | instid1(VALU_DEP_3)
	v_lshlrev_b64 v[93:94], 4, v[53:54]
	v_add_nc_u32_e32 v59, s2, v57
	v_ashrrev_i32_e32 v58, 31, v57
	s_delay_alu instid0(VALU_DEP_4) | instskip(NEXT) | instid1(VALU_DEP_3)
	v_lshlrev_b64 v[54:55], 4, v[55:56]
	v_add_nc_u32_e32 v61, s2, v59
	v_ashrrev_i32_e32 v60, 31, v59
	s_delay_alu instid0(VALU_DEP_4) | instskip(NEXT) | instid1(VALU_DEP_3)
	v_lshlrev_b64 v[56:57], 4, v[57:58]
	v_add_nc_u32_e32 v63, s2, v61
	v_ashrrev_i32_e32 v62, 31, v61
	s_delay_alu instid0(VALU_DEP_4) | instskip(NEXT) | instid1(VALU_DEP_3)
	v_lshlrev_b64 v[58:59], 4, v[59:60]
	v_add_nc_u32_e32 v65, s2, v63
	v_ashrrev_i32_e32 v64, 31, v63
	s_delay_alu instid0(VALU_DEP_4) | instskip(NEXT) | instid1(VALU_DEP_3)
	v_lshlrev_b64 v[97:98], 4, v[61:62]
	v_add_nc_u32_e32 v67, s2, v65
	v_ashrrev_i32_e32 v66, 31, v65
	s_delay_alu instid0(VALU_DEP_4) | instskip(NEXT) | instid1(VALU_DEP_3)
	v_lshlrev_b64 v[62:63], 4, v[63:64]
	v_add_nc_u32_e32 v71, s2, v67
	v_ashrrev_i32_e32 v68, 31, v67
	s_delay_alu instid0(VALU_DEP_4) | instskip(NEXT) | instid1(VALU_DEP_3)
	v_lshlrev_b64 v[64:65], 4, v[65:66]
	v_add_nc_u32_e32 v73, s2, v71
	v_ashrrev_i32_e32 v72, 31, v71
	s_delay_alu instid0(VALU_DEP_4) | instskip(NEXT) | instid1(VALU_DEP_3)
	v_lshlrev_b64 v[66:67], 4, v[67:68]
	v_add_nc_u32_e32 v75, s2, v73
	v_ashrrev_i32_e32 v74, 31, v73
	s_delay_alu instid0(VALU_DEP_4) | instskip(NEXT) | instid1(VALU_DEP_3)
	v_lshlrev_b64 v[71:72], 4, v[71:72]
	v_add_nc_u32_e32 v77, s2, v75
	v_ashrrev_i32_e32 v76, 31, v75
	s_delay_alu instid0(VALU_DEP_4) | instskip(NEXT) | instid1(VALU_DEP_3)
	v_lshlrev_b64 v[73:74], 4, v[73:74]
	v_add_nc_u32_e32 v40, s2, v77
	v_ashrrev_i32_e32 v78, 31, v77
	s_delay_alu instid0(VALU_DEP_4) | instskip(NEXT) | instid1(VALU_DEP_3)
	v_lshlrev_b64 v[75:76], 4, v[75:76]
	v_add_nc_u32_e32 v42, s2, v40
	v_ashrrev_i32_e32 v41, 31, v40
	s_delay_alu instid0(VALU_DEP_4) | instskip(NEXT) | instid1(VALU_DEP_3)
	v_lshlrev_b64 v[77:78], 4, v[77:78]
	v_add_nc_u32_e32 v32, s2, v42
	v_ashrrev_i32_e32 v43, 31, v42
	s_delay_alu instid0(VALU_DEP_4) | instskip(NEXT) | instid1(VALU_DEP_3)
	v_lshlrev_b64 v[105:106], 4, v[40:41]
	v_add_nc_u32_e32 v37, s2, v32
	v_ashrrev_i32_e32 v33, 31, v32
	s_delay_alu instid0(VALU_DEP_4) | instskip(NEXT) | instid1(VALU_DEP_3)
	v_lshlrev_b64 v[41:42], 4, v[42:43]
	v_add_nc_u32_e32 v34, s2, v37
	v_ashrrev_i32_e32 v38, 31, v37
	s_delay_alu instid0(VALU_DEP_4) | instskip(NEXT) | instid1(VALU_DEP_3)
	v_lshlrev_b64 v[32:33], 4, v[32:33]
	v_add_nc_u32_e32 v39, s2, v34
	v_ashrrev_i32_e32 v35, 31, v34
	s_delay_alu instid0(VALU_DEP_4) | instskip(NEXT) | instid1(VALU_DEP_3)
	v_lshlrev_b64 v[111:112], 4, v[37:38]
	v_add_nc_u32_e32 v52, s2, v39
	v_ashrrev_i32_e32 v40, 31, v39
	s_delay_alu instid0(VALU_DEP_4) | instskip(NEXT) | instid1(VALU_DEP_3)
	v_lshlrev_b64 v[34:35], 4, v[34:35]
	v_add_nc_u32_e32 v36, s2, v52
	v_ashrrev_i32_e32 v53, 31, v52
	s_delay_alu instid0(VALU_DEP_4) | instskip(NEXT) | instid1(VALU_DEP_3)
	v_lshlrev_b64 v[38:39], 4, v[39:40]
	v_add_nc_u32_e32 v60, s2, v36
	v_ashrrev_i32_e32 v37, 31, v36
	s_delay_alu instid0(VALU_DEP_4) | instskip(NEXT) | instid1(VALU_DEP_3)
	v_lshlrev_b64 v[52:53], 4, v[52:53]
	v_add_nc_u32_e32 v95, s2, v60
	v_ashrrev_i32_e32 v61, 31, v60
	s_delay_alu instid0(VALU_DEP_4) | instskip(NEXT) | instid1(VALU_DEP_3)
	v_lshlrev_b64 v[36:37], 4, v[36:37]
	v_add_nc_u32_e32 v68, s2, v95
	v_ashrrev_i32_e32 v96, 31, v95
	s_delay_alu instid0(VALU_DEP_4) | instskip(NEXT) | instid1(VALU_DEP_3)
	v_lshlrev_b64 v[60:61], 4, v[60:61]
	v_add_nc_u32_e32 v99, s2, v68
	s_delay_alu instid0(VALU_DEP_3) | instskip(NEXT) | instid1(VALU_DEP_2)
	v_lshlrev_b64 v[95:96], 4, v[95:96]
	v_add_nc_u32_e32 v101, s2, v99
	v_ashrrev_i32_e32 v100, 31, v99
	s_delay_alu instid0(VALU_DEP_2) | instskip(NEXT) | instid1(VALU_DEP_2)
	v_ashrrev_i32_e32 v102, 31, v101
	v_lshlrev_b64 v[99:100], 4, v[99:100]
	s_waitcnt vmcnt(0)
	v_add_co_u32 v0, vcc_lo, v2, s4
	v_add_co_ci_u32_e32 v127, vcc_lo, s5, v3, vcc_lo
	v_add_nc_u32_e32 v2, s2, v101
	s_delay_alu instid0(VALU_DEP_3) | instskip(NEXT) | instid1(VALU_DEP_3)
	v_add_co_u32 v26, vcc_lo, v0, v69
	v_add_co_ci_u32_e32 v27, vcc_lo, v127, v70, vcc_lo
	v_add_co_u32 v8, vcc_lo, v0, v8
	v_add_co_ci_u32_e32 v9, vcc_lo, v127, v9, vcc_lo
	;; [unrolled: 2-line block ×19, first 2 shown]
	scratch_store_b64 off, v[26:27], off offset:1172 ; 8-byte Folded Spill
	global_load_b128 v[26:29], v[26:27], off
	v_add_co_u32 v81, vcc_lo, v0, v44
	v_add_co_ci_u32_e32 v82, vcc_lo, v127, v45, vcc_lo
	v_add_co_u32 v83, vcc_lo, v0, v91
	v_add_co_ci_u32_e32 v84, vcc_lo, v127, v92, vcc_lo
	;; [unrolled: 2-line block ×19, first 2 shown]
	v_add_co_u32 v168, vcc_lo, v0, v32
	v_add_nc_u32_e32 v103, s2, v2
	v_add_co_ci_u32_e32 v169, vcc_lo, v127, v33, vcc_lo
	v_add_co_u32 v172, vcc_lo, v0, v111
	v_add_co_ci_u32_e32 v173, vcc_lo, v127, v112, vcc_lo
	v_add_co_u32 v174, vcc_lo, v0, v34
	v_add_nc_u32_e32 v107, s2, v103
	v_add_co_ci_u32_e32 v175, vcc_lo, v127, v35, vcc_lo
	v_add_co_u32 v176, vcc_lo, v0, v38
	v_add_co_ci_u32_e32 v177, vcc_lo, v127, v39, vcc_lo
	s_delay_alu instid0(VALU_DEP_4)
	v_add_nc_u32_e32 v109, s2, v107
	v_add_co_u32 v180, vcc_lo, v0, v52
	v_ashrrev_i32_e32 v69, 31, v68
	v_add_co_ci_u32_e32 v181, vcc_lo, v127, v53, vcc_lo
	v_add_co_u32 v182, vcc_lo, v0, v36
	v_add_nc_u32_e32 v113, s2, v109
	v_add_co_ci_u32_e32 v183, vcc_lo, v127, v37, vcc_lo
	v_lshlrev_b64 v[68:69], 4, v[68:69]
	v_add_co_u32 v184, vcc_lo, v0, v60
	v_add_co_ci_u32_e32 v185, vcc_lo, v127, v61, vcc_lo
	v_add_co_u32 v188, vcc_lo, v0, v95
	v_add_nc_u32_e32 v115, s2, v113
	v_ashrrev_i32_e32 v3, 31, v2
	v_add_co_ci_u32_e32 v189, vcc_lo, v127, v96, vcc_lo
	v_lshlrev_b64 v[101:102], 4, v[101:102]
	v_add_co_u32 v190, vcc_lo, v0, v68
	v_ashrrev_i32_e32 v104, 31, v103
	v_add_co_ci_u32_e32 v191, vcc_lo, v127, v69, vcc_lo
	v_add_nc_u32_e32 v117, s2, v115
	v_lshlrev_b64 v[2:3], 4, v[2:3]
	v_add_co_u32 v192, vcc_lo, v0, v99
	v_ashrrev_i32_e32 v108, 31, v107
	v_add_co_ci_u32_e32 v193, vcc_lo, v127, v100, vcc_lo
	v_lshlrev_b64 v[103:104], 4, v[103:104]
	v_add_co_u32 v196, vcc_lo, v0, v101
	v_ashrrev_i32_e32 v110, 31, v109
	v_add_nc_u32_e32 v119, s2, v117
	v_add_co_ci_u32_e32 v197, vcc_lo, v127, v102, vcc_lo
	v_lshlrev_b64 v[107:108], 4, v[107:108]
	v_add_co_u32 v198, vcc_lo, v0, v2
	v_ashrrev_i32_e32 v114, 31, v113
	v_add_co_ci_u32_e32 v199, vcc_lo, v127, v3, vcc_lo
	global_load_b128 v[2:5], v[8:9], off
	v_lshlrev_b64 v[109:110], 4, v[109:110]
	v_add_co_u32 v200, vcc_lo, v0, v103
	v_add_nc_u32_e32 v121, s2, v119
	v_ashrrev_i32_e32 v116, 31, v115
	v_add_co_ci_u32_e32 v201, vcc_lo, v127, v104, vcc_lo
	v_lshlrev_b64 v[113:114], 4, v[113:114]
	v_add_co_u32 v204, vcc_lo, v0, v107
	v_ashrrev_i32_e32 v118, 31, v117
	v_add_co_ci_u32_e32 v205, vcc_lo, v127, v108, vcc_lo
	v_add_nc_u32_e32 v123, s2, v121
	v_lshlrev_b64 v[115:116], 4, v[115:116]
	s_clause 0x3
	scratch_store_b64 off, v[208:209], off offset:1580
	scratch_store_b64 off, v[16:17], off offset:1564
	;; [unrolled: 1-line block ×4, first 2 shown]
	s_clause 0x1
	global_load_b128 v[10:13], v[208:209], off
	global_load_b128 v[18:21], v[210:211], off
	v_add_co_u32 v208, vcc_lo, v0, v109
	v_ashrrev_i32_e32 v120, 31, v119
	v_add_co_ci_u32_e32 v209, vcc_lo, v127, v110, vcc_lo
	v_lshlrev_b64 v[117:118], 4, v[117:118]
	s_clause 0x1
	scratch_store_b64 off, v[8:9], off offset:1604
	scratch_store_b64 off, v[6:7], off offset:1588
	s_clause 0x1
	global_load_b128 v[6:9], v[6:7], off
	global_load_b128 v[14:17], v[16:17], off
	s_clause 0x3
	scratch_store_b64 off, v[202:203], off offset:1524
	scratch_store_b64 off, v[194:195], off offset:1492
	;; [unrolled: 1-line block ×4, first 2 shown]
	s_clause 0x1
	global_load_b128 v[34:37], v[194:195], off
	global_load_b128 v[38:41], v[186:187], off
	v_add_co_u32 v194, vcc_lo, v0, v113
	v_ashrrev_i32_e32 v122, 31, v121
	v_add_nc_u32_e32 v125, s2, v123
	s_clause 0x1
	global_load_b128 v[22:25], v[206:207], off
	global_load_b128 v[30:33], v[202:203], off
	v_add_co_ci_u32_e32 v195, vcc_lo, v127, v114, vcc_lo
	v_lshlrev_b64 v[119:120], 4, v[119:120]
	s_clause 0x3
	scratch_store_b64 off, v[170:171], off offset:1396
	scratch_store_b64 off, v[162:163], off offset:1364
	;; [unrolled: 1-line block ×4, first 2 shown]
	s_clause 0x1
	global_load_b128 v[50:53], v[162:163], off
	global_load_b128 v[54:57], v[154:155], off
	v_add_co_u32 v162, vcc_lo, v0, v115
	v_ashrrev_i32_e32 v124, 31, v123
	s_clause 0x1
	global_load_b128 v[42:45], v[178:179], off
	global_load_b128 v[46:49], v[170:171], off
	v_add_co_ci_u32_e32 v163, vcc_lo, v127, v116, vcc_lo
	v_lshlrev_b64 v[121:122], 4, v[121:122]
	s_clause 0x2
	global_load_b128 v[58:61], v[146:147], off
	global_load_b128 v[62:65], v[138:139], off
	;; [unrolled: 1-line block ×3, first 2 shown]
	s_clause 0x3
	scratch_store_b64 off, v[130:131], off offset:1236
	scratch_store_b64 off, v[132:133], off offset:1244
	;; [unrolled: 1-line block ×4, first 2 shown]
	s_clause 0x1
	global_load_b128 v[66:69], v[130:131], off
	global_load_b128 v[94:97], v[128:129], off
	v_add_co_u32 v130, vcc_lo, v0, v117
	v_ashrrev_i32_e32 v126, 31, v125
	s_clause 0x1
	global_load_b128 v[70:73], v[85:86], off
	global_load_b128 v[74:77], v[79:80], off
	v_add_co_ci_u32_e32 v131, vcc_lo, v127, v118, vcc_lo
	s_clause 0x2
	scratch_store_b64 off, v[79:80], off offset:1180
	scratch_store_b64 off, v[81:82], off offset:1188
	;; [unrolled: 1-line block ×3, first 2 shown]
	global_load_b128 v[78:81], v[81:82], off
	v_lshlrev_b64 v[123:124], 4, v[123:124]
	s_clause 0x7
	scratch_store_b64 off, v[138:139], off offset:1268
	scratch_store_b64 off, v[140:141], off offset:1276
	;; [unrolled: 1-line block ×8, first 2 shown]
	v_add_co_u32 v138, vcc_lo, v0, v119
	s_clause 0x2
	global_load_b128 v[86:89], v[87:88], off
	global_load_b128 v[82:85], v[83:84], off
	;; [unrolled: 1-line block ×3, first 2 shown]
	v_add_co_ci_u32_e32 v139, vcc_lo, v127, v120, vcc_lo
	s_clause 0x1
	global_load_b128 v[98:101], v[132:133], off
	global_load_b128 v[102:105], v[134:135], off
	v_lshlrev_b64 v[125:126], 4, v[125:126]
	v_add_co_u32 v128, vcc_lo, v0, v121
	s_clause 0x2
	global_load_b128 v[110:113], v[140:141], off
	global_load_b128 v[114:117], v[142:143], off
	;; [unrolled: 1-line block ×3, first 2 shown]
	v_add_co_ci_u32_e32 v129, vcc_lo, v127, v122, vcc_lo
	v_add_co_u32 v132, vcc_lo, v0, v123
	v_add_co_ci_u32_e32 v133, vcc_lo, v127, v124, vcc_lo
	v_add_co_u32 v134, vcc_lo, v0, v125
	v_add_co_ci_u32_e32 v135, vcc_lo, v127, v126, vcc_lo
	v_lshlrev_b32_e32 v126, 4, v252
	s_lshl_b64 s[2:3], s[2:3], 4
	s_movk_i32 s5, 0x50
	s_waitcnt vmcnt(29)
	s_clause 0x1
	scratch_store_b128 off, v[26:29], off offset:32
	scratch_store_b64 off, v[148:149], off offset:1308
	s_clause 0x1
	global_load_b128 v[26:29], v[148:149], off
	global_load_b128 v[122:125], v[150:151], off
	scratch_store_b64 off, v[150:151], off offset:1316 ; 8-byte Folded Spill
	v_add_co_u32 v126, vcc_lo, v0, v126
	v_add_co_ci_u32_e32 v127, vcc_lo, 0, v127, vcc_lo
	v_lshlrev_b32_e32 v0, 4, v1
	s_waitcnt vmcnt(30)
	scratch_store_b128 off, v[2:5], off offset:48
	s_waitcnt vmcnt(27)
	s_clause 0x1
	scratch_store_b128 off, v[6:9], off offset:64
	scratch_store_b64 off, v[152:153], off offset:1324
	s_clause 0x1
	global_load_b128 v[2:5], v[152:153], off
	global_load_b128 v[6:9], v[156:157], off
	s_clause 0x1
	scratch_store_b64 off, v[156:157], off offset:1340
	scratch_store_b128 off, v[10:13], off offset:80
	s_waitcnt vmcnt(28)
	s_clause 0x1
	scratch_store_b128 off, v[14:17], off offset:96
	scratch_store_b64 off, v[158:159], off offset:1348
	s_clause 0x1
	global_load_b128 v[10:13], v[158:159], off
	global_load_b128 v[14:17], v[160:161], off
	s_clause 0x1
	scratch_store_b64 off, v[160:161], off offset:1356
	scratch_store_b128 off, v[18:21], off offset:112
	s_waitcnt vmcnt(27)
	s_clause 0x1
	scratch_store_b128 off, v[22:25], off offset:128
	scratch_store_b64 off, v[164:165], off offset:1372
	s_clause 0x1
	global_load_b128 v[18:21], v[164:165], off
	global_load_b128 v[22:25], v[166:167], off
	scratch_store_b64 off, v[166:167], off offset:1380 ; 8-byte Folded Spill
	s_waitcnt vmcnt(28)
	s_clause 0x2
	scratch_store_b128 off, v[30:33], off offset:144
	scratch_store_b128 off, v[34:37], off offset:160
	scratch_store_b64 off, v[168:169], off offset:1388
	s_clause 0x1
	global_load_b128 v[30:33], v[168:169], off
	global_load_b128 v[34:37], v[172:173], off
	s_clause 0x1
	scratch_store_b64 off, v[172:173], off offset:1404
	scratch_store_b128 off, v[38:41], off offset:176
	s_waitcnt vmcnt(27)
	s_clause 0x1
	scratch_store_b128 off, v[42:45], off offset:192
	scratch_store_b64 off, v[174:175], off offset:1412
	s_clause 0x1
	global_load_b128 v[38:41], v[174:175], off
	global_load_b128 v[42:45], v[176:177], off
	scratch_store_b64 off, v[176:177], off offset:1420 ; 8-byte Folded Spill
	s_waitcnt vmcnt(28)
	s_clause 0x2
	scratch_store_b128 off, v[46:49], off offset:208
	scratch_store_b128 off, v[50:53], off offset:224
	scratch_store_b64 off, v[180:181], off offset:1436
	s_clause 0x1
	global_load_b128 v[46:49], v[180:181], off
	global_load_b128 v[50:53], v[182:183], off
	s_clause 0x1
	scratch_store_b64 off, v[182:183], off offset:1444
	scratch_store_b128 off, v[54:57], off offset:240
	s_waitcnt vmcnt(29)
	s_clause 0x1
	scratch_store_b128 off, v[58:61], off offset:256
	scratch_store_b64 off, v[184:185], off offset:1452
	s_clause 0x1
	global_load_b128 v[54:57], v[184:185], off
	global_load_b128 v[58:61], v[188:189], off
	scratch_store_b64 off, v[188:189], off offset:1468 ; 8-byte Folded Spill
	s_waitcnt vmcnt(30)
	scratch_store_b128 off, v[62:65], off offset:272
	s_waitcnt vmcnt(28)
	s_clause 0x1
	scratch_store_b128 off, v[66:69], off offset:288
	scratch_store_b64 off, v[190:191], off offset:1476
	s_clause 0x1
	global_load_b128 v[62:65], v[190:191], off
	global_load_b128 v[66:69], v[192:193], off
	scratch_store_b64 off, v[192:193], off offset:1484 ; 8-byte Folded Spill
	s_waitcnt vmcnt(28)
	;; [unrolled: 10-line block ×3, first 2 shown]
	scratch_store_b128 off, v[78:81], off offset:336
	s_waitcnt vmcnt(26)
	s_clause 0x1
	scratch_store_b128 off, v[82:85], off offset:352
	scratch_store_b64 off, v[200:201], off offset:1516
	s_clause 0x1
	global_load_b128 v[78:81], v[200:201], off
	global_load_b128 v[82:85], v[204:205], off
	s_clause 0x1
	scratch_store_b64 off, v[204:205], off offset:1532
	scratch_store_b128 off, v[86:89], off offset:368
	s_waitcnt vmcnt(27)
	s_clause 0x1
	scratch_store_b128 off, v[90:93], off offset:384
	scratch_store_b64 off, v[208:209], off offset:1548
	s_clause 0x1
	global_load_b128 v[86:89], v[208:209], off
	global_load_b128 v[90:93], v[194:195], off
	s_clause 0x1
	scratch_store_b64 off, v[194:195], off offset:1572
	scratch_store_b128 off, v[94:97], off offset:400
	s_waitcnt vmcnt(28)
	s_clause 0x1
	scratch_store_b128 off, v[98:101], off offset:416
	scratch_store_b64 off, v[162:163], off offset:1596
	s_clause 0x1
	global_load_b128 v[94:97], v[162:163], off
	global_load_b128 v[98:101], v[130:131], off
	scratch_store_b64 off, v[130:131], off offset:1612 ; 8-byte Folded Spill
	s_waitcnt vmcnt(29)
	s_clause 0x2
	scratch_store_b128 off, v[102:105], off offset:432
	scratch_store_b128 off, v[106:109], off offset:448
	scratch_store_b64 off, v[138:139], off offset:1620
	s_clause 0x1
	global_load_b128 v[102:105], v[138:139], off
	global_load_b128 v[106:109], v[128:129], off
	scratch_store_b64 off, v[128:129], off offset:1628 ; 8-byte Folded Spill
	s_waitcnt vmcnt(30)
	scratch_store_b128 off, v[110:113], off offset:464
	s_waitcnt vmcnt(29)
	s_clause 0x2
	scratch_store_b128 off, v[114:117], off offset:480
	scratch_store_b64 off, v[132:133], off offset:1636
	scratch_store_b64 off, v[134:135], off offset:1644
	s_waitcnt vmcnt(28)
	scratch_store_b128 off, v[118:121], off offset:496
	v_add_co_u32 v118, vcc_lo, v126, s2
	v_add_co_ci_u32_e32 v119, vcc_lo, s3, v127, vcc_lo
	s_clause 0x1
	global_load_b128 v[110:113], v[132:133], off
	global_load_b128 v[114:117], v[134:135], off
	v_mul_u32_u24_e32 v180, 0x3e0, v1
	s_mul_i32 s2, s8, 0x3e0
	v_cmp_ne_u32_e64 s3, 0, v252
	v_add3_u32 v255, 0, s2, v0
	v_cmp_eq_u32_e64 s2, 0, v252
	v_mov_b32_e32 v0, 0
	s_movk_i32 s8, 0x80
	s_waitcnt vmcnt(29)
	scratch_store_b128 off, v[26:29], off offset:512
	s_waitcnt vmcnt(28)
	s_clause 0x1
	scratch_store_b128 off, v[122:125], off offset:528
	scratch_store_b64 off, v[126:127], off offset:1116
	global_load_b128 v[26:29], v[126:127], off
	scratch_store_b64 off, v[118:119], off offset:1652 ; 8-byte Folded Spill
	global_load_b128 v[118:121], v[118:119], off
	s_waitcnt vmcnt(29)
	scratch_store_b128 off, v[2:5], off offset:544
	s_waitcnt vmcnt(28)
	scratch_store_b128 off, v[6:9], off offset:560
	;; [unrolled: 2-line block ×28, first 2 shown]
	v_add3_u32 v10, v180, 0, 16
	s_waitcnt vmcnt(1)
	scratch_store_b128 off, v[26:29], off
	s_waitcnt vmcnt(0)
	scratch_store_b128 off, v[118:121], off offset:16
	s_and_saveexec_b32 s64, s2
	s_cbranch_execz .LBB123_12
; %bb.2:
	scratch_load_b64 v[1:2], off, off offset:1116 ; 8-byte Folded Reload
	s_movk_i32 s4, 0xfc80
	s_waitcnt vmcnt(0)
	global_load_b128 v[1:4], v[1:2], off
	s_waitcnt vmcnt(0)
	ds_store_2addr_b64 v255, v[1:2], v[3:4] offset1:1
	s_branch .LBB123_4
.LBB123_3:
                                        ; implicit-def: $sgpr4
	s_branch .LBB123_6
.LBB123_4:                              ; =>This Inner Loop Header: Depth=1
	v_readfirstlane_b32 s65, v0
	v_add_nc_u32_e32 v1, s4, v10
	s_delay_alu instid0(VALU_DEP_2) | instskip(NEXT) | instid1(SALU_CYCLE_1)
	s_add_i32 s65, s65, s4
	s_add_i32 s66, s65, 0x390
	;; [unrolled: 1-line block ×6, first 2 shown]
	s_clause 0x4
	scratch_load_b128 v[2:5], off, s66
	scratch_load_b128 v[6:9], off, s67
	;; [unrolled: 1-line block ×5, first 2 shown]
	s_cmp_eq_u32 s4, 0
	s_waitcnt vmcnt(4)
	ds_store_2addr_b64 v1, v[2:3], v[4:5] offset0:112 offset1:113
	s_waitcnt vmcnt(3)
	ds_store_2addr_b64 v1, v[6:7], v[8:9] offset0:114 offset1:115
	;; [unrolled: 2-line block ×5, first 2 shown]
	s_cbranch_scc1 .LBB123_3
; %bb.5:                                ;   in Loop: Header=BB123_4 Depth=1
	s_add_i32 s66, s65, 0x3e0
	s_add_i32 s67, s65, 0x3f0
	s_addk_i32 s65, 0x400
	s_clause 0x2
	scratch_load_b128 v[2:5], off, s66
	scratch_load_b128 v[6:9], off, s67
	;; [unrolled: 1-line block ×3, first 2 shown]
	s_addk_i32 s4, 0x80
	s_waitcnt vmcnt(2)
	ds_store_2addr_b64 v1, v[2:3], v[4:5] offset0:122 offset1:123
	s_waitcnt vmcnt(1)
	ds_store_2addr_b64 v1, v[6:7], v[8:9] offset0:124 offset1:125
	;; [unrolled: 2-line block ×3, first 2 shown]
	s_cbranch_execnz .LBB123_4
.LBB123_6:
	ds_load_2addr_b64 v[0:3], v255 offset1:1
	s_waitcnt lgkmcnt(0)
	v_cmp_neq_f64_e32 vcc_lo, 0, v[0:1]
	v_cmp_neq_f64_e64 s4, 0, v[2:3]
	s_delay_alu instid0(VALU_DEP_1) | instskip(NEXT) | instid1(SALU_CYCLE_1)
	s_or_b32 s4, vcc_lo, s4
	s_and_b32 exec_lo, exec_lo, s4
	s_cbranch_execz .LBB123_12
; %bb.7:
	v_cmp_gt_f64_e32 vcc_lo, 0, v[0:1]
	v_cmp_gt_f64_e64 s4, 0, v[2:3]
	v_xor_b32_e32 v4, 0x80000000, v1
	v_xor_b32_e32 v6, 0x80000000, v3
                                        ; implicit-def: $vgpr8_vgpr9
	s_delay_alu instid0(VALU_DEP_2) | instskip(NEXT) | instid1(VALU_DEP_2)
	v_cndmask_b32_e32 v5, v1, v4, vcc_lo
	v_cndmask_b32_e64 v7, v3, v6, s4
	v_cndmask_b32_e32 v4, v0, v0, vcc_lo
	v_cndmask_b32_e64 v6, v2, v2, s4
	s_mov_b32 s4, exec_lo
	s_delay_alu instid0(VALU_DEP_1)
	v_cmpx_ngt_f64_e32 v[4:5], v[6:7]
	s_xor_b32 s4, exec_lo, s4
                                        ; implicit-def: $vgpr4_vgpr5_vgpr6_vgpr7
	s_cbranch_execz .LBB123_9
; %bb.8:
	v_div_scale_f64 v[4:5], null, v[2:3], v[2:3], v[0:1]
	v_div_scale_f64 v[11:12], vcc_lo, v[0:1], v[2:3], v[0:1]
	s_delay_alu instid0(VALU_DEP_2) | instskip(SKIP_2) | instid1(VALU_DEP_1)
	v_rcp_f64_e32 v[6:7], v[4:5]
	s_waitcnt_depctr 0xfff
	v_fma_f64 v[8:9], -v[4:5], v[6:7], 1.0
	v_fma_f64 v[6:7], v[6:7], v[8:9], v[6:7]
	s_delay_alu instid0(VALU_DEP_1) | instskip(NEXT) | instid1(VALU_DEP_1)
	v_fma_f64 v[8:9], -v[4:5], v[6:7], 1.0
	v_fma_f64 v[6:7], v[6:7], v[8:9], v[6:7]
	s_delay_alu instid0(VALU_DEP_1) | instskip(NEXT) | instid1(VALU_DEP_1)
	v_mul_f64 v[8:9], v[11:12], v[6:7]
	v_fma_f64 v[4:5], -v[4:5], v[8:9], v[11:12]
	s_delay_alu instid0(VALU_DEP_1) | instskip(NEXT) | instid1(VALU_DEP_1)
	v_div_fmas_f64 v[4:5], v[4:5], v[6:7], v[8:9]
	v_div_fixup_f64 v[4:5], v[4:5], v[2:3], v[0:1]
	s_delay_alu instid0(VALU_DEP_1) | instskip(NEXT) | instid1(VALU_DEP_1)
	v_fma_f64 v[0:1], v[0:1], v[4:5], v[2:3]
	v_div_scale_f64 v[2:3], null, v[0:1], v[0:1], 1.0
	s_delay_alu instid0(VALU_DEP_1) | instskip(SKIP_2) | instid1(VALU_DEP_1)
	v_rcp_f64_e32 v[6:7], v[2:3]
	s_waitcnt_depctr 0xfff
	v_fma_f64 v[8:9], -v[2:3], v[6:7], 1.0
	v_fma_f64 v[6:7], v[6:7], v[8:9], v[6:7]
	s_delay_alu instid0(VALU_DEP_1) | instskip(NEXT) | instid1(VALU_DEP_1)
	v_fma_f64 v[8:9], -v[2:3], v[6:7], 1.0
	v_fma_f64 v[6:7], v[6:7], v[8:9], v[6:7]
	v_div_scale_f64 v[8:9], vcc_lo, 1.0, v[0:1], 1.0
	s_delay_alu instid0(VALU_DEP_1) | instskip(NEXT) | instid1(VALU_DEP_1)
	v_mul_f64 v[11:12], v[8:9], v[6:7]
	v_fma_f64 v[2:3], -v[2:3], v[11:12], v[8:9]
	s_delay_alu instid0(VALU_DEP_1) | instskip(NEXT) | instid1(VALU_DEP_1)
	v_div_fmas_f64 v[2:3], v[2:3], v[6:7], v[11:12]
	v_div_fixup_f64 v[6:7], v[2:3], v[0:1], 1.0
                                        ; implicit-def: $vgpr0_vgpr1
	s_delay_alu instid0(VALU_DEP_1)
	v_mul_f64 v[8:9], v[4:5], v[6:7]
	v_xor_b32_e32 v7, 0x80000000, v7
.LBB123_9:
	s_and_not1_saveexec_b32 s4, s4
	s_cbranch_execz .LBB123_11
; %bb.10:
	v_div_scale_f64 v[4:5], null, v[0:1], v[0:1], v[2:3]
	v_div_scale_f64 v[11:12], vcc_lo, v[2:3], v[0:1], v[2:3]
	s_delay_alu instid0(VALU_DEP_2) | instskip(SKIP_2) | instid1(VALU_DEP_1)
	v_rcp_f64_e32 v[6:7], v[4:5]
	s_waitcnt_depctr 0xfff
	v_fma_f64 v[8:9], -v[4:5], v[6:7], 1.0
	v_fma_f64 v[6:7], v[6:7], v[8:9], v[6:7]
	s_delay_alu instid0(VALU_DEP_1) | instskip(NEXT) | instid1(VALU_DEP_1)
	v_fma_f64 v[8:9], -v[4:5], v[6:7], 1.0
	v_fma_f64 v[6:7], v[6:7], v[8:9], v[6:7]
	s_delay_alu instid0(VALU_DEP_1) | instskip(NEXT) | instid1(VALU_DEP_1)
	v_mul_f64 v[8:9], v[11:12], v[6:7]
	v_fma_f64 v[4:5], -v[4:5], v[8:9], v[11:12]
	s_delay_alu instid0(VALU_DEP_1) | instskip(NEXT) | instid1(VALU_DEP_1)
	v_div_fmas_f64 v[4:5], v[4:5], v[6:7], v[8:9]
	v_div_fixup_f64 v[4:5], v[4:5], v[0:1], v[2:3]
	s_delay_alu instid0(VALU_DEP_1) | instskip(NEXT) | instid1(VALU_DEP_1)
	v_fma_f64 v[0:1], v[2:3], v[4:5], v[0:1]
	v_div_scale_f64 v[2:3], null, v[0:1], v[0:1], 1.0
	s_delay_alu instid0(VALU_DEP_1) | instskip(SKIP_2) | instid1(VALU_DEP_1)
	v_rcp_f64_e32 v[6:7], v[2:3]
	s_waitcnt_depctr 0xfff
	v_fma_f64 v[8:9], -v[2:3], v[6:7], 1.0
	v_fma_f64 v[6:7], v[6:7], v[8:9], v[6:7]
	s_delay_alu instid0(VALU_DEP_1) | instskip(NEXT) | instid1(VALU_DEP_1)
	v_fma_f64 v[8:9], -v[2:3], v[6:7], 1.0
	v_fma_f64 v[6:7], v[6:7], v[8:9], v[6:7]
	v_div_scale_f64 v[8:9], vcc_lo, 1.0, v[0:1], 1.0
	s_delay_alu instid0(VALU_DEP_1) | instskip(NEXT) | instid1(VALU_DEP_1)
	v_mul_f64 v[11:12], v[8:9], v[6:7]
	v_fma_f64 v[2:3], -v[2:3], v[11:12], v[8:9]
	s_delay_alu instid0(VALU_DEP_1) | instskip(NEXT) | instid1(VALU_DEP_1)
	v_div_fmas_f64 v[2:3], v[2:3], v[6:7], v[11:12]
	v_div_fixup_f64 v[8:9], v[2:3], v[0:1], 1.0
	s_delay_alu instid0(VALU_DEP_1)
	v_mul_f64 v[6:7], v[4:5], -v[8:9]
.LBB123_11:
	s_or_b32 exec_lo, exec_lo, s4
	ds_store_2addr_b64 v255, v[8:9], v[6:7] offset1:1
.LBB123_12:
	s_or_b32 exec_lo, exec_lo, s64
	v_add_nc_u32_e64 v0, s15, 0
	v_add_nc_u32_e64 v74, 0, 16
	v_add_nc_u32_e64 v57, 0, 32
	v_add_nc_u32_e64 v56, 0, 48
	v_add_nc_u32_e64 v55, 0, 64
	scratch_store_b32 off, v0, off offset:1168 ; 4-byte Folded Spill
	v_add_nc_u32_e64 v0, s16, 0
	v_add_nc_u32_e64 v73, s5, 0
	v_add_nc_u32_e64 v72, s6, 0
	v_add_nc_u32_e64 v71, s7, 0
	v_add_nc_u32_e64 v70, s8, 0
	scratch_store_b32 off, v0, off offset:1164 ; 4-byte Folded Spill
	;; [unrolled: 6-line block ×4, first 2 shown]
	v_add_nc_u32_e64 v0, s19, 0
	v_add_nc_u32_e64 v3, s62, 0
	;; [unrolled: 1-line block ×3, first 2 shown]
	scratch_store_b32 off, v0, off offset:1152 ; 4-byte Folded Spill
	v_add_nc_u32_e64 v0, s20, 0
	scratch_store_b32 off, v0, off offset:1148 ; 4-byte Folded Spill
	v_add_nc_u32_e64 v0, s21, 0
	scratch_store_b32 off, v0, off offset:1144 ; 4-byte Folded Spill
	v_add_nc_u32_e64 v0, s22, 0
	scratch_store_b32 off, v0, off offset:1140 ; 4-byte Folded Spill
	v_add_nc_u32_e64 v0, s23, 0
	scratch_store_b32 off, v0, off offset:1136 ; 4-byte Folded Spill
	v_add_nc_u32_e64 v0, s24, 0
	scratch_store_b32 off, v0, off offset:1132 ; 4-byte Folded Spill
	v_add_nc_u32_e64 v0, s25, 0
	scratch_store_b32 off, v0, off offset:1128 ; 4-byte Folded Spill
	v_add_nc_u32_e64 v0, s26, 0
	scratch_store_b32 off, v0, off offset:1124 ; 4-byte Folded Spill
	v_add_nc_u32_e64 v0, s27, 0
	scratch_store_b32 off, v0, off offset:1112 ; 4-byte Folded Spill
	v_add_nc_u32_e64 v0, s28, 0
	scratch_store_b32 off, v0, off offset:1108 ; 4-byte Folded Spill
	v_add_nc_u32_e64 v0, s29, 0
	scratch_store_b32 off, v0, off offset:1104 ; 4-byte Folded Spill
	v_add_nc_u32_e64 v0, s30, 0
	scratch_store_b32 off, v0, off offset:1100 ; 4-byte Folded Spill
	v_add_nc_u32_e64 v0, s31, 0
	scratch_store_b32 off, v0, off offset:1096 ; 4-byte Folded Spill
	v_add_nc_u32_e64 v0, s33, 0
	scratch_store_b32 off, v0, off offset:1092 ; 4-byte Folded Spill
	v_add_nc_u32_e64 v0, s34, 0
	scratch_store_b32 off, v0, off offset:1088 ; 4-byte Folded Spill
	v_add_nc_u32_e64 v0, s35, 0
	scratch_store_b32 off, v0, off offset:1084 ; 4-byte Folded Spill
	v_add_nc_u32_e64 v0, s36, 0
	scratch_store_b32 off, v0, off offset:1080 ; 4-byte Folded Spill
	v_add_nc_u32_e64 v0, s37, 0
	scratch_store_b32 off, v0, off offset:1076 ; 4-byte Folded Spill
	v_add_nc_u32_e64 v0, s38, 0
	scratch_store_b32 off, v0, off offset:1072 ; 4-byte Folded Spill
	v_add_nc_u32_e64 v0, s39, 0
	scratch_store_b32 off, v0, off offset:1068 ; 4-byte Folded Spill
	v_add_nc_u32_e64 v0, s40, 0
	scratch_store_b32 off, v0, off offset:1064 ; 4-byte Folded Spill
	v_add_nc_u32_e64 v0, s41, 0
	scratch_store_b32 off, v0, off offset:1060 ; 4-byte Folded Spill
	v_add_nc_u32_e64 v0, s42, 0
	scratch_store_b32 off, v0, off offset:1056 ; 4-byte Folded Spill
	v_add_nc_u32_e64 v0, s43, 0
	scratch_store_b32 off, v0, off offset:1052 ; 4-byte Folded Spill
	v_add_nc_u32_e64 v0, s44, 0
	scratch_store_b32 off, v0, off offset:1048 ; 4-byte Folded Spill
	v_add_nc_u32_e64 v0, s45, 0
	scratch_store_b32 off, v0, off offset:1044 ; 4-byte Folded Spill
	v_add_nc_u32_e64 v0, s46, 0
	scratch_store_b32 off, v0, off offset:1040 ; 4-byte Folded Spill
	v_add_nc_u32_e64 v0, s47, 0
	scratch_store_b32 off, v0, off offset:1036 ; 4-byte Folded Spill
	v_add_nc_u32_e64 v0, s48, 0
	scratch_store_b32 off, v0, off offset:1032 ; 4-byte Folded Spill
	v_add_nc_u32_e64 v0, s49, 0
	scratch_store_b32 off, v0, off offset:1028 ; 4-byte Folded Spill
	v_add_nc_u32_e64 v0, s50, 0
	scratch_store_b32 off, v0, off offset:1024 ; 4-byte Folded Spill
	v_add_nc_u32_e64 v0, s51, 0
	scratch_store_b32 off, v0, off offset:1020 ; 4-byte Folded Spill
	v_add_nc_u32_e64 v0, s52, 0
	scratch_store_b32 off, v0, off offset:1016 ; 4-byte Folded Spill
	v_add_nc_u32_e64 v0, s53, 0
	scratch_store_b32 off, v0, off offset:1012 ; 4-byte Folded Spill
	v_add_nc_u32_e64 v0, s54, 0
	scratch_store_b32 off, v0, off offset:1008 ; 4-byte Folded Spill
	v_add_nc_u32_e64 v0, s55, 0
	scratch_store_b32 off, v0, off offset:1004 ; 4-byte Folded Spill
	v_add_nc_u32_e64 v0, s56, 0
	scratch_store_b32 off, v0, off offset:1000 ; 4-byte Folded Spill
	v_add_nc_u32_e64 v0, s57, 0
	scratch_store_b32 off, v0, off offset:996 ; 4-byte Folded Spill
	v_add_nc_u32_e64 v0, s58, 0
	scratch_store_b32 off, v0, off offset:992 ; 4-byte Folded Spill
	s_waitcnt lgkmcnt(0)
	s_waitcnt_vscnt null, 0x0
	s_barrier
	buffer_gl0_inv
	ds_load_2addr_b64 v[49:52], v255 offset1:1
	s_and_saveexec_b32 s4, s3
	s_cbranch_execz .LBB123_17
; %bb.13:
	scratch_load_b128 v[6:9], off, off
	s_mov_b32 s3, 0
	s_waitcnt vmcnt(0) lgkmcnt(0)
	v_mul_f64 v[0:1], v[51:52], v[8:9]
	v_mul_f64 v[8:9], v[49:50], v[8:9]
	s_delay_alu instid0(VALU_DEP_2) | instskip(NEXT) | instid1(VALU_DEP_2)
	v_fma_f64 v[4:5], v[49:50], v[6:7], -v[0:1]
	v_fma_f64 v[6:7], v[51:52], v[6:7], v[8:9]
	v_mov_b32_e32 v0, 0
	scratch_store_b128 off, v[4:7], off
	s_branch .LBB123_15
.LBB123_14:                             ;   in Loop: Header=BB123_15 Depth=1
	s_and_not1_b32 vcc_lo, exec_lo, s7
	s_cbranch_vccz .LBB123_17
.LBB123_15:                             ; =>This Inner Loop Header: Depth=1
	v_add_nc_u32_e32 v1, s3, v10
	v_readfirstlane_b32 s5, v0
	s_mov_b32 s7, -1
	ds_load_2addr_b64 v[15:18], v1 offset1:1
	s_add_i32 s5, s5, s3
	s_delay_alu instid0(SALU_CYCLE_1)
	s_add_i32 s6, s5, 16
	s_add_i32 s8, s5, 32
	scratch_load_b128 v[11:14], off, s6
	ds_load_2addr_b64 v[19:22], v1 offset0:2 offset1:3
	ds_load_2addr_b64 v[23:26], v1 offset0:4 offset1:5
	;; [unrolled: 1-line block ×3, first 2 shown]
	s_add_i32 s9, s5, 48
	s_add_i32 s10, s5, 64
	;; [unrolled: 1-line block ×3, first 2 shown]
	s_cmpk_eq_i32 s3, 0x380
	s_waitcnt lgkmcnt(3)
	v_mul_f64 v[8:9], v[17:18], v[6:7]
	v_mul_f64 v[31:32], v[15:16], v[6:7]
	s_waitcnt lgkmcnt(2)
	v_mul_f64 v[33:34], v[21:22], v[6:7]
	v_mul_f64 v[35:36], v[19:20], v[6:7]
	s_waitcnt lgkmcnt(1)
	v_mul_f64 v[37:38], v[25:26], v[6:7]
	v_fma_f64 v[8:9], v[15:16], v[4:5], -v[8:9]
	v_mul_f64 v[15:16], v[23:24], v[6:7]
	v_fma_f64 v[31:32], v[17:18], v[4:5], v[31:32]
	v_fma_f64 v[33:34], v[19:20], v[4:5], -v[33:34]
	v_fma_f64 v[35:36], v[21:22], v[4:5], v[35:36]
	v_fma_f64 v[37:38], v[23:24], v[4:5], -v[37:38]
	v_fma_f64 v[41:42], v[25:26], v[4:5], v[15:16]
	ds_load_2addr_b64 v[15:18], v1 offset0:8 offset1:9
	s_waitcnt lgkmcnt(1)
	v_mul_f64 v[19:20], v[27:28], v[6:7]
	v_mul_f64 v[39:40], v[29:30], v[6:7]
	scratch_load_b128 v[23:26], off, s10
	s_waitcnt lgkmcnt(0)
	v_mul_f64 v[21:22], v[17:18], v[6:7]
	v_fma_f64 v[43:44], v[29:30], v[4:5], v[19:20]
	v_mul_f64 v[19:20], v[15:16], v[6:7]
	v_fma_f64 v[39:40], v[27:28], v[4:5], -v[39:40]
	scratch_load_b128 v[27:30], off, s12
	v_fma_f64 v[45:46], v[15:16], v[4:5], -v[21:22]
	v_fma_f64 v[47:48], v[17:18], v[4:5], v[19:20]
	s_clause 0x1
	scratch_load_b128 v[15:18], off, s8
	scratch_load_b128 v[19:22], off, s9
	s_waitcnt vmcnt(4)
	v_add_f64 v[11:12], v[11:12], -v[8:9]
	v_add_f64 v[13:14], v[13:14], -v[31:32]
	s_waitcnt vmcnt(3)
	v_add_f64 v[23:24], v[23:24], -v[39:40]
	v_add_f64 v[25:26], v[25:26], -v[43:44]
	;; [unrolled: 3-line block ×5, first 2 shown]
	s_clause 0x4
	scratch_store_b128 off, v[11:14], s6
	scratch_store_b128 off, v[15:18], s8
	;; [unrolled: 1-line block ×5, first 2 shown]
	s_cbranch_scc1 .LBB123_14
; %bb.16:                               ;   in Loop: Header=BB123_15 Depth=1
	s_add_i32 s6, s5, 0x60
	s_add_i32 s8, s5, 0x70
	scratch_load_b128 v[11:14], off, s6
	s_addk_i32 s5, 0x80
	s_clause 0x1
	scratch_load_b128 v[15:18], off, s8
	scratch_load_b128 v[19:22], off, s5
	ds_load_2addr_b64 v[23:26], v1 offset0:10 offset1:11
	ds_load_2addr_b64 v[27:30], v1 offset0:12 offset1:13
	;; [unrolled: 1-line block ×3, first 2 shown]
	s_addk_i32 s3, 0x80
	s_mov_b32 s7, 0
	s_waitcnt lgkmcnt(2)
	v_mul_f64 v[8:9], v[25:26], v[6:7]
	v_mul_f64 v[35:36], v[23:24], v[6:7]
	s_waitcnt lgkmcnt(1)
	v_mul_f64 v[37:38], v[29:30], v[6:7]
	v_mul_f64 v[39:40], v[27:28], v[6:7]
	;; [unrolled: 3-line block ×3, first 2 shown]
	v_fma_f64 v[8:9], v[23:24], v[4:5], -v[8:9]
	v_fma_f64 v[23:24], v[25:26], v[4:5], v[35:36]
	v_fma_f64 v[25:26], v[27:28], v[4:5], -v[37:38]
	v_fma_f64 v[27:28], v[29:30], v[4:5], v[39:40]
	;; [unrolled: 2-line block ×3, first 2 shown]
	s_waitcnt vmcnt(2)
	v_add_f64 v[11:12], v[11:12], -v[8:9]
	v_add_f64 v[13:14], v[13:14], -v[23:24]
	s_waitcnt vmcnt(1)
	v_add_f64 v[15:16], v[15:16], -v[25:26]
	v_add_f64 v[17:18], v[17:18], -v[27:28]
	;; [unrolled: 3-line block ×3, first 2 shown]
	s_clause 0x2
	scratch_store_b128 off, v[11:14], s6
	scratch_store_b128 off, v[15:18], s8
	;; [unrolled: 1-line block ×3, first 2 shown]
	s_branch .LBB123_14
.LBB123_17:
	s_or_b32 exec_lo, exec_lo, s4
	v_add3_u32 v12, v180, 0, 32
	s_mov_b32 s4, exec_lo
	s_waitcnt lgkmcnt(0)
	s_waitcnt_vscnt null, 0x0
	s_barrier
	buffer_gl0_inv
	v_cmpx_eq_u32_e32 1, v252
	s_cbranch_execz .LBB123_26
; %bb.18:
	scratch_load_b128 v[4:7], v74, off
	v_mov_b32_e32 v0, 0
	s_movk_i32 s3, 0xfc40
	s_waitcnt vmcnt(0)
	ds_store_2addr_b64 v255, v[4:5], v[6:7] offset1:1
.LBB123_19:                             ; =>This Inner Loop Header: Depth=1
	v_readfirstlane_b32 s5, v0
	v_add_nc_u32_e32 v1, s3, v12
	s_delay_alu instid0(VALU_DEP_2)
	s_add_i32 s5, s5, s3
	s_addk_i32 s3, 0xf0
	s_add_i32 s6, s5, 0x3e0
	s_add_i32 s7, s5, 0x3f0
	;; [unrolled: 1-line block ×8, first 2 shown]
	s_clause 0x7
	scratch_load_b128 v[4:7], off, s6
	scratch_load_b128 v[8:11], off, s7
	;; [unrolled: 1-line block ×8, first 2 shown]
	s_add_i32 s15, s5, 0x460
	s_add_i32 s16, s5, 0x470
	s_add_i32 s17, s5, 0x480
	s_add_i32 s18, s5, 0x490
	s_add_i32 s19, s5, 0x4a0
	s_add_i32 s20, s5, 0x4b0
	s_addk_i32 s5, 0x4c0
	s_cmp_lg_u32 s3, 0
	s_waitcnt vmcnt(7)
	ds_store_2addr_b64 v1, v[4:5], v[6:7] offset0:120 offset1:121
	s_waitcnt vmcnt(6)
	ds_store_2addr_b64 v1, v[8:9], v[10:11] offset0:122 offset1:123
	s_clause 0x1
	scratch_load_b128 v[4:7], off, s15
	scratch_load_b128 v[8:11], off, s16
	s_waitcnt vmcnt(7)
	ds_store_2addr_b64 v1, v[13:14], v[15:16] offset0:124 offset1:125
	s_waitcnt vmcnt(6)
	ds_store_2addr_b64 v1, v[17:18], v[19:20] offset0:126 offset1:127
	s_clause 0x1
	scratch_load_b128 v[13:16], off, s17
	scratch_load_b128 v[17:20], off, s18
	;; [unrolled: 7-line block ×3, first 2 shown]
	s_waitcnt vmcnt(7)
	ds_store_2addr_b64 v1, v[29:30], v[31:32] offset0:132 offset1:133
	scratch_load_b128 v[29:32], off, s5
	s_waitcnt vmcnt(7)
	ds_store_2addr_b64 v1, v[33:34], v[35:36] offset0:134 offset1:135
	s_waitcnt vmcnt(6)
	ds_store_2addr_b64 v1, v[4:5], v[6:7] offset0:136 offset1:137
	;; [unrolled: 2-line block ×8, first 2 shown]
	s_cbranch_scc1 .LBB123_19
; %bb.20:
	ds_load_2addr_b64 v[4:7], v255 offset1:1
	s_waitcnt lgkmcnt(0)
	v_cmp_neq_f64_e32 vcc_lo, 0, v[4:5]
	v_cmp_neq_f64_e64 s3, 0, v[6:7]
	s_delay_alu instid0(VALU_DEP_1) | instskip(NEXT) | instid1(SALU_CYCLE_1)
	s_or_b32 s3, vcc_lo, s3
	s_and_b32 exec_lo, exec_lo, s3
	s_cbranch_execz .LBB123_26
; %bb.21:
	v_cmp_gt_f64_e32 vcc_lo, 0, v[4:5]
	v_cmp_gt_f64_e64 s3, 0, v[6:7]
	v_xor_b32_e32 v0, 0x80000000, v5
	v_xor_b32_e32 v8, 0x80000000, v7
	s_delay_alu instid0(VALU_DEP_2) | instskip(NEXT) | instid1(VALU_DEP_2)
	v_cndmask_b32_e32 v1, v5, v0, vcc_lo
	v_cndmask_b32_e64 v9, v7, v8, s3
	v_cndmask_b32_e32 v0, v4, v4, vcc_lo
	v_cndmask_b32_e64 v8, v6, v6, s3
	s_delay_alu instid0(VALU_DEP_1) | instskip(SKIP_1) | instid1(SALU_CYCLE_1)
	v_cmp_ngt_f64_e32 vcc_lo, v[0:1], v[8:9]
                                        ; implicit-def: $vgpr0_vgpr1
	s_and_saveexec_b32 s3, vcc_lo
	s_xor_b32 s3, exec_lo, s3
                                        ; implicit-def: $vgpr8_vgpr9_vgpr10_vgpr11
	s_cbranch_execz .LBB123_23
; %bb.22:
	v_div_scale_f64 v[0:1], null, v[6:7], v[6:7], v[4:5]
	v_div_scale_f64 v[13:14], vcc_lo, v[4:5], v[6:7], v[4:5]
	s_delay_alu instid0(VALU_DEP_2) | instskip(SKIP_2) | instid1(VALU_DEP_1)
	v_rcp_f64_e32 v[8:9], v[0:1]
	s_waitcnt_depctr 0xfff
	v_fma_f64 v[10:11], -v[0:1], v[8:9], 1.0
	v_fma_f64 v[8:9], v[8:9], v[10:11], v[8:9]
	s_delay_alu instid0(VALU_DEP_1) | instskip(NEXT) | instid1(VALU_DEP_1)
	v_fma_f64 v[10:11], -v[0:1], v[8:9], 1.0
	v_fma_f64 v[8:9], v[8:9], v[10:11], v[8:9]
	s_delay_alu instid0(VALU_DEP_1) | instskip(NEXT) | instid1(VALU_DEP_1)
	v_mul_f64 v[10:11], v[13:14], v[8:9]
	v_fma_f64 v[0:1], -v[0:1], v[10:11], v[13:14]
	s_delay_alu instid0(VALU_DEP_1) | instskip(NEXT) | instid1(VALU_DEP_1)
	v_div_fmas_f64 v[0:1], v[0:1], v[8:9], v[10:11]
	v_div_fixup_f64 v[0:1], v[0:1], v[6:7], v[4:5]
	s_delay_alu instid0(VALU_DEP_1) | instskip(NEXT) | instid1(VALU_DEP_1)
	v_fma_f64 v[4:5], v[4:5], v[0:1], v[6:7]
	v_div_scale_f64 v[6:7], null, v[4:5], v[4:5], 1.0
	s_delay_alu instid0(VALU_DEP_1) | instskip(SKIP_2) | instid1(VALU_DEP_1)
	v_rcp_f64_e32 v[8:9], v[6:7]
	s_waitcnt_depctr 0xfff
	v_fma_f64 v[10:11], -v[6:7], v[8:9], 1.0
	v_fma_f64 v[8:9], v[8:9], v[10:11], v[8:9]
	s_delay_alu instid0(VALU_DEP_1) | instskip(NEXT) | instid1(VALU_DEP_1)
	v_fma_f64 v[10:11], -v[6:7], v[8:9], 1.0
	v_fma_f64 v[8:9], v[8:9], v[10:11], v[8:9]
	v_div_scale_f64 v[10:11], vcc_lo, 1.0, v[4:5], 1.0
	s_delay_alu instid0(VALU_DEP_1) | instskip(NEXT) | instid1(VALU_DEP_1)
	v_mul_f64 v[13:14], v[10:11], v[8:9]
	v_fma_f64 v[6:7], -v[6:7], v[13:14], v[10:11]
	s_delay_alu instid0(VALU_DEP_1) | instskip(NEXT) | instid1(VALU_DEP_1)
	v_div_fmas_f64 v[6:7], v[6:7], v[8:9], v[13:14]
	v_div_fixup_f64 v[10:11], v[6:7], v[4:5], 1.0
                                        ; implicit-def: $vgpr4_vgpr5
	s_delay_alu instid0(VALU_DEP_1)
	v_mul_f64 v[0:1], v[0:1], v[10:11]
	v_xor_b32_e32 v11, 0x80000000, v11
.LBB123_23:
	s_and_not1_saveexec_b32 s3, s3
	s_cbranch_execz .LBB123_25
; %bb.24:
	v_div_scale_f64 v[0:1], null, v[4:5], v[4:5], v[6:7]
	v_div_scale_f64 v[13:14], vcc_lo, v[6:7], v[4:5], v[6:7]
	s_delay_alu instid0(VALU_DEP_2) | instskip(SKIP_2) | instid1(VALU_DEP_1)
	v_rcp_f64_e32 v[8:9], v[0:1]
	s_waitcnt_depctr 0xfff
	v_fma_f64 v[10:11], -v[0:1], v[8:9], 1.0
	v_fma_f64 v[8:9], v[8:9], v[10:11], v[8:9]
	s_delay_alu instid0(VALU_DEP_1) | instskip(NEXT) | instid1(VALU_DEP_1)
	v_fma_f64 v[10:11], -v[0:1], v[8:9], 1.0
	v_fma_f64 v[8:9], v[8:9], v[10:11], v[8:9]
	s_delay_alu instid0(VALU_DEP_1) | instskip(NEXT) | instid1(VALU_DEP_1)
	v_mul_f64 v[10:11], v[13:14], v[8:9]
	v_fma_f64 v[0:1], -v[0:1], v[10:11], v[13:14]
	s_delay_alu instid0(VALU_DEP_1) | instskip(NEXT) | instid1(VALU_DEP_1)
	v_div_fmas_f64 v[0:1], v[0:1], v[8:9], v[10:11]
	v_div_fixup_f64 v[8:9], v[0:1], v[4:5], v[6:7]
	s_delay_alu instid0(VALU_DEP_1) | instskip(NEXT) | instid1(VALU_DEP_1)
	v_fma_f64 v[0:1], v[6:7], v[8:9], v[4:5]
	v_div_scale_f64 v[4:5], null, v[0:1], v[0:1], 1.0
	s_delay_alu instid0(VALU_DEP_1) | instskip(SKIP_2) | instid1(VALU_DEP_1)
	v_rcp_f64_e32 v[6:7], v[4:5]
	s_waitcnt_depctr 0xfff
	v_fma_f64 v[10:11], -v[4:5], v[6:7], 1.0
	v_fma_f64 v[6:7], v[6:7], v[10:11], v[6:7]
	s_delay_alu instid0(VALU_DEP_1) | instskip(NEXT) | instid1(VALU_DEP_1)
	v_fma_f64 v[10:11], -v[4:5], v[6:7], 1.0
	v_fma_f64 v[6:7], v[6:7], v[10:11], v[6:7]
	v_div_scale_f64 v[10:11], vcc_lo, 1.0, v[0:1], 1.0
	s_delay_alu instid0(VALU_DEP_1) | instskip(NEXT) | instid1(VALU_DEP_1)
	v_mul_f64 v[13:14], v[10:11], v[6:7]
	v_fma_f64 v[4:5], -v[4:5], v[13:14], v[10:11]
	s_delay_alu instid0(VALU_DEP_1) | instskip(NEXT) | instid1(VALU_DEP_1)
	v_div_fmas_f64 v[4:5], v[4:5], v[6:7], v[13:14]
	v_div_fixup_f64 v[0:1], v[4:5], v[0:1], 1.0
	s_delay_alu instid0(VALU_DEP_1)
	v_mul_f64 v[10:11], v[8:9], -v[0:1]
.LBB123_25:
	s_or_b32 exec_lo, exec_lo, s3
	ds_store_2addr_b64 v255, v[0:1], v[10:11] offset1:1
.LBB123_26:
	s_or_b32 exec_lo, exec_lo, s4
	scratch_store_b128 off, v[49:52], off offset:1700 ; 16-byte Folded Spill
	s_waitcnt lgkmcnt(0)
	s_waitcnt_vscnt null, 0x0
	s_barrier
	buffer_gl0_inv
	ds_load_2addr_b64 v[58:61], v255 offset1:1
	s_mov_b32 s3, exec_lo
	v_cmpx_lt_u32_e32 1, v252
	s_cbranch_execz .LBB123_29
; %bb.27:
	scratch_load_b128 v[13:16], off, off offset:16
	s_mov_b32 s4, 0
	s_waitcnt vmcnt(0) lgkmcnt(0)
	v_mul_f64 v[0:1], v[60:61], v[15:16]
	v_mul_f64 v[4:5], v[58:59], v[15:16]
	s_delay_alu instid0(VALU_DEP_2) | instskip(NEXT) | instid1(VALU_DEP_2)
	v_fma_f64 v[8:9], v[58:59], v[13:14], -v[0:1]
	v_fma_f64 v[10:11], v[60:61], v[13:14], v[4:5]
	v_mov_b32_e32 v0, 0
	scratch_store_b128 off, v[8:11], off offset:16
.LBB123_28:                             ; =>This Inner Loop Header: Depth=1
	scratch_load_b64 v[4:5], off, off offset:16
	v_add_nc_u32_e32 v1, s4, v12
	v_readfirstlane_b32 s5, v0
	ds_load_2addr_b64 v[13:16], v1 offset1:1
	ds_load_2addr_b64 v[17:20], v1 offset0:2 offset1:3
	ds_load_2addr_b64 v[21:24], v1 offset0:4 offset1:5
	;; [unrolled: 1-line block ×5, first 2 shown]
	s_add_i32 s5, s5, s4
	s_addk_i32 s4, 0x60
	s_add_i32 s6, s5, 32
	s_add_i32 s7, s5, 48
	;; [unrolled: 1-line block ×5, first 2 shown]
	s_addk_i32 s5, 0x70
	s_cmpk_lg_i32 s4, 0x3c0
	s_waitcnt lgkmcnt(5)
	v_mul_f64 v[6:7], v[15:16], v[10:11]
	v_mul_f64 v[8:9], v[13:14], v[10:11]
	s_waitcnt vmcnt(0)
	s_delay_alu instid0(VALU_DEP_2) | instskip(NEXT) | instid1(VALU_DEP_2)
	v_fma_f64 v[6:7], v[13:14], v[4:5], -v[6:7]
	v_fma_f64 v[8:9], v[15:16], v[4:5], v[8:9]
	s_waitcnt lgkmcnt(4)
	v_mul_f64 v[13:14], v[19:20], v[10:11]
	v_mul_f64 v[15:16], v[17:18], v[10:11]
	s_delay_alu instid0(VALU_DEP_2) | instskip(NEXT) | instid1(VALU_DEP_2)
	v_fma_f64 v[37:38], v[17:18], v[4:5], -v[13:14]
	v_fma_f64 v[39:40], v[19:20], v[4:5], v[15:16]
	s_waitcnt lgkmcnt(3)
	v_mul_f64 v[13:14], v[23:24], v[10:11]
	v_mul_f64 v[15:16], v[21:22], v[10:11]
	scratch_load_b128 v[17:20], off, s7
	v_fma_f64 v[41:42], v[21:22], v[4:5], -v[13:14]
	v_fma_f64 v[43:44], v[23:24], v[4:5], v[15:16]
	scratch_load_b128 v[21:24], off, s8
	s_waitcnt lgkmcnt(2)
	v_mul_f64 v[13:14], v[27:28], v[10:11]
	v_mul_f64 v[15:16], v[25:26], v[10:11]
	s_delay_alu instid0(VALU_DEP_2) | instskip(NEXT) | instid1(VALU_DEP_2)
	v_fma_f64 v[45:46], v[25:26], v[4:5], -v[13:14]
	v_fma_f64 v[47:48], v[27:28], v[4:5], v[15:16]
	s_waitcnt lgkmcnt(1)
	v_mul_f64 v[13:14], v[31:32], v[10:11]
	v_mul_f64 v[15:16], v[29:30], v[10:11]
	scratch_load_b128 v[25:28], off, s9
	v_fma_f64 v[49:50], v[29:30], v[4:5], -v[13:14]
	v_fma_f64 v[51:52], v[31:32], v[4:5], v[15:16]
	scratch_load_b128 v[29:32], off, s10
	s_waitcnt lgkmcnt(0)
	v_mul_f64 v[13:14], v[35:36], v[10:11]
	v_mul_f64 v[15:16], v[33:34], v[10:11]
	s_delay_alu instid0(VALU_DEP_2) | instskip(NEXT) | instid1(VALU_DEP_2)
	v_fma_f64 v[53:54], v[33:34], v[4:5], -v[13:14]
	v_fma_f64 v[4:5], v[35:36], v[4:5], v[15:16]
	s_clause 0x1
	scratch_load_b128 v[13:16], off, s6
	scratch_load_b128 v[33:36], off, s5
	s_waitcnt vmcnt(5)
	v_add_f64 v[17:18], v[17:18], -v[37:38]
	v_add_f64 v[19:20], v[19:20], -v[39:40]
	s_waitcnt vmcnt(4)
	v_add_f64 v[21:22], v[21:22], -v[41:42]
	v_add_f64 v[23:24], v[23:24], -v[43:44]
	s_waitcnt vmcnt(3)
	v_add_f64 v[25:26], v[25:26], -v[45:46]
	v_add_f64 v[27:28], v[27:28], -v[47:48]
	s_waitcnt vmcnt(2)
	v_add_f64 v[29:30], v[29:30], -v[49:50]
	v_add_f64 v[31:32], v[31:32], -v[51:52]
	s_waitcnt vmcnt(1)
	v_add_f64 v[13:14], v[13:14], -v[6:7]
	v_add_f64 v[15:16], v[15:16], -v[8:9]
	s_waitcnt vmcnt(0)
	v_add_f64 v[33:34], v[33:34], -v[53:54]
	v_add_f64 v[35:36], v[35:36], -v[4:5]
	s_clause 0x5
	scratch_store_b128 off, v[13:16], s6
	scratch_store_b128 off, v[17:20], s7
	scratch_store_b128 off, v[21:24], s8
	scratch_store_b128 off, v[25:28], s9
	scratch_store_b128 off, v[29:32], s10
	scratch_store_b128 off, v[33:36], s5
	s_cbranch_scc1 .LBB123_28
.LBB123_29:
	s_or_b32 exec_lo, exec_lo, s3
	v_add3_u32 v16, v180, 0, 48
	s_mov_b32 s4, exec_lo
	s_waitcnt lgkmcnt(0)
	s_waitcnt_vscnt null, 0x0
	s_barrier
	buffer_gl0_inv
	v_cmpx_eq_u32_e32 2, v252
	s_cbranch_execz .LBB123_40
; %bb.30:
	scratch_load_b128 v[8:11], v57, off
	v_mov_b32_e32 v0, 0
	s_movk_i32 s3, 0xfc80
	s_waitcnt vmcnt(0)
	ds_store_2addr_b64 v255, v[8:9], v[10:11] offset1:1
	s_branch .LBB123_32
.LBB123_31:                             ;   in Loop: Header=BB123_32 Depth=1
	s_add_i32 s6, s5, 0x3e0
	s_add_i32 s7, s5, 0x3f0
	s_clause 0x1
	scratch_load_b128 v[8:11], off, s6
	scratch_load_b128 v[12:15], off, s7
	s_add_i32 s6, s5, 0x400
	s_add_i32 s7, s5, 0x410
	s_addk_i32 s5, 0x420
	s_clause 0x2
	scratch_load_b128 v[17:20], off, s6
	scratch_load_b128 v[21:24], off, s7
	;; [unrolled: 1-line block ×3, first 2 shown]
	s_addk_i32 s3, 0x80
	s_waitcnt vmcnt(4)
	ds_store_2addr_b64 v1, v[8:9], v[10:11] offset0:118 offset1:119
	s_waitcnt vmcnt(3)
	ds_store_2addr_b64 v1, v[12:13], v[14:15] offset0:120 offset1:121
	;; [unrolled: 2-line block ×5, first 2 shown]
	s_cbranch_execz .LBB123_34
.LBB123_32:                             ; =>This Inner Loop Header: Depth=1
	v_readfirstlane_b32 s5, v0
	v_add_nc_u32_e32 v1, s3, v16
	s_delay_alu instid0(VALU_DEP_2) | instskip(NEXT) | instid1(SALU_CYCLE_1)
	s_add_i32 s5, s5, s3
	s_add_i32 s6, s5, 0x3b0
	;; [unrolled: 1-line block ×4, first 2 shown]
	s_clause 0x2
	scratch_load_b128 v[8:11], off, s6
	scratch_load_b128 v[12:15], off, s7
	;; [unrolled: 1-line block ×3, first 2 shown]
	s_cmp_eq_u32 s3, 0
	s_waitcnt vmcnt(2)
	ds_store_2addr_b64 v1, v[8:9], v[10:11] offset0:112 offset1:113
	s_waitcnt vmcnt(1)
	ds_store_2addr_b64 v1, v[12:13], v[14:15] offset0:114 offset1:115
	s_waitcnt vmcnt(0)
	ds_store_2addr_b64 v1, v[17:18], v[19:20] offset0:116 offset1:117
	s_cbranch_scc0 .LBB123_31
; %bb.33:
                                        ; implicit-def: $sgpr3
.LBB123_34:
	ds_load_2addr_b64 v[8:11], v255 offset1:1
	s_waitcnt lgkmcnt(0)
	v_cmp_neq_f64_e32 vcc_lo, 0, v[8:9]
	v_cmp_neq_f64_e64 s3, 0, v[10:11]
	s_delay_alu instid0(VALU_DEP_1) | instskip(NEXT) | instid1(SALU_CYCLE_1)
	s_or_b32 s3, vcc_lo, s3
	s_and_b32 exec_lo, exec_lo, s3
	s_cbranch_execz .LBB123_40
; %bb.35:
	v_cmp_gt_f64_e32 vcc_lo, 0, v[8:9]
	v_cmp_gt_f64_e64 s3, 0, v[10:11]
	v_xor_b32_e32 v0, 0x80000000, v9
	v_xor_b32_e32 v4, 0x80000000, v11
	s_delay_alu instid0(VALU_DEP_2) | instskip(NEXT) | instid1(VALU_DEP_2)
	v_cndmask_b32_e32 v1, v9, v0, vcc_lo
	v_cndmask_b32_e64 v5, v11, v4, s3
	v_cndmask_b32_e32 v0, v8, v8, vcc_lo
	v_cndmask_b32_e64 v4, v10, v10, s3
	s_delay_alu instid0(VALU_DEP_1) | instskip(SKIP_1) | instid1(SALU_CYCLE_1)
	v_cmp_ngt_f64_e32 vcc_lo, v[0:1], v[4:5]
                                        ; implicit-def: $vgpr0_vgpr1
	s_and_saveexec_b32 s3, vcc_lo
	s_xor_b32 s3, exec_lo, s3
                                        ; implicit-def: $vgpr12_vgpr13_vgpr14_vgpr15
	s_cbranch_execz .LBB123_37
; %bb.36:
	v_div_scale_f64 v[0:1], null, v[10:11], v[10:11], v[8:9]
	v_div_scale_f64 v[12:13], vcc_lo, v[8:9], v[10:11], v[8:9]
	s_delay_alu instid0(VALU_DEP_2) | instskip(SKIP_2) | instid1(VALU_DEP_1)
	v_rcp_f64_e32 v[4:5], v[0:1]
	s_waitcnt_depctr 0xfff
	v_fma_f64 v[6:7], -v[0:1], v[4:5], 1.0
	v_fma_f64 v[4:5], v[4:5], v[6:7], v[4:5]
	s_delay_alu instid0(VALU_DEP_1) | instskip(NEXT) | instid1(VALU_DEP_1)
	v_fma_f64 v[6:7], -v[0:1], v[4:5], 1.0
	v_fma_f64 v[4:5], v[4:5], v[6:7], v[4:5]
	s_delay_alu instid0(VALU_DEP_1) | instskip(NEXT) | instid1(VALU_DEP_1)
	v_mul_f64 v[6:7], v[12:13], v[4:5]
	v_fma_f64 v[0:1], -v[0:1], v[6:7], v[12:13]
	s_delay_alu instid0(VALU_DEP_1) | instskip(NEXT) | instid1(VALU_DEP_1)
	v_div_fmas_f64 v[0:1], v[0:1], v[4:5], v[6:7]
	v_div_fixup_f64 v[0:1], v[0:1], v[10:11], v[8:9]
	s_delay_alu instid0(VALU_DEP_1) | instskip(NEXT) | instid1(VALU_DEP_1)
	v_fma_f64 v[4:5], v[8:9], v[0:1], v[10:11]
	v_div_scale_f64 v[6:7], null, v[4:5], v[4:5], 1.0
	s_delay_alu instid0(VALU_DEP_1) | instskip(SKIP_2) | instid1(VALU_DEP_1)
	v_rcp_f64_e32 v[8:9], v[6:7]
	s_waitcnt_depctr 0xfff
	v_fma_f64 v[10:11], -v[6:7], v[8:9], 1.0
	v_fma_f64 v[8:9], v[8:9], v[10:11], v[8:9]
	s_delay_alu instid0(VALU_DEP_1) | instskip(NEXT) | instid1(VALU_DEP_1)
	v_fma_f64 v[10:11], -v[6:7], v[8:9], 1.0
	v_fma_f64 v[8:9], v[8:9], v[10:11], v[8:9]
	v_div_scale_f64 v[10:11], vcc_lo, 1.0, v[4:5], 1.0
	s_delay_alu instid0(VALU_DEP_1) | instskip(NEXT) | instid1(VALU_DEP_1)
	v_mul_f64 v[12:13], v[10:11], v[8:9]
	v_fma_f64 v[6:7], -v[6:7], v[12:13], v[10:11]
	s_delay_alu instid0(VALU_DEP_1) | instskip(NEXT) | instid1(VALU_DEP_1)
	v_div_fmas_f64 v[6:7], v[6:7], v[8:9], v[12:13]
                                        ; implicit-def: $vgpr8_vgpr9
	v_div_fixup_f64 v[14:15], v[6:7], v[4:5], 1.0
	s_delay_alu instid0(VALU_DEP_1)
	v_mul_f64 v[0:1], v[0:1], v[14:15]
	v_xor_b32_e32 v15, 0x80000000, v15
.LBB123_37:
	s_and_not1_saveexec_b32 s3, s3
	s_cbranch_execz .LBB123_39
; %bb.38:
	v_div_scale_f64 v[0:1], null, v[8:9], v[8:9], v[10:11]
	v_div_scale_f64 v[12:13], vcc_lo, v[10:11], v[8:9], v[10:11]
	s_delay_alu instid0(VALU_DEP_2) | instskip(SKIP_2) | instid1(VALU_DEP_1)
	v_rcp_f64_e32 v[4:5], v[0:1]
	s_waitcnt_depctr 0xfff
	v_fma_f64 v[6:7], -v[0:1], v[4:5], 1.0
	v_fma_f64 v[4:5], v[4:5], v[6:7], v[4:5]
	s_delay_alu instid0(VALU_DEP_1) | instskip(NEXT) | instid1(VALU_DEP_1)
	v_fma_f64 v[6:7], -v[0:1], v[4:5], 1.0
	v_fma_f64 v[4:5], v[4:5], v[6:7], v[4:5]
	s_delay_alu instid0(VALU_DEP_1) | instskip(NEXT) | instid1(VALU_DEP_1)
	v_mul_f64 v[6:7], v[12:13], v[4:5]
	v_fma_f64 v[0:1], -v[0:1], v[6:7], v[12:13]
	s_delay_alu instid0(VALU_DEP_1) | instskip(NEXT) | instid1(VALU_DEP_1)
	v_div_fmas_f64 v[0:1], v[0:1], v[4:5], v[6:7]
	v_div_fixup_f64 v[4:5], v[0:1], v[8:9], v[10:11]
	s_delay_alu instid0(VALU_DEP_1) | instskip(NEXT) | instid1(VALU_DEP_1)
	v_fma_f64 v[0:1], v[10:11], v[4:5], v[8:9]
	v_div_scale_f64 v[6:7], null, v[0:1], v[0:1], 1.0
	s_delay_alu instid0(VALU_DEP_1) | instskip(SKIP_2) | instid1(VALU_DEP_1)
	v_rcp_f64_e32 v[8:9], v[6:7]
	s_waitcnt_depctr 0xfff
	v_fma_f64 v[10:11], -v[6:7], v[8:9], 1.0
	v_fma_f64 v[8:9], v[8:9], v[10:11], v[8:9]
	s_delay_alu instid0(VALU_DEP_1) | instskip(NEXT) | instid1(VALU_DEP_1)
	v_fma_f64 v[10:11], -v[6:7], v[8:9], 1.0
	v_fma_f64 v[8:9], v[8:9], v[10:11], v[8:9]
	v_div_scale_f64 v[10:11], vcc_lo, 1.0, v[0:1], 1.0
	s_delay_alu instid0(VALU_DEP_1) | instskip(NEXT) | instid1(VALU_DEP_1)
	v_mul_f64 v[12:13], v[10:11], v[8:9]
	v_fma_f64 v[6:7], -v[6:7], v[12:13], v[10:11]
	s_delay_alu instid0(VALU_DEP_1) | instskip(NEXT) | instid1(VALU_DEP_1)
	v_div_fmas_f64 v[6:7], v[6:7], v[8:9], v[12:13]
	v_div_fixup_f64 v[0:1], v[6:7], v[0:1], 1.0
	s_delay_alu instid0(VALU_DEP_1)
	v_mul_f64 v[14:15], v[4:5], -v[0:1]
.LBB123_39:
	s_or_b32 exec_lo, exec_lo, s3
	ds_store_2addr_b64 v255, v[0:1], v[14:15] offset1:1
.LBB123_40:
	s_or_b32 exec_lo, exec_lo, s4
	s_waitcnt lgkmcnt(0)
	s_barrier
	buffer_gl0_inv
	ds_load_2addr_b64 v[8:11], v255 offset1:1
	s_mov_b32 s3, exec_lo
	v_cmpx_lt_u32_e32 2, v252
	s_cbranch_execz .LBB123_45
; %bb.41:
	scratch_load_b128 v[17:20], off, off offset:32
	s_mov_b32 s4, 0
	s_waitcnt vmcnt(0) lgkmcnt(0)
	v_mul_f64 v[0:1], v[10:11], v[19:20]
	v_mul_f64 v[4:5], v[8:9], v[19:20]
	s_delay_alu instid0(VALU_DEP_2) | instskip(NEXT) | instid1(VALU_DEP_2)
	v_fma_f64 v[12:13], v[8:9], v[17:18], -v[0:1]
	v_fma_f64 v[14:15], v[10:11], v[17:18], v[4:5]
	v_mov_b32_e32 v0, 0
	scratch_store_b128 off, v[12:15], off offset:32
	s_branch .LBB123_43
.LBB123_42:                             ;   in Loop: Header=BB123_43 Depth=1
	s_and_not1_b32 vcc_lo, exec_lo, s6
	s_cbranch_vccz .LBB123_45
.LBB123_43:                             ; =>This Inner Loop Header: Depth=1
	v_readfirstlane_b32 s5, v0
	v_add_nc_u32_e32 v1, s4, v16
	s_mov_b32 s6, -1
	s_delay_alu instid0(VALU_DEP_2) | instskip(NEXT) | instid1(SALU_CYCLE_1)
	s_add_i32 s5, s5, s4
	s_add_i32 s7, s5, 48
	;; [unrolled: 1-line block ×3, first 2 shown]
	scratch_load_b128 v[17:20], off, s7
	s_add_i32 s9, s5, 0x50
	s_clause 0x1
	scratch_load_b128 v[21:24], off, s8
	scratch_load_b128 v[25:28], off, s9
	ds_load_2addr_b64 v[29:32], v1 offset1:1
	ds_load_2addr_b64 v[33:36], v1 offset0:2 offset1:3
	ds_load_2addr_b64 v[37:40], v1 offset0:4 offset1:5
	s_cmpk_eq_i32 s4, 0x380
	s_waitcnt lgkmcnt(2)
	v_mul_f64 v[4:5], v[31:32], v[14:15]
	v_mul_f64 v[6:7], v[29:30], v[14:15]
	s_waitcnt lgkmcnt(1)
	v_mul_f64 v[41:42], v[35:36], v[14:15]
	v_mul_f64 v[43:44], v[33:34], v[14:15]
	;; [unrolled: 3-line block ×3, first 2 shown]
	v_fma_f64 v[4:5], v[29:30], v[12:13], -v[4:5]
	v_fma_f64 v[6:7], v[31:32], v[12:13], v[6:7]
	v_fma_f64 v[29:30], v[33:34], v[12:13], -v[41:42]
	v_fma_f64 v[31:32], v[35:36], v[12:13], v[43:44]
	;; [unrolled: 2-line block ×3, first 2 shown]
	s_waitcnt vmcnt(2)
	v_add_f64 v[17:18], v[17:18], -v[4:5]
	v_add_f64 v[19:20], v[19:20], -v[6:7]
	s_waitcnt vmcnt(1)
	v_add_f64 v[21:22], v[21:22], -v[29:30]
	v_add_f64 v[23:24], v[23:24], -v[31:32]
	;; [unrolled: 3-line block ×3, first 2 shown]
	s_clause 0x2
	scratch_store_b128 off, v[17:20], s7
	scratch_store_b128 off, v[21:24], s8
	;; [unrolled: 1-line block ×3, first 2 shown]
	s_cbranch_scc1 .LBB123_42
; %bb.44:                               ;   in Loop: Header=BB123_43 Depth=1
	s_addk_i32 s5, 0x60
	ds_load_2addr_b64 v[21:24], v1 offset0:6 offset1:7
	scratch_load_b128 v[17:20], off, s5
	s_add_i32 s4, s4, 64
	s_mov_b32 s6, 0
	s_waitcnt lgkmcnt(0)
	v_mul_f64 v[4:5], v[23:24], v[14:15]
	v_mul_f64 v[6:7], v[21:22], v[14:15]
	s_delay_alu instid0(VALU_DEP_2) | instskip(NEXT) | instid1(VALU_DEP_2)
	v_fma_f64 v[4:5], v[21:22], v[12:13], -v[4:5]
	v_fma_f64 v[6:7], v[23:24], v[12:13], v[6:7]
	s_waitcnt vmcnt(0)
	s_delay_alu instid0(VALU_DEP_2) | instskip(NEXT) | instid1(VALU_DEP_2)
	v_add_f64 v[17:18], v[17:18], -v[4:5]
	v_add_f64 v[19:20], v[19:20], -v[6:7]
	scratch_store_b128 off, v[17:20], s5
	s_branch .LBB123_42
.LBB123_45:
	s_or_b32 exec_lo, exec_lo, s3
	v_add3_u32 v20, v180, 0, 64
	s_mov_b32 s4, exec_lo
	s_waitcnt lgkmcnt(0)
	s_waitcnt_vscnt null, 0x0
	s_barrier
	buffer_gl0_inv
	v_cmpx_eq_u32_e32 3, v252
	s_cbranch_execz .LBB123_54
; %bb.46:
	scratch_load_b128 v[12:15], v56, off
	s_mov_b32 s3, 0
	s_waitcnt vmcnt(0)
	ds_store_2addr_b64 v255, v[12:13], v[14:15] offset1:1
	.p2align	6
.LBB123_47:                             ; =>This Inner Loop Header: Depth=1
	v_add_nc_u32_e64 v0, s3, 0
	s_delay_alu instid0(VALU_DEP_1)
	v_add_nc_u32_e32 v1, 64, v0
	v_add_nc_u32_e32 v0, 0x50, v0
	s_clause 0x1
	scratch_load_b128 v[12:15], v1, off
	scratch_load_b128 v[16:19], v0, off
	v_add_nc_u32_e32 v0, s3, v20
	s_add_i32 s3, s3, 32
	s_waitcnt vmcnt(1)
	ds_store_2addr_b64 v0, v[12:13], v[14:15] offset1:1
	s_waitcnt vmcnt(0)
	ds_store_2addr_b64 v0, v[16:17], v[18:19] offset0:2 offset1:3
	s_cmpk_lg_i32 s3, 0x3a0
	s_cbranch_scc1 .LBB123_47
; %bb.48:
	ds_load_2addr_b64 v[12:15], v255 offset1:1
	s_waitcnt lgkmcnt(0)
	v_cmp_neq_f64_e32 vcc_lo, 0, v[12:13]
	v_cmp_neq_f64_e64 s3, 0, v[14:15]
	s_delay_alu instid0(VALU_DEP_1) | instskip(NEXT) | instid1(SALU_CYCLE_1)
	s_or_b32 s3, vcc_lo, s3
	s_and_b32 exec_lo, exec_lo, s3
	s_cbranch_execz .LBB123_54
; %bb.49:
	v_cmp_gt_f64_e32 vcc_lo, 0, v[12:13]
	v_cmp_gt_f64_e64 s3, 0, v[14:15]
	v_xor_b32_e32 v0, 0x80000000, v13
	v_xor_b32_e32 v4, 0x80000000, v15
	s_delay_alu instid0(VALU_DEP_2) | instskip(NEXT) | instid1(VALU_DEP_2)
	v_cndmask_b32_e32 v1, v13, v0, vcc_lo
	v_cndmask_b32_e64 v5, v15, v4, s3
	v_cndmask_b32_e32 v0, v12, v12, vcc_lo
	v_cndmask_b32_e64 v4, v14, v14, s3
	s_delay_alu instid0(VALU_DEP_1) | instskip(SKIP_1) | instid1(SALU_CYCLE_1)
	v_cmp_ngt_f64_e32 vcc_lo, v[0:1], v[4:5]
                                        ; implicit-def: $vgpr0_vgpr1
	s_and_saveexec_b32 s3, vcc_lo
	s_xor_b32 s3, exec_lo, s3
                                        ; implicit-def: $vgpr16_vgpr17_vgpr18_vgpr19
	s_cbranch_execz .LBB123_51
; %bb.50:
	v_div_scale_f64 v[0:1], null, v[14:15], v[14:15], v[12:13]
	v_div_scale_f64 v[16:17], vcc_lo, v[12:13], v[14:15], v[12:13]
	s_delay_alu instid0(VALU_DEP_2) | instskip(SKIP_2) | instid1(VALU_DEP_1)
	v_rcp_f64_e32 v[4:5], v[0:1]
	s_waitcnt_depctr 0xfff
	v_fma_f64 v[6:7], -v[0:1], v[4:5], 1.0
	v_fma_f64 v[4:5], v[4:5], v[6:7], v[4:5]
	s_delay_alu instid0(VALU_DEP_1) | instskip(NEXT) | instid1(VALU_DEP_1)
	v_fma_f64 v[6:7], -v[0:1], v[4:5], 1.0
	v_fma_f64 v[4:5], v[4:5], v[6:7], v[4:5]
	s_delay_alu instid0(VALU_DEP_1) | instskip(NEXT) | instid1(VALU_DEP_1)
	v_mul_f64 v[6:7], v[16:17], v[4:5]
	v_fma_f64 v[0:1], -v[0:1], v[6:7], v[16:17]
	s_delay_alu instid0(VALU_DEP_1) | instskip(NEXT) | instid1(VALU_DEP_1)
	v_div_fmas_f64 v[0:1], v[0:1], v[4:5], v[6:7]
	v_div_fixup_f64 v[0:1], v[0:1], v[14:15], v[12:13]
	s_delay_alu instid0(VALU_DEP_1) | instskip(NEXT) | instid1(VALU_DEP_1)
	v_fma_f64 v[4:5], v[12:13], v[0:1], v[14:15]
	v_div_scale_f64 v[6:7], null, v[4:5], v[4:5], 1.0
	s_delay_alu instid0(VALU_DEP_1) | instskip(SKIP_2) | instid1(VALU_DEP_1)
	v_rcp_f64_e32 v[12:13], v[6:7]
	s_waitcnt_depctr 0xfff
	v_fma_f64 v[14:15], -v[6:7], v[12:13], 1.0
	v_fma_f64 v[12:13], v[12:13], v[14:15], v[12:13]
	s_delay_alu instid0(VALU_DEP_1) | instskip(NEXT) | instid1(VALU_DEP_1)
	v_fma_f64 v[14:15], -v[6:7], v[12:13], 1.0
	v_fma_f64 v[12:13], v[12:13], v[14:15], v[12:13]
	v_div_scale_f64 v[14:15], vcc_lo, 1.0, v[4:5], 1.0
	s_delay_alu instid0(VALU_DEP_1) | instskip(NEXT) | instid1(VALU_DEP_1)
	v_mul_f64 v[16:17], v[14:15], v[12:13]
	v_fma_f64 v[6:7], -v[6:7], v[16:17], v[14:15]
	s_delay_alu instid0(VALU_DEP_1) | instskip(NEXT) | instid1(VALU_DEP_1)
	v_div_fmas_f64 v[6:7], v[6:7], v[12:13], v[16:17]
                                        ; implicit-def: $vgpr12_vgpr13
	v_div_fixup_f64 v[18:19], v[6:7], v[4:5], 1.0
	s_delay_alu instid0(VALU_DEP_1)
	v_mul_f64 v[0:1], v[0:1], v[18:19]
	v_xor_b32_e32 v19, 0x80000000, v19
.LBB123_51:
	s_and_not1_saveexec_b32 s3, s3
	s_cbranch_execz .LBB123_53
; %bb.52:
	v_div_scale_f64 v[0:1], null, v[12:13], v[12:13], v[14:15]
	v_div_scale_f64 v[16:17], vcc_lo, v[14:15], v[12:13], v[14:15]
	s_delay_alu instid0(VALU_DEP_2) | instskip(SKIP_2) | instid1(VALU_DEP_1)
	v_rcp_f64_e32 v[4:5], v[0:1]
	s_waitcnt_depctr 0xfff
	v_fma_f64 v[6:7], -v[0:1], v[4:5], 1.0
	v_fma_f64 v[4:5], v[4:5], v[6:7], v[4:5]
	s_delay_alu instid0(VALU_DEP_1) | instskip(NEXT) | instid1(VALU_DEP_1)
	v_fma_f64 v[6:7], -v[0:1], v[4:5], 1.0
	v_fma_f64 v[4:5], v[4:5], v[6:7], v[4:5]
	s_delay_alu instid0(VALU_DEP_1) | instskip(NEXT) | instid1(VALU_DEP_1)
	v_mul_f64 v[6:7], v[16:17], v[4:5]
	v_fma_f64 v[0:1], -v[0:1], v[6:7], v[16:17]
	s_delay_alu instid0(VALU_DEP_1) | instskip(NEXT) | instid1(VALU_DEP_1)
	v_div_fmas_f64 v[0:1], v[0:1], v[4:5], v[6:7]
	v_div_fixup_f64 v[4:5], v[0:1], v[12:13], v[14:15]
	s_delay_alu instid0(VALU_DEP_1) | instskip(NEXT) | instid1(VALU_DEP_1)
	v_fma_f64 v[0:1], v[14:15], v[4:5], v[12:13]
	v_div_scale_f64 v[6:7], null, v[0:1], v[0:1], 1.0
	s_delay_alu instid0(VALU_DEP_1) | instskip(SKIP_2) | instid1(VALU_DEP_1)
	v_rcp_f64_e32 v[12:13], v[6:7]
	s_waitcnt_depctr 0xfff
	v_fma_f64 v[14:15], -v[6:7], v[12:13], 1.0
	v_fma_f64 v[12:13], v[12:13], v[14:15], v[12:13]
	s_delay_alu instid0(VALU_DEP_1) | instskip(NEXT) | instid1(VALU_DEP_1)
	v_fma_f64 v[14:15], -v[6:7], v[12:13], 1.0
	v_fma_f64 v[12:13], v[12:13], v[14:15], v[12:13]
	v_div_scale_f64 v[14:15], vcc_lo, 1.0, v[0:1], 1.0
	s_delay_alu instid0(VALU_DEP_1) | instskip(NEXT) | instid1(VALU_DEP_1)
	v_mul_f64 v[16:17], v[14:15], v[12:13]
	v_fma_f64 v[6:7], -v[6:7], v[16:17], v[14:15]
	s_delay_alu instid0(VALU_DEP_1) | instskip(NEXT) | instid1(VALU_DEP_1)
	v_div_fmas_f64 v[6:7], v[6:7], v[12:13], v[16:17]
	v_div_fixup_f64 v[0:1], v[6:7], v[0:1], 1.0
	s_delay_alu instid0(VALU_DEP_1)
	v_mul_f64 v[18:19], v[4:5], -v[0:1]
.LBB123_53:
	s_or_b32 exec_lo, exec_lo, s3
	ds_store_2addr_b64 v255, v[0:1], v[18:19] offset1:1
.LBB123_54:
	s_or_b32 exec_lo, exec_lo, s4
	s_waitcnt lgkmcnt(0)
	s_barrier
	buffer_gl0_inv
	ds_load_2addr_b64 v[12:15], v255 offset1:1
	s_mov_b32 s3, exec_lo
	v_cmpx_lt_u32_e32 3, v252
	s_cbranch_execz .LBB123_57
; %bb.55:
	scratch_load_b128 v[21:24], off, off offset:48
	s_mov_b32 s4, 0
	s_waitcnt vmcnt(0) lgkmcnt(0)
	v_mul_f64 v[0:1], v[14:15], v[23:24]
	v_mul_f64 v[4:5], v[12:13], v[23:24]
	s_delay_alu instid0(VALU_DEP_2) | instskip(NEXT) | instid1(VALU_DEP_2)
	v_fma_f64 v[16:17], v[12:13], v[21:22], -v[0:1]
	v_fma_f64 v[18:19], v[14:15], v[21:22], v[4:5]
	scratch_store_b128 off, v[16:19], off offset:48
	s_set_inst_prefetch_distance 0x1
	.p2align	6
.LBB123_56:                             ; =>This Inner Loop Header: Depth=1
	v_add_nc_u32_e64 v0, s4, 0
	s_delay_alu instid0(VALU_DEP_1)
	v_add_nc_u32_e32 v39, 64, v0
	v_add_nc_u32_e32 v40, 0x50, v0
	v_add_nc_u32_e32 v0, s4, v20
	s_add_i32 s4, s4, 32
	s_clause 0x1
	scratch_load_b128 v[21:24], v39, off
	scratch_load_b128 v[25:28], v40, off
	ds_load_2addr_b64 v[29:32], v0 offset1:1
	ds_load_2addr_b64 v[33:36], v0 offset0:2 offset1:3
	s_cmpk_lg_i32 s4, 0x3a0
	s_waitcnt lgkmcnt(1)
	v_mul_f64 v[0:1], v[31:32], v[18:19]
	v_mul_f64 v[4:5], v[29:30], v[18:19]
	s_waitcnt lgkmcnt(0)
	v_mul_f64 v[6:7], v[35:36], v[18:19]
	v_mul_f64 v[37:38], v[33:34], v[18:19]
	s_delay_alu instid0(VALU_DEP_4) | instskip(NEXT) | instid1(VALU_DEP_4)
	v_fma_f64 v[0:1], v[29:30], v[16:17], -v[0:1]
	v_fma_f64 v[4:5], v[31:32], v[16:17], v[4:5]
	s_delay_alu instid0(VALU_DEP_4) | instskip(NEXT) | instid1(VALU_DEP_4)
	v_fma_f64 v[6:7], v[33:34], v[16:17], -v[6:7]
	v_fma_f64 v[29:30], v[35:36], v[16:17], v[37:38]
	s_waitcnt vmcnt(1)
	s_delay_alu instid0(VALU_DEP_4) | instskip(NEXT) | instid1(VALU_DEP_4)
	v_add_f64 v[21:22], v[21:22], -v[0:1]
	v_add_f64 v[23:24], v[23:24], -v[4:5]
	s_waitcnt vmcnt(0)
	s_delay_alu instid0(VALU_DEP_4) | instskip(NEXT) | instid1(VALU_DEP_4)
	v_add_f64 v[25:26], v[25:26], -v[6:7]
	v_add_f64 v[27:28], v[27:28], -v[29:30]
	s_clause 0x1
	scratch_store_b128 v39, v[21:24], off
	scratch_store_b128 v40, v[25:28], off
	s_cbranch_scc1 .LBB123_56
.LBB123_57:
	s_set_inst_prefetch_distance 0x2
	s_or_b32 exec_lo, exec_lo, s3
	v_add3_u32 v24, v180, 0, 0x50
	s_mov_b32 s4, exec_lo
	s_waitcnt lgkmcnt(0)
	s_waitcnt_vscnt null, 0x0
	s_barrier
	buffer_gl0_inv
	v_cmpx_eq_u32_e32 4, v252
	s_cbranch_execz .LBB123_66
; %bb.58:
	scratch_load_b128 v[16:19], v55, off
	v_mov_b32_e32 v0, 0
	s_mov_b32 s3, 0
	s_waitcnt vmcnt(0)
	ds_store_2addr_b64 v255, v[16:17], v[18:19] offset1:1
	.p2align	6
.LBB123_59:                             ; =>This Inner Loop Header: Depth=1
	v_readfirstlane_b32 s5, v0
	v_add_nc_u32_e32 v1, s3, v24
	s_delay_alu instid0(VALU_DEP_2)
	s_add_i32 s5, s5, s3
	s_add_i32 s3, s3, 48
	s_add_i32 s6, s5, 0x50
	s_add_i32 s7, s5, 0x60
	s_addk_i32 s5, 0x70
	s_clause 0x2
	scratch_load_b128 v[16:19], off, s6
	scratch_load_b128 v[20:23], off, s7
	;; [unrolled: 1-line block ×3, first 2 shown]
	s_cmpk_lg_i32 s3, 0x390
	s_waitcnt vmcnt(2)
	ds_store_2addr_b64 v1, v[16:17], v[18:19] offset1:1
	s_waitcnt vmcnt(1)
	ds_store_2addr_b64 v1, v[20:21], v[22:23] offset0:2 offset1:3
	s_waitcnt vmcnt(0)
	ds_store_2addr_b64 v1, v[25:26], v[27:28] offset0:4 offset1:5
	s_cbranch_scc1 .LBB123_59
; %bb.60:
	ds_load_2addr_b64 v[16:19], v255 offset1:1
	s_waitcnt lgkmcnt(0)
	v_cmp_neq_f64_e32 vcc_lo, 0, v[16:17]
	v_cmp_neq_f64_e64 s3, 0, v[18:19]
	s_delay_alu instid0(VALU_DEP_1) | instskip(NEXT) | instid1(SALU_CYCLE_1)
	s_or_b32 s3, vcc_lo, s3
	s_and_b32 exec_lo, exec_lo, s3
	s_cbranch_execz .LBB123_66
; %bb.61:
	v_cmp_gt_f64_e32 vcc_lo, 0, v[16:17]
	v_cmp_gt_f64_e64 s3, 0, v[18:19]
	v_xor_b32_e32 v0, 0x80000000, v17
	v_xor_b32_e32 v4, 0x80000000, v19
	s_delay_alu instid0(VALU_DEP_2) | instskip(NEXT) | instid1(VALU_DEP_2)
	v_cndmask_b32_e32 v1, v17, v0, vcc_lo
	v_cndmask_b32_e64 v5, v19, v4, s3
	v_cndmask_b32_e32 v0, v16, v16, vcc_lo
	v_cndmask_b32_e64 v4, v18, v18, s3
	s_delay_alu instid0(VALU_DEP_1) | instskip(SKIP_1) | instid1(SALU_CYCLE_1)
	v_cmp_ngt_f64_e32 vcc_lo, v[0:1], v[4:5]
                                        ; implicit-def: $vgpr0_vgpr1
	s_and_saveexec_b32 s3, vcc_lo
	s_xor_b32 s3, exec_lo, s3
                                        ; implicit-def: $vgpr20_vgpr21_vgpr22_vgpr23
	s_cbranch_execz .LBB123_63
; %bb.62:
	v_div_scale_f64 v[0:1], null, v[18:19], v[18:19], v[16:17]
	v_div_scale_f64 v[20:21], vcc_lo, v[16:17], v[18:19], v[16:17]
	s_delay_alu instid0(VALU_DEP_2) | instskip(SKIP_2) | instid1(VALU_DEP_1)
	v_rcp_f64_e32 v[4:5], v[0:1]
	s_waitcnt_depctr 0xfff
	v_fma_f64 v[6:7], -v[0:1], v[4:5], 1.0
	v_fma_f64 v[4:5], v[4:5], v[6:7], v[4:5]
	s_delay_alu instid0(VALU_DEP_1) | instskip(NEXT) | instid1(VALU_DEP_1)
	v_fma_f64 v[6:7], -v[0:1], v[4:5], 1.0
	v_fma_f64 v[4:5], v[4:5], v[6:7], v[4:5]
	s_delay_alu instid0(VALU_DEP_1) | instskip(NEXT) | instid1(VALU_DEP_1)
	v_mul_f64 v[6:7], v[20:21], v[4:5]
	v_fma_f64 v[0:1], -v[0:1], v[6:7], v[20:21]
	s_delay_alu instid0(VALU_DEP_1) | instskip(NEXT) | instid1(VALU_DEP_1)
	v_div_fmas_f64 v[0:1], v[0:1], v[4:5], v[6:7]
	v_div_fixup_f64 v[0:1], v[0:1], v[18:19], v[16:17]
	s_delay_alu instid0(VALU_DEP_1) | instskip(NEXT) | instid1(VALU_DEP_1)
	v_fma_f64 v[4:5], v[16:17], v[0:1], v[18:19]
	v_div_scale_f64 v[6:7], null, v[4:5], v[4:5], 1.0
	s_delay_alu instid0(VALU_DEP_1) | instskip(SKIP_2) | instid1(VALU_DEP_1)
	v_rcp_f64_e32 v[16:17], v[6:7]
	s_waitcnt_depctr 0xfff
	v_fma_f64 v[18:19], -v[6:7], v[16:17], 1.0
	v_fma_f64 v[16:17], v[16:17], v[18:19], v[16:17]
	s_delay_alu instid0(VALU_DEP_1) | instskip(NEXT) | instid1(VALU_DEP_1)
	v_fma_f64 v[18:19], -v[6:7], v[16:17], 1.0
	v_fma_f64 v[16:17], v[16:17], v[18:19], v[16:17]
	v_div_scale_f64 v[18:19], vcc_lo, 1.0, v[4:5], 1.0
	s_delay_alu instid0(VALU_DEP_1) | instskip(NEXT) | instid1(VALU_DEP_1)
	v_mul_f64 v[20:21], v[18:19], v[16:17]
	v_fma_f64 v[6:7], -v[6:7], v[20:21], v[18:19]
	s_delay_alu instid0(VALU_DEP_1) | instskip(NEXT) | instid1(VALU_DEP_1)
	v_div_fmas_f64 v[6:7], v[6:7], v[16:17], v[20:21]
                                        ; implicit-def: $vgpr16_vgpr17
	v_div_fixup_f64 v[22:23], v[6:7], v[4:5], 1.0
	s_delay_alu instid0(VALU_DEP_1)
	v_mul_f64 v[0:1], v[0:1], v[22:23]
	v_xor_b32_e32 v23, 0x80000000, v23
.LBB123_63:
	s_and_not1_saveexec_b32 s3, s3
	s_cbranch_execz .LBB123_65
; %bb.64:
	v_div_scale_f64 v[0:1], null, v[16:17], v[16:17], v[18:19]
	v_div_scale_f64 v[20:21], vcc_lo, v[18:19], v[16:17], v[18:19]
	s_delay_alu instid0(VALU_DEP_2) | instskip(SKIP_2) | instid1(VALU_DEP_1)
	v_rcp_f64_e32 v[4:5], v[0:1]
	s_waitcnt_depctr 0xfff
	v_fma_f64 v[6:7], -v[0:1], v[4:5], 1.0
	v_fma_f64 v[4:5], v[4:5], v[6:7], v[4:5]
	s_delay_alu instid0(VALU_DEP_1) | instskip(NEXT) | instid1(VALU_DEP_1)
	v_fma_f64 v[6:7], -v[0:1], v[4:5], 1.0
	v_fma_f64 v[4:5], v[4:5], v[6:7], v[4:5]
	s_delay_alu instid0(VALU_DEP_1) | instskip(NEXT) | instid1(VALU_DEP_1)
	v_mul_f64 v[6:7], v[20:21], v[4:5]
	v_fma_f64 v[0:1], -v[0:1], v[6:7], v[20:21]
	s_delay_alu instid0(VALU_DEP_1) | instskip(NEXT) | instid1(VALU_DEP_1)
	v_div_fmas_f64 v[0:1], v[0:1], v[4:5], v[6:7]
	v_div_fixup_f64 v[4:5], v[0:1], v[16:17], v[18:19]
	s_delay_alu instid0(VALU_DEP_1) | instskip(NEXT) | instid1(VALU_DEP_1)
	v_fma_f64 v[0:1], v[18:19], v[4:5], v[16:17]
	v_div_scale_f64 v[6:7], null, v[0:1], v[0:1], 1.0
	s_delay_alu instid0(VALU_DEP_1) | instskip(SKIP_2) | instid1(VALU_DEP_1)
	v_rcp_f64_e32 v[16:17], v[6:7]
	s_waitcnt_depctr 0xfff
	v_fma_f64 v[18:19], -v[6:7], v[16:17], 1.0
	v_fma_f64 v[16:17], v[16:17], v[18:19], v[16:17]
	s_delay_alu instid0(VALU_DEP_1) | instskip(NEXT) | instid1(VALU_DEP_1)
	v_fma_f64 v[18:19], -v[6:7], v[16:17], 1.0
	v_fma_f64 v[16:17], v[16:17], v[18:19], v[16:17]
	v_div_scale_f64 v[18:19], vcc_lo, 1.0, v[0:1], 1.0
	s_delay_alu instid0(VALU_DEP_1) | instskip(NEXT) | instid1(VALU_DEP_1)
	v_mul_f64 v[20:21], v[18:19], v[16:17]
	v_fma_f64 v[6:7], -v[6:7], v[20:21], v[18:19]
	s_delay_alu instid0(VALU_DEP_1) | instskip(NEXT) | instid1(VALU_DEP_1)
	v_div_fmas_f64 v[6:7], v[6:7], v[16:17], v[20:21]
	v_div_fixup_f64 v[0:1], v[6:7], v[0:1], 1.0
	s_delay_alu instid0(VALU_DEP_1)
	v_mul_f64 v[22:23], v[4:5], -v[0:1]
.LBB123_65:
	s_or_b32 exec_lo, exec_lo, s3
	ds_store_2addr_b64 v255, v[0:1], v[22:23] offset1:1
.LBB123_66:
	s_or_b32 exec_lo, exec_lo, s4
	scratch_store_b128 off, v[8:11], off offset:1732 ; 16-byte Folded Spill
	s_waitcnt lgkmcnt(0)
	s_waitcnt_vscnt null, 0x0
	s_barrier
	buffer_gl0_inv
	ds_load_2addr_b64 v[16:19], v255 offset1:1
	s_mov_b32 s3, exec_lo
	v_cmpx_lt_u32_e32 4, v252
	s_cbranch_execz .LBB123_69
; %bb.67:
	scratch_load_b128 v[25:28], off, off offset:64
	s_mov_b32 s4, 0
	s_waitcnt vmcnt(0) lgkmcnt(0)
	v_mul_f64 v[0:1], v[18:19], v[27:28]
	v_mul_f64 v[4:5], v[16:17], v[27:28]
	s_delay_alu instid0(VALU_DEP_2) | instskip(NEXT) | instid1(VALU_DEP_2)
	v_fma_f64 v[20:21], v[16:17], v[25:26], -v[0:1]
	v_fma_f64 v[22:23], v[18:19], v[25:26], v[4:5]
	v_mov_b32_e32 v0, 0
	scratch_store_b128 off, v[20:23], off offset:64
.LBB123_68:                             ; =>This Inner Loop Header: Depth=1
	v_readfirstlane_b32 s5, v0
	v_add_nc_u32_e32 v1, s4, v24
	s_delay_alu instid0(VALU_DEP_2)
	s_add_i32 s5, s5, s4
	s_add_i32 s4, s4, 48
	;; [unrolled: 1-line block ×4, first 2 shown]
	s_addk_i32 s5, 0x70
	s_clause 0x2
	scratch_load_b128 v[25:28], off, s6
	scratch_load_b128 v[29:32], off, s7
	;; [unrolled: 1-line block ×3, first 2 shown]
	ds_load_2addr_b64 v[37:40], v1 offset1:1
	ds_load_2addr_b64 v[41:44], v1 offset0:2 offset1:3
	ds_load_2addr_b64 v[45:48], v1 offset0:4 offset1:5
	s_cmpk_lg_i32 s4, 0x390
	s_waitcnt lgkmcnt(2)
	v_mul_f64 v[4:5], v[39:40], v[22:23]
	v_mul_f64 v[6:7], v[37:38], v[22:23]
	s_waitcnt lgkmcnt(1)
	v_mul_f64 v[49:50], v[43:44], v[22:23]
	v_mul_f64 v[51:52], v[41:42], v[22:23]
	;; [unrolled: 3-line block ×3, first 2 shown]
	v_fma_f64 v[4:5], v[37:38], v[20:21], -v[4:5]
	v_fma_f64 v[6:7], v[39:40], v[20:21], v[6:7]
	v_fma_f64 v[37:38], v[41:42], v[20:21], -v[49:50]
	v_fma_f64 v[39:40], v[43:44], v[20:21], v[51:52]
	;; [unrolled: 2-line block ×3, first 2 shown]
	s_waitcnt vmcnt(2)
	v_add_f64 v[25:26], v[25:26], -v[4:5]
	v_add_f64 v[27:28], v[27:28], -v[6:7]
	s_waitcnt vmcnt(1)
	v_add_f64 v[29:30], v[29:30], -v[37:38]
	v_add_f64 v[31:32], v[31:32], -v[39:40]
	;; [unrolled: 3-line block ×3, first 2 shown]
	s_clause 0x2
	scratch_store_b128 off, v[25:28], s6
	scratch_store_b128 off, v[29:32], s7
	;; [unrolled: 1-line block ×3, first 2 shown]
	s_cbranch_scc1 .LBB123_68
.LBB123_69:
	s_or_b32 exec_lo, exec_lo, s3
	v_add3_u32 v28, v180, 0, 0x60
	s_mov_b32 s4, exec_lo
	s_waitcnt lgkmcnt(0)
	s_waitcnt_vscnt null, 0x0
	s_barrier
	buffer_gl0_inv
	v_cmpx_eq_u32_e32 5, v252
	s_cbranch_execz .LBB123_78
; %bb.70:
	scratch_load_b128 v[20:23], v73, off
	v_mov_b32_e32 v0, 0
	s_movk_i32 s3, 0xfc80
	s_waitcnt vmcnt(0)
	ds_store_2addr_b64 v255, v[20:21], v[22:23] offset1:1
.LBB123_71:                             ; =>This Inner Loop Header: Depth=1
	v_readfirstlane_b32 s5, v0
	v_add_nc_u32_e32 v1, s3, v28
	s_delay_alu instid0(VALU_DEP_2)
	s_add_i32 s5, s5, s3
	s_addk_i32 s3, 0xe0
	s_add_i32 s6, s5, 0x3e0
	s_add_i32 s7, s5, 0x3f0
	;; [unrolled: 1-line block ×8, first 2 shown]
	s_clause 0x7
	scratch_load_b128 v[20:23], off, s6
	scratch_load_b128 v[24:27], off, s7
	;; [unrolled: 1-line block ×8, first 2 shown]
	s_add_i32 s15, s5, 0x460
	s_add_i32 s16, s5, 0x470
	;; [unrolled: 1-line block ×5, first 2 shown]
	s_addk_i32 s5, 0x4b0
	s_cmp_lg_u32 s3, 0
	s_waitcnt vmcnt(7)
	ds_store_2addr_b64 v1, v[20:21], v[22:23] offset0:112 offset1:113
	s_waitcnt vmcnt(6)
	ds_store_2addr_b64 v1, v[24:25], v[26:27] offset0:114 offset1:115
	s_clause 0x1
	scratch_load_b128 v[20:23], off, s15
	scratch_load_b128 v[24:27], off, s16
	s_waitcnt vmcnt(7)
	ds_store_2addr_b64 v1, v[29:30], v[31:32] offset0:116 offset1:117
	s_waitcnt vmcnt(6)
	ds_store_2addr_b64 v1, v[33:34], v[35:36] offset0:118 offset1:119
	s_clause 0x1
	scratch_load_b128 v[29:32], off, s17
	scratch_load_b128 v[33:36], off, s18
	s_waitcnt vmcnt(7)
	ds_store_2addr_b64 v1, v[37:38], v[39:40] offset0:120 offset1:121
	s_waitcnt vmcnt(6)
	ds_store_2addr_b64 v1, v[41:42], v[43:44] offset0:122 offset1:123
	s_clause 0x1
	scratch_load_b128 v[37:40], off, s19
	scratch_load_b128 v[41:44], off, s5
	s_waitcnt vmcnt(7)
	ds_store_2addr_b64 v1, v[45:46], v[47:48] offset0:124 offset1:125
	s_waitcnt vmcnt(6)
	ds_store_2addr_b64 v1, v[49:50], v[51:52] offset0:126 offset1:127
	;; [unrolled: 2-line block ×8, first 2 shown]
	s_cbranch_scc1 .LBB123_71
; %bb.72:
	ds_load_2addr_b64 v[20:23], v255 offset1:1
	s_waitcnt lgkmcnt(0)
	v_cmp_neq_f64_e32 vcc_lo, 0, v[20:21]
	v_cmp_neq_f64_e64 s3, 0, v[22:23]
	s_delay_alu instid0(VALU_DEP_1) | instskip(NEXT) | instid1(SALU_CYCLE_1)
	s_or_b32 s3, vcc_lo, s3
	s_and_b32 exec_lo, exec_lo, s3
	s_cbranch_execz .LBB123_78
; %bb.73:
	v_cmp_gt_f64_e32 vcc_lo, 0, v[20:21]
	v_cmp_gt_f64_e64 s3, 0, v[22:23]
	v_xor_b32_e32 v0, 0x80000000, v21
	v_xor_b32_e32 v4, 0x80000000, v23
	s_delay_alu instid0(VALU_DEP_2) | instskip(NEXT) | instid1(VALU_DEP_2)
	v_cndmask_b32_e32 v1, v21, v0, vcc_lo
	v_cndmask_b32_e64 v5, v23, v4, s3
	v_cndmask_b32_e32 v0, v20, v20, vcc_lo
	v_cndmask_b32_e64 v4, v22, v22, s3
	s_delay_alu instid0(VALU_DEP_1) | instskip(SKIP_1) | instid1(SALU_CYCLE_1)
	v_cmp_ngt_f64_e32 vcc_lo, v[0:1], v[4:5]
                                        ; implicit-def: $vgpr0_vgpr1
	s_and_saveexec_b32 s3, vcc_lo
	s_xor_b32 s3, exec_lo, s3
                                        ; implicit-def: $vgpr24_vgpr25_vgpr26_vgpr27
	s_cbranch_execz .LBB123_75
; %bb.74:
	v_div_scale_f64 v[0:1], null, v[22:23], v[22:23], v[20:21]
	v_div_scale_f64 v[24:25], vcc_lo, v[20:21], v[22:23], v[20:21]
	s_delay_alu instid0(VALU_DEP_2) | instskip(SKIP_2) | instid1(VALU_DEP_1)
	v_rcp_f64_e32 v[4:5], v[0:1]
	s_waitcnt_depctr 0xfff
	v_fma_f64 v[6:7], -v[0:1], v[4:5], 1.0
	v_fma_f64 v[4:5], v[4:5], v[6:7], v[4:5]
	s_delay_alu instid0(VALU_DEP_1) | instskip(NEXT) | instid1(VALU_DEP_1)
	v_fma_f64 v[6:7], -v[0:1], v[4:5], 1.0
	v_fma_f64 v[4:5], v[4:5], v[6:7], v[4:5]
	s_delay_alu instid0(VALU_DEP_1) | instskip(NEXT) | instid1(VALU_DEP_1)
	v_mul_f64 v[6:7], v[24:25], v[4:5]
	v_fma_f64 v[0:1], -v[0:1], v[6:7], v[24:25]
	s_delay_alu instid0(VALU_DEP_1) | instskip(NEXT) | instid1(VALU_DEP_1)
	v_div_fmas_f64 v[0:1], v[0:1], v[4:5], v[6:7]
	v_div_fixup_f64 v[0:1], v[0:1], v[22:23], v[20:21]
	s_delay_alu instid0(VALU_DEP_1) | instskip(NEXT) | instid1(VALU_DEP_1)
	v_fma_f64 v[4:5], v[20:21], v[0:1], v[22:23]
	v_div_scale_f64 v[6:7], null, v[4:5], v[4:5], 1.0
	s_delay_alu instid0(VALU_DEP_1) | instskip(SKIP_2) | instid1(VALU_DEP_1)
	v_rcp_f64_e32 v[20:21], v[6:7]
	s_waitcnt_depctr 0xfff
	v_fma_f64 v[22:23], -v[6:7], v[20:21], 1.0
	v_fma_f64 v[20:21], v[20:21], v[22:23], v[20:21]
	s_delay_alu instid0(VALU_DEP_1) | instskip(NEXT) | instid1(VALU_DEP_1)
	v_fma_f64 v[22:23], -v[6:7], v[20:21], 1.0
	v_fma_f64 v[20:21], v[20:21], v[22:23], v[20:21]
	v_div_scale_f64 v[22:23], vcc_lo, 1.0, v[4:5], 1.0
	s_delay_alu instid0(VALU_DEP_1) | instskip(NEXT) | instid1(VALU_DEP_1)
	v_mul_f64 v[24:25], v[22:23], v[20:21]
	v_fma_f64 v[6:7], -v[6:7], v[24:25], v[22:23]
	s_delay_alu instid0(VALU_DEP_1) | instskip(NEXT) | instid1(VALU_DEP_1)
	v_div_fmas_f64 v[6:7], v[6:7], v[20:21], v[24:25]
                                        ; implicit-def: $vgpr20_vgpr21
	v_div_fixup_f64 v[26:27], v[6:7], v[4:5], 1.0
	s_delay_alu instid0(VALU_DEP_1)
	v_mul_f64 v[0:1], v[0:1], v[26:27]
	v_xor_b32_e32 v27, 0x80000000, v27
.LBB123_75:
	s_and_not1_saveexec_b32 s3, s3
	s_cbranch_execz .LBB123_77
; %bb.76:
	v_div_scale_f64 v[0:1], null, v[20:21], v[20:21], v[22:23]
	v_div_scale_f64 v[24:25], vcc_lo, v[22:23], v[20:21], v[22:23]
	s_delay_alu instid0(VALU_DEP_2) | instskip(SKIP_2) | instid1(VALU_DEP_1)
	v_rcp_f64_e32 v[4:5], v[0:1]
	s_waitcnt_depctr 0xfff
	v_fma_f64 v[6:7], -v[0:1], v[4:5], 1.0
	v_fma_f64 v[4:5], v[4:5], v[6:7], v[4:5]
	s_delay_alu instid0(VALU_DEP_1) | instskip(NEXT) | instid1(VALU_DEP_1)
	v_fma_f64 v[6:7], -v[0:1], v[4:5], 1.0
	v_fma_f64 v[4:5], v[4:5], v[6:7], v[4:5]
	s_delay_alu instid0(VALU_DEP_1) | instskip(NEXT) | instid1(VALU_DEP_1)
	v_mul_f64 v[6:7], v[24:25], v[4:5]
	v_fma_f64 v[0:1], -v[0:1], v[6:7], v[24:25]
	s_delay_alu instid0(VALU_DEP_1) | instskip(NEXT) | instid1(VALU_DEP_1)
	v_div_fmas_f64 v[0:1], v[0:1], v[4:5], v[6:7]
	v_div_fixup_f64 v[4:5], v[0:1], v[20:21], v[22:23]
	s_delay_alu instid0(VALU_DEP_1) | instskip(NEXT) | instid1(VALU_DEP_1)
	v_fma_f64 v[0:1], v[22:23], v[4:5], v[20:21]
	v_div_scale_f64 v[6:7], null, v[0:1], v[0:1], 1.0
	s_delay_alu instid0(VALU_DEP_1) | instskip(SKIP_2) | instid1(VALU_DEP_1)
	v_rcp_f64_e32 v[20:21], v[6:7]
	s_waitcnt_depctr 0xfff
	v_fma_f64 v[22:23], -v[6:7], v[20:21], 1.0
	v_fma_f64 v[20:21], v[20:21], v[22:23], v[20:21]
	s_delay_alu instid0(VALU_DEP_1) | instskip(NEXT) | instid1(VALU_DEP_1)
	v_fma_f64 v[22:23], -v[6:7], v[20:21], 1.0
	v_fma_f64 v[20:21], v[20:21], v[22:23], v[20:21]
	v_div_scale_f64 v[22:23], vcc_lo, 1.0, v[0:1], 1.0
	s_delay_alu instid0(VALU_DEP_1) | instskip(NEXT) | instid1(VALU_DEP_1)
	v_mul_f64 v[24:25], v[22:23], v[20:21]
	v_fma_f64 v[6:7], -v[6:7], v[24:25], v[22:23]
	s_delay_alu instid0(VALU_DEP_1) | instskip(NEXT) | instid1(VALU_DEP_1)
	v_div_fmas_f64 v[6:7], v[6:7], v[20:21], v[24:25]
	v_div_fixup_f64 v[0:1], v[6:7], v[0:1], 1.0
	s_delay_alu instid0(VALU_DEP_1)
	v_mul_f64 v[26:27], v[4:5], -v[0:1]
.LBB123_77:
	s_or_b32 exec_lo, exec_lo, s3
	ds_store_2addr_b64 v255, v[0:1], v[26:27] offset1:1
.LBB123_78:
	s_or_b32 exec_lo, exec_lo, s4
	s_waitcnt lgkmcnt(0)
	s_barrier
	buffer_gl0_inv
	ds_load_2addr_b64 v[20:23], v255 offset1:1
	s_mov_b32 s3, exec_lo
	v_cmpx_lt_u32_e32 5, v252
	s_cbranch_execz .LBB123_81
; %bb.79:
	scratch_load_b128 v[29:32], off, off offset:80
	s_mov_b32 s4, 0
	s_waitcnt vmcnt(0) lgkmcnt(0)
	v_mul_f64 v[0:1], v[22:23], v[31:32]
	v_mul_f64 v[4:5], v[20:21], v[31:32]
	s_delay_alu instid0(VALU_DEP_2) | instskip(NEXT) | instid1(VALU_DEP_2)
	v_fma_f64 v[24:25], v[20:21], v[29:30], -v[0:1]
	v_fma_f64 v[26:27], v[22:23], v[29:30], v[4:5]
	v_mov_b32_e32 v0, 0
	scratch_store_b128 off, v[24:27], off offset:80
.LBB123_80:                             ; =>This Inner Loop Header: Depth=1
	v_add_nc_u32_e32 v1, s4, v28
	v_readfirstlane_b32 s5, v0
	ds_load_2addr_b64 v[29:32], v1 offset1:1
	s_add_i32 s5, s5, s4
	s_addk_i32 s4, 0x70
	s_add_i32 s6, s5, 0x60
	s_waitcnt lgkmcnt(0)
	v_mul_f64 v[4:5], v[31:32], v[26:27]
	v_mul_f64 v[6:7], v[29:30], v[26:27]
	s_delay_alu instid0(VALU_DEP_2) | instskip(NEXT) | instid1(VALU_DEP_2)
	v_fma_f64 v[4:5], v[29:30], v[24:25], -v[4:5]
	v_fma_f64 v[6:7], v[31:32], v[24:25], v[6:7]
	scratch_load_b128 v[29:32], off, s6
	s_waitcnt vmcnt(0)
	v_add_f64 v[29:30], v[29:30], -v[4:5]
	v_add_f64 v[31:32], v[31:32], -v[6:7]
	scratch_store_b128 off, v[29:32], s6
	ds_load_2addr_b64 v[29:32], v1 offset0:2 offset1:3
	s_add_i32 s6, s5, 0x70
	s_waitcnt lgkmcnt(0)
	v_mul_f64 v[4:5], v[31:32], v[26:27]
	v_mul_f64 v[6:7], v[29:30], v[26:27]
	s_delay_alu instid0(VALU_DEP_2) | instskip(NEXT) | instid1(VALU_DEP_2)
	v_fma_f64 v[4:5], v[29:30], v[24:25], -v[4:5]
	v_fma_f64 v[6:7], v[31:32], v[24:25], v[6:7]
	scratch_load_b128 v[29:32], off, s6
	s_waitcnt vmcnt(0)
	v_add_f64 v[29:30], v[29:30], -v[4:5]
	v_add_f64 v[31:32], v[31:32], -v[6:7]
	scratch_store_b128 off, v[29:32], s6
	ds_load_2addr_b64 v[29:32], v1 offset0:4 offset1:5
	;; [unrolled: 13-line block ×5, first 2 shown]
	s_add_i32 s6, s5, 0xb0
	s_addk_i32 s5, 0xc0
	s_cmpk_lg_i32 s4, 0x380
	s_waitcnt lgkmcnt(0)
	v_mul_f64 v[4:5], v[31:32], v[26:27]
	v_mul_f64 v[6:7], v[29:30], v[26:27]
	s_delay_alu instid0(VALU_DEP_2) | instskip(NEXT) | instid1(VALU_DEP_2)
	v_fma_f64 v[4:5], v[29:30], v[24:25], -v[4:5]
	v_fma_f64 v[6:7], v[31:32], v[24:25], v[6:7]
	scratch_load_b128 v[29:32], off, s6
	s_waitcnt vmcnt(0)
	v_add_f64 v[29:30], v[29:30], -v[4:5]
	v_add_f64 v[31:32], v[31:32], -v[6:7]
	scratch_store_b128 off, v[29:32], s6
	ds_load_2addr_b64 v[29:32], v1 offset0:12 offset1:13
	s_waitcnt lgkmcnt(0)
	v_mul_f64 v[4:5], v[31:32], v[26:27]
	v_mul_f64 v[6:7], v[29:30], v[26:27]
	s_delay_alu instid0(VALU_DEP_2) | instskip(NEXT) | instid1(VALU_DEP_2)
	v_fma_f64 v[4:5], v[29:30], v[24:25], -v[4:5]
	v_fma_f64 v[6:7], v[31:32], v[24:25], v[6:7]
	scratch_load_b128 v[29:32], off, s5
	s_waitcnt vmcnt(0)
	v_add_f64 v[29:30], v[29:30], -v[4:5]
	v_add_f64 v[31:32], v[31:32], -v[6:7]
	scratch_store_b128 off, v[29:32], s5
	s_cbranch_scc1 .LBB123_80
.LBB123_81:
	s_or_b32 exec_lo, exec_lo, s3
	v_add3_u32 v32, v180, 0, 0x70
	s_mov_b32 s4, exec_lo
	s_waitcnt lgkmcnt(0)
	s_waitcnt_vscnt null, 0x0
	s_barrier
	buffer_gl0_inv
	v_cmpx_eq_u32_e32 6, v252
	s_cbranch_execz .LBB123_90
; %bb.82:
	scratch_load_b128 v[24:27], v72, off
	v_mov_b32_e32 v0, 0
	s_movk_i32 s3, 0xfc90
	s_waitcnt vmcnt(0)
	ds_store_2addr_b64 v255, v[24:25], v[26:27] offset1:1
.LBB123_83:                             ; =>This Inner Loop Header: Depth=1
	v_readfirstlane_b32 s5, v0
	v_add_nc_u32_e32 v1, s3, v32
	s_delay_alu instid0(VALU_DEP_2)
	s_add_i32 s5, s5, s3
	s_addk_i32 s3, 0xb0
	s_add_i32 s6, s5, 0x3e0
	scratch_load_b128 v[24:27], off, s6
	s_add_i32 s6, s5, 0x3f0
	s_waitcnt vmcnt(0)
	ds_store_2addr_b64 v1, v[24:25], v[26:27] offset0:110 offset1:111
	scratch_load_b128 v[24:27], off, s6
	s_add_i32 s6, s5, 0x400
	s_waitcnt vmcnt(0)
	ds_store_2addr_b64 v1, v[24:25], v[26:27] offset0:112 offset1:113
	;; [unrolled: 4-line block ×8, first 2 shown]
	scratch_load_b128 v[24:27], off, s6
	s_add_i32 s6, s5, 0x470
	s_addk_i32 s5, 0x480
	s_cmp_lg_u32 s3, 0
	s_waitcnt vmcnt(0)
	ds_store_2addr_b64 v1, v[24:25], v[26:27] offset0:126 offset1:127
	scratch_load_b128 v[24:27], off, s6
	s_waitcnt vmcnt(0)
	ds_store_2addr_b64 v1, v[24:25], v[26:27] offset0:128 offset1:129
	scratch_load_b128 v[24:27], off, s5
	s_waitcnt vmcnt(0)
	ds_store_2addr_b64 v1, v[24:25], v[26:27] offset0:130 offset1:131
	s_cbranch_scc1 .LBB123_83
; %bb.84:
	ds_load_2addr_b64 v[24:27], v255 offset1:1
	s_waitcnt lgkmcnt(0)
	v_cmp_neq_f64_e32 vcc_lo, 0, v[24:25]
	v_cmp_neq_f64_e64 s3, 0, v[26:27]
	s_delay_alu instid0(VALU_DEP_1) | instskip(NEXT) | instid1(SALU_CYCLE_1)
	s_or_b32 s3, vcc_lo, s3
	s_and_b32 exec_lo, exec_lo, s3
	s_cbranch_execz .LBB123_90
; %bb.85:
	v_cmp_gt_f64_e32 vcc_lo, 0, v[24:25]
	v_cmp_gt_f64_e64 s3, 0, v[26:27]
	v_xor_b32_e32 v0, 0x80000000, v25
	v_xor_b32_e32 v4, 0x80000000, v27
	s_delay_alu instid0(VALU_DEP_2) | instskip(NEXT) | instid1(VALU_DEP_2)
	v_cndmask_b32_e32 v1, v25, v0, vcc_lo
	v_cndmask_b32_e64 v5, v27, v4, s3
	v_cndmask_b32_e32 v0, v24, v24, vcc_lo
	v_cndmask_b32_e64 v4, v26, v26, s3
	s_delay_alu instid0(VALU_DEP_1) | instskip(SKIP_1) | instid1(SALU_CYCLE_1)
	v_cmp_ngt_f64_e32 vcc_lo, v[0:1], v[4:5]
                                        ; implicit-def: $vgpr0_vgpr1
	s_and_saveexec_b32 s3, vcc_lo
	s_xor_b32 s3, exec_lo, s3
                                        ; implicit-def: $vgpr28_vgpr29_vgpr30_vgpr31
	s_cbranch_execz .LBB123_87
; %bb.86:
	v_div_scale_f64 v[0:1], null, v[26:27], v[26:27], v[24:25]
	v_div_scale_f64 v[28:29], vcc_lo, v[24:25], v[26:27], v[24:25]
	s_delay_alu instid0(VALU_DEP_2) | instskip(SKIP_2) | instid1(VALU_DEP_1)
	v_rcp_f64_e32 v[4:5], v[0:1]
	s_waitcnt_depctr 0xfff
	v_fma_f64 v[6:7], -v[0:1], v[4:5], 1.0
	v_fma_f64 v[4:5], v[4:5], v[6:7], v[4:5]
	s_delay_alu instid0(VALU_DEP_1) | instskip(NEXT) | instid1(VALU_DEP_1)
	v_fma_f64 v[6:7], -v[0:1], v[4:5], 1.0
	v_fma_f64 v[4:5], v[4:5], v[6:7], v[4:5]
	s_delay_alu instid0(VALU_DEP_1) | instskip(NEXT) | instid1(VALU_DEP_1)
	v_mul_f64 v[6:7], v[28:29], v[4:5]
	v_fma_f64 v[0:1], -v[0:1], v[6:7], v[28:29]
	s_delay_alu instid0(VALU_DEP_1) | instskip(NEXT) | instid1(VALU_DEP_1)
	v_div_fmas_f64 v[0:1], v[0:1], v[4:5], v[6:7]
	v_div_fixup_f64 v[0:1], v[0:1], v[26:27], v[24:25]
	s_delay_alu instid0(VALU_DEP_1) | instskip(NEXT) | instid1(VALU_DEP_1)
	v_fma_f64 v[4:5], v[24:25], v[0:1], v[26:27]
	v_div_scale_f64 v[6:7], null, v[4:5], v[4:5], 1.0
	s_delay_alu instid0(VALU_DEP_1) | instskip(SKIP_2) | instid1(VALU_DEP_1)
	v_rcp_f64_e32 v[24:25], v[6:7]
	s_waitcnt_depctr 0xfff
	v_fma_f64 v[26:27], -v[6:7], v[24:25], 1.0
	v_fma_f64 v[24:25], v[24:25], v[26:27], v[24:25]
	s_delay_alu instid0(VALU_DEP_1) | instskip(NEXT) | instid1(VALU_DEP_1)
	v_fma_f64 v[26:27], -v[6:7], v[24:25], 1.0
	v_fma_f64 v[24:25], v[24:25], v[26:27], v[24:25]
	v_div_scale_f64 v[26:27], vcc_lo, 1.0, v[4:5], 1.0
	s_delay_alu instid0(VALU_DEP_1) | instskip(NEXT) | instid1(VALU_DEP_1)
	v_mul_f64 v[28:29], v[26:27], v[24:25]
	v_fma_f64 v[6:7], -v[6:7], v[28:29], v[26:27]
	s_delay_alu instid0(VALU_DEP_1) | instskip(NEXT) | instid1(VALU_DEP_1)
	v_div_fmas_f64 v[6:7], v[6:7], v[24:25], v[28:29]
                                        ; implicit-def: $vgpr24_vgpr25
	v_div_fixup_f64 v[30:31], v[6:7], v[4:5], 1.0
	s_delay_alu instid0(VALU_DEP_1)
	v_mul_f64 v[0:1], v[0:1], v[30:31]
	v_xor_b32_e32 v31, 0x80000000, v31
.LBB123_87:
	s_and_not1_saveexec_b32 s3, s3
	s_cbranch_execz .LBB123_89
; %bb.88:
	v_div_scale_f64 v[0:1], null, v[24:25], v[24:25], v[26:27]
	v_div_scale_f64 v[28:29], vcc_lo, v[26:27], v[24:25], v[26:27]
	s_delay_alu instid0(VALU_DEP_2) | instskip(SKIP_2) | instid1(VALU_DEP_1)
	v_rcp_f64_e32 v[4:5], v[0:1]
	s_waitcnt_depctr 0xfff
	v_fma_f64 v[6:7], -v[0:1], v[4:5], 1.0
	v_fma_f64 v[4:5], v[4:5], v[6:7], v[4:5]
	s_delay_alu instid0(VALU_DEP_1) | instskip(NEXT) | instid1(VALU_DEP_1)
	v_fma_f64 v[6:7], -v[0:1], v[4:5], 1.0
	v_fma_f64 v[4:5], v[4:5], v[6:7], v[4:5]
	s_delay_alu instid0(VALU_DEP_1) | instskip(NEXT) | instid1(VALU_DEP_1)
	v_mul_f64 v[6:7], v[28:29], v[4:5]
	v_fma_f64 v[0:1], -v[0:1], v[6:7], v[28:29]
	s_delay_alu instid0(VALU_DEP_1) | instskip(NEXT) | instid1(VALU_DEP_1)
	v_div_fmas_f64 v[0:1], v[0:1], v[4:5], v[6:7]
	v_div_fixup_f64 v[4:5], v[0:1], v[24:25], v[26:27]
	s_delay_alu instid0(VALU_DEP_1) | instskip(NEXT) | instid1(VALU_DEP_1)
	v_fma_f64 v[0:1], v[26:27], v[4:5], v[24:25]
	v_div_scale_f64 v[6:7], null, v[0:1], v[0:1], 1.0
	s_delay_alu instid0(VALU_DEP_1) | instskip(SKIP_2) | instid1(VALU_DEP_1)
	v_rcp_f64_e32 v[24:25], v[6:7]
	s_waitcnt_depctr 0xfff
	v_fma_f64 v[26:27], -v[6:7], v[24:25], 1.0
	v_fma_f64 v[24:25], v[24:25], v[26:27], v[24:25]
	s_delay_alu instid0(VALU_DEP_1) | instskip(NEXT) | instid1(VALU_DEP_1)
	v_fma_f64 v[26:27], -v[6:7], v[24:25], 1.0
	v_fma_f64 v[24:25], v[24:25], v[26:27], v[24:25]
	v_div_scale_f64 v[26:27], vcc_lo, 1.0, v[0:1], 1.0
	s_delay_alu instid0(VALU_DEP_1) | instskip(NEXT) | instid1(VALU_DEP_1)
	v_mul_f64 v[28:29], v[26:27], v[24:25]
	v_fma_f64 v[6:7], -v[6:7], v[28:29], v[26:27]
	s_delay_alu instid0(VALU_DEP_1) | instskip(NEXT) | instid1(VALU_DEP_1)
	v_div_fmas_f64 v[6:7], v[6:7], v[24:25], v[28:29]
	v_div_fixup_f64 v[0:1], v[6:7], v[0:1], 1.0
	s_delay_alu instid0(VALU_DEP_1)
	v_mul_f64 v[30:31], v[4:5], -v[0:1]
.LBB123_89:
	s_or_b32 exec_lo, exec_lo, s3
	ds_store_2addr_b64 v255, v[0:1], v[30:31] offset1:1
.LBB123_90:
	s_or_b32 exec_lo, exec_lo, s4
	s_waitcnt lgkmcnt(0)
	s_barrier
	buffer_gl0_inv
	ds_load_2addr_b64 v[24:27], v255 offset1:1
	s_mov_b32 s3, exec_lo
	v_cmpx_lt_u32_e32 6, v252
	s_cbranch_execz .LBB123_93
; %bb.91:
	scratch_load_b128 v[33:36], off, off offset:96
	s_mov_b32 s4, 0
	s_waitcnt vmcnt(0) lgkmcnt(0)
	v_mul_f64 v[0:1], v[26:27], v[35:36]
	v_mul_f64 v[4:5], v[24:25], v[35:36]
	s_delay_alu instid0(VALU_DEP_2) | instskip(NEXT) | instid1(VALU_DEP_2)
	v_fma_f64 v[28:29], v[24:25], v[33:34], -v[0:1]
	v_fma_f64 v[30:31], v[26:27], v[33:34], v[4:5]
	v_mov_b32_e32 v0, 0
	scratch_store_b128 off, v[28:31], off offset:96
.LBB123_92:                             ; =>This Inner Loop Header: Depth=1
	v_add_nc_u32_e32 v1, s4, v32
	v_readfirstlane_b32 s5, v0
	ds_load_2addr_b64 v[33:36], v1 offset1:1
	s_add_i32 s5, s5, s4
	s_addk_i32 s4, 0x50
	s_add_i32 s6, s5, 0x70
	s_waitcnt lgkmcnt(0)
	v_mul_f64 v[4:5], v[35:36], v[30:31]
	v_mul_f64 v[6:7], v[33:34], v[30:31]
	s_delay_alu instid0(VALU_DEP_2) | instskip(NEXT) | instid1(VALU_DEP_2)
	v_fma_f64 v[4:5], v[33:34], v[28:29], -v[4:5]
	v_fma_f64 v[6:7], v[35:36], v[28:29], v[6:7]
	scratch_load_b128 v[33:36], off, s6
	s_waitcnt vmcnt(0)
	v_add_f64 v[33:34], v[33:34], -v[4:5]
	v_add_f64 v[35:36], v[35:36], -v[6:7]
	scratch_store_b128 off, v[33:36], s6
	ds_load_2addr_b64 v[33:36], v1 offset0:2 offset1:3
	s_add_i32 s6, s5, 0x80
	s_waitcnt lgkmcnt(0)
	v_mul_f64 v[4:5], v[35:36], v[30:31]
	v_mul_f64 v[6:7], v[33:34], v[30:31]
	s_delay_alu instid0(VALU_DEP_2) | instskip(NEXT) | instid1(VALU_DEP_2)
	v_fma_f64 v[4:5], v[33:34], v[28:29], -v[4:5]
	v_fma_f64 v[6:7], v[35:36], v[28:29], v[6:7]
	scratch_load_b128 v[33:36], off, s6
	s_waitcnt vmcnt(0)
	v_add_f64 v[33:34], v[33:34], -v[4:5]
	v_add_f64 v[35:36], v[35:36], -v[6:7]
	scratch_store_b128 off, v[33:36], s6
	ds_load_2addr_b64 v[33:36], v1 offset0:4 offset1:5
	;; [unrolled: 13-line block ×3, first 2 shown]
	s_add_i32 s6, s5, 0xa0
	s_addk_i32 s5, 0xb0
	s_cmpk_lg_i32 s4, 0x370
	s_waitcnt lgkmcnt(0)
	v_mul_f64 v[4:5], v[35:36], v[30:31]
	v_mul_f64 v[6:7], v[33:34], v[30:31]
	s_delay_alu instid0(VALU_DEP_2) | instskip(NEXT) | instid1(VALU_DEP_2)
	v_fma_f64 v[4:5], v[33:34], v[28:29], -v[4:5]
	v_fma_f64 v[6:7], v[35:36], v[28:29], v[6:7]
	scratch_load_b128 v[33:36], off, s6
	s_waitcnt vmcnt(0)
	v_add_f64 v[33:34], v[33:34], -v[4:5]
	v_add_f64 v[35:36], v[35:36], -v[6:7]
	scratch_store_b128 off, v[33:36], s6
	ds_load_2addr_b64 v[33:36], v1 offset0:8 offset1:9
	s_waitcnt lgkmcnt(0)
	v_mul_f64 v[4:5], v[35:36], v[30:31]
	v_mul_f64 v[6:7], v[33:34], v[30:31]
	s_delay_alu instid0(VALU_DEP_2) | instskip(NEXT) | instid1(VALU_DEP_2)
	v_fma_f64 v[4:5], v[33:34], v[28:29], -v[4:5]
	v_fma_f64 v[6:7], v[35:36], v[28:29], v[6:7]
	scratch_load_b128 v[33:36], off, s5
	s_waitcnt vmcnt(0)
	v_add_f64 v[33:34], v[33:34], -v[4:5]
	v_add_f64 v[35:36], v[35:36], -v[6:7]
	scratch_store_b128 off, v[33:36], s5
	s_cbranch_scc1 .LBB123_92
.LBB123_93:
	s_or_b32 exec_lo, exec_lo, s3
	v_add3_u32 v36, v180, 0, 0x80
	s_mov_b32 s4, exec_lo
	s_waitcnt lgkmcnt(0)
	s_waitcnt_vscnt null, 0x0
	s_barrier
	buffer_gl0_inv
	v_cmpx_eq_u32_e32 7, v252
	s_cbranch_execz .LBB123_102
; %bb.94:
	scratch_load_b128 v[28:31], v71, off
	v_mov_b32_e32 v0, 0
	s_movk_i32 s3, 0xfca0
	s_waitcnt vmcnt(0)
	ds_store_2addr_b64 v255, v[28:29], v[30:31] offset1:1
.LBB123_95:                             ; =>This Inner Loop Header: Depth=1
	v_readfirstlane_b32 s5, v0
	v_add_nc_u32_e32 v1, s3, v36
	s_delay_alu instid0(VALU_DEP_2)
	s_add_i32 s5, s5, s3
	s_addk_i32 s3, 0x120
	s_add_i32 s6, s5, 0x3e0
	scratch_load_b128 v[28:31], off, s6
	s_add_i32 s6, s5, 0x3f0
	s_waitcnt vmcnt(0)
	ds_store_2addr_b64 v1, v[28:29], v[30:31] offset0:108 offset1:109
	scratch_load_b128 v[28:31], off, s6
	s_add_i32 s6, s5, 0x400
	s_waitcnt vmcnt(0)
	ds_store_2addr_b64 v1, v[28:29], v[30:31] offset0:110 offset1:111
	;; [unrolled: 4-line block ×15, first 2 shown]
	scratch_load_b128 v[28:31], off, s6
	s_add_i32 s6, s5, 0x4e0
	s_addk_i32 s5, 0x4f0
	s_cmp_lg_u32 s3, 0
	s_waitcnt vmcnt(0)
	ds_store_2addr_b64 v1, v[28:29], v[30:31] offset0:138 offset1:139
	scratch_load_b128 v[28:31], off, s6
	s_waitcnt vmcnt(0)
	ds_store_2addr_b64 v1, v[28:29], v[30:31] offset0:140 offset1:141
	scratch_load_b128 v[28:31], off, s5
	s_waitcnt vmcnt(0)
	ds_store_2addr_b64 v1, v[28:29], v[30:31] offset0:142 offset1:143
	s_cbranch_scc1 .LBB123_95
; %bb.96:
	ds_load_2addr_b64 v[28:31], v255 offset1:1
	s_waitcnt lgkmcnt(0)
	v_cmp_neq_f64_e32 vcc_lo, 0, v[28:29]
	v_cmp_neq_f64_e64 s3, 0, v[30:31]
	s_delay_alu instid0(VALU_DEP_1) | instskip(NEXT) | instid1(SALU_CYCLE_1)
	s_or_b32 s3, vcc_lo, s3
	s_and_b32 exec_lo, exec_lo, s3
	s_cbranch_execz .LBB123_102
; %bb.97:
	v_cmp_gt_f64_e32 vcc_lo, 0, v[28:29]
	v_cmp_gt_f64_e64 s3, 0, v[30:31]
	v_xor_b32_e32 v0, 0x80000000, v29
	v_xor_b32_e32 v4, 0x80000000, v31
	s_delay_alu instid0(VALU_DEP_2) | instskip(NEXT) | instid1(VALU_DEP_2)
	v_cndmask_b32_e32 v1, v29, v0, vcc_lo
	v_cndmask_b32_e64 v5, v31, v4, s3
	v_cndmask_b32_e32 v0, v28, v28, vcc_lo
	v_cndmask_b32_e64 v4, v30, v30, s3
	s_delay_alu instid0(VALU_DEP_1) | instskip(SKIP_1) | instid1(SALU_CYCLE_1)
	v_cmp_ngt_f64_e32 vcc_lo, v[0:1], v[4:5]
                                        ; implicit-def: $vgpr0_vgpr1
	s_and_saveexec_b32 s3, vcc_lo
	s_xor_b32 s3, exec_lo, s3
                                        ; implicit-def: $vgpr32_vgpr33_vgpr34_vgpr35
	s_cbranch_execz .LBB123_99
; %bb.98:
	v_div_scale_f64 v[0:1], null, v[30:31], v[30:31], v[28:29]
	v_div_scale_f64 v[32:33], vcc_lo, v[28:29], v[30:31], v[28:29]
	s_delay_alu instid0(VALU_DEP_2) | instskip(SKIP_2) | instid1(VALU_DEP_1)
	v_rcp_f64_e32 v[4:5], v[0:1]
	s_waitcnt_depctr 0xfff
	v_fma_f64 v[6:7], -v[0:1], v[4:5], 1.0
	v_fma_f64 v[4:5], v[4:5], v[6:7], v[4:5]
	s_delay_alu instid0(VALU_DEP_1) | instskip(NEXT) | instid1(VALU_DEP_1)
	v_fma_f64 v[6:7], -v[0:1], v[4:5], 1.0
	v_fma_f64 v[4:5], v[4:5], v[6:7], v[4:5]
	s_delay_alu instid0(VALU_DEP_1) | instskip(NEXT) | instid1(VALU_DEP_1)
	v_mul_f64 v[6:7], v[32:33], v[4:5]
	v_fma_f64 v[0:1], -v[0:1], v[6:7], v[32:33]
	s_delay_alu instid0(VALU_DEP_1) | instskip(NEXT) | instid1(VALU_DEP_1)
	v_div_fmas_f64 v[0:1], v[0:1], v[4:5], v[6:7]
	v_div_fixup_f64 v[0:1], v[0:1], v[30:31], v[28:29]
	s_delay_alu instid0(VALU_DEP_1) | instskip(NEXT) | instid1(VALU_DEP_1)
	v_fma_f64 v[4:5], v[28:29], v[0:1], v[30:31]
	v_div_scale_f64 v[6:7], null, v[4:5], v[4:5], 1.0
	s_delay_alu instid0(VALU_DEP_1) | instskip(SKIP_2) | instid1(VALU_DEP_1)
	v_rcp_f64_e32 v[28:29], v[6:7]
	s_waitcnt_depctr 0xfff
	v_fma_f64 v[30:31], -v[6:7], v[28:29], 1.0
	v_fma_f64 v[28:29], v[28:29], v[30:31], v[28:29]
	s_delay_alu instid0(VALU_DEP_1) | instskip(NEXT) | instid1(VALU_DEP_1)
	v_fma_f64 v[30:31], -v[6:7], v[28:29], 1.0
	v_fma_f64 v[28:29], v[28:29], v[30:31], v[28:29]
	v_div_scale_f64 v[30:31], vcc_lo, 1.0, v[4:5], 1.0
	s_delay_alu instid0(VALU_DEP_1) | instskip(NEXT) | instid1(VALU_DEP_1)
	v_mul_f64 v[32:33], v[30:31], v[28:29]
	v_fma_f64 v[6:7], -v[6:7], v[32:33], v[30:31]
	s_delay_alu instid0(VALU_DEP_1) | instskip(NEXT) | instid1(VALU_DEP_1)
	v_div_fmas_f64 v[6:7], v[6:7], v[28:29], v[32:33]
                                        ; implicit-def: $vgpr28_vgpr29
	v_div_fixup_f64 v[34:35], v[6:7], v[4:5], 1.0
	s_delay_alu instid0(VALU_DEP_1)
	v_mul_f64 v[0:1], v[0:1], v[34:35]
	v_xor_b32_e32 v35, 0x80000000, v35
.LBB123_99:
	s_and_not1_saveexec_b32 s3, s3
	s_cbranch_execz .LBB123_101
; %bb.100:
	v_div_scale_f64 v[0:1], null, v[28:29], v[28:29], v[30:31]
	v_div_scale_f64 v[32:33], vcc_lo, v[30:31], v[28:29], v[30:31]
	s_delay_alu instid0(VALU_DEP_2) | instskip(SKIP_2) | instid1(VALU_DEP_1)
	v_rcp_f64_e32 v[4:5], v[0:1]
	s_waitcnt_depctr 0xfff
	v_fma_f64 v[6:7], -v[0:1], v[4:5], 1.0
	v_fma_f64 v[4:5], v[4:5], v[6:7], v[4:5]
	s_delay_alu instid0(VALU_DEP_1) | instskip(NEXT) | instid1(VALU_DEP_1)
	v_fma_f64 v[6:7], -v[0:1], v[4:5], 1.0
	v_fma_f64 v[4:5], v[4:5], v[6:7], v[4:5]
	s_delay_alu instid0(VALU_DEP_1) | instskip(NEXT) | instid1(VALU_DEP_1)
	v_mul_f64 v[6:7], v[32:33], v[4:5]
	v_fma_f64 v[0:1], -v[0:1], v[6:7], v[32:33]
	s_delay_alu instid0(VALU_DEP_1) | instskip(NEXT) | instid1(VALU_DEP_1)
	v_div_fmas_f64 v[0:1], v[0:1], v[4:5], v[6:7]
	v_div_fixup_f64 v[4:5], v[0:1], v[28:29], v[30:31]
	s_delay_alu instid0(VALU_DEP_1) | instskip(NEXT) | instid1(VALU_DEP_1)
	v_fma_f64 v[0:1], v[30:31], v[4:5], v[28:29]
	v_div_scale_f64 v[6:7], null, v[0:1], v[0:1], 1.0
	s_delay_alu instid0(VALU_DEP_1) | instskip(SKIP_2) | instid1(VALU_DEP_1)
	v_rcp_f64_e32 v[28:29], v[6:7]
	s_waitcnt_depctr 0xfff
	v_fma_f64 v[30:31], -v[6:7], v[28:29], 1.0
	v_fma_f64 v[28:29], v[28:29], v[30:31], v[28:29]
	s_delay_alu instid0(VALU_DEP_1) | instskip(NEXT) | instid1(VALU_DEP_1)
	v_fma_f64 v[30:31], -v[6:7], v[28:29], 1.0
	v_fma_f64 v[28:29], v[28:29], v[30:31], v[28:29]
	v_div_scale_f64 v[30:31], vcc_lo, 1.0, v[0:1], 1.0
	s_delay_alu instid0(VALU_DEP_1) | instskip(NEXT) | instid1(VALU_DEP_1)
	v_mul_f64 v[32:33], v[30:31], v[28:29]
	v_fma_f64 v[6:7], -v[6:7], v[32:33], v[30:31]
	s_delay_alu instid0(VALU_DEP_1) | instskip(NEXT) | instid1(VALU_DEP_1)
	v_div_fmas_f64 v[6:7], v[6:7], v[28:29], v[32:33]
	v_div_fixup_f64 v[0:1], v[6:7], v[0:1], 1.0
	s_delay_alu instid0(VALU_DEP_1)
	v_mul_f64 v[34:35], v[4:5], -v[0:1]
.LBB123_101:
	s_or_b32 exec_lo, exec_lo, s3
	ds_store_2addr_b64 v255, v[0:1], v[34:35] offset1:1
.LBB123_102:
	s_or_b32 exec_lo, exec_lo, s4
	s_waitcnt lgkmcnt(0)
	s_barrier
	buffer_gl0_inv
	ds_load_2addr_b64 v[28:31], v255 offset1:1
	s_mov_b32 s3, exec_lo
	v_cmpx_lt_u32_e32 7, v252
	s_cbranch_execz .LBB123_105
; %bb.103:
	scratch_load_b128 v[37:40], off, off offset:112
	s_mov_b32 s4, 0
	s_waitcnt vmcnt(0) lgkmcnt(0)
	v_mul_f64 v[0:1], v[30:31], v[39:40]
	v_mul_f64 v[4:5], v[28:29], v[39:40]
	s_delay_alu instid0(VALU_DEP_2) | instskip(NEXT) | instid1(VALU_DEP_2)
	v_fma_f64 v[32:33], v[28:29], v[37:38], -v[0:1]
	v_fma_f64 v[34:35], v[30:31], v[37:38], v[4:5]
	v_mov_b32_e32 v0, 0
	scratch_store_b128 off, v[32:35], off offset:112
.LBB123_104:                            ; =>This Inner Loop Header: Depth=1
	v_add_nc_u32_e32 v1, s4, v36
	v_readfirstlane_b32 s5, v0
	ds_load_2addr_b64 v[37:40], v1 offset1:1
	s_add_i32 s5, s5, s4
	s_addk_i32 s4, 0x60
	s_add_i32 s6, s5, 0x80
	s_waitcnt lgkmcnt(0)
	v_mul_f64 v[4:5], v[39:40], v[34:35]
	v_mul_f64 v[6:7], v[37:38], v[34:35]
	s_delay_alu instid0(VALU_DEP_2) | instskip(NEXT) | instid1(VALU_DEP_2)
	v_fma_f64 v[4:5], v[37:38], v[32:33], -v[4:5]
	v_fma_f64 v[6:7], v[39:40], v[32:33], v[6:7]
	scratch_load_b128 v[37:40], off, s6
	s_waitcnt vmcnt(0)
	v_add_f64 v[37:38], v[37:38], -v[4:5]
	v_add_f64 v[39:40], v[39:40], -v[6:7]
	scratch_store_b128 off, v[37:40], s6
	ds_load_2addr_b64 v[37:40], v1 offset0:2 offset1:3
	s_add_i32 s6, s5, 0x90
	s_waitcnt lgkmcnt(0)
	v_mul_f64 v[4:5], v[39:40], v[34:35]
	v_mul_f64 v[6:7], v[37:38], v[34:35]
	s_delay_alu instid0(VALU_DEP_2) | instskip(NEXT) | instid1(VALU_DEP_2)
	v_fma_f64 v[4:5], v[37:38], v[32:33], -v[4:5]
	v_fma_f64 v[6:7], v[39:40], v[32:33], v[6:7]
	scratch_load_b128 v[37:40], off, s6
	s_waitcnt vmcnt(0)
	v_add_f64 v[37:38], v[37:38], -v[4:5]
	v_add_f64 v[39:40], v[39:40], -v[6:7]
	scratch_store_b128 off, v[37:40], s6
	ds_load_2addr_b64 v[37:40], v1 offset0:4 offset1:5
	;; [unrolled: 13-line block ×4, first 2 shown]
	s_add_i32 s6, s5, 0xc0
	s_addk_i32 s5, 0xd0
	s_cmpk_lg_i32 s4, 0x360
	s_waitcnt lgkmcnt(0)
	v_mul_f64 v[4:5], v[39:40], v[34:35]
	v_mul_f64 v[6:7], v[37:38], v[34:35]
	s_delay_alu instid0(VALU_DEP_2) | instskip(NEXT) | instid1(VALU_DEP_2)
	v_fma_f64 v[4:5], v[37:38], v[32:33], -v[4:5]
	v_fma_f64 v[6:7], v[39:40], v[32:33], v[6:7]
	scratch_load_b128 v[37:40], off, s6
	s_waitcnt vmcnt(0)
	v_add_f64 v[37:38], v[37:38], -v[4:5]
	v_add_f64 v[39:40], v[39:40], -v[6:7]
	scratch_store_b128 off, v[37:40], s6
	ds_load_2addr_b64 v[37:40], v1 offset0:10 offset1:11
	s_waitcnt lgkmcnt(0)
	v_mul_f64 v[4:5], v[39:40], v[34:35]
	v_mul_f64 v[6:7], v[37:38], v[34:35]
	s_delay_alu instid0(VALU_DEP_2) | instskip(NEXT) | instid1(VALU_DEP_2)
	v_fma_f64 v[4:5], v[37:38], v[32:33], -v[4:5]
	v_fma_f64 v[6:7], v[39:40], v[32:33], v[6:7]
	scratch_load_b128 v[37:40], off, s5
	s_waitcnt vmcnt(0)
	v_add_f64 v[37:38], v[37:38], -v[4:5]
	v_add_f64 v[39:40], v[39:40], -v[6:7]
	scratch_store_b128 off, v[37:40], s5
	s_cbranch_scc1 .LBB123_104
.LBB123_105:
	s_or_b32 exec_lo, exec_lo, s3
	v_add3_u32 v40, v180, 0, 0x90
	s_mov_b32 s4, exec_lo
	s_waitcnt lgkmcnt(0)
	s_waitcnt_vscnt null, 0x0
	s_barrier
	buffer_gl0_inv
	v_cmpx_eq_u32_e32 8, v252
	s_cbranch_execz .LBB123_116
; %bb.106:
	scratch_load_b128 v[32:35], v70, off
	v_mov_b32_e32 v0, 0
	s_movk_i32 s3, 0xfd00
	s_waitcnt vmcnt(0)
	ds_store_2addr_b64 v255, v[32:33], v[34:35] offset1:1
	s_branch .LBB123_108
.LBB123_107:                            ;   in Loop: Header=BB123_108 Depth=1
	s_add_i32 s6, s5, 0x3e0
	s_add_i32 s7, s5, 0x3f0
	s_addk_i32 s5, 0x400
	s_clause 0x2
	scratch_load_b128 v[32:35], off, s6
	scratch_load_b128 v[36:39], off, s7
	;; [unrolled: 1-line block ×3, first 2 shown]
	s_addk_i32 s3, 0x80
	s_waitcnt vmcnt(2)
	ds_store_2addr_b64 v1, v[32:33], v[34:35] offset0:106 offset1:107
	s_waitcnt vmcnt(1)
	ds_store_2addr_b64 v1, v[36:37], v[38:39] offset0:108 offset1:109
	;; [unrolled: 2-line block ×3, first 2 shown]
	s_cbranch_execz .LBB123_110
.LBB123_108:                            ; =>This Inner Loop Header: Depth=1
	v_readfirstlane_b32 s5, v0
	v_add_nc_u32_e32 v1, s3, v40
	s_delay_alu instid0(VALU_DEP_2) | instskip(NEXT) | instid1(SALU_CYCLE_1)
	s_add_i32 s5, s5, s3
	s_add_i32 s6, s5, 0x390
	;; [unrolled: 1-line block ×6, first 2 shown]
	s_clause 0x4
	scratch_load_b128 v[32:35], off, s6
	scratch_load_b128 v[36:39], off, s7
	;; [unrolled: 1-line block ×5, first 2 shown]
	s_cmp_eq_u32 s3, 0
	s_waitcnt vmcnt(4)
	ds_store_2addr_b64 v1, v[32:33], v[34:35] offset0:96 offset1:97
	s_waitcnt vmcnt(3)
	ds_store_2addr_b64 v1, v[36:37], v[38:39] offset0:98 offset1:99
	s_waitcnt vmcnt(2)
	ds_store_2addr_b64 v1, v[41:42], v[43:44] offset0:100 offset1:101
	s_waitcnt vmcnt(1)
	ds_store_2addr_b64 v1, v[45:46], v[47:48] offset0:102 offset1:103
	s_waitcnt vmcnt(0)
	ds_store_2addr_b64 v1, v[49:50], v[51:52] offset0:104 offset1:105
	s_cbranch_scc0 .LBB123_107
; %bb.109:
                                        ; implicit-def: $sgpr3
.LBB123_110:
	ds_load_2addr_b64 v[32:35], v255 offset1:1
	s_waitcnt lgkmcnt(0)
	v_cmp_neq_f64_e32 vcc_lo, 0, v[32:33]
	v_cmp_neq_f64_e64 s3, 0, v[34:35]
	s_delay_alu instid0(VALU_DEP_1) | instskip(NEXT) | instid1(SALU_CYCLE_1)
	s_or_b32 s3, vcc_lo, s3
	s_and_b32 exec_lo, exec_lo, s3
	s_cbranch_execz .LBB123_116
; %bb.111:
	v_cmp_gt_f64_e32 vcc_lo, 0, v[32:33]
	v_cmp_gt_f64_e64 s3, 0, v[34:35]
	v_xor_b32_e32 v0, 0x80000000, v33
	v_xor_b32_e32 v4, 0x80000000, v35
	s_delay_alu instid0(VALU_DEP_2) | instskip(NEXT) | instid1(VALU_DEP_2)
	v_cndmask_b32_e32 v1, v33, v0, vcc_lo
	v_cndmask_b32_e64 v5, v35, v4, s3
	v_cndmask_b32_e32 v0, v32, v32, vcc_lo
	v_cndmask_b32_e64 v4, v34, v34, s3
	s_delay_alu instid0(VALU_DEP_1) | instskip(SKIP_1) | instid1(SALU_CYCLE_1)
	v_cmp_ngt_f64_e32 vcc_lo, v[0:1], v[4:5]
                                        ; implicit-def: $vgpr0_vgpr1
	s_and_saveexec_b32 s3, vcc_lo
	s_xor_b32 s3, exec_lo, s3
                                        ; implicit-def: $vgpr36_vgpr37_vgpr38_vgpr39
	s_cbranch_execz .LBB123_113
; %bb.112:
	v_div_scale_f64 v[0:1], null, v[34:35], v[34:35], v[32:33]
	v_div_scale_f64 v[36:37], vcc_lo, v[32:33], v[34:35], v[32:33]
	s_delay_alu instid0(VALU_DEP_2) | instskip(SKIP_2) | instid1(VALU_DEP_1)
	v_rcp_f64_e32 v[4:5], v[0:1]
	s_waitcnt_depctr 0xfff
	v_fma_f64 v[6:7], -v[0:1], v[4:5], 1.0
	v_fma_f64 v[4:5], v[4:5], v[6:7], v[4:5]
	s_delay_alu instid0(VALU_DEP_1) | instskip(NEXT) | instid1(VALU_DEP_1)
	v_fma_f64 v[6:7], -v[0:1], v[4:5], 1.0
	v_fma_f64 v[4:5], v[4:5], v[6:7], v[4:5]
	s_delay_alu instid0(VALU_DEP_1) | instskip(NEXT) | instid1(VALU_DEP_1)
	v_mul_f64 v[6:7], v[36:37], v[4:5]
	v_fma_f64 v[0:1], -v[0:1], v[6:7], v[36:37]
	s_delay_alu instid0(VALU_DEP_1) | instskip(NEXT) | instid1(VALU_DEP_1)
	v_div_fmas_f64 v[0:1], v[0:1], v[4:5], v[6:7]
	v_div_fixup_f64 v[0:1], v[0:1], v[34:35], v[32:33]
	s_delay_alu instid0(VALU_DEP_1) | instskip(NEXT) | instid1(VALU_DEP_1)
	v_fma_f64 v[4:5], v[32:33], v[0:1], v[34:35]
	v_div_scale_f64 v[6:7], null, v[4:5], v[4:5], 1.0
	s_delay_alu instid0(VALU_DEP_1) | instskip(SKIP_2) | instid1(VALU_DEP_1)
	v_rcp_f64_e32 v[32:33], v[6:7]
	s_waitcnt_depctr 0xfff
	v_fma_f64 v[34:35], -v[6:7], v[32:33], 1.0
	v_fma_f64 v[32:33], v[32:33], v[34:35], v[32:33]
	s_delay_alu instid0(VALU_DEP_1) | instskip(NEXT) | instid1(VALU_DEP_1)
	v_fma_f64 v[34:35], -v[6:7], v[32:33], 1.0
	v_fma_f64 v[32:33], v[32:33], v[34:35], v[32:33]
	v_div_scale_f64 v[34:35], vcc_lo, 1.0, v[4:5], 1.0
	s_delay_alu instid0(VALU_DEP_1) | instskip(NEXT) | instid1(VALU_DEP_1)
	v_mul_f64 v[36:37], v[34:35], v[32:33]
	v_fma_f64 v[6:7], -v[6:7], v[36:37], v[34:35]
	s_delay_alu instid0(VALU_DEP_1) | instskip(NEXT) | instid1(VALU_DEP_1)
	v_div_fmas_f64 v[6:7], v[6:7], v[32:33], v[36:37]
                                        ; implicit-def: $vgpr32_vgpr33
	v_div_fixup_f64 v[38:39], v[6:7], v[4:5], 1.0
	s_delay_alu instid0(VALU_DEP_1)
	v_mul_f64 v[0:1], v[0:1], v[38:39]
	v_xor_b32_e32 v39, 0x80000000, v39
.LBB123_113:
	s_and_not1_saveexec_b32 s3, s3
	s_cbranch_execz .LBB123_115
; %bb.114:
	v_div_scale_f64 v[0:1], null, v[32:33], v[32:33], v[34:35]
	v_div_scale_f64 v[36:37], vcc_lo, v[34:35], v[32:33], v[34:35]
	s_delay_alu instid0(VALU_DEP_2) | instskip(SKIP_2) | instid1(VALU_DEP_1)
	v_rcp_f64_e32 v[4:5], v[0:1]
	s_waitcnt_depctr 0xfff
	v_fma_f64 v[6:7], -v[0:1], v[4:5], 1.0
	v_fma_f64 v[4:5], v[4:5], v[6:7], v[4:5]
	s_delay_alu instid0(VALU_DEP_1) | instskip(NEXT) | instid1(VALU_DEP_1)
	v_fma_f64 v[6:7], -v[0:1], v[4:5], 1.0
	v_fma_f64 v[4:5], v[4:5], v[6:7], v[4:5]
	s_delay_alu instid0(VALU_DEP_1) | instskip(NEXT) | instid1(VALU_DEP_1)
	v_mul_f64 v[6:7], v[36:37], v[4:5]
	v_fma_f64 v[0:1], -v[0:1], v[6:7], v[36:37]
	s_delay_alu instid0(VALU_DEP_1) | instskip(NEXT) | instid1(VALU_DEP_1)
	v_div_fmas_f64 v[0:1], v[0:1], v[4:5], v[6:7]
	v_div_fixup_f64 v[4:5], v[0:1], v[32:33], v[34:35]
	s_delay_alu instid0(VALU_DEP_1) | instskip(NEXT) | instid1(VALU_DEP_1)
	v_fma_f64 v[0:1], v[34:35], v[4:5], v[32:33]
	v_div_scale_f64 v[6:7], null, v[0:1], v[0:1], 1.0
	s_delay_alu instid0(VALU_DEP_1) | instskip(SKIP_2) | instid1(VALU_DEP_1)
	v_rcp_f64_e32 v[32:33], v[6:7]
	s_waitcnt_depctr 0xfff
	v_fma_f64 v[34:35], -v[6:7], v[32:33], 1.0
	v_fma_f64 v[32:33], v[32:33], v[34:35], v[32:33]
	s_delay_alu instid0(VALU_DEP_1) | instskip(NEXT) | instid1(VALU_DEP_1)
	v_fma_f64 v[34:35], -v[6:7], v[32:33], 1.0
	v_fma_f64 v[32:33], v[32:33], v[34:35], v[32:33]
	v_div_scale_f64 v[34:35], vcc_lo, 1.0, v[0:1], 1.0
	s_delay_alu instid0(VALU_DEP_1) | instskip(NEXT) | instid1(VALU_DEP_1)
	v_mul_f64 v[36:37], v[34:35], v[32:33]
	v_fma_f64 v[6:7], -v[6:7], v[36:37], v[34:35]
	s_delay_alu instid0(VALU_DEP_1) | instskip(NEXT) | instid1(VALU_DEP_1)
	v_div_fmas_f64 v[6:7], v[6:7], v[32:33], v[36:37]
	v_div_fixup_f64 v[0:1], v[6:7], v[0:1], 1.0
	s_delay_alu instid0(VALU_DEP_1)
	v_mul_f64 v[38:39], v[4:5], -v[0:1]
.LBB123_115:
	s_or_b32 exec_lo, exec_lo, s3
	ds_store_2addr_b64 v255, v[0:1], v[38:39] offset1:1
.LBB123_116:
	s_or_b32 exec_lo, exec_lo, s4
	s_waitcnt lgkmcnt(0)
	s_barrier
	buffer_gl0_inv
	ds_load_2addr_b64 v[32:35], v255 offset1:1
	s_mov_b32 s3, exec_lo
	v_cmpx_lt_u32_e32 8, v252
	s_cbranch_execz .LBB123_121
; %bb.117:
	scratch_load_b128 v[41:44], off, off offset:128
	s_mov_b32 s4, 0
	s_waitcnt vmcnt(0) lgkmcnt(0)
	v_mul_f64 v[0:1], v[34:35], v[43:44]
	v_mul_f64 v[4:5], v[32:33], v[43:44]
	s_delay_alu instid0(VALU_DEP_2) | instskip(NEXT) | instid1(VALU_DEP_2)
	v_fma_f64 v[36:37], v[32:33], v[41:42], -v[0:1]
	v_fma_f64 v[38:39], v[34:35], v[41:42], v[4:5]
	v_mov_b32_e32 v0, 0
	scratch_store_b128 off, v[36:39], off offset:128
	s_branch .LBB123_119
.LBB123_118:                            ;   in Loop: Header=BB123_119 Depth=1
	s_and_not1_b32 vcc_lo, exec_lo, s6
	s_cbranch_vccz .LBB123_121
.LBB123_119:                            ; =>This Inner Loop Header: Depth=1
	v_readfirstlane_b32 s5, v0
	v_add_nc_u32_e32 v1, s4, v40
	s_mov_b32 s6, -1
	s_delay_alu instid0(VALU_DEP_2)
	s_add_i32 s5, s5, s4
	ds_load_2addr_b64 v[45:48], v1 offset1:1
	s_add_i32 s7, s5, 0x90
	s_cmpk_eq_i32 s4, 0x340
	scratch_load_b128 v[41:44], off, s7
	s_waitcnt lgkmcnt(0)
	v_mul_f64 v[4:5], v[47:48], v[38:39]
	v_mul_f64 v[6:7], v[45:46], v[38:39]
	s_delay_alu instid0(VALU_DEP_2) | instskip(NEXT) | instid1(VALU_DEP_2)
	v_fma_f64 v[4:5], v[45:46], v[36:37], -v[4:5]
	v_fma_f64 v[6:7], v[47:48], v[36:37], v[6:7]
	s_waitcnt vmcnt(0)
	s_delay_alu instid0(VALU_DEP_2) | instskip(NEXT) | instid1(VALU_DEP_2)
	v_add_f64 v[41:42], v[41:42], -v[4:5]
	v_add_f64 v[43:44], v[43:44], -v[6:7]
	scratch_store_b128 off, v[41:44], s7
	s_cbranch_scc1 .LBB123_118
; %bb.120:                              ;   in Loop: Header=BB123_119 Depth=1
	ds_load_2addr_b64 v[41:44], v1 offset0:2 offset1:3
	s_add_i32 s6, s5, 0xa0
	s_add_i32 s4, s4, 64
	s_waitcnt lgkmcnt(0)
	v_mul_f64 v[4:5], v[43:44], v[38:39]
	v_mul_f64 v[6:7], v[41:42], v[38:39]
	s_delay_alu instid0(VALU_DEP_2) | instskip(NEXT) | instid1(VALU_DEP_2)
	v_fma_f64 v[4:5], v[41:42], v[36:37], -v[4:5]
	v_fma_f64 v[6:7], v[43:44], v[36:37], v[6:7]
	scratch_load_b128 v[41:44], off, s6
	s_waitcnt vmcnt(0)
	v_add_f64 v[41:42], v[41:42], -v[4:5]
	v_add_f64 v[43:44], v[43:44], -v[6:7]
	scratch_store_b128 off, v[41:44], s6
	ds_load_2addr_b64 v[41:44], v1 offset0:4 offset1:5
	s_add_i32 s6, s5, 0xb0
	s_addk_i32 s5, 0xc0
	s_waitcnt lgkmcnt(0)
	v_mul_f64 v[4:5], v[43:44], v[38:39]
	v_mul_f64 v[6:7], v[41:42], v[38:39]
	s_delay_alu instid0(VALU_DEP_2) | instskip(NEXT) | instid1(VALU_DEP_2)
	v_fma_f64 v[4:5], v[41:42], v[36:37], -v[4:5]
	v_fma_f64 v[6:7], v[43:44], v[36:37], v[6:7]
	scratch_load_b128 v[41:44], off, s6
	s_waitcnt vmcnt(0)
	v_add_f64 v[41:42], v[41:42], -v[4:5]
	v_add_f64 v[43:44], v[43:44], -v[6:7]
	scratch_store_b128 off, v[41:44], s6
	ds_load_2addr_b64 v[41:44], v1 offset0:6 offset1:7
	s_mov_b32 s6, 0
	s_waitcnt lgkmcnt(0)
	v_mul_f64 v[4:5], v[43:44], v[38:39]
	v_mul_f64 v[6:7], v[41:42], v[38:39]
	s_delay_alu instid0(VALU_DEP_2) | instskip(NEXT) | instid1(VALU_DEP_2)
	v_fma_f64 v[4:5], v[41:42], v[36:37], -v[4:5]
	v_fma_f64 v[6:7], v[43:44], v[36:37], v[6:7]
	scratch_load_b128 v[41:44], off, s5
	s_waitcnt vmcnt(0)
	v_add_f64 v[41:42], v[41:42], -v[4:5]
	v_add_f64 v[43:44], v[43:44], -v[6:7]
	scratch_store_b128 off, v[41:44], s5
	s_branch .LBB123_118
.LBB123_121:
	s_or_b32 exec_lo, exec_lo, s3
	v_add3_u32 v44, v180, 0, 0xa0
	s_mov_b32 s4, exec_lo
	s_waitcnt lgkmcnt(0)
	s_waitcnt_vscnt null, 0x0
	s_barrier
	buffer_gl0_inv
	v_cmpx_eq_u32_e32 9, v252
	s_cbranch_execz .LBB123_130
; %bb.122:
	scratch_load_b128 v[36:39], v69, off
	v_mov_b32_e32 v0, 0
	s_movk_i32 s3, 0xfcc0
	s_waitcnt vmcnt(0)
	ds_store_2addr_b64 v255, v[36:37], v[38:39] offset1:1
.LBB123_123:                            ; =>This Inner Loop Header: Depth=1
	v_readfirstlane_b32 s5, v0
	v_add_nc_u32_e32 v1, s3, v44
	s_delay_alu instid0(VALU_DEP_2)
	s_add_i32 s5, s5, s3
	s_addk_i32 s3, 0xd0
	s_add_i32 s6, s5, 0x3e0
	scratch_load_b128 v[36:39], off, s6
	s_add_i32 s6, s5, 0x3f0
	s_waitcnt vmcnt(0)
	ds_store_2addr_b64 v1, v[36:37], v[38:39] offset0:104 offset1:105
	scratch_load_b128 v[36:39], off, s6
	s_add_i32 s6, s5, 0x400
	s_waitcnt vmcnt(0)
	ds_store_2addr_b64 v1, v[36:37], v[38:39] offset0:106 offset1:107
	;; [unrolled: 4-line block ×10, first 2 shown]
	scratch_load_b128 v[36:39], off, s6
	s_add_i32 s6, s5, 0x490
	s_addk_i32 s5, 0x4a0
	s_cmp_lg_u32 s3, 0
	s_waitcnt vmcnt(0)
	ds_store_2addr_b64 v1, v[36:37], v[38:39] offset0:124 offset1:125
	scratch_load_b128 v[36:39], off, s6
	s_waitcnt vmcnt(0)
	ds_store_2addr_b64 v1, v[36:37], v[38:39] offset0:126 offset1:127
	scratch_load_b128 v[36:39], off, s5
	s_waitcnt vmcnt(0)
	ds_store_2addr_b64 v1, v[36:37], v[38:39] offset0:128 offset1:129
	s_cbranch_scc1 .LBB123_123
; %bb.124:
	ds_load_2addr_b64 v[36:39], v255 offset1:1
	s_waitcnt lgkmcnt(0)
	v_cmp_neq_f64_e32 vcc_lo, 0, v[36:37]
	v_cmp_neq_f64_e64 s3, 0, v[38:39]
	s_delay_alu instid0(VALU_DEP_1) | instskip(NEXT) | instid1(SALU_CYCLE_1)
	s_or_b32 s3, vcc_lo, s3
	s_and_b32 exec_lo, exec_lo, s3
	s_cbranch_execz .LBB123_130
; %bb.125:
	v_cmp_gt_f64_e32 vcc_lo, 0, v[36:37]
	v_cmp_gt_f64_e64 s3, 0, v[38:39]
	v_xor_b32_e32 v0, 0x80000000, v37
	v_xor_b32_e32 v4, 0x80000000, v39
	s_delay_alu instid0(VALU_DEP_2) | instskip(NEXT) | instid1(VALU_DEP_2)
	v_cndmask_b32_e32 v1, v37, v0, vcc_lo
	v_cndmask_b32_e64 v5, v39, v4, s3
	v_cndmask_b32_e32 v0, v36, v36, vcc_lo
	v_cndmask_b32_e64 v4, v38, v38, s3
	s_delay_alu instid0(VALU_DEP_1) | instskip(SKIP_1) | instid1(SALU_CYCLE_1)
	v_cmp_ngt_f64_e32 vcc_lo, v[0:1], v[4:5]
                                        ; implicit-def: $vgpr0_vgpr1
	s_and_saveexec_b32 s3, vcc_lo
	s_xor_b32 s3, exec_lo, s3
                                        ; implicit-def: $vgpr40_vgpr41_vgpr42_vgpr43
	s_cbranch_execz .LBB123_127
; %bb.126:
	v_div_scale_f64 v[0:1], null, v[38:39], v[38:39], v[36:37]
	v_div_scale_f64 v[40:41], vcc_lo, v[36:37], v[38:39], v[36:37]
	s_delay_alu instid0(VALU_DEP_2) | instskip(SKIP_2) | instid1(VALU_DEP_1)
	v_rcp_f64_e32 v[4:5], v[0:1]
	s_waitcnt_depctr 0xfff
	v_fma_f64 v[6:7], -v[0:1], v[4:5], 1.0
	v_fma_f64 v[4:5], v[4:5], v[6:7], v[4:5]
	s_delay_alu instid0(VALU_DEP_1) | instskip(NEXT) | instid1(VALU_DEP_1)
	v_fma_f64 v[6:7], -v[0:1], v[4:5], 1.0
	v_fma_f64 v[4:5], v[4:5], v[6:7], v[4:5]
	s_delay_alu instid0(VALU_DEP_1) | instskip(NEXT) | instid1(VALU_DEP_1)
	v_mul_f64 v[6:7], v[40:41], v[4:5]
	v_fma_f64 v[0:1], -v[0:1], v[6:7], v[40:41]
	s_delay_alu instid0(VALU_DEP_1) | instskip(NEXT) | instid1(VALU_DEP_1)
	v_div_fmas_f64 v[0:1], v[0:1], v[4:5], v[6:7]
	v_div_fixup_f64 v[0:1], v[0:1], v[38:39], v[36:37]
	s_delay_alu instid0(VALU_DEP_1) | instskip(NEXT) | instid1(VALU_DEP_1)
	v_fma_f64 v[4:5], v[36:37], v[0:1], v[38:39]
	v_div_scale_f64 v[6:7], null, v[4:5], v[4:5], 1.0
	s_delay_alu instid0(VALU_DEP_1) | instskip(SKIP_2) | instid1(VALU_DEP_1)
	v_rcp_f64_e32 v[36:37], v[6:7]
	s_waitcnt_depctr 0xfff
	v_fma_f64 v[38:39], -v[6:7], v[36:37], 1.0
	v_fma_f64 v[36:37], v[36:37], v[38:39], v[36:37]
	s_delay_alu instid0(VALU_DEP_1) | instskip(NEXT) | instid1(VALU_DEP_1)
	v_fma_f64 v[38:39], -v[6:7], v[36:37], 1.0
	v_fma_f64 v[36:37], v[36:37], v[38:39], v[36:37]
	v_div_scale_f64 v[38:39], vcc_lo, 1.0, v[4:5], 1.0
	s_delay_alu instid0(VALU_DEP_1) | instskip(NEXT) | instid1(VALU_DEP_1)
	v_mul_f64 v[40:41], v[38:39], v[36:37]
	v_fma_f64 v[6:7], -v[6:7], v[40:41], v[38:39]
	s_delay_alu instid0(VALU_DEP_1) | instskip(NEXT) | instid1(VALU_DEP_1)
	v_div_fmas_f64 v[6:7], v[6:7], v[36:37], v[40:41]
                                        ; implicit-def: $vgpr36_vgpr37
	v_div_fixup_f64 v[42:43], v[6:7], v[4:5], 1.0
	s_delay_alu instid0(VALU_DEP_1)
	v_mul_f64 v[0:1], v[0:1], v[42:43]
	v_xor_b32_e32 v43, 0x80000000, v43
.LBB123_127:
	s_and_not1_saveexec_b32 s3, s3
	s_cbranch_execz .LBB123_129
; %bb.128:
	v_div_scale_f64 v[0:1], null, v[36:37], v[36:37], v[38:39]
	v_div_scale_f64 v[40:41], vcc_lo, v[38:39], v[36:37], v[38:39]
	s_delay_alu instid0(VALU_DEP_2) | instskip(SKIP_2) | instid1(VALU_DEP_1)
	v_rcp_f64_e32 v[4:5], v[0:1]
	s_waitcnt_depctr 0xfff
	v_fma_f64 v[6:7], -v[0:1], v[4:5], 1.0
	v_fma_f64 v[4:5], v[4:5], v[6:7], v[4:5]
	s_delay_alu instid0(VALU_DEP_1) | instskip(NEXT) | instid1(VALU_DEP_1)
	v_fma_f64 v[6:7], -v[0:1], v[4:5], 1.0
	v_fma_f64 v[4:5], v[4:5], v[6:7], v[4:5]
	s_delay_alu instid0(VALU_DEP_1) | instskip(NEXT) | instid1(VALU_DEP_1)
	v_mul_f64 v[6:7], v[40:41], v[4:5]
	v_fma_f64 v[0:1], -v[0:1], v[6:7], v[40:41]
	s_delay_alu instid0(VALU_DEP_1) | instskip(NEXT) | instid1(VALU_DEP_1)
	v_div_fmas_f64 v[0:1], v[0:1], v[4:5], v[6:7]
	v_div_fixup_f64 v[4:5], v[0:1], v[36:37], v[38:39]
	s_delay_alu instid0(VALU_DEP_1) | instskip(NEXT) | instid1(VALU_DEP_1)
	v_fma_f64 v[0:1], v[38:39], v[4:5], v[36:37]
	v_div_scale_f64 v[6:7], null, v[0:1], v[0:1], 1.0
	s_delay_alu instid0(VALU_DEP_1) | instskip(SKIP_2) | instid1(VALU_DEP_1)
	v_rcp_f64_e32 v[36:37], v[6:7]
	s_waitcnt_depctr 0xfff
	v_fma_f64 v[38:39], -v[6:7], v[36:37], 1.0
	v_fma_f64 v[36:37], v[36:37], v[38:39], v[36:37]
	s_delay_alu instid0(VALU_DEP_1) | instskip(NEXT) | instid1(VALU_DEP_1)
	v_fma_f64 v[38:39], -v[6:7], v[36:37], 1.0
	v_fma_f64 v[36:37], v[36:37], v[38:39], v[36:37]
	v_div_scale_f64 v[38:39], vcc_lo, 1.0, v[0:1], 1.0
	s_delay_alu instid0(VALU_DEP_1) | instskip(NEXT) | instid1(VALU_DEP_1)
	v_mul_f64 v[40:41], v[38:39], v[36:37]
	v_fma_f64 v[6:7], -v[6:7], v[40:41], v[38:39]
	s_delay_alu instid0(VALU_DEP_1) | instskip(NEXT) | instid1(VALU_DEP_1)
	v_div_fmas_f64 v[6:7], v[6:7], v[36:37], v[40:41]
	v_div_fixup_f64 v[0:1], v[6:7], v[0:1], 1.0
	s_delay_alu instid0(VALU_DEP_1)
	v_mul_f64 v[42:43], v[4:5], -v[0:1]
.LBB123_129:
	s_or_b32 exec_lo, exec_lo, s3
	ds_store_2addr_b64 v255, v[0:1], v[42:43] offset1:1
.LBB123_130:
	s_or_b32 exec_lo, exec_lo, s4
	s_waitcnt lgkmcnt(0)
	s_barrier
	buffer_gl0_inv
	ds_load_2addr_b64 v[36:39], v255 offset1:1
	s_mov_b32 s3, exec_lo
	v_cmpx_lt_u32_e32 9, v252
	s_cbranch_execz .LBB123_133
; %bb.131:
	scratch_load_b128 v[45:48], off, off offset:144
	s_mov_b32 s4, 0
	s_waitcnt vmcnt(0) lgkmcnt(0)
	v_mul_f64 v[0:1], v[38:39], v[47:48]
	v_mul_f64 v[4:5], v[36:37], v[47:48]
	s_delay_alu instid0(VALU_DEP_2) | instskip(NEXT) | instid1(VALU_DEP_2)
	v_fma_f64 v[40:41], v[36:37], v[45:46], -v[0:1]
	v_fma_f64 v[42:43], v[38:39], v[45:46], v[4:5]
	v_mov_b32_e32 v0, 0
	scratch_store_b128 off, v[40:43], off offset:144
.LBB123_132:                            ; =>This Inner Loop Header: Depth=1
	v_add_nc_u32_e32 v1, s4, v44
	v_readfirstlane_b32 s5, v0
	ds_load_2addr_b64 v[45:48], v1 offset1:1
	s_add_i32 s5, s5, s4
	s_add_i32 s4, s4, 64
	;; [unrolled: 1-line block ×3, first 2 shown]
	s_waitcnt lgkmcnt(0)
	v_mul_f64 v[4:5], v[47:48], v[42:43]
	v_mul_f64 v[6:7], v[45:46], v[42:43]
	s_delay_alu instid0(VALU_DEP_2) | instskip(NEXT) | instid1(VALU_DEP_2)
	v_fma_f64 v[4:5], v[45:46], v[40:41], -v[4:5]
	v_fma_f64 v[6:7], v[47:48], v[40:41], v[6:7]
	scratch_load_b128 v[45:48], off, s6
	s_waitcnt vmcnt(0)
	v_add_f64 v[45:46], v[45:46], -v[4:5]
	v_add_f64 v[47:48], v[47:48], -v[6:7]
	scratch_store_b128 off, v[45:48], s6
	ds_load_2addr_b64 v[45:48], v1 offset0:2 offset1:3
	s_add_i32 s6, s5, 0xb0
	s_waitcnt lgkmcnt(0)
	v_mul_f64 v[4:5], v[47:48], v[42:43]
	v_mul_f64 v[6:7], v[45:46], v[42:43]
	s_delay_alu instid0(VALU_DEP_2) | instskip(NEXT) | instid1(VALU_DEP_2)
	v_fma_f64 v[4:5], v[45:46], v[40:41], -v[4:5]
	v_fma_f64 v[6:7], v[47:48], v[40:41], v[6:7]
	scratch_load_b128 v[45:48], off, s6
	s_waitcnt vmcnt(0)
	v_add_f64 v[45:46], v[45:46], -v[4:5]
	v_add_f64 v[47:48], v[47:48], -v[6:7]
	scratch_store_b128 off, v[45:48], s6
	ds_load_2addr_b64 v[45:48], v1 offset0:4 offset1:5
	s_add_i32 s6, s5, 0xc0
	s_addk_i32 s5, 0xd0
	s_cmpk_lg_i32 s4, 0x340
	s_waitcnt lgkmcnt(0)
	v_mul_f64 v[4:5], v[47:48], v[42:43]
	v_mul_f64 v[6:7], v[45:46], v[42:43]
	s_delay_alu instid0(VALU_DEP_2) | instskip(NEXT) | instid1(VALU_DEP_2)
	v_fma_f64 v[4:5], v[45:46], v[40:41], -v[4:5]
	v_fma_f64 v[6:7], v[47:48], v[40:41], v[6:7]
	scratch_load_b128 v[45:48], off, s6
	s_waitcnt vmcnt(0)
	v_add_f64 v[45:46], v[45:46], -v[4:5]
	v_add_f64 v[47:48], v[47:48], -v[6:7]
	scratch_store_b128 off, v[45:48], s6
	ds_load_2addr_b64 v[45:48], v1 offset0:6 offset1:7
	s_waitcnt lgkmcnt(0)
	v_mul_f64 v[4:5], v[47:48], v[42:43]
	v_mul_f64 v[6:7], v[45:46], v[42:43]
	s_delay_alu instid0(VALU_DEP_2) | instskip(NEXT) | instid1(VALU_DEP_2)
	v_fma_f64 v[4:5], v[45:46], v[40:41], -v[4:5]
	v_fma_f64 v[6:7], v[47:48], v[40:41], v[6:7]
	scratch_load_b128 v[45:48], off, s5
	s_waitcnt vmcnt(0)
	v_add_f64 v[45:46], v[45:46], -v[4:5]
	v_add_f64 v[47:48], v[47:48], -v[6:7]
	scratch_store_b128 off, v[45:48], s5
	s_cbranch_scc1 .LBB123_132
.LBB123_133:
	s_or_b32 exec_lo, exec_lo, s3
	v_add3_u32 v48, v180, 0, 0xb0
	s_mov_b32 s4, exec_lo
	s_waitcnt lgkmcnt(0)
	s_waitcnt_vscnt null, 0x0
	s_barrier
	buffer_gl0_inv
	v_cmpx_eq_u32_e32 10, v252
	s_cbranch_execz .LBB123_142
; %bb.134:
	scratch_load_b128 v[40:43], v68, off
	v_mov_b32_e32 v0, 0
	s_movk_i32 s3, 0xfcd0
	s_waitcnt vmcnt(0)
	ds_store_2addr_b64 v255, v[40:41], v[42:43] offset1:1
.LBB123_135:                            ; =>This Inner Loop Header: Depth=1
	v_readfirstlane_b32 s5, v0
	v_add_nc_u32_e32 v1, s3, v48
	s_delay_alu instid0(VALU_DEP_2)
	s_add_i32 s5, s5, s3
	s_addk_i32 s3, 0x110
	s_add_i32 s6, s5, 0x3e0
	scratch_load_b128 v[40:43], off, s6
	s_add_i32 s6, s5, 0x3f0
	s_waitcnt vmcnt(0)
	ds_store_2addr_b64 v1, v[40:41], v[42:43] offset0:102 offset1:103
	scratch_load_b128 v[40:43], off, s6
	s_add_i32 s6, s5, 0x400
	s_waitcnt vmcnt(0)
	ds_store_2addr_b64 v1, v[40:41], v[42:43] offset0:104 offset1:105
	;; [unrolled: 4-line block ×14, first 2 shown]
	scratch_load_b128 v[40:43], off, s6
	s_add_i32 s6, s5, 0x4d0
	s_addk_i32 s5, 0x4e0
	s_cmp_lg_u32 s3, 0
	s_waitcnt vmcnt(0)
	ds_store_2addr_b64 v1, v[40:41], v[42:43] offset0:130 offset1:131
	scratch_load_b128 v[40:43], off, s6
	s_waitcnt vmcnt(0)
	ds_store_2addr_b64 v1, v[40:41], v[42:43] offset0:132 offset1:133
	scratch_load_b128 v[40:43], off, s5
	s_waitcnt vmcnt(0)
	ds_store_2addr_b64 v1, v[40:41], v[42:43] offset0:134 offset1:135
	s_cbranch_scc1 .LBB123_135
; %bb.136:
	ds_load_2addr_b64 v[40:43], v255 offset1:1
	s_waitcnt lgkmcnt(0)
	v_cmp_neq_f64_e32 vcc_lo, 0, v[40:41]
	v_cmp_neq_f64_e64 s3, 0, v[42:43]
	s_delay_alu instid0(VALU_DEP_1) | instskip(NEXT) | instid1(SALU_CYCLE_1)
	s_or_b32 s3, vcc_lo, s3
	s_and_b32 exec_lo, exec_lo, s3
	s_cbranch_execz .LBB123_142
; %bb.137:
	v_cmp_gt_f64_e32 vcc_lo, 0, v[40:41]
	v_cmp_gt_f64_e64 s3, 0, v[42:43]
	v_xor_b32_e32 v0, 0x80000000, v41
	v_xor_b32_e32 v4, 0x80000000, v43
	s_delay_alu instid0(VALU_DEP_2) | instskip(NEXT) | instid1(VALU_DEP_2)
	v_cndmask_b32_e32 v1, v41, v0, vcc_lo
	v_cndmask_b32_e64 v5, v43, v4, s3
	v_cndmask_b32_e32 v0, v40, v40, vcc_lo
	v_cndmask_b32_e64 v4, v42, v42, s3
	s_delay_alu instid0(VALU_DEP_1) | instskip(SKIP_1) | instid1(SALU_CYCLE_1)
	v_cmp_ngt_f64_e32 vcc_lo, v[0:1], v[4:5]
                                        ; implicit-def: $vgpr0_vgpr1
	s_and_saveexec_b32 s3, vcc_lo
	s_xor_b32 s3, exec_lo, s3
                                        ; implicit-def: $vgpr44_vgpr45_vgpr46_vgpr47
	s_cbranch_execz .LBB123_139
; %bb.138:
	v_div_scale_f64 v[0:1], null, v[42:43], v[42:43], v[40:41]
	v_div_scale_f64 v[44:45], vcc_lo, v[40:41], v[42:43], v[40:41]
	s_delay_alu instid0(VALU_DEP_2) | instskip(SKIP_2) | instid1(VALU_DEP_1)
	v_rcp_f64_e32 v[4:5], v[0:1]
	s_waitcnt_depctr 0xfff
	v_fma_f64 v[6:7], -v[0:1], v[4:5], 1.0
	v_fma_f64 v[4:5], v[4:5], v[6:7], v[4:5]
	s_delay_alu instid0(VALU_DEP_1) | instskip(NEXT) | instid1(VALU_DEP_1)
	v_fma_f64 v[6:7], -v[0:1], v[4:5], 1.0
	v_fma_f64 v[4:5], v[4:5], v[6:7], v[4:5]
	s_delay_alu instid0(VALU_DEP_1) | instskip(NEXT) | instid1(VALU_DEP_1)
	v_mul_f64 v[6:7], v[44:45], v[4:5]
	v_fma_f64 v[0:1], -v[0:1], v[6:7], v[44:45]
	s_delay_alu instid0(VALU_DEP_1) | instskip(NEXT) | instid1(VALU_DEP_1)
	v_div_fmas_f64 v[0:1], v[0:1], v[4:5], v[6:7]
	v_div_fixup_f64 v[0:1], v[0:1], v[42:43], v[40:41]
	s_delay_alu instid0(VALU_DEP_1) | instskip(NEXT) | instid1(VALU_DEP_1)
	v_fma_f64 v[4:5], v[40:41], v[0:1], v[42:43]
	v_div_scale_f64 v[6:7], null, v[4:5], v[4:5], 1.0
	s_delay_alu instid0(VALU_DEP_1) | instskip(SKIP_2) | instid1(VALU_DEP_1)
	v_rcp_f64_e32 v[40:41], v[6:7]
	s_waitcnt_depctr 0xfff
	v_fma_f64 v[42:43], -v[6:7], v[40:41], 1.0
	v_fma_f64 v[40:41], v[40:41], v[42:43], v[40:41]
	s_delay_alu instid0(VALU_DEP_1) | instskip(NEXT) | instid1(VALU_DEP_1)
	v_fma_f64 v[42:43], -v[6:7], v[40:41], 1.0
	v_fma_f64 v[40:41], v[40:41], v[42:43], v[40:41]
	v_div_scale_f64 v[42:43], vcc_lo, 1.0, v[4:5], 1.0
	s_delay_alu instid0(VALU_DEP_1) | instskip(NEXT) | instid1(VALU_DEP_1)
	v_mul_f64 v[44:45], v[42:43], v[40:41]
	v_fma_f64 v[6:7], -v[6:7], v[44:45], v[42:43]
	s_delay_alu instid0(VALU_DEP_1) | instskip(NEXT) | instid1(VALU_DEP_1)
	v_div_fmas_f64 v[6:7], v[6:7], v[40:41], v[44:45]
                                        ; implicit-def: $vgpr40_vgpr41
	v_div_fixup_f64 v[46:47], v[6:7], v[4:5], 1.0
	s_delay_alu instid0(VALU_DEP_1)
	v_mul_f64 v[0:1], v[0:1], v[46:47]
	v_xor_b32_e32 v47, 0x80000000, v47
.LBB123_139:
	s_and_not1_saveexec_b32 s3, s3
	s_cbranch_execz .LBB123_141
; %bb.140:
	v_div_scale_f64 v[0:1], null, v[40:41], v[40:41], v[42:43]
	v_div_scale_f64 v[44:45], vcc_lo, v[42:43], v[40:41], v[42:43]
	s_delay_alu instid0(VALU_DEP_2) | instskip(SKIP_2) | instid1(VALU_DEP_1)
	v_rcp_f64_e32 v[4:5], v[0:1]
	s_waitcnt_depctr 0xfff
	v_fma_f64 v[6:7], -v[0:1], v[4:5], 1.0
	v_fma_f64 v[4:5], v[4:5], v[6:7], v[4:5]
	s_delay_alu instid0(VALU_DEP_1) | instskip(NEXT) | instid1(VALU_DEP_1)
	v_fma_f64 v[6:7], -v[0:1], v[4:5], 1.0
	v_fma_f64 v[4:5], v[4:5], v[6:7], v[4:5]
	s_delay_alu instid0(VALU_DEP_1) | instskip(NEXT) | instid1(VALU_DEP_1)
	v_mul_f64 v[6:7], v[44:45], v[4:5]
	v_fma_f64 v[0:1], -v[0:1], v[6:7], v[44:45]
	s_delay_alu instid0(VALU_DEP_1) | instskip(NEXT) | instid1(VALU_DEP_1)
	v_div_fmas_f64 v[0:1], v[0:1], v[4:5], v[6:7]
	v_div_fixup_f64 v[4:5], v[0:1], v[40:41], v[42:43]
	s_delay_alu instid0(VALU_DEP_1) | instskip(NEXT) | instid1(VALU_DEP_1)
	v_fma_f64 v[0:1], v[42:43], v[4:5], v[40:41]
	v_div_scale_f64 v[6:7], null, v[0:1], v[0:1], 1.0
	s_delay_alu instid0(VALU_DEP_1) | instskip(SKIP_2) | instid1(VALU_DEP_1)
	v_rcp_f64_e32 v[40:41], v[6:7]
	s_waitcnt_depctr 0xfff
	v_fma_f64 v[42:43], -v[6:7], v[40:41], 1.0
	v_fma_f64 v[40:41], v[40:41], v[42:43], v[40:41]
	s_delay_alu instid0(VALU_DEP_1) | instskip(NEXT) | instid1(VALU_DEP_1)
	v_fma_f64 v[42:43], -v[6:7], v[40:41], 1.0
	v_fma_f64 v[40:41], v[40:41], v[42:43], v[40:41]
	v_div_scale_f64 v[42:43], vcc_lo, 1.0, v[0:1], 1.0
	s_delay_alu instid0(VALU_DEP_1) | instskip(NEXT) | instid1(VALU_DEP_1)
	v_mul_f64 v[44:45], v[42:43], v[40:41]
	v_fma_f64 v[6:7], -v[6:7], v[44:45], v[42:43]
	s_delay_alu instid0(VALU_DEP_1) | instskip(NEXT) | instid1(VALU_DEP_1)
	v_div_fmas_f64 v[6:7], v[6:7], v[40:41], v[44:45]
	v_div_fixup_f64 v[0:1], v[6:7], v[0:1], 1.0
	s_delay_alu instid0(VALU_DEP_1)
	v_mul_f64 v[46:47], v[4:5], -v[0:1]
.LBB123_141:
	s_or_b32 exec_lo, exec_lo, s3
	ds_store_2addr_b64 v255, v[0:1], v[46:47] offset1:1
.LBB123_142:
	s_or_b32 exec_lo, exec_lo, s4
	s_waitcnt lgkmcnt(0)
	s_barrier
	buffer_gl0_inv
	ds_load_2addr_b64 v[40:43], v255 offset1:1
	s_mov_b32 s3, exec_lo
	v_cmpx_lt_u32_e32 10, v252
	s_cbranch_execz .LBB123_145
; %bb.143:
	scratch_load_b128 v[49:52], off, off offset:160
	s_mov_b32 s4, 0
	s_waitcnt vmcnt(0) lgkmcnt(0)
	v_mul_f64 v[0:1], v[42:43], v[51:52]
	v_mul_f64 v[4:5], v[40:41], v[51:52]
	s_delay_alu instid0(VALU_DEP_2) | instskip(NEXT) | instid1(VALU_DEP_2)
	v_fma_f64 v[44:45], v[40:41], v[49:50], -v[0:1]
	v_fma_f64 v[46:47], v[42:43], v[49:50], v[4:5]
	v_mov_b32_e32 v0, 0
	scratch_store_b128 off, v[44:47], off offset:160
.LBB123_144:                            ; =>This Inner Loop Header: Depth=1
	v_add_nc_u32_e32 v1, s4, v48
	v_readfirstlane_b32 s5, v0
	ds_load_2addr_b64 v[49:52], v1 offset1:1
	s_add_i32 s5, s5, s4
	s_add_i32 s4, s4, 48
	;; [unrolled: 1-line block ×3, first 2 shown]
	s_waitcnt lgkmcnt(0)
	v_mul_f64 v[4:5], v[51:52], v[46:47]
	v_mul_f64 v[6:7], v[49:50], v[46:47]
	s_delay_alu instid0(VALU_DEP_2) | instskip(NEXT) | instid1(VALU_DEP_2)
	v_fma_f64 v[4:5], v[49:50], v[44:45], -v[4:5]
	v_fma_f64 v[6:7], v[51:52], v[44:45], v[6:7]
	scratch_load_b128 v[49:52], off, s6
	s_waitcnt vmcnt(0)
	v_add_f64 v[49:50], v[49:50], -v[4:5]
	v_add_f64 v[51:52], v[51:52], -v[6:7]
	scratch_store_b128 off, v[49:52], s6
	ds_load_2addr_b64 v[49:52], v1 offset0:2 offset1:3
	s_add_i32 s6, s5, 0xc0
	s_addk_i32 s5, 0xd0
	s_cmpk_lg_i32 s4, 0x330
	s_waitcnt lgkmcnt(0)
	v_mul_f64 v[4:5], v[51:52], v[46:47]
	v_mul_f64 v[6:7], v[49:50], v[46:47]
	s_delay_alu instid0(VALU_DEP_2) | instskip(NEXT) | instid1(VALU_DEP_2)
	v_fma_f64 v[4:5], v[49:50], v[44:45], -v[4:5]
	v_fma_f64 v[6:7], v[51:52], v[44:45], v[6:7]
	scratch_load_b128 v[49:52], off, s6
	s_waitcnt vmcnt(0)
	v_add_f64 v[49:50], v[49:50], -v[4:5]
	v_add_f64 v[51:52], v[51:52], -v[6:7]
	scratch_store_b128 off, v[49:52], s6
	ds_load_2addr_b64 v[49:52], v1 offset0:4 offset1:5
	s_waitcnt lgkmcnt(0)
	v_mul_f64 v[4:5], v[51:52], v[46:47]
	v_mul_f64 v[6:7], v[49:50], v[46:47]
	s_delay_alu instid0(VALU_DEP_2) | instskip(NEXT) | instid1(VALU_DEP_2)
	v_fma_f64 v[4:5], v[49:50], v[44:45], -v[4:5]
	v_fma_f64 v[6:7], v[51:52], v[44:45], v[6:7]
	scratch_load_b128 v[49:52], off, s5
	s_waitcnt vmcnt(0)
	v_add_f64 v[49:50], v[49:50], -v[4:5]
	v_add_f64 v[51:52], v[51:52], -v[6:7]
	scratch_store_b128 off, v[49:52], s5
	s_cbranch_scc1 .LBB123_144
.LBB123_145:
	s_or_b32 exec_lo, exec_lo, s3
	v_add3_u32 v52, v180, 0, 0xc0
	s_mov_b32 s4, exec_lo
	s_waitcnt lgkmcnt(0)
	s_waitcnt_vscnt null, 0x0
	s_barrier
	buffer_gl0_inv
	v_cmpx_eq_u32_e32 11, v252
	s_cbranch_execz .LBB123_154
; %bb.146:
	scratch_load_b128 v[44:47], v67, off
	v_mov_b32_e32 v0, 0
	s_movk_i32 s3, 0xfce0
	s_waitcnt vmcnt(0)
	ds_store_2addr_b64 v255, v[44:45], v[46:47] offset1:1
.LBB123_147:                            ; =>This Inner Loop Header: Depth=1
	v_readfirstlane_b32 s5, v0
	v_add_nc_u32_e32 v1, s3, v52
	s_delay_alu instid0(VALU_DEP_2)
	s_add_i32 s5, s5, s3
	s_addk_i32 s3, 0xa0
	s_add_i32 s6, s5, 0x3e0
	scratch_load_b128 v[44:47], off, s6
	s_add_i32 s6, s5, 0x3f0
	s_waitcnt vmcnt(0)
	ds_store_2addr_b64 v1, v[44:45], v[46:47] offset0:100 offset1:101
	scratch_load_b128 v[44:47], off, s6
	s_add_i32 s6, s5, 0x400
	s_waitcnt vmcnt(0)
	ds_store_2addr_b64 v1, v[44:45], v[46:47] offset0:102 offset1:103
	;; [unrolled: 4-line block ×7, first 2 shown]
	scratch_load_b128 v[44:47], off, s6
	s_add_i32 s6, s5, 0x460
	s_addk_i32 s5, 0x470
	s_cmp_lg_u32 s3, 0
	s_waitcnt vmcnt(0)
	ds_store_2addr_b64 v1, v[44:45], v[46:47] offset0:114 offset1:115
	scratch_load_b128 v[44:47], off, s6
	s_waitcnt vmcnt(0)
	ds_store_2addr_b64 v1, v[44:45], v[46:47] offset0:116 offset1:117
	scratch_load_b128 v[44:47], off, s5
	s_waitcnt vmcnt(0)
	ds_store_2addr_b64 v1, v[44:45], v[46:47] offset0:118 offset1:119
	s_cbranch_scc1 .LBB123_147
; %bb.148:
	ds_load_2addr_b64 v[44:47], v255 offset1:1
	s_waitcnt lgkmcnt(0)
	v_cmp_neq_f64_e32 vcc_lo, 0, v[44:45]
	v_cmp_neq_f64_e64 s3, 0, v[46:47]
	s_delay_alu instid0(VALU_DEP_1) | instskip(NEXT) | instid1(SALU_CYCLE_1)
	s_or_b32 s3, vcc_lo, s3
	s_and_b32 exec_lo, exec_lo, s3
	s_cbranch_execz .LBB123_154
; %bb.149:
	v_cmp_gt_f64_e32 vcc_lo, 0, v[44:45]
	v_cmp_gt_f64_e64 s3, 0, v[46:47]
	v_xor_b32_e32 v0, 0x80000000, v45
	v_xor_b32_e32 v4, 0x80000000, v47
	s_delay_alu instid0(VALU_DEP_2) | instskip(NEXT) | instid1(VALU_DEP_2)
	v_cndmask_b32_e32 v1, v45, v0, vcc_lo
	v_cndmask_b32_e64 v5, v47, v4, s3
	v_cndmask_b32_e32 v0, v44, v44, vcc_lo
	v_cndmask_b32_e64 v4, v46, v46, s3
	s_delay_alu instid0(VALU_DEP_1) | instskip(SKIP_1) | instid1(SALU_CYCLE_1)
	v_cmp_ngt_f64_e32 vcc_lo, v[0:1], v[4:5]
                                        ; implicit-def: $vgpr0_vgpr1
	s_and_saveexec_b32 s3, vcc_lo
	s_xor_b32 s3, exec_lo, s3
                                        ; implicit-def: $vgpr48_vgpr49_vgpr50_vgpr51
	s_cbranch_execz .LBB123_151
; %bb.150:
	v_div_scale_f64 v[0:1], null, v[46:47], v[46:47], v[44:45]
	v_div_scale_f64 v[48:49], vcc_lo, v[44:45], v[46:47], v[44:45]
	s_delay_alu instid0(VALU_DEP_2) | instskip(SKIP_2) | instid1(VALU_DEP_1)
	v_rcp_f64_e32 v[4:5], v[0:1]
	s_waitcnt_depctr 0xfff
	v_fma_f64 v[6:7], -v[0:1], v[4:5], 1.0
	v_fma_f64 v[4:5], v[4:5], v[6:7], v[4:5]
	s_delay_alu instid0(VALU_DEP_1) | instskip(NEXT) | instid1(VALU_DEP_1)
	v_fma_f64 v[6:7], -v[0:1], v[4:5], 1.0
	v_fma_f64 v[4:5], v[4:5], v[6:7], v[4:5]
	s_delay_alu instid0(VALU_DEP_1) | instskip(NEXT) | instid1(VALU_DEP_1)
	v_mul_f64 v[6:7], v[48:49], v[4:5]
	v_fma_f64 v[0:1], -v[0:1], v[6:7], v[48:49]
	s_delay_alu instid0(VALU_DEP_1) | instskip(NEXT) | instid1(VALU_DEP_1)
	v_div_fmas_f64 v[0:1], v[0:1], v[4:5], v[6:7]
	v_div_fixup_f64 v[0:1], v[0:1], v[46:47], v[44:45]
	s_delay_alu instid0(VALU_DEP_1) | instskip(NEXT) | instid1(VALU_DEP_1)
	v_fma_f64 v[4:5], v[44:45], v[0:1], v[46:47]
	v_div_scale_f64 v[6:7], null, v[4:5], v[4:5], 1.0
	s_delay_alu instid0(VALU_DEP_1) | instskip(SKIP_2) | instid1(VALU_DEP_1)
	v_rcp_f64_e32 v[44:45], v[6:7]
	s_waitcnt_depctr 0xfff
	v_fma_f64 v[46:47], -v[6:7], v[44:45], 1.0
	v_fma_f64 v[44:45], v[44:45], v[46:47], v[44:45]
	s_delay_alu instid0(VALU_DEP_1) | instskip(NEXT) | instid1(VALU_DEP_1)
	v_fma_f64 v[46:47], -v[6:7], v[44:45], 1.0
	v_fma_f64 v[44:45], v[44:45], v[46:47], v[44:45]
	v_div_scale_f64 v[46:47], vcc_lo, 1.0, v[4:5], 1.0
	s_delay_alu instid0(VALU_DEP_1) | instskip(NEXT) | instid1(VALU_DEP_1)
	v_mul_f64 v[48:49], v[46:47], v[44:45]
	v_fma_f64 v[6:7], -v[6:7], v[48:49], v[46:47]
	s_delay_alu instid0(VALU_DEP_1) | instskip(NEXT) | instid1(VALU_DEP_1)
	v_div_fmas_f64 v[6:7], v[6:7], v[44:45], v[48:49]
                                        ; implicit-def: $vgpr44_vgpr45
	v_div_fixup_f64 v[50:51], v[6:7], v[4:5], 1.0
	s_delay_alu instid0(VALU_DEP_1)
	v_mul_f64 v[0:1], v[0:1], v[50:51]
	v_xor_b32_e32 v51, 0x80000000, v51
.LBB123_151:
	s_and_not1_saveexec_b32 s3, s3
	s_cbranch_execz .LBB123_153
; %bb.152:
	v_div_scale_f64 v[0:1], null, v[44:45], v[44:45], v[46:47]
	v_div_scale_f64 v[48:49], vcc_lo, v[46:47], v[44:45], v[46:47]
	s_delay_alu instid0(VALU_DEP_2) | instskip(SKIP_2) | instid1(VALU_DEP_1)
	v_rcp_f64_e32 v[4:5], v[0:1]
	s_waitcnt_depctr 0xfff
	v_fma_f64 v[6:7], -v[0:1], v[4:5], 1.0
	v_fma_f64 v[4:5], v[4:5], v[6:7], v[4:5]
	s_delay_alu instid0(VALU_DEP_1) | instskip(NEXT) | instid1(VALU_DEP_1)
	v_fma_f64 v[6:7], -v[0:1], v[4:5], 1.0
	v_fma_f64 v[4:5], v[4:5], v[6:7], v[4:5]
	s_delay_alu instid0(VALU_DEP_1) | instskip(NEXT) | instid1(VALU_DEP_1)
	v_mul_f64 v[6:7], v[48:49], v[4:5]
	v_fma_f64 v[0:1], -v[0:1], v[6:7], v[48:49]
	s_delay_alu instid0(VALU_DEP_1) | instskip(NEXT) | instid1(VALU_DEP_1)
	v_div_fmas_f64 v[0:1], v[0:1], v[4:5], v[6:7]
	v_div_fixup_f64 v[4:5], v[0:1], v[44:45], v[46:47]
	s_delay_alu instid0(VALU_DEP_1) | instskip(NEXT) | instid1(VALU_DEP_1)
	v_fma_f64 v[0:1], v[46:47], v[4:5], v[44:45]
	v_div_scale_f64 v[6:7], null, v[0:1], v[0:1], 1.0
	s_delay_alu instid0(VALU_DEP_1) | instskip(SKIP_2) | instid1(VALU_DEP_1)
	v_rcp_f64_e32 v[44:45], v[6:7]
	s_waitcnt_depctr 0xfff
	v_fma_f64 v[46:47], -v[6:7], v[44:45], 1.0
	v_fma_f64 v[44:45], v[44:45], v[46:47], v[44:45]
	s_delay_alu instid0(VALU_DEP_1) | instskip(NEXT) | instid1(VALU_DEP_1)
	v_fma_f64 v[46:47], -v[6:7], v[44:45], 1.0
	v_fma_f64 v[44:45], v[44:45], v[46:47], v[44:45]
	v_div_scale_f64 v[46:47], vcc_lo, 1.0, v[0:1], 1.0
	s_delay_alu instid0(VALU_DEP_1) | instskip(NEXT) | instid1(VALU_DEP_1)
	v_mul_f64 v[48:49], v[46:47], v[44:45]
	v_fma_f64 v[6:7], -v[6:7], v[48:49], v[46:47]
	s_delay_alu instid0(VALU_DEP_1) | instskip(NEXT) | instid1(VALU_DEP_1)
	v_div_fmas_f64 v[6:7], v[6:7], v[44:45], v[48:49]
	v_div_fixup_f64 v[0:1], v[6:7], v[0:1], 1.0
	s_delay_alu instid0(VALU_DEP_1)
	v_mul_f64 v[50:51], v[4:5], -v[0:1]
.LBB123_153:
	s_or_b32 exec_lo, exec_lo, s3
	ds_store_2addr_b64 v255, v[0:1], v[50:51] offset1:1
.LBB123_154:
	s_or_b32 exec_lo, exec_lo, s4
	s_waitcnt lgkmcnt(0)
	s_barrier
	buffer_gl0_inv
	ds_load_2addr_b64 v[44:47], v255 offset1:1
	s_mov_b32 s3, exec_lo
	v_cmpx_lt_u32_e32 11, v252
	s_cbranch_execz .LBB123_157
; %bb.155:
	scratch_load_b128 v[53:56], off, off offset:176
	s_mov_b32 s4, 0
	s_waitcnt vmcnt(0) lgkmcnt(0)
	v_mul_f64 v[0:1], v[46:47], v[55:56]
	v_mul_f64 v[4:5], v[44:45], v[55:56]
	s_delay_alu instid0(VALU_DEP_2) | instskip(NEXT) | instid1(VALU_DEP_2)
	v_fma_f64 v[48:49], v[44:45], v[53:54], -v[0:1]
	v_fma_f64 v[50:51], v[46:47], v[53:54], v[4:5]
	v_mov_b32_e32 v0, 0
	scratch_store_b128 off, v[48:51], off offset:176
.LBB123_156:                            ; =>This Inner Loop Header: Depth=1
	v_add_nc_u32_e32 v1, s4, v52
	v_readfirstlane_b32 s5, v0
	ds_load_2addr_b64 v[53:56], v1 offset1:1
	s_add_i32 s5, s5, s4
	s_addk_i32 s4, 0x50
	s_add_i32 s6, s5, 0xc0
	s_waitcnt lgkmcnt(0)
	v_mul_f64 v[4:5], v[55:56], v[50:51]
	v_mul_f64 v[6:7], v[53:54], v[50:51]
	s_delay_alu instid0(VALU_DEP_2) | instskip(NEXT) | instid1(VALU_DEP_2)
	v_fma_f64 v[4:5], v[53:54], v[48:49], -v[4:5]
	v_fma_f64 v[6:7], v[55:56], v[48:49], v[6:7]
	scratch_load_b128 v[53:56], off, s6
	s_waitcnt vmcnt(0)
	v_add_f64 v[53:54], v[53:54], -v[4:5]
	v_add_f64 v[55:56], v[55:56], -v[6:7]
	scratch_store_b128 off, v[53:56], s6
	ds_load_2addr_b64 v[53:56], v1 offset0:2 offset1:3
	s_add_i32 s6, s5, 0xd0
	s_waitcnt lgkmcnt(0)
	v_mul_f64 v[4:5], v[55:56], v[50:51]
	v_mul_f64 v[6:7], v[53:54], v[50:51]
	s_delay_alu instid0(VALU_DEP_2) | instskip(NEXT) | instid1(VALU_DEP_2)
	v_fma_f64 v[4:5], v[53:54], v[48:49], -v[4:5]
	v_fma_f64 v[6:7], v[55:56], v[48:49], v[6:7]
	scratch_load_b128 v[53:56], off, s6
	s_waitcnt vmcnt(0)
	v_add_f64 v[53:54], v[53:54], -v[4:5]
	v_add_f64 v[55:56], v[55:56], -v[6:7]
	scratch_store_b128 off, v[53:56], s6
	ds_load_2addr_b64 v[53:56], v1 offset0:4 offset1:5
	;; [unrolled: 13-line block ×3, first 2 shown]
	s_add_i32 s6, s5, 0xf0
	s_addk_i32 s5, 0x100
	s_cmpk_lg_i32 s4, 0x320
	s_waitcnt lgkmcnt(0)
	v_mul_f64 v[4:5], v[55:56], v[50:51]
	v_mul_f64 v[6:7], v[53:54], v[50:51]
	s_delay_alu instid0(VALU_DEP_2) | instskip(NEXT) | instid1(VALU_DEP_2)
	v_fma_f64 v[4:5], v[53:54], v[48:49], -v[4:5]
	v_fma_f64 v[6:7], v[55:56], v[48:49], v[6:7]
	scratch_load_b128 v[53:56], off, s6
	s_waitcnt vmcnt(0)
	v_add_f64 v[53:54], v[53:54], -v[4:5]
	v_add_f64 v[55:56], v[55:56], -v[6:7]
	scratch_store_b128 off, v[53:56], s6
	ds_load_2addr_b64 v[53:56], v1 offset0:8 offset1:9
	s_waitcnt lgkmcnt(0)
	v_mul_f64 v[4:5], v[55:56], v[50:51]
	v_mul_f64 v[6:7], v[53:54], v[50:51]
	s_delay_alu instid0(VALU_DEP_2) | instskip(NEXT) | instid1(VALU_DEP_2)
	v_fma_f64 v[4:5], v[53:54], v[48:49], -v[4:5]
	v_fma_f64 v[6:7], v[55:56], v[48:49], v[6:7]
	scratch_load_b128 v[53:56], off, s5
	s_waitcnt vmcnt(0)
	v_add_f64 v[53:54], v[53:54], -v[4:5]
	v_add_f64 v[55:56], v[55:56], -v[6:7]
	scratch_store_b128 off, v[53:56], s5
	s_cbranch_scc1 .LBB123_156
.LBB123_157:
	s_or_b32 exec_lo, exec_lo, s3
	v_add3_u32 v56, v180, 0, 0xd0
	s_mov_b32 s4, exec_lo
	s_waitcnt lgkmcnt(0)
	s_waitcnt_vscnt null, 0x0
	s_barrier
	buffer_gl0_inv
	v_cmpx_eq_u32_e32 12, v252
	s_cbranch_execz .LBB123_166
; %bb.158:
	scratch_load_b128 v[48:51], v66, off
	v_mov_b32_e32 v0, 0
	s_movk_i32 s3, 0xfcf0
	s_waitcnt vmcnt(0)
	ds_store_2addr_b64 v255, v[48:49], v[50:51] offset1:1
	s_set_inst_prefetch_distance 0x1
	.p2align	6
.LBB123_159:                            ; =>This Inner Loop Header: Depth=1
	v_readfirstlane_b32 s5, v0
	v_add_nc_u32_e32 v1, s3, v56
	s_delay_alu instid0(VALU_DEP_2)
	s_add_i32 s5, s5, s3
	s_addk_i32 s3, 0x70
	s_add_i32 s6, s5, 0x3e0
	scratch_load_b128 v[48:51], off, s6
	s_add_i32 s6, s5, 0x3f0
	s_waitcnt vmcnt(0)
	ds_store_2addr_b64 v1, v[48:49], v[50:51] offset0:98 offset1:99
	scratch_load_b128 v[48:51], off, s6
	s_add_i32 s6, s5, 0x400
	s_waitcnt vmcnt(0)
	ds_store_2addr_b64 v1, v[48:49], v[50:51] offset0:100 offset1:101
	;; [unrolled: 4-line block ×4, first 2 shown]
	scratch_load_b128 v[48:51], off, s6
	s_add_i32 s6, s5, 0x430
	s_addk_i32 s5, 0x440
	s_cmp_lg_u32 s3, 0
	s_waitcnt vmcnt(0)
	ds_store_2addr_b64 v1, v[48:49], v[50:51] offset0:106 offset1:107
	scratch_load_b128 v[48:51], off, s6
	s_waitcnt vmcnt(0)
	ds_store_2addr_b64 v1, v[48:49], v[50:51] offset0:108 offset1:109
	scratch_load_b128 v[48:51], off, s5
	s_waitcnt vmcnt(0)
	ds_store_2addr_b64 v1, v[48:49], v[50:51] offset0:110 offset1:111
	s_cbranch_scc1 .LBB123_159
; %bb.160:
	s_set_inst_prefetch_distance 0x2
	ds_load_2addr_b64 v[48:51], v255 offset1:1
	s_waitcnt lgkmcnt(0)
	v_cmp_neq_f64_e32 vcc_lo, 0, v[48:49]
	v_cmp_neq_f64_e64 s3, 0, v[50:51]
	s_delay_alu instid0(VALU_DEP_1) | instskip(NEXT) | instid1(SALU_CYCLE_1)
	s_or_b32 s3, vcc_lo, s3
	s_and_b32 exec_lo, exec_lo, s3
	s_cbranch_execz .LBB123_166
; %bb.161:
	v_cmp_gt_f64_e32 vcc_lo, 0, v[48:49]
	v_cmp_gt_f64_e64 s3, 0, v[50:51]
	v_xor_b32_e32 v0, 0x80000000, v49
	v_xor_b32_e32 v4, 0x80000000, v51
	s_delay_alu instid0(VALU_DEP_2) | instskip(NEXT) | instid1(VALU_DEP_2)
	v_cndmask_b32_e32 v1, v49, v0, vcc_lo
	v_cndmask_b32_e64 v5, v51, v4, s3
	v_cndmask_b32_e32 v0, v48, v48, vcc_lo
	v_cndmask_b32_e64 v4, v50, v50, s3
	s_delay_alu instid0(VALU_DEP_1) | instskip(SKIP_1) | instid1(SALU_CYCLE_1)
	v_cmp_ngt_f64_e32 vcc_lo, v[0:1], v[4:5]
                                        ; implicit-def: $vgpr0_vgpr1
	s_and_saveexec_b32 s3, vcc_lo
	s_xor_b32 s3, exec_lo, s3
                                        ; implicit-def: $vgpr52_vgpr53_vgpr54_vgpr55
	s_cbranch_execz .LBB123_163
; %bb.162:
	v_div_scale_f64 v[0:1], null, v[50:51], v[50:51], v[48:49]
	v_div_scale_f64 v[52:53], vcc_lo, v[48:49], v[50:51], v[48:49]
	s_delay_alu instid0(VALU_DEP_2) | instskip(SKIP_2) | instid1(VALU_DEP_1)
	v_rcp_f64_e32 v[4:5], v[0:1]
	s_waitcnt_depctr 0xfff
	v_fma_f64 v[6:7], -v[0:1], v[4:5], 1.0
	v_fma_f64 v[4:5], v[4:5], v[6:7], v[4:5]
	s_delay_alu instid0(VALU_DEP_1) | instskip(NEXT) | instid1(VALU_DEP_1)
	v_fma_f64 v[6:7], -v[0:1], v[4:5], 1.0
	v_fma_f64 v[4:5], v[4:5], v[6:7], v[4:5]
	s_delay_alu instid0(VALU_DEP_1) | instskip(NEXT) | instid1(VALU_DEP_1)
	v_mul_f64 v[6:7], v[52:53], v[4:5]
	v_fma_f64 v[0:1], -v[0:1], v[6:7], v[52:53]
	s_delay_alu instid0(VALU_DEP_1) | instskip(NEXT) | instid1(VALU_DEP_1)
	v_div_fmas_f64 v[0:1], v[0:1], v[4:5], v[6:7]
	v_div_fixup_f64 v[0:1], v[0:1], v[50:51], v[48:49]
	s_delay_alu instid0(VALU_DEP_1) | instskip(NEXT) | instid1(VALU_DEP_1)
	v_fma_f64 v[4:5], v[48:49], v[0:1], v[50:51]
	v_div_scale_f64 v[6:7], null, v[4:5], v[4:5], 1.0
	s_delay_alu instid0(VALU_DEP_1) | instskip(SKIP_2) | instid1(VALU_DEP_1)
	v_rcp_f64_e32 v[48:49], v[6:7]
	s_waitcnt_depctr 0xfff
	v_fma_f64 v[50:51], -v[6:7], v[48:49], 1.0
	v_fma_f64 v[48:49], v[48:49], v[50:51], v[48:49]
	s_delay_alu instid0(VALU_DEP_1) | instskip(NEXT) | instid1(VALU_DEP_1)
	v_fma_f64 v[50:51], -v[6:7], v[48:49], 1.0
	v_fma_f64 v[48:49], v[48:49], v[50:51], v[48:49]
	v_div_scale_f64 v[50:51], vcc_lo, 1.0, v[4:5], 1.0
	s_delay_alu instid0(VALU_DEP_1) | instskip(NEXT) | instid1(VALU_DEP_1)
	v_mul_f64 v[52:53], v[50:51], v[48:49]
	v_fma_f64 v[6:7], -v[6:7], v[52:53], v[50:51]
	s_delay_alu instid0(VALU_DEP_1) | instskip(NEXT) | instid1(VALU_DEP_1)
	v_div_fmas_f64 v[6:7], v[6:7], v[48:49], v[52:53]
                                        ; implicit-def: $vgpr48_vgpr49
	v_div_fixup_f64 v[54:55], v[6:7], v[4:5], 1.0
	s_delay_alu instid0(VALU_DEP_1)
	v_mul_f64 v[0:1], v[0:1], v[54:55]
	v_xor_b32_e32 v55, 0x80000000, v55
.LBB123_163:
	s_and_not1_saveexec_b32 s3, s3
	s_cbranch_execz .LBB123_165
; %bb.164:
	v_div_scale_f64 v[0:1], null, v[48:49], v[48:49], v[50:51]
	v_div_scale_f64 v[52:53], vcc_lo, v[50:51], v[48:49], v[50:51]
	s_delay_alu instid0(VALU_DEP_2) | instskip(SKIP_2) | instid1(VALU_DEP_1)
	v_rcp_f64_e32 v[4:5], v[0:1]
	s_waitcnt_depctr 0xfff
	v_fma_f64 v[6:7], -v[0:1], v[4:5], 1.0
	v_fma_f64 v[4:5], v[4:5], v[6:7], v[4:5]
	s_delay_alu instid0(VALU_DEP_1) | instskip(NEXT) | instid1(VALU_DEP_1)
	v_fma_f64 v[6:7], -v[0:1], v[4:5], 1.0
	v_fma_f64 v[4:5], v[4:5], v[6:7], v[4:5]
	s_delay_alu instid0(VALU_DEP_1) | instskip(NEXT) | instid1(VALU_DEP_1)
	v_mul_f64 v[6:7], v[52:53], v[4:5]
	v_fma_f64 v[0:1], -v[0:1], v[6:7], v[52:53]
	s_delay_alu instid0(VALU_DEP_1) | instskip(NEXT) | instid1(VALU_DEP_1)
	v_div_fmas_f64 v[0:1], v[0:1], v[4:5], v[6:7]
	v_div_fixup_f64 v[4:5], v[0:1], v[48:49], v[50:51]
	s_delay_alu instid0(VALU_DEP_1) | instskip(NEXT) | instid1(VALU_DEP_1)
	v_fma_f64 v[0:1], v[50:51], v[4:5], v[48:49]
	v_div_scale_f64 v[6:7], null, v[0:1], v[0:1], 1.0
	s_delay_alu instid0(VALU_DEP_1) | instskip(SKIP_2) | instid1(VALU_DEP_1)
	v_rcp_f64_e32 v[48:49], v[6:7]
	s_waitcnt_depctr 0xfff
	v_fma_f64 v[50:51], -v[6:7], v[48:49], 1.0
	v_fma_f64 v[48:49], v[48:49], v[50:51], v[48:49]
	s_delay_alu instid0(VALU_DEP_1) | instskip(NEXT) | instid1(VALU_DEP_1)
	v_fma_f64 v[50:51], -v[6:7], v[48:49], 1.0
	v_fma_f64 v[48:49], v[48:49], v[50:51], v[48:49]
	v_div_scale_f64 v[50:51], vcc_lo, 1.0, v[0:1], 1.0
	s_delay_alu instid0(VALU_DEP_1) | instskip(NEXT) | instid1(VALU_DEP_1)
	v_mul_f64 v[52:53], v[50:51], v[48:49]
	v_fma_f64 v[6:7], -v[6:7], v[52:53], v[50:51]
	s_delay_alu instid0(VALU_DEP_1) | instskip(NEXT) | instid1(VALU_DEP_1)
	v_div_fmas_f64 v[6:7], v[6:7], v[48:49], v[52:53]
	v_div_fixup_f64 v[0:1], v[6:7], v[0:1], 1.0
	s_delay_alu instid0(VALU_DEP_1)
	v_mul_f64 v[54:55], v[4:5], -v[0:1]
.LBB123_165:
	s_or_b32 exec_lo, exec_lo, s3
	ds_store_2addr_b64 v255, v[0:1], v[54:55] offset1:1
.LBB123_166:
	s_or_b32 exec_lo, exec_lo, s4
	scratch_store_b128 off, v[58:61], off offset:1716 ; 16-byte Folded Spill
	s_waitcnt lgkmcnt(0)
	s_waitcnt_vscnt null, 0x0
	s_barrier
	buffer_gl0_inv
	ds_load_2addr_b64 v[48:51], v255 offset1:1
	s_mov_b32 s3, exec_lo
	v_cmpx_lt_u32_e32 12, v252
	s_cbranch_execz .LBB123_169
; %bb.167:
	scratch_load_b128 v[57:60], off, off offset:192
	s_mov_b32 s4, 0
	s_waitcnt vmcnt(0) lgkmcnt(0)
	v_mul_f64 v[0:1], v[50:51], v[59:60]
	v_mul_f64 v[4:5], v[48:49], v[59:60]
	s_delay_alu instid0(VALU_DEP_2) | instskip(NEXT) | instid1(VALU_DEP_2)
	v_fma_f64 v[52:53], v[48:49], v[57:58], -v[0:1]
	v_fma_f64 v[54:55], v[50:51], v[57:58], v[4:5]
	v_mov_b32_e32 v0, 0
	scratch_store_b128 off, v[52:55], off offset:192
.LBB123_168:                            ; =>This Inner Loop Header: Depth=1
	v_add_nc_u32_e32 v1, s4, v56
	v_readfirstlane_b32 s5, v0
	ds_load_2addr_b64 v[57:60], v1 offset1:1
	s_add_i32 s5, s5, s4
	s_addk_i32 s4, 0x70
	s_add_i32 s6, s5, 0xd0
	s_waitcnt lgkmcnt(0)
	v_mul_f64 v[4:5], v[59:60], v[54:55]
	v_mul_f64 v[6:7], v[57:58], v[54:55]
	s_delay_alu instid0(VALU_DEP_2) | instskip(NEXT) | instid1(VALU_DEP_2)
	v_fma_f64 v[4:5], v[57:58], v[52:53], -v[4:5]
	v_fma_f64 v[6:7], v[59:60], v[52:53], v[6:7]
	scratch_load_b128 v[57:60], off, s6
	s_waitcnt vmcnt(0)
	v_add_f64 v[57:58], v[57:58], -v[4:5]
	v_add_f64 v[59:60], v[59:60], -v[6:7]
	scratch_store_b128 off, v[57:60], s6
	ds_load_2addr_b64 v[57:60], v1 offset0:2 offset1:3
	s_add_i32 s6, s5, 0xe0
	s_waitcnt lgkmcnt(0)
	v_mul_f64 v[4:5], v[59:60], v[54:55]
	v_mul_f64 v[6:7], v[57:58], v[54:55]
	s_delay_alu instid0(VALU_DEP_2) | instskip(NEXT) | instid1(VALU_DEP_2)
	v_fma_f64 v[4:5], v[57:58], v[52:53], -v[4:5]
	v_fma_f64 v[6:7], v[59:60], v[52:53], v[6:7]
	scratch_load_b128 v[57:60], off, s6
	s_waitcnt vmcnt(0)
	v_add_f64 v[57:58], v[57:58], -v[4:5]
	v_add_f64 v[59:60], v[59:60], -v[6:7]
	scratch_store_b128 off, v[57:60], s6
	ds_load_2addr_b64 v[57:60], v1 offset0:4 offset1:5
	;; [unrolled: 13-line block ×5, first 2 shown]
	s_add_i32 s6, s5, 0x120
	s_addk_i32 s5, 0x130
	s_cmpk_lg_i32 s4, 0x310
	s_waitcnt lgkmcnt(0)
	v_mul_f64 v[4:5], v[59:60], v[54:55]
	v_mul_f64 v[6:7], v[57:58], v[54:55]
	s_delay_alu instid0(VALU_DEP_2) | instskip(NEXT) | instid1(VALU_DEP_2)
	v_fma_f64 v[4:5], v[57:58], v[52:53], -v[4:5]
	v_fma_f64 v[6:7], v[59:60], v[52:53], v[6:7]
	scratch_load_b128 v[52:55], off, s6
	ds_load_2addr_b64 v[57:60], v1 offset0:12 offset1:13
	s_waitcnt vmcnt(0)
	v_add_f64 v[52:53], v[52:53], -v[4:5]
	v_add_f64 v[54:55], v[54:55], -v[6:7]
	scratch_store_b128 off, v[52:55], s6
	scratch_load_b128 v[52:55], off, off offset:192
	s_waitcnt vmcnt(0) lgkmcnt(0)
	v_mul_f64 v[4:5], v[59:60], v[54:55]
	v_mul_f64 v[6:7], v[57:58], v[54:55]
	s_delay_alu instid0(VALU_DEP_2) | instskip(NEXT) | instid1(VALU_DEP_2)
	v_fma_f64 v[4:5], v[57:58], v[52:53], -v[4:5]
	v_fma_f64 v[6:7], v[59:60], v[52:53], v[6:7]
	scratch_load_b128 v[57:60], off, s5
	s_waitcnt vmcnt(0)
	v_add_f64 v[57:58], v[57:58], -v[4:5]
	v_add_f64 v[59:60], v[59:60], -v[6:7]
	scratch_store_b128 off, v[57:60], s5
	s_cbranch_scc1 .LBB123_168
.LBB123_169:
	s_or_b32 exec_lo, exec_lo, s3
	v_add3_u32 v60, v180, 0, 0xe0
	s_mov_b32 s4, exec_lo
	s_waitcnt lgkmcnt(0)
	s_waitcnt_vscnt null, 0x0
	s_barrier
	buffer_gl0_inv
	v_cmpx_eq_u32_e32 13, v252
	s_cbranch_execz .LBB123_178
; %bb.170:
	scratch_load_b128 v[52:55], v65, off
	v_mov_b32_e32 v0, 0
	s_movk_i32 s3, 0xfd00
	s_waitcnt vmcnt(0)
	ds_store_2addr_b64 v255, v[52:53], v[54:55] offset1:1
.LBB123_171:                            ; =>This Inner Loop Header: Depth=1
	v_readfirstlane_b32 s5, v0
	v_add_nc_u32_e32 v1, s3, v60
	s_delay_alu instid0(VALU_DEP_2)
	s_add_i32 s5, s5, s3
	s_addk_i32 s3, 0x100
	s_add_i32 s6, s5, 0x3e0
	scratch_load_b128 v[52:55], off, s6
	s_add_i32 s6, s5, 0x3f0
	s_waitcnt vmcnt(0)
	ds_store_2addr_b64 v1, v[52:53], v[54:55] offset0:96 offset1:97
	scratch_load_b128 v[52:55], off, s6
	s_add_i32 s6, s5, 0x400
	s_waitcnt vmcnt(0)
	ds_store_2addr_b64 v1, v[52:53], v[54:55] offset0:98 offset1:99
	;; [unrolled: 4-line block ×13, first 2 shown]
	scratch_load_b128 v[52:55], off, s6
	s_add_i32 s6, s5, 0x4c0
	s_addk_i32 s5, 0x4d0
	s_cmp_lg_u32 s3, 0
	s_waitcnt vmcnt(0)
	ds_store_2addr_b64 v1, v[52:53], v[54:55] offset0:122 offset1:123
	scratch_load_b128 v[52:55], off, s6
	s_waitcnt vmcnt(0)
	ds_store_2addr_b64 v1, v[52:53], v[54:55] offset0:124 offset1:125
	scratch_load_b128 v[52:55], off, s5
	s_waitcnt vmcnt(0)
	ds_store_2addr_b64 v1, v[52:53], v[54:55] offset0:126 offset1:127
	s_cbranch_scc1 .LBB123_171
; %bb.172:
	ds_load_2addr_b64 v[52:55], v255 offset1:1
	s_waitcnt lgkmcnt(0)
	v_cmp_neq_f64_e32 vcc_lo, 0, v[52:53]
	v_cmp_neq_f64_e64 s3, 0, v[54:55]
	s_delay_alu instid0(VALU_DEP_1) | instskip(NEXT) | instid1(SALU_CYCLE_1)
	s_or_b32 s3, vcc_lo, s3
	s_and_b32 exec_lo, exec_lo, s3
	s_cbranch_execz .LBB123_178
; %bb.173:
	v_cmp_gt_f64_e32 vcc_lo, 0, v[52:53]
	v_cmp_gt_f64_e64 s3, 0, v[54:55]
	v_xor_b32_e32 v0, 0x80000000, v53
	v_xor_b32_e32 v4, 0x80000000, v55
	s_delay_alu instid0(VALU_DEP_2) | instskip(NEXT) | instid1(VALU_DEP_2)
	v_cndmask_b32_e32 v1, v53, v0, vcc_lo
	v_cndmask_b32_e64 v5, v55, v4, s3
	v_cndmask_b32_e32 v0, v52, v52, vcc_lo
	v_cndmask_b32_e64 v4, v54, v54, s3
	s_delay_alu instid0(VALU_DEP_1) | instskip(SKIP_1) | instid1(SALU_CYCLE_1)
	v_cmp_ngt_f64_e32 vcc_lo, v[0:1], v[4:5]
                                        ; implicit-def: $vgpr0_vgpr1
	s_and_saveexec_b32 s3, vcc_lo
	s_xor_b32 s3, exec_lo, s3
                                        ; implicit-def: $vgpr56_vgpr57_vgpr58_vgpr59
	s_cbranch_execz .LBB123_175
; %bb.174:
	v_div_scale_f64 v[0:1], null, v[54:55], v[54:55], v[52:53]
	v_div_scale_f64 v[56:57], vcc_lo, v[52:53], v[54:55], v[52:53]
	s_delay_alu instid0(VALU_DEP_2) | instskip(SKIP_2) | instid1(VALU_DEP_1)
	v_rcp_f64_e32 v[4:5], v[0:1]
	s_waitcnt_depctr 0xfff
	v_fma_f64 v[6:7], -v[0:1], v[4:5], 1.0
	v_fma_f64 v[4:5], v[4:5], v[6:7], v[4:5]
	s_delay_alu instid0(VALU_DEP_1) | instskip(NEXT) | instid1(VALU_DEP_1)
	v_fma_f64 v[6:7], -v[0:1], v[4:5], 1.0
	v_fma_f64 v[4:5], v[4:5], v[6:7], v[4:5]
	s_delay_alu instid0(VALU_DEP_1) | instskip(NEXT) | instid1(VALU_DEP_1)
	v_mul_f64 v[6:7], v[56:57], v[4:5]
	v_fma_f64 v[0:1], -v[0:1], v[6:7], v[56:57]
	s_delay_alu instid0(VALU_DEP_1) | instskip(NEXT) | instid1(VALU_DEP_1)
	v_div_fmas_f64 v[0:1], v[0:1], v[4:5], v[6:7]
	v_div_fixup_f64 v[0:1], v[0:1], v[54:55], v[52:53]
	s_delay_alu instid0(VALU_DEP_1) | instskip(NEXT) | instid1(VALU_DEP_1)
	v_fma_f64 v[4:5], v[52:53], v[0:1], v[54:55]
	v_div_scale_f64 v[6:7], null, v[4:5], v[4:5], 1.0
	s_delay_alu instid0(VALU_DEP_1) | instskip(SKIP_2) | instid1(VALU_DEP_1)
	v_rcp_f64_e32 v[52:53], v[6:7]
	s_waitcnt_depctr 0xfff
	v_fma_f64 v[54:55], -v[6:7], v[52:53], 1.0
	v_fma_f64 v[52:53], v[52:53], v[54:55], v[52:53]
	s_delay_alu instid0(VALU_DEP_1) | instskip(NEXT) | instid1(VALU_DEP_1)
	v_fma_f64 v[54:55], -v[6:7], v[52:53], 1.0
	v_fma_f64 v[52:53], v[52:53], v[54:55], v[52:53]
	v_div_scale_f64 v[54:55], vcc_lo, 1.0, v[4:5], 1.0
	s_delay_alu instid0(VALU_DEP_1) | instskip(NEXT) | instid1(VALU_DEP_1)
	v_mul_f64 v[56:57], v[54:55], v[52:53]
	v_fma_f64 v[6:7], -v[6:7], v[56:57], v[54:55]
	s_delay_alu instid0(VALU_DEP_1) | instskip(NEXT) | instid1(VALU_DEP_1)
	v_div_fmas_f64 v[6:7], v[6:7], v[52:53], v[56:57]
                                        ; implicit-def: $vgpr52_vgpr53
	v_div_fixup_f64 v[58:59], v[6:7], v[4:5], 1.0
	s_delay_alu instid0(VALU_DEP_1)
	v_mul_f64 v[0:1], v[0:1], v[58:59]
	v_xor_b32_e32 v59, 0x80000000, v59
.LBB123_175:
	s_and_not1_saveexec_b32 s3, s3
	s_cbranch_execz .LBB123_177
; %bb.176:
	v_div_scale_f64 v[0:1], null, v[52:53], v[52:53], v[54:55]
	v_div_scale_f64 v[56:57], vcc_lo, v[54:55], v[52:53], v[54:55]
	s_delay_alu instid0(VALU_DEP_2) | instskip(SKIP_2) | instid1(VALU_DEP_1)
	v_rcp_f64_e32 v[4:5], v[0:1]
	s_waitcnt_depctr 0xfff
	v_fma_f64 v[6:7], -v[0:1], v[4:5], 1.0
	v_fma_f64 v[4:5], v[4:5], v[6:7], v[4:5]
	s_delay_alu instid0(VALU_DEP_1) | instskip(NEXT) | instid1(VALU_DEP_1)
	v_fma_f64 v[6:7], -v[0:1], v[4:5], 1.0
	v_fma_f64 v[4:5], v[4:5], v[6:7], v[4:5]
	s_delay_alu instid0(VALU_DEP_1) | instskip(NEXT) | instid1(VALU_DEP_1)
	v_mul_f64 v[6:7], v[56:57], v[4:5]
	v_fma_f64 v[0:1], -v[0:1], v[6:7], v[56:57]
	s_delay_alu instid0(VALU_DEP_1) | instskip(NEXT) | instid1(VALU_DEP_1)
	v_div_fmas_f64 v[0:1], v[0:1], v[4:5], v[6:7]
	v_div_fixup_f64 v[4:5], v[0:1], v[52:53], v[54:55]
	s_delay_alu instid0(VALU_DEP_1) | instskip(NEXT) | instid1(VALU_DEP_1)
	v_fma_f64 v[0:1], v[54:55], v[4:5], v[52:53]
	v_div_scale_f64 v[6:7], null, v[0:1], v[0:1], 1.0
	s_delay_alu instid0(VALU_DEP_1) | instskip(SKIP_2) | instid1(VALU_DEP_1)
	v_rcp_f64_e32 v[52:53], v[6:7]
	s_waitcnt_depctr 0xfff
	v_fma_f64 v[54:55], -v[6:7], v[52:53], 1.0
	v_fma_f64 v[52:53], v[52:53], v[54:55], v[52:53]
	s_delay_alu instid0(VALU_DEP_1) | instskip(NEXT) | instid1(VALU_DEP_1)
	v_fma_f64 v[54:55], -v[6:7], v[52:53], 1.0
	v_fma_f64 v[52:53], v[52:53], v[54:55], v[52:53]
	v_div_scale_f64 v[54:55], vcc_lo, 1.0, v[0:1], 1.0
	s_delay_alu instid0(VALU_DEP_1) | instskip(NEXT) | instid1(VALU_DEP_1)
	v_mul_f64 v[56:57], v[54:55], v[52:53]
	v_fma_f64 v[6:7], -v[6:7], v[56:57], v[54:55]
	s_delay_alu instid0(VALU_DEP_1) | instskip(NEXT) | instid1(VALU_DEP_1)
	v_div_fmas_f64 v[6:7], v[6:7], v[52:53], v[56:57]
	v_div_fixup_f64 v[0:1], v[6:7], v[0:1], 1.0
	s_delay_alu instid0(VALU_DEP_1)
	v_mul_f64 v[58:59], v[4:5], -v[0:1]
.LBB123_177:
	s_or_b32 exec_lo, exec_lo, s3
	ds_store_2addr_b64 v255, v[0:1], v[58:59] offset1:1
.LBB123_178:
	s_or_b32 exec_lo, exec_lo, s4
	s_waitcnt lgkmcnt(0)
	s_barrier
	buffer_gl0_inv
	ds_load_2addr_b64 v[52:55], v255 offset1:1
	s_mov_b32 s3, exec_lo
	v_cmpx_lt_u32_e32 13, v252
	s_cbranch_execz .LBB123_181
; %bb.179:
	scratch_load_b128 v[61:64], off, off offset:208
	s_mov_b32 s4, 0
	s_waitcnt vmcnt(0) lgkmcnt(0)
	v_mul_f64 v[0:1], v[54:55], v[63:64]
	v_mul_f64 v[4:5], v[52:53], v[63:64]
	s_delay_alu instid0(VALU_DEP_2) | instskip(NEXT) | instid1(VALU_DEP_2)
	v_fma_f64 v[56:57], v[52:53], v[61:62], -v[0:1]
	v_fma_f64 v[58:59], v[54:55], v[61:62], v[4:5]
	v_mov_b32_e32 v0, 0
	scratch_store_b128 off, v[56:59], off offset:208
.LBB123_180:                            ; =>This Inner Loop Header: Depth=1
	v_add_nc_u32_e32 v1, s4, v60
	v_readfirstlane_b32 s5, v0
	ds_load_2addr_b64 v[61:64], v1 offset1:1
	s_add_i32 s5, s5, s4
	s_addk_i32 s4, 0x60
	s_add_i32 s6, s5, 0xe0
	s_waitcnt lgkmcnt(0)
	v_mul_f64 v[4:5], v[63:64], v[58:59]
	v_mul_f64 v[6:7], v[61:62], v[58:59]
	s_delay_alu instid0(VALU_DEP_2) | instskip(NEXT) | instid1(VALU_DEP_2)
	v_fma_f64 v[4:5], v[61:62], v[56:57], -v[4:5]
	v_fma_f64 v[6:7], v[63:64], v[56:57], v[6:7]
	scratch_load_b128 v[61:64], off, s6
	s_waitcnt vmcnt(0)
	v_add_f64 v[61:62], v[61:62], -v[4:5]
	v_add_f64 v[63:64], v[63:64], -v[6:7]
	scratch_store_b128 off, v[61:64], s6
	ds_load_2addr_b64 v[61:64], v1 offset0:2 offset1:3
	s_add_i32 s6, s5, 0xf0
	s_waitcnt lgkmcnt(0)
	v_mul_f64 v[4:5], v[63:64], v[58:59]
	v_mul_f64 v[6:7], v[61:62], v[58:59]
	s_delay_alu instid0(VALU_DEP_2) | instskip(NEXT) | instid1(VALU_DEP_2)
	v_fma_f64 v[4:5], v[61:62], v[56:57], -v[4:5]
	v_fma_f64 v[6:7], v[63:64], v[56:57], v[6:7]
	scratch_load_b128 v[61:64], off, s6
	s_waitcnt vmcnt(0)
	v_add_f64 v[61:62], v[61:62], -v[4:5]
	v_add_f64 v[63:64], v[63:64], -v[6:7]
	scratch_store_b128 off, v[61:64], s6
	ds_load_2addr_b64 v[61:64], v1 offset0:4 offset1:5
	;; [unrolled: 13-line block ×4, first 2 shown]
	s_add_i32 s6, s5, 0x120
	s_addk_i32 s5, 0x130
	s_cmpk_lg_i32 s4, 0x300
	s_waitcnt lgkmcnt(0)
	v_mul_f64 v[4:5], v[63:64], v[58:59]
	v_mul_f64 v[6:7], v[61:62], v[58:59]
	s_delay_alu instid0(VALU_DEP_2) | instskip(NEXT) | instid1(VALU_DEP_2)
	v_fma_f64 v[4:5], v[61:62], v[56:57], -v[4:5]
	v_fma_f64 v[6:7], v[63:64], v[56:57], v[6:7]
	scratch_load_b128 v[61:64], off, s6
	s_waitcnt vmcnt(0)
	v_add_f64 v[61:62], v[61:62], -v[4:5]
	v_add_f64 v[63:64], v[63:64], -v[6:7]
	scratch_store_b128 off, v[61:64], s6
	ds_load_2addr_b64 v[61:64], v1 offset0:10 offset1:11
	s_waitcnt lgkmcnt(0)
	v_mul_f64 v[4:5], v[63:64], v[58:59]
	v_mul_f64 v[6:7], v[61:62], v[58:59]
	s_delay_alu instid0(VALU_DEP_2) | instskip(NEXT) | instid1(VALU_DEP_2)
	v_fma_f64 v[4:5], v[61:62], v[56:57], -v[4:5]
	v_fma_f64 v[6:7], v[63:64], v[56:57], v[6:7]
	scratch_load_b128 v[61:64], off, s5
	s_waitcnt vmcnt(0)
	v_add_f64 v[61:62], v[61:62], -v[4:5]
	v_add_f64 v[63:64], v[63:64], -v[6:7]
	scratch_store_b128 off, v[61:64], s5
	s_cbranch_scc1 .LBB123_180
.LBB123_181:
	s_or_b32 exec_lo, exec_lo, s3
	v_dual_mov_b32 v10, v74 :: v_dual_mov_b32 v9, v65
	v_add_nc_u32_e32 v248, 0, v180
	s_mov_b32 s4, exec_lo
	s_clause 0x7
	scratch_store_b32 off, v73, off offset:1688
	scratch_store_b32 off, v72, off offset:1684
	;; [unrolled: 1-line block ×8, first 2 shown]
	s_waitcnt lgkmcnt(0)
	s_waitcnt_vscnt null, 0x0
	s_barrier
	buffer_gl0_inv
	v_cmpx_eq_u32_e32 14, v252
	s_cbranch_execz .LBB123_192
; %bb.182:
	scratch_load_b32 v0, off, off offset:1168 ; 4-byte Folded Reload
	s_movk_i32 s3, 0xfd80
	s_waitcnt vmcnt(0)
	scratch_load_b128 v[56:59], v0, off
	v_mov_b32_e32 v0, 0
	s_waitcnt vmcnt(0)
	ds_store_2addr_b64 v255, v[56:57], v[58:59] offset1:1
	s_branch .LBB123_184
.LBB123_183:                            ;   in Loop: Header=BB123_184 Depth=1
	s_addk_i32 s5, 0x3e0
	s_addk_i32 s3, 0x80
	scratch_load_b128 v[56:59], off, s5
	s_waitcnt vmcnt(0)
	ds_store_2addr_b64 v1, v[56:57], v[58:59] offset0:124 offset1:125
	s_cbranch_execz .LBB123_186
.LBB123_184:                            ; =>This Inner Loop Header: Depth=1
	v_readfirstlane_b32 s5, v0
	v_add_nc_u32_e32 v1, s3, v248
	s_delay_alu instid0(VALU_DEP_2) | instskip(NEXT) | instid1(SALU_CYCLE_1)
	s_add_i32 s5, s5, s3
	s_add_i32 s6, s5, 0x370
	scratch_load_b128 v[56:59], off, s6
	s_add_i32 s6, s5, 0x380
	s_waitcnt vmcnt(0)
	ds_store_2addr_b64 v1, v[56:57], v[58:59] offset0:110 offset1:111
	scratch_load_b128 v[56:59], off, s6
	s_add_i32 s6, s5, 0x390
	s_waitcnt vmcnt(0)
	ds_store_2addr_b64 v1, v[56:57], v[58:59] offset0:112 offset1:113
	;; [unrolled: 4-line block ×5, first 2 shown]
	scratch_load_b128 v[56:59], off, s6
	s_add_i32 s6, s5, 0x3d0
	s_cmp_eq_u32 s3, 0
	s_waitcnt vmcnt(0)
	ds_store_2addr_b64 v1, v[56:57], v[58:59] offset0:120 offset1:121
	scratch_load_b128 v[56:59], off, s6
	s_waitcnt vmcnt(0)
	ds_store_2addr_b64 v1, v[56:57], v[58:59] offset0:122 offset1:123
	s_cbranch_scc0 .LBB123_183
; %bb.185:
                                        ; implicit-def: $sgpr3
.LBB123_186:
	ds_load_2addr_b64 v[56:59], v255 offset1:1
	s_waitcnt lgkmcnt(0)
	v_cmp_neq_f64_e32 vcc_lo, 0, v[56:57]
	v_cmp_neq_f64_e64 s3, 0, v[58:59]
	s_delay_alu instid0(VALU_DEP_1) | instskip(NEXT) | instid1(SALU_CYCLE_1)
	s_or_b32 s3, vcc_lo, s3
	s_and_b32 exec_lo, exec_lo, s3
	s_cbranch_execz .LBB123_192
; %bb.187:
	v_cmp_gt_f64_e32 vcc_lo, 0, v[56:57]
	v_cmp_gt_f64_e64 s3, 0, v[58:59]
	v_xor_b32_e32 v0, 0x80000000, v57
	v_xor_b32_e32 v4, 0x80000000, v59
	s_delay_alu instid0(VALU_DEP_2) | instskip(NEXT) | instid1(VALU_DEP_2)
	v_cndmask_b32_e32 v1, v57, v0, vcc_lo
	v_cndmask_b32_e64 v5, v59, v4, s3
	v_cndmask_b32_e32 v0, v56, v56, vcc_lo
	v_cndmask_b32_e64 v4, v58, v58, s3
	s_delay_alu instid0(VALU_DEP_1) | instskip(SKIP_1) | instid1(SALU_CYCLE_1)
	v_cmp_ngt_f64_e32 vcc_lo, v[0:1], v[4:5]
                                        ; implicit-def: $vgpr0_vgpr1
	s_and_saveexec_b32 s3, vcc_lo
	s_xor_b32 s3, exec_lo, s3
                                        ; implicit-def: $vgpr60_vgpr61_vgpr62_vgpr63
	s_cbranch_execz .LBB123_189
; %bb.188:
	v_div_scale_f64 v[0:1], null, v[58:59], v[58:59], v[56:57]
	v_div_scale_f64 v[60:61], vcc_lo, v[56:57], v[58:59], v[56:57]
	s_delay_alu instid0(VALU_DEP_2) | instskip(SKIP_2) | instid1(VALU_DEP_1)
	v_rcp_f64_e32 v[4:5], v[0:1]
	s_waitcnt_depctr 0xfff
	v_fma_f64 v[6:7], -v[0:1], v[4:5], 1.0
	v_fma_f64 v[4:5], v[4:5], v[6:7], v[4:5]
	s_delay_alu instid0(VALU_DEP_1) | instskip(NEXT) | instid1(VALU_DEP_1)
	v_fma_f64 v[6:7], -v[0:1], v[4:5], 1.0
	v_fma_f64 v[4:5], v[4:5], v[6:7], v[4:5]
	s_delay_alu instid0(VALU_DEP_1) | instskip(NEXT) | instid1(VALU_DEP_1)
	v_mul_f64 v[6:7], v[60:61], v[4:5]
	v_fma_f64 v[0:1], -v[0:1], v[6:7], v[60:61]
	s_delay_alu instid0(VALU_DEP_1) | instskip(NEXT) | instid1(VALU_DEP_1)
	v_div_fmas_f64 v[0:1], v[0:1], v[4:5], v[6:7]
	v_div_fixup_f64 v[0:1], v[0:1], v[58:59], v[56:57]
	s_delay_alu instid0(VALU_DEP_1) | instskip(NEXT) | instid1(VALU_DEP_1)
	v_fma_f64 v[4:5], v[56:57], v[0:1], v[58:59]
	v_div_scale_f64 v[6:7], null, v[4:5], v[4:5], 1.0
	s_delay_alu instid0(VALU_DEP_1) | instskip(SKIP_2) | instid1(VALU_DEP_1)
	v_rcp_f64_e32 v[56:57], v[6:7]
	s_waitcnt_depctr 0xfff
	v_fma_f64 v[58:59], -v[6:7], v[56:57], 1.0
	v_fma_f64 v[56:57], v[56:57], v[58:59], v[56:57]
	s_delay_alu instid0(VALU_DEP_1) | instskip(NEXT) | instid1(VALU_DEP_1)
	v_fma_f64 v[58:59], -v[6:7], v[56:57], 1.0
	v_fma_f64 v[56:57], v[56:57], v[58:59], v[56:57]
	v_div_scale_f64 v[58:59], vcc_lo, 1.0, v[4:5], 1.0
	s_delay_alu instid0(VALU_DEP_1) | instskip(NEXT) | instid1(VALU_DEP_1)
	v_mul_f64 v[60:61], v[58:59], v[56:57]
	v_fma_f64 v[6:7], -v[6:7], v[60:61], v[58:59]
	s_delay_alu instid0(VALU_DEP_1) | instskip(NEXT) | instid1(VALU_DEP_1)
	v_div_fmas_f64 v[6:7], v[6:7], v[56:57], v[60:61]
                                        ; implicit-def: $vgpr56_vgpr57
	v_div_fixup_f64 v[62:63], v[6:7], v[4:5], 1.0
	s_delay_alu instid0(VALU_DEP_1)
	v_mul_f64 v[0:1], v[0:1], v[62:63]
	v_xor_b32_e32 v63, 0x80000000, v63
.LBB123_189:
	s_and_not1_saveexec_b32 s3, s3
	s_cbranch_execz .LBB123_191
; %bb.190:
	v_div_scale_f64 v[0:1], null, v[56:57], v[56:57], v[58:59]
	v_div_scale_f64 v[60:61], vcc_lo, v[58:59], v[56:57], v[58:59]
	s_delay_alu instid0(VALU_DEP_2) | instskip(SKIP_2) | instid1(VALU_DEP_1)
	v_rcp_f64_e32 v[4:5], v[0:1]
	s_waitcnt_depctr 0xfff
	v_fma_f64 v[6:7], -v[0:1], v[4:5], 1.0
	v_fma_f64 v[4:5], v[4:5], v[6:7], v[4:5]
	s_delay_alu instid0(VALU_DEP_1) | instskip(NEXT) | instid1(VALU_DEP_1)
	v_fma_f64 v[6:7], -v[0:1], v[4:5], 1.0
	v_fma_f64 v[4:5], v[4:5], v[6:7], v[4:5]
	s_delay_alu instid0(VALU_DEP_1) | instskip(NEXT) | instid1(VALU_DEP_1)
	v_mul_f64 v[6:7], v[60:61], v[4:5]
	v_fma_f64 v[0:1], -v[0:1], v[6:7], v[60:61]
	s_delay_alu instid0(VALU_DEP_1) | instskip(NEXT) | instid1(VALU_DEP_1)
	v_div_fmas_f64 v[0:1], v[0:1], v[4:5], v[6:7]
	v_div_fixup_f64 v[4:5], v[0:1], v[56:57], v[58:59]
	s_delay_alu instid0(VALU_DEP_1) | instskip(NEXT) | instid1(VALU_DEP_1)
	v_fma_f64 v[0:1], v[58:59], v[4:5], v[56:57]
	v_div_scale_f64 v[6:7], null, v[0:1], v[0:1], 1.0
	s_delay_alu instid0(VALU_DEP_1) | instskip(SKIP_2) | instid1(VALU_DEP_1)
	v_rcp_f64_e32 v[56:57], v[6:7]
	s_waitcnt_depctr 0xfff
	v_fma_f64 v[58:59], -v[6:7], v[56:57], 1.0
	v_fma_f64 v[56:57], v[56:57], v[58:59], v[56:57]
	s_delay_alu instid0(VALU_DEP_1) | instskip(NEXT) | instid1(VALU_DEP_1)
	v_fma_f64 v[58:59], -v[6:7], v[56:57], 1.0
	v_fma_f64 v[56:57], v[56:57], v[58:59], v[56:57]
	v_div_scale_f64 v[58:59], vcc_lo, 1.0, v[0:1], 1.0
	s_delay_alu instid0(VALU_DEP_1) | instskip(NEXT) | instid1(VALU_DEP_1)
	v_mul_f64 v[60:61], v[58:59], v[56:57]
	v_fma_f64 v[6:7], -v[6:7], v[60:61], v[58:59]
	s_delay_alu instid0(VALU_DEP_1) | instskip(NEXT) | instid1(VALU_DEP_1)
	v_div_fmas_f64 v[6:7], v[6:7], v[56:57], v[60:61]
	v_div_fixup_f64 v[0:1], v[6:7], v[0:1], 1.0
	s_delay_alu instid0(VALU_DEP_1)
	v_mul_f64 v[62:63], v[4:5], -v[0:1]
.LBB123_191:
	s_or_b32 exec_lo, exec_lo, s3
	ds_store_2addr_b64 v255, v[0:1], v[62:63] offset1:1
.LBB123_192:
	s_or_b32 exec_lo, exec_lo, s4
	s_waitcnt lgkmcnt(0)
	s_barrier
	buffer_gl0_inv
	ds_load_2addr_b64 v[56:59], v255 offset1:1
	s_mov_b32 s3, exec_lo
	v_cmpx_lt_u32_e32 14, v252
	s_cbranch_execz .LBB123_197
; %bb.193:
	scratch_load_b128 v[62:65], off, off offset:224
	s_mov_b32 s4, 0
	s_waitcnt vmcnt(0) lgkmcnt(0)
	v_mul_f64 v[0:1], v[58:59], v[64:65]
	s_delay_alu instid0(VALU_DEP_1) | instskip(SKIP_1) | instid1(VALU_DEP_1)
	v_fma_f64 v[60:61], v[56:57], v[62:63], -v[0:1]
	v_mul_f64 v[0:1], v[56:57], v[64:65]
	v_fma_f64 v[62:63], v[58:59], v[62:63], v[0:1]
	v_add3_u32 v0, v180, 0, 0xf0
	v_mov_b32_e32 v1, 0
	scratch_store_b128 off, v[60:63], off offset:224
	s_branch .LBB123_195
.LBB123_194:                            ;   in Loop: Header=BB123_195 Depth=1
	s_and_not1_b32 vcc_lo, exec_lo, s6
	s_cbranch_vccz .LBB123_197
.LBB123_195:                            ; =>This Inner Loop Header: Depth=1
	v_add_nc_u32_e32 v64, s4, v0
	v_readfirstlane_b32 s5, v1
	ds_load_2addr_b64 v[65:68], v64 offset1:1
	s_add_i32 s5, s5, s4
	s_delay_alu instid0(SALU_CYCLE_1) | instskip(SKIP_3) | instid1(VALU_DEP_2)
	s_add_i32 s6, s5, 0xf0
	s_waitcnt lgkmcnt(0)
	v_mul_f64 v[4:5], v[67:68], v[62:63]
	v_mul_f64 v[6:7], v[65:66], v[62:63]
	v_fma_f64 v[4:5], v[65:66], v[60:61], -v[4:5]
	s_delay_alu instid0(VALU_DEP_2)
	v_fma_f64 v[6:7], v[67:68], v[60:61], v[6:7]
	scratch_load_b128 v[65:68], off, s6
	s_waitcnt vmcnt(0)
	v_add_f64 v[65:66], v[65:66], -v[4:5]
	v_add_f64 v[67:68], v[67:68], -v[6:7]
	scratch_store_b128 off, v[65:68], s6
	ds_load_2addr_b64 v[65:68], v64 offset0:2 offset1:3
	s_add_i32 s6, s5, 0x100
	s_waitcnt lgkmcnt(0)
	v_mul_f64 v[4:5], v[67:68], v[62:63]
	v_mul_f64 v[6:7], v[65:66], v[62:63]
	s_delay_alu instid0(VALU_DEP_2) | instskip(NEXT) | instid1(VALU_DEP_2)
	v_fma_f64 v[4:5], v[65:66], v[60:61], -v[4:5]
	v_fma_f64 v[6:7], v[67:68], v[60:61], v[6:7]
	scratch_load_b128 v[65:68], off, s6
	s_waitcnt vmcnt(0)
	v_add_f64 v[65:66], v[65:66], -v[4:5]
	v_add_f64 v[67:68], v[67:68], -v[6:7]
	scratch_store_b128 off, v[65:68], s6
	ds_load_2addr_b64 v[65:68], v64 offset0:4 offset1:5
	s_add_i32 s6, s5, 0x110
	s_cmpk_eq_i32 s4, 0x2c0
	s_waitcnt lgkmcnt(0)
	v_mul_f64 v[4:5], v[67:68], v[62:63]
	v_mul_f64 v[6:7], v[65:66], v[62:63]
	s_delay_alu instid0(VALU_DEP_2) | instskip(NEXT) | instid1(VALU_DEP_2)
	v_fma_f64 v[4:5], v[65:66], v[60:61], -v[4:5]
	v_fma_f64 v[6:7], v[67:68], v[60:61], v[6:7]
	scratch_load_b128 v[65:68], off, s6
	s_waitcnt vmcnt(0)
	v_add_f64 v[65:66], v[65:66], -v[4:5]
	v_add_f64 v[67:68], v[67:68], -v[6:7]
	scratch_store_b128 off, v[65:68], s6
	s_mov_b32 s6, -1
	s_cbranch_scc1 .LBB123_194
; %bb.196:                              ;   in Loop: Header=BB123_195 Depth=1
	ds_load_2addr_b64 v[64:67], v64 offset0:6 offset1:7
	s_addk_i32 s5, 0x120
	s_add_i32 s4, s4, 64
	s_mov_b32 s6, 0
	s_waitcnt lgkmcnt(0)
	v_mul_f64 v[4:5], v[66:67], v[62:63]
	v_mul_f64 v[6:7], v[64:65], v[62:63]
	s_delay_alu instid0(VALU_DEP_2) | instskip(NEXT) | instid1(VALU_DEP_2)
	v_fma_f64 v[4:5], v[64:65], v[60:61], -v[4:5]
	v_fma_f64 v[6:7], v[66:67], v[60:61], v[6:7]
	scratch_load_b128 v[64:67], off, s5
	s_waitcnt vmcnt(0)
	v_add_f64 v[64:65], v[64:65], -v[4:5]
	v_add_f64 v[66:67], v[66:67], -v[6:7]
	scratch_store_b128 off, v[64:67], s5
	s_branch .LBB123_194
.LBB123_197:
	s_or_b32 exec_lo, exec_lo, s3
	v_add3_u32 v68, v180, 0, 0x100
	s_mov_b32 s4, exec_lo
	s_waitcnt lgkmcnt(0)
	s_waitcnt_vscnt null, 0x0
	s_barrier
	buffer_gl0_inv
	v_cmpx_eq_u32_e32 15, v252
	s_cbranch_execz .LBB123_206
; %bb.198:
	scratch_load_b32 v0, off, off offset:1164 ; 4-byte Folded Reload
	s_mov_b32 s3, 0
	s_waitcnt vmcnt(0)
	scratch_load_b128 v[60:63], v0, off
	s_waitcnt vmcnt(0)
	ds_store_2addr_b64 v255, v[60:61], v[62:63] offset1:1
	.p2align	6
.LBB123_199:                            ; =>This Inner Loop Header: Depth=1
	v_add_nc_u32_e64 v0, s3, 0
	v_add_nc_u32_e32 v4, s3, v68
	s_add_i32 s3, s3, 32
	s_delay_alu instid0(SALU_CYCLE_1) | instskip(NEXT) | instid1(VALU_DEP_2)
	s_cmpk_lg_i32 s3, 0x2e0
	v_add_nc_u32_e32 v1, 0x100, v0
	v_add_nc_u32_e32 v0, 0x110, v0
	scratch_load_b128 v[60:63], v1, off
	s_waitcnt vmcnt(0)
	ds_store_2addr_b64 v4, v[60:61], v[62:63] offset1:1
	scratch_load_b128 v[60:63], v0, off
	s_waitcnt vmcnt(0)
	ds_store_2addr_b64 v4, v[60:61], v[62:63] offset0:2 offset1:3
	s_cbranch_scc1 .LBB123_199
; %bb.200:
	ds_load_2addr_b64 v[60:63], v255 offset1:1
	s_waitcnt lgkmcnt(0)
	v_cmp_neq_f64_e32 vcc_lo, 0, v[60:61]
	v_cmp_neq_f64_e64 s3, 0, v[62:63]
	s_delay_alu instid0(VALU_DEP_1) | instskip(NEXT) | instid1(SALU_CYCLE_1)
	s_or_b32 s3, vcc_lo, s3
	s_and_b32 exec_lo, exec_lo, s3
	s_cbranch_execz .LBB123_206
; %bb.201:
	v_cmp_gt_f64_e32 vcc_lo, 0, v[60:61]
	v_xor_b32_e32 v0, 0x80000000, v61
	v_xor_b32_e32 v4, 0x80000000, v63
	s_delay_alu instid0(VALU_DEP_2) | instskip(SKIP_2) | instid1(VALU_DEP_4)
	v_cndmask_b32_e32 v1, v61, v0, vcc_lo
	v_cndmask_b32_e32 v0, v60, v60, vcc_lo
	v_cmp_gt_f64_e32 vcc_lo, 0, v[62:63]
	v_dual_cndmask_b32 v5, v63, v4 :: v_dual_cndmask_b32 v4, v62, v62
	s_delay_alu instid0(VALU_DEP_1) | instskip(SKIP_1) | instid1(SALU_CYCLE_1)
	v_cmp_ngt_f64_e32 vcc_lo, v[0:1], v[4:5]
                                        ; implicit-def: $vgpr0_vgpr1
	s_and_saveexec_b32 s3, vcc_lo
	s_xor_b32 s3, exec_lo, s3
                                        ; implicit-def: $vgpr64_vgpr65_vgpr66_vgpr67
	s_cbranch_execz .LBB123_203
; %bb.202:
	v_div_scale_f64 v[0:1], null, v[62:63], v[62:63], v[60:61]
	v_div_scale_f64 v[64:65], vcc_lo, v[60:61], v[62:63], v[60:61]
	s_delay_alu instid0(VALU_DEP_2) | instskip(SKIP_2) | instid1(VALU_DEP_1)
	v_rcp_f64_e32 v[4:5], v[0:1]
	s_waitcnt_depctr 0xfff
	v_fma_f64 v[6:7], -v[0:1], v[4:5], 1.0
	v_fma_f64 v[4:5], v[4:5], v[6:7], v[4:5]
	s_delay_alu instid0(VALU_DEP_1) | instskip(NEXT) | instid1(VALU_DEP_1)
	v_fma_f64 v[6:7], -v[0:1], v[4:5], 1.0
	v_fma_f64 v[4:5], v[4:5], v[6:7], v[4:5]
	s_delay_alu instid0(VALU_DEP_1) | instskip(NEXT) | instid1(VALU_DEP_1)
	v_mul_f64 v[6:7], v[64:65], v[4:5]
	v_fma_f64 v[0:1], -v[0:1], v[6:7], v[64:65]
	s_delay_alu instid0(VALU_DEP_1) | instskip(NEXT) | instid1(VALU_DEP_1)
	v_div_fmas_f64 v[0:1], v[0:1], v[4:5], v[6:7]
	v_div_fixup_f64 v[0:1], v[0:1], v[62:63], v[60:61]
	s_delay_alu instid0(VALU_DEP_1) | instskip(NEXT) | instid1(VALU_DEP_1)
	v_fma_f64 v[4:5], v[60:61], v[0:1], v[62:63]
	v_div_scale_f64 v[6:7], null, v[4:5], v[4:5], 1.0
	s_delay_alu instid0(VALU_DEP_1) | instskip(SKIP_2) | instid1(VALU_DEP_1)
	v_rcp_f64_e32 v[60:61], v[6:7]
	s_waitcnt_depctr 0xfff
	v_fma_f64 v[62:63], -v[6:7], v[60:61], 1.0
	v_fma_f64 v[60:61], v[60:61], v[62:63], v[60:61]
	s_delay_alu instid0(VALU_DEP_1) | instskip(NEXT) | instid1(VALU_DEP_1)
	v_fma_f64 v[62:63], -v[6:7], v[60:61], 1.0
	v_fma_f64 v[60:61], v[60:61], v[62:63], v[60:61]
	v_div_scale_f64 v[62:63], vcc_lo, 1.0, v[4:5], 1.0
	s_delay_alu instid0(VALU_DEP_1) | instskip(NEXT) | instid1(VALU_DEP_1)
	v_mul_f64 v[64:65], v[62:63], v[60:61]
	v_fma_f64 v[6:7], -v[6:7], v[64:65], v[62:63]
	s_delay_alu instid0(VALU_DEP_1) | instskip(NEXT) | instid1(VALU_DEP_1)
	v_div_fmas_f64 v[6:7], v[6:7], v[60:61], v[64:65]
                                        ; implicit-def: $vgpr60_vgpr61
	v_div_fixup_f64 v[66:67], v[6:7], v[4:5], 1.0
	s_delay_alu instid0(VALU_DEP_1)
	v_mul_f64 v[0:1], v[0:1], v[66:67]
	v_xor_b32_e32 v67, 0x80000000, v67
.LBB123_203:
	s_and_not1_saveexec_b32 s3, s3
	s_cbranch_execz .LBB123_205
; %bb.204:
	v_div_scale_f64 v[0:1], null, v[60:61], v[60:61], v[62:63]
	v_div_scale_f64 v[64:65], vcc_lo, v[62:63], v[60:61], v[62:63]
	s_delay_alu instid0(VALU_DEP_2) | instskip(SKIP_2) | instid1(VALU_DEP_1)
	v_rcp_f64_e32 v[4:5], v[0:1]
	s_waitcnt_depctr 0xfff
	v_fma_f64 v[6:7], -v[0:1], v[4:5], 1.0
	v_fma_f64 v[4:5], v[4:5], v[6:7], v[4:5]
	s_delay_alu instid0(VALU_DEP_1) | instskip(NEXT) | instid1(VALU_DEP_1)
	v_fma_f64 v[6:7], -v[0:1], v[4:5], 1.0
	v_fma_f64 v[4:5], v[4:5], v[6:7], v[4:5]
	s_delay_alu instid0(VALU_DEP_1) | instskip(NEXT) | instid1(VALU_DEP_1)
	v_mul_f64 v[6:7], v[64:65], v[4:5]
	v_fma_f64 v[0:1], -v[0:1], v[6:7], v[64:65]
	s_delay_alu instid0(VALU_DEP_1) | instskip(NEXT) | instid1(VALU_DEP_1)
	v_div_fmas_f64 v[0:1], v[0:1], v[4:5], v[6:7]
	v_div_fixup_f64 v[4:5], v[0:1], v[60:61], v[62:63]
	s_delay_alu instid0(VALU_DEP_1) | instskip(NEXT) | instid1(VALU_DEP_1)
	v_fma_f64 v[0:1], v[62:63], v[4:5], v[60:61]
	v_div_scale_f64 v[6:7], null, v[0:1], v[0:1], 1.0
	s_delay_alu instid0(VALU_DEP_1) | instskip(SKIP_2) | instid1(VALU_DEP_1)
	v_rcp_f64_e32 v[60:61], v[6:7]
	s_waitcnt_depctr 0xfff
	v_fma_f64 v[62:63], -v[6:7], v[60:61], 1.0
	v_fma_f64 v[60:61], v[60:61], v[62:63], v[60:61]
	s_delay_alu instid0(VALU_DEP_1) | instskip(NEXT) | instid1(VALU_DEP_1)
	v_fma_f64 v[62:63], -v[6:7], v[60:61], 1.0
	v_fma_f64 v[60:61], v[60:61], v[62:63], v[60:61]
	v_div_scale_f64 v[62:63], vcc_lo, 1.0, v[0:1], 1.0
	s_delay_alu instid0(VALU_DEP_1) | instskip(NEXT) | instid1(VALU_DEP_1)
	v_mul_f64 v[64:65], v[62:63], v[60:61]
	v_fma_f64 v[6:7], -v[6:7], v[64:65], v[62:63]
	s_delay_alu instid0(VALU_DEP_1) | instskip(NEXT) | instid1(VALU_DEP_1)
	v_div_fmas_f64 v[6:7], v[6:7], v[60:61], v[64:65]
	v_div_fixup_f64 v[0:1], v[6:7], v[0:1], 1.0
	s_delay_alu instid0(VALU_DEP_1)
	v_mul_f64 v[66:67], v[4:5], -v[0:1]
.LBB123_205:
	s_or_b32 exec_lo, exec_lo, s3
	ds_store_2addr_b64 v255, v[0:1], v[66:67] offset1:1
.LBB123_206:
	s_or_b32 exec_lo, exec_lo, s4
	s_waitcnt lgkmcnt(0)
	s_barrier
	buffer_gl0_inv
	ds_load_2addr_b64 v[60:63], v255 offset1:1
	s_mov_b32 s3, exec_lo
	v_cmpx_lt_u32_e32 15, v252
	s_cbranch_execz .LBB123_209
; %bb.207:
	scratch_load_b128 v[69:72], off, off offset:240
	s_mov_b32 s4, 0
	s_waitcnt vmcnt(0) lgkmcnt(0)
	v_mul_f64 v[0:1], v[62:63], v[71:72]
	s_delay_alu instid0(VALU_DEP_1) | instskip(SKIP_1) | instid1(VALU_DEP_1)
	v_fma_f64 v[64:65], v[60:61], v[69:70], -v[0:1]
	v_mul_f64 v[0:1], v[60:61], v[71:72]
	v_fma_f64 v[66:67], v[62:63], v[69:70], v[0:1]
	scratch_store_b128 off, v[64:67], off offset:240
	s_set_inst_prefetch_distance 0x1
	.p2align	6
.LBB123_208:                            ; =>This Inner Loop Header: Depth=1
	v_add_nc_u32_e32 v6, s4, v68
	v_add_nc_u32_e64 v7, s4, 0
	s_add_i32 s4, s4, 32
	s_delay_alu instid0(SALU_CYCLE_1)
	s_cmpk_lg_i32 s4, 0x2e0
	ds_load_2addr_b64 v[69:72], v6 offset1:1
	v_add_nc_u32_e32 v73, 0x100, v7
	s_waitcnt lgkmcnt(0)
	v_mul_f64 v[0:1], v[71:72], v[66:67]
	v_mul_f64 v[4:5], v[69:70], v[66:67]
	s_delay_alu instid0(VALU_DEP_2) | instskip(NEXT) | instid1(VALU_DEP_2)
	v_fma_f64 v[0:1], v[69:70], v[64:65], -v[0:1]
	v_fma_f64 v[4:5], v[71:72], v[64:65], v[4:5]
	scratch_load_b128 v[69:72], v73, off
	s_waitcnt vmcnt(0)
	v_add_f64 v[69:70], v[69:70], -v[0:1]
	v_add_f64 v[71:72], v[71:72], -v[4:5]
	scratch_store_b128 v73, v[69:72], off
	ds_load_2addr_b64 v[69:72], v6 offset0:2 offset1:3
	v_add_nc_u32_e32 v6, 0x110, v7
	s_waitcnt lgkmcnt(0)
	v_mul_f64 v[0:1], v[71:72], v[66:67]
	v_mul_f64 v[4:5], v[69:70], v[66:67]
	s_delay_alu instid0(VALU_DEP_2) | instskip(NEXT) | instid1(VALU_DEP_2)
	v_fma_f64 v[0:1], v[69:70], v[64:65], -v[0:1]
	v_fma_f64 v[4:5], v[71:72], v[64:65], v[4:5]
	scratch_load_b128 v[69:72], v6, off
	s_waitcnt vmcnt(0)
	v_add_f64 v[69:70], v[69:70], -v[0:1]
	v_add_f64 v[71:72], v[71:72], -v[4:5]
	scratch_store_b128 v6, v[69:72], off
	s_cbranch_scc1 .LBB123_208
.LBB123_209:
	s_set_inst_prefetch_distance 0x2
	s_or_b32 exec_lo, exec_lo, s3
	v_add3_u32 v72, v180, 0, 0x110
	s_mov_b32 s4, exec_lo
	s_waitcnt lgkmcnt(0)
	s_waitcnt_vscnt null, 0x0
	s_barrier
	buffer_gl0_inv
	v_cmpx_eq_u32_e32 16, v252
	s_cbranch_execz .LBB123_218
; %bb.210:
	scratch_load_b32 v0, off, off offset:1160 ; 4-byte Folded Reload
	s_movk_i32 s3, 0xfd30
	s_waitcnt vmcnt(0)
	scratch_load_b128 v[64:67], v0, off
	v_mov_b32_e32 v0, 0
	s_waitcnt vmcnt(0)
	ds_store_2addr_b64 v255, v[64:65], v[66:67] offset1:1
.LBB123_211:                            ; =>This Inner Loop Header: Depth=1
	v_readfirstlane_b32 s5, v0
	v_add_nc_u32_e32 v1, s3, v72
	s_delay_alu instid0(VALU_DEP_2)
	s_add_i32 s5, s5, s3
	s_addk_i32 s3, 0xf0
	s_add_i32 s6, s5, 0x3e0
	scratch_load_b128 v[64:67], off, s6
	s_add_i32 s6, s5, 0x3f0
	s_waitcnt vmcnt(0)
	ds_store_2addr_b64 v1, v[64:65], v[66:67] offset0:90 offset1:91
	scratch_load_b128 v[64:67], off, s6
	s_add_i32 s6, s5, 0x400
	s_waitcnt vmcnt(0)
	ds_store_2addr_b64 v1, v[64:65], v[66:67] offset0:92 offset1:93
	;; [unrolled: 4-line block ×12, first 2 shown]
	scratch_load_b128 v[64:67], off, s6
	s_add_i32 s6, s5, 0x4b0
	s_addk_i32 s5, 0x4c0
	s_cmp_lg_u32 s3, 0
	s_waitcnt vmcnt(0)
	ds_store_2addr_b64 v1, v[64:65], v[66:67] offset0:114 offset1:115
	scratch_load_b128 v[64:67], off, s6
	s_waitcnt vmcnt(0)
	ds_store_2addr_b64 v1, v[64:65], v[66:67] offset0:116 offset1:117
	scratch_load_b128 v[64:67], off, s5
	s_waitcnt vmcnt(0)
	ds_store_2addr_b64 v1, v[64:65], v[66:67] offset0:118 offset1:119
	s_cbranch_scc1 .LBB123_211
; %bb.212:
	ds_load_2addr_b64 v[64:67], v255 offset1:1
	s_waitcnt lgkmcnt(0)
	v_cmp_neq_f64_e32 vcc_lo, 0, v[64:65]
	v_cmp_neq_f64_e64 s3, 0, v[66:67]
	s_delay_alu instid0(VALU_DEP_1) | instskip(NEXT) | instid1(SALU_CYCLE_1)
	s_or_b32 s3, vcc_lo, s3
	s_and_b32 exec_lo, exec_lo, s3
	s_cbranch_execz .LBB123_218
; %bb.213:
	v_cmp_gt_f64_e32 vcc_lo, 0, v[64:65]
	v_xor_b32_e32 v0, 0x80000000, v65
	v_xor_b32_e32 v4, 0x80000000, v67
	s_delay_alu instid0(VALU_DEP_2) | instskip(SKIP_2) | instid1(VALU_DEP_4)
	v_cndmask_b32_e32 v1, v65, v0, vcc_lo
	v_cndmask_b32_e32 v0, v64, v64, vcc_lo
	v_cmp_gt_f64_e32 vcc_lo, 0, v[66:67]
	v_dual_cndmask_b32 v5, v67, v4 :: v_dual_cndmask_b32 v4, v66, v66
	s_delay_alu instid0(VALU_DEP_1) | instskip(SKIP_1) | instid1(SALU_CYCLE_1)
	v_cmp_ngt_f64_e32 vcc_lo, v[0:1], v[4:5]
                                        ; implicit-def: $vgpr0_vgpr1
	s_and_saveexec_b32 s3, vcc_lo
	s_xor_b32 s3, exec_lo, s3
                                        ; implicit-def: $vgpr68_vgpr69_vgpr70_vgpr71
	s_cbranch_execz .LBB123_215
; %bb.214:
	v_div_scale_f64 v[0:1], null, v[66:67], v[66:67], v[64:65]
	v_div_scale_f64 v[68:69], vcc_lo, v[64:65], v[66:67], v[64:65]
	s_delay_alu instid0(VALU_DEP_2) | instskip(SKIP_2) | instid1(VALU_DEP_1)
	v_rcp_f64_e32 v[4:5], v[0:1]
	s_waitcnt_depctr 0xfff
	v_fma_f64 v[6:7], -v[0:1], v[4:5], 1.0
	v_fma_f64 v[4:5], v[4:5], v[6:7], v[4:5]
	s_delay_alu instid0(VALU_DEP_1) | instskip(NEXT) | instid1(VALU_DEP_1)
	v_fma_f64 v[6:7], -v[0:1], v[4:5], 1.0
	v_fma_f64 v[4:5], v[4:5], v[6:7], v[4:5]
	s_delay_alu instid0(VALU_DEP_1) | instskip(NEXT) | instid1(VALU_DEP_1)
	v_mul_f64 v[6:7], v[68:69], v[4:5]
	v_fma_f64 v[0:1], -v[0:1], v[6:7], v[68:69]
	s_delay_alu instid0(VALU_DEP_1) | instskip(NEXT) | instid1(VALU_DEP_1)
	v_div_fmas_f64 v[0:1], v[0:1], v[4:5], v[6:7]
	v_div_fixup_f64 v[0:1], v[0:1], v[66:67], v[64:65]
	s_delay_alu instid0(VALU_DEP_1) | instskip(NEXT) | instid1(VALU_DEP_1)
	v_fma_f64 v[4:5], v[64:65], v[0:1], v[66:67]
	v_div_scale_f64 v[6:7], null, v[4:5], v[4:5], 1.0
	s_delay_alu instid0(VALU_DEP_1) | instskip(SKIP_2) | instid1(VALU_DEP_1)
	v_rcp_f64_e32 v[64:65], v[6:7]
	s_waitcnt_depctr 0xfff
	v_fma_f64 v[66:67], -v[6:7], v[64:65], 1.0
	v_fma_f64 v[64:65], v[64:65], v[66:67], v[64:65]
	s_delay_alu instid0(VALU_DEP_1) | instskip(NEXT) | instid1(VALU_DEP_1)
	v_fma_f64 v[66:67], -v[6:7], v[64:65], 1.0
	v_fma_f64 v[64:65], v[64:65], v[66:67], v[64:65]
	v_div_scale_f64 v[66:67], vcc_lo, 1.0, v[4:5], 1.0
	s_delay_alu instid0(VALU_DEP_1) | instskip(NEXT) | instid1(VALU_DEP_1)
	v_mul_f64 v[68:69], v[66:67], v[64:65]
	v_fma_f64 v[6:7], -v[6:7], v[68:69], v[66:67]
	s_delay_alu instid0(VALU_DEP_1) | instskip(NEXT) | instid1(VALU_DEP_1)
	v_div_fmas_f64 v[6:7], v[6:7], v[64:65], v[68:69]
                                        ; implicit-def: $vgpr64_vgpr65
	v_div_fixup_f64 v[70:71], v[6:7], v[4:5], 1.0
	s_delay_alu instid0(VALU_DEP_1)
	v_mul_f64 v[0:1], v[0:1], v[70:71]
	v_xor_b32_e32 v71, 0x80000000, v71
.LBB123_215:
	s_and_not1_saveexec_b32 s3, s3
	s_cbranch_execz .LBB123_217
; %bb.216:
	v_div_scale_f64 v[0:1], null, v[64:65], v[64:65], v[66:67]
	v_div_scale_f64 v[68:69], vcc_lo, v[66:67], v[64:65], v[66:67]
	s_delay_alu instid0(VALU_DEP_2) | instskip(SKIP_2) | instid1(VALU_DEP_1)
	v_rcp_f64_e32 v[4:5], v[0:1]
	s_waitcnt_depctr 0xfff
	v_fma_f64 v[6:7], -v[0:1], v[4:5], 1.0
	v_fma_f64 v[4:5], v[4:5], v[6:7], v[4:5]
	s_delay_alu instid0(VALU_DEP_1) | instskip(NEXT) | instid1(VALU_DEP_1)
	v_fma_f64 v[6:7], -v[0:1], v[4:5], 1.0
	v_fma_f64 v[4:5], v[4:5], v[6:7], v[4:5]
	s_delay_alu instid0(VALU_DEP_1) | instskip(NEXT) | instid1(VALU_DEP_1)
	v_mul_f64 v[6:7], v[68:69], v[4:5]
	v_fma_f64 v[0:1], -v[0:1], v[6:7], v[68:69]
	s_delay_alu instid0(VALU_DEP_1) | instskip(NEXT) | instid1(VALU_DEP_1)
	v_div_fmas_f64 v[0:1], v[0:1], v[4:5], v[6:7]
	v_div_fixup_f64 v[4:5], v[0:1], v[64:65], v[66:67]
	s_delay_alu instid0(VALU_DEP_1) | instskip(NEXT) | instid1(VALU_DEP_1)
	v_fma_f64 v[0:1], v[66:67], v[4:5], v[64:65]
	v_div_scale_f64 v[6:7], null, v[0:1], v[0:1], 1.0
	s_delay_alu instid0(VALU_DEP_1) | instskip(SKIP_2) | instid1(VALU_DEP_1)
	v_rcp_f64_e32 v[64:65], v[6:7]
	s_waitcnt_depctr 0xfff
	v_fma_f64 v[66:67], -v[6:7], v[64:65], 1.0
	v_fma_f64 v[64:65], v[64:65], v[66:67], v[64:65]
	s_delay_alu instid0(VALU_DEP_1) | instskip(NEXT) | instid1(VALU_DEP_1)
	v_fma_f64 v[66:67], -v[6:7], v[64:65], 1.0
	v_fma_f64 v[64:65], v[64:65], v[66:67], v[64:65]
	v_div_scale_f64 v[66:67], vcc_lo, 1.0, v[0:1], 1.0
	s_delay_alu instid0(VALU_DEP_1) | instskip(NEXT) | instid1(VALU_DEP_1)
	v_mul_f64 v[68:69], v[66:67], v[64:65]
	v_fma_f64 v[6:7], -v[6:7], v[68:69], v[66:67]
	s_delay_alu instid0(VALU_DEP_1) | instskip(NEXT) | instid1(VALU_DEP_1)
	v_div_fmas_f64 v[6:7], v[6:7], v[64:65], v[68:69]
	v_div_fixup_f64 v[0:1], v[6:7], v[0:1], 1.0
	s_delay_alu instid0(VALU_DEP_1)
	v_mul_f64 v[70:71], v[4:5], -v[0:1]
.LBB123_217:
	s_or_b32 exec_lo, exec_lo, s3
	ds_store_2addr_b64 v255, v[0:1], v[70:71] offset1:1
.LBB123_218:
	s_or_b32 exec_lo, exec_lo, s4
	s_waitcnt lgkmcnt(0)
	s_barrier
	buffer_gl0_inv
	ds_load_2addr_b64 v[64:67], v255 offset1:1
	s_mov_b32 s3, exec_lo
	v_cmpx_lt_u32_e32 16, v252
	s_cbranch_execz .LBB123_221
; %bb.219:
	scratch_load_b128 v[73:76], off, off offset:256
	s_mov_b32 s4, 0
	s_waitcnt vmcnt(0) lgkmcnt(0)
	v_mul_f64 v[0:1], v[66:67], v[75:76]
	s_delay_alu instid0(VALU_DEP_1) | instskip(SKIP_1) | instid1(VALU_DEP_1)
	v_fma_f64 v[68:69], v[64:65], v[73:74], -v[0:1]
	v_mul_f64 v[0:1], v[64:65], v[75:76]
	v_fma_f64 v[70:71], v[66:67], v[73:74], v[0:1]
	v_mov_b32_e32 v0, 0
	scratch_store_b128 off, v[68:71], off offset:256
.LBB123_220:                            ; =>This Inner Loop Header: Depth=1
	v_add_nc_u32_e32 v1, s4, v72
	v_readfirstlane_b32 s5, v0
	ds_load_2addr_b64 v[73:76], v1 offset1:1
	s_add_i32 s5, s5, s4
	s_addk_i32 s4, 0x50
	s_add_i32 s6, s5, 0x110
	s_waitcnt lgkmcnt(0)
	v_mul_f64 v[4:5], v[75:76], v[70:71]
	v_mul_f64 v[6:7], v[73:74], v[70:71]
	s_delay_alu instid0(VALU_DEP_2) | instskip(NEXT) | instid1(VALU_DEP_2)
	v_fma_f64 v[4:5], v[73:74], v[68:69], -v[4:5]
	v_fma_f64 v[6:7], v[75:76], v[68:69], v[6:7]
	scratch_load_b128 v[73:76], off, s6
	s_waitcnt vmcnt(0)
	v_add_f64 v[73:74], v[73:74], -v[4:5]
	v_add_f64 v[75:76], v[75:76], -v[6:7]
	scratch_store_b128 off, v[73:76], s6
	ds_load_2addr_b64 v[73:76], v1 offset0:2 offset1:3
	s_add_i32 s6, s5, 0x120
	s_waitcnt lgkmcnt(0)
	v_mul_f64 v[4:5], v[75:76], v[70:71]
	v_mul_f64 v[6:7], v[73:74], v[70:71]
	s_delay_alu instid0(VALU_DEP_2) | instskip(NEXT) | instid1(VALU_DEP_2)
	v_fma_f64 v[4:5], v[73:74], v[68:69], -v[4:5]
	v_fma_f64 v[6:7], v[75:76], v[68:69], v[6:7]
	scratch_load_b128 v[73:76], off, s6
	s_waitcnt vmcnt(0)
	v_add_f64 v[73:74], v[73:74], -v[4:5]
	v_add_f64 v[75:76], v[75:76], -v[6:7]
	scratch_store_b128 off, v[73:76], s6
	ds_load_2addr_b64 v[73:76], v1 offset0:4 offset1:5
	;; [unrolled: 13-line block ×3, first 2 shown]
	s_add_i32 s6, s5, 0x140
	s_addk_i32 s5, 0x150
	s_cmpk_lg_i32 s4, 0x2d0
	s_waitcnt lgkmcnt(0)
	v_mul_f64 v[4:5], v[75:76], v[70:71]
	v_mul_f64 v[6:7], v[73:74], v[70:71]
	s_delay_alu instid0(VALU_DEP_2) | instskip(NEXT) | instid1(VALU_DEP_2)
	v_fma_f64 v[4:5], v[73:74], v[68:69], -v[4:5]
	v_fma_f64 v[6:7], v[75:76], v[68:69], v[6:7]
	scratch_load_b128 v[73:76], off, s6
	s_waitcnt vmcnt(0)
	v_add_f64 v[73:74], v[73:74], -v[4:5]
	v_add_f64 v[75:76], v[75:76], -v[6:7]
	scratch_store_b128 off, v[73:76], s6
	ds_load_2addr_b64 v[73:76], v1 offset0:8 offset1:9
	s_waitcnt lgkmcnt(0)
	v_mul_f64 v[4:5], v[75:76], v[70:71]
	v_mul_f64 v[6:7], v[73:74], v[70:71]
	s_delay_alu instid0(VALU_DEP_2) | instskip(NEXT) | instid1(VALU_DEP_2)
	v_fma_f64 v[4:5], v[73:74], v[68:69], -v[4:5]
	v_fma_f64 v[6:7], v[75:76], v[68:69], v[6:7]
	scratch_load_b128 v[73:76], off, s5
	s_waitcnt vmcnt(0)
	v_add_f64 v[73:74], v[73:74], -v[4:5]
	v_add_f64 v[75:76], v[75:76], -v[6:7]
	scratch_store_b128 off, v[73:76], s5
	s_cbranch_scc1 .LBB123_220
.LBB123_221:
	s_or_b32 exec_lo, exec_lo, s3
	v_add3_u32 v76, v180, 0, 0x120
	s_mov_b32 s4, exec_lo
	s_waitcnt lgkmcnt(0)
	s_waitcnt_vscnt null, 0x0
	s_barrier
	buffer_gl0_inv
	v_cmpx_eq_u32_e32 17, v252
	s_cbranch_execz .LBB123_230
; %bb.222:
	scratch_load_b32 v0, off, off offset:1156 ; 4-byte Folded Reload
	s_movk_i32 s3, 0xfd40
	s_waitcnt vmcnt(0)
	scratch_load_b128 v[68:71], v0, off
	v_mov_b32_e32 v0, 0
	s_waitcnt vmcnt(0)
	ds_store_2addr_b64 v255, v[68:69], v[70:71] offset1:1
.LBB123_223:                            ; =>This Inner Loop Header: Depth=1
	v_readfirstlane_b32 s5, v0
	v_add_nc_u32_e32 v1, s3, v76
	s_delay_alu instid0(VALU_DEP_2)
	s_add_i32 s5, s5, s3
	s_addk_i32 s3, 0xb0
	s_add_i32 s6, s5, 0x3e0
	scratch_load_b128 v[68:71], off, s6
	s_add_i32 s6, s5, 0x3f0
	s_waitcnt vmcnt(0)
	ds_store_2addr_b64 v1, v[68:69], v[70:71] offset0:88 offset1:89
	scratch_load_b128 v[68:71], off, s6
	s_add_i32 s6, s5, 0x400
	s_waitcnt vmcnt(0)
	ds_store_2addr_b64 v1, v[68:69], v[70:71] offset0:90 offset1:91
	;; [unrolled: 4-line block ×8, first 2 shown]
	scratch_load_b128 v[68:71], off, s6
	s_add_i32 s6, s5, 0x470
	s_addk_i32 s5, 0x480
	s_cmp_lg_u32 s3, 0
	s_waitcnt vmcnt(0)
	ds_store_2addr_b64 v1, v[68:69], v[70:71] offset0:104 offset1:105
	scratch_load_b128 v[68:71], off, s6
	s_waitcnt vmcnt(0)
	ds_store_2addr_b64 v1, v[68:69], v[70:71] offset0:106 offset1:107
	scratch_load_b128 v[68:71], off, s5
	s_waitcnt vmcnt(0)
	ds_store_2addr_b64 v1, v[68:69], v[70:71] offset0:108 offset1:109
	s_cbranch_scc1 .LBB123_223
; %bb.224:
	ds_load_2addr_b64 v[68:71], v255 offset1:1
	s_waitcnt lgkmcnt(0)
	v_cmp_neq_f64_e32 vcc_lo, 0, v[68:69]
	v_cmp_neq_f64_e64 s3, 0, v[70:71]
	s_delay_alu instid0(VALU_DEP_1) | instskip(NEXT) | instid1(SALU_CYCLE_1)
	s_or_b32 s3, vcc_lo, s3
	s_and_b32 exec_lo, exec_lo, s3
	s_cbranch_execz .LBB123_230
; %bb.225:
	v_cmp_gt_f64_e32 vcc_lo, 0, v[68:69]
	v_xor_b32_e32 v0, 0x80000000, v69
	v_xor_b32_e32 v4, 0x80000000, v71
	s_delay_alu instid0(VALU_DEP_2) | instskip(SKIP_2) | instid1(VALU_DEP_4)
	v_cndmask_b32_e32 v1, v69, v0, vcc_lo
	v_cndmask_b32_e32 v0, v68, v68, vcc_lo
	v_cmp_gt_f64_e32 vcc_lo, 0, v[70:71]
	v_dual_cndmask_b32 v5, v71, v4 :: v_dual_cndmask_b32 v4, v70, v70
	s_delay_alu instid0(VALU_DEP_1) | instskip(SKIP_1) | instid1(SALU_CYCLE_1)
	v_cmp_ngt_f64_e32 vcc_lo, v[0:1], v[4:5]
                                        ; implicit-def: $vgpr0_vgpr1
	s_and_saveexec_b32 s3, vcc_lo
	s_xor_b32 s3, exec_lo, s3
                                        ; implicit-def: $vgpr72_vgpr73_vgpr74_vgpr75
	s_cbranch_execz .LBB123_227
; %bb.226:
	v_div_scale_f64 v[0:1], null, v[70:71], v[70:71], v[68:69]
	v_div_scale_f64 v[72:73], vcc_lo, v[68:69], v[70:71], v[68:69]
	s_delay_alu instid0(VALU_DEP_2) | instskip(SKIP_2) | instid1(VALU_DEP_1)
	v_rcp_f64_e32 v[4:5], v[0:1]
	s_waitcnt_depctr 0xfff
	v_fma_f64 v[6:7], -v[0:1], v[4:5], 1.0
	v_fma_f64 v[4:5], v[4:5], v[6:7], v[4:5]
	s_delay_alu instid0(VALU_DEP_1) | instskip(NEXT) | instid1(VALU_DEP_1)
	v_fma_f64 v[6:7], -v[0:1], v[4:5], 1.0
	v_fma_f64 v[4:5], v[4:5], v[6:7], v[4:5]
	s_delay_alu instid0(VALU_DEP_1) | instskip(NEXT) | instid1(VALU_DEP_1)
	v_mul_f64 v[6:7], v[72:73], v[4:5]
	v_fma_f64 v[0:1], -v[0:1], v[6:7], v[72:73]
	s_delay_alu instid0(VALU_DEP_1) | instskip(NEXT) | instid1(VALU_DEP_1)
	v_div_fmas_f64 v[0:1], v[0:1], v[4:5], v[6:7]
	v_div_fixup_f64 v[0:1], v[0:1], v[70:71], v[68:69]
	s_delay_alu instid0(VALU_DEP_1) | instskip(NEXT) | instid1(VALU_DEP_1)
	v_fma_f64 v[4:5], v[68:69], v[0:1], v[70:71]
	v_div_scale_f64 v[6:7], null, v[4:5], v[4:5], 1.0
	s_delay_alu instid0(VALU_DEP_1) | instskip(SKIP_2) | instid1(VALU_DEP_1)
	v_rcp_f64_e32 v[68:69], v[6:7]
	s_waitcnt_depctr 0xfff
	v_fma_f64 v[70:71], -v[6:7], v[68:69], 1.0
	v_fma_f64 v[68:69], v[68:69], v[70:71], v[68:69]
	s_delay_alu instid0(VALU_DEP_1) | instskip(NEXT) | instid1(VALU_DEP_1)
	v_fma_f64 v[70:71], -v[6:7], v[68:69], 1.0
	v_fma_f64 v[68:69], v[68:69], v[70:71], v[68:69]
	v_div_scale_f64 v[70:71], vcc_lo, 1.0, v[4:5], 1.0
	s_delay_alu instid0(VALU_DEP_1) | instskip(NEXT) | instid1(VALU_DEP_1)
	v_mul_f64 v[72:73], v[70:71], v[68:69]
	v_fma_f64 v[6:7], -v[6:7], v[72:73], v[70:71]
	s_delay_alu instid0(VALU_DEP_1) | instskip(NEXT) | instid1(VALU_DEP_1)
	v_div_fmas_f64 v[6:7], v[6:7], v[68:69], v[72:73]
                                        ; implicit-def: $vgpr68_vgpr69
	v_div_fixup_f64 v[74:75], v[6:7], v[4:5], 1.0
	s_delay_alu instid0(VALU_DEP_1)
	v_mul_f64 v[0:1], v[0:1], v[74:75]
	v_xor_b32_e32 v75, 0x80000000, v75
.LBB123_227:
	s_and_not1_saveexec_b32 s3, s3
	s_cbranch_execz .LBB123_229
; %bb.228:
	v_div_scale_f64 v[0:1], null, v[68:69], v[68:69], v[70:71]
	v_div_scale_f64 v[72:73], vcc_lo, v[70:71], v[68:69], v[70:71]
	s_delay_alu instid0(VALU_DEP_2) | instskip(SKIP_2) | instid1(VALU_DEP_1)
	v_rcp_f64_e32 v[4:5], v[0:1]
	s_waitcnt_depctr 0xfff
	v_fma_f64 v[6:7], -v[0:1], v[4:5], 1.0
	v_fma_f64 v[4:5], v[4:5], v[6:7], v[4:5]
	s_delay_alu instid0(VALU_DEP_1) | instskip(NEXT) | instid1(VALU_DEP_1)
	v_fma_f64 v[6:7], -v[0:1], v[4:5], 1.0
	v_fma_f64 v[4:5], v[4:5], v[6:7], v[4:5]
	s_delay_alu instid0(VALU_DEP_1) | instskip(NEXT) | instid1(VALU_DEP_1)
	v_mul_f64 v[6:7], v[72:73], v[4:5]
	v_fma_f64 v[0:1], -v[0:1], v[6:7], v[72:73]
	s_delay_alu instid0(VALU_DEP_1) | instskip(NEXT) | instid1(VALU_DEP_1)
	v_div_fmas_f64 v[0:1], v[0:1], v[4:5], v[6:7]
	v_div_fixup_f64 v[4:5], v[0:1], v[68:69], v[70:71]
	s_delay_alu instid0(VALU_DEP_1) | instskip(NEXT) | instid1(VALU_DEP_1)
	v_fma_f64 v[0:1], v[70:71], v[4:5], v[68:69]
	v_div_scale_f64 v[6:7], null, v[0:1], v[0:1], 1.0
	s_delay_alu instid0(VALU_DEP_1) | instskip(SKIP_2) | instid1(VALU_DEP_1)
	v_rcp_f64_e32 v[68:69], v[6:7]
	s_waitcnt_depctr 0xfff
	v_fma_f64 v[70:71], -v[6:7], v[68:69], 1.0
	v_fma_f64 v[68:69], v[68:69], v[70:71], v[68:69]
	s_delay_alu instid0(VALU_DEP_1) | instskip(NEXT) | instid1(VALU_DEP_1)
	v_fma_f64 v[70:71], -v[6:7], v[68:69], 1.0
	v_fma_f64 v[68:69], v[68:69], v[70:71], v[68:69]
	v_div_scale_f64 v[70:71], vcc_lo, 1.0, v[0:1], 1.0
	s_delay_alu instid0(VALU_DEP_1) | instskip(NEXT) | instid1(VALU_DEP_1)
	v_mul_f64 v[72:73], v[70:71], v[68:69]
	v_fma_f64 v[6:7], -v[6:7], v[72:73], v[70:71]
	s_delay_alu instid0(VALU_DEP_1) | instskip(NEXT) | instid1(VALU_DEP_1)
	v_div_fmas_f64 v[6:7], v[6:7], v[68:69], v[72:73]
	v_div_fixup_f64 v[0:1], v[6:7], v[0:1], 1.0
	s_delay_alu instid0(VALU_DEP_1)
	v_mul_f64 v[74:75], v[4:5], -v[0:1]
.LBB123_229:
	s_or_b32 exec_lo, exec_lo, s3
	ds_store_2addr_b64 v255, v[0:1], v[74:75] offset1:1
.LBB123_230:
	s_or_b32 exec_lo, exec_lo, s4
	s_waitcnt lgkmcnt(0)
	s_barrier
	buffer_gl0_inv
	ds_load_2addr_b64 v[68:71], v255 offset1:1
	s_mov_b32 s3, exec_lo
	v_cmpx_lt_u32_e32 17, v252
	s_cbranch_execz .LBB123_233
; %bb.231:
	scratch_load_b128 v[77:80], off, off offset:272
	s_mov_b32 s4, 0
	s_waitcnt vmcnt(0) lgkmcnt(0)
	v_mul_f64 v[0:1], v[70:71], v[79:80]
	s_delay_alu instid0(VALU_DEP_1) | instskip(SKIP_1) | instid1(VALU_DEP_1)
	v_fma_f64 v[72:73], v[68:69], v[77:78], -v[0:1]
	v_mul_f64 v[0:1], v[68:69], v[79:80]
	v_fma_f64 v[74:75], v[70:71], v[77:78], v[0:1]
	v_mov_b32_e32 v0, 0
	scratch_store_b128 off, v[72:75], off offset:272
.LBB123_232:                            ; =>This Inner Loop Header: Depth=1
	v_add_nc_u32_e32 v1, s4, v76
	v_readfirstlane_b32 s5, v0
	ds_load_2addr_b64 v[77:80], v1 offset1:1
	s_add_i32 s5, s5, s4
	s_add_i32 s4, s4, 64
	;; [unrolled: 1-line block ×3, first 2 shown]
	s_waitcnt lgkmcnt(0)
	v_mul_f64 v[4:5], v[79:80], v[74:75]
	v_mul_f64 v[6:7], v[77:78], v[74:75]
	s_delay_alu instid0(VALU_DEP_2) | instskip(NEXT) | instid1(VALU_DEP_2)
	v_fma_f64 v[4:5], v[77:78], v[72:73], -v[4:5]
	v_fma_f64 v[6:7], v[79:80], v[72:73], v[6:7]
	scratch_load_b128 v[77:80], off, s6
	s_waitcnt vmcnt(0)
	v_add_f64 v[77:78], v[77:78], -v[4:5]
	v_add_f64 v[79:80], v[79:80], -v[6:7]
	scratch_store_b128 off, v[77:80], s6
	ds_load_2addr_b64 v[77:80], v1 offset0:2 offset1:3
	s_add_i32 s6, s5, 0x130
	s_waitcnt lgkmcnt(0)
	v_mul_f64 v[4:5], v[79:80], v[74:75]
	v_mul_f64 v[6:7], v[77:78], v[74:75]
	s_delay_alu instid0(VALU_DEP_2) | instskip(NEXT) | instid1(VALU_DEP_2)
	v_fma_f64 v[4:5], v[77:78], v[72:73], -v[4:5]
	v_fma_f64 v[6:7], v[79:80], v[72:73], v[6:7]
	scratch_load_b128 v[77:80], off, s6
	s_waitcnt vmcnt(0)
	v_add_f64 v[77:78], v[77:78], -v[4:5]
	v_add_f64 v[79:80], v[79:80], -v[6:7]
	scratch_store_b128 off, v[77:80], s6
	ds_load_2addr_b64 v[77:80], v1 offset0:4 offset1:5
	s_add_i32 s6, s5, 0x140
	s_addk_i32 s5, 0x150
	s_cmpk_lg_i32 s4, 0x2c0
	s_waitcnt lgkmcnt(0)
	v_mul_f64 v[4:5], v[79:80], v[74:75]
	v_mul_f64 v[6:7], v[77:78], v[74:75]
	s_delay_alu instid0(VALU_DEP_2) | instskip(NEXT) | instid1(VALU_DEP_2)
	v_fma_f64 v[4:5], v[77:78], v[72:73], -v[4:5]
	v_fma_f64 v[6:7], v[79:80], v[72:73], v[6:7]
	scratch_load_b128 v[77:80], off, s6
	s_waitcnt vmcnt(0)
	v_add_f64 v[77:78], v[77:78], -v[4:5]
	v_add_f64 v[79:80], v[79:80], -v[6:7]
	scratch_store_b128 off, v[77:80], s6
	ds_load_2addr_b64 v[77:80], v1 offset0:6 offset1:7
	s_waitcnt lgkmcnt(0)
	v_mul_f64 v[4:5], v[79:80], v[74:75]
	v_mul_f64 v[6:7], v[77:78], v[74:75]
	s_delay_alu instid0(VALU_DEP_2) | instskip(NEXT) | instid1(VALU_DEP_2)
	v_fma_f64 v[4:5], v[77:78], v[72:73], -v[4:5]
	v_fma_f64 v[6:7], v[79:80], v[72:73], v[6:7]
	scratch_load_b128 v[77:80], off, s5
	s_waitcnt vmcnt(0)
	v_add_f64 v[77:78], v[77:78], -v[4:5]
	v_add_f64 v[79:80], v[79:80], -v[6:7]
	scratch_store_b128 off, v[77:80], s5
	s_cbranch_scc1 .LBB123_232
.LBB123_233:
	s_or_b32 exec_lo, exec_lo, s3
	v_add3_u32 v80, v180, 0, 0x130
	s_mov_b32 s4, exec_lo
	s_waitcnt lgkmcnt(0)
	s_waitcnt_vscnt null, 0x0
	s_barrier
	buffer_gl0_inv
	v_cmpx_eq_u32_e32 18, v252
	s_cbranch_execz .LBB123_244
; %bb.234:
	scratch_load_b32 v0, off, off offset:1152 ; 4-byte Folded Reload
	s_movk_i32 s3, 0xfd80
	s_waitcnt vmcnt(0)
	scratch_load_b128 v[72:75], v0, off
	v_mov_b32_e32 v0, 0
	s_waitcnt vmcnt(0)
	ds_store_2addr_b64 v255, v[72:73], v[74:75] offset1:1
	s_branch .LBB123_236
.LBB123_235:                            ;   in Loop: Header=BB123_236 Depth=1
	s_add_i32 s6, s5, 0x3e0
	s_addk_i32 s3, 0x80
	scratch_load_b128 v[72:75], off, s6
	s_add_i32 s6, s5, 0x3f0
	s_waitcnt vmcnt(0)
	ds_store_2addr_b64 v1, v[72:73], v[74:75] offset0:86 offset1:87
	scratch_load_b128 v[72:75], off, s6
	s_add_i32 s6, s5, 0x400
	s_waitcnt vmcnt(0)
	ds_store_2addr_b64 v1, v[72:73], v[74:75] offset0:88 offset1:89
	scratch_load_b128 v[72:75], off, s6
	s_add_i32 s6, s5, 0x410
	s_addk_i32 s5, 0x420
	s_waitcnt vmcnt(0)
	ds_store_2addr_b64 v1, v[72:73], v[74:75] offset0:90 offset1:91
	scratch_load_b128 v[72:75], off, s6
	s_waitcnt vmcnt(0)
	ds_store_2addr_b64 v1, v[72:73], v[74:75] offset0:92 offset1:93
	scratch_load_b128 v[72:75], off, s5
	s_waitcnt vmcnt(0)
	ds_store_2addr_b64 v1, v[72:73], v[74:75] offset0:94 offset1:95
	s_cbranch_execz .LBB123_238
.LBB123_236:                            ; =>This Inner Loop Header: Depth=1
	v_readfirstlane_b32 s5, v0
	v_add_nc_u32_e32 v1, s3, v80
	s_delay_alu instid0(VALU_DEP_2) | instskip(NEXT) | instid1(SALU_CYCLE_1)
	s_add_i32 s5, s5, s3
	s_add_i32 s6, s5, 0x3b0
	scratch_load_b128 v[72:75], off, s6
	s_add_i32 s6, s5, 0x3c0
	s_waitcnt vmcnt(0)
	ds_store_2addr_b64 v1, v[72:73], v[74:75] offset0:80 offset1:81
	scratch_load_b128 v[72:75], off, s6
	s_add_i32 s6, s5, 0x3d0
	s_cmp_eq_u32 s3, 0
	s_waitcnt vmcnt(0)
	ds_store_2addr_b64 v1, v[72:73], v[74:75] offset0:82 offset1:83
	scratch_load_b128 v[72:75], off, s6
	s_waitcnt vmcnt(0)
	ds_store_2addr_b64 v1, v[72:73], v[74:75] offset0:84 offset1:85
	s_cbranch_scc0 .LBB123_235
; %bb.237:
                                        ; implicit-def: $sgpr3
.LBB123_238:
	ds_load_2addr_b64 v[72:75], v255 offset1:1
	s_waitcnt lgkmcnt(0)
	v_cmp_neq_f64_e32 vcc_lo, 0, v[72:73]
	v_cmp_neq_f64_e64 s3, 0, v[74:75]
	s_delay_alu instid0(VALU_DEP_1) | instskip(NEXT) | instid1(SALU_CYCLE_1)
	s_or_b32 s3, vcc_lo, s3
	s_and_b32 exec_lo, exec_lo, s3
	s_cbranch_execz .LBB123_244
; %bb.239:
	v_cmp_gt_f64_e32 vcc_lo, 0, v[72:73]
	v_xor_b32_e32 v0, 0x80000000, v73
	v_xor_b32_e32 v4, 0x80000000, v75
	s_delay_alu instid0(VALU_DEP_2) | instskip(SKIP_2) | instid1(VALU_DEP_4)
	v_cndmask_b32_e32 v1, v73, v0, vcc_lo
	v_cndmask_b32_e32 v0, v72, v72, vcc_lo
	v_cmp_gt_f64_e32 vcc_lo, 0, v[74:75]
	v_dual_cndmask_b32 v5, v75, v4 :: v_dual_cndmask_b32 v4, v74, v74
	s_delay_alu instid0(VALU_DEP_1) | instskip(SKIP_1) | instid1(SALU_CYCLE_1)
	v_cmp_ngt_f64_e32 vcc_lo, v[0:1], v[4:5]
                                        ; implicit-def: $vgpr0_vgpr1
	s_and_saveexec_b32 s3, vcc_lo
	s_xor_b32 s3, exec_lo, s3
                                        ; implicit-def: $vgpr76_vgpr77_vgpr78_vgpr79
	s_cbranch_execz .LBB123_241
; %bb.240:
	v_div_scale_f64 v[0:1], null, v[74:75], v[74:75], v[72:73]
	v_div_scale_f64 v[76:77], vcc_lo, v[72:73], v[74:75], v[72:73]
	s_delay_alu instid0(VALU_DEP_2) | instskip(SKIP_2) | instid1(VALU_DEP_1)
	v_rcp_f64_e32 v[4:5], v[0:1]
	s_waitcnt_depctr 0xfff
	v_fma_f64 v[6:7], -v[0:1], v[4:5], 1.0
	v_fma_f64 v[4:5], v[4:5], v[6:7], v[4:5]
	s_delay_alu instid0(VALU_DEP_1) | instskip(NEXT) | instid1(VALU_DEP_1)
	v_fma_f64 v[6:7], -v[0:1], v[4:5], 1.0
	v_fma_f64 v[4:5], v[4:5], v[6:7], v[4:5]
	s_delay_alu instid0(VALU_DEP_1) | instskip(NEXT) | instid1(VALU_DEP_1)
	v_mul_f64 v[6:7], v[76:77], v[4:5]
	v_fma_f64 v[0:1], -v[0:1], v[6:7], v[76:77]
	s_delay_alu instid0(VALU_DEP_1) | instskip(NEXT) | instid1(VALU_DEP_1)
	v_div_fmas_f64 v[0:1], v[0:1], v[4:5], v[6:7]
	v_div_fixup_f64 v[0:1], v[0:1], v[74:75], v[72:73]
	s_delay_alu instid0(VALU_DEP_1) | instskip(NEXT) | instid1(VALU_DEP_1)
	v_fma_f64 v[4:5], v[72:73], v[0:1], v[74:75]
	v_div_scale_f64 v[6:7], null, v[4:5], v[4:5], 1.0
	s_delay_alu instid0(VALU_DEP_1) | instskip(SKIP_2) | instid1(VALU_DEP_1)
	v_rcp_f64_e32 v[72:73], v[6:7]
	s_waitcnt_depctr 0xfff
	v_fma_f64 v[74:75], -v[6:7], v[72:73], 1.0
	v_fma_f64 v[72:73], v[72:73], v[74:75], v[72:73]
	s_delay_alu instid0(VALU_DEP_1) | instskip(NEXT) | instid1(VALU_DEP_1)
	v_fma_f64 v[74:75], -v[6:7], v[72:73], 1.0
	v_fma_f64 v[72:73], v[72:73], v[74:75], v[72:73]
	v_div_scale_f64 v[74:75], vcc_lo, 1.0, v[4:5], 1.0
	s_delay_alu instid0(VALU_DEP_1) | instskip(NEXT) | instid1(VALU_DEP_1)
	v_mul_f64 v[76:77], v[74:75], v[72:73]
	v_fma_f64 v[6:7], -v[6:7], v[76:77], v[74:75]
	s_delay_alu instid0(VALU_DEP_1) | instskip(NEXT) | instid1(VALU_DEP_1)
	v_div_fmas_f64 v[6:7], v[6:7], v[72:73], v[76:77]
                                        ; implicit-def: $vgpr72_vgpr73
	v_div_fixup_f64 v[78:79], v[6:7], v[4:5], 1.0
	s_delay_alu instid0(VALU_DEP_1)
	v_mul_f64 v[0:1], v[0:1], v[78:79]
	v_xor_b32_e32 v79, 0x80000000, v79
.LBB123_241:
	s_and_not1_saveexec_b32 s3, s3
	s_cbranch_execz .LBB123_243
; %bb.242:
	v_div_scale_f64 v[0:1], null, v[72:73], v[72:73], v[74:75]
	v_div_scale_f64 v[76:77], vcc_lo, v[74:75], v[72:73], v[74:75]
	s_delay_alu instid0(VALU_DEP_2) | instskip(SKIP_2) | instid1(VALU_DEP_1)
	v_rcp_f64_e32 v[4:5], v[0:1]
	s_waitcnt_depctr 0xfff
	v_fma_f64 v[6:7], -v[0:1], v[4:5], 1.0
	v_fma_f64 v[4:5], v[4:5], v[6:7], v[4:5]
	s_delay_alu instid0(VALU_DEP_1) | instskip(NEXT) | instid1(VALU_DEP_1)
	v_fma_f64 v[6:7], -v[0:1], v[4:5], 1.0
	v_fma_f64 v[4:5], v[4:5], v[6:7], v[4:5]
	s_delay_alu instid0(VALU_DEP_1) | instskip(NEXT) | instid1(VALU_DEP_1)
	v_mul_f64 v[6:7], v[76:77], v[4:5]
	v_fma_f64 v[0:1], -v[0:1], v[6:7], v[76:77]
	s_delay_alu instid0(VALU_DEP_1) | instskip(NEXT) | instid1(VALU_DEP_1)
	v_div_fmas_f64 v[0:1], v[0:1], v[4:5], v[6:7]
	v_div_fixup_f64 v[4:5], v[0:1], v[72:73], v[74:75]
	s_delay_alu instid0(VALU_DEP_1) | instskip(NEXT) | instid1(VALU_DEP_1)
	v_fma_f64 v[0:1], v[74:75], v[4:5], v[72:73]
	v_div_scale_f64 v[6:7], null, v[0:1], v[0:1], 1.0
	s_delay_alu instid0(VALU_DEP_1) | instskip(SKIP_2) | instid1(VALU_DEP_1)
	v_rcp_f64_e32 v[72:73], v[6:7]
	s_waitcnt_depctr 0xfff
	v_fma_f64 v[74:75], -v[6:7], v[72:73], 1.0
	v_fma_f64 v[72:73], v[72:73], v[74:75], v[72:73]
	s_delay_alu instid0(VALU_DEP_1) | instskip(NEXT) | instid1(VALU_DEP_1)
	v_fma_f64 v[74:75], -v[6:7], v[72:73], 1.0
	v_fma_f64 v[72:73], v[72:73], v[74:75], v[72:73]
	v_div_scale_f64 v[74:75], vcc_lo, 1.0, v[0:1], 1.0
	s_delay_alu instid0(VALU_DEP_1) | instskip(NEXT) | instid1(VALU_DEP_1)
	v_mul_f64 v[76:77], v[74:75], v[72:73]
	v_fma_f64 v[6:7], -v[6:7], v[76:77], v[74:75]
	s_delay_alu instid0(VALU_DEP_1) | instskip(NEXT) | instid1(VALU_DEP_1)
	v_div_fmas_f64 v[6:7], v[6:7], v[72:73], v[76:77]
	v_div_fixup_f64 v[0:1], v[6:7], v[0:1], 1.0
	s_delay_alu instid0(VALU_DEP_1)
	v_mul_f64 v[78:79], v[4:5], -v[0:1]
.LBB123_243:
	s_or_b32 exec_lo, exec_lo, s3
	ds_store_2addr_b64 v255, v[0:1], v[78:79] offset1:1
.LBB123_244:
	s_or_b32 exec_lo, exec_lo, s4
	s_waitcnt lgkmcnt(0)
	s_barrier
	buffer_gl0_inv
	ds_load_2addr_b64 v[72:75], v255 offset1:1
	s_mov_b32 s3, exec_lo
	v_cmpx_lt_u32_e32 18, v252
	s_cbranch_execz .LBB123_249
; %bb.245:
	scratch_load_b128 v[81:84], off, off offset:288
	s_mov_b32 s4, 0
	s_waitcnt vmcnt(0) lgkmcnt(0)
	v_mul_f64 v[0:1], v[74:75], v[83:84]
	s_delay_alu instid0(VALU_DEP_1) | instskip(SKIP_1) | instid1(VALU_DEP_1)
	v_fma_f64 v[76:77], v[72:73], v[81:82], -v[0:1]
	v_mul_f64 v[0:1], v[72:73], v[83:84]
	v_fma_f64 v[78:79], v[74:75], v[81:82], v[0:1]
	v_mov_b32_e32 v0, 0
	scratch_store_b128 off, v[76:79], off offset:288
	s_branch .LBB123_247
.LBB123_246:                            ;   in Loop: Header=BB123_247 Depth=1
	s_and_not1_b32 vcc_lo, exec_lo, s6
	s_cbranch_vccz .LBB123_249
.LBB123_247:                            ; =>This Inner Loop Header: Depth=1
	v_add_nc_u32_e32 v1, s4, v80
	v_readfirstlane_b32 s5, v0
	ds_load_2addr_b64 v[81:84], v1 offset1:1
	s_add_i32 s5, s5, s4
	s_delay_alu instid0(SALU_CYCLE_1) | instskip(SKIP_3) | instid1(VALU_DEP_2)
	s_add_i32 s6, s5, 0x130
	s_waitcnt lgkmcnt(0)
	v_mul_f64 v[4:5], v[83:84], v[78:79]
	v_mul_f64 v[6:7], v[81:82], v[78:79]
	v_fma_f64 v[4:5], v[81:82], v[76:77], -v[4:5]
	s_delay_alu instid0(VALU_DEP_2)
	v_fma_f64 v[6:7], v[83:84], v[76:77], v[6:7]
	scratch_load_b128 v[81:84], off, s6
	s_waitcnt vmcnt(0)
	v_add_f64 v[81:82], v[81:82], -v[4:5]
	v_add_f64 v[83:84], v[83:84], -v[6:7]
	scratch_store_b128 off, v[81:84], s6
	ds_load_2addr_b64 v[81:84], v1 offset0:2 offset1:3
	s_add_i32 s6, s5, 0x140
	s_waitcnt lgkmcnt(0)
	v_mul_f64 v[4:5], v[83:84], v[78:79]
	v_mul_f64 v[6:7], v[81:82], v[78:79]
	s_delay_alu instid0(VALU_DEP_2) | instskip(NEXT) | instid1(VALU_DEP_2)
	v_fma_f64 v[4:5], v[81:82], v[76:77], -v[4:5]
	v_fma_f64 v[6:7], v[83:84], v[76:77], v[6:7]
	scratch_load_b128 v[81:84], off, s6
	s_waitcnt vmcnt(0)
	v_add_f64 v[81:82], v[81:82], -v[4:5]
	v_add_f64 v[83:84], v[83:84], -v[6:7]
	scratch_store_b128 off, v[81:84], s6
	ds_load_2addr_b64 v[81:84], v1 offset0:4 offset1:5
	s_add_i32 s6, s5, 0x150
	s_cmpk_eq_i32 s4, 0x280
	s_waitcnt lgkmcnt(0)
	v_mul_f64 v[4:5], v[83:84], v[78:79]
	v_mul_f64 v[6:7], v[81:82], v[78:79]
	s_delay_alu instid0(VALU_DEP_2) | instskip(NEXT) | instid1(VALU_DEP_2)
	v_fma_f64 v[4:5], v[81:82], v[76:77], -v[4:5]
	v_fma_f64 v[6:7], v[83:84], v[76:77], v[6:7]
	scratch_load_b128 v[81:84], off, s6
	s_waitcnt vmcnt(0)
	v_add_f64 v[81:82], v[81:82], -v[4:5]
	v_add_f64 v[83:84], v[83:84], -v[6:7]
	scratch_store_b128 off, v[81:84], s6
	s_mov_b32 s6, -1
	s_cbranch_scc1 .LBB123_246
; %bb.248:                              ;   in Loop: Header=BB123_247 Depth=1
	ds_load_2addr_b64 v[81:84], v1 offset0:6 offset1:7
	s_addk_i32 s5, 0x160
	s_add_i32 s4, s4, 64
	s_mov_b32 s6, 0
	s_waitcnt lgkmcnt(0)
	v_mul_f64 v[4:5], v[83:84], v[78:79]
	v_mul_f64 v[6:7], v[81:82], v[78:79]
	s_delay_alu instid0(VALU_DEP_2) | instskip(NEXT) | instid1(VALU_DEP_2)
	v_fma_f64 v[4:5], v[81:82], v[76:77], -v[4:5]
	v_fma_f64 v[6:7], v[83:84], v[76:77], v[6:7]
	scratch_load_b128 v[81:84], off, s5
	s_waitcnt vmcnt(0)
	v_add_f64 v[81:82], v[81:82], -v[4:5]
	v_add_f64 v[83:84], v[83:84], -v[6:7]
	scratch_store_b128 off, v[81:84], s5
	s_branch .LBB123_246
.LBB123_249:
	s_or_b32 exec_lo, exec_lo, s3
	v_add3_u32 v84, v180, 0, 0x140
	s_mov_b32 s4, exec_lo
	s_waitcnt lgkmcnt(0)
	s_waitcnt_vscnt null, 0x0
	s_barrier
	buffer_gl0_inv
	v_cmpx_eq_u32_e32 19, v252
	s_cbranch_execz .LBB123_258
; %bb.250:
	scratch_load_b32 v0, off, off offset:1148 ; 4-byte Folded Reload
	s_movk_i32 s3, 0xfd60
	s_waitcnt vmcnt(0)
	scratch_load_b128 v[76:79], v0, off
	v_mov_b32_e32 v0, 0
	s_waitcnt vmcnt(0)
	ds_store_2addr_b64 v255, v[76:77], v[78:79] offset1:1
.LBB123_251:                            ; =>This Inner Loop Header: Depth=1
	v_readfirstlane_b32 s5, v0
	v_add_nc_u32_e32 v1, s3, v84
	s_delay_alu instid0(VALU_DEP_2)
	s_add_i32 s5, s5, s3
	s_addk_i32 s3, 0xe0
	s_add_i32 s6, s5, 0x3e0
	scratch_load_b128 v[76:79], off, s6
	s_add_i32 s6, s5, 0x3f0
	s_waitcnt vmcnt(0)
	ds_store_2addr_b64 v1, v[76:77], v[78:79] offset0:84 offset1:85
	scratch_load_b128 v[76:79], off, s6
	s_add_i32 s6, s5, 0x400
	s_waitcnt vmcnt(0)
	ds_store_2addr_b64 v1, v[76:77], v[78:79] offset0:86 offset1:87
	;; [unrolled: 4-line block ×11, first 2 shown]
	scratch_load_b128 v[76:79], off, s6
	s_add_i32 s6, s5, 0x4a0
	s_addk_i32 s5, 0x4b0
	s_cmp_lg_u32 s3, 0
	s_waitcnt vmcnt(0)
	ds_store_2addr_b64 v1, v[76:77], v[78:79] offset0:106 offset1:107
	scratch_load_b128 v[76:79], off, s6
	s_waitcnt vmcnt(0)
	ds_store_2addr_b64 v1, v[76:77], v[78:79] offset0:108 offset1:109
	scratch_load_b128 v[76:79], off, s5
	s_waitcnt vmcnt(0)
	ds_store_2addr_b64 v1, v[76:77], v[78:79] offset0:110 offset1:111
	s_cbranch_scc1 .LBB123_251
; %bb.252:
	ds_load_2addr_b64 v[76:79], v255 offset1:1
	s_waitcnt lgkmcnt(0)
	v_cmp_neq_f64_e32 vcc_lo, 0, v[76:77]
	v_cmp_neq_f64_e64 s3, 0, v[78:79]
	s_delay_alu instid0(VALU_DEP_1) | instskip(NEXT) | instid1(SALU_CYCLE_1)
	s_or_b32 s3, vcc_lo, s3
	s_and_b32 exec_lo, exec_lo, s3
	s_cbranch_execz .LBB123_258
; %bb.253:
	v_cmp_gt_f64_e32 vcc_lo, 0, v[76:77]
	v_xor_b32_e32 v0, 0x80000000, v77
	v_xor_b32_e32 v4, 0x80000000, v79
	s_delay_alu instid0(VALU_DEP_2) | instskip(SKIP_2) | instid1(VALU_DEP_4)
	v_cndmask_b32_e32 v1, v77, v0, vcc_lo
	v_cndmask_b32_e32 v0, v76, v76, vcc_lo
	v_cmp_gt_f64_e32 vcc_lo, 0, v[78:79]
	v_dual_cndmask_b32 v5, v79, v4 :: v_dual_cndmask_b32 v4, v78, v78
	s_delay_alu instid0(VALU_DEP_1) | instskip(SKIP_1) | instid1(SALU_CYCLE_1)
	v_cmp_ngt_f64_e32 vcc_lo, v[0:1], v[4:5]
                                        ; implicit-def: $vgpr0_vgpr1
	s_and_saveexec_b32 s3, vcc_lo
	s_xor_b32 s3, exec_lo, s3
                                        ; implicit-def: $vgpr80_vgpr81_vgpr82_vgpr83
	s_cbranch_execz .LBB123_255
; %bb.254:
	v_div_scale_f64 v[0:1], null, v[78:79], v[78:79], v[76:77]
	v_div_scale_f64 v[80:81], vcc_lo, v[76:77], v[78:79], v[76:77]
	s_delay_alu instid0(VALU_DEP_2) | instskip(SKIP_2) | instid1(VALU_DEP_1)
	v_rcp_f64_e32 v[4:5], v[0:1]
	s_waitcnt_depctr 0xfff
	v_fma_f64 v[6:7], -v[0:1], v[4:5], 1.0
	v_fma_f64 v[4:5], v[4:5], v[6:7], v[4:5]
	s_delay_alu instid0(VALU_DEP_1) | instskip(NEXT) | instid1(VALU_DEP_1)
	v_fma_f64 v[6:7], -v[0:1], v[4:5], 1.0
	v_fma_f64 v[4:5], v[4:5], v[6:7], v[4:5]
	s_delay_alu instid0(VALU_DEP_1) | instskip(NEXT) | instid1(VALU_DEP_1)
	v_mul_f64 v[6:7], v[80:81], v[4:5]
	v_fma_f64 v[0:1], -v[0:1], v[6:7], v[80:81]
	s_delay_alu instid0(VALU_DEP_1) | instskip(NEXT) | instid1(VALU_DEP_1)
	v_div_fmas_f64 v[0:1], v[0:1], v[4:5], v[6:7]
	v_div_fixup_f64 v[0:1], v[0:1], v[78:79], v[76:77]
	s_delay_alu instid0(VALU_DEP_1) | instskip(NEXT) | instid1(VALU_DEP_1)
	v_fma_f64 v[4:5], v[76:77], v[0:1], v[78:79]
	v_div_scale_f64 v[6:7], null, v[4:5], v[4:5], 1.0
	s_delay_alu instid0(VALU_DEP_1) | instskip(SKIP_2) | instid1(VALU_DEP_1)
	v_rcp_f64_e32 v[76:77], v[6:7]
	s_waitcnt_depctr 0xfff
	v_fma_f64 v[78:79], -v[6:7], v[76:77], 1.0
	v_fma_f64 v[76:77], v[76:77], v[78:79], v[76:77]
	s_delay_alu instid0(VALU_DEP_1) | instskip(NEXT) | instid1(VALU_DEP_1)
	v_fma_f64 v[78:79], -v[6:7], v[76:77], 1.0
	v_fma_f64 v[76:77], v[76:77], v[78:79], v[76:77]
	v_div_scale_f64 v[78:79], vcc_lo, 1.0, v[4:5], 1.0
	s_delay_alu instid0(VALU_DEP_1) | instskip(NEXT) | instid1(VALU_DEP_1)
	v_mul_f64 v[80:81], v[78:79], v[76:77]
	v_fma_f64 v[6:7], -v[6:7], v[80:81], v[78:79]
	s_delay_alu instid0(VALU_DEP_1) | instskip(NEXT) | instid1(VALU_DEP_1)
	v_div_fmas_f64 v[6:7], v[6:7], v[76:77], v[80:81]
                                        ; implicit-def: $vgpr76_vgpr77
	v_div_fixup_f64 v[82:83], v[6:7], v[4:5], 1.0
	s_delay_alu instid0(VALU_DEP_1)
	v_mul_f64 v[0:1], v[0:1], v[82:83]
	v_xor_b32_e32 v83, 0x80000000, v83
.LBB123_255:
	s_and_not1_saveexec_b32 s3, s3
	s_cbranch_execz .LBB123_257
; %bb.256:
	v_div_scale_f64 v[0:1], null, v[76:77], v[76:77], v[78:79]
	v_div_scale_f64 v[80:81], vcc_lo, v[78:79], v[76:77], v[78:79]
	s_delay_alu instid0(VALU_DEP_2) | instskip(SKIP_2) | instid1(VALU_DEP_1)
	v_rcp_f64_e32 v[4:5], v[0:1]
	s_waitcnt_depctr 0xfff
	v_fma_f64 v[6:7], -v[0:1], v[4:5], 1.0
	v_fma_f64 v[4:5], v[4:5], v[6:7], v[4:5]
	s_delay_alu instid0(VALU_DEP_1) | instskip(NEXT) | instid1(VALU_DEP_1)
	v_fma_f64 v[6:7], -v[0:1], v[4:5], 1.0
	v_fma_f64 v[4:5], v[4:5], v[6:7], v[4:5]
	s_delay_alu instid0(VALU_DEP_1) | instskip(NEXT) | instid1(VALU_DEP_1)
	v_mul_f64 v[6:7], v[80:81], v[4:5]
	v_fma_f64 v[0:1], -v[0:1], v[6:7], v[80:81]
	s_delay_alu instid0(VALU_DEP_1) | instskip(NEXT) | instid1(VALU_DEP_1)
	v_div_fmas_f64 v[0:1], v[0:1], v[4:5], v[6:7]
	v_div_fixup_f64 v[4:5], v[0:1], v[76:77], v[78:79]
	s_delay_alu instid0(VALU_DEP_1) | instskip(NEXT) | instid1(VALU_DEP_1)
	v_fma_f64 v[0:1], v[78:79], v[4:5], v[76:77]
	v_div_scale_f64 v[6:7], null, v[0:1], v[0:1], 1.0
	s_delay_alu instid0(VALU_DEP_1) | instskip(SKIP_2) | instid1(VALU_DEP_1)
	v_rcp_f64_e32 v[76:77], v[6:7]
	s_waitcnt_depctr 0xfff
	v_fma_f64 v[78:79], -v[6:7], v[76:77], 1.0
	v_fma_f64 v[76:77], v[76:77], v[78:79], v[76:77]
	s_delay_alu instid0(VALU_DEP_1) | instskip(NEXT) | instid1(VALU_DEP_1)
	v_fma_f64 v[78:79], -v[6:7], v[76:77], 1.0
	v_fma_f64 v[76:77], v[76:77], v[78:79], v[76:77]
	v_div_scale_f64 v[78:79], vcc_lo, 1.0, v[0:1], 1.0
	s_delay_alu instid0(VALU_DEP_1) | instskip(NEXT) | instid1(VALU_DEP_1)
	v_mul_f64 v[80:81], v[78:79], v[76:77]
	v_fma_f64 v[6:7], -v[6:7], v[80:81], v[78:79]
	s_delay_alu instid0(VALU_DEP_1) | instskip(NEXT) | instid1(VALU_DEP_1)
	v_div_fmas_f64 v[6:7], v[6:7], v[76:77], v[80:81]
	v_div_fixup_f64 v[0:1], v[6:7], v[0:1], 1.0
	s_delay_alu instid0(VALU_DEP_1)
	v_mul_f64 v[82:83], v[4:5], -v[0:1]
.LBB123_257:
	s_or_b32 exec_lo, exec_lo, s3
	ds_store_2addr_b64 v255, v[0:1], v[82:83] offset1:1
.LBB123_258:
	s_or_b32 exec_lo, exec_lo, s4
	s_waitcnt lgkmcnt(0)
	s_barrier
	buffer_gl0_inv
	ds_load_2addr_b64 v[76:79], v255 offset1:1
	s_mov_b32 s3, exec_lo
	v_cmpx_lt_u32_e32 19, v252
	s_cbranch_execz .LBB123_261
; %bb.259:
	scratch_load_b128 v[85:88], off, off offset:304
	s_mov_b32 s4, 0
	s_waitcnt vmcnt(0) lgkmcnt(0)
	v_mul_f64 v[0:1], v[78:79], v[87:88]
	s_delay_alu instid0(VALU_DEP_1) | instskip(SKIP_1) | instid1(VALU_DEP_1)
	v_fma_f64 v[80:81], v[76:77], v[85:86], -v[0:1]
	v_mul_f64 v[0:1], v[76:77], v[87:88]
	v_fma_f64 v[82:83], v[78:79], v[85:86], v[0:1]
	v_mov_b32_e32 v0, 0
	scratch_store_b128 off, v[80:83], off offset:304
.LBB123_260:                            ; =>This Inner Loop Header: Depth=1
	v_add_nc_u32_e32 v1, s4, v84
	v_readfirstlane_b32 s5, v0
	ds_load_2addr_b64 v[85:88], v1 offset1:1
	s_add_i32 s5, s5, s4
	s_addk_i32 s4, 0x70
	s_add_i32 s6, s5, 0x140
	s_waitcnt lgkmcnt(0)
	v_mul_f64 v[4:5], v[87:88], v[82:83]
	v_mul_f64 v[6:7], v[85:86], v[82:83]
	s_delay_alu instid0(VALU_DEP_2) | instskip(NEXT) | instid1(VALU_DEP_2)
	v_fma_f64 v[4:5], v[85:86], v[80:81], -v[4:5]
	v_fma_f64 v[6:7], v[87:88], v[80:81], v[6:7]
	scratch_load_b128 v[85:88], off, s6
	s_waitcnt vmcnt(0)
	v_add_f64 v[85:86], v[85:86], -v[4:5]
	v_add_f64 v[87:88], v[87:88], -v[6:7]
	scratch_store_b128 off, v[85:88], s6
	ds_load_2addr_b64 v[85:88], v1 offset0:2 offset1:3
	s_add_i32 s6, s5, 0x150
	s_waitcnt lgkmcnt(0)
	v_mul_f64 v[4:5], v[87:88], v[82:83]
	v_mul_f64 v[6:7], v[85:86], v[82:83]
	s_delay_alu instid0(VALU_DEP_2) | instskip(NEXT) | instid1(VALU_DEP_2)
	v_fma_f64 v[4:5], v[85:86], v[80:81], -v[4:5]
	v_fma_f64 v[6:7], v[87:88], v[80:81], v[6:7]
	scratch_load_b128 v[85:88], off, s6
	s_waitcnt vmcnt(0)
	v_add_f64 v[85:86], v[85:86], -v[4:5]
	v_add_f64 v[87:88], v[87:88], -v[6:7]
	scratch_store_b128 off, v[85:88], s6
	ds_load_2addr_b64 v[85:88], v1 offset0:4 offset1:5
	s_add_i32 s6, s5, 0x160
	s_waitcnt lgkmcnt(0)
	v_mul_f64 v[4:5], v[87:88], v[82:83]
	v_mul_f64 v[6:7], v[85:86], v[82:83]
	s_delay_alu instid0(VALU_DEP_2) | instskip(NEXT) | instid1(VALU_DEP_2)
	v_fma_f64 v[4:5], v[85:86], v[80:81], -v[4:5]
	v_fma_f64 v[6:7], v[87:88], v[80:81], v[6:7]
	scratch_load_b128 v[85:88], off, s6
	s_waitcnt vmcnt(0)
	v_add_f64 v[85:86], v[85:86], -v[4:5]
	v_add_f64 v[87:88], v[87:88], -v[6:7]
	scratch_store_b128 off, v[85:88], s6
	ds_load_2addr_b64 v[85:88], v1 offset0:6 offset1:7
	s_add_i32 s6, s5, 0x170
	s_waitcnt lgkmcnt(0)
	v_mul_f64 v[4:5], v[87:88], v[82:83]
	v_mul_f64 v[6:7], v[85:86], v[82:83]
	s_delay_alu instid0(VALU_DEP_2) | instskip(NEXT) | instid1(VALU_DEP_2)
	v_fma_f64 v[4:5], v[85:86], v[80:81], -v[4:5]
	v_fma_f64 v[6:7], v[87:88], v[80:81], v[6:7]
	scratch_load_b128 v[85:88], off, s6
	s_waitcnt vmcnt(0)
	v_add_f64 v[85:86], v[85:86], -v[4:5]
	v_add_f64 v[87:88], v[87:88], -v[6:7]
	scratch_store_b128 off, v[85:88], s6
	ds_load_2addr_b64 v[85:88], v1 offset0:8 offset1:9
	s_add_i32 s6, s5, 0x180
	s_waitcnt lgkmcnt(0)
	v_mul_f64 v[4:5], v[87:88], v[82:83]
	v_mul_f64 v[6:7], v[85:86], v[82:83]
	s_delay_alu instid0(VALU_DEP_2) | instskip(NEXT) | instid1(VALU_DEP_2)
	v_fma_f64 v[4:5], v[85:86], v[80:81], -v[4:5]
	v_fma_f64 v[6:7], v[87:88], v[80:81], v[6:7]
	scratch_load_b128 v[85:88], off, s6
	s_waitcnt vmcnt(0)
	v_add_f64 v[85:86], v[85:86], -v[4:5]
	v_add_f64 v[87:88], v[87:88], -v[6:7]
	scratch_store_b128 off, v[85:88], s6
	ds_load_2addr_b64 v[85:88], v1 offset0:10 offset1:11
	s_add_i32 s6, s5, 0x190
	s_addk_i32 s5, 0x1a0
	s_cmpk_lg_i32 s4, 0x2a0
	s_waitcnt lgkmcnt(0)
	v_mul_f64 v[4:5], v[87:88], v[82:83]
	v_mul_f64 v[6:7], v[85:86], v[82:83]
	s_delay_alu instid0(VALU_DEP_2) | instskip(NEXT) | instid1(VALU_DEP_2)
	v_fma_f64 v[4:5], v[85:86], v[80:81], -v[4:5]
	v_fma_f64 v[6:7], v[87:88], v[80:81], v[6:7]
	scratch_load_b128 v[80:83], off, s6
	ds_load_2addr_b64 v[85:88], v1 offset0:12 offset1:13
	s_waitcnt vmcnt(0)
	v_add_f64 v[80:81], v[80:81], -v[4:5]
	v_add_f64 v[82:83], v[82:83], -v[6:7]
	scratch_store_b128 off, v[80:83], s6
	scratch_load_b128 v[80:83], off, off offset:304
	s_waitcnt vmcnt(0) lgkmcnt(0)
	v_mul_f64 v[4:5], v[87:88], v[82:83]
	v_mul_f64 v[6:7], v[85:86], v[82:83]
	s_delay_alu instid0(VALU_DEP_2) | instskip(NEXT) | instid1(VALU_DEP_2)
	v_fma_f64 v[4:5], v[85:86], v[80:81], -v[4:5]
	v_fma_f64 v[6:7], v[87:88], v[80:81], v[6:7]
	scratch_load_b128 v[85:88], off, s5
	s_waitcnt vmcnt(0)
	v_add_f64 v[85:86], v[85:86], -v[4:5]
	v_add_f64 v[87:88], v[87:88], -v[6:7]
	scratch_store_b128 off, v[85:88], s5
	s_cbranch_scc1 .LBB123_260
.LBB123_261:
	s_or_b32 exec_lo, exec_lo, s3
	v_add3_u32 v88, v180, 0, 0x150
	s_mov_b32 s4, exec_lo
	s_waitcnt lgkmcnt(0)
	s_waitcnt_vscnt null, 0x0
	s_barrier
	buffer_gl0_inv
	v_cmpx_eq_u32_e32 20, v252
	s_cbranch_execz .LBB123_272
; %bb.262:
	scratch_load_b32 v0, off, off offset:1144 ; 4-byte Folded Reload
	s_movk_i32 s3, 0xfd80
	s_waitcnt vmcnt(0)
	scratch_load_b128 v[80:83], v0, off
	v_mov_b32_e32 v0, 0
	s_waitcnt vmcnt(0)
	ds_store_2addr_b64 v255, v[80:81], v[82:83] offset1:1
	s_branch .LBB123_264
.LBB123_263:                            ;   in Loop: Header=BB123_264 Depth=1
	s_add_i32 s6, s5, 0x3e0
	s_addk_i32 s3, 0x80
	scratch_load_b128 v[80:83], off, s6
	s_add_i32 s6, s5, 0x3f0
	s_waitcnt vmcnt(0)
	ds_store_2addr_b64 v1, v[80:81], v[82:83] offset0:82 offset1:83
	scratch_load_b128 v[80:83], off, s6
	s_add_i32 s6, s5, 0x400
	s_waitcnt vmcnt(0)
	ds_store_2addr_b64 v1, v[80:81], v[82:83] offset0:84 offset1:85
	;; [unrolled: 4-line block ×4, first 2 shown]
	scratch_load_b128 v[80:83], off, s6
	s_add_i32 s6, s5, 0x430
	s_addk_i32 s5, 0x440
	s_waitcnt vmcnt(0)
	ds_store_2addr_b64 v1, v[80:81], v[82:83] offset0:90 offset1:91
	scratch_load_b128 v[80:83], off, s6
	s_waitcnt vmcnt(0)
	ds_store_2addr_b64 v1, v[80:81], v[82:83] offset0:92 offset1:93
	scratch_load_b128 v[80:83], off, s5
	s_waitcnt vmcnt(0)
	ds_store_2addr_b64 v1, v[80:81], v[82:83] offset0:94 offset1:95
	s_cbranch_execz .LBB123_266
.LBB123_264:                            ; =>This Inner Loop Header: Depth=1
	v_readfirstlane_b32 s5, v0
	v_add_nc_u32_e32 v1, s3, v88
	s_delay_alu instid0(VALU_DEP_2) | instskip(NEXT) | instid1(SALU_CYCLE_1)
	s_add_i32 s5, s5, s3
	s_add_i32 s6, s5, 0x3d0
	s_cmp_eq_u32 s3, 0
	scratch_load_b128 v[80:83], off, s6
	s_waitcnt vmcnt(0)
	ds_store_2addr_b64 v1, v[80:81], v[82:83] offset0:80 offset1:81
	s_cbranch_scc0 .LBB123_263
; %bb.265:
                                        ; implicit-def: $sgpr3
.LBB123_266:
	ds_load_2addr_b64 v[80:83], v255 offset1:1
	s_waitcnt lgkmcnt(0)
	v_cmp_neq_f64_e32 vcc_lo, 0, v[80:81]
	v_cmp_neq_f64_e64 s3, 0, v[82:83]
	s_delay_alu instid0(VALU_DEP_1) | instskip(NEXT) | instid1(SALU_CYCLE_1)
	s_or_b32 s3, vcc_lo, s3
	s_and_b32 exec_lo, exec_lo, s3
	s_cbranch_execz .LBB123_272
; %bb.267:
	v_cmp_gt_f64_e32 vcc_lo, 0, v[80:81]
	v_xor_b32_e32 v0, 0x80000000, v81
	v_xor_b32_e32 v4, 0x80000000, v83
	s_delay_alu instid0(VALU_DEP_2) | instskip(SKIP_2) | instid1(VALU_DEP_4)
	v_cndmask_b32_e32 v1, v81, v0, vcc_lo
	v_cndmask_b32_e32 v0, v80, v80, vcc_lo
	v_cmp_gt_f64_e32 vcc_lo, 0, v[82:83]
	v_dual_cndmask_b32 v5, v83, v4 :: v_dual_cndmask_b32 v4, v82, v82
	s_delay_alu instid0(VALU_DEP_1) | instskip(SKIP_1) | instid1(SALU_CYCLE_1)
	v_cmp_ngt_f64_e32 vcc_lo, v[0:1], v[4:5]
                                        ; implicit-def: $vgpr0_vgpr1
	s_and_saveexec_b32 s3, vcc_lo
	s_xor_b32 s3, exec_lo, s3
                                        ; implicit-def: $vgpr84_vgpr85_vgpr86_vgpr87
	s_cbranch_execz .LBB123_269
; %bb.268:
	v_div_scale_f64 v[0:1], null, v[82:83], v[82:83], v[80:81]
	v_div_scale_f64 v[84:85], vcc_lo, v[80:81], v[82:83], v[80:81]
	s_delay_alu instid0(VALU_DEP_2) | instskip(SKIP_2) | instid1(VALU_DEP_1)
	v_rcp_f64_e32 v[4:5], v[0:1]
	s_waitcnt_depctr 0xfff
	v_fma_f64 v[6:7], -v[0:1], v[4:5], 1.0
	v_fma_f64 v[4:5], v[4:5], v[6:7], v[4:5]
	s_delay_alu instid0(VALU_DEP_1) | instskip(NEXT) | instid1(VALU_DEP_1)
	v_fma_f64 v[6:7], -v[0:1], v[4:5], 1.0
	v_fma_f64 v[4:5], v[4:5], v[6:7], v[4:5]
	s_delay_alu instid0(VALU_DEP_1) | instskip(NEXT) | instid1(VALU_DEP_1)
	v_mul_f64 v[6:7], v[84:85], v[4:5]
	v_fma_f64 v[0:1], -v[0:1], v[6:7], v[84:85]
	s_delay_alu instid0(VALU_DEP_1) | instskip(NEXT) | instid1(VALU_DEP_1)
	v_div_fmas_f64 v[0:1], v[0:1], v[4:5], v[6:7]
	v_div_fixup_f64 v[0:1], v[0:1], v[82:83], v[80:81]
	s_delay_alu instid0(VALU_DEP_1) | instskip(NEXT) | instid1(VALU_DEP_1)
	v_fma_f64 v[4:5], v[80:81], v[0:1], v[82:83]
	v_div_scale_f64 v[6:7], null, v[4:5], v[4:5], 1.0
	s_delay_alu instid0(VALU_DEP_1) | instskip(SKIP_2) | instid1(VALU_DEP_1)
	v_rcp_f64_e32 v[80:81], v[6:7]
	s_waitcnt_depctr 0xfff
	v_fma_f64 v[82:83], -v[6:7], v[80:81], 1.0
	v_fma_f64 v[80:81], v[80:81], v[82:83], v[80:81]
	s_delay_alu instid0(VALU_DEP_1) | instskip(NEXT) | instid1(VALU_DEP_1)
	v_fma_f64 v[82:83], -v[6:7], v[80:81], 1.0
	v_fma_f64 v[80:81], v[80:81], v[82:83], v[80:81]
	v_div_scale_f64 v[82:83], vcc_lo, 1.0, v[4:5], 1.0
	s_delay_alu instid0(VALU_DEP_1) | instskip(NEXT) | instid1(VALU_DEP_1)
	v_mul_f64 v[84:85], v[82:83], v[80:81]
	v_fma_f64 v[6:7], -v[6:7], v[84:85], v[82:83]
	s_delay_alu instid0(VALU_DEP_1) | instskip(NEXT) | instid1(VALU_DEP_1)
	v_div_fmas_f64 v[6:7], v[6:7], v[80:81], v[84:85]
                                        ; implicit-def: $vgpr80_vgpr81
	v_div_fixup_f64 v[86:87], v[6:7], v[4:5], 1.0
	s_delay_alu instid0(VALU_DEP_1)
	v_mul_f64 v[0:1], v[0:1], v[86:87]
	v_xor_b32_e32 v87, 0x80000000, v87
.LBB123_269:
	s_and_not1_saveexec_b32 s3, s3
	s_cbranch_execz .LBB123_271
; %bb.270:
	v_div_scale_f64 v[0:1], null, v[80:81], v[80:81], v[82:83]
	v_div_scale_f64 v[84:85], vcc_lo, v[82:83], v[80:81], v[82:83]
	s_delay_alu instid0(VALU_DEP_2) | instskip(SKIP_2) | instid1(VALU_DEP_1)
	v_rcp_f64_e32 v[4:5], v[0:1]
	s_waitcnt_depctr 0xfff
	v_fma_f64 v[6:7], -v[0:1], v[4:5], 1.0
	v_fma_f64 v[4:5], v[4:5], v[6:7], v[4:5]
	s_delay_alu instid0(VALU_DEP_1) | instskip(NEXT) | instid1(VALU_DEP_1)
	v_fma_f64 v[6:7], -v[0:1], v[4:5], 1.0
	v_fma_f64 v[4:5], v[4:5], v[6:7], v[4:5]
	s_delay_alu instid0(VALU_DEP_1) | instskip(NEXT) | instid1(VALU_DEP_1)
	v_mul_f64 v[6:7], v[84:85], v[4:5]
	v_fma_f64 v[0:1], -v[0:1], v[6:7], v[84:85]
	s_delay_alu instid0(VALU_DEP_1) | instskip(NEXT) | instid1(VALU_DEP_1)
	v_div_fmas_f64 v[0:1], v[0:1], v[4:5], v[6:7]
	v_div_fixup_f64 v[4:5], v[0:1], v[80:81], v[82:83]
	s_delay_alu instid0(VALU_DEP_1) | instskip(NEXT) | instid1(VALU_DEP_1)
	v_fma_f64 v[0:1], v[82:83], v[4:5], v[80:81]
	v_div_scale_f64 v[6:7], null, v[0:1], v[0:1], 1.0
	s_delay_alu instid0(VALU_DEP_1) | instskip(SKIP_2) | instid1(VALU_DEP_1)
	v_rcp_f64_e32 v[80:81], v[6:7]
	s_waitcnt_depctr 0xfff
	v_fma_f64 v[82:83], -v[6:7], v[80:81], 1.0
	v_fma_f64 v[80:81], v[80:81], v[82:83], v[80:81]
	s_delay_alu instid0(VALU_DEP_1) | instskip(NEXT) | instid1(VALU_DEP_1)
	v_fma_f64 v[82:83], -v[6:7], v[80:81], 1.0
	v_fma_f64 v[80:81], v[80:81], v[82:83], v[80:81]
	v_div_scale_f64 v[82:83], vcc_lo, 1.0, v[0:1], 1.0
	s_delay_alu instid0(VALU_DEP_1) | instskip(NEXT) | instid1(VALU_DEP_1)
	v_mul_f64 v[84:85], v[82:83], v[80:81]
	v_fma_f64 v[6:7], -v[6:7], v[84:85], v[82:83]
	s_delay_alu instid0(VALU_DEP_1) | instskip(NEXT) | instid1(VALU_DEP_1)
	v_div_fmas_f64 v[6:7], v[6:7], v[80:81], v[84:85]
	v_div_fixup_f64 v[0:1], v[6:7], v[0:1], 1.0
	s_delay_alu instid0(VALU_DEP_1)
	v_mul_f64 v[86:87], v[4:5], -v[0:1]
.LBB123_271:
	s_or_b32 exec_lo, exec_lo, s3
	ds_store_2addr_b64 v255, v[0:1], v[86:87] offset1:1
.LBB123_272:
	s_or_b32 exec_lo, exec_lo, s4
	s_waitcnt lgkmcnt(0)
	s_barrier
	buffer_gl0_inv
	ds_load_2addr_b64 v[80:83], v255 offset1:1
	s_mov_b32 s3, exec_lo
	v_cmpx_lt_u32_e32 20, v252
	s_cbranch_execz .LBB123_277
; %bb.273:
	scratch_load_b128 v[89:92], off, off offset:320
	s_mov_b32 s4, 0
	s_waitcnt vmcnt(0) lgkmcnt(0)
	v_mul_f64 v[0:1], v[82:83], v[91:92]
	s_delay_alu instid0(VALU_DEP_1) | instskip(SKIP_1) | instid1(VALU_DEP_1)
	v_fma_f64 v[84:85], v[80:81], v[89:90], -v[0:1]
	v_mul_f64 v[0:1], v[80:81], v[91:92]
	v_fma_f64 v[86:87], v[82:83], v[89:90], v[0:1]
	v_mov_b32_e32 v0, 0
	scratch_store_b128 off, v[84:87], off offset:320
	s_branch .LBB123_275
.LBB123_274:                            ;   in Loop: Header=BB123_275 Depth=1
	s_and_not1_b32 vcc_lo, exec_lo, s6
	s_cbranch_vccz .LBB123_277
.LBB123_275:                            ; =>This Inner Loop Header: Depth=1
	v_add_nc_u32_e32 v1, s4, v88
	v_readfirstlane_b32 s5, v0
	ds_load_2addr_b64 v[89:92], v1 offset1:1
	s_add_i32 s5, s5, s4
	s_delay_alu instid0(SALU_CYCLE_1) | instskip(SKIP_4) | instid1(VALU_DEP_2)
	s_add_i32 s6, s5, 0x150
	s_cmpk_eq_i32 s4, 0x280
	s_waitcnt lgkmcnt(0)
	v_mul_f64 v[4:5], v[91:92], v[86:87]
	v_mul_f64 v[6:7], v[89:90], v[86:87]
	v_fma_f64 v[4:5], v[89:90], v[84:85], -v[4:5]
	s_delay_alu instid0(VALU_DEP_2)
	v_fma_f64 v[6:7], v[91:92], v[84:85], v[6:7]
	scratch_load_b128 v[89:92], off, s6
	s_waitcnt vmcnt(0)
	v_add_f64 v[89:90], v[89:90], -v[4:5]
	v_add_f64 v[91:92], v[91:92], -v[6:7]
	scratch_store_b128 off, v[89:92], s6
	s_mov_b32 s6, -1
	s_cbranch_scc1 .LBB123_274
; %bb.276:                              ;   in Loop: Header=BB123_275 Depth=1
	ds_load_2addr_b64 v[89:92], v1 offset0:2 offset1:3
	s_add_i32 s6, s5, 0x160
	s_add_i32 s4, s4, 64
	s_waitcnt lgkmcnt(0)
	v_mul_f64 v[4:5], v[91:92], v[86:87]
	v_mul_f64 v[6:7], v[89:90], v[86:87]
	s_delay_alu instid0(VALU_DEP_2) | instskip(NEXT) | instid1(VALU_DEP_2)
	v_fma_f64 v[4:5], v[89:90], v[84:85], -v[4:5]
	v_fma_f64 v[6:7], v[91:92], v[84:85], v[6:7]
	scratch_load_b128 v[89:92], off, s6
	s_waitcnt vmcnt(0)
	v_add_f64 v[89:90], v[89:90], -v[4:5]
	v_add_f64 v[91:92], v[91:92], -v[6:7]
	scratch_store_b128 off, v[89:92], s6
	ds_load_2addr_b64 v[89:92], v1 offset0:4 offset1:5
	s_add_i32 s6, s5, 0x170
	s_addk_i32 s5, 0x180
	s_waitcnt lgkmcnt(0)
	v_mul_f64 v[4:5], v[91:92], v[86:87]
	v_mul_f64 v[6:7], v[89:90], v[86:87]
	s_delay_alu instid0(VALU_DEP_2) | instskip(NEXT) | instid1(VALU_DEP_2)
	v_fma_f64 v[4:5], v[89:90], v[84:85], -v[4:5]
	v_fma_f64 v[6:7], v[91:92], v[84:85], v[6:7]
	scratch_load_b128 v[89:92], off, s6
	s_waitcnt vmcnt(0)
	v_add_f64 v[89:90], v[89:90], -v[4:5]
	v_add_f64 v[91:92], v[91:92], -v[6:7]
	scratch_store_b128 off, v[89:92], s6
	ds_load_2addr_b64 v[89:92], v1 offset0:6 offset1:7
	s_mov_b32 s6, 0
	s_waitcnt lgkmcnt(0)
	v_mul_f64 v[4:5], v[91:92], v[86:87]
	v_mul_f64 v[6:7], v[89:90], v[86:87]
	s_delay_alu instid0(VALU_DEP_2) | instskip(NEXT) | instid1(VALU_DEP_2)
	v_fma_f64 v[4:5], v[89:90], v[84:85], -v[4:5]
	v_fma_f64 v[6:7], v[91:92], v[84:85], v[6:7]
	scratch_load_b128 v[89:92], off, s5
	s_waitcnt vmcnt(0)
	v_add_f64 v[89:90], v[89:90], -v[4:5]
	v_add_f64 v[91:92], v[91:92], -v[6:7]
	scratch_store_b128 off, v[89:92], s5
	s_branch .LBB123_274
.LBB123_277:
	s_or_b32 exec_lo, exec_lo, s3
	v_add3_u32 v92, v180, 0, 0x160
	s_mov_b32 s4, exec_lo
	s_waitcnt lgkmcnt(0)
	s_waitcnt_vscnt null, 0x0
	s_barrier
	buffer_gl0_inv
	v_cmpx_eq_u32_e32 21, v252
	s_cbranch_execz .LBB123_286
; %bb.278:
	scratch_load_b32 v0, off, off offset:1140 ; 4-byte Folded Reload
	s_movk_i32 s3, 0xfd80
	s_waitcnt vmcnt(0)
	scratch_load_b128 v[84:87], v0, off
	v_mov_b32_e32 v0, 0
	s_waitcnt vmcnt(0)
	ds_store_2addr_b64 v255, v[84:85], v[86:87] offset1:1
.LBB123_279:                            ; =>This Inner Loop Header: Depth=1
	v_readfirstlane_b32 s5, v0
	v_add_nc_u32_e32 v1, s3, v92
	s_delay_alu instid0(VALU_DEP_2)
	s_add_i32 s5, s5, s3
	s_addk_i32 s3, 0xa0
	s_add_i32 s6, s5, 0x3e0
	scratch_load_b128 v[84:87], off, s6
	s_add_i32 s6, s5, 0x3f0
	s_waitcnt vmcnt(0)
	ds_store_2addr_b64 v1, v[84:85], v[86:87] offset0:80 offset1:81
	scratch_load_b128 v[84:87], off, s6
	s_add_i32 s6, s5, 0x400
	s_waitcnt vmcnt(0)
	ds_store_2addr_b64 v1, v[84:85], v[86:87] offset0:82 offset1:83
	;; [unrolled: 4-line block ×7, first 2 shown]
	scratch_load_b128 v[84:87], off, s6
	s_add_i32 s6, s5, 0x460
	s_addk_i32 s5, 0x470
	s_cmp_lg_u32 s3, 0
	s_waitcnt vmcnt(0)
	ds_store_2addr_b64 v1, v[84:85], v[86:87] offset0:94 offset1:95
	scratch_load_b128 v[84:87], off, s6
	s_waitcnt vmcnt(0)
	ds_store_2addr_b64 v1, v[84:85], v[86:87] offset0:96 offset1:97
	scratch_load_b128 v[84:87], off, s5
	s_waitcnt vmcnt(0)
	ds_store_2addr_b64 v1, v[84:85], v[86:87] offset0:98 offset1:99
	s_cbranch_scc1 .LBB123_279
; %bb.280:
	ds_load_2addr_b64 v[84:87], v255 offset1:1
	s_waitcnt lgkmcnt(0)
	v_cmp_neq_f64_e32 vcc_lo, 0, v[84:85]
	v_cmp_neq_f64_e64 s3, 0, v[86:87]
	s_delay_alu instid0(VALU_DEP_1) | instskip(NEXT) | instid1(SALU_CYCLE_1)
	s_or_b32 s3, vcc_lo, s3
	s_and_b32 exec_lo, exec_lo, s3
	s_cbranch_execz .LBB123_286
; %bb.281:
	v_cmp_gt_f64_e32 vcc_lo, 0, v[84:85]
	v_xor_b32_e32 v0, 0x80000000, v85
	v_xor_b32_e32 v4, 0x80000000, v87
	s_delay_alu instid0(VALU_DEP_2) | instskip(SKIP_2) | instid1(VALU_DEP_4)
	v_cndmask_b32_e32 v1, v85, v0, vcc_lo
	v_cndmask_b32_e32 v0, v84, v84, vcc_lo
	v_cmp_gt_f64_e32 vcc_lo, 0, v[86:87]
	v_dual_cndmask_b32 v5, v87, v4 :: v_dual_cndmask_b32 v4, v86, v86
	s_delay_alu instid0(VALU_DEP_1) | instskip(SKIP_1) | instid1(SALU_CYCLE_1)
	v_cmp_ngt_f64_e32 vcc_lo, v[0:1], v[4:5]
                                        ; implicit-def: $vgpr0_vgpr1
	s_and_saveexec_b32 s3, vcc_lo
	s_xor_b32 s3, exec_lo, s3
                                        ; implicit-def: $vgpr88_vgpr89_vgpr90_vgpr91
	s_cbranch_execz .LBB123_283
; %bb.282:
	v_div_scale_f64 v[0:1], null, v[86:87], v[86:87], v[84:85]
	v_div_scale_f64 v[88:89], vcc_lo, v[84:85], v[86:87], v[84:85]
	s_delay_alu instid0(VALU_DEP_2) | instskip(SKIP_2) | instid1(VALU_DEP_1)
	v_rcp_f64_e32 v[4:5], v[0:1]
	s_waitcnt_depctr 0xfff
	v_fma_f64 v[6:7], -v[0:1], v[4:5], 1.0
	v_fma_f64 v[4:5], v[4:5], v[6:7], v[4:5]
	s_delay_alu instid0(VALU_DEP_1) | instskip(NEXT) | instid1(VALU_DEP_1)
	v_fma_f64 v[6:7], -v[0:1], v[4:5], 1.0
	v_fma_f64 v[4:5], v[4:5], v[6:7], v[4:5]
	s_delay_alu instid0(VALU_DEP_1) | instskip(NEXT) | instid1(VALU_DEP_1)
	v_mul_f64 v[6:7], v[88:89], v[4:5]
	v_fma_f64 v[0:1], -v[0:1], v[6:7], v[88:89]
	s_delay_alu instid0(VALU_DEP_1) | instskip(NEXT) | instid1(VALU_DEP_1)
	v_div_fmas_f64 v[0:1], v[0:1], v[4:5], v[6:7]
	v_div_fixup_f64 v[0:1], v[0:1], v[86:87], v[84:85]
	s_delay_alu instid0(VALU_DEP_1) | instskip(NEXT) | instid1(VALU_DEP_1)
	v_fma_f64 v[4:5], v[84:85], v[0:1], v[86:87]
	v_div_scale_f64 v[6:7], null, v[4:5], v[4:5], 1.0
	s_delay_alu instid0(VALU_DEP_1) | instskip(SKIP_2) | instid1(VALU_DEP_1)
	v_rcp_f64_e32 v[84:85], v[6:7]
	s_waitcnt_depctr 0xfff
	v_fma_f64 v[86:87], -v[6:7], v[84:85], 1.0
	v_fma_f64 v[84:85], v[84:85], v[86:87], v[84:85]
	s_delay_alu instid0(VALU_DEP_1) | instskip(NEXT) | instid1(VALU_DEP_1)
	v_fma_f64 v[86:87], -v[6:7], v[84:85], 1.0
	v_fma_f64 v[84:85], v[84:85], v[86:87], v[84:85]
	v_div_scale_f64 v[86:87], vcc_lo, 1.0, v[4:5], 1.0
	s_delay_alu instid0(VALU_DEP_1) | instskip(NEXT) | instid1(VALU_DEP_1)
	v_mul_f64 v[88:89], v[86:87], v[84:85]
	v_fma_f64 v[6:7], -v[6:7], v[88:89], v[86:87]
	s_delay_alu instid0(VALU_DEP_1) | instskip(NEXT) | instid1(VALU_DEP_1)
	v_div_fmas_f64 v[6:7], v[6:7], v[84:85], v[88:89]
                                        ; implicit-def: $vgpr84_vgpr85
	v_div_fixup_f64 v[90:91], v[6:7], v[4:5], 1.0
	s_delay_alu instid0(VALU_DEP_1)
	v_mul_f64 v[0:1], v[0:1], v[90:91]
	v_xor_b32_e32 v91, 0x80000000, v91
.LBB123_283:
	s_and_not1_saveexec_b32 s3, s3
	s_cbranch_execz .LBB123_285
; %bb.284:
	v_div_scale_f64 v[0:1], null, v[84:85], v[84:85], v[86:87]
	v_div_scale_f64 v[88:89], vcc_lo, v[86:87], v[84:85], v[86:87]
	s_delay_alu instid0(VALU_DEP_2) | instskip(SKIP_2) | instid1(VALU_DEP_1)
	v_rcp_f64_e32 v[4:5], v[0:1]
	s_waitcnt_depctr 0xfff
	v_fma_f64 v[6:7], -v[0:1], v[4:5], 1.0
	v_fma_f64 v[4:5], v[4:5], v[6:7], v[4:5]
	s_delay_alu instid0(VALU_DEP_1) | instskip(NEXT) | instid1(VALU_DEP_1)
	v_fma_f64 v[6:7], -v[0:1], v[4:5], 1.0
	v_fma_f64 v[4:5], v[4:5], v[6:7], v[4:5]
	s_delay_alu instid0(VALU_DEP_1) | instskip(NEXT) | instid1(VALU_DEP_1)
	v_mul_f64 v[6:7], v[88:89], v[4:5]
	v_fma_f64 v[0:1], -v[0:1], v[6:7], v[88:89]
	s_delay_alu instid0(VALU_DEP_1) | instskip(NEXT) | instid1(VALU_DEP_1)
	v_div_fmas_f64 v[0:1], v[0:1], v[4:5], v[6:7]
	v_div_fixup_f64 v[4:5], v[0:1], v[84:85], v[86:87]
	s_delay_alu instid0(VALU_DEP_1) | instskip(NEXT) | instid1(VALU_DEP_1)
	v_fma_f64 v[0:1], v[86:87], v[4:5], v[84:85]
	v_div_scale_f64 v[6:7], null, v[0:1], v[0:1], 1.0
	s_delay_alu instid0(VALU_DEP_1) | instskip(SKIP_2) | instid1(VALU_DEP_1)
	v_rcp_f64_e32 v[84:85], v[6:7]
	s_waitcnt_depctr 0xfff
	v_fma_f64 v[86:87], -v[6:7], v[84:85], 1.0
	v_fma_f64 v[84:85], v[84:85], v[86:87], v[84:85]
	s_delay_alu instid0(VALU_DEP_1) | instskip(NEXT) | instid1(VALU_DEP_1)
	v_fma_f64 v[86:87], -v[6:7], v[84:85], 1.0
	v_fma_f64 v[84:85], v[84:85], v[86:87], v[84:85]
	v_div_scale_f64 v[86:87], vcc_lo, 1.0, v[0:1], 1.0
	s_delay_alu instid0(VALU_DEP_1) | instskip(NEXT) | instid1(VALU_DEP_1)
	v_mul_f64 v[88:89], v[86:87], v[84:85]
	v_fma_f64 v[6:7], -v[6:7], v[88:89], v[86:87]
	s_delay_alu instid0(VALU_DEP_1) | instskip(NEXT) | instid1(VALU_DEP_1)
	v_div_fmas_f64 v[6:7], v[6:7], v[84:85], v[88:89]
	v_div_fixup_f64 v[0:1], v[6:7], v[0:1], 1.0
	s_delay_alu instid0(VALU_DEP_1)
	v_mul_f64 v[90:91], v[4:5], -v[0:1]
.LBB123_285:
	s_or_b32 exec_lo, exec_lo, s3
	ds_store_2addr_b64 v255, v[0:1], v[90:91] offset1:1
.LBB123_286:
	s_or_b32 exec_lo, exec_lo, s4
	s_waitcnt lgkmcnt(0)
	s_barrier
	buffer_gl0_inv
	ds_load_2addr_b64 v[84:87], v255 offset1:1
	s_mov_b32 s3, exec_lo
	v_cmpx_lt_u32_e32 21, v252
	s_cbranch_execz .LBB123_289
; %bb.287:
	scratch_load_b128 v[93:96], off, off offset:336
	s_mov_b32 s4, 0
	s_waitcnt vmcnt(0) lgkmcnt(0)
	v_mul_f64 v[0:1], v[86:87], v[95:96]
	s_delay_alu instid0(VALU_DEP_1) | instskip(SKIP_1) | instid1(VALU_DEP_1)
	v_fma_f64 v[88:89], v[84:85], v[93:94], -v[0:1]
	v_mul_f64 v[0:1], v[84:85], v[95:96]
	v_fma_f64 v[90:91], v[86:87], v[93:94], v[0:1]
	v_mov_b32_e32 v0, 0
	scratch_store_b128 off, v[88:91], off offset:336
.LBB123_288:                            ; =>This Inner Loop Header: Depth=1
	v_add_nc_u32_e32 v1, s4, v92
	v_readfirstlane_b32 s5, v0
	ds_load_2addr_b64 v[93:96], v1 offset1:1
	s_add_i32 s5, s5, s4
	s_addk_i32 s4, 0x50
	s_add_i32 s6, s5, 0x160
	s_waitcnt lgkmcnt(0)
	v_mul_f64 v[4:5], v[95:96], v[90:91]
	v_mul_f64 v[6:7], v[93:94], v[90:91]
	s_delay_alu instid0(VALU_DEP_2) | instskip(NEXT) | instid1(VALU_DEP_2)
	v_fma_f64 v[4:5], v[93:94], v[88:89], -v[4:5]
	v_fma_f64 v[6:7], v[95:96], v[88:89], v[6:7]
	scratch_load_b128 v[93:96], off, s6
	s_waitcnt vmcnt(0)
	v_add_f64 v[93:94], v[93:94], -v[4:5]
	v_add_f64 v[95:96], v[95:96], -v[6:7]
	scratch_store_b128 off, v[93:96], s6
	ds_load_2addr_b64 v[93:96], v1 offset0:2 offset1:3
	s_add_i32 s6, s5, 0x170
	s_waitcnt lgkmcnt(0)
	v_mul_f64 v[4:5], v[95:96], v[90:91]
	v_mul_f64 v[6:7], v[93:94], v[90:91]
	s_delay_alu instid0(VALU_DEP_2) | instskip(NEXT) | instid1(VALU_DEP_2)
	v_fma_f64 v[4:5], v[93:94], v[88:89], -v[4:5]
	v_fma_f64 v[6:7], v[95:96], v[88:89], v[6:7]
	scratch_load_b128 v[93:96], off, s6
	s_waitcnt vmcnt(0)
	v_add_f64 v[93:94], v[93:94], -v[4:5]
	v_add_f64 v[95:96], v[95:96], -v[6:7]
	scratch_store_b128 off, v[93:96], s6
	ds_load_2addr_b64 v[93:96], v1 offset0:4 offset1:5
	s_add_i32 s6, s5, 0x180
	s_waitcnt lgkmcnt(0)
	v_mul_f64 v[4:5], v[95:96], v[90:91]
	v_mul_f64 v[6:7], v[93:94], v[90:91]
	s_delay_alu instid0(VALU_DEP_2) | instskip(NEXT) | instid1(VALU_DEP_2)
	v_fma_f64 v[4:5], v[93:94], v[88:89], -v[4:5]
	v_fma_f64 v[6:7], v[95:96], v[88:89], v[6:7]
	scratch_load_b128 v[93:96], off, s6
	s_waitcnt vmcnt(0)
	v_add_f64 v[93:94], v[93:94], -v[4:5]
	v_add_f64 v[95:96], v[95:96], -v[6:7]
	scratch_store_b128 off, v[93:96], s6
	ds_load_2addr_b64 v[93:96], v1 offset0:6 offset1:7
	s_add_i32 s6, s5, 0x190
	s_addk_i32 s5, 0x1a0
	s_cmpk_lg_i32 s4, 0x280
	s_waitcnt lgkmcnt(0)
	v_mul_f64 v[4:5], v[95:96], v[90:91]
	v_mul_f64 v[6:7], v[93:94], v[90:91]
	s_delay_alu instid0(VALU_DEP_2) | instskip(NEXT) | instid1(VALU_DEP_2)
	v_fma_f64 v[4:5], v[93:94], v[88:89], -v[4:5]
	v_fma_f64 v[6:7], v[95:96], v[88:89], v[6:7]
	scratch_load_b128 v[93:96], off, s6
	s_waitcnt vmcnt(0)
	v_add_f64 v[93:94], v[93:94], -v[4:5]
	v_add_f64 v[95:96], v[95:96], -v[6:7]
	scratch_store_b128 off, v[93:96], s6
	ds_load_2addr_b64 v[93:96], v1 offset0:8 offset1:9
	s_waitcnt lgkmcnt(0)
	v_mul_f64 v[4:5], v[95:96], v[90:91]
	v_mul_f64 v[6:7], v[93:94], v[90:91]
	s_delay_alu instid0(VALU_DEP_2) | instskip(NEXT) | instid1(VALU_DEP_2)
	v_fma_f64 v[4:5], v[93:94], v[88:89], -v[4:5]
	v_fma_f64 v[6:7], v[95:96], v[88:89], v[6:7]
	scratch_load_b128 v[93:96], off, s5
	s_waitcnt vmcnt(0)
	v_add_f64 v[93:94], v[93:94], -v[4:5]
	v_add_f64 v[95:96], v[95:96], -v[6:7]
	scratch_store_b128 off, v[93:96], s5
	s_cbranch_scc1 .LBB123_288
.LBB123_289:
	s_or_b32 exec_lo, exec_lo, s3
	v_add3_u32 v96, v180, 0, 0x170
	s_mov_b32 s4, exec_lo
	s_waitcnt lgkmcnt(0)
	s_waitcnt_vscnt null, 0x0
	s_barrier
	buffer_gl0_inv
	v_cmpx_eq_u32_e32 22, v252
	s_cbranch_execz .LBB123_298
; %bb.290:
	scratch_load_b32 v0, off, off offset:1136 ; 4-byte Folded Reload
	s_movk_i32 s3, 0xfd90
	s_waitcnt vmcnt(0)
	scratch_load_b128 v[88:91], v0, off
	v_mov_b32_e32 v0, 0
	s_waitcnt vmcnt(0)
	ds_store_2addr_b64 v255, v[88:89], v[90:91] offset1:1
.LBB123_291:                            ; =>This Inner Loop Header: Depth=1
	v_readfirstlane_b32 s5, v0
	v_add_nc_u32_e32 v1, s3, v96
	s_delay_alu instid0(VALU_DEP_2)
	s_add_i32 s5, s5, s3
	s_addk_i32 s3, 0xd0
	s_add_i32 s6, s5, 0x3e0
	scratch_load_b128 v[88:91], off, s6
	s_add_i32 s6, s5, 0x3f0
	s_waitcnt vmcnt(0)
	ds_store_2addr_b64 v1, v[88:89], v[90:91] offset0:78 offset1:79
	scratch_load_b128 v[88:91], off, s6
	s_add_i32 s6, s5, 0x400
	s_waitcnt vmcnt(0)
	ds_store_2addr_b64 v1, v[88:89], v[90:91] offset0:80 offset1:81
	;; [unrolled: 4-line block ×10, first 2 shown]
	scratch_load_b128 v[88:91], off, s6
	s_add_i32 s6, s5, 0x490
	s_addk_i32 s5, 0x4a0
	s_cmp_lg_u32 s3, 0
	s_waitcnt vmcnt(0)
	ds_store_2addr_b64 v1, v[88:89], v[90:91] offset0:98 offset1:99
	scratch_load_b128 v[88:91], off, s6
	s_waitcnt vmcnt(0)
	ds_store_2addr_b64 v1, v[88:89], v[90:91] offset0:100 offset1:101
	scratch_load_b128 v[88:91], off, s5
	s_waitcnt vmcnt(0)
	ds_store_2addr_b64 v1, v[88:89], v[90:91] offset0:102 offset1:103
	s_cbranch_scc1 .LBB123_291
; %bb.292:
	ds_load_2addr_b64 v[88:91], v255 offset1:1
	s_waitcnt lgkmcnt(0)
	v_cmp_neq_f64_e32 vcc_lo, 0, v[88:89]
	v_cmp_neq_f64_e64 s3, 0, v[90:91]
	s_delay_alu instid0(VALU_DEP_1) | instskip(NEXT) | instid1(SALU_CYCLE_1)
	s_or_b32 s3, vcc_lo, s3
	s_and_b32 exec_lo, exec_lo, s3
	s_cbranch_execz .LBB123_298
; %bb.293:
	v_cmp_gt_f64_e32 vcc_lo, 0, v[88:89]
	v_xor_b32_e32 v0, 0x80000000, v89
	v_xor_b32_e32 v4, 0x80000000, v91
	s_delay_alu instid0(VALU_DEP_2) | instskip(SKIP_2) | instid1(VALU_DEP_4)
	v_cndmask_b32_e32 v1, v89, v0, vcc_lo
	v_cndmask_b32_e32 v0, v88, v88, vcc_lo
	v_cmp_gt_f64_e32 vcc_lo, 0, v[90:91]
	v_dual_cndmask_b32 v5, v91, v4 :: v_dual_cndmask_b32 v4, v90, v90
	s_delay_alu instid0(VALU_DEP_1) | instskip(SKIP_1) | instid1(SALU_CYCLE_1)
	v_cmp_ngt_f64_e32 vcc_lo, v[0:1], v[4:5]
                                        ; implicit-def: $vgpr0_vgpr1
	s_and_saveexec_b32 s3, vcc_lo
	s_xor_b32 s3, exec_lo, s3
                                        ; implicit-def: $vgpr92_vgpr93_vgpr94_vgpr95
	s_cbranch_execz .LBB123_295
; %bb.294:
	v_div_scale_f64 v[0:1], null, v[90:91], v[90:91], v[88:89]
	v_div_scale_f64 v[92:93], vcc_lo, v[88:89], v[90:91], v[88:89]
	s_delay_alu instid0(VALU_DEP_2) | instskip(SKIP_2) | instid1(VALU_DEP_1)
	v_rcp_f64_e32 v[4:5], v[0:1]
	s_waitcnt_depctr 0xfff
	v_fma_f64 v[6:7], -v[0:1], v[4:5], 1.0
	v_fma_f64 v[4:5], v[4:5], v[6:7], v[4:5]
	s_delay_alu instid0(VALU_DEP_1) | instskip(NEXT) | instid1(VALU_DEP_1)
	v_fma_f64 v[6:7], -v[0:1], v[4:5], 1.0
	v_fma_f64 v[4:5], v[4:5], v[6:7], v[4:5]
	s_delay_alu instid0(VALU_DEP_1) | instskip(NEXT) | instid1(VALU_DEP_1)
	v_mul_f64 v[6:7], v[92:93], v[4:5]
	v_fma_f64 v[0:1], -v[0:1], v[6:7], v[92:93]
	s_delay_alu instid0(VALU_DEP_1) | instskip(NEXT) | instid1(VALU_DEP_1)
	v_div_fmas_f64 v[0:1], v[0:1], v[4:5], v[6:7]
	v_div_fixup_f64 v[0:1], v[0:1], v[90:91], v[88:89]
	s_delay_alu instid0(VALU_DEP_1) | instskip(NEXT) | instid1(VALU_DEP_1)
	v_fma_f64 v[4:5], v[88:89], v[0:1], v[90:91]
	v_div_scale_f64 v[6:7], null, v[4:5], v[4:5], 1.0
	s_delay_alu instid0(VALU_DEP_1) | instskip(SKIP_2) | instid1(VALU_DEP_1)
	v_rcp_f64_e32 v[88:89], v[6:7]
	s_waitcnt_depctr 0xfff
	v_fma_f64 v[90:91], -v[6:7], v[88:89], 1.0
	v_fma_f64 v[88:89], v[88:89], v[90:91], v[88:89]
	s_delay_alu instid0(VALU_DEP_1) | instskip(NEXT) | instid1(VALU_DEP_1)
	v_fma_f64 v[90:91], -v[6:7], v[88:89], 1.0
	v_fma_f64 v[88:89], v[88:89], v[90:91], v[88:89]
	v_div_scale_f64 v[90:91], vcc_lo, 1.0, v[4:5], 1.0
	s_delay_alu instid0(VALU_DEP_1) | instskip(NEXT) | instid1(VALU_DEP_1)
	v_mul_f64 v[92:93], v[90:91], v[88:89]
	v_fma_f64 v[6:7], -v[6:7], v[92:93], v[90:91]
	s_delay_alu instid0(VALU_DEP_1) | instskip(NEXT) | instid1(VALU_DEP_1)
	v_div_fmas_f64 v[6:7], v[6:7], v[88:89], v[92:93]
                                        ; implicit-def: $vgpr88_vgpr89
	v_div_fixup_f64 v[94:95], v[6:7], v[4:5], 1.0
	s_delay_alu instid0(VALU_DEP_1)
	v_mul_f64 v[0:1], v[0:1], v[94:95]
	v_xor_b32_e32 v95, 0x80000000, v95
.LBB123_295:
	s_and_not1_saveexec_b32 s3, s3
	s_cbranch_execz .LBB123_297
; %bb.296:
	v_div_scale_f64 v[0:1], null, v[88:89], v[88:89], v[90:91]
	v_div_scale_f64 v[92:93], vcc_lo, v[90:91], v[88:89], v[90:91]
	s_delay_alu instid0(VALU_DEP_2) | instskip(SKIP_2) | instid1(VALU_DEP_1)
	v_rcp_f64_e32 v[4:5], v[0:1]
	s_waitcnt_depctr 0xfff
	v_fma_f64 v[6:7], -v[0:1], v[4:5], 1.0
	v_fma_f64 v[4:5], v[4:5], v[6:7], v[4:5]
	s_delay_alu instid0(VALU_DEP_1) | instskip(NEXT) | instid1(VALU_DEP_1)
	v_fma_f64 v[6:7], -v[0:1], v[4:5], 1.0
	v_fma_f64 v[4:5], v[4:5], v[6:7], v[4:5]
	s_delay_alu instid0(VALU_DEP_1) | instskip(NEXT) | instid1(VALU_DEP_1)
	v_mul_f64 v[6:7], v[92:93], v[4:5]
	v_fma_f64 v[0:1], -v[0:1], v[6:7], v[92:93]
	s_delay_alu instid0(VALU_DEP_1) | instskip(NEXT) | instid1(VALU_DEP_1)
	v_div_fmas_f64 v[0:1], v[0:1], v[4:5], v[6:7]
	v_div_fixup_f64 v[4:5], v[0:1], v[88:89], v[90:91]
	s_delay_alu instid0(VALU_DEP_1) | instskip(NEXT) | instid1(VALU_DEP_1)
	v_fma_f64 v[0:1], v[90:91], v[4:5], v[88:89]
	v_div_scale_f64 v[6:7], null, v[0:1], v[0:1], 1.0
	s_delay_alu instid0(VALU_DEP_1) | instskip(SKIP_2) | instid1(VALU_DEP_1)
	v_rcp_f64_e32 v[88:89], v[6:7]
	s_waitcnt_depctr 0xfff
	v_fma_f64 v[90:91], -v[6:7], v[88:89], 1.0
	v_fma_f64 v[88:89], v[88:89], v[90:91], v[88:89]
	s_delay_alu instid0(VALU_DEP_1) | instskip(NEXT) | instid1(VALU_DEP_1)
	v_fma_f64 v[90:91], -v[6:7], v[88:89], 1.0
	v_fma_f64 v[88:89], v[88:89], v[90:91], v[88:89]
	v_div_scale_f64 v[90:91], vcc_lo, 1.0, v[0:1], 1.0
	s_delay_alu instid0(VALU_DEP_1) | instskip(NEXT) | instid1(VALU_DEP_1)
	v_mul_f64 v[92:93], v[90:91], v[88:89]
	v_fma_f64 v[6:7], -v[6:7], v[92:93], v[90:91]
	s_delay_alu instid0(VALU_DEP_1) | instskip(NEXT) | instid1(VALU_DEP_1)
	v_div_fmas_f64 v[6:7], v[6:7], v[88:89], v[92:93]
	v_div_fixup_f64 v[0:1], v[6:7], v[0:1], 1.0
	s_delay_alu instid0(VALU_DEP_1)
	v_mul_f64 v[94:95], v[4:5], -v[0:1]
.LBB123_297:
	s_or_b32 exec_lo, exec_lo, s3
	ds_store_2addr_b64 v255, v[0:1], v[94:95] offset1:1
.LBB123_298:
	s_or_b32 exec_lo, exec_lo, s4
	s_waitcnt lgkmcnt(0)
	s_barrier
	buffer_gl0_inv
	ds_load_2addr_b64 v[88:91], v255 offset1:1
	s_mov_b32 s3, exec_lo
	v_cmpx_lt_u32_e32 22, v252
	s_cbranch_execz .LBB123_301
; %bb.299:
	scratch_load_b128 v[97:100], off, off offset:352
	s_mov_b32 s4, 0
	s_waitcnt vmcnt(0) lgkmcnt(0)
	v_mul_f64 v[0:1], v[90:91], v[99:100]
	s_delay_alu instid0(VALU_DEP_1) | instskip(SKIP_1) | instid1(VALU_DEP_1)
	v_fma_f64 v[92:93], v[88:89], v[97:98], -v[0:1]
	v_mul_f64 v[0:1], v[88:89], v[99:100]
	v_fma_f64 v[94:95], v[90:91], v[97:98], v[0:1]
	v_mov_b32_e32 v0, 0
	scratch_store_b128 off, v[92:95], off offset:352
.LBB123_300:                            ; =>This Inner Loop Header: Depth=1
	v_add_nc_u32_e32 v1, s4, v96
	v_readfirstlane_b32 s5, v0
	ds_load_2addr_b64 v[97:100], v1 offset1:1
	s_add_i32 s5, s5, s4
	s_add_i32 s4, s4, 48
	;; [unrolled: 1-line block ×3, first 2 shown]
	s_waitcnt lgkmcnt(0)
	v_mul_f64 v[4:5], v[99:100], v[94:95]
	v_mul_f64 v[6:7], v[97:98], v[94:95]
	s_delay_alu instid0(VALU_DEP_2) | instskip(NEXT) | instid1(VALU_DEP_2)
	v_fma_f64 v[4:5], v[97:98], v[92:93], -v[4:5]
	v_fma_f64 v[6:7], v[99:100], v[92:93], v[6:7]
	scratch_load_b128 v[97:100], off, s6
	s_waitcnt vmcnt(0)
	v_add_f64 v[97:98], v[97:98], -v[4:5]
	v_add_f64 v[99:100], v[99:100], -v[6:7]
	scratch_store_b128 off, v[97:100], s6
	ds_load_2addr_b64 v[97:100], v1 offset0:2 offset1:3
	s_add_i32 s6, s5, 0x180
	s_addk_i32 s5, 0x190
	s_cmpk_lg_i32 s4, 0x270
	s_waitcnt lgkmcnt(0)
	v_mul_f64 v[4:5], v[99:100], v[94:95]
	v_mul_f64 v[6:7], v[97:98], v[94:95]
	s_delay_alu instid0(VALU_DEP_2) | instskip(NEXT) | instid1(VALU_DEP_2)
	v_fma_f64 v[4:5], v[97:98], v[92:93], -v[4:5]
	v_fma_f64 v[6:7], v[99:100], v[92:93], v[6:7]
	scratch_load_b128 v[97:100], off, s6
	s_waitcnt vmcnt(0)
	v_add_f64 v[97:98], v[97:98], -v[4:5]
	v_add_f64 v[99:100], v[99:100], -v[6:7]
	scratch_store_b128 off, v[97:100], s6
	ds_load_2addr_b64 v[97:100], v1 offset0:4 offset1:5
	s_waitcnt lgkmcnt(0)
	v_mul_f64 v[4:5], v[99:100], v[94:95]
	v_mul_f64 v[6:7], v[97:98], v[94:95]
	s_delay_alu instid0(VALU_DEP_2) | instskip(NEXT) | instid1(VALU_DEP_2)
	v_fma_f64 v[4:5], v[97:98], v[92:93], -v[4:5]
	v_fma_f64 v[6:7], v[99:100], v[92:93], v[6:7]
	scratch_load_b128 v[97:100], off, s5
	s_waitcnt vmcnt(0)
	v_add_f64 v[97:98], v[97:98], -v[4:5]
	v_add_f64 v[99:100], v[99:100], -v[6:7]
	scratch_store_b128 off, v[97:100], s5
	s_cbranch_scc1 .LBB123_300
.LBB123_301:
	s_or_b32 exec_lo, exec_lo, s3
	v_add3_u32 v100, v180, 0, 0x180
	s_mov_b32 s4, exec_lo
	s_waitcnt lgkmcnt(0)
	s_waitcnt_vscnt null, 0x0
	s_barrier
	buffer_gl0_inv
	v_cmpx_eq_u32_e32 23, v252
	s_cbranch_execz .LBB123_310
; %bb.302:
	scratch_load_b32 v0, off, off offset:1132 ; 4-byte Folded Reload
	s_mov_b32 s3, 0
	s_waitcnt vmcnt(0)
	scratch_load_b128 v[92:95], v0, off
	s_waitcnt vmcnt(0)
	ds_store_2addr_b64 v255, v[92:93], v[94:95] offset1:1
	.p2align	6
.LBB123_303:                            ; =>This Inner Loop Header: Depth=1
	v_add_nc_u32_e64 v0, s3, 0
	v_add_nc_u32_e32 v4, s3, v100
	s_add_i32 s3, s3, 32
	s_delay_alu instid0(SALU_CYCLE_1) | instskip(NEXT) | instid1(VALU_DEP_2)
	s_cmpk_lg_i32 s3, 0x260
	v_add_nc_u32_e32 v1, 0x180, v0
	v_add_nc_u32_e32 v0, 0x190, v0
	scratch_load_b128 v[92:95], v1, off
	s_waitcnt vmcnt(0)
	ds_store_2addr_b64 v4, v[92:93], v[94:95] offset1:1
	scratch_load_b128 v[92:95], v0, off
	s_waitcnt vmcnt(0)
	ds_store_2addr_b64 v4, v[92:93], v[94:95] offset0:2 offset1:3
	s_cbranch_scc1 .LBB123_303
; %bb.304:
	ds_load_2addr_b64 v[92:95], v255 offset1:1
	s_waitcnt lgkmcnt(0)
	v_cmp_neq_f64_e32 vcc_lo, 0, v[92:93]
	v_cmp_neq_f64_e64 s3, 0, v[94:95]
	s_delay_alu instid0(VALU_DEP_1) | instskip(NEXT) | instid1(SALU_CYCLE_1)
	s_or_b32 s3, vcc_lo, s3
	s_and_b32 exec_lo, exec_lo, s3
	s_cbranch_execz .LBB123_310
; %bb.305:
	v_cmp_gt_f64_e32 vcc_lo, 0, v[92:93]
	v_xor_b32_e32 v0, 0x80000000, v93
	v_xor_b32_e32 v4, 0x80000000, v95
	s_delay_alu instid0(VALU_DEP_2) | instskip(SKIP_2) | instid1(VALU_DEP_4)
	v_cndmask_b32_e32 v1, v93, v0, vcc_lo
	v_cndmask_b32_e32 v0, v92, v92, vcc_lo
	v_cmp_gt_f64_e32 vcc_lo, 0, v[94:95]
	v_dual_cndmask_b32 v5, v95, v4 :: v_dual_cndmask_b32 v4, v94, v94
	s_delay_alu instid0(VALU_DEP_1) | instskip(SKIP_1) | instid1(SALU_CYCLE_1)
	v_cmp_ngt_f64_e32 vcc_lo, v[0:1], v[4:5]
                                        ; implicit-def: $vgpr0_vgpr1
	s_and_saveexec_b32 s3, vcc_lo
	s_xor_b32 s3, exec_lo, s3
                                        ; implicit-def: $vgpr96_vgpr97_vgpr98_vgpr99
	s_cbranch_execz .LBB123_307
; %bb.306:
	v_div_scale_f64 v[0:1], null, v[94:95], v[94:95], v[92:93]
	v_div_scale_f64 v[96:97], vcc_lo, v[92:93], v[94:95], v[92:93]
	s_delay_alu instid0(VALU_DEP_2) | instskip(SKIP_2) | instid1(VALU_DEP_1)
	v_rcp_f64_e32 v[4:5], v[0:1]
	s_waitcnt_depctr 0xfff
	v_fma_f64 v[6:7], -v[0:1], v[4:5], 1.0
	v_fma_f64 v[4:5], v[4:5], v[6:7], v[4:5]
	s_delay_alu instid0(VALU_DEP_1) | instskip(NEXT) | instid1(VALU_DEP_1)
	v_fma_f64 v[6:7], -v[0:1], v[4:5], 1.0
	v_fma_f64 v[4:5], v[4:5], v[6:7], v[4:5]
	s_delay_alu instid0(VALU_DEP_1) | instskip(NEXT) | instid1(VALU_DEP_1)
	v_mul_f64 v[6:7], v[96:97], v[4:5]
	v_fma_f64 v[0:1], -v[0:1], v[6:7], v[96:97]
	s_delay_alu instid0(VALU_DEP_1) | instskip(NEXT) | instid1(VALU_DEP_1)
	v_div_fmas_f64 v[0:1], v[0:1], v[4:5], v[6:7]
	v_div_fixup_f64 v[0:1], v[0:1], v[94:95], v[92:93]
	s_delay_alu instid0(VALU_DEP_1) | instskip(NEXT) | instid1(VALU_DEP_1)
	v_fma_f64 v[4:5], v[92:93], v[0:1], v[94:95]
	v_div_scale_f64 v[6:7], null, v[4:5], v[4:5], 1.0
	s_delay_alu instid0(VALU_DEP_1) | instskip(SKIP_2) | instid1(VALU_DEP_1)
	v_rcp_f64_e32 v[92:93], v[6:7]
	s_waitcnt_depctr 0xfff
	v_fma_f64 v[94:95], -v[6:7], v[92:93], 1.0
	v_fma_f64 v[92:93], v[92:93], v[94:95], v[92:93]
	s_delay_alu instid0(VALU_DEP_1) | instskip(NEXT) | instid1(VALU_DEP_1)
	v_fma_f64 v[94:95], -v[6:7], v[92:93], 1.0
	v_fma_f64 v[92:93], v[92:93], v[94:95], v[92:93]
	v_div_scale_f64 v[94:95], vcc_lo, 1.0, v[4:5], 1.0
	s_delay_alu instid0(VALU_DEP_1) | instskip(NEXT) | instid1(VALU_DEP_1)
	v_mul_f64 v[96:97], v[94:95], v[92:93]
	v_fma_f64 v[6:7], -v[6:7], v[96:97], v[94:95]
	s_delay_alu instid0(VALU_DEP_1) | instskip(NEXT) | instid1(VALU_DEP_1)
	v_div_fmas_f64 v[6:7], v[6:7], v[92:93], v[96:97]
                                        ; implicit-def: $vgpr92_vgpr93
	v_div_fixup_f64 v[98:99], v[6:7], v[4:5], 1.0
	s_delay_alu instid0(VALU_DEP_1)
	v_mul_f64 v[0:1], v[0:1], v[98:99]
	v_xor_b32_e32 v99, 0x80000000, v99
.LBB123_307:
	s_and_not1_saveexec_b32 s3, s3
	s_cbranch_execz .LBB123_309
; %bb.308:
	v_div_scale_f64 v[0:1], null, v[92:93], v[92:93], v[94:95]
	v_div_scale_f64 v[96:97], vcc_lo, v[94:95], v[92:93], v[94:95]
	s_delay_alu instid0(VALU_DEP_2) | instskip(SKIP_2) | instid1(VALU_DEP_1)
	v_rcp_f64_e32 v[4:5], v[0:1]
	s_waitcnt_depctr 0xfff
	v_fma_f64 v[6:7], -v[0:1], v[4:5], 1.0
	v_fma_f64 v[4:5], v[4:5], v[6:7], v[4:5]
	s_delay_alu instid0(VALU_DEP_1) | instskip(NEXT) | instid1(VALU_DEP_1)
	v_fma_f64 v[6:7], -v[0:1], v[4:5], 1.0
	v_fma_f64 v[4:5], v[4:5], v[6:7], v[4:5]
	s_delay_alu instid0(VALU_DEP_1) | instskip(NEXT) | instid1(VALU_DEP_1)
	v_mul_f64 v[6:7], v[96:97], v[4:5]
	v_fma_f64 v[0:1], -v[0:1], v[6:7], v[96:97]
	s_delay_alu instid0(VALU_DEP_1) | instskip(NEXT) | instid1(VALU_DEP_1)
	v_div_fmas_f64 v[0:1], v[0:1], v[4:5], v[6:7]
	v_div_fixup_f64 v[4:5], v[0:1], v[92:93], v[94:95]
	s_delay_alu instid0(VALU_DEP_1) | instskip(NEXT) | instid1(VALU_DEP_1)
	v_fma_f64 v[0:1], v[94:95], v[4:5], v[92:93]
	v_div_scale_f64 v[6:7], null, v[0:1], v[0:1], 1.0
	s_delay_alu instid0(VALU_DEP_1) | instskip(SKIP_2) | instid1(VALU_DEP_1)
	v_rcp_f64_e32 v[92:93], v[6:7]
	s_waitcnt_depctr 0xfff
	v_fma_f64 v[94:95], -v[6:7], v[92:93], 1.0
	v_fma_f64 v[92:93], v[92:93], v[94:95], v[92:93]
	s_delay_alu instid0(VALU_DEP_1) | instskip(NEXT) | instid1(VALU_DEP_1)
	v_fma_f64 v[94:95], -v[6:7], v[92:93], 1.0
	v_fma_f64 v[92:93], v[92:93], v[94:95], v[92:93]
	v_div_scale_f64 v[94:95], vcc_lo, 1.0, v[0:1], 1.0
	s_delay_alu instid0(VALU_DEP_1) | instskip(NEXT) | instid1(VALU_DEP_1)
	v_mul_f64 v[96:97], v[94:95], v[92:93]
	v_fma_f64 v[6:7], -v[6:7], v[96:97], v[94:95]
	s_delay_alu instid0(VALU_DEP_1) | instskip(NEXT) | instid1(VALU_DEP_1)
	v_div_fmas_f64 v[6:7], v[6:7], v[92:93], v[96:97]
	v_div_fixup_f64 v[0:1], v[6:7], v[0:1], 1.0
	s_delay_alu instid0(VALU_DEP_1)
	v_mul_f64 v[98:99], v[4:5], -v[0:1]
.LBB123_309:
	s_or_b32 exec_lo, exec_lo, s3
	ds_store_2addr_b64 v255, v[0:1], v[98:99] offset1:1
.LBB123_310:
	s_or_b32 exec_lo, exec_lo, s4
	s_waitcnt lgkmcnt(0)
	s_barrier
	buffer_gl0_inv
	ds_load_2addr_b64 v[92:95], v255 offset1:1
	s_mov_b32 s3, exec_lo
	v_cmpx_lt_u32_e32 23, v252
	s_cbranch_execz .LBB123_313
; %bb.311:
	scratch_load_b128 v[101:104], off, off offset:368
	s_mov_b32 s4, 0
	s_waitcnt vmcnt(0) lgkmcnt(0)
	v_mul_f64 v[0:1], v[94:95], v[103:104]
	s_delay_alu instid0(VALU_DEP_1) | instskip(SKIP_1) | instid1(VALU_DEP_1)
	v_fma_f64 v[96:97], v[92:93], v[101:102], -v[0:1]
	v_mul_f64 v[0:1], v[92:93], v[103:104]
	v_fma_f64 v[98:99], v[94:95], v[101:102], v[0:1]
	scratch_store_b128 off, v[96:99], off offset:368
	s_set_inst_prefetch_distance 0x1
	.p2align	6
.LBB123_312:                            ; =>This Inner Loop Header: Depth=1
	v_add_nc_u32_e32 v6, s4, v100
	v_add_nc_u32_e64 v7, s4, 0
	s_add_i32 s4, s4, 32
	s_delay_alu instid0(SALU_CYCLE_1)
	s_cmpk_lg_i32 s4, 0x260
	ds_load_2addr_b64 v[101:104], v6 offset1:1
	v_add_nc_u32_e32 v105, 0x180, v7
	s_waitcnt lgkmcnt(0)
	v_mul_f64 v[0:1], v[103:104], v[98:99]
	v_mul_f64 v[4:5], v[101:102], v[98:99]
	s_delay_alu instid0(VALU_DEP_2) | instskip(NEXT) | instid1(VALU_DEP_2)
	v_fma_f64 v[0:1], v[101:102], v[96:97], -v[0:1]
	v_fma_f64 v[4:5], v[103:104], v[96:97], v[4:5]
	scratch_load_b128 v[101:104], v105, off
	s_waitcnt vmcnt(0)
	v_add_f64 v[101:102], v[101:102], -v[0:1]
	v_add_f64 v[103:104], v[103:104], -v[4:5]
	scratch_store_b128 v105, v[101:104], off
	ds_load_2addr_b64 v[101:104], v6 offset0:2 offset1:3
	v_add_nc_u32_e32 v6, 0x190, v7
	s_waitcnt lgkmcnt(0)
	v_mul_f64 v[0:1], v[103:104], v[98:99]
	v_mul_f64 v[4:5], v[101:102], v[98:99]
	s_delay_alu instid0(VALU_DEP_2) | instskip(NEXT) | instid1(VALU_DEP_2)
	v_fma_f64 v[0:1], v[101:102], v[96:97], -v[0:1]
	v_fma_f64 v[4:5], v[103:104], v[96:97], v[4:5]
	scratch_load_b128 v[101:104], v6, off
	s_waitcnt vmcnt(0)
	v_add_f64 v[101:102], v[101:102], -v[0:1]
	v_add_f64 v[103:104], v[103:104], -v[4:5]
	scratch_store_b128 v6, v[101:104], off
	s_cbranch_scc1 .LBB123_312
.LBB123_313:
	s_set_inst_prefetch_distance 0x2
	s_or_b32 exec_lo, exec_lo, s3
	v_add3_u32 v104, v180, 0, 0x190
	s_mov_b32 s4, exec_lo
	s_waitcnt lgkmcnt(0)
	s_waitcnt_vscnt null, 0x0
	s_barrier
	buffer_gl0_inv
	v_cmpx_eq_u32_e32 24, v252
	s_cbranch_execz .LBB123_324
; %bb.314:
	scratch_load_b32 v0, off, off offset:1128 ; 4-byte Folded Reload
	s_movk_i32 s3, 0xfe00
	s_waitcnt vmcnt(0)
	scratch_load_b128 v[96:99], v0, off
	v_mov_b32_e32 v0, 0
	s_waitcnt vmcnt(0)
	ds_store_2addr_b64 v255, v[96:97], v[98:99] offset1:1
	s_branch .LBB123_316
.LBB123_315:                            ;   in Loop: Header=BB123_316 Depth=1
	s_add_i32 s6, s5, 0x3e0
	s_addk_i32 s3, 0x80
	scratch_load_b128 v[96:99], off, s6
	s_add_i32 s6, s5, 0x3f0
	s_addk_i32 s5, 0x400
	s_waitcnt vmcnt(0)
	ds_store_2addr_b64 v1, v[96:97], v[98:99] offset0:74 offset1:75
	scratch_load_b128 v[96:99], off, s6
	s_waitcnt vmcnt(0)
	ds_store_2addr_b64 v1, v[96:97], v[98:99] offset0:76 offset1:77
	scratch_load_b128 v[96:99], off, s5
	s_waitcnt vmcnt(0)
	ds_store_2addr_b64 v1, v[96:97], v[98:99] offset0:78 offset1:79
	s_cbranch_execz .LBB123_318
.LBB123_316:                            ; =>This Inner Loop Header: Depth=1
	v_readfirstlane_b32 s5, v0
	v_add_nc_u32_e32 v1, s3, v104
	s_delay_alu instid0(VALU_DEP_2) | instskip(NEXT) | instid1(SALU_CYCLE_1)
	s_add_i32 s5, s5, s3
	s_add_i32 s6, s5, 0x390
	scratch_load_b128 v[96:99], off, s6
	s_add_i32 s6, s5, 0x3a0
	s_waitcnt vmcnt(0)
	ds_store_2addr_b64 v1, v[96:97], v[98:99] offset0:64 offset1:65
	scratch_load_b128 v[96:99], off, s6
	s_add_i32 s6, s5, 0x3b0
	s_waitcnt vmcnt(0)
	ds_store_2addr_b64 v1, v[96:97], v[98:99] offset0:66 offset1:67
	scratch_load_b128 v[96:99], off, s6
	s_add_i32 s6, s5, 0x3c0
	s_waitcnt vmcnt(0)
	ds_store_2addr_b64 v1, v[96:97], v[98:99] offset0:68 offset1:69
	scratch_load_b128 v[96:99], off, s6
	s_add_i32 s6, s5, 0x3d0
	s_cmp_eq_u32 s3, 0
	s_waitcnt vmcnt(0)
	ds_store_2addr_b64 v1, v[96:97], v[98:99] offset0:70 offset1:71
	scratch_load_b128 v[96:99], off, s6
	s_waitcnt vmcnt(0)
	ds_store_2addr_b64 v1, v[96:97], v[98:99] offset0:72 offset1:73
	s_cbranch_scc0 .LBB123_315
; %bb.317:
                                        ; implicit-def: $sgpr3
.LBB123_318:
	ds_load_2addr_b64 v[96:99], v255 offset1:1
	s_waitcnt lgkmcnt(0)
	v_cmp_neq_f64_e32 vcc_lo, 0, v[96:97]
	v_cmp_neq_f64_e64 s3, 0, v[98:99]
	s_delay_alu instid0(VALU_DEP_1) | instskip(NEXT) | instid1(SALU_CYCLE_1)
	s_or_b32 s3, vcc_lo, s3
	s_and_b32 exec_lo, exec_lo, s3
	s_cbranch_execz .LBB123_324
; %bb.319:
	v_cmp_gt_f64_e32 vcc_lo, 0, v[96:97]
	v_xor_b32_e32 v0, 0x80000000, v97
	v_xor_b32_e32 v4, 0x80000000, v99
	s_delay_alu instid0(VALU_DEP_2) | instskip(SKIP_2) | instid1(VALU_DEP_4)
	v_cndmask_b32_e32 v1, v97, v0, vcc_lo
	v_cndmask_b32_e32 v0, v96, v96, vcc_lo
	v_cmp_gt_f64_e32 vcc_lo, 0, v[98:99]
	v_dual_cndmask_b32 v5, v99, v4 :: v_dual_cndmask_b32 v4, v98, v98
	s_delay_alu instid0(VALU_DEP_1) | instskip(SKIP_1) | instid1(SALU_CYCLE_1)
	v_cmp_ngt_f64_e32 vcc_lo, v[0:1], v[4:5]
                                        ; implicit-def: $vgpr0_vgpr1
	s_and_saveexec_b32 s3, vcc_lo
	s_xor_b32 s3, exec_lo, s3
                                        ; implicit-def: $vgpr100_vgpr101_vgpr102_vgpr103
	s_cbranch_execz .LBB123_321
; %bb.320:
	v_div_scale_f64 v[0:1], null, v[98:99], v[98:99], v[96:97]
	v_div_scale_f64 v[100:101], vcc_lo, v[96:97], v[98:99], v[96:97]
	s_delay_alu instid0(VALU_DEP_2) | instskip(SKIP_2) | instid1(VALU_DEP_1)
	v_rcp_f64_e32 v[4:5], v[0:1]
	s_waitcnt_depctr 0xfff
	v_fma_f64 v[6:7], -v[0:1], v[4:5], 1.0
	v_fma_f64 v[4:5], v[4:5], v[6:7], v[4:5]
	s_delay_alu instid0(VALU_DEP_1) | instskip(NEXT) | instid1(VALU_DEP_1)
	v_fma_f64 v[6:7], -v[0:1], v[4:5], 1.0
	v_fma_f64 v[4:5], v[4:5], v[6:7], v[4:5]
	s_delay_alu instid0(VALU_DEP_1) | instskip(NEXT) | instid1(VALU_DEP_1)
	v_mul_f64 v[6:7], v[100:101], v[4:5]
	v_fma_f64 v[0:1], -v[0:1], v[6:7], v[100:101]
	s_delay_alu instid0(VALU_DEP_1) | instskip(NEXT) | instid1(VALU_DEP_1)
	v_div_fmas_f64 v[0:1], v[0:1], v[4:5], v[6:7]
	v_div_fixup_f64 v[0:1], v[0:1], v[98:99], v[96:97]
	s_delay_alu instid0(VALU_DEP_1) | instskip(NEXT) | instid1(VALU_DEP_1)
	v_fma_f64 v[4:5], v[96:97], v[0:1], v[98:99]
	v_div_scale_f64 v[6:7], null, v[4:5], v[4:5], 1.0
	s_delay_alu instid0(VALU_DEP_1) | instskip(SKIP_2) | instid1(VALU_DEP_1)
	v_rcp_f64_e32 v[96:97], v[6:7]
	s_waitcnt_depctr 0xfff
	v_fma_f64 v[98:99], -v[6:7], v[96:97], 1.0
	v_fma_f64 v[96:97], v[96:97], v[98:99], v[96:97]
	s_delay_alu instid0(VALU_DEP_1) | instskip(NEXT) | instid1(VALU_DEP_1)
	v_fma_f64 v[98:99], -v[6:7], v[96:97], 1.0
	v_fma_f64 v[96:97], v[96:97], v[98:99], v[96:97]
	v_div_scale_f64 v[98:99], vcc_lo, 1.0, v[4:5], 1.0
	s_delay_alu instid0(VALU_DEP_1) | instskip(NEXT) | instid1(VALU_DEP_1)
	v_mul_f64 v[100:101], v[98:99], v[96:97]
	v_fma_f64 v[6:7], -v[6:7], v[100:101], v[98:99]
	s_delay_alu instid0(VALU_DEP_1) | instskip(NEXT) | instid1(VALU_DEP_1)
	v_div_fmas_f64 v[6:7], v[6:7], v[96:97], v[100:101]
                                        ; implicit-def: $vgpr96_vgpr97
	v_div_fixup_f64 v[102:103], v[6:7], v[4:5], 1.0
	s_delay_alu instid0(VALU_DEP_1)
	v_mul_f64 v[0:1], v[0:1], v[102:103]
	v_xor_b32_e32 v103, 0x80000000, v103
.LBB123_321:
	s_and_not1_saveexec_b32 s3, s3
	s_cbranch_execz .LBB123_323
; %bb.322:
	v_div_scale_f64 v[0:1], null, v[96:97], v[96:97], v[98:99]
	v_div_scale_f64 v[100:101], vcc_lo, v[98:99], v[96:97], v[98:99]
	s_delay_alu instid0(VALU_DEP_2) | instskip(SKIP_2) | instid1(VALU_DEP_1)
	v_rcp_f64_e32 v[4:5], v[0:1]
	s_waitcnt_depctr 0xfff
	v_fma_f64 v[6:7], -v[0:1], v[4:5], 1.0
	v_fma_f64 v[4:5], v[4:5], v[6:7], v[4:5]
	s_delay_alu instid0(VALU_DEP_1) | instskip(NEXT) | instid1(VALU_DEP_1)
	v_fma_f64 v[6:7], -v[0:1], v[4:5], 1.0
	v_fma_f64 v[4:5], v[4:5], v[6:7], v[4:5]
	s_delay_alu instid0(VALU_DEP_1) | instskip(NEXT) | instid1(VALU_DEP_1)
	v_mul_f64 v[6:7], v[100:101], v[4:5]
	v_fma_f64 v[0:1], -v[0:1], v[6:7], v[100:101]
	s_delay_alu instid0(VALU_DEP_1) | instskip(NEXT) | instid1(VALU_DEP_1)
	v_div_fmas_f64 v[0:1], v[0:1], v[4:5], v[6:7]
	v_div_fixup_f64 v[4:5], v[0:1], v[96:97], v[98:99]
	s_delay_alu instid0(VALU_DEP_1) | instskip(NEXT) | instid1(VALU_DEP_1)
	v_fma_f64 v[0:1], v[98:99], v[4:5], v[96:97]
	v_div_scale_f64 v[6:7], null, v[0:1], v[0:1], 1.0
	s_delay_alu instid0(VALU_DEP_1) | instskip(SKIP_2) | instid1(VALU_DEP_1)
	v_rcp_f64_e32 v[96:97], v[6:7]
	s_waitcnt_depctr 0xfff
	v_fma_f64 v[98:99], -v[6:7], v[96:97], 1.0
	v_fma_f64 v[96:97], v[96:97], v[98:99], v[96:97]
	s_delay_alu instid0(VALU_DEP_1) | instskip(NEXT) | instid1(VALU_DEP_1)
	v_fma_f64 v[98:99], -v[6:7], v[96:97], 1.0
	v_fma_f64 v[96:97], v[96:97], v[98:99], v[96:97]
	v_div_scale_f64 v[98:99], vcc_lo, 1.0, v[0:1], 1.0
	s_delay_alu instid0(VALU_DEP_1) | instskip(NEXT) | instid1(VALU_DEP_1)
	v_mul_f64 v[100:101], v[98:99], v[96:97]
	v_fma_f64 v[6:7], -v[6:7], v[100:101], v[98:99]
	s_delay_alu instid0(VALU_DEP_1) | instskip(NEXT) | instid1(VALU_DEP_1)
	v_div_fmas_f64 v[6:7], v[6:7], v[96:97], v[100:101]
	v_div_fixup_f64 v[0:1], v[6:7], v[0:1], 1.0
	s_delay_alu instid0(VALU_DEP_1)
	v_mul_f64 v[102:103], v[4:5], -v[0:1]
.LBB123_323:
	s_or_b32 exec_lo, exec_lo, s3
	ds_store_2addr_b64 v255, v[0:1], v[102:103] offset1:1
.LBB123_324:
	s_or_b32 exec_lo, exec_lo, s4
	s_waitcnt lgkmcnt(0)
	s_barrier
	buffer_gl0_inv
	ds_load_2addr_b64 v[96:99], v255 offset1:1
	s_mov_b32 s3, exec_lo
	v_cmpx_lt_u32_e32 24, v252
	s_cbranch_execz .LBB123_329
; %bb.325:
	scratch_load_b128 v[105:108], off, off offset:384
	s_mov_b32 s4, 0
	s_waitcnt vmcnt(0) lgkmcnt(0)
	v_mul_f64 v[0:1], v[98:99], v[107:108]
	s_delay_alu instid0(VALU_DEP_1) | instskip(SKIP_1) | instid1(VALU_DEP_1)
	v_fma_f64 v[100:101], v[96:97], v[105:106], -v[0:1]
	v_mul_f64 v[0:1], v[96:97], v[107:108]
	v_fma_f64 v[102:103], v[98:99], v[105:106], v[0:1]
	v_mov_b32_e32 v0, 0
	scratch_store_b128 off, v[100:103], off offset:384
	s_branch .LBB123_327
.LBB123_326:                            ;   in Loop: Header=BB123_327 Depth=1
	s_and_not1_b32 vcc_lo, exec_lo, s6
	s_cbranch_vccz .LBB123_329
.LBB123_327:                            ; =>This Inner Loop Header: Depth=1
	v_add_nc_u32_e32 v1, s4, v104
	v_readfirstlane_b32 s5, v0
	ds_load_2addr_b64 v[105:108], v1 offset1:1
	s_add_i32 s5, s5, s4
	s_delay_alu instid0(SALU_CYCLE_1) | instskip(SKIP_4) | instid1(VALU_DEP_2)
	s_add_i32 s6, s5, 0x190
	s_cmpk_eq_i32 s4, 0x240
	s_waitcnt lgkmcnt(0)
	v_mul_f64 v[4:5], v[107:108], v[102:103]
	v_mul_f64 v[6:7], v[105:106], v[102:103]
	v_fma_f64 v[4:5], v[105:106], v[100:101], -v[4:5]
	s_delay_alu instid0(VALU_DEP_2)
	v_fma_f64 v[6:7], v[107:108], v[100:101], v[6:7]
	scratch_load_b128 v[105:108], off, s6
	s_waitcnt vmcnt(0)
	v_add_f64 v[105:106], v[105:106], -v[4:5]
	v_add_f64 v[107:108], v[107:108], -v[6:7]
	scratch_store_b128 off, v[105:108], s6
	s_mov_b32 s6, -1
	s_cbranch_scc1 .LBB123_326
; %bb.328:                              ;   in Loop: Header=BB123_327 Depth=1
	ds_load_2addr_b64 v[105:108], v1 offset0:2 offset1:3
	s_add_i32 s6, s5, 0x1a0
	s_add_i32 s4, s4, 64
	s_waitcnt lgkmcnt(0)
	v_mul_f64 v[4:5], v[107:108], v[102:103]
	v_mul_f64 v[6:7], v[105:106], v[102:103]
	s_delay_alu instid0(VALU_DEP_2) | instskip(NEXT) | instid1(VALU_DEP_2)
	v_fma_f64 v[4:5], v[105:106], v[100:101], -v[4:5]
	v_fma_f64 v[6:7], v[107:108], v[100:101], v[6:7]
	scratch_load_b128 v[105:108], off, s6
	s_waitcnt vmcnt(0)
	v_add_f64 v[105:106], v[105:106], -v[4:5]
	v_add_f64 v[107:108], v[107:108], -v[6:7]
	scratch_store_b128 off, v[105:108], s6
	ds_load_2addr_b64 v[105:108], v1 offset0:4 offset1:5
	s_add_i32 s6, s5, 0x1b0
	s_addk_i32 s5, 0x1c0
	s_waitcnt lgkmcnt(0)
	v_mul_f64 v[4:5], v[107:108], v[102:103]
	v_mul_f64 v[6:7], v[105:106], v[102:103]
	s_delay_alu instid0(VALU_DEP_2) | instskip(NEXT) | instid1(VALU_DEP_2)
	v_fma_f64 v[4:5], v[105:106], v[100:101], -v[4:5]
	v_fma_f64 v[6:7], v[107:108], v[100:101], v[6:7]
	scratch_load_b128 v[105:108], off, s6
	s_waitcnt vmcnt(0)
	v_add_f64 v[105:106], v[105:106], -v[4:5]
	v_add_f64 v[107:108], v[107:108], -v[6:7]
	scratch_store_b128 off, v[105:108], s6
	ds_load_2addr_b64 v[105:108], v1 offset0:6 offset1:7
	s_mov_b32 s6, 0
	s_waitcnt lgkmcnt(0)
	v_mul_f64 v[4:5], v[107:108], v[102:103]
	v_mul_f64 v[6:7], v[105:106], v[102:103]
	s_delay_alu instid0(VALU_DEP_2) | instskip(NEXT) | instid1(VALU_DEP_2)
	v_fma_f64 v[4:5], v[105:106], v[100:101], -v[4:5]
	v_fma_f64 v[6:7], v[107:108], v[100:101], v[6:7]
	scratch_load_b128 v[105:108], off, s5
	s_waitcnt vmcnt(0)
	v_add_f64 v[105:106], v[105:106], -v[4:5]
	v_add_f64 v[107:108], v[107:108], -v[6:7]
	scratch_store_b128 off, v[105:108], s5
	s_branch .LBB123_326
.LBB123_329:
	s_or_b32 exec_lo, exec_lo, s3
	s_delay_alu instid0(SALU_CYCLE_1)
	s_mov_b32 s4, exec_lo
	s_waitcnt lgkmcnt(0)
	s_waitcnt_vscnt null, 0x0
	s_barrier
	buffer_gl0_inv
	v_cmpx_eq_u32_e32 25, v252
	s_cbranch_execz .LBB123_336
; %bb.330:
	scratch_load_b32 v0, off, off offset:1124 ; 4-byte Folded Reload
	s_waitcnt vmcnt(0)
	scratch_load_b128 v[100:103], v0, off
	scratch_load_b32 v0, off, off offset:1112 ; 4-byte Folded Reload
	s_waitcnt vmcnt(1)
	ds_store_2addr_b64 v255, v[100:101], v[102:103] offset1:1
	s_waitcnt vmcnt(0)
	scratch_load_b128 v[100:103], v0, off
	scratch_load_b32 v0, off, off offset:1108 ; 4-byte Folded Reload
	s_waitcnt vmcnt(1)
	ds_store_2addr_b64 v248, v[100:101], v[102:103] offset0:52 offset1:53
	s_waitcnt vmcnt(0)
	scratch_load_b128 v[100:103], v0, off
	scratch_load_b32 v0, off, off offset:1104 ; 4-byte Folded Reload
	s_waitcnt vmcnt(1)
	ds_store_2addr_b64 v248, v[100:101], v[102:103] offset0:54 offset1:55
	;; [unrolled: 5-line block ×30, first 2 shown]
	s_waitcnt vmcnt(0)
	scratch_load_b128 v[100:103], v0, off
	s_waitcnt vmcnt(0)
	ds_store_2addr_b64 v248, v[100:101], v[102:103] offset0:112 offset1:113
	scratch_load_b128 v[100:103], v249, off
	s_waitcnt vmcnt(0)
	ds_store_2addr_b64 v248, v[100:101], v[102:103] offset0:114 offset1:115
	;; [unrolled: 3-line block ×6, first 2 shown]
	ds_load_2addr_b64 v[100:103], v255 offset1:1
	s_waitcnt lgkmcnt(0)
	v_cmp_neq_f64_e32 vcc_lo, 0, v[100:101]
	v_cmp_neq_f64_e64 s3, 0, v[102:103]
	s_delay_alu instid0(VALU_DEP_1) | instskip(NEXT) | instid1(SALU_CYCLE_1)
	s_or_b32 s3, vcc_lo, s3
	s_and_b32 exec_lo, exec_lo, s3
	s_cbranch_execz .LBB123_336
; %bb.331:
	v_cmp_gt_f64_e32 vcc_lo, 0, v[100:101]
	v_xor_b32_e32 v0, 0x80000000, v101
	v_xor_b32_e32 v4, 0x80000000, v103
	s_delay_alu instid0(VALU_DEP_2) | instskip(SKIP_2) | instid1(VALU_DEP_4)
	v_cndmask_b32_e32 v1, v101, v0, vcc_lo
	v_cndmask_b32_e32 v0, v100, v100, vcc_lo
	v_cmp_gt_f64_e32 vcc_lo, 0, v[102:103]
	v_dual_cndmask_b32 v5, v103, v4 :: v_dual_cndmask_b32 v4, v102, v102
	s_delay_alu instid0(VALU_DEP_1) | instskip(SKIP_1) | instid1(SALU_CYCLE_1)
	v_cmp_ngt_f64_e32 vcc_lo, v[0:1], v[4:5]
                                        ; implicit-def: $vgpr0_vgpr1
	s_and_saveexec_b32 s3, vcc_lo
	s_xor_b32 s3, exec_lo, s3
                                        ; implicit-def: $vgpr104_vgpr105_vgpr106_vgpr107
	s_cbranch_execz .LBB123_333
; %bb.332:
	v_div_scale_f64 v[0:1], null, v[102:103], v[102:103], v[100:101]
	v_div_scale_f64 v[104:105], vcc_lo, v[100:101], v[102:103], v[100:101]
	s_delay_alu instid0(VALU_DEP_2) | instskip(SKIP_2) | instid1(VALU_DEP_1)
	v_rcp_f64_e32 v[4:5], v[0:1]
	s_waitcnt_depctr 0xfff
	v_fma_f64 v[6:7], -v[0:1], v[4:5], 1.0
	v_fma_f64 v[4:5], v[4:5], v[6:7], v[4:5]
	s_delay_alu instid0(VALU_DEP_1) | instskip(NEXT) | instid1(VALU_DEP_1)
	v_fma_f64 v[6:7], -v[0:1], v[4:5], 1.0
	v_fma_f64 v[4:5], v[4:5], v[6:7], v[4:5]
	s_delay_alu instid0(VALU_DEP_1) | instskip(NEXT) | instid1(VALU_DEP_1)
	v_mul_f64 v[6:7], v[104:105], v[4:5]
	v_fma_f64 v[0:1], -v[0:1], v[6:7], v[104:105]
	s_delay_alu instid0(VALU_DEP_1) | instskip(NEXT) | instid1(VALU_DEP_1)
	v_div_fmas_f64 v[0:1], v[0:1], v[4:5], v[6:7]
	v_div_fixup_f64 v[0:1], v[0:1], v[102:103], v[100:101]
	s_delay_alu instid0(VALU_DEP_1) | instskip(NEXT) | instid1(VALU_DEP_1)
	v_fma_f64 v[4:5], v[100:101], v[0:1], v[102:103]
	v_div_scale_f64 v[6:7], null, v[4:5], v[4:5], 1.0
	s_delay_alu instid0(VALU_DEP_1) | instskip(SKIP_2) | instid1(VALU_DEP_1)
	v_rcp_f64_e32 v[100:101], v[6:7]
	s_waitcnt_depctr 0xfff
	v_fma_f64 v[102:103], -v[6:7], v[100:101], 1.0
	v_fma_f64 v[100:101], v[100:101], v[102:103], v[100:101]
	s_delay_alu instid0(VALU_DEP_1) | instskip(NEXT) | instid1(VALU_DEP_1)
	v_fma_f64 v[102:103], -v[6:7], v[100:101], 1.0
	v_fma_f64 v[100:101], v[100:101], v[102:103], v[100:101]
	v_div_scale_f64 v[102:103], vcc_lo, 1.0, v[4:5], 1.0
	s_delay_alu instid0(VALU_DEP_1) | instskip(NEXT) | instid1(VALU_DEP_1)
	v_mul_f64 v[104:105], v[102:103], v[100:101]
	v_fma_f64 v[6:7], -v[6:7], v[104:105], v[102:103]
	s_delay_alu instid0(VALU_DEP_1) | instskip(NEXT) | instid1(VALU_DEP_1)
	v_div_fmas_f64 v[6:7], v[6:7], v[100:101], v[104:105]
                                        ; implicit-def: $vgpr100_vgpr101
	v_div_fixup_f64 v[106:107], v[6:7], v[4:5], 1.0
	s_delay_alu instid0(VALU_DEP_1)
	v_mul_f64 v[0:1], v[0:1], v[106:107]
	v_xor_b32_e32 v107, 0x80000000, v107
.LBB123_333:
	s_and_not1_saveexec_b32 s3, s3
	s_cbranch_execz .LBB123_335
; %bb.334:
	v_div_scale_f64 v[0:1], null, v[100:101], v[100:101], v[102:103]
	v_div_scale_f64 v[104:105], vcc_lo, v[102:103], v[100:101], v[102:103]
	s_delay_alu instid0(VALU_DEP_2) | instskip(SKIP_2) | instid1(VALU_DEP_1)
	v_rcp_f64_e32 v[4:5], v[0:1]
	s_waitcnt_depctr 0xfff
	v_fma_f64 v[6:7], -v[0:1], v[4:5], 1.0
	v_fma_f64 v[4:5], v[4:5], v[6:7], v[4:5]
	s_delay_alu instid0(VALU_DEP_1) | instskip(NEXT) | instid1(VALU_DEP_1)
	v_fma_f64 v[6:7], -v[0:1], v[4:5], 1.0
	v_fma_f64 v[4:5], v[4:5], v[6:7], v[4:5]
	s_delay_alu instid0(VALU_DEP_1) | instskip(NEXT) | instid1(VALU_DEP_1)
	v_mul_f64 v[6:7], v[104:105], v[4:5]
	v_fma_f64 v[0:1], -v[0:1], v[6:7], v[104:105]
	s_delay_alu instid0(VALU_DEP_1) | instskip(NEXT) | instid1(VALU_DEP_1)
	v_div_fmas_f64 v[0:1], v[0:1], v[4:5], v[6:7]
	v_div_fixup_f64 v[4:5], v[0:1], v[100:101], v[102:103]
	s_delay_alu instid0(VALU_DEP_1) | instskip(NEXT) | instid1(VALU_DEP_1)
	v_fma_f64 v[0:1], v[102:103], v[4:5], v[100:101]
	v_div_scale_f64 v[6:7], null, v[0:1], v[0:1], 1.0
	s_delay_alu instid0(VALU_DEP_1) | instskip(SKIP_2) | instid1(VALU_DEP_1)
	v_rcp_f64_e32 v[100:101], v[6:7]
	s_waitcnt_depctr 0xfff
	v_fma_f64 v[102:103], -v[6:7], v[100:101], 1.0
	v_fma_f64 v[100:101], v[100:101], v[102:103], v[100:101]
	s_delay_alu instid0(VALU_DEP_1) | instskip(NEXT) | instid1(VALU_DEP_1)
	v_fma_f64 v[102:103], -v[6:7], v[100:101], 1.0
	v_fma_f64 v[100:101], v[100:101], v[102:103], v[100:101]
	v_div_scale_f64 v[102:103], vcc_lo, 1.0, v[0:1], 1.0
	s_delay_alu instid0(VALU_DEP_1) | instskip(NEXT) | instid1(VALU_DEP_1)
	v_mul_f64 v[104:105], v[102:103], v[100:101]
	v_fma_f64 v[6:7], -v[6:7], v[104:105], v[102:103]
	s_delay_alu instid0(VALU_DEP_1) | instskip(NEXT) | instid1(VALU_DEP_1)
	v_div_fmas_f64 v[6:7], v[6:7], v[100:101], v[104:105]
	v_div_fixup_f64 v[0:1], v[6:7], v[0:1], 1.0
	s_delay_alu instid0(VALU_DEP_1)
	v_mul_f64 v[106:107], v[4:5], -v[0:1]
.LBB123_335:
	s_or_b32 exec_lo, exec_lo, s3
	ds_store_2addr_b64 v255, v[0:1], v[106:107] offset1:1
.LBB123_336:
	s_or_b32 exec_lo, exec_lo, s4
	s_waitcnt lgkmcnt(0)
	s_barrier
	buffer_gl0_inv
	ds_load_2addr_b64 v[100:103], v255 offset1:1
	s_mov_b32 s3, exec_lo
	v_cmpx_lt_u32_e32 25, v252
	s_cbranch_execz .LBB123_339
; %bb.337:
	scratch_load_b128 v[106:109], off, off offset:400
	s_mov_b32 s4, 0
	s_waitcnt vmcnt(0) lgkmcnt(0)
	v_mul_f64 v[0:1], v[102:103], v[108:109]
	s_delay_alu instid0(VALU_DEP_1) | instskip(SKIP_1) | instid1(VALU_DEP_1)
	v_fma_f64 v[104:105], v[100:101], v[106:107], -v[0:1]
	v_mul_f64 v[0:1], v[100:101], v[108:109]
	v_fma_f64 v[106:107], v[102:103], v[106:107], v[0:1]
	v_add3_u32 v0, v180, 0, 0x1a0
	v_mov_b32_e32 v1, 0
	scratch_store_b128 off, v[104:107], off offset:400
.LBB123_338:                            ; =>This Inner Loop Header: Depth=1
	v_add_nc_u32_e32 v112, s4, v0
	v_readfirstlane_b32 s5, v1
	ds_load_2addr_b64 v[108:111], v112 offset1:1
	s_add_i32 s5, s5, s4
	s_addk_i32 s4, 0x60
	s_add_i32 s6, s5, 0x1a0
	s_waitcnt lgkmcnt(0)
	v_mul_f64 v[4:5], v[110:111], v[106:107]
	v_mul_f64 v[6:7], v[108:109], v[106:107]
	s_delay_alu instid0(VALU_DEP_2) | instskip(NEXT) | instid1(VALU_DEP_2)
	v_fma_f64 v[4:5], v[108:109], v[104:105], -v[4:5]
	v_fma_f64 v[6:7], v[110:111], v[104:105], v[6:7]
	scratch_load_b128 v[108:111], off, s6
	s_waitcnt vmcnt(0)
	v_add_f64 v[108:109], v[108:109], -v[4:5]
	v_add_f64 v[110:111], v[110:111], -v[6:7]
	scratch_store_b128 off, v[108:111], s6
	ds_load_2addr_b64 v[108:111], v112 offset0:2 offset1:3
	s_add_i32 s6, s5, 0x1b0
	s_waitcnt lgkmcnt(0)
	v_mul_f64 v[4:5], v[110:111], v[106:107]
	v_mul_f64 v[6:7], v[108:109], v[106:107]
	s_delay_alu instid0(VALU_DEP_2) | instskip(NEXT) | instid1(VALU_DEP_2)
	v_fma_f64 v[4:5], v[108:109], v[104:105], -v[4:5]
	v_fma_f64 v[6:7], v[110:111], v[104:105], v[6:7]
	scratch_load_b128 v[108:111], off, s6
	s_waitcnt vmcnt(0)
	v_add_f64 v[108:109], v[108:109], -v[4:5]
	v_add_f64 v[110:111], v[110:111], -v[6:7]
	scratch_store_b128 off, v[108:111], s6
	ds_load_2addr_b64 v[108:111], v112 offset0:4 offset1:5
	;; [unrolled: 13-line block ×4, first 2 shown]
	s_add_i32 s6, s5, 0x1e0
	s_addk_i32 s5, 0x1f0
	s_cmpk_lg_i32 s4, 0x240
	s_waitcnt lgkmcnt(0)
	v_mul_f64 v[4:5], v[110:111], v[106:107]
	v_mul_f64 v[6:7], v[108:109], v[106:107]
	s_delay_alu instid0(VALU_DEP_2) | instskip(NEXT) | instid1(VALU_DEP_2)
	v_fma_f64 v[4:5], v[108:109], v[104:105], -v[4:5]
	v_fma_f64 v[6:7], v[110:111], v[104:105], v[6:7]
	scratch_load_b128 v[108:111], off, s6
	s_waitcnt vmcnt(0)
	v_add_f64 v[108:109], v[108:109], -v[4:5]
	v_add_f64 v[110:111], v[110:111], -v[6:7]
	scratch_store_b128 off, v[108:111], s6
	ds_load_2addr_b64 v[108:111], v112 offset0:10 offset1:11
	s_waitcnt lgkmcnt(0)
	v_mul_f64 v[4:5], v[110:111], v[106:107]
	v_mul_f64 v[6:7], v[108:109], v[106:107]
	s_delay_alu instid0(VALU_DEP_2) | instskip(NEXT) | instid1(VALU_DEP_2)
	v_fma_f64 v[4:5], v[108:109], v[104:105], -v[4:5]
	v_fma_f64 v[6:7], v[110:111], v[104:105], v[6:7]
	scratch_load_b128 v[108:111], off, s5
	s_waitcnt vmcnt(0)
	v_add_f64 v[108:109], v[108:109], -v[4:5]
	v_add_f64 v[110:111], v[110:111], -v[6:7]
	scratch_store_b128 off, v[108:111], s5
	s_cbranch_scc1 .LBB123_338
.LBB123_339:
	s_or_b32 exec_lo, exec_lo, s3
	s_delay_alu instid0(SALU_CYCLE_1)
	s_mov_b32 s4, exec_lo
	s_waitcnt lgkmcnt(0)
	s_waitcnt_vscnt null, 0x0
	s_barrier
	buffer_gl0_inv
	v_cmpx_eq_u32_e32 26, v252
	s_cbranch_execz .LBB123_346
; %bb.340:
	scratch_load_b32 v0, off, off offset:1112 ; 4-byte Folded Reload
	s_waitcnt vmcnt(0)
	scratch_load_b128 v[104:107], v0, off
	scratch_load_b32 v0, off, off offset:1108 ; 4-byte Folded Reload
	s_waitcnt vmcnt(1)
	ds_store_2addr_b64 v255, v[104:105], v[106:107] offset1:1
	s_waitcnt vmcnt(0)
	scratch_load_b128 v[104:107], v0, off
	scratch_load_b32 v0, off, off offset:1104 ; 4-byte Folded Reload
	s_waitcnt vmcnt(1)
	ds_store_2addr_b64 v248, v[104:105], v[106:107] offset0:54 offset1:55
	s_waitcnt vmcnt(0)
	scratch_load_b128 v[104:107], v0, off
	scratch_load_b32 v0, off, off offset:1100 ; 4-byte Folded Reload
	s_waitcnt vmcnt(1)
	ds_store_2addr_b64 v248, v[104:105], v[106:107] offset0:56 offset1:57
	;; [unrolled: 5-line block ×29, first 2 shown]
	s_waitcnt vmcnt(0)
	scratch_load_b128 v[104:107], v0, off
	s_waitcnt vmcnt(0)
	ds_store_2addr_b64 v248, v[104:105], v[106:107] offset0:112 offset1:113
	scratch_load_b128 v[104:107], v249, off
	s_waitcnt vmcnt(0)
	ds_store_2addr_b64 v248, v[104:105], v[106:107] offset0:114 offset1:115
	;; [unrolled: 3-line block ×6, first 2 shown]
	ds_load_2addr_b64 v[104:107], v255 offset1:1
	s_waitcnt lgkmcnt(0)
	v_cmp_neq_f64_e32 vcc_lo, 0, v[104:105]
	v_cmp_neq_f64_e64 s3, 0, v[106:107]
	s_delay_alu instid0(VALU_DEP_1) | instskip(NEXT) | instid1(SALU_CYCLE_1)
	s_or_b32 s3, vcc_lo, s3
	s_and_b32 exec_lo, exec_lo, s3
	s_cbranch_execz .LBB123_346
; %bb.341:
	v_cmp_gt_f64_e32 vcc_lo, 0, v[104:105]
	v_xor_b32_e32 v0, 0x80000000, v105
	v_xor_b32_e32 v4, 0x80000000, v107
	s_delay_alu instid0(VALU_DEP_2) | instskip(SKIP_2) | instid1(VALU_DEP_4)
	v_cndmask_b32_e32 v1, v105, v0, vcc_lo
	v_cndmask_b32_e32 v0, v104, v104, vcc_lo
	v_cmp_gt_f64_e32 vcc_lo, 0, v[106:107]
	v_dual_cndmask_b32 v5, v107, v4 :: v_dual_cndmask_b32 v4, v106, v106
	s_delay_alu instid0(VALU_DEP_1) | instskip(SKIP_1) | instid1(SALU_CYCLE_1)
	v_cmp_ngt_f64_e32 vcc_lo, v[0:1], v[4:5]
                                        ; implicit-def: $vgpr0_vgpr1
	s_and_saveexec_b32 s3, vcc_lo
	s_xor_b32 s3, exec_lo, s3
                                        ; implicit-def: $vgpr108_vgpr109_vgpr110_vgpr111
	s_cbranch_execz .LBB123_343
; %bb.342:
	v_div_scale_f64 v[0:1], null, v[106:107], v[106:107], v[104:105]
	v_div_scale_f64 v[108:109], vcc_lo, v[104:105], v[106:107], v[104:105]
	s_delay_alu instid0(VALU_DEP_2) | instskip(SKIP_2) | instid1(VALU_DEP_1)
	v_rcp_f64_e32 v[4:5], v[0:1]
	s_waitcnt_depctr 0xfff
	v_fma_f64 v[6:7], -v[0:1], v[4:5], 1.0
	v_fma_f64 v[4:5], v[4:5], v[6:7], v[4:5]
	s_delay_alu instid0(VALU_DEP_1) | instskip(NEXT) | instid1(VALU_DEP_1)
	v_fma_f64 v[6:7], -v[0:1], v[4:5], 1.0
	v_fma_f64 v[4:5], v[4:5], v[6:7], v[4:5]
	s_delay_alu instid0(VALU_DEP_1) | instskip(NEXT) | instid1(VALU_DEP_1)
	v_mul_f64 v[6:7], v[108:109], v[4:5]
	v_fma_f64 v[0:1], -v[0:1], v[6:7], v[108:109]
	s_delay_alu instid0(VALU_DEP_1) | instskip(NEXT) | instid1(VALU_DEP_1)
	v_div_fmas_f64 v[0:1], v[0:1], v[4:5], v[6:7]
	v_div_fixup_f64 v[0:1], v[0:1], v[106:107], v[104:105]
	s_delay_alu instid0(VALU_DEP_1) | instskip(NEXT) | instid1(VALU_DEP_1)
	v_fma_f64 v[4:5], v[104:105], v[0:1], v[106:107]
	v_div_scale_f64 v[6:7], null, v[4:5], v[4:5], 1.0
	s_delay_alu instid0(VALU_DEP_1) | instskip(SKIP_2) | instid1(VALU_DEP_1)
	v_rcp_f64_e32 v[104:105], v[6:7]
	s_waitcnt_depctr 0xfff
	v_fma_f64 v[106:107], -v[6:7], v[104:105], 1.0
	v_fma_f64 v[104:105], v[104:105], v[106:107], v[104:105]
	s_delay_alu instid0(VALU_DEP_1) | instskip(NEXT) | instid1(VALU_DEP_1)
	v_fma_f64 v[106:107], -v[6:7], v[104:105], 1.0
	v_fma_f64 v[104:105], v[104:105], v[106:107], v[104:105]
	v_div_scale_f64 v[106:107], vcc_lo, 1.0, v[4:5], 1.0
	s_delay_alu instid0(VALU_DEP_1) | instskip(NEXT) | instid1(VALU_DEP_1)
	v_mul_f64 v[108:109], v[106:107], v[104:105]
	v_fma_f64 v[6:7], -v[6:7], v[108:109], v[106:107]
	s_delay_alu instid0(VALU_DEP_1) | instskip(NEXT) | instid1(VALU_DEP_1)
	v_div_fmas_f64 v[6:7], v[6:7], v[104:105], v[108:109]
                                        ; implicit-def: $vgpr104_vgpr105
	v_div_fixup_f64 v[110:111], v[6:7], v[4:5], 1.0
	s_delay_alu instid0(VALU_DEP_1)
	v_mul_f64 v[0:1], v[0:1], v[110:111]
	v_xor_b32_e32 v111, 0x80000000, v111
.LBB123_343:
	s_and_not1_saveexec_b32 s3, s3
	s_cbranch_execz .LBB123_345
; %bb.344:
	v_div_scale_f64 v[0:1], null, v[104:105], v[104:105], v[106:107]
	v_div_scale_f64 v[108:109], vcc_lo, v[106:107], v[104:105], v[106:107]
	s_delay_alu instid0(VALU_DEP_2) | instskip(SKIP_2) | instid1(VALU_DEP_1)
	v_rcp_f64_e32 v[4:5], v[0:1]
	s_waitcnt_depctr 0xfff
	v_fma_f64 v[6:7], -v[0:1], v[4:5], 1.0
	v_fma_f64 v[4:5], v[4:5], v[6:7], v[4:5]
	s_delay_alu instid0(VALU_DEP_1) | instskip(NEXT) | instid1(VALU_DEP_1)
	v_fma_f64 v[6:7], -v[0:1], v[4:5], 1.0
	v_fma_f64 v[4:5], v[4:5], v[6:7], v[4:5]
	s_delay_alu instid0(VALU_DEP_1) | instskip(NEXT) | instid1(VALU_DEP_1)
	v_mul_f64 v[6:7], v[108:109], v[4:5]
	v_fma_f64 v[0:1], -v[0:1], v[6:7], v[108:109]
	s_delay_alu instid0(VALU_DEP_1) | instskip(NEXT) | instid1(VALU_DEP_1)
	v_div_fmas_f64 v[0:1], v[0:1], v[4:5], v[6:7]
	v_div_fixup_f64 v[4:5], v[0:1], v[104:105], v[106:107]
	s_delay_alu instid0(VALU_DEP_1) | instskip(NEXT) | instid1(VALU_DEP_1)
	v_fma_f64 v[0:1], v[106:107], v[4:5], v[104:105]
	v_div_scale_f64 v[6:7], null, v[0:1], v[0:1], 1.0
	s_delay_alu instid0(VALU_DEP_1) | instskip(SKIP_2) | instid1(VALU_DEP_1)
	v_rcp_f64_e32 v[104:105], v[6:7]
	s_waitcnt_depctr 0xfff
	v_fma_f64 v[106:107], -v[6:7], v[104:105], 1.0
	v_fma_f64 v[104:105], v[104:105], v[106:107], v[104:105]
	s_delay_alu instid0(VALU_DEP_1) | instskip(NEXT) | instid1(VALU_DEP_1)
	v_fma_f64 v[106:107], -v[6:7], v[104:105], 1.0
	v_fma_f64 v[104:105], v[104:105], v[106:107], v[104:105]
	v_div_scale_f64 v[106:107], vcc_lo, 1.0, v[0:1], 1.0
	s_delay_alu instid0(VALU_DEP_1) | instskip(NEXT) | instid1(VALU_DEP_1)
	v_mul_f64 v[108:109], v[106:107], v[104:105]
	v_fma_f64 v[6:7], -v[6:7], v[108:109], v[106:107]
	s_delay_alu instid0(VALU_DEP_1) | instskip(NEXT) | instid1(VALU_DEP_1)
	v_div_fmas_f64 v[6:7], v[6:7], v[104:105], v[108:109]
	v_div_fixup_f64 v[0:1], v[6:7], v[0:1], 1.0
	s_delay_alu instid0(VALU_DEP_1)
	v_mul_f64 v[110:111], v[4:5], -v[0:1]
.LBB123_345:
	s_or_b32 exec_lo, exec_lo, s3
	ds_store_2addr_b64 v255, v[0:1], v[110:111] offset1:1
.LBB123_346:
	s_or_b32 exec_lo, exec_lo, s4
	s_waitcnt lgkmcnt(0)
	s_barrier
	buffer_gl0_inv
	ds_load_2addr_b64 v[104:107], v255 offset1:1
	s_mov_b32 s3, exec_lo
	v_cmpx_lt_u32_e32 26, v252
	s_cbranch_execz .LBB123_349
; %bb.347:
	scratch_load_b128 v[110:113], off, off offset:416
	s_mov_b32 s4, 0
	s_waitcnt vmcnt(0) lgkmcnt(0)
	v_mul_f64 v[0:1], v[106:107], v[112:113]
	s_delay_alu instid0(VALU_DEP_1) | instskip(SKIP_1) | instid1(VALU_DEP_1)
	v_fma_f64 v[108:109], v[104:105], v[110:111], -v[0:1]
	v_mul_f64 v[0:1], v[104:105], v[112:113]
	v_fma_f64 v[110:111], v[106:107], v[110:111], v[0:1]
	v_add3_u32 v0, v180, 0, 0x1b0
	v_mov_b32_e32 v1, 0
	scratch_store_b128 off, v[108:111], off offset:416
.LBB123_348:                            ; =>This Inner Loop Header: Depth=1
	v_add_nc_u32_e32 v116, s4, v0
	v_readfirstlane_b32 s5, v1
	ds_load_2addr_b64 v[112:115], v116 offset1:1
	s_add_i32 s5, s5, s4
	s_addk_i32 s4, 0x70
	s_add_i32 s6, s5, 0x1b0
	s_waitcnt lgkmcnt(0)
	v_mul_f64 v[4:5], v[114:115], v[110:111]
	v_mul_f64 v[6:7], v[112:113], v[110:111]
	s_delay_alu instid0(VALU_DEP_2) | instskip(NEXT) | instid1(VALU_DEP_2)
	v_fma_f64 v[4:5], v[112:113], v[108:109], -v[4:5]
	v_fma_f64 v[6:7], v[114:115], v[108:109], v[6:7]
	scratch_load_b128 v[112:115], off, s6
	s_waitcnt vmcnt(0)
	v_add_f64 v[112:113], v[112:113], -v[4:5]
	v_add_f64 v[114:115], v[114:115], -v[6:7]
	scratch_store_b128 off, v[112:115], s6
	ds_load_2addr_b64 v[112:115], v116 offset0:2 offset1:3
	s_add_i32 s6, s5, 0x1c0
	s_waitcnt lgkmcnt(0)
	v_mul_f64 v[4:5], v[114:115], v[110:111]
	v_mul_f64 v[6:7], v[112:113], v[110:111]
	s_delay_alu instid0(VALU_DEP_2) | instskip(NEXT) | instid1(VALU_DEP_2)
	v_fma_f64 v[4:5], v[112:113], v[108:109], -v[4:5]
	v_fma_f64 v[6:7], v[114:115], v[108:109], v[6:7]
	scratch_load_b128 v[112:115], off, s6
	s_waitcnt vmcnt(0)
	v_add_f64 v[112:113], v[112:113], -v[4:5]
	v_add_f64 v[114:115], v[114:115], -v[6:7]
	scratch_store_b128 off, v[112:115], s6
	ds_load_2addr_b64 v[112:115], v116 offset0:4 offset1:5
	;; [unrolled: 13-line block ×5, first 2 shown]
	s_add_i32 s6, s5, 0x200
	s_addk_i32 s5, 0x210
	s_cmpk_lg_i32 s4, 0x230
	s_waitcnt lgkmcnt(0)
	v_mul_f64 v[4:5], v[114:115], v[110:111]
	v_mul_f64 v[6:7], v[112:113], v[110:111]
	s_delay_alu instid0(VALU_DEP_2) | instskip(NEXT) | instid1(VALU_DEP_2)
	v_fma_f64 v[4:5], v[112:113], v[108:109], -v[4:5]
	v_fma_f64 v[6:7], v[114:115], v[108:109], v[6:7]
	scratch_load_b128 v[108:111], off, s6
	ds_load_2addr_b64 v[112:115], v116 offset0:12 offset1:13
	s_waitcnt vmcnt(0)
	v_add_f64 v[108:109], v[108:109], -v[4:5]
	v_add_f64 v[110:111], v[110:111], -v[6:7]
	scratch_store_b128 off, v[108:111], s6
	scratch_load_b128 v[108:111], off, off offset:416
	s_waitcnt vmcnt(0) lgkmcnt(0)
	v_mul_f64 v[4:5], v[114:115], v[110:111]
	v_mul_f64 v[6:7], v[112:113], v[110:111]
	s_delay_alu instid0(VALU_DEP_2) | instskip(NEXT) | instid1(VALU_DEP_2)
	v_fma_f64 v[4:5], v[112:113], v[108:109], -v[4:5]
	v_fma_f64 v[6:7], v[114:115], v[108:109], v[6:7]
	scratch_load_b128 v[112:115], off, s5
	s_waitcnt vmcnt(0)
	v_add_f64 v[112:113], v[112:113], -v[4:5]
	v_add_f64 v[114:115], v[114:115], -v[6:7]
	scratch_store_b128 off, v[112:115], s5
	s_cbranch_scc1 .LBB123_348
.LBB123_349:
	s_or_b32 exec_lo, exec_lo, s3
	s_delay_alu instid0(SALU_CYCLE_1)
	s_mov_b32 s4, exec_lo
	s_waitcnt lgkmcnt(0)
	s_waitcnt_vscnt null, 0x0
	s_barrier
	buffer_gl0_inv
	v_cmpx_eq_u32_e32 27, v252
	s_cbranch_execz .LBB123_356
; %bb.350:
	scratch_load_b32 v0, off, off offset:1108 ; 4-byte Folded Reload
	s_waitcnt vmcnt(0)
	scratch_load_b128 v[108:111], v0, off
	scratch_load_b32 v0, off, off offset:1104 ; 4-byte Folded Reload
	s_waitcnt vmcnt(1)
	ds_store_2addr_b64 v255, v[108:109], v[110:111] offset1:1
	s_waitcnt vmcnt(0)
	scratch_load_b128 v[108:111], v0, off
	scratch_load_b32 v0, off, off offset:1100 ; 4-byte Folded Reload
	s_waitcnt vmcnt(1)
	ds_store_2addr_b64 v248, v[108:109], v[110:111] offset0:56 offset1:57
	s_waitcnt vmcnt(0)
	scratch_load_b128 v[108:111], v0, off
	scratch_load_b32 v0, off, off offset:1096 ; 4-byte Folded Reload
	s_waitcnt vmcnt(1)
	ds_store_2addr_b64 v248, v[108:109], v[110:111] offset0:58 offset1:59
	;; [unrolled: 5-line block ×28, first 2 shown]
	s_waitcnt vmcnt(0)
	scratch_load_b128 v[108:111], v0, off
	s_waitcnt vmcnt(0)
	ds_store_2addr_b64 v248, v[108:109], v[110:111] offset0:112 offset1:113
	scratch_load_b128 v[108:111], v249, off
	s_waitcnt vmcnt(0)
	ds_store_2addr_b64 v248, v[108:109], v[110:111] offset0:114 offset1:115
	;; [unrolled: 3-line block ×6, first 2 shown]
	ds_load_2addr_b64 v[108:111], v255 offset1:1
	s_waitcnt lgkmcnt(0)
	v_cmp_neq_f64_e32 vcc_lo, 0, v[108:109]
	v_cmp_neq_f64_e64 s3, 0, v[110:111]
	s_delay_alu instid0(VALU_DEP_1) | instskip(NEXT) | instid1(SALU_CYCLE_1)
	s_or_b32 s3, vcc_lo, s3
	s_and_b32 exec_lo, exec_lo, s3
	s_cbranch_execz .LBB123_356
; %bb.351:
	v_cmp_gt_f64_e32 vcc_lo, 0, v[108:109]
	v_xor_b32_e32 v0, 0x80000000, v109
	v_xor_b32_e32 v4, 0x80000000, v111
	s_delay_alu instid0(VALU_DEP_2) | instskip(SKIP_2) | instid1(VALU_DEP_4)
	v_cndmask_b32_e32 v1, v109, v0, vcc_lo
	v_cndmask_b32_e32 v0, v108, v108, vcc_lo
	v_cmp_gt_f64_e32 vcc_lo, 0, v[110:111]
	v_dual_cndmask_b32 v5, v111, v4 :: v_dual_cndmask_b32 v4, v110, v110
	s_delay_alu instid0(VALU_DEP_1) | instskip(SKIP_1) | instid1(SALU_CYCLE_1)
	v_cmp_ngt_f64_e32 vcc_lo, v[0:1], v[4:5]
                                        ; implicit-def: $vgpr0_vgpr1
	s_and_saveexec_b32 s3, vcc_lo
	s_xor_b32 s3, exec_lo, s3
                                        ; implicit-def: $vgpr112_vgpr113_vgpr114_vgpr115
	s_cbranch_execz .LBB123_353
; %bb.352:
	v_div_scale_f64 v[0:1], null, v[110:111], v[110:111], v[108:109]
	v_div_scale_f64 v[112:113], vcc_lo, v[108:109], v[110:111], v[108:109]
	s_delay_alu instid0(VALU_DEP_2) | instskip(SKIP_2) | instid1(VALU_DEP_1)
	v_rcp_f64_e32 v[4:5], v[0:1]
	s_waitcnt_depctr 0xfff
	v_fma_f64 v[6:7], -v[0:1], v[4:5], 1.0
	v_fma_f64 v[4:5], v[4:5], v[6:7], v[4:5]
	s_delay_alu instid0(VALU_DEP_1) | instskip(NEXT) | instid1(VALU_DEP_1)
	v_fma_f64 v[6:7], -v[0:1], v[4:5], 1.0
	v_fma_f64 v[4:5], v[4:5], v[6:7], v[4:5]
	s_delay_alu instid0(VALU_DEP_1) | instskip(NEXT) | instid1(VALU_DEP_1)
	v_mul_f64 v[6:7], v[112:113], v[4:5]
	v_fma_f64 v[0:1], -v[0:1], v[6:7], v[112:113]
	s_delay_alu instid0(VALU_DEP_1) | instskip(NEXT) | instid1(VALU_DEP_1)
	v_div_fmas_f64 v[0:1], v[0:1], v[4:5], v[6:7]
	v_div_fixup_f64 v[0:1], v[0:1], v[110:111], v[108:109]
	s_delay_alu instid0(VALU_DEP_1) | instskip(NEXT) | instid1(VALU_DEP_1)
	v_fma_f64 v[4:5], v[108:109], v[0:1], v[110:111]
	v_div_scale_f64 v[6:7], null, v[4:5], v[4:5], 1.0
	s_delay_alu instid0(VALU_DEP_1) | instskip(SKIP_2) | instid1(VALU_DEP_1)
	v_rcp_f64_e32 v[108:109], v[6:7]
	s_waitcnt_depctr 0xfff
	v_fma_f64 v[110:111], -v[6:7], v[108:109], 1.0
	v_fma_f64 v[108:109], v[108:109], v[110:111], v[108:109]
	s_delay_alu instid0(VALU_DEP_1) | instskip(NEXT) | instid1(VALU_DEP_1)
	v_fma_f64 v[110:111], -v[6:7], v[108:109], 1.0
	v_fma_f64 v[108:109], v[108:109], v[110:111], v[108:109]
	v_div_scale_f64 v[110:111], vcc_lo, 1.0, v[4:5], 1.0
	s_delay_alu instid0(VALU_DEP_1) | instskip(NEXT) | instid1(VALU_DEP_1)
	v_mul_f64 v[112:113], v[110:111], v[108:109]
	v_fma_f64 v[6:7], -v[6:7], v[112:113], v[110:111]
	s_delay_alu instid0(VALU_DEP_1) | instskip(NEXT) | instid1(VALU_DEP_1)
	v_div_fmas_f64 v[6:7], v[6:7], v[108:109], v[112:113]
                                        ; implicit-def: $vgpr108_vgpr109
	v_div_fixup_f64 v[114:115], v[6:7], v[4:5], 1.0
	s_delay_alu instid0(VALU_DEP_1)
	v_mul_f64 v[0:1], v[0:1], v[114:115]
	v_xor_b32_e32 v115, 0x80000000, v115
.LBB123_353:
	s_and_not1_saveexec_b32 s3, s3
	s_cbranch_execz .LBB123_355
; %bb.354:
	v_div_scale_f64 v[0:1], null, v[108:109], v[108:109], v[110:111]
	v_div_scale_f64 v[112:113], vcc_lo, v[110:111], v[108:109], v[110:111]
	s_delay_alu instid0(VALU_DEP_2) | instskip(SKIP_2) | instid1(VALU_DEP_1)
	v_rcp_f64_e32 v[4:5], v[0:1]
	s_waitcnt_depctr 0xfff
	v_fma_f64 v[6:7], -v[0:1], v[4:5], 1.0
	v_fma_f64 v[4:5], v[4:5], v[6:7], v[4:5]
	s_delay_alu instid0(VALU_DEP_1) | instskip(NEXT) | instid1(VALU_DEP_1)
	v_fma_f64 v[6:7], -v[0:1], v[4:5], 1.0
	v_fma_f64 v[4:5], v[4:5], v[6:7], v[4:5]
	s_delay_alu instid0(VALU_DEP_1) | instskip(NEXT) | instid1(VALU_DEP_1)
	v_mul_f64 v[6:7], v[112:113], v[4:5]
	v_fma_f64 v[0:1], -v[0:1], v[6:7], v[112:113]
	s_delay_alu instid0(VALU_DEP_1) | instskip(NEXT) | instid1(VALU_DEP_1)
	v_div_fmas_f64 v[0:1], v[0:1], v[4:5], v[6:7]
	v_div_fixup_f64 v[4:5], v[0:1], v[108:109], v[110:111]
	s_delay_alu instid0(VALU_DEP_1) | instskip(NEXT) | instid1(VALU_DEP_1)
	v_fma_f64 v[0:1], v[110:111], v[4:5], v[108:109]
	v_div_scale_f64 v[6:7], null, v[0:1], v[0:1], 1.0
	s_delay_alu instid0(VALU_DEP_1) | instskip(SKIP_2) | instid1(VALU_DEP_1)
	v_rcp_f64_e32 v[108:109], v[6:7]
	s_waitcnt_depctr 0xfff
	v_fma_f64 v[110:111], -v[6:7], v[108:109], 1.0
	v_fma_f64 v[108:109], v[108:109], v[110:111], v[108:109]
	s_delay_alu instid0(VALU_DEP_1) | instskip(NEXT) | instid1(VALU_DEP_1)
	v_fma_f64 v[110:111], -v[6:7], v[108:109], 1.0
	v_fma_f64 v[108:109], v[108:109], v[110:111], v[108:109]
	v_div_scale_f64 v[110:111], vcc_lo, 1.0, v[0:1], 1.0
	s_delay_alu instid0(VALU_DEP_1) | instskip(NEXT) | instid1(VALU_DEP_1)
	v_mul_f64 v[112:113], v[110:111], v[108:109]
	v_fma_f64 v[6:7], -v[6:7], v[112:113], v[110:111]
	s_delay_alu instid0(VALU_DEP_1) | instskip(NEXT) | instid1(VALU_DEP_1)
	v_div_fmas_f64 v[6:7], v[6:7], v[108:109], v[112:113]
	v_div_fixup_f64 v[0:1], v[6:7], v[0:1], 1.0
	s_delay_alu instid0(VALU_DEP_1)
	v_mul_f64 v[114:115], v[4:5], -v[0:1]
.LBB123_355:
	s_or_b32 exec_lo, exec_lo, s3
	ds_store_2addr_b64 v255, v[0:1], v[114:115] offset1:1
.LBB123_356:
	s_or_b32 exec_lo, exec_lo, s4
	s_waitcnt lgkmcnt(0)
	s_barrier
	buffer_gl0_inv
	ds_load_2addr_b64 v[108:111], v255 offset1:1
	s_mov_b32 s3, exec_lo
	v_cmpx_lt_u32_e32 27, v252
	s_cbranch_execz .LBB123_359
; %bb.357:
	scratch_load_b128 v[114:117], off, off offset:432
	s_mov_b32 s4, 0
	s_waitcnt vmcnt(0) lgkmcnt(0)
	v_mul_f64 v[0:1], v[110:111], v[116:117]
	s_delay_alu instid0(VALU_DEP_1) | instskip(SKIP_1) | instid1(VALU_DEP_1)
	v_fma_f64 v[112:113], v[108:109], v[114:115], -v[0:1]
	v_mul_f64 v[0:1], v[108:109], v[116:117]
	v_fma_f64 v[114:115], v[110:111], v[114:115], v[0:1]
	v_add3_u32 v0, v180, 0, 0x1c0
	scratch_store_b128 off, v[112:115], off offset:432
	s_set_inst_prefetch_distance 0x1
	.p2align	6
.LBB123_358:                            ; =>This Inner Loop Header: Depth=1
	v_add_nc_u32_e32 v1, s4, v0
	v_add_nc_u32_e64 v120, s4, 0
	s_add_i32 s4, s4, 32
	s_delay_alu instid0(SALU_CYCLE_1)
	s_cmpk_lg_i32 s4, 0x220
	ds_load_2addr_b64 v[116:119], v1 offset1:1
	v_add_nc_u32_e32 v121, 0x1c0, v120
	s_waitcnt lgkmcnt(0)
	v_mul_f64 v[4:5], v[118:119], v[114:115]
	v_mul_f64 v[6:7], v[116:117], v[114:115]
	s_delay_alu instid0(VALU_DEP_2) | instskip(NEXT) | instid1(VALU_DEP_2)
	v_fma_f64 v[4:5], v[116:117], v[112:113], -v[4:5]
	v_fma_f64 v[6:7], v[118:119], v[112:113], v[6:7]
	scratch_load_b128 v[116:119], v121, off
	s_waitcnt vmcnt(0)
	v_add_f64 v[116:117], v[116:117], -v[4:5]
	v_add_f64 v[118:119], v[118:119], -v[6:7]
	scratch_store_b128 v121, v[116:119], off
	ds_load_2addr_b64 v[116:119], v1 offset0:2 offset1:3
	v_add_nc_u32_e32 v1, 0x1d0, v120
	s_waitcnt lgkmcnt(0)
	v_mul_f64 v[4:5], v[118:119], v[114:115]
	v_mul_f64 v[6:7], v[116:117], v[114:115]
	s_delay_alu instid0(VALU_DEP_2) | instskip(NEXT) | instid1(VALU_DEP_2)
	v_fma_f64 v[4:5], v[116:117], v[112:113], -v[4:5]
	v_fma_f64 v[6:7], v[118:119], v[112:113], v[6:7]
	scratch_load_b128 v[116:119], v1, off
	s_waitcnt vmcnt(0)
	v_add_f64 v[116:117], v[116:117], -v[4:5]
	v_add_f64 v[118:119], v[118:119], -v[6:7]
	scratch_store_b128 v1, v[116:119], off
	s_cbranch_scc1 .LBB123_358
.LBB123_359:
	s_set_inst_prefetch_distance 0x2
	s_or_b32 exec_lo, exec_lo, s3
	s_delay_alu instid0(SALU_CYCLE_1)
	s_mov_b32 s4, exec_lo
	s_waitcnt lgkmcnt(0)
	s_waitcnt_vscnt null, 0x0
	s_barrier
	buffer_gl0_inv
	v_cmpx_eq_u32_e32 28, v252
	s_cbranch_execz .LBB123_366
; %bb.360:
	scratch_load_b32 v0, off, off offset:1104 ; 4-byte Folded Reload
	s_waitcnt vmcnt(0)
	scratch_load_b128 v[112:115], v0, off
	scratch_load_b32 v0, off, off offset:1100 ; 4-byte Folded Reload
	s_waitcnt vmcnt(1)
	ds_store_2addr_b64 v255, v[112:113], v[114:115] offset1:1
	s_waitcnt vmcnt(0)
	scratch_load_b128 v[112:115], v0, off
	scratch_load_b32 v0, off, off offset:1096 ; 4-byte Folded Reload
	s_waitcnt vmcnt(1)
	ds_store_2addr_b64 v248, v[112:113], v[114:115] offset0:58 offset1:59
	s_waitcnt vmcnt(0)
	scratch_load_b128 v[112:115], v0, off
	scratch_load_b32 v0, off, off offset:1092 ; 4-byte Folded Reload
	s_waitcnt vmcnt(1)
	ds_store_2addr_b64 v248, v[112:113], v[114:115] offset0:60 offset1:61
	;; [unrolled: 5-line block ×27, first 2 shown]
	s_waitcnt vmcnt(0)
	scratch_load_b128 v[112:115], v0, off
	s_waitcnt vmcnt(0)
	ds_store_2addr_b64 v248, v[112:113], v[114:115] offset0:112 offset1:113
	scratch_load_b128 v[112:115], v249, off
	s_waitcnt vmcnt(0)
	ds_store_2addr_b64 v248, v[112:113], v[114:115] offset0:114 offset1:115
	;; [unrolled: 3-line block ×6, first 2 shown]
	ds_load_2addr_b64 v[112:115], v255 offset1:1
	s_waitcnt lgkmcnt(0)
	v_cmp_neq_f64_e32 vcc_lo, 0, v[112:113]
	v_cmp_neq_f64_e64 s3, 0, v[114:115]
	s_delay_alu instid0(VALU_DEP_1) | instskip(NEXT) | instid1(SALU_CYCLE_1)
	s_or_b32 s3, vcc_lo, s3
	s_and_b32 exec_lo, exec_lo, s3
	s_cbranch_execz .LBB123_366
; %bb.361:
	v_cmp_gt_f64_e32 vcc_lo, 0, v[112:113]
	v_xor_b32_e32 v0, 0x80000000, v113
	v_xor_b32_e32 v4, 0x80000000, v115
	s_delay_alu instid0(VALU_DEP_2) | instskip(SKIP_2) | instid1(VALU_DEP_4)
	v_cndmask_b32_e32 v1, v113, v0, vcc_lo
	v_cndmask_b32_e32 v0, v112, v112, vcc_lo
	v_cmp_gt_f64_e32 vcc_lo, 0, v[114:115]
	v_dual_cndmask_b32 v5, v115, v4 :: v_dual_cndmask_b32 v4, v114, v114
	s_delay_alu instid0(VALU_DEP_1) | instskip(SKIP_1) | instid1(SALU_CYCLE_1)
	v_cmp_ngt_f64_e32 vcc_lo, v[0:1], v[4:5]
                                        ; implicit-def: $vgpr0_vgpr1
	s_and_saveexec_b32 s3, vcc_lo
	s_xor_b32 s3, exec_lo, s3
                                        ; implicit-def: $vgpr116_vgpr117_vgpr118_vgpr119
	s_cbranch_execz .LBB123_363
; %bb.362:
	v_div_scale_f64 v[0:1], null, v[114:115], v[114:115], v[112:113]
	v_div_scale_f64 v[116:117], vcc_lo, v[112:113], v[114:115], v[112:113]
	s_delay_alu instid0(VALU_DEP_2) | instskip(SKIP_2) | instid1(VALU_DEP_1)
	v_rcp_f64_e32 v[4:5], v[0:1]
	s_waitcnt_depctr 0xfff
	v_fma_f64 v[6:7], -v[0:1], v[4:5], 1.0
	v_fma_f64 v[4:5], v[4:5], v[6:7], v[4:5]
	s_delay_alu instid0(VALU_DEP_1) | instskip(NEXT) | instid1(VALU_DEP_1)
	v_fma_f64 v[6:7], -v[0:1], v[4:5], 1.0
	v_fma_f64 v[4:5], v[4:5], v[6:7], v[4:5]
	s_delay_alu instid0(VALU_DEP_1) | instskip(NEXT) | instid1(VALU_DEP_1)
	v_mul_f64 v[6:7], v[116:117], v[4:5]
	v_fma_f64 v[0:1], -v[0:1], v[6:7], v[116:117]
	s_delay_alu instid0(VALU_DEP_1) | instskip(NEXT) | instid1(VALU_DEP_1)
	v_div_fmas_f64 v[0:1], v[0:1], v[4:5], v[6:7]
	v_div_fixup_f64 v[0:1], v[0:1], v[114:115], v[112:113]
	s_delay_alu instid0(VALU_DEP_1) | instskip(NEXT) | instid1(VALU_DEP_1)
	v_fma_f64 v[4:5], v[112:113], v[0:1], v[114:115]
	v_div_scale_f64 v[6:7], null, v[4:5], v[4:5], 1.0
	s_delay_alu instid0(VALU_DEP_1) | instskip(SKIP_2) | instid1(VALU_DEP_1)
	v_rcp_f64_e32 v[112:113], v[6:7]
	s_waitcnt_depctr 0xfff
	v_fma_f64 v[114:115], -v[6:7], v[112:113], 1.0
	v_fma_f64 v[112:113], v[112:113], v[114:115], v[112:113]
	s_delay_alu instid0(VALU_DEP_1) | instskip(NEXT) | instid1(VALU_DEP_1)
	v_fma_f64 v[114:115], -v[6:7], v[112:113], 1.0
	v_fma_f64 v[112:113], v[112:113], v[114:115], v[112:113]
	v_div_scale_f64 v[114:115], vcc_lo, 1.0, v[4:5], 1.0
	s_delay_alu instid0(VALU_DEP_1) | instskip(NEXT) | instid1(VALU_DEP_1)
	v_mul_f64 v[116:117], v[114:115], v[112:113]
	v_fma_f64 v[6:7], -v[6:7], v[116:117], v[114:115]
	s_delay_alu instid0(VALU_DEP_1) | instskip(NEXT) | instid1(VALU_DEP_1)
	v_div_fmas_f64 v[6:7], v[6:7], v[112:113], v[116:117]
                                        ; implicit-def: $vgpr112_vgpr113
	v_div_fixup_f64 v[118:119], v[6:7], v[4:5], 1.0
	s_delay_alu instid0(VALU_DEP_1)
	v_mul_f64 v[0:1], v[0:1], v[118:119]
	v_xor_b32_e32 v119, 0x80000000, v119
.LBB123_363:
	s_and_not1_saveexec_b32 s3, s3
	s_cbranch_execz .LBB123_365
; %bb.364:
	v_div_scale_f64 v[0:1], null, v[112:113], v[112:113], v[114:115]
	v_div_scale_f64 v[116:117], vcc_lo, v[114:115], v[112:113], v[114:115]
	s_delay_alu instid0(VALU_DEP_2) | instskip(SKIP_2) | instid1(VALU_DEP_1)
	v_rcp_f64_e32 v[4:5], v[0:1]
	s_waitcnt_depctr 0xfff
	v_fma_f64 v[6:7], -v[0:1], v[4:5], 1.0
	v_fma_f64 v[4:5], v[4:5], v[6:7], v[4:5]
	s_delay_alu instid0(VALU_DEP_1) | instskip(NEXT) | instid1(VALU_DEP_1)
	v_fma_f64 v[6:7], -v[0:1], v[4:5], 1.0
	v_fma_f64 v[4:5], v[4:5], v[6:7], v[4:5]
	s_delay_alu instid0(VALU_DEP_1) | instskip(NEXT) | instid1(VALU_DEP_1)
	v_mul_f64 v[6:7], v[116:117], v[4:5]
	v_fma_f64 v[0:1], -v[0:1], v[6:7], v[116:117]
	s_delay_alu instid0(VALU_DEP_1) | instskip(NEXT) | instid1(VALU_DEP_1)
	v_div_fmas_f64 v[0:1], v[0:1], v[4:5], v[6:7]
	v_div_fixup_f64 v[4:5], v[0:1], v[112:113], v[114:115]
	s_delay_alu instid0(VALU_DEP_1) | instskip(NEXT) | instid1(VALU_DEP_1)
	v_fma_f64 v[0:1], v[114:115], v[4:5], v[112:113]
	v_div_scale_f64 v[6:7], null, v[0:1], v[0:1], 1.0
	s_delay_alu instid0(VALU_DEP_1) | instskip(SKIP_2) | instid1(VALU_DEP_1)
	v_rcp_f64_e32 v[112:113], v[6:7]
	s_waitcnt_depctr 0xfff
	v_fma_f64 v[114:115], -v[6:7], v[112:113], 1.0
	v_fma_f64 v[112:113], v[112:113], v[114:115], v[112:113]
	s_delay_alu instid0(VALU_DEP_1) | instskip(NEXT) | instid1(VALU_DEP_1)
	v_fma_f64 v[114:115], -v[6:7], v[112:113], 1.0
	v_fma_f64 v[112:113], v[112:113], v[114:115], v[112:113]
	v_div_scale_f64 v[114:115], vcc_lo, 1.0, v[0:1], 1.0
	s_delay_alu instid0(VALU_DEP_1) | instskip(NEXT) | instid1(VALU_DEP_1)
	v_mul_f64 v[116:117], v[114:115], v[112:113]
	v_fma_f64 v[6:7], -v[6:7], v[116:117], v[114:115]
	s_delay_alu instid0(VALU_DEP_1) | instskip(NEXT) | instid1(VALU_DEP_1)
	v_div_fmas_f64 v[6:7], v[6:7], v[112:113], v[116:117]
	v_div_fixup_f64 v[0:1], v[6:7], v[0:1], 1.0
	s_delay_alu instid0(VALU_DEP_1)
	v_mul_f64 v[118:119], v[4:5], -v[0:1]
.LBB123_365:
	s_or_b32 exec_lo, exec_lo, s3
	ds_store_2addr_b64 v255, v[0:1], v[118:119] offset1:1
.LBB123_366:
	s_or_b32 exec_lo, exec_lo, s4
	s_waitcnt lgkmcnt(0)
	s_barrier
	buffer_gl0_inv
	ds_load_2addr_b64 v[112:115], v255 offset1:1
	s_mov_b32 s3, exec_lo
	v_cmpx_lt_u32_e32 28, v252
	s_cbranch_execz .LBB123_369
; %bb.367:
	scratch_load_b128 v[118:121], off, off offset:448
	s_mov_b32 s4, 0
	s_waitcnt vmcnt(0) lgkmcnt(0)
	v_mul_f64 v[0:1], v[114:115], v[120:121]
	s_delay_alu instid0(VALU_DEP_1) | instskip(SKIP_1) | instid1(VALU_DEP_1)
	v_fma_f64 v[116:117], v[112:113], v[118:119], -v[0:1]
	v_mul_f64 v[0:1], v[112:113], v[120:121]
	v_fma_f64 v[118:119], v[114:115], v[118:119], v[0:1]
	v_add3_u32 v0, v180, 0, 0x1d0
	v_mov_b32_e32 v1, 0
	scratch_store_b128 off, v[116:119], off offset:448
.LBB123_368:                            ; =>This Inner Loop Header: Depth=1
	v_add_nc_u32_e32 v124, s4, v0
	v_readfirstlane_b32 s5, v1
	ds_load_2addr_b64 v[120:123], v124 offset1:1
	s_add_i32 s5, s5, s4
	s_add_i32 s4, s4, 48
	;; [unrolled: 1-line block ×3, first 2 shown]
	s_waitcnt lgkmcnt(0)
	v_mul_f64 v[4:5], v[122:123], v[118:119]
	v_mul_f64 v[6:7], v[120:121], v[118:119]
	s_delay_alu instid0(VALU_DEP_2) | instskip(NEXT) | instid1(VALU_DEP_2)
	v_fma_f64 v[4:5], v[120:121], v[116:117], -v[4:5]
	v_fma_f64 v[6:7], v[122:123], v[116:117], v[6:7]
	scratch_load_b128 v[120:123], off, s6
	s_waitcnt vmcnt(0)
	v_add_f64 v[120:121], v[120:121], -v[4:5]
	v_add_f64 v[122:123], v[122:123], -v[6:7]
	scratch_store_b128 off, v[120:123], s6
	ds_load_2addr_b64 v[120:123], v124 offset0:2 offset1:3
	s_add_i32 s6, s5, 0x1e0
	s_addk_i32 s5, 0x1f0
	s_cmpk_lg_i32 s4, 0x210
	s_waitcnt lgkmcnt(0)
	v_mul_f64 v[4:5], v[122:123], v[118:119]
	v_mul_f64 v[6:7], v[120:121], v[118:119]
	s_delay_alu instid0(VALU_DEP_2) | instskip(NEXT) | instid1(VALU_DEP_2)
	v_fma_f64 v[4:5], v[120:121], v[116:117], -v[4:5]
	v_fma_f64 v[6:7], v[122:123], v[116:117], v[6:7]
	scratch_load_b128 v[120:123], off, s6
	s_waitcnt vmcnt(0)
	v_add_f64 v[120:121], v[120:121], -v[4:5]
	v_add_f64 v[122:123], v[122:123], -v[6:7]
	scratch_store_b128 off, v[120:123], s6
	ds_load_2addr_b64 v[120:123], v124 offset0:4 offset1:5
	s_waitcnt lgkmcnt(0)
	v_mul_f64 v[4:5], v[122:123], v[118:119]
	v_mul_f64 v[6:7], v[120:121], v[118:119]
	s_delay_alu instid0(VALU_DEP_2) | instskip(NEXT) | instid1(VALU_DEP_2)
	v_fma_f64 v[4:5], v[120:121], v[116:117], -v[4:5]
	v_fma_f64 v[6:7], v[122:123], v[116:117], v[6:7]
	scratch_load_b128 v[120:123], off, s5
	s_waitcnt vmcnt(0)
	v_add_f64 v[120:121], v[120:121], -v[4:5]
	v_add_f64 v[122:123], v[122:123], -v[6:7]
	scratch_store_b128 off, v[120:123], s5
	s_cbranch_scc1 .LBB123_368
.LBB123_369:
	s_or_b32 exec_lo, exec_lo, s3
	s_delay_alu instid0(SALU_CYCLE_1)
	s_mov_b32 s4, exec_lo
	s_waitcnt lgkmcnt(0)
	s_waitcnt_vscnt null, 0x0
	s_barrier
	buffer_gl0_inv
	v_cmpx_eq_u32_e32 29, v252
	s_cbranch_execz .LBB123_376
; %bb.370:
	scratch_load_b32 v0, off, off offset:1100 ; 4-byte Folded Reload
	s_waitcnt vmcnt(0)
	scratch_load_b128 v[116:119], v0, off
	scratch_load_b32 v0, off, off offset:1096 ; 4-byte Folded Reload
	s_waitcnt vmcnt(1)
	ds_store_2addr_b64 v255, v[116:117], v[118:119] offset1:1
	s_waitcnt vmcnt(0)
	scratch_load_b128 v[116:119], v0, off
	scratch_load_b32 v0, off, off offset:1092 ; 4-byte Folded Reload
	s_waitcnt vmcnt(1)
	ds_store_2addr_b64 v248, v[116:117], v[118:119] offset0:60 offset1:61
	s_waitcnt vmcnt(0)
	scratch_load_b128 v[116:119], v0, off
	scratch_load_b32 v0, off, off offset:1088 ; 4-byte Folded Reload
	s_waitcnt vmcnt(1)
	ds_store_2addr_b64 v248, v[116:117], v[118:119] offset0:62 offset1:63
	;; [unrolled: 5-line block ×26, first 2 shown]
	s_waitcnt vmcnt(0)
	scratch_load_b128 v[116:119], v0, off
	s_waitcnt vmcnt(0)
	ds_store_2addr_b64 v248, v[116:117], v[118:119] offset0:112 offset1:113
	scratch_load_b128 v[116:119], v249, off
	s_waitcnt vmcnt(0)
	ds_store_2addr_b64 v248, v[116:117], v[118:119] offset0:114 offset1:115
	;; [unrolled: 3-line block ×6, first 2 shown]
	ds_load_2addr_b64 v[116:119], v255 offset1:1
	s_waitcnt lgkmcnt(0)
	v_cmp_neq_f64_e32 vcc_lo, 0, v[116:117]
	v_cmp_neq_f64_e64 s3, 0, v[118:119]
	s_delay_alu instid0(VALU_DEP_1) | instskip(NEXT) | instid1(SALU_CYCLE_1)
	s_or_b32 s3, vcc_lo, s3
	s_and_b32 exec_lo, exec_lo, s3
	s_cbranch_execz .LBB123_376
; %bb.371:
	v_cmp_gt_f64_e32 vcc_lo, 0, v[116:117]
	v_xor_b32_e32 v0, 0x80000000, v117
	v_xor_b32_e32 v4, 0x80000000, v119
	s_delay_alu instid0(VALU_DEP_2) | instskip(SKIP_2) | instid1(VALU_DEP_4)
	v_cndmask_b32_e32 v1, v117, v0, vcc_lo
	v_cndmask_b32_e32 v0, v116, v116, vcc_lo
	v_cmp_gt_f64_e32 vcc_lo, 0, v[118:119]
	v_dual_cndmask_b32 v5, v119, v4 :: v_dual_cndmask_b32 v4, v118, v118
	s_delay_alu instid0(VALU_DEP_1) | instskip(SKIP_1) | instid1(SALU_CYCLE_1)
	v_cmp_ngt_f64_e32 vcc_lo, v[0:1], v[4:5]
                                        ; implicit-def: $vgpr0_vgpr1
	s_and_saveexec_b32 s3, vcc_lo
	s_xor_b32 s3, exec_lo, s3
                                        ; implicit-def: $vgpr120_vgpr121_vgpr122_vgpr123
	s_cbranch_execz .LBB123_373
; %bb.372:
	v_div_scale_f64 v[0:1], null, v[118:119], v[118:119], v[116:117]
	v_div_scale_f64 v[120:121], vcc_lo, v[116:117], v[118:119], v[116:117]
	s_delay_alu instid0(VALU_DEP_2) | instskip(SKIP_2) | instid1(VALU_DEP_1)
	v_rcp_f64_e32 v[4:5], v[0:1]
	s_waitcnt_depctr 0xfff
	v_fma_f64 v[6:7], -v[0:1], v[4:5], 1.0
	v_fma_f64 v[4:5], v[4:5], v[6:7], v[4:5]
	s_delay_alu instid0(VALU_DEP_1) | instskip(NEXT) | instid1(VALU_DEP_1)
	v_fma_f64 v[6:7], -v[0:1], v[4:5], 1.0
	v_fma_f64 v[4:5], v[4:5], v[6:7], v[4:5]
	s_delay_alu instid0(VALU_DEP_1) | instskip(NEXT) | instid1(VALU_DEP_1)
	v_mul_f64 v[6:7], v[120:121], v[4:5]
	v_fma_f64 v[0:1], -v[0:1], v[6:7], v[120:121]
	s_delay_alu instid0(VALU_DEP_1) | instskip(NEXT) | instid1(VALU_DEP_1)
	v_div_fmas_f64 v[0:1], v[0:1], v[4:5], v[6:7]
	v_div_fixup_f64 v[0:1], v[0:1], v[118:119], v[116:117]
	s_delay_alu instid0(VALU_DEP_1) | instskip(NEXT) | instid1(VALU_DEP_1)
	v_fma_f64 v[4:5], v[116:117], v[0:1], v[118:119]
	v_div_scale_f64 v[6:7], null, v[4:5], v[4:5], 1.0
	s_delay_alu instid0(VALU_DEP_1) | instskip(SKIP_2) | instid1(VALU_DEP_1)
	v_rcp_f64_e32 v[116:117], v[6:7]
	s_waitcnt_depctr 0xfff
	v_fma_f64 v[118:119], -v[6:7], v[116:117], 1.0
	v_fma_f64 v[116:117], v[116:117], v[118:119], v[116:117]
	s_delay_alu instid0(VALU_DEP_1) | instskip(NEXT) | instid1(VALU_DEP_1)
	v_fma_f64 v[118:119], -v[6:7], v[116:117], 1.0
	v_fma_f64 v[116:117], v[116:117], v[118:119], v[116:117]
	v_div_scale_f64 v[118:119], vcc_lo, 1.0, v[4:5], 1.0
	s_delay_alu instid0(VALU_DEP_1) | instskip(NEXT) | instid1(VALU_DEP_1)
	v_mul_f64 v[120:121], v[118:119], v[116:117]
	v_fma_f64 v[6:7], -v[6:7], v[120:121], v[118:119]
	s_delay_alu instid0(VALU_DEP_1) | instskip(NEXT) | instid1(VALU_DEP_1)
	v_div_fmas_f64 v[6:7], v[6:7], v[116:117], v[120:121]
                                        ; implicit-def: $vgpr116_vgpr117
	v_div_fixup_f64 v[122:123], v[6:7], v[4:5], 1.0
	s_delay_alu instid0(VALU_DEP_1)
	v_mul_f64 v[0:1], v[0:1], v[122:123]
	v_xor_b32_e32 v123, 0x80000000, v123
.LBB123_373:
	s_and_not1_saveexec_b32 s3, s3
	s_cbranch_execz .LBB123_375
; %bb.374:
	v_div_scale_f64 v[0:1], null, v[116:117], v[116:117], v[118:119]
	v_div_scale_f64 v[120:121], vcc_lo, v[118:119], v[116:117], v[118:119]
	s_delay_alu instid0(VALU_DEP_2) | instskip(SKIP_2) | instid1(VALU_DEP_1)
	v_rcp_f64_e32 v[4:5], v[0:1]
	s_waitcnt_depctr 0xfff
	v_fma_f64 v[6:7], -v[0:1], v[4:5], 1.0
	v_fma_f64 v[4:5], v[4:5], v[6:7], v[4:5]
	s_delay_alu instid0(VALU_DEP_1) | instskip(NEXT) | instid1(VALU_DEP_1)
	v_fma_f64 v[6:7], -v[0:1], v[4:5], 1.0
	v_fma_f64 v[4:5], v[4:5], v[6:7], v[4:5]
	s_delay_alu instid0(VALU_DEP_1) | instskip(NEXT) | instid1(VALU_DEP_1)
	v_mul_f64 v[6:7], v[120:121], v[4:5]
	v_fma_f64 v[0:1], -v[0:1], v[6:7], v[120:121]
	s_delay_alu instid0(VALU_DEP_1) | instskip(NEXT) | instid1(VALU_DEP_1)
	v_div_fmas_f64 v[0:1], v[0:1], v[4:5], v[6:7]
	v_div_fixup_f64 v[4:5], v[0:1], v[116:117], v[118:119]
	s_delay_alu instid0(VALU_DEP_1) | instskip(NEXT) | instid1(VALU_DEP_1)
	v_fma_f64 v[0:1], v[118:119], v[4:5], v[116:117]
	v_div_scale_f64 v[6:7], null, v[0:1], v[0:1], 1.0
	s_delay_alu instid0(VALU_DEP_1) | instskip(SKIP_2) | instid1(VALU_DEP_1)
	v_rcp_f64_e32 v[116:117], v[6:7]
	s_waitcnt_depctr 0xfff
	v_fma_f64 v[118:119], -v[6:7], v[116:117], 1.0
	v_fma_f64 v[116:117], v[116:117], v[118:119], v[116:117]
	s_delay_alu instid0(VALU_DEP_1) | instskip(NEXT) | instid1(VALU_DEP_1)
	v_fma_f64 v[118:119], -v[6:7], v[116:117], 1.0
	v_fma_f64 v[116:117], v[116:117], v[118:119], v[116:117]
	v_div_scale_f64 v[118:119], vcc_lo, 1.0, v[0:1], 1.0
	s_delay_alu instid0(VALU_DEP_1) | instskip(NEXT) | instid1(VALU_DEP_1)
	v_mul_f64 v[120:121], v[118:119], v[116:117]
	v_fma_f64 v[6:7], -v[6:7], v[120:121], v[118:119]
	s_delay_alu instid0(VALU_DEP_1) | instskip(NEXT) | instid1(VALU_DEP_1)
	v_div_fmas_f64 v[6:7], v[6:7], v[116:117], v[120:121]
	v_div_fixup_f64 v[0:1], v[6:7], v[0:1], 1.0
	s_delay_alu instid0(VALU_DEP_1)
	v_mul_f64 v[122:123], v[4:5], -v[0:1]
.LBB123_375:
	s_or_b32 exec_lo, exec_lo, s3
	ds_store_2addr_b64 v255, v[0:1], v[122:123] offset1:1
.LBB123_376:
	s_or_b32 exec_lo, exec_lo, s4
	s_waitcnt lgkmcnt(0)
	s_barrier
	buffer_gl0_inv
	ds_load_2addr_b64 v[116:119], v255 offset1:1
	s_mov_b32 s3, exec_lo
	v_cmpx_lt_u32_e32 29, v252
	s_cbranch_execz .LBB123_379
; %bb.377:
	scratch_load_b128 v[122:125], off, off offset:464
	s_mov_b32 s4, 0
	s_waitcnt vmcnt(0) lgkmcnt(0)
	v_mul_f64 v[0:1], v[118:119], v[124:125]
	s_delay_alu instid0(VALU_DEP_1) | instskip(SKIP_1) | instid1(VALU_DEP_1)
	v_fma_f64 v[120:121], v[116:117], v[122:123], -v[0:1]
	v_mul_f64 v[0:1], v[116:117], v[124:125]
	v_fma_f64 v[122:123], v[118:119], v[122:123], v[0:1]
	v_add3_u32 v0, v180, 0, 0x1e0
	v_mov_b32_e32 v1, 0
	scratch_store_b128 off, v[120:123], off offset:464
.LBB123_378:                            ; =>This Inner Loop Header: Depth=1
	v_add_nc_u32_e32 v128, s4, v0
	v_readfirstlane_b32 s5, v1
	ds_load_2addr_b64 v[124:127], v128 offset1:1
	s_add_i32 s5, s5, s4
	s_add_i32 s4, s4, 64
	;; [unrolled: 1-line block ×3, first 2 shown]
	s_waitcnt lgkmcnt(0)
	v_mul_f64 v[4:5], v[126:127], v[122:123]
	v_mul_f64 v[6:7], v[124:125], v[122:123]
	s_delay_alu instid0(VALU_DEP_2) | instskip(NEXT) | instid1(VALU_DEP_2)
	v_fma_f64 v[4:5], v[124:125], v[120:121], -v[4:5]
	v_fma_f64 v[6:7], v[126:127], v[120:121], v[6:7]
	scratch_load_b128 v[124:127], off, s6
	s_waitcnt vmcnt(0)
	v_add_f64 v[124:125], v[124:125], -v[4:5]
	v_add_f64 v[126:127], v[126:127], -v[6:7]
	scratch_store_b128 off, v[124:127], s6
	ds_load_2addr_b64 v[124:127], v128 offset0:2 offset1:3
	s_add_i32 s6, s5, 0x1f0
	s_waitcnt lgkmcnt(0)
	v_mul_f64 v[4:5], v[126:127], v[122:123]
	v_mul_f64 v[6:7], v[124:125], v[122:123]
	s_delay_alu instid0(VALU_DEP_2) | instskip(NEXT) | instid1(VALU_DEP_2)
	v_fma_f64 v[4:5], v[124:125], v[120:121], -v[4:5]
	v_fma_f64 v[6:7], v[126:127], v[120:121], v[6:7]
	scratch_load_b128 v[124:127], off, s6
	s_waitcnt vmcnt(0)
	v_add_f64 v[124:125], v[124:125], -v[4:5]
	v_add_f64 v[126:127], v[126:127], -v[6:7]
	scratch_store_b128 off, v[124:127], s6
	ds_load_2addr_b64 v[124:127], v128 offset0:4 offset1:5
	s_add_i32 s6, s5, 0x200
	s_addk_i32 s5, 0x210
	s_cmpk_lg_i32 s4, 0x200
	s_waitcnt lgkmcnt(0)
	v_mul_f64 v[4:5], v[126:127], v[122:123]
	v_mul_f64 v[6:7], v[124:125], v[122:123]
	s_delay_alu instid0(VALU_DEP_2) | instskip(NEXT) | instid1(VALU_DEP_2)
	v_fma_f64 v[4:5], v[124:125], v[120:121], -v[4:5]
	v_fma_f64 v[6:7], v[126:127], v[120:121], v[6:7]
	scratch_load_b128 v[124:127], off, s6
	s_waitcnt vmcnt(0)
	v_add_f64 v[124:125], v[124:125], -v[4:5]
	v_add_f64 v[126:127], v[126:127], -v[6:7]
	scratch_store_b128 off, v[124:127], s6
	ds_load_2addr_b64 v[124:127], v128 offset0:6 offset1:7
	s_waitcnt lgkmcnt(0)
	v_mul_f64 v[4:5], v[126:127], v[122:123]
	v_mul_f64 v[6:7], v[124:125], v[122:123]
	s_delay_alu instid0(VALU_DEP_2) | instskip(NEXT) | instid1(VALU_DEP_2)
	v_fma_f64 v[4:5], v[124:125], v[120:121], -v[4:5]
	v_fma_f64 v[6:7], v[126:127], v[120:121], v[6:7]
	scratch_load_b128 v[124:127], off, s5
	s_waitcnt vmcnt(0)
	v_add_f64 v[124:125], v[124:125], -v[4:5]
	v_add_f64 v[126:127], v[126:127], -v[6:7]
	scratch_store_b128 off, v[124:127], s5
	s_cbranch_scc1 .LBB123_378
.LBB123_379:
	s_or_b32 exec_lo, exec_lo, s3
	s_delay_alu instid0(SALU_CYCLE_1)
	s_mov_b32 s4, exec_lo
	s_waitcnt lgkmcnt(0)
	s_waitcnt_vscnt null, 0x0
	s_barrier
	buffer_gl0_inv
	v_cmpx_eq_u32_e32 30, v252
	s_cbranch_execz .LBB123_386
; %bb.380:
	scratch_load_b32 v0, off, off offset:1096 ; 4-byte Folded Reload
	s_waitcnt vmcnt(0)
	scratch_load_b128 v[120:123], v0, off
	scratch_load_b32 v0, off, off offset:1092 ; 4-byte Folded Reload
	s_waitcnt vmcnt(1)
	ds_store_2addr_b64 v255, v[120:121], v[122:123] offset1:1
	s_waitcnt vmcnt(0)
	scratch_load_b128 v[120:123], v0, off
	scratch_load_b32 v0, off, off offset:1088 ; 4-byte Folded Reload
	s_waitcnt vmcnt(1)
	ds_store_2addr_b64 v248, v[120:121], v[122:123] offset0:62 offset1:63
	s_waitcnt vmcnt(0)
	scratch_load_b128 v[120:123], v0, off
	scratch_load_b32 v0, off, off offset:1084 ; 4-byte Folded Reload
	s_waitcnt vmcnt(1)
	ds_store_2addr_b64 v248, v[120:121], v[122:123] offset0:64 offset1:65
	;; [unrolled: 5-line block ×25, first 2 shown]
	s_waitcnt vmcnt(0)
	scratch_load_b128 v[120:123], v0, off
	s_waitcnt vmcnt(0)
	ds_store_2addr_b64 v248, v[120:121], v[122:123] offset0:112 offset1:113
	scratch_load_b128 v[120:123], v249, off
	s_waitcnt vmcnt(0)
	ds_store_2addr_b64 v248, v[120:121], v[122:123] offset0:114 offset1:115
	;; [unrolled: 3-line block ×6, first 2 shown]
	ds_load_2addr_b64 v[120:123], v255 offset1:1
	s_waitcnt lgkmcnt(0)
	v_cmp_neq_f64_e32 vcc_lo, 0, v[120:121]
	v_cmp_neq_f64_e64 s3, 0, v[122:123]
	s_delay_alu instid0(VALU_DEP_1) | instskip(NEXT) | instid1(SALU_CYCLE_1)
	s_or_b32 s3, vcc_lo, s3
	s_and_b32 exec_lo, exec_lo, s3
	s_cbranch_execz .LBB123_386
; %bb.381:
	v_cmp_gt_f64_e32 vcc_lo, 0, v[120:121]
	v_xor_b32_e32 v0, 0x80000000, v121
	v_xor_b32_e32 v4, 0x80000000, v123
	s_delay_alu instid0(VALU_DEP_2) | instskip(SKIP_2) | instid1(VALU_DEP_4)
	v_cndmask_b32_e32 v1, v121, v0, vcc_lo
	v_cndmask_b32_e32 v0, v120, v120, vcc_lo
	v_cmp_gt_f64_e32 vcc_lo, 0, v[122:123]
	v_dual_cndmask_b32 v5, v123, v4 :: v_dual_cndmask_b32 v4, v122, v122
	s_delay_alu instid0(VALU_DEP_1) | instskip(SKIP_1) | instid1(SALU_CYCLE_1)
	v_cmp_ngt_f64_e32 vcc_lo, v[0:1], v[4:5]
                                        ; implicit-def: $vgpr0_vgpr1
	s_and_saveexec_b32 s3, vcc_lo
	s_xor_b32 s3, exec_lo, s3
                                        ; implicit-def: $vgpr124_vgpr125_vgpr126_vgpr127
	s_cbranch_execz .LBB123_383
; %bb.382:
	v_div_scale_f64 v[0:1], null, v[122:123], v[122:123], v[120:121]
	v_div_scale_f64 v[124:125], vcc_lo, v[120:121], v[122:123], v[120:121]
	s_delay_alu instid0(VALU_DEP_2) | instskip(SKIP_2) | instid1(VALU_DEP_1)
	v_rcp_f64_e32 v[4:5], v[0:1]
	s_waitcnt_depctr 0xfff
	v_fma_f64 v[6:7], -v[0:1], v[4:5], 1.0
	v_fma_f64 v[4:5], v[4:5], v[6:7], v[4:5]
	s_delay_alu instid0(VALU_DEP_1) | instskip(NEXT) | instid1(VALU_DEP_1)
	v_fma_f64 v[6:7], -v[0:1], v[4:5], 1.0
	v_fma_f64 v[4:5], v[4:5], v[6:7], v[4:5]
	s_delay_alu instid0(VALU_DEP_1) | instskip(NEXT) | instid1(VALU_DEP_1)
	v_mul_f64 v[6:7], v[124:125], v[4:5]
	v_fma_f64 v[0:1], -v[0:1], v[6:7], v[124:125]
	s_delay_alu instid0(VALU_DEP_1) | instskip(NEXT) | instid1(VALU_DEP_1)
	v_div_fmas_f64 v[0:1], v[0:1], v[4:5], v[6:7]
	v_div_fixup_f64 v[0:1], v[0:1], v[122:123], v[120:121]
	s_delay_alu instid0(VALU_DEP_1) | instskip(NEXT) | instid1(VALU_DEP_1)
	v_fma_f64 v[4:5], v[120:121], v[0:1], v[122:123]
	v_div_scale_f64 v[6:7], null, v[4:5], v[4:5], 1.0
	s_delay_alu instid0(VALU_DEP_1) | instskip(SKIP_2) | instid1(VALU_DEP_1)
	v_rcp_f64_e32 v[120:121], v[6:7]
	s_waitcnt_depctr 0xfff
	v_fma_f64 v[122:123], -v[6:7], v[120:121], 1.0
	v_fma_f64 v[120:121], v[120:121], v[122:123], v[120:121]
	s_delay_alu instid0(VALU_DEP_1) | instskip(NEXT) | instid1(VALU_DEP_1)
	v_fma_f64 v[122:123], -v[6:7], v[120:121], 1.0
	v_fma_f64 v[120:121], v[120:121], v[122:123], v[120:121]
	v_div_scale_f64 v[122:123], vcc_lo, 1.0, v[4:5], 1.0
	s_delay_alu instid0(VALU_DEP_1) | instskip(NEXT) | instid1(VALU_DEP_1)
	v_mul_f64 v[124:125], v[122:123], v[120:121]
	v_fma_f64 v[6:7], -v[6:7], v[124:125], v[122:123]
	s_delay_alu instid0(VALU_DEP_1) | instskip(NEXT) | instid1(VALU_DEP_1)
	v_div_fmas_f64 v[6:7], v[6:7], v[120:121], v[124:125]
                                        ; implicit-def: $vgpr120_vgpr121
	v_div_fixup_f64 v[126:127], v[6:7], v[4:5], 1.0
	s_delay_alu instid0(VALU_DEP_1)
	v_mul_f64 v[0:1], v[0:1], v[126:127]
	v_xor_b32_e32 v127, 0x80000000, v127
.LBB123_383:
	s_and_not1_saveexec_b32 s3, s3
	s_cbranch_execz .LBB123_385
; %bb.384:
	v_div_scale_f64 v[0:1], null, v[120:121], v[120:121], v[122:123]
	v_div_scale_f64 v[124:125], vcc_lo, v[122:123], v[120:121], v[122:123]
	s_delay_alu instid0(VALU_DEP_2) | instskip(SKIP_2) | instid1(VALU_DEP_1)
	v_rcp_f64_e32 v[4:5], v[0:1]
	s_waitcnt_depctr 0xfff
	v_fma_f64 v[6:7], -v[0:1], v[4:5], 1.0
	v_fma_f64 v[4:5], v[4:5], v[6:7], v[4:5]
	s_delay_alu instid0(VALU_DEP_1) | instskip(NEXT) | instid1(VALU_DEP_1)
	v_fma_f64 v[6:7], -v[0:1], v[4:5], 1.0
	v_fma_f64 v[4:5], v[4:5], v[6:7], v[4:5]
	s_delay_alu instid0(VALU_DEP_1) | instskip(NEXT) | instid1(VALU_DEP_1)
	v_mul_f64 v[6:7], v[124:125], v[4:5]
	v_fma_f64 v[0:1], -v[0:1], v[6:7], v[124:125]
	s_delay_alu instid0(VALU_DEP_1) | instskip(NEXT) | instid1(VALU_DEP_1)
	v_div_fmas_f64 v[0:1], v[0:1], v[4:5], v[6:7]
	v_div_fixup_f64 v[4:5], v[0:1], v[120:121], v[122:123]
	s_delay_alu instid0(VALU_DEP_1) | instskip(NEXT) | instid1(VALU_DEP_1)
	v_fma_f64 v[0:1], v[122:123], v[4:5], v[120:121]
	v_div_scale_f64 v[6:7], null, v[0:1], v[0:1], 1.0
	s_delay_alu instid0(VALU_DEP_1) | instskip(SKIP_2) | instid1(VALU_DEP_1)
	v_rcp_f64_e32 v[120:121], v[6:7]
	s_waitcnt_depctr 0xfff
	v_fma_f64 v[122:123], -v[6:7], v[120:121], 1.0
	v_fma_f64 v[120:121], v[120:121], v[122:123], v[120:121]
	s_delay_alu instid0(VALU_DEP_1) | instskip(NEXT) | instid1(VALU_DEP_1)
	v_fma_f64 v[122:123], -v[6:7], v[120:121], 1.0
	v_fma_f64 v[120:121], v[120:121], v[122:123], v[120:121]
	v_div_scale_f64 v[122:123], vcc_lo, 1.0, v[0:1], 1.0
	s_delay_alu instid0(VALU_DEP_1) | instskip(NEXT) | instid1(VALU_DEP_1)
	v_mul_f64 v[124:125], v[122:123], v[120:121]
	v_fma_f64 v[6:7], -v[6:7], v[124:125], v[122:123]
	s_delay_alu instid0(VALU_DEP_1) | instskip(NEXT) | instid1(VALU_DEP_1)
	v_div_fmas_f64 v[6:7], v[6:7], v[120:121], v[124:125]
	v_div_fixup_f64 v[0:1], v[6:7], v[0:1], 1.0
	s_delay_alu instid0(VALU_DEP_1)
	v_mul_f64 v[126:127], v[4:5], -v[0:1]
.LBB123_385:
	s_or_b32 exec_lo, exec_lo, s3
	ds_store_2addr_b64 v255, v[0:1], v[126:127] offset1:1
.LBB123_386:
	s_or_b32 exec_lo, exec_lo, s4
	s_waitcnt lgkmcnt(0)
	s_barrier
	buffer_gl0_inv
	ds_load_2addr_b64 v[120:123], v255 offset1:1
	s_mov_b32 s3, exec_lo
	v_cmpx_lt_u32_e32 30, v252
	s_cbranch_execz .LBB123_391
; %bb.387:
	scratch_load_b128 v[126:129], off, off offset:480
	s_mov_b32 s4, 0
	s_waitcnt vmcnt(0) lgkmcnt(0)
	v_mul_f64 v[0:1], v[122:123], v[128:129]
	s_delay_alu instid0(VALU_DEP_1) | instskip(SKIP_1) | instid1(VALU_DEP_1)
	v_fma_f64 v[124:125], v[120:121], v[126:127], -v[0:1]
	v_mul_f64 v[0:1], v[120:121], v[128:129]
	v_fma_f64 v[126:127], v[122:123], v[126:127], v[0:1]
	v_add3_u32 v0, v180, 0, 0x1f0
	v_mov_b32_e32 v1, 0
	scratch_store_b128 off, v[124:127], off offset:480
	s_branch .LBB123_389
.LBB123_388:                            ;   in Loop: Header=BB123_389 Depth=1
	s_and_not1_b32 vcc_lo, exec_lo, s6
	s_cbranch_vccz .LBB123_391
.LBB123_389:                            ; =>This Inner Loop Header: Depth=1
	v_add_nc_u32_e32 v128, s4, v0
	v_readfirstlane_b32 s5, v1
	ds_load_2addr_b64 v[129:132], v128 offset1:1
	s_add_i32 s5, s5, s4
	s_delay_alu instid0(SALU_CYCLE_1) | instskip(SKIP_3) | instid1(VALU_DEP_2)
	s_add_i32 s6, s5, 0x1f0
	s_waitcnt lgkmcnt(0)
	v_mul_f64 v[4:5], v[131:132], v[126:127]
	v_mul_f64 v[6:7], v[129:130], v[126:127]
	v_fma_f64 v[4:5], v[129:130], v[124:125], -v[4:5]
	s_delay_alu instid0(VALU_DEP_2)
	v_fma_f64 v[6:7], v[131:132], v[124:125], v[6:7]
	scratch_load_b128 v[129:132], off, s6
	s_waitcnt vmcnt(0)
	v_add_f64 v[129:130], v[129:130], -v[4:5]
	v_add_f64 v[131:132], v[131:132], -v[6:7]
	scratch_store_b128 off, v[129:132], s6
	ds_load_2addr_b64 v[129:132], v128 offset0:2 offset1:3
	s_add_i32 s6, s5, 0x200
	s_waitcnt lgkmcnt(0)
	v_mul_f64 v[4:5], v[131:132], v[126:127]
	v_mul_f64 v[6:7], v[129:130], v[126:127]
	s_delay_alu instid0(VALU_DEP_2) | instskip(NEXT) | instid1(VALU_DEP_2)
	v_fma_f64 v[4:5], v[129:130], v[124:125], -v[4:5]
	v_fma_f64 v[6:7], v[131:132], v[124:125], v[6:7]
	scratch_load_b128 v[129:132], off, s6
	s_waitcnt vmcnt(0)
	v_add_f64 v[129:130], v[129:130], -v[4:5]
	v_add_f64 v[131:132], v[131:132], -v[6:7]
	scratch_store_b128 off, v[129:132], s6
	ds_load_2addr_b64 v[129:132], v128 offset0:4 offset1:5
	s_add_i32 s6, s5, 0x210
	s_cmpk_eq_i32 s4, 0x1c0
	s_waitcnt lgkmcnt(0)
	v_mul_f64 v[4:5], v[131:132], v[126:127]
	v_mul_f64 v[6:7], v[129:130], v[126:127]
	s_delay_alu instid0(VALU_DEP_2) | instskip(NEXT) | instid1(VALU_DEP_2)
	v_fma_f64 v[4:5], v[129:130], v[124:125], -v[4:5]
	v_fma_f64 v[6:7], v[131:132], v[124:125], v[6:7]
	scratch_load_b128 v[129:132], off, s6
	s_waitcnt vmcnt(0)
	v_add_f64 v[129:130], v[129:130], -v[4:5]
	v_add_f64 v[131:132], v[131:132], -v[6:7]
	scratch_store_b128 off, v[129:132], s6
	s_mov_b32 s6, -1
	s_cbranch_scc1 .LBB123_388
; %bb.390:                              ;   in Loop: Header=BB123_389 Depth=1
	ds_load_2addr_b64 v[128:131], v128 offset0:6 offset1:7
	s_addk_i32 s5, 0x220
	s_add_i32 s4, s4, 64
	s_mov_b32 s6, 0
	s_waitcnt lgkmcnt(0)
	v_mul_f64 v[4:5], v[130:131], v[126:127]
	v_mul_f64 v[6:7], v[128:129], v[126:127]
	s_delay_alu instid0(VALU_DEP_2) | instskip(NEXT) | instid1(VALU_DEP_2)
	v_fma_f64 v[4:5], v[128:129], v[124:125], -v[4:5]
	v_fma_f64 v[6:7], v[130:131], v[124:125], v[6:7]
	scratch_load_b128 v[128:131], off, s5
	s_waitcnt vmcnt(0)
	v_add_f64 v[128:129], v[128:129], -v[4:5]
	v_add_f64 v[130:131], v[130:131], -v[6:7]
	scratch_store_b128 off, v[128:131], s5
	s_branch .LBB123_388
.LBB123_391:
	s_or_b32 exec_lo, exec_lo, s3
	s_delay_alu instid0(SALU_CYCLE_1)
	s_mov_b32 s4, exec_lo
	s_waitcnt lgkmcnt(0)
	s_waitcnt_vscnt null, 0x0
	s_barrier
	buffer_gl0_inv
	v_cmpx_eq_u32_e32 31, v252
	s_cbranch_execz .LBB123_398
; %bb.392:
	scratch_load_b32 v0, off, off offset:1092 ; 4-byte Folded Reload
	s_waitcnt vmcnt(0)
	scratch_load_b128 v[124:127], v0, off
	scratch_load_b32 v0, off, off offset:1088 ; 4-byte Folded Reload
	s_waitcnt vmcnt(1)
	ds_store_2addr_b64 v255, v[124:125], v[126:127] offset1:1
	s_waitcnt vmcnt(0)
	scratch_load_b128 v[124:127], v0, off
	scratch_load_b32 v0, off, off offset:1084 ; 4-byte Folded Reload
	s_waitcnt vmcnt(1)
	ds_store_2addr_b64 v248, v[124:125], v[126:127] offset0:64 offset1:65
	s_waitcnt vmcnt(0)
	scratch_load_b128 v[124:127], v0, off
	scratch_load_b32 v0, off, off offset:1080 ; 4-byte Folded Reload
	s_waitcnt vmcnt(1)
	ds_store_2addr_b64 v248, v[124:125], v[126:127] offset0:66 offset1:67
	;; [unrolled: 5-line block ×24, first 2 shown]
	s_waitcnt vmcnt(0)
	scratch_load_b128 v[124:127], v0, off
	s_waitcnt vmcnt(0)
	ds_store_2addr_b64 v248, v[124:125], v[126:127] offset0:112 offset1:113
	scratch_load_b128 v[124:127], v249, off
	s_waitcnt vmcnt(0)
	ds_store_2addr_b64 v248, v[124:125], v[126:127] offset0:114 offset1:115
	;; [unrolled: 3-line block ×6, first 2 shown]
	ds_load_2addr_b64 v[124:127], v255 offset1:1
	s_waitcnt lgkmcnt(0)
	v_cmp_neq_f64_e32 vcc_lo, 0, v[124:125]
	v_cmp_neq_f64_e64 s3, 0, v[126:127]
	s_delay_alu instid0(VALU_DEP_1) | instskip(NEXT) | instid1(SALU_CYCLE_1)
	s_or_b32 s3, vcc_lo, s3
	s_and_b32 exec_lo, exec_lo, s3
	s_cbranch_execz .LBB123_398
; %bb.393:
	v_cmp_gt_f64_e32 vcc_lo, 0, v[124:125]
	v_xor_b32_e32 v0, 0x80000000, v125
	v_xor_b32_e32 v4, 0x80000000, v127
	s_delay_alu instid0(VALU_DEP_2) | instskip(SKIP_2) | instid1(VALU_DEP_4)
	v_cndmask_b32_e32 v1, v125, v0, vcc_lo
	v_cndmask_b32_e32 v0, v124, v124, vcc_lo
	v_cmp_gt_f64_e32 vcc_lo, 0, v[126:127]
	v_dual_cndmask_b32 v5, v127, v4 :: v_dual_cndmask_b32 v4, v126, v126
	s_delay_alu instid0(VALU_DEP_1) | instskip(SKIP_1) | instid1(SALU_CYCLE_1)
	v_cmp_ngt_f64_e32 vcc_lo, v[0:1], v[4:5]
                                        ; implicit-def: $vgpr0_vgpr1
	s_and_saveexec_b32 s3, vcc_lo
	s_xor_b32 s3, exec_lo, s3
                                        ; implicit-def: $vgpr128_vgpr129_vgpr130_vgpr131
	s_cbranch_execz .LBB123_395
; %bb.394:
	v_div_scale_f64 v[0:1], null, v[126:127], v[126:127], v[124:125]
	v_div_scale_f64 v[128:129], vcc_lo, v[124:125], v[126:127], v[124:125]
	s_delay_alu instid0(VALU_DEP_2) | instskip(SKIP_2) | instid1(VALU_DEP_1)
	v_rcp_f64_e32 v[4:5], v[0:1]
	s_waitcnt_depctr 0xfff
	v_fma_f64 v[6:7], -v[0:1], v[4:5], 1.0
	v_fma_f64 v[4:5], v[4:5], v[6:7], v[4:5]
	s_delay_alu instid0(VALU_DEP_1) | instskip(NEXT) | instid1(VALU_DEP_1)
	v_fma_f64 v[6:7], -v[0:1], v[4:5], 1.0
	v_fma_f64 v[4:5], v[4:5], v[6:7], v[4:5]
	s_delay_alu instid0(VALU_DEP_1) | instskip(NEXT) | instid1(VALU_DEP_1)
	v_mul_f64 v[6:7], v[128:129], v[4:5]
	v_fma_f64 v[0:1], -v[0:1], v[6:7], v[128:129]
	s_delay_alu instid0(VALU_DEP_1) | instskip(NEXT) | instid1(VALU_DEP_1)
	v_div_fmas_f64 v[0:1], v[0:1], v[4:5], v[6:7]
	v_div_fixup_f64 v[0:1], v[0:1], v[126:127], v[124:125]
	s_delay_alu instid0(VALU_DEP_1) | instskip(NEXT) | instid1(VALU_DEP_1)
	v_fma_f64 v[4:5], v[124:125], v[0:1], v[126:127]
	v_div_scale_f64 v[6:7], null, v[4:5], v[4:5], 1.0
	s_delay_alu instid0(VALU_DEP_1) | instskip(SKIP_2) | instid1(VALU_DEP_1)
	v_rcp_f64_e32 v[124:125], v[6:7]
	s_waitcnt_depctr 0xfff
	v_fma_f64 v[126:127], -v[6:7], v[124:125], 1.0
	v_fma_f64 v[124:125], v[124:125], v[126:127], v[124:125]
	s_delay_alu instid0(VALU_DEP_1) | instskip(NEXT) | instid1(VALU_DEP_1)
	v_fma_f64 v[126:127], -v[6:7], v[124:125], 1.0
	v_fma_f64 v[124:125], v[124:125], v[126:127], v[124:125]
	v_div_scale_f64 v[126:127], vcc_lo, 1.0, v[4:5], 1.0
	s_delay_alu instid0(VALU_DEP_1) | instskip(NEXT) | instid1(VALU_DEP_1)
	v_mul_f64 v[128:129], v[126:127], v[124:125]
	v_fma_f64 v[6:7], -v[6:7], v[128:129], v[126:127]
	s_delay_alu instid0(VALU_DEP_1) | instskip(NEXT) | instid1(VALU_DEP_1)
	v_div_fmas_f64 v[6:7], v[6:7], v[124:125], v[128:129]
                                        ; implicit-def: $vgpr124_vgpr125
	v_div_fixup_f64 v[130:131], v[6:7], v[4:5], 1.0
	s_delay_alu instid0(VALU_DEP_1)
	v_mul_f64 v[0:1], v[0:1], v[130:131]
	v_xor_b32_e32 v131, 0x80000000, v131
.LBB123_395:
	s_and_not1_saveexec_b32 s3, s3
	s_cbranch_execz .LBB123_397
; %bb.396:
	v_div_scale_f64 v[0:1], null, v[124:125], v[124:125], v[126:127]
	v_div_scale_f64 v[128:129], vcc_lo, v[126:127], v[124:125], v[126:127]
	s_delay_alu instid0(VALU_DEP_2) | instskip(SKIP_2) | instid1(VALU_DEP_1)
	v_rcp_f64_e32 v[4:5], v[0:1]
	s_waitcnt_depctr 0xfff
	v_fma_f64 v[6:7], -v[0:1], v[4:5], 1.0
	v_fma_f64 v[4:5], v[4:5], v[6:7], v[4:5]
	s_delay_alu instid0(VALU_DEP_1) | instskip(NEXT) | instid1(VALU_DEP_1)
	v_fma_f64 v[6:7], -v[0:1], v[4:5], 1.0
	v_fma_f64 v[4:5], v[4:5], v[6:7], v[4:5]
	s_delay_alu instid0(VALU_DEP_1) | instskip(NEXT) | instid1(VALU_DEP_1)
	v_mul_f64 v[6:7], v[128:129], v[4:5]
	v_fma_f64 v[0:1], -v[0:1], v[6:7], v[128:129]
	s_delay_alu instid0(VALU_DEP_1) | instskip(NEXT) | instid1(VALU_DEP_1)
	v_div_fmas_f64 v[0:1], v[0:1], v[4:5], v[6:7]
	v_div_fixup_f64 v[4:5], v[0:1], v[124:125], v[126:127]
	s_delay_alu instid0(VALU_DEP_1) | instskip(NEXT) | instid1(VALU_DEP_1)
	v_fma_f64 v[0:1], v[126:127], v[4:5], v[124:125]
	v_div_scale_f64 v[6:7], null, v[0:1], v[0:1], 1.0
	s_delay_alu instid0(VALU_DEP_1) | instskip(SKIP_2) | instid1(VALU_DEP_1)
	v_rcp_f64_e32 v[124:125], v[6:7]
	s_waitcnt_depctr 0xfff
	v_fma_f64 v[126:127], -v[6:7], v[124:125], 1.0
	v_fma_f64 v[124:125], v[124:125], v[126:127], v[124:125]
	s_delay_alu instid0(VALU_DEP_1) | instskip(NEXT) | instid1(VALU_DEP_1)
	v_fma_f64 v[126:127], -v[6:7], v[124:125], 1.0
	v_fma_f64 v[124:125], v[124:125], v[126:127], v[124:125]
	v_div_scale_f64 v[126:127], vcc_lo, 1.0, v[0:1], 1.0
	s_delay_alu instid0(VALU_DEP_1) | instskip(NEXT) | instid1(VALU_DEP_1)
	v_mul_f64 v[128:129], v[126:127], v[124:125]
	v_fma_f64 v[6:7], -v[6:7], v[128:129], v[126:127]
	s_delay_alu instid0(VALU_DEP_1) | instskip(NEXT) | instid1(VALU_DEP_1)
	v_div_fmas_f64 v[6:7], v[6:7], v[124:125], v[128:129]
	v_div_fixup_f64 v[0:1], v[6:7], v[0:1], 1.0
	s_delay_alu instid0(VALU_DEP_1)
	v_mul_f64 v[130:131], v[4:5], -v[0:1]
.LBB123_397:
	s_or_b32 exec_lo, exec_lo, s3
	ds_store_2addr_b64 v255, v[0:1], v[130:131] offset1:1
.LBB123_398:
	s_or_b32 exec_lo, exec_lo, s4
	s_waitcnt lgkmcnt(0)
	s_barrier
	buffer_gl0_inv
	ds_load_2addr_b64 v[124:127], v255 offset1:1
	s_mov_b32 s3, exec_lo
	v_cmpx_lt_u32_e32 31, v252
	s_cbranch_execz .LBB123_401
; %bb.399:
	scratch_load_b128 v[130:133], off, off offset:496
	s_mov_b32 s4, 0
	s_waitcnt vmcnt(0) lgkmcnt(0)
	v_mul_f64 v[0:1], v[126:127], v[132:133]
	s_delay_alu instid0(VALU_DEP_1) | instskip(SKIP_1) | instid1(VALU_DEP_1)
	v_fma_f64 v[128:129], v[124:125], v[130:131], -v[0:1]
	v_mul_f64 v[0:1], v[124:125], v[132:133]
	v_fma_f64 v[130:131], v[126:127], v[130:131], v[0:1]
	v_add3_u32 v0, v180, 0, 0x200
	v_mov_b32_e32 v1, 0
	scratch_store_b128 off, v[128:131], off offset:496
.LBB123_400:                            ; =>This Inner Loop Header: Depth=1
	v_add_nc_u32_e32 v136, s4, v0
	v_readfirstlane_b32 s5, v1
	ds_load_2addr_b64 v[132:135], v136 offset1:1
	s_add_i32 s5, s5, s4
	s_addk_i32 s4, 0x60
	s_add_i32 s6, s5, 0x200
	s_waitcnt lgkmcnt(0)
	v_mul_f64 v[4:5], v[134:135], v[130:131]
	v_mul_f64 v[6:7], v[132:133], v[130:131]
	s_delay_alu instid0(VALU_DEP_2) | instskip(NEXT) | instid1(VALU_DEP_2)
	v_fma_f64 v[4:5], v[132:133], v[128:129], -v[4:5]
	v_fma_f64 v[6:7], v[134:135], v[128:129], v[6:7]
	scratch_load_b128 v[132:135], off, s6
	s_waitcnt vmcnt(0)
	v_add_f64 v[132:133], v[132:133], -v[4:5]
	v_add_f64 v[134:135], v[134:135], -v[6:7]
	scratch_store_b128 off, v[132:135], s6
	ds_load_2addr_b64 v[132:135], v136 offset0:2 offset1:3
	s_add_i32 s6, s5, 0x210
	s_waitcnt lgkmcnt(0)
	v_mul_f64 v[4:5], v[134:135], v[130:131]
	v_mul_f64 v[6:7], v[132:133], v[130:131]
	s_delay_alu instid0(VALU_DEP_2) | instskip(NEXT) | instid1(VALU_DEP_2)
	v_fma_f64 v[4:5], v[132:133], v[128:129], -v[4:5]
	v_fma_f64 v[6:7], v[134:135], v[128:129], v[6:7]
	scratch_load_b128 v[132:135], off, s6
	s_waitcnt vmcnt(0)
	v_add_f64 v[132:133], v[132:133], -v[4:5]
	v_add_f64 v[134:135], v[134:135], -v[6:7]
	scratch_store_b128 off, v[132:135], s6
	ds_load_2addr_b64 v[132:135], v136 offset0:4 offset1:5
	;; [unrolled: 13-line block ×4, first 2 shown]
	s_add_i32 s6, s5, 0x240
	s_addk_i32 s5, 0x250
	s_cmpk_lg_i32 s4, 0x1e0
	s_waitcnt lgkmcnt(0)
	v_mul_f64 v[4:5], v[134:135], v[130:131]
	v_mul_f64 v[6:7], v[132:133], v[130:131]
	s_delay_alu instid0(VALU_DEP_2) | instskip(NEXT) | instid1(VALU_DEP_2)
	v_fma_f64 v[4:5], v[132:133], v[128:129], -v[4:5]
	v_fma_f64 v[6:7], v[134:135], v[128:129], v[6:7]
	scratch_load_b128 v[132:135], off, s6
	s_waitcnt vmcnt(0)
	v_add_f64 v[132:133], v[132:133], -v[4:5]
	v_add_f64 v[134:135], v[134:135], -v[6:7]
	scratch_store_b128 off, v[132:135], s6
	ds_load_2addr_b64 v[132:135], v136 offset0:10 offset1:11
	s_waitcnt lgkmcnt(0)
	v_mul_f64 v[4:5], v[134:135], v[130:131]
	v_mul_f64 v[6:7], v[132:133], v[130:131]
	s_delay_alu instid0(VALU_DEP_2) | instskip(NEXT) | instid1(VALU_DEP_2)
	v_fma_f64 v[4:5], v[132:133], v[128:129], -v[4:5]
	v_fma_f64 v[6:7], v[134:135], v[128:129], v[6:7]
	scratch_load_b128 v[132:135], off, s5
	s_waitcnt vmcnt(0)
	v_add_f64 v[132:133], v[132:133], -v[4:5]
	v_add_f64 v[134:135], v[134:135], -v[6:7]
	scratch_store_b128 off, v[132:135], s5
	s_cbranch_scc1 .LBB123_400
.LBB123_401:
	s_or_b32 exec_lo, exec_lo, s3
	s_delay_alu instid0(SALU_CYCLE_1)
	s_mov_b32 s4, exec_lo
	s_waitcnt lgkmcnt(0)
	s_waitcnt_vscnt null, 0x0
	s_barrier
	buffer_gl0_inv
	v_cmpx_eq_u32_e32 32, v252
	s_cbranch_execz .LBB123_408
; %bb.402:
	scratch_load_b32 v0, off, off offset:1088 ; 4-byte Folded Reload
	s_waitcnt vmcnt(0)
	scratch_load_b128 v[128:131], v0, off
	scratch_load_b32 v0, off, off offset:1084 ; 4-byte Folded Reload
	s_waitcnt vmcnt(1)
	ds_store_2addr_b64 v255, v[128:129], v[130:131] offset1:1
	s_waitcnt vmcnt(0)
	scratch_load_b128 v[128:131], v0, off
	scratch_load_b32 v0, off, off offset:1080 ; 4-byte Folded Reload
	s_waitcnt vmcnt(1)
	ds_store_2addr_b64 v248, v[128:129], v[130:131] offset0:66 offset1:67
	s_waitcnt vmcnt(0)
	scratch_load_b128 v[128:131], v0, off
	scratch_load_b32 v0, off, off offset:1076 ; 4-byte Folded Reload
	s_waitcnt vmcnt(1)
	ds_store_2addr_b64 v248, v[128:129], v[130:131] offset0:68 offset1:69
	;; [unrolled: 5-line block ×23, first 2 shown]
	s_waitcnt vmcnt(0)
	scratch_load_b128 v[128:131], v0, off
	s_waitcnt vmcnt(0)
	ds_store_2addr_b64 v248, v[128:129], v[130:131] offset0:112 offset1:113
	scratch_load_b128 v[128:131], v249, off
	s_waitcnt vmcnt(0)
	ds_store_2addr_b64 v248, v[128:129], v[130:131] offset0:114 offset1:115
	;; [unrolled: 3-line block ×6, first 2 shown]
	ds_load_2addr_b64 v[128:131], v255 offset1:1
	s_waitcnt lgkmcnt(0)
	v_cmp_neq_f64_e32 vcc_lo, 0, v[128:129]
	v_cmp_neq_f64_e64 s3, 0, v[130:131]
	s_delay_alu instid0(VALU_DEP_1) | instskip(NEXT) | instid1(SALU_CYCLE_1)
	s_or_b32 s3, vcc_lo, s3
	s_and_b32 exec_lo, exec_lo, s3
	s_cbranch_execz .LBB123_408
; %bb.403:
	v_cmp_gt_f64_e32 vcc_lo, 0, v[128:129]
	v_xor_b32_e32 v0, 0x80000000, v129
	v_xor_b32_e32 v4, 0x80000000, v131
	s_delay_alu instid0(VALU_DEP_2) | instskip(SKIP_2) | instid1(VALU_DEP_4)
	v_cndmask_b32_e32 v1, v129, v0, vcc_lo
	v_cndmask_b32_e32 v0, v128, v128, vcc_lo
	v_cmp_gt_f64_e32 vcc_lo, 0, v[130:131]
	v_dual_cndmask_b32 v5, v131, v4 :: v_dual_cndmask_b32 v4, v130, v130
	s_delay_alu instid0(VALU_DEP_1) | instskip(SKIP_1) | instid1(SALU_CYCLE_1)
	v_cmp_ngt_f64_e32 vcc_lo, v[0:1], v[4:5]
                                        ; implicit-def: $vgpr0_vgpr1
	s_and_saveexec_b32 s3, vcc_lo
	s_xor_b32 s3, exec_lo, s3
                                        ; implicit-def: $vgpr132_vgpr133_vgpr134_vgpr135
	s_cbranch_execz .LBB123_405
; %bb.404:
	v_div_scale_f64 v[0:1], null, v[130:131], v[130:131], v[128:129]
	v_div_scale_f64 v[132:133], vcc_lo, v[128:129], v[130:131], v[128:129]
	s_delay_alu instid0(VALU_DEP_2) | instskip(SKIP_2) | instid1(VALU_DEP_1)
	v_rcp_f64_e32 v[4:5], v[0:1]
	s_waitcnt_depctr 0xfff
	v_fma_f64 v[6:7], -v[0:1], v[4:5], 1.0
	v_fma_f64 v[4:5], v[4:5], v[6:7], v[4:5]
	s_delay_alu instid0(VALU_DEP_1) | instskip(NEXT) | instid1(VALU_DEP_1)
	v_fma_f64 v[6:7], -v[0:1], v[4:5], 1.0
	v_fma_f64 v[4:5], v[4:5], v[6:7], v[4:5]
	s_delay_alu instid0(VALU_DEP_1) | instskip(NEXT) | instid1(VALU_DEP_1)
	v_mul_f64 v[6:7], v[132:133], v[4:5]
	v_fma_f64 v[0:1], -v[0:1], v[6:7], v[132:133]
	s_delay_alu instid0(VALU_DEP_1) | instskip(NEXT) | instid1(VALU_DEP_1)
	v_div_fmas_f64 v[0:1], v[0:1], v[4:5], v[6:7]
	v_div_fixup_f64 v[0:1], v[0:1], v[130:131], v[128:129]
	s_delay_alu instid0(VALU_DEP_1) | instskip(NEXT) | instid1(VALU_DEP_1)
	v_fma_f64 v[4:5], v[128:129], v[0:1], v[130:131]
	v_div_scale_f64 v[6:7], null, v[4:5], v[4:5], 1.0
	s_delay_alu instid0(VALU_DEP_1) | instskip(SKIP_2) | instid1(VALU_DEP_1)
	v_rcp_f64_e32 v[128:129], v[6:7]
	s_waitcnt_depctr 0xfff
	v_fma_f64 v[130:131], -v[6:7], v[128:129], 1.0
	v_fma_f64 v[128:129], v[128:129], v[130:131], v[128:129]
	s_delay_alu instid0(VALU_DEP_1) | instskip(NEXT) | instid1(VALU_DEP_1)
	v_fma_f64 v[130:131], -v[6:7], v[128:129], 1.0
	v_fma_f64 v[128:129], v[128:129], v[130:131], v[128:129]
	v_div_scale_f64 v[130:131], vcc_lo, 1.0, v[4:5], 1.0
	s_delay_alu instid0(VALU_DEP_1) | instskip(NEXT) | instid1(VALU_DEP_1)
	v_mul_f64 v[132:133], v[130:131], v[128:129]
	v_fma_f64 v[6:7], -v[6:7], v[132:133], v[130:131]
	s_delay_alu instid0(VALU_DEP_1) | instskip(NEXT) | instid1(VALU_DEP_1)
	v_div_fmas_f64 v[6:7], v[6:7], v[128:129], v[132:133]
                                        ; implicit-def: $vgpr128_vgpr129
	v_div_fixup_f64 v[134:135], v[6:7], v[4:5], 1.0
	s_delay_alu instid0(VALU_DEP_1)
	v_mul_f64 v[0:1], v[0:1], v[134:135]
	v_xor_b32_e32 v135, 0x80000000, v135
.LBB123_405:
	s_and_not1_saveexec_b32 s3, s3
	s_cbranch_execz .LBB123_407
; %bb.406:
	v_div_scale_f64 v[0:1], null, v[128:129], v[128:129], v[130:131]
	v_div_scale_f64 v[132:133], vcc_lo, v[130:131], v[128:129], v[130:131]
	s_delay_alu instid0(VALU_DEP_2) | instskip(SKIP_2) | instid1(VALU_DEP_1)
	v_rcp_f64_e32 v[4:5], v[0:1]
	s_waitcnt_depctr 0xfff
	v_fma_f64 v[6:7], -v[0:1], v[4:5], 1.0
	v_fma_f64 v[4:5], v[4:5], v[6:7], v[4:5]
	s_delay_alu instid0(VALU_DEP_1) | instskip(NEXT) | instid1(VALU_DEP_1)
	v_fma_f64 v[6:7], -v[0:1], v[4:5], 1.0
	v_fma_f64 v[4:5], v[4:5], v[6:7], v[4:5]
	s_delay_alu instid0(VALU_DEP_1) | instskip(NEXT) | instid1(VALU_DEP_1)
	v_mul_f64 v[6:7], v[132:133], v[4:5]
	v_fma_f64 v[0:1], -v[0:1], v[6:7], v[132:133]
	s_delay_alu instid0(VALU_DEP_1) | instskip(NEXT) | instid1(VALU_DEP_1)
	v_div_fmas_f64 v[0:1], v[0:1], v[4:5], v[6:7]
	v_div_fixup_f64 v[4:5], v[0:1], v[128:129], v[130:131]
	s_delay_alu instid0(VALU_DEP_1) | instskip(NEXT) | instid1(VALU_DEP_1)
	v_fma_f64 v[0:1], v[130:131], v[4:5], v[128:129]
	v_div_scale_f64 v[6:7], null, v[0:1], v[0:1], 1.0
	s_delay_alu instid0(VALU_DEP_1) | instskip(SKIP_2) | instid1(VALU_DEP_1)
	v_rcp_f64_e32 v[128:129], v[6:7]
	s_waitcnt_depctr 0xfff
	v_fma_f64 v[130:131], -v[6:7], v[128:129], 1.0
	v_fma_f64 v[128:129], v[128:129], v[130:131], v[128:129]
	s_delay_alu instid0(VALU_DEP_1) | instskip(NEXT) | instid1(VALU_DEP_1)
	v_fma_f64 v[130:131], -v[6:7], v[128:129], 1.0
	v_fma_f64 v[128:129], v[128:129], v[130:131], v[128:129]
	v_div_scale_f64 v[130:131], vcc_lo, 1.0, v[0:1], 1.0
	s_delay_alu instid0(VALU_DEP_1) | instskip(NEXT) | instid1(VALU_DEP_1)
	v_mul_f64 v[132:133], v[130:131], v[128:129]
	v_fma_f64 v[6:7], -v[6:7], v[132:133], v[130:131]
	s_delay_alu instid0(VALU_DEP_1) | instskip(NEXT) | instid1(VALU_DEP_1)
	v_div_fmas_f64 v[6:7], v[6:7], v[128:129], v[132:133]
	v_div_fixup_f64 v[0:1], v[6:7], v[0:1], 1.0
	s_delay_alu instid0(VALU_DEP_1)
	v_mul_f64 v[134:135], v[4:5], -v[0:1]
.LBB123_407:
	s_or_b32 exec_lo, exec_lo, s3
	ds_store_2addr_b64 v255, v[0:1], v[134:135] offset1:1
.LBB123_408:
	s_or_b32 exec_lo, exec_lo, s4
	s_waitcnt lgkmcnt(0)
	s_barrier
	buffer_gl0_inv
	ds_load_2addr_b64 v[128:131], v255 offset1:1
	s_mov_b32 s3, exec_lo
	v_cmpx_lt_u32_e32 32, v252
	s_cbranch_execz .LBB123_413
; %bb.409:
	scratch_load_b128 v[134:137], off, off offset:512
	s_mov_b32 s4, 0
	s_waitcnt vmcnt(0) lgkmcnt(0)
	v_mul_f64 v[0:1], v[130:131], v[136:137]
	s_delay_alu instid0(VALU_DEP_1) | instskip(SKIP_1) | instid1(VALU_DEP_1)
	v_fma_f64 v[132:133], v[128:129], v[134:135], -v[0:1]
	v_mul_f64 v[0:1], v[128:129], v[136:137]
	v_fma_f64 v[134:135], v[130:131], v[134:135], v[0:1]
	v_add3_u32 v0, v180, 0, 0x210
	v_mov_b32_e32 v1, 0
	scratch_store_b128 off, v[132:135], off offset:512
	s_branch .LBB123_411
.LBB123_410:                            ;   in Loop: Header=BB123_411 Depth=1
	s_and_not1_b32 vcc_lo, exec_lo, s6
	s_cbranch_vccz .LBB123_413
.LBB123_411:                            ; =>This Inner Loop Header: Depth=1
	v_add_nc_u32_e32 v136, s4, v0
	v_readfirstlane_b32 s5, v1
	ds_load_2addr_b64 v[137:140], v136 offset1:1
	s_add_i32 s5, s5, s4
	s_delay_alu instid0(SALU_CYCLE_1) | instskip(SKIP_4) | instid1(VALU_DEP_2)
	s_add_i32 s6, s5, 0x210
	s_cmpk_eq_i32 s4, 0x1c0
	s_waitcnt lgkmcnt(0)
	v_mul_f64 v[4:5], v[139:140], v[134:135]
	v_mul_f64 v[6:7], v[137:138], v[134:135]
	v_fma_f64 v[4:5], v[137:138], v[132:133], -v[4:5]
	s_delay_alu instid0(VALU_DEP_2)
	v_fma_f64 v[6:7], v[139:140], v[132:133], v[6:7]
	scratch_load_b128 v[137:140], off, s6
	s_waitcnt vmcnt(0)
	v_add_f64 v[137:138], v[137:138], -v[4:5]
	v_add_f64 v[139:140], v[139:140], -v[6:7]
	scratch_store_b128 off, v[137:140], s6
	s_mov_b32 s6, -1
	s_cbranch_scc1 .LBB123_410
; %bb.412:                              ;   in Loop: Header=BB123_411 Depth=1
	ds_load_2addr_b64 v[137:140], v136 offset0:2 offset1:3
	s_add_i32 s6, s5, 0x220
	s_add_i32 s4, s4, 64
	s_waitcnt lgkmcnt(0)
	v_mul_f64 v[4:5], v[139:140], v[134:135]
	v_mul_f64 v[6:7], v[137:138], v[134:135]
	s_delay_alu instid0(VALU_DEP_2) | instskip(NEXT) | instid1(VALU_DEP_2)
	v_fma_f64 v[4:5], v[137:138], v[132:133], -v[4:5]
	v_fma_f64 v[6:7], v[139:140], v[132:133], v[6:7]
	scratch_load_b128 v[137:140], off, s6
	s_waitcnt vmcnt(0)
	v_add_f64 v[137:138], v[137:138], -v[4:5]
	v_add_f64 v[139:140], v[139:140], -v[6:7]
	scratch_store_b128 off, v[137:140], s6
	ds_load_2addr_b64 v[137:140], v136 offset0:4 offset1:5
	s_add_i32 s6, s5, 0x230
	s_addk_i32 s5, 0x240
	s_waitcnt lgkmcnt(0)
	v_mul_f64 v[4:5], v[139:140], v[134:135]
	v_mul_f64 v[6:7], v[137:138], v[134:135]
	s_delay_alu instid0(VALU_DEP_2) | instskip(NEXT) | instid1(VALU_DEP_2)
	v_fma_f64 v[4:5], v[137:138], v[132:133], -v[4:5]
	v_fma_f64 v[6:7], v[139:140], v[132:133], v[6:7]
	scratch_load_b128 v[137:140], off, s6
	s_waitcnt vmcnt(0)
	v_add_f64 v[137:138], v[137:138], -v[4:5]
	v_add_f64 v[139:140], v[139:140], -v[6:7]
	scratch_store_b128 off, v[137:140], s6
	ds_load_2addr_b64 v[136:139], v136 offset0:6 offset1:7
	s_mov_b32 s6, 0
	s_waitcnt lgkmcnt(0)
	v_mul_f64 v[4:5], v[138:139], v[134:135]
	v_mul_f64 v[6:7], v[136:137], v[134:135]
	s_delay_alu instid0(VALU_DEP_2) | instskip(NEXT) | instid1(VALU_DEP_2)
	v_fma_f64 v[4:5], v[136:137], v[132:133], -v[4:5]
	v_fma_f64 v[6:7], v[138:139], v[132:133], v[6:7]
	scratch_load_b128 v[136:139], off, s5
	s_waitcnt vmcnt(0)
	v_add_f64 v[136:137], v[136:137], -v[4:5]
	v_add_f64 v[138:139], v[138:139], -v[6:7]
	scratch_store_b128 off, v[136:139], s5
	s_branch .LBB123_410
.LBB123_413:
	s_or_b32 exec_lo, exec_lo, s3
	s_delay_alu instid0(SALU_CYCLE_1)
	s_mov_b32 s4, exec_lo
	s_waitcnt lgkmcnt(0)
	s_waitcnt_vscnt null, 0x0
	s_barrier
	buffer_gl0_inv
	v_cmpx_eq_u32_e32 33, v252
	s_cbranch_execz .LBB123_420
; %bb.414:
	scratch_load_b32 v0, off, off offset:1084 ; 4-byte Folded Reload
	s_waitcnt vmcnt(0)
	scratch_load_b128 v[132:135], v0, off
	scratch_load_b32 v0, off, off offset:1080 ; 4-byte Folded Reload
	s_waitcnt vmcnt(1)
	ds_store_2addr_b64 v255, v[132:133], v[134:135] offset1:1
	s_waitcnt vmcnt(0)
	scratch_load_b128 v[132:135], v0, off
	scratch_load_b32 v0, off, off offset:1076 ; 4-byte Folded Reload
	s_waitcnt vmcnt(1)
	ds_store_2addr_b64 v248, v[132:133], v[134:135] offset0:68 offset1:69
	s_waitcnt vmcnt(0)
	scratch_load_b128 v[132:135], v0, off
	scratch_load_b32 v0, off, off offset:1072 ; 4-byte Folded Reload
	s_waitcnt vmcnt(1)
	ds_store_2addr_b64 v248, v[132:133], v[134:135] offset0:70 offset1:71
	;; [unrolled: 5-line block ×22, first 2 shown]
	s_waitcnt vmcnt(0)
	scratch_load_b128 v[132:135], v0, off
	s_waitcnt vmcnt(0)
	ds_store_2addr_b64 v248, v[132:133], v[134:135] offset0:112 offset1:113
	scratch_load_b128 v[132:135], v249, off
	s_waitcnt vmcnt(0)
	ds_store_2addr_b64 v248, v[132:133], v[134:135] offset0:114 offset1:115
	;; [unrolled: 3-line block ×6, first 2 shown]
	ds_load_2addr_b64 v[132:135], v255 offset1:1
	s_waitcnt lgkmcnt(0)
	v_cmp_neq_f64_e32 vcc_lo, 0, v[132:133]
	v_cmp_neq_f64_e64 s3, 0, v[134:135]
	s_delay_alu instid0(VALU_DEP_1) | instskip(NEXT) | instid1(SALU_CYCLE_1)
	s_or_b32 s3, vcc_lo, s3
	s_and_b32 exec_lo, exec_lo, s3
	s_cbranch_execz .LBB123_420
; %bb.415:
	v_cmp_gt_f64_e32 vcc_lo, 0, v[132:133]
	v_xor_b32_e32 v0, 0x80000000, v133
	v_xor_b32_e32 v4, 0x80000000, v135
	s_delay_alu instid0(VALU_DEP_2) | instskip(SKIP_2) | instid1(VALU_DEP_4)
	v_cndmask_b32_e32 v1, v133, v0, vcc_lo
	v_cndmask_b32_e32 v0, v132, v132, vcc_lo
	v_cmp_gt_f64_e32 vcc_lo, 0, v[134:135]
	v_dual_cndmask_b32 v5, v135, v4 :: v_dual_cndmask_b32 v4, v134, v134
	s_delay_alu instid0(VALU_DEP_1) | instskip(SKIP_1) | instid1(SALU_CYCLE_1)
	v_cmp_ngt_f64_e32 vcc_lo, v[0:1], v[4:5]
                                        ; implicit-def: $vgpr0_vgpr1
	s_and_saveexec_b32 s3, vcc_lo
	s_xor_b32 s3, exec_lo, s3
                                        ; implicit-def: $vgpr136_vgpr137_vgpr138_vgpr139
	s_cbranch_execz .LBB123_417
; %bb.416:
	v_div_scale_f64 v[0:1], null, v[134:135], v[134:135], v[132:133]
	v_div_scale_f64 v[136:137], vcc_lo, v[132:133], v[134:135], v[132:133]
	s_delay_alu instid0(VALU_DEP_2) | instskip(SKIP_2) | instid1(VALU_DEP_1)
	v_rcp_f64_e32 v[4:5], v[0:1]
	s_waitcnt_depctr 0xfff
	v_fma_f64 v[6:7], -v[0:1], v[4:5], 1.0
	v_fma_f64 v[4:5], v[4:5], v[6:7], v[4:5]
	s_delay_alu instid0(VALU_DEP_1) | instskip(NEXT) | instid1(VALU_DEP_1)
	v_fma_f64 v[6:7], -v[0:1], v[4:5], 1.0
	v_fma_f64 v[4:5], v[4:5], v[6:7], v[4:5]
	s_delay_alu instid0(VALU_DEP_1) | instskip(NEXT) | instid1(VALU_DEP_1)
	v_mul_f64 v[6:7], v[136:137], v[4:5]
	v_fma_f64 v[0:1], -v[0:1], v[6:7], v[136:137]
	s_delay_alu instid0(VALU_DEP_1) | instskip(NEXT) | instid1(VALU_DEP_1)
	v_div_fmas_f64 v[0:1], v[0:1], v[4:5], v[6:7]
	v_div_fixup_f64 v[0:1], v[0:1], v[134:135], v[132:133]
	s_delay_alu instid0(VALU_DEP_1) | instskip(NEXT) | instid1(VALU_DEP_1)
	v_fma_f64 v[4:5], v[132:133], v[0:1], v[134:135]
	v_div_scale_f64 v[6:7], null, v[4:5], v[4:5], 1.0
	s_delay_alu instid0(VALU_DEP_1) | instskip(SKIP_2) | instid1(VALU_DEP_1)
	v_rcp_f64_e32 v[132:133], v[6:7]
	s_waitcnt_depctr 0xfff
	v_fma_f64 v[134:135], -v[6:7], v[132:133], 1.0
	v_fma_f64 v[132:133], v[132:133], v[134:135], v[132:133]
	s_delay_alu instid0(VALU_DEP_1) | instskip(NEXT) | instid1(VALU_DEP_1)
	v_fma_f64 v[134:135], -v[6:7], v[132:133], 1.0
	v_fma_f64 v[132:133], v[132:133], v[134:135], v[132:133]
	v_div_scale_f64 v[134:135], vcc_lo, 1.0, v[4:5], 1.0
	s_delay_alu instid0(VALU_DEP_1) | instskip(NEXT) | instid1(VALU_DEP_1)
	v_mul_f64 v[136:137], v[134:135], v[132:133]
	v_fma_f64 v[6:7], -v[6:7], v[136:137], v[134:135]
	s_delay_alu instid0(VALU_DEP_1) | instskip(NEXT) | instid1(VALU_DEP_1)
	v_div_fmas_f64 v[6:7], v[6:7], v[132:133], v[136:137]
                                        ; implicit-def: $vgpr132_vgpr133
	v_div_fixup_f64 v[138:139], v[6:7], v[4:5], 1.0
	s_delay_alu instid0(VALU_DEP_1)
	v_mul_f64 v[0:1], v[0:1], v[138:139]
	v_xor_b32_e32 v139, 0x80000000, v139
.LBB123_417:
	s_and_not1_saveexec_b32 s3, s3
	s_cbranch_execz .LBB123_419
; %bb.418:
	v_div_scale_f64 v[0:1], null, v[132:133], v[132:133], v[134:135]
	v_div_scale_f64 v[136:137], vcc_lo, v[134:135], v[132:133], v[134:135]
	s_delay_alu instid0(VALU_DEP_2) | instskip(SKIP_2) | instid1(VALU_DEP_1)
	v_rcp_f64_e32 v[4:5], v[0:1]
	s_waitcnt_depctr 0xfff
	v_fma_f64 v[6:7], -v[0:1], v[4:5], 1.0
	v_fma_f64 v[4:5], v[4:5], v[6:7], v[4:5]
	s_delay_alu instid0(VALU_DEP_1) | instskip(NEXT) | instid1(VALU_DEP_1)
	v_fma_f64 v[6:7], -v[0:1], v[4:5], 1.0
	v_fma_f64 v[4:5], v[4:5], v[6:7], v[4:5]
	s_delay_alu instid0(VALU_DEP_1) | instskip(NEXT) | instid1(VALU_DEP_1)
	v_mul_f64 v[6:7], v[136:137], v[4:5]
	v_fma_f64 v[0:1], -v[0:1], v[6:7], v[136:137]
	s_delay_alu instid0(VALU_DEP_1) | instskip(NEXT) | instid1(VALU_DEP_1)
	v_div_fmas_f64 v[0:1], v[0:1], v[4:5], v[6:7]
	v_div_fixup_f64 v[4:5], v[0:1], v[132:133], v[134:135]
	s_delay_alu instid0(VALU_DEP_1) | instskip(NEXT) | instid1(VALU_DEP_1)
	v_fma_f64 v[0:1], v[134:135], v[4:5], v[132:133]
	v_div_scale_f64 v[6:7], null, v[0:1], v[0:1], 1.0
	s_delay_alu instid0(VALU_DEP_1) | instskip(SKIP_2) | instid1(VALU_DEP_1)
	v_rcp_f64_e32 v[132:133], v[6:7]
	s_waitcnt_depctr 0xfff
	v_fma_f64 v[134:135], -v[6:7], v[132:133], 1.0
	v_fma_f64 v[132:133], v[132:133], v[134:135], v[132:133]
	s_delay_alu instid0(VALU_DEP_1) | instskip(NEXT) | instid1(VALU_DEP_1)
	v_fma_f64 v[134:135], -v[6:7], v[132:133], 1.0
	v_fma_f64 v[132:133], v[132:133], v[134:135], v[132:133]
	v_div_scale_f64 v[134:135], vcc_lo, 1.0, v[0:1], 1.0
	s_delay_alu instid0(VALU_DEP_1) | instskip(NEXT) | instid1(VALU_DEP_1)
	v_mul_f64 v[136:137], v[134:135], v[132:133]
	v_fma_f64 v[6:7], -v[6:7], v[136:137], v[134:135]
	s_delay_alu instid0(VALU_DEP_1) | instskip(NEXT) | instid1(VALU_DEP_1)
	v_div_fmas_f64 v[6:7], v[6:7], v[132:133], v[136:137]
	v_div_fixup_f64 v[0:1], v[6:7], v[0:1], 1.0
	s_delay_alu instid0(VALU_DEP_1)
	v_mul_f64 v[138:139], v[4:5], -v[0:1]
.LBB123_419:
	s_or_b32 exec_lo, exec_lo, s3
	ds_store_2addr_b64 v255, v[0:1], v[138:139] offset1:1
.LBB123_420:
	s_or_b32 exec_lo, exec_lo, s4
	s_waitcnt lgkmcnt(0)
	s_barrier
	buffer_gl0_inv
	ds_load_2addr_b64 v[132:135], v255 offset1:1
	s_mov_b32 s3, exec_lo
	v_cmpx_lt_u32_e32 33, v252
	s_cbranch_execz .LBB123_423
; %bb.421:
	scratch_load_b128 v[138:141], off, off offset:528
	s_mov_b32 s4, 0
	s_waitcnt vmcnt(0) lgkmcnt(0)
	v_mul_f64 v[0:1], v[134:135], v[140:141]
	s_delay_alu instid0(VALU_DEP_1) | instskip(SKIP_1) | instid1(VALU_DEP_1)
	v_fma_f64 v[136:137], v[132:133], v[138:139], -v[0:1]
	v_mul_f64 v[0:1], v[132:133], v[140:141]
	v_fma_f64 v[138:139], v[134:135], v[138:139], v[0:1]
	v_add3_u32 v0, v180, 0, 0x220
	v_mov_b32_e32 v1, 0
	scratch_store_b128 off, v[136:139], off offset:528
.LBB123_422:                            ; =>This Inner Loop Header: Depth=1
	v_add_nc_u32_e32 v144, s4, v0
	v_readfirstlane_b32 s5, v1
	ds_load_2addr_b64 v[140:143], v144 offset1:1
	s_add_i32 s5, s5, s4
	s_addk_i32 s4, 0x70
	s_add_i32 s6, s5, 0x220
	s_waitcnt lgkmcnt(0)
	v_mul_f64 v[4:5], v[142:143], v[138:139]
	v_mul_f64 v[6:7], v[140:141], v[138:139]
	s_delay_alu instid0(VALU_DEP_2) | instskip(NEXT) | instid1(VALU_DEP_2)
	v_fma_f64 v[4:5], v[140:141], v[136:137], -v[4:5]
	v_fma_f64 v[6:7], v[142:143], v[136:137], v[6:7]
	scratch_load_b128 v[140:143], off, s6
	s_waitcnt vmcnt(0)
	v_add_f64 v[140:141], v[140:141], -v[4:5]
	v_add_f64 v[142:143], v[142:143], -v[6:7]
	scratch_store_b128 off, v[140:143], s6
	ds_load_2addr_b64 v[140:143], v144 offset0:2 offset1:3
	s_add_i32 s6, s5, 0x230
	s_waitcnt lgkmcnt(0)
	v_mul_f64 v[4:5], v[142:143], v[138:139]
	v_mul_f64 v[6:7], v[140:141], v[138:139]
	s_delay_alu instid0(VALU_DEP_2) | instskip(NEXT) | instid1(VALU_DEP_2)
	v_fma_f64 v[4:5], v[140:141], v[136:137], -v[4:5]
	v_fma_f64 v[6:7], v[142:143], v[136:137], v[6:7]
	scratch_load_b128 v[140:143], off, s6
	s_waitcnt vmcnt(0)
	v_add_f64 v[140:141], v[140:141], -v[4:5]
	v_add_f64 v[142:143], v[142:143], -v[6:7]
	scratch_store_b128 off, v[140:143], s6
	ds_load_2addr_b64 v[140:143], v144 offset0:4 offset1:5
	s_add_i32 s6, s5, 0x240
	s_waitcnt lgkmcnt(0)
	v_mul_f64 v[4:5], v[142:143], v[138:139]
	v_mul_f64 v[6:7], v[140:141], v[138:139]
	s_delay_alu instid0(VALU_DEP_2) | instskip(NEXT) | instid1(VALU_DEP_2)
	v_fma_f64 v[4:5], v[140:141], v[136:137], -v[4:5]
	v_fma_f64 v[6:7], v[142:143], v[136:137], v[6:7]
	scratch_load_b128 v[140:143], off, s6
	s_waitcnt vmcnt(0)
	v_add_f64 v[140:141], v[140:141], -v[4:5]
	v_add_f64 v[142:143], v[142:143], -v[6:7]
	scratch_store_b128 off, v[140:143], s6
	ds_load_2addr_b64 v[140:143], v144 offset0:6 offset1:7
	s_add_i32 s6, s5, 0x250
	s_waitcnt lgkmcnt(0)
	v_mul_f64 v[4:5], v[142:143], v[138:139]
	v_mul_f64 v[6:7], v[140:141], v[138:139]
	s_delay_alu instid0(VALU_DEP_2) | instskip(NEXT) | instid1(VALU_DEP_2)
	v_fma_f64 v[4:5], v[140:141], v[136:137], -v[4:5]
	v_fma_f64 v[6:7], v[142:143], v[136:137], v[6:7]
	scratch_load_b128 v[140:143], off, s6
	s_waitcnt vmcnt(0)
	v_add_f64 v[140:141], v[140:141], -v[4:5]
	v_add_f64 v[142:143], v[142:143], -v[6:7]
	scratch_store_b128 off, v[140:143], s6
	ds_load_2addr_b64 v[140:143], v144 offset0:8 offset1:9
	s_add_i32 s6, s5, 0x260
	s_waitcnt lgkmcnt(0)
	v_mul_f64 v[4:5], v[142:143], v[138:139]
	v_mul_f64 v[6:7], v[140:141], v[138:139]
	s_delay_alu instid0(VALU_DEP_2) | instskip(NEXT) | instid1(VALU_DEP_2)
	v_fma_f64 v[4:5], v[140:141], v[136:137], -v[4:5]
	v_fma_f64 v[6:7], v[142:143], v[136:137], v[6:7]
	scratch_load_b128 v[140:143], off, s6
	s_waitcnt vmcnt(0)
	v_add_f64 v[140:141], v[140:141], -v[4:5]
	v_add_f64 v[142:143], v[142:143], -v[6:7]
	scratch_store_b128 off, v[140:143], s6
	ds_load_2addr_b64 v[140:143], v144 offset0:10 offset1:11
	s_add_i32 s6, s5, 0x270
	s_addk_i32 s5, 0x280
	s_cmpk_lg_i32 s4, 0x1c0
	s_waitcnt lgkmcnt(0)
	v_mul_f64 v[4:5], v[142:143], v[138:139]
	v_mul_f64 v[6:7], v[140:141], v[138:139]
	s_delay_alu instid0(VALU_DEP_2) | instskip(NEXT) | instid1(VALU_DEP_2)
	v_fma_f64 v[4:5], v[140:141], v[136:137], -v[4:5]
	v_fma_f64 v[6:7], v[142:143], v[136:137], v[6:7]
	scratch_load_b128 v[136:139], off, s6
	ds_load_2addr_b64 v[140:143], v144 offset0:12 offset1:13
	s_waitcnt vmcnt(0)
	v_add_f64 v[136:137], v[136:137], -v[4:5]
	v_add_f64 v[138:139], v[138:139], -v[6:7]
	scratch_store_b128 off, v[136:139], s6
	scratch_load_b128 v[136:139], off, off offset:528
	s_waitcnt vmcnt(0) lgkmcnt(0)
	v_mul_f64 v[4:5], v[142:143], v[138:139]
	v_mul_f64 v[6:7], v[140:141], v[138:139]
	s_delay_alu instid0(VALU_DEP_2) | instskip(NEXT) | instid1(VALU_DEP_2)
	v_fma_f64 v[4:5], v[140:141], v[136:137], -v[4:5]
	v_fma_f64 v[6:7], v[142:143], v[136:137], v[6:7]
	scratch_load_b128 v[140:143], off, s5
	s_waitcnt vmcnt(0)
	v_add_f64 v[140:141], v[140:141], -v[4:5]
	v_add_f64 v[142:143], v[142:143], -v[6:7]
	scratch_store_b128 off, v[140:143], s5
	s_cbranch_scc1 .LBB123_422
.LBB123_423:
	s_or_b32 exec_lo, exec_lo, s3
	s_delay_alu instid0(SALU_CYCLE_1)
	s_mov_b32 s4, exec_lo
	s_waitcnt lgkmcnt(0)
	s_waitcnt_vscnt null, 0x0
	s_barrier
	buffer_gl0_inv
	v_cmpx_eq_u32_e32 34, v252
	s_cbranch_execz .LBB123_430
; %bb.424:
	scratch_load_b32 v0, off, off offset:1080 ; 4-byte Folded Reload
	s_waitcnt vmcnt(0)
	scratch_load_b128 v[136:139], v0, off
	scratch_load_b32 v0, off, off offset:1076 ; 4-byte Folded Reload
	s_waitcnt vmcnt(1)
	ds_store_2addr_b64 v255, v[136:137], v[138:139] offset1:1
	s_waitcnt vmcnt(0)
	scratch_load_b128 v[136:139], v0, off
	scratch_load_b32 v0, off, off offset:1072 ; 4-byte Folded Reload
	s_waitcnt vmcnt(1)
	ds_store_2addr_b64 v248, v[136:137], v[138:139] offset0:70 offset1:71
	s_waitcnt vmcnt(0)
	scratch_load_b128 v[136:139], v0, off
	scratch_load_b32 v0, off, off offset:1068 ; 4-byte Folded Reload
	s_waitcnt vmcnt(1)
	ds_store_2addr_b64 v248, v[136:137], v[138:139] offset0:72 offset1:73
	;; [unrolled: 5-line block ×21, first 2 shown]
	s_waitcnt vmcnt(0)
	scratch_load_b128 v[136:139], v0, off
	s_waitcnt vmcnt(0)
	ds_store_2addr_b64 v248, v[136:137], v[138:139] offset0:112 offset1:113
	scratch_load_b128 v[136:139], v249, off
	s_waitcnt vmcnt(0)
	ds_store_2addr_b64 v248, v[136:137], v[138:139] offset0:114 offset1:115
	;; [unrolled: 3-line block ×6, first 2 shown]
	ds_load_2addr_b64 v[136:139], v255 offset1:1
	s_waitcnt lgkmcnt(0)
	v_cmp_neq_f64_e32 vcc_lo, 0, v[136:137]
	v_cmp_neq_f64_e64 s3, 0, v[138:139]
	s_delay_alu instid0(VALU_DEP_1) | instskip(NEXT) | instid1(SALU_CYCLE_1)
	s_or_b32 s3, vcc_lo, s3
	s_and_b32 exec_lo, exec_lo, s3
	s_cbranch_execz .LBB123_430
; %bb.425:
	v_cmp_gt_f64_e32 vcc_lo, 0, v[136:137]
	v_xor_b32_e32 v0, 0x80000000, v137
	v_xor_b32_e32 v4, 0x80000000, v139
	s_delay_alu instid0(VALU_DEP_2) | instskip(SKIP_2) | instid1(VALU_DEP_4)
	v_cndmask_b32_e32 v1, v137, v0, vcc_lo
	v_cndmask_b32_e32 v0, v136, v136, vcc_lo
	v_cmp_gt_f64_e32 vcc_lo, 0, v[138:139]
	v_dual_cndmask_b32 v5, v139, v4 :: v_dual_cndmask_b32 v4, v138, v138
	s_delay_alu instid0(VALU_DEP_1) | instskip(SKIP_1) | instid1(SALU_CYCLE_1)
	v_cmp_ngt_f64_e32 vcc_lo, v[0:1], v[4:5]
                                        ; implicit-def: $vgpr0_vgpr1
	s_and_saveexec_b32 s3, vcc_lo
	s_xor_b32 s3, exec_lo, s3
                                        ; implicit-def: $vgpr140_vgpr141_vgpr142_vgpr143
	s_cbranch_execz .LBB123_427
; %bb.426:
	v_div_scale_f64 v[0:1], null, v[138:139], v[138:139], v[136:137]
	v_div_scale_f64 v[140:141], vcc_lo, v[136:137], v[138:139], v[136:137]
	s_delay_alu instid0(VALU_DEP_2) | instskip(SKIP_2) | instid1(VALU_DEP_1)
	v_rcp_f64_e32 v[4:5], v[0:1]
	s_waitcnt_depctr 0xfff
	v_fma_f64 v[6:7], -v[0:1], v[4:5], 1.0
	v_fma_f64 v[4:5], v[4:5], v[6:7], v[4:5]
	s_delay_alu instid0(VALU_DEP_1) | instskip(NEXT) | instid1(VALU_DEP_1)
	v_fma_f64 v[6:7], -v[0:1], v[4:5], 1.0
	v_fma_f64 v[4:5], v[4:5], v[6:7], v[4:5]
	s_delay_alu instid0(VALU_DEP_1) | instskip(NEXT) | instid1(VALU_DEP_1)
	v_mul_f64 v[6:7], v[140:141], v[4:5]
	v_fma_f64 v[0:1], -v[0:1], v[6:7], v[140:141]
	s_delay_alu instid0(VALU_DEP_1) | instskip(NEXT) | instid1(VALU_DEP_1)
	v_div_fmas_f64 v[0:1], v[0:1], v[4:5], v[6:7]
	v_div_fixup_f64 v[0:1], v[0:1], v[138:139], v[136:137]
	s_delay_alu instid0(VALU_DEP_1) | instskip(NEXT) | instid1(VALU_DEP_1)
	v_fma_f64 v[4:5], v[136:137], v[0:1], v[138:139]
	v_div_scale_f64 v[6:7], null, v[4:5], v[4:5], 1.0
	s_delay_alu instid0(VALU_DEP_1) | instskip(SKIP_2) | instid1(VALU_DEP_1)
	v_rcp_f64_e32 v[136:137], v[6:7]
	s_waitcnt_depctr 0xfff
	v_fma_f64 v[138:139], -v[6:7], v[136:137], 1.0
	v_fma_f64 v[136:137], v[136:137], v[138:139], v[136:137]
	s_delay_alu instid0(VALU_DEP_1) | instskip(NEXT) | instid1(VALU_DEP_1)
	v_fma_f64 v[138:139], -v[6:7], v[136:137], 1.0
	v_fma_f64 v[136:137], v[136:137], v[138:139], v[136:137]
	v_div_scale_f64 v[138:139], vcc_lo, 1.0, v[4:5], 1.0
	s_delay_alu instid0(VALU_DEP_1) | instskip(NEXT) | instid1(VALU_DEP_1)
	v_mul_f64 v[140:141], v[138:139], v[136:137]
	v_fma_f64 v[6:7], -v[6:7], v[140:141], v[138:139]
	s_delay_alu instid0(VALU_DEP_1) | instskip(NEXT) | instid1(VALU_DEP_1)
	v_div_fmas_f64 v[6:7], v[6:7], v[136:137], v[140:141]
                                        ; implicit-def: $vgpr136_vgpr137
	v_div_fixup_f64 v[142:143], v[6:7], v[4:5], 1.0
	s_delay_alu instid0(VALU_DEP_1)
	v_mul_f64 v[0:1], v[0:1], v[142:143]
	v_xor_b32_e32 v143, 0x80000000, v143
.LBB123_427:
	s_and_not1_saveexec_b32 s3, s3
	s_cbranch_execz .LBB123_429
; %bb.428:
	v_div_scale_f64 v[0:1], null, v[136:137], v[136:137], v[138:139]
	v_div_scale_f64 v[140:141], vcc_lo, v[138:139], v[136:137], v[138:139]
	s_delay_alu instid0(VALU_DEP_2) | instskip(SKIP_2) | instid1(VALU_DEP_1)
	v_rcp_f64_e32 v[4:5], v[0:1]
	s_waitcnt_depctr 0xfff
	v_fma_f64 v[6:7], -v[0:1], v[4:5], 1.0
	v_fma_f64 v[4:5], v[4:5], v[6:7], v[4:5]
	s_delay_alu instid0(VALU_DEP_1) | instskip(NEXT) | instid1(VALU_DEP_1)
	v_fma_f64 v[6:7], -v[0:1], v[4:5], 1.0
	v_fma_f64 v[4:5], v[4:5], v[6:7], v[4:5]
	s_delay_alu instid0(VALU_DEP_1) | instskip(NEXT) | instid1(VALU_DEP_1)
	v_mul_f64 v[6:7], v[140:141], v[4:5]
	v_fma_f64 v[0:1], -v[0:1], v[6:7], v[140:141]
	s_delay_alu instid0(VALU_DEP_1) | instskip(NEXT) | instid1(VALU_DEP_1)
	v_div_fmas_f64 v[0:1], v[0:1], v[4:5], v[6:7]
	v_div_fixup_f64 v[4:5], v[0:1], v[136:137], v[138:139]
	s_delay_alu instid0(VALU_DEP_1) | instskip(NEXT) | instid1(VALU_DEP_1)
	v_fma_f64 v[0:1], v[138:139], v[4:5], v[136:137]
	v_div_scale_f64 v[6:7], null, v[0:1], v[0:1], 1.0
	s_delay_alu instid0(VALU_DEP_1) | instskip(SKIP_2) | instid1(VALU_DEP_1)
	v_rcp_f64_e32 v[136:137], v[6:7]
	s_waitcnt_depctr 0xfff
	v_fma_f64 v[138:139], -v[6:7], v[136:137], 1.0
	v_fma_f64 v[136:137], v[136:137], v[138:139], v[136:137]
	s_delay_alu instid0(VALU_DEP_1) | instskip(NEXT) | instid1(VALU_DEP_1)
	v_fma_f64 v[138:139], -v[6:7], v[136:137], 1.0
	v_fma_f64 v[136:137], v[136:137], v[138:139], v[136:137]
	v_div_scale_f64 v[138:139], vcc_lo, 1.0, v[0:1], 1.0
	s_delay_alu instid0(VALU_DEP_1) | instskip(NEXT) | instid1(VALU_DEP_1)
	v_mul_f64 v[140:141], v[138:139], v[136:137]
	v_fma_f64 v[6:7], -v[6:7], v[140:141], v[138:139]
	s_delay_alu instid0(VALU_DEP_1) | instskip(NEXT) | instid1(VALU_DEP_1)
	v_div_fmas_f64 v[6:7], v[6:7], v[136:137], v[140:141]
	v_div_fixup_f64 v[0:1], v[6:7], v[0:1], 1.0
	s_delay_alu instid0(VALU_DEP_1)
	v_mul_f64 v[142:143], v[4:5], -v[0:1]
.LBB123_429:
	s_or_b32 exec_lo, exec_lo, s3
	ds_store_2addr_b64 v255, v[0:1], v[142:143] offset1:1
.LBB123_430:
	s_or_b32 exec_lo, exec_lo, s4
	s_waitcnt lgkmcnt(0)
	s_barrier
	buffer_gl0_inv
	ds_load_2addr_b64 v[136:139], v255 offset1:1
	s_mov_b32 s3, exec_lo
	v_cmpx_lt_u32_e32 34, v252
	s_cbranch_execz .LBB123_433
; %bb.431:
	scratch_load_b128 v[142:145], off, off offset:544
	s_mov_b32 s4, 0
	s_waitcnt vmcnt(0) lgkmcnt(0)
	v_mul_f64 v[0:1], v[138:139], v[144:145]
	s_delay_alu instid0(VALU_DEP_1) | instskip(SKIP_1) | instid1(VALU_DEP_1)
	v_fma_f64 v[140:141], v[136:137], v[142:143], -v[0:1]
	v_mul_f64 v[0:1], v[136:137], v[144:145]
	v_fma_f64 v[142:143], v[138:139], v[142:143], v[0:1]
	v_add3_u32 v0, v180, 0, 0x230
	v_mov_b32_e32 v1, 0
	scratch_store_b128 off, v[140:143], off offset:544
.LBB123_432:                            ; =>This Inner Loop Header: Depth=1
	v_add_nc_u32_e32 v148, s4, v0
	v_readfirstlane_b32 s5, v1
	ds_load_2addr_b64 v[144:147], v148 offset1:1
	s_add_i32 s5, s5, s4
	s_add_i32 s4, s4, 48
	;; [unrolled: 1-line block ×3, first 2 shown]
	s_waitcnt lgkmcnt(0)
	v_mul_f64 v[4:5], v[146:147], v[142:143]
	v_mul_f64 v[6:7], v[144:145], v[142:143]
	s_delay_alu instid0(VALU_DEP_2) | instskip(NEXT) | instid1(VALU_DEP_2)
	v_fma_f64 v[4:5], v[144:145], v[140:141], -v[4:5]
	v_fma_f64 v[6:7], v[146:147], v[140:141], v[6:7]
	scratch_load_b128 v[144:147], off, s6
	s_waitcnt vmcnt(0)
	v_add_f64 v[144:145], v[144:145], -v[4:5]
	v_add_f64 v[146:147], v[146:147], -v[6:7]
	scratch_store_b128 off, v[144:147], s6
	ds_load_2addr_b64 v[144:147], v148 offset0:2 offset1:3
	s_add_i32 s6, s5, 0x240
	s_addk_i32 s5, 0x250
	s_cmpk_lg_i32 s4, 0x1b0
	s_waitcnt lgkmcnt(0)
	v_mul_f64 v[4:5], v[146:147], v[142:143]
	v_mul_f64 v[6:7], v[144:145], v[142:143]
	s_delay_alu instid0(VALU_DEP_2) | instskip(NEXT) | instid1(VALU_DEP_2)
	v_fma_f64 v[4:5], v[144:145], v[140:141], -v[4:5]
	v_fma_f64 v[6:7], v[146:147], v[140:141], v[6:7]
	scratch_load_b128 v[144:147], off, s6
	s_waitcnt vmcnt(0)
	v_add_f64 v[144:145], v[144:145], -v[4:5]
	v_add_f64 v[146:147], v[146:147], -v[6:7]
	scratch_store_b128 off, v[144:147], s6
	ds_load_2addr_b64 v[144:147], v148 offset0:4 offset1:5
	s_waitcnt lgkmcnt(0)
	v_mul_f64 v[4:5], v[146:147], v[142:143]
	v_mul_f64 v[6:7], v[144:145], v[142:143]
	s_delay_alu instid0(VALU_DEP_2) | instskip(NEXT) | instid1(VALU_DEP_2)
	v_fma_f64 v[4:5], v[144:145], v[140:141], -v[4:5]
	v_fma_f64 v[6:7], v[146:147], v[140:141], v[6:7]
	scratch_load_b128 v[144:147], off, s5
	s_waitcnt vmcnt(0)
	v_add_f64 v[144:145], v[144:145], -v[4:5]
	v_add_f64 v[146:147], v[146:147], -v[6:7]
	scratch_store_b128 off, v[144:147], s5
	s_cbranch_scc1 .LBB123_432
.LBB123_433:
	s_or_b32 exec_lo, exec_lo, s3
	s_delay_alu instid0(SALU_CYCLE_1)
	s_mov_b32 s4, exec_lo
	s_waitcnt lgkmcnt(0)
	s_waitcnt_vscnt null, 0x0
	s_barrier
	buffer_gl0_inv
	v_cmpx_eq_u32_e32 35, v252
	s_cbranch_execz .LBB123_440
; %bb.434:
	scratch_load_b32 v0, off, off offset:1076 ; 4-byte Folded Reload
	s_waitcnt vmcnt(0)
	scratch_load_b128 v[140:143], v0, off
	scratch_load_b32 v0, off, off offset:1072 ; 4-byte Folded Reload
	s_waitcnt vmcnt(1)
	ds_store_2addr_b64 v255, v[140:141], v[142:143] offset1:1
	s_waitcnt vmcnt(0)
	scratch_load_b128 v[140:143], v0, off
	scratch_load_b32 v0, off, off offset:1068 ; 4-byte Folded Reload
	s_waitcnt vmcnt(1)
	ds_store_2addr_b64 v248, v[140:141], v[142:143] offset0:72 offset1:73
	s_waitcnt vmcnt(0)
	scratch_load_b128 v[140:143], v0, off
	scratch_load_b32 v0, off, off offset:1064 ; 4-byte Folded Reload
	s_waitcnt vmcnt(1)
	ds_store_2addr_b64 v248, v[140:141], v[142:143] offset0:74 offset1:75
	s_waitcnt vmcnt(0)
	scratch_load_b128 v[140:143], v0, off
	scratch_load_b32 v0, off, off offset:1060 ; 4-byte Folded Reload
	s_waitcnt vmcnt(1)
	ds_store_2addr_b64 v248, v[140:141], v[142:143] offset0:76 offset1:77
	s_waitcnt vmcnt(0)
	scratch_load_b128 v[140:143], v0, off
	scratch_load_b32 v0, off, off offset:1056 ; 4-byte Folded Reload
	s_waitcnt vmcnt(1)
	ds_store_2addr_b64 v248, v[140:141], v[142:143] offset0:78 offset1:79
	s_waitcnt vmcnt(0)
	scratch_load_b128 v[140:143], v0, off
	scratch_load_b32 v0, off, off offset:1052 ; 4-byte Folded Reload
	s_waitcnt vmcnt(1)
	ds_store_2addr_b64 v248, v[140:141], v[142:143] offset0:80 offset1:81
	s_waitcnt vmcnt(0)
	scratch_load_b128 v[140:143], v0, off
	scratch_load_b32 v0, off, off offset:1048 ; 4-byte Folded Reload
	s_waitcnt vmcnt(1)
	ds_store_2addr_b64 v248, v[140:141], v[142:143] offset0:82 offset1:83
	s_waitcnt vmcnt(0)
	scratch_load_b128 v[140:143], v0, off
	scratch_load_b32 v0, off, off offset:1044 ; 4-byte Folded Reload
	s_waitcnt vmcnt(1)
	ds_store_2addr_b64 v248, v[140:141], v[142:143] offset0:84 offset1:85
	s_waitcnt vmcnt(0)
	scratch_load_b128 v[140:143], v0, off
	scratch_load_b32 v0, off, off offset:1040 ; 4-byte Folded Reload
	s_waitcnt vmcnt(1)
	ds_store_2addr_b64 v248, v[140:141], v[142:143] offset0:86 offset1:87
	s_waitcnt vmcnt(0)
	scratch_load_b128 v[140:143], v0, off
	scratch_load_b32 v0, off, off offset:1036 ; 4-byte Folded Reload
	s_waitcnt vmcnt(1)
	ds_store_2addr_b64 v248, v[140:141], v[142:143] offset0:88 offset1:89
	s_waitcnt vmcnt(0)
	scratch_load_b128 v[140:143], v0, off
	scratch_load_b32 v0, off, off offset:1032 ; 4-byte Folded Reload
	s_waitcnt vmcnt(1)
	ds_store_2addr_b64 v248, v[140:141], v[142:143] offset0:90 offset1:91
	s_waitcnt vmcnt(0)
	scratch_load_b128 v[140:143], v0, off
	scratch_load_b32 v0, off, off offset:1028 ; 4-byte Folded Reload
	s_waitcnt vmcnt(1)
	ds_store_2addr_b64 v248, v[140:141], v[142:143] offset0:92 offset1:93
	s_waitcnt vmcnt(0)
	scratch_load_b128 v[140:143], v0, off
	scratch_load_b32 v0, off, off offset:1024 ; 4-byte Folded Reload
	s_waitcnt vmcnt(1)
	ds_store_2addr_b64 v248, v[140:141], v[142:143] offset0:94 offset1:95
	s_waitcnt vmcnt(0)
	scratch_load_b128 v[140:143], v0, off
	scratch_load_b32 v0, off, off offset:1020 ; 4-byte Folded Reload
	s_waitcnt vmcnt(1)
	ds_store_2addr_b64 v248, v[140:141], v[142:143] offset0:96 offset1:97
	s_waitcnt vmcnt(0)
	scratch_load_b128 v[140:143], v0, off
	scratch_load_b32 v0, off, off offset:1016 ; 4-byte Folded Reload
	s_waitcnt vmcnt(1)
	ds_store_2addr_b64 v248, v[140:141], v[142:143] offset0:98 offset1:99
	s_waitcnt vmcnt(0)
	scratch_load_b128 v[140:143], v0, off
	scratch_load_b32 v0, off, off offset:1012 ; 4-byte Folded Reload
	s_waitcnt vmcnt(1)
	ds_store_2addr_b64 v248, v[140:141], v[142:143] offset0:100 offset1:101
	s_waitcnt vmcnt(0)
	scratch_load_b128 v[140:143], v0, off
	scratch_load_b32 v0, off, off offset:1008 ; 4-byte Folded Reload
	s_waitcnt vmcnt(1)
	ds_store_2addr_b64 v248, v[140:141], v[142:143] offset0:102 offset1:103
	s_waitcnt vmcnt(0)
	scratch_load_b128 v[140:143], v0, off
	scratch_load_b32 v0, off, off offset:1004 ; 4-byte Folded Reload
	s_waitcnt vmcnt(1)
	ds_store_2addr_b64 v248, v[140:141], v[142:143] offset0:104 offset1:105
	s_waitcnt vmcnt(0)
	scratch_load_b128 v[140:143], v0, off
	scratch_load_b32 v0, off, off offset:1000 ; 4-byte Folded Reload
	s_waitcnt vmcnt(1)
	ds_store_2addr_b64 v248, v[140:141], v[142:143] offset0:106 offset1:107
	s_waitcnt vmcnt(0)
	scratch_load_b128 v[140:143], v0, off
	scratch_load_b32 v0, off, off offset:996 ; 4-byte Folded Reload
	s_waitcnt vmcnt(1)
	ds_store_2addr_b64 v248, v[140:141], v[142:143] offset0:108 offset1:109
	s_waitcnt vmcnt(0)
	scratch_load_b128 v[140:143], v0, off
	scratch_load_b32 v0, off, off offset:992 ; 4-byte Folded Reload
	s_waitcnt vmcnt(1)
	ds_store_2addr_b64 v248, v[140:141], v[142:143] offset0:110 offset1:111
	s_waitcnt vmcnt(0)
	scratch_load_b128 v[140:143], v0, off
	s_waitcnt vmcnt(0)
	ds_store_2addr_b64 v248, v[140:141], v[142:143] offset0:112 offset1:113
	scratch_load_b128 v[140:143], v249, off
	s_waitcnt vmcnt(0)
	ds_store_2addr_b64 v248, v[140:141], v[142:143] offset0:114 offset1:115
	;; [unrolled: 3-line block ×6, first 2 shown]
	ds_load_2addr_b64 v[140:143], v255 offset1:1
	s_waitcnt lgkmcnt(0)
	v_cmp_neq_f64_e32 vcc_lo, 0, v[140:141]
	v_cmp_neq_f64_e64 s3, 0, v[142:143]
	s_delay_alu instid0(VALU_DEP_1) | instskip(NEXT) | instid1(SALU_CYCLE_1)
	s_or_b32 s3, vcc_lo, s3
	s_and_b32 exec_lo, exec_lo, s3
	s_cbranch_execz .LBB123_440
; %bb.435:
	v_cmp_gt_f64_e32 vcc_lo, 0, v[140:141]
	v_xor_b32_e32 v0, 0x80000000, v141
	v_xor_b32_e32 v4, 0x80000000, v143
	s_delay_alu instid0(VALU_DEP_2) | instskip(SKIP_2) | instid1(VALU_DEP_4)
	v_cndmask_b32_e32 v1, v141, v0, vcc_lo
	v_cndmask_b32_e32 v0, v140, v140, vcc_lo
	v_cmp_gt_f64_e32 vcc_lo, 0, v[142:143]
	v_dual_cndmask_b32 v5, v143, v4 :: v_dual_cndmask_b32 v4, v142, v142
	s_delay_alu instid0(VALU_DEP_1) | instskip(SKIP_1) | instid1(SALU_CYCLE_1)
	v_cmp_ngt_f64_e32 vcc_lo, v[0:1], v[4:5]
                                        ; implicit-def: $vgpr0_vgpr1
	s_and_saveexec_b32 s3, vcc_lo
	s_xor_b32 s3, exec_lo, s3
                                        ; implicit-def: $vgpr144_vgpr145_vgpr146_vgpr147
	s_cbranch_execz .LBB123_437
; %bb.436:
	v_div_scale_f64 v[0:1], null, v[142:143], v[142:143], v[140:141]
	v_div_scale_f64 v[144:145], vcc_lo, v[140:141], v[142:143], v[140:141]
	s_delay_alu instid0(VALU_DEP_2) | instskip(SKIP_2) | instid1(VALU_DEP_1)
	v_rcp_f64_e32 v[4:5], v[0:1]
	s_waitcnt_depctr 0xfff
	v_fma_f64 v[6:7], -v[0:1], v[4:5], 1.0
	v_fma_f64 v[4:5], v[4:5], v[6:7], v[4:5]
	s_delay_alu instid0(VALU_DEP_1) | instskip(NEXT) | instid1(VALU_DEP_1)
	v_fma_f64 v[6:7], -v[0:1], v[4:5], 1.0
	v_fma_f64 v[4:5], v[4:5], v[6:7], v[4:5]
	s_delay_alu instid0(VALU_DEP_1) | instskip(NEXT) | instid1(VALU_DEP_1)
	v_mul_f64 v[6:7], v[144:145], v[4:5]
	v_fma_f64 v[0:1], -v[0:1], v[6:7], v[144:145]
	s_delay_alu instid0(VALU_DEP_1) | instskip(NEXT) | instid1(VALU_DEP_1)
	v_div_fmas_f64 v[0:1], v[0:1], v[4:5], v[6:7]
	v_div_fixup_f64 v[0:1], v[0:1], v[142:143], v[140:141]
	s_delay_alu instid0(VALU_DEP_1) | instskip(NEXT) | instid1(VALU_DEP_1)
	v_fma_f64 v[4:5], v[140:141], v[0:1], v[142:143]
	v_div_scale_f64 v[6:7], null, v[4:5], v[4:5], 1.0
	s_delay_alu instid0(VALU_DEP_1) | instskip(SKIP_2) | instid1(VALU_DEP_1)
	v_rcp_f64_e32 v[140:141], v[6:7]
	s_waitcnt_depctr 0xfff
	v_fma_f64 v[142:143], -v[6:7], v[140:141], 1.0
	v_fma_f64 v[140:141], v[140:141], v[142:143], v[140:141]
	s_delay_alu instid0(VALU_DEP_1) | instskip(NEXT) | instid1(VALU_DEP_1)
	v_fma_f64 v[142:143], -v[6:7], v[140:141], 1.0
	v_fma_f64 v[140:141], v[140:141], v[142:143], v[140:141]
	v_div_scale_f64 v[142:143], vcc_lo, 1.0, v[4:5], 1.0
	s_delay_alu instid0(VALU_DEP_1) | instskip(NEXT) | instid1(VALU_DEP_1)
	v_mul_f64 v[144:145], v[142:143], v[140:141]
	v_fma_f64 v[6:7], -v[6:7], v[144:145], v[142:143]
	s_delay_alu instid0(VALU_DEP_1) | instskip(NEXT) | instid1(VALU_DEP_1)
	v_div_fmas_f64 v[6:7], v[6:7], v[140:141], v[144:145]
                                        ; implicit-def: $vgpr140_vgpr141
	v_div_fixup_f64 v[146:147], v[6:7], v[4:5], 1.0
	s_delay_alu instid0(VALU_DEP_1)
	v_mul_f64 v[0:1], v[0:1], v[146:147]
	v_xor_b32_e32 v147, 0x80000000, v147
.LBB123_437:
	s_and_not1_saveexec_b32 s3, s3
	s_cbranch_execz .LBB123_439
; %bb.438:
	v_div_scale_f64 v[0:1], null, v[140:141], v[140:141], v[142:143]
	v_div_scale_f64 v[144:145], vcc_lo, v[142:143], v[140:141], v[142:143]
	s_delay_alu instid0(VALU_DEP_2) | instskip(SKIP_2) | instid1(VALU_DEP_1)
	v_rcp_f64_e32 v[4:5], v[0:1]
	s_waitcnt_depctr 0xfff
	v_fma_f64 v[6:7], -v[0:1], v[4:5], 1.0
	v_fma_f64 v[4:5], v[4:5], v[6:7], v[4:5]
	s_delay_alu instid0(VALU_DEP_1) | instskip(NEXT) | instid1(VALU_DEP_1)
	v_fma_f64 v[6:7], -v[0:1], v[4:5], 1.0
	v_fma_f64 v[4:5], v[4:5], v[6:7], v[4:5]
	s_delay_alu instid0(VALU_DEP_1) | instskip(NEXT) | instid1(VALU_DEP_1)
	v_mul_f64 v[6:7], v[144:145], v[4:5]
	v_fma_f64 v[0:1], -v[0:1], v[6:7], v[144:145]
	s_delay_alu instid0(VALU_DEP_1) | instskip(NEXT) | instid1(VALU_DEP_1)
	v_div_fmas_f64 v[0:1], v[0:1], v[4:5], v[6:7]
	v_div_fixup_f64 v[4:5], v[0:1], v[140:141], v[142:143]
	s_delay_alu instid0(VALU_DEP_1) | instskip(NEXT) | instid1(VALU_DEP_1)
	v_fma_f64 v[0:1], v[142:143], v[4:5], v[140:141]
	v_div_scale_f64 v[6:7], null, v[0:1], v[0:1], 1.0
	s_delay_alu instid0(VALU_DEP_1) | instskip(SKIP_2) | instid1(VALU_DEP_1)
	v_rcp_f64_e32 v[140:141], v[6:7]
	s_waitcnt_depctr 0xfff
	v_fma_f64 v[142:143], -v[6:7], v[140:141], 1.0
	v_fma_f64 v[140:141], v[140:141], v[142:143], v[140:141]
	s_delay_alu instid0(VALU_DEP_1) | instskip(NEXT) | instid1(VALU_DEP_1)
	v_fma_f64 v[142:143], -v[6:7], v[140:141], 1.0
	v_fma_f64 v[140:141], v[140:141], v[142:143], v[140:141]
	v_div_scale_f64 v[142:143], vcc_lo, 1.0, v[0:1], 1.0
	s_delay_alu instid0(VALU_DEP_1) | instskip(NEXT) | instid1(VALU_DEP_1)
	v_mul_f64 v[144:145], v[142:143], v[140:141]
	v_fma_f64 v[6:7], -v[6:7], v[144:145], v[142:143]
	s_delay_alu instid0(VALU_DEP_1) | instskip(NEXT) | instid1(VALU_DEP_1)
	v_div_fmas_f64 v[6:7], v[6:7], v[140:141], v[144:145]
	v_div_fixup_f64 v[0:1], v[6:7], v[0:1], 1.0
	s_delay_alu instid0(VALU_DEP_1)
	v_mul_f64 v[146:147], v[4:5], -v[0:1]
.LBB123_439:
	s_or_b32 exec_lo, exec_lo, s3
	ds_store_2addr_b64 v255, v[0:1], v[146:147] offset1:1
.LBB123_440:
	s_or_b32 exec_lo, exec_lo, s4
	s_waitcnt lgkmcnt(0)
	s_barrier
	buffer_gl0_inv
	ds_load_2addr_b64 v[140:143], v255 offset1:1
	s_mov_b32 s3, exec_lo
	v_cmpx_lt_u32_e32 35, v252
	s_cbranch_execz .LBB123_443
; %bb.441:
	scratch_load_b128 v[146:149], off, off offset:560
	s_mov_b32 s4, 0
	s_waitcnt vmcnt(0) lgkmcnt(0)
	v_mul_f64 v[0:1], v[142:143], v[148:149]
	s_delay_alu instid0(VALU_DEP_1) | instskip(SKIP_1) | instid1(VALU_DEP_1)
	v_fma_f64 v[144:145], v[140:141], v[146:147], -v[0:1]
	v_mul_f64 v[0:1], v[140:141], v[148:149]
	v_fma_f64 v[146:147], v[142:143], v[146:147], v[0:1]
	v_add3_u32 v0, v180, 0, 0x240
	scratch_store_b128 off, v[144:147], off offset:560
	s_set_inst_prefetch_distance 0x1
	.p2align	6
.LBB123_442:                            ; =>This Inner Loop Header: Depth=1
	v_add_nc_u32_e32 v1, s4, v0
	v_add_nc_u32_e64 v152, s4, 0
	s_add_i32 s4, s4, 32
	s_delay_alu instid0(SALU_CYCLE_1)
	s_cmpk_lg_i32 s4, 0x1a0
	ds_load_2addr_b64 v[148:151], v1 offset1:1
	v_add_nc_u32_e32 v153, 0x240, v152
	s_waitcnt lgkmcnt(0)
	v_mul_f64 v[4:5], v[150:151], v[146:147]
	v_mul_f64 v[6:7], v[148:149], v[146:147]
	s_delay_alu instid0(VALU_DEP_2) | instskip(NEXT) | instid1(VALU_DEP_2)
	v_fma_f64 v[4:5], v[148:149], v[144:145], -v[4:5]
	v_fma_f64 v[6:7], v[150:151], v[144:145], v[6:7]
	scratch_load_b128 v[148:151], v153, off
	s_waitcnt vmcnt(0)
	v_add_f64 v[148:149], v[148:149], -v[4:5]
	v_add_f64 v[150:151], v[150:151], -v[6:7]
	scratch_store_b128 v153, v[148:151], off
	ds_load_2addr_b64 v[148:151], v1 offset0:2 offset1:3
	v_add_nc_u32_e32 v1, 0x250, v152
	s_waitcnt lgkmcnt(0)
	v_mul_f64 v[4:5], v[150:151], v[146:147]
	v_mul_f64 v[6:7], v[148:149], v[146:147]
	s_delay_alu instid0(VALU_DEP_2) | instskip(NEXT) | instid1(VALU_DEP_2)
	v_fma_f64 v[4:5], v[148:149], v[144:145], -v[4:5]
	v_fma_f64 v[6:7], v[150:151], v[144:145], v[6:7]
	scratch_load_b128 v[148:151], v1, off
	s_waitcnt vmcnt(0)
	v_add_f64 v[148:149], v[148:149], -v[4:5]
	v_add_f64 v[150:151], v[150:151], -v[6:7]
	scratch_store_b128 v1, v[148:151], off
	s_cbranch_scc1 .LBB123_442
.LBB123_443:
	s_set_inst_prefetch_distance 0x2
	s_or_b32 exec_lo, exec_lo, s3
	s_delay_alu instid0(SALU_CYCLE_1)
	s_mov_b32 s4, exec_lo
	s_waitcnt lgkmcnt(0)
	s_waitcnt_vscnt null, 0x0
	s_barrier
	buffer_gl0_inv
	v_cmpx_eq_u32_e32 36, v252
	s_cbranch_execz .LBB123_450
; %bb.444:
	scratch_load_b32 v0, off, off offset:1072 ; 4-byte Folded Reload
	s_waitcnt vmcnt(0)
	scratch_load_b128 v[144:147], v0, off
	scratch_load_b32 v0, off, off offset:1068 ; 4-byte Folded Reload
	s_waitcnt vmcnt(1)
	ds_store_2addr_b64 v255, v[144:145], v[146:147] offset1:1
	s_waitcnt vmcnt(0)
	scratch_load_b128 v[144:147], v0, off
	scratch_load_b32 v0, off, off offset:1064 ; 4-byte Folded Reload
	s_waitcnt vmcnt(1)
	ds_store_2addr_b64 v248, v[144:145], v[146:147] offset0:74 offset1:75
	s_waitcnt vmcnt(0)
	scratch_load_b128 v[144:147], v0, off
	scratch_load_b32 v0, off, off offset:1060 ; 4-byte Folded Reload
	s_waitcnt vmcnt(1)
	ds_store_2addr_b64 v248, v[144:145], v[146:147] offset0:76 offset1:77
	;; [unrolled: 5-line block ×19, first 2 shown]
	s_waitcnt vmcnt(0)
	scratch_load_b128 v[144:147], v0, off
	s_waitcnt vmcnt(0)
	ds_store_2addr_b64 v248, v[144:145], v[146:147] offset0:112 offset1:113
	scratch_load_b128 v[144:147], v249, off
	s_waitcnt vmcnt(0)
	ds_store_2addr_b64 v248, v[144:145], v[146:147] offset0:114 offset1:115
	;; [unrolled: 3-line block ×6, first 2 shown]
	ds_load_2addr_b64 v[144:147], v255 offset1:1
	s_waitcnt lgkmcnt(0)
	v_cmp_neq_f64_e32 vcc_lo, 0, v[144:145]
	v_cmp_neq_f64_e64 s3, 0, v[146:147]
	s_delay_alu instid0(VALU_DEP_1) | instskip(NEXT) | instid1(SALU_CYCLE_1)
	s_or_b32 s3, vcc_lo, s3
	s_and_b32 exec_lo, exec_lo, s3
	s_cbranch_execz .LBB123_450
; %bb.445:
	v_cmp_gt_f64_e32 vcc_lo, 0, v[144:145]
	v_xor_b32_e32 v0, 0x80000000, v145
	v_xor_b32_e32 v4, 0x80000000, v147
	s_delay_alu instid0(VALU_DEP_2) | instskip(SKIP_2) | instid1(VALU_DEP_4)
	v_cndmask_b32_e32 v1, v145, v0, vcc_lo
	v_cndmask_b32_e32 v0, v144, v144, vcc_lo
	v_cmp_gt_f64_e32 vcc_lo, 0, v[146:147]
	v_dual_cndmask_b32 v5, v147, v4 :: v_dual_cndmask_b32 v4, v146, v146
	s_delay_alu instid0(VALU_DEP_1) | instskip(SKIP_1) | instid1(SALU_CYCLE_1)
	v_cmp_ngt_f64_e32 vcc_lo, v[0:1], v[4:5]
                                        ; implicit-def: $vgpr0_vgpr1
	s_and_saveexec_b32 s3, vcc_lo
	s_xor_b32 s3, exec_lo, s3
                                        ; implicit-def: $vgpr148_vgpr149_vgpr150_vgpr151
	s_cbranch_execz .LBB123_447
; %bb.446:
	v_div_scale_f64 v[0:1], null, v[146:147], v[146:147], v[144:145]
	v_div_scale_f64 v[148:149], vcc_lo, v[144:145], v[146:147], v[144:145]
	s_delay_alu instid0(VALU_DEP_2) | instskip(SKIP_2) | instid1(VALU_DEP_1)
	v_rcp_f64_e32 v[4:5], v[0:1]
	s_waitcnt_depctr 0xfff
	v_fma_f64 v[6:7], -v[0:1], v[4:5], 1.0
	v_fma_f64 v[4:5], v[4:5], v[6:7], v[4:5]
	s_delay_alu instid0(VALU_DEP_1) | instskip(NEXT) | instid1(VALU_DEP_1)
	v_fma_f64 v[6:7], -v[0:1], v[4:5], 1.0
	v_fma_f64 v[4:5], v[4:5], v[6:7], v[4:5]
	s_delay_alu instid0(VALU_DEP_1) | instskip(NEXT) | instid1(VALU_DEP_1)
	v_mul_f64 v[6:7], v[148:149], v[4:5]
	v_fma_f64 v[0:1], -v[0:1], v[6:7], v[148:149]
	s_delay_alu instid0(VALU_DEP_1) | instskip(NEXT) | instid1(VALU_DEP_1)
	v_div_fmas_f64 v[0:1], v[0:1], v[4:5], v[6:7]
	v_div_fixup_f64 v[0:1], v[0:1], v[146:147], v[144:145]
	s_delay_alu instid0(VALU_DEP_1) | instskip(NEXT) | instid1(VALU_DEP_1)
	v_fma_f64 v[4:5], v[144:145], v[0:1], v[146:147]
	v_div_scale_f64 v[6:7], null, v[4:5], v[4:5], 1.0
	s_delay_alu instid0(VALU_DEP_1) | instskip(SKIP_2) | instid1(VALU_DEP_1)
	v_rcp_f64_e32 v[144:145], v[6:7]
	s_waitcnt_depctr 0xfff
	v_fma_f64 v[146:147], -v[6:7], v[144:145], 1.0
	v_fma_f64 v[144:145], v[144:145], v[146:147], v[144:145]
	s_delay_alu instid0(VALU_DEP_1) | instskip(NEXT) | instid1(VALU_DEP_1)
	v_fma_f64 v[146:147], -v[6:7], v[144:145], 1.0
	v_fma_f64 v[144:145], v[144:145], v[146:147], v[144:145]
	v_div_scale_f64 v[146:147], vcc_lo, 1.0, v[4:5], 1.0
	s_delay_alu instid0(VALU_DEP_1) | instskip(NEXT) | instid1(VALU_DEP_1)
	v_mul_f64 v[148:149], v[146:147], v[144:145]
	v_fma_f64 v[6:7], -v[6:7], v[148:149], v[146:147]
	s_delay_alu instid0(VALU_DEP_1) | instskip(NEXT) | instid1(VALU_DEP_1)
	v_div_fmas_f64 v[6:7], v[6:7], v[144:145], v[148:149]
                                        ; implicit-def: $vgpr144_vgpr145
	v_div_fixup_f64 v[150:151], v[6:7], v[4:5], 1.0
	s_delay_alu instid0(VALU_DEP_1)
	v_mul_f64 v[0:1], v[0:1], v[150:151]
	v_xor_b32_e32 v151, 0x80000000, v151
.LBB123_447:
	s_and_not1_saveexec_b32 s3, s3
	s_cbranch_execz .LBB123_449
; %bb.448:
	v_div_scale_f64 v[0:1], null, v[144:145], v[144:145], v[146:147]
	v_div_scale_f64 v[148:149], vcc_lo, v[146:147], v[144:145], v[146:147]
	s_delay_alu instid0(VALU_DEP_2) | instskip(SKIP_2) | instid1(VALU_DEP_1)
	v_rcp_f64_e32 v[4:5], v[0:1]
	s_waitcnt_depctr 0xfff
	v_fma_f64 v[6:7], -v[0:1], v[4:5], 1.0
	v_fma_f64 v[4:5], v[4:5], v[6:7], v[4:5]
	s_delay_alu instid0(VALU_DEP_1) | instskip(NEXT) | instid1(VALU_DEP_1)
	v_fma_f64 v[6:7], -v[0:1], v[4:5], 1.0
	v_fma_f64 v[4:5], v[4:5], v[6:7], v[4:5]
	s_delay_alu instid0(VALU_DEP_1) | instskip(NEXT) | instid1(VALU_DEP_1)
	v_mul_f64 v[6:7], v[148:149], v[4:5]
	v_fma_f64 v[0:1], -v[0:1], v[6:7], v[148:149]
	s_delay_alu instid0(VALU_DEP_1) | instskip(NEXT) | instid1(VALU_DEP_1)
	v_div_fmas_f64 v[0:1], v[0:1], v[4:5], v[6:7]
	v_div_fixup_f64 v[4:5], v[0:1], v[144:145], v[146:147]
	s_delay_alu instid0(VALU_DEP_1) | instskip(NEXT) | instid1(VALU_DEP_1)
	v_fma_f64 v[0:1], v[146:147], v[4:5], v[144:145]
	v_div_scale_f64 v[6:7], null, v[0:1], v[0:1], 1.0
	s_delay_alu instid0(VALU_DEP_1) | instskip(SKIP_2) | instid1(VALU_DEP_1)
	v_rcp_f64_e32 v[144:145], v[6:7]
	s_waitcnt_depctr 0xfff
	v_fma_f64 v[146:147], -v[6:7], v[144:145], 1.0
	v_fma_f64 v[144:145], v[144:145], v[146:147], v[144:145]
	s_delay_alu instid0(VALU_DEP_1) | instskip(NEXT) | instid1(VALU_DEP_1)
	v_fma_f64 v[146:147], -v[6:7], v[144:145], 1.0
	v_fma_f64 v[144:145], v[144:145], v[146:147], v[144:145]
	v_div_scale_f64 v[146:147], vcc_lo, 1.0, v[0:1], 1.0
	s_delay_alu instid0(VALU_DEP_1) | instskip(NEXT) | instid1(VALU_DEP_1)
	v_mul_f64 v[148:149], v[146:147], v[144:145]
	v_fma_f64 v[6:7], -v[6:7], v[148:149], v[146:147]
	s_delay_alu instid0(VALU_DEP_1) | instskip(NEXT) | instid1(VALU_DEP_1)
	v_div_fmas_f64 v[6:7], v[6:7], v[144:145], v[148:149]
	v_div_fixup_f64 v[0:1], v[6:7], v[0:1], 1.0
	s_delay_alu instid0(VALU_DEP_1)
	v_mul_f64 v[150:151], v[4:5], -v[0:1]
.LBB123_449:
	s_or_b32 exec_lo, exec_lo, s3
	ds_store_2addr_b64 v255, v[0:1], v[150:151] offset1:1
.LBB123_450:
	s_or_b32 exec_lo, exec_lo, s4
	s_waitcnt lgkmcnt(0)
	s_barrier
	buffer_gl0_inv
	ds_load_2addr_b64 v[144:147], v255 offset1:1
	s_mov_b32 s3, exec_lo
	v_cmpx_lt_u32_e32 36, v252
	s_cbranch_execz .LBB123_453
; %bb.451:
	scratch_load_b128 v[150:153], off, off offset:576
	s_mov_b32 s4, 0
	s_waitcnt vmcnt(0) lgkmcnt(0)
	v_mul_f64 v[0:1], v[146:147], v[152:153]
	s_delay_alu instid0(VALU_DEP_1) | instskip(SKIP_1) | instid1(VALU_DEP_1)
	v_fma_f64 v[148:149], v[144:145], v[150:151], -v[0:1]
	v_mul_f64 v[0:1], v[144:145], v[152:153]
	v_fma_f64 v[150:151], v[146:147], v[150:151], v[0:1]
	v_add3_u32 v0, v180, 0, 0x250
	v_mov_b32_e32 v1, 0
	scratch_store_b128 off, v[148:151], off offset:576
.LBB123_452:                            ; =>This Inner Loop Header: Depth=1
	v_add_nc_u32_e32 v156, s4, v0
	v_readfirstlane_b32 s5, v1
	ds_load_2addr_b64 v[152:155], v156 offset1:1
	s_add_i32 s5, s5, s4
	s_addk_i32 s4, 0x50
	s_add_i32 s6, s5, 0x250
	s_waitcnt lgkmcnt(0)
	v_mul_f64 v[4:5], v[154:155], v[150:151]
	v_mul_f64 v[6:7], v[152:153], v[150:151]
	s_delay_alu instid0(VALU_DEP_2) | instskip(NEXT) | instid1(VALU_DEP_2)
	v_fma_f64 v[4:5], v[152:153], v[148:149], -v[4:5]
	v_fma_f64 v[6:7], v[154:155], v[148:149], v[6:7]
	scratch_load_b128 v[152:155], off, s6
	s_waitcnt vmcnt(0)
	v_add_f64 v[152:153], v[152:153], -v[4:5]
	v_add_f64 v[154:155], v[154:155], -v[6:7]
	scratch_store_b128 off, v[152:155], s6
	ds_load_2addr_b64 v[152:155], v156 offset0:2 offset1:3
	s_add_i32 s6, s5, 0x260
	s_waitcnt lgkmcnt(0)
	v_mul_f64 v[4:5], v[154:155], v[150:151]
	v_mul_f64 v[6:7], v[152:153], v[150:151]
	s_delay_alu instid0(VALU_DEP_2) | instskip(NEXT) | instid1(VALU_DEP_2)
	v_fma_f64 v[4:5], v[152:153], v[148:149], -v[4:5]
	v_fma_f64 v[6:7], v[154:155], v[148:149], v[6:7]
	scratch_load_b128 v[152:155], off, s6
	s_waitcnt vmcnt(0)
	v_add_f64 v[152:153], v[152:153], -v[4:5]
	v_add_f64 v[154:155], v[154:155], -v[6:7]
	scratch_store_b128 off, v[152:155], s6
	ds_load_2addr_b64 v[152:155], v156 offset0:4 offset1:5
	;; [unrolled: 13-line block ×3, first 2 shown]
	s_add_i32 s6, s5, 0x280
	s_addk_i32 s5, 0x290
	s_cmpk_lg_i32 s4, 0x190
	s_waitcnt lgkmcnt(0)
	v_mul_f64 v[4:5], v[154:155], v[150:151]
	v_mul_f64 v[6:7], v[152:153], v[150:151]
	s_delay_alu instid0(VALU_DEP_2) | instskip(NEXT) | instid1(VALU_DEP_2)
	v_fma_f64 v[4:5], v[152:153], v[148:149], -v[4:5]
	v_fma_f64 v[6:7], v[154:155], v[148:149], v[6:7]
	scratch_load_b128 v[152:155], off, s6
	s_waitcnt vmcnt(0)
	v_add_f64 v[152:153], v[152:153], -v[4:5]
	v_add_f64 v[154:155], v[154:155], -v[6:7]
	scratch_store_b128 off, v[152:155], s6
	ds_load_2addr_b64 v[152:155], v156 offset0:8 offset1:9
	s_waitcnt lgkmcnt(0)
	v_mul_f64 v[4:5], v[154:155], v[150:151]
	v_mul_f64 v[6:7], v[152:153], v[150:151]
	s_delay_alu instid0(VALU_DEP_2) | instskip(NEXT) | instid1(VALU_DEP_2)
	v_fma_f64 v[4:5], v[152:153], v[148:149], -v[4:5]
	v_fma_f64 v[6:7], v[154:155], v[148:149], v[6:7]
	scratch_load_b128 v[152:155], off, s5
	s_waitcnt vmcnt(0)
	v_add_f64 v[152:153], v[152:153], -v[4:5]
	v_add_f64 v[154:155], v[154:155], -v[6:7]
	scratch_store_b128 off, v[152:155], s5
	s_cbranch_scc1 .LBB123_452
.LBB123_453:
	s_or_b32 exec_lo, exec_lo, s3
	s_delay_alu instid0(SALU_CYCLE_1)
	s_mov_b32 s4, exec_lo
	s_waitcnt lgkmcnt(0)
	s_waitcnt_vscnt null, 0x0
	s_barrier
	buffer_gl0_inv
	v_cmpx_eq_u32_e32 37, v252
	s_cbranch_execz .LBB123_460
; %bb.454:
	scratch_load_b32 v0, off, off offset:1068 ; 4-byte Folded Reload
	s_waitcnt vmcnt(0)
	scratch_load_b128 v[148:151], v0, off
	scratch_load_b32 v0, off, off offset:1064 ; 4-byte Folded Reload
	s_waitcnt vmcnt(1)
	ds_store_2addr_b64 v255, v[148:149], v[150:151] offset1:1
	s_waitcnt vmcnt(0)
	scratch_load_b128 v[148:151], v0, off
	scratch_load_b32 v0, off, off offset:1060 ; 4-byte Folded Reload
	s_waitcnt vmcnt(1)
	ds_store_2addr_b64 v248, v[148:149], v[150:151] offset0:76 offset1:77
	s_waitcnt vmcnt(0)
	scratch_load_b128 v[148:151], v0, off
	scratch_load_b32 v0, off, off offset:1056 ; 4-byte Folded Reload
	s_waitcnt vmcnt(1)
	ds_store_2addr_b64 v248, v[148:149], v[150:151] offset0:78 offset1:79
	;; [unrolled: 5-line block ×18, first 2 shown]
	s_waitcnt vmcnt(0)
	scratch_load_b128 v[148:151], v0, off
	s_waitcnt vmcnt(0)
	ds_store_2addr_b64 v248, v[148:149], v[150:151] offset0:112 offset1:113
	scratch_load_b128 v[148:151], v249, off
	s_waitcnt vmcnt(0)
	ds_store_2addr_b64 v248, v[148:149], v[150:151] offset0:114 offset1:115
	;; [unrolled: 3-line block ×6, first 2 shown]
	ds_load_2addr_b64 v[148:151], v255 offset1:1
	s_waitcnt lgkmcnt(0)
	v_cmp_neq_f64_e32 vcc_lo, 0, v[148:149]
	v_cmp_neq_f64_e64 s3, 0, v[150:151]
	s_delay_alu instid0(VALU_DEP_1) | instskip(NEXT) | instid1(SALU_CYCLE_1)
	s_or_b32 s3, vcc_lo, s3
	s_and_b32 exec_lo, exec_lo, s3
	s_cbranch_execz .LBB123_460
; %bb.455:
	v_cmp_gt_f64_e32 vcc_lo, 0, v[148:149]
	v_xor_b32_e32 v0, 0x80000000, v149
	v_xor_b32_e32 v4, 0x80000000, v151
	s_delay_alu instid0(VALU_DEP_2) | instskip(SKIP_2) | instid1(VALU_DEP_4)
	v_cndmask_b32_e32 v1, v149, v0, vcc_lo
	v_cndmask_b32_e32 v0, v148, v148, vcc_lo
	v_cmp_gt_f64_e32 vcc_lo, 0, v[150:151]
	v_dual_cndmask_b32 v5, v151, v4 :: v_dual_cndmask_b32 v4, v150, v150
	s_delay_alu instid0(VALU_DEP_1) | instskip(SKIP_1) | instid1(SALU_CYCLE_1)
	v_cmp_ngt_f64_e32 vcc_lo, v[0:1], v[4:5]
                                        ; implicit-def: $vgpr0_vgpr1
	s_and_saveexec_b32 s3, vcc_lo
	s_xor_b32 s3, exec_lo, s3
                                        ; implicit-def: $vgpr152_vgpr153_vgpr154_vgpr155
	s_cbranch_execz .LBB123_457
; %bb.456:
	v_div_scale_f64 v[0:1], null, v[150:151], v[150:151], v[148:149]
	v_div_scale_f64 v[152:153], vcc_lo, v[148:149], v[150:151], v[148:149]
	s_delay_alu instid0(VALU_DEP_2) | instskip(SKIP_2) | instid1(VALU_DEP_1)
	v_rcp_f64_e32 v[4:5], v[0:1]
	s_waitcnt_depctr 0xfff
	v_fma_f64 v[6:7], -v[0:1], v[4:5], 1.0
	v_fma_f64 v[4:5], v[4:5], v[6:7], v[4:5]
	s_delay_alu instid0(VALU_DEP_1) | instskip(NEXT) | instid1(VALU_DEP_1)
	v_fma_f64 v[6:7], -v[0:1], v[4:5], 1.0
	v_fma_f64 v[4:5], v[4:5], v[6:7], v[4:5]
	s_delay_alu instid0(VALU_DEP_1) | instskip(NEXT) | instid1(VALU_DEP_1)
	v_mul_f64 v[6:7], v[152:153], v[4:5]
	v_fma_f64 v[0:1], -v[0:1], v[6:7], v[152:153]
	s_delay_alu instid0(VALU_DEP_1) | instskip(NEXT) | instid1(VALU_DEP_1)
	v_div_fmas_f64 v[0:1], v[0:1], v[4:5], v[6:7]
	v_div_fixup_f64 v[0:1], v[0:1], v[150:151], v[148:149]
	s_delay_alu instid0(VALU_DEP_1) | instskip(NEXT) | instid1(VALU_DEP_1)
	v_fma_f64 v[4:5], v[148:149], v[0:1], v[150:151]
	v_div_scale_f64 v[6:7], null, v[4:5], v[4:5], 1.0
	s_delay_alu instid0(VALU_DEP_1) | instskip(SKIP_2) | instid1(VALU_DEP_1)
	v_rcp_f64_e32 v[148:149], v[6:7]
	s_waitcnt_depctr 0xfff
	v_fma_f64 v[150:151], -v[6:7], v[148:149], 1.0
	v_fma_f64 v[148:149], v[148:149], v[150:151], v[148:149]
	s_delay_alu instid0(VALU_DEP_1) | instskip(NEXT) | instid1(VALU_DEP_1)
	v_fma_f64 v[150:151], -v[6:7], v[148:149], 1.0
	v_fma_f64 v[148:149], v[148:149], v[150:151], v[148:149]
	v_div_scale_f64 v[150:151], vcc_lo, 1.0, v[4:5], 1.0
	s_delay_alu instid0(VALU_DEP_1) | instskip(NEXT) | instid1(VALU_DEP_1)
	v_mul_f64 v[152:153], v[150:151], v[148:149]
	v_fma_f64 v[6:7], -v[6:7], v[152:153], v[150:151]
	s_delay_alu instid0(VALU_DEP_1) | instskip(NEXT) | instid1(VALU_DEP_1)
	v_div_fmas_f64 v[6:7], v[6:7], v[148:149], v[152:153]
                                        ; implicit-def: $vgpr148_vgpr149
	v_div_fixup_f64 v[154:155], v[6:7], v[4:5], 1.0
	s_delay_alu instid0(VALU_DEP_1)
	v_mul_f64 v[0:1], v[0:1], v[154:155]
	v_xor_b32_e32 v155, 0x80000000, v155
.LBB123_457:
	s_and_not1_saveexec_b32 s3, s3
	s_cbranch_execz .LBB123_459
; %bb.458:
	v_div_scale_f64 v[0:1], null, v[148:149], v[148:149], v[150:151]
	v_div_scale_f64 v[152:153], vcc_lo, v[150:151], v[148:149], v[150:151]
	s_delay_alu instid0(VALU_DEP_2) | instskip(SKIP_2) | instid1(VALU_DEP_1)
	v_rcp_f64_e32 v[4:5], v[0:1]
	s_waitcnt_depctr 0xfff
	v_fma_f64 v[6:7], -v[0:1], v[4:5], 1.0
	v_fma_f64 v[4:5], v[4:5], v[6:7], v[4:5]
	s_delay_alu instid0(VALU_DEP_1) | instskip(NEXT) | instid1(VALU_DEP_1)
	v_fma_f64 v[6:7], -v[0:1], v[4:5], 1.0
	v_fma_f64 v[4:5], v[4:5], v[6:7], v[4:5]
	s_delay_alu instid0(VALU_DEP_1) | instskip(NEXT) | instid1(VALU_DEP_1)
	v_mul_f64 v[6:7], v[152:153], v[4:5]
	v_fma_f64 v[0:1], -v[0:1], v[6:7], v[152:153]
	s_delay_alu instid0(VALU_DEP_1) | instskip(NEXT) | instid1(VALU_DEP_1)
	v_div_fmas_f64 v[0:1], v[0:1], v[4:5], v[6:7]
	v_div_fixup_f64 v[4:5], v[0:1], v[148:149], v[150:151]
	s_delay_alu instid0(VALU_DEP_1) | instskip(NEXT) | instid1(VALU_DEP_1)
	v_fma_f64 v[0:1], v[150:151], v[4:5], v[148:149]
	v_div_scale_f64 v[6:7], null, v[0:1], v[0:1], 1.0
	s_delay_alu instid0(VALU_DEP_1) | instskip(SKIP_2) | instid1(VALU_DEP_1)
	v_rcp_f64_e32 v[148:149], v[6:7]
	s_waitcnt_depctr 0xfff
	v_fma_f64 v[150:151], -v[6:7], v[148:149], 1.0
	v_fma_f64 v[148:149], v[148:149], v[150:151], v[148:149]
	s_delay_alu instid0(VALU_DEP_1) | instskip(NEXT) | instid1(VALU_DEP_1)
	v_fma_f64 v[150:151], -v[6:7], v[148:149], 1.0
	v_fma_f64 v[148:149], v[148:149], v[150:151], v[148:149]
	v_div_scale_f64 v[150:151], vcc_lo, 1.0, v[0:1], 1.0
	s_delay_alu instid0(VALU_DEP_1) | instskip(NEXT) | instid1(VALU_DEP_1)
	v_mul_f64 v[152:153], v[150:151], v[148:149]
	v_fma_f64 v[6:7], -v[6:7], v[152:153], v[150:151]
	s_delay_alu instid0(VALU_DEP_1) | instskip(NEXT) | instid1(VALU_DEP_1)
	v_div_fmas_f64 v[6:7], v[6:7], v[148:149], v[152:153]
	v_div_fixup_f64 v[0:1], v[6:7], v[0:1], 1.0
	s_delay_alu instid0(VALU_DEP_1)
	v_mul_f64 v[154:155], v[4:5], -v[0:1]
.LBB123_459:
	s_or_b32 exec_lo, exec_lo, s3
	ds_store_2addr_b64 v255, v[0:1], v[154:155] offset1:1
.LBB123_460:
	s_or_b32 exec_lo, exec_lo, s4
	s_waitcnt lgkmcnt(0)
	s_barrier
	buffer_gl0_inv
	ds_load_2addr_b64 v[148:151], v255 offset1:1
	s_mov_b32 s3, exec_lo
	v_cmpx_lt_u32_e32 37, v252
	s_cbranch_execz .LBB123_463
; %bb.461:
	scratch_load_b128 v[154:157], off, off offset:592
	s_mov_b32 s4, 0
	s_waitcnt vmcnt(0) lgkmcnt(0)
	v_mul_f64 v[0:1], v[150:151], v[156:157]
	s_delay_alu instid0(VALU_DEP_1) | instskip(SKIP_1) | instid1(VALU_DEP_1)
	v_fma_f64 v[152:153], v[148:149], v[154:155], -v[0:1]
	v_mul_f64 v[0:1], v[148:149], v[156:157]
	v_fma_f64 v[154:155], v[150:151], v[154:155], v[0:1]
	v_add3_u32 v0, v180, 0, 0x260
	v_mov_b32_e32 v1, 0
	scratch_store_b128 off, v[152:155], off offset:592
.LBB123_462:                            ; =>This Inner Loop Header: Depth=1
	v_add_nc_u32_e32 v160, s4, v0
	v_readfirstlane_b32 s5, v1
	ds_load_2addr_b64 v[156:159], v160 offset1:1
	s_add_i32 s5, s5, s4
	s_addk_i32 s4, 0x60
	s_add_i32 s6, s5, 0x260
	s_waitcnt lgkmcnt(0)
	v_mul_f64 v[4:5], v[158:159], v[154:155]
	v_mul_f64 v[6:7], v[156:157], v[154:155]
	s_delay_alu instid0(VALU_DEP_2) | instskip(NEXT) | instid1(VALU_DEP_2)
	v_fma_f64 v[4:5], v[156:157], v[152:153], -v[4:5]
	v_fma_f64 v[6:7], v[158:159], v[152:153], v[6:7]
	scratch_load_b128 v[156:159], off, s6
	s_waitcnt vmcnt(0)
	v_add_f64 v[156:157], v[156:157], -v[4:5]
	v_add_f64 v[158:159], v[158:159], -v[6:7]
	scratch_store_b128 off, v[156:159], s6
	ds_load_2addr_b64 v[156:159], v160 offset0:2 offset1:3
	s_add_i32 s6, s5, 0x270
	s_waitcnt lgkmcnt(0)
	v_mul_f64 v[4:5], v[158:159], v[154:155]
	v_mul_f64 v[6:7], v[156:157], v[154:155]
	s_delay_alu instid0(VALU_DEP_2) | instskip(NEXT) | instid1(VALU_DEP_2)
	v_fma_f64 v[4:5], v[156:157], v[152:153], -v[4:5]
	v_fma_f64 v[6:7], v[158:159], v[152:153], v[6:7]
	scratch_load_b128 v[156:159], off, s6
	s_waitcnt vmcnt(0)
	v_add_f64 v[156:157], v[156:157], -v[4:5]
	v_add_f64 v[158:159], v[158:159], -v[6:7]
	scratch_store_b128 off, v[156:159], s6
	ds_load_2addr_b64 v[156:159], v160 offset0:4 offset1:5
	;; [unrolled: 13-line block ×4, first 2 shown]
	s_add_i32 s6, s5, 0x2a0
	s_addk_i32 s5, 0x2b0
	s_cmpk_lg_i32 s4, 0x180
	s_waitcnt lgkmcnt(0)
	v_mul_f64 v[4:5], v[158:159], v[154:155]
	v_mul_f64 v[6:7], v[156:157], v[154:155]
	s_delay_alu instid0(VALU_DEP_2) | instskip(NEXT) | instid1(VALU_DEP_2)
	v_fma_f64 v[4:5], v[156:157], v[152:153], -v[4:5]
	v_fma_f64 v[6:7], v[158:159], v[152:153], v[6:7]
	scratch_load_b128 v[156:159], off, s6
	s_waitcnt vmcnt(0)
	v_add_f64 v[156:157], v[156:157], -v[4:5]
	v_add_f64 v[158:159], v[158:159], -v[6:7]
	scratch_store_b128 off, v[156:159], s6
	ds_load_2addr_b64 v[156:159], v160 offset0:10 offset1:11
	s_waitcnt lgkmcnt(0)
	v_mul_f64 v[4:5], v[158:159], v[154:155]
	v_mul_f64 v[6:7], v[156:157], v[154:155]
	s_delay_alu instid0(VALU_DEP_2) | instskip(NEXT) | instid1(VALU_DEP_2)
	v_fma_f64 v[4:5], v[156:157], v[152:153], -v[4:5]
	v_fma_f64 v[6:7], v[158:159], v[152:153], v[6:7]
	scratch_load_b128 v[156:159], off, s5
	s_waitcnt vmcnt(0)
	v_add_f64 v[156:157], v[156:157], -v[4:5]
	v_add_f64 v[158:159], v[158:159], -v[6:7]
	scratch_store_b128 off, v[156:159], s5
	s_cbranch_scc1 .LBB123_462
.LBB123_463:
	s_or_b32 exec_lo, exec_lo, s3
	s_delay_alu instid0(SALU_CYCLE_1)
	s_mov_b32 s4, exec_lo
	s_waitcnt lgkmcnt(0)
	s_waitcnt_vscnt null, 0x0
	s_barrier
	buffer_gl0_inv
	v_cmpx_eq_u32_e32 38, v252
	s_cbranch_execz .LBB123_470
; %bb.464:
	scratch_load_b32 v0, off, off offset:1064 ; 4-byte Folded Reload
	s_waitcnt vmcnt(0)
	scratch_load_b128 v[152:155], v0, off
	scratch_load_b32 v0, off, off offset:1060 ; 4-byte Folded Reload
	s_waitcnt vmcnt(1)
	ds_store_2addr_b64 v255, v[152:153], v[154:155] offset1:1
	s_waitcnt vmcnt(0)
	scratch_load_b128 v[152:155], v0, off
	scratch_load_b32 v0, off, off offset:1056 ; 4-byte Folded Reload
	s_waitcnt vmcnt(1)
	ds_store_2addr_b64 v248, v[152:153], v[154:155] offset0:78 offset1:79
	s_waitcnt vmcnt(0)
	scratch_load_b128 v[152:155], v0, off
	scratch_load_b32 v0, off, off offset:1052 ; 4-byte Folded Reload
	s_waitcnt vmcnt(1)
	ds_store_2addr_b64 v248, v[152:153], v[154:155] offset0:80 offset1:81
	;; [unrolled: 5-line block ×17, first 2 shown]
	s_waitcnt vmcnt(0)
	scratch_load_b128 v[152:155], v0, off
	s_waitcnt vmcnt(0)
	ds_store_2addr_b64 v248, v[152:153], v[154:155] offset0:112 offset1:113
	scratch_load_b128 v[152:155], v249, off
	s_waitcnt vmcnt(0)
	ds_store_2addr_b64 v248, v[152:153], v[154:155] offset0:114 offset1:115
	;; [unrolled: 3-line block ×6, first 2 shown]
	ds_load_2addr_b64 v[152:155], v255 offset1:1
	s_waitcnt lgkmcnt(0)
	v_cmp_neq_f64_e32 vcc_lo, 0, v[152:153]
	v_cmp_neq_f64_e64 s3, 0, v[154:155]
	s_delay_alu instid0(VALU_DEP_1) | instskip(NEXT) | instid1(SALU_CYCLE_1)
	s_or_b32 s3, vcc_lo, s3
	s_and_b32 exec_lo, exec_lo, s3
	s_cbranch_execz .LBB123_470
; %bb.465:
	v_cmp_gt_f64_e32 vcc_lo, 0, v[152:153]
	v_xor_b32_e32 v0, 0x80000000, v153
	v_xor_b32_e32 v4, 0x80000000, v155
	s_delay_alu instid0(VALU_DEP_2) | instskip(SKIP_2) | instid1(VALU_DEP_4)
	v_cndmask_b32_e32 v1, v153, v0, vcc_lo
	v_cndmask_b32_e32 v0, v152, v152, vcc_lo
	v_cmp_gt_f64_e32 vcc_lo, 0, v[154:155]
	v_dual_cndmask_b32 v5, v155, v4 :: v_dual_cndmask_b32 v4, v154, v154
	s_delay_alu instid0(VALU_DEP_1) | instskip(SKIP_1) | instid1(SALU_CYCLE_1)
	v_cmp_ngt_f64_e32 vcc_lo, v[0:1], v[4:5]
                                        ; implicit-def: $vgpr0_vgpr1
	s_and_saveexec_b32 s3, vcc_lo
	s_xor_b32 s3, exec_lo, s3
                                        ; implicit-def: $vgpr156_vgpr157_vgpr158_vgpr159
	s_cbranch_execz .LBB123_467
; %bb.466:
	v_div_scale_f64 v[0:1], null, v[154:155], v[154:155], v[152:153]
	v_div_scale_f64 v[156:157], vcc_lo, v[152:153], v[154:155], v[152:153]
	s_delay_alu instid0(VALU_DEP_2) | instskip(SKIP_2) | instid1(VALU_DEP_1)
	v_rcp_f64_e32 v[4:5], v[0:1]
	s_waitcnt_depctr 0xfff
	v_fma_f64 v[6:7], -v[0:1], v[4:5], 1.0
	v_fma_f64 v[4:5], v[4:5], v[6:7], v[4:5]
	s_delay_alu instid0(VALU_DEP_1) | instskip(NEXT) | instid1(VALU_DEP_1)
	v_fma_f64 v[6:7], -v[0:1], v[4:5], 1.0
	v_fma_f64 v[4:5], v[4:5], v[6:7], v[4:5]
	s_delay_alu instid0(VALU_DEP_1) | instskip(NEXT) | instid1(VALU_DEP_1)
	v_mul_f64 v[6:7], v[156:157], v[4:5]
	v_fma_f64 v[0:1], -v[0:1], v[6:7], v[156:157]
	s_delay_alu instid0(VALU_DEP_1) | instskip(NEXT) | instid1(VALU_DEP_1)
	v_div_fmas_f64 v[0:1], v[0:1], v[4:5], v[6:7]
	v_div_fixup_f64 v[0:1], v[0:1], v[154:155], v[152:153]
	s_delay_alu instid0(VALU_DEP_1) | instskip(NEXT) | instid1(VALU_DEP_1)
	v_fma_f64 v[4:5], v[152:153], v[0:1], v[154:155]
	v_div_scale_f64 v[6:7], null, v[4:5], v[4:5], 1.0
	s_delay_alu instid0(VALU_DEP_1) | instskip(SKIP_2) | instid1(VALU_DEP_1)
	v_rcp_f64_e32 v[152:153], v[6:7]
	s_waitcnt_depctr 0xfff
	v_fma_f64 v[154:155], -v[6:7], v[152:153], 1.0
	v_fma_f64 v[152:153], v[152:153], v[154:155], v[152:153]
	s_delay_alu instid0(VALU_DEP_1) | instskip(NEXT) | instid1(VALU_DEP_1)
	v_fma_f64 v[154:155], -v[6:7], v[152:153], 1.0
	v_fma_f64 v[152:153], v[152:153], v[154:155], v[152:153]
	v_div_scale_f64 v[154:155], vcc_lo, 1.0, v[4:5], 1.0
	s_delay_alu instid0(VALU_DEP_1) | instskip(NEXT) | instid1(VALU_DEP_1)
	v_mul_f64 v[156:157], v[154:155], v[152:153]
	v_fma_f64 v[6:7], -v[6:7], v[156:157], v[154:155]
	s_delay_alu instid0(VALU_DEP_1) | instskip(NEXT) | instid1(VALU_DEP_1)
	v_div_fmas_f64 v[6:7], v[6:7], v[152:153], v[156:157]
                                        ; implicit-def: $vgpr152_vgpr153
	v_div_fixup_f64 v[158:159], v[6:7], v[4:5], 1.0
	s_delay_alu instid0(VALU_DEP_1)
	v_mul_f64 v[0:1], v[0:1], v[158:159]
	v_xor_b32_e32 v159, 0x80000000, v159
.LBB123_467:
	s_and_not1_saveexec_b32 s3, s3
	s_cbranch_execz .LBB123_469
; %bb.468:
	v_div_scale_f64 v[0:1], null, v[152:153], v[152:153], v[154:155]
	v_div_scale_f64 v[156:157], vcc_lo, v[154:155], v[152:153], v[154:155]
	s_delay_alu instid0(VALU_DEP_2) | instskip(SKIP_2) | instid1(VALU_DEP_1)
	v_rcp_f64_e32 v[4:5], v[0:1]
	s_waitcnt_depctr 0xfff
	v_fma_f64 v[6:7], -v[0:1], v[4:5], 1.0
	v_fma_f64 v[4:5], v[4:5], v[6:7], v[4:5]
	s_delay_alu instid0(VALU_DEP_1) | instskip(NEXT) | instid1(VALU_DEP_1)
	v_fma_f64 v[6:7], -v[0:1], v[4:5], 1.0
	v_fma_f64 v[4:5], v[4:5], v[6:7], v[4:5]
	s_delay_alu instid0(VALU_DEP_1) | instskip(NEXT) | instid1(VALU_DEP_1)
	v_mul_f64 v[6:7], v[156:157], v[4:5]
	v_fma_f64 v[0:1], -v[0:1], v[6:7], v[156:157]
	s_delay_alu instid0(VALU_DEP_1) | instskip(NEXT) | instid1(VALU_DEP_1)
	v_div_fmas_f64 v[0:1], v[0:1], v[4:5], v[6:7]
	v_div_fixup_f64 v[4:5], v[0:1], v[152:153], v[154:155]
	s_delay_alu instid0(VALU_DEP_1) | instskip(NEXT) | instid1(VALU_DEP_1)
	v_fma_f64 v[0:1], v[154:155], v[4:5], v[152:153]
	v_div_scale_f64 v[6:7], null, v[0:1], v[0:1], 1.0
	s_delay_alu instid0(VALU_DEP_1) | instskip(SKIP_2) | instid1(VALU_DEP_1)
	v_rcp_f64_e32 v[152:153], v[6:7]
	s_waitcnt_depctr 0xfff
	v_fma_f64 v[154:155], -v[6:7], v[152:153], 1.0
	v_fma_f64 v[152:153], v[152:153], v[154:155], v[152:153]
	s_delay_alu instid0(VALU_DEP_1) | instskip(NEXT) | instid1(VALU_DEP_1)
	v_fma_f64 v[154:155], -v[6:7], v[152:153], 1.0
	v_fma_f64 v[152:153], v[152:153], v[154:155], v[152:153]
	v_div_scale_f64 v[154:155], vcc_lo, 1.0, v[0:1], 1.0
	s_delay_alu instid0(VALU_DEP_1) | instskip(NEXT) | instid1(VALU_DEP_1)
	v_mul_f64 v[156:157], v[154:155], v[152:153]
	v_fma_f64 v[6:7], -v[6:7], v[156:157], v[154:155]
	s_delay_alu instid0(VALU_DEP_1) | instskip(NEXT) | instid1(VALU_DEP_1)
	v_div_fmas_f64 v[6:7], v[6:7], v[152:153], v[156:157]
	v_div_fixup_f64 v[0:1], v[6:7], v[0:1], 1.0
	s_delay_alu instid0(VALU_DEP_1)
	v_mul_f64 v[158:159], v[4:5], -v[0:1]
.LBB123_469:
	s_or_b32 exec_lo, exec_lo, s3
	ds_store_2addr_b64 v255, v[0:1], v[158:159] offset1:1
.LBB123_470:
	s_or_b32 exec_lo, exec_lo, s4
	s_waitcnt lgkmcnt(0)
	s_barrier
	buffer_gl0_inv
	ds_load_2addr_b64 v[152:155], v255 offset1:1
	s_mov_b32 s3, exec_lo
	v_cmpx_lt_u32_e32 38, v252
	s_cbranch_execz .LBB123_475
; %bb.471:
	scratch_load_b128 v[158:161], off, off offset:608
	s_mov_b32 s4, 0
	s_waitcnt vmcnt(0) lgkmcnt(0)
	v_mul_f64 v[0:1], v[154:155], v[160:161]
	s_delay_alu instid0(VALU_DEP_1) | instskip(SKIP_1) | instid1(VALU_DEP_1)
	v_fma_f64 v[156:157], v[152:153], v[158:159], -v[0:1]
	v_mul_f64 v[0:1], v[152:153], v[160:161]
	v_fma_f64 v[158:159], v[154:155], v[158:159], v[0:1]
	v_add3_u32 v0, v180, 0, 0x270
	v_mov_b32_e32 v1, 0
	scratch_store_b128 off, v[156:159], off offset:608
	s_branch .LBB123_473
.LBB123_472:                            ;   in Loop: Header=BB123_473 Depth=1
	s_and_not1_b32 vcc_lo, exec_lo, s6
	s_cbranch_vccz .LBB123_475
.LBB123_473:                            ; =>This Inner Loop Header: Depth=1
	v_add_nc_u32_e32 v160, s4, v0
	v_readfirstlane_b32 s5, v1
	ds_load_2addr_b64 v[161:164], v160 offset1:1
	s_add_i32 s5, s5, s4
	s_delay_alu instid0(SALU_CYCLE_1) | instskip(SKIP_3) | instid1(VALU_DEP_2)
	s_add_i32 s6, s5, 0x270
	s_waitcnt lgkmcnt(0)
	v_mul_f64 v[4:5], v[163:164], v[158:159]
	v_mul_f64 v[6:7], v[161:162], v[158:159]
	v_fma_f64 v[4:5], v[161:162], v[156:157], -v[4:5]
	s_delay_alu instid0(VALU_DEP_2)
	v_fma_f64 v[6:7], v[163:164], v[156:157], v[6:7]
	scratch_load_b128 v[161:164], off, s6
	s_waitcnt vmcnt(0)
	v_add_f64 v[161:162], v[161:162], -v[4:5]
	v_add_f64 v[163:164], v[163:164], -v[6:7]
	scratch_store_b128 off, v[161:164], s6
	ds_load_2addr_b64 v[161:164], v160 offset0:2 offset1:3
	s_add_i32 s6, s5, 0x280
	s_waitcnt lgkmcnt(0)
	v_mul_f64 v[4:5], v[163:164], v[158:159]
	v_mul_f64 v[6:7], v[161:162], v[158:159]
	s_delay_alu instid0(VALU_DEP_2) | instskip(NEXT) | instid1(VALU_DEP_2)
	v_fma_f64 v[4:5], v[161:162], v[156:157], -v[4:5]
	v_fma_f64 v[6:7], v[163:164], v[156:157], v[6:7]
	scratch_load_b128 v[161:164], off, s6
	s_waitcnt vmcnt(0)
	v_add_f64 v[161:162], v[161:162], -v[4:5]
	v_add_f64 v[163:164], v[163:164], -v[6:7]
	scratch_store_b128 off, v[161:164], s6
	ds_load_2addr_b64 v[161:164], v160 offset0:4 offset1:5
	s_add_i32 s6, s5, 0x290
	s_cmpk_eq_i32 s4, 0x140
	s_waitcnt lgkmcnt(0)
	v_mul_f64 v[4:5], v[163:164], v[158:159]
	v_mul_f64 v[6:7], v[161:162], v[158:159]
	s_delay_alu instid0(VALU_DEP_2) | instskip(NEXT) | instid1(VALU_DEP_2)
	v_fma_f64 v[4:5], v[161:162], v[156:157], -v[4:5]
	v_fma_f64 v[6:7], v[163:164], v[156:157], v[6:7]
	scratch_load_b128 v[161:164], off, s6
	s_waitcnt vmcnt(0)
	v_add_f64 v[161:162], v[161:162], -v[4:5]
	v_add_f64 v[163:164], v[163:164], -v[6:7]
	scratch_store_b128 off, v[161:164], s6
	s_mov_b32 s6, -1
	s_cbranch_scc1 .LBB123_472
; %bb.474:                              ;   in Loop: Header=BB123_473 Depth=1
	ds_load_2addr_b64 v[160:163], v160 offset0:6 offset1:7
	s_addk_i32 s5, 0x2a0
	s_add_i32 s4, s4, 64
	s_mov_b32 s6, 0
	s_waitcnt lgkmcnt(0)
	v_mul_f64 v[4:5], v[162:163], v[158:159]
	v_mul_f64 v[6:7], v[160:161], v[158:159]
	s_delay_alu instid0(VALU_DEP_2) | instskip(NEXT) | instid1(VALU_DEP_2)
	v_fma_f64 v[4:5], v[160:161], v[156:157], -v[4:5]
	v_fma_f64 v[6:7], v[162:163], v[156:157], v[6:7]
	scratch_load_b128 v[160:163], off, s5
	s_waitcnt vmcnt(0)
	v_add_f64 v[160:161], v[160:161], -v[4:5]
	v_add_f64 v[162:163], v[162:163], -v[6:7]
	scratch_store_b128 off, v[160:163], s5
	s_branch .LBB123_472
.LBB123_475:
	s_or_b32 exec_lo, exec_lo, s3
	s_delay_alu instid0(SALU_CYCLE_1)
	s_mov_b32 s4, exec_lo
	s_waitcnt lgkmcnt(0)
	s_waitcnt_vscnt null, 0x0
	s_barrier
	buffer_gl0_inv
	v_cmpx_eq_u32_e32 39, v252
	s_cbranch_execz .LBB123_482
; %bb.476:
	scratch_load_b32 v0, off, off offset:1060 ; 4-byte Folded Reload
	s_waitcnt vmcnt(0)
	scratch_load_b128 v[156:159], v0, off
	scratch_load_b32 v0, off, off offset:1056 ; 4-byte Folded Reload
	s_waitcnt vmcnt(1)
	ds_store_2addr_b64 v255, v[156:157], v[158:159] offset1:1
	s_waitcnt vmcnt(0)
	scratch_load_b128 v[156:159], v0, off
	scratch_load_b32 v0, off, off offset:1052 ; 4-byte Folded Reload
	s_waitcnt vmcnt(1)
	ds_store_2addr_b64 v248, v[156:157], v[158:159] offset0:80 offset1:81
	s_waitcnt vmcnt(0)
	scratch_load_b128 v[156:159], v0, off
	scratch_load_b32 v0, off, off offset:1048 ; 4-byte Folded Reload
	s_waitcnt vmcnt(1)
	ds_store_2addr_b64 v248, v[156:157], v[158:159] offset0:82 offset1:83
	;; [unrolled: 5-line block ×16, first 2 shown]
	s_waitcnt vmcnt(0)
	scratch_load_b128 v[156:159], v0, off
	s_waitcnt vmcnt(0)
	ds_store_2addr_b64 v248, v[156:157], v[158:159] offset0:112 offset1:113
	scratch_load_b128 v[156:159], v249, off
	s_waitcnt vmcnt(0)
	ds_store_2addr_b64 v248, v[156:157], v[158:159] offset0:114 offset1:115
	;; [unrolled: 3-line block ×6, first 2 shown]
	ds_load_2addr_b64 v[156:159], v255 offset1:1
	s_waitcnt lgkmcnt(0)
	v_cmp_neq_f64_e32 vcc_lo, 0, v[156:157]
	v_cmp_neq_f64_e64 s3, 0, v[158:159]
	s_delay_alu instid0(VALU_DEP_1) | instskip(NEXT) | instid1(SALU_CYCLE_1)
	s_or_b32 s3, vcc_lo, s3
	s_and_b32 exec_lo, exec_lo, s3
	s_cbranch_execz .LBB123_482
; %bb.477:
	v_cmp_gt_f64_e32 vcc_lo, 0, v[156:157]
	v_xor_b32_e32 v0, 0x80000000, v157
	v_xor_b32_e32 v4, 0x80000000, v159
	s_delay_alu instid0(VALU_DEP_2) | instskip(SKIP_2) | instid1(VALU_DEP_4)
	v_cndmask_b32_e32 v1, v157, v0, vcc_lo
	v_cndmask_b32_e32 v0, v156, v156, vcc_lo
	v_cmp_gt_f64_e32 vcc_lo, 0, v[158:159]
	v_dual_cndmask_b32 v5, v159, v4 :: v_dual_cndmask_b32 v4, v158, v158
	s_delay_alu instid0(VALU_DEP_1) | instskip(SKIP_1) | instid1(SALU_CYCLE_1)
	v_cmp_ngt_f64_e32 vcc_lo, v[0:1], v[4:5]
                                        ; implicit-def: $vgpr0_vgpr1
	s_and_saveexec_b32 s3, vcc_lo
	s_xor_b32 s3, exec_lo, s3
                                        ; implicit-def: $vgpr160_vgpr161_vgpr162_vgpr163
	s_cbranch_execz .LBB123_479
; %bb.478:
	v_div_scale_f64 v[0:1], null, v[158:159], v[158:159], v[156:157]
	v_div_scale_f64 v[160:161], vcc_lo, v[156:157], v[158:159], v[156:157]
	s_delay_alu instid0(VALU_DEP_2) | instskip(SKIP_2) | instid1(VALU_DEP_1)
	v_rcp_f64_e32 v[4:5], v[0:1]
	s_waitcnt_depctr 0xfff
	v_fma_f64 v[6:7], -v[0:1], v[4:5], 1.0
	v_fma_f64 v[4:5], v[4:5], v[6:7], v[4:5]
	s_delay_alu instid0(VALU_DEP_1) | instskip(NEXT) | instid1(VALU_DEP_1)
	v_fma_f64 v[6:7], -v[0:1], v[4:5], 1.0
	v_fma_f64 v[4:5], v[4:5], v[6:7], v[4:5]
	s_delay_alu instid0(VALU_DEP_1) | instskip(NEXT) | instid1(VALU_DEP_1)
	v_mul_f64 v[6:7], v[160:161], v[4:5]
	v_fma_f64 v[0:1], -v[0:1], v[6:7], v[160:161]
	s_delay_alu instid0(VALU_DEP_1) | instskip(NEXT) | instid1(VALU_DEP_1)
	v_div_fmas_f64 v[0:1], v[0:1], v[4:5], v[6:7]
	v_div_fixup_f64 v[0:1], v[0:1], v[158:159], v[156:157]
	s_delay_alu instid0(VALU_DEP_1) | instskip(NEXT) | instid1(VALU_DEP_1)
	v_fma_f64 v[4:5], v[156:157], v[0:1], v[158:159]
	v_div_scale_f64 v[6:7], null, v[4:5], v[4:5], 1.0
	s_delay_alu instid0(VALU_DEP_1) | instskip(SKIP_2) | instid1(VALU_DEP_1)
	v_rcp_f64_e32 v[156:157], v[6:7]
	s_waitcnt_depctr 0xfff
	v_fma_f64 v[158:159], -v[6:7], v[156:157], 1.0
	v_fma_f64 v[156:157], v[156:157], v[158:159], v[156:157]
	s_delay_alu instid0(VALU_DEP_1) | instskip(NEXT) | instid1(VALU_DEP_1)
	v_fma_f64 v[158:159], -v[6:7], v[156:157], 1.0
	v_fma_f64 v[156:157], v[156:157], v[158:159], v[156:157]
	v_div_scale_f64 v[158:159], vcc_lo, 1.0, v[4:5], 1.0
	s_delay_alu instid0(VALU_DEP_1) | instskip(NEXT) | instid1(VALU_DEP_1)
	v_mul_f64 v[160:161], v[158:159], v[156:157]
	v_fma_f64 v[6:7], -v[6:7], v[160:161], v[158:159]
	s_delay_alu instid0(VALU_DEP_1) | instskip(NEXT) | instid1(VALU_DEP_1)
	v_div_fmas_f64 v[6:7], v[6:7], v[156:157], v[160:161]
                                        ; implicit-def: $vgpr156_vgpr157
	v_div_fixup_f64 v[162:163], v[6:7], v[4:5], 1.0
	s_delay_alu instid0(VALU_DEP_1)
	v_mul_f64 v[0:1], v[0:1], v[162:163]
	v_xor_b32_e32 v163, 0x80000000, v163
.LBB123_479:
	s_and_not1_saveexec_b32 s3, s3
	s_cbranch_execz .LBB123_481
; %bb.480:
	v_div_scale_f64 v[0:1], null, v[156:157], v[156:157], v[158:159]
	v_div_scale_f64 v[160:161], vcc_lo, v[158:159], v[156:157], v[158:159]
	s_delay_alu instid0(VALU_DEP_2) | instskip(SKIP_2) | instid1(VALU_DEP_1)
	v_rcp_f64_e32 v[4:5], v[0:1]
	s_waitcnt_depctr 0xfff
	v_fma_f64 v[6:7], -v[0:1], v[4:5], 1.0
	v_fma_f64 v[4:5], v[4:5], v[6:7], v[4:5]
	s_delay_alu instid0(VALU_DEP_1) | instskip(NEXT) | instid1(VALU_DEP_1)
	v_fma_f64 v[6:7], -v[0:1], v[4:5], 1.0
	v_fma_f64 v[4:5], v[4:5], v[6:7], v[4:5]
	s_delay_alu instid0(VALU_DEP_1) | instskip(NEXT) | instid1(VALU_DEP_1)
	v_mul_f64 v[6:7], v[160:161], v[4:5]
	v_fma_f64 v[0:1], -v[0:1], v[6:7], v[160:161]
	s_delay_alu instid0(VALU_DEP_1) | instskip(NEXT) | instid1(VALU_DEP_1)
	v_div_fmas_f64 v[0:1], v[0:1], v[4:5], v[6:7]
	v_div_fixup_f64 v[4:5], v[0:1], v[156:157], v[158:159]
	s_delay_alu instid0(VALU_DEP_1) | instskip(NEXT) | instid1(VALU_DEP_1)
	v_fma_f64 v[0:1], v[158:159], v[4:5], v[156:157]
	v_div_scale_f64 v[6:7], null, v[0:1], v[0:1], 1.0
	s_delay_alu instid0(VALU_DEP_1) | instskip(SKIP_2) | instid1(VALU_DEP_1)
	v_rcp_f64_e32 v[156:157], v[6:7]
	s_waitcnt_depctr 0xfff
	v_fma_f64 v[158:159], -v[6:7], v[156:157], 1.0
	v_fma_f64 v[156:157], v[156:157], v[158:159], v[156:157]
	s_delay_alu instid0(VALU_DEP_1) | instskip(NEXT) | instid1(VALU_DEP_1)
	v_fma_f64 v[158:159], -v[6:7], v[156:157], 1.0
	v_fma_f64 v[156:157], v[156:157], v[158:159], v[156:157]
	v_div_scale_f64 v[158:159], vcc_lo, 1.0, v[0:1], 1.0
	s_delay_alu instid0(VALU_DEP_1) | instskip(NEXT) | instid1(VALU_DEP_1)
	v_mul_f64 v[160:161], v[158:159], v[156:157]
	v_fma_f64 v[6:7], -v[6:7], v[160:161], v[158:159]
	s_delay_alu instid0(VALU_DEP_1) | instskip(NEXT) | instid1(VALU_DEP_1)
	v_div_fmas_f64 v[6:7], v[6:7], v[156:157], v[160:161]
	v_div_fixup_f64 v[0:1], v[6:7], v[0:1], 1.0
	s_delay_alu instid0(VALU_DEP_1)
	v_mul_f64 v[162:163], v[4:5], -v[0:1]
.LBB123_481:
	s_or_b32 exec_lo, exec_lo, s3
	ds_store_2addr_b64 v255, v[0:1], v[162:163] offset1:1
.LBB123_482:
	s_or_b32 exec_lo, exec_lo, s4
	s_waitcnt lgkmcnt(0)
	s_barrier
	buffer_gl0_inv
	ds_load_2addr_b64 v[156:159], v255 offset1:1
	s_mov_b32 s3, exec_lo
	v_cmpx_lt_u32_e32 39, v252
	s_cbranch_execz .LBB123_485
; %bb.483:
	scratch_load_b128 v[162:165], off, off offset:624
	s_mov_b32 s4, 0
	s_waitcnt vmcnt(0) lgkmcnt(0)
	v_mul_f64 v[0:1], v[158:159], v[164:165]
	s_delay_alu instid0(VALU_DEP_1) | instskip(SKIP_1) | instid1(VALU_DEP_1)
	v_fma_f64 v[160:161], v[156:157], v[162:163], -v[0:1]
	v_mul_f64 v[0:1], v[156:157], v[164:165]
	v_fma_f64 v[162:163], v[158:159], v[162:163], v[0:1]
	v_add3_u32 v0, v180, 0, 0x280
	scratch_store_b128 off, v[160:163], off offset:624
	s_set_inst_prefetch_distance 0x1
	.p2align	6
.LBB123_484:                            ; =>This Inner Loop Header: Depth=1
	v_add_nc_u32_e32 v1, s4, v0
	v_add_nc_u32_e64 v168, s4, 0
	s_add_i32 s4, s4, 32
	s_delay_alu instid0(SALU_CYCLE_1)
	s_cmpk_lg_i32 s4, 0x160
	ds_load_2addr_b64 v[164:167], v1 offset1:1
	v_add_nc_u32_e32 v169, 0x280, v168
	s_waitcnt lgkmcnt(0)
	v_mul_f64 v[4:5], v[166:167], v[162:163]
	v_mul_f64 v[6:7], v[164:165], v[162:163]
	s_delay_alu instid0(VALU_DEP_2) | instskip(NEXT) | instid1(VALU_DEP_2)
	v_fma_f64 v[4:5], v[164:165], v[160:161], -v[4:5]
	v_fma_f64 v[6:7], v[166:167], v[160:161], v[6:7]
	scratch_load_b128 v[164:167], v169, off
	s_waitcnt vmcnt(0)
	v_add_f64 v[164:165], v[164:165], -v[4:5]
	v_add_f64 v[166:167], v[166:167], -v[6:7]
	scratch_store_b128 v169, v[164:167], off
	ds_load_2addr_b64 v[164:167], v1 offset0:2 offset1:3
	v_add_nc_u32_e32 v1, 0x290, v168
	s_waitcnt lgkmcnt(0)
	v_mul_f64 v[4:5], v[166:167], v[162:163]
	v_mul_f64 v[6:7], v[164:165], v[162:163]
	s_delay_alu instid0(VALU_DEP_2) | instskip(NEXT) | instid1(VALU_DEP_2)
	v_fma_f64 v[4:5], v[164:165], v[160:161], -v[4:5]
	v_fma_f64 v[6:7], v[166:167], v[160:161], v[6:7]
	scratch_load_b128 v[164:167], v1, off
	s_waitcnt vmcnt(0)
	v_add_f64 v[164:165], v[164:165], -v[4:5]
	v_add_f64 v[166:167], v[166:167], -v[6:7]
	scratch_store_b128 v1, v[164:167], off
	s_cbranch_scc1 .LBB123_484
.LBB123_485:
	s_set_inst_prefetch_distance 0x2
	s_or_b32 exec_lo, exec_lo, s3
	s_delay_alu instid0(SALU_CYCLE_1)
	s_mov_b32 s4, exec_lo
	s_waitcnt lgkmcnt(0)
	s_waitcnt_vscnt null, 0x0
	s_barrier
	buffer_gl0_inv
	v_cmpx_eq_u32_e32 40, v252
	s_cbranch_execz .LBB123_492
; %bb.486:
	scratch_load_b32 v0, off, off offset:1056 ; 4-byte Folded Reload
	s_waitcnt vmcnt(0)
	scratch_load_b128 v[160:163], v0, off
	scratch_load_b32 v0, off, off offset:1052 ; 4-byte Folded Reload
	s_waitcnt vmcnt(1)
	ds_store_2addr_b64 v255, v[160:161], v[162:163] offset1:1
	s_waitcnt vmcnt(0)
	scratch_load_b128 v[160:163], v0, off
	scratch_load_b32 v0, off, off offset:1048 ; 4-byte Folded Reload
	s_waitcnt vmcnt(1)
	ds_store_2addr_b64 v248, v[160:161], v[162:163] offset0:82 offset1:83
	s_waitcnt vmcnt(0)
	scratch_load_b128 v[160:163], v0, off
	scratch_load_b32 v0, off, off offset:1044 ; 4-byte Folded Reload
	s_waitcnt vmcnt(1)
	ds_store_2addr_b64 v248, v[160:161], v[162:163] offset0:84 offset1:85
	;; [unrolled: 5-line block ×15, first 2 shown]
	s_waitcnt vmcnt(0)
	scratch_load_b128 v[160:163], v0, off
	s_waitcnt vmcnt(0)
	ds_store_2addr_b64 v248, v[160:161], v[162:163] offset0:112 offset1:113
	scratch_load_b128 v[160:163], v249, off
	s_waitcnt vmcnt(0)
	ds_store_2addr_b64 v248, v[160:161], v[162:163] offset0:114 offset1:115
	;; [unrolled: 3-line block ×6, first 2 shown]
	ds_load_2addr_b64 v[160:163], v255 offset1:1
	s_waitcnt lgkmcnt(0)
	v_cmp_neq_f64_e32 vcc_lo, 0, v[160:161]
	v_cmp_neq_f64_e64 s3, 0, v[162:163]
	s_delay_alu instid0(VALU_DEP_1) | instskip(NEXT) | instid1(SALU_CYCLE_1)
	s_or_b32 s3, vcc_lo, s3
	s_and_b32 exec_lo, exec_lo, s3
	s_cbranch_execz .LBB123_492
; %bb.487:
	v_cmp_gt_f64_e32 vcc_lo, 0, v[160:161]
	v_xor_b32_e32 v0, 0x80000000, v161
	v_xor_b32_e32 v4, 0x80000000, v163
	s_delay_alu instid0(VALU_DEP_2) | instskip(SKIP_2) | instid1(VALU_DEP_4)
	v_cndmask_b32_e32 v1, v161, v0, vcc_lo
	v_cndmask_b32_e32 v0, v160, v160, vcc_lo
	v_cmp_gt_f64_e32 vcc_lo, 0, v[162:163]
	v_dual_cndmask_b32 v5, v163, v4 :: v_dual_cndmask_b32 v4, v162, v162
	s_delay_alu instid0(VALU_DEP_1) | instskip(SKIP_1) | instid1(SALU_CYCLE_1)
	v_cmp_ngt_f64_e32 vcc_lo, v[0:1], v[4:5]
                                        ; implicit-def: $vgpr0_vgpr1
	s_and_saveexec_b32 s3, vcc_lo
	s_xor_b32 s3, exec_lo, s3
                                        ; implicit-def: $vgpr164_vgpr165_vgpr166_vgpr167
	s_cbranch_execz .LBB123_489
; %bb.488:
	v_div_scale_f64 v[0:1], null, v[162:163], v[162:163], v[160:161]
	v_div_scale_f64 v[164:165], vcc_lo, v[160:161], v[162:163], v[160:161]
	s_delay_alu instid0(VALU_DEP_2) | instskip(SKIP_2) | instid1(VALU_DEP_1)
	v_rcp_f64_e32 v[4:5], v[0:1]
	s_waitcnt_depctr 0xfff
	v_fma_f64 v[6:7], -v[0:1], v[4:5], 1.0
	v_fma_f64 v[4:5], v[4:5], v[6:7], v[4:5]
	s_delay_alu instid0(VALU_DEP_1) | instskip(NEXT) | instid1(VALU_DEP_1)
	v_fma_f64 v[6:7], -v[0:1], v[4:5], 1.0
	v_fma_f64 v[4:5], v[4:5], v[6:7], v[4:5]
	s_delay_alu instid0(VALU_DEP_1) | instskip(NEXT) | instid1(VALU_DEP_1)
	v_mul_f64 v[6:7], v[164:165], v[4:5]
	v_fma_f64 v[0:1], -v[0:1], v[6:7], v[164:165]
	s_delay_alu instid0(VALU_DEP_1) | instskip(NEXT) | instid1(VALU_DEP_1)
	v_div_fmas_f64 v[0:1], v[0:1], v[4:5], v[6:7]
	v_div_fixup_f64 v[0:1], v[0:1], v[162:163], v[160:161]
	s_delay_alu instid0(VALU_DEP_1) | instskip(NEXT) | instid1(VALU_DEP_1)
	v_fma_f64 v[4:5], v[160:161], v[0:1], v[162:163]
	v_div_scale_f64 v[6:7], null, v[4:5], v[4:5], 1.0
	s_delay_alu instid0(VALU_DEP_1) | instskip(SKIP_2) | instid1(VALU_DEP_1)
	v_rcp_f64_e32 v[160:161], v[6:7]
	s_waitcnt_depctr 0xfff
	v_fma_f64 v[162:163], -v[6:7], v[160:161], 1.0
	v_fma_f64 v[160:161], v[160:161], v[162:163], v[160:161]
	s_delay_alu instid0(VALU_DEP_1) | instskip(NEXT) | instid1(VALU_DEP_1)
	v_fma_f64 v[162:163], -v[6:7], v[160:161], 1.0
	v_fma_f64 v[160:161], v[160:161], v[162:163], v[160:161]
	v_div_scale_f64 v[162:163], vcc_lo, 1.0, v[4:5], 1.0
	s_delay_alu instid0(VALU_DEP_1) | instskip(NEXT) | instid1(VALU_DEP_1)
	v_mul_f64 v[164:165], v[162:163], v[160:161]
	v_fma_f64 v[6:7], -v[6:7], v[164:165], v[162:163]
	s_delay_alu instid0(VALU_DEP_1) | instskip(NEXT) | instid1(VALU_DEP_1)
	v_div_fmas_f64 v[6:7], v[6:7], v[160:161], v[164:165]
                                        ; implicit-def: $vgpr160_vgpr161
	v_div_fixup_f64 v[166:167], v[6:7], v[4:5], 1.0
	s_delay_alu instid0(VALU_DEP_1)
	v_mul_f64 v[0:1], v[0:1], v[166:167]
	v_xor_b32_e32 v167, 0x80000000, v167
.LBB123_489:
	s_and_not1_saveexec_b32 s3, s3
	s_cbranch_execz .LBB123_491
; %bb.490:
	v_div_scale_f64 v[0:1], null, v[160:161], v[160:161], v[162:163]
	v_div_scale_f64 v[164:165], vcc_lo, v[162:163], v[160:161], v[162:163]
	s_delay_alu instid0(VALU_DEP_2) | instskip(SKIP_2) | instid1(VALU_DEP_1)
	v_rcp_f64_e32 v[4:5], v[0:1]
	s_waitcnt_depctr 0xfff
	v_fma_f64 v[6:7], -v[0:1], v[4:5], 1.0
	v_fma_f64 v[4:5], v[4:5], v[6:7], v[4:5]
	s_delay_alu instid0(VALU_DEP_1) | instskip(NEXT) | instid1(VALU_DEP_1)
	v_fma_f64 v[6:7], -v[0:1], v[4:5], 1.0
	v_fma_f64 v[4:5], v[4:5], v[6:7], v[4:5]
	s_delay_alu instid0(VALU_DEP_1) | instskip(NEXT) | instid1(VALU_DEP_1)
	v_mul_f64 v[6:7], v[164:165], v[4:5]
	v_fma_f64 v[0:1], -v[0:1], v[6:7], v[164:165]
	s_delay_alu instid0(VALU_DEP_1) | instskip(NEXT) | instid1(VALU_DEP_1)
	v_div_fmas_f64 v[0:1], v[0:1], v[4:5], v[6:7]
	v_div_fixup_f64 v[4:5], v[0:1], v[160:161], v[162:163]
	s_delay_alu instid0(VALU_DEP_1) | instskip(NEXT) | instid1(VALU_DEP_1)
	v_fma_f64 v[0:1], v[162:163], v[4:5], v[160:161]
	v_div_scale_f64 v[6:7], null, v[0:1], v[0:1], 1.0
	s_delay_alu instid0(VALU_DEP_1) | instskip(SKIP_2) | instid1(VALU_DEP_1)
	v_rcp_f64_e32 v[160:161], v[6:7]
	s_waitcnt_depctr 0xfff
	v_fma_f64 v[162:163], -v[6:7], v[160:161], 1.0
	v_fma_f64 v[160:161], v[160:161], v[162:163], v[160:161]
	s_delay_alu instid0(VALU_DEP_1) | instskip(NEXT) | instid1(VALU_DEP_1)
	v_fma_f64 v[162:163], -v[6:7], v[160:161], 1.0
	v_fma_f64 v[160:161], v[160:161], v[162:163], v[160:161]
	v_div_scale_f64 v[162:163], vcc_lo, 1.0, v[0:1], 1.0
	s_delay_alu instid0(VALU_DEP_1) | instskip(NEXT) | instid1(VALU_DEP_1)
	v_mul_f64 v[164:165], v[162:163], v[160:161]
	v_fma_f64 v[6:7], -v[6:7], v[164:165], v[162:163]
	s_delay_alu instid0(VALU_DEP_1) | instskip(NEXT) | instid1(VALU_DEP_1)
	v_div_fmas_f64 v[6:7], v[6:7], v[160:161], v[164:165]
	v_div_fixup_f64 v[0:1], v[6:7], v[0:1], 1.0
	s_delay_alu instid0(VALU_DEP_1)
	v_mul_f64 v[166:167], v[4:5], -v[0:1]
.LBB123_491:
	s_or_b32 exec_lo, exec_lo, s3
	ds_store_2addr_b64 v255, v[0:1], v[166:167] offset1:1
.LBB123_492:
	s_or_b32 exec_lo, exec_lo, s4
	s_waitcnt lgkmcnt(0)
	s_barrier
	buffer_gl0_inv
	ds_load_2addr_b64 v[160:163], v255 offset1:1
	s_mov_b32 s3, exec_lo
	v_cmpx_lt_u32_e32 40, v252
	s_cbranch_execz .LBB123_495
; %bb.493:
	scratch_load_b128 v[166:169], off, off offset:640
	s_mov_b32 s4, 0
	s_waitcnt vmcnt(0) lgkmcnt(0)
	v_mul_f64 v[0:1], v[162:163], v[168:169]
	s_delay_alu instid0(VALU_DEP_1) | instskip(SKIP_1) | instid1(VALU_DEP_1)
	v_fma_f64 v[164:165], v[160:161], v[166:167], -v[0:1]
	v_mul_f64 v[0:1], v[160:161], v[168:169]
	v_fma_f64 v[166:167], v[162:163], v[166:167], v[0:1]
	v_add3_u32 v0, v180, 0, 0x290
	v_mov_b32_e32 v1, 0
	scratch_store_b128 off, v[164:167], off offset:640
.LBB123_494:                            ; =>This Inner Loop Header: Depth=1
	v_add_nc_u32_e32 v172, s4, v0
	v_readfirstlane_b32 s5, v1
	ds_load_2addr_b64 v[168:171], v172 offset1:1
	s_add_i32 s5, s5, s4
	s_addk_i32 s4, 0x70
	s_add_i32 s6, s5, 0x290
	s_waitcnt lgkmcnt(0)
	v_mul_f64 v[4:5], v[170:171], v[166:167]
	v_mul_f64 v[6:7], v[168:169], v[166:167]
	s_delay_alu instid0(VALU_DEP_2) | instskip(NEXT) | instid1(VALU_DEP_2)
	v_fma_f64 v[4:5], v[168:169], v[164:165], -v[4:5]
	v_fma_f64 v[6:7], v[170:171], v[164:165], v[6:7]
	scratch_load_b128 v[168:171], off, s6
	s_waitcnt vmcnt(0)
	v_add_f64 v[168:169], v[168:169], -v[4:5]
	v_add_f64 v[170:171], v[170:171], -v[6:7]
	scratch_store_b128 off, v[168:171], s6
	ds_load_2addr_b64 v[168:171], v172 offset0:2 offset1:3
	s_add_i32 s6, s5, 0x2a0
	s_waitcnt lgkmcnt(0)
	v_mul_f64 v[4:5], v[170:171], v[166:167]
	v_mul_f64 v[6:7], v[168:169], v[166:167]
	s_delay_alu instid0(VALU_DEP_2) | instskip(NEXT) | instid1(VALU_DEP_2)
	v_fma_f64 v[4:5], v[168:169], v[164:165], -v[4:5]
	v_fma_f64 v[6:7], v[170:171], v[164:165], v[6:7]
	scratch_load_b128 v[168:171], off, s6
	s_waitcnt vmcnt(0)
	v_add_f64 v[168:169], v[168:169], -v[4:5]
	v_add_f64 v[170:171], v[170:171], -v[6:7]
	scratch_store_b128 off, v[168:171], s6
	ds_load_2addr_b64 v[168:171], v172 offset0:4 offset1:5
	;; [unrolled: 13-line block ×5, first 2 shown]
	s_add_i32 s6, s5, 0x2e0
	s_addk_i32 s5, 0x2f0
	s_cmpk_lg_i32 s4, 0x150
	s_waitcnt lgkmcnt(0)
	v_mul_f64 v[4:5], v[170:171], v[166:167]
	v_mul_f64 v[6:7], v[168:169], v[166:167]
	s_delay_alu instid0(VALU_DEP_2) | instskip(NEXT) | instid1(VALU_DEP_2)
	v_fma_f64 v[4:5], v[168:169], v[164:165], -v[4:5]
	v_fma_f64 v[6:7], v[170:171], v[164:165], v[6:7]
	scratch_load_b128 v[164:167], off, s6
	ds_load_2addr_b64 v[168:171], v172 offset0:12 offset1:13
	s_waitcnt vmcnt(0)
	v_add_f64 v[164:165], v[164:165], -v[4:5]
	v_add_f64 v[166:167], v[166:167], -v[6:7]
	scratch_store_b128 off, v[164:167], s6
	scratch_load_b128 v[164:167], off, off offset:640
	s_waitcnt vmcnt(0) lgkmcnt(0)
	v_mul_f64 v[4:5], v[170:171], v[166:167]
	v_mul_f64 v[6:7], v[168:169], v[166:167]
	s_delay_alu instid0(VALU_DEP_2) | instskip(NEXT) | instid1(VALU_DEP_2)
	v_fma_f64 v[4:5], v[168:169], v[164:165], -v[4:5]
	v_fma_f64 v[6:7], v[170:171], v[164:165], v[6:7]
	scratch_load_b128 v[168:171], off, s5
	s_waitcnt vmcnt(0)
	v_add_f64 v[168:169], v[168:169], -v[4:5]
	v_add_f64 v[170:171], v[170:171], -v[6:7]
	scratch_store_b128 off, v[168:171], s5
	s_cbranch_scc1 .LBB123_494
.LBB123_495:
	s_or_b32 exec_lo, exec_lo, s3
	s_delay_alu instid0(SALU_CYCLE_1)
	s_mov_b32 s4, exec_lo
	s_waitcnt lgkmcnt(0)
	s_waitcnt_vscnt null, 0x0
	s_barrier
	buffer_gl0_inv
	v_cmpx_eq_u32_e32 41, v252
	s_cbranch_execz .LBB123_502
; %bb.496:
	scratch_load_b32 v0, off, off offset:1052 ; 4-byte Folded Reload
	s_waitcnt vmcnt(0)
	scratch_load_b128 v[164:167], v0, off
	scratch_load_b32 v0, off, off offset:1048 ; 4-byte Folded Reload
	s_waitcnt vmcnt(1)
	ds_store_2addr_b64 v255, v[164:165], v[166:167] offset1:1
	s_waitcnt vmcnt(0)
	scratch_load_b128 v[164:167], v0, off
	scratch_load_b32 v0, off, off offset:1044 ; 4-byte Folded Reload
	s_waitcnt vmcnt(1)
	ds_store_2addr_b64 v248, v[164:165], v[166:167] offset0:84 offset1:85
	s_waitcnt vmcnt(0)
	scratch_load_b128 v[164:167], v0, off
	scratch_load_b32 v0, off, off offset:1040 ; 4-byte Folded Reload
	s_waitcnt vmcnt(1)
	ds_store_2addr_b64 v248, v[164:165], v[166:167] offset0:86 offset1:87
	;; [unrolled: 5-line block ×14, first 2 shown]
	s_waitcnt vmcnt(0)
	scratch_load_b128 v[164:167], v0, off
	s_waitcnt vmcnt(0)
	ds_store_2addr_b64 v248, v[164:165], v[166:167] offset0:112 offset1:113
	scratch_load_b128 v[164:167], v249, off
	s_waitcnt vmcnt(0)
	ds_store_2addr_b64 v248, v[164:165], v[166:167] offset0:114 offset1:115
	;; [unrolled: 3-line block ×6, first 2 shown]
	ds_load_2addr_b64 v[164:167], v255 offset1:1
	s_waitcnt lgkmcnt(0)
	v_cmp_neq_f64_e32 vcc_lo, 0, v[164:165]
	v_cmp_neq_f64_e64 s3, 0, v[166:167]
	s_delay_alu instid0(VALU_DEP_1) | instskip(NEXT) | instid1(SALU_CYCLE_1)
	s_or_b32 s3, vcc_lo, s3
	s_and_b32 exec_lo, exec_lo, s3
	s_cbranch_execz .LBB123_502
; %bb.497:
	v_cmp_gt_f64_e32 vcc_lo, 0, v[164:165]
	v_xor_b32_e32 v0, 0x80000000, v165
	v_xor_b32_e32 v4, 0x80000000, v167
	s_delay_alu instid0(VALU_DEP_2) | instskip(SKIP_2) | instid1(VALU_DEP_4)
	v_cndmask_b32_e32 v1, v165, v0, vcc_lo
	v_cndmask_b32_e32 v0, v164, v164, vcc_lo
	v_cmp_gt_f64_e32 vcc_lo, 0, v[166:167]
	v_dual_cndmask_b32 v5, v167, v4 :: v_dual_cndmask_b32 v4, v166, v166
	s_delay_alu instid0(VALU_DEP_1) | instskip(SKIP_1) | instid1(SALU_CYCLE_1)
	v_cmp_ngt_f64_e32 vcc_lo, v[0:1], v[4:5]
                                        ; implicit-def: $vgpr0_vgpr1
	s_and_saveexec_b32 s3, vcc_lo
	s_xor_b32 s3, exec_lo, s3
                                        ; implicit-def: $vgpr168_vgpr169_vgpr170_vgpr171
	s_cbranch_execz .LBB123_499
; %bb.498:
	v_div_scale_f64 v[0:1], null, v[166:167], v[166:167], v[164:165]
	v_div_scale_f64 v[168:169], vcc_lo, v[164:165], v[166:167], v[164:165]
	s_delay_alu instid0(VALU_DEP_2) | instskip(SKIP_2) | instid1(VALU_DEP_1)
	v_rcp_f64_e32 v[4:5], v[0:1]
	s_waitcnt_depctr 0xfff
	v_fma_f64 v[6:7], -v[0:1], v[4:5], 1.0
	v_fma_f64 v[4:5], v[4:5], v[6:7], v[4:5]
	s_delay_alu instid0(VALU_DEP_1) | instskip(NEXT) | instid1(VALU_DEP_1)
	v_fma_f64 v[6:7], -v[0:1], v[4:5], 1.0
	v_fma_f64 v[4:5], v[4:5], v[6:7], v[4:5]
	s_delay_alu instid0(VALU_DEP_1) | instskip(NEXT) | instid1(VALU_DEP_1)
	v_mul_f64 v[6:7], v[168:169], v[4:5]
	v_fma_f64 v[0:1], -v[0:1], v[6:7], v[168:169]
	s_delay_alu instid0(VALU_DEP_1) | instskip(NEXT) | instid1(VALU_DEP_1)
	v_div_fmas_f64 v[0:1], v[0:1], v[4:5], v[6:7]
	v_div_fixup_f64 v[0:1], v[0:1], v[166:167], v[164:165]
	s_delay_alu instid0(VALU_DEP_1) | instskip(NEXT) | instid1(VALU_DEP_1)
	v_fma_f64 v[4:5], v[164:165], v[0:1], v[166:167]
	v_div_scale_f64 v[6:7], null, v[4:5], v[4:5], 1.0
	s_delay_alu instid0(VALU_DEP_1) | instskip(SKIP_2) | instid1(VALU_DEP_1)
	v_rcp_f64_e32 v[164:165], v[6:7]
	s_waitcnt_depctr 0xfff
	v_fma_f64 v[166:167], -v[6:7], v[164:165], 1.0
	v_fma_f64 v[164:165], v[164:165], v[166:167], v[164:165]
	s_delay_alu instid0(VALU_DEP_1) | instskip(NEXT) | instid1(VALU_DEP_1)
	v_fma_f64 v[166:167], -v[6:7], v[164:165], 1.0
	v_fma_f64 v[164:165], v[164:165], v[166:167], v[164:165]
	v_div_scale_f64 v[166:167], vcc_lo, 1.0, v[4:5], 1.0
	s_delay_alu instid0(VALU_DEP_1) | instskip(NEXT) | instid1(VALU_DEP_1)
	v_mul_f64 v[168:169], v[166:167], v[164:165]
	v_fma_f64 v[6:7], -v[6:7], v[168:169], v[166:167]
	s_delay_alu instid0(VALU_DEP_1) | instskip(NEXT) | instid1(VALU_DEP_1)
	v_div_fmas_f64 v[6:7], v[6:7], v[164:165], v[168:169]
                                        ; implicit-def: $vgpr164_vgpr165
	v_div_fixup_f64 v[170:171], v[6:7], v[4:5], 1.0
	s_delay_alu instid0(VALU_DEP_1)
	v_mul_f64 v[0:1], v[0:1], v[170:171]
	v_xor_b32_e32 v171, 0x80000000, v171
.LBB123_499:
	s_and_not1_saveexec_b32 s3, s3
	s_cbranch_execz .LBB123_501
; %bb.500:
	v_div_scale_f64 v[0:1], null, v[164:165], v[164:165], v[166:167]
	v_div_scale_f64 v[168:169], vcc_lo, v[166:167], v[164:165], v[166:167]
	s_delay_alu instid0(VALU_DEP_2) | instskip(SKIP_2) | instid1(VALU_DEP_1)
	v_rcp_f64_e32 v[4:5], v[0:1]
	s_waitcnt_depctr 0xfff
	v_fma_f64 v[6:7], -v[0:1], v[4:5], 1.0
	v_fma_f64 v[4:5], v[4:5], v[6:7], v[4:5]
	s_delay_alu instid0(VALU_DEP_1) | instskip(NEXT) | instid1(VALU_DEP_1)
	v_fma_f64 v[6:7], -v[0:1], v[4:5], 1.0
	v_fma_f64 v[4:5], v[4:5], v[6:7], v[4:5]
	s_delay_alu instid0(VALU_DEP_1) | instskip(NEXT) | instid1(VALU_DEP_1)
	v_mul_f64 v[6:7], v[168:169], v[4:5]
	v_fma_f64 v[0:1], -v[0:1], v[6:7], v[168:169]
	s_delay_alu instid0(VALU_DEP_1) | instskip(NEXT) | instid1(VALU_DEP_1)
	v_div_fmas_f64 v[0:1], v[0:1], v[4:5], v[6:7]
	v_div_fixup_f64 v[4:5], v[0:1], v[164:165], v[166:167]
	s_delay_alu instid0(VALU_DEP_1) | instskip(NEXT) | instid1(VALU_DEP_1)
	v_fma_f64 v[0:1], v[166:167], v[4:5], v[164:165]
	v_div_scale_f64 v[6:7], null, v[0:1], v[0:1], 1.0
	s_delay_alu instid0(VALU_DEP_1) | instskip(SKIP_2) | instid1(VALU_DEP_1)
	v_rcp_f64_e32 v[164:165], v[6:7]
	s_waitcnt_depctr 0xfff
	v_fma_f64 v[166:167], -v[6:7], v[164:165], 1.0
	v_fma_f64 v[164:165], v[164:165], v[166:167], v[164:165]
	s_delay_alu instid0(VALU_DEP_1) | instskip(NEXT) | instid1(VALU_DEP_1)
	v_fma_f64 v[166:167], -v[6:7], v[164:165], 1.0
	v_fma_f64 v[164:165], v[164:165], v[166:167], v[164:165]
	v_div_scale_f64 v[166:167], vcc_lo, 1.0, v[0:1], 1.0
	s_delay_alu instid0(VALU_DEP_1) | instskip(NEXT) | instid1(VALU_DEP_1)
	v_mul_f64 v[168:169], v[166:167], v[164:165]
	v_fma_f64 v[6:7], -v[6:7], v[168:169], v[166:167]
	s_delay_alu instid0(VALU_DEP_1) | instskip(NEXT) | instid1(VALU_DEP_1)
	v_div_fmas_f64 v[6:7], v[6:7], v[164:165], v[168:169]
	v_div_fixup_f64 v[0:1], v[6:7], v[0:1], 1.0
	s_delay_alu instid0(VALU_DEP_1)
	v_mul_f64 v[170:171], v[4:5], -v[0:1]
.LBB123_501:
	s_or_b32 exec_lo, exec_lo, s3
	ds_store_2addr_b64 v255, v[0:1], v[170:171] offset1:1
.LBB123_502:
	s_or_b32 exec_lo, exec_lo, s4
	s_waitcnt lgkmcnt(0)
	s_barrier
	buffer_gl0_inv
	ds_load_2addr_b64 v[164:167], v255 offset1:1
	s_mov_b32 s3, exec_lo
	v_cmpx_lt_u32_e32 41, v252
	s_cbranch_execz .LBB123_505
; %bb.503:
	scratch_load_b128 v[170:173], off, off offset:656
	s_mov_b32 s4, 0
	s_waitcnt vmcnt(0) lgkmcnt(0)
	v_mul_f64 v[0:1], v[166:167], v[172:173]
	s_delay_alu instid0(VALU_DEP_1) | instskip(SKIP_1) | instid1(VALU_DEP_1)
	v_fma_f64 v[168:169], v[164:165], v[170:171], -v[0:1]
	v_mul_f64 v[0:1], v[164:165], v[172:173]
	v_fma_f64 v[170:171], v[166:167], v[170:171], v[0:1]
	v_add3_u32 v0, v180, 0, 0x2a0
	v_mov_b32_e32 v1, 0
	scratch_store_b128 off, v[168:171], off offset:656
.LBB123_504:                            ; =>This Inner Loop Header: Depth=1
	v_add_nc_u32_e32 v176, s4, v0
	v_readfirstlane_b32 s5, v1
	ds_load_2addr_b64 v[172:175], v176 offset1:1
	s_add_i32 s5, s5, s4
	s_addk_i32 s4, 0x50
	s_add_i32 s6, s5, 0x2a0
	s_waitcnt lgkmcnt(0)
	v_mul_f64 v[4:5], v[174:175], v[170:171]
	v_mul_f64 v[6:7], v[172:173], v[170:171]
	s_delay_alu instid0(VALU_DEP_2) | instskip(NEXT) | instid1(VALU_DEP_2)
	v_fma_f64 v[4:5], v[172:173], v[168:169], -v[4:5]
	v_fma_f64 v[6:7], v[174:175], v[168:169], v[6:7]
	scratch_load_b128 v[172:175], off, s6
	s_waitcnt vmcnt(0)
	v_add_f64 v[172:173], v[172:173], -v[4:5]
	v_add_f64 v[174:175], v[174:175], -v[6:7]
	scratch_store_b128 off, v[172:175], s6
	ds_load_2addr_b64 v[172:175], v176 offset0:2 offset1:3
	s_add_i32 s6, s5, 0x2b0
	s_waitcnt lgkmcnt(0)
	v_mul_f64 v[4:5], v[174:175], v[170:171]
	v_mul_f64 v[6:7], v[172:173], v[170:171]
	s_delay_alu instid0(VALU_DEP_2) | instskip(NEXT) | instid1(VALU_DEP_2)
	v_fma_f64 v[4:5], v[172:173], v[168:169], -v[4:5]
	v_fma_f64 v[6:7], v[174:175], v[168:169], v[6:7]
	scratch_load_b128 v[172:175], off, s6
	s_waitcnt vmcnt(0)
	v_add_f64 v[172:173], v[172:173], -v[4:5]
	v_add_f64 v[174:175], v[174:175], -v[6:7]
	scratch_store_b128 off, v[172:175], s6
	ds_load_2addr_b64 v[172:175], v176 offset0:4 offset1:5
	;; [unrolled: 13-line block ×3, first 2 shown]
	s_add_i32 s6, s5, 0x2d0
	s_addk_i32 s5, 0x2e0
	s_cmpk_lg_i32 s4, 0x140
	s_waitcnt lgkmcnt(0)
	v_mul_f64 v[4:5], v[174:175], v[170:171]
	v_mul_f64 v[6:7], v[172:173], v[170:171]
	s_delay_alu instid0(VALU_DEP_2) | instskip(NEXT) | instid1(VALU_DEP_2)
	v_fma_f64 v[4:5], v[172:173], v[168:169], -v[4:5]
	v_fma_f64 v[6:7], v[174:175], v[168:169], v[6:7]
	scratch_load_b128 v[172:175], off, s6
	s_waitcnt vmcnt(0)
	v_add_f64 v[172:173], v[172:173], -v[4:5]
	v_add_f64 v[174:175], v[174:175], -v[6:7]
	scratch_store_b128 off, v[172:175], s6
	ds_load_2addr_b64 v[172:175], v176 offset0:8 offset1:9
	s_waitcnt lgkmcnt(0)
	v_mul_f64 v[4:5], v[174:175], v[170:171]
	v_mul_f64 v[6:7], v[172:173], v[170:171]
	s_delay_alu instid0(VALU_DEP_2) | instskip(NEXT) | instid1(VALU_DEP_2)
	v_fma_f64 v[4:5], v[172:173], v[168:169], -v[4:5]
	v_fma_f64 v[6:7], v[174:175], v[168:169], v[6:7]
	scratch_load_b128 v[172:175], off, s5
	s_waitcnt vmcnt(0)
	v_add_f64 v[172:173], v[172:173], -v[4:5]
	v_add_f64 v[174:175], v[174:175], -v[6:7]
	scratch_store_b128 off, v[172:175], s5
	s_cbranch_scc1 .LBB123_504
.LBB123_505:
	s_or_b32 exec_lo, exec_lo, s3
	s_delay_alu instid0(SALU_CYCLE_1)
	s_mov_b32 s4, exec_lo
	s_waitcnt lgkmcnt(0)
	s_waitcnt_vscnt null, 0x0
	s_barrier
	buffer_gl0_inv
	v_cmpx_eq_u32_e32 42, v252
	s_cbranch_execz .LBB123_512
; %bb.506:
	scratch_load_b32 v0, off, off offset:1048 ; 4-byte Folded Reload
	s_waitcnt vmcnt(0)
	scratch_load_b128 v[168:171], v0, off
	scratch_load_b32 v0, off, off offset:1044 ; 4-byte Folded Reload
	s_waitcnt vmcnt(1)
	ds_store_2addr_b64 v255, v[168:169], v[170:171] offset1:1
	s_waitcnt vmcnt(0)
	scratch_load_b128 v[168:171], v0, off
	scratch_load_b32 v0, off, off offset:1040 ; 4-byte Folded Reload
	s_waitcnt vmcnt(1)
	ds_store_2addr_b64 v248, v[168:169], v[170:171] offset0:86 offset1:87
	s_waitcnt vmcnt(0)
	scratch_load_b128 v[168:171], v0, off
	scratch_load_b32 v0, off, off offset:1036 ; 4-byte Folded Reload
	s_waitcnt vmcnt(1)
	ds_store_2addr_b64 v248, v[168:169], v[170:171] offset0:88 offset1:89
	;; [unrolled: 5-line block ×13, first 2 shown]
	s_waitcnt vmcnt(0)
	scratch_load_b128 v[168:171], v0, off
	s_waitcnt vmcnt(0)
	ds_store_2addr_b64 v248, v[168:169], v[170:171] offset0:112 offset1:113
	scratch_load_b128 v[168:171], v249, off
	s_waitcnt vmcnt(0)
	ds_store_2addr_b64 v248, v[168:169], v[170:171] offset0:114 offset1:115
	;; [unrolled: 3-line block ×6, first 2 shown]
	ds_load_2addr_b64 v[168:171], v255 offset1:1
	s_waitcnt lgkmcnt(0)
	v_cmp_neq_f64_e32 vcc_lo, 0, v[168:169]
	v_cmp_neq_f64_e64 s3, 0, v[170:171]
	s_delay_alu instid0(VALU_DEP_1) | instskip(NEXT) | instid1(SALU_CYCLE_1)
	s_or_b32 s3, vcc_lo, s3
	s_and_b32 exec_lo, exec_lo, s3
	s_cbranch_execz .LBB123_512
; %bb.507:
	v_cmp_gt_f64_e32 vcc_lo, 0, v[168:169]
	v_xor_b32_e32 v0, 0x80000000, v169
	v_xor_b32_e32 v4, 0x80000000, v171
	s_delay_alu instid0(VALU_DEP_2) | instskip(SKIP_2) | instid1(VALU_DEP_4)
	v_cndmask_b32_e32 v1, v169, v0, vcc_lo
	v_cndmask_b32_e32 v0, v168, v168, vcc_lo
	v_cmp_gt_f64_e32 vcc_lo, 0, v[170:171]
	v_dual_cndmask_b32 v5, v171, v4 :: v_dual_cndmask_b32 v4, v170, v170
	s_delay_alu instid0(VALU_DEP_1) | instskip(SKIP_1) | instid1(SALU_CYCLE_1)
	v_cmp_ngt_f64_e32 vcc_lo, v[0:1], v[4:5]
                                        ; implicit-def: $vgpr0_vgpr1
	s_and_saveexec_b32 s3, vcc_lo
	s_xor_b32 s3, exec_lo, s3
                                        ; implicit-def: $vgpr172_vgpr173_vgpr174_vgpr175
	s_cbranch_execz .LBB123_509
; %bb.508:
	v_div_scale_f64 v[0:1], null, v[170:171], v[170:171], v[168:169]
	v_div_scale_f64 v[172:173], vcc_lo, v[168:169], v[170:171], v[168:169]
	s_delay_alu instid0(VALU_DEP_2) | instskip(SKIP_2) | instid1(VALU_DEP_1)
	v_rcp_f64_e32 v[4:5], v[0:1]
	s_waitcnt_depctr 0xfff
	v_fma_f64 v[6:7], -v[0:1], v[4:5], 1.0
	v_fma_f64 v[4:5], v[4:5], v[6:7], v[4:5]
	s_delay_alu instid0(VALU_DEP_1) | instskip(NEXT) | instid1(VALU_DEP_1)
	v_fma_f64 v[6:7], -v[0:1], v[4:5], 1.0
	v_fma_f64 v[4:5], v[4:5], v[6:7], v[4:5]
	s_delay_alu instid0(VALU_DEP_1) | instskip(NEXT) | instid1(VALU_DEP_1)
	v_mul_f64 v[6:7], v[172:173], v[4:5]
	v_fma_f64 v[0:1], -v[0:1], v[6:7], v[172:173]
	s_delay_alu instid0(VALU_DEP_1) | instskip(NEXT) | instid1(VALU_DEP_1)
	v_div_fmas_f64 v[0:1], v[0:1], v[4:5], v[6:7]
	v_div_fixup_f64 v[0:1], v[0:1], v[170:171], v[168:169]
	s_delay_alu instid0(VALU_DEP_1) | instskip(NEXT) | instid1(VALU_DEP_1)
	v_fma_f64 v[4:5], v[168:169], v[0:1], v[170:171]
	v_div_scale_f64 v[6:7], null, v[4:5], v[4:5], 1.0
	s_delay_alu instid0(VALU_DEP_1) | instskip(SKIP_2) | instid1(VALU_DEP_1)
	v_rcp_f64_e32 v[168:169], v[6:7]
	s_waitcnt_depctr 0xfff
	v_fma_f64 v[170:171], -v[6:7], v[168:169], 1.0
	v_fma_f64 v[168:169], v[168:169], v[170:171], v[168:169]
	s_delay_alu instid0(VALU_DEP_1) | instskip(NEXT) | instid1(VALU_DEP_1)
	v_fma_f64 v[170:171], -v[6:7], v[168:169], 1.0
	v_fma_f64 v[168:169], v[168:169], v[170:171], v[168:169]
	v_div_scale_f64 v[170:171], vcc_lo, 1.0, v[4:5], 1.0
	s_delay_alu instid0(VALU_DEP_1) | instskip(NEXT) | instid1(VALU_DEP_1)
	v_mul_f64 v[172:173], v[170:171], v[168:169]
	v_fma_f64 v[6:7], -v[6:7], v[172:173], v[170:171]
	s_delay_alu instid0(VALU_DEP_1) | instskip(NEXT) | instid1(VALU_DEP_1)
	v_div_fmas_f64 v[6:7], v[6:7], v[168:169], v[172:173]
                                        ; implicit-def: $vgpr168_vgpr169
	v_div_fixup_f64 v[174:175], v[6:7], v[4:5], 1.0
	s_delay_alu instid0(VALU_DEP_1)
	v_mul_f64 v[0:1], v[0:1], v[174:175]
	v_xor_b32_e32 v175, 0x80000000, v175
.LBB123_509:
	s_and_not1_saveexec_b32 s3, s3
	s_cbranch_execz .LBB123_511
; %bb.510:
	v_div_scale_f64 v[0:1], null, v[168:169], v[168:169], v[170:171]
	v_div_scale_f64 v[172:173], vcc_lo, v[170:171], v[168:169], v[170:171]
	s_delay_alu instid0(VALU_DEP_2) | instskip(SKIP_2) | instid1(VALU_DEP_1)
	v_rcp_f64_e32 v[4:5], v[0:1]
	s_waitcnt_depctr 0xfff
	v_fma_f64 v[6:7], -v[0:1], v[4:5], 1.0
	v_fma_f64 v[4:5], v[4:5], v[6:7], v[4:5]
	s_delay_alu instid0(VALU_DEP_1) | instskip(NEXT) | instid1(VALU_DEP_1)
	v_fma_f64 v[6:7], -v[0:1], v[4:5], 1.0
	v_fma_f64 v[4:5], v[4:5], v[6:7], v[4:5]
	s_delay_alu instid0(VALU_DEP_1) | instskip(NEXT) | instid1(VALU_DEP_1)
	v_mul_f64 v[6:7], v[172:173], v[4:5]
	v_fma_f64 v[0:1], -v[0:1], v[6:7], v[172:173]
	s_delay_alu instid0(VALU_DEP_1) | instskip(NEXT) | instid1(VALU_DEP_1)
	v_div_fmas_f64 v[0:1], v[0:1], v[4:5], v[6:7]
	v_div_fixup_f64 v[4:5], v[0:1], v[168:169], v[170:171]
	s_delay_alu instid0(VALU_DEP_1) | instskip(NEXT) | instid1(VALU_DEP_1)
	v_fma_f64 v[0:1], v[170:171], v[4:5], v[168:169]
	v_div_scale_f64 v[6:7], null, v[0:1], v[0:1], 1.0
	s_delay_alu instid0(VALU_DEP_1) | instskip(SKIP_2) | instid1(VALU_DEP_1)
	v_rcp_f64_e32 v[168:169], v[6:7]
	s_waitcnt_depctr 0xfff
	v_fma_f64 v[170:171], -v[6:7], v[168:169], 1.0
	v_fma_f64 v[168:169], v[168:169], v[170:171], v[168:169]
	s_delay_alu instid0(VALU_DEP_1) | instskip(NEXT) | instid1(VALU_DEP_1)
	v_fma_f64 v[170:171], -v[6:7], v[168:169], 1.0
	v_fma_f64 v[168:169], v[168:169], v[170:171], v[168:169]
	v_div_scale_f64 v[170:171], vcc_lo, 1.0, v[0:1], 1.0
	s_delay_alu instid0(VALU_DEP_1) | instskip(NEXT) | instid1(VALU_DEP_1)
	v_mul_f64 v[172:173], v[170:171], v[168:169]
	v_fma_f64 v[6:7], -v[6:7], v[172:173], v[170:171]
	s_delay_alu instid0(VALU_DEP_1) | instskip(NEXT) | instid1(VALU_DEP_1)
	v_div_fmas_f64 v[6:7], v[6:7], v[168:169], v[172:173]
	v_div_fixup_f64 v[0:1], v[6:7], v[0:1], 1.0
	s_delay_alu instid0(VALU_DEP_1)
	v_mul_f64 v[174:175], v[4:5], -v[0:1]
.LBB123_511:
	s_or_b32 exec_lo, exec_lo, s3
	ds_store_2addr_b64 v255, v[0:1], v[174:175] offset1:1
.LBB123_512:
	s_or_b32 exec_lo, exec_lo, s4
	s_waitcnt lgkmcnt(0)
	s_barrier
	buffer_gl0_inv
	ds_load_2addr_b64 v[168:171], v255 offset1:1
	s_mov_b32 s3, exec_lo
	v_cmpx_lt_u32_e32 42, v252
	s_cbranch_execz .LBB123_517
; %bb.513:
	scratch_load_b128 v[174:177], off, off offset:672
	s_mov_b32 s4, 0
	s_waitcnt vmcnt(0) lgkmcnt(0)
	v_mul_f64 v[0:1], v[170:171], v[176:177]
	s_delay_alu instid0(VALU_DEP_1) | instskip(SKIP_1) | instid1(VALU_DEP_1)
	v_fma_f64 v[172:173], v[168:169], v[174:175], -v[0:1]
	v_mul_f64 v[0:1], v[168:169], v[176:177]
	v_fma_f64 v[174:175], v[170:171], v[174:175], v[0:1]
	v_add3_u32 v0, v180, 0, 0x2b0
	v_mov_b32_e32 v1, 0
	scratch_store_b128 off, v[172:175], off offset:672
	s_branch .LBB123_515
.LBB123_514:                            ;   in Loop: Header=BB123_515 Depth=1
	s_and_not1_b32 vcc_lo, exec_lo, s6
	s_cbranch_vccz .LBB123_517
.LBB123_515:                            ; =>This Inner Loop Header: Depth=1
	v_add_nc_u32_e32 v176, s4, v0
	v_readfirstlane_b32 s5, v1
	ds_load_2addr_b64 v[181:184], v176 offset1:1
	s_add_i32 s5, s5, s4
	s_delay_alu instid0(SALU_CYCLE_1) | instskip(SKIP_3) | instid1(VALU_DEP_2)
	s_add_i32 s6, s5, 0x2b0
	s_waitcnt lgkmcnt(0)
	v_mul_f64 v[4:5], v[183:184], v[174:175]
	v_mul_f64 v[6:7], v[181:182], v[174:175]
	v_fma_f64 v[4:5], v[181:182], v[172:173], -v[4:5]
	s_delay_alu instid0(VALU_DEP_2)
	v_fma_f64 v[6:7], v[183:184], v[172:173], v[6:7]
	scratch_load_b128 v[181:184], off, s6
	s_waitcnt vmcnt(0)
	v_add_f64 v[181:182], v[181:182], -v[4:5]
	v_add_f64 v[183:184], v[183:184], -v[6:7]
	scratch_store_b128 off, v[181:184], s6
	ds_load_2addr_b64 v[181:184], v176 offset0:2 offset1:3
	s_add_i32 s6, s5, 0x2c0
	s_waitcnt lgkmcnt(0)
	v_mul_f64 v[4:5], v[183:184], v[174:175]
	v_mul_f64 v[6:7], v[181:182], v[174:175]
	s_delay_alu instid0(VALU_DEP_2) | instskip(NEXT) | instid1(VALU_DEP_2)
	v_fma_f64 v[4:5], v[181:182], v[172:173], -v[4:5]
	v_fma_f64 v[6:7], v[183:184], v[172:173], v[6:7]
	scratch_load_b128 v[181:184], off, s6
	s_waitcnt vmcnt(0)
	v_add_f64 v[181:182], v[181:182], -v[4:5]
	v_add_f64 v[183:184], v[183:184], -v[6:7]
	scratch_store_b128 off, v[181:184], s6
	ds_load_2addr_b64 v[181:184], v176 offset0:4 offset1:5
	s_add_i32 s6, s5, 0x2d0
	s_cmpk_eq_i32 s4, 0x100
	s_waitcnt lgkmcnt(0)
	v_mul_f64 v[4:5], v[183:184], v[174:175]
	v_mul_f64 v[6:7], v[181:182], v[174:175]
	s_delay_alu instid0(VALU_DEP_2) | instskip(NEXT) | instid1(VALU_DEP_2)
	v_fma_f64 v[4:5], v[181:182], v[172:173], -v[4:5]
	v_fma_f64 v[6:7], v[183:184], v[172:173], v[6:7]
	scratch_load_b128 v[181:184], off, s6
	s_waitcnt vmcnt(0)
	v_add_f64 v[181:182], v[181:182], -v[4:5]
	v_add_f64 v[183:184], v[183:184], -v[6:7]
	scratch_store_b128 off, v[181:184], s6
	s_mov_b32 s6, -1
	s_cbranch_scc1 .LBB123_514
; %bb.516:                              ;   in Loop: Header=BB123_515 Depth=1
	ds_load_2addr_b64 v[176:179], v176 offset0:6 offset1:7
	s_addk_i32 s5, 0x2e0
	s_add_i32 s4, s4, 64
	s_mov_b32 s6, 0
	s_waitcnt lgkmcnt(0)
	v_mul_f64 v[4:5], v[178:179], v[174:175]
	v_mul_f64 v[6:7], v[176:177], v[174:175]
	s_delay_alu instid0(VALU_DEP_2) | instskip(NEXT) | instid1(VALU_DEP_2)
	v_fma_f64 v[4:5], v[176:177], v[172:173], -v[4:5]
	v_fma_f64 v[6:7], v[178:179], v[172:173], v[6:7]
	scratch_load_b128 v[176:179], off, s5
	s_waitcnt vmcnt(0)
	v_add_f64 v[176:177], v[176:177], -v[4:5]
	v_add_f64 v[178:179], v[178:179], -v[6:7]
	scratch_store_b128 off, v[176:179], s5
	s_branch .LBB123_514
.LBB123_517:
	s_or_b32 exec_lo, exec_lo, s3
	s_delay_alu instid0(SALU_CYCLE_1)
	s_mov_b32 s4, exec_lo
	s_waitcnt lgkmcnt(0)
	s_waitcnt_vscnt null, 0x0
	s_barrier
	buffer_gl0_inv
	v_cmpx_eq_u32_e32 43, v252
	s_cbranch_execz .LBB123_524
; %bb.518:
	scratch_load_b32 v0, off, off offset:1044 ; 4-byte Folded Reload
	s_waitcnt vmcnt(0)
	scratch_load_b128 v[172:175], v0, off
	scratch_load_b32 v0, off, off offset:1040 ; 4-byte Folded Reload
	s_waitcnt vmcnt(1)
	ds_store_2addr_b64 v255, v[172:173], v[174:175] offset1:1
	s_waitcnt vmcnt(0)
	scratch_load_b128 v[172:175], v0, off
	scratch_load_b32 v0, off, off offset:1036 ; 4-byte Folded Reload
	s_waitcnt vmcnt(1)
	ds_store_2addr_b64 v248, v[172:173], v[174:175] offset0:88 offset1:89
	s_waitcnt vmcnt(0)
	scratch_load_b128 v[172:175], v0, off
	scratch_load_b32 v0, off, off offset:1032 ; 4-byte Folded Reload
	s_waitcnt vmcnt(1)
	ds_store_2addr_b64 v248, v[172:173], v[174:175] offset0:90 offset1:91
	;; [unrolled: 5-line block ×12, first 2 shown]
	s_waitcnt vmcnt(0)
	scratch_load_b128 v[172:175], v0, off
	s_waitcnt vmcnt(0)
	ds_store_2addr_b64 v248, v[172:173], v[174:175] offset0:112 offset1:113
	scratch_load_b128 v[172:175], v249, off
	s_waitcnt vmcnt(0)
	ds_store_2addr_b64 v248, v[172:173], v[174:175] offset0:114 offset1:115
	;; [unrolled: 3-line block ×6, first 2 shown]
	ds_load_2addr_b64 v[172:175], v255 offset1:1
	s_waitcnt lgkmcnt(0)
	v_cmp_neq_f64_e32 vcc_lo, 0, v[172:173]
	v_cmp_neq_f64_e64 s3, 0, v[174:175]
	s_delay_alu instid0(VALU_DEP_1) | instskip(NEXT) | instid1(SALU_CYCLE_1)
	s_or_b32 s3, vcc_lo, s3
	s_and_b32 exec_lo, exec_lo, s3
	s_cbranch_execz .LBB123_524
; %bb.519:
	v_cmp_gt_f64_e32 vcc_lo, 0, v[172:173]
	v_xor_b32_e32 v0, 0x80000000, v173
	v_xor_b32_e32 v4, 0x80000000, v175
	s_delay_alu instid0(VALU_DEP_2) | instskip(SKIP_2) | instid1(VALU_DEP_4)
	v_cndmask_b32_e32 v1, v173, v0, vcc_lo
	v_cndmask_b32_e32 v0, v172, v172, vcc_lo
	v_cmp_gt_f64_e32 vcc_lo, 0, v[174:175]
	v_dual_cndmask_b32 v5, v175, v4 :: v_dual_cndmask_b32 v4, v174, v174
	s_delay_alu instid0(VALU_DEP_1) | instskip(SKIP_1) | instid1(SALU_CYCLE_1)
	v_cmp_ngt_f64_e32 vcc_lo, v[0:1], v[4:5]
                                        ; implicit-def: $vgpr0_vgpr1
	s_and_saveexec_b32 s3, vcc_lo
	s_xor_b32 s3, exec_lo, s3
                                        ; implicit-def: $vgpr176_vgpr177_vgpr178_vgpr179
	s_cbranch_execz .LBB123_521
; %bb.520:
	v_div_scale_f64 v[0:1], null, v[174:175], v[174:175], v[172:173]
	v_div_scale_f64 v[176:177], vcc_lo, v[172:173], v[174:175], v[172:173]
	s_delay_alu instid0(VALU_DEP_2) | instskip(SKIP_2) | instid1(VALU_DEP_1)
	v_rcp_f64_e32 v[4:5], v[0:1]
	s_waitcnt_depctr 0xfff
	v_fma_f64 v[6:7], -v[0:1], v[4:5], 1.0
	v_fma_f64 v[4:5], v[4:5], v[6:7], v[4:5]
	s_delay_alu instid0(VALU_DEP_1) | instskip(NEXT) | instid1(VALU_DEP_1)
	v_fma_f64 v[6:7], -v[0:1], v[4:5], 1.0
	v_fma_f64 v[4:5], v[4:5], v[6:7], v[4:5]
	s_delay_alu instid0(VALU_DEP_1) | instskip(NEXT) | instid1(VALU_DEP_1)
	v_mul_f64 v[6:7], v[176:177], v[4:5]
	v_fma_f64 v[0:1], -v[0:1], v[6:7], v[176:177]
	s_delay_alu instid0(VALU_DEP_1) | instskip(NEXT) | instid1(VALU_DEP_1)
	v_div_fmas_f64 v[0:1], v[0:1], v[4:5], v[6:7]
	v_div_fixup_f64 v[0:1], v[0:1], v[174:175], v[172:173]
	s_delay_alu instid0(VALU_DEP_1) | instskip(NEXT) | instid1(VALU_DEP_1)
	v_fma_f64 v[4:5], v[172:173], v[0:1], v[174:175]
	v_div_scale_f64 v[6:7], null, v[4:5], v[4:5], 1.0
	s_delay_alu instid0(VALU_DEP_1) | instskip(SKIP_2) | instid1(VALU_DEP_1)
	v_rcp_f64_e32 v[172:173], v[6:7]
	s_waitcnt_depctr 0xfff
	v_fma_f64 v[174:175], -v[6:7], v[172:173], 1.0
	v_fma_f64 v[172:173], v[172:173], v[174:175], v[172:173]
	s_delay_alu instid0(VALU_DEP_1) | instskip(NEXT) | instid1(VALU_DEP_1)
	v_fma_f64 v[174:175], -v[6:7], v[172:173], 1.0
	v_fma_f64 v[172:173], v[172:173], v[174:175], v[172:173]
	v_div_scale_f64 v[174:175], vcc_lo, 1.0, v[4:5], 1.0
	s_delay_alu instid0(VALU_DEP_1) | instskip(NEXT) | instid1(VALU_DEP_1)
	v_mul_f64 v[176:177], v[174:175], v[172:173]
	v_fma_f64 v[6:7], -v[6:7], v[176:177], v[174:175]
	s_delay_alu instid0(VALU_DEP_1) | instskip(NEXT) | instid1(VALU_DEP_1)
	v_div_fmas_f64 v[6:7], v[6:7], v[172:173], v[176:177]
                                        ; implicit-def: $vgpr172_vgpr173
	v_div_fixup_f64 v[178:179], v[6:7], v[4:5], 1.0
	s_delay_alu instid0(VALU_DEP_1)
	v_mul_f64 v[0:1], v[0:1], v[178:179]
	v_xor_b32_e32 v179, 0x80000000, v179
.LBB123_521:
	s_and_not1_saveexec_b32 s3, s3
	s_cbranch_execz .LBB123_523
; %bb.522:
	v_div_scale_f64 v[0:1], null, v[172:173], v[172:173], v[174:175]
	v_div_scale_f64 v[176:177], vcc_lo, v[174:175], v[172:173], v[174:175]
	s_delay_alu instid0(VALU_DEP_2) | instskip(SKIP_2) | instid1(VALU_DEP_1)
	v_rcp_f64_e32 v[4:5], v[0:1]
	s_waitcnt_depctr 0xfff
	v_fma_f64 v[6:7], -v[0:1], v[4:5], 1.0
	v_fma_f64 v[4:5], v[4:5], v[6:7], v[4:5]
	s_delay_alu instid0(VALU_DEP_1) | instskip(NEXT) | instid1(VALU_DEP_1)
	v_fma_f64 v[6:7], -v[0:1], v[4:5], 1.0
	v_fma_f64 v[4:5], v[4:5], v[6:7], v[4:5]
	s_delay_alu instid0(VALU_DEP_1) | instskip(NEXT) | instid1(VALU_DEP_1)
	v_mul_f64 v[6:7], v[176:177], v[4:5]
	v_fma_f64 v[0:1], -v[0:1], v[6:7], v[176:177]
	s_delay_alu instid0(VALU_DEP_1) | instskip(NEXT) | instid1(VALU_DEP_1)
	v_div_fmas_f64 v[0:1], v[0:1], v[4:5], v[6:7]
	v_div_fixup_f64 v[4:5], v[0:1], v[172:173], v[174:175]
	s_delay_alu instid0(VALU_DEP_1) | instskip(NEXT) | instid1(VALU_DEP_1)
	v_fma_f64 v[0:1], v[174:175], v[4:5], v[172:173]
	v_div_scale_f64 v[6:7], null, v[0:1], v[0:1], 1.0
	s_delay_alu instid0(VALU_DEP_1) | instskip(SKIP_2) | instid1(VALU_DEP_1)
	v_rcp_f64_e32 v[172:173], v[6:7]
	s_waitcnt_depctr 0xfff
	v_fma_f64 v[174:175], -v[6:7], v[172:173], 1.0
	v_fma_f64 v[172:173], v[172:173], v[174:175], v[172:173]
	s_delay_alu instid0(VALU_DEP_1) | instskip(NEXT) | instid1(VALU_DEP_1)
	v_fma_f64 v[174:175], -v[6:7], v[172:173], 1.0
	v_fma_f64 v[172:173], v[172:173], v[174:175], v[172:173]
	v_div_scale_f64 v[174:175], vcc_lo, 1.0, v[0:1], 1.0
	s_delay_alu instid0(VALU_DEP_1) | instskip(NEXT) | instid1(VALU_DEP_1)
	v_mul_f64 v[176:177], v[174:175], v[172:173]
	v_fma_f64 v[6:7], -v[6:7], v[176:177], v[174:175]
	s_delay_alu instid0(VALU_DEP_1) | instskip(NEXT) | instid1(VALU_DEP_1)
	v_div_fmas_f64 v[6:7], v[6:7], v[172:173], v[176:177]
	v_div_fixup_f64 v[0:1], v[6:7], v[0:1], 1.0
	s_delay_alu instid0(VALU_DEP_1)
	v_mul_f64 v[178:179], v[4:5], -v[0:1]
.LBB123_523:
	s_or_b32 exec_lo, exec_lo, s3
	ds_store_2addr_b64 v255, v[0:1], v[178:179] offset1:1
.LBB123_524:
	s_or_b32 exec_lo, exec_lo, s4
	s_waitcnt lgkmcnt(0)
	s_barrier
	buffer_gl0_inv
	ds_load_2addr_b64 v[172:175], v255 offset1:1
	s_mov_b32 s3, exec_lo
	v_cmpx_lt_u32_e32 43, v252
	s_cbranch_execz .LBB123_527
; %bb.525:
	scratch_load_b128 v[181:184], off, off offset:688
	s_mov_b32 s4, 0
	s_waitcnt vmcnt(0) lgkmcnt(0)
	v_mul_f64 v[0:1], v[174:175], v[183:184]
	s_delay_alu instid0(VALU_DEP_1) | instskip(SKIP_1) | instid1(VALU_DEP_1)
	v_fma_f64 v[176:177], v[172:173], v[181:182], -v[0:1]
	v_mul_f64 v[0:1], v[172:173], v[183:184]
	v_fma_f64 v[178:179], v[174:175], v[181:182], v[0:1]
	v_add3_u32 v0, v180, 0, 0x2c0
	v_mov_b32_e32 v1, 0
	scratch_store_b128 off, v[176:179], off offset:688
.LBB123_526:                            ; =>This Inner Loop Header: Depth=1
	v_add_nc_u32_e32 v184, s4, v0
	v_readfirstlane_b32 s5, v1
	ds_load_2addr_b64 v[180:183], v184 offset1:1
	s_add_i32 s5, s5, s4
	s_addk_i32 s4, 0x60
	s_add_i32 s6, s5, 0x2c0
	s_waitcnt lgkmcnt(0)
	v_mul_f64 v[4:5], v[182:183], v[178:179]
	v_mul_f64 v[6:7], v[180:181], v[178:179]
	s_delay_alu instid0(VALU_DEP_2) | instskip(NEXT) | instid1(VALU_DEP_2)
	v_fma_f64 v[4:5], v[180:181], v[176:177], -v[4:5]
	v_fma_f64 v[6:7], v[182:183], v[176:177], v[6:7]
	scratch_load_b128 v[180:183], off, s6
	s_waitcnt vmcnt(0)
	v_add_f64 v[180:181], v[180:181], -v[4:5]
	v_add_f64 v[182:183], v[182:183], -v[6:7]
	scratch_store_b128 off, v[180:183], s6
	ds_load_2addr_b64 v[180:183], v184 offset0:2 offset1:3
	s_add_i32 s6, s5, 0x2d0
	s_waitcnt lgkmcnt(0)
	v_mul_f64 v[4:5], v[182:183], v[178:179]
	v_mul_f64 v[6:7], v[180:181], v[178:179]
	s_delay_alu instid0(VALU_DEP_2) | instskip(NEXT) | instid1(VALU_DEP_2)
	v_fma_f64 v[4:5], v[180:181], v[176:177], -v[4:5]
	v_fma_f64 v[6:7], v[182:183], v[176:177], v[6:7]
	scratch_load_b128 v[180:183], off, s6
	s_waitcnt vmcnt(0)
	v_add_f64 v[180:181], v[180:181], -v[4:5]
	v_add_f64 v[182:183], v[182:183], -v[6:7]
	scratch_store_b128 off, v[180:183], s6
	ds_load_2addr_b64 v[180:183], v184 offset0:4 offset1:5
	;; [unrolled: 13-line block ×4, first 2 shown]
	s_add_i32 s6, s5, 0x300
	s_addk_i32 s5, 0x310
	s_cmpk_lg_i32 s4, 0x120
	s_waitcnt lgkmcnt(0)
	v_mul_f64 v[4:5], v[182:183], v[178:179]
	v_mul_f64 v[6:7], v[180:181], v[178:179]
	s_delay_alu instid0(VALU_DEP_2) | instskip(NEXT) | instid1(VALU_DEP_2)
	v_fma_f64 v[4:5], v[180:181], v[176:177], -v[4:5]
	v_fma_f64 v[6:7], v[182:183], v[176:177], v[6:7]
	scratch_load_b128 v[180:183], off, s6
	s_waitcnt vmcnt(0)
	v_add_f64 v[180:181], v[180:181], -v[4:5]
	v_add_f64 v[182:183], v[182:183], -v[6:7]
	scratch_store_b128 off, v[180:183], s6
	ds_load_2addr_b64 v[180:183], v184 offset0:10 offset1:11
	s_waitcnt lgkmcnt(0)
	v_mul_f64 v[4:5], v[182:183], v[178:179]
	v_mul_f64 v[6:7], v[180:181], v[178:179]
	s_delay_alu instid0(VALU_DEP_2) | instskip(NEXT) | instid1(VALU_DEP_2)
	v_fma_f64 v[4:5], v[180:181], v[176:177], -v[4:5]
	v_fma_f64 v[6:7], v[182:183], v[176:177], v[6:7]
	scratch_load_b128 v[180:183], off, s5
	s_waitcnt vmcnt(0)
	v_add_f64 v[180:181], v[180:181], -v[4:5]
	v_add_f64 v[182:183], v[182:183], -v[6:7]
	scratch_store_b128 off, v[180:183], s5
	s_cbranch_scc1 .LBB123_526
.LBB123_527:
	s_or_b32 exec_lo, exec_lo, s3
	s_delay_alu instid0(SALU_CYCLE_1)
	s_mov_b32 s4, exec_lo
	s_waitcnt lgkmcnt(0)
	s_waitcnt_vscnt null, 0x0
	s_barrier
	buffer_gl0_inv
	v_cmpx_eq_u32_e32 44, v252
	s_cbranch_execz .LBB123_534
; %bb.528:
	scratch_load_b32 v0, off, off offset:1040 ; 4-byte Folded Reload
	s_waitcnt vmcnt(0)
	scratch_load_b128 v[176:179], v0, off
	scratch_load_b32 v0, off, off offset:1036 ; 4-byte Folded Reload
	s_waitcnt vmcnt(1)
	ds_store_2addr_b64 v255, v[176:177], v[178:179] offset1:1
	s_waitcnt vmcnt(0)
	scratch_load_b128 v[176:179], v0, off
	scratch_load_b32 v0, off, off offset:1032 ; 4-byte Folded Reload
	s_waitcnt vmcnt(1)
	ds_store_2addr_b64 v248, v[176:177], v[178:179] offset0:90 offset1:91
	s_waitcnt vmcnt(0)
	scratch_load_b128 v[176:179], v0, off
	scratch_load_b32 v0, off, off offset:1028 ; 4-byte Folded Reload
	s_waitcnt vmcnt(1)
	ds_store_2addr_b64 v248, v[176:177], v[178:179] offset0:92 offset1:93
	;; [unrolled: 5-line block ×11, first 2 shown]
	s_waitcnt vmcnt(0)
	scratch_load_b128 v[176:179], v0, off
	s_waitcnt vmcnt(0)
	ds_store_2addr_b64 v248, v[176:177], v[178:179] offset0:112 offset1:113
	scratch_load_b128 v[176:179], v249, off
	s_waitcnt vmcnt(0)
	ds_store_2addr_b64 v248, v[176:177], v[178:179] offset0:114 offset1:115
	;; [unrolled: 3-line block ×6, first 2 shown]
	ds_load_2addr_b64 v[176:179], v255 offset1:1
	s_waitcnt lgkmcnt(0)
	v_cmp_neq_f64_e32 vcc_lo, 0, v[176:177]
	v_cmp_neq_f64_e64 s3, 0, v[178:179]
	s_delay_alu instid0(VALU_DEP_1) | instskip(NEXT) | instid1(SALU_CYCLE_1)
	s_or_b32 s3, vcc_lo, s3
	s_and_b32 exec_lo, exec_lo, s3
	s_cbranch_execz .LBB123_534
; %bb.529:
	v_cmp_gt_f64_e32 vcc_lo, 0, v[176:177]
	v_xor_b32_e32 v0, 0x80000000, v177
	v_xor_b32_e32 v4, 0x80000000, v179
	s_delay_alu instid0(VALU_DEP_2) | instskip(SKIP_2) | instid1(VALU_DEP_4)
	v_cndmask_b32_e32 v1, v177, v0, vcc_lo
	v_cndmask_b32_e32 v0, v176, v176, vcc_lo
	v_cmp_gt_f64_e32 vcc_lo, 0, v[178:179]
	v_dual_cndmask_b32 v5, v179, v4 :: v_dual_cndmask_b32 v4, v178, v178
	s_delay_alu instid0(VALU_DEP_1) | instskip(SKIP_1) | instid1(SALU_CYCLE_1)
	v_cmp_ngt_f64_e32 vcc_lo, v[0:1], v[4:5]
                                        ; implicit-def: $vgpr0_vgpr1
	s_and_saveexec_b32 s3, vcc_lo
	s_xor_b32 s3, exec_lo, s3
                                        ; implicit-def: $vgpr180_vgpr181_vgpr182_vgpr183
	s_cbranch_execz .LBB123_531
; %bb.530:
	v_div_scale_f64 v[0:1], null, v[178:179], v[178:179], v[176:177]
	v_div_scale_f64 v[180:181], vcc_lo, v[176:177], v[178:179], v[176:177]
	s_delay_alu instid0(VALU_DEP_2) | instskip(SKIP_2) | instid1(VALU_DEP_1)
	v_rcp_f64_e32 v[4:5], v[0:1]
	s_waitcnt_depctr 0xfff
	v_fma_f64 v[6:7], -v[0:1], v[4:5], 1.0
	v_fma_f64 v[4:5], v[4:5], v[6:7], v[4:5]
	s_delay_alu instid0(VALU_DEP_1) | instskip(NEXT) | instid1(VALU_DEP_1)
	v_fma_f64 v[6:7], -v[0:1], v[4:5], 1.0
	v_fma_f64 v[4:5], v[4:5], v[6:7], v[4:5]
	s_delay_alu instid0(VALU_DEP_1) | instskip(NEXT) | instid1(VALU_DEP_1)
	v_mul_f64 v[6:7], v[180:181], v[4:5]
	v_fma_f64 v[0:1], -v[0:1], v[6:7], v[180:181]
	s_delay_alu instid0(VALU_DEP_1) | instskip(NEXT) | instid1(VALU_DEP_1)
	v_div_fmas_f64 v[0:1], v[0:1], v[4:5], v[6:7]
	v_div_fixup_f64 v[0:1], v[0:1], v[178:179], v[176:177]
	s_delay_alu instid0(VALU_DEP_1) | instskip(NEXT) | instid1(VALU_DEP_1)
	v_fma_f64 v[4:5], v[176:177], v[0:1], v[178:179]
	v_div_scale_f64 v[6:7], null, v[4:5], v[4:5], 1.0
	s_delay_alu instid0(VALU_DEP_1) | instskip(SKIP_2) | instid1(VALU_DEP_1)
	v_rcp_f64_e32 v[176:177], v[6:7]
	s_waitcnt_depctr 0xfff
	v_fma_f64 v[178:179], -v[6:7], v[176:177], 1.0
	v_fma_f64 v[176:177], v[176:177], v[178:179], v[176:177]
	s_delay_alu instid0(VALU_DEP_1) | instskip(NEXT) | instid1(VALU_DEP_1)
	v_fma_f64 v[178:179], -v[6:7], v[176:177], 1.0
	v_fma_f64 v[176:177], v[176:177], v[178:179], v[176:177]
	v_div_scale_f64 v[178:179], vcc_lo, 1.0, v[4:5], 1.0
	s_delay_alu instid0(VALU_DEP_1) | instskip(NEXT) | instid1(VALU_DEP_1)
	v_mul_f64 v[180:181], v[178:179], v[176:177]
	v_fma_f64 v[6:7], -v[6:7], v[180:181], v[178:179]
	s_delay_alu instid0(VALU_DEP_1) | instskip(NEXT) | instid1(VALU_DEP_1)
	v_div_fmas_f64 v[6:7], v[6:7], v[176:177], v[180:181]
                                        ; implicit-def: $vgpr176_vgpr177
	v_div_fixup_f64 v[182:183], v[6:7], v[4:5], 1.0
	s_delay_alu instid0(VALU_DEP_1)
	v_mul_f64 v[0:1], v[0:1], v[182:183]
	v_xor_b32_e32 v183, 0x80000000, v183
.LBB123_531:
	s_and_not1_saveexec_b32 s3, s3
	s_cbranch_execz .LBB123_533
; %bb.532:
	v_div_scale_f64 v[0:1], null, v[176:177], v[176:177], v[178:179]
	v_div_scale_f64 v[180:181], vcc_lo, v[178:179], v[176:177], v[178:179]
	s_delay_alu instid0(VALU_DEP_2) | instskip(SKIP_2) | instid1(VALU_DEP_1)
	v_rcp_f64_e32 v[4:5], v[0:1]
	s_waitcnt_depctr 0xfff
	v_fma_f64 v[6:7], -v[0:1], v[4:5], 1.0
	v_fma_f64 v[4:5], v[4:5], v[6:7], v[4:5]
	s_delay_alu instid0(VALU_DEP_1) | instskip(NEXT) | instid1(VALU_DEP_1)
	v_fma_f64 v[6:7], -v[0:1], v[4:5], 1.0
	v_fma_f64 v[4:5], v[4:5], v[6:7], v[4:5]
	s_delay_alu instid0(VALU_DEP_1) | instskip(NEXT) | instid1(VALU_DEP_1)
	v_mul_f64 v[6:7], v[180:181], v[4:5]
	v_fma_f64 v[0:1], -v[0:1], v[6:7], v[180:181]
	s_delay_alu instid0(VALU_DEP_1) | instskip(NEXT) | instid1(VALU_DEP_1)
	v_div_fmas_f64 v[0:1], v[0:1], v[4:5], v[6:7]
	v_div_fixup_f64 v[4:5], v[0:1], v[176:177], v[178:179]
	s_delay_alu instid0(VALU_DEP_1) | instskip(NEXT) | instid1(VALU_DEP_1)
	v_fma_f64 v[0:1], v[178:179], v[4:5], v[176:177]
	v_div_scale_f64 v[6:7], null, v[0:1], v[0:1], 1.0
	s_delay_alu instid0(VALU_DEP_1) | instskip(SKIP_2) | instid1(VALU_DEP_1)
	v_rcp_f64_e32 v[176:177], v[6:7]
	s_waitcnt_depctr 0xfff
	v_fma_f64 v[178:179], -v[6:7], v[176:177], 1.0
	v_fma_f64 v[176:177], v[176:177], v[178:179], v[176:177]
	s_delay_alu instid0(VALU_DEP_1) | instskip(NEXT) | instid1(VALU_DEP_1)
	v_fma_f64 v[178:179], -v[6:7], v[176:177], 1.0
	v_fma_f64 v[176:177], v[176:177], v[178:179], v[176:177]
	v_div_scale_f64 v[178:179], vcc_lo, 1.0, v[0:1], 1.0
	s_delay_alu instid0(VALU_DEP_1) | instskip(NEXT) | instid1(VALU_DEP_1)
	v_mul_f64 v[180:181], v[178:179], v[176:177]
	v_fma_f64 v[6:7], -v[6:7], v[180:181], v[178:179]
	s_delay_alu instid0(VALU_DEP_1) | instskip(NEXT) | instid1(VALU_DEP_1)
	v_div_fmas_f64 v[6:7], v[6:7], v[176:177], v[180:181]
	v_div_fixup_f64 v[0:1], v[6:7], v[0:1], 1.0
	s_delay_alu instid0(VALU_DEP_1)
	v_mul_f64 v[182:183], v[4:5], -v[0:1]
.LBB123_533:
	s_or_b32 exec_lo, exec_lo, s3
	ds_store_2addr_b64 v255, v[0:1], v[182:183] offset1:1
.LBB123_534:
	s_or_b32 exec_lo, exec_lo, s4
	s_waitcnt lgkmcnt(0)
	s_barrier
	buffer_gl0_inv
	ds_load_2addr_b64 v[176:179], v255 offset1:1
	s_mov_b32 s3, exec_lo
	v_cmpx_lt_u32_e32 44, v252
	s_cbranch_execz .LBB123_536
; %bb.535:
	scratch_load_b128 v[180:183], off, off offset:704
	s_waitcnt vmcnt(0) lgkmcnt(0)
	v_mul_f64 v[0:1], v[178:179], v[182:183]
	s_delay_alu instid0(VALU_DEP_1) | instskip(SKIP_1) | instid1(VALU_DEP_1)
	v_fma_f64 v[184:185], v[176:177], v[180:181], -v[0:1]
	v_mul_f64 v[0:1], v[176:177], v[182:183]
	v_fma_f64 v[186:187], v[178:179], v[180:181], v[0:1]
	ds_load_2addr_b64 v[180:183], v248 offset0:90 offset1:91
	s_waitcnt lgkmcnt(0)
	v_mul_f64 v[0:1], v[182:183], v[186:187]
	v_mul_f64 v[4:5], v[180:181], v[186:187]
	s_delay_alu instid0(VALU_DEP_2) | instskip(NEXT) | instid1(VALU_DEP_2)
	v_fma_f64 v[0:1], v[180:181], v[184:185], -v[0:1]
	v_fma_f64 v[4:5], v[182:183], v[184:185], v[4:5]
	scratch_load_b128 v[180:183], off, off offset:720
	s_waitcnt vmcnt(0)
	v_add_f64 v[180:181], v[180:181], -v[0:1]
	v_add_f64 v[182:183], v[182:183], -v[4:5]
	s_clause 0x1
	scratch_store_b128 off, v[184:187], off offset:704
	scratch_store_b128 off, v[180:183], off offset:720
	ds_load_2addr_b64 v[180:183], v248 offset0:92 offset1:93
	s_waitcnt lgkmcnt(0)
	v_mul_f64 v[0:1], v[182:183], v[186:187]
	v_mul_f64 v[4:5], v[180:181], v[186:187]
	s_delay_alu instid0(VALU_DEP_2) | instskip(NEXT) | instid1(VALU_DEP_2)
	v_fma_f64 v[0:1], v[180:181], v[184:185], -v[0:1]
	v_fma_f64 v[4:5], v[182:183], v[184:185], v[4:5]
	scratch_load_b128 v[180:183], off, off offset:736
	s_waitcnt vmcnt(0)
	v_add_f64 v[180:181], v[180:181], -v[0:1]
	v_add_f64 v[182:183], v[182:183], -v[4:5]
	scratch_store_b128 off, v[180:183], off offset:736
	ds_load_2addr_b64 v[180:183], v248 offset0:94 offset1:95
	s_waitcnt lgkmcnt(0)
	v_mul_f64 v[0:1], v[182:183], v[186:187]
	v_mul_f64 v[4:5], v[180:181], v[186:187]
	s_delay_alu instid0(VALU_DEP_2) | instskip(NEXT) | instid1(VALU_DEP_2)
	v_fma_f64 v[0:1], v[180:181], v[184:185], -v[0:1]
	v_fma_f64 v[4:5], v[182:183], v[184:185], v[4:5]
	scratch_load_b128 v[180:183], off, off offset:752
	s_waitcnt vmcnt(0)
	v_add_f64 v[180:181], v[180:181], -v[0:1]
	v_add_f64 v[182:183], v[182:183], -v[4:5]
	;; [unrolled: 12-line block ×4, first 2 shown]
	scratch_store_b128 off, v[180:183], off offset:784
	ds_load_2addr_b64 v[180:183], v248 offset0:100 offset1:101
	s_waitcnt lgkmcnt(0)
	v_mul_f64 v[0:1], v[182:183], v[186:187]
	v_mul_f64 v[4:5], v[180:181], v[186:187]
	s_delay_alu instid0(VALU_DEP_2) | instskip(NEXT) | instid1(VALU_DEP_2)
	v_fma_f64 v[0:1], v[180:181], v[184:185], -v[0:1]
	v_fma_f64 v[4:5], v[182:183], v[184:185], v[4:5]
	scratch_load_b128 v[180:183], off, off offset:800
	ds_load_2addr_b64 v[184:187], v248 offset0:102 offset1:103
	s_waitcnt vmcnt(0)
	v_add_f64 v[180:181], v[180:181], -v[0:1]
	v_add_f64 v[182:183], v[182:183], -v[4:5]
	scratch_store_b128 off, v[180:183], off offset:800
	s_clause 0x1
	scratch_load_b64 v[0:1], off, off offset:704
	scratch_load_b128 v[180:183], off, off offset:704
	s_waitcnt vmcnt(0) lgkmcnt(0)
	v_mul_f64 v[4:5], v[186:187], v[182:183]
	v_mul_f64 v[6:7], v[184:185], v[182:183]
	s_delay_alu instid0(VALU_DEP_2) | instskip(NEXT) | instid1(VALU_DEP_2)
	v_fma_f64 v[4:5], v[184:185], v[0:1], -v[4:5]
	v_fma_f64 v[6:7], v[186:187], v[0:1], v[6:7]
	scratch_load_b128 v[184:187], off, off offset:816
	s_waitcnt vmcnt(0)
	v_add_f64 v[184:185], v[184:185], -v[4:5]
	v_add_f64 v[186:187], v[186:187], -v[6:7]
	scratch_store_b128 off, v[184:187], off offset:816
	ds_load_2addr_b64 v[184:187], v248 offset0:104 offset1:105
	s_waitcnt lgkmcnt(0)
	v_mul_f64 v[4:5], v[186:187], v[182:183]
	v_mul_f64 v[6:7], v[184:185], v[182:183]
	s_delay_alu instid0(VALU_DEP_2) | instskip(NEXT) | instid1(VALU_DEP_2)
	v_fma_f64 v[4:5], v[184:185], v[0:1], -v[4:5]
	v_fma_f64 v[6:7], v[186:187], v[0:1], v[6:7]
	scratch_load_b128 v[184:187], off, off offset:832
	s_waitcnt vmcnt(0)
	v_add_f64 v[184:185], v[184:185], -v[4:5]
	v_add_f64 v[186:187], v[186:187], -v[6:7]
	scratch_store_b128 off, v[184:187], off offset:832
	ds_load_2addr_b64 v[184:187], v248 offset0:106 offset1:107
	s_waitcnt lgkmcnt(0)
	;; [unrolled: 12-line block ×5, first 2 shown]
	v_mul_f64 v[4:5], v[186:187], v[182:183]
	v_mul_f64 v[6:7], v[184:185], v[182:183]
	s_delay_alu instid0(VALU_DEP_2) | instskip(SKIP_3) | instid1(VALU_DEP_1)
	v_fma_f64 v[4:5], v[184:185], v[0:1], -v[4:5]
	scratch_load_b128 v[182:185], off, off offset:896
	v_fma_f64 v[0:1], v[186:187], v[0:1], v[6:7]
	s_waitcnt vmcnt(0)
	v_add_f64 v[184:185], v[184:185], -v[0:1]
	scratch_load_b64 v[0:1], off, off offset:712
	v_add_f64 v[182:183], v[182:183], -v[4:5]
	scratch_store_b128 off, v[182:185], off offset:896
	ds_load_2addr_b64 v[182:185], v248 offset0:114 offset1:115
	s_waitcnt vmcnt(0) lgkmcnt(0)
	v_mul_f64 v[4:5], v[184:185], v[0:1]
	v_mul_f64 v[6:7], v[182:183], v[0:1]
	s_delay_alu instid0(VALU_DEP_2) | instskip(NEXT) | instid1(VALU_DEP_2)
	v_fma_f64 v[4:5], v[182:183], v[180:181], -v[4:5]
	v_fma_f64 v[6:7], v[184:185], v[180:181], v[6:7]
	scratch_load_b128 v[182:185], off, off offset:912
	s_waitcnt vmcnt(0)
	v_add_f64 v[182:183], v[182:183], -v[4:5]
	v_add_f64 v[184:185], v[184:185], -v[6:7]
	scratch_store_b128 off, v[182:185], off offset:912
	ds_load_2addr_b64 v[182:185], v248 offset0:116 offset1:117
	s_waitcnt lgkmcnt(0)
	v_mul_f64 v[4:5], v[184:185], v[0:1]
	v_mul_f64 v[6:7], v[182:183], v[0:1]
	s_delay_alu instid0(VALU_DEP_2) | instskip(NEXT) | instid1(VALU_DEP_2)
	v_fma_f64 v[4:5], v[182:183], v[180:181], -v[4:5]
	v_fma_f64 v[6:7], v[184:185], v[180:181], v[6:7]
	scratch_load_b128 v[182:185], off, off offset:928
	s_waitcnt vmcnt(0)
	v_add_f64 v[182:183], v[182:183], -v[4:5]
	v_add_f64 v[184:185], v[184:185], -v[6:7]
	scratch_store_b128 off, v[182:185], off offset:928
	ds_load_2addr_b64 v[182:185], v248 offset0:118 offset1:119
	s_waitcnt lgkmcnt(0)
	;; [unrolled: 12-line block ×4, first 2 shown]
	v_mul_f64 v[4:5], v[184:185], v[0:1]
	v_mul_f64 v[0:1], v[182:183], v[0:1]
	s_delay_alu instid0(VALU_DEP_2) | instskip(NEXT) | instid1(VALU_DEP_2)
	v_fma_f64 v[4:5], v[182:183], v[180:181], -v[4:5]
	v_fma_f64 v[0:1], v[184:185], v[180:181], v[0:1]
	scratch_load_b128 v[180:183], off, off offset:976
	s_waitcnt vmcnt(0)
	v_add_f64 v[180:181], v[180:181], -v[4:5]
	v_add_f64 v[182:183], v[182:183], -v[0:1]
	scratch_store_b128 off, v[180:183], off offset:976
.LBB123_536:
	s_or_b32 exec_lo, exec_lo, s3
	s_delay_alu instid0(SALU_CYCLE_1)
	s_mov_b32 s4, exec_lo
	s_waitcnt lgkmcnt(0)
	s_waitcnt_vscnt null, 0x0
	s_barrier
	buffer_gl0_inv
	v_cmpx_eq_u32_e32 45, v252
	s_cbranch_execz .LBB123_543
; %bb.537:
	scratch_load_b32 v0, off, off offset:1036 ; 4-byte Folded Reload
	s_waitcnt vmcnt(0)
	scratch_load_b128 v[180:183], v0, off
	scratch_load_b32 v0, off, off offset:1032 ; 4-byte Folded Reload
	s_waitcnt vmcnt(1)
	ds_store_2addr_b64 v255, v[180:181], v[182:183] offset1:1
	s_waitcnt vmcnt(0)
	scratch_load_b128 v[180:183], v0, off
	scratch_load_b32 v0, off, off offset:1028 ; 4-byte Folded Reload
	s_waitcnt vmcnt(1)
	ds_store_2addr_b64 v248, v[180:181], v[182:183] offset0:92 offset1:93
	s_waitcnt vmcnt(0)
	scratch_load_b128 v[180:183], v0, off
	scratch_load_b32 v0, off, off offset:1024 ; 4-byte Folded Reload
	s_waitcnt vmcnt(1)
	ds_store_2addr_b64 v248, v[180:181], v[182:183] offset0:94 offset1:95
	s_waitcnt vmcnt(0)
	scratch_load_b128 v[180:183], v0, off
	scratch_load_b32 v0, off, off offset:1020 ; 4-byte Folded Reload
	s_waitcnt vmcnt(1)
	ds_store_2addr_b64 v248, v[180:181], v[182:183] offset0:96 offset1:97
	s_waitcnt vmcnt(0)
	scratch_load_b128 v[180:183], v0, off
	scratch_load_b32 v0, off, off offset:1016 ; 4-byte Folded Reload
	s_waitcnt vmcnt(1)
	ds_store_2addr_b64 v248, v[180:181], v[182:183] offset0:98 offset1:99
	s_waitcnt vmcnt(0)
	scratch_load_b128 v[180:183], v0, off
	scratch_load_b32 v0, off, off offset:1012 ; 4-byte Folded Reload
	s_waitcnt vmcnt(1)
	ds_store_2addr_b64 v248, v[180:181], v[182:183] offset0:100 offset1:101
	s_waitcnt vmcnt(0)
	scratch_load_b128 v[180:183], v0, off
	scratch_load_b32 v0, off, off offset:1008 ; 4-byte Folded Reload
	s_waitcnt vmcnt(1)
	ds_store_2addr_b64 v248, v[180:181], v[182:183] offset0:102 offset1:103
	s_waitcnt vmcnt(0)
	scratch_load_b128 v[180:183], v0, off
	scratch_load_b32 v0, off, off offset:1004 ; 4-byte Folded Reload
	s_waitcnt vmcnt(1)
	ds_store_2addr_b64 v248, v[180:181], v[182:183] offset0:104 offset1:105
	s_waitcnt vmcnt(0)
	scratch_load_b128 v[180:183], v0, off
	scratch_load_b32 v0, off, off offset:1000 ; 4-byte Folded Reload
	s_waitcnt vmcnt(1)
	ds_store_2addr_b64 v248, v[180:181], v[182:183] offset0:106 offset1:107
	s_waitcnt vmcnt(0)
	scratch_load_b128 v[180:183], v0, off
	scratch_load_b32 v0, off, off offset:996 ; 4-byte Folded Reload
	s_waitcnt vmcnt(1)
	ds_store_2addr_b64 v248, v[180:181], v[182:183] offset0:108 offset1:109
	s_waitcnt vmcnt(0)
	scratch_load_b128 v[180:183], v0, off
	scratch_load_b32 v0, off, off offset:992 ; 4-byte Folded Reload
	s_waitcnt vmcnt(1)
	ds_store_2addr_b64 v248, v[180:181], v[182:183] offset0:110 offset1:111
	s_waitcnt vmcnt(0)
	scratch_load_b128 v[180:183], v0, off
	s_waitcnt vmcnt(0)
	ds_store_2addr_b64 v248, v[180:181], v[182:183] offset0:112 offset1:113
	scratch_load_b128 v[180:183], v249, off
	s_waitcnt vmcnt(0)
	ds_store_2addr_b64 v248, v[180:181], v[182:183] offset0:114 offset1:115
	;; [unrolled: 3-line block ×6, first 2 shown]
	ds_load_2addr_b64 v[180:183], v255 offset1:1
	s_waitcnt lgkmcnt(0)
	v_cmp_neq_f64_e32 vcc_lo, 0, v[180:181]
	v_cmp_neq_f64_e64 s3, 0, v[182:183]
	s_delay_alu instid0(VALU_DEP_1) | instskip(NEXT) | instid1(SALU_CYCLE_1)
	s_or_b32 s3, vcc_lo, s3
	s_and_b32 exec_lo, exec_lo, s3
	s_cbranch_execz .LBB123_543
; %bb.538:
	v_cmp_gt_f64_e32 vcc_lo, 0, v[180:181]
	v_xor_b32_e32 v0, 0x80000000, v181
	v_xor_b32_e32 v4, 0x80000000, v183
	s_delay_alu instid0(VALU_DEP_2) | instskip(SKIP_2) | instid1(VALU_DEP_4)
	v_cndmask_b32_e32 v1, v181, v0, vcc_lo
	v_cndmask_b32_e32 v0, v180, v180, vcc_lo
	v_cmp_gt_f64_e32 vcc_lo, 0, v[182:183]
	v_dual_cndmask_b32 v5, v183, v4 :: v_dual_cndmask_b32 v4, v182, v182
	s_delay_alu instid0(VALU_DEP_1) | instskip(SKIP_1) | instid1(SALU_CYCLE_1)
	v_cmp_ngt_f64_e32 vcc_lo, v[0:1], v[4:5]
                                        ; implicit-def: $vgpr0_vgpr1
	s_and_saveexec_b32 s3, vcc_lo
	s_xor_b32 s3, exec_lo, s3
                                        ; implicit-def: $vgpr184_vgpr185_vgpr186_vgpr187
	s_cbranch_execz .LBB123_540
; %bb.539:
	v_div_scale_f64 v[0:1], null, v[182:183], v[182:183], v[180:181]
	v_div_scale_f64 v[184:185], vcc_lo, v[180:181], v[182:183], v[180:181]
	s_delay_alu instid0(VALU_DEP_2) | instskip(SKIP_2) | instid1(VALU_DEP_1)
	v_rcp_f64_e32 v[4:5], v[0:1]
	s_waitcnt_depctr 0xfff
	v_fma_f64 v[6:7], -v[0:1], v[4:5], 1.0
	v_fma_f64 v[4:5], v[4:5], v[6:7], v[4:5]
	s_delay_alu instid0(VALU_DEP_1) | instskip(NEXT) | instid1(VALU_DEP_1)
	v_fma_f64 v[6:7], -v[0:1], v[4:5], 1.0
	v_fma_f64 v[4:5], v[4:5], v[6:7], v[4:5]
	s_delay_alu instid0(VALU_DEP_1) | instskip(NEXT) | instid1(VALU_DEP_1)
	v_mul_f64 v[6:7], v[184:185], v[4:5]
	v_fma_f64 v[0:1], -v[0:1], v[6:7], v[184:185]
	s_delay_alu instid0(VALU_DEP_1) | instskip(NEXT) | instid1(VALU_DEP_1)
	v_div_fmas_f64 v[0:1], v[0:1], v[4:5], v[6:7]
	v_div_fixup_f64 v[0:1], v[0:1], v[182:183], v[180:181]
	s_delay_alu instid0(VALU_DEP_1) | instskip(NEXT) | instid1(VALU_DEP_1)
	v_fma_f64 v[4:5], v[180:181], v[0:1], v[182:183]
	v_div_scale_f64 v[6:7], null, v[4:5], v[4:5], 1.0
	s_delay_alu instid0(VALU_DEP_1) | instskip(SKIP_2) | instid1(VALU_DEP_1)
	v_rcp_f64_e32 v[180:181], v[6:7]
	s_waitcnt_depctr 0xfff
	v_fma_f64 v[182:183], -v[6:7], v[180:181], 1.0
	v_fma_f64 v[180:181], v[180:181], v[182:183], v[180:181]
	s_delay_alu instid0(VALU_DEP_1) | instskip(NEXT) | instid1(VALU_DEP_1)
	v_fma_f64 v[182:183], -v[6:7], v[180:181], 1.0
	v_fma_f64 v[180:181], v[180:181], v[182:183], v[180:181]
	v_div_scale_f64 v[182:183], vcc_lo, 1.0, v[4:5], 1.0
	s_delay_alu instid0(VALU_DEP_1) | instskip(NEXT) | instid1(VALU_DEP_1)
	v_mul_f64 v[184:185], v[182:183], v[180:181]
	v_fma_f64 v[6:7], -v[6:7], v[184:185], v[182:183]
	s_delay_alu instid0(VALU_DEP_1) | instskip(NEXT) | instid1(VALU_DEP_1)
	v_div_fmas_f64 v[6:7], v[6:7], v[180:181], v[184:185]
                                        ; implicit-def: $vgpr180_vgpr181
	v_div_fixup_f64 v[186:187], v[6:7], v[4:5], 1.0
	s_delay_alu instid0(VALU_DEP_1)
	v_mul_f64 v[0:1], v[0:1], v[186:187]
	v_xor_b32_e32 v187, 0x80000000, v187
.LBB123_540:
	s_and_not1_saveexec_b32 s3, s3
	s_cbranch_execz .LBB123_542
; %bb.541:
	v_div_scale_f64 v[0:1], null, v[180:181], v[180:181], v[182:183]
	v_div_scale_f64 v[184:185], vcc_lo, v[182:183], v[180:181], v[182:183]
	s_delay_alu instid0(VALU_DEP_2) | instskip(SKIP_2) | instid1(VALU_DEP_1)
	v_rcp_f64_e32 v[4:5], v[0:1]
	s_waitcnt_depctr 0xfff
	v_fma_f64 v[6:7], -v[0:1], v[4:5], 1.0
	v_fma_f64 v[4:5], v[4:5], v[6:7], v[4:5]
	s_delay_alu instid0(VALU_DEP_1) | instskip(NEXT) | instid1(VALU_DEP_1)
	v_fma_f64 v[6:7], -v[0:1], v[4:5], 1.0
	v_fma_f64 v[4:5], v[4:5], v[6:7], v[4:5]
	s_delay_alu instid0(VALU_DEP_1) | instskip(NEXT) | instid1(VALU_DEP_1)
	v_mul_f64 v[6:7], v[184:185], v[4:5]
	v_fma_f64 v[0:1], -v[0:1], v[6:7], v[184:185]
	s_delay_alu instid0(VALU_DEP_1) | instskip(NEXT) | instid1(VALU_DEP_1)
	v_div_fmas_f64 v[0:1], v[0:1], v[4:5], v[6:7]
	v_div_fixup_f64 v[4:5], v[0:1], v[180:181], v[182:183]
	s_delay_alu instid0(VALU_DEP_1) | instskip(NEXT) | instid1(VALU_DEP_1)
	v_fma_f64 v[0:1], v[182:183], v[4:5], v[180:181]
	v_div_scale_f64 v[6:7], null, v[0:1], v[0:1], 1.0
	s_delay_alu instid0(VALU_DEP_1) | instskip(SKIP_2) | instid1(VALU_DEP_1)
	v_rcp_f64_e32 v[180:181], v[6:7]
	s_waitcnt_depctr 0xfff
	v_fma_f64 v[182:183], -v[6:7], v[180:181], 1.0
	v_fma_f64 v[180:181], v[180:181], v[182:183], v[180:181]
	s_delay_alu instid0(VALU_DEP_1) | instskip(NEXT) | instid1(VALU_DEP_1)
	v_fma_f64 v[182:183], -v[6:7], v[180:181], 1.0
	v_fma_f64 v[180:181], v[180:181], v[182:183], v[180:181]
	v_div_scale_f64 v[182:183], vcc_lo, 1.0, v[0:1], 1.0
	s_delay_alu instid0(VALU_DEP_1) | instskip(NEXT) | instid1(VALU_DEP_1)
	v_mul_f64 v[184:185], v[182:183], v[180:181]
	v_fma_f64 v[6:7], -v[6:7], v[184:185], v[182:183]
	s_delay_alu instid0(VALU_DEP_1) | instskip(NEXT) | instid1(VALU_DEP_1)
	v_div_fmas_f64 v[6:7], v[6:7], v[180:181], v[184:185]
	v_div_fixup_f64 v[0:1], v[6:7], v[0:1], 1.0
	s_delay_alu instid0(VALU_DEP_1)
	v_mul_f64 v[186:187], v[4:5], -v[0:1]
.LBB123_542:
	s_or_b32 exec_lo, exec_lo, s3
	ds_store_2addr_b64 v255, v[0:1], v[186:187] offset1:1
.LBB123_543:
	s_or_b32 exec_lo, exec_lo, s4
	s_waitcnt lgkmcnt(0)
	s_barrier
	buffer_gl0_inv
	ds_load_2addr_b64 v[180:183], v255 offset1:1
	s_mov_b32 s3, exec_lo
	v_cmpx_lt_u32_e32 45, v252
	s_cbranch_execz .LBB123_545
; %bb.544:
	scratch_load_b128 v[184:187], off, off offset:720
	s_waitcnt vmcnt(0) lgkmcnt(0)
	v_mul_f64 v[0:1], v[182:183], v[186:187]
	s_delay_alu instid0(VALU_DEP_1) | instskip(SKIP_1) | instid1(VALU_DEP_1)
	v_fma_f64 v[188:189], v[180:181], v[184:185], -v[0:1]
	v_mul_f64 v[0:1], v[180:181], v[186:187]
	v_fma_f64 v[190:191], v[182:183], v[184:185], v[0:1]
	ds_load_2addr_b64 v[184:187], v248 offset0:92 offset1:93
	s_waitcnt lgkmcnt(0)
	v_mul_f64 v[0:1], v[186:187], v[190:191]
	v_mul_f64 v[4:5], v[184:185], v[190:191]
	s_delay_alu instid0(VALU_DEP_2) | instskip(NEXT) | instid1(VALU_DEP_2)
	v_fma_f64 v[0:1], v[184:185], v[188:189], -v[0:1]
	v_fma_f64 v[4:5], v[186:187], v[188:189], v[4:5]
	scratch_load_b128 v[184:187], off, off offset:736
	s_waitcnt vmcnt(0)
	v_add_f64 v[184:185], v[184:185], -v[0:1]
	v_add_f64 v[186:187], v[186:187], -v[4:5]
	s_clause 0x1
	scratch_store_b128 off, v[188:191], off offset:720
	scratch_store_b128 off, v[184:187], off offset:736
	ds_load_2addr_b64 v[184:187], v248 offset0:94 offset1:95
	s_waitcnt lgkmcnt(0)
	v_mul_f64 v[0:1], v[186:187], v[190:191]
	v_mul_f64 v[4:5], v[184:185], v[190:191]
	s_delay_alu instid0(VALU_DEP_2) | instskip(NEXT) | instid1(VALU_DEP_2)
	v_fma_f64 v[0:1], v[184:185], v[188:189], -v[0:1]
	v_fma_f64 v[4:5], v[186:187], v[188:189], v[4:5]
	scratch_load_b128 v[184:187], off, off offset:752
	s_waitcnt vmcnt(0)
	v_add_f64 v[184:185], v[184:185], -v[0:1]
	v_add_f64 v[186:187], v[186:187], -v[4:5]
	scratch_store_b128 off, v[184:187], off offset:752
	ds_load_2addr_b64 v[184:187], v248 offset0:96 offset1:97
	s_waitcnt lgkmcnt(0)
	v_mul_f64 v[0:1], v[186:187], v[190:191]
	v_mul_f64 v[4:5], v[184:185], v[190:191]
	s_delay_alu instid0(VALU_DEP_2) | instskip(NEXT) | instid1(VALU_DEP_2)
	v_fma_f64 v[0:1], v[184:185], v[188:189], -v[0:1]
	v_fma_f64 v[4:5], v[186:187], v[188:189], v[4:5]
	scratch_load_b128 v[184:187], off, off offset:768
	s_waitcnt vmcnt(0)
	v_add_f64 v[184:185], v[184:185], -v[0:1]
	v_add_f64 v[186:187], v[186:187], -v[4:5]
	;; [unrolled: 12-line block ×4, first 2 shown]
	scratch_store_b128 off, v[184:187], off offset:800
	ds_load_2addr_b64 v[184:187], v248 offset0:102 offset1:103
	s_waitcnt lgkmcnt(0)
	v_mul_f64 v[0:1], v[186:187], v[190:191]
	v_mul_f64 v[4:5], v[184:185], v[190:191]
	s_delay_alu instid0(VALU_DEP_2) | instskip(NEXT) | instid1(VALU_DEP_2)
	v_fma_f64 v[0:1], v[184:185], v[188:189], -v[0:1]
	v_fma_f64 v[4:5], v[186:187], v[188:189], v[4:5]
	scratch_load_b128 v[184:187], off, off offset:816
	ds_load_2addr_b64 v[188:191], v248 offset0:104 offset1:105
	s_waitcnt vmcnt(0)
	v_add_f64 v[184:185], v[184:185], -v[0:1]
	v_add_f64 v[186:187], v[186:187], -v[4:5]
	scratch_store_b128 off, v[184:187], off offset:816
	s_clause 0x1
	scratch_load_b64 v[0:1], off, off offset:720
	scratch_load_b128 v[184:187], off, off offset:720
	s_waitcnt vmcnt(0) lgkmcnt(0)
	v_mul_f64 v[4:5], v[190:191], v[186:187]
	v_mul_f64 v[6:7], v[188:189], v[186:187]
	s_delay_alu instid0(VALU_DEP_2) | instskip(NEXT) | instid1(VALU_DEP_2)
	v_fma_f64 v[4:5], v[188:189], v[0:1], -v[4:5]
	v_fma_f64 v[6:7], v[190:191], v[0:1], v[6:7]
	scratch_load_b128 v[188:191], off, off offset:832
	s_waitcnt vmcnt(0)
	v_add_f64 v[188:189], v[188:189], -v[4:5]
	v_add_f64 v[190:191], v[190:191], -v[6:7]
	scratch_store_b128 off, v[188:191], off offset:832
	ds_load_2addr_b64 v[188:191], v248 offset0:106 offset1:107
	s_waitcnt lgkmcnt(0)
	v_mul_f64 v[4:5], v[190:191], v[186:187]
	v_mul_f64 v[6:7], v[188:189], v[186:187]
	s_delay_alu instid0(VALU_DEP_2) | instskip(NEXT) | instid1(VALU_DEP_2)
	v_fma_f64 v[4:5], v[188:189], v[0:1], -v[4:5]
	v_fma_f64 v[6:7], v[190:191], v[0:1], v[6:7]
	scratch_load_b128 v[188:191], off, off offset:848
	s_waitcnt vmcnt(0)
	v_add_f64 v[188:189], v[188:189], -v[4:5]
	v_add_f64 v[190:191], v[190:191], -v[6:7]
	scratch_store_b128 off, v[188:191], off offset:848
	ds_load_2addr_b64 v[188:191], v248 offset0:108 offset1:109
	s_waitcnt lgkmcnt(0)
	;; [unrolled: 12-line block ×5, first 2 shown]
	v_mul_f64 v[4:5], v[190:191], v[186:187]
	v_mul_f64 v[6:7], v[188:189], v[186:187]
	s_delay_alu instid0(VALU_DEP_2) | instskip(SKIP_3) | instid1(VALU_DEP_1)
	v_fma_f64 v[4:5], v[188:189], v[0:1], -v[4:5]
	scratch_load_b128 v[186:189], off, off offset:912
	v_fma_f64 v[0:1], v[190:191], v[0:1], v[6:7]
	s_waitcnt vmcnt(0)
	v_add_f64 v[188:189], v[188:189], -v[0:1]
	scratch_load_b64 v[0:1], off, off offset:728
	v_add_f64 v[186:187], v[186:187], -v[4:5]
	scratch_store_b128 off, v[186:189], off offset:912
	ds_load_2addr_b64 v[186:189], v248 offset0:116 offset1:117
	s_waitcnt vmcnt(0) lgkmcnt(0)
	v_mul_f64 v[4:5], v[188:189], v[0:1]
	v_mul_f64 v[6:7], v[186:187], v[0:1]
	s_delay_alu instid0(VALU_DEP_2) | instskip(NEXT) | instid1(VALU_DEP_2)
	v_fma_f64 v[4:5], v[186:187], v[184:185], -v[4:5]
	v_fma_f64 v[6:7], v[188:189], v[184:185], v[6:7]
	scratch_load_b128 v[186:189], off, off offset:928
	s_waitcnt vmcnt(0)
	v_add_f64 v[186:187], v[186:187], -v[4:5]
	v_add_f64 v[188:189], v[188:189], -v[6:7]
	scratch_store_b128 off, v[186:189], off offset:928
	ds_load_2addr_b64 v[186:189], v248 offset0:118 offset1:119
	s_waitcnt lgkmcnt(0)
	v_mul_f64 v[4:5], v[188:189], v[0:1]
	v_mul_f64 v[6:7], v[186:187], v[0:1]
	s_delay_alu instid0(VALU_DEP_2) | instskip(NEXT) | instid1(VALU_DEP_2)
	v_fma_f64 v[4:5], v[186:187], v[184:185], -v[4:5]
	v_fma_f64 v[6:7], v[188:189], v[184:185], v[6:7]
	scratch_load_b128 v[186:189], off, off offset:944
	s_waitcnt vmcnt(0)
	v_add_f64 v[186:187], v[186:187], -v[4:5]
	v_add_f64 v[188:189], v[188:189], -v[6:7]
	scratch_store_b128 off, v[186:189], off offset:944
	ds_load_2addr_b64 v[186:189], v248 offset0:120 offset1:121
	s_waitcnt lgkmcnt(0)
	v_mul_f64 v[4:5], v[188:189], v[0:1]
	v_mul_f64 v[6:7], v[186:187], v[0:1]
	s_delay_alu instid0(VALU_DEP_2) | instskip(NEXT) | instid1(VALU_DEP_2)
	v_fma_f64 v[4:5], v[186:187], v[184:185], -v[4:5]
	v_fma_f64 v[6:7], v[188:189], v[184:185], v[6:7]
	scratch_load_b128 v[186:189], off, off offset:960
	s_waitcnt vmcnt(0)
	v_add_f64 v[186:187], v[186:187], -v[4:5]
	v_add_f64 v[188:189], v[188:189], -v[6:7]
	scratch_store_b128 off, v[186:189], off offset:960
	ds_load_2addr_b64 v[186:189], v248 offset0:122 offset1:123
	s_waitcnt lgkmcnt(0)
	v_mul_f64 v[4:5], v[188:189], v[0:1]
	v_mul_f64 v[0:1], v[186:187], v[0:1]
	s_delay_alu instid0(VALU_DEP_2) | instskip(NEXT) | instid1(VALU_DEP_2)
	v_fma_f64 v[4:5], v[186:187], v[184:185], -v[4:5]
	v_fma_f64 v[0:1], v[188:189], v[184:185], v[0:1]
	scratch_load_b128 v[184:187], off, off offset:976
	s_waitcnt vmcnt(0)
	v_add_f64 v[184:185], v[184:185], -v[4:5]
	v_add_f64 v[186:187], v[186:187], -v[0:1]
	scratch_store_b128 off, v[184:187], off offset:976
.LBB123_545:
	s_or_b32 exec_lo, exec_lo, s3
	s_delay_alu instid0(SALU_CYCLE_1)
	s_mov_b32 s4, exec_lo
	s_waitcnt lgkmcnt(0)
	s_waitcnt_vscnt null, 0x0
	s_barrier
	buffer_gl0_inv
	v_cmpx_eq_u32_e32 46, v252
	s_cbranch_execz .LBB123_552
; %bb.546:
	scratch_load_b32 v0, off, off offset:1032 ; 4-byte Folded Reload
	s_waitcnt vmcnt(0)
	scratch_load_b128 v[184:187], v0, off
	scratch_load_b32 v0, off, off offset:1028 ; 4-byte Folded Reload
	s_waitcnt vmcnt(1)
	ds_store_2addr_b64 v255, v[184:185], v[186:187] offset1:1
	s_waitcnt vmcnt(0)
	scratch_load_b128 v[184:187], v0, off
	scratch_load_b32 v0, off, off offset:1024 ; 4-byte Folded Reload
	s_waitcnt vmcnt(1)
	ds_store_2addr_b64 v248, v[184:185], v[186:187] offset0:94 offset1:95
	s_waitcnt vmcnt(0)
	scratch_load_b128 v[184:187], v0, off
	scratch_load_b32 v0, off, off offset:1020 ; 4-byte Folded Reload
	s_waitcnt vmcnt(1)
	ds_store_2addr_b64 v248, v[184:185], v[186:187] offset0:96 offset1:97
	;; [unrolled: 5-line block ×9, first 2 shown]
	s_waitcnt vmcnt(0)
	scratch_load_b128 v[184:187], v0, off
	s_waitcnt vmcnt(0)
	ds_store_2addr_b64 v248, v[184:185], v[186:187] offset0:112 offset1:113
	scratch_load_b128 v[184:187], v249, off
	s_waitcnt vmcnt(0)
	ds_store_2addr_b64 v248, v[184:185], v[186:187] offset0:114 offset1:115
	;; [unrolled: 3-line block ×6, first 2 shown]
	ds_load_2addr_b64 v[184:187], v255 offset1:1
	s_waitcnt lgkmcnt(0)
	v_cmp_neq_f64_e32 vcc_lo, 0, v[184:185]
	v_cmp_neq_f64_e64 s3, 0, v[186:187]
	s_delay_alu instid0(VALU_DEP_1) | instskip(NEXT) | instid1(SALU_CYCLE_1)
	s_or_b32 s3, vcc_lo, s3
	s_and_b32 exec_lo, exec_lo, s3
	s_cbranch_execz .LBB123_552
; %bb.547:
	v_cmp_gt_f64_e32 vcc_lo, 0, v[184:185]
	v_xor_b32_e32 v0, 0x80000000, v185
	v_xor_b32_e32 v4, 0x80000000, v187
	s_delay_alu instid0(VALU_DEP_2) | instskip(SKIP_2) | instid1(VALU_DEP_4)
	v_cndmask_b32_e32 v1, v185, v0, vcc_lo
	v_cndmask_b32_e32 v0, v184, v184, vcc_lo
	v_cmp_gt_f64_e32 vcc_lo, 0, v[186:187]
	v_dual_cndmask_b32 v5, v187, v4 :: v_dual_cndmask_b32 v4, v186, v186
	s_delay_alu instid0(VALU_DEP_1) | instskip(SKIP_1) | instid1(SALU_CYCLE_1)
	v_cmp_ngt_f64_e32 vcc_lo, v[0:1], v[4:5]
                                        ; implicit-def: $vgpr0_vgpr1
	s_and_saveexec_b32 s3, vcc_lo
	s_xor_b32 s3, exec_lo, s3
                                        ; implicit-def: $vgpr188_vgpr189_vgpr190_vgpr191
	s_cbranch_execz .LBB123_549
; %bb.548:
	v_div_scale_f64 v[0:1], null, v[186:187], v[186:187], v[184:185]
	v_div_scale_f64 v[188:189], vcc_lo, v[184:185], v[186:187], v[184:185]
	s_delay_alu instid0(VALU_DEP_2) | instskip(SKIP_2) | instid1(VALU_DEP_1)
	v_rcp_f64_e32 v[4:5], v[0:1]
	s_waitcnt_depctr 0xfff
	v_fma_f64 v[6:7], -v[0:1], v[4:5], 1.0
	v_fma_f64 v[4:5], v[4:5], v[6:7], v[4:5]
	s_delay_alu instid0(VALU_DEP_1) | instskip(NEXT) | instid1(VALU_DEP_1)
	v_fma_f64 v[6:7], -v[0:1], v[4:5], 1.0
	v_fma_f64 v[4:5], v[4:5], v[6:7], v[4:5]
	s_delay_alu instid0(VALU_DEP_1) | instskip(NEXT) | instid1(VALU_DEP_1)
	v_mul_f64 v[6:7], v[188:189], v[4:5]
	v_fma_f64 v[0:1], -v[0:1], v[6:7], v[188:189]
	s_delay_alu instid0(VALU_DEP_1) | instskip(NEXT) | instid1(VALU_DEP_1)
	v_div_fmas_f64 v[0:1], v[0:1], v[4:5], v[6:7]
	v_div_fixup_f64 v[0:1], v[0:1], v[186:187], v[184:185]
	s_delay_alu instid0(VALU_DEP_1) | instskip(NEXT) | instid1(VALU_DEP_1)
	v_fma_f64 v[4:5], v[184:185], v[0:1], v[186:187]
	v_div_scale_f64 v[6:7], null, v[4:5], v[4:5], 1.0
	s_delay_alu instid0(VALU_DEP_1) | instskip(SKIP_2) | instid1(VALU_DEP_1)
	v_rcp_f64_e32 v[184:185], v[6:7]
	s_waitcnt_depctr 0xfff
	v_fma_f64 v[186:187], -v[6:7], v[184:185], 1.0
	v_fma_f64 v[184:185], v[184:185], v[186:187], v[184:185]
	s_delay_alu instid0(VALU_DEP_1) | instskip(NEXT) | instid1(VALU_DEP_1)
	v_fma_f64 v[186:187], -v[6:7], v[184:185], 1.0
	v_fma_f64 v[184:185], v[184:185], v[186:187], v[184:185]
	v_div_scale_f64 v[186:187], vcc_lo, 1.0, v[4:5], 1.0
	s_delay_alu instid0(VALU_DEP_1) | instskip(NEXT) | instid1(VALU_DEP_1)
	v_mul_f64 v[188:189], v[186:187], v[184:185]
	v_fma_f64 v[6:7], -v[6:7], v[188:189], v[186:187]
	s_delay_alu instid0(VALU_DEP_1) | instskip(NEXT) | instid1(VALU_DEP_1)
	v_div_fmas_f64 v[6:7], v[6:7], v[184:185], v[188:189]
                                        ; implicit-def: $vgpr184_vgpr185
	v_div_fixup_f64 v[190:191], v[6:7], v[4:5], 1.0
	s_delay_alu instid0(VALU_DEP_1)
	v_mul_f64 v[0:1], v[0:1], v[190:191]
	v_xor_b32_e32 v191, 0x80000000, v191
.LBB123_549:
	s_and_not1_saveexec_b32 s3, s3
	s_cbranch_execz .LBB123_551
; %bb.550:
	v_div_scale_f64 v[0:1], null, v[184:185], v[184:185], v[186:187]
	v_div_scale_f64 v[188:189], vcc_lo, v[186:187], v[184:185], v[186:187]
	s_delay_alu instid0(VALU_DEP_2) | instskip(SKIP_2) | instid1(VALU_DEP_1)
	v_rcp_f64_e32 v[4:5], v[0:1]
	s_waitcnt_depctr 0xfff
	v_fma_f64 v[6:7], -v[0:1], v[4:5], 1.0
	v_fma_f64 v[4:5], v[4:5], v[6:7], v[4:5]
	s_delay_alu instid0(VALU_DEP_1) | instskip(NEXT) | instid1(VALU_DEP_1)
	v_fma_f64 v[6:7], -v[0:1], v[4:5], 1.0
	v_fma_f64 v[4:5], v[4:5], v[6:7], v[4:5]
	s_delay_alu instid0(VALU_DEP_1) | instskip(NEXT) | instid1(VALU_DEP_1)
	v_mul_f64 v[6:7], v[188:189], v[4:5]
	v_fma_f64 v[0:1], -v[0:1], v[6:7], v[188:189]
	s_delay_alu instid0(VALU_DEP_1) | instskip(NEXT) | instid1(VALU_DEP_1)
	v_div_fmas_f64 v[0:1], v[0:1], v[4:5], v[6:7]
	v_div_fixup_f64 v[4:5], v[0:1], v[184:185], v[186:187]
	s_delay_alu instid0(VALU_DEP_1) | instskip(NEXT) | instid1(VALU_DEP_1)
	v_fma_f64 v[0:1], v[186:187], v[4:5], v[184:185]
	v_div_scale_f64 v[6:7], null, v[0:1], v[0:1], 1.0
	s_delay_alu instid0(VALU_DEP_1) | instskip(SKIP_2) | instid1(VALU_DEP_1)
	v_rcp_f64_e32 v[184:185], v[6:7]
	s_waitcnt_depctr 0xfff
	v_fma_f64 v[186:187], -v[6:7], v[184:185], 1.0
	v_fma_f64 v[184:185], v[184:185], v[186:187], v[184:185]
	s_delay_alu instid0(VALU_DEP_1) | instskip(NEXT) | instid1(VALU_DEP_1)
	v_fma_f64 v[186:187], -v[6:7], v[184:185], 1.0
	v_fma_f64 v[184:185], v[184:185], v[186:187], v[184:185]
	v_div_scale_f64 v[186:187], vcc_lo, 1.0, v[0:1], 1.0
	s_delay_alu instid0(VALU_DEP_1) | instskip(NEXT) | instid1(VALU_DEP_1)
	v_mul_f64 v[188:189], v[186:187], v[184:185]
	v_fma_f64 v[6:7], -v[6:7], v[188:189], v[186:187]
	s_delay_alu instid0(VALU_DEP_1) | instskip(NEXT) | instid1(VALU_DEP_1)
	v_div_fmas_f64 v[6:7], v[6:7], v[184:185], v[188:189]
	v_div_fixup_f64 v[0:1], v[6:7], v[0:1], 1.0
	s_delay_alu instid0(VALU_DEP_1)
	v_mul_f64 v[190:191], v[4:5], -v[0:1]
.LBB123_551:
	s_or_b32 exec_lo, exec_lo, s3
	ds_store_2addr_b64 v255, v[0:1], v[190:191] offset1:1
.LBB123_552:
	s_or_b32 exec_lo, exec_lo, s4
	s_waitcnt lgkmcnt(0)
	s_barrier
	buffer_gl0_inv
	ds_load_2addr_b64 v[184:187], v255 offset1:1
	s_mov_b32 s3, exec_lo
	v_cmpx_lt_u32_e32 46, v252
	s_cbranch_execz .LBB123_554
; %bb.553:
	scratch_load_b128 v[188:191], off, off offset:736
	s_waitcnt vmcnt(0) lgkmcnt(0)
	v_mul_f64 v[0:1], v[186:187], v[190:191]
	s_delay_alu instid0(VALU_DEP_1) | instskip(SKIP_1) | instid1(VALU_DEP_1)
	v_fma_f64 v[192:193], v[184:185], v[188:189], -v[0:1]
	v_mul_f64 v[0:1], v[184:185], v[190:191]
	v_fma_f64 v[194:195], v[186:187], v[188:189], v[0:1]
	ds_load_2addr_b64 v[188:191], v248 offset0:94 offset1:95
	s_waitcnt lgkmcnt(0)
	v_mul_f64 v[0:1], v[190:191], v[194:195]
	v_mul_f64 v[4:5], v[188:189], v[194:195]
	s_delay_alu instid0(VALU_DEP_2) | instskip(NEXT) | instid1(VALU_DEP_2)
	v_fma_f64 v[0:1], v[188:189], v[192:193], -v[0:1]
	v_fma_f64 v[4:5], v[190:191], v[192:193], v[4:5]
	scratch_load_b128 v[188:191], off, off offset:752
	s_waitcnt vmcnt(0)
	v_add_f64 v[188:189], v[188:189], -v[0:1]
	v_add_f64 v[190:191], v[190:191], -v[4:5]
	s_clause 0x1
	scratch_store_b128 off, v[192:195], off offset:736
	scratch_store_b128 off, v[188:191], off offset:752
	ds_load_2addr_b64 v[188:191], v248 offset0:96 offset1:97
	s_waitcnt lgkmcnt(0)
	v_mul_f64 v[0:1], v[190:191], v[194:195]
	v_mul_f64 v[4:5], v[188:189], v[194:195]
	s_delay_alu instid0(VALU_DEP_2) | instskip(NEXT) | instid1(VALU_DEP_2)
	v_fma_f64 v[0:1], v[188:189], v[192:193], -v[0:1]
	v_fma_f64 v[4:5], v[190:191], v[192:193], v[4:5]
	scratch_load_b128 v[188:191], off, off offset:768
	s_waitcnt vmcnt(0)
	v_add_f64 v[188:189], v[188:189], -v[0:1]
	v_add_f64 v[190:191], v[190:191], -v[4:5]
	scratch_store_b128 off, v[188:191], off offset:768
	ds_load_2addr_b64 v[188:191], v248 offset0:98 offset1:99
	s_waitcnt lgkmcnt(0)
	v_mul_f64 v[0:1], v[190:191], v[194:195]
	v_mul_f64 v[4:5], v[188:189], v[194:195]
	s_delay_alu instid0(VALU_DEP_2) | instskip(NEXT) | instid1(VALU_DEP_2)
	v_fma_f64 v[0:1], v[188:189], v[192:193], -v[0:1]
	v_fma_f64 v[4:5], v[190:191], v[192:193], v[4:5]
	scratch_load_b128 v[188:191], off, off offset:784
	s_waitcnt vmcnt(0)
	v_add_f64 v[188:189], v[188:189], -v[0:1]
	v_add_f64 v[190:191], v[190:191], -v[4:5]
	;; [unrolled: 12-line block ×4, first 2 shown]
	scratch_store_b128 off, v[188:191], off offset:816
	ds_load_2addr_b64 v[188:191], v248 offset0:104 offset1:105
	s_waitcnt lgkmcnt(0)
	v_mul_f64 v[0:1], v[190:191], v[194:195]
	v_mul_f64 v[4:5], v[188:189], v[194:195]
	s_delay_alu instid0(VALU_DEP_2) | instskip(NEXT) | instid1(VALU_DEP_2)
	v_fma_f64 v[0:1], v[188:189], v[192:193], -v[0:1]
	v_fma_f64 v[4:5], v[190:191], v[192:193], v[4:5]
	scratch_load_b128 v[188:191], off, off offset:832
	ds_load_2addr_b64 v[192:195], v248 offset0:106 offset1:107
	s_waitcnt vmcnt(0)
	v_add_f64 v[188:189], v[188:189], -v[0:1]
	v_add_f64 v[190:191], v[190:191], -v[4:5]
	scratch_store_b128 off, v[188:191], off offset:832
	s_clause 0x1
	scratch_load_b64 v[0:1], off, off offset:736
	scratch_load_b128 v[188:191], off, off offset:736
	s_waitcnt vmcnt(0) lgkmcnt(0)
	v_mul_f64 v[4:5], v[194:195], v[190:191]
	v_mul_f64 v[6:7], v[192:193], v[190:191]
	s_delay_alu instid0(VALU_DEP_2) | instskip(NEXT) | instid1(VALU_DEP_2)
	v_fma_f64 v[4:5], v[192:193], v[0:1], -v[4:5]
	v_fma_f64 v[6:7], v[194:195], v[0:1], v[6:7]
	scratch_load_b128 v[192:195], off, off offset:848
	s_waitcnt vmcnt(0)
	v_add_f64 v[192:193], v[192:193], -v[4:5]
	v_add_f64 v[194:195], v[194:195], -v[6:7]
	scratch_store_b128 off, v[192:195], off offset:848
	ds_load_2addr_b64 v[192:195], v248 offset0:108 offset1:109
	s_waitcnt lgkmcnt(0)
	v_mul_f64 v[4:5], v[194:195], v[190:191]
	v_mul_f64 v[6:7], v[192:193], v[190:191]
	s_delay_alu instid0(VALU_DEP_2) | instskip(NEXT) | instid1(VALU_DEP_2)
	v_fma_f64 v[4:5], v[192:193], v[0:1], -v[4:5]
	v_fma_f64 v[6:7], v[194:195], v[0:1], v[6:7]
	scratch_load_b128 v[192:195], off, off offset:864
	s_waitcnt vmcnt(0)
	v_add_f64 v[192:193], v[192:193], -v[4:5]
	v_add_f64 v[194:195], v[194:195], -v[6:7]
	scratch_store_b128 off, v[192:195], off offset:864
	ds_load_2addr_b64 v[192:195], v248 offset0:110 offset1:111
	s_waitcnt lgkmcnt(0)
	;; [unrolled: 12-line block ×5, first 2 shown]
	v_mul_f64 v[4:5], v[194:195], v[190:191]
	v_mul_f64 v[6:7], v[192:193], v[190:191]
	s_delay_alu instid0(VALU_DEP_2) | instskip(SKIP_3) | instid1(VALU_DEP_1)
	v_fma_f64 v[4:5], v[192:193], v[0:1], -v[4:5]
	scratch_load_b128 v[190:193], off, off offset:928
	v_fma_f64 v[0:1], v[194:195], v[0:1], v[6:7]
	s_waitcnt vmcnt(0)
	v_add_f64 v[192:193], v[192:193], -v[0:1]
	scratch_load_b64 v[0:1], off, off offset:744
	v_add_f64 v[190:191], v[190:191], -v[4:5]
	scratch_store_b128 off, v[190:193], off offset:928
	ds_load_2addr_b64 v[190:193], v248 offset0:118 offset1:119
	s_waitcnt vmcnt(0) lgkmcnt(0)
	v_mul_f64 v[4:5], v[192:193], v[0:1]
	v_mul_f64 v[6:7], v[190:191], v[0:1]
	s_delay_alu instid0(VALU_DEP_2) | instskip(NEXT) | instid1(VALU_DEP_2)
	v_fma_f64 v[4:5], v[190:191], v[188:189], -v[4:5]
	v_fma_f64 v[6:7], v[192:193], v[188:189], v[6:7]
	scratch_load_b128 v[190:193], off, off offset:944
	s_waitcnt vmcnt(0)
	v_add_f64 v[190:191], v[190:191], -v[4:5]
	v_add_f64 v[192:193], v[192:193], -v[6:7]
	scratch_store_b128 off, v[190:193], off offset:944
	ds_load_2addr_b64 v[190:193], v248 offset0:120 offset1:121
	s_waitcnt lgkmcnt(0)
	v_mul_f64 v[4:5], v[192:193], v[0:1]
	v_mul_f64 v[6:7], v[190:191], v[0:1]
	s_delay_alu instid0(VALU_DEP_2) | instskip(NEXT) | instid1(VALU_DEP_2)
	v_fma_f64 v[4:5], v[190:191], v[188:189], -v[4:5]
	v_fma_f64 v[6:7], v[192:193], v[188:189], v[6:7]
	scratch_load_b128 v[190:193], off, off offset:960
	s_waitcnt vmcnt(0)
	v_add_f64 v[190:191], v[190:191], -v[4:5]
	v_add_f64 v[192:193], v[192:193], -v[6:7]
	scratch_store_b128 off, v[190:193], off offset:960
	ds_load_2addr_b64 v[190:193], v248 offset0:122 offset1:123
	s_waitcnt lgkmcnt(0)
	v_mul_f64 v[4:5], v[192:193], v[0:1]
	v_mul_f64 v[0:1], v[190:191], v[0:1]
	s_delay_alu instid0(VALU_DEP_2) | instskip(NEXT) | instid1(VALU_DEP_2)
	v_fma_f64 v[4:5], v[190:191], v[188:189], -v[4:5]
	v_fma_f64 v[0:1], v[192:193], v[188:189], v[0:1]
	scratch_load_b128 v[188:191], off, off offset:976
	s_waitcnt vmcnt(0)
	v_add_f64 v[188:189], v[188:189], -v[4:5]
	v_add_f64 v[190:191], v[190:191], -v[0:1]
	scratch_store_b128 off, v[188:191], off offset:976
.LBB123_554:
	s_or_b32 exec_lo, exec_lo, s3
	s_delay_alu instid0(SALU_CYCLE_1)
	s_mov_b32 s4, exec_lo
	s_waitcnt lgkmcnt(0)
	s_waitcnt_vscnt null, 0x0
	s_barrier
	buffer_gl0_inv
	v_cmpx_eq_u32_e32 47, v252
	s_cbranch_execz .LBB123_561
; %bb.555:
	scratch_load_b32 v0, off, off offset:1028 ; 4-byte Folded Reload
	s_waitcnt vmcnt(0)
	scratch_load_b128 v[188:191], v0, off
	scratch_load_b32 v0, off, off offset:1024 ; 4-byte Folded Reload
	s_waitcnt vmcnt(1)
	ds_store_2addr_b64 v255, v[188:189], v[190:191] offset1:1
	s_waitcnt vmcnt(0)
	scratch_load_b128 v[188:191], v0, off
	scratch_load_b32 v0, off, off offset:1020 ; 4-byte Folded Reload
	s_waitcnt vmcnt(1)
	ds_store_2addr_b64 v248, v[188:189], v[190:191] offset0:96 offset1:97
	s_waitcnt vmcnt(0)
	scratch_load_b128 v[188:191], v0, off
	scratch_load_b32 v0, off, off offset:1016 ; 4-byte Folded Reload
	s_waitcnt vmcnt(1)
	ds_store_2addr_b64 v248, v[188:189], v[190:191] offset0:98 offset1:99
	s_waitcnt vmcnt(0)
	scratch_load_b128 v[188:191], v0, off
	scratch_load_b32 v0, off, off offset:1012 ; 4-byte Folded Reload
	s_waitcnt vmcnt(1)
	ds_store_2addr_b64 v248, v[188:189], v[190:191] offset0:100 offset1:101
	s_waitcnt vmcnt(0)
	scratch_load_b128 v[188:191], v0, off
	scratch_load_b32 v0, off, off offset:1008 ; 4-byte Folded Reload
	s_waitcnt vmcnt(1)
	ds_store_2addr_b64 v248, v[188:189], v[190:191] offset0:102 offset1:103
	s_waitcnt vmcnt(0)
	scratch_load_b128 v[188:191], v0, off
	scratch_load_b32 v0, off, off offset:1004 ; 4-byte Folded Reload
	s_waitcnt vmcnt(1)
	ds_store_2addr_b64 v248, v[188:189], v[190:191] offset0:104 offset1:105
	s_waitcnt vmcnt(0)
	scratch_load_b128 v[188:191], v0, off
	scratch_load_b32 v0, off, off offset:1000 ; 4-byte Folded Reload
	s_waitcnt vmcnt(1)
	ds_store_2addr_b64 v248, v[188:189], v[190:191] offset0:106 offset1:107
	s_waitcnt vmcnt(0)
	scratch_load_b128 v[188:191], v0, off
	scratch_load_b32 v0, off, off offset:996 ; 4-byte Folded Reload
	s_waitcnt vmcnt(1)
	ds_store_2addr_b64 v248, v[188:189], v[190:191] offset0:108 offset1:109
	s_waitcnt vmcnt(0)
	scratch_load_b128 v[188:191], v0, off
	scratch_load_b32 v0, off, off offset:992 ; 4-byte Folded Reload
	s_waitcnt vmcnt(1)
	ds_store_2addr_b64 v248, v[188:189], v[190:191] offset0:110 offset1:111
	s_waitcnt vmcnt(0)
	scratch_load_b128 v[188:191], v0, off
	s_waitcnt vmcnt(0)
	ds_store_2addr_b64 v248, v[188:189], v[190:191] offset0:112 offset1:113
	scratch_load_b128 v[188:191], v249, off
	s_waitcnt vmcnt(0)
	ds_store_2addr_b64 v248, v[188:189], v[190:191] offset0:114 offset1:115
	;; [unrolled: 3-line block ×6, first 2 shown]
	ds_load_2addr_b64 v[188:191], v255 offset1:1
	s_waitcnt lgkmcnt(0)
	v_cmp_neq_f64_e32 vcc_lo, 0, v[188:189]
	v_cmp_neq_f64_e64 s3, 0, v[190:191]
	s_delay_alu instid0(VALU_DEP_1) | instskip(NEXT) | instid1(SALU_CYCLE_1)
	s_or_b32 s3, vcc_lo, s3
	s_and_b32 exec_lo, exec_lo, s3
	s_cbranch_execz .LBB123_561
; %bb.556:
	v_cmp_gt_f64_e32 vcc_lo, 0, v[188:189]
	v_xor_b32_e32 v0, 0x80000000, v189
	v_xor_b32_e32 v4, 0x80000000, v191
	s_delay_alu instid0(VALU_DEP_2) | instskip(SKIP_2) | instid1(VALU_DEP_4)
	v_cndmask_b32_e32 v1, v189, v0, vcc_lo
	v_cndmask_b32_e32 v0, v188, v188, vcc_lo
	v_cmp_gt_f64_e32 vcc_lo, 0, v[190:191]
	v_dual_cndmask_b32 v5, v191, v4 :: v_dual_cndmask_b32 v4, v190, v190
	s_delay_alu instid0(VALU_DEP_1) | instskip(SKIP_1) | instid1(SALU_CYCLE_1)
	v_cmp_ngt_f64_e32 vcc_lo, v[0:1], v[4:5]
                                        ; implicit-def: $vgpr0_vgpr1
	s_and_saveexec_b32 s3, vcc_lo
	s_xor_b32 s3, exec_lo, s3
                                        ; implicit-def: $vgpr192_vgpr193_vgpr194_vgpr195
	s_cbranch_execz .LBB123_558
; %bb.557:
	v_div_scale_f64 v[0:1], null, v[190:191], v[190:191], v[188:189]
	v_div_scale_f64 v[192:193], vcc_lo, v[188:189], v[190:191], v[188:189]
	s_delay_alu instid0(VALU_DEP_2) | instskip(SKIP_2) | instid1(VALU_DEP_1)
	v_rcp_f64_e32 v[4:5], v[0:1]
	s_waitcnt_depctr 0xfff
	v_fma_f64 v[6:7], -v[0:1], v[4:5], 1.0
	v_fma_f64 v[4:5], v[4:5], v[6:7], v[4:5]
	s_delay_alu instid0(VALU_DEP_1) | instskip(NEXT) | instid1(VALU_DEP_1)
	v_fma_f64 v[6:7], -v[0:1], v[4:5], 1.0
	v_fma_f64 v[4:5], v[4:5], v[6:7], v[4:5]
	s_delay_alu instid0(VALU_DEP_1) | instskip(NEXT) | instid1(VALU_DEP_1)
	v_mul_f64 v[6:7], v[192:193], v[4:5]
	v_fma_f64 v[0:1], -v[0:1], v[6:7], v[192:193]
	s_delay_alu instid0(VALU_DEP_1) | instskip(NEXT) | instid1(VALU_DEP_1)
	v_div_fmas_f64 v[0:1], v[0:1], v[4:5], v[6:7]
	v_div_fixup_f64 v[0:1], v[0:1], v[190:191], v[188:189]
	s_delay_alu instid0(VALU_DEP_1) | instskip(NEXT) | instid1(VALU_DEP_1)
	v_fma_f64 v[4:5], v[188:189], v[0:1], v[190:191]
	v_div_scale_f64 v[6:7], null, v[4:5], v[4:5], 1.0
	s_delay_alu instid0(VALU_DEP_1) | instskip(SKIP_2) | instid1(VALU_DEP_1)
	v_rcp_f64_e32 v[188:189], v[6:7]
	s_waitcnt_depctr 0xfff
	v_fma_f64 v[190:191], -v[6:7], v[188:189], 1.0
	v_fma_f64 v[188:189], v[188:189], v[190:191], v[188:189]
	s_delay_alu instid0(VALU_DEP_1) | instskip(NEXT) | instid1(VALU_DEP_1)
	v_fma_f64 v[190:191], -v[6:7], v[188:189], 1.0
	v_fma_f64 v[188:189], v[188:189], v[190:191], v[188:189]
	v_div_scale_f64 v[190:191], vcc_lo, 1.0, v[4:5], 1.0
	s_delay_alu instid0(VALU_DEP_1) | instskip(NEXT) | instid1(VALU_DEP_1)
	v_mul_f64 v[192:193], v[190:191], v[188:189]
	v_fma_f64 v[6:7], -v[6:7], v[192:193], v[190:191]
	s_delay_alu instid0(VALU_DEP_1) | instskip(NEXT) | instid1(VALU_DEP_1)
	v_div_fmas_f64 v[6:7], v[6:7], v[188:189], v[192:193]
                                        ; implicit-def: $vgpr188_vgpr189
	v_div_fixup_f64 v[194:195], v[6:7], v[4:5], 1.0
	s_delay_alu instid0(VALU_DEP_1)
	v_mul_f64 v[0:1], v[0:1], v[194:195]
	v_xor_b32_e32 v195, 0x80000000, v195
.LBB123_558:
	s_and_not1_saveexec_b32 s3, s3
	s_cbranch_execz .LBB123_560
; %bb.559:
	v_div_scale_f64 v[0:1], null, v[188:189], v[188:189], v[190:191]
	v_div_scale_f64 v[192:193], vcc_lo, v[190:191], v[188:189], v[190:191]
	s_delay_alu instid0(VALU_DEP_2) | instskip(SKIP_2) | instid1(VALU_DEP_1)
	v_rcp_f64_e32 v[4:5], v[0:1]
	s_waitcnt_depctr 0xfff
	v_fma_f64 v[6:7], -v[0:1], v[4:5], 1.0
	v_fma_f64 v[4:5], v[4:5], v[6:7], v[4:5]
	s_delay_alu instid0(VALU_DEP_1) | instskip(NEXT) | instid1(VALU_DEP_1)
	v_fma_f64 v[6:7], -v[0:1], v[4:5], 1.0
	v_fma_f64 v[4:5], v[4:5], v[6:7], v[4:5]
	s_delay_alu instid0(VALU_DEP_1) | instskip(NEXT) | instid1(VALU_DEP_1)
	v_mul_f64 v[6:7], v[192:193], v[4:5]
	v_fma_f64 v[0:1], -v[0:1], v[6:7], v[192:193]
	s_delay_alu instid0(VALU_DEP_1) | instskip(NEXT) | instid1(VALU_DEP_1)
	v_div_fmas_f64 v[0:1], v[0:1], v[4:5], v[6:7]
	v_div_fixup_f64 v[4:5], v[0:1], v[188:189], v[190:191]
	s_delay_alu instid0(VALU_DEP_1) | instskip(NEXT) | instid1(VALU_DEP_1)
	v_fma_f64 v[0:1], v[190:191], v[4:5], v[188:189]
	v_div_scale_f64 v[6:7], null, v[0:1], v[0:1], 1.0
	s_delay_alu instid0(VALU_DEP_1) | instskip(SKIP_2) | instid1(VALU_DEP_1)
	v_rcp_f64_e32 v[188:189], v[6:7]
	s_waitcnt_depctr 0xfff
	v_fma_f64 v[190:191], -v[6:7], v[188:189], 1.0
	v_fma_f64 v[188:189], v[188:189], v[190:191], v[188:189]
	s_delay_alu instid0(VALU_DEP_1) | instskip(NEXT) | instid1(VALU_DEP_1)
	v_fma_f64 v[190:191], -v[6:7], v[188:189], 1.0
	v_fma_f64 v[188:189], v[188:189], v[190:191], v[188:189]
	v_div_scale_f64 v[190:191], vcc_lo, 1.0, v[0:1], 1.0
	s_delay_alu instid0(VALU_DEP_1) | instskip(NEXT) | instid1(VALU_DEP_1)
	v_mul_f64 v[192:193], v[190:191], v[188:189]
	v_fma_f64 v[6:7], -v[6:7], v[192:193], v[190:191]
	s_delay_alu instid0(VALU_DEP_1) | instskip(NEXT) | instid1(VALU_DEP_1)
	v_div_fmas_f64 v[6:7], v[6:7], v[188:189], v[192:193]
	v_div_fixup_f64 v[0:1], v[6:7], v[0:1], 1.0
	s_delay_alu instid0(VALU_DEP_1)
	v_mul_f64 v[194:195], v[4:5], -v[0:1]
.LBB123_560:
	s_or_b32 exec_lo, exec_lo, s3
	ds_store_2addr_b64 v255, v[0:1], v[194:195] offset1:1
.LBB123_561:
	s_or_b32 exec_lo, exec_lo, s4
	s_waitcnt lgkmcnt(0)
	s_barrier
	buffer_gl0_inv
	ds_load_2addr_b64 v[188:191], v255 offset1:1
	s_mov_b32 s3, exec_lo
	v_cmpx_lt_u32_e32 47, v252
	s_cbranch_execz .LBB123_563
; %bb.562:
	scratch_load_b128 v[192:195], off, off offset:752
	s_waitcnt vmcnt(0) lgkmcnt(0)
	v_mul_f64 v[0:1], v[190:191], v[194:195]
	s_delay_alu instid0(VALU_DEP_1) | instskip(SKIP_1) | instid1(VALU_DEP_1)
	v_fma_f64 v[196:197], v[188:189], v[192:193], -v[0:1]
	v_mul_f64 v[0:1], v[188:189], v[194:195]
	v_fma_f64 v[198:199], v[190:191], v[192:193], v[0:1]
	ds_load_2addr_b64 v[192:195], v248 offset0:96 offset1:97
	s_waitcnt lgkmcnt(0)
	v_mul_f64 v[0:1], v[194:195], v[198:199]
	v_mul_f64 v[4:5], v[192:193], v[198:199]
	s_delay_alu instid0(VALU_DEP_2) | instskip(NEXT) | instid1(VALU_DEP_2)
	v_fma_f64 v[0:1], v[192:193], v[196:197], -v[0:1]
	v_fma_f64 v[4:5], v[194:195], v[196:197], v[4:5]
	scratch_load_b128 v[192:195], off, off offset:768
	s_waitcnt vmcnt(0)
	v_add_f64 v[192:193], v[192:193], -v[0:1]
	v_add_f64 v[194:195], v[194:195], -v[4:5]
	s_clause 0x1
	scratch_store_b128 off, v[196:199], off offset:752
	scratch_store_b128 off, v[192:195], off offset:768
	ds_load_2addr_b64 v[192:195], v248 offset0:98 offset1:99
	s_waitcnt lgkmcnt(0)
	v_mul_f64 v[0:1], v[194:195], v[198:199]
	v_mul_f64 v[4:5], v[192:193], v[198:199]
	s_delay_alu instid0(VALU_DEP_2) | instskip(NEXT) | instid1(VALU_DEP_2)
	v_fma_f64 v[0:1], v[192:193], v[196:197], -v[0:1]
	v_fma_f64 v[4:5], v[194:195], v[196:197], v[4:5]
	scratch_load_b128 v[192:195], off, off offset:784
	s_waitcnt vmcnt(0)
	v_add_f64 v[192:193], v[192:193], -v[0:1]
	v_add_f64 v[194:195], v[194:195], -v[4:5]
	scratch_store_b128 off, v[192:195], off offset:784
	ds_load_2addr_b64 v[192:195], v248 offset0:100 offset1:101
	s_waitcnt lgkmcnt(0)
	v_mul_f64 v[0:1], v[194:195], v[198:199]
	v_mul_f64 v[4:5], v[192:193], v[198:199]
	s_delay_alu instid0(VALU_DEP_2) | instskip(NEXT) | instid1(VALU_DEP_2)
	v_fma_f64 v[0:1], v[192:193], v[196:197], -v[0:1]
	v_fma_f64 v[4:5], v[194:195], v[196:197], v[4:5]
	scratch_load_b128 v[192:195], off, off offset:800
	s_waitcnt vmcnt(0)
	v_add_f64 v[192:193], v[192:193], -v[0:1]
	v_add_f64 v[194:195], v[194:195], -v[4:5]
	;; [unrolled: 12-line block ×4, first 2 shown]
	scratch_store_b128 off, v[192:195], off offset:832
	ds_load_2addr_b64 v[192:195], v248 offset0:106 offset1:107
	s_waitcnt lgkmcnt(0)
	v_mul_f64 v[0:1], v[194:195], v[198:199]
	v_mul_f64 v[4:5], v[192:193], v[198:199]
	s_delay_alu instid0(VALU_DEP_2) | instskip(NEXT) | instid1(VALU_DEP_2)
	v_fma_f64 v[0:1], v[192:193], v[196:197], -v[0:1]
	v_fma_f64 v[4:5], v[194:195], v[196:197], v[4:5]
	scratch_load_b128 v[192:195], off, off offset:848
	ds_load_2addr_b64 v[196:199], v248 offset0:108 offset1:109
	s_waitcnt vmcnt(0)
	v_add_f64 v[192:193], v[192:193], -v[0:1]
	v_add_f64 v[194:195], v[194:195], -v[4:5]
	scratch_store_b128 off, v[192:195], off offset:848
	s_clause 0x1
	scratch_load_b64 v[0:1], off, off offset:752
	scratch_load_b128 v[192:195], off, off offset:752
	s_waitcnt vmcnt(0) lgkmcnt(0)
	v_mul_f64 v[4:5], v[198:199], v[194:195]
	v_mul_f64 v[6:7], v[196:197], v[194:195]
	s_delay_alu instid0(VALU_DEP_2) | instskip(NEXT) | instid1(VALU_DEP_2)
	v_fma_f64 v[4:5], v[196:197], v[0:1], -v[4:5]
	v_fma_f64 v[6:7], v[198:199], v[0:1], v[6:7]
	scratch_load_b128 v[196:199], off, off offset:864
	s_waitcnt vmcnt(0)
	v_add_f64 v[196:197], v[196:197], -v[4:5]
	v_add_f64 v[198:199], v[198:199], -v[6:7]
	scratch_store_b128 off, v[196:199], off offset:864
	ds_load_2addr_b64 v[196:199], v248 offset0:110 offset1:111
	s_waitcnt lgkmcnt(0)
	v_mul_f64 v[4:5], v[198:199], v[194:195]
	v_mul_f64 v[6:7], v[196:197], v[194:195]
	s_delay_alu instid0(VALU_DEP_2) | instskip(NEXT) | instid1(VALU_DEP_2)
	v_fma_f64 v[4:5], v[196:197], v[0:1], -v[4:5]
	v_fma_f64 v[6:7], v[198:199], v[0:1], v[6:7]
	scratch_load_b128 v[196:199], off, off offset:880
	s_waitcnt vmcnt(0)
	v_add_f64 v[196:197], v[196:197], -v[4:5]
	v_add_f64 v[198:199], v[198:199], -v[6:7]
	scratch_store_b128 off, v[196:199], off offset:880
	ds_load_2addr_b64 v[196:199], v248 offset0:112 offset1:113
	s_waitcnt lgkmcnt(0)
	;; [unrolled: 12-line block ×5, first 2 shown]
	v_mul_f64 v[4:5], v[198:199], v[194:195]
	v_mul_f64 v[6:7], v[196:197], v[194:195]
	s_delay_alu instid0(VALU_DEP_2) | instskip(SKIP_3) | instid1(VALU_DEP_1)
	v_fma_f64 v[4:5], v[196:197], v[0:1], -v[4:5]
	scratch_load_b128 v[194:197], off, off offset:944
	v_fma_f64 v[0:1], v[198:199], v[0:1], v[6:7]
	s_waitcnt vmcnt(0)
	v_add_f64 v[196:197], v[196:197], -v[0:1]
	scratch_load_b64 v[0:1], off, off offset:760
	v_add_f64 v[194:195], v[194:195], -v[4:5]
	scratch_store_b128 off, v[194:197], off offset:944
	ds_load_2addr_b64 v[194:197], v248 offset0:120 offset1:121
	s_waitcnt vmcnt(0) lgkmcnt(0)
	v_mul_f64 v[4:5], v[196:197], v[0:1]
	v_mul_f64 v[6:7], v[194:195], v[0:1]
	s_delay_alu instid0(VALU_DEP_2) | instskip(NEXT) | instid1(VALU_DEP_2)
	v_fma_f64 v[4:5], v[194:195], v[192:193], -v[4:5]
	v_fma_f64 v[6:7], v[196:197], v[192:193], v[6:7]
	scratch_load_b128 v[194:197], off, off offset:960
	s_waitcnt vmcnt(0)
	v_add_f64 v[194:195], v[194:195], -v[4:5]
	v_add_f64 v[196:197], v[196:197], -v[6:7]
	scratch_store_b128 off, v[194:197], off offset:960
	ds_load_2addr_b64 v[194:197], v248 offset0:122 offset1:123
	s_waitcnt lgkmcnt(0)
	v_mul_f64 v[4:5], v[196:197], v[0:1]
	v_mul_f64 v[0:1], v[194:195], v[0:1]
	s_delay_alu instid0(VALU_DEP_2) | instskip(NEXT) | instid1(VALU_DEP_2)
	v_fma_f64 v[4:5], v[194:195], v[192:193], -v[4:5]
	v_fma_f64 v[0:1], v[196:197], v[192:193], v[0:1]
	scratch_load_b128 v[192:195], off, off offset:976
	s_waitcnt vmcnt(0)
	v_add_f64 v[192:193], v[192:193], -v[4:5]
	v_add_f64 v[194:195], v[194:195], -v[0:1]
	scratch_store_b128 off, v[192:195], off offset:976
.LBB123_563:
	s_or_b32 exec_lo, exec_lo, s3
	s_delay_alu instid0(SALU_CYCLE_1)
	s_mov_b32 s4, exec_lo
	s_waitcnt lgkmcnt(0)
	s_waitcnt_vscnt null, 0x0
	s_barrier
	buffer_gl0_inv
	v_cmpx_eq_u32_e32 48, v252
	s_cbranch_execz .LBB123_570
; %bb.564:
	scratch_load_b32 v0, off, off offset:1024 ; 4-byte Folded Reload
	s_waitcnt vmcnt(0)
	scratch_load_b128 v[192:195], v0, off
	scratch_load_b32 v0, off, off offset:1020 ; 4-byte Folded Reload
	s_waitcnt vmcnt(1)
	ds_store_2addr_b64 v255, v[192:193], v[194:195] offset1:1
	s_waitcnt vmcnt(0)
	scratch_load_b128 v[192:195], v0, off
	scratch_load_b32 v0, off, off offset:1016 ; 4-byte Folded Reload
	s_waitcnt vmcnt(1)
	ds_store_2addr_b64 v248, v[192:193], v[194:195] offset0:98 offset1:99
	s_waitcnt vmcnt(0)
	scratch_load_b128 v[192:195], v0, off
	scratch_load_b32 v0, off, off offset:1012 ; 4-byte Folded Reload
	s_waitcnt vmcnt(1)
	ds_store_2addr_b64 v248, v[192:193], v[194:195] offset0:100 offset1:101
	;; [unrolled: 5-line block ×7, first 2 shown]
	s_waitcnt vmcnt(0)
	scratch_load_b128 v[192:195], v0, off
	s_waitcnt vmcnt(0)
	ds_store_2addr_b64 v248, v[192:193], v[194:195] offset0:112 offset1:113
	scratch_load_b128 v[192:195], v249, off
	s_waitcnt vmcnt(0)
	ds_store_2addr_b64 v248, v[192:193], v[194:195] offset0:114 offset1:115
	;; [unrolled: 3-line block ×6, first 2 shown]
	ds_load_2addr_b64 v[192:195], v255 offset1:1
	s_waitcnt lgkmcnt(0)
	v_cmp_neq_f64_e32 vcc_lo, 0, v[192:193]
	v_cmp_neq_f64_e64 s3, 0, v[194:195]
	s_delay_alu instid0(VALU_DEP_1) | instskip(NEXT) | instid1(SALU_CYCLE_1)
	s_or_b32 s3, vcc_lo, s3
	s_and_b32 exec_lo, exec_lo, s3
	s_cbranch_execz .LBB123_570
; %bb.565:
	v_cmp_gt_f64_e32 vcc_lo, 0, v[192:193]
	v_xor_b32_e32 v0, 0x80000000, v193
	v_xor_b32_e32 v4, 0x80000000, v195
	s_delay_alu instid0(VALU_DEP_2) | instskip(SKIP_2) | instid1(VALU_DEP_4)
	v_cndmask_b32_e32 v1, v193, v0, vcc_lo
	v_cndmask_b32_e32 v0, v192, v192, vcc_lo
	v_cmp_gt_f64_e32 vcc_lo, 0, v[194:195]
	v_dual_cndmask_b32 v5, v195, v4 :: v_dual_cndmask_b32 v4, v194, v194
	s_delay_alu instid0(VALU_DEP_1) | instskip(SKIP_1) | instid1(SALU_CYCLE_1)
	v_cmp_ngt_f64_e32 vcc_lo, v[0:1], v[4:5]
                                        ; implicit-def: $vgpr0_vgpr1
	s_and_saveexec_b32 s3, vcc_lo
	s_xor_b32 s3, exec_lo, s3
                                        ; implicit-def: $vgpr196_vgpr197_vgpr198_vgpr199
	s_cbranch_execz .LBB123_567
; %bb.566:
	v_div_scale_f64 v[0:1], null, v[194:195], v[194:195], v[192:193]
	v_div_scale_f64 v[196:197], vcc_lo, v[192:193], v[194:195], v[192:193]
	s_delay_alu instid0(VALU_DEP_2) | instskip(SKIP_2) | instid1(VALU_DEP_1)
	v_rcp_f64_e32 v[4:5], v[0:1]
	s_waitcnt_depctr 0xfff
	v_fma_f64 v[6:7], -v[0:1], v[4:5], 1.0
	v_fma_f64 v[4:5], v[4:5], v[6:7], v[4:5]
	s_delay_alu instid0(VALU_DEP_1) | instskip(NEXT) | instid1(VALU_DEP_1)
	v_fma_f64 v[6:7], -v[0:1], v[4:5], 1.0
	v_fma_f64 v[4:5], v[4:5], v[6:7], v[4:5]
	s_delay_alu instid0(VALU_DEP_1) | instskip(NEXT) | instid1(VALU_DEP_1)
	v_mul_f64 v[6:7], v[196:197], v[4:5]
	v_fma_f64 v[0:1], -v[0:1], v[6:7], v[196:197]
	s_delay_alu instid0(VALU_DEP_1) | instskip(NEXT) | instid1(VALU_DEP_1)
	v_div_fmas_f64 v[0:1], v[0:1], v[4:5], v[6:7]
	v_div_fixup_f64 v[0:1], v[0:1], v[194:195], v[192:193]
	s_delay_alu instid0(VALU_DEP_1) | instskip(NEXT) | instid1(VALU_DEP_1)
	v_fma_f64 v[4:5], v[192:193], v[0:1], v[194:195]
	v_div_scale_f64 v[6:7], null, v[4:5], v[4:5], 1.0
	s_delay_alu instid0(VALU_DEP_1) | instskip(SKIP_2) | instid1(VALU_DEP_1)
	v_rcp_f64_e32 v[192:193], v[6:7]
	s_waitcnt_depctr 0xfff
	v_fma_f64 v[194:195], -v[6:7], v[192:193], 1.0
	v_fma_f64 v[192:193], v[192:193], v[194:195], v[192:193]
	s_delay_alu instid0(VALU_DEP_1) | instskip(NEXT) | instid1(VALU_DEP_1)
	v_fma_f64 v[194:195], -v[6:7], v[192:193], 1.0
	v_fma_f64 v[192:193], v[192:193], v[194:195], v[192:193]
	v_div_scale_f64 v[194:195], vcc_lo, 1.0, v[4:5], 1.0
	s_delay_alu instid0(VALU_DEP_1) | instskip(NEXT) | instid1(VALU_DEP_1)
	v_mul_f64 v[196:197], v[194:195], v[192:193]
	v_fma_f64 v[6:7], -v[6:7], v[196:197], v[194:195]
	s_delay_alu instid0(VALU_DEP_1) | instskip(NEXT) | instid1(VALU_DEP_1)
	v_div_fmas_f64 v[6:7], v[6:7], v[192:193], v[196:197]
                                        ; implicit-def: $vgpr192_vgpr193
	v_div_fixup_f64 v[198:199], v[6:7], v[4:5], 1.0
	s_delay_alu instid0(VALU_DEP_1)
	v_mul_f64 v[0:1], v[0:1], v[198:199]
	v_xor_b32_e32 v199, 0x80000000, v199
.LBB123_567:
	s_and_not1_saveexec_b32 s3, s3
	s_cbranch_execz .LBB123_569
; %bb.568:
	v_div_scale_f64 v[0:1], null, v[192:193], v[192:193], v[194:195]
	v_div_scale_f64 v[196:197], vcc_lo, v[194:195], v[192:193], v[194:195]
	s_delay_alu instid0(VALU_DEP_2) | instskip(SKIP_2) | instid1(VALU_DEP_1)
	v_rcp_f64_e32 v[4:5], v[0:1]
	s_waitcnt_depctr 0xfff
	v_fma_f64 v[6:7], -v[0:1], v[4:5], 1.0
	v_fma_f64 v[4:5], v[4:5], v[6:7], v[4:5]
	s_delay_alu instid0(VALU_DEP_1) | instskip(NEXT) | instid1(VALU_DEP_1)
	v_fma_f64 v[6:7], -v[0:1], v[4:5], 1.0
	v_fma_f64 v[4:5], v[4:5], v[6:7], v[4:5]
	s_delay_alu instid0(VALU_DEP_1) | instskip(NEXT) | instid1(VALU_DEP_1)
	v_mul_f64 v[6:7], v[196:197], v[4:5]
	v_fma_f64 v[0:1], -v[0:1], v[6:7], v[196:197]
	s_delay_alu instid0(VALU_DEP_1) | instskip(NEXT) | instid1(VALU_DEP_1)
	v_div_fmas_f64 v[0:1], v[0:1], v[4:5], v[6:7]
	v_div_fixup_f64 v[4:5], v[0:1], v[192:193], v[194:195]
	s_delay_alu instid0(VALU_DEP_1) | instskip(NEXT) | instid1(VALU_DEP_1)
	v_fma_f64 v[0:1], v[194:195], v[4:5], v[192:193]
	v_div_scale_f64 v[6:7], null, v[0:1], v[0:1], 1.0
	s_delay_alu instid0(VALU_DEP_1) | instskip(SKIP_2) | instid1(VALU_DEP_1)
	v_rcp_f64_e32 v[192:193], v[6:7]
	s_waitcnt_depctr 0xfff
	v_fma_f64 v[194:195], -v[6:7], v[192:193], 1.0
	v_fma_f64 v[192:193], v[192:193], v[194:195], v[192:193]
	s_delay_alu instid0(VALU_DEP_1) | instskip(NEXT) | instid1(VALU_DEP_1)
	v_fma_f64 v[194:195], -v[6:7], v[192:193], 1.0
	v_fma_f64 v[192:193], v[192:193], v[194:195], v[192:193]
	v_div_scale_f64 v[194:195], vcc_lo, 1.0, v[0:1], 1.0
	s_delay_alu instid0(VALU_DEP_1) | instskip(NEXT) | instid1(VALU_DEP_1)
	v_mul_f64 v[196:197], v[194:195], v[192:193]
	v_fma_f64 v[6:7], -v[6:7], v[196:197], v[194:195]
	s_delay_alu instid0(VALU_DEP_1) | instskip(NEXT) | instid1(VALU_DEP_1)
	v_div_fmas_f64 v[6:7], v[6:7], v[192:193], v[196:197]
	v_div_fixup_f64 v[0:1], v[6:7], v[0:1], 1.0
	s_delay_alu instid0(VALU_DEP_1)
	v_mul_f64 v[198:199], v[4:5], -v[0:1]
.LBB123_569:
	s_or_b32 exec_lo, exec_lo, s3
	ds_store_2addr_b64 v255, v[0:1], v[198:199] offset1:1
.LBB123_570:
	s_or_b32 exec_lo, exec_lo, s4
	s_waitcnt lgkmcnt(0)
	s_barrier
	buffer_gl0_inv
	ds_load_2addr_b64 v[192:195], v255 offset1:1
	s_mov_b32 s3, exec_lo
	v_cmpx_lt_u32_e32 48, v252
	s_cbranch_execz .LBB123_572
; %bb.571:
	scratch_load_b128 v[196:199], off, off offset:768
	s_waitcnt vmcnt(0) lgkmcnt(0)
	v_mul_f64 v[0:1], v[194:195], v[198:199]
	s_delay_alu instid0(VALU_DEP_1) | instskip(SKIP_1) | instid1(VALU_DEP_1)
	v_fma_f64 v[200:201], v[192:193], v[196:197], -v[0:1]
	v_mul_f64 v[0:1], v[192:193], v[198:199]
	v_fma_f64 v[202:203], v[194:195], v[196:197], v[0:1]
	ds_load_2addr_b64 v[196:199], v248 offset0:98 offset1:99
	s_waitcnt lgkmcnt(0)
	v_mul_f64 v[0:1], v[198:199], v[202:203]
	v_mul_f64 v[4:5], v[196:197], v[202:203]
	s_delay_alu instid0(VALU_DEP_2) | instskip(NEXT) | instid1(VALU_DEP_2)
	v_fma_f64 v[0:1], v[196:197], v[200:201], -v[0:1]
	v_fma_f64 v[4:5], v[198:199], v[200:201], v[4:5]
	scratch_load_b128 v[196:199], off, off offset:784
	s_waitcnt vmcnt(0)
	v_add_f64 v[196:197], v[196:197], -v[0:1]
	v_add_f64 v[198:199], v[198:199], -v[4:5]
	s_clause 0x1
	scratch_store_b128 off, v[200:203], off offset:768
	scratch_store_b128 off, v[196:199], off offset:784
	ds_load_2addr_b64 v[196:199], v248 offset0:100 offset1:101
	s_waitcnt lgkmcnt(0)
	v_mul_f64 v[0:1], v[198:199], v[202:203]
	v_mul_f64 v[4:5], v[196:197], v[202:203]
	s_delay_alu instid0(VALU_DEP_2) | instskip(NEXT) | instid1(VALU_DEP_2)
	v_fma_f64 v[0:1], v[196:197], v[200:201], -v[0:1]
	v_fma_f64 v[4:5], v[198:199], v[200:201], v[4:5]
	scratch_load_b128 v[196:199], off, off offset:800
	s_waitcnt vmcnt(0)
	v_add_f64 v[196:197], v[196:197], -v[0:1]
	v_add_f64 v[198:199], v[198:199], -v[4:5]
	scratch_store_b128 off, v[196:199], off offset:800
	ds_load_2addr_b64 v[196:199], v248 offset0:102 offset1:103
	s_waitcnt lgkmcnt(0)
	v_mul_f64 v[0:1], v[198:199], v[202:203]
	v_mul_f64 v[4:5], v[196:197], v[202:203]
	s_delay_alu instid0(VALU_DEP_2) | instskip(NEXT) | instid1(VALU_DEP_2)
	v_fma_f64 v[0:1], v[196:197], v[200:201], -v[0:1]
	v_fma_f64 v[4:5], v[198:199], v[200:201], v[4:5]
	scratch_load_b128 v[196:199], off, off offset:816
	s_waitcnt vmcnt(0)
	v_add_f64 v[196:197], v[196:197], -v[0:1]
	v_add_f64 v[198:199], v[198:199], -v[4:5]
	;; [unrolled: 12-line block ×5, first 2 shown]
	scratch_store_b128 off, v[196:199], off offset:864
	ds_load_2addr_b64 v[196:199], v248 offset0:110 offset1:111
	s_clause 0x1
	scratch_load_b64 v[0:1], off, off offset:768
	scratch_load_b128 v[200:203], off, off offset:768
	s_waitcnt vmcnt(0) lgkmcnt(0)
	v_mul_f64 v[4:5], v[198:199], v[202:203]
	v_mul_f64 v[6:7], v[196:197], v[202:203]
	s_delay_alu instid0(VALU_DEP_2) | instskip(NEXT) | instid1(VALU_DEP_2)
	v_fma_f64 v[4:5], v[196:197], v[0:1], -v[4:5]
	v_fma_f64 v[6:7], v[198:199], v[0:1], v[6:7]
	scratch_load_b128 v[196:199], off, off offset:880
	s_waitcnt vmcnt(0)
	v_add_f64 v[196:197], v[196:197], -v[4:5]
	v_add_f64 v[198:199], v[198:199], -v[6:7]
	scratch_store_b128 off, v[196:199], off offset:880
	ds_load_2addr_b64 v[196:199], v248 offset0:112 offset1:113
	s_waitcnt lgkmcnt(0)
	v_mul_f64 v[4:5], v[198:199], v[202:203]
	v_mul_f64 v[6:7], v[196:197], v[202:203]
	s_delay_alu instid0(VALU_DEP_2) | instskip(NEXT) | instid1(VALU_DEP_2)
	v_fma_f64 v[4:5], v[196:197], v[0:1], -v[4:5]
	v_fma_f64 v[6:7], v[198:199], v[0:1], v[6:7]
	scratch_load_b128 v[196:199], off, off offset:896
	s_waitcnt vmcnt(0)
	v_add_f64 v[196:197], v[196:197], -v[4:5]
	v_add_f64 v[198:199], v[198:199], -v[6:7]
	scratch_store_b128 off, v[196:199], off offset:896
	ds_load_2addr_b64 v[196:199], v248 offset0:114 offset1:115
	s_waitcnt lgkmcnt(0)
	;; [unrolled: 12-line block ×5, first 2 shown]
	v_mul_f64 v[4:5], v[198:199], v[202:203]
	v_mul_f64 v[6:7], v[196:197], v[202:203]
	s_delay_alu instid0(VALU_DEP_2) | instskip(NEXT) | instid1(VALU_DEP_2)
	v_fma_f64 v[4:5], v[196:197], v[0:1], -v[4:5]
	v_fma_f64 v[0:1], v[198:199], v[0:1], v[6:7]
	scratch_load_b128 v[196:199], off, off offset:960
	s_waitcnt vmcnt(0)
	v_add_f64 v[198:199], v[198:199], -v[0:1]
	scratch_load_b64 v[0:1], off, off offset:776
	v_add_f64 v[196:197], v[196:197], -v[4:5]
	scratch_store_b128 off, v[196:199], off offset:960
	ds_load_2addr_b64 v[196:199], v248 offset0:122 offset1:123
	s_waitcnt vmcnt(0) lgkmcnt(0)
	v_mul_f64 v[4:5], v[198:199], v[0:1]
	v_mul_f64 v[0:1], v[196:197], v[0:1]
	s_delay_alu instid0(VALU_DEP_2) | instskip(NEXT) | instid1(VALU_DEP_2)
	v_fma_f64 v[4:5], v[196:197], v[200:201], -v[4:5]
	v_fma_f64 v[0:1], v[198:199], v[200:201], v[0:1]
	scratch_load_b128 v[196:199], off, off offset:976
	s_waitcnt vmcnt(0)
	v_add_f64 v[196:197], v[196:197], -v[4:5]
	v_add_f64 v[198:199], v[198:199], -v[0:1]
	scratch_store_b128 off, v[196:199], off offset:976
.LBB123_572:
	s_or_b32 exec_lo, exec_lo, s3
	s_delay_alu instid0(SALU_CYCLE_1)
	s_mov_b32 s4, exec_lo
	s_waitcnt lgkmcnt(0)
	s_waitcnt_vscnt null, 0x0
	s_barrier
	buffer_gl0_inv
	v_cmpx_eq_u32_e32 49, v252
	s_cbranch_execz .LBB123_579
; %bb.573:
	scratch_load_b32 v0, off, off offset:1020 ; 4-byte Folded Reload
	s_waitcnt vmcnt(0)
	scratch_load_b128 v[196:199], v0, off
	scratch_load_b32 v0, off, off offset:1016 ; 4-byte Folded Reload
	s_waitcnt vmcnt(1)
	ds_store_2addr_b64 v255, v[196:197], v[198:199] offset1:1
	s_waitcnt vmcnt(0)
	scratch_load_b128 v[196:199], v0, off
	scratch_load_b32 v0, off, off offset:1012 ; 4-byte Folded Reload
	s_waitcnt vmcnt(1)
	ds_store_2addr_b64 v248, v[196:197], v[198:199] offset0:100 offset1:101
	s_waitcnt vmcnt(0)
	scratch_load_b128 v[196:199], v0, off
	scratch_load_b32 v0, off, off offset:1008 ; 4-byte Folded Reload
	s_waitcnt vmcnt(1)
	ds_store_2addr_b64 v248, v[196:197], v[198:199] offset0:102 offset1:103
	;; [unrolled: 5-line block ×6, first 2 shown]
	s_waitcnt vmcnt(0)
	scratch_load_b128 v[196:199], v0, off
	s_waitcnt vmcnt(0)
	ds_store_2addr_b64 v248, v[196:197], v[198:199] offset0:112 offset1:113
	scratch_load_b128 v[196:199], v249, off
	s_waitcnt vmcnt(0)
	ds_store_2addr_b64 v248, v[196:197], v[198:199] offset0:114 offset1:115
	;; [unrolled: 3-line block ×6, first 2 shown]
	ds_load_2addr_b64 v[196:199], v255 offset1:1
	s_waitcnt lgkmcnt(0)
	v_cmp_neq_f64_e32 vcc_lo, 0, v[196:197]
	v_cmp_neq_f64_e64 s3, 0, v[198:199]
	s_delay_alu instid0(VALU_DEP_1) | instskip(NEXT) | instid1(SALU_CYCLE_1)
	s_or_b32 s3, vcc_lo, s3
	s_and_b32 exec_lo, exec_lo, s3
	s_cbranch_execz .LBB123_579
; %bb.574:
	v_cmp_gt_f64_e32 vcc_lo, 0, v[196:197]
	v_xor_b32_e32 v0, 0x80000000, v197
	v_xor_b32_e32 v4, 0x80000000, v199
	s_delay_alu instid0(VALU_DEP_2) | instskip(SKIP_2) | instid1(VALU_DEP_4)
	v_cndmask_b32_e32 v1, v197, v0, vcc_lo
	v_cndmask_b32_e32 v0, v196, v196, vcc_lo
	v_cmp_gt_f64_e32 vcc_lo, 0, v[198:199]
	v_dual_cndmask_b32 v5, v199, v4 :: v_dual_cndmask_b32 v4, v198, v198
	s_delay_alu instid0(VALU_DEP_1) | instskip(SKIP_1) | instid1(SALU_CYCLE_1)
	v_cmp_ngt_f64_e32 vcc_lo, v[0:1], v[4:5]
                                        ; implicit-def: $vgpr0_vgpr1
	s_and_saveexec_b32 s3, vcc_lo
	s_xor_b32 s3, exec_lo, s3
                                        ; implicit-def: $vgpr200_vgpr201_vgpr202_vgpr203
	s_cbranch_execz .LBB123_576
; %bb.575:
	v_div_scale_f64 v[0:1], null, v[198:199], v[198:199], v[196:197]
	v_div_scale_f64 v[200:201], vcc_lo, v[196:197], v[198:199], v[196:197]
	s_delay_alu instid0(VALU_DEP_2) | instskip(SKIP_2) | instid1(VALU_DEP_1)
	v_rcp_f64_e32 v[4:5], v[0:1]
	s_waitcnt_depctr 0xfff
	v_fma_f64 v[6:7], -v[0:1], v[4:5], 1.0
	v_fma_f64 v[4:5], v[4:5], v[6:7], v[4:5]
	s_delay_alu instid0(VALU_DEP_1) | instskip(NEXT) | instid1(VALU_DEP_1)
	v_fma_f64 v[6:7], -v[0:1], v[4:5], 1.0
	v_fma_f64 v[4:5], v[4:5], v[6:7], v[4:5]
	s_delay_alu instid0(VALU_DEP_1) | instskip(NEXT) | instid1(VALU_DEP_1)
	v_mul_f64 v[6:7], v[200:201], v[4:5]
	v_fma_f64 v[0:1], -v[0:1], v[6:7], v[200:201]
	s_delay_alu instid0(VALU_DEP_1) | instskip(NEXT) | instid1(VALU_DEP_1)
	v_div_fmas_f64 v[0:1], v[0:1], v[4:5], v[6:7]
	v_div_fixup_f64 v[0:1], v[0:1], v[198:199], v[196:197]
	s_delay_alu instid0(VALU_DEP_1) | instskip(NEXT) | instid1(VALU_DEP_1)
	v_fma_f64 v[4:5], v[196:197], v[0:1], v[198:199]
	v_div_scale_f64 v[6:7], null, v[4:5], v[4:5], 1.0
	s_delay_alu instid0(VALU_DEP_1) | instskip(SKIP_2) | instid1(VALU_DEP_1)
	v_rcp_f64_e32 v[196:197], v[6:7]
	s_waitcnt_depctr 0xfff
	v_fma_f64 v[198:199], -v[6:7], v[196:197], 1.0
	v_fma_f64 v[196:197], v[196:197], v[198:199], v[196:197]
	s_delay_alu instid0(VALU_DEP_1) | instskip(NEXT) | instid1(VALU_DEP_1)
	v_fma_f64 v[198:199], -v[6:7], v[196:197], 1.0
	v_fma_f64 v[196:197], v[196:197], v[198:199], v[196:197]
	v_div_scale_f64 v[198:199], vcc_lo, 1.0, v[4:5], 1.0
	s_delay_alu instid0(VALU_DEP_1) | instskip(NEXT) | instid1(VALU_DEP_1)
	v_mul_f64 v[200:201], v[198:199], v[196:197]
	v_fma_f64 v[6:7], -v[6:7], v[200:201], v[198:199]
	s_delay_alu instid0(VALU_DEP_1) | instskip(NEXT) | instid1(VALU_DEP_1)
	v_div_fmas_f64 v[6:7], v[6:7], v[196:197], v[200:201]
                                        ; implicit-def: $vgpr196_vgpr197
	v_div_fixup_f64 v[202:203], v[6:7], v[4:5], 1.0
	s_delay_alu instid0(VALU_DEP_1)
	v_mul_f64 v[0:1], v[0:1], v[202:203]
	v_xor_b32_e32 v203, 0x80000000, v203
.LBB123_576:
	s_and_not1_saveexec_b32 s3, s3
	s_cbranch_execz .LBB123_578
; %bb.577:
	v_div_scale_f64 v[0:1], null, v[196:197], v[196:197], v[198:199]
	v_div_scale_f64 v[200:201], vcc_lo, v[198:199], v[196:197], v[198:199]
	s_delay_alu instid0(VALU_DEP_2) | instskip(SKIP_2) | instid1(VALU_DEP_1)
	v_rcp_f64_e32 v[4:5], v[0:1]
	s_waitcnt_depctr 0xfff
	v_fma_f64 v[6:7], -v[0:1], v[4:5], 1.0
	v_fma_f64 v[4:5], v[4:5], v[6:7], v[4:5]
	s_delay_alu instid0(VALU_DEP_1) | instskip(NEXT) | instid1(VALU_DEP_1)
	v_fma_f64 v[6:7], -v[0:1], v[4:5], 1.0
	v_fma_f64 v[4:5], v[4:5], v[6:7], v[4:5]
	s_delay_alu instid0(VALU_DEP_1) | instskip(NEXT) | instid1(VALU_DEP_1)
	v_mul_f64 v[6:7], v[200:201], v[4:5]
	v_fma_f64 v[0:1], -v[0:1], v[6:7], v[200:201]
	s_delay_alu instid0(VALU_DEP_1) | instskip(NEXT) | instid1(VALU_DEP_1)
	v_div_fmas_f64 v[0:1], v[0:1], v[4:5], v[6:7]
	v_div_fixup_f64 v[4:5], v[0:1], v[196:197], v[198:199]
	s_delay_alu instid0(VALU_DEP_1) | instskip(NEXT) | instid1(VALU_DEP_1)
	v_fma_f64 v[0:1], v[198:199], v[4:5], v[196:197]
	v_div_scale_f64 v[6:7], null, v[0:1], v[0:1], 1.0
	s_delay_alu instid0(VALU_DEP_1) | instskip(SKIP_2) | instid1(VALU_DEP_1)
	v_rcp_f64_e32 v[196:197], v[6:7]
	s_waitcnt_depctr 0xfff
	v_fma_f64 v[198:199], -v[6:7], v[196:197], 1.0
	v_fma_f64 v[196:197], v[196:197], v[198:199], v[196:197]
	s_delay_alu instid0(VALU_DEP_1) | instskip(NEXT) | instid1(VALU_DEP_1)
	v_fma_f64 v[198:199], -v[6:7], v[196:197], 1.0
	v_fma_f64 v[196:197], v[196:197], v[198:199], v[196:197]
	v_div_scale_f64 v[198:199], vcc_lo, 1.0, v[0:1], 1.0
	s_delay_alu instid0(VALU_DEP_1) | instskip(NEXT) | instid1(VALU_DEP_1)
	v_mul_f64 v[200:201], v[198:199], v[196:197]
	v_fma_f64 v[6:7], -v[6:7], v[200:201], v[198:199]
	s_delay_alu instid0(VALU_DEP_1) | instskip(NEXT) | instid1(VALU_DEP_1)
	v_div_fmas_f64 v[6:7], v[6:7], v[196:197], v[200:201]
	v_div_fixup_f64 v[0:1], v[6:7], v[0:1], 1.0
	s_delay_alu instid0(VALU_DEP_1)
	v_mul_f64 v[202:203], v[4:5], -v[0:1]
.LBB123_578:
	s_or_b32 exec_lo, exec_lo, s3
	ds_store_2addr_b64 v255, v[0:1], v[202:203] offset1:1
.LBB123_579:
	s_or_b32 exec_lo, exec_lo, s4
	s_waitcnt lgkmcnt(0)
	s_barrier
	buffer_gl0_inv
	ds_load_2addr_b64 v[196:199], v255 offset1:1
	s_mov_b32 s3, exec_lo
	v_cmpx_lt_u32_e32 49, v252
	s_cbranch_execz .LBB123_581
; %bb.580:
	scratch_load_b128 v[200:203], off, off offset:784
	s_waitcnt vmcnt(0) lgkmcnt(0)
	v_mul_f64 v[0:1], v[198:199], v[202:203]
	s_delay_alu instid0(VALU_DEP_1) | instskip(SKIP_1) | instid1(VALU_DEP_1)
	v_fma_f64 v[204:205], v[196:197], v[200:201], -v[0:1]
	v_mul_f64 v[0:1], v[196:197], v[202:203]
	v_fma_f64 v[206:207], v[198:199], v[200:201], v[0:1]
	ds_load_2addr_b64 v[200:203], v248 offset0:100 offset1:101
	s_waitcnt lgkmcnt(0)
	v_mul_f64 v[0:1], v[202:203], v[206:207]
	v_mul_f64 v[4:5], v[200:201], v[206:207]
	s_delay_alu instid0(VALU_DEP_2) | instskip(NEXT) | instid1(VALU_DEP_2)
	v_fma_f64 v[0:1], v[200:201], v[204:205], -v[0:1]
	v_fma_f64 v[4:5], v[202:203], v[204:205], v[4:5]
	scratch_load_b128 v[200:203], off, off offset:800
	s_waitcnt vmcnt(0)
	v_add_f64 v[200:201], v[200:201], -v[0:1]
	v_add_f64 v[202:203], v[202:203], -v[4:5]
	s_clause 0x1
	scratch_store_b128 off, v[204:207], off offset:784
	scratch_store_b128 off, v[200:203], off offset:800
	ds_load_2addr_b64 v[200:203], v248 offset0:102 offset1:103
	s_waitcnt lgkmcnt(0)
	v_mul_f64 v[0:1], v[202:203], v[206:207]
	v_mul_f64 v[4:5], v[200:201], v[206:207]
	s_delay_alu instid0(VALU_DEP_2) | instskip(NEXT) | instid1(VALU_DEP_2)
	v_fma_f64 v[0:1], v[200:201], v[204:205], -v[0:1]
	v_fma_f64 v[4:5], v[202:203], v[204:205], v[4:5]
	scratch_load_b128 v[200:203], off, off offset:816
	s_waitcnt vmcnt(0)
	v_add_f64 v[200:201], v[200:201], -v[0:1]
	v_add_f64 v[202:203], v[202:203], -v[4:5]
	scratch_store_b128 off, v[200:203], off offset:816
	ds_load_2addr_b64 v[200:203], v248 offset0:104 offset1:105
	s_waitcnt lgkmcnt(0)
	v_mul_f64 v[0:1], v[202:203], v[206:207]
	v_mul_f64 v[4:5], v[200:201], v[206:207]
	s_delay_alu instid0(VALU_DEP_2) | instskip(NEXT) | instid1(VALU_DEP_2)
	v_fma_f64 v[0:1], v[200:201], v[204:205], -v[0:1]
	v_fma_f64 v[4:5], v[202:203], v[204:205], v[4:5]
	scratch_load_b128 v[200:203], off, off offset:832
	s_waitcnt vmcnt(0)
	v_add_f64 v[200:201], v[200:201], -v[0:1]
	v_add_f64 v[202:203], v[202:203], -v[4:5]
	;; [unrolled: 12-line block ×4, first 2 shown]
	scratch_store_b128 off, v[200:203], off offset:864
	ds_load_2addr_b64 v[200:203], v248 offset0:110 offset1:111
	s_waitcnt lgkmcnt(0)
	v_mul_f64 v[0:1], v[202:203], v[206:207]
	v_mul_f64 v[4:5], v[200:201], v[206:207]
	s_delay_alu instid0(VALU_DEP_2) | instskip(NEXT) | instid1(VALU_DEP_2)
	v_fma_f64 v[0:1], v[200:201], v[204:205], -v[0:1]
	v_fma_f64 v[4:5], v[202:203], v[204:205], v[4:5]
	s_clause 0x1
	scratch_load_b128 v[200:203], off, off offset:880
	scratch_load_b128 v[204:207], off, off offset:784
	s_waitcnt vmcnt(1)
	v_add_f64 v[200:201], v[200:201], -v[0:1]
	v_add_f64 v[202:203], v[202:203], -v[4:5]
	scratch_store_b128 off, v[200:203], off offset:880
	ds_load_2addr_b64 v[200:203], v248 offset0:112 offset1:113
	s_waitcnt vmcnt(0) lgkmcnt(0)
	v_mul_f64 v[0:1], v[202:203], v[206:207]
	v_mul_f64 v[4:5], v[200:201], v[206:207]
	s_delay_alu instid0(VALU_DEP_2) | instskip(NEXT) | instid1(VALU_DEP_2)
	v_fma_f64 v[0:1], v[200:201], v[204:205], -v[0:1]
	v_fma_f64 v[4:5], v[202:203], v[204:205], v[4:5]
	scratch_load_b128 v[200:203], off, off offset:896
	s_waitcnt vmcnt(0)
	v_add_f64 v[200:201], v[200:201], -v[0:1]
	v_add_f64 v[202:203], v[202:203], -v[4:5]
	scratch_store_b128 off, v[200:203], off offset:896
	ds_load_2addr_b64 v[200:203], v248 offset0:114 offset1:115
	s_waitcnt lgkmcnt(0)
	v_mul_f64 v[0:1], v[202:203], v[206:207]
	v_mul_f64 v[4:5], v[200:201], v[206:207]
	s_delay_alu instid0(VALU_DEP_2) | instskip(NEXT) | instid1(VALU_DEP_2)
	v_fma_f64 v[0:1], v[200:201], v[204:205], -v[0:1]
	v_fma_f64 v[4:5], v[202:203], v[204:205], v[4:5]
	scratch_load_b128 v[200:203], off, off offset:912
	s_waitcnt vmcnt(0)
	v_add_f64 v[200:201], v[200:201], -v[0:1]
	v_add_f64 v[202:203], v[202:203], -v[4:5]
	scratch_store_b128 off, v[200:203], off offset:912
	ds_load_2addr_b64 v[200:203], v248 offset0:116 offset1:117
	s_waitcnt lgkmcnt(0)
	;; [unrolled: 12-line block ×5, first 2 shown]
	v_mul_f64 v[0:1], v[202:203], v[206:207]
	v_mul_f64 v[4:5], v[200:201], v[206:207]
	s_delay_alu instid0(VALU_DEP_2) | instskip(NEXT) | instid1(VALU_DEP_2)
	v_fma_f64 v[0:1], v[200:201], v[204:205], -v[0:1]
	v_fma_f64 v[4:5], v[202:203], v[204:205], v[4:5]
	scratch_load_b128 v[200:203], off, off offset:976
	s_waitcnt vmcnt(0)
	v_add_f64 v[200:201], v[200:201], -v[0:1]
	v_add_f64 v[202:203], v[202:203], -v[4:5]
	scratch_store_b128 off, v[200:203], off offset:976
.LBB123_581:
	s_or_b32 exec_lo, exec_lo, s3
	s_delay_alu instid0(SALU_CYCLE_1)
	s_mov_b32 s4, exec_lo
	s_waitcnt lgkmcnt(0)
	s_waitcnt_vscnt null, 0x0
	s_barrier
	buffer_gl0_inv
	v_cmpx_eq_u32_e32 50, v252
	s_cbranch_execz .LBB123_588
; %bb.582:
	scratch_load_b32 v0, off, off offset:1016 ; 4-byte Folded Reload
	s_waitcnt vmcnt(0)
	scratch_load_b128 v[200:203], v0, off
	scratch_load_b32 v0, off, off offset:1012 ; 4-byte Folded Reload
	s_waitcnt vmcnt(1)
	ds_store_2addr_b64 v255, v[200:201], v[202:203] offset1:1
	s_waitcnt vmcnt(0)
	scratch_load_b128 v[200:203], v0, off
	scratch_load_b32 v0, off, off offset:1008 ; 4-byte Folded Reload
	s_waitcnt vmcnt(1)
	ds_store_2addr_b64 v248, v[200:201], v[202:203] offset0:102 offset1:103
	s_waitcnt vmcnt(0)
	scratch_load_b128 v[200:203], v0, off
	scratch_load_b32 v0, off, off offset:1004 ; 4-byte Folded Reload
	s_waitcnt vmcnt(1)
	ds_store_2addr_b64 v248, v[200:201], v[202:203] offset0:104 offset1:105
	;; [unrolled: 5-line block ×5, first 2 shown]
	s_waitcnt vmcnt(0)
	scratch_load_b128 v[200:203], v0, off
	s_waitcnt vmcnt(0)
	ds_store_2addr_b64 v248, v[200:201], v[202:203] offset0:112 offset1:113
	scratch_load_b128 v[200:203], v249, off
	s_waitcnt vmcnt(0)
	ds_store_2addr_b64 v248, v[200:201], v[202:203] offset0:114 offset1:115
	;; [unrolled: 3-line block ×6, first 2 shown]
	ds_load_2addr_b64 v[200:203], v255 offset1:1
	s_waitcnt lgkmcnt(0)
	v_cmp_neq_f64_e32 vcc_lo, 0, v[200:201]
	v_cmp_neq_f64_e64 s3, 0, v[202:203]
	s_delay_alu instid0(VALU_DEP_1) | instskip(NEXT) | instid1(SALU_CYCLE_1)
	s_or_b32 s3, vcc_lo, s3
	s_and_b32 exec_lo, exec_lo, s3
	s_cbranch_execz .LBB123_588
; %bb.583:
	v_cmp_gt_f64_e32 vcc_lo, 0, v[200:201]
	v_xor_b32_e32 v0, 0x80000000, v201
	v_xor_b32_e32 v4, 0x80000000, v203
	s_delay_alu instid0(VALU_DEP_2) | instskip(SKIP_2) | instid1(VALU_DEP_4)
	v_cndmask_b32_e32 v1, v201, v0, vcc_lo
	v_cndmask_b32_e32 v0, v200, v200, vcc_lo
	v_cmp_gt_f64_e32 vcc_lo, 0, v[202:203]
	v_dual_cndmask_b32 v5, v203, v4 :: v_dual_cndmask_b32 v4, v202, v202
	s_delay_alu instid0(VALU_DEP_1) | instskip(SKIP_1) | instid1(SALU_CYCLE_1)
	v_cmp_ngt_f64_e32 vcc_lo, v[0:1], v[4:5]
                                        ; implicit-def: $vgpr0_vgpr1
	s_and_saveexec_b32 s3, vcc_lo
	s_xor_b32 s3, exec_lo, s3
                                        ; implicit-def: $vgpr204_vgpr205_vgpr206_vgpr207
	s_cbranch_execz .LBB123_585
; %bb.584:
	v_div_scale_f64 v[0:1], null, v[202:203], v[202:203], v[200:201]
	v_div_scale_f64 v[204:205], vcc_lo, v[200:201], v[202:203], v[200:201]
	s_delay_alu instid0(VALU_DEP_2) | instskip(SKIP_2) | instid1(VALU_DEP_1)
	v_rcp_f64_e32 v[4:5], v[0:1]
	s_waitcnt_depctr 0xfff
	v_fma_f64 v[6:7], -v[0:1], v[4:5], 1.0
	v_fma_f64 v[4:5], v[4:5], v[6:7], v[4:5]
	s_delay_alu instid0(VALU_DEP_1) | instskip(NEXT) | instid1(VALU_DEP_1)
	v_fma_f64 v[6:7], -v[0:1], v[4:5], 1.0
	v_fma_f64 v[4:5], v[4:5], v[6:7], v[4:5]
	s_delay_alu instid0(VALU_DEP_1) | instskip(NEXT) | instid1(VALU_DEP_1)
	v_mul_f64 v[6:7], v[204:205], v[4:5]
	v_fma_f64 v[0:1], -v[0:1], v[6:7], v[204:205]
	s_delay_alu instid0(VALU_DEP_1) | instskip(NEXT) | instid1(VALU_DEP_1)
	v_div_fmas_f64 v[0:1], v[0:1], v[4:5], v[6:7]
	v_div_fixup_f64 v[0:1], v[0:1], v[202:203], v[200:201]
	s_delay_alu instid0(VALU_DEP_1) | instskip(NEXT) | instid1(VALU_DEP_1)
	v_fma_f64 v[4:5], v[200:201], v[0:1], v[202:203]
	v_div_scale_f64 v[6:7], null, v[4:5], v[4:5], 1.0
	s_delay_alu instid0(VALU_DEP_1) | instskip(SKIP_2) | instid1(VALU_DEP_1)
	v_rcp_f64_e32 v[200:201], v[6:7]
	s_waitcnt_depctr 0xfff
	v_fma_f64 v[202:203], -v[6:7], v[200:201], 1.0
	v_fma_f64 v[200:201], v[200:201], v[202:203], v[200:201]
	s_delay_alu instid0(VALU_DEP_1) | instskip(NEXT) | instid1(VALU_DEP_1)
	v_fma_f64 v[202:203], -v[6:7], v[200:201], 1.0
	v_fma_f64 v[200:201], v[200:201], v[202:203], v[200:201]
	v_div_scale_f64 v[202:203], vcc_lo, 1.0, v[4:5], 1.0
	s_delay_alu instid0(VALU_DEP_1) | instskip(NEXT) | instid1(VALU_DEP_1)
	v_mul_f64 v[204:205], v[202:203], v[200:201]
	v_fma_f64 v[6:7], -v[6:7], v[204:205], v[202:203]
	s_delay_alu instid0(VALU_DEP_1) | instskip(NEXT) | instid1(VALU_DEP_1)
	v_div_fmas_f64 v[6:7], v[6:7], v[200:201], v[204:205]
                                        ; implicit-def: $vgpr200_vgpr201
	v_div_fixup_f64 v[206:207], v[6:7], v[4:5], 1.0
	s_delay_alu instid0(VALU_DEP_1)
	v_mul_f64 v[0:1], v[0:1], v[206:207]
	v_xor_b32_e32 v207, 0x80000000, v207
.LBB123_585:
	s_and_not1_saveexec_b32 s3, s3
	s_cbranch_execz .LBB123_587
; %bb.586:
	v_div_scale_f64 v[0:1], null, v[200:201], v[200:201], v[202:203]
	v_div_scale_f64 v[204:205], vcc_lo, v[202:203], v[200:201], v[202:203]
	s_delay_alu instid0(VALU_DEP_2) | instskip(SKIP_2) | instid1(VALU_DEP_1)
	v_rcp_f64_e32 v[4:5], v[0:1]
	s_waitcnt_depctr 0xfff
	v_fma_f64 v[6:7], -v[0:1], v[4:5], 1.0
	v_fma_f64 v[4:5], v[4:5], v[6:7], v[4:5]
	s_delay_alu instid0(VALU_DEP_1) | instskip(NEXT) | instid1(VALU_DEP_1)
	v_fma_f64 v[6:7], -v[0:1], v[4:5], 1.0
	v_fma_f64 v[4:5], v[4:5], v[6:7], v[4:5]
	s_delay_alu instid0(VALU_DEP_1) | instskip(NEXT) | instid1(VALU_DEP_1)
	v_mul_f64 v[6:7], v[204:205], v[4:5]
	v_fma_f64 v[0:1], -v[0:1], v[6:7], v[204:205]
	s_delay_alu instid0(VALU_DEP_1) | instskip(NEXT) | instid1(VALU_DEP_1)
	v_div_fmas_f64 v[0:1], v[0:1], v[4:5], v[6:7]
	v_div_fixup_f64 v[4:5], v[0:1], v[200:201], v[202:203]
	s_delay_alu instid0(VALU_DEP_1) | instskip(NEXT) | instid1(VALU_DEP_1)
	v_fma_f64 v[0:1], v[202:203], v[4:5], v[200:201]
	v_div_scale_f64 v[6:7], null, v[0:1], v[0:1], 1.0
	s_delay_alu instid0(VALU_DEP_1) | instskip(SKIP_2) | instid1(VALU_DEP_1)
	v_rcp_f64_e32 v[200:201], v[6:7]
	s_waitcnt_depctr 0xfff
	v_fma_f64 v[202:203], -v[6:7], v[200:201], 1.0
	v_fma_f64 v[200:201], v[200:201], v[202:203], v[200:201]
	s_delay_alu instid0(VALU_DEP_1) | instskip(NEXT) | instid1(VALU_DEP_1)
	v_fma_f64 v[202:203], -v[6:7], v[200:201], 1.0
	v_fma_f64 v[200:201], v[200:201], v[202:203], v[200:201]
	v_div_scale_f64 v[202:203], vcc_lo, 1.0, v[0:1], 1.0
	s_delay_alu instid0(VALU_DEP_1) | instskip(NEXT) | instid1(VALU_DEP_1)
	v_mul_f64 v[204:205], v[202:203], v[200:201]
	v_fma_f64 v[6:7], -v[6:7], v[204:205], v[202:203]
	s_delay_alu instid0(VALU_DEP_1) | instskip(NEXT) | instid1(VALU_DEP_1)
	v_div_fmas_f64 v[6:7], v[6:7], v[200:201], v[204:205]
	v_div_fixup_f64 v[0:1], v[6:7], v[0:1], 1.0
	s_delay_alu instid0(VALU_DEP_1)
	v_mul_f64 v[206:207], v[4:5], -v[0:1]
.LBB123_587:
	s_or_b32 exec_lo, exec_lo, s3
	ds_store_2addr_b64 v255, v[0:1], v[206:207] offset1:1
.LBB123_588:
	s_or_b32 exec_lo, exec_lo, s4
	s_waitcnt lgkmcnt(0)
	s_barrier
	buffer_gl0_inv
	ds_load_2addr_b64 v[200:203], v255 offset1:1
	s_mov_b32 s3, exec_lo
	v_cmpx_lt_u32_e32 50, v252
	s_cbranch_execz .LBB123_590
; %bb.589:
	scratch_load_b128 v[204:207], off, off offset:800
	s_waitcnt vmcnt(0) lgkmcnt(0)
	v_mul_f64 v[0:1], v[202:203], v[206:207]
	s_delay_alu instid0(VALU_DEP_1) | instskip(SKIP_1) | instid1(VALU_DEP_1)
	v_fma_f64 v[208:209], v[200:201], v[204:205], -v[0:1]
	v_mul_f64 v[0:1], v[200:201], v[206:207]
	v_fma_f64 v[210:211], v[202:203], v[204:205], v[0:1]
	ds_load_2addr_b64 v[204:207], v248 offset0:102 offset1:103
	s_waitcnt lgkmcnt(0)
	v_mul_f64 v[0:1], v[206:207], v[210:211]
	v_mul_f64 v[4:5], v[204:205], v[210:211]
	s_delay_alu instid0(VALU_DEP_2) | instskip(NEXT) | instid1(VALU_DEP_2)
	v_fma_f64 v[0:1], v[204:205], v[208:209], -v[0:1]
	v_fma_f64 v[4:5], v[206:207], v[208:209], v[4:5]
	scratch_load_b128 v[204:207], off, off offset:816
	s_waitcnt vmcnt(0)
	v_add_f64 v[204:205], v[204:205], -v[0:1]
	v_add_f64 v[206:207], v[206:207], -v[4:5]
	s_clause 0x1
	scratch_store_b128 off, v[208:211], off offset:800
	scratch_store_b128 off, v[204:207], off offset:816
	ds_load_2addr_b64 v[204:207], v248 offset0:104 offset1:105
	s_waitcnt lgkmcnt(0)
	v_mul_f64 v[0:1], v[206:207], v[210:211]
	v_mul_f64 v[4:5], v[204:205], v[210:211]
	s_delay_alu instid0(VALU_DEP_2) | instskip(NEXT) | instid1(VALU_DEP_2)
	v_fma_f64 v[0:1], v[204:205], v[208:209], -v[0:1]
	v_fma_f64 v[4:5], v[206:207], v[208:209], v[4:5]
	scratch_load_b128 v[204:207], off, off offset:832
	s_waitcnt vmcnt(0)
	v_add_f64 v[204:205], v[204:205], -v[0:1]
	v_add_f64 v[206:207], v[206:207], -v[4:5]
	scratch_store_b128 off, v[204:207], off offset:832
	ds_load_2addr_b64 v[204:207], v248 offset0:106 offset1:107
	s_waitcnt lgkmcnt(0)
	v_mul_f64 v[0:1], v[206:207], v[210:211]
	v_mul_f64 v[4:5], v[204:205], v[210:211]
	s_delay_alu instid0(VALU_DEP_2) | instskip(NEXT) | instid1(VALU_DEP_2)
	v_fma_f64 v[0:1], v[204:205], v[208:209], -v[0:1]
	v_fma_f64 v[4:5], v[206:207], v[208:209], v[4:5]
	scratch_load_b128 v[204:207], off, off offset:848
	s_waitcnt vmcnt(0)
	v_add_f64 v[204:205], v[204:205], -v[0:1]
	v_add_f64 v[206:207], v[206:207], -v[4:5]
	;; [unrolled: 12-line block ×4, first 2 shown]
	scratch_store_b128 off, v[204:207], off offset:880
	ds_load_2addr_b64 v[204:207], v248 offset0:112 offset1:113
	s_waitcnt lgkmcnt(0)
	v_mul_f64 v[0:1], v[206:207], v[210:211]
	v_mul_f64 v[4:5], v[204:205], v[210:211]
	s_delay_alu instid0(VALU_DEP_2) | instskip(NEXT) | instid1(VALU_DEP_2)
	v_fma_f64 v[0:1], v[204:205], v[208:209], -v[0:1]
	v_fma_f64 v[4:5], v[206:207], v[208:209], v[4:5]
	s_clause 0x1
	scratch_load_b128 v[204:207], off, off offset:896
	scratch_load_b128 v[208:211], off, off offset:800
	s_waitcnt vmcnt(1)
	v_add_f64 v[204:205], v[204:205], -v[0:1]
	v_add_f64 v[206:207], v[206:207], -v[4:5]
	scratch_store_b128 off, v[204:207], off offset:896
	ds_load_2addr_b64 v[204:207], v248 offset0:114 offset1:115
	s_waitcnt vmcnt(0) lgkmcnt(0)
	v_mul_f64 v[0:1], v[206:207], v[210:211]
	v_mul_f64 v[4:5], v[204:205], v[210:211]
	s_delay_alu instid0(VALU_DEP_2) | instskip(NEXT) | instid1(VALU_DEP_2)
	v_fma_f64 v[0:1], v[204:205], v[208:209], -v[0:1]
	v_fma_f64 v[4:5], v[206:207], v[208:209], v[4:5]
	scratch_load_b128 v[204:207], off, off offset:912
	s_waitcnt vmcnt(0)
	v_add_f64 v[204:205], v[204:205], -v[0:1]
	v_add_f64 v[206:207], v[206:207], -v[4:5]
	scratch_store_b128 off, v[204:207], off offset:912
	ds_load_2addr_b64 v[204:207], v248 offset0:116 offset1:117
	s_waitcnt lgkmcnt(0)
	v_mul_f64 v[0:1], v[206:207], v[210:211]
	v_mul_f64 v[4:5], v[204:205], v[210:211]
	s_delay_alu instid0(VALU_DEP_2) | instskip(NEXT) | instid1(VALU_DEP_2)
	v_fma_f64 v[0:1], v[204:205], v[208:209], -v[0:1]
	v_fma_f64 v[4:5], v[206:207], v[208:209], v[4:5]
	scratch_load_b128 v[204:207], off, off offset:928
	s_waitcnt vmcnt(0)
	v_add_f64 v[204:205], v[204:205], -v[0:1]
	v_add_f64 v[206:207], v[206:207], -v[4:5]
	scratch_store_b128 off, v[204:207], off offset:928
	ds_load_2addr_b64 v[204:207], v248 offset0:118 offset1:119
	s_waitcnt lgkmcnt(0)
	;; [unrolled: 12-line block ×4, first 2 shown]
	v_mul_f64 v[0:1], v[206:207], v[210:211]
	v_mul_f64 v[4:5], v[204:205], v[210:211]
	s_delay_alu instid0(VALU_DEP_2) | instskip(NEXT) | instid1(VALU_DEP_2)
	v_fma_f64 v[0:1], v[204:205], v[208:209], -v[0:1]
	v_fma_f64 v[4:5], v[206:207], v[208:209], v[4:5]
	scratch_load_b128 v[204:207], off, off offset:976
	s_waitcnt vmcnt(0)
	v_add_f64 v[204:205], v[204:205], -v[0:1]
	v_add_f64 v[206:207], v[206:207], -v[4:5]
	scratch_store_b128 off, v[204:207], off offset:976
.LBB123_590:
	s_or_b32 exec_lo, exec_lo, s3
	s_delay_alu instid0(SALU_CYCLE_1)
	s_mov_b32 s4, exec_lo
	s_waitcnt lgkmcnt(0)
	s_waitcnt_vscnt null, 0x0
	s_barrier
	buffer_gl0_inv
	v_cmpx_eq_u32_e32 51, v252
	s_cbranch_execz .LBB123_597
; %bb.591:
	scratch_load_b32 v0, off, off offset:1012 ; 4-byte Folded Reload
	s_waitcnt vmcnt(0)
	scratch_load_b128 v[204:207], v0, off
	scratch_load_b32 v0, off, off offset:1008 ; 4-byte Folded Reload
	s_waitcnt vmcnt(1)
	ds_store_2addr_b64 v255, v[204:205], v[206:207] offset1:1
	s_waitcnt vmcnt(0)
	scratch_load_b128 v[204:207], v0, off
	scratch_load_b32 v0, off, off offset:1004 ; 4-byte Folded Reload
	s_waitcnt vmcnt(1)
	ds_store_2addr_b64 v248, v[204:205], v[206:207] offset0:104 offset1:105
	s_waitcnt vmcnt(0)
	scratch_load_b128 v[204:207], v0, off
	scratch_load_b32 v0, off, off offset:1000 ; 4-byte Folded Reload
	s_waitcnt vmcnt(1)
	ds_store_2addr_b64 v248, v[204:205], v[206:207] offset0:106 offset1:107
	;; [unrolled: 5-line block ×4, first 2 shown]
	s_waitcnt vmcnt(0)
	scratch_load_b128 v[204:207], v0, off
	s_waitcnt vmcnt(0)
	ds_store_2addr_b64 v248, v[204:205], v[206:207] offset0:112 offset1:113
	scratch_load_b128 v[204:207], v249, off
	s_waitcnt vmcnt(0)
	ds_store_2addr_b64 v248, v[204:205], v[206:207] offset0:114 offset1:115
	;; [unrolled: 3-line block ×6, first 2 shown]
	ds_load_2addr_b64 v[204:207], v255 offset1:1
	s_waitcnt lgkmcnt(0)
	v_cmp_neq_f64_e32 vcc_lo, 0, v[204:205]
	v_cmp_neq_f64_e64 s3, 0, v[206:207]
	s_delay_alu instid0(VALU_DEP_1) | instskip(NEXT) | instid1(SALU_CYCLE_1)
	s_or_b32 s3, vcc_lo, s3
	s_and_b32 exec_lo, exec_lo, s3
	s_cbranch_execz .LBB123_597
; %bb.592:
	v_cmp_gt_f64_e32 vcc_lo, 0, v[204:205]
	v_xor_b32_e32 v0, 0x80000000, v205
	v_xor_b32_e32 v4, 0x80000000, v207
	s_delay_alu instid0(VALU_DEP_2) | instskip(SKIP_2) | instid1(VALU_DEP_4)
	v_cndmask_b32_e32 v1, v205, v0, vcc_lo
	v_cndmask_b32_e32 v0, v204, v204, vcc_lo
	v_cmp_gt_f64_e32 vcc_lo, 0, v[206:207]
	v_dual_cndmask_b32 v5, v207, v4 :: v_dual_cndmask_b32 v4, v206, v206
	s_delay_alu instid0(VALU_DEP_1) | instskip(SKIP_1) | instid1(SALU_CYCLE_1)
	v_cmp_ngt_f64_e32 vcc_lo, v[0:1], v[4:5]
                                        ; implicit-def: $vgpr0_vgpr1
	s_and_saveexec_b32 s3, vcc_lo
	s_xor_b32 s3, exec_lo, s3
                                        ; implicit-def: $vgpr208_vgpr209_vgpr210_vgpr211
	s_cbranch_execz .LBB123_594
; %bb.593:
	v_div_scale_f64 v[0:1], null, v[206:207], v[206:207], v[204:205]
	v_div_scale_f64 v[208:209], vcc_lo, v[204:205], v[206:207], v[204:205]
	s_delay_alu instid0(VALU_DEP_2) | instskip(SKIP_2) | instid1(VALU_DEP_1)
	v_rcp_f64_e32 v[4:5], v[0:1]
	s_waitcnt_depctr 0xfff
	v_fma_f64 v[6:7], -v[0:1], v[4:5], 1.0
	v_fma_f64 v[4:5], v[4:5], v[6:7], v[4:5]
	s_delay_alu instid0(VALU_DEP_1) | instskip(NEXT) | instid1(VALU_DEP_1)
	v_fma_f64 v[6:7], -v[0:1], v[4:5], 1.0
	v_fma_f64 v[4:5], v[4:5], v[6:7], v[4:5]
	s_delay_alu instid0(VALU_DEP_1) | instskip(NEXT) | instid1(VALU_DEP_1)
	v_mul_f64 v[6:7], v[208:209], v[4:5]
	v_fma_f64 v[0:1], -v[0:1], v[6:7], v[208:209]
	s_delay_alu instid0(VALU_DEP_1) | instskip(NEXT) | instid1(VALU_DEP_1)
	v_div_fmas_f64 v[0:1], v[0:1], v[4:5], v[6:7]
	v_div_fixup_f64 v[0:1], v[0:1], v[206:207], v[204:205]
	s_delay_alu instid0(VALU_DEP_1) | instskip(NEXT) | instid1(VALU_DEP_1)
	v_fma_f64 v[4:5], v[204:205], v[0:1], v[206:207]
	v_div_scale_f64 v[6:7], null, v[4:5], v[4:5], 1.0
	s_delay_alu instid0(VALU_DEP_1) | instskip(SKIP_2) | instid1(VALU_DEP_1)
	v_rcp_f64_e32 v[204:205], v[6:7]
	s_waitcnt_depctr 0xfff
	v_fma_f64 v[206:207], -v[6:7], v[204:205], 1.0
	v_fma_f64 v[204:205], v[204:205], v[206:207], v[204:205]
	s_delay_alu instid0(VALU_DEP_1) | instskip(NEXT) | instid1(VALU_DEP_1)
	v_fma_f64 v[206:207], -v[6:7], v[204:205], 1.0
	v_fma_f64 v[204:205], v[204:205], v[206:207], v[204:205]
	v_div_scale_f64 v[206:207], vcc_lo, 1.0, v[4:5], 1.0
	s_delay_alu instid0(VALU_DEP_1) | instskip(NEXT) | instid1(VALU_DEP_1)
	v_mul_f64 v[208:209], v[206:207], v[204:205]
	v_fma_f64 v[6:7], -v[6:7], v[208:209], v[206:207]
	s_delay_alu instid0(VALU_DEP_1) | instskip(NEXT) | instid1(VALU_DEP_1)
	v_div_fmas_f64 v[6:7], v[6:7], v[204:205], v[208:209]
                                        ; implicit-def: $vgpr204_vgpr205
	v_div_fixup_f64 v[210:211], v[6:7], v[4:5], 1.0
	s_delay_alu instid0(VALU_DEP_1)
	v_mul_f64 v[0:1], v[0:1], v[210:211]
	v_xor_b32_e32 v211, 0x80000000, v211
.LBB123_594:
	s_and_not1_saveexec_b32 s3, s3
	s_cbranch_execz .LBB123_596
; %bb.595:
	v_div_scale_f64 v[0:1], null, v[204:205], v[204:205], v[206:207]
	v_div_scale_f64 v[208:209], vcc_lo, v[206:207], v[204:205], v[206:207]
	s_delay_alu instid0(VALU_DEP_2) | instskip(SKIP_2) | instid1(VALU_DEP_1)
	v_rcp_f64_e32 v[4:5], v[0:1]
	s_waitcnt_depctr 0xfff
	v_fma_f64 v[6:7], -v[0:1], v[4:5], 1.0
	v_fma_f64 v[4:5], v[4:5], v[6:7], v[4:5]
	s_delay_alu instid0(VALU_DEP_1) | instskip(NEXT) | instid1(VALU_DEP_1)
	v_fma_f64 v[6:7], -v[0:1], v[4:5], 1.0
	v_fma_f64 v[4:5], v[4:5], v[6:7], v[4:5]
	s_delay_alu instid0(VALU_DEP_1) | instskip(NEXT) | instid1(VALU_DEP_1)
	v_mul_f64 v[6:7], v[208:209], v[4:5]
	v_fma_f64 v[0:1], -v[0:1], v[6:7], v[208:209]
	s_delay_alu instid0(VALU_DEP_1) | instskip(NEXT) | instid1(VALU_DEP_1)
	v_div_fmas_f64 v[0:1], v[0:1], v[4:5], v[6:7]
	v_div_fixup_f64 v[4:5], v[0:1], v[204:205], v[206:207]
	s_delay_alu instid0(VALU_DEP_1) | instskip(NEXT) | instid1(VALU_DEP_1)
	v_fma_f64 v[0:1], v[206:207], v[4:5], v[204:205]
	v_div_scale_f64 v[6:7], null, v[0:1], v[0:1], 1.0
	s_delay_alu instid0(VALU_DEP_1) | instskip(SKIP_2) | instid1(VALU_DEP_1)
	v_rcp_f64_e32 v[204:205], v[6:7]
	s_waitcnt_depctr 0xfff
	v_fma_f64 v[206:207], -v[6:7], v[204:205], 1.0
	v_fma_f64 v[204:205], v[204:205], v[206:207], v[204:205]
	s_delay_alu instid0(VALU_DEP_1) | instskip(NEXT) | instid1(VALU_DEP_1)
	v_fma_f64 v[206:207], -v[6:7], v[204:205], 1.0
	v_fma_f64 v[204:205], v[204:205], v[206:207], v[204:205]
	v_div_scale_f64 v[206:207], vcc_lo, 1.0, v[0:1], 1.0
	s_delay_alu instid0(VALU_DEP_1) | instskip(NEXT) | instid1(VALU_DEP_1)
	v_mul_f64 v[208:209], v[206:207], v[204:205]
	v_fma_f64 v[6:7], -v[6:7], v[208:209], v[206:207]
	s_delay_alu instid0(VALU_DEP_1) | instskip(NEXT) | instid1(VALU_DEP_1)
	v_div_fmas_f64 v[6:7], v[6:7], v[204:205], v[208:209]
	v_div_fixup_f64 v[0:1], v[6:7], v[0:1], 1.0
	s_delay_alu instid0(VALU_DEP_1)
	v_mul_f64 v[210:211], v[4:5], -v[0:1]
.LBB123_596:
	s_or_b32 exec_lo, exec_lo, s3
	ds_store_2addr_b64 v255, v[0:1], v[210:211] offset1:1
.LBB123_597:
	s_or_b32 exec_lo, exec_lo, s4
	s_waitcnt lgkmcnt(0)
	s_barrier
	buffer_gl0_inv
	ds_load_2addr_b64 v[204:207], v255 offset1:1
	s_mov_b32 s3, exec_lo
	v_cmpx_lt_u32_e32 51, v252
	s_cbranch_execz .LBB123_599
; %bb.598:
	scratch_load_b128 v[208:211], off, off offset:816
	s_waitcnt vmcnt(0) lgkmcnt(0)
	v_mul_f64 v[0:1], v[206:207], v[210:211]
	s_delay_alu instid0(VALU_DEP_1) | instskip(SKIP_1) | instid1(VALU_DEP_1)
	v_fma_f64 v[212:213], v[204:205], v[208:209], -v[0:1]
	v_mul_f64 v[0:1], v[204:205], v[210:211]
	v_fma_f64 v[214:215], v[206:207], v[208:209], v[0:1]
	ds_load_2addr_b64 v[208:211], v248 offset0:104 offset1:105
	s_waitcnt lgkmcnt(0)
	v_mul_f64 v[0:1], v[210:211], v[214:215]
	v_mul_f64 v[4:5], v[208:209], v[214:215]
	s_delay_alu instid0(VALU_DEP_2) | instskip(NEXT) | instid1(VALU_DEP_2)
	v_fma_f64 v[0:1], v[208:209], v[212:213], -v[0:1]
	v_fma_f64 v[4:5], v[210:211], v[212:213], v[4:5]
	scratch_load_b128 v[208:211], off, off offset:832
	s_waitcnt vmcnt(0)
	v_add_f64 v[208:209], v[208:209], -v[0:1]
	v_add_f64 v[210:211], v[210:211], -v[4:5]
	s_clause 0x1
	scratch_store_b128 off, v[212:215], off offset:816
	scratch_store_b128 off, v[208:211], off offset:832
	ds_load_2addr_b64 v[208:211], v248 offset0:106 offset1:107
	s_waitcnt lgkmcnt(0)
	v_mul_f64 v[0:1], v[210:211], v[214:215]
	v_mul_f64 v[4:5], v[208:209], v[214:215]
	s_delay_alu instid0(VALU_DEP_2) | instskip(NEXT) | instid1(VALU_DEP_2)
	v_fma_f64 v[0:1], v[208:209], v[212:213], -v[0:1]
	v_fma_f64 v[4:5], v[210:211], v[212:213], v[4:5]
	scratch_load_b128 v[208:211], off, off offset:848
	s_waitcnt vmcnt(0)
	v_add_f64 v[208:209], v[208:209], -v[0:1]
	v_add_f64 v[210:211], v[210:211], -v[4:5]
	scratch_store_b128 off, v[208:211], off offset:848
	ds_load_2addr_b64 v[208:211], v248 offset0:108 offset1:109
	s_waitcnt lgkmcnt(0)
	v_mul_f64 v[0:1], v[210:211], v[214:215]
	v_mul_f64 v[4:5], v[208:209], v[214:215]
	s_delay_alu instid0(VALU_DEP_2) | instskip(NEXT) | instid1(VALU_DEP_2)
	v_fma_f64 v[0:1], v[208:209], v[212:213], -v[0:1]
	v_fma_f64 v[4:5], v[210:211], v[212:213], v[4:5]
	scratch_load_b128 v[208:211], off, off offset:864
	s_waitcnt vmcnt(0)
	v_add_f64 v[208:209], v[208:209], -v[0:1]
	v_add_f64 v[210:211], v[210:211], -v[4:5]
	;; [unrolled: 12-line block ×4, first 2 shown]
	scratch_store_b128 off, v[208:211], off offset:896
	ds_load_2addr_b64 v[208:211], v248 offset0:114 offset1:115
	s_waitcnt lgkmcnt(0)
	v_mul_f64 v[0:1], v[210:211], v[214:215]
	v_mul_f64 v[4:5], v[208:209], v[214:215]
	s_delay_alu instid0(VALU_DEP_2) | instskip(NEXT) | instid1(VALU_DEP_2)
	v_fma_f64 v[0:1], v[208:209], v[212:213], -v[0:1]
	v_fma_f64 v[4:5], v[210:211], v[212:213], v[4:5]
	s_clause 0x1
	scratch_load_b128 v[208:211], off, off offset:912
	scratch_load_b128 v[212:215], off, off offset:816
	s_waitcnt vmcnt(1)
	v_add_f64 v[208:209], v[208:209], -v[0:1]
	v_add_f64 v[210:211], v[210:211], -v[4:5]
	scratch_store_b128 off, v[208:211], off offset:912
	ds_load_2addr_b64 v[208:211], v248 offset0:116 offset1:117
	s_waitcnt vmcnt(0) lgkmcnt(0)
	v_mul_f64 v[0:1], v[210:211], v[214:215]
	v_mul_f64 v[4:5], v[208:209], v[214:215]
	s_delay_alu instid0(VALU_DEP_2) | instskip(NEXT) | instid1(VALU_DEP_2)
	v_fma_f64 v[0:1], v[208:209], v[212:213], -v[0:1]
	v_fma_f64 v[4:5], v[210:211], v[212:213], v[4:5]
	scratch_load_b128 v[208:211], off, off offset:928
	s_waitcnt vmcnt(0)
	v_add_f64 v[208:209], v[208:209], -v[0:1]
	v_add_f64 v[210:211], v[210:211], -v[4:5]
	scratch_store_b128 off, v[208:211], off offset:928
	ds_load_2addr_b64 v[208:211], v248 offset0:118 offset1:119
	s_waitcnt lgkmcnt(0)
	v_mul_f64 v[0:1], v[210:211], v[214:215]
	v_mul_f64 v[4:5], v[208:209], v[214:215]
	s_delay_alu instid0(VALU_DEP_2) | instskip(NEXT) | instid1(VALU_DEP_2)
	v_fma_f64 v[0:1], v[208:209], v[212:213], -v[0:1]
	v_fma_f64 v[4:5], v[210:211], v[212:213], v[4:5]
	scratch_load_b128 v[208:211], off, off offset:944
	s_waitcnt vmcnt(0)
	v_add_f64 v[208:209], v[208:209], -v[0:1]
	v_add_f64 v[210:211], v[210:211], -v[4:5]
	scratch_store_b128 off, v[208:211], off offset:944
	ds_load_2addr_b64 v[208:211], v248 offset0:120 offset1:121
	s_waitcnt lgkmcnt(0)
	;; [unrolled: 12-line block ×3, first 2 shown]
	v_mul_f64 v[0:1], v[210:211], v[214:215]
	v_mul_f64 v[4:5], v[208:209], v[214:215]
	s_delay_alu instid0(VALU_DEP_2) | instskip(NEXT) | instid1(VALU_DEP_2)
	v_fma_f64 v[0:1], v[208:209], v[212:213], -v[0:1]
	v_fma_f64 v[4:5], v[210:211], v[212:213], v[4:5]
	scratch_load_b128 v[208:211], off, off offset:976
	s_waitcnt vmcnt(0)
	v_add_f64 v[208:209], v[208:209], -v[0:1]
	v_add_f64 v[210:211], v[210:211], -v[4:5]
	scratch_store_b128 off, v[208:211], off offset:976
.LBB123_599:
	s_or_b32 exec_lo, exec_lo, s3
	s_delay_alu instid0(SALU_CYCLE_1)
	s_mov_b32 s4, exec_lo
	s_waitcnt lgkmcnt(0)
	s_waitcnt_vscnt null, 0x0
	s_barrier
	buffer_gl0_inv
	v_cmpx_eq_u32_e32 52, v252
	s_cbranch_execz .LBB123_606
; %bb.600:
	scratch_load_b32 v0, off, off offset:1008 ; 4-byte Folded Reload
	s_waitcnt vmcnt(0)
	scratch_load_b128 v[208:211], v0, off
	scratch_load_b32 v0, off, off offset:1004 ; 4-byte Folded Reload
	s_waitcnt vmcnt(1)
	ds_store_2addr_b64 v255, v[208:209], v[210:211] offset1:1
	s_waitcnt vmcnt(0)
	scratch_load_b128 v[208:211], v0, off
	scratch_load_b32 v0, off, off offset:1000 ; 4-byte Folded Reload
	s_waitcnt vmcnt(1)
	ds_store_2addr_b64 v248, v[208:209], v[210:211] offset0:106 offset1:107
	s_waitcnt vmcnt(0)
	scratch_load_b128 v[208:211], v0, off
	scratch_load_b32 v0, off, off offset:996 ; 4-byte Folded Reload
	s_waitcnt vmcnt(1)
	ds_store_2addr_b64 v248, v[208:209], v[210:211] offset0:108 offset1:109
	;; [unrolled: 5-line block ×3, first 2 shown]
	s_waitcnt vmcnt(0)
	scratch_load_b128 v[208:211], v0, off
	s_waitcnt vmcnt(0)
	ds_store_2addr_b64 v248, v[208:209], v[210:211] offset0:112 offset1:113
	scratch_load_b128 v[208:211], v249, off
	s_waitcnt vmcnt(0)
	ds_store_2addr_b64 v248, v[208:209], v[210:211] offset0:114 offset1:115
	;; [unrolled: 3-line block ×6, first 2 shown]
	ds_load_2addr_b64 v[208:211], v255 offset1:1
	s_waitcnt lgkmcnt(0)
	v_cmp_neq_f64_e32 vcc_lo, 0, v[208:209]
	v_cmp_neq_f64_e64 s3, 0, v[210:211]
	s_delay_alu instid0(VALU_DEP_1) | instskip(NEXT) | instid1(SALU_CYCLE_1)
	s_or_b32 s3, vcc_lo, s3
	s_and_b32 exec_lo, exec_lo, s3
	s_cbranch_execz .LBB123_606
; %bb.601:
	v_cmp_gt_f64_e32 vcc_lo, 0, v[208:209]
	v_xor_b32_e32 v0, 0x80000000, v209
	v_xor_b32_e32 v4, 0x80000000, v211
	s_delay_alu instid0(VALU_DEP_2) | instskip(SKIP_2) | instid1(VALU_DEP_4)
	v_cndmask_b32_e32 v1, v209, v0, vcc_lo
	v_cndmask_b32_e32 v0, v208, v208, vcc_lo
	v_cmp_gt_f64_e32 vcc_lo, 0, v[210:211]
	v_dual_cndmask_b32 v5, v211, v4 :: v_dual_cndmask_b32 v4, v210, v210
	s_delay_alu instid0(VALU_DEP_1) | instskip(SKIP_1) | instid1(SALU_CYCLE_1)
	v_cmp_ngt_f64_e32 vcc_lo, v[0:1], v[4:5]
                                        ; implicit-def: $vgpr0_vgpr1
	s_and_saveexec_b32 s3, vcc_lo
	s_xor_b32 s3, exec_lo, s3
                                        ; implicit-def: $vgpr212_vgpr213_vgpr214_vgpr215
	s_cbranch_execz .LBB123_603
; %bb.602:
	v_div_scale_f64 v[0:1], null, v[210:211], v[210:211], v[208:209]
	v_div_scale_f64 v[212:213], vcc_lo, v[208:209], v[210:211], v[208:209]
	s_delay_alu instid0(VALU_DEP_2) | instskip(SKIP_2) | instid1(VALU_DEP_1)
	v_rcp_f64_e32 v[4:5], v[0:1]
	s_waitcnt_depctr 0xfff
	v_fma_f64 v[6:7], -v[0:1], v[4:5], 1.0
	v_fma_f64 v[4:5], v[4:5], v[6:7], v[4:5]
	s_delay_alu instid0(VALU_DEP_1) | instskip(NEXT) | instid1(VALU_DEP_1)
	v_fma_f64 v[6:7], -v[0:1], v[4:5], 1.0
	v_fma_f64 v[4:5], v[4:5], v[6:7], v[4:5]
	s_delay_alu instid0(VALU_DEP_1) | instskip(NEXT) | instid1(VALU_DEP_1)
	v_mul_f64 v[6:7], v[212:213], v[4:5]
	v_fma_f64 v[0:1], -v[0:1], v[6:7], v[212:213]
	s_delay_alu instid0(VALU_DEP_1) | instskip(NEXT) | instid1(VALU_DEP_1)
	v_div_fmas_f64 v[0:1], v[0:1], v[4:5], v[6:7]
	v_div_fixup_f64 v[0:1], v[0:1], v[210:211], v[208:209]
	s_delay_alu instid0(VALU_DEP_1) | instskip(NEXT) | instid1(VALU_DEP_1)
	v_fma_f64 v[4:5], v[208:209], v[0:1], v[210:211]
	v_div_scale_f64 v[6:7], null, v[4:5], v[4:5], 1.0
	s_delay_alu instid0(VALU_DEP_1) | instskip(SKIP_2) | instid1(VALU_DEP_1)
	v_rcp_f64_e32 v[208:209], v[6:7]
	s_waitcnt_depctr 0xfff
	v_fma_f64 v[210:211], -v[6:7], v[208:209], 1.0
	v_fma_f64 v[208:209], v[208:209], v[210:211], v[208:209]
	s_delay_alu instid0(VALU_DEP_1) | instskip(NEXT) | instid1(VALU_DEP_1)
	v_fma_f64 v[210:211], -v[6:7], v[208:209], 1.0
	v_fma_f64 v[208:209], v[208:209], v[210:211], v[208:209]
	v_div_scale_f64 v[210:211], vcc_lo, 1.0, v[4:5], 1.0
	s_delay_alu instid0(VALU_DEP_1) | instskip(NEXT) | instid1(VALU_DEP_1)
	v_mul_f64 v[212:213], v[210:211], v[208:209]
	v_fma_f64 v[6:7], -v[6:7], v[212:213], v[210:211]
	s_delay_alu instid0(VALU_DEP_1) | instskip(NEXT) | instid1(VALU_DEP_1)
	v_div_fmas_f64 v[6:7], v[6:7], v[208:209], v[212:213]
                                        ; implicit-def: $vgpr208_vgpr209
	v_div_fixup_f64 v[214:215], v[6:7], v[4:5], 1.0
	s_delay_alu instid0(VALU_DEP_1)
	v_mul_f64 v[0:1], v[0:1], v[214:215]
	v_xor_b32_e32 v215, 0x80000000, v215
.LBB123_603:
	s_and_not1_saveexec_b32 s3, s3
	s_cbranch_execz .LBB123_605
; %bb.604:
	v_div_scale_f64 v[0:1], null, v[208:209], v[208:209], v[210:211]
	v_div_scale_f64 v[212:213], vcc_lo, v[210:211], v[208:209], v[210:211]
	s_delay_alu instid0(VALU_DEP_2) | instskip(SKIP_2) | instid1(VALU_DEP_1)
	v_rcp_f64_e32 v[4:5], v[0:1]
	s_waitcnt_depctr 0xfff
	v_fma_f64 v[6:7], -v[0:1], v[4:5], 1.0
	v_fma_f64 v[4:5], v[4:5], v[6:7], v[4:5]
	s_delay_alu instid0(VALU_DEP_1) | instskip(NEXT) | instid1(VALU_DEP_1)
	v_fma_f64 v[6:7], -v[0:1], v[4:5], 1.0
	v_fma_f64 v[4:5], v[4:5], v[6:7], v[4:5]
	s_delay_alu instid0(VALU_DEP_1) | instskip(NEXT) | instid1(VALU_DEP_1)
	v_mul_f64 v[6:7], v[212:213], v[4:5]
	v_fma_f64 v[0:1], -v[0:1], v[6:7], v[212:213]
	s_delay_alu instid0(VALU_DEP_1) | instskip(NEXT) | instid1(VALU_DEP_1)
	v_div_fmas_f64 v[0:1], v[0:1], v[4:5], v[6:7]
	v_div_fixup_f64 v[4:5], v[0:1], v[208:209], v[210:211]
	s_delay_alu instid0(VALU_DEP_1) | instskip(NEXT) | instid1(VALU_DEP_1)
	v_fma_f64 v[0:1], v[210:211], v[4:5], v[208:209]
	v_div_scale_f64 v[6:7], null, v[0:1], v[0:1], 1.0
	s_delay_alu instid0(VALU_DEP_1) | instskip(SKIP_2) | instid1(VALU_DEP_1)
	v_rcp_f64_e32 v[208:209], v[6:7]
	s_waitcnt_depctr 0xfff
	v_fma_f64 v[210:211], -v[6:7], v[208:209], 1.0
	v_fma_f64 v[208:209], v[208:209], v[210:211], v[208:209]
	s_delay_alu instid0(VALU_DEP_1) | instskip(NEXT) | instid1(VALU_DEP_1)
	v_fma_f64 v[210:211], -v[6:7], v[208:209], 1.0
	v_fma_f64 v[208:209], v[208:209], v[210:211], v[208:209]
	v_div_scale_f64 v[210:211], vcc_lo, 1.0, v[0:1], 1.0
	s_delay_alu instid0(VALU_DEP_1) | instskip(NEXT) | instid1(VALU_DEP_1)
	v_mul_f64 v[212:213], v[210:211], v[208:209]
	v_fma_f64 v[6:7], -v[6:7], v[212:213], v[210:211]
	s_delay_alu instid0(VALU_DEP_1) | instskip(NEXT) | instid1(VALU_DEP_1)
	v_div_fmas_f64 v[6:7], v[6:7], v[208:209], v[212:213]
	v_div_fixup_f64 v[0:1], v[6:7], v[0:1], 1.0
	s_delay_alu instid0(VALU_DEP_1)
	v_mul_f64 v[214:215], v[4:5], -v[0:1]
.LBB123_605:
	s_or_b32 exec_lo, exec_lo, s3
	ds_store_2addr_b64 v255, v[0:1], v[214:215] offset1:1
.LBB123_606:
	s_or_b32 exec_lo, exec_lo, s4
	s_waitcnt lgkmcnt(0)
	s_barrier
	buffer_gl0_inv
	ds_load_2addr_b64 v[208:211], v255 offset1:1
	s_mov_b32 s3, exec_lo
	v_cmpx_lt_u32_e32 52, v252
	s_cbranch_execz .LBB123_608
; %bb.607:
	scratch_load_b128 v[212:215], off, off offset:832
	s_waitcnt vmcnt(0) lgkmcnt(0)
	v_mul_f64 v[0:1], v[210:211], v[214:215]
	s_delay_alu instid0(VALU_DEP_1) | instskip(SKIP_1) | instid1(VALU_DEP_1)
	v_fma_f64 v[216:217], v[208:209], v[212:213], -v[0:1]
	v_mul_f64 v[0:1], v[208:209], v[214:215]
	v_fma_f64 v[218:219], v[210:211], v[212:213], v[0:1]
	ds_load_2addr_b64 v[212:215], v248 offset0:106 offset1:107
	s_waitcnt lgkmcnt(0)
	v_mul_f64 v[0:1], v[214:215], v[218:219]
	v_mul_f64 v[4:5], v[212:213], v[218:219]
	s_delay_alu instid0(VALU_DEP_2) | instskip(NEXT) | instid1(VALU_DEP_2)
	v_fma_f64 v[0:1], v[212:213], v[216:217], -v[0:1]
	v_fma_f64 v[4:5], v[214:215], v[216:217], v[4:5]
	scratch_load_b128 v[212:215], off, off offset:848
	s_waitcnt vmcnt(0)
	v_add_f64 v[212:213], v[212:213], -v[0:1]
	v_add_f64 v[214:215], v[214:215], -v[4:5]
	s_clause 0x1
	scratch_store_b128 off, v[216:219], off offset:832
	scratch_store_b128 off, v[212:215], off offset:848
	ds_load_2addr_b64 v[212:215], v248 offset0:108 offset1:109
	s_waitcnt lgkmcnt(0)
	v_mul_f64 v[0:1], v[214:215], v[218:219]
	v_mul_f64 v[4:5], v[212:213], v[218:219]
	s_delay_alu instid0(VALU_DEP_2) | instskip(NEXT) | instid1(VALU_DEP_2)
	v_fma_f64 v[0:1], v[212:213], v[216:217], -v[0:1]
	v_fma_f64 v[4:5], v[214:215], v[216:217], v[4:5]
	scratch_load_b128 v[212:215], off, off offset:864
	s_waitcnt vmcnt(0)
	v_add_f64 v[212:213], v[212:213], -v[0:1]
	v_add_f64 v[214:215], v[214:215], -v[4:5]
	scratch_store_b128 off, v[212:215], off offset:864
	ds_load_2addr_b64 v[212:215], v248 offset0:110 offset1:111
	s_waitcnt lgkmcnt(0)
	v_mul_f64 v[0:1], v[214:215], v[218:219]
	v_mul_f64 v[4:5], v[212:213], v[218:219]
	s_delay_alu instid0(VALU_DEP_2) | instskip(NEXT) | instid1(VALU_DEP_2)
	v_fma_f64 v[0:1], v[212:213], v[216:217], -v[0:1]
	v_fma_f64 v[4:5], v[214:215], v[216:217], v[4:5]
	scratch_load_b128 v[212:215], off, off offset:880
	s_waitcnt vmcnt(0)
	v_add_f64 v[212:213], v[212:213], -v[0:1]
	v_add_f64 v[214:215], v[214:215], -v[4:5]
	;; [unrolled: 12-line block ×4, first 2 shown]
	scratch_store_b128 off, v[212:215], off offset:912
	ds_load_2addr_b64 v[212:215], v248 offset0:116 offset1:117
	s_waitcnt lgkmcnt(0)
	v_mul_f64 v[0:1], v[214:215], v[218:219]
	v_mul_f64 v[4:5], v[212:213], v[218:219]
	s_delay_alu instid0(VALU_DEP_2) | instskip(NEXT) | instid1(VALU_DEP_2)
	v_fma_f64 v[0:1], v[212:213], v[216:217], -v[0:1]
	v_fma_f64 v[4:5], v[214:215], v[216:217], v[4:5]
	s_clause 0x1
	scratch_load_b128 v[212:215], off, off offset:928
	scratch_load_b128 v[216:219], off, off offset:832
	s_waitcnt vmcnt(1)
	v_add_f64 v[212:213], v[212:213], -v[0:1]
	v_add_f64 v[214:215], v[214:215], -v[4:5]
	scratch_store_b128 off, v[212:215], off offset:928
	ds_load_2addr_b64 v[212:215], v248 offset0:118 offset1:119
	s_waitcnt vmcnt(0) lgkmcnt(0)
	v_mul_f64 v[0:1], v[214:215], v[218:219]
	v_mul_f64 v[4:5], v[212:213], v[218:219]
	s_delay_alu instid0(VALU_DEP_2) | instskip(NEXT) | instid1(VALU_DEP_2)
	v_fma_f64 v[0:1], v[212:213], v[216:217], -v[0:1]
	v_fma_f64 v[4:5], v[214:215], v[216:217], v[4:5]
	scratch_load_b128 v[212:215], off, off offset:944
	s_waitcnt vmcnt(0)
	v_add_f64 v[212:213], v[212:213], -v[0:1]
	v_add_f64 v[214:215], v[214:215], -v[4:5]
	scratch_store_b128 off, v[212:215], off offset:944
	ds_load_2addr_b64 v[212:215], v248 offset0:120 offset1:121
	s_waitcnt lgkmcnt(0)
	v_mul_f64 v[0:1], v[214:215], v[218:219]
	v_mul_f64 v[4:5], v[212:213], v[218:219]
	s_delay_alu instid0(VALU_DEP_2) | instskip(NEXT) | instid1(VALU_DEP_2)
	v_fma_f64 v[0:1], v[212:213], v[216:217], -v[0:1]
	v_fma_f64 v[4:5], v[214:215], v[216:217], v[4:5]
	scratch_load_b128 v[212:215], off, off offset:960
	s_waitcnt vmcnt(0)
	v_add_f64 v[212:213], v[212:213], -v[0:1]
	v_add_f64 v[214:215], v[214:215], -v[4:5]
	scratch_store_b128 off, v[212:215], off offset:960
	ds_load_2addr_b64 v[212:215], v248 offset0:122 offset1:123
	s_waitcnt lgkmcnt(0)
	v_mul_f64 v[0:1], v[214:215], v[218:219]
	v_mul_f64 v[4:5], v[212:213], v[218:219]
	s_delay_alu instid0(VALU_DEP_2) | instskip(NEXT) | instid1(VALU_DEP_2)
	v_fma_f64 v[0:1], v[212:213], v[216:217], -v[0:1]
	v_fma_f64 v[4:5], v[214:215], v[216:217], v[4:5]
	scratch_load_b128 v[212:215], off, off offset:976
	s_waitcnt vmcnt(0)
	v_add_f64 v[212:213], v[212:213], -v[0:1]
	v_add_f64 v[214:215], v[214:215], -v[4:5]
	scratch_store_b128 off, v[212:215], off offset:976
.LBB123_608:
	s_or_b32 exec_lo, exec_lo, s3
	s_delay_alu instid0(SALU_CYCLE_1)
	s_mov_b32 s4, exec_lo
	s_waitcnt lgkmcnt(0)
	s_waitcnt_vscnt null, 0x0
	s_barrier
	buffer_gl0_inv
	v_cmpx_eq_u32_e32 53, v252
	s_cbranch_execz .LBB123_615
; %bb.609:
	scratch_load_b32 v0, off, off offset:1004 ; 4-byte Folded Reload
	s_waitcnt vmcnt(0)
	scratch_load_b128 v[212:215], v0, off
	scratch_load_b32 v0, off, off offset:1000 ; 4-byte Folded Reload
	s_waitcnt vmcnt(1)
	ds_store_2addr_b64 v255, v[212:213], v[214:215] offset1:1
	s_waitcnt vmcnt(0)
	scratch_load_b128 v[212:215], v0, off
	scratch_load_b32 v0, off, off offset:996 ; 4-byte Folded Reload
	s_waitcnt vmcnt(1)
	ds_store_2addr_b64 v248, v[212:213], v[214:215] offset0:108 offset1:109
	s_waitcnt vmcnt(0)
	scratch_load_b128 v[212:215], v0, off
	scratch_load_b32 v0, off, off offset:992 ; 4-byte Folded Reload
	s_waitcnt vmcnt(1)
	ds_store_2addr_b64 v248, v[212:213], v[214:215] offset0:110 offset1:111
	s_waitcnt vmcnt(0)
	scratch_load_b128 v[212:215], v0, off
	s_waitcnt vmcnt(0)
	ds_store_2addr_b64 v248, v[212:213], v[214:215] offset0:112 offset1:113
	scratch_load_b128 v[212:215], v249, off
	s_waitcnt vmcnt(0)
	ds_store_2addr_b64 v248, v[212:213], v[214:215] offset0:114 offset1:115
	;; [unrolled: 3-line block ×6, first 2 shown]
	ds_load_2addr_b64 v[212:215], v255 offset1:1
	s_waitcnt lgkmcnt(0)
	v_cmp_neq_f64_e32 vcc_lo, 0, v[212:213]
	v_cmp_neq_f64_e64 s3, 0, v[214:215]
	s_delay_alu instid0(VALU_DEP_1) | instskip(NEXT) | instid1(SALU_CYCLE_1)
	s_or_b32 s3, vcc_lo, s3
	s_and_b32 exec_lo, exec_lo, s3
	s_cbranch_execz .LBB123_615
; %bb.610:
	v_cmp_gt_f64_e32 vcc_lo, 0, v[212:213]
	v_xor_b32_e32 v0, 0x80000000, v213
	v_xor_b32_e32 v4, 0x80000000, v215
	s_delay_alu instid0(VALU_DEP_2) | instskip(SKIP_2) | instid1(VALU_DEP_4)
	v_cndmask_b32_e32 v1, v213, v0, vcc_lo
	v_cndmask_b32_e32 v0, v212, v212, vcc_lo
	v_cmp_gt_f64_e32 vcc_lo, 0, v[214:215]
	v_dual_cndmask_b32 v5, v215, v4 :: v_dual_cndmask_b32 v4, v214, v214
	s_delay_alu instid0(VALU_DEP_1) | instskip(SKIP_1) | instid1(SALU_CYCLE_1)
	v_cmp_ngt_f64_e32 vcc_lo, v[0:1], v[4:5]
                                        ; implicit-def: $vgpr0_vgpr1
	s_and_saveexec_b32 s3, vcc_lo
	s_xor_b32 s3, exec_lo, s3
                                        ; implicit-def: $vgpr216_vgpr217_vgpr218_vgpr219
	s_cbranch_execz .LBB123_612
; %bb.611:
	v_div_scale_f64 v[0:1], null, v[214:215], v[214:215], v[212:213]
	v_div_scale_f64 v[216:217], vcc_lo, v[212:213], v[214:215], v[212:213]
	s_delay_alu instid0(VALU_DEP_2) | instskip(SKIP_2) | instid1(VALU_DEP_1)
	v_rcp_f64_e32 v[4:5], v[0:1]
	s_waitcnt_depctr 0xfff
	v_fma_f64 v[6:7], -v[0:1], v[4:5], 1.0
	v_fma_f64 v[4:5], v[4:5], v[6:7], v[4:5]
	s_delay_alu instid0(VALU_DEP_1) | instskip(NEXT) | instid1(VALU_DEP_1)
	v_fma_f64 v[6:7], -v[0:1], v[4:5], 1.0
	v_fma_f64 v[4:5], v[4:5], v[6:7], v[4:5]
	s_delay_alu instid0(VALU_DEP_1) | instskip(NEXT) | instid1(VALU_DEP_1)
	v_mul_f64 v[6:7], v[216:217], v[4:5]
	v_fma_f64 v[0:1], -v[0:1], v[6:7], v[216:217]
	s_delay_alu instid0(VALU_DEP_1) | instskip(NEXT) | instid1(VALU_DEP_1)
	v_div_fmas_f64 v[0:1], v[0:1], v[4:5], v[6:7]
	v_div_fixup_f64 v[0:1], v[0:1], v[214:215], v[212:213]
	s_delay_alu instid0(VALU_DEP_1) | instskip(NEXT) | instid1(VALU_DEP_1)
	v_fma_f64 v[4:5], v[212:213], v[0:1], v[214:215]
	v_div_scale_f64 v[6:7], null, v[4:5], v[4:5], 1.0
	s_delay_alu instid0(VALU_DEP_1) | instskip(SKIP_2) | instid1(VALU_DEP_1)
	v_rcp_f64_e32 v[212:213], v[6:7]
	s_waitcnt_depctr 0xfff
	v_fma_f64 v[214:215], -v[6:7], v[212:213], 1.0
	v_fma_f64 v[212:213], v[212:213], v[214:215], v[212:213]
	s_delay_alu instid0(VALU_DEP_1) | instskip(NEXT) | instid1(VALU_DEP_1)
	v_fma_f64 v[214:215], -v[6:7], v[212:213], 1.0
	v_fma_f64 v[212:213], v[212:213], v[214:215], v[212:213]
	v_div_scale_f64 v[214:215], vcc_lo, 1.0, v[4:5], 1.0
	s_delay_alu instid0(VALU_DEP_1) | instskip(NEXT) | instid1(VALU_DEP_1)
	v_mul_f64 v[216:217], v[214:215], v[212:213]
	v_fma_f64 v[6:7], -v[6:7], v[216:217], v[214:215]
	s_delay_alu instid0(VALU_DEP_1) | instskip(NEXT) | instid1(VALU_DEP_1)
	v_div_fmas_f64 v[6:7], v[6:7], v[212:213], v[216:217]
                                        ; implicit-def: $vgpr212_vgpr213
	v_div_fixup_f64 v[218:219], v[6:7], v[4:5], 1.0
	s_delay_alu instid0(VALU_DEP_1)
	v_mul_f64 v[0:1], v[0:1], v[218:219]
	v_xor_b32_e32 v219, 0x80000000, v219
.LBB123_612:
	s_and_not1_saveexec_b32 s3, s3
	s_cbranch_execz .LBB123_614
; %bb.613:
	v_div_scale_f64 v[0:1], null, v[212:213], v[212:213], v[214:215]
	v_div_scale_f64 v[216:217], vcc_lo, v[214:215], v[212:213], v[214:215]
	s_delay_alu instid0(VALU_DEP_2) | instskip(SKIP_2) | instid1(VALU_DEP_1)
	v_rcp_f64_e32 v[4:5], v[0:1]
	s_waitcnt_depctr 0xfff
	v_fma_f64 v[6:7], -v[0:1], v[4:5], 1.0
	v_fma_f64 v[4:5], v[4:5], v[6:7], v[4:5]
	s_delay_alu instid0(VALU_DEP_1) | instskip(NEXT) | instid1(VALU_DEP_1)
	v_fma_f64 v[6:7], -v[0:1], v[4:5], 1.0
	v_fma_f64 v[4:5], v[4:5], v[6:7], v[4:5]
	s_delay_alu instid0(VALU_DEP_1) | instskip(NEXT) | instid1(VALU_DEP_1)
	v_mul_f64 v[6:7], v[216:217], v[4:5]
	v_fma_f64 v[0:1], -v[0:1], v[6:7], v[216:217]
	s_delay_alu instid0(VALU_DEP_1) | instskip(NEXT) | instid1(VALU_DEP_1)
	v_div_fmas_f64 v[0:1], v[0:1], v[4:5], v[6:7]
	v_div_fixup_f64 v[4:5], v[0:1], v[212:213], v[214:215]
	s_delay_alu instid0(VALU_DEP_1) | instskip(NEXT) | instid1(VALU_DEP_1)
	v_fma_f64 v[0:1], v[214:215], v[4:5], v[212:213]
	v_div_scale_f64 v[6:7], null, v[0:1], v[0:1], 1.0
	s_delay_alu instid0(VALU_DEP_1) | instskip(SKIP_2) | instid1(VALU_DEP_1)
	v_rcp_f64_e32 v[212:213], v[6:7]
	s_waitcnt_depctr 0xfff
	v_fma_f64 v[214:215], -v[6:7], v[212:213], 1.0
	v_fma_f64 v[212:213], v[212:213], v[214:215], v[212:213]
	s_delay_alu instid0(VALU_DEP_1) | instskip(NEXT) | instid1(VALU_DEP_1)
	v_fma_f64 v[214:215], -v[6:7], v[212:213], 1.0
	v_fma_f64 v[212:213], v[212:213], v[214:215], v[212:213]
	v_div_scale_f64 v[214:215], vcc_lo, 1.0, v[0:1], 1.0
	s_delay_alu instid0(VALU_DEP_1) | instskip(NEXT) | instid1(VALU_DEP_1)
	v_mul_f64 v[216:217], v[214:215], v[212:213]
	v_fma_f64 v[6:7], -v[6:7], v[216:217], v[214:215]
	s_delay_alu instid0(VALU_DEP_1) | instskip(NEXT) | instid1(VALU_DEP_1)
	v_div_fmas_f64 v[6:7], v[6:7], v[212:213], v[216:217]
	v_div_fixup_f64 v[0:1], v[6:7], v[0:1], 1.0
	s_delay_alu instid0(VALU_DEP_1)
	v_mul_f64 v[218:219], v[4:5], -v[0:1]
.LBB123_614:
	s_or_b32 exec_lo, exec_lo, s3
	ds_store_2addr_b64 v255, v[0:1], v[218:219] offset1:1
.LBB123_615:
	s_or_b32 exec_lo, exec_lo, s4
	s_waitcnt lgkmcnt(0)
	s_barrier
	buffer_gl0_inv
	ds_load_2addr_b64 v[212:215], v255 offset1:1
	s_mov_b32 s3, exec_lo
	v_cmpx_lt_u32_e32 53, v252
	s_cbranch_execz .LBB123_617
; %bb.616:
	scratch_load_b128 v[216:219], off, off offset:848
	s_waitcnt vmcnt(0) lgkmcnt(0)
	v_mul_f64 v[0:1], v[214:215], v[218:219]
	s_delay_alu instid0(VALU_DEP_1) | instskip(SKIP_1) | instid1(VALU_DEP_1)
	v_fma_f64 v[220:221], v[212:213], v[216:217], -v[0:1]
	v_mul_f64 v[0:1], v[212:213], v[218:219]
	v_fma_f64 v[222:223], v[214:215], v[216:217], v[0:1]
	ds_load_2addr_b64 v[216:219], v248 offset0:108 offset1:109
	s_waitcnt lgkmcnt(0)
	v_mul_f64 v[0:1], v[218:219], v[222:223]
	v_mul_f64 v[4:5], v[216:217], v[222:223]
	s_delay_alu instid0(VALU_DEP_2) | instskip(NEXT) | instid1(VALU_DEP_2)
	v_fma_f64 v[0:1], v[216:217], v[220:221], -v[0:1]
	v_fma_f64 v[4:5], v[218:219], v[220:221], v[4:5]
	scratch_load_b128 v[216:219], off, off offset:864
	s_waitcnt vmcnt(0)
	v_add_f64 v[216:217], v[216:217], -v[0:1]
	v_add_f64 v[218:219], v[218:219], -v[4:5]
	s_clause 0x1
	scratch_store_b128 off, v[220:223], off offset:848
	scratch_store_b128 off, v[216:219], off offset:864
	ds_load_2addr_b64 v[216:219], v248 offset0:110 offset1:111
	s_waitcnt lgkmcnt(0)
	v_mul_f64 v[0:1], v[218:219], v[222:223]
	v_mul_f64 v[4:5], v[216:217], v[222:223]
	s_delay_alu instid0(VALU_DEP_2) | instskip(NEXT) | instid1(VALU_DEP_2)
	v_fma_f64 v[0:1], v[216:217], v[220:221], -v[0:1]
	v_fma_f64 v[4:5], v[218:219], v[220:221], v[4:5]
	scratch_load_b128 v[216:219], off, off offset:880
	s_waitcnt vmcnt(0)
	v_add_f64 v[216:217], v[216:217], -v[0:1]
	v_add_f64 v[218:219], v[218:219], -v[4:5]
	scratch_store_b128 off, v[216:219], off offset:880
	ds_load_2addr_b64 v[216:219], v248 offset0:112 offset1:113
	s_waitcnt lgkmcnt(0)
	v_mul_f64 v[0:1], v[218:219], v[222:223]
	v_mul_f64 v[4:5], v[216:217], v[222:223]
	s_delay_alu instid0(VALU_DEP_2) | instskip(NEXT) | instid1(VALU_DEP_2)
	v_fma_f64 v[0:1], v[216:217], v[220:221], -v[0:1]
	v_fma_f64 v[4:5], v[218:219], v[220:221], v[4:5]
	scratch_load_b128 v[216:219], off, off offset:896
	s_waitcnt vmcnt(0)
	v_add_f64 v[216:217], v[216:217], -v[0:1]
	v_add_f64 v[218:219], v[218:219], -v[4:5]
	;; [unrolled: 12-line block ×4, first 2 shown]
	scratch_store_b128 off, v[216:219], off offset:928
	ds_load_2addr_b64 v[216:219], v248 offset0:118 offset1:119
	s_waitcnt lgkmcnt(0)
	v_mul_f64 v[0:1], v[218:219], v[222:223]
	v_mul_f64 v[4:5], v[216:217], v[222:223]
	s_delay_alu instid0(VALU_DEP_2) | instskip(NEXT) | instid1(VALU_DEP_2)
	v_fma_f64 v[0:1], v[216:217], v[220:221], -v[0:1]
	v_fma_f64 v[4:5], v[218:219], v[220:221], v[4:5]
	s_clause 0x1
	scratch_load_b128 v[216:219], off, off offset:944
	scratch_load_b128 v[220:223], off, off offset:848
	s_waitcnt vmcnt(1)
	v_add_f64 v[216:217], v[216:217], -v[0:1]
	v_add_f64 v[218:219], v[218:219], -v[4:5]
	scratch_store_b128 off, v[216:219], off offset:944
	ds_load_2addr_b64 v[216:219], v248 offset0:120 offset1:121
	s_waitcnt vmcnt(0) lgkmcnt(0)
	v_mul_f64 v[0:1], v[218:219], v[222:223]
	v_mul_f64 v[4:5], v[216:217], v[222:223]
	s_delay_alu instid0(VALU_DEP_2) | instskip(NEXT) | instid1(VALU_DEP_2)
	v_fma_f64 v[0:1], v[216:217], v[220:221], -v[0:1]
	v_fma_f64 v[4:5], v[218:219], v[220:221], v[4:5]
	scratch_load_b128 v[216:219], off, off offset:960
	s_waitcnt vmcnt(0)
	v_add_f64 v[216:217], v[216:217], -v[0:1]
	v_add_f64 v[218:219], v[218:219], -v[4:5]
	scratch_store_b128 off, v[216:219], off offset:960
	ds_load_2addr_b64 v[216:219], v248 offset0:122 offset1:123
	s_waitcnt lgkmcnt(0)
	v_mul_f64 v[0:1], v[218:219], v[222:223]
	v_mul_f64 v[4:5], v[216:217], v[222:223]
	s_delay_alu instid0(VALU_DEP_2) | instskip(NEXT) | instid1(VALU_DEP_2)
	v_fma_f64 v[0:1], v[216:217], v[220:221], -v[0:1]
	v_fma_f64 v[4:5], v[218:219], v[220:221], v[4:5]
	scratch_load_b128 v[216:219], off, off offset:976
	s_waitcnt vmcnt(0)
	v_add_f64 v[216:217], v[216:217], -v[0:1]
	v_add_f64 v[218:219], v[218:219], -v[4:5]
	scratch_store_b128 off, v[216:219], off offset:976
.LBB123_617:
	s_or_b32 exec_lo, exec_lo, s3
	s_delay_alu instid0(SALU_CYCLE_1)
	s_mov_b32 s4, exec_lo
	s_waitcnt lgkmcnt(0)
	s_waitcnt_vscnt null, 0x0
	s_barrier
	buffer_gl0_inv
	v_cmpx_eq_u32_e32 54, v252
	s_cbranch_execz .LBB123_624
; %bb.618:
	scratch_load_b32 v0, off, off offset:1000 ; 4-byte Folded Reload
	s_waitcnt vmcnt(0)
	scratch_load_b128 v[216:219], v0, off
	scratch_load_b32 v0, off, off offset:996 ; 4-byte Folded Reload
	s_waitcnt vmcnt(1)
	ds_store_2addr_b64 v255, v[216:217], v[218:219] offset1:1
	s_waitcnt vmcnt(0)
	scratch_load_b128 v[216:219], v0, off
	scratch_load_b32 v0, off, off offset:992 ; 4-byte Folded Reload
	s_waitcnt vmcnt(1)
	ds_store_2addr_b64 v248, v[216:217], v[218:219] offset0:110 offset1:111
	s_waitcnt vmcnt(0)
	scratch_load_b128 v[216:219], v0, off
	s_waitcnt vmcnt(0)
	ds_store_2addr_b64 v248, v[216:217], v[218:219] offset0:112 offset1:113
	scratch_load_b128 v[216:219], v249, off
	s_waitcnt vmcnt(0)
	ds_store_2addr_b64 v248, v[216:217], v[218:219] offset0:114 offset1:115
	;; [unrolled: 3-line block ×6, first 2 shown]
	ds_load_2addr_b64 v[216:219], v255 offset1:1
	s_waitcnt lgkmcnt(0)
	v_cmp_neq_f64_e32 vcc_lo, 0, v[216:217]
	v_cmp_neq_f64_e64 s3, 0, v[218:219]
	s_delay_alu instid0(VALU_DEP_1) | instskip(NEXT) | instid1(SALU_CYCLE_1)
	s_or_b32 s3, vcc_lo, s3
	s_and_b32 exec_lo, exec_lo, s3
	s_cbranch_execz .LBB123_624
; %bb.619:
	v_cmp_gt_f64_e32 vcc_lo, 0, v[216:217]
	v_xor_b32_e32 v0, 0x80000000, v217
	v_xor_b32_e32 v4, 0x80000000, v219
	s_delay_alu instid0(VALU_DEP_2) | instskip(SKIP_2) | instid1(VALU_DEP_4)
	v_cndmask_b32_e32 v1, v217, v0, vcc_lo
	v_cndmask_b32_e32 v0, v216, v216, vcc_lo
	v_cmp_gt_f64_e32 vcc_lo, 0, v[218:219]
	v_dual_cndmask_b32 v5, v219, v4 :: v_dual_cndmask_b32 v4, v218, v218
	s_delay_alu instid0(VALU_DEP_1) | instskip(SKIP_1) | instid1(SALU_CYCLE_1)
	v_cmp_ngt_f64_e32 vcc_lo, v[0:1], v[4:5]
                                        ; implicit-def: $vgpr0_vgpr1
	s_and_saveexec_b32 s3, vcc_lo
	s_xor_b32 s3, exec_lo, s3
                                        ; implicit-def: $vgpr220_vgpr221_vgpr222_vgpr223
	s_cbranch_execz .LBB123_621
; %bb.620:
	v_div_scale_f64 v[0:1], null, v[218:219], v[218:219], v[216:217]
	v_div_scale_f64 v[220:221], vcc_lo, v[216:217], v[218:219], v[216:217]
	s_delay_alu instid0(VALU_DEP_2) | instskip(SKIP_2) | instid1(VALU_DEP_1)
	v_rcp_f64_e32 v[4:5], v[0:1]
	s_waitcnt_depctr 0xfff
	v_fma_f64 v[6:7], -v[0:1], v[4:5], 1.0
	v_fma_f64 v[4:5], v[4:5], v[6:7], v[4:5]
	s_delay_alu instid0(VALU_DEP_1) | instskip(NEXT) | instid1(VALU_DEP_1)
	v_fma_f64 v[6:7], -v[0:1], v[4:5], 1.0
	v_fma_f64 v[4:5], v[4:5], v[6:7], v[4:5]
	s_delay_alu instid0(VALU_DEP_1) | instskip(NEXT) | instid1(VALU_DEP_1)
	v_mul_f64 v[6:7], v[220:221], v[4:5]
	v_fma_f64 v[0:1], -v[0:1], v[6:7], v[220:221]
	s_delay_alu instid0(VALU_DEP_1) | instskip(NEXT) | instid1(VALU_DEP_1)
	v_div_fmas_f64 v[0:1], v[0:1], v[4:5], v[6:7]
	v_div_fixup_f64 v[0:1], v[0:1], v[218:219], v[216:217]
	s_delay_alu instid0(VALU_DEP_1) | instskip(NEXT) | instid1(VALU_DEP_1)
	v_fma_f64 v[4:5], v[216:217], v[0:1], v[218:219]
	v_div_scale_f64 v[6:7], null, v[4:5], v[4:5], 1.0
	s_delay_alu instid0(VALU_DEP_1) | instskip(SKIP_2) | instid1(VALU_DEP_1)
	v_rcp_f64_e32 v[216:217], v[6:7]
	s_waitcnt_depctr 0xfff
	v_fma_f64 v[218:219], -v[6:7], v[216:217], 1.0
	v_fma_f64 v[216:217], v[216:217], v[218:219], v[216:217]
	s_delay_alu instid0(VALU_DEP_1) | instskip(NEXT) | instid1(VALU_DEP_1)
	v_fma_f64 v[218:219], -v[6:7], v[216:217], 1.0
	v_fma_f64 v[216:217], v[216:217], v[218:219], v[216:217]
	v_div_scale_f64 v[218:219], vcc_lo, 1.0, v[4:5], 1.0
	s_delay_alu instid0(VALU_DEP_1) | instskip(NEXT) | instid1(VALU_DEP_1)
	v_mul_f64 v[220:221], v[218:219], v[216:217]
	v_fma_f64 v[6:7], -v[6:7], v[220:221], v[218:219]
	s_delay_alu instid0(VALU_DEP_1) | instskip(NEXT) | instid1(VALU_DEP_1)
	v_div_fmas_f64 v[6:7], v[6:7], v[216:217], v[220:221]
                                        ; implicit-def: $vgpr216_vgpr217
	v_div_fixup_f64 v[222:223], v[6:7], v[4:5], 1.0
	s_delay_alu instid0(VALU_DEP_1)
	v_mul_f64 v[0:1], v[0:1], v[222:223]
	v_xor_b32_e32 v223, 0x80000000, v223
.LBB123_621:
	s_and_not1_saveexec_b32 s3, s3
	s_cbranch_execz .LBB123_623
; %bb.622:
	v_div_scale_f64 v[0:1], null, v[216:217], v[216:217], v[218:219]
	v_div_scale_f64 v[220:221], vcc_lo, v[218:219], v[216:217], v[218:219]
	s_delay_alu instid0(VALU_DEP_2) | instskip(SKIP_2) | instid1(VALU_DEP_1)
	v_rcp_f64_e32 v[4:5], v[0:1]
	s_waitcnt_depctr 0xfff
	v_fma_f64 v[6:7], -v[0:1], v[4:5], 1.0
	v_fma_f64 v[4:5], v[4:5], v[6:7], v[4:5]
	s_delay_alu instid0(VALU_DEP_1) | instskip(NEXT) | instid1(VALU_DEP_1)
	v_fma_f64 v[6:7], -v[0:1], v[4:5], 1.0
	v_fma_f64 v[4:5], v[4:5], v[6:7], v[4:5]
	s_delay_alu instid0(VALU_DEP_1) | instskip(NEXT) | instid1(VALU_DEP_1)
	v_mul_f64 v[6:7], v[220:221], v[4:5]
	v_fma_f64 v[0:1], -v[0:1], v[6:7], v[220:221]
	s_delay_alu instid0(VALU_DEP_1) | instskip(NEXT) | instid1(VALU_DEP_1)
	v_div_fmas_f64 v[0:1], v[0:1], v[4:5], v[6:7]
	v_div_fixup_f64 v[4:5], v[0:1], v[216:217], v[218:219]
	s_delay_alu instid0(VALU_DEP_1) | instskip(NEXT) | instid1(VALU_DEP_1)
	v_fma_f64 v[0:1], v[218:219], v[4:5], v[216:217]
	v_div_scale_f64 v[6:7], null, v[0:1], v[0:1], 1.0
	s_delay_alu instid0(VALU_DEP_1) | instskip(SKIP_2) | instid1(VALU_DEP_1)
	v_rcp_f64_e32 v[216:217], v[6:7]
	s_waitcnt_depctr 0xfff
	v_fma_f64 v[218:219], -v[6:7], v[216:217], 1.0
	v_fma_f64 v[216:217], v[216:217], v[218:219], v[216:217]
	s_delay_alu instid0(VALU_DEP_1) | instskip(NEXT) | instid1(VALU_DEP_1)
	v_fma_f64 v[218:219], -v[6:7], v[216:217], 1.0
	v_fma_f64 v[216:217], v[216:217], v[218:219], v[216:217]
	v_div_scale_f64 v[218:219], vcc_lo, 1.0, v[0:1], 1.0
	s_delay_alu instid0(VALU_DEP_1) | instskip(NEXT) | instid1(VALU_DEP_1)
	v_mul_f64 v[220:221], v[218:219], v[216:217]
	v_fma_f64 v[6:7], -v[6:7], v[220:221], v[218:219]
	s_delay_alu instid0(VALU_DEP_1) | instskip(NEXT) | instid1(VALU_DEP_1)
	v_div_fmas_f64 v[6:7], v[6:7], v[216:217], v[220:221]
	v_div_fixup_f64 v[0:1], v[6:7], v[0:1], 1.0
	s_delay_alu instid0(VALU_DEP_1)
	v_mul_f64 v[222:223], v[4:5], -v[0:1]
.LBB123_623:
	s_or_b32 exec_lo, exec_lo, s3
	ds_store_2addr_b64 v255, v[0:1], v[222:223] offset1:1
.LBB123_624:
	s_or_b32 exec_lo, exec_lo, s4
	s_waitcnt lgkmcnt(0)
	s_barrier
	buffer_gl0_inv
	ds_load_2addr_b64 v[216:219], v255 offset1:1
	s_mov_b32 s3, exec_lo
	v_cmpx_lt_u32_e32 54, v252
	s_cbranch_execz .LBB123_626
; %bb.625:
	scratch_load_b128 v[220:223], off, off offset:864
	s_waitcnt vmcnt(0) lgkmcnt(0)
	v_mul_f64 v[0:1], v[218:219], v[222:223]
	s_delay_alu instid0(VALU_DEP_1) | instskip(SKIP_1) | instid1(VALU_DEP_1)
	v_fma_f64 v[224:225], v[216:217], v[220:221], -v[0:1]
	v_mul_f64 v[0:1], v[216:217], v[222:223]
	v_fma_f64 v[226:227], v[218:219], v[220:221], v[0:1]
	ds_load_2addr_b64 v[220:223], v248 offset0:110 offset1:111
	s_waitcnt lgkmcnt(0)
	v_mul_f64 v[0:1], v[222:223], v[226:227]
	v_mul_f64 v[4:5], v[220:221], v[226:227]
	s_delay_alu instid0(VALU_DEP_2) | instskip(NEXT) | instid1(VALU_DEP_2)
	v_fma_f64 v[0:1], v[220:221], v[224:225], -v[0:1]
	v_fma_f64 v[4:5], v[222:223], v[224:225], v[4:5]
	scratch_load_b128 v[220:223], off, off offset:880
	s_waitcnt vmcnt(0)
	v_add_f64 v[220:221], v[220:221], -v[0:1]
	v_add_f64 v[222:223], v[222:223], -v[4:5]
	s_clause 0x1
	scratch_store_b128 off, v[224:227], off offset:864
	scratch_store_b128 off, v[220:223], off offset:880
	ds_load_2addr_b64 v[220:223], v248 offset0:112 offset1:113
	s_waitcnt lgkmcnt(0)
	v_mul_f64 v[0:1], v[222:223], v[226:227]
	v_mul_f64 v[4:5], v[220:221], v[226:227]
	s_delay_alu instid0(VALU_DEP_2) | instskip(NEXT) | instid1(VALU_DEP_2)
	v_fma_f64 v[0:1], v[220:221], v[224:225], -v[0:1]
	v_fma_f64 v[4:5], v[222:223], v[224:225], v[4:5]
	scratch_load_b128 v[220:223], off, off offset:896
	s_waitcnt vmcnt(0)
	v_add_f64 v[220:221], v[220:221], -v[0:1]
	v_add_f64 v[222:223], v[222:223], -v[4:5]
	scratch_store_b128 off, v[220:223], off offset:896
	ds_load_2addr_b64 v[220:223], v248 offset0:114 offset1:115
	s_waitcnt lgkmcnt(0)
	v_mul_f64 v[0:1], v[222:223], v[226:227]
	v_mul_f64 v[4:5], v[220:221], v[226:227]
	s_delay_alu instid0(VALU_DEP_2) | instskip(NEXT) | instid1(VALU_DEP_2)
	v_fma_f64 v[0:1], v[220:221], v[224:225], -v[0:1]
	v_fma_f64 v[4:5], v[222:223], v[224:225], v[4:5]
	scratch_load_b128 v[220:223], off, off offset:912
	s_waitcnt vmcnt(0)
	v_add_f64 v[220:221], v[220:221], -v[0:1]
	v_add_f64 v[222:223], v[222:223], -v[4:5]
	;; [unrolled: 12-line block ×4, first 2 shown]
	scratch_store_b128 off, v[220:223], off offset:944
	ds_load_2addr_b64 v[220:223], v248 offset0:120 offset1:121
	s_waitcnt lgkmcnt(0)
	v_mul_f64 v[0:1], v[222:223], v[226:227]
	v_mul_f64 v[4:5], v[220:221], v[226:227]
	s_delay_alu instid0(VALU_DEP_2) | instskip(NEXT) | instid1(VALU_DEP_2)
	v_fma_f64 v[0:1], v[220:221], v[224:225], -v[0:1]
	v_fma_f64 v[4:5], v[222:223], v[224:225], v[4:5]
	s_clause 0x1
	scratch_load_b128 v[220:223], off, off offset:960
	scratch_load_b128 v[224:227], off, off offset:864
	s_waitcnt vmcnt(1)
	v_add_f64 v[220:221], v[220:221], -v[0:1]
	v_add_f64 v[222:223], v[222:223], -v[4:5]
	scratch_store_b128 off, v[220:223], off offset:960
	ds_load_2addr_b64 v[220:223], v248 offset0:122 offset1:123
	s_waitcnt vmcnt(0) lgkmcnt(0)
	v_mul_f64 v[0:1], v[222:223], v[226:227]
	v_mul_f64 v[4:5], v[220:221], v[226:227]
	s_delay_alu instid0(VALU_DEP_2) | instskip(NEXT) | instid1(VALU_DEP_2)
	v_fma_f64 v[0:1], v[220:221], v[224:225], -v[0:1]
	v_fma_f64 v[4:5], v[222:223], v[224:225], v[4:5]
	scratch_load_b128 v[220:223], off, off offset:976
	s_waitcnt vmcnt(0)
	v_add_f64 v[220:221], v[220:221], -v[0:1]
	v_add_f64 v[222:223], v[222:223], -v[4:5]
	scratch_store_b128 off, v[220:223], off offset:976
.LBB123_626:
	s_or_b32 exec_lo, exec_lo, s3
	s_delay_alu instid0(SALU_CYCLE_1)
	s_mov_b32 s4, exec_lo
	s_waitcnt lgkmcnt(0)
	s_waitcnt_vscnt null, 0x0
	s_barrier
	buffer_gl0_inv
	v_cmpx_eq_u32_e32 55, v252
	s_cbranch_execz .LBB123_633
; %bb.627:
	scratch_load_b32 v0, off, off offset:996 ; 4-byte Folded Reload
	s_waitcnt vmcnt(0)
	scratch_load_b128 v[220:223], v0, off
	scratch_load_b32 v0, off, off offset:992 ; 4-byte Folded Reload
	s_waitcnt vmcnt(1)
	ds_store_2addr_b64 v255, v[220:221], v[222:223] offset1:1
	s_waitcnt vmcnt(0)
	scratch_load_b128 v[220:223], v0, off
	s_waitcnt vmcnt(0)
	ds_store_2addr_b64 v248, v[220:221], v[222:223] offset0:112 offset1:113
	scratch_load_b128 v[220:223], v249, off
	s_waitcnt vmcnt(0)
	ds_store_2addr_b64 v248, v[220:221], v[222:223] offset0:114 offset1:115
	;; [unrolled: 3-line block ×6, first 2 shown]
	ds_load_2addr_b64 v[220:223], v255 offset1:1
	s_waitcnt lgkmcnt(0)
	v_cmp_neq_f64_e32 vcc_lo, 0, v[220:221]
	v_cmp_neq_f64_e64 s3, 0, v[222:223]
	s_delay_alu instid0(VALU_DEP_1) | instskip(NEXT) | instid1(SALU_CYCLE_1)
	s_or_b32 s3, vcc_lo, s3
	s_and_b32 exec_lo, exec_lo, s3
	s_cbranch_execz .LBB123_633
; %bb.628:
	v_cmp_gt_f64_e32 vcc_lo, 0, v[220:221]
	v_xor_b32_e32 v0, 0x80000000, v221
	v_xor_b32_e32 v4, 0x80000000, v223
	s_delay_alu instid0(VALU_DEP_2) | instskip(SKIP_2) | instid1(VALU_DEP_4)
	v_cndmask_b32_e32 v1, v221, v0, vcc_lo
	v_cndmask_b32_e32 v0, v220, v220, vcc_lo
	v_cmp_gt_f64_e32 vcc_lo, 0, v[222:223]
	v_dual_cndmask_b32 v5, v223, v4 :: v_dual_cndmask_b32 v4, v222, v222
	s_delay_alu instid0(VALU_DEP_1) | instskip(SKIP_1) | instid1(SALU_CYCLE_1)
	v_cmp_ngt_f64_e32 vcc_lo, v[0:1], v[4:5]
                                        ; implicit-def: $vgpr0_vgpr1
	s_and_saveexec_b32 s3, vcc_lo
	s_xor_b32 s3, exec_lo, s3
                                        ; implicit-def: $vgpr224_vgpr225_vgpr226_vgpr227
	s_cbranch_execz .LBB123_630
; %bb.629:
	v_div_scale_f64 v[0:1], null, v[222:223], v[222:223], v[220:221]
	v_div_scale_f64 v[224:225], vcc_lo, v[220:221], v[222:223], v[220:221]
	s_delay_alu instid0(VALU_DEP_2) | instskip(SKIP_2) | instid1(VALU_DEP_1)
	v_rcp_f64_e32 v[4:5], v[0:1]
	s_waitcnt_depctr 0xfff
	v_fma_f64 v[6:7], -v[0:1], v[4:5], 1.0
	v_fma_f64 v[4:5], v[4:5], v[6:7], v[4:5]
	s_delay_alu instid0(VALU_DEP_1) | instskip(NEXT) | instid1(VALU_DEP_1)
	v_fma_f64 v[6:7], -v[0:1], v[4:5], 1.0
	v_fma_f64 v[4:5], v[4:5], v[6:7], v[4:5]
	s_delay_alu instid0(VALU_DEP_1) | instskip(NEXT) | instid1(VALU_DEP_1)
	v_mul_f64 v[6:7], v[224:225], v[4:5]
	v_fma_f64 v[0:1], -v[0:1], v[6:7], v[224:225]
	s_delay_alu instid0(VALU_DEP_1) | instskip(NEXT) | instid1(VALU_DEP_1)
	v_div_fmas_f64 v[0:1], v[0:1], v[4:5], v[6:7]
	v_div_fixup_f64 v[0:1], v[0:1], v[222:223], v[220:221]
	s_delay_alu instid0(VALU_DEP_1) | instskip(NEXT) | instid1(VALU_DEP_1)
	v_fma_f64 v[4:5], v[220:221], v[0:1], v[222:223]
	v_div_scale_f64 v[6:7], null, v[4:5], v[4:5], 1.0
	s_delay_alu instid0(VALU_DEP_1) | instskip(SKIP_2) | instid1(VALU_DEP_1)
	v_rcp_f64_e32 v[220:221], v[6:7]
	s_waitcnt_depctr 0xfff
	v_fma_f64 v[222:223], -v[6:7], v[220:221], 1.0
	v_fma_f64 v[220:221], v[220:221], v[222:223], v[220:221]
	s_delay_alu instid0(VALU_DEP_1) | instskip(NEXT) | instid1(VALU_DEP_1)
	v_fma_f64 v[222:223], -v[6:7], v[220:221], 1.0
	v_fma_f64 v[220:221], v[220:221], v[222:223], v[220:221]
	v_div_scale_f64 v[222:223], vcc_lo, 1.0, v[4:5], 1.0
	s_delay_alu instid0(VALU_DEP_1) | instskip(NEXT) | instid1(VALU_DEP_1)
	v_mul_f64 v[224:225], v[222:223], v[220:221]
	v_fma_f64 v[6:7], -v[6:7], v[224:225], v[222:223]
	s_delay_alu instid0(VALU_DEP_1) | instskip(NEXT) | instid1(VALU_DEP_1)
	v_div_fmas_f64 v[6:7], v[6:7], v[220:221], v[224:225]
                                        ; implicit-def: $vgpr220_vgpr221
	v_div_fixup_f64 v[226:227], v[6:7], v[4:5], 1.0
	s_delay_alu instid0(VALU_DEP_1)
	v_mul_f64 v[0:1], v[0:1], v[226:227]
	v_xor_b32_e32 v227, 0x80000000, v227
.LBB123_630:
	s_and_not1_saveexec_b32 s3, s3
	s_cbranch_execz .LBB123_632
; %bb.631:
	v_div_scale_f64 v[0:1], null, v[220:221], v[220:221], v[222:223]
	v_div_scale_f64 v[224:225], vcc_lo, v[222:223], v[220:221], v[222:223]
	s_delay_alu instid0(VALU_DEP_2) | instskip(SKIP_2) | instid1(VALU_DEP_1)
	v_rcp_f64_e32 v[4:5], v[0:1]
	s_waitcnt_depctr 0xfff
	v_fma_f64 v[6:7], -v[0:1], v[4:5], 1.0
	v_fma_f64 v[4:5], v[4:5], v[6:7], v[4:5]
	s_delay_alu instid0(VALU_DEP_1) | instskip(NEXT) | instid1(VALU_DEP_1)
	v_fma_f64 v[6:7], -v[0:1], v[4:5], 1.0
	v_fma_f64 v[4:5], v[4:5], v[6:7], v[4:5]
	s_delay_alu instid0(VALU_DEP_1) | instskip(NEXT) | instid1(VALU_DEP_1)
	v_mul_f64 v[6:7], v[224:225], v[4:5]
	v_fma_f64 v[0:1], -v[0:1], v[6:7], v[224:225]
	s_delay_alu instid0(VALU_DEP_1) | instskip(NEXT) | instid1(VALU_DEP_1)
	v_div_fmas_f64 v[0:1], v[0:1], v[4:5], v[6:7]
	v_div_fixup_f64 v[4:5], v[0:1], v[220:221], v[222:223]
	s_delay_alu instid0(VALU_DEP_1) | instskip(NEXT) | instid1(VALU_DEP_1)
	v_fma_f64 v[0:1], v[222:223], v[4:5], v[220:221]
	v_div_scale_f64 v[6:7], null, v[0:1], v[0:1], 1.0
	s_delay_alu instid0(VALU_DEP_1) | instskip(SKIP_2) | instid1(VALU_DEP_1)
	v_rcp_f64_e32 v[220:221], v[6:7]
	s_waitcnt_depctr 0xfff
	v_fma_f64 v[222:223], -v[6:7], v[220:221], 1.0
	v_fma_f64 v[220:221], v[220:221], v[222:223], v[220:221]
	s_delay_alu instid0(VALU_DEP_1) | instskip(NEXT) | instid1(VALU_DEP_1)
	v_fma_f64 v[222:223], -v[6:7], v[220:221], 1.0
	v_fma_f64 v[220:221], v[220:221], v[222:223], v[220:221]
	v_div_scale_f64 v[222:223], vcc_lo, 1.0, v[0:1], 1.0
	s_delay_alu instid0(VALU_DEP_1) | instskip(NEXT) | instid1(VALU_DEP_1)
	v_mul_f64 v[224:225], v[222:223], v[220:221]
	v_fma_f64 v[6:7], -v[6:7], v[224:225], v[222:223]
	s_delay_alu instid0(VALU_DEP_1) | instskip(NEXT) | instid1(VALU_DEP_1)
	v_div_fmas_f64 v[6:7], v[6:7], v[220:221], v[224:225]
	v_div_fixup_f64 v[0:1], v[6:7], v[0:1], 1.0
	s_delay_alu instid0(VALU_DEP_1)
	v_mul_f64 v[226:227], v[4:5], -v[0:1]
.LBB123_632:
	s_or_b32 exec_lo, exec_lo, s3
	ds_store_2addr_b64 v255, v[0:1], v[226:227] offset1:1
.LBB123_633:
	s_or_b32 exec_lo, exec_lo, s4
	s_waitcnt lgkmcnt(0)
	s_barrier
	buffer_gl0_inv
	ds_load_2addr_b64 v[220:223], v255 offset1:1
	s_mov_b32 s3, exec_lo
	v_cmpx_lt_u32_e32 55, v252
	s_cbranch_execz .LBB123_635
; %bb.634:
	scratch_load_b128 v[224:227], off, off offset:880
	s_waitcnt vmcnt(0) lgkmcnt(0)
	v_mul_f64 v[0:1], v[222:223], v[226:227]
	s_delay_alu instid0(VALU_DEP_1) | instskip(SKIP_1) | instid1(VALU_DEP_1)
	v_fma_f64 v[228:229], v[220:221], v[224:225], -v[0:1]
	v_mul_f64 v[0:1], v[220:221], v[226:227]
	v_fma_f64 v[230:231], v[222:223], v[224:225], v[0:1]
	ds_load_2addr_b64 v[224:227], v248 offset0:112 offset1:113
	s_waitcnt lgkmcnt(0)
	v_mul_f64 v[0:1], v[226:227], v[230:231]
	v_mul_f64 v[4:5], v[224:225], v[230:231]
	s_delay_alu instid0(VALU_DEP_2) | instskip(NEXT) | instid1(VALU_DEP_2)
	v_fma_f64 v[0:1], v[224:225], v[228:229], -v[0:1]
	v_fma_f64 v[4:5], v[226:227], v[228:229], v[4:5]
	scratch_load_b128 v[224:227], off, off offset:896
	s_waitcnt vmcnt(0)
	v_add_f64 v[224:225], v[224:225], -v[0:1]
	v_add_f64 v[226:227], v[226:227], -v[4:5]
	s_clause 0x1
	scratch_store_b128 off, v[228:231], off offset:880
	scratch_store_b128 off, v[224:227], off offset:896
	ds_load_2addr_b64 v[224:227], v248 offset0:114 offset1:115
	s_waitcnt lgkmcnt(0)
	v_mul_f64 v[0:1], v[226:227], v[230:231]
	v_mul_f64 v[4:5], v[224:225], v[230:231]
	s_delay_alu instid0(VALU_DEP_2) | instskip(NEXT) | instid1(VALU_DEP_2)
	v_fma_f64 v[0:1], v[224:225], v[228:229], -v[0:1]
	v_fma_f64 v[4:5], v[226:227], v[228:229], v[4:5]
	scratch_load_b128 v[224:227], off, off offset:912
	s_waitcnt vmcnt(0)
	v_add_f64 v[224:225], v[224:225], -v[0:1]
	v_add_f64 v[226:227], v[226:227], -v[4:5]
	scratch_store_b128 off, v[224:227], off offset:912
	ds_load_2addr_b64 v[224:227], v248 offset0:116 offset1:117
	s_waitcnt lgkmcnt(0)
	v_mul_f64 v[0:1], v[226:227], v[230:231]
	v_mul_f64 v[4:5], v[224:225], v[230:231]
	s_delay_alu instid0(VALU_DEP_2) | instskip(NEXT) | instid1(VALU_DEP_2)
	v_fma_f64 v[0:1], v[224:225], v[228:229], -v[0:1]
	v_fma_f64 v[4:5], v[226:227], v[228:229], v[4:5]
	scratch_load_b128 v[224:227], off, off offset:928
	s_waitcnt vmcnt(0)
	v_add_f64 v[224:225], v[224:225], -v[0:1]
	v_add_f64 v[226:227], v[226:227], -v[4:5]
	;; [unrolled: 12-line block ×5, first 2 shown]
	scratch_store_b128 off, v[224:227], off offset:976
.LBB123_635:
	s_or_b32 exec_lo, exec_lo, s3
	s_delay_alu instid0(SALU_CYCLE_1)
	s_mov_b32 s4, exec_lo
	s_waitcnt lgkmcnt(0)
	s_waitcnt_vscnt null, 0x0
	s_barrier
	buffer_gl0_inv
	v_cmpx_eq_u32_e32 56, v252
	s_cbranch_execz .LBB123_642
; %bb.636:
	scratch_load_b32 v0, off, off offset:992 ; 4-byte Folded Reload
	s_waitcnt vmcnt(0)
	scratch_load_b128 v[224:227], v0, off
	s_waitcnt vmcnt(0)
	ds_store_2addr_b64 v255, v[224:225], v[226:227] offset1:1
	scratch_load_b128 v[224:227], v249, off
	s_waitcnt vmcnt(0)
	ds_store_2addr_b64 v248, v[224:225], v[226:227] offset0:114 offset1:115
	scratch_load_b128 v[224:227], v254, off
	s_waitcnt vmcnt(0)
	ds_store_2addr_b64 v248, v[224:225], v[226:227] offset0:116 offset1:117
	;; [unrolled: 3-line block ×5, first 2 shown]
	ds_load_2addr_b64 v[224:227], v255 offset1:1
	s_waitcnt lgkmcnt(0)
	v_cmp_neq_f64_e32 vcc_lo, 0, v[224:225]
	v_cmp_neq_f64_e64 s3, 0, v[226:227]
	s_delay_alu instid0(VALU_DEP_1) | instskip(NEXT) | instid1(SALU_CYCLE_1)
	s_or_b32 s3, vcc_lo, s3
	s_and_b32 exec_lo, exec_lo, s3
	s_cbranch_execz .LBB123_642
; %bb.637:
	v_cmp_gt_f64_e32 vcc_lo, 0, v[224:225]
	v_xor_b32_e32 v0, 0x80000000, v225
	v_xor_b32_e32 v4, 0x80000000, v227
	s_delay_alu instid0(VALU_DEP_2) | instskip(SKIP_2) | instid1(VALU_DEP_4)
	v_cndmask_b32_e32 v1, v225, v0, vcc_lo
	v_cndmask_b32_e32 v0, v224, v224, vcc_lo
	v_cmp_gt_f64_e32 vcc_lo, 0, v[226:227]
	v_dual_cndmask_b32 v5, v227, v4 :: v_dual_cndmask_b32 v4, v226, v226
	s_delay_alu instid0(VALU_DEP_1) | instskip(SKIP_1) | instid1(SALU_CYCLE_1)
	v_cmp_ngt_f64_e32 vcc_lo, v[0:1], v[4:5]
                                        ; implicit-def: $vgpr0_vgpr1
	s_and_saveexec_b32 s3, vcc_lo
	s_xor_b32 s3, exec_lo, s3
                                        ; implicit-def: $vgpr228_vgpr229_vgpr230_vgpr231
	s_cbranch_execz .LBB123_639
; %bb.638:
	v_div_scale_f64 v[0:1], null, v[226:227], v[226:227], v[224:225]
	v_div_scale_f64 v[228:229], vcc_lo, v[224:225], v[226:227], v[224:225]
	s_delay_alu instid0(VALU_DEP_2) | instskip(SKIP_2) | instid1(VALU_DEP_1)
	v_rcp_f64_e32 v[4:5], v[0:1]
	s_waitcnt_depctr 0xfff
	v_fma_f64 v[6:7], -v[0:1], v[4:5], 1.0
	v_fma_f64 v[4:5], v[4:5], v[6:7], v[4:5]
	s_delay_alu instid0(VALU_DEP_1) | instskip(NEXT) | instid1(VALU_DEP_1)
	v_fma_f64 v[6:7], -v[0:1], v[4:5], 1.0
	v_fma_f64 v[4:5], v[4:5], v[6:7], v[4:5]
	s_delay_alu instid0(VALU_DEP_1) | instskip(NEXT) | instid1(VALU_DEP_1)
	v_mul_f64 v[6:7], v[228:229], v[4:5]
	v_fma_f64 v[0:1], -v[0:1], v[6:7], v[228:229]
	s_delay_alu instid0(VALU_DEP_1) | instskip(NEXT) | instid1(VALU_DEP_1)
	v_div_fmas_f64 v[0:1], v[0:1], v[4:5], v[6:7]
	v_div_fixup_f64 v[0:1], v[0:1], v[226:227], v[224:225]
	s_delay_alu instid0(VALU_DEP_1) | instskip(NEXT) | instid1(VALU_DEP_1)
	v_fma_f64 v[4:5], v[224:225], v[0:1], v[226:227]
	v_div_scale_f64 v[6:7], null, v[4:5], v[4:5], 1.0
	s_delay_alu instid0(VALU_DEP_1) | instskip(SKIP_2) | instid1(VALU_DEP_1)
	v_rcp_f64_e32 v[224:225], v[6:7]
	s_waitcnt_depctr 0xfff
	v_fma_f64 v[226:227], -v[6:7], v[224:225], 1.0
	v_fma_f64 v[224:225], v[224:225], v[226:227], v[224:225]
	s_delay_alu instid0(VALU_DEP_1) | instskip(NEXT) | instid1(VALU_DEP_1)
	v_fma_f64 v[226:227], -v[6:7], v[224:225], 1.0
	v_fma_f64 v[224:225], v[224:225], v[226:227], v[224:225]
	v_div_scale_f64 v[226:227], vcc_lo, 1.0, v[4:5], 1.0
	s_delay_alu instid0(VALU_DEP_1) | instskip(NEXT) | instid1(VALU_DEP_1)
	v_mul_f64 v[228:229], v[226:227], v[224:225]
	v_fma_f64 v[6:7], -v[6:7], v[228:229], v[226:227]
	s_delay_alu instid0(VALU_DEP_1) | instskip(NEXT) | instid1(VALU_DEP_1)
	v_div_fmas_f64 v[6:7], v[6:7], v[224:225], v[228:229]
                                        ; implicit-def: $vgpr224_vgpr225
	v_div_fixup_f64 v[230:231], v[6:7], v[4:5], 1.0
	s_delay_alu instid0(VALU_DEP_1)
	v_mul_f64 v[0:1], v[0:1], v[230:231]
	v_xor_b32_e32 v231, 0x80000000, v231
.LBB123_639:
	s_and_not1_saveexec_b32 s3, s3
	s_cbranch_execz .LBB123_641
; %bb.640:
	v_div_scale_f64 v[0:1], null, v[224:225], v[224:225], v[226:227]
	v_div_scale_f64 v[228:229], vcc_lo, v[226:227], v[224:225], v[226:227]
	s_delay_alu instid0(VALU_DEP_2) | instskip(SKIP_2) | instid1(VALU_DEP_1)
	v_rcp_f64_e32 v[4:5], v[0:1]
	s_waitcnt_depctr 0xfff
	v_fma_f64 v[6:7], -v[0:1], v[4:5], 1.0
	v_fma_f64 v[4:5], v[4:5], v[6:7], v[4:5]
	s_delay_alu instid0(VALU_DEP_1) | instskip(NEXT) | instid1(VALU_DEP_1)
	v_fma_f64 v[6:7], -v[0:1], v[4:5], 1.0
	v_fma_f64 v[4:5], v[4:5], v[6:7], v[4:5]
	s_delay_alu instid0(VALU_DEP_1) | instskip(NEXT) | instid1(VALU_DEP_1)
	v_mul_f64 v[6:7], v[228:229], v[4:5]
	v_fma_f64 v[0:1], -v[0:1], v[6:7], v[228:229]
	s_delay_alu instid0(VALU_DEP_1) | instskip(NEXT) | instid1(VALU_DEP_1)
	v_div_fmas_f64 v[0:1], v[0:1], v[4:5], v[6:7]
	v_div_fixup_f64 v[4:5], v[0:1], v[224:225], v[226:227]
	s_delay_alu instid0(VALU_DEP_1) | instskip(NEXT) | instid1(VALU_DEP_1)
	v_fma_f64 v[0:1], v[226:227], v[4:5], v[224:225]
	v_div_scale_f64 v[6:7], null, v[0:1], v[0:1], 1.0
	s_delay_alu instid0(VALU_DEP_1) | instskip(SKIP_2) | instid1(VALU_DEP_1)
	v_rcp_f64_e32 v[224:225], v[6:7]
	s_waitcnt_depctr 0xfff
	v_fma_f64 v[226:227], -v[6:7], v[224:225], 1.0
	v_fma_f64 v[224:225], v[224:225], v[226:227], v[224:225]
	s_delay_alu instid0(VALU_DEP_1) | instskip(NEXT) | instid1(VALU_DEP_1)
	v_fma_f64 v[226:227], -v[6:7], v[224:225], 1.0
	v_fma_f64 v[224:225], v[224:225], v[226:227], v[224:225]
	v_div_scale_f64 v[226:227], vcc_lo, 1.0, v[0:1], 1.0
	s_delay_alu instid0(VALU_DEP_1) | instskip(NEXT) | instid1(VALU_DEP_1)
	v_mul_f64 v[228:229], v[226:227], v[224:225]
	v_fma_f64 v[6:7], -v[6:7], v[228:229], v[226:227]
	s_delay_alu instid0(VALU_DEP_1) | instskip(NEXT) | instid1(VALU_DEP_1)
	v_div_fmas_f64 v[6:7], v[6:7], v[224:225], v[228:229]
	v_div_fixup_f64 v[0:1], v[6:7], v[0:1], 1.0
	s_delay_alu instid0(VALU_DEP_1)
	v_mul_f64 v[230:231], v[4:5], -v[0:1]
.LBB123_641:
	s_or_b32 exec_lo, exec_lo, s3
	ds_store_2addr_b64 v255, v[0:1], v[230:231] offset1:1
.LBB123_642:
	s_or_b32 exec_lo, exec_lo, s4
	s_waitcnt lgkmcnt(0)
	s_barrier
	buffer_gl0_inv
	ds_load_2addr_b64 v[224:227], v255 offset1:1
	s_mov_b32 s3, exec_lo
	v_cmpx_lt_u32_e32 56, v252
	s_cbranch_execz .LBB123_644
; %bb.643:
	scratch_load_b128 v[228:231], off, off offset:896
	s_waitcnt vmcnt(0) lgkmcnt(0)
	v_mul_f64 v[0:1], v[226:227], v[230:231]
	s_delay_alu instid0(VALU_DEP_1) | instskip(SKIP_1) | instid1(VALU_DEP_1)
	v_fma_f64 v[232:233], v[224:225], v[228:229], -v[0:1]
	v_mul_f64 v[0:1], v[224:225], v[230:231]
	v_fma_f64 v[234:235], v[226:227], v[228:229], v[0:1]
	ds_load_2addr_b64 v[228:231], v248 offset0:114 offset1:115
	s_waitcnt lgkmcnt(0)
	v_mul_f64 v[0:1], v[230:231], v[234:235]
	v_mul_f64 v[4:5], v[228:229], v[234:235]
	s_delay_alu instid0(VALU_DEP_2) | instskip(NEXT) | instid1(VALU_DEP_2)
	v_fma_f64 v[0:1], v[228:229], v[232:233], -v[0:1]
	v_fma_f64 v[4:5], v[230:231], v[232:233], v[4:5]
	scratch_load_b128 v[228:231], off, off offset:912
	s_waitcnt vmcnt(0)
	v_add_f64 v[228:229], v[228:229], -v[0:1]
	v_add_f64 v[230:231], v[230:231], -v[4:5]
	s_clause 0x1
	scratch_store_b128 off, v[232:235], off offset:896
	scratch_store_b128 off, v[228:231], off offset:912
	ds_load_2addr_b64 v[228:231], v248 offset0:116 offset1:117
	s_waitcnt lgkmcnt(0)
	v_mul_f64 v[0:1], v[230:231], v[234:235]
	v_mul_f64 v[4:5], v[228:229], v[234:235]
	s_delay_alu instid0(VALU_DEP_2) | instskip(NEXT) | instid1(VALU_DEP_2)
	v_fma_f64 v[0:1], v[228:229], v[232:233], -v[0:1]
	v_fma_f64 v[4:5], v[230:231], v[232:233], v[4:5]
	scratch_load_b128 v[228:231], off, off offset:928
	s_waitcnt vmcnt(0)
	v_add_f64 v[228:229], v[228:229], -v[0:1]
	v_add_f64 v[230:231], v[230:231], -v[4:5]
	scratch_store_b128 off, v[228:231], off offset:928
	ds_load_2addr_b64 v[228:231], v248 offset0:118 offset1:119
	s_waitcnt lgkmcnt(0)
	v_mul_f64 v[0:1], v[230:231], v[234:235]
	v_mul_f64 v[4:5], v[228:229], v[234:235]
	s_delay_alu instid0(VALU_DEP_2) | instskip(NEXT) | instid1(VALU_DEP_2)
	v_fma_f64 v[0:1], v[228:229], v[232:233], -v[0:1]
	v_fma_f64 v[4:5], v[230:231], v[232:233], v[4:5]
	scratch_load_b128 v[228:231], off, off offset:944
	s_waitcnt vmcnt(0)
	v_add_f64 v[228:229], v[228:229], -v[0:1]
	v_add_f64 v[230:231], v[230:231], -v[4:5]
	;; [unrolled: 12-line block ×4, first 2 shown]
	scratch_store_b128 off, v[228:231], off offset:976
.LBB123_644:
	s_or_b32 exec_lo, exec_lo, s3
	s_delay_alu instid0(SALU_CYCLE_1)
	s_mov_b32 s4, exec_lo
	s_waitcnt lgkmcnt(0)
	s_waitcnt_vscnt null, 0x0
	s_barrier
	buffer_gl0_inv
	v_cmpx_eq_u32_e32 57, v252
	s_cbranch_execz .LBB123_651
; %bb.645:
	scratch_load_b128 v[228:231], v249, off
	s_waitcnt vmcnt(0)
	ds_store_2addr_b64 v255, v[228:229], v[230:231] offset1:1
	scratch_load_b128 v[228:231], v254, off
	s_waitcnt vmcnt(0)
	ds_store_2addr_b64 v248, v[228:229], v[230:231] offset0:116 offset1:117
	scratch_load_b128 v[228:231], v253, off
	s_waitcnt vmcnt(0)
	ds_store_2addr_b64 v248, v[228:229], v[230:231] offset0:118 offset1:119
	;; [unrolled: 3-line block ×4, first 2 shown]
	ds_load_2addr_b64 v[228:231], v255 offset1:1
	s_waitcnt lgkmcnt(0)
	v_cmp_neq_f64_e32 vcc_lo, 0, v[228:229]
	v_cmp_neq_f64_e64 s3, 0, v[230:231]
	s_delay_alu instid0(VALU_DEP_1) | instskip(NEXT) | instid1(SALU_CYCLE_1)
	s_or_b32 s3, vcc_lo, s3
	s_and_b32 exec_lo, exec_lo, s3
	s_cbranch_execz .LBB123_651
; %bb.646:
	v_cmp_gt_f64_e32 vcc_lo, 0, v[228:229]
	v_xor_b32_e32 v0, 0x80000000, v229
	v_xor_b32_e32 v4, 0x80000000, v231
	s_delay_alu instid0(VALU_DEP_2) | instskip(SKIP_2) | instid1(VALU_DEP_4)
	v_cndmask_b32_e32 v1, v229, v0, vcc_lo
	v_cndmask_b32_e32 v0, v228, v228, vcc_lo
	v_cmp_gt_f64_e32 vcc_lo, 0, v[230:231]
	v_dual_cndmask_b32 v5, v231, v4 :: v_dual_cndmask_b32 v4, v230, v230
	s_delay_alu instid0(VALU_DEP_1) | instskip(SKIP_1) | instid1(SALU_CYCLE_1)
	v_cmp_ngt_f64_e32 vcc_lo, v[0:1], v[4:5]
                                        ; implicit-def: $vgpr0_vgpr1
	s_and_saveexec_b32 s3, vcc_lo
	s_xor_b32 s3, exec_lo, s3
                                        ; implicit-def: $vgpr232_vgpr233_vgpr234_vgpr235
	s_cbranch_execz .LBB123_648
; %bb.647:
	v_div_scale_f64 v[0:1], null, v[230:231], v[230:231], v[228:229]
	v_div_scale_f64 v[232:233], vcc_lo, v[228:229], v[230:231], v[228:229]
	s_delay_alu instid0(VALU_DEP_2) | instskip(SKIP_2) | instid1(VALU_DEP_1)
	v_rcp_f64_e32 v[4:5], v[0:1]
	s_waitcnt_depctr 0xfff
	v_fma_f64 v[6:7], -v[0:1], v[4:5], 1.0
	v_fma_f64 v[4:5], v[4:5], v[6:7], v[4:5]
	s_delay_alu instid0(VALU_DEP_1) | instskip(NEXT) | instid1(VALU_DEP_1)
	v_fma_f64 v[6:7], -v[0:1], v[4:5], 1.0
	v_fma_f64 v[4:5], v[4:5], v[6:7], v[4:5]
	s_delay_alu instid0(VALU_DEP_1) | instskip(NEXT) | instid1(VALU_DEP_1)
	v_mul_f64 v[6:7], v[232:233], v[4:5]
	v_fma_f64 v[0:1], -v[0:1], v[6:7], v[232:233]
	s_delay_alu instid0(VALU_DEP_1) | instskip(NEXT) | instid1(VALU_DEP_1)
	v_div_fmas_f64 v[0:1], v[0:1], v[4:5], v[6:7]
	v_div_fixup_f64 v[0:1], v[0:1], v[230:231], v[228:229]
	s_delay_alu instid0(VALU_DEP_1) | instskip(NEXT) | instid1(VALU_DEP_1)
	v_fma_f64 v[4:5], v[228:229], v[0:1], v[230:231]
	v_div_scale_f64 v[6:7], null, v[4:5], v[4:5], 1.0
	s_delay_alu instid0(VALU_DEP_1) | instskip(SKIP_2) | instid1(VALU_DEP_1)
	v_rcp_f64_e32 v[228:229], v[6:7]
	s_waitcnt_depctr 0xfff
	v_fma_f64 v[230:231], -v[6:7], v[228:229], 1.0
	v_fma_f64 v[228:229], v[228:229], v[230:231], v[228:229]
	s_delay_alu instid0(VALU_DEP_1) | instskip(NEXT) | instid1(VALU_DEP_1)
	v_fma_f64 v[230:231], -v[6:7], v[228:229], 1.0
	v_fma_f64 v[228:229], v[228:229], v[230:231], v[228:229]
	v_div_scale_f64 v[230:231], vcc_lo, 1.0, v[4:5], 1.0
	s_delay_alu instid0(VALU_DEP_1) | instskip(NEXT) | instid1(VALU_DEP_1)
	v_mul_f64 v[232:233], v[230:231], v[228:229]
	v_fma_f64 v[6:7], -v[6:7], v[232:233], v[230:231]
	s_delay_alu instid0(VALU_DEP_1) | instskip(NEXT) | instid1(VALU_DEP_1)
	v_div_fmas_f64 v[6:7], v[6:7], v[228:229], v[232:233]
                                        ; implicit-def: $vgpr228_vgpr229
	v_div_fixup_f64 v[234:235], v[6:7], v[4:5], 1.0
	s_delay_alu instid0(VALU_DEP_1)
	v_mul_f64 v[0:1], v[0:1], v[234:235]
	v_xor_b32_e32 v235, 0x80000000, v235
.LBB123_648:
	s_and_not1_saveexec_b32 s3, s3
	s_cbranch_execz .LBB123_650
; %bb.649:
	v_div_scale_f64 v[0:1], null, v[228:229], v[228:229], v[230:231]
	v_div_scale_f64 v[232:233], vcc_lo, v[230:231], v[228:229], v[230:231]
	s_delay_alu instid0(VALU_DEP_2) | instskip(SKIP_2) | instid1(VALU_DEP_1)
	v_rcp_f64_e32 v[4:5], v[0:1]
	s_waitcnt_depctr 0xfff
	v_fma_f64 v[6:7], -v[0:1], v[4:5], 1.0
	v_fma_f64 v[4:5], v[4:5], v[6:7], v[4:5]
	s_delay_alu instid0(VALU_DEP_1) | instskip(NEXT) | instid1(VALU_DEP_1)
	v_fma_f64 v[6:7], -v[0:1], v[4:5], 1.0
	v_fma_f64 v[4:5], v[4:5], v[6:7], v[4:5]
	s_delay_alu instid0(VALU_DEP_1) | instskip(NEXT) | instid1(VALU_DEP_1)
	v_mul_f64 v[6:7], v[232:233], v[4:5]
	v_fma_f64 v[0:1], -v[0:1], v[6:7], v[232:233]
	s_delay_alu instid0(VALU_DEP_1) | instskip(NEXT) | instid1(VALU_DEP_1)
	v_div_fmas_f64 v[0:1], v[0:1], v[4:5], v[6:7]
	v_div_fixup_f64 v[4:5], v[0:1], v[228:229], v[230:231]
	s_delay_alu instid0(VALU_DEP_1) | instskip(NEXT) | instid1(VALU_DEP_1)
	v_fma_f64 v[0:1], v[230:231], v[4:5], v[228:229]
	v_div_scale_f64 v[6:7], null, v[0:1], v[0:1], 1.0
	s_delay_alu instid0(VALU_DEP_1) | instskip(SKIP_2) | instid1(VALU_DEP_1)
	v_rcp_f64_e32 v[228:229], v[6:7]
	s_waitcnt_depctr 0xfff
	v_fma_f64 v[230:231], -v[6:7], v[228:229], 1.0
	v_fma_f64 v[228:229], v[228:229], v[230:231], v[228:229]
	s_delay_alu instid0(VALU_DEP_1) | instskip(NEXT) | instid1(VALU_DEP_1)
	v_fma_f64 v[230:231], -v[6:7], v[228:229], 1.0
	v_fma_f64 v[228:229], v[228:229], v[230:231], v[228:229]
	v_div_scale_f64 v[230:231], vcc_lo, 1.0, v[0:1], 1.0
	s_delay_alu instid0(VALU_DEP_1) | instskip(NEXT) | instid1(VALU_DEP_1)
	v_mul_f64 v[232:233], v[230:231], v[228:229]
	v_fma_f64 v[6:7], -v[6:7], v[232:233], v[230:231]
	s_delay_alu instid0(VALU_DEP_1) | instskip(NEXT) | instid1(VALU_DEP_1)
	v_div_fmas_f64 v[6:7], v[6:7], v[228:229], v[232:233]
	v_div_fixup_f64 v[0:1], v[6:7], v[0:1], 1.0
	s_delay_alu instid0(VALU_DEP_1)
	v_mul_f64 v[234:235], v[4:5], -v[0:1]
.LBB123_650:
	s_or_b32 exec_lo, exec_lo, s3
	ds_store_2addr_b64 v255, v[0:1], v[234:235] offset1:1
.LBB123_651:
	s_or_b32 exec_lo, exec_lo, s4
	s_waitcnt lgkmcnt(0)
	s_barrier
	buffer_gl0_inv
	ds_load_2addr_b64 v[228:231], v255 offset1:1
	s_mov_b32 s3, exec_lo
	v_cmpx_lt_u32_e32 57, v252
	s_cbranch_execz .LBB123_653
; %bb.652:
	scratch_load_b128 v[232:235], off, off offset:912
	s_waitcnt vmcnt(0) lgkmcnt(0)
	v_mul_f64 v[0:1], v[230:231], v[234:235]
	s_delay_alu instid0(VALU_DEP_1) | instskip(SKIP_1) | instid1(VALU_DEP_1)
	v_fma_f64 v[236:237], v[228:229], v[232:233], -v[0:1]
	v_mul_f64 v[0:1], v[228:229], v[234:235]
	v_fma_f64 v[238:239], v[230:231], v[232:233], v[0:1]
	ds_load_2addr_b64 v[232:235], v248 offset0:116 offset1:117
	s_waitcnt lgkmcnt(0)
	v_mul_f64 v[0:1], v[234:235], v[238:239]
	v_mul_f64 v[4:5], v[232:233], v[238:239]
	s_delay_alu instid0(VALU_DEP_2) | instskip(NEXT) | instid1(VALU_DEP_2)
	v_fma_f64 v[0:1], v[232:233], v[236:237], -v[0:1]
	v_fma_f64 v[4:5], v[234:235], v[236:237], v[4:5]
	scratch_load_b128 v[232:235], off, off offset:928
	s_waitcnt vmcnt(0)
	v_add_f64 v[232:233], v[232:233], -v[0:1]
	v_add_f64 v[234:235], v[234:235], -v[4:5]
	s_clause 0x1
	scratch_store_b128 off, v[236:239], off offset:912
	scratch_store_b128 off, v[232:235], off offset:928
	ds_load_2addr_b64 v[232:235], v248 offset0:118 offset1:119
	s_waitcnt lgkmcnt(0)
	v_mul_f64 v[0:1], v[234:235], v[238:239]
	v_mul_f64 v[4:5], v[232:233], v[238:239]
	s_delay_alu instid0(VALU_DEP_2) | instskip(NEXT) | instid1(VALU_DEP_2)
	v_fma_f64 v[0:1], v[232:233], v[236:237], -v[0:1]
	v_fma_f64 v[4:5], v[234:235], v[236:237], v[4:5]
	scratch_load_b128 v[232:235], off, off offset:944
	s_waitcnt vmcnt(0)
	v_add_f64 v[232:233], v[232:233], -v[0:1]
	v_add_f64 v[234:235], v[234:235], -v[4:5]
	scratch_store_b128 off, v[232:235], off offset:944
	ds_load_2addr_b64 v[232:235], v248 offset0:120 offset1:121
	s_waitcnt lgkmcnt(0)
	v_mul_f64 v[0:1], v[234:235], v[238:239]
	v_mul_f64 v[4:5], v[232:233], v[238:239]
	s_delay_alu instid0(VALU_DEP_2) | instskip(NEXT) | instid1(VALU_DEP_2)
	v_fma_f64 v[0:1], v[232:233], v[236:237], -v[0:1]
	v_fma_f64 v[4:5], v[234:235], v[236:237], v[4:5]
	scratch_load_b128 v[232:235], off, off offset:960
	s_waitcnt vmcnt(0)
	v_add_f64 v[232:233], v[232:233], -v[0:1]
	v_add_f64 v[234:235], v[234:235], -v[4:5]
	;; [unrolled: 12-line block ×3, first 2 shown]
	scratch_store_b128 off, v[232:235], off offset:976
.LBB123_653:
	s_or_b32 exec_lo, exec_lo, s3
	s_delay_alu instid0(SALU_CYCLE_1)
	s_mov_b32 s4, exec_lo
	s_waitcnt lgkmcnt(0)
	s_waitcnt_vscnt null, 0x0
	s_barrier
	buffer_gl0_inv
	v_cmpx_eq_u32_e32 58, v252
	s_cbranch_execz .LBB123_660
; %bb.654:
	scratch_load_b128 v[232:235], v254, off
	s_waitcnt vmcnt(0)
	ds_store_2addr_b64 v255, v[232:233], v[234:235] offset1:1
	scratch_load_b128 v[232:235], v253, off
	s_waitcnt vmcnt(0)
	ds_store_2addr_b64 v248, v[232:233], v[234:235] offset0:118 offset1:119
	scratch_load_b128 v[232:235], v3, off
	s_waitcnt vmcnt(0)
	ds_store_2addr_b64 v248, v[232:233], v[234:235] offset0:120 offset1:121
	scratch_load_b128 v[232:235], v2, off
	s_waitcnt vmcnt(0)
	ds_store_2addr_b64 v248, v[232:233], v[234:235] offset0:122 offset1:123
	ds_load_2addr_b64 v[232:235], v255 offset1:1
	s_waitcnt lgkmcnt(0)
	v_cmp_neq_f64_e32 vcc_lo, 0, v[232:233]
	v_cmp_neq_f64_e64 s3, 0, v[234:235]
	s_delay_alu instid0(VALU_DEP_1) | instskip(NEXT) | instid1(SALU_CYCLE_1)
	s_or_b32 s3, vcc_lo, s3
	s_and_b32 exec_lo, exec_lo, s3
	s_cbranch_execz .LBB123_660
; %bb.655:
	v_cmp_gt_f64_e32 vcc_lo, 0, v[232:233]
	v_xor_b32_e32 v0, 0x80000000, v233
	v_xor_b32_e32 v4, 0x80000000, v235
	s_delay_alu instid0(VALU_DEP_2) | instskip(SKIP_2) | instid1(VALU_DEP_4)
	v_cndmask_b32_e32 v1, v233, v0, vcc_lo
	v_cndmask_b32_e32 v0, v232, v232, vcc_lo
	v_cmp_gt_f64_e32 vcc_lo, 0, v[234:235]
	v_dual_cndmask_b32 v5, v235, v4 :: v_dual_cndmask_b32 v4, v234, v234
	s_delay_alu instid0(VALU_DEP_1) | instskip(SKIP_1) | instid1(SALU_CYCLE_1)
	v_cmp_ngt_f64_e32 vcc_lo, v[0:1], v[4:5]
                                        ; implicit-def: $vgpr0_vgpr1
	s_and_saveexec_b32 s3, vcc_lo
	s_xor_b32 s3, exec_lo, s3
                                        ; implicit-def: $vgpr236_vgpr237_vgpr238_vgpr239
	s_cbranch_execz .LBB123_657
; %bb.656:
	v_div_scale_f64 v[0:1], null, v[234:235], v[234:235], v[232:233]
	v_div_scale_f64 v[236:237], vcc_lo, v[232:233], v[234:235], v[232:233]
	s_delay_alu instid0(VALU_DEP_2) | instskip(SKIP_2) | instid1(VALU_DEP_1)
	v_rcp_f64_e32 v[4:5], v[0:1]
	s_waitcnt_depctr 0xfff
	v_fma_f64 v[6:7], -v[0:1], v[4:5], 1.0
	v_fma_f64 v[4:5], v[4:5], v[6:7], v[4:5]
	s_delay_alu instid0(VALU_DEP_1) | instskip(NEXT) | instid1(VALU_DEP_1)
	v_fma_f64 v[6:7], -v[0:1], v[4:5], 1.0
	v_fma_f64 v[4:5], v[4:5], v[6:7], v[4:5]
	s_delay_alu instid0(VALU_DEP_1) | instskip(NEXT) | instid1(VALU_DEP_1)
	v_mul_f64 v[6:7], v[236:237], v[4:5]
	v_fma_f64 v[0:1], -v[0:1], v[6:7], v[236:237]
	s_delay_alu instid0(VALU_DEP_1) | instskip(NEXT) | instid1(VALU_DEP_1)
	v_div_fmas_f64 v[0:1], v[0:1], v[4:5], v[6:7]
	v_div_fixup_f64 v[0:1], v[0:1], v[234:235], v[232:233]
	s_delay_alu instid0(VALU_DEP_1) | instskip(NEXT) | instid1(VALU_DEP_1)
	v_fma_f64 v[4:5], v[232:233], v[0:1], v[234:235]
	v_div_scale_f64 v[6:7], null, v[4:5], v[4:5], 1.0
	s_delay_alu instid0(VALU_DEP_1) | instskip(SKIP_2) | instid1(VALU_DEP_1)
	v_rcp_f64_e32 v[232:233], v[6:7]
	s_waitcnt_depctr 0xfff
	v_fma_f64 v[234:235], -v[6:7], v[232:233], 1.0
	v_fma_f64 v[232:233], v[232:233], v[234:235], v[232:233]
	s_delay_alu instid0(VALU_DEP_1) | instskip(NEXT) | instid1(VALU_DEP_1)
	v_fma_f64 v[234:235], -v[6:7], v[232:233], 1.0
	v_fma_f64 v[232:233], v[232:233], v[234:235], v[232:233]
	v_div_scale_f64 v[234:235], vcc_lo, 1.0, v[4:5], 1.0
	s_delay_alu instid0(VALU_DEP_1) | instskip(NEXT) | instid1(VALU_DEP_1)
	v_mul_f64 v[236:237], v[234:235], v[232:233]
	v_fma_f64 v[6:7], -v[6:7], v[236:237], v[234:235]
	s_delay_alu instid0(VALU_DEP_1) | instskip(NEXT) | instid1(VALU_DEP_1)
	v_div_fmas_f64 v[6:7], v[6:7], v[232:233], v[236:237]
                                        ; implicit-def: $vgpr232_vgpr233
	v_div_fixup_f64 v[238:239], v[6:7], v[4:5], 1.0
	s_delay_alu instid0(VALU_DEP_1)
	v_mul_f64 v[0:1], v[0:1], v[238:239]
	v_xor_b32_e32 v239, 0x80000000, v239
.LBB123_657:
	s_and_not1_saveexec_b32 s3, s3
	s_cbranch_execz .LBB123_659
; %bb.658:
	v_div_scale_f64 v[0:1], null, v[232:233], v[232:233], v[234:235]
	v_div_scale_f64 v[236:237], vcc_lo, v[234:235], v[232:233], v[234:235]
	s_delay_alu instid0(VALU_DEP_2) | instskip(SKIP_2) | instid1(VALU_DEP_1)
	v_rcp_f64_e32 v[4:5], v[0:1]
	s_waitcnt_depctr 0xfff
	v_fma_f64 v[6:7], -v[0:1], v[4:5], 1.0
	v_fma_f64 v[4:5], v[4:5], v[6:7], v[4:5]
	s_delay_alu instid0(VALU_DEP_1) | instskip(NEXT) | instid1(VALU_DEP_1)
	v_fma_f64 v[6:7], -v[0:1], v[4:5], 1.0
	v_fma_f64 v[4:5], v[4:5], v[6:7], v[4:5]
	s_delay_alu instid0(VALU_DEP_1) | instskip(NEXT) | instid1(VALU_DEP_1)
	v_mul_f64 v[6:7], v[236:237], v[4:5]
	v_fma_f64 v[0:1], -v[0:1], v[6:7], v[236:237]
	s_delay_alu instid0(VALU_DEP_1) | instskip(NEXT) | instid1(VALU_DEP_1)
	v_div_fmas_f64 v[0:1], v[0:1], v[4:5], v[6:7]
	v_div_fixup_f64 v[4:5], v[0:1], v[232:233], v[234:235]
	s_delay_alu instid0(VALU_DEP_1) | instskip(NEXT) | instid1(VALU_DEP_1)
	v_fma_f64 v[0:1], v[234:235], v[4:5], v[232:233]
	v_div_scale_f64 v[6:7], null, v[0:1], v[0:1], 1.0
	s_delay_alu instid0(VALU_DEP_1) | instskip(SKIP_2) | instid1(VALU_DEP_1)
	v_rcp_f64_e32 v[232:233], v[6:7]
	s_waitcnt_depctr 0xfff
	v_fma_f64 v[234:235], -v[6:7], v[232:233], 1.0
	v_fma_f64 v[232:233], v[232:233], v[234:235], v[232:233]
	s_delay_alu instid0(VALU_DEP_1) | instskip(NEXT) | instid1(VALU_DEP_1)
	v_fma_f64 v[234:235], -v[6:7], v[232:233], 1.0
	v_fma_f64 v[232:233], v[232:233], v[234:235], v[232:233]
	v_div_scale_f64 v[234:235], vcc_lo, 1.0, v[0:1], 1.0
	s_delay_alu instid0(VALU_DEP_1) | instskip(NEXT) | instid1(VALU_DEP_1)
	v_mul_f64 v[236:237], v[234:235], v[232:233]
	v_fma_f64 v[6:7], -v[6:7], v[236:237], v[234:235]
	s_delay_alu instid0(VALU_DEP_1) | instskip(NEXT) | instid1(VALU_DEP_1)
	v_div_fmas_f64 v[6:7], v[6:7], v[232:233], v[236:237]
	v_div_fixup_f64 v[0:1], v[6:7], v[0:1], 1.0
	s_delay_alu instid0(VALU_DEP_1)
	v_mul_f64 v[238:239], v[4:5], -v[0:1]
.LBB123_659:
	s_or_b32 exec_lo, exec_lo, s3
	ds_store_2addr_b64 v255, v[0:1], v[238:239] offset1:1
.LBB123_660:
	s_or_b32 exec_lo, exec_lo, s4
	s_waitcnt lgkmcnt(0)
	s_barrier
	buffer_gl0_inv
	ds_load_2addr_b64 v[232:235], v255 offset1:1
	s_mov_b32 s3, exec_lo
	v_cmpx_lt_u32_e32 58, v252
	s_cbranch_execz .LBB123_662
; %bb.661:
	scratch_load_b128 v[236:239], off, off offset:928
	s_waitcnt vmcnt(0) lgkmcnt(0)
	v_mul_f64 v[0:1], v[234:235], v[238:239]
	s_delay_alu instid0(VALU_DEP_1) | instskip(SKIP_1) | instid1(VALU_DEP_1)
	v_fma_f64 v[240:241], v[232:233], v[236:237], -v[0:1]
	v_mul_f64 v[0:1], v[232:233], v[238:239]
	v_fma_f64 v[242:243], v[234:235], v[236:237], v[0:1]
	ds_load_2addr_b64 v[236:239], v248 offset0:118 offset1:119
	s_waitcnt lgkmcnt(0)
	v_mul_f64 v[0:1], v[238:239], v[242:243]
	v_mul_f64 v[4:5], v[236:237], v[242:243]
	s_delay_alu instid0(VALU_DEP_2) | instskip(NEXT) | instid1(VALU_DEP_2)
	v_fma_f64 v[0:1], v[236:237], v[240:241], -v[0:1]
	v_fma_f64 v[4:5], v[238:239], v[240:241], v[4:5]
	scratch_load_b128 v[236:239], off, off offset:944
	s_waitcnt vmcnt(0)
	v_add_f64 v[236:237], v[236:237], -v[0:1]
	v_add_f64 v[238:239], v[238:239], -v[4:5]
	s_clause 0x1
	scratch_store_b128 off, v[240:243], off offset:928
	scratch_store_b128 off, v[236:239], off offset:944
	ds_load_2addr_b64 v[236:239], v248 offset0:120 offset1:121
	s_waitcnt lgkmcnt(0)
	v_mul_f64 v[0:1], v[238:239], v[242:243]
	v_mul_f64 v[4:5], v[236:237], v[242:243]
	s_delay_alu instid0(VALU_DEP_2) | instskip(NEXT) | instid1(VALU_DEP_2)
	v_fma_f64 v[0:1], v[236:237], v[240:241], -v[0:1]
	v_fma_f64 v[4:5], v[238:239], v[240:241], v[4:5]
	scratch_load_b128 v[236:239], off, off offset:960
	s_waitcnt vmcnt(0)
	v_add_f64 v[236:237], v[236:237], -v[0:1]
	v_add_f64 v[238:239], v[238:239], -v[4:5]
	scratch_store_b128 off, v[236:239], off offset:960
	ds_load_2addr_b64 v[236:239], v248 offset0:122 offset1:123
	s_waitcnt lgkmcnt(0)
	v_mul_f64 v[0:1], v[238:239], v[242:243]
	v_mul_f64 v[4:5], v[236:237], v[242:243]
	s_delay_alu instid0(VALU_DEP_2) | instskip(NEXT) | instid1(VALU_DEP_2)
	v_fma_f64 v[0:1], v[236:237], v[240:241], -v[0:1]
	v_fma_f64 v[4:5], v[238:239], v[240:241], v[4:5]
	scratch_load_b128 v[236:239], off, off offset:976
	s_waitcnt vmcnt(0)
	v_add_f64 v[236:237], v[236:237], -v[0:1]
	v_add_f64 v[238:239], v[238:239], -v[4:5]
	scratch_store_b128 off, v[236:239], off offset:976
.LBB123_662:
	s_or_b32 exec_lo, exec_lo, s3
	s_delay_alu instid0(SALU_CYCLE_1)
	s_mov_b32 s4, exec_lo
	s_waitcnt lgkmcnt(0)
	s_waitcnt_vscnt null, 0x0
	s_barrier
	buffer_gl0_inv
	v_cmpx_eq_u32_e32 59, v252
	s_cbranch_execz .LBB123_669
; %bb.663:
	scratch_load_b128 v[236:239], v253, off
	s_waitcnt vmcnt(0)
	ds_store_2addr_b64 v255, v[236:237], v[238:239] offset1:1
	scratch_load_b128 v[236:239], v3, off
	s_waitcnt vmcnt(0)
	ds_store_2addr_b64 v248, v[236:237], v[238:239] offset0:120 offset1:121
	scratch_load_b128 v[236:239], v2, off
	s_waitcnt vmcnt(0)
	ds_store_2addr_b64 v248, v[236:237], v[238:239] offset0:122 offset1:123
	ds_load_2addr_b64 v[236:239], v255 offset1:1
	s_waitcnt lgkmcnt(0)
	v_cmp_neq_f64_e32 vcc_lo, 0, v[236:237]
	v_cmp_neq_f64_e64 s3, 0, v[238:239]
	s_delay_alu instid0(VALU_DEP_1) | instskip(NEXT) | instid1(SALU_CYCLE_1)
	s_or_b32 s3, vcc_lo, s3
	s_and_b32 exec_lo, exec_lo, s3
	s_cbranch_execz .LBB123_669
; %bb.664:
	v_cmp_gt_f64_e32 vcc_lo, 0, v[236:237]
	v_xor_b32_e32 v0, 0x80000000, v237
	v_xor_b32_e32 v4, 0x80000000, v239
	s_delay_alu instid0(VALU_DEP_2) | instskip(SKIP_2) | instid1(VALU_DEP_4)
	v_cndmask_b32_e32 v1, v237, v0, vcc_lo
	v_cndmask_b32_e32 v0, v236, v236, vcc_lo
	v_cmp_gt_f64_e32 vcc_lo, 0, v[238:239]
	v_dual_cndmask_b32 v5, v239, v4 :: v_dual_cndmask_b32 v4, v238, v238
	s_delay_alu instid0(VALU_DEP_1) | instskip(SKIP_1) | instid1(SALU_CYCLE_1)
	v_cmp_ngt_f64_e32 vcc_lo, v[0:1], v[4:5]
                                        ; implicit-def: $vgpr0_vgpr1
	s_and_saveexec_b32 s3, vcc_lo
	s_xor_b32 s3, exec_lo, s3
                                        ; implicit-def: $vgpr240_vgpr241_vgpr242_vgpr243
	s_cbranch_execz .LBB123_666
; %bb.665:
	v_div_scale_f64 v[0:1], null, v[238:239], v[238:239], v[236:237]
	v_div_scale_f64 v[240:241], vcc_lo, v[236:237], v[238:239], v[236:237]
	s_delay_alu instid0(VALU_DEP_2) | instskip(SKIP_2) | instid1(VALU_DEP_1)
	v_rcp_f64_e32 v[4:5], v[0:1]
	s_waitcnt_depctr 0xfff
	v_fma_f64 v[6:7], -v[0:1], v[4:5], 1.0
	v_fma_f64 v[4:5], v[4:5], v[6:7], v[4:5]
	s_delay_alu instid0(VALU_DEP_1) | instskip(NEXT) | instid1(VALU_DEP_1)
	v_fma_f64 v[6:7], -v[0:1], v[4:5], 1.0
	v_fma_f64 v[4:5], v[4:5], v[6:7], v[4:5]
	s_delay_alu instid0(VALU_DEP_1) | instskip(NEXT) | instid1(VALU_DEP_1)
	v_mul_f64 v[6:7], v[240:241], v[4:5]
	v_fma_f64 v[0:1], -v[0:1], v[6:7], v[240:241]
	s_delay_alu instid0(VALU_DEP_1) | instskip(NEXT) | instid1(VALU_DEP_1)
	v_div_fmas_f64 v[0:1], v[0:1], v[4:5], v[6:7]
	v_div_fixup_f64 v[0:1], v[0:1], v[238:239], v[236:237]
	s_delay_alu instid0(VALU_DEP_1) | instskip(NEXT) | instid1(VALU_DEP_1)
	v_fma_f64 v[4:5], v[236:237], v[0:1], v[238:239]
	v_div_scale_f64 v[6:7], null, v[4:5], v[4:5], 1.0
	s_delay_alu instid0(VALU_DEP_1) | instskip(SKIP_2) | instid1(VALU_DEP_1)
	v_rcp_f64_e32 v[236:237], v[6:7]
	s_waitcnt_depctr 0xfff
	v_fma_f64 v[238:239], -v[6:7], v[236:237], 1.0
	v_fma_f64 v[236:237], v[236:237], v[238:239], v[236:237]
	s_delay_alu instid0(VALU_DEP_1) | instskip(NEXT) | instid1(VALU_DEP_1)
	v_fma_f64 v[238:239], -v[6:7], v[236:237], 1.0
	v_fma_f64 v[236:237], v[236:237], v[238:239], v[236:237]
	v_div_scale_f64 v[238:239], vcc_lo, 1.0, v[4:5], 1.0
	s_delay_alu instid0(VALU_DEP_1) | instskip(NEXT) | instid1(VALU_DEP_1)
	v_mul_f64 v[240:241], v[238:239], v[236:237]
	v_fma_f64 v[6:7], -v[6:7], v[240:241], v[238:239]
	s_delay_alu instid0(VALU_DEP_1) | instskip(NEXT) | instid1(VALU_DEP_1)
	v_div_fmas_f64 v[6:7], v[6:7], v[236:237], v[240:241]
                                        ; implicit-def: $vgpr236_vgpr237
	v_div_fixup_f64 v[242:243], v[6:7], v[4:5], 1.0
	s_delay_alu instid0(VALU_DEP_1)
	v_mul_f64 v[0:1], v[0:1], v[242:243]
	v_xor_b32_e32 v243, 0x80000000, v243
.LBB123_666:
	s_and_not1_saveexec_b32 s3, s3
	s_cbranch_execz .LBB123_668
; %bb.667:
	v_div_scale_f64 v[0:1], null, v[236:237], v[236:237], v[238:239]
	v_div_scale_f64 v[240:241], vcc_lo, v[238:239], v[236:237], v[238:239]
	s_delay_alu instid0(VALU_DEP_2) | instskip(SKIP_2) | instid1(VALU_DEP_1)
	v_rcp_f64_e32 v[4:5], v[0:1]
	s_waitcnt_depctr 0xfff
	v_fma_f64 v[6:7], -v[0:1], v[4:5], 1.0
	v_fma_f64 v[4:5], v[4:5], v[6:7], v[4:5]
	s_delay_alu instid0(VALU_DEP_1) | instskip(NEXT) | instid1(VALU_DEP_1)
	v_fma_f64 v[6:7], -v[0:1], v[4:5], 1.0
	v_fma_f64 v[4:5], v[4:5], v[6:7], v[4:5]
	s_delay_alu instid0(VALU_DEP_1) | instskip(NEXT) | instid1(VALU_DEP_1)
	v_mul_f64 v[6:7], v[240:241], v[4:5]
	v_fma_f64 v[0:1], -v[0:1], v[6:7], v[240:241]
	s_delay_alu instid0(VALU_DEP_1) | instskip(NEXT) | instid1(VALU_DEP_1)
	v_div_fmas_f64 v[0:1], v[0:1], v[4:5], v[6:7]
	v_div_fixup_f64 v[4:5], v[0:1], v[236:237], v[238:239]
	s_delay_alu instid0(VALU_DEP_1) | instskip(NEXT) | instid1(VALU_DEP_1)
	v_fma_f64 v[0:1], v[238:239], v[4:5], v[236:237]
	v_div_scale_f64 v[6:7], null, v[0:1], v[0:1], 1.0
	s_delay_alu instid0(VALU_DEP_1) | instskip(SKIP_2) | instid1(VALU_DEP_1)
	v_rcp_f64_e32 v[236:237], v[6:7]
	s_waitcnt_depctr 0xfff
	v_fma_f64 v[238:239], -v[6:7], v[236:237], 1.0
	v_fma_f64 v[236:237], v[236:237], v[238:239], v[236:237]
	s_delay_alu instid0(VALU_DEP_1) | instskip(NEXT) | instid1(VALU_DEP_1)
	v_fma_f64 v[238:239], -v[6:7], v[236:237], 1.0
	v_fma_f64 v[236:237], v[236:237], v[238:239], v[236:237]
	v_div_scale_f64 v[238:239], vcc_lo, 1.0, v[0:1], 1.0
	s_delay_alu instid0(VALU_DEP_1) | instskip(NEXT) | instid1(VALU_DEP_1)
	v_mul_f64 v[240:241], v[238:239], v[236:237]
	v_fma_f64 v[6:7], -v[6:7], v[240:241], v[238:239]
	s_delay_alu instid0(VALU_DEP_1) | instskip(NEXT) | instid1(VALU_DEP_1)
	v_div_fmas_f64 v[6:7], v[6:7], v[236:237], v[240:241]
	v_div_fixup_f64 v[0:1], v[6:7], v[0:1], 1.0
	s_delay_alu instid0(VALU_DEP_1)
	v_mul_f64 v[242:243], v[4:5], -v[0:1]
.LBB123_668:
	s_or_b32 exec_lo, exec_lo, s3
	ds_store_2addr_b64 v255, v[0:1], v[242:243] offset1:1
.LBB123_669:
	s_or_b32 exec_lo, exec_lo, s4
	s_waitcnt lgkmcnt(0)
	s_barrier
	buffer_gl0_inv
	ds_load_2addr_b64 v[236:239], v255 offset1:1
	s_mov_b32 s3, exec_lo
	v_cmpx_lt_u32_e32 59, v252
	s_cbranch_execz .LBB123_671
; %bb.670:
	scratch_load_b128 v[240:243], off, off offset:944
	s_waitcnt vmcnt(0) lgkmcnt(0)
	v_mul_f64 v[0:1], v[238:239], v[242:243]
	s_delay_alu instid0(VALU_DEP_1) | instskip(SKIP_1) | instid1(VALU_DEP_1)
	v_fma_f64 v[244:245], v[236:237], v[240:241], -v[0:1]
	v_mul_f64 v[0:1], v[236:237], v[242:243]
	v_fma_f64 v[246:247], v[238:239], v[240:241], v[0:1]
	ds_load_2addr_b64 v[240:243], v248 offset0:120 offset1:121
	s_waitcnt lgkmcnt(0)
	v_mul_f64 v[0:1], v[242:243], v[246:247]
	v_mul_f64 v[4:5], v[240:241], v[246:247]
	s_delay_alu instid0(VALU_DEP_2) | instskip(NEXT) | instid1(VALU_DEP_2)
	v_fma_f64 v[0:1], v[240:241], v[244:245], -v[0:1]
	v_fma_f64 v[4:5], v[242:243], v[244:245], v[4:5]
	scratch_load_b128 v[240:243], off, off offset:960
	s_waitcnt vmcnt(0)
	v_add_f64 v[240:241], v[240:241], -v[0:1]
	v_add_f64 v[242:243], v[242:243], -v[4:5]
	s_clause 0x1
	scratch_store_b128 off, v[244:247], off offset:944
	scratch_store_b128 off, v[240:243], off offset:960
	ds_load_2addr_b64 v[240:243], v248 offset0:122 offset1:123
	s_waitcnt lgkmcnt(0)
	v_mul_f64 v[0:1], v[242:243], v[246:247]
	v_mul_f64 v[4:5], v[240:241], v[246:247]
	s_delay_alu instid0(VALU_DEP_2) | instskip(NEXT) | instid1(VALU_DEP_2)
	v_fma_f64 v[0:1], v[240:241], v[244:245], -v[0:1]
	v_fma_f64 v[4:5], v[242:243], v[244:245], v[4:5]
	scratch_load_b128 v[240:243], off, off offset:976
	s_waitcnt vmcnt(0)
	v_add_f64 v[240:241], v[240:241], -v[0:1]
	v_add_f64 v[242:243], v[242:243], -v[4:5]
	scratch_store_b128 off, v[240:243], off offset:976
.LBB123_671:
	s_or_b32 exec_lo, exec_lo, s3
	s_delay_alu instid0(SALU_CYCLE_1)
	s_mov_b32 s4, exec_lo
	s_waitcnt lgkmcnt(0)
	s_waitcnt_vscnt null, 0x0
	s_barrier
	buffer_gl0_inv
	v_cmpx_eq_u32_e32 60, v252
	s_cbranch_execz .LBB123_678
; %bb.672:
	scratch_load_b128 v[240:243], v3, off
	s_waitcnt vmcnt(0)
	ds_store_2addr_b64 v255, v[240:241], v[242:243] offset1:1
	scratch_load_b128 v[240:243], v2, off
	s_waitcnt vmcnt(0)
	ds_store_2addr_b64 v248, v[240:241], v[242:243] offset0:122 offset1:123
	ds_load_2addr_b64 v[240:243], v255 offset1:1
	s_waitcnt lgkmcnt(0)
	v_cmp_neq_f64_e32 vcc_lo, 0, v[240:241]
	v_cmp_neq_f64_e64 s3, 0, v[242:243]
	s_delay_alu instid0(VALU_DEP_1) | instskip(NEXT) | instid1(SALU_CYCLE_1)
	s_or_b32 s3, vcc_lo, s3
	s_and_b32 exec_lo, exec_lo, s3
	s_cbranch_execz .LBB123_678
; %bb.673:
	v_cmp_gt_f64_e32 vcc_lo, 0, v[240:241]
	v_xor_b32_e32 v0, 0x80000000, v241
	v_xor_b32_e32 v4, 0x80000000, v243
	s_delay_alu instid0(VALU_DEP_2) | instskip(SKIP_2) | instid1(VALU_DEP_4)
	v_cndmask_b32_e32 v1, v241, v0, vcc_lo
	v_cndmask_b32_e32 v0, v240, v240, vcc_lo
	v_cmp_gt_f64_e32 vcc_lo, 0, v[242:243]
	v_dual_cndmask_b32 v5, v243, v4 :: v_dual_cndmask_b32 v4, v242, v242
	s_delay_alu instid0(VALU_DEP_1) | instskip(SKIP_1) | instid1(SALU_CYCLE_1)
	v_cmp_ngt_f64_e32 vcc_lo, v[0:1], v[4:5]
                                        ; implicit-def: $vgpr0_vgpr1
	s_and_saveexec_b32 s3, vcc_lo
	s_xor_b32 s3, exec_lo, s3
                                        ; implicit-def: $vgpr244_vgpr245_vgpr246_vgpr247
	s_cbranch_execz .LBB123_675
; %bb.674:
	v_div_scale_f64 v[0:1], null, v[242:243], v[242:243], v[240:241]
	v_div_scale_f64 v[244:245], vcc_lo, v[240:241], v[242:243], v[240:241]
	s_delay_alu instid0(VALU_DEP_2) | instskip(SKIP_2) | instid1(VALU_DEP_1)
	v_rcp_f64_e32 v[4:5], v[0:1]
	s_waitcnt_depctr 0xfff
	v_fma_f64 v[6:7], -v[0:1], v[4:5], 1.0
	v_fma_f64 v[4:5], v[4:5], v[6:7], v[4:5]
	s_delay_alu instid0(VALU_DEP_1) | instskip(NEXT) | instid1(VALU_DEP_1)
	v_fma_f64 v[6:7], -v[0:1], v[4:5], 1.0
	v_fma_f64 v[4:5], v[4:5], v[6:7], v[4:5]
	s_delay_alu instid0(VALU_DEP_1) | instskip(NEXT) | instid1(VALU_DEP_1)
	v_mul_f64 v[6:7], v[244:245], v[4:5]
	v_fma_f64 v[0:1], -v[0:1], v[6:7], v[244:245]
	s_delay_alu instid0(VALU_DEP_1) | instskip(NEXT) | instid1(VALU_DEP_1)
	v_div_fmas_f64 v[0:1], v[0:1], v[4:5], v[6:7]
	v_div_fixup_f64 v[0:1], v[0:1], v[242:243], v[240:241]
	s_delay_alu instid0(VALU_DEP_1) | instskip(NEXT) | instid1(VALU_DEP_1)
	v_fma_f64 v[4:5], v[240:241], v[0:1], v[242:243]
	v_div_scale_f64 v[6:7], null, v[4:5], v[4:5], 1.0
	s_delay_alu instid0(VALU_DEP_1) | instskip(SKIP_2) | instid1(VALU_DEP_1)
	v_rcp_f64_e32 v[240:241], v[6:7]
	s_waitcnt_depctr 0xfff
	v_fma_f64 v[242:243], -v[6:7], v[240:241], 1.0
	v_fma_f64 v[240:241], v[240:241], v[242:243], v[240:241]
	s_delay_alu instid0(VALU_DEP_1) | instskip(NEXT) | instid1(VALU_DEP_1)
	v_fma_f64 v[242:243], -v[6:7], v[240:241], 1.0
	v_fma_f64 v[240:241], v[240:241], v[242:243], v[240:241]
	v_div_scale_f64 v[242:243], vcc_lo, 1.0, v[4:5], 1.0
	s_delay_alu instid0(VALU_DEP_1) | instskip(NEXT) | instid1(VALU_DEP_1)
	v_mul_f64 v[244:245], v[242:243], v[240:241]
	v_fma_f64 v[6:7], -v[6:7], v[244:245], v[242:243]
	s_delay_alu instid0(VALU_DEP_1) | instskip(NEXT) | instid1(VALU_DEP_1)
	v_div_fmas_f64 v[6:7], v[6:7], v[240:241], v[244:245]
                                        ; implicit-def: $vgpr240_vgpr241
	v_div_fixup_f64 v[246:247], v[6:7], v[4:5], 1.0
	s_delay_alu instid0(VALU_DEP_1)
	v_mul_f64 v[0:1], v[0:1], v[246:247]
	v_xor_b32_e32 v247, 0x80000000, v247
.LBB123_675:
	s_and_not1_saveexec_b32 s3, s3
	s_cbranch_execz .LBB123_677
; %bb.676:
	v_div_scale_f64 v[0:1], null, v[240:241], v[240:241], v[242:243]
	v_div_scale_f64 v[244:245], vcc_lo, v[242:243], v[240:241], v[242:243]
	s_delay_alu instid0(VALU_DEP_2) | instskip(SKIP_2) | instid1(VALU_DEP_1)
	v_rcp_f64_e32 v[4:5], v[0:1]
	s_waitcnt_depctr 0xfff
	v_fma_f64 v[6:7], -v[0:1], v[4:5], 1.0
	v_fma_f64 v[4:5], v[4:5], v[6:7], v[4:5]
	s_delay_alu instid0(VALU_DEP_1) | instskip(NEXT) | instid1(VALU_DEP_1)
	v_fma_f64 v[6:7], -v[0:1], v[4:5], 1.0
	v_fma_f64 v[4:5], v[4:5], v[6:7], v[4:5]
	s_delay_alu instid0(VALU_DEP_1) | instskip(NEXT) | instid1(VALU_DEP_1)
	v_mul_f64 v[6:7], v[244:245], v[4:5]
	v_fma_f64 v[0:1], -v[0:1], v[6:7], v[244:245]
	s_delay_alu instid0(VALU_DEP_1) | instskip(NEXT) | instid1(VALU_DEP_1)
	v_div_fmas_f64 v[0:1], v[0:1], v[4:5], v[6:7]
	v_div_fixup_f64 v[4:5], v[0:1], v[240:241], v[242:243]
	s_delay_alu instid0(VALU_DEP_1) | instskip(NEXT) | instid1(VALU_DEP_1)
	v_fma_f64 v[0:1], v[242:243], v[4:5], v[240:241]
	v_div_scale_f64 v[6:7], null, v[0:1], v[0:1], 1.0
	s_delay_alu instid0(VALU_DEP_1) | instskip(SKIP_2) | instid1(VALU_DEP_1)
	v_rcp_f64_e32 v[240:241], v[6:7]
	s_waitcnt_depctr 0xfff
	v_fma_f64 v[242:243], -v[6:7], v[240:241], 1.0
	v_fma_f64 v[240:241], v[240:241], v[242:243], v[240:241]
	s_delay_alu instid0(VALU_DEP_1) | instskip(NEXT) | instid1(VALU_DEP_1)
	v_fma_f64 v[242:243], -v[6:7], v[240:241], 1.0
	v_fma_f64 v[240:241], v[240:241], v[242:243], v[240:241]
	v_div_scale_f64 v[242:243], vcc_lo, 1.0, v[0:1], 1.0
	s_delay_alu instid0(VALU_DEP_1) | instskip(NEXT) | instid1(VALU_DEP_1)
	v_mul_f64 v[244:245], v[242:243], v[240:241]
	v_fma_f64 v[6:7], -v[6:7], v[244:245], v[242:243]
	s_delay_alu instid0(VALU_DEP_1) | instskip(NEXT) | instid1(VALU_DEP_1)
	v_div_fmas_f64 v[6:7], v[6:7], v[240:241], v[244:245]
	v_div_fixup_f64 v[0:1], v[6:7], v[0:1], 1.0
	s_delay_alu instid0(VALU_DEP_1)
	v_mul_f64 v[246:247], v[4:5], -v[0:1]
.LBB123_677:
	s_or_b32 exec_lo, exec_lo, s3
	ds_store_2addr_b64 v255, v[0:1], v[246:247] offset1:1
.LBB123_678:
	s_or_b32 exec_lo, exec_lo, s4
	s_waitcnt lgkmcnt(0)
	s_barrier
	buffer_gl0_inv
	ds_load_2addr_b64 v[240:243], v255 offset1:1
	s_mov_b32 s3, exec_lo
	v_cmpx_lt_u32_e32 60, v252
	s_cbranch_execz .LBB123_680
; %bb.679:
	scratch_load_b128 v[244:247], off, off offset:960
	s_waitcnt vmcnt(0) lgkmcnt(0)
	v_mul_f64 v[0:1], v[242:243], v[246:247]
	s_delay_alu instid0(VALU_DEP_1) | instskip(SKIP_1) | instid1(VALU_DEP_1)
	v_fma_f64 v[4:5], v[240:241], v[244:245], -v[0:1]
	v_mul_f64 v[0:1], v[240:241], v[246:247]
	v_fma_f64 v[6:7], v[242:243], v[244:245], v[0:1]
	ds_load_2addr_b64 v[244:247], v248 offset0:122 offset1:123
	scratch_store_b128 off, v[4:7], off offset:960
	s_waitcnt lgkmcnt(0)
	v_mul_f64 v[0:1], v[246:247], v[6:7]
	v_mul_f64 v[6:7], v[244:245], v[6:7]
	s_delay_alu instid0(VALU_DEP_2) | instskip(NEXT) | instid1(VALU_DEP_2)
	v_fma_f64 v[0:1], v[244:245], v[4:5], -v[0:1]
	v_fma_f64 v[244:245], v[246:247], v[4:5], v[6:7]
	scratch_load_b128 v[4:7], off, off offset:976
	s_waitcnt vmcnt(0)
	v_add_f64 v[4:5], v[4:5], -v[0:1]
	v_add_f64 v[6:7], v[6:7], -v[244:245]
	scratch_store_b128 off, v[4:7], off offset:976
.LBB123_680:
	s_or_b32 exec_lo, exec_lo, s3
	s_delay_alu instid0(SALU_CYCLE_1)
	s_mov_b32 s4, exec_lo
	s_waitcnt lgkmcnt(0)
	s_waitcnt_vscnt null, 0x0
	s_barrier
	buffer_gl0_inv
	v_cmpx_eq_u32_e32 61, v252
	s_cbranch_execz .LBB123_687
; %bb.681:
	scratch_load_b128 v[244:247], v2, off
	s_waitcnt vmcnt(0)
	v_cmp_neq_f64_e32 vcc_lo, 0, v[244:245]
	v_cmp_neq_f64_e64 s3, 0, v[246:247]
	ds_store_2addr_b64 v255, v[244:245], v[246:247] offset1:1
	s_or_b32 s3, vcc_lo, s3
	s_delay_alu instid0(SALU_CYCLE_1)
	s_and_b32 exec_lo, exec_lo, s3
	s_cbranch_execz .LBB123_687
; %bb.682:
	v_cmp_gt_f64_e32 vcc_lo, 0, v[244:245]
	v_xor_b32_e32 v0, 0x80000000, v245
	v_xor_b32_e32 v4, 0x80000000, v247
	s_delay_alu instid0(VALU_DEP_2) | instskip(SKIP_2) | instid1(VALU_DEP_4)
	v_cndmask_b32_e32 v1, v245, v0, vcc_lo
	v_cndmask_b32_e32 v0, v244, v244, vcc_lo
	v_cmp_gt_f64_e32 vcc_lo, 0, v[246:247]
	v_dual_mov_b32 v8, v249 :: v_dual_cndmask_b32 v5, v247, v4
	v_cndmask_b32_e32 v4, v246, v246, vcc_lo
	s_delay_alu instid0(VALU_DEP_1) | instskip(SKIP_1) | instid1(SALU_CYCLE_1)
	v_cmp_ngt_f64_e32 vcc_lo, v[0:1], v[4:5]
                                        ; implicit-def: $vgpr0_vgpr1
	s_and_saveexec_b32 s3, vcc_lo
	s_xor_b32 s3, exec_lo, s3
                                        ; implicit-def: $vgpr248_vgpr249_vgpr250_vgpr251
	s_cbranch_execz .LBB123_684
; %bb.683:
	v_div_scale_f64 v[0:1], null, v[246:247], v[246:247], v[244:245]
	v_div_scale_f64 v[248:249], vcc_lo, v[244:245], v[246:247], v[244:245]
	s_delay_alu instid0(VALU_DEP_2) | instskip(SKIP_2) | instid1(VALU_DEP_1)
	v_rcp_f64_e32 v[4:5], v[0:1]
	s_waitcnt_depctr 0xfff
	v_fma_f64 v[6:7], -v[0:1], v[4:5], 1.0
	v_fma_f64 v[4:5], v[4:5], v[6:7], v[4:5]
	s_delay_alu instid0(VALU_DEP_1) | instskip(NEXT) | instid1(VALU_DEP_1)
	v_fma_f64 v[6:7], -v[0:1], v[4:5], 1.0
	v_fma_f64 v[4:5], v[4:5], v[6:7], v[4:5]
	s_delay_alu instid0(VALU_DEP_1) | instskip(NEXT) | instid1(VALU_DEP_1)
	v_mul_f64 v[6:7], v[248:249], v[4:5]
	v_fma_f64 v[0:1], -v[0:1], v[6:7], v[248:249]
	s_delay_alu instid0(VALU_DEP_1) | instskip(NEXT) | instid1(VALU_DEP_1)
	v_div_fmas_f64 v[0:1], v[0:1], v[4:5], v[6:7]
	v_div_fixup_f64 v[0:1], v[0:1], v[246:247], v[244:245]
	s_delay_alu instid0(VALU_DEP_1) | instskip(NEXT) | instid1(VALU_DEP_1)
	v_fma_f64 v[4:5], v[244:245], v[0:1], v[246:247]
	v_div_scale_f64 v[6:7], null, v[4:5], v[4:5], 1.0
	s_delay_alu instid0(VALU_DEP_1) | instskip(SKIP_2) | instid1(VALU_DEP_1)
	v_rcp_f64_e32 v[244:245], v[6:7]
	s_waitcnt_depctr 0xfff
	v_fma_f64 v[246:247], -v[6:7], v[244:245], 1.0
	v_fma_f64 v[244:245], v[244:245], v[246:247], v[244:245]
	s_delay_alu instid0(VALU_DEP_1) | instskip(NEXT) | instid1(VALU_DEP_1)
	v_fma_f64 v[246:247], -v[6:7], v[244:245], 1.0
	v_fma_f64 v[244:245], v[244:245], v[246:247], v[244:245]
	v_div_scale_f64 v[246:247], vcc_lo, 1.0, v[4:5], 1.0
	s_delay_alu instid0(VALU_DEP_1) | instskip(NEXT) | instid1(VALU_DEP_1)
	v_mul_f64 v[248:249], v[246:247], v[244:245]
	v_fma_f64 v[6:7], -v[6:7], v[248:249], v[246:247]
	s_delay_alu instid0(VALU_DEP_1) | instskip(NEXT) | instid1(VALU_DEP_1)
	v_div_fmas_f64 v[6:7], v[6:7], v[244:245], v[248:249]
                                        ; implicit-def: $vgpr244_vgpr245
	v_div_fixup_f64 v[250:251], v[6:7], v[4:5], 1.0
	s_delay_alu instid0(VALU_DEP_1)
	v_mul_f64 v[0:1], v[0:1], v[250:251]
	v_xor_b32_e32 v251, 0x80000000, v251
.LBB123_684:
	s_and_not1_saveexec_b32 s3, s3
	s_cbranch_execz .LBB123_686
; %bb.685:
	v_div_scale_f64 v[0:1], null, v[244:245], v[244:245], v[246:247]
	v_div_scale_f64 v[248:249], vcc_lo, v[246:247], v[244:245], v[246:247]
	s_delay_alu instid0(VALU_DEP_2) | instskip(SKIP_2) | instid1(VALU_DEP_1)
	v_rcp_f64_e32 v[4:5], v[0:1]
	s_waitcnt_depctr 0xfff
	v_fma_f64 v[6:7], -v[0:1], v[4:5], 1.0
	v_fma_f64 v[4:5], v[4:5], v[6:7], v[4:5]
	s_delay_alu instid0(VALU_DEP_1) | instskip(NEXT) | instid1(VALU_DEP_1)
	v_fma_f64 v[6:7], -v[0:1], v[4:5], 1.0
	v_fma_f64 v[4:5], v[4:5], v[6:7], v[4:5]
	s_delay_alu instid0(VALU_DEP_1) | instskip(NEXT) | instid1(VALU_DEP_1)
	v_mul_f64 v[6:7], v[248:249], v[4:5]
	v_fma_f64 v[0:1], -v[0:1], v[6:7], v[248:249]
	s_delay_alu instid0(VALU_DEP_1) | instskip(NEXT) | instid1(VALU_DEP_1)
	v_div_fmas_f64 v[0:1], v[0:1], v[4:5], v[6:7]
	v_div_fixup_f64 v[4:5], v[0:1], v[244:245], v[246:247]
	s_delay_alu instid0(VALU_DEP_1) | instskip(NEXT) | instid1(VALU_DEP_1)
	v_fma_f64 v[0:1], v[246:247], v[4:5], v[244:245]
	v_div_scale_f64 v[6:7], null, v[0:1], v[0:1], 1.0
	s_delay_alu instid0(VALU_DEP_1) | instskip(SKIP_2) | instid1(VALU_DEP_1)
	v_rcp_f64_e32 v[244:245], v[6:7]
	s_waitcnt_depctr 0xfff
	v_fma_f64 v[246:247], -v[6:7], v[244:245], 1.0
	v_fma_f64 v[244:245], v[244:245], v[246:247], v[244:245]
	s_delay_alu instid0(VALU_DEP_1) | instskip(NEXT) | instid1(VALU_DEP_1)
	v_fma_f64 v[246:247], -v[6:7], v[244:245], 1.0
	v_fma_f64 v[244:245], v[244:245], v[246:247], v[244:245]
	v_div_scale_f64 v[246:247], vcc_lo, 1.0, v[0:1], 1.0
	s_delay_alu instid0(VALU_DEP_1) | instskip(NEXT) | instid1(VALU_DEP_1)
	v_mul_f64 v[248:249], v[246:247], v[244:245]
	v_fma_f64 v[6:7], -v[6:7], v[248:249], v[246:247]
	s_delay_alu instid0(VALU_DEP_1) | instskip(NEXT) | instid1(VALU_DEP_1)
	v_div_fmas_f64 v[6:7], v[6:7], v[244:245], v[248:249]
	v_div_fixup_f64 v[0:1], v[6:7], v[0:1], 1.0
	s_delay_alu instid0(VALU_DEP_1)
	v_mul_f64 v[250:251], v[4:5], -v[0:1]
.LBB123_686:
	s_or_b32 exec_lo, exec_lo, s3
	v_mov_b32_e32 v249, v8
	ds_store_2addr_b64 v255, v[0:1], v[250:251] offset1:1
.LBB123_687:
	s_or_b32 exec_lo, exec_lo, s4
	s_waitcnt lgkmcnt(0)
	s_barrier
	buffer_gl0_inv
	ds_load_2addr_b64 v[244:247], v255 offset1:1
	s_mov_b32 s3, exec_lo
	v_cmpx_lt_u32_e32 61, v252
	s_cbranch_execz .LBB123_689
; %bb.688:
	scratch_load_b128 v[4:7], off, off offset:976
	v_mov_b32_e32 v8, v249
	s_waitcnt vmcnt(0) lgkmcnt(0)
	v_mul_f64 v[0:1], v[246:247], v[6:7]
	s_delay_alu instid0(VALU_DEP_1) | instskip(SKIP_1) | instid1(VALU_DEP_1)
	v_fma_f64 v[248:249], v[244:245], v[4:5], -v[0:1]
	v_mul_f64 v[0:1], v[244:245], v[6:7]
	v_fma_f64 v[250:251], v[246:247], v[4:5], v[0:1]
	scratch_store_b128 off, v[248:251], off offset:976
	v_mov_b32_e32 v249, v8
.LBB123_689:
	s_or_b32 exec_lo, exec_lo, s3
	s_waitcnt lgkmcnt(0)
	s_waitcnt_vscnt null, 0x0
	s_barrier
	buffer_gl0_inv
	s_mov_b32 s12, exec_lo
	v_mov_b32_e32 v248, v9
	s_and_b32 s2, s12, s2
	s_delay_alu instid0(SALU_CYCLE_1)
	s_mov_b32 exec_lo, s2
	s_cbranch_execz .LBB123_692
; %bb.690:
	scratch_load_b128 v[4:7], off, off offset:1700 ; 16-byte Folded Reload
	v_cmp_eq_f64_e64 s7, 0, v[12:13]
	v_cmp_eq_f64_e64 s8, 0, v[14:15]
	;; [unrolled: 1-line block ×4, first 2 shown]
	s_load_b64 s[14:15], s[0:1], 0x28
	s_waitcnt vmcnt(0)
	v_cmp_eq_f64_e32 vcc_lo, 0, v[4:5]
	v_cmp_eq_f64_e64 s2, 0, v[6:7]
	scratch_load_b128 v[4:7], off, off offset:1716 ; 16-byte Folded Reload
	s_and_b32 s2, vcc_lo, s2
	s_delay_alu instid0(SALU_CYCLE_1)
	v_cndmask_b32_e64 v0, 0, 1, s2
	s_waitcnt vmcnt(0)
	v_cmp_neq_f64_e64 s3, 0, v[4:5]
	v_cmp_neq_f64_e64 s4, 0, v[6:7]
	scratch_load_b128 v[4:7], off, off offset:1732 ; 16-byte Folded Reload
	s_or_b32 s3, s3, s4
	s_delay_alu instid0(SALU_CYCLE_1) | instskip(SKIP_3) | instid1(VALU_DEP_2)
	s_or_b32 vcc_lo, s3, s2
	v_cmp_eq_f64_e64 s2, 0, v[22:23]
	v_cndmask_b32_e32 v0, 2, v0, vcc_lo
	v_cmp_eq_f64_e32 vcc_lo, 0, v[20:21]
	v_cmp_eq_u32_e64 s3, 0, v0
	s_delay_alu instid0(VALU_DEP_4) | instskip(SKIP_4) | instid1(VALU_DEP_1)
	s_and_b32 s2, vcc_lo, s2
	v_cmp_eq_f64_e32 vcc_lo, 0, v[36:37]
	s_waitcnt vmcnt(0)
	v_cmp_eq_f64_e64 s5, 0, v[4:5]
	v_cmp_eq_f64_e64 s6, 0, v[6:7]
	s_and_b32 s4, s5, s6
	s_and_b32 s6, s7, s8
	;; [unrolled: 1-line block ×3, first 2 shown]
	v_cmp_eq_f64_e64 s4, 0, v[26:27]
	v_cndmask_b32_e64 v0, v0, 3, s3
	v_cmp_eq_f64_e64 s3, 0, v[24:25]
	s_and_b32 s8, s9, s10
	v_cmp_eq_f64_e64 s10, 0, v[128:129]
	s_delay_alu instid0(VALU_DEP_3) | instskip(NEXT) | instid1(VALU_DEP_1)
	v_cmp_eq_u32_e64 s5, 0, v0
	s_and_b32 s5, s6, s5
	v_cmp_eq_f64_e64 s6, 0, v[30:31]
	v_cndmask_b32_e64 v0, v0, 4, s5
	v_cmp_eq_f64_e64 s5, 0, v[28:29]
	s_delay_alu instid0(VALU_DEP_2) | instskip(NEXT) | instid1(VALU_DEP_1)
	v_cmp_eq_u32_e64 s7, 0, v0
	s_and_b32 s7, s8, s7
	v_cmp_eq_f64_e64 s8, 0, v[34:35]
	v_cndmask_b32_e64 v0, v0, 5, s7
	v_cmp_eq_f64_e64 s7, 0, v[32:33]
	s_delay_alu instid0(VALU_DEP_2) | instskip(NEXT) | instid1(VALU_DEP_1)
	v_cmp_eq_u32_e64 s9, 0, v0
	s_and_b32 s2, s2, s9
	s_delay_alu instid0(SALU_CYCLE_1) | instskip(SKIP_3) | instid1(VALU_DEP_3)
	v_cndmask_b32_e64 v0, v0, 6, s2
	v_cmp_eq_f64_e64 s2, 0, v[38:39]
	s_and_b32 s3, s3, s4
	v_cmp_eq_f64_e64 s4, 0, v[42:43]
	v_cmp_eq_u32_e64 s9, 0, v0
	s_delay_alu instid0(VALU_DEP_1) | instskip(NEXT) | instid1(SALU_CYCLE_1)
	s_and_b32 s3, s3, s9
	v_cndmask_b32_e64 v0, v0, 7, s3
	v_cmp_eq_f64_e64 s3, 0, v[40:41]
	s_and_b32 s5, s5, s6
	v_cmp_eq_f64_e64 s6, 0, v[46:47]
	s_delay_alu instid0(VALU_DEP_3) | instskip(NEXT) | instid1(VALU_DEP_1)
	v_cmp_eq_u32_e64 s9, 0, v0
	s_and_b32 s5, s5, s9
	s_delay_alu instid0(SALU_CYCLE_1) | instskip(SKIP_3) | instid1(VALU_DEP_3)
	v_cndmask_b32_e64 v0, v0, 8, s5
	v_cmp_eq_f64_e64 s5, 0, v[44:45]
	s_and_b32 s7, s7, s8
	v_cmp_eq_f64_e64 s8, 0, v[50:51]
	v_cmp_eq_u32_e64 s9, 0, v0
	s_delay_alu instid0(VALU_DEP_1) | instskip(NEXT) | instid1(SALU_CYCLE_1)
	s_and_b32 s7, s7, s9
	v_cndmask_b32_e64 v0, v0, 9, s7
	v_cmp_eq_f64_e64 s7, 0, v[48:49]
	s_and_b32 s2, vcc_lo, s2
	v_cmp_eq_f64_e32 vcc_lo, 0, v[52:53]
	s_delay_alu instid0(VALU_DEP_3) | instskip(NEXT) | instid1(VALU_DEP_1)
	v_cmp_eq_u32_e64 s9, 0, v0
	s_and_b32 s2, s2, s9
	s_delay_alu instid0(SALU_CYCLE_1) | instskip(SKIP_3) | instid1(VALU_DEP_3)
	v_cndmask_b32_e64 v0, v0, 10, s2
	v_cmp_eq_f64_e64 s2, 0, v[54:55]
	s_and_b32 s3, s3, s4
	v_cmp_eq_f64_e64 s4, 0, v[58:59]
	v_cmp_eq_u32_e64 s9, 0, v0
	s_delay_alu instid0(VALU_DEP_1) | instskip(NEXT) | instid1(SALU_CYCLE_1)
	s_and_b32 s3, s3, s9
	v_cndmask_b32_e64 v0, v0, 11, s3
	v_cmp_eq_f64_e64 s3, 0, v[56:57]
	s_and_b32 s5, s5, s6
	v_cmp_eq_f64_e64 s6, 0, v[62:63]
	s_delay_alu instid0(VALU_DEP_3) | instskip(NEXT) | instid1(VALU_DEP_1)
	v_cmp_eq_u32_e64 s9, 0, v0
	s_and_b32 s5, s5, s9
	s_delay_alu instid0(SALU_CYCLE_1) | instskip(SKIP_3) | instid1(VALU_DEP_3)
	v_cndmask_b32_e64 v0, v0, 12, s5
	v_cmp_eq_f64_e64 s5, 0, v[60:61]
	s_and_b32 s7, s7, s8
	v_cmp_eq_f64_e64 s8, 0, v[66:67]
	v_cmp_eq_u32_e64 s9, 0, v0
	s_delay_alu instid0(VALU_DEP_1) | instskip(NEXT) | instid1(SALU_CYCLE_1)
	s_and_b32 s7, s7, s9
	v_cndmask_b32_e64 v0, v0, 13, s7
	v_cmp_eq_f64_e64 s7, 0, v[64:65]
	s_and_b32 s2, vcc_lo, s2
	v_cmp_eq_f64_e32 vcc_lo, 0, v[68:69]
	s_delay_alu instid0(VALU_DEP_3) | instskip(NEXT) | instid1(VALU_DEP_1)
	;; [unrolled: 30-line block ×5, first 2 shown]
	v_cmp_eq_u32_e64 s9, 0, v0
	s_and_b32 s2, s2, s9
	s_delay_alu instid0(SALU_CYCLE_1) | instskip(SKIP_3) | instid1(VALU_DEP_3)
	v_cndmask_b32_e64 v0, v0, 26, s2
	v_cmp_eq_f64_e64 s2, 0, v[118:119]
	s_and_b32 s3, s3, s4
	v_cmp_eq_f64_e64 s4, 0, v[122:123]
	v_cmp_eq_u32_e64 s9, 0, v0
	s_delay_alu instid0(VALU_DEP_1) | instskip(NEXT) | instid1(SALU_CYCLE_1)
	s_and_b32 s3, s3, s9
	v_cndmask_b32_e64 v0, v0, 27, s3
	v_cmp_eq_f64_e64 s3, 0, v[120:121]
	s_and_b32 s5, s5, s6
	v_cmp_eq_f64_e64 s6, 0, v[126:127]
	s_delay_alu instid0(VALU_DEP_3) | instskip(NEXT) | instid1(VALU_DEP_1)
	v_cmp_eq_u32_e64 s9, 0, v0
	s_and_b32 s5, s5, s9
	s_delay_alu instid0(SALU_CYCLE_1) | instskip(SKIP_3) | instid1(VALU_DEP_3)
	v_cndmask_b32_e64 v0, v0, 28, s5
	v_cmp_eq_f64_e64 s5, 0, v[124:125]
	s_and_b32 s8, s7, s8
	v_cmp_eq_f64_e64 s7, 0, v[130:131]
	v_cmp_eq_u32_e64 s9, 0, v0
	s_delay_alu instid0(VALU_DEP_1) | instskip(SKIP_3) | instid1(VALU_DEP_1)
	s_and_b32 s8, s8, s9
	v_cmp_eq_f64_e64 s9, 0, v[162:163]
	v_cndmask_b32_e64 v0, v0, 29, s8
	s_and_b32 s2, vcc_lo, s2
	v_cmp_eq_u32_e64 s8, 0, v0
	s_delay_alu instid0(VALU_DEP_1) | instskip(SKIP_4) | instid1(VALU_DEP_2)
	s_and_b32 s2, s2, s8
	v_cmp_eq_f64_e64 s8, 0, v[134:135]
	v_cndmask_b32_e64 v0, v0, 30, s2
	v_cmp_eq_f64_e64 s2, 0, v[132:133]
	s_and_b32 s3, s3, s4
	v_cmp_eq_u32_e32 vcc_lo, 0, v0
	s_and_b32 s0, s3, vcc_lo
	v_cmp_eq_f64_e32 vcc_lo, 0, v[136:137]
	v_cndmask_b32_e64 v0, v0, 31, s0
	v_cmp_eq_f64_e64 s0, 0, v[138:139]
	s_and_b32 s3, s5, s6
	s_delay_alu instid0(VALU_DEP_2) | instskip(SKIP_2) | instid1(VALU_DEP_2)
	v_cmp_eq_u32_e64 s1, 0, v0
	s_and_b32 s6, s10, s7
	v_cmp_eq_f64_e64 s10, 0, v[166:167]
	s_and_b32 s1, s3, s1
	v_cmp_eq_f64_e64 s3, 0, v[142:143]
	v_cndmask_b32_e64 v4, v0, 32, s1
	scratch_load_b64 v[0:1], off, off offset:1692 ; 8-byte Folded Reload
	v_cmp_eq_f64_e64 s1, 0, v[140:141]
	v_cmp_eq_u32_e64 s4, 0, v4
	s_delay_alu instid0(VALU_DEP_1) | instskip(NEXT) | instid1(SALU_CYCLE_1)
	s_and_b32 s4, s6, s4
	v_cndmask_b32_e64 v5, v4, 33, s4
	v_cmp_eq_f64_e64 s4, 0, v[144:145]
	s_and_b32 s2, s2, s8
	v_cmp_eq_f64_e64 s8, 0, v[160:161]
	s_delay_alu instid0(VALU_DEP_3) | instskip(NEXT) | instid1(VALU_DEP_1)
	v_cmp_eq_u32_e64 s6, 0, v5
	s_and_b32 s2, s2, s6
	v_cmp_eq_f64_e64 s6, 0, v[150:151]
	v_cndmask_b32_e64 v5, v5, 34, s2
	v_cmp_eq_f64_e64 s2, 0, v[148:149]
	s_and_b32 s0, vcc_lo, s0
	v_cmp_eq_f64_e32 vcc_lo, 0, v[152:153]
	s_delay_alu instid0(VALU_DEP_3) | instskip(NEXT) | instid1(VALU_DEP_1)
	v_cmp_eq_u32_e64 s7, 0, v5
	s_and_b32 s0, s0, s7
	s_delay_alu instid0(SALU_CYCLE_1) | instskip(SKIP_2) | instid1(VALU_DEP_2)
	v_cndmask_b32_e64 v5, v5, 35, s0
	v_cmp_eq_f64_e64 s0, 0, v[154:155]
	s_and_b32 s1, s1, s3
	v_cmp_eq_u32_e64 s7, 0, v5
	s_delay_alu instid0(VALU_DEP_1) | instskip(SKIP_3) | instid1(VALU_DEP_2)
	s_and_b32 s1, s1, s7
	v_cmp_eq_f64_e64 s7, 0, v[158:159]
	v_cndmask_b32_e64 v5, v5, 36, s1
	v_cmp_eq_f64_e64 s1, 0, v[156:157]
	v_cmp_eq_u32_e64 s3, 0, v5
	s_and_b32 s2, s2, s6
	v_cmp_eq_f64_e64 s6, 0, v[174:175]
	s_and_b32 s0, vcc_lo, s0
	s_waitcnt vmcnt(0)
	v_lshlrev_b64 v[0:1], 2, v[0:1]
	s_waitcnt lgkmcnt(0)
	s_delay_alu instid0(VALU_DEP_1) | instskip(NEXT) | instid1(VALU_DEP_1)
	v_add_co_u32 v0, s5, s14, v0
	v_add_co_ci_u32_e64 v1, s5, s15, v1, s5
	v_cmp_eq_f64_e64 s5, 0, v[146:147]
	global_load_b32 v4, v[0:1], off
	s_and_b32 s4, s4, s5
	v_cmp_eq_f64_e64 s5, 0, v[172:173]
	s_and_b32 s3, s4, s3
	v_cmp_eq_f64_e64 s4, 0, v[170:171]
	v_cndmask_b32_e64 v5, v5, 37, s3
	s_delay_alu instid0(VALU_DEP_1) | instskip(NEXT) | instid1(VALU_DEP_1)
	v_cmp_eq_u32_e64 s3, 0, v5
	s_and_b32 s2, s2, s3
	s_delay_alu instid0(SALU_CYCLE_1) | instskip(SKIP_1) | instid1(VALU_DEP_2)
	v_cndmask_b32_e64 v5, v5, 38, s2
	v_cmp_eq_f64_e64 s2, 0, v[164:165]
	v_cmp_eq_u32_e64 s3, 0, v5
	s_delay_alu instid0(VALU_DEP_1) | instskip(SKIP_3) | instid1(VALU_DEP_1)
	s_and_b32 s0, s0, s3
	v_cmp_eq_f64_e64 s3, 0, v[168:169]
	v_cndmask_b32_e64 v5, v5, 39, s0
	s_and_b32 s0, s1, s7
	v_cmp_eq_u32_e32 vcc_lo, 0, v5
	s_and_b32 s0, s0, vcc_lo
	s_and_b32 s5, s5, s6
	v_cndmask_b32_e64 v5, v5, 40, s0
	s_and_b32 s0, s8, s9
	v_cmp_eq_f64_e64 s6, 0, v[190:191]
	s_delay_alu instid0(VALU_DEP_2)
	v_cmp_eq_u32_e32 vcc_lo, 0, v5
	s_and_b32 s0, s0, vcc_lo
	v_cmp_eq_f64_e32 vcc_lo, 0, v[176:177]
	v_cndmask_b32_e64 v5, v5, 41, s0
	v_cmp_eq_f64_e64 s0, 0, v[178:179]
	s_and_b32 s2, s2, s10
	s_delay_alu instid0(VALU_DEP_2) | instskip(NEXT) | instid1(VALU_DEP_1)
	v_cmp_eq_u32_e64 s1, 0, v5
	s_and_b32 s1, s2, s1
	v_cmp_eq_f64_e64 s2, 0, v[182:183]
	v_cndmask_b32_e64 v5, v5, 42, s1
	v_cmp_eq_f64_e64 s1, 0, v[180:181]
	s_and_b32 s3, s3, s4
	v_cmp_eq_f64_e64 s4, 0, v[186:187]
	s_delay_alu instid0(VALU_DEP_3) | instskip(NEXT) | instid1(VALU_DEP_1)
	v_cmp_eq_u32_e64 s7, 0, v5
	s_and_b32 s3, s3, s7
	s_delay_alu instid0(SALU_CYCLE_1) | instskip(SKIP_1) | instid1(VALU_DEP_2)
	v_cndmask_b32_e64 v5, v5, 43, s3
	v_cmp_eq_f64_e64 s3, 0, v[184:185]
	v_cmp_eq_u32_e64 s7, 0, v5
	s_delay_alu instid0(VALU_DEP_1) | instskip(NEXT) | instid1(SALU_CYCLE_1)
	s_and_b32 s5, s5, s7
	v_cndmask_b32_e64 v5, v5, 44, s5
	v_cmp_eq_f64_e64 s5, 0, v[188:189]
	s_and_b32 s0, vcc_lo, s0
	v_cmp_eq_f64_e32 vcc_lo, 0, v[192:193]
	s_delay_alu instid0(VALU_DEP_3) | instskip(NEXT) | instid1(VALU_DEP_1)
	v_cmp_eq_u32_e64 s7, 0, v5
	s_and_b32 s0, s0, s7
	s_delay_alu instid0(SALU_CYCLE_1) | instskip(SKIP_3) | instid1(VALU_DEP_3)
	v_cndmask_b32_e64 v5, v5, 45, s0
	v_cmp_eq_f64_e64 s0, 0, v[194:195]
	s_and_b32 s1, s1, s2
	v_cmp_eq_f64_e64 s2, 0, v[198:199]
	v_cmp_eq_u32_e64 s7, 0, v5
	s_delay_alu instid0(VALU_DEP_1) | instskip(NEXT) | instid1(SALU_CYCLE_1)
	s_and_b32 s1, s1, s7
	v_cndmask_b32_e64 v5, v5, 46, s1
	v_cmp_eq_f64_e64 s1, 0, v[196:197]
	s_and_b32 s3, s3, s4
	v_cmp_eq_f64_e64 s4, 0, v[202:203]
	s_delay_alu instid0(VALU_DEP_3) | instskip(NEXT) | instid1(VALU_DEP_1)
	v_cmp_eq_u32_e64 s7, 0, v5
	s_and_b32 s3, s3, s7
	s_delay_alu instid0(SALU_CYCLE_1) | instskip(SKIP_3) | instid1(VALU_DEP_3)
	v_cndmask_b32_e64 v5, v5, 47, s3
	v_cmp_eq_f64_e64 s3, 0, v[200:201]
	s_and_b32 s5, s5, s6
	v_cmp_eq_f64_e64 s6, 0, v[206:207]
	v_cmp_eq_u32_e64 s7, 0, v5
	s_delay_alu instid0(VALU_DEP_1) | instskip(NEXT) | instid1(SALU_CYCLE_1)
	s_and_b32 s5, s5, s7
	v_cndmask_b32_e64 v5, v5, 48, s5
	v_cmp_eq_f64_e64 s5, 0, v[204:205]
	s_and_b32 s0, vcc_lo, s0
	v_cmp_eq_f64_e32 vcc_lo, 0, v[208:209]
	s_delay_alu instid0(VALU_DEP_3) | instskip(NEXT) | instid1(VALU_DEP_1)
	v_cmp_eq_u32_e64 s7, 0, v5
	s_and_b32 s0, s0, s7
	s_delay_alu instid0(SALU_CYCLE_1) | instskip(SKIP_3) | instid1(VALU_DEP_3)
	v_cndmask_b32_e64 v5, v5, 49, s0
	v_cmp_eq_f64_e64 s0, 0, v[210:211]
	s_and_b32 s1, s1, s2
	v_cmp_eq_f64_e64 s2, 0, v[214:215]
	v_cmp_eq_u32_e64 s7, 0, v5
	s_delay_alu instid0(VALU_DEP_1) | instskip(NEXT) | instid1(SALU_CYCLE_1)
	s_and_b32 s1, s1, s7
	v_cndmask_b32_e64 v5, v5, 50, s1
	v_cmp_eq_f64_e64 s1, 0, v[212:213]
	s_and_b32 s3, s3, s4
	v_cmp_eq_f64_e64 s4, 0, v[218:219]
	s_delay_alu instid0(VALU_DEP_3) | instskip(NEXT) | instid1(VALU_DEP_1)
	v_cmp_eq_u32_e64 s7, 0, v5
	s_and_b32 s3, s3, s7
	s_delay_alu instid0(SALU_CYCLE_1) | instskip(SKIP_3) | instid1(VALU_DEP_3)
	v_cndmask_b32_e64 v5, v5, 51, s3
	v_cmp_eq_f64_e64 s3, 0, v[216:217]
	s_and_b32 s5, s5, s6
	;; [unrolled: 30-line block ×3, first 2 shown]
	v_cmp_eq_f64_e64 s6, 0, v[238:239]
	v_cmp_eq_u32_e64 s7, 0, v5
	s_delay_alu instid0(VALU_DEP_1) | instskip(NEXT) | instid1(SALU_CYCLE_1)
	s_and_b32 s5, s5, s7
	v_cndmask_b32_e64 v5, v5, 56, s5
	v_cmp_eq_f64_e64 s5, 0, v[236:237]
	s_and_b32 s0, vcc_lo, s0
	v_cmp_eq_f64_e32 vcc_lo, 0, v[240:241]
	s_delay_alu instid0(VALU_DEP_3) | instskip(NEXT) | instid1(VALU_DEP_1)
	v_cmp_eq_u32_e64 s7, 0, v5
	s_and_b32 s0, s0, s7
	s_delay_alu instid0(SALU_CYCLE_1) | instskip(SKIP_3) | instid1(VALU_DEP_3)
	v_cndmask_b32_e64 v5, v5, 57, s0
	v_cmp_eq_f64_e64 s0, 0, v[242:243]
	s_and_b32 s1, s1, s2
	v_cmp_eq_f64_e64 s2, 0, v[246:247]
	v_cmp_eq_u32_e64 s7, 0, v5
	s_delay_alu instid0(VALU_DEP_1) | instskip(NEXT) | instid1(SALU_CYCLE_1)
	s_and_b32 s1, s1, s7
	v_cndmask_b32_e64 v5, v5, 58, s1
	v_cmp_eq_f64_e64 s1, 0, v[244:245]
	s_and_b32 s3, s3, s4
	s_delay_alu instid0(VALU_DEP_2) | instskip(NEXT) | instid1(VALU_DEP_1)
	v_cmp_eq_u32_e64 s7, 0, v5
	s_and_b32 s3, s3, s7
	s_delay_alu instid0(SALU_CYCLE_1) | instskip(SKIP_1) | instid1(VALU_DEP_1)
	v_cndmask_b32_e64 v5, v5, 59, s3
	s_and_b32 s4, s5, s6
	v_cmp_eq_u32_e64 s3, 0, v5
	s_delay_alu instid0(VALU_DEP_1) | instskip(NEXT) | instid1(SALU_CYCLE_1)
	s_and_b32 s3, s4, s3
	v_cndmask_b32_e64 v5, v5, 60, s3
	s_and_b32 s0, vcc_lo, s0
	s_delay_alu instid0(VALU_DEP_1) | instskip(NEXT) | instid1(VALU_DEP_1)
	v_cmp_eq_u32_e64 s3, 0, v5
	s_and_b32 s0, s0, s3
	s_delay_alu instid0(SALU_CYCLE_1) | instskip(SKIP_1) | instid1(VALU_DEP_1)
	v_cndmask_b32_e64 v5, v5, 61, s0
	s_and_b32 s0, s1, s2
	v_cmp_eq_u32_e32 vcc_lo, 0, v5
	s_and_b32 s0, s0, vcc_lo
	s_waitcnt vmcnt(0)
	v_cmp_eq_u32_e32 vcc_lo, 0, v4
	v_cndmask_b32_e64 v5, v5, 62, s0
	s_delay_alu instid0(VALU_DEP_1) | instskip(NEXT) | instid1(VALU_DEP_1)
	v_cmp_lt_i32_e64 s0, 0, v5
	s_and_b32 s0, vcc_lo, s0
	s_delay_alu instid0(SALU_CYCLE_1)
	s_and_b32 exec_lo, exec_lo, s0
	s_cbranch_execz .LBB123_692
; %bb.691:
	v_add_nc_u32_e32 v4, s11, v5
	global_store_b32 v[0:1], v4, off
.LBB123_692:
	s_or_b32 exec_lo, exec_lo, s12
	v_add_nc_u32_e64 v0, 0, 32
	scratch_load_b128 v[4:7], off, off
	s_clause 0x1
	scratch_load_b128 v[8:11], v10, off
	scratch_load_b128 v[12:15], v0, off
	v_add_nc_u32_e64 v0, 0, 48
	scratch_load_b128 v[16:19], v0, off
	v_add_nc_u32_e64 v0, 0, 64
	scratch_load_b128 v[20:23], v0, off
	scratch_load_b32 v0, off, off offset:1688 ; 4-byte Folded Reload
	s_waitcnt vmcnt(0)
	scratch_load_b128 v[24:27], v0, off
	scratch_load_b32 v0, off, off offset:1684 ; 4-byte Folded Reload
	s_waitcnt vmcnt(0)
	;; [unrolled: 3-line block ×8, first 2 shown]
	s_clause 0x1
	scratch_load_b128 v[52:55], v0, off
	scratch_load_b128 v[56:59], v248, off
	scratch_load_b32 v0, off, off offset:1168 ; 4-byte Folded Reload
	s_waitcnt vmcnt(0)
	scratch_load_b128 v[60:63], v0, off
	scratch_load_b32 v0, off, off offset:1164 ; 4-byte Folded Reload
	s_waitcnt vmcnt(0)
	;; [unrolled: 3-line block ×8, first 2 shown]
	scratch_load_b128 v[88:91], v0, off
	scratch_load_b64 v[0:1], off, off offset:1116 ; 8-byte Folded Reload
	s_waitcnt vmcnt(0)
	global_store_b128 v[0:1], v[4:7], off
	scratch_load_b32 v0, off, off offset:1136 ; 4-byte Folded Reload
	s_waitcnt vmcnt(0)
	scratch_load_b128 v[4:7], v0, off
	scratch_load_b32 v0, off, off offset:1132 ; 4-byte Folded Reload
	s_waitcnt vmcnt(0)
	scratch_load_b128 v[92:95], v0, off
	scratch_load_b64 v[0:1], off, off offset:1652 ; 8-byte Folded Reload
	s_waitcnt vmcnt(0)
	global_store_b128 v[0:1], v[8:11], off
	scratch_load_b32 v0, off, off offset:1128 ; 4-byte Folded Reload
	s_waitcnt vmcnt(0)
	scratch_load_b128 v[8:11], v0, off
	scratch_load_b32 v0, off, off offset:1124 ; 4-byte Folded Reload
	s_waitcnt vmcnt(0)
	scratch_load_b128 v[96:99], v0, off
	scratch_load_b64 v[0:1], off, off offset:1172 ; 8-byte Folded Reload
	s_waitcnt vmcnt(0)
	global_store_b128 v[0:1], v[12:15], off
	scratch_load_b32 v0, off, off offset:1112 ; 4-byte Folded Reload
	s_waitcnt vmcnt(0)
	scratch_load_b128 v[12:15], v0, off
	scratch_load_b32 v0, off, off offset:1108 ; 4-byte Folded Reload
	s_waitcnt vmcnt(0)
	scratch_load_b128 v[100:103], v0, off
	scratch_load_b64 v[0:1], off, off offset:1604 ; 8-byte Folded Reload
	s_waitcnt vmcnt(0)
	global_store_b128 v[0:1], v[16:19], off
	scratch_load_b32 v0, off, off offset:1104 ; 4-byte Folded Reload
	s_waitcnt vmcnt(0)
	scratch_load_b128 v[16:19], v0, off
	scratch_load_b32 v0, off, off offset:1100 ; 4-byte Folded Reload
	s_waitcnt vmcnt(0)
	scratch_load_b128 v[104:107], v0, off
	scratch_load_b64 v[0:1], off, off offset:1588 ; 8-byte Folded Reload
	s_waitcnt vmcnt(0)
	global_store_b128 v[0:1], v[20:23], off
	scratch_load_b32 v0, off, off offset:1096 ; 4-byte Folded Reload
	s_waitcnt vmcnt(0)
	scratch_load_b128 v[20:23], v0, off
	scratch_load_b32 v0, off, off offset:1092 ; 4-byte Folded Reload
	s_waitcnt vmcnt(0)
	scratch_load_b128 v[108:111], v0, off
	scratch_load_b64 v[0:1], off, off offset:1580 ; 8-byte Folded Reload
	s_waitcnt vmcnt(0)
	global_store_b128 v[0:1], v[24:27], off
	scratch_load_b32 v0, off, off offset:1088 ; 4-byte Folded Reload
	s_waitcnt vmcnt(0)
	scratch_load_b128 v[24:27], v0, off
	scratch_load_b32 v0, off, off offset:1084 ; 4-byte Folded Reload
	s_waitcnt vmcnt(0)
	scratch_load_b128 v[112:115], v0, off
	scratch_load_b64 v[0:1], off, off offset:1564 ; 8-byte Folded Reload
	s_waitcnt vmcnt(0)
	global_store_b128 v[0:1], v[28:31], off
	scratch_load_b32 v0, off, off offset:1080 ; 4-byte Folded Reload
	s_waitcnt vmcnt(0)
	scratch_load_b128 v[28:31], v0, off
	scratch_load_b32 v0, off, off offset:1076 ; 4-byte Folded Reload
	s_waitcnt vmcnt(0)
	scratch_load_b128 v[116:119], v0, off
	scratch_load_b64 v[0:1], off, off offset:1556 ; 8-byte Folded Reload
	s_waitcnt vmcnt(0)
	global_store_b128 v[0:1], v[32:35], off
	scratch_load_b32 v0, off, off offset:1072 ; 4-byte Folded Reload
	s_waitcnt vmcnt(0)
	scratch_load_b128 v[32:35], v0, off
	scratch_load_b32 v0, off, off offset:1068 ; 4-byte Folded Reload
	s_waitcnt vmcnt(0)
	scratch_load_b128 v[120:123], v0, off
	scratch_load_b64 v[0:1], off, off offset:1540 ; 8-byte Folded Reload
	s_waitcnt vmcnt(0)
	global_store_b128 v[0:1], v[36:39], off
	scratch_load_b32 v0, off, off offset:1064 ; 4-byte Folded Reload
	s_waitcnt vmcnt(0)
	scratch_load_b128 v[36:39], v0, off
	scratch_load_b32 v0, off, off offset:1060 ; 4-byte Folded Reload
	s_waitcnt vmcnt(0)
	scratch_load_b128 v[124:127], v0, off
	scratch_load_b64 v[0:1], off, off offset:1524 ; 8-byte Folded Reload
	s_waitcnt vmcnt(0)
	global_store_b128 v[0:1], v[40:43], off
	scratch_load_b32 v0, off, off offset:1056 ; 4-byte Folded Reload
	s_waitcnt vmcnt(0)
	scratch_load_b128 v[40:43], v0, off
	scratch_load_b32 v0, off, off offset:1052 ; 4-byte Folded Reload
	s_waitcnt vmcnt(0)
	scratch_load_b128 v[128:131], v0, off
	scratch_load_b64 v[0:1], off, off offset:1492 ; 8-byte Folded Reload
	s_waitcnt vmcnt(0)
	global_store_b128 v[0:1], v[44:47], off
	scratch_load_b32 v0, off, off offset:1048 ; 4-byte Folded Reload
	s_waitcnt vmcnt(0)
	scratch_load_b128 v[44:47], v0, off
	scratch_load_b32 v0, off, off offset:1044 ; 4-byte Folded Reload
	s_waitcnt vmcnt(0)
	scratch_load_b128 v[132:135], v0, off
	scratch_load_b64 v[0:1], off, off offset:1460 ; 8-byte Folded Reload
	s_waitcnt vmcnt(0)
	global_store_b128 v[0:1], v[48:51], off
	scratch_load_b32 v0, off, off offset:1040 ; 4-byte Folded Reload
	s_waitcnt vmcnt(0)
	scratch_load_b128 v[48:51], v0, off
	scratch_load_b32 v0, off, off offset:1036 ; 4-byte Folded Reload
	s_waitcnt vmcnt(0)
	scratch_load_b128 v[136:139], v0, off
	scratch_load_b64 v[0:1], off, off offset:1428 ; 8-byte Folded Reload
	s_waitcnt vmcnt(0)
	global_store_b128 v[0:1], v[52:55], off
	scratch_load_b32 v0, off, off offset:1032 ; 4-byte Folded Reload
	s_waitcnt vmcnt(0)
	scratch_load_b128 v[52:55], v0, off
	scratch_load_b32 v0, off, off offset:1028 ; 4-byte Folded Reload
	s_waitcnt vmcnt(0)
	scratch_load_b128 v[140:143], v0, off
	scratch_load_b64 v[0:1], off, off offset:1396 ; 8-byte Folded Reload
	s_waitcnt vmcnt(0)
	global_store_b128 v[0:1], v[56:59], off
	scratch_load_b32 v0, off, off offset:1024 ; 4-byte Folded Reload
	s_waitcnt vmcnt(0)
	scratch_load_b128 v[56:59], v0, off
	scratch_load_b32 v0, off, off offset:1020 ; 4-byte Folded Reload
	s_waitcnt vmcnt(0)
	scratch_load_b128 v[144:147], v0, off
	scratch_load_b64 v[0:1], off, off offset:1364 ; 8-byte Folded Reload
	s_waitcnt vmcnt(0)
	global_store_b128 v[0:1], v[60:63], off
	scratch_load_b32 v0, off, off offset:1016 ; 4-byte Folded Reload
	s_waitcnt vmcnt(0)
	scratch_load_b128 v[60:63], v0, off
	scratch_load_b32 v0, off, off offset:1012 ; 4-byte Folded Reload
	s_waitcnt vmcnt(0)
	scratch_load_b128 v[148:151], v0, off
	scratch_load_b64 v[0:1], off, off offset:1332 ; 8-byte Folded Reload
	s_waitcnt vmcnt(0)
	global_store_b128 v[0:1], v[64:67], off
	scratch_load_b32 v0, off, off offset:1008 ; 4-byte Folded Reload
	s_waitcnt vmcnt(0)
	scratch_load_b128 v[64:67], v0, off
	scratch_load_b32 v0, off, off offset:1004 ; 4-byte Folded Reload
	s_waitcnt vmcnt(0)
	scratch_load_b128 v[152:155], v0, off
	scratch_load_b64 v[0:1], off, off offset:1300 ; 8-byte Folded Reload
	s_waitcnt vmcnt(0)
	global_store_b128 v[0:1], v[68:71], off
	scratch_load_b32 v0, off, off offset:1000 ; 4-byte Folded Reload
	s_waitcnt vmcnt(0)
	scratch_load_b128 v[68:71], v0, off
	scratch_load_b32 v0, off, off offset:996 ; 4-byte Folded Reload
	s_waitcnt vmcnt(0)
	scratch_load_b128 v[156:159], v0, off
	scratch_load_b64 v[0:1], off, off offset:1268 ; 8-byte Folded Reload
	s_waitcnt vmcnt(0)
	global_store_b128 v[0:1], v[72:75], off
	scratch_load_b32 v0, off, off offset:992 ; 4-byte Folded Reload
	s_waitcnt vmcnt(0)
	s_clause 0x1
	scratch_load_b128 v[72:75], v0, off
	scratch_load_b128 v[160:163], v249, off
	scratch_load_b64 v[0:1], off, off offset:1236 ; 8-byte Folded Reload
	s_waitcnt vmcnt(0)
	global_store_b128 v[0:1], v[76:79], off
	s_clause 0x1
	scratch_load_b128 v[76:79], v254, off
	scratch_load_b128 v[164:167], v253, off
	scratch_load_b64 v[0:1], off, off offset:1204 ; 8-byte Folded Reload
	s_waitcnt vmcnt(0)
	global_store_b128 v[0:1], v[80:83], off
	;; [unrolled: 6-line block ×3, first 2 shown]
	scratch_load_b64 v[84:85], off, off offset:1188 ; 8-byte Folded Reload
	s_waitcnt vmcnt(0)
	global_store_b128 v[84:85], v[88:91], off
	scratch_load_b64 v[84:85], off, off offset:1196 ; 8-byte Folded Reload
	s_waitcnt vmcnt(0)
	global_store_b128 v[84:85], v[4:7], off
	;; [unrolled: 3-line block ×41, first 2 shown]
.LBB123_693:
	s_nop 0
	s_sendmsg sendmsg(MSG_DEALLOC_VGPRS)
	s_endpgm
	.section	.rodata,"a",@progbits
	.p2align	6, 0x0
	.amdhsa_kernel _ZN9rocsolver6v33100L23getf2_npvt_small_kernelILi62E19rocblas_complex_numIdEiiPKPS3_EEvT1_T3_lS7_lPT2_S7_S7_
		.amdhsa_group_segment_fixed_size 0
		.amdhsa_private_segment_fixed_size 1760
		.amdhsa_kernarg_size 312
		.amdhsa_user_sgpr_count 14
		.amdhsa_user_sgpr_dispatch_ptr 0
		.amdhsa_user_sgpr_queue_ptr 0
		.amdhsa_user_sgpr_kernarg_segment_ptr 1
		.amdhsa_user_sgpr_dispatch_id 0
		.amdhsa_user_sgpr_private_segment_size 0
		.amdhsa_wavefront_size32 1
		.amdhsa_uses_dynamic_stack 0
		.amdhsa_enable_private_segment 1
		.amdhsa_system_sgpr_workgroup_id_x 1
		.amdhsa_system_sgpr_workgroup_id_y 1
		.amdhsa_system_sgpr_workgroup_id_z 0
		.amdhsa_system_sgpr_workgroup_info 0
		.amdhsa_system_vgpr_workitem_id 1
		.amdhsa_next_free_vgpr 256
		.amdhsa_next_free_sgpr 71
		.amdhsa_reserve_vcc 1
		.amdhsa_float_round_mode_32 0
		.amdhsa_float_round_mode_16_64 0
		.amdhsa_float_denorm_mode_32 3
		.amdhsa_float_denorm_mode_16_64 3
		.amdhsa_dx10_clamp 1
		.amdhsa_ieee_mode 1
		.amdhsa_fp16_overflow 0
		.amdhsa_workgroup_processor_mode 1
		.amdhsa_memory_ordered 1
		.amdhsa_forward_progress 0
		.amdhsa_shared_vgpr_count 0
		.amdhsa_exception_fp_ieee_invalid_op 0
		.amdhsa_exception_fp_denorm_src 0
		.amdhsa_exception_fp_ieee_div_zero 0
		.amdhsa_exception_fp_ieee_overflow 0
		.amdhsa_exception_fp_ieee_underflow 0
		.amdhsa_exception_fp_ieee_inexact 0
		.amdhsa_exception_int_div_zero 0
	.end_amdhsa_kernel
	.section	.text._ZN9rocsolver6v33100L23getf2_npvt_small_kernelILi62E19rocblas_complex_numIdEiiPKPS3_EEvT1_T3_lS7_lPT2_S7_S7_,"axG",@progbits,_ZN9rocsolver6v33100L23getf2_npvt_small_kernelILi62E19rocblas_complex_numIdEiiPKPS3_EEvT1_T3_lS7_lPT2_S7_S7_,comdat
.Lfunc_end123:
	.size	_ZN9rocsolver6v33100L23getf2_npvt_small_kernelILi62E19rocblas_complex_numIdEiiPKPS3_EEvT1_T3_lS7_lPT2_S7_S7_, .Lfunc_end123-_ZN9rocsolver6v33100L23getf2_npvt_small_kernelILi62E19rocblas_complex_numIdEiiPKPS3_EEvT1_T3_lS7_lPT2_S7_S7_
                                        ; -- End function
	.section	.AMDGPU.csdata,"",@progbits
; Kernel info:
; codeLenInByte = 118596
; NumSgprs: 73
; NumVgprs: 256
; ScratchSize: 1760
; MemoryBound: 0
; FloatMode: 240
; IeeeMode: 1
; LDSByteSize: 0 bytes/workgroup (compile time only)
; SGPRBlocks: 9
; VGPRBlocks: 31
; NumSGPRsForWavesPerEU: 73
; NumVGPRsForWavesPerEU: 256
; Occupancy: 5
; WaveLimiterHint : 1
; COMPUTE_PGM_RSRC2:SCRATCH_EN: 1
; COMPUTE_PGM_RSRC2:USER_SGPR: 14
; COMPUTE_PGM_RSRC2:TRAP_HANDLER: 0
; COMPUTE_PGM_RSRC2:TGID_X_EN: 1
; COMPUTE_PGM_RSRC2:TGID_Y_EN: 1
; COMPUTE_PGM_RSRC2:TGID_Z_EN: 0
; COMPUTE_PGM_RSRC2:TIDIG_COMP_CNT: 1
	.section	.text._ZN9rocsolver6v33100L18getf2_small_kernelILi63E19rocblas_complex_numIdEiiPKPS3_EEvT1_T3_lS7_lPS7_llPT2_S7_S7_S9_l,"axG",@progbits,_ZN9rocsolver6v33100L18getf2_small_kernelILi63E19rocblas_complex_numIdEiiPKPS3_EEvT1_T3_lS7_lPS7_llPT2_S7_S7_S9_l,comdat
	.globl	_ZN9rocsolver6v33100L18getf2_small_kernelILi63E19rocblas_complex_numIdEiiPKPS3_EEvT1_T3_lS7_lPS7_llPT2_S7_S7_S9_l ; -- Begin function _ZN9rocsolver6v33100L18getf2_small_kernelILi63E19rocblas_complex_numIdEiiPKPS3_EEvT1_T3_lS7_lPS7_llPT2_S7_S7_S9_l
	.p2align	8
	.type	_ZN9rocsolver6v33100L18getf2_small_kernelILi63E19rocblas_complex_numIdEiiPKPS3_EEvT1_T3_lS7_lPS7_llPT2_S7_S7_S9_l,@function
_ZN9rocsolver6v33100L18getf2_small_kernelILi63E19rocblas_complex_numIdEiiPKPS3_EEvT1_T3_lS7_lPS7_llPT2_S7_S7_S9_l: ; @_ZN9rocsolver6v33100L18getf2_small_kernelILi63E19rocblas_complex_numIdEiiPKPS3_EEvT1_T3_lS7_lPS7_llPT2_S7_S7_S9_l
; %bb.0:
	s_clause 0x1
	s_load_b32 s2, s[0:1], 0x6c
	s_load_b64 s[12:13], s[0:1], 0x48
	v_bfe_u32 v1, v0, 10, 10
	s_waitcnt lgkmcnt(0)
	s_lshr_b32 s2, s2, 16
	s_delay_alu instid0(VALU_DEP_1) | instid1(SALU_CYCLE_1)
	v_mad_u64_u32 v[8:9], null, s15, s2, v[1:2]
	s_mov_b32 s2, exec_lo
	s_delay_alu instid0(VALU_DEP_1)
	v_cmpx_gt_i32_e64 s12, v8
	s_cbranch_execnz .LBB124_1
; %bb.1460:
	s_getpc_b64 s[70:71]
.Lpost_getpc30:
	s_add_u32 s70, s70, (.LBB124_1459-.Lpost_getpc30)&4294967295
	s_addc_u32 s71, s71, (.LBB124_1459-.Lpost_getpc30)>>32
	s_setpc_b64 s[70:71]
.LBB124_1:
	s_clause 0x1
	s_load_b128 s[4:7], s[0:1], 0x8
	s_load_b128 s[8:11], s[0:1], 0x50
	v_ashrrev_i32_e32 v9, 31, v8
	v_mov_b32_e32 v145, 0
	v_mov_b32_e32 v146, 0
	s_delay_alu instid0(VALU_DEP_3) | instskip(SKIP_1) | instid1(VALU_DEP_1)
	v_lshlrev_b64 v[2:3], 3, v[8:9]
	s_waitcnt lgkmcnt(0)
	v_add_co_u32 v2, vcc_lo, s4, v2
	s_delay_alu instid0(VALU_DEP_2)
	v_add_co_ci_u32_e32 v3, vcc_lo, s5, v3, vcc_lo
	s_cmp_eq_u64 s[8:9], 0
	s_cselect_b32 s4, -1, 0
	global_load_b64 v[2:3], v[2:3], off
	s_and_b32 vcc_lo, exec_lo, s4
	s_cbranch_vccnz .LBB124_3
; %bb.2:
	v_mul_lo_u32 v6, v9, s10
	v_mul_lo_u32 v7, v8, s11
	v_mad_u64_u32 v[4:5], null, v8, s10, 0
	s_delay_alu instid0(VALU_DEP_1) | instskip(NEXT) | instid1(VALU_DEP_1)
	v_add3_u32 v5, v5, v7, v6
	v_lshlrev_b64 v[4:5], 2, v[4:5]
	s_delay_alu instid0(VALU_DEP_1) | instskip(NEXT) | instid1(VALU_DEP_2)
	v_add_co_u32 v145, vcc_lo, s8, v4
	v_add_co_ci_u32_e32 v146, vcc_lo, s9, v5, vcc_lo
.LBB124_3:
	scratch_store_b64 off, v[8:9], off offset:1008 ; 8-byte Folded Spill
	s_clause 0x1
	s_load_b32 s8, s[0:1], 0x18
	s_load_b32 s5, s[0:1], 0x0
	v_and_b32_e32 v5, 0x3ff, v0
	s_lshl_b64 s[2:3], s[6:7], 4
	s_movk_i32 s6, 0x50
	s_waitcnt vmcnt(0)
	v_add_co_u32 v148, vcc_lo, v2, s2
	v_lshlrev_b32_e32 v4, 4, v5
	v_add_co_ci_u32_e32 v149, vcc_lo, s3, v3, vcc_lo
	s_movk_i32 s7, 0x60
	s_movk_i32 s12, 0x80
	s_delay_alu instid0(VALU_DEP_2) | instskip(NEXT) | instid1(VALU_DEP_2)
	v_add_co_u32 v2, vcc_lo, v148, v4
	v_add_co_ci_u32_e32 v3, vcc_lo, 0, v149, vcc_lo
	s_movk_i32 s14, 0x90
	s_clause 0x1
	global_load_b128 v[7:10], v[2:3], off
	global_load_b128 v[11:14], v[2:3], off
	s_waitcnt lgkmcnt(0)
	s_ashr_i32 s9, s8, 31
	v_add3_u32 v0, s8, s8, v5
	s_lshl_b64 s[10:11], s[8:9], 4
	s_max_i32 s2, s5, 63
	v_add_co_u32 v17, vcc_lo, v2, s10
	v_add_co_ci_u32_e32 v18, vcc_lo, s11, v3, vcc_lo
	v_add_nc_u32_e32 v15, s8, v0
	v_mul_lo_u32 v6, s2, v1
	v_ashrrev_i32_e32 v1, 31, v0
	global_load_b128 v[21:24], v[17:18], off
	s_movk_i32 s9, 0x70
	v_add_nc_u32_e32 v2, s8, v15
	v_ashrrev_i32_e32 v16, 31, v15
	v_lshlrev_b64 v[0:1], 4, v[0:1]
	s_movk_i32 s15, 0xa0
	v_lshl_add_u32 v20, v6, 4, 0
	v_add_nc_u32_e32 v17, s8, v2
	v_ashrrev_i32_e32 v3, 31, v2
	v_lshlrev_b64 v[15:16], 4, v[15:16]
	v_add_co_u32 v0, vcc_lo, v148, v0
	s_delay_alu instid0(VALU_DEP_4) | instskip(NEXT) | instid1(VALU_DEP_4)
	v_add_nc_u32_e32 v25, s8, v17
	v_lshlrev_b64 v[27:28], 4, v[2:3]
	v_ashrrev_i32_e32 v18, 31, v17
	v_add_co_ci_u32_e32 v1, vcc_lo, v149, v1, vcc_lo
	s_delay_alu instid0(VALU_DEP_4)
	v_add_nc_u32_e32 v33, s8, v25
	v_add_co_u32 v15, vcc_lo, v148, v15
	v_add_co_ci_u32_e32 v16, vcc_lo, v149, v16, vcc_lo
	v_lshlrev_b64 v[17:18], 4, v[17:18]
	v_ashrrev_i32_e32 v26, 31, v25
	v_add_co_u32 v29, vcc_lo, v148, v27
	v_add_nc_u32_e32 v35, s8, v33
	v_add_co_ci_u32_e32 v30, vcc_lo, v149, v28, vcc_lo
	s_delay_alu instid0(VALU_DEP_4)
	v_lshlrev_b64 v[37:38], 4, v[25:26]
	global_load_b128 v[0:3], v[0:1], off
	v_ashrrev_i32_e32 v34, 31, v33
	s_clause 0x1
	global_load_b128 v[25:28], v[15:16], off
	global_load_b128 v[29:32], v[29:30], off
	v_add_co_u32 v15, vcc_lo, v148, v17
	v_add_nc_u32_e32 v17, s8, v35
	v_ashrrev_i32_e32 v36, 31, v35
	v_add_co_ci_u32_e32 v16, vcc_lo, v149, v18, vcc_lo
	v_lshlrev_b64 v[41:42], 4, v[33:34]
	v_add_co_u32 v37, vcc_lo, v148, v37
	v_add_nc_u32_e32 v43, s8, v17
	v_add_co_ci_u32_e32 v38, vcc_lo, v149, v38, vcc_lo
	v_lshlrev_b64 v[45:46], 4, v[35:36]
	v_ashrrev_i32_e32 v18, 31, v17
	s_delay_alu instid0(VALU_DEP_4)
	v_add_nc_u32_e32 v49, s8, v43
	s_clause 0x1
	global_load_b128 v[33:36], v[15:16], off
	global_load_b128 v[37:40], v[37:38], off
	v_add_co_u32 v15, vcc_lo, v148, v41
	v_add_co_ci_u32_e32 v16, vcc_lo, v149, v42, vcc_lo
	v_lshlrev_b64 v[17:18], 4, v[17:18]
	v_ashrrev_i32_e32 v44, 31, v43
	v_add_co_u32 v45, vcc_lo, v148, v45
	v_add_nc_u32_e32 v51, s8, v49
	v_add_co_ci_u32_e32 v46, vcc_lo, v149, v46, vcc_lo
	s_delay_alu instid0(VALU_DEP_4)
	v_lshlrev_b64 v[53:54], 4, v[43:44]
	v_ashrrev_i32_e32 v50, 31, v49
	s_clause 0x1
	global_load_b128 v[41:44], v[15:16], off
	global_load_b128 v[45:48], v[45:46], off
	v_add_co_u32 v15, vcc_lo, v148, v17
	v_add_nc_u32_e32 v17, s8, v51
	v_ashrrev_i32_e32 v52, 31, v51
	v_add_co_ci_u32_e32 v16, vcc_lo, v149, v18, vcc_lo
	v_lshlrev_b64 v[57:58], 4, v[49:50]
	v_add_co_u32 v53, vcc_lo, v148, v53
	v_add_nc_u32_e32 v59, s8, v17
	v_add_co_ci_u32_e32 v54, vcc_lo, v149, v54, vcc_lo
	v_lshlrev_b64 v[61:62], 4, v[51:52]
	v_ashrrev_i32_e32 v18, 31, v17
	s_delay_alu instid0(VALU_DEP_4)
	v_add_nc_u32_e32 v65, s8, v59
	s_clause 0x1
	global_load_b128 v[49:52], v[15:16], off
	global_load_b128 v[53:56], v[53:54], off
	v_add_co_u32 v15, vcc_lo, v148, v57
	v_add_co_ci_u32_e32 v16, vcc_lo, v149, v58, vcc_lo
	v_lshlrev_b64 v[17:18], 4, v[17:18]
	v_add_co_u32 v61, vcc_lo, v148, v61
	v_ashrrev_i32_e32 v60, 31, v59
	v_add_nc_u32_e32 v67, s8, v65
	v_add_co_ci_u32_e32 v62, vcc_lo, v149, v62, vcc_lo
	v_ashrrev_i32_e32 v66, 31, v65
	s_delay_alu instid0(VALU_DEP_4)
	v_lshlrev_b64 v[69:70], 4, v[59:60]
	s_clause 0x1
	global_load_b128 v[57:60], v[15:16], off
	global_load_b128 v[61:64], v[61:62], off
	v_add_co_u32 v15, vcc_lo, v148, v17
	v_add_nc_u32_e32 v17, s8, v67
	v_ashrrev_i32_e32 v68, 31, v67
	v_add_co_ci_u32_e32 v16, vcc_lo, v149, v18, vcc_lo
	v_lshlrev_b64 v[73:74], 4, v[65:66]
	s_delay_alu instid0(VALU_DEP_4) | instskip(SKIP_3) | instid1(VALU_DEP_4)
	v_add_nc_u32_e32 v77, s8, v17
	v_add_co_u32 v69, vcc_lo, v148, v69
	v_ashrrev_i32_e32 v18, 31, v17
	v_add_co_ci_u32_e32 v70, vcc_lo, v149, v70, vcc_lo
	v_add_nc_u32_e32 v81, s8, v77
	v_lshlrev_b64 v[75:76], 4, v[67:68]
	v_ashrrev_i32_e32 v78, 31, v77
	s_clause 0x1
	global_load_b128 v[65:68], v[15:16], off
	global_load_b128 v[69:72], v[69:70], off
	v_add_co_u32 v15, vcc_lo, v148, v73
	v_lshlrev_b64 v[17:18], 4, v[17:18]
	v_add_nc_u32_e32 v85, s8, v81
	v_add_co_ci_u32_e32 v16, vcc_lo, v149, v74, vcc_lo
	v_add_co_u32 v79, vcc_lo, v148, v75
	v_lshlrev_b64 v[83:84], 4, v[77:78]
	v_add_co_ci_u32_e32 v80, vcc_lo, v149, v76, vcc_lo
	v_add_nc_u32_e32 v89, s8, v85
	v_ashrrev_i32_e32 v82, 31, v81
	v_add_co_u32 v17, vcc_lo, v148, v17
	v_add_co_ci_u32_e32 v18, vcc_lo, v149, v18, vcc_lo
	v_ashrrev_i32_e32 v86, 31, v85
	v_add_co_u32 v87, vcc_lo, v148, v83
	v_add_nc_u32_e32 v93, s8, v89
	s_clause 0x1
	global_load_b128 v[73:76], v[15:16], off
	global_load_b128 v[77:80], v[79:80], off
	v_lshlrev_b64 v[15:16], 4, v[81:82]
	v_add_co_ci_u32_e32 v88, vcc_lo, v149, v84, vcc_lo
	v_lshlrev_b64 v[91:92], 4, v[85:86]
	v_ashrrev_i32_e32 v90, 31, v89
	s_clause 0x1
	global_load_b128 v[81:84], v[17:18], off
	global_load_b128 v[85:88], v[87:88], off
	v_add_nc_u32_e32 v17, s8, v93
	v_add_co_u32 v15, vcc_lo, v148, v15
	v_ashrrev_i32_e32 v94, 31, v93
	v_add_co_ci_u32_e32 v16, vcc_lo, v149, v16, vcc_lo
	v_lshlrev_b64 v[97:98], 4, v[89:90]
	v_add_co_u32 v95, vcc_lo, v148, v91
	v_add_nc_u32_e32 v101, s8, v17
	v_add_co_ci_u32_e32 v96, vcc_lo, v149, v92, vcc_lo
	v_lshlrev_b64 v[99:100], 4, v[93:94]
	v_ashrrev_i32_e32 v18, 31, v17
	s_delay_alu instid0(VALU_DEP_4)
	v_add_nc_u32_e32 v105, s8, v101
	s_clause 0x1
	global_load_b128 v[89:92], v[15:16], off
	global_load_b128 v[93:96], v[95:96], off
	v_add_co_u32 v15, vcc_lo, v148, v97
	v_add_co_ci_u32_e32 v16, vcc_lo, v149, v98, vcc_lo
	v_ashrrev_i32_e32 v102, 31, v101
	v_lshlrev_b64 v[17:18], 4, v[17:18]
	v_add_co_u32 v103, vcc_lo, v148, v99
	v_add_nc_u32_e32 v109, s8, v105
	v_add_co_ci_u32_e32 v104, vcc_lo, v149, v100, vcc_lo
	v_ashrrev_i32_e32 v106, 31, v105
	v_lshlrev_b64 v[107:108], 4, v[101:102]
	s_clause 0x1
	global_load_b128 v[97:100], v[15:16], off
	global_load_b128 v[101:104], v[103:104], off
	v_add_co_u32 v15, vcc_lo, v148, v17
	v_add_nc_u32_e32 v17, s8, v109
	v_lshlrev_b64 v[105:106], 4, v[105:106]
	v_add_co_ci_u32_e32 v16, vcc_lo, v149, v18, vcc_lo
	v_add_co_u32 v111, vcc_lo, v148, v107
	v_ashrrev_i32_e32 v110, 31, v109
	v_ashrrev_i32_e32 v18, 31, v17
	v_add_nc_u32_e32 v115, s8, v17
	v_add_co_ci_u32_e32 v112, vcc_lo, v149, v108, vcc_lo
	v_add_co_u32 v117, vcc_lo, v148, v105
	v_lshlrev_b64 v[113:114], 4, v[109:110]
	v_add_co_ci_u32_e32 v118, vcc_lo, v149, v106, vcc_lo
	s_clause 0x1
	global_load_b128 v[105:108], v[15:16], off
	global_load_b128 v[109:112], v[111:112], off
	v_lshlrev_b64 v[15:16], 4, v[17:18]
	v_add_nc_u32_e32 v17, s8, v115
	v_ashrrev_i32_e32 v116, 31, v115
	v_add_co_u32 v119, vcc_lo, v148, v113
	v_add_co_ci_u32_e32 v120, vcc_lo, v149, v114, vcc_lo
	s_delay_alu instid0(VALU_DEP_4) | instskip(SKIP_3) | instid1(VALU_DEP_4)
	v_add_nc_u32_e32 v121, s8, v17
	v_ashrrev_i32_e32 v18, 31, v17
	v_lshlrev_b64 v[123:124], 4, v[115:116]
	v_add_co_u32 v15, vcc_lo, v148, v15
	v_add_nc_u32_e32 v129, s8, v121
	v_ashrrev_i32_e32 v122, 31, v121
	v_lshlrev_b64 v[17:18], 4, v[17:18]
	v_add_co_ci_u32_e32 v16, vcc_lo, v149, v16, vcc_lo
	s_delay_alu instid0(VALU_DEP_4)
	v_add_nc_u32_e32 v133, s8, v129
	v_add_co_u32 v125, vcc_lo, v148, v123
	v_lshlrev_b64 v[131:132], 4, v[121:122]
	v_add_co_ci_u32_e32 v126, vcc_lo, v149, v124, vcc_lo
	v_ashrrev_i32_e32 v130, 31, v129
	v_add_nc_u32_e32 v137, s8, v133
	v_add_co_u32 v17, vcc_lo, v148, v17
	v_add_co_ci_u32_e32 v18, vcc_lo, v149, v18, vcc_lo
	v_ashrrev_i32_e32 v134, 31, v133
	v_add_co_u32 v135, vcc_lo, v148, v131
	s_clause 0x3
	global_load_b128 v[113:116], v[117:118], off
	global_load_b128 v[117:120], v[119:120], off
	;; [unrolled: 1-line block ×4, first 2 shown]
	v_lshlrev_b64 v[15:16], 4, v[129:130]
	v_add_nc_u32_e32 v139, s8, v137
	v_add_co_ci_u32_e32 v136, vcc_lo, v149, v132, vcc_lo
	v_ashrrev_i32_e32 v138, 31, v137
	v_lshlrev_b64 v[141:142], 4, v[133:134]
	s_clause 0x1
	global_load_b128 v[129:132], v[17:18], off
	global_load_b128 v[133:136], v[135:136], off
	v_add_nc_u32_e32 v17, s8, v139
	v_add_co_u32 v15, vcc_lo, v148, v15
	v_lshlrev_b64 v[137:138], 4, v[137:138]
	v_add_co_ci_u32_e32 v16, vcc_lo, v149, v16, vcc_lo
	v_add_co_u32 v141, vcc_lo, v148, v141
	v_ashrrev_i32_e32 v140, 31, v139
	v_ashrrev_i32_e32 v18, 31, v17
	v_add_nc_u32_e32 v152, s8, v17
	v_add_co_ci_u32_e32 v142, vcc_lo, v149, v142, vcc_lo
	v_add_co_u32 v154, vcc_lo, v148, v137
	v_lshlrev_b64 v[150:151], 4, v[139:140]
	v_add_co_ci_u32_e32 v155, vcc_lo, v149, v138, vcc_lo
	s_clause 0x1
	global_load_b128 v[137:140], v[15:16], off
	global_load_b128 v[141:144], v[141:142], off
	v_lshlrev_b64 v[15:16], 4, v[17:18]
	v_add_nc_u32_e32 v17, s8, v152
	v_ashrrev_i32_e32 v153, 31, v152
	v_add_co_u32 v156, vcc_lo, v148, v150
	v_add_co_ci_u32_e32 v157, vcc_lo, v149, v151, vcc_lo
	s_delay_alu instid0(VALU_DEP_4) | instskip(NEXT) | instid1(VALU_DEP_4)
	v_add_nc_u32_e32 v158, s8, v17
	v_lshlrev_b64 v[160:161], 4, v[152:153]
	v_ashrrev_i32_e32 v18, 31, v17
	v_add_co_u32 v15, vcc_lo, v148, v15
	s_delay_alu instid0(VALU_DEP_4)
	v_add_nc_u32_e32 v166, s8, v158
	v_ashrrev_i32_e32 v159, 31, v158
	v_add_co_ci_u32_e32 v16, vcc_lo, v149, v16, vcc_lo
	v_lshlrev_b64 v[17:18], 4, v[17:18]
	v_add_co_u32 v162, vcc_lo, v148, v160
	v_add_nc_u32_e32 v170, s8, v166
	v_add_co_ci_u32_e32 v163, vcc_lo, v149, v161, vcc_lo
	v_lshlrev_b64 v[168:169], 4, v[158:159]
	v_ashrrev_i32_e32 v167, 31, v166
	s_delay_alu instid0(VALU_DEP_4)
	v_add_nc_u32_e32 v174, s8, v170
	s_clause 0x3
	global_load_b128 v[150:153], v[154:155], off
	global_load_b128 v[154:157], v[156:157], off
	;; [unrolled: 1-line block ×4, first 2 shown]
	v_add_co_u32 v15, vcc_lo, v148, v17
	v_add_co_ci_u32_e32 v16, vcc_lo, v149, v18, vcc_lo
	v_ashrrev_i32_e32 v171, 31, v170
	v_add_co_u32 v172, vcc_lo, v148, v168
	v_lshlrev_b64 v[17:18], 4, v[166:167]
	v_ashrrev_i32_e32 v175, 31, v174
	v_add_nc_u32_e32 v178, s8, v174
	v_add_co_ci_u32_e32 v173, vcc_lo, v149, v169, vcc_lo
	v_lshlrev_b64 v[176:177], 4, v[170:171]
	v_add_nc_u32_e32 v4, v20, v4
	s_clause 0x1
	global_load_b128 v[166:169], v[15:16], off
	global_load_b128 v[170:173], v[172:173], off
	v_lshlrev_b64 v[15:16], 4, v[174:175]
	v_add_nc_u32_e32 v174, s8, v178
	v_add_co_u32 v17, vcc_lo, v148, v17
	v_add_co_ci_u32_e32 v18, vcc_lo, v149, v18, vcc_lo
	v_add_co_u32 v176, vcc_lo, v148, v176
	s_delay_alu instid0(VALU_DEP_4)
	v_ashrrev_i32_e32 v175, 31, v174
	v_add_co_ci_u32_e32 v177, vcc_lo, v149, v177, vcc_lo
	v_ashrrev_i32_e32 v179, 31, v178
	v_add_co_u32 v15, vcc_lo, v148, v15
	v_add_co_ci_u32_e32 v16, vcc_lo, v149, v16, vcc_lo
	s_movk_i32 s16, 0xb0
	s_movk_i32 s17, 0xc0
	s_waitcnt vmcnt(39)
	ds_store_2addr_b64 v4, v[7:8], v[9:10] offset1:1
	v_mov_b32_e32 v4, 0
	s_movk_i32 s18, 0xd0
	s_movk_i32 s19, 0xe0
	;; [unrolled: 1-line block ×10, first 2 shown]
	s_waitcnt vmcnt(38)
	scratch_store_b128 off, v[11:14], off
	s_waitcnt vmcnt(37)
	scratch_store_b128 off, v[21:24], off offset:16
	v_add_nc_u32_e32 v21, s8, v174
	s_clause 0x1
	global_load_b128 v[7:10], v[17:18], off
	global_load_b128 v[11:14], v[176:177], off
	v_lshlrev_b64 v[17:18], 4, v[174:175]
	v_lshlrev_b64 v[23:24], 4, v[178:179]
	s_movk_i32 s28, 0x170
	v_add_nc_u32_e32 v174, s8, v21
	v_ashrrev_i32_e32 v22, 31, v21
	s_movk_i32 s29, 0x180
	s_movk_i32 s30, 0x190
	v_add_co_u32 v176, vcc_lo, v148, v23
	v_add_nc_u32_e32 v178, s8, v174
	v_lshlrev_b64 v[21:22], 4, v[21:22]
	v_ashrrev_i32_e32 v175, 31, v174
	v_add_co_ci_u32_e32 v177, vcc_lo, v149, v24, vcc_lo
	s_delay_alu instid0(VALU_DEP_4) | instskip(SKIP_3) | instid1(VALU_DEP_4)
	v_add_nc_u32_e32 v180, s8, v178
	v_add_co_u32 v17, vcc_lo, v148, v17
	v_ashrrev_i32_e32 v179, 31, v178
	v_add_co_ci_u32_e32 v18, vcc_lo, v149, v18, vcc_lo
	v_add_nc_u32_e32 v186, s8, v180
	v_lshlrev_b64 v[184:185], 4, v[174:175]
	v_add_co_u32 v182, vcc_lo, v148, v21
	v_ashrrev_i32_e32 v181, 31, v180
	s_delay_alu instid0(VALU_DEP_4)
	v_add_nc_u32_e32 v190, s8, v186
	v_add_co_ci_u32_e32 v183, vcc_lo, v149, v22, vcc_lo
	s_clause 0x1
	global_load_b128 v[21:24], v[15:16], off
	global_load_b128 v[174:177], v[176:177], off
	v_lshlrev_b64 v[15:16], 4, v[178:179]
	v_add_nc_u32_e32 v194, s8, v190
	v_ashrrev_i32_e32 v187, 31, v186
	v_add_co_u32 v188, vcc_lo, v148, v184
	v_lshlrev_b64 v[192:193], 4, v[180:181]
	s_delay_alu instid0(VALU_DEP_4) | instskip(SKIP_3) | instid1(VALU_DEP_4)
	v_add_nc_u32_e32 v198, s8, v194
	v_ashrrev_i32_e32 v191, 31, v190
	v_add_co_ci_u32_e32 v189, vcc_lo, v149, v185, vcc_lo
	v_add_co_u32 v15, vcc_lo, v148, v15
	v_add_nc_u32_e32 v202, s8, v198
	s_clause 0x1
	global_load_b128 v[178:181], v[17:18], off
	global_load_b128 v[182:185], v[182:183], off
	v_lshlrev_b64 v[17:18], 4, v[186:187]
	v_ashrrev_i32_e32 v195, 31, v194
	v_add_co_ci_u32_e32 v16, vcc_lo, v149, v16, vcc_lo
	v_add_nc_u32_e32 v206, s8, v202
	v_add_co_u32 v196, vcc_lo, v148, v192
	v_lshlrev_b64 v[200:201], 4, v[190:191]
	v_ashrrev_i32_e32 v199, 31, v198
	s_delay_alu instid0(VALU_DEP_4) | instskip(SKIP_2) | instid1(VALU_DEP_3)
	v_add_nc_u32_e32 v210, s8, v206
	v_add_co_ci_u32_e32 v197, vcc_lo, v149, v193, vcc_lo
	v_add_co_u32 v17, vcc_lo, v148, v17
	v_add_nc_u32_e32 v214, s8, v210
	s_clause 0x1
	global_load_b128 v[186:189], v[188:189], off
	global_load_b128 v[190:193], v[15:16], off
	v_lshlrev_b64 v[15:16], 4, v[194:195]
	v_ashrrev_i32_e32 v203, 31, v202
	v_add_co_ci_u32_e32 v18, vcc_lo, v149, v18, vcc_lo
	v_add_nc_u32_e32 v218, s8, v214
	v_add_co_u32 v204, vcc_lo, v148, v200
	v_lshlrev_b64 v[208:209], 4, v[198:199]
	v_ashrrev_i32_e32 v207, 31, v206
	v_add_co_ci_u32_e32 v205, vcc_lo, v149, v201, vcc_lo
	v_add_nc_u32_e32 v222, s8, v218
	v_add_co_u32 v15, vcc_lo, v148, v15
	s_clause 0x1
	global_load_b128 v[194:197], v[196:197], off
	global_load_b128 v[198:201], v[17:18], off
	v_lshlrev_b64 v[17:18], 4, v[202:203]
	v_ashrrev_i32_e32 v211, 31, v210
	v_add_co_ci_u32_e32 v16, vcc_lo, v149, v16, vcc_lo
	v_add_co_u32 v212, vcc_lo, v148, v208
	v_lshlrev_b64 v[216:217], 4, v[206:207]
	v_ashrrev_i32_e32 v215, 31, v214
	v_add_nc_u32_e32 v226, s8, v222
	v_add_co_ci_u32_e32 v213, vcc_lo, v149, v209, vcc_lo
	v_add_co_u32 v17, vcc_lo, v148, v17
	s_clause 0x1
	global_load_b128 v[202:205], v[204:205], off
	global_load_b128 v[206:209], v[15:16], off
	v_lshlrev_b64 v[15:16], 4, v[210:211]
	v_ashrrev_i32_e32 v219, 31, v218
	v_add_co_ci_u32_e32 v18, vcc_lo, v149, v18, vcc_lo
	v_add_co_u32 v220, vcc_lo, v148, v216
	v_lshlrev_b64 v[224:225], 4, v[214:215]
	v_add_nc_u32_e32 v230, s8, v226
	v_add_co_ci_u32_e32 v221, vcc_lo, v149, v217, vcc_lo
	v_ashrrev_i32_e32 v223, 31, v222
	v_add_co_u32 v15, vcc_lo, v148, v15
	s_clause 0x1
	global_load_b128 v[210:213], v[212:213], off
	global_load_b128 v[214:217], v[17:18], off
	v_lshlrev_b64 v[17:18], 4, v[218:219]
	v_add_co_ci_u32_e32 v16, vcc_lo, v149, v16, vcc_lo
	v_add_nc_u32_e32 v234, s8, v230
	v_add_co_u32 v228, vcc_lo, v148, v224
	v_lshlrev_b64 v[232:233], 4, v[222:223]
	v_add_co_ci_u32_e32 v229, vcc_lo, v149, v225, vcc_lo
	v_ashrrev_i32_e32 v227, 31, v226
	v_add_co_u32 v17, vcc_lo, v148, v17
	v_ashrrev_i32_e32 v231, 31, v230
	v_ashrrev_i32_e32 v235, 31, v234
	v_add_nc_u32_e32 v238, s8, v234
	v_add_co_ci_u32_e32 v18, vcc_lo, v149, v18, vcc_lo
	s_clause 0x1
	global_load_b128 v[218:221], v[220:221], off
	global_load_b128 v[222:225], v[15:16], off
	v_lshlrev_b64 v[15:16], 4, v[226:227]
	v_add_co_u32 v236, vcc_lo, v148, v232
	v_add_co_ci_u32_e32 v237, vcc_lo, v149, v233, vcc_lo
	v_lshlrev_b64 v[240:241], 4, v[230:231]
	s_clause 0x1
	global_load_b128 v[226:229], v[228:229], off
	global_load_b128 v[230:233], v[17:18], off
	v_lshlrev_b64 v[17:18], 4, v[234:235]
	v_add_nc_u32_e32 v234, s8, v238
	v_ashrrev_i32_e32 v239, 31, v238
	v_add_co_u32 v15, vcc_lo, v148, v15
	v_add_co_ci_u32_e32 v16, vcc_lo, v149, v16, vcc_lo
	s_delay_alu instid0(VALU_DEP_4)
	v_ashrrev_i32_e32 v235, 31, v234
	v_add_co_u32 v242, vcc_lo, v148, v240
	v_lshlrev_b64 v[238:239], 4, v[238:239]
	v_add_co_ci_u32_e32 v243, vcc_lo, v149, v241, vcc_lo
	v_add_co_u32 v17, vcc_lo, v148, v17
	v_lshlrev_b64 v[234:235], 4, v[234:235]
	v_add_co_ci_u32_e32 v18, vcc_lo, v149, v18, vcc_lo
	v_add_co_u32 v250, vcc_lo, v148, v238
	v_add_co_ci_u32_e32 v251, vcc_lo, v149, v239, vcc_lo
	s_delay_alu instid0(VALU_DEP_4)
	v_add_co_u32 v254, vcc_lo, v148, v234
	v_add_co_ci_u32_e32 v255, vcc_lo, v149, v235, vcc_lo
	s_clause 0x5
	global_load_b128 v[234:237], v[236:237], off
	global_load_b128 v[238:241], v[15:16], off
	;; [unrolled: 1-line block ×6, first 2 shown]
	s_movk_i32 s31, 0x1a0
	s_movk_i32 s33, 0x1b0
	;; [unrolled: 1-line block ×36, first 2 shown]
	s_cmp_lt_i32 s5, 2
	s_movk_i32 s68, 0x3e0
	s_waitcnt vmcnt(60)
	scratch_store_b128 off, v[0:3], off offset:32
	s_waitcnt vmcnt(59)
	scratch_store_b128 off, v[25:28], off offset:48
	;; [unrolled: 2-line block ×61, first 2 shown]
	s_waitcnt lgkmcnt(0)
	s_waitcnt_vscnt null, 0x0
	s_barrier
	buffer_gl0_inv
	ds_load_2addr_b64 v[0:3], v20 offset1:1
	v_lshlrev_b32_e32 v38, 4, v6
	s_cbranch_scc1 .LBB124_6
; %bb.4:
	s_delay_alu instid0(VALU_DEP_1)
	v_add3_u32 v6, v38, 0, 16
	v_mov_b32_e32 v4, 0
	s_mov_b32 s69, 1
	s_set_inst_prefetch_distance 0x1
	.p2align	6
.LBB124_5:                              ; =>This Inner Loop Header: Depth=1
	ds_load_2addr_b64 v[7:10], v6 offset1:1
	s_waitcnt lgkmcnt(1)
	v_cmp_gt_f64_e32 vcc_lo, 0, v[0:1]
	v_xor_b32_e32 v11, 0x80000000, v1
	v_cmp_gt_f64_e64 s2, 0, v[2:3]
	v_xor_b32_e32 v13, 0x80000000, v3
	v_add_nc_u32_e32 v6, 16, v6
	s_waitcnt lgkmcnt(0)
	v_cmp_gt_f64_e64 s3, 0, v[7:8]
	v_mov_b32_e32 v15, v7
	v_mov_b32_e32 v17, v9
	v_cndmask_b32_e32 v12, v1, v11, vcc_lo
	v_xor_b32_e32 v11, 0x80000000, v8
	v_cndmask_b32_e64 v14, v3, v13, s2
	v_xor_b32_e32 v13, 0x80000000, v10
	s_delay_alu instid0(VALU_DEP_3) | instskip(SKIP_2) | instid1(VALU_DEP_2)
	v_cndmask_b32_e64 v16, v8, v11, s3
	v_cmp_gt_f64_e64 s3, 0, v[9:10]
	v_cndmask_b32_e32 v11, v0, v0, vcc_lo
	v_cndmask_b32_e64 v18, v10, v13, s3
	v_cndmask_b32_e64 v13, v2, v2, s2
	s_delay_alu instid0(VALU_DEP_2) | instskip(NEXT) | instid1(VALU_DEP_2)
	v_add_f64 v[15:16], v[15:16], v[17:18]
	v_add_f64 v[11:12], v[11:12], v[13:14]
	s_delay_alu instid0(VALU_DEP_1) | instskip(SKIP_4) | instid1(SALU_CYCLE_1)
	v_cmp_lt_f64_e32 vcc_lo, v[11:12], v[15:16]
	v_dual_cndmask_b32 v2, v2, v9 :: v_dual_cndmask_b32 v1, v1, v8
	v_dual_cndmask_b32 v0, v0, v7 :: v_dual_cndmask_b32 v3, v3, v10
	v_cndmask_b32_e64 v4, v4, s69, vcc_lo
	s_add_i32 s69, s69, 1
	s_cmp_eq_u32 s5, s69
	s_cbranch_scc0 .LBB124_5
.LBB124_6:
	s_set_inst_prefetch_distance 0x2
	scratch_load_b64 v[252:253], off, off offset:1008 ; 8-byte Folded Reload
	s_waitcnt lgkmcnt(0)
	v_cmp_neq_f64_e32 vcc_lo, 0, v[0:1]
	v_cmp_neq_f64_e64 s2, 0, v[2:3]
	v_add_nc_u32_e64 v31, 0, 16
	v_add_nc_u32_e64 v30, 0, 32
	;; [unrolled: 1-line block ×62, first 2 shown]
	v_dual_mov_b32 v37, 1 :: v_dual_mov_b32 v6, 1
	s_or_b32 s2, vcc_lo, s2
	s_delay_alu instid0(SALU_CYCLE_1)
	s_and_saveexec_b32 s3, s2
	s_cbranch_execz .LBB124_12
; %bb.7:
	v_cmp_gt_f64_e32 vcc_lo, 0, v[0:1]
	v_cmp_gt_f64_e64 s2, 0, v[2:3]
	v_xor_b32_e32 v6, 0x80000000, v1
	v_xor_b32_e32 v8, 0x80000000, v3
                                        ; implicit-def: $sgpr6
                                        ; implicit-def: $sgpr7
	s_delay_alu instid0(VALU_DEP_2) | instskip(NEXT) | instid1(VALU_DEP_2)
	v_dual_cndmask_b32 v7, v1, v6 :: v_dual_cndmask_b32 v6, v0, v0
	v_cndmask_b32_e64 v9, v3, v8, s2
	v_cndmask_b32_e64 v8, v2, v2, s2
	s_mov_b32 s2, exec_lo
	s_delay_alu instid0(VALU_DEP_1)
	v_cmpx_ngt_f64_e32 v[6:7], v[8:9]
	s_xor_b32 s2, exec_lo, s2
	s_cbranch_execz .LBB124_9
; %bb.8:
	v_div_scale_f64 v[6:7], null, v[2:3], v[2:3], v[0:1]
	v_div_scale_f64 v[12:13], vcc_lo, v[0:1], v[2:3], v[0:1]
	s_mov_b32 s7, 2
	s_mov_b32 s6, 0
	s_delay_alu instid0(VALU_DEP_2) | instskip(SKIP_2) | instid1(VALU_DEP_1)
	v_rcp_f64_e32 v[8:9], v[6:7]
	s_waitcnt_depctr 0xfff
	v_fma_f64 v[10:11], -v[6:7], v[8:9], 1.0
	v_fma_f64 v[8:9], v[8:9], v[10:11], v[8:9]
	s_delay_alu instid0(VALU_DEP_1) | instskip(NEXT) | instid1(VALU_DEP_1)
	v_fma_f64 v[10:11], -v[6:7], v[8:9], 1.0
	v_fma_f64 v[8:9], v[8:9], v[10:11], v[8:9]
	s_delay_alu instid0(VALU_DEP_1) | instskip(NEXT) | instid1(VALU_DEP_1)
	v_mul_f64 v[10:11], v[12:13], v[8:9]
	v_fma_f64 v[6:7], -v[6:7], v[10:11], v[12:13]
	s_delay_alu instid0(VALU_DEP_1) | instskip(NEXT) | instid1(VALU_DEP_1)
	v_div_fmas_f64 v[6:7], v[6:7], v[8:9], v[10:11]
	v_div_fixup_f64 v[6:7], v[6:7], v[2:3], v[0:1]
	s_delay_alu instid0(VALU_DEP_1) | instskip(NEXT) | instid1(VALU_DEP_1)
	v_fma_f64 v[0:1], v[0:1], v[6:7], v[2:3]
	v_div_scale_f64 v[2:3], null, v[0:1], v[0:1], 1.0
	s_delay_alu instid0(VALU_DEP_1) | instskip(SKIP_2) | instid1(VALU_DEP_1)
	v_rcp_f64_e32 v[8:9], v[2:3]
	s_waitcnt_depctr 0xfff
	v_fma_f64 v[10:11], -v[2:3], v[8:9], 1.0
	v_fma_f64 v[8:9], v[8:9], v[10:11], v[8:9]
	s_delay_alu instid0(VALU_DEP_1) | instskip(NEXT) | instid1(VALU_DEP_1)
	v_fma_f64 v[10:11], -v[2:3], v[8:9], 1.0
	v_fma_f64 v[8:9], v[8:9], v[10:11], v[8:9]
	v_div_scale_f64 v[10:11], vcc_lo, 1.0, v[0:1], 1.0
	s_delay_alu instid0(VALU_DEP_1) | instskip(NEXT) | instid1(VALU_DEP_1)
	v_mul_f64 v[12:13], v[10:11], v[8:9]
	v_fma_f64 v[2:3], -v[2:3], v[12:13], v[10:11]
	s_delay_alu instid0(VALU_DEP_1) | instskip(NEXT) | instid1(VALU_DEP_1)
	v_div_fmas_f64 v[2:3], v[2:3], v[8:9], v[12:13]
	v_div_fixup_f64 v[2:3], v[2:3], v[0:1], 1.0
	s_delay_alu instid0(VALU_DEP_1)
	v_mul_f64 v[0:1], v[6:7], v[2:3]
	v_xor_b32_e32 v3, 0x80000000, v3
.LBB124_9:
	s_or_saveexec_b32 s2, s2
	v_dual_mov_b32 v6, s6 :: v_dual_mov_b32 v37, s7
	s_xor_b32 exec_lo, exec_lo, s2
	s_cbranch_execz .LBB124_11
; %bb.10:
	s_delay_alu instid0(VALU_DEP_3) | instskip(SKIP_2) | instid1(VALU_DEP_3)
	v_div_scale_f64 v[6:7], null, v[0:1], v[0:1], v[2:3]
	v_div_scale_f64 v[12:13], vcc_lo, v[2:3], v[0:1], v[2:3]
	v_mov_b32_e32 v37, 2
	v_rcp_f64_e32 v[8:9], v[6:7]
	s_waitcnt_depctr 0xfff
	v_fma_f64 v[10:11], -v[6:7], v[8:9], 1.0
	s_delay_alu instid0(VALU_DEP_1) | instskip(NEXT) | instid1(VALU_DEP_1)
	v_fma_f64 v[8:9], v[8:9], v[10:11], v[8:9]
	v_fma_f64 v[10:11], -v[6:7], v[8:9], 1.0
	s_delay_alu instid0(VALU_DEP_1) | instskip(NEXT) | instid1(VALU_DEP_1)
	v_fma_f64 v[8:9], v[8:9], v[10:11], v[8:9]
	v_mul_f64 v[10:11], v[12:13], v[8:9]
	s_delay_alu instid0(VALU_DEP_1) | instskip(NEXT) | instid1(VALU_DEP_1)
	v_fma_f64 v[6:7], -v[6:7], v[10:11], v[12:13]
	v_div_fmas_f64 v[6:7], v[6:7], v[8:9], v[10:11]
	s_delay_alu instid0(VALU_DEP_1) | instskip(NEXT) | instid1(VALU_DEP_1)
	v_div_fixup_f64 v[6:7], v[6:7], v[0:1], v[2:3]
	v_fma_f64 v[0:1], v[2:3], v[6:7], v[0:1]
	s_delay_alu instid0(VALU_DEP_1) | instskip(NEXT) | instid1(VALU_DEP_1)
	v_div_scale_f64 v[2:3], null, v[0:1], v[0:1], 1.0
	v_rcp_f64_e32 v[8:9], v[2:3]
	s_waitcnt_depctr 0xfff
	v_fma_f64 v[10:11], -v[2:3], v[8:9], 1.0
	s_delay_alu instid0(VALU_DEP_1) | instskip(NEXT) | instid1(VALU_DEP_1)
	v_fma_f64 v[8:9], v[8:9], v[10:11], v[8:9]
	v_fma_f64 v[10:11], -v[2:3], v[8:9], 1.0
	s_delay_alu instid0(VALU_DEP_1) | instskip(SKIP_1) | instid1(VALU_DEP_1)
	v_fma_f64 v[8:9], v[8:9], v[10:11], v[8:9]
	v_div_scale_f64 v[10:11], vcc_lo, 1.0, v[0:1], 1.0
	v_mul_f64 v[12:13], v[10:11], v[8:9]
	s_delay_alu instid0(VALU_DEP_1) | instskip(NEXT) | instid1(VALU_DEP_1)
	v_fma_f64 v[2:3], -v[2:3], v[12:13], v[10:11]
	v_div_fmas_f64 v[2:3], v[2:3], v[8:9], v[12:13]
	s_delay_alu instid0(VALU_DEP_1) | instskip(NEXT) | instid1(VALU_DEP_1)
	v_div_fixup_f64 v[0:1], v[2:3], v[0:1], 1.0
	v_mul_f64 v[2:3], v[6:7], -v[0:1]
	v_mov_b32_e32 v6, 0
.LBB124_11:
	s_or_b32 exec_lo, exec_lo, s2
.LBB124_12:
	s_delay_alu instid0(SALU_CYCLE_1) | instskip(NEXT) | instid1(SALU_CYCLE_1)
	s_or_b32 exec_lo, exec_lo, s3
	s_mov_b32 s2, exec_lo
                                        ; implicit-def: $vgpr40
	v_cmpx_ne_u32_e64 v5, v4
	s_xor_b32 s2, exec_lo, s2
	s_cbranch_execz .LBB124_18
; %bb.13:
	s_mov_b32 s3, exec_lo
	v_cmpx_eq_u32_e32 0, v5
	s_cbranch_execz .LBB124_17
; %bb.14:
	v_cmp_ne_u32_e32 vcc_lo, 0, v4
	s_xor_b32 s6, s4, -1
	s_delay_alu instid0(SALU_CYCLE_1) | instskip(NEXT) | instid1(SALU_CYCLE_1)
	s_and_b32 s7, s6, vcc_lo
	s_and_saveexec_b32 s6, s7
	s_cbranch_execz .LBB124_16
; %bb.15:
	v_ashrrev_i32_e32 v5, 31, v4
	s_delay_alu instid0(VALU_DEP_1) | instskip(NEXT) | instid1(VALU_DEP_1)
	v_lshlrev_b64 v[7:8], 2, v[4:5]
	v_add_co_u32 v7, vcc_lo, v145, v7
	s_delay_alu instid0(VALU_DEP_2)
	v_add_co_ci_u32_e32 v8, vcc_lo, v146, v8, vcc_lo
	s_clause 0x1
	flat_load_b32 v5, v[7:8]
	flat_load_b32 v9, v[145:146]
	s_waitcnt vmcnt(1) lgkmcnt(1)
	flat_store_b32 v[145:146], v5
	s_waitcnt vmcnt(0) lgkmcnt(1)
	flat_store_b32 v[7:8], v9
.LBB124_16:
	s_or_b32 exec_lo, exec_lo, s6
	v_mov_b32_e32 v5, v4
.LBB124_17:
	s_or_b32 exec_lo, exec_lo, s3
	s_delay_alu instid0(VALU_DEP_1)
	v_mov_b32_e32 v40, v5
                                        ; implicit-def: $vgpr5
.LBB124_18:
	s_or_saveexec_b32 s2, s2
	s_delay_alu instid0(VALU_DEP_1)
	v_mov_b32_e32 v39, v40
	s_xor_b32 exec_lo, exec_lo, s2
	s_cbranch_execz .LBB124_22
; %bb.19:
	v_add3_u32 v4, v38, 0, 16
	s_mov_b32 s3, 0
.LBB124_20:                             ; =>This Inner Loop Header: Depth=1
	s_delay_alu instid0(SALU_CYCLE_1) | instskip(NEXT) | instid1(VALU_DEP_2)
	v_add_nc_u32_e64 v7, s3, 0
	v_add_nc_u32_e32 v15, s3, v4
	s_add_i32 s3, s3, 32
	s_delay_alu instid0(SALU_CYCLE_1) | instskip(NEXT) | instid1(VALU_DEP_2)
	s_cmpk_eq_i32 s3, 0x3e0
	v_add_nc_u32_e32 v8, 16, v7
	v_add_nc_u32_e32 v11, 32, v7
	s_clause 0x1
	scratch_load_b128 v[7:10], v8, off
	scratch_load_b128 v[11:14], v11, off
	s_waitcnt vmcnt(1)
	ds_store_2addr_b64 v15, v[7:8], v[9:10] offset1:1
	s_waitcnt vmcnt(0)
	ds_store_2addr_b64 v15, v[11:12], v[13:14] offset0:2 offset1:3
	s_cbranch_scc0 .LBB124_20
; %bb.21:
	v_dual_mov_b32 v40, 0 :: v_dual_mov_b32 v39, v5
.LBB124_22:
	s_or_b32 exec_lo, exec_lo, s2
	s_mov_b32 s2, 0
	s_mov_b32 s3, exec_lo
	s_waitcnt vmcnt(0) lgkmcnt(0)
	s_waitcnt_vscnt null, 0x0
	s_barrier
	buffer_gl0_inv
	v_cmpx_lt_i32_e32 0, v40
	s_cbranch_execz .LBB124_25
; %bb.23:
	scratch_load_b128 v[7:10], off, off
	s_waitcnt vmcnt(0)
	v_mul_f64 v[4:5], v[2:3], v[9:10]
	v_mul_f64 v[9:10], v[0:1], v[9:10]
	s_delay_alu instid0(VALU_DEP_2) | instskip(NEXT) | instid1(VALU_DEP_2)
	v_fma_f64 v[0:1], v[0:1], v[7:8], -v[4:5]
	v_fma_f64 v[2:3], v[2:3], v[7:8], v[9:10]
	v_add3_u32 v4, v38, 0, 16
	scratch_store_b128 off, v[0:3], off
	s_set_inst_prefetch_distance 0x1
	.p2align	6
.LBB124_24:                             ; =>This Inner Loop Header: Depth=1
	v_add_nc_u32_e64 v5, s2, 0
	v_add_nc_u32_e32 v41, s2, v4
	s_add_i32 s2, s2, 32
	s_delay_alu instid0(SALU_CYCLE_1) | instskip(NEXT) | instid1(VALU_DEP_2)
	s_cmpk_lg_i32 s2, 0x3e0
	v_add_nc_u32_e32 v19, 16, v5
	v_add_nc_u32_e32 v5, 32, v5
	s_clause 0x1
	scratch_load_b128 v[7:10], v19, off
	scratch_load_b128 v[11:14], v5, off
	ds_load_2addr_b64 v[15:18], v41 offset1:1
	ds_load_2addr_b64 v[41:44], v41 offset0:2 offset1:3
	s_waitcnt lgkmcnt(1)
	v_mul_f64 v[45:46], v[17:18], v[2:3]
	v_mul_f64 v[49:50], v[15:16], v[2:3]
	s_waitcnt lgkmcnt(0)
	v_mul_f64 v[53:54], v[43:44], v[2:3]
	v_mul_f64 v[55:56], v[41:42], v[2:3]
	s_delay_alu instid0(VALU_DEP_4) | instskip(NEXT) | instid1(VALU_DEP_4)
	v_fma_f64 v[15:16], v[15:16], v[0:1], -v[45:46]
	v_fma_f64 v[17:18], v[17:18], v[0:1], v[49:50]
	s_delay_alu instid0(VALU_DEP_4) | instskip(NEXT) | instid1(VALU_DEP_4)
	v_fma_f64 v[41:42], v[41:42], v[0:1], -v[53:54]
	v_fma_f64 v[43:44], v[43:44], v[0:1], v[55:56]
	s_waitcnt vmcnt(1)
	s_delay_alu instid0(VALU_DEP_4) | instskip(NEXT) | instid1(VALU_DEP_4)
	v_add_f64 v[7:8], v[7:8], -v[15:16]
	v_add_f64 v[9:10], v[9:10], -v[17:18]
	s_waitcnt vmcnt(0)
	s_delay_alu instid0(VALU_DEP_4) | instskip(NEXT) | instid1(VALU_DEP_4)
	v_add_f64 v[11:12], v[11:12], -v[41:42]
	v_add_f64 v[13:14], v[13:14], -v[43:44]
	s_clause 0x1
	scratch_store_b128 v19, v[7:10], off
	scratch_store_b128 v5, v[11:14], off
	s_cbranch_scc1 .LBB124_24
.LBB124_25:
	s_set_inst_prefetch_distance 0x2
	s_or_b32 exec_lo, exec_lo, s3
	s_waitcnt_vscnt null, 0x0
	s_barrier
	buffer_gl0_inv
	scratch_load_b128 v[0:3], v31, off
	v_lshl_add_u32 v4, v40, 4, v20
	s_cmp_lt_i32 s5, 3
	s_waitcnt vmcnt(0)
	ds_store_2addr_b64 v4, v[0:1], v[2:3] offset1:1
	s_waitcnt lgkmcnt(0)
	s_barrier
	buffer_gl0_inv
	ds_load_2addr_b64 v[0:3], v20 offset0:2 offset1:3
	v_mov_b32_e32 v4, 1
	s_cbranch_scc1 .LBB124_28
; %bb.26:
	v_add3_u32 v5, v38, 0, 32
	v_mov_b32_e32 v4, 1
	s_mov_b32 s6, 2
	s_set_inst_prefetch_distance 0x1
	.p2align	6
.LBB124_27:                             ; =>This Inner Loop Header: Depth=1
	ds_load_2addr_b64 v[7:10], v5 offset1:1
	s_waitcnt lgkmcnt(1)
	v_cmp_gt_f64_e32 vcc_lo, 0, v[0:1]
	v_xor_b32_e32 v11, 0x80000000, v1
	v_cmp_gt_f64_e64 s2, 0, v[2:3]
	v_xor_b32_e32 v13, 0x80000000, v3
	v_add_nc_u32_e32 v5, 16, v5
	s_waitcnt lgkmcnt(0)
	v_cmp_gt_f64_e64 s3, 0, v[7:8]
	v_mov_b32_e32 v17, v9
	v_dual_mov_b32 v15, v7 :: v_dual_cndmask_b32 v12, v1, v11
	v_xor_b32_e32 v11, 0x80000000, v8
	v_cndmask_b32_e64 v14, v3, v13, s2
	v_xor_b32_e32 v13, 0x80000000, v10
	s_delay_alu instid0(VALU_DEP_3) | instskip(SKIP_2) | instid1(VALU_DEP_2)
	v_cndmask_b32_e64 v16, v8, v11, s3
	v_cmp_gt_f64_e64 s3, 0, v[9:10]
	v_cndmask_b32_e32 v11, v0, v0, vcc_lo
	v_cndmask_b32_e64 v18, v10, v13, s3
	v_cndmask_b32_e64 v13, v2, v2, s2
	s_delay_alu instid0(VALU_DEP_2) | instskip(NEXT) | instid1(VALU_DEP_2)
	v_add_f64 v[15:16], v[15:16], v[17:18]
	v_add_f64 v[11:12], v[11:12], v[13:14]
	s_delay_alu instid0(VALU_DEP_1) | instskip(SKIP_4) | instid1(SALU_CYCLE_1)
	v_cmp_lt_f64_e32 vcc_lo, v[11:12], v[15:16]
	v_dual_cndmask_b32 v2, v2, v9 :: v_dual_cndmask_b32 v1, v1, v8
	v_dual_cndmask_b32 v0, v0, v7 :: v_dual_cndmask_b32 v3, v3, v10
	v_cndmask_b32_e64 v4, v4, s6, vcc_lo
	s_add_i32 s6, s6, 1
	s_cmp_lg_u32 s5, s6
	s_cbranch_scc1 .LBB124_27
.LBB124_28:
	s_set_inst_prefetch_distance 0x2
	s_waitcnt lgkmcnt(0)
	v_cmp_neq_f64_e32 vcc_lo, 0, v[0:1]
	v_cmp_neq_f64_e64 s2, 0, v[2:3]
	s_delay_alu instid0(VALU_DEP_1) | instskip(NEXT) | instid1(SALU_CYCLE_1)
	s_or_b32 s2, vcc_lo, s2
	s_and_saveexec_b32 s3, s2
	s_cbranch_execz .LBB124_34
; %bb.29:
	v_cmp_gt_f64_e32 vcc_lo, 0, v[0:1]
	v_cmp_gt_f64_e64 s2, 0, v[2:3]
	v_xor_b32_e32 v5, 0x80000000, v1
	v_xor_b32_e32 v7, 0x80000000, v3
	s_delay_alu instid0(VALU_DEP_2) | instskip(NEXT) | instid1(VALU_DEP_2)
	v_cndmask_b32_e32 v8, v1, v5, vcc_lo
	v_cndmask_b32_e64 v10, v3, v7, s2
	v_cndmask_b32_e32 v7, v0, v0, vcc_lo
	v_cndmask_b32_e64 v9, v2, v2, s2
	s_mov_b32 s2, exec_lo
	s_delay_alu instid0(VALU_DEP_1)
	v_cmpx_ngt_f64_e32 v[7:8], v[9:10]
	s_xor_b32 s2, exec_lo, s2
	s_cbranch_execz .LBB124_31
; %bb.30:
	v_div_scale_f64 v[7:8], null, v[2:3], v[2:3], v[0:1]
	v_div_scale_f64 v[13:14], vcc_lo, v[0:1], v[2:3], v[0:1]
	s_delay_alu instid0(VALU_DEP_2) | instskip(SKIP_2) | instid1(VALU_DEP_1)
	v_rcp_f64_e32 v[9:10], v[7:8]
	s_waitcnt_depctr 0xfff
	v_fma_f64 v[11:12], -v[7:8], v[9:10], 1.0
	v_fma_f64 v[9:10], v[9:10], v[11:12], v[9:10]
	s_delay_alu instid0(VALU_DEP_1) | instskip(NEXT) | instid1(VALU_DEP_1)
	v_fma_f64 v[11:12], -v[7:8], v[9:10], 1.0
	v_fma_f64 v[9:10], v[9:10], v[11:12], v[9:10]
	s_delay_alu instid0(VALU_DEP_1) | instskip(NEXT) | instid1(VALU_DEP_1)
	v_mul_f64 v[11:12], v[13:14], v[9:10]
	v_fma_f64 v[7:8], -v[7:8], v[11:12], v[13:14]
	s_delay_alu instid0(VALU_DEP_1) | instskip(NEXT) | instid1(VALU_DEP_1)
	v_div_fmas_f64 v[7:8], v[7:8], v[9:10], v[11:12]
	v_div_fixup_f64 v[7:8], v[7:8], v[2:3], v[0:1]
	s_delay_alu instid0(VALU_DEP_1) | instskip(NEXT) | instid1(VALU_DEP_1)
	v_fma_f64 v[0:1], v[0:1], v[7:8], v[2:3]
	v_div_scale_f64 v[2:3], null, v[0:1], v[0:1], 1.0
	s_delay_alu instid0(VALU_DEP_1) | instskip(SKIP_2) | instid1(VALU_DEP_1)
	v_rcp_f64_e32 v[9:10], v[2:3]
	s_waitcnt_depctr 0xfff
	v_fma_f64 v[11:12], -v[2:3], v[9:10], 1.0
	v_fma_f64 v[9:10], v[9:10], v[11:12], v[9:10]
	s_delay_alu instid0(VALU_DEP_1) | instskip(NEXT) | instid1(VALU_DEP_1)
	v_fma_f64 v[11:12], -v[2:3], v[9:10], 1.0
	v_fma_f64 v[9:10], v[9:10], v[11:12], v[9:10]
	v_div_scale_f64 v[11:12], vcc_lo, 1.0, v[0:1], 1.0
	s_delay_alu instid0(VALU_DEP_1) | instskip(NEXT) | instid1(VALU_DEP_1)
	v_mul_f64 v[13:14], v[11:12], v[9:10]
	v_fma_f64 v[2:3], -v[2:3], v[13:14], v[11:12]
	s_delay_alu instid0(VALU_DEP_1) | instskip(NEXT) | instid1(VALU_DEP_1)
	v_div_fmas_f64 v[2:3], v[2:3], v[9:10], v[13:14]
	v_div_fixup_f64 v[2:3], v[2:3], v[0:1], 1.0
	s_delay_alu instid0(VALU_DEP_1)
	v_mul_f64 v[0:1], v[7:8], v[2:3]
	v_xor_b32_e32 v3, 0x80000000, v3
.LBB124_31:
	s_and_not1_saveexec_b32 s2, s2
	s_cbranch_execz .LBB124_33
; %bb.32:
	s_delay_alu instid0(VALU_DEP_1) | instskip(SKIP_1) | instid1(VALU_DEP_2)
	v_div_scale_f64 v[7:8], null, v[0:1], v[0:1], v[2:3]
	v_div_scale_f64 v[13:14], vcc_lo, v[2:3], v[0:1], v[2:3]
	v_rcp_f64_e32 v[9:10], v[7:8]
	s_waitcnt_depctr 0xfff
	v_fma_f64 v[11:12], -v[7:8], v[9:10], 1.0
	s_delay_alu instid0(VALU_DEP_1) | instskip(NEXT) | instid1(VALU_DEP_1)
	v_fma_f64 v[9:10], v[9:10], v[11:12], v[9:10]
	v_fma_f64 v[11:12], -v[7:8], v[9:10], 1.0
	s_delay_alu instid0(VALU_DEP_1) | instskip(NEXT) | instid1(VALU_DEP_1)
	v_fma_f64 v[9:10], v[9:10], v[11:12], v[9:10]
	v_mul_f64 v[11:12], v[13:14], v[9:10]
	s_delay_alu instid0(VALU_DEP_1) | instskip(NEXT) | instid1(VALU_DEP_1)
	v_fma_f64 v[7:8], -v[7:8], v[11:12], v[13:14]
	v_div_fmas_f64 v[7:8], v[7:8], v[9:10], v[11:12]
	s_delay_alu instid0(VALU_DEP_1) | instskip(NEXT) | instid1(VALU_DEP_1)
	v_div_fixup_f64 v[7:8], v[7:8], v[0:1], v[2:3]
	v_fma_f64 v[0:1], v[2:3], v[7:8], v[0:1]
	s_delay_alu instid0(VALU_DEP_1) | instskip(NEXT) | instid1(VALU_DEP_1)
	v_div_scale_f64 v[2:3], null, v[0:1], v[0:1], 1.0
	v_rcp_f64_e32 v[9:10], v[2:3]
	s_waitcnt_depctr 0xfff
	v_fma_f64 v[11:12], -v[2:3], v[9:10], 1.0
	s_delay_alu instid0(VALU_DEP_1) | instskip(NEXT) | instid1(VALU_DEP_1)
	v_fma_f64 v[9:10], v[9:10], v[11:12], v[9:10]
	v_fma_f64 v[11:12], -v[2:3], v[9:10], 1.0
	s_delay_alu instid0(VALU_DEP_1) | instskip(SKIP_1) | instid1(VALU_DEP_1)
	v_fma_f64 v[9:10], v[9:10], v[11:12], v[9:10]
	v_div_scale_f64 v[11:12], vcc_lo, 1.0, v[0:1], 1.0
	v_mul_f64 v[13:14], v[11:12], v[9:10]
	s_delay_alu instid0(VALU_DEP_1) | instskip(NEXT) | instid1(VALU_DEP_1)
	v_fma_f64 v[2:3], -v[2:3], v[13:14], v[11:12]
	v_div_fmas_f64 v[2:3], v[2:3], v[9:10], v[13:14]
	s_delay_alu instid0(VALU_DEP_1) | instskip(NEXT) | instid1(VALU_DEP_1)
	v_div_fixup_f64 v[0:1], v[2:3], v[0:1], 1.0
	v_mul_f64 v[2:3], v[7:8], -v[0:1]
.LBB124_33:
	s_or_b32 exec_lo, exec_lo, s2
	v_mov_b32_e32 v37, v6
.LBB124_34:
	s_or_b32 exec_lo, exec_lo, s3
	s_delay_alu instid0(SALU_CYCLE_1)
	s_mov_b32 s2, exec_lo
	v_cmpx_ne_u32_e64 v40, v4
	s_xor_b32 s2, exec_lo, s2
	s_cbranch_execz .LBB124_40
; %bb.35:
	s_mov_b32 s3, exec_lo
	v_cmpx_eq_u32_e32 1, v40
	s_cbranch_execz .LBB124_39
; %bb.36:
	v_cmp_ne_u32_e32 vcc_lo, 1, v4
	s_xor_b32 s6, s4, -1
	s_delay_alu instid0(SALU_CYCLE_1) | instskip(NEXT) | instid1(SALU_CYCLE_1)
	s_and_b32 s7, s6, vcc_lo
	s_and_saveexec_b32 s6, s7
	s_cbranch_execz .LBB124_38
; %bb.37:
	v_ashrrev_i32_e32 v5, 31, v4
	s_delay_alu instid0(VALU_DEP_1) | instskip(NEXT) | instid1(VALU_DEP_1)
	v_lshlrev_b64 v[5:6], 2, v[4:5]
	v_add_co_u32 v5, vcc_lo, v145, v5
	s_delay_alu instid0(VALU_DEP_2)
	v_add_co_ci_u32_e32 v6, vcc_lo, v146, v6, vcc_lo
	s_clause 0x1
	flat_load_b32 v7, v[5:6]
	flat_load_b32 v8, v[145:146] offset:4
	s_waitcnt vmcnt(1) lgkmcnt(1)
	flat_store_b32 v[145:146], v7 offset:4
	s_waitcnt vmcnt(0) lgkmcnt(1)
	flat_store_b32 v[5:6], v8
.LBB124_38:
	s_or_b32 exec_lo, exec_lo, s6
	v_mov_b32_e32 v40, v4
	v_mov_b32_e32 v39, v4
.LBB124_39:
	s_or_b32 exec_lo, exec_lo, s3
.LBB124_40:
	s_and_not1_saveexec_b32 s2, s2
	s_cbranch_execz .LBB124_46
; %bb.41:
	v_add3_u32 v4, v38, 0, 32
	v_mov_b32_e32 v5, 0
	s_mov_b32 s3, 0
	s_branch .LBB124_43
.LBB124_42:                             ;   in Loop: Header=BB124_43 Depth=1
	s_and_not1_b32 vcc_lo, exec_lo, s7
	s_cbranch_vccz .LBB124_45
.LBB124_43:                             ; =>This Inner Loop Header: Depth=1
	s_delay_alu instid0(VALU_DEP_1) | instskip(SKIP_1) | instid1(VALU_DEP_2)
	v_readfirstlane_b32 s6, v5
	v_add_nc_u32_e32 v6, s3, v4
	s_add_i32 s6, s6, s3
	s_delay_alu instid0(SALU_CYCLE_1)
	s_add_i32 s7, s6, 32
	s_add_i32 s9, s6, 48
	;; [unrolled: 1-line block ×5, first 2 shown]
	s_clause 0x4
	scratch_load_b128 v[7:10], off, s7
	scratch_load_b128 v[11:14], off, s9
	;; [unrolled: 1-line block ×5, first 2 shown]
	s_mov_b32 s7, -1
	s_cmpk_eq_i32 s3, 0x380
	s_waitcnt vmcnt(4)
	ds_store_2addr_b64 v6, v[7:8], v[9:10] offset1:1
	s_waitcnt vmcnt(3)
	ds_store_2addr_b64 v6, v[11:12], v[13:14] offset0:2 offset1:3
	s_waitcnt vmcnt(2)
	ds_store_2addr_b64 v6, v[15:16], v[17:18] offset0:4 offset1:5
	;; [unrolled: 2-line block ×4, first 2 shown]
	s_cbranch_scc1 .LBB124_42
; %bb.44:                               ;   in Loop: Header=BB124_43 Depth=1
	s_add_i32 s7, s6, 0x70
	s_add_i32 s9, s6, 0x80
	s_addk_i32 s6, 0x90
	s_clause 0x2
	scratch_load_b128 v[7:10], off, s7
	scratch_load_b128 v[11:14], off, s9
	;; [unrolled: 1-line block ×3, first 2 shown]
	s_addk_i32 s3, 0x80
	s_mov_b32 s7, 0
	s_waitcnt vmcnt(2)
	ds_store_2addr_b64 v6, v[7:8], v[9:10] offset0:10 offset1:11
	s_waitcnt vmcnt(1)
	ds_store_2addr_b64 v6, v[11:12], v[13:14] offset0:12 offset1:13
	;; [unrolled: 2-line block ×3, first 2 shown]
	s_branch .LBB124_42
.LBB124_45:
	v_mov_b32_e32 v40, 1
.LBB124_46:
	s_or_b32 exec_lo, exec_lo, s2
	s_delay_alu instid0(SALU_CYCLE_1)
	s_mov_b32 s2, exec_lo
	s_waitcnt lgkmcnt(0)
	s_waitcnt_vscnt null, 0x0
	s_barrier
	buffer_gl0_inv
	v_cmpx_lt_i32_e32 1, v40
	s_cbranch_execz .LBB124_51
; %bb.47:
	scratch_load_b128 v[4:7], off, off offset:16
	s_mov_b32 s3, 0
	s_waitcnt vmcnt(0)
	v_mul_f64 v[8:9], v[2:3], v[6:7]
	v_mul_f64 v[6:7], v[0:1], v[6:7]
	s_delay_alu instid0(VALU_DEP_2) | instskip(NEXT) | instid1(VALU_DEP_2)
	v_fma_f64 v[0:1], v[0:1], v[4:5], -v[8:9]
	v_fma_f64 v[2:3], v[2:3], v[4:5], v[6:7]
	v_add3_u32 v4, v38, 0, 32
	v_mov_b32_e32 v5, 0
	scratch_store_b128 off, v[0:3], off offset:16
	s_branch .LBB124_49
.LBB124_48:                             ;   in Loop: Header=BB124_49 Depth=1
	s_and_not1_b32 vcc_lo, exec_lo, s7
	s_cbranch_vccz .LBB124_51
.LBB124_49:                             ; =>This Inner Loop Header: Depth=1
	v_readfirstlane_b32 s6, v5
	v_add_nc_u32_e32 v6, s3, v4
	s_mov_b32 s7, -1
	s_delay_alu instid0(VALU_DEP_2)
	s_add_i32 s6, s6, s3
	ds_load_2addr_b64 v[11:14], v6 offset1:1
	s_add_i32 s9, s6, 32
	s_cmpk_eq_i32 s3, 0x3c0
	scratch_load_b128 v[7:10], off, s9
	s_waitcnt lgkmcnt(0)
	v_mul_f64 v[15:16], v[13:14], v[2:3]
	v_mul_f64 v[17:18], v[11:12], v[2:3]
	s_delay_alu instid0(VALU_DEP_2) | instskip(NEXT) | instid1(VALU_DEP_2)
	v_fma_f64 v[11:12], v[11:12], v[0:1], -v[15:16]
	v_fma_f64 v[13:14], v[13:14], v[0:1], v[17:18]
	s_waitcnt vmcnt(0)
	s_delay_alu instid0(VALU_DEP_2) | instskip(NEXT) | instid1(VALU_DEP_2)
	v_add_f64 v[7:8], v[7:8], -v[11:12]
	v_add_f64 v[9:10], v[9:10], -v[13:14]
	scratch_store_b128 off, v[7:10], s9
	s_cbranch_scc1 .LBB124_48
; %bb.50:                               ;   in Loop: Header=BB124_49 Depth=1
	s_add_i32 s9, s6, 48
	s_add_i32 s12, s6, 64
	scratch_load_b128 v[7:10], off, s9
	s_addk_i32 s6, 0x50
	s_clause 0x1
	scratch_load_b128 v[11:14], off, s12
	scratch_load_b128 v[15:18], off, s6
	ds_load_2addr_b64 v[41:44], v6 offset0:2 offset1:3
	ds_load_2addr_b64 v[53:56], v6 offset0:4 offset1:5
	;; [unrolled: 1-line block ×3, first 2 shown]
	s_add_i32 s3, s3, 64
	s_mov_b32 s7, 0
	s_waitcnt lgkmcnt(2)
	v_mul_f64 v[45:46], v[43:44], v[2:3]
	v_mul_f64 v[49:50], v[41:42], v[2:3]
	s_waitcnt lgkmcnt(1)
	v_mul_f64 v[61:62], v[55:56], v[2:3]
	v_mul_f64 v[65:66], v[53:54], v[2:3]
	;; [unrolled: 3-line block ×3, first 2 shown]
	v_fma_f64 v[41:42], v[41:42], v[0:1], -v[45:46]
	v_fma_f64 v[43:44], v[43:44], v[0:1], v[49:50]
	v_fma_f64 v[45:46], v[53:54], v[0:1], -v[61:62]
	v_fma_f64 v[49:50], v[55:56], v[0:1], v[65:66]
	;; [unrolled: 2-line block ×3, first 2 shown]
	s_waitcnt vmcnt(2)
	v_add_f64 v[6:7], v[7:8], -v[41:42]
	v_add_f64 v[8:9], v[9:10], -v[43:44]
	s_waitcnt vmcnt(1)
	v_add_f64 v[10:11], v[11:12], -v[45:46]
	v_add_f64 v[12:13], v[13:14], -v[49:50]
	;; [unrolled: 3-line block ×3, first 2 shown]
	s_clause 0x2
	scratch_store_b128 off, v[6:9], s9
	scratch_store_b128 off, v[10:13], s12
	;; [unrolled: 1-line block ×3, first 2 shown]
	s_branch .LBB124_48
.LBB124_51:
	s_or_b32 exec_lo, exec_lo, s2
	s_waitcnt_vscnt null, 0x0
	s_barrier
	buffer_gl0_inv
	scratch_load_b128 v[0:3], v30, off
	v_lshl_add_u32 v4, v40, 4, v20
	s_cmp_lt_i32 s5, 4
	s_waitcnt vmcnt(0)
	ds_store_2addr_b64 v4, v[0:1], v[2:3] offset1:1
	s_waitcnt lgkmcnt(0)
	s_barrier
	buffer_gl0_inv
	ds_load_2addr_b64 v[0:3], v20 offset0:4 offset1:5
	v_mov_b32_e32 v4, 2
	s_cbranch_scc1 .LBB124_54
; %bb.52:
	v_add3_u32 v5, v38, 0, 48
	v_mov_b32_e32 v4, 2
	s_mov_b32 s6, 3
	s_set_inst_prefetch_distance 0x1
	.p2align	6
.LBB124_53:                             ; =>This Inner Loop Header: Depth=1
	ds_load_2addr_b64 v[6:9], v5 offset1:1
	s_waitcnt lgkmcnt(1)
	v_cmp_gt_f64_e32 vcc_lo, 0, v[0:1]
	v_xor_b32_e32 v10, 0x80000000, v1
	v_cmp_gt_f64_e64 s2, 0, v[2:3]
	v_xor_b32_e32 v12, 0x80000000, v3
	v_add_nc_u32_e32 v5, 16, v5
	s_waitcnt lgkmcnt(0)
	v_cmp_gt_f64_e64 s3, 0, v[6:7]
	v_mov_b32_e32 v14, v6
	v_dual_mov_b32 v16, v8 :: v_dual_cndmask_b32 v11, v1, v10
	v_xor_b32_e32 v10, 0x80000000, v7
	v_cndmask_b32_e64 v13, v3, v12, s2
	v_xor_b32_e32 v12, 0x80000000, v9
	s_delay_alu instid0(VALU_DEP_3) | instskip(SKIP_2) | instid1(VALU_DEP_2)
	v_cndmask_b32_e64 v15, v7, v10, s3
	v_cmp_gt_f64_e64 s3, 0, v[8:9]
	v_cndmask_b32_e32 v10, v0, v0, vcc_lo
	v_cndmask_b32_e64 v17, v9, v12, s3
	v_cndmask_b32_e64 v12, v2, v2, s2
	s_delay_alu instid0(VALU_DEP_2) | instskip(NEXT) | instid1(VALU_DEP_2)
	v_add_f64 v[14:15], v[14:15], v[16:17]
	v_add_f64 v[10:11], v[10:11], v[12:13]
	s_delay_alu instid0(VALU_DEP_1)
	v_cmp_lt_f64_e32 vcc_lo, v[10:11], v[14:15]
	v_cndmask_b32_e32 v3, v3, v9, vcc_lo
	v_dual_cndmask_b32 v1, v1, v7 :: v_dual_cndmask_b32 v0, v0, v6
	v_cndmask_b32_e32 v2, v2, v8, vcc_lo
	v_cndmask_b32_e64 v4, v4, s6, vcc_lo
	s_add_i32 s6, s6, 1
	s_delay_alu instid0(SALU_CYCLE_1)
	s_cmp_lg_u32 s5, s6
	s_cbranch_scc1 .LBB124_53
.LBB124_54:
	s_set_inst_prefetch_distance 0x2
	s_waitcnt lgkmcnt(0)
	v_cmp_eq_f64_e32 vcc_lo, 0, v[0:1]
	v_cmp_eq_f64_e64 s2, 0, v[2:3]
	s_delay_alu instid0(VALU_DEP_1) | instskip(NEXT) | instid1(SALU_CYCLE_1)
	s_and_b32 s2, vcc_lo, s2
	s_and_saveexec_b32 s3, s2
	s_delay_alu instid0(SALU_CYCLE_1)
	s_xor_b32 s2, exec_lo, s3
; %bb.55:
	v_cmp_ne_u32_e32 vcc_lo, 0, v37
	v_cndmask_b32_e32 v37, 3, v37, vcc_lo
; %bb.56:
	s_and_not1_saveexec_b32 s3, s2
	s_cbranch_execz .LBB124_62
; %bb.57:
	v_cmp_gt_f64_e32 vcc_lo, 0, v[0:1]
	v_cmp_gt_f64_e64 s2, 0, v[2:3]
	v_xor_b32_e32 v5, 0x80000000, v1
	v_xor_b32_e32 v7, 0x80000000, v3
	s_delay_alu instid0(VALU_DEP_2) | instskip(NEXT) | instid1(VALU_DEP_2)
	v_dual_cndmask_b32 v6, v1, v5 :: v_dual_cndmask_b32 v5, v0, v0
	v_cndmask_b32_e64 v8, v3, v7, s2
	v_cndmask_b32_e64 v7, v2, v2, s2
	s_mov_b32 s2, exec_lo
	s_delay_alu instid0(VALU_DEP_1)
	v_cmpx_ngt_f64_e32 v[5:6], v[7:8]
	s_xor_b32 s2, exec_lo, s2
	s_cbranch_execz .LBB124_59
; %bb.58:
	v_div_scale_f64 v[5:6], null, v[2:3], v[2:3], v[0:1]
	v_div_scale_f64 v[11:12], vcc_lo, v[0:1], v[2:3], v[0:1]
	s_delay_alu instid0(VALU_DEP_2) | instskip(SKIP_2) | instid1(VALU_DEP_1)
	v_rcp_f64_e32 v[7:8], v[5:6]
	s_waitcnt_depctr 0xfff
	v_fma_f64 v[9:10], -v[5:6], v[7:8], 1.0
	v_fma_f64 v[7:8], v[7:8], v[9:10], v[7:8]
	s_delay_alu instid0(VALU_DEP_1) | instskip(NEXT) | instid1(VALU_DEP_1)
	v_fma_f64 v[9:10], -v[5:6], v[7:8], 1.0
	v_fma_f64 v[7:8], v[7:8], v[9:10], v[7:8]
	s_delay_alu instid0(VALU_DEP_1) | instskip(NEXT) | instid1(VALU_DEP_1)
	v_mul_f64 v[9:10], v[11:12], v[7:8]
	v_fma_f64 v[5:6], -v[5:6], v[9:10], v[11:12]
	s_delay_alu instid0(VALU_DEP_1) | instskip(NEXT) | instid1(VALU_DEP_1)
	v_div_fmas_f64 v[5:6], v[5:6], v[7:8], v[9:10]
	v_div_fixup_f64 v[5:6], v[5:6], v[2:3], v[0:1]
	s_delay_alu instid0(VALU_DEP_1) | instskip(NEXT) | instid1(VALU_DEP_1)
	v_fma_f64 v[0:1], v[0:1], v[5:6], v[2:3]
	v_div_scale_f64 v[2:3], null, v[0:1], v[0:1], 1.0
	s_delay_alu instid0(VALU_DEP_1) | instskip(SKIP_2) | instid1(VALU_DEP_1)
	v_rcp_f64_e32 v[7:8], v[2:3]
	s_waitcnt_depctr 0xfff
	v_fma_f64 v[9:10], -v[2:3], v[7:8], 1.0
	v_fma_f64 v[7:8], v[7:8], v[9:10], v[7:8]
	s_delay_alu instid0(VALU_DEP_1) | instskip(NEXT) | instid1(VALU_DEP_1)
	v_fma_f64 v[9:10], -v[2:3], v[7:8], 1.0
	v_fma_f64 v[7:8], v[7:8], v[9:10], v[7:8]
	v_div_scale_f64 v[9:10], vcc_lo, 1.0, v[0:1], 1.0
	s_delay_alu instid0(VALU_DEP_1) | instskip(NEXT) | instid1(VALU_DEP_1)
	v_mul_f64 v[11:12], v[9:10], v[7:8]
	v_fma_f64 v[2:3], -v[2:3], v[11:12], v[9:10]
	s_delay_alu instid0(VALU_DEP_1) | instskip(NEXT) | instid1(VALU_DEP_1)
	v_div_fmas_f64 v[2:3], v[2:3], v[7:8], v[11:12]
	v_div_fixup_f64 v[2:3], v[2:3], v[0:1], 1.0
	s_delay_alu instid0(VALU_DEP_1)
	v_mul_f64 v[0:1], v[5:6], v[2:3]
	v_xor_b32_e32 v3, 0x80000000, v3
.LBB124_59:
	s_and_not1_saveexec_b32 s2, s2
	s_cbranch_execz .LBB124_61
; %bb.60:
	s_delay_alu instid0(VALU_DEP_1) | instskip(SKIP_1) | instid1(VALU_DEP_2)
	v_div_scale_f64 v[5:6], null, v[0:1], v[0:1], v[2:3]
	v_div_scale_f64 v[11:12], vcc_lo, v[2:3], v[0:1], v[2:3]
	v_rcp_f64_e32 v[7:8], v[5:6]
	s_waitcnt_depctr 0xfff
	v_fma_f64 v[9:10], -v[5:6], v[7:8], 1.0
	s_delay_alu instid0(VALU_DEP_1) | instskip(NEXT) | instid1(VALU_DEP_1)
	v_fma_f64 v[7:8], v[7:8], v[9:10], v[7:8]
	v_fma_f64 v[9:10], -v[5:6], v[7:8], 1.0
	s_delay_alu instid0(VALU_DEP_1) | instskip(NEXT) | instid1(VALU_DEP_1)
	v_fma_f64 v[7:8], v[7:8], v[9:10], v[7:8]
	v_mul_f64 v[9:10], v[11:12], v[7:8]
	s_delay_alu instid0(VALU_DEP_1) | instskip(NEXT) | instid1(VALU_DEP_1)
	v_fma_f64 v[5:6], -v[5:6], v[9:10], v[11:12]
	v_div_fmas_f64 v[5:6], v[5:6], v[7:8], v[9:10]
	s_delay_alu instid0(VALU_DEP_1) | instskip(NEXT) | instid1(VALU_DEP_1)
	v_div_fixup_f64 v[5:6], v[5:6], v[0:1], v[2:3]
	v_fma_f64 v[0:1], v[2:3], v[5:6], v[0:1]
	s_delay_alu instid0(VALU_DEP_1) | instskip(NEXT) | instid1(VALU_DEP_1)
	v_div_scale_f64 v[2:3], null, v[0:1], v[0:1], 1.0
	v_rcp_f64_e32 v[7:8], v[2:3]
	s_waitcnt_depctr 0xfff
	v_fma_f64 v[9:10], -v[2:3], v[7:8], 1.0
	s_delay_alu instid0(VALU_DEP_1) | instskip(NEXT) | instid1(VALU_DEP_1)
	v_fma_f64 v[7:8], v[7:8], v[9:10], v[7:8]
	v_fma_f64 v[9:10], -v[2:3], v[7:8], 1.0
	s_delay_alu instid0(VALU_DEP_1) | instskip(SKIP_1) | instid1(VALU_DEP_1)
	v_fma_f64 v[7:8], v[7:8], v[9:10], v[7:8]
	v_div_scale_f64 v[9:10], vcc_lo, 1.0, v[0:1], 1.0
	v_mul_f64 v[11:12], v[9:10], v[7:8]
	s_delay_alu instid0(VALU_DEP_1) | instskip(NEXT) | instid1(VALU_DEP_1)
	v_fma_f64 v[2:3], -v[2:3], v[11:12], v[9:10]
	v_div_fmas_f64 v[2:3], v[2:3], v[7:8], v[11:12]
	s_delay_alu instid0(VALU_DEP_1) | instskip(NEXT) | instid1(VALU_DEP_1)
	v_div_fixup_f64 v[0:1], v[2:3], v[0:1], 1.0
	v_mul_f64 v[2:3], v[5:6], -v[0:1]
.LBB124_61:
	s_or_b32 exec_lo, exec_lo, s2
.LBB124_62:
	s_delay_alu instid0(SALU_CYCLE_1) | instskip(NEXT) | instid1(SALU_CYCLE_1)
	s_or_b32 exec_lo, exec_lo, s3
	s_mov_b32 s2, exec_lo
	v_cmpx_ne_u32_e64 v40, v4
	s_xor_b32 s2, exec_lo, s2
	s_cbranch_execz .LBB124_68
; %bb.63:
	s_mov_b32 s3, exec_lo
	v_cmpx_eq_u32_e32 2, v40
	s_cbranch_execz .LBB124_67
; %bb.64:
	v_cmp_ne_u32_e32 vcc_lo, 2, v4
	s_xor_b32 s6, s4, -1
	s_delay_alu instid0(SALU_CYCLE_1) | instskip(NEXT) | instid1(SALU_CYCLE_1)
	s_and_b32 s7, s6, vcc_lo
	s_and_saveexec_b32 s6, s7
	s_cbranch_execz .LBB124_66
; %bb.65:
	v_ashrrev_i32_e32 v5, 31, v4
	s_delay_alu instid0(VALU_DEP_1) | instskip(NEXT) | instid1(VALU_DEP_1)
	v_lshlrev_b64 v[5:6], 2, v[4:5]
	v_add_co_u32 v5, vcc_lo, v145, v5
	s_delay_alu instid0(VALU_DEP_2)
	v_add_co_ci_u32_e32 v6, vcc_lo, v146, v6, vcc_lo
	s_clause 0x1
	flat_load_b32 v7, v[5:6]
	flat_load_b32 v8, v[145:146] offset:8
	s_waitcnt vmcnt(1) lgkmcnt(1)
	flat_store_b32 v[145:146], v7 offset:8
	s_waitcnt vmcnt(0) lgkmcnt(1)
	flat_store_b32 v[5:6], v8
.LBB124_66:
	s_or_b32 exec_lo, exec_lo, s6
	v_mov_b32_e32 v40, v4
	v_mov_b32_e32 v39, v4
.LBB124_67:
	s_or_b32 exec_lo, exec_lo, s3
.LBB124_68:
	s_and_not1_saveexec_b32 s2, s2
	s_cbranch_execz .LBB124_72
; %bb.69:
	v_add3_u32 v4, v38, 0, 48
	v_mov_b32_e32 v5, 0
	s_mov_b32 s3, 0
.LBB124_70:                             ; =>This Inner Loop Header: Depth=1
	s_delay_alu instid0(VALU_DEP_1) | instskip(NEXT) | instid1(VALU_DEP_3)
	v_readfirstlane_b32 s6, v5
	v_add_nc_u32_e32 v18, s3, v4
	s_delay_alu instid0(VALU_DEP_2)
	s_add_i32 s6, s6, s3
	s_addk_i32 s3, 0xf0
	s_add_i32 s7, s6, 48
	s_add_i32 s9, s6, 64
	;; [unrolled: 1-line block ×14, first 2 shown]
	s_addk_i32 s6, 0x110
	s_clause 0xe
	scratch_load_b128 v[6:9], off, s7
	scratch_load_b128 v[10:13], off, s9
	scratch_load_b128 v[14:17], off, s12
	scratch_load_b128 v[40:43], off, s14
	scratch_load_b128 v[44:47], off, s15
	scratch_load_b128 v[53:56], off, s16
	scratch_load_b128 v[57:60], off, s17
	scratch_load_b128 v[65:68], off, s18
	scratch_load_b128 v[73:76], off, s19
	scratch_load_b128 v[85:88], off, s20
	scratch_load_b128 v[130:133], off, s21
	scratch_load_b128 v[141:144], off, s22
	scratch_load_b128 v[176:179], off, s23
	scratch_load_b128 v[180:183], off, s24
	scratch_load_b128 v[184:187], off, s6
	s_cmpk_eq_i32 s3, 0x3c0
	s_waitcnt vmcnt(14)
	ds_store_2addr_b64 v18, v[6:7], v[8:9] offset1:1
	s_waitcnt vmcnt(13)
	ds_store_2addr_b64 v18, v[10:11], v[12:13] offset0:2 offset1:3
	s_waitcnt vmcnt(12)
	ds_store_2addr_b64 v18, v[14:15], v[16:17] offset0:4 offset1:5
	;; [unrolled: 2-line block ×14, first 2 shown]
	s_cbranch_scc0 .LBB124_70
; %bb.71:
	v_mov_b32_e32 v40, 2
.LBB124_72:
	s_or_b32 exec_lo, exec_lo, s2
	s_delay_alu instid0(SALU_CYCLE_1)
	s_mov_b32 s2, exec_lo
	s_waitcnt lgkmcnt(0)
	s_waitcnt_vscnt null, 0x0
	s_barrier
	buffer_gl0_inv
	v_cmpx_lt_i32_e32 2, v40
	s_cbranch_execz .LBB124_75
; %bb.73:
	scratch_load_b128 v[4:7], off, off offset:32
	s_mov_b32 s3, 0
	s_waitcnt vmcnt(0)
	v_mul_f64 v[8:9], v[2:3], v[6:7]
	v_mul_f64 v[6:7], v[0:1], v[6:7]
	s_delay_alu instid0(VALU_DEP_2) | instskip(NEXT) | instid1(VALU_DEP_2)
	v_fma_f64 v[0:1], v[0:1], v[4:5], -v[8:9]
	v_fma_f64 v[2:3], v[2:3], v[4:5], v[6:7]
	v_add3_u32 v4, v38, 0, 48
	v_mov_b32_e32 v5, 0
	scratch_store_b128 off, v[0:3], off offset:32
.LBB124_74:                             ; =>This Inner Loop Header: Depth=1
	v_readfirstlane_b32 s6, v5
	v_add_nc_u32_e32 v18, s3, v4
	s_delay_alu instid0(VALU_DEP_2)
	s_add_i32 s7, s6, s3
	s_addk_i32 s3, 0x60
	s_add_i32 s6, s7, 48
	s_add_i32 s9, s7, 64
	s_add_i32 s12, s7, 0x50
	s_add_i32 s14, s7, 0x60
	s_add_i32 s15, s7, 0x70
	s_addk_i32 s7, 0x80
	s_clause 0x5
	scratch_load_b128 v[6:9], off, s6
	scratch_load_b128 v[10:13], off, s9
	;; [unrolled: 1-line block ×6, first 2 shown]
	ds_load_2addr_b64 v[65:68], v18 offset1:1
	ds_load_2addr_b64 v[73:76], v18 offset0:2 offset1:3
	ds_load_2addr_b64 v[85:88], v18 offset0:4 offset1:5
	;; [unrolled: 1-line block ×5, first 2 shown]
	s_cmpk_lg_i32 s3, 0x3c0
	s_waitcnt lgkmcnt(5)
	v_mul_f64 v[18:19], v[67:68], v[2:3]
	v_mul_f64 v[45:46], v[65:66], v[2:3]
	s_waitcnt lgkmcnt(4)
	v_mul_f64 v[49:50], v[75:76], v[2:3]
	v_mul_f64 v[61:62], v[73:74], v[2:3]
	;; [unrolled: 3-line block ×6, first 2 shown]
	v_fma_f64 v[18:19], v[65:66], v[0:1], -v[18:19]
	v_fma_f64 v[45:46], v[67:68], v[0:1], v[45:46]
	v_fma_f64 v[49:50], v[73:74], v[0:1], -v[49:50]
	v_fma_f64 v[61:62], v[75:76], v[0:1], v[61:62]
	;; [unrolled: 2-line block ×6, first 2 shown]
	s_waitcnt vmcnt(5)
	v_add_f64 v[6:7], v[6:7], -v[18:19]
	v_add_f64 v[8:9], v[8:9], -v[45:46]
	s_waitcnt vmcnt(4)
	v_add_f64 v[10:11], v[10:11], -v[49:50]
	v_add_f64 v[12:13], v[12:13], -v[61:62]
	;; [unrolled: 3-line block ×6, first 2 shown]
	s_clause 0x5
	scratch_store_b128 off, v[6:9], s6
	scratch_store_b128 off, v[10:13], s9
	;; [unrolled: 1-line block ×6, first 2 shown]
	s_cbranch_scc1 .LBB124_74
.LBB124_75:
	s_or_b32 exec_lo, exec_lo, s2
	s_waitcnt_vscnt null, 0x0
	s_barrier
	buffer_gl0_inv
	scratch_load_b128 v[0:3], v29, off
	v_lshl_add_u32 v4, v40, 4, v20
	s_cmp_lt_i32 s5, 5
	s_mov_b32 s6, 4
	s_waitcnt vmcnt(0)
	ds_store_2addr_b64 v4, v[0:1], v[2:3] offset1:1
	s_waitcnt lgkmcnt(0)
	s_barrier
	buffer_gl0_inv
	ds_load_2addr_b64 v[0:3], v20 offset0:6 offset1:7
	v_mov_b32_e32 v4, 3
	s_cbranch_scc1 .LBB124_78
; %bb.76:
	v_add3_u32 v5, v38, 0, 64
	v_mov_b32_e32 v4, 3
	s_set_inst_prefetch_distance 0x1
	.p2align	6
.LBB124_77:                             ; =>This Inner Loop Header: Depth=1
	ds_load_2addr_b64 v[6:9], v5 offset1:1
	s_waitcnt lgkmcnt(1)
	v_cmp_gt_f64_e32 vcc_lo, 0, v[0:1]
	v_xor_b32_e32 v10, 0x80000000, v1
	v_cmp_gt_f64_e64 s2, 0, v[2:3]
	v_xor_b32_e32 v12, 0x80000000, v3
	v_add_nc_u32_e32 v5, 16, v5
	s_waitcnt lgkmcnt(0)
	v_cmp_gt_f64_e64 s3, 0, v[6:7]
	v_mov_b32_e32 v14, v6
	v_dual_mov_b32 v16, v8 :: v_dual_cndmask_b32 v11, v1, v10
	v_xor_b32_e32 v10, 0x80000000, v7
	v_cndmask_b32_e64 v13, v3, v12, s2
	v_xor_b32_e32 v12, 0x80000000, v9
	s_delay_alu instid0(VALU_DEP_3) | instskip(SKIP_2) | instid1(VALU_DEP_2)
	v_cndmask_b32_e64 v15, v7, v10, s3
	v_cmp_gt_f64_e64 s3, 0, v[8:9]
	v_cndmask_b32_e32 v10, v0, v0, vcc_lo
	v_cndmask_b32_e64 v17, v9, v12, s3
	v_cndmask_b32_e64 v12, v2, v2, s2
	s_delay_alu instid0(VALU_DEP_2) | instskip(NEXT) | instid1(VALU_DEP_2)
	v_add_f64 v[14:15], v[14:15], v[16:17]
	v_add_f64 v[10:11], v[10:11], v[12:13]
	s_delay_alu instid0(VALU_DEP_1)
	v_cmp_lt_f64_e32 vcc_lo, v[10:11], v[14:15]
	v_cndmask_b32_e32 v3, v3, v9, vcc_lo
	v_dual_cndmask_b32 v1, v1, v7 :: v_dual_cndmask_b32 v0, v0, v6
	v_cndmask_b32_e32 v2, v2, v8, vcc_lo
	v_cndmask_b32_e64 v4, v4, s6, vcc_lo
	s_add_i32 s6, s6, 1
	s_delay_alu instid0(SALU_CYCLE_1)
	s_cmp_lg_u32 s5, s6
	s_cbranch_scc1 .LBB124_77
.LBB124_78:
	s_set_inst_prefetch_distance 0x2
	s_waitcnt lgkmcnt(0)
	v_cmp_eq_f64_e32 vcc_lo, 0, v[0:1]
	v_cmp_eq_f64_e64 s2, 0, v[2:3]
	s_delay_alu instid0(VALU_DEP_1) | instskip(NEXT) | instid1(SALU_CYCLE_1)
	s_and_b32 s2, vcc_lo, s2
	s_and_saveexec_b32 s3, s2
	s_delay_alu instid0(SALU_CYCLE_1)
	s_xor_b32 s2, exec_lo, s3
; %bb.79:
	v_cmp_ne_u32_e32 vcc_lo, 0, v37
	v_cndmask_b32_e32 v37, 4, v37, vcc_lo
; %bb.80:
	s_and_not1_saveexec_b32 s3, s2
	s_cbranch_execz .LBB124_86
; %bb.81:
	v_cmp_gt_f64_e32 vcc_lo, 0, v[0:1]
	v_cmp_gt_f64_e64 s2, 0, v[2:3]
	v_xor_b32_e32 v5, 0x80000000, v1
	v_xor_b32_e32 v7, 0x80000000, v3
	s_delay_alu instid0(VALU_DEP_2) | instskip(NEXT) | instid1(VALU_DEP_2)
	v_dual_cndmask_b32 v6, v1, v5 :: v_dual_cndmask_b32 v5, v0, v0
	v_cndmask_b32_e64 v8, v3, v7, s2
	v_cndmask_b32_e64 v7, v2, v2, s2
	s_mov_b32 s2, exec_lo
	s_delay_alu instid0(VALU_DEP_1)
	v_cmpx_ngt_f64_e32 v[5:6], v[7:8]
	s_xor_b32 s2, exec_lo, s2
	s_cbranch_execz .LBB124_83
; %bb.82:
	v_div_scale_f64 v[5:6], null, v[2:3], v[2:3], v[0:1]
	v_div_scale_f64 v[11:12], vcc_lo, v[0:1], v[2:3], v[0:1]
	s_delay_alu instid0(VALU_DEP_2) | instskip(SKIP_2) | instid1(VALU_DEP_1)
	v_rcp_f64_e32 v[7:8], v[5:6]
	s_waitcnt_depctr 0xfff
	v_fma_f64 v[9:10], -v[5:6], v[7:8], 1.0
	v_fma_f64 v[7:8], v[7:8], v[9:10], v[7:8]
	s_delay_alu instid0(VALU_DEP_1) | instskip(NEXT) | instid1(VALU_DEP_1)
	v_fma_f64 v[9:10], -v[5:6], v[7:8], 1.0
	v_fma_f64 v[7:8], v[7:8], v[9:10], v[7:8]
	s_delay_alu instid0(VALU_DEP_1) | instskip(NEXT) | instid1(VALU_DEP_1)
	v_mul_f64 v[9:10], v[11:12], v[7:8]
	v_fma_f64 v[5:6], -v[5:6], v[9:10], v[11:12]
	s_delay_alu instid0(VALU_DEP_1) | instskip(NEXT) | instid1(VALU_DEP_1)
	v_div_fmas_f64 v[5:6], v[5:6], v[7:8], v[9:10]
	v_div_fixup_f64 v[5:6], v[5:6], v[2:3], v[0:1]
	s_delay_alu instid0(VALU_DEP_1) | instskip(NEXT) | instid1(VALU_DEP_1)
	v_fma_f64 v[0:1], v[0:1], v[5:6], v[2:3]
	v_div_scale_f64 v[2:3], null, v[0:1], v[0:1], 1.0
	s_delay_alu instid0(VALU_DEP_1) | instskip(SKIP_2) | instid1(VALU_DEP_1)
	v_rcp_f64_e32 v[7:8], v[2:3]
	s_waitcnt_depctr 0xfff
	v_fma_f64 v[9:10], -v[2:3], v[7:8], 1.0
	v_fma_f64 v[7:8], v[7:8], v[9:10], v[7:8]
	s_delay_alu instid0(VALU_DEP_1) | instskip(NEXT) | instid1(VALU_DEP_1)
	v_fma_f64 v[9:10], -v[2:3], v[7:8], 1.0
	v_fma_f64 v[7:8], v[7:8], v[9:10], v[7:8]
	v_div_scale_f64 v[9:10], vcc_lo, 1.0, v[0:1], 1.0
	s_delay_alu instid0(VALU_DEP_1) | instskip(NEXT) | instid1(VALU_DEP_1)
	v_mul_f64 v[11:12], v[9:10], v[7:8]
	v_fma_f64 v[2:3], -v[2:3], v[11:12], v[9:10]
	s_delay_alu instid0(VALU_DEP_1) | instskip(NEXT) | instid1(VALU_DEP_1)
	v_div_fmas_f64 v[2:3], v[2:3], v[7:8], v[11:12]
	v_div_fixup_f64 v[2:3], v[2:3], v[0:1], 1.0
	s_delay_alu instid0(VALU_DEP_1)
	v_mul_f64 v[0:1], v[5:6], v[2:3]
	v_xor_b32_e32 v3, 0x80000000, v3
.LBB124_83:
	s_and_not1_saveexec_b32 s2, s2
	s_cbranch_execz .LBB124_85
; %bb.84:
	s_delay_alu instid0(VALU_DEP_1) | instskip(SKIP_1) | instid1(VALU_DEP_2)
	v_div_scale_f64 v[5:6], null, v[0:1], v[0:1], v[2:3]
	v_div_scale_f64 v[11:12], vcc_lo, v[2:3], v[0:1], v[2:3]
	v_rcp_f64_e32 v[7:8], v[5:6]
	s_waitcnt_depctr 0xfff
	v_fma_f64 v[9:10], -v[5:6], v[7:8], 1.0
	s_delay_alu instid0(VALU_DEP_1) | instskip(NEXT) | instid1(VALU_DEP_1)
	v_fma_f64 v[7:8], v[7:8], v[9:10], v[7:8]
	v_fma_f64 v[9:10], -v[5:6], v[7:8], 1.0
	s_delay_alu instid0(VALU_DEP_1) | instskip(NEXT) | instid1(VALU_DEP_1)
	v_fma_f64 v[7:8], v[7:8], v[9:10], v[7:8]
	v_mul_f64 v[9:10], v[11:12], v[7:8]
	s_delay_alu instid0(VALU_DEP_1) | instskip(NEXT) | instid1(VALU_DEP_1)
	v_fma_f64 v[5:6], -v[5:6], v[9:10], v[11:12]
	v_div_fmas_f64 v[5:6], v[5:6], v[7:8], v[9:10]
	s_delay_alu instid0(VALU_DEP_1) | instskip(NEXT) | instid1(VALU_DEP_1)
	v_div_fixup_f64 v[5:6], v[5:6], v[0:1], v[2:3]
	v_fma_f64 v[0:1], v[2:3], v[5:6], v[0:1]
	s_delay_alu instid0(VALU_DEP_1) | instskip(NEXT) | instid1(VALU_DEP_1)
	v_div_scale_f64 v[2:3], null, v[0:1], v[0:1], 1.0
	v_rcp_f64_e32 v[7:8], v[2:3]
	s_waitcnt_depctr 0xfff
	v_fma_f64 v[9:10], -v[2:3], v[7:8], 1.0
	s_delay_alu instid0(VALU_DEP_1) | instskip(NEXT) | instid1(VALU_DEP_1)
	v_fma_f64 v[7:8], v[7:8], v[9:10], v[7:8]
	v_fma_f64 v[9:10], -v[2:3], v[7:8], 1.0
	s_delay_alu instid0(VALU_DEP_1) | instskip(SKIP_1) | instid1(VALU_DEP_1)
	v_fma_f64 v[7:8], v[7:8], v[9:10], v[7:8]
	v_div_scale_f64 v[9:10], vcc_lo, 1.0, v[0:1], 1.0
	v_mul_f64 v[11:12], v[9:10], v[7:8]
	s_delay_alu instid0(VALU_DEP_1) | instskip(NEXT) | instid1(VALU_DEP_1)
	v_fma_f64 v[2:3], -v[2:3], v[11:12], v[9:10]
	v_div_fmas_f64 v[2:3], v[2:3], v[7:8], v[11:12]
	s_delay_alu instid0(VALU_DEP_1) | instskip(NEXT) | instid1(VALU_DEP_1)
	v_div_fixup_f64 v[0:1], v[2:3], v[0:1], 1.0
	v_mul_f64 v[2:3], v[5:6], -v[0:1]
.LBB124_85:
	s_or_b32 exec_lo, exec_lo, s2
.LBB124_86:
	s_delay_alu instid0(SALU_CYCLE_1) | instskip(NEXT) | instid1(SALU_CYCLE_1)
	s_or_b32 exec_lo, exec_lo, s3
	s_mov_b32 s2, exec_lo
	v_cmpx_ne_u32_e64 v40, v4
	s_xor_b32 s2, exec_lo, s2
	s_cbranch_execz .LBB124_92
; %bb.87:
	s_mov_b32 s3, exec_lo
	v_cmpx_eq_u32_e32 3, v40
	s_cbranch_execz .LBB124_91
; %bb.88:
	v_cmp_ne_u32_e32 vcc_lo, 3, v4
	s_xor_b32 s6, s4, -1
	s_delay_alu instid0(SALU_CYCLE_1) | instskip(NEXT) | instid1(SALU_CYCLE_1)
	s_and_b32 s7, s6, vcc_lo
	s_and_saveexec_b32 s6, s7
	s_cbranch_execz .LBB124_90
; %bb.89:
	v_ashrrev_i32_e32 v5, 31, v4
	s_delay_alu instid0(VALU_DEP_1) | instskip(NEXT) | instid1(VALU_DEP_1)
	v_lshlrev_b64 v[5:6], 2, v[4:5]
	v_add_co_u32 v5, vcc_lo, v145, v5
	s_delay_alu instid0(VALU_DEP_2)
	v_add_co_ci_u32_e32 v6, vcc_lo, v146, v6, vcc_lo
	s_clause 0x1
	flat_load_b32 v7, v[5:6]
	flat_load_b32 v8, v[145:146] offset:12
	s_waitcnt vmcnt(1) lgkmcnt(1)
	flat_store_b32 v[145:146], v7 offset:12
	s_waitcnt vmcnt(0) lgkmcnt(1)
	flat_store_b32 v[5:6], v8
.LBB124_90:
	s_or_b32 exec_lo, exec_lo, s6
	v_mov_b32_e32 v40, v4
	v_mov_b32_e32 v39, v4
.LBB124_91:
	s_or_b32 exec_lo, exec_lo, s3
.LBB124_92:
	s_and_not1_saveexec_b32 s2, s2
	s_cbranch_execz .LBB124_98
; %bb.93:
	v_add3_u32 v4, v38, 0, 64
	v_mov_b32_e32 v5, 0
	s_mov_b32 s3, 0
	s_branch .LBB124_95
.LBB124_94:                             ;   in Loop: Header=BB124_95 Depth=1
	s_and_not1_b32 vcc_lo, exec_lo, s7
	s_cbranch_vccz .LBB124_97
.LBB124_95:                             ; =>This Inner Loop Header: Depth=1
	s_delay_alu instid0(VALU_DEP_1) | instskip(SKIP_1) | instid1(VALU_DEP_2)
	v_readfirstlane_b32 s6, v5
	v_add_nc_u32_e32 v6, s3, v4
	s_add_i32 s6, s6, s3
	s_delay_alu instid0(SALU_CYCLE_1)
	s_add_i32 s7, s6, 64
	s_add_i32 s9, s6, 0x50
	;; [unrolled: 1-line block ×3, first 2 shown]
	s_clause 0x2
	scratch_load_b128 v[7:10], off, s7
	scratch_load_b128 v[11:14], off, s9
	scratch_load_b128 v[15:18], off, s12
	s_mov_b32 s7, -1
	s_cmpk_eq_i32 s3, 0x380
	s_waitcnt vmcnt(2)
	ds_store_2addr_b64 v6, v[7:8], v[9:10] offset1:1
	s_waitcnt vmcnt(1)
	ds_store_2addr_b64 v6, v[11:12], v[13:14] offset0:2 offset1:3
	s_waitcnt vmcnt(0)
	ds_store_2addr_b64 v6, v[15:16], v[17:18] offset0:4 offset1:5
	s_cbranch_scc1 .LBB124_94
; %bb.96:                               ;   in Loop: Header=BB124_95 Depth=1
	s_add_i32 s7, s6, 0x70
	s_add_i32 s9, s6, 0x80
	s_clause 0x1
	scratch_load_b128 v[7:10], off, s7
	scratch_load_b128 v[11:14], off, s9
	s_add_i32 s7, s6, 0x90
	s_add_i32 s9, s6, 0xa0
	s_addk_i32 s6, 0xb0
	s_clause 0x2
	scratch_load_b128 v[15:18], off, s7
	scratch_load_b128 v[40:43], off, s9
	;; [unrolled: 1-line block ×3, first 2 shown]
	s_addk_i32 s3, 0x80
	s_mov_b32 s7, 0
	s_waitcnt vmcnt(4)
	ds_store_2addr_b64 v6, v[7:8], v[9:10] offset0:6 offset1:7
	s_waitcnt vmcnt(3)
	ds_store_2addr_b64 v6, v[11:12], v[13:14] offset0:8 offset1:9
	;; [unrolled: 2-line block ×5, first 2 shown]
	s_branch .LBB124_94
.LBB124_97:
	v_mov_b32_e32 v40, 3
.LBB124_98:
	s_or_b32 exec_lo, exec_lo, s2
	s_delay_alu instid0(SALU_CYCLE_1)
	s_mov_b32 s2, exec_lo
	s_waitcnt lgkmcnt(0)
	s_waitcnt_vscnt null, 0x0
	s_barrier
	buffer_gl0_inv
	v_cmpx_lt_i32_e32 3, v40
	s_cbranch_execz .LBB124_103
; %bb.99:
	scratch_load_b128 v[4:7], off, off offset:48
	s_mov_b32 s3, 0
	s_waitcnt vmcnt(0)
	v_mul_f64 v[8:9], v[2:3], v[6:7]
	v_mul_f64 v[6:7], v[0:1], v[6:7]
	s_delay_alu instid0(VALU_DEP_2) | instskip(NEXT) | instid1(VALU_DEP_2)
	v_fma_f64 v[0:1], v[0:1], v[4:5], -v[8:9]
	v_fma_f64 v[2:3], v[2:3], v[4:5], v[6:7]
	v_add3_u32 v4, v38, 0, 64
	v_mov_b32_e32 v5, 0
	scratch_store_b128 off, v[0:3], off offset:48
	s_branch .LBB124_101
.LBB124_100:                            ;   in Loop: Header=BB124_101 Depth=1
	s_and_not1_b32 vcc_lo, exec_lo, s7
	s_cbranch_vccz .LBB124_103
.LBB124_101:                            ; =>This Inner Loop Header: Depth=1
	v_readfirstlane_b32 s6, v5
	v_add_nc_u32_e32 v6, s3, v4
	s_mov_b32 s7, -1
	s_delay_alu instid0(VALU_DEP_2) | instskip(NEXT) | instid1(SALU_CYCLE_1)
	s_add_i32 s6, s6, s3
	s_add_i32 s9, s6, 64
	;; [unrolled: 1-line block ×3, first 2 shown]
	scratch_load_b128 v[7:10], off, s9
	s_add_i32 s14, s6, 0x60
	s_clause 0x1
	scratch_load_b128 v[11:14], off, s12
	scratch_load_b128 v[15:18], off, s14
	ds_load_2addr_b64 v[41:44], v6 offset1:1
	ds_load_2addr_b64 v[53:56], v6 offset0:2 offset1:3
	ds_load_2addr_b64 v[57:60], v6 offset0:4 offset1:5
	s_cmpk_eq_i32 s3, 0x380
	s_waitcnt lgkmcnt(2)
	v_mul_f64 v[45:46], v[43:44], v[2:3]
	v_mul_f64 v[49:50], v[41:42], v[2:3]
	s_waitcnt lgkmcnt(1)
	v_mul_f64 v[61:62], v[55:56], v[2:3]
	v_mul_f64 v[65:66], v[53:54], v[2:3]
	;; [unrolled: 3-line block ×3, first 2 shown]
	v_fma_f64 v[41:42], v[41:42], v[0:1], -v[45:46]
	v_fma_f64 v[43:44], v[43:44], v[0:1], v[49:50]
	v_fma_f64 v[45:46], v[53:54], v[0:1], -v[61:62]
	v_fma_f64 v[49:50], v[55:56], v[0:1], v[65:66]
	;; [unrolled: 2-line block ×3, first 2 shown]
	s_waitcnt vmcnt(2)
	v_add_f64 v[7:8], v[7:8], -v[41:42]
	v_add_f64 v[9:10], v[9:10], -v[43:44]
	s_waitcnt vmcnt(1)
	v_add_f64 v[11:12], v[11:12], -v[45:46]
	v_add_f64 v[13:14], v[13:14], -v[49:50]
	;; [unrolled: 3-line block ×3, first 2 shown]
	s_clause 0x2
	scratch_store_b128 off, v[7:10], s9
	scratch_store_b128 off, v[11:14], s12
	;; [unrolled: 1-line block ×3, first 2 shown]
	s_cbranch_scc1 .LBB124_100
; %bb.102:                              ;   in Loop: Header=BB124_101 Depth=1
	s_addk_i32 s6, 0x70
	ds_load_2addr_b64 v[11:14], v6 offset0:6 offset1:7
	scratch_load_b128 v[7:10], off, s6
	s_add_i32 s3, s3, 64
	s_mov_b32 s7, 0
	s_waitcnt lgkmcnt(0)
	v_mul_f64 v[15:16], v[13:14], v[2:3]
	v_mul_f64 v[17:18], v[11:12], v[2:3]
	s_delay_alu instid0(VALU_DEP_2) | instskip(NEXT) | instid1(VALU_DEP_2)
	v_fma_f64 v[11:12], v[11:12], v[0:1], -v[15:16]
	v_fma_f64 v[13:14], v[13:14], v[0:1], v[17:18]
	s_waitcnt vmcnt(0)
	s_delay_alu instid0(VALU_DEP_2) | instskip(NEXT) | instid1(VALU_DEP_2)
	v_add_f64 v[6:7], v[7:8], -v[11:12]
	v_add_f64 v[8:9], v[9:10], -v[13:14]
	scratch_store_b128 off, v[6:9], s6
	s_branch .LBB124_100
.LBB124_103:
	s_or_b32 exec_lo, exec_lo, s2
	s_waitcnt_vscnt null, 0x0
	s_barrier
	buffer_gl0_inv
	scratch_load_b128 v[0:3], v28, off
	v_lshl_add_u32 v4, v40, 4, v20
	s_cmp_lt_i32 s5, 6
	s_waitcnt vmcnt(0)
	ds_store_2addr_b64 v4, v[0:1], v[2:3] offset1:1
	s_waitcnt lgkmcnt(0)
	s_barrier
	buffer_gl0_inv
	ds_load_2addr_b64 v[0:3], v20 offset0:8 offset1:9
	v_mov_b32_e32 v4, 4
	s_cbranch_scc1 .LBB124_106
; %bb.104:
	v_add3_u32 v5, v38, 0, 0x50
	v_mov_b32_e32 v4, 4
	s_mov_b32 s6, 5
	s_set_inst_prefetch_distance 0x1
	.p2align	6
.LBB124_105:                            ; =>This Inner Loop Header: Depth=1
	ds_load_2addr_b64 v[6:9], v5 offset1:1
	s_waitcnt lgkmcnt(1)
	v_cmp_gt_f64_e32 vcc_lo, 0, v[0:1]
	v_xor_b32_e32 v10, 0x80000000, v1
	v_cmp_gt_f64_e64 s2, 0, v[2:3]
	v_xor_b32_e32 v12, 0x80000000, v3
	v_add_nc_u32_e32 v5, 16, v5
	s_waitcnt lgkmcnt(0)
	v_cmp_gt_f64_e64 s3, 0, v[6:7]
	v_mov_b32_e32 v14, v6
	v_dual_mov_b32 v16, v8 :: v_dual_cndmask_b32 v11, v1, v10
	v_xor_b32_e32 v10, 0x80000000, v7
	v_cndmask_b32_e64 v13, v3, v12, s2
	v_xor_b32_e32 v12, 0x80000000, v9
	s_delay_alu instid0(VALU_DEP_3) | instskip(SKIP_2) | instid1(VALU_DEP_2)
	v_cndmask_b32_e64 v15, v7, v10, s3
	v_cmp_gt_f64_e64 s3, 0, v[8:9]
	v_cndmask_b32_e32 v10, v0, v0, vcc_lo
	v_cndmask_b32_e64 v17, v9, v12, s3
	v_cndmask_b32_e64 v12, v2, v2, s2
	s_delay_alu instid0(VALU_DEP_2) | instskip(NEXT) | instid1(VALU_DEP_2)
	v_add_f64 v[14:15], v[14:15], v[16:17]
	v_add_f64 v[10:11], v[10:11], v[12:13]
	s_delay_alu instid0(VALU_DEP_1)
	v_cmp_lt_f64_e32 vcc_lo, v[10:11], v[14:15]
	v_cndmask_b32_e32 v3, v3, v9, vcc_lo
	v_dual_cndmask_b32 v1, v1, v7 :: v_dual_cndmask_b32 v0, v0, v6
	v_cndmask_b32_e32 v2, v2, v8, vcc_lo
	v_cndmask_b32_e64 v4, v4, s6, vcc_lo
	s_add_i32 s6, s6, 1
	s_delay_alu instid0(SALU_CYCLE_1)
	s_cmp_lg_u32 s5, s6
	s_cbranch_scc1 .LBB124_105
.LBB124_106:
	s_set_inst_prefetch_distance 0x2
	s_waitcnt lgkmcnt(0)
	v_cmp_eq_f64_e32 vcc_lo, 0, v[0:1]
	v_cmp_eq_f64_e64 s2, 0, v[2:3]
	s_delay_alu instid0(VALU_DEP_1) | instskip(NEXT) | instid1(SALU_CYCLE_1)
	s_and_b32 s2, vcc_lo, s2
	s_and_saveexec_b32 s3, s2
	s_delay_alu instid0(SALU_CYCLE_1)
	s_xor_b32 s2, exec_lo, s3
; %bb.107:
	v_cmp_ne_u32_e32 vcc_lo, 0, v37
	v_cndmask_b32_e32 v37, 5, v37, vcc_lo
; %bb.108:
	s_and_not1_saveexec_b32 s3, s2
	s_cbranch_execz .LBB124_114
; %bb.109:
	v_cmp_gt_f64_e32 vcc_lo, 0, v[0:1]
	v_cmp_gt_f64_e64 s2, 0, v[2:3]
	v_xor_b32_e32 v5, 0x80000000, v1
	v_xor_b32_e32 v7, 0x80000000, v3
	s_delay_alu instid0(VALU_DEP_2) | instskip(NEXT) | instid1(VALU_DEP_2)
	v_dual_cndmask_b32 v6, v1, v5 :: v_dual_cndmask_b32 v5, v0, v0
	v_cndmask_b32_e64 v8, v3, v7, s2
	v_cndmask_b32_e64 v7, v2, v2, s2
	s_mov_b32 s2, exec_lo
	s_delay_alu instid0(VALU_DEP_1)
	v_cmpx_ngt_f64_e32 v[5:6], v[7:8]
	s_xor_b32 s2, exec_lo, s2
	s_cbranch_execz .LBB124_111
; %bb.110:
	v_div_scale_f64 v[5:6], null, v[2:3], v[2:3], v[0:1]
	v_div_scale_f64 v[11:12], vcc_lo, v[0:1], v[2:3], v[0:1]
	s_delay_alu instid0(VALU_DEP_2) | instskip(SKIP_2) | instid1(VALU_DEP_1)
	v_rcp_f64_e32 v[7:8], v[5:6]
	s_waitcnt_depctr 0xfff
	v_fma_f64 v[9:10], -v[5:6], v[7:8], 1.0
	v_fma_f64 v[7:8], v[7:8], v[9:10], v[7:8]
	s_delay_alu instid0(VALU_DEP_1) | instskip(NEXT) | instid1(VALU_DEP_1)
	v_fma_f64 v[9:10], -v[5:6], v[7:8], 1.0
	v_fma_f64 v[7:8], v[7:8], v[9:10], v[7:8]
	s_delay_alu instid0(VALU_DEP_1) | instskip(NEXT) | instid1(VALU_DEP_1)
	v_mul_f64 v[9:10], v[11:12], v[7:8]
	v_fma_f64 v[5:6], -v[5:6], v[9:10], v[11:12]
	s_delay_alu instid0(VALU_DEP_1) | instskip(NEXT) | instid1(VALU_DEP_1)
	v_div_fmas_f64 v[5:6], v[5:6], v[7:8], v[9:10]
	v_div_fixup_f64 v[5:6], v[5:6], v[2:3], v[0:1]
	s_delay_alu instid0(VALU_DEP_1) | instskip(NEXT) | instid1(VALU_DEP_1)
	v_fma_f64 v[0:1], v[0:1], v[5:6], v[2:3]
	v_div_scale_f64 v[2:3], null, v[0:1], v[0:1], 1.0
	s_delay_alu instid0(VALU_DEP_1) | instskip(SKIP_2) | instid1(VALU_DEP_1)
	v_rcp_f64_e32 v[7:8], v[2:3]
	s_waitcnt_depctr 0xfff
	v_fma_f64 v[9:10], -v[2:3], v[7:8], 1.0
	v_fma_f64 v[7:8], v[7:8], v[9:10], v[7:8]
	s_delay_alu instid0(VALU_DEP_1) | instskip(NEXT) | instid1(VALU_DEP_1)
	v_fma_f64 v[9:10], -v[2:3], v[7:8], 1.0
	v_fma_f64 v[7:8], v[7:8], v[9:10], v[7:8]
	v_div_scale_f64 v[9:10], vcc_lo, 1.0, v[0:1], 1.0
	s_delay_alu instid0(VALU_DEP_1) | instskip(NEXT) | instid1(VALU_DEP_1)
	v_mul_f64 v[11:12], v[9:10], v[7:8]
	v_fma_f64 v[2:3], -v[2:3], v[11:12], v[9:10]
	s_delay_alu instid0(VALU_DEP_1) | instskip(NEXT) | instid1(VALU_DEP_1)
	v_div_fmas_f64 v[2:3], v[2:3], v[7:8], v[11:12]
	v_div_fixup_f64 v[2:3], v[2:3], v[0:1], 1.0
	s_delay_alu instid0(VALU_DEP_1)
	v_mul_f64 v[0:1], v[5:6], v[2:3]
	v_xor_b32_e32 v3, 0x80000000, v3
.LBB124_111:
	s_and_not1_saveexec_b32 s2, s2
	s_cbranch_execz .LBB124_113
; %bb.112:
	s_delay_alu instid0(VALU_DEP_1) | instskip(SKIP_1) | instid1(VALU_DEP_2)
	v_div_scale_f64 v[5:6], null, v[0:1], v[0:1], v[2:3]
	v_div_scale_f64 v[11:12], vcc_lo, v[2:3], v[0:1], v[2:3]
	v_rcp_f64_e32 v[7:8], v[5:6]
	s_waitcnt_depctr 0xfff
	v_fma_f64 v[9:10], -v[5:6], v[7:8], 1.0
	s_delay_alu instid0(VALU_DEP_1) | instskip(NEXT) | instid1(VALU_DEP_1)
	v_fma_f64 v[7:8], v[7:8], v[9:10], v[7:8]
	v_fma_f64 v[9:10], -v[5:6], v[7:8], 1.0
	s_delay_alu instid0(VALU_DEP_1) | instskip(NEXT) | instid1(VALU_DEP_1)
	v_fma_f64 v[7:8], v[7:8], v[9:10], v[7:8]
	v_mul_f64 v[9:10], v[11:12], v[7:8]
	s_delay_alu instid0(VALU_DEP_1) | instskip(NEXT) | instid1(VALU_DEP_1)
	v_fma_f64 v[5:6], -v[5:6], v[9:10], v[11:12]
	v_div_fmas_f64 v[5:6], v[5:6], v[7:8], v[9:10]
	s_delay_alu instid0(VALU_DEP_1) | instskip(NEXT) | instid1(VALU_DEP_1)
	v_div_fixup_f64 v[5:6], v[5:6], v[0:1], v[2:3]
	v_fma_f64 v[0:1], v[2:3], v[5:6], v[0:1]
	s_delay_alu instid0(VALU_DEP_1) | instskip(NEXT) | instid1(VALU_DEP_1)
	v_div_scale_f64 v[2:3], null, v[0:1], v[0:1], 1.0
	v_rcp_f64_e32 v[7:8], v[2:3]
	s_waitcnt_depctr 0xfff
	v_fma_f64 v[9:10], -v[2:3], v[7:8], 1.0
	s_delay_alu instid0(VALU_DEP_1) | instskip(NEXT) | instid1(VALU_DEP_1)
	v_fma_f64 v[7:8], v[7:8], v[9:10], v[7:8]
	v_fma_f64 v[9:10], -v[2:3], v[7:8], 1.0
	s_delay_alu instid0(VALU_DEP_1) | instskip(SKIP_1) | instid1(VALU_DEP_1)
	v_fma_f64 v[7:8], v[7:8], v[9:10], v[7:8]
	v_div_scale_f64 v[9:10], vcc_lo, 1.0, v[0:1], 1.0
	v_mul_f64 v[11:12], v[9:10], v[7:8]
	s_delay_alu instid0(VALU_DEP_1) | instskip(NEXT) | instid1(VALU_DEP_1)
	v_fma_f64 v[2:3], -v[2:3], v[11:12], v[9:10]
	v_div_fmas_f64 v[2:3], v[2:3], v[7:8], v[11:12]
	s_delay_alu instid0(VALU_DEP_1) | instskip(NEXT) | instid1(VALU_DEP_1)
	v_div_fixup_f64 v[0:1], v[2:3], v[0:1], 1.0
	v_mul_f64 v[2:3], v[5:6], -v[0:1]
.LBB124_113:
	s_or_b32 exec_lo, exec_lo, s2
.LBB124_114:
	s_delay_alu instid0(SALU_CYCLE_1) | instskip(NEXT) | instid1(SALU_CYCLE_1)
	s_or_b32 exec_lo, exec_lo, s3
	s_mov_b32 s2, exec_lo
	v_cmpx_ne_u32_e64 v40, v4
	s_xor_b32 s2, exec_lo, s2
	s_cbranch_execz .LBB124_120
; %bb.115:
	s_mov_b32 s3, exec_lo
	v_cmpx_eq_u32_e32 4, v40
	s_cbranch_execz .LBB124_119
; %bb.116:
	v_cmp_ne_u32_e32 vcc_lo, 4, v4
	s_xor_b32 s6, s4, -1
	s_delay_alu instid0(SALU_CYCLE_1) | instskip(NEXT) | instid1(SALU_CYCLE_1)
	s_and_b32 s7, s6, vcc_lo
	s_and_saveexec_b32 s6, s7
	s_cbranch_execz .LBB124_118
; %bb.117:
	v_ashrrev_i32_e32 v5, 31, v4
	s_delay_alu instid0(VALU_DEP_1) | instskip(NEXT) | instid1(VALU_DEP_1)
	v_lshlrev_b64 v[5:6], 2, v[4:5]
	v_add_co_u32 v5, vcc_lo, v145, v5
	s_delay_alu instid0(VALU_DEP_2)
	v_add_co_ci_u32_e32 v6, vcc_lo, v146, v6, vcc_lo
	s_clause 0x1
	flat_load_b32 v7, v[5:6]
	flat_load_b32 v8, v[145:146] offset:16
	s_waitcnt vmcnt(1) lgkmcnt(1)
	flat_store_b32 v[145:146], v7 offset:16
	s_waitcnt vmcnt(0) lgkmcnt(1)
	flat_store_b32 v[5:6], v8
.LBB124_118:
	s_or_b32 exec_lo, exec_lo, s6
	v_mov_b32_e32 v40, v4
	v_mov_b32_e32 v39, v4
.LBB124_119:
	s_or_b32 exec_lo, exec_lo, s3
.LBB124_120:
	s_and_not1_saveexec_b32 s2, s2
	s_cbranch_execz .LBB124_124
; %bb.121:
	v_add3_u32 v4, v38, 0, 0x50
	s_mov_b32 s3, 0
	.p2align	6
.LBB124_122:                            ; =>This Inner Loop Header: Depth=1
	s_delay_alu instid0(SALU_CYCLE_1) | instskip(NEXT) | instid1(VALU_DEP_2)
	v_add_nc_u32_e64 v5, s3, 0
	v_add_nc_u32_e32 v13, s3, v4
	s_add_i32 s3, s3, 32
	s_delay_alu instid0(SALU_CYCLE_1) | instskip(NEXT) | instid1(VALU_DEP_2)
	s_cmpk_eq_i32 s3, 0x3a0
	v_add_nc_u32_e32 v6, 0x50, v5
	v_add_nc_u32_e32 v9, 0x60, v5
	s_clause 0x1
	scratch_load_b128 v[5:8], v6, off
	scratch_load_b128 v[9:12], v9, off
	s_waitcnt vmcnt(1)
	ds_store_2addr_b64 v13, v[5:6], v[7:8] offset1:1
	s_waitcnt vmcnt(0)
	ds_store_2addr_b64 v13, v[9:10], v[11:12] offset0:2 offset1:3
	s_cbranch_scc0 .LBB124_122
; %bb.123:
	v_mov_b32_e32 v40, 4
.LBB124_124:
	s_or_b32 exec_lo, exec_lo, s2
	s_delay_alu instid0(SALU_CYCLE_1)
	s_mov_b32 s2, exec_lo
	s_waitcnt lgkmcnt(0)
	s_waitcnt_vscnt null, 0x0
	s_barrier
	buffer_gl0_inv
	v_cmpx_lt_i32_e32 4, v40
	s_cbranch_execz .LBB124_127
; %bb.125:
	scratch_load_b128 v[4:7], off, off offset:64
	s_mov_b32 s3, 0
	s_waitcnt vmcnt(0)
	v_mul_f64 v[8:9], v[2:3], v[6:7]
	v_mul_f64 v[6:7], v[0:1], v[6:7]
	s_delay_alu instid0(VALU_DEP_2) | instskip(NEXT) | instid1(VALU_DEP_2)
	v_fma_f64 v[0:1], v[0:1], v[4:5], -v[8:9]
	v_fma_f64 v[2:3], v[2:3], v[4:5], v[6:7]
	v_add3_u32 v4, v38, 0, 0x50
	scratch_store_b128 off, v[0:3], off offset:64
	s_set_inst_prefetch_distance 0x1
	.p2align	6
.LBB124_126:                            ; =>This Inner Loop Header: Depth=1
	v_add_nc_u32_e64 v5, s3, 0
	v_add_nc_u32_e32 v17, s3, v4
	s_add_i32 s3, s3, 32
	s_delay_alu instid0(SALU_CYCLE_1) | instskip(NEXT) | instid1(VALU_DEP_2)
	s_cmpk_lg_i32 s3, 0x3a0
	v_add_nc_u32_e32 v19, 0x50, v5
	v_add_nc_u32_e32 v47, 0x60, v5
	s_clause 0x1
	scratch_load_b128 v[5:8], v19, off
	scratch_load_b128 v[9:12], v47, off
	ds_load_2addr_b64 v[13:16], v17 offset1:1
	ds_load_2addr_b64 v[41:44], v17 offset0:2 offset1:3
	s_waitcnt lgkmcnt(1)
	v_mul_f64 v[17:18], v[15:16], v[2:3]
	v_mul_f64 v[45:46], v[13:14], v[2:3]
	s_waitcnt lgkmcnt(0)
	v_mul_f64 v[49:50], v[43:44], v[2:3]
	v_mul_f64 v[53:54], v[41:42], v[2:3]
	s_delay_alu instid0(VALU_DEP_4) | instskip(NEXT) | instid1(VALU_DEP_4)
	v_fma_f64 v[13:14], v[13:14], v[0:1], -v[17:18]
	v_fma_f64 v[15:16], v[15:16], v[0:1], v[45:46]
	s_delay_alu instid0(VALU_DEP_4) | instskip(NEXT) | instid1(VALU_DEP_4)
	v_fma_f64 v[17:18], v[41:42], v[0:1], -v[49:50]
	v_fma_f64 v[41:42], v[43:44], v[0:1], v[53:54]
	s_waitcnt vmcnt(1)
	s_delay_alu instid0(VALU_DEP_4) | instskip(NEXT) | instid1(VALU_DEP_4)
	v_add_f64 v[5:6], v[5:6], -v[13:14]
	v_add_f64 v[7:8], v[7:8], -v[15:16]
	s_waitcnt vmcnt(0)
	s_delay_alu instid0(VALU_DEP_4) | instskip(NEXT) | instid1(VALU_DEP_4)
	v_add_f64 v[9:10], v[9:10], -v[17:18]
	v_add_f64 v[11:12], v[11:12], -v[41:42]
	s_clause 0x1
	scratch_store_b128 v19, v[5:8], off
	scratch_store_b128 v47, v[9:12], off
	s_cbranch_scc1 .LBB124_126
.LBB124_127:
	s_set_inst_prefetch_distance 0x2
	s_or_b32 exec_lo, exec_lo, s2
	s_waitcnt_vscnt null, 0x0
	s_barrier
	buffer_gl0_inv
	scratch_load_b128 v[0:3], v27, off
	v_lshl_add_u32 v4, v40, 4, v20
	s_cmp_lt_i32 s5, 7
	s_waitcnt vmcnt(0)
	ds_store_2addr_b64 v4, v[0:1], v[2:3] offset1:1
	s_waitcnt lgkmcnt(0)
	s_barrier
	buffer_gl0_inv
	ds_load_2addr_b64 v[0:3], v20 offset0:10 offset1:11
	v_mov_b32_e32 v4, 5
	s_cbranch_scc1 .LBB124_130
; %bb.128:
	v_add3_u32 v5, v38, 0, 0x60
	v_mov_b32_e32 v4, 5
	s_mov_b32 s6, 6
	s_set_inst_prefetch_distance 0x1
	.p2align	6
.LBB124_129:                            ; =>This Inner Loop Header: Depth=1
	ds_load_2addr_b64 v[6:9], v5 offset1:1
	s_waitcnt lgkmcnt(1)
	v_cmp_gt_f64_e32 vcc_lo, 0, v[0:1]
	v_xor_b32_e32 v10, 0x80000000, v1
	v_cmp_gt_f64_e64 s2, 0, v[2:3]
	v_xor_b32_e32 v12, 0x80000000, v3
	v_add_nc_u32_e32 v5, 16, v5
	s_waitcnt lgkmcnt(0)
	v_cmp_gt_f64_e64 s3, 0, v[6:7]
	v_mov_b32_e32 v14, v6
	v_dual_mov_b32 v16, v8 :: v_dual_cndmask_b32 v11, v1, v10
	v_xor_b32_e32 v10, 0x80000000, v7
	v_cndmask_b32_e64 v13, v3, v12, s2
	v_xor_b32_e32 v12, 0x80000000, v9
	s_delay_alu instid0(VALU_DEP_3) | instskip(SKIP_2) | instid1(VALU_DEP_2)
	v_cndmask_b32_e64 v15, v7, v10, s3
	v_cmp_gt_f64_e64 s3, 0, v[8:9]
	v_cndmask_b32_e32 v10, v0, v0, vcc_lo
	v_cndmask_b32_e64 v17, v9, v12, s3
	v_cndmask_b32_e64 v12, v2, v2, s2
	s_delay_alu instid0(VALU_DEP_2) | instskip(NEXT) | instid1(VALU_DEP_2)
	v_add_f64 v[14:15], v[14:15], v[16:17]
	v_add_f64 v[10:11], v[10:11], v[12:13]
	s_delay_alu instid0(VALU_DEP_1)
	v_cmp_lt_f64_e32 vcc_lo, v[10:11], v[14:15]
	v_cndmask_b32_e32 v3, v3, v9, vcc_lo
	v_dual_cndmask_b32 v1, v1, v7 :: v_dual_cndmask_b32 v0, v0, v6
	v_cndmask_b32_e32 v2, v2, v8, vcc_lo
	v_cndmask_b32_e64 v4, v4, s6, vcc_lo
	s_add_i32 s6, s6, 1
	s_delay_alu instid0(SALU_CYCLE_1)
	s_cmp_lg_u32 s5, s6
	s_cbranch_scc1 .LBB124_129
.LBB124_130:
	s_set_inst_prefetch_distance 0x2
	s_waitcnt lgkmcnt(0)
	v_cmp_eq_f64_e32 vcc_lo, 0, v[0:1]
	v_cmp_eq_f64_e64 s2, 0, v[2:3]
	s_delay_alu instid0(VALU_DEP_1) | instskip(NEXT) | instid1(SALU_CYCLE_1)
	s_and_b32 s2, vcc_lo, s2
	s_and_saveexec_b32 s3, s2
	s_delay_alu instid0(SALU_CYCLE_1)
	s_xor_b32 s2, exec_lo, s3
; %bb.131:
	v_cmp_ne_u32_e32 vcc_lo, 0, v37
	v_cndmask_b32_e32 v37, 6, v37, vcc_lo
; %bb.132:
	s_and_not1_saveexec_b32 s3, s2
	s_cbranch_execz .LBB124_138
; %bb.133:
	v_cmp_gt_f64_e32 vcc_lo, 0, v[0:1]
	v_cmp_gt_f64_e64 s2, 0, v[2:3]
	v_xor_b32_e32 v5, 0x80000000, v1
	v_xor_b32_e32 v7, 0x80000000, v3
	s_delay_alu instid0(VALU_DEP_2) | instskip(NEXT) | instid1(VALU_DEP_2)
	v_dual_cndmask_b32 v6, v1, v5 :: v_dual_cndmask_b32 v5, v0, v0
	v_cndmask_b32_e64 v8, v3, v7, s2
	v_cndmask_b32_e64 v7, v2, v2, s2
	s_mov_b32 s2, exec_lo
	s_delay_alu instid0(VALU_DEP_1)
	v_cmpx_ngt_f64_e32 v[5:6], v[7:8]
	s_xor_b32 s2, exec_lo, s2
	s_cbranch_execz .LBB124_135
; %bb.134:
	v_div_scale_f64 v[5:6], null, v[2:3], v[2:3], v[0:1]
	v_div_scale_f64 v[11:12], vcc_lo, v[0:1], v[2:3], v[0:1]
	s_delay_alu instid0(VALU_DEP_2) | instskip(SKIP_2) | instid1(VALU_DEP_1)
	v_rcp_f64_e32 v[7:8], v[5:6]
	s_waitcnt_depctr 0xfff
	v_fma_f64 v[9:10], -v[5:6], v[7:8], 1.0
	v_fma_f64 v[7:8], v[7:8], v[9:10], v[7:8]
	s_delay_alu instid0(VALU_DEP_1) | instskip(NEXT) | instid1(VALU_DEP_1)
	v_fma_f64 v[9:10], -v[5:6], v[7:8], 1.0
	v_fma_f64 v[7:8], v[7:8], v[9:10], v[7:8]
	s_delay_alu instid0(VALU_DEP_1) | instskip(NEXT) | instid1(VALU_DEP_1)
	v_mul_f64 v[9:10], v[11:12], v[7:8]
	v_fma_f64 v[5:6], -v[5:6], v[9:10], v[11:12]
	s_delay_alu instid0(VALU_DEP_1) | instskip(NEXT) | instid1(VALU_DEP_1)
	v_div_fmas_f64 v[5:6], v[5:6], v[7:8], v[9:10]
	v_div_fixup_f64 v[5:6], v[5:6], v[2:3], v[0:1]
	s_delay_alu instid0(VALU_DEP_1) | instskip(NEXT) | instid1(VALU_DEP_1)
	v_fma_f64 v[0:1], v[0:1], v[5:6], v[2:3]
	v_div_scale_f64 v[2:3], null, v[0:1], v[0:1], 1.0
	s_delay_alu instid0(VALU_DEP_1) | instskip(SKIP_2) | instid1(VALU_DEP_1)
	v_rcp_f64_e32 v[7:8], v[2:3]
	s_waitcnt_depctr 0xfff
	v_fma_f64 v[9:10], -v[2:3], v[7:8], 1.0
	v_fma_f64 v[7:8], v[7:8], v[9:10], v[7:8]
	s_delay_alu instid0(VALU_DEP_1) | instskip(NEXT) | instid1(VALU_DEP_1)
	v_fma_f64 v[9:10], -v[2:3], v[7:8], 1.0
	v_fma_f64 v[7:8], v[7:8], v[9:10], v[7:8]
	v_div_scale_f64 v[9:10], vcc_lo, 1.0, v[0:1], 1.0
	s_delay_alu instid0(VALU_DEP_1) | instskip(NEXT) | instid1(VALU_DEP_1)
	v_mul_f64 v[11:12], v[9:10], v[7:8]
	v_fma_f64 v[2:3], -v[2:3], v[11:12], v[9:10]
	s_delay_alu instid0(VALU_DEP_1) | instskip(NEXT) | instid1(VALU_DEP_1)
	v_div_fmas_f64 v[2:3], v[2:3], v[7:8], v[11:12]
	v_div_fixup_f64 v[2:3], v[2:3], v[0:1], 1.0
	s_delay_alu instid0(VALU_DEP_1)
	v_mul_f64 v[0:1], v[5:6], v[2:3]
	v_xor_b32_e32 v3, 0x80000000, v3
.LBB124_135:
	s_and_not1_saveexec_b32 s2, s2
	s_cbranch_execz .LBB124_137
; %bb.136:
	s_delay_alu instid0(VALU_DEP_1) | instskip(SKIP_1) | instid1(VALU_DEP_2)
	v_div_scale_f64 v[5:6], null, v[0:1], v[0:1], v[2:3]
	v_div_scale_f64 v[11:12], vcc_lo, v[2:3], v[0:1], v[2:3]
	v_rcp_f64_e32 v[7:8], v[5:6]
	s_waitcnt_depctr 0xfff
	v_fma_f64 v[9:10], -v[5:6], v[7:8], 1.0
	s_delay_alu instid0(VALU_DEP_1) | instskip(NEXT) | instid1(VALU_DEP_1)
	v_fma_f64 v[7:8], v[7:8], v[9:10], v[7:8]
	v_fma_f64 v[9:10], -v[5:6], v[7:8], 1.0
	s_delay_alu instid0(VALU_DEP_1) | instskip(NEXT) | instid1(VALU_DEP_1)
	v_fma_f64 v[7:8], v[7:8], v[9:10], v[7:8]
	v_mul_f64 v[9:10], v[11:12], v[7:8]
	s_delay_alu instid0(VALU_DEP_1) | instskip(NEXT) | instid1(VALU_DEP_1)
	v_fma_f64 v[5:6], -v[5:6], v[9:10], v[11:12]
	v_div_fmas_f64 v[5:6], v[5:6], v[7:8], v[9:10]
	s_delay_alu instid0(VALU_DEP_1) | instskip(NEXT) | instid1(VALU_DEP_1)
	v_div_fixup_f64 v[5:6], v[5:6], v[0:1], v[2:3]
	v_fma_f64 v[0:1], v[2:3], v[5:6], v[0:1]
	s_delay_alu instid0(VALU_DEP_1) | instskip(NEXT) | instid1(VALU_DEP_1)
	v_div_scale_f64 v[2:3], null, v[0:1], v[0:1], 1.0
	v_rcp_f64_e32 v[7:8], v[2:3]
	s_waitcnt_depctr 0xfff
	v_fma_f64 v[9:10], -v[2:3], v[7:8], 1.0
	s_delay_alu instid0(VALU_DEP_1) | instskip(NEXT) | instid1(VALU_DEP_1)
	v_fma_f64 v[7:8], v[7:8], v[9:10], v[7:8]
	v_fma_f64 v[9:10], -v[2:3], v[7:8], 1.0
	s_delay_alu instid0(VALU_DEP_1) | instskip(SKIP_1) | instid1(VALU_DEP_1)
	v_fma_f64 v[7:8], v[7:8], v[9:10], v[7:8]
	v_div_scale_f64 v[9:10], vcc_lo, 1.0, v[0:1], 1.0
	v_mul_f64 v[11:12], v[9:10], v[7:8]
	s_delay_alu instid0(VALU_DEP_1) | instskip(NEXT) | instid1(VALU_DEP_1)
	v_fma_f64 v[2:3], -v[2:3], v[11:12], v[9:10]
	v_div_fmas_f64 v[2:3], v[2:3], v[7:8], v[11:12]
	s_delay_alu instid0(VALU_DEP_1) | instskip(NEXT) | instid1(VALU_DEP_1)
	v_div_fixup_f64 v[0:1], v[2:3], v[0:1], 1.0
	v_mul_f64 v[2:3], v[5:6], -v[0:1]
.LBB124_137:
	s_or_b32 exec_lo, exec_lo, s2
.LBB124_138:
	s_delay_alu instid0(SALU_CYCLE_1) | instskip(NEXT) | instid1(SALU_CYCLE_1)
	s_or_b32 exec_lo, exec_lo, s3
	s_mov_b32 s2, exec_lo
	v_cmpx_ne_u32_e64 v40, v4
	s_xor_b32 s2, exec_lo, s2
	s_cbranch_execz .LBB124_144
; %bb.139:
	s_mov_b32 s3, exec_lo
	v_cmpx_eq_u32_e32 5, v40
	s_cbranch_execz .LBB124_143
; %bb.140:
	v_cmp_ne_u32_e32 vcc_lo, 5, v4
	s_xor_b32 s6, s4, -1
	s_delay_alu instid0(SALU_CYCLE_1) | instskip(NEXT) | instid1(SALU_CYCLE_1)
	s_and_b32 s7, s6, vcc_lo
	s_and_saveexec_b32 s6, s7
	s_cbranch_execz .LBB124_142
; %bb.141:
	v_ashrrev_i32_e32 v5, 31, v4
	s_delay_alu instid0(VALU_DEP_1) | instskip(NEXT) | instid1(VALU_DEP_1)
	v_lshlrev_b64 v[5:6], 2, v[4:5]
	v_add_co_u32 v5, vcc_lo, v145, v5
	s_delay_alu instid0(VALU_DEP_2)
	v_add_co_ci_u32_e32 v6, vcc_lo, v146, v6, vcc_lo
	s_clause 0x1
	flat_load_b32 v7, v[5:6]
	flat_load_b32 v8, v[145:146] offset:20
	s_waitcnt vmcnt(1) lgkmcnt(1)
	flat_store_b32 v[145:146], v7 offset:20
	s_waitcnt vmcnt(0) lgkmcnt(1)
	flat_store_b32 v[5:6], v8
.LBB124_142:
	s_or_b32 exec_lo, exec_lo, s6
	v_mov_b32_e32 v40, v4
	v_mov_b32_e32 v39, v4
.LBB124_143:
	s_or_b32 exec_lo, exec_lo, s3
.LBB124_144:
	s_and_not1_saveexec_b32 s2, s2
	s_cbranch_execz .LBB124_148
; %bb.145:
	v_add3_u32 v4, v38, 0, 0x60
	v_mov_b32_e32 v5, 0
	s_mov_b32 s3, 0
	.p2align	6
.LBB124_146:                            ; =>This Inner Loop Header: Depth=1
	s_delay_alu instid0(VALU_DEP_1) | instskip(NEXT) | instid1(VALU_DEP_3)
	v_readfirstlane_b32 s6, v5
	v_add_nc_u32_e32 v18, s3, v4
	s_delay_alu instid0(VALU_DEP_2)
	s_add_i32 s6, s6, s3
	s_add_i32 s3, s3, 48
	;; [unrolled: 1-line block ×4, first 2 shown]
	s_addk_i32 s6, 0x80
	s_clause 0x2
	scratch_load_b128 v[6:9], off, s7
	scratch_load_b128 v[10:13], off, s9
	;; [unrolled: 1-line block ×3, first 2 shown]
	s_cmpk_eq_i32 s3, 0x390
	s_waitcnt vmcnt(2)
	ds_store_2addr_b64 v18, v[6:7], v[8:9] offset1:1
	s_waitcnt vmcnt(1)
	ds_store_2addr_b64 v18, v[10:11], v[12:13] offset0:2 offset1:3
	s_waitcnt vmcnt(0)
	ds_store_2addr_b64 v18, v[14:15], v[16:17] offset0:4 offset1:5
	s_cbranch_scc0 .LBB124_146
; %bb.147:
	v_mov_b32_e32 v40, 5
.LBB124_148:
	s_or_b32 exec_lo, exec_lo, s2
	s_delay_alu instid0(SALU_CYCLE_1)
	s_mov_b32 s2, exec_lo
	s_waitcnt lgkmcnt(0)
	s_waitcnt_vscnt null, 0x0
	s_barrier
	buffer_gl0_inv
	v_cmpx_lt_i32_e32 5, v40
	s_cbranch_execz .LBB124_151
; %bb.149:
	scratch_load_b128 v[4:7], off, off offset:80
	s_mov_b32 s3, 0
	s_waitcnt vmcnt(0)
	v_mul_f64 v[8:9], v[2:3], v[6:7]
	v_mul_f64 v[6:7], v[0:1], v[6:7]
	s_delay_alu instid0(VALU_DEP_2) | instskip(NEXT) | instid1(VALU_DEP_2)
	v_fma_f64 v[0:1], v[0:1], v[4:5], -v[8:9]
	v_fma_f64 v[2:3], v[2:3], v[4:5], v[6:7]
	v_add3_u32 v4, v38, 0, 0x60
	v_mov_b32_e32 v5, 0
	scratch_store_b128 off, v[0:3], off offset:80
.LBB124_150:                            ; =>This Inner Loop Header: Depth=1
	v_readfirstlane_b32 s6, v5
	v_add_nc_u32_e32 v18, s3, v4
	s_delay_alu instid0(VALU_DEP_2)
	s_add_i32 s6, s6, s3
	s_add_i32 s3, s3, 48
	;; [unrolled: 1-line block ×4, first 2 shown]
	s_addk_i32 s6, 0x80
	s_clause 0x2
	scratch_load_b128 v[6:9], off, s7
	scratch_load_b128 v[10:13], off, s9
	scratch_load_b128 v[14:17], off, s6
	ds_load_2addr_b64 v[41:44], v18 offset1:1
	ds_load_2addr_b64 v[53:56], v18 offset0:2 offset1:3
	ds_load_2addr_b64 v[57:60], v18 offset0:4 offset1:5
	s_cmpk_lg_i32 s3, 0x390
	s_waitcnt lgkmcnt(2)
	v_mul_f64 v[18:19], v[43:44], v[2:3]
	v_mul_f64 v[45:46], v[41:42], v[2:3]
	s_waitcnt lgkmcnt(1)
	v_mul_f64 v[49:50], v[55:56], v[2:3]
	v_mul_f64 v[61:62], v[53:54], v[2:3]
	;; [unrolled: 3-line block ×3, first 2 shown]
	v_fma_f64 v[18:19], v[41:42], v[0:1], -v[18:19]
	v_fma_f64 v[41:42], v[43:44], v[0:1], v[45:46]
	v_fma_f64 v[43:44], v[53:54], v[0:1], -v[49:50]
	v_fma_f64 v[45:46], v[55:56], v[0:1], v[61:62]
	;; [unrolled: 2-line block ×3, first 2 shown]
	s_waitcnt vmcnt(2)
	v_add_f64 v[6:7], v[6:7], -v[18:19]
	v_add_f64 v[8:9], v[8:9], -v[41:42]
	s_waitcnt vmcnt(1)
	v_add_f64 v[10:11], v[10:11], -v[43:44]
	v_add_f64 v[12:13], v[12:13], -v[45:46]
	;; [unrolled: 3-line block ×3, first 2 shown]
	s_clause 0x2
	scratch_store_b128 off, v[6:9], s7
	scratch_store_b128 off, v[10:13], s9
	scratch_store_b128 off, v[14:17], s6
	s_cbranch_scc1 .LBB124_150
.LBB124_151:
	s_or_b32 exec_lo, exec_lo, s2
	s_waitcnt_vscnt null, 0x0
	s_barrier
	buffer_gl0_inv
	scratch_load_b128 v[0:3], v26, off
	v_lshl_add_u32 v4, v40, 4, v20
	s_cmp_lt_i32 s5, 8
	s_waitcnt vmcnt(0)
	ds_store_2addr_b64 v4, v[0:1], v[2:3] offset1:1
	s_waitcnt lgkmcnt(0)
	s_barrier
	buffer_gl0_inv
	ds_load_2addr_b64 v[0:3], v20 offset0:12 offset1:13
	v_mov_b32_e32 v4, 6
	s_cbranch_scc1 .LBB124_154
; %bb.152:
	v_add3_u32 v5, v38, 0, 0x70
	v_mov_b32_e32 v4, 6
	s_mov_b32 s6, 7
	s_set_inst_prefetch_distance 0x1
	.p2align	6
.LBB124_153:                            ; =>This Inner Loop Header: Depth=1
	ds_load_2addr_b64 v[6:9], v5 offset1:1
	s_waitcnt lgkmcnt(1)
	v_cmp_gt_f64_e32 vcc_lo, 0, v[0:1]
	v_xor_b32_e32 v10, 0x80000000, v1
	v_cmp_gt_f64_e64 s2, 0, v[2:3]
	v_xor_b32_e32 v12, 0x80000000, v3
	v_add_nc_u32_e32 v5, 16, v5
	s_waitcnt lgkmcnt(0)
	v_cmp_gt_f64_e64 s3, 0, v[6:7]
	v_mov_b32_e32 v14, v6
	v_dual_mov_b32 v16, v8 :: v_dual_cndmask_b32 v11, v1, v10
	v_xor_b32_e32 v10, 0x80000000, v7
	v_cndmask_b32_e64 v13, v3, v12, s2
	v_xor_b32_e32 v12, 0x80000000, v9
	s_delay_alu instid0(VALU_DEP_3) | instskip(SKIP_2) | instid1(VALU_DEP_2)
	v_cndmask_b32_e64 v15, v7, v10, s3
	v_cmp_gt_f64_e64 s3, 0, v[8:9]
	v_cndmask_b32_e32 v10, v0, v0, vcc_lo
	v_cndmask_b32_e64 v17, v9, v12, s3
	v_cndmask_b32_e64 v12, v2, v2, s2
	s_delay_alu instid0(VALU_DEP_2) | instskip(NEXT) | instid1(VALU_DEP_2)
	v_add_f64 v[14:15], v[14:15], v[16:17]
	v_add_f64 v[10:11], v[10:11], v[12:13]
	s_delay_alu instid0(VALU_DEP_1)
	v_cmp_lt_f64_e32 vcc_lo, v[10:11], v[14:15]
	v_cndmask_b32_e32 v3, v3, v9, vcc_lo
	v_dual_cndmask_b32 v1, v1, v7 :: v_dual_cndmask_b32 v0, v0, v6
	v_cndmask_b32_e32 v2, v2, v8, vcc_lo
	v_cndmask_b32_e64 v4, v4, s6, vcc_lo
	s_add_i32 s6, s6, 1
	s_delay_alu instid0(SALU_CYCLE_1)
	s_cmp_lg_u32 s5, s6
	s_cbranch_scc1 .LBB124_153
.LBB124_154:
	s_set_inst_prefetch_distance 0x2
	s_waitcnt lgkmcnt(0)
	v_cmp_eq_f64_e32 vcc_lo, 0, v[0:1]
	v_cmp_eq_f64_e64 s2, 0, v[2:3]
	s_delay_alu instid0(VALU_DEP_1) | instskip(NEXT) | instid1(SALU_CYCLE_1)
	s_and_b32 s2, vcc_lo, s2
	s_and_saveexec_b32 s3, s2
	s_delay_alu instid0(SALU_CYCLE_1)
	s_xor_b32 s2, exec_lo, s3
; %bb.155:
	v_cmp_ne_u32_e32 vcc_lo, 0, v37
	v_cndmask_b32_e32 v37, 7, v37, vcc_lo
; %bb.156:
	s_and_not1_saveexec_b32 s3, s2
	s_cbranch_execz .LBB124_162
; %bb.157:
	v_cmp_gt_f64_e32 vcc_lo, 0, v[0:1]
	v_cmp_gt_f64_e64 s2, 0, v[2:3]
	v_xor_b32_e32 v5, 0x80000000, v1
	v_xor_b32_e32 v7, 0x80000000, v3
	s_delay_alu instid0(VALU_DEP_2) | instskip(NEXT) | instid1(VALU_DEP_2)
	v_dual_cndmask_b32 v6, v1, v5 :: v_dual_cndmask_b32 v5, v0, v0
	v_cndmask_b32_e64 v8, v3, v7, s2
	v_cndmask_b32_e64 v7, v2, v2, s2
	s_mov_b32 s2, exec_lo
	s_delay_alu instid0(VALU_DEP_1)
	v_cmpx_ngt_f64_e32 v[5:6], v[7:8]
	s_xor_b32 s2, exec_lo, s2
	s_cbranch_execz .LBB124_159
; %bb.158:
	v_div_scale_f64 v[5:6], null, v[2:3], v[2:3], v[0:1]
	v_div_scale_f64 v[11:12], vcc_lo, v[0:1], v[2:3], v[0:1]
	s_delay_alu instid0(VALU_DEP_2) | instskip(SKIP_2) | instid1(VALU_DEP_1)
	v_rcp_f64_e32 v[7:8], v[5:6]
	s_waitcnt_depctr 0xfff
	v_fma_f64 v[9:10], -v[5:6], v[7:8], 1.0
	v_fma_f64 v[7:8], v[7:8], v[9:10], v[7:8]
	s_delay_alu instid0(VALU_DEP_1) | instskip(NEXT) | instid1(VALU_DEP_1)
	v_fma_f64 v[9:10], -v[5:6], v[7:8], 1.0
	v_fma_f64 v[7:8], v[7:8], v[9:10], v[7:8]
	s_delay_alu instid0(VALU_DEP_1) | instskip(NEXT) | instid1(VALU_DEP_1)
	v_mul_f64 v[9:10], v[11:12], v[7:8]
	v_fma_f64 v[5:6], -v[5:6], v[9:10], v[11:12]
	s_delay_alu instid0(VALU_DEP_1) | instskip(NEXT) | instid1(VALU_DEP_1)
	v_div_fmas_f64 v[5:6], v[5:6], v[7:8], v[9:10]
	v_div_fixup_f64 v[5:6], v[5:6], v[2:3], v[0:1]
	s_delay_alu instid0(VALU_DEP_1) | instskip(NEXT) | instid1(VALU_DEP_1)
	v_fma_f64 v[0:1], v[0:1], v[5:6], v[2:3]
	v_div_scale_f64 v[2:3], null, v[0:1], v[0:1], 1.0
	s_delay_alu instid0(VALU_DEP_1) | instskip(SKIP_2) | instid1(VALU_DEP_1)
	v_rcp_f64_e32 v[7:8], v[2:3]
	s_waitcnt_depctr 0xfff
	v_fma_f64 v[9:10], -v[2:3], v[7:8], 1.0
	v_fma_f64 v[7:8], v[7:8], v[9:10], v[7:8]
	s_delay_alu instid0(VALU_DEP_1) | instskip(NEXT) | instid1(VALU_DEP_1)
	v_fma_f64 v[9:10], -v[2:3], v[7:8], 1.0
	v_fma_f64 v[7:8], v[7:8], v[9:10], v[7:8]
	v_div_scale_f64 v[9:10], vcc_lo, 1.0, v[0:1], 1.0
	s_delay_alu instid0(VALU_DEP_1) | instskip(NEXT) | instid1(VALU_DEP_1)
	v_mul_f64 v[11:12], v[9:10], v[7:8]
	v_fma_f64 v[2:3], -v[2:3], v[11:12], v[9:10]
	s_delay_alu instid0(VALU_DEP_1) | instskip(NEXT) | instid1(VALU_DEP_1)
	v_div_fmas_f64 v[2:3], v[2:3], v[7:8], v[11:12]
	v_div_fixup_f64 v[2:3], v[2:3], v[0:1], 1.0
	s_delay_alu instid0(VALU_DEP_1)
	v_mul_f64 v[0:1], v[5:6], v[2:3]
	v_xor_b32_e32 v3, 0x80000000, v3
.LBB124_159:
	s_and_not1_saveexec_b32 s2, s2
	s_cbranch_execz .LBB124_161
; %bb.160:
	s_delay_alu instid0(VALU_DEP_1) | instskip(SKIP_1) | instid1(VALU_DEP_2)
	v_div_scale_f64 v[5:6], null, v[0:1], v[0:1], v[2:3]
	v_div_scale_f64 v[11:12], vcc_lo, v[2:3], v[0:1], v[2:3]
	v_rcp_f64_e32 v[7:8], v[5:6]
	s_waitcnt_depctr 0xfff
	v_fma_f64 v[9:10], -v[5:6], v[7:8], 1.0
	s_delay_alu instid0(VALU_DEP_1) | instskip(NEXT) | instid1(VALU_DEP_1)
	v_fma_f64 v[7:8], v[7:8], v[9:10], v[7:8]
	v_fma_f64 v[9:10], -v[5:6], v[7:8], 1.0
	s_delay_alu instid0(VALU_DEP_1) | instskip(NEXT) | instid1(VALU_DEP_1)
	v_fma_f64 v[7:8], v[7:8], v[9:10], v[7:8]
	v_mul_f64 v[9:10], v[11:12], v[7:8]
	s_delay_alu instid0(VALU_DEP_1) | instskip(NEXT) | instid1(VALU_DEP_1)
	v_fma_f64 v[5:6], -v[5:6], v[9:10], v[11:12]
	v_div_fmas_f64 v[5:6], v[5:6], v[7:8], v[9:10]
	s_delay_alu instid0(VALU_DEP_1) | instskip(NEXT) | instid1(VALU_DEP_1)
	v_div_fixup_f64 v[5:6], v[5:6], v[0:1], v[2:3]
	v_fma_f64 v[0:1], v[2:3], v[5:6], v[0:1]
	s_delay_alu instid0(VALU_DEP_1) | instskip(NEXT) | instid1(VALU_DEP_1)
	v_div_scale_f64 v[2:3], null, v[0:1], v[0:1], 1.0
	v_rcp_f64_e32 v[7:8], v[2:3]
	s_waitcnt_depctr 0xfff
	v_fma_f64 v[9:10], -v[2:3], v[7:8], 1.0
	s_delay_alu instid0(VALU_DEP_1) | instskip(NEXT) | instid1(VALU_DEP_1)
	v_fma_f64 v[7:8], v[7:8], v[9:10], v[7:8]
	v_fma_f64 v[9:10], -v[2:3], v[7:8], 1.0
	s_delay_alu instid0(VALU_DEP_1) | instskip(SKIP_1) | instid1(VALU_DEP_1)
	v_fma_f64 v[7:8], v[7:8], v[9:10], v[7:8]
	v_div_scale_f64 v[9:10], vcc_lo, 1.0, v[0:1], 1.0
	v_mul_f64 v[11:12], v[9:10], v[7:8]
	s_delay_alu instid0(VALU_DEP_1) | instskip(NEXT) | instid1(VALU_DEP_1)
	v_fma_f64 v[2:3], -v[2:3], v[11:12], v[9:10]
	v_div_fmas_f64 v[2:3], v[2:3], v[7:8], v[11:12]
	s_delay_alu instid0(VALU_DEP_1) | instskip(NEXT) | instid1(VALU_DEP_1)
	v_div_fixup_f64 v[0:1], v[2:3], v[0:1], 1.0
	v_mul_f64 v[2:3], v[5:6], -v[0:1]
.LBB124_161:
	s_or_b32 exec_lo, exec_lo, s2
.LBB124_162:
	s_delay_alu instid0(SALU_CYCLE_1) | instskip(NEXT) | instid1(SALU_CYCLE_1)
	s_or_b32 exec_lo, exec_lo, s3
	s_mov_b32 s2, exec_lo
	v_cmpx_ne_u32_e64 v40, v4
	s_xor_b32 s2, exec_lo, s2
	s_cbranch_execz .LBB124_168
; %bb.163:
	s_mov_b32 s3, exec_lo
	v_cmpx_eq_u32_e32 6, v40
	s_cbranch_execz .LBB124_167
; %bb.164:
	v_cmp_ne_u32_e32 vcc_lo, 6, v4
	s_xor_b32 s6, s4, -1
	s_delay_alu instid0(SALU_CYCLE_1) | instskip(NEXT) | instid1(SALU_CYCLE_1)
	s_and_b32 s7, s6, vcc_lo
	s_and_saveexec_b32 s6, s7
	s_cbranch_execz .LBB124_166
; %bb.165:
	v_ashrrev_i32_e32 v5, 31, v4
	s_delay_alu instid0(VALU_DEP_1) | instskip(NEXT) | instid1(VALU_DEP_1)
	v_lshlrev_b64 v[5:6], 2, v[4:5]
	v_add_co_u32 v5, vcc_lo, v145, v5
	s_delay_alu instid0(VALU_DEP_2)
	v_add_co_ci_u32_e32 v6, vcc_lo, v146, v6, vcc_lo
	s_clause 0x1
	flat_load_b32 v7, v[5:6]
	flat_load_b32 v8, v[145:146] offset:24
	s_waitcnt vmcnt(1) lgkmcnt(1)
	flat_store_b32 v[145:146], v7 offset:24
	s_waitcnt vmcnt(0) lgkmcnt(1)
	flat_store_b32 v[5:6], v8
.LBB124_166:
	s_or_b32 exec_lo, exec_lo, s6
	v_mov_b32_e32 v40, v4
	v_mov_b32_e32 v39, v4
.LBB124_167:
	s_or_b32 exec_lo, exec_lo, s3
.LBB124_168:
	s_and_not1_saveexec_b32 s2, s2
	s_cbranch_execz .LBB124_172
; %bb.169:
	v_add3_u32 v4, v38, 0, 0x70
	v_mov_b32_e32 v5, 0
	s_mov_b32 s3, 0
.LBB124_170:                            ; =>This Inner Loop Header: Depth=1
	s_delay_alu instid0(VALU_DEP_1) | instskip(NEXT) | instid1(VALU_DEP_3)
	v_readfirstlane_b32 s6, v5
	v_add_nc_u32_e32 v18, s3, v4
	s_delay_alu instid0(VALU_DEP_2)
	s_add_i32 s6, s6, s3
	s_addk_i32 s3, 0xe0
	s_add_i32 s7, s6, 0x70
	s_add_i32 s9, s6, 0x80
	s_add_i32 s12, s6, 0x90
	s_add_i32 s14, s6, 0xa0
	s_add_i32 s15, s6, 0xb0
	s_add_i32 s16, s6, 0xc0
	s_add_i32 s17, s6, 0xd0
	s_add_i32 s18, s6, 0xe0
	s_add_i32 s19, s6, 0xf0
	s_add_i32 s20, s6, 0x100
	s_add_i32 s21, s6, 0x110
	s_add_i32 s22, s6, 0x120
	s_add_i32 s23, s6, 0x130
	s_addk_i32 s6, 0x140
	s_clause 0xd
	scratch_load_b128 v[6:9], off, s7
	scratch_load_b128 v[10:13], off, s9
	;; [unrolled: 1-line block ×14, first 2 shown]
	s_cmpk_eq_i32 s3, 0x380
	s_waitcnt vmcnt(13)
	ds_store_2addr_b64 v18, v[6:7], v[8:9] offset1:1
	s_waitcnt vmcnt(12)
	ds_store_2addr_b64 v18, v[10:11], v[12:13] offset0:2 offset1:3
	s_waitcnt vmcnt(11)
	ds_store_2addr_b64 v18, v[14:15], v[16:17] offset0:4 offset1:5
	;; [unrolled: 2-line block ×13, first 2 shown]
	s_cbranch_scc0 .LBB124_170
; %bb.171:
	v_mov_b32_e32 v40, 6
.LBB124_172:
	s_or_b32 exec_lo, exec_lo, s2
	s_delay_alu instid0(SALU_CYCLE_1)
	s_mov_b32 s2, exec_lo
	s_waitcnt lgkmcnt(0)
	s_waitcnt_vscnt null, 0x0
	s_barrier
	buffer_gl0_inv
	v_cmpx_lt_i32_e32 6, v40
	s_cbranch_execz .LBB124_175
; %bb.173:
	scratch_load_b128 v[4:7], off, off offset:96
	s_mov_b32 s3, 0
	s_waitcnt vmcnt(0)
	v_mul_f64 v[8:9], v[2:3], v[6:7]
	v_mul_f64 v[6:7], v[0:1], v[6:7]
	s_delay_alu instid0(VALU_DEP_2) | instskip(NEXT) | instid1(VALU_DEP_2)
	v_fma_f64 v[0:1], v[0:1], v[4:5], -v[8:9]
	v_fma_f64 v[2:3], v[2:3], v[4:5], v[6:7]
	v_add3_u32 v4, v38, 0, 0x70
	v_mov_b32_e32 v5, 0
	scratch_store_b128 off, v[0:3], off offset:96
.LBB124_174:                            ; =>This Inner Loop Header: Depth=1
	v_add_nc_u32_e32 v47, s3, v4
	v_readfirstlane_b32 s6, v5
	ds_load_2addr_b64 v[6:9], v47 offset1:1
	ds_load_2addr_b64 v[10:13], v47 offset0:2 offset1:3
	ds_load_2addr_b64 v[14:17], v47 offset0:4 offset1:5
	;; [unrolled: 1-line block ×5, first 2 shown]
	s_add_i32 s6, s6, s3
	s_addk_i32 s3, 0x70
	s_add_i32 s7, s6, 0x70
	s_add_i32 s9, s6, 0x80
	;; [unrolled: 1-line block ×6, first 2 shown]
	s_addk_i32 s6, 0xd0
	s_cmpk_lg_i32 s3, 0x380
	s_waitcnt lgkmcnt(5)
	v_mul_f64 v[18:19], v[8:9], v[2:3]
	v_mul_f64 v[45:46], v[6:7], v[2:3]
	s_waitcnt lgkmcnt(4)
	v_mul_f64 v[49:50], v[12:13], v[2:3]
	v_mul_f64 v[61:62], v[10:11], v[2:3]
	;; [unrolled: 3-line block ×6, first 2 shown]
	v_fma_f64 v[18:19], v[6:7], v[0:1], -v[18:19]
	v_fma_f64 v[45:46], v[8:9], v[0:1], v[45:46]
	v_fma_f64 v[49:50], v[10:11], v[0:1], -v[49:50]
	v_fma_f64 v[61:62], v[12:13], v[0:1], v[61:62]
	;; [unrolled: 2-line block ×6, first 2 shown]
	scratch_load_b128 v[0:3], off, off offset:96
	s_clause 0x6
	scratch_load_b128 v[6:9], off, s7
	scratch_load_b128 v[10:13], off, s9
	scratch_load_b128 v[14:17], off, s12
	scratch_load_b128 v[41:44], off, s14
	scratch_load_b128 v[53:56], off, s15
	scratch_load_b128 v[57:60], off, s16
	scratch_load_b128 v[65:68], off, s6
	ds_load_2addr_b64 v[73:76], v47 offset0:12 offset1:13
	s_waitcnt vmcnt(6)
	v_add_f64 v[6:7], v[6:7], -v[18:19]
	v_add_f64 v[8:9], v[8:9], -v[45:46]
	s_waitcnt vmcnt(5)
	v_add_f64 v[10:11], v[10:11], -v[49:50]
	v_add_f64 v[12:13], v[12:13], -v[61:62]
	s_waitcnt vmcnt(4)
	v_add_f64 v[14:15], v[14:15], -v[83:84]
	s_waitcnt lgkmcnt(0)
	v_mul_f64 v[93:94], v[75:76], v[2:3]
	v_mul_f64 v[95:96], v[73:74], v[2:3]
	v_add_f64 v[16:17], v[16:17], -v[85:86]
	s_waitcnt vmcnt(3)
	v_add_f64 v[41:42], v[41:42], -v[69:70]
	v_add_f64 v[43:44], v[43:44], -v[87:88]
	s_waitcnt vmcnt(2)
	v_add_f64 v[53:54], v[53:54], -v[89:90]
	v_add_f64 v[55:56], v[55:56], -v[77:78]
	s_waitcnt vmcnt(1)
	v_add_f64 v[57:58], v[57:58], -v[81:82]
	v_add_f64 v[59:60], v[59:60], -v[91:92]
	v_fma_f64 v[73:74], v[73:74], v[0:1], -v[93:94]
	v_fma_f64 v[75:76], v[75:76], v[0:1], v[95:96]
	s_waitcnt vmcnt(0)
	s_delay_alu instid0(VALU_DEP_2) | instskip(NEXT) | instid1(VALU_DEP_2)
	v_add_f64 v[65:66], v[65:66], -v[73:74]
	v_add_f64 v[67:68], v[67:68], -v[75:76]
	s_clause 0x6
	scratch_store_b128 off, v[6:9], s7
	scratch_store_b128 off, v[10:13], s9
	;; [unrolled: 1-line block ×7, first 2 shown]
	s_cbranch_scc1 .LBB124_174
.LBB124_175:
	s_or_b32 exec_lo, exec_lo, s2
	s_waitcnt_vscnt null, 0x0
	s_barrier
	buffer_gl0_inv
	scratch_load_b128 v[0:3], v25, off
	v_lshl_add_u32 v4, v40, 4, v20
	s_cmp_lt_i32 s5, 9
	s_waitcnt vmcnt(0)
	ds_store_2addr_b64 v4, v[0:1], v[2:3] offset1:1
	s_waitcnt lgkmcnt(0)
	s_barrier
	buffer_gl0_inv
	ds_load_2addr_b64 v[0:3], v20 offset0:14 offset1:15
	v_mov_b32_e32 v4, 7
	s_cbranch_scc1 .LBB124_178
; %bb.176:
	v_add3_u32 v5, v38, 0, 0x80
	v_mov_b32_e32 v4, 7
	s_mov_b32 s6, 8
	s_set_inst_prefetch_distance 0x1
	.p2align	6
.LBB124_177:                            ; =>This Inner Loop Header: Depth=1
	ds_load_2addr_b64 v[6:9], v5 offset1:1
	s_waitcnt lgkmcnt(1)
	v_cmp_gt_f64_e32 vcc_lo, 0, v[0:1]
	v_xor_b32_e32 v10, 0x80000000, v1
	v_cmp_gt_f64_e64 s2, 0, v[2:3]
	v_xor_b32_e32 v12, 0x80000000, v3
	v_add_nc_u32_e32 v5, 16, v5
	s_waitcnt lgkmcnt(0)
	v_cmp_gt_f64_e64 s3, 0, v[6:7]
	v_mov_b32_e32 v14, v6
	v_dual_mov_b32 v16, v8 :: v_dual_cndmask_b32 v11, v1, v10
	v_xor_b32_e32 v10, 0x80000000, v7
	v_cndmask_b32_e64 v13, v3, v12, s2
	v_xor_b32_e32 v12, 0x80000000, v9
	s_delay_alu instid0(VALU_DEP_3) | instskip(SKIP_2) | instid1(VALU_DEP_2)
	v_cndmask_b32_e64 v15, v7, v10, s3
	v_cmp_gt_f64_e64 s3, 0, v[8:9]
	v_cndmask_b32_e32 v10, v0, v0, vcc_lo
	v_cndmask_b32_e64 v17, v9, v12, s3
	v_cndmask_b32_e64 v12, v2, v2, s2
	s_delay_alu instid0(VALU_DEP_2) | instskip(NEXT) | instid1(VALU_DEP_2)
	v_add_f64 v[14:15], v[14:15], v[16:17]
	v_add_f64 v[10:11], v[10:11], v[12:13]
	s_delay_alu instid0(VALU_DEP_1)
	v_cmp_lt_f64_e32 vcc_lo, v[10:11], v[14:15]
	v_cndmask_b32_e32 v3, v3, v9, vcc_lo
	v_dual_cndmask_b32 v1, v1, v7 :: v_dual_cndmask_b32 v0, v0, v6
	v_cndmask_b32_e32 v2, v2, v8, vcc_lo
	v_cndmask_b32_e64 v4, v4, s6, vcc_lo
	s_add_i32 s6, s6, 1
	s_delay_alu instid0(SALU_CYCLE_1)
	s_cmp_lg_u32 s5, s6
	s_cbranch_scc1 .LBB124_177
.LBB124_178:
	s_set_inst_prefetch_distance 0x2
	s_waitcnt lgkmcnt(0)
	v_cmp_eq_f64_e32 vcc_lo, 0, v[0:1]
	v_cmp_eq_f64_e64 s2, 0, v[2:3]
	s_delay_alu instid0(VALU_DEP_1) | instskip(NEXT) | instid1(SALU_CYCLE_1)
	s_and_b32 s2, vcc_lo, s2
	s_and_saveexec_b32 s3, s2
	s_delay_alu instid0(SALU_CYCLE_1)
	s_xor_b32 s2, exec_lo, s3
; %bb.179:
	v_cmp_ne_u32_e32 vcc_lo, 0, v37
	v_cndmask_b32_e32 v37, 8, v37, vcc_lo
; %bb.180:
	s_and_not1_saveexec_b32 s3, s2
	s_cbranch_execz .LBB124_186
; %bb.181:
	v_cmp_gt_f64_e32 vcc_lo, 0, v[0:1]
	v_cmp_gt_f64_e64 s2, 0, v[2:3]
	v_xor_b32_e32 v5, 0x80000000, v1
	v_xor_b32_e32 v7, 0x80000000, v3
	s_delay_alu instid0(VALU_DEP_2) | instskip(NEXT) | instid1(VALU_DEP_2)
	v_dual_cndmask_b32 v6, v1, v5 :: v_dual_cndmask_b32 v5, v0, v0
	v_cndmask_b32_e64 v8, v3, v7, s2
	v_cndmask_b32_e64 v7, v2, v2, s2
	s_mov_b32 s2, exec_lo
	s_delay_alu instid0(VALU_DEP_1)
	v_cmpx_ngt_f64_e32 v[5:6], v[7:8]
	s_xor_b32 s2, exec_lo, s2
	s_cbranch_execz .LBB124_183
; %bb.182:
	v_div_scale_f64 v[5:6], null, v[2:3], v[2:3], v[0:1]
	v_div_scale_f64 v[11:12], vcc_lo, v[0:1], v[2:3], v[0:1]
	s_delay_alu instid0(VALU_DEP_2) | instskip(SKIP_2) | instid1(VALU_DEP_1)
	v_rcp_f64_e32 v[7:8], v[5:6]
	s_waitcnt_depctr 0xfff
	v_fma_f64 v[9:10], -v[5:6], v[7:8], 1.0
	v_fma_f64 v[7:8], v[7:8], v[9:10], v[7:8]
	s_delay_alu instid0(VALU_DEP_1) | instskip(NEXT) | instid1(VALU_DEP_1)
	v_fma_f64 v[9:10], -v[5:6], v[7:8], 1.0
	v_fma_f64 v[7:8], v[7:8], v[9:10], v[7:8]
	s_delay_alu instid0(VALU_DEP_1) | instskip(NEXT) | instid1(VALU_DEP_1)
	v_mul_f64 v[9:10], v[11:12], v[7:8]
	v_fma_f64 v[5:6], -v[5:6], v[9:10], v[11:12]
	s_delay_alu instid0(VALU_DEP_1) | instskip(NEXT) | instid1(VALU_DEP_1)
	v_div_fmas_f64 v[5:6], v[5:6], v[7:8], v[9:10]
	v_div_fixup_f64 v[5:6], v[5:6], v[2:3], v[0:1]
	s_delay_alu instid0(VALU_DEP_1) | instskip(NEXT) | instid1(VALU_DEP_1)
	v_fma_f64 v[0:1], v[0:1], v[5:6], v[2:3]
	v_div_scale_f64 v[2:3], null, v[0:1], v[0:1], 1.0
	s_delay_alu instid0(VALU_DEP_1) | instskip(SKIP_2) | instid1(VALU_DEP_1)
	v_rcp_f64_e32 v[7:8], v[2:3]
	s_waitcnt_depctr 0xfff
	v_fma_f64 v[9:10], -v[2:3], v[7:8], 1.0
	v_fma_f64 v[7:8], v[7:8], v[9:10], v[7:8]
	s_delay_alu instid0(VALU_DEP_1) | instskip(NEXT) | instid1(VALU_DEP_1)
	v_fma_f64 v[9:10], -v[2:3], v[7:8], 1.0
	v_fma_f64 v[7:8], v[7:8], v[9:10], v[7:8]
	v_div_scale_f64 v[9:10], vcc_lo, 1.0, v[0:1], 1.0
	s_delay_alu instid0(VALU_DEP_1) | instskip(NEXT) | instid1(VALU_DEP_1)
	v_mul_f64 v[11:12], v[9:10], v[7:8]
	v_fma_f64 v[2:3], -v[2:3], v[11:12], v[9:10]
	s_delay_alu instid0(VALU_DEP_1) | instskip(NEXT) | instid1(VALU_DEP_1)
	v_div_fmas_f64 v[2:3], v[2:3], v[7:8], v[11:12]
	v_div_fixup_f64 v[2:3], v[2:3], v[0:1], 1.0
	s_delay_alu instid0(VALU_DEP_1)
	v_mul_f64 v[0:1], v[5:6], v[2:3]
	v_xor_b32_e32 v3, 0x80000000, v3
.LBB124_183:
	s_and_not1_saveexec_b32 s2, s2
	s_cbranch_execz .LBB124_185
; %bb.184:
	s_delay_alu instid0(VALU_DEP_1) | instskip(SKIP_1) | instid1(VALU_DEP_2)
	v_div_scale_f64 v[5:6], null, v[0:1], v[0:1], v[2:3]
	v_div_scale_f64 v[11:12], vcc_lo, v[2:3], v[0:1], v[2:3]
	v_rcp_f64_e32 v[7:8], v[5:6]
	s_waitcnt_depctr 0xfff
	v_fma_f64 v[9:10], -v[5:6], v[7:8], 1.0
	s_delay_alu instid0(VALU_DEP_1) | instskip(NEXT) | instid1(VALU_DEP_1)
	v_fma_f64 v[7:8], v[7:8], v[9:10], v[7:8]
	v_fma_f64 v[9:10], -v[5:6], v[7:8], 1.0
	s_delay_alu instid0(VALU_DEP_1) | instskip(NEXT) | instid1(VALU_DEP_1)
	v_fma_f64 v[7:8], v[7:8], v[9:10], v[7:8]
	v_mul_f64 v[9:10], v[11:12], v[7:8]
	s_delay_alu instid0(VALU_DEP_1) | instskip(NEXT) | instid1(VALU_DEP_1)
	v_fma_f64 v[5:6], -v[5:6], v[9:10], v[11:12]
	v_div_fmas_f64 v[5:6], v[5:6], v[7:8], v[9:10]
	s_delay_alu instid0(VALU_DEP_1) | instskip(NEXT) | instid1(VALU_DEP_1)
	v_div_fixup_f64 v[5:6], v[5:6], v[0:1], v[2:3]
	v_fma_f64 v[0:1], v[2:3], v[5:6], v[0:1]
	s_delay_alu instid0(VALU_DEP_1) | instskip(NEXT) | instid1(VALU_DEP_1)
	v_div_scale_f64 v[2:3], null, v[0:1], v[0:1], 1.0
	v_rcp_f64_e32 v[7:8], v[2:3]
	s_waitcnt_depctr 0xfff
	v_fma_f64 v[9:10], -v[2:3], v[7:8], 1.0
	s_delay_alu instid0(VALU_DEP_1) | instskip(NEXT) | instid1(VALU_DEP_1)
	v_fma_f64 v[7:8], v[7:8], v[9:10], v[7:8]
	v_fma_f64 v[9:10], -v[2:3], v[7:8], 1.0
	s_delay_alu instid0(VALU_DEP_1) | instskip(SKIP_1) | instid1(VALU_DEP_1)
	v_fma_f64 v[7:8], v[7:8], v[9:10], v[7:8]
	v_div_scale_f64 v[9:10], vcc_lo, 1.0, v[0:1], 1.0
	v_mul_f64 v[11:12], v[9:10], v[7:8]
	s_delay_alu instid0(VALU_DEP_1) | instskip(NEXT) | instid1(VALU_DEP_1)
	v_fma_f64 v[2:3], -v[2:3], v[11:12], v[9:10]
	v_div_fmas_f64 v[2:3], v[2:3], v[7:8], v[11:12]
	s_delay_alu instid0(VALU_DEP_1) | instskip(NEXT) | instid1(VALU_DEP_1)
	v_div_fixup_f64 v[0:1], v[2:3], v[0:1], 1.0
	v_mul_f64 v[2:3], v[5:6], -v[0:1]
.LBB124_185:
	s_or_b32 exec_lo, exec_lo, s2
.LBB124_186:
	s_delay_alu instid0(SALU_CYCLE_1) | instskip(NEXT) | instid1(SALU_CYCLE_1)
	s_or_b32 exec_lo, exec_lo, s3
	s_mov_b32 s2, exec_lo
	v_cmpx_ne_u32_e64 v40, v4
	s_xor_b32 s2, exec_lo, s2
	s_cbranch_execz .LBB124_192
; %bb.187:
	s_mov_b32 s3, exec_lo
	v_cmpx_eq_u32_e32 7, v40
	s_cbranch_execz .LBB124_191
; %bb.188:
	v_cmp_ne_u32_e32 vcc_lo, 7, v4
	s_xor_b32 s6, s4, -1
	s_delay_alu instid0(SALU_CYCLE_1) | instskip(NEXT) | instid1(SALU_CYCLE_1)
	s_and_b32 s7, s6, vcc_lo
	s_and_saveexec_b32 s6, s7
	s_cbranch_execz .LBB124_190
; %bb.189:
	v_ashrrev_i32_e32 v5, 31, v4
	s_delay_alu instid0(VALU_DEP_1) | instskip(NEXT) | instid1(VALU_DEP_1)
	v_lshlrev_b64 v[5:6], 2, v[4:5]
	v_add_co_u32 v5, vcc_lo, v145, v5
	s_delay_alu instid0(VALU_DEP_2)
	v_add_co_ci_u32_e32 v6, vcc_lo, v146, v6, vcc_lo
	s_clause 0x1
	flat_load_b32 v7, v[5:6]
	flat_load_b32 v8, v[145:146] offset:28
	s_waitcnt vmcnt(1) lgkmcnt(1)
	flat_store_b32 v[145:146], v7 offset:28
	s_waitcnt vmcnt(0) lgkmcnt(1)
	flat_store_b32 v[5:6], v8
.LBB124_190:
	s_or_b32 exec_lo, exec_lo, s6
	v_mov_b32_e32 v40, v4
	v_mov_b32_e32 v39, v4
.LBB124_191:
	s_or_b32 exec_lo, exec_lo, s3
.LBB124_192:
	s_and_not1_saveexec_b32 s2, s2
	s_cbranch_execz .LBB124_196
; %bb.193:
	v_add3_u32 v4, v38, 0, 0x80
	v_mov_b32_e32 v5, 0
	s_mov_b32 s3, 0
.LBB124_194:                            ; =>This Inner Loop Header: Depth=1
	s_delay_alu instid0(VALU_DEP_1) | instskip(NEXT) | instid1(VALU_DEP_3)
	v_readfirstlane_b32 s6, v5
	v_add_nc_u32_e32 v18, s3, v4
	s_delay_alu instid0(VALU_DEP_2)
	s_add_i32 s6, s6, s3
	s_addk_i32 s3, 0xb0
	s_add_i32 s7, s6, 0x80
	s_add_i32 s9, s6, 0x90
	s_add_i32 s12, s6, 0xa0
	s_add_i32 s14, s6, 0xb0
	s_add_i32 s15, s6, 0xc0
	s_add_i32 s16, s6, 0xd0
	s_add_i32 s17, s6, 0xe0
	s_add_i32 s18, s6, 0xf0
	s_add_i32 s19, s6, 0x100
	s_add_i32 s20, s6, 0x110
	s_addk_i32 s6, 0x120
	s_clause 0xa
	scratch_load_b128 v[6:9], off, s7
	scratch_load_b128 v[10:13], off, s9
	;; [unrolled: 1-line block ×11, first 2 shown]
	s_cmpk_eq_i32 s3, 0x370
	s_waitcnt vmcnt(10)
	ds_store_2addr_b64 v18, v[6:7], v[8:9] offset1:1
	s_waitcnt vmcnt(9)
	ds_store_2addr_b64 v18, v[10:11], v[12:13] offset0:2 offset1:3
	s_waitcnt vmcnt(8)
	ds_store_2addr_b64 v18, v[14:15], v[16:17] offset0:4 offset1:5
	s_waitcnt vmcnt(7)
	ds_store_2addr_b64 v18, v[40:41], v[42:43] offset0:6 offset1:7
	s_waitcnt vmcnt(6)
	ds_store_2addr_b64 v18, v[44:45], v[46:47] offset0:8 offset1:9
	s_waitcnt vmcnt(5)
	ds_store_2addr_b64 v18, v[53:54], v[55:56] offset0:10 offset1:11
	s_waitcnt vmcnt(4)
	ds_store_2addr_b64 v18, v[57:58], v[59:60] offset0:12 offset1:13
	s_waitcnt vmcnt(3)
	ds_store_2addr_b64 v18, v[65:66], v[67:68] offset0:14 offset1:15
	s_waitcnt vmcnt(2)
	ds_store_2addr_b64 v18, v[73:74], v[75:76] offset0:16 offset1:17
	s_waitcnt vmcnt(1)
	ds_store_2addr_b64 v18, v[85:86], v[87:88] offset0:18 offset1:19
	s_waitcnt vmcnt(0)
	ds_store_2addr_b64 v18, v[130:131], v[132:133] offset0:20 offset1:21
	s_cbranch_scc0 .LBB124_194
; %bb.195:
	v_mov_b32_e32 v40, 7
.LBB124_196:
	s_or_b32 exec_lo, exec_lo, s2
	s_delay_alu instid0(SALU_CYCLE_1)
	s_mov_b32 s2, exec_lo
	s_waitcnt lgkmcnt(0)
	s_waitcnt_vscnt null, 0x0
	s_barrier
	buffer_gl0_inv
	v_cmpx_lt_i32_e32 7, v40
	s_cbranch_execz .LBB124_199
; %bb.197:
	scratch_load_b128 v[4:7], off, off offset:112
	s_mov_b32 s3, 0
	s_waitcnt vmcnt(0)
	v_mul_f64 v[8:9], v[2:3], v[6:7]
	v_mul_f64 v[6:7], v[0:1], v[6:7]
	s_delay_alu instid0(VALU_DEP_2) | instskip(NEXT) | instid1(VALU_DEP_2)
	v_fma_f64 v[0:1], v[0:1], v[4:5], -v[8:9]
	v_fma_f64 v[2:3], v[2:3], v[4:5], v[6:7]
	v_add3_u32 v4, v38, 0, 0x80
	v_mov_b32_e32 v5, 0
	scratch_store_b128 off, v[0:3], off offset:112
.LBB124_198:                            ; =>This Inner Loop Header: Depth=1
	v_readfirstlane_b32 s6, v5
	v_add_nc_u32_e32 v18, s3, v4
	s_delay_alu instid0(VALU_DEP_2)
	s_add_i32 s6, s6, s3
	s_addk_i32 s3, 0x50
	s_add_i32 s7, s6, 0x80
	s_add_i32 s9, s6, 0x90
	;; [unrolled: 1-line block ×4, first 2 shown]
	s_addk_i32 s6, 0xc0
	s_clause 0x4
	scratch_load_b128 v[6:9], off, s7
	scratch_load_b128 v[10:13], off, s9
	;; [unrolled: 1-line block ×5, first 2 shown]
	ds_load_2addr_b64 v[57:60], v18 offset1:1
	ds_load_2addr_b64 v[65:68], v18 offset0:2 offset1:3
	ds_load_2addr_b64 v[73:76], v18 offset0:4 offset1:5
	;; [unrolled: 1-line block ×4, first 2 shown]
	s_cmpk_lg_i32 s3, 0x370
	s_waitcnt lgkmcnt(4)
	v_mul_f64 v[18:19], v[59:60], v[2:3]
	v_mul_f64 v[45:46], v[57:58], v[2:3]
	s_waitcnt lgkmcnt(3)
	v_mul_f64 v[49:50], v[67:68], v[2:3]
	v_mul_f64 v[61:62], v[65:66], v[2:3]
	;; [unrolled: 3-line block ×5, first 2 shown]
	v_fma_f64 v[18:19], v[57:58], v[0:1], -v[18:19]
	v_fma_f64 v[45:46], v[59:60], v[0:1], v[45:46]
	v_fma_f64 v[49:50], v[65:66], v[0:1], -v[49:50]
	v_fma_f64 v[57:58], v[67:68], v[0:1], v[61:62]
	;; [unrolled: 2-line block ×5, first 2 shown]
	s_waitcnt vmcnt(4)
	v_add_f64 v[6:7], v[6:7], -v[18:19]
	v_add_f64 v[8:9], v[8:9], -v[45:46]
	s_waitcnt vmcnt(3)
	v_add_f64 v[10:11], v[10:11], -v[49:50]
	v_add_f64 v[12:13], v[12:13], -v[57:58]
	;; [unrolled: 3-line block ×5, first 2 shown]
	s_clause 0x4
	scratch_store_b128 off, v[6:9], s7
	scratch_store_b128 off, v[10:13], s9
	;; [unrolled: 1-line block ×5, first 2 shown]
	s_cbranch_scc1 .LBB124_198
.LBB124_199:
	s_or_b32 exec_lo, exec_lo, s2
	s_waitcnt_vscnt null, 0x0
	s_barrier
	buffer_gl0_inv
	scratch_load_b128 v[0:3], v24, off
	v_lshl_add_u32 v4, v40, 4, v20
	s_cmp_lt_i32 s5, 10
	s_waitcnt vmcnt(0)
	ds_store_2addr_b64 v4, v[0:1], v[2:3] offset1:1
	s_waitcnt lgkmcnt(0)
	s_barrier
	buffer_gl0_inv
	ds_load_2addr_b64 v[0:3], v20 offset0:16 offset1:17
	v_mov_b32_e32 v4, 8
	s_cbranch_scc1 .LBB124_202
; %bb.200:
	v_add3_u32 v5, v38, 0, 0x90
	v_mov_b32_e32 v4, 8
	s_mov_b32 s6, 9
	s_set_inst_prefetch_distance 0x1
	.p2align	6
.LBB124_201:                            ; =>This Inner Loop Header: Depth=1
	ds_load_2addr_b64 v[6:9], v5 offset1:1
	s_waitcnt lgkmcnt(1)
	v_cmp_gt_f64_e32 vcc_lo, 0, v[0:1]
	v_xor_b32_e32 v10, 0x80000000, v1
	v_cmp_gt_f64_e64 s2, 0, v[2:3]
	v_xor_b32_e32 v12, 0x80000000, v3
	v_add_nc_u32_e32 v5, 16, v5
	s_waitcnt lgkmcnt(0)
	v_cmp_gt_f64_e64 s3, 0, v[6:7]
	v_mov_b32_e32 v14, v6
	v_dual_mov_b32 v16, v8 :: v_dual_cndmask_b32 v11, v1, v10
	v_xor_b32_e32 v10, 0x80000000, v7
	v_cndmask_b32_e64 v13, v3, v12, s2
	v_xor_b32_e32 v12, 0x80000000, v9
	s_delay_alu instid0(VALU_DEP_3) | instskip(SKIP_2) | instid1(VALU_DEP_2)
	v_cndmask_b32_e64 v15, v7, v10, s3
	v_cmp_gt_f64_e64 s3, 0, v[8:9]
	v_cndmask_b32_e32 v10, v0, v0, vcc_lo
	v_cndmask_b32_e64 v17, v9, v12, s3
	v_cndmask_b32_e64 v12, v2, v2, s2
	s_delay_alu instid0(VALU_DEP_2) | instskip(NEXT) | instid1(VALU_DEP_2)
	v_add_f64 v[14:15], v[14:15], v[16:17]
	v_add_f64 v[10:11], v[10:11], v[12:13]
	s_delay_alu instid0(VALU_DEP_1)
	v_cmp_lt_f64_e32 vcc_lo, v[10:11], v[14:15]
	v_cndmask_b32_e32 v3, v3, v9, vcc_lo
	v_dual_cndmask_b32 v1, v1, v7 :: v_dual_cndmask_b32 v0, v0, v6
	v_cndmask_b32_e32 v2, v2, v8, vcc_lo
	v_cndmask_b32_e64 v4, v4, s6, vcc_lo
	s_add_i32 s6, s6, 1
	s_delay_alu instid0(SALU_CYCLE_1)
	s_cmp_lg_u32 s5, s6
	s_cbranch_scc1 .LBB124_201
.LBB124_202:
	s_set_inst_prefetch_distance 0x2
	s_waitcnt lgkmcnt(0)
	v_cmp_eq_f64_e32 vcc_lo, 0, v[0:1]
	v_cmp_eq_f64_e64 s2, 0, v[2:3]
	s_delay_alu instid0(VALU_DEP_1) | instskip(NEXT) | instid1(SALU_CYCLE_1)
	s_and_b32 s2, vcc_lo, s2
	s_and_saveexec_b32 s3, s2
	s_delay_alu instid0(SALU_CYCLE_1)
	s_xor_b32 s2, exec_lo, s3
; %bb.203:
	v_cmp_ne_u32_e32 vcc_lo, 0, v37
	v_cndmask_b32_e32 v37, 9, v37, vcc_lo
; %bb.204:
	s_and_not1_saveexec_b32 s3, s2
	s_cbranch_execz .LBB124_210
; %bb.205:
	v_cmp_gt_f64_e32 vcc_lo, 0, v[0:1]
	v_cmp_gt_f64_e64 s2, 0, v[2:3]
	v_xor_b32_e32 v5, 0x80000000, v1
	v_xor_b32_e32 v7, 0x80000000, v3
	s_delay_alu instid0(VALU_DEP_2) | instskip(NEXT) | instid1(VALU_DEP_2)
	v_dual_cndmask_b32 v6, v1, v5 :: v_dual_cndmask_b32 v5, v0, v0
	v_cndmask_b32_e64 v8, v3, v7, s2
	v_cndmask_b32_e64 v7, v2, v2, s2
	s_mov_b32 s2, exec_lo
	s_delay_alu instid0(VALU_DEP_1)
	v_cmpx_ngt_f64_e32 v[5:6], v[7:8]
	s_xor_b32 s2, exec_lo, s2
	s_cbranch_execz .LBB124_207
; %bb.206:
	v_div_scale_f64 v[5:6], null, v[2:3], v[2:3], v[0:1]
	v_div_scale_f64 v[11:12], vcc_lo, v[0:1], v[2:3], v[0:1]
	s_delay_alu instid0(VALU_DEP_2) | instskip(SKIP_2) | instid1(VALU_DEP_1)
	v_rcp_f64_e32 v[7:8], v[5:6]
	s_waitcnt_depctr 0xfff
	v_fma_f64 v[9:10], -v[5:6], v[7:8], 1.0
	v_fma_f64 v[7:8], v[7:8], v[9:10], v[7:8]
	s_delay_alu instid0(VALU_DEP_1) | instskip(NEXT) | instid1(VALU_DEP_1)
	v_fma_f64 v[9:10], -v[5:6], v[7:8], 1.0
	v_fma_f64 v[7:8], v[7:8], v[9:10], v[7:8]
	s_delay_alu instid0(VALU_DEP_1) | instskip(NEXT) | instid1(VALU_DEP_1)
	v_mul_f64 v[9:10], v[11:12], v[7:8]
	v_fma_f64 v[5:6], -v[5:6], v[9:10], v[11:12]
	s_delay_alu instid0(VALU_DEP_1) | instskip(NEXT) | instid1(VALU_DEP_1)
	v_div_fmas_f64 v[5:6], v[5:6], v[7:8], v[9:10]
	v_div_fixup_f64 v[5:6], v[5:6], v[2:3], v[0:1]
	s_delay_alu instid0(VALU_DEP_1) | instskip(NEXT) | instid1(VALU_DEP_1)
	v_fma_f64 v[0:1], v[0:1], v[5:6], v[2:3]
	v_div_scale_f64 v[2:3], null, v[0:1], v[0:1], 1.0
	s_delay_alu instid0(VALU_DEP_1) | instskip(SKIP_2) | instid1(VALU_DEP_1)
	v_rcp_f64_e32 v[7:8], v[2:3]
	s_waitcnt_depctr 0xfff
	v_fma_f64 v[9:10], -v[2:3], v[7:8], 1.0
	v_fma_f64 v[7:8], v[7:8], v[9:10], v[7:8]
	s_delay_alu instid0(VALU_DEP_1) | instskip(NEXT) | instid1(VALU_DEP_1)
	v_fma_f64 v[9:10], -v[2:3], v[7:8], 1.0
	v_fma_f64 v[7:8], v[7:8], v[9:10], v[7:8]
	v_div_scale_f64 v[9:10], vcc_lo, 1.0, v[0:1], 1.0
	s_delay_alu instid0(VALU_DEP_1) | instskip(NEXT) | instid1(VALU_DEP_1)
	v_mul_f64 v[11:12], v[9:10], v[7:8]
	v_fma_f64 v[2:3], -v[2:3], v[11:12], v[9:10]
	s_delay_alu instid0(VALU_DEP_1) | instskip(NEXT) | instid1(VALU_DEP_1)
	v_div_fmas_f64 v[2:3], v[2:3], v[7:8], v[11:12]
	v_div_fixup_f64 v[2:3], v[2:3], v[0:1], 1.0
	s_delay_alu instid0(VALU_DEP_1)
	v_mul_f64 v[0:1], v[5:6], v[2:3]
	v_xor_b32_e32 v3, 0x80000000, v3
.LBB124_207:
	s_and_not1_saveexec_b32 s2, s2
	s_cbranch_execz .LBB124_209
; %bb.208:
	s_delay_alu instid0(VALU_DEP_1) | instskip(SKIP_1) | instid1(VALU_DEP_2)
	v_div_scale_f64 v[5:6], null, v[0:1], v[0:1], v[2:3]
	v_div_scale_f64 v[11:12], vcc_lo, v[2:3], v[0:1], v[2:3]
	v_rcp_f64_e32 v[7:8], v[5:6]
	s_waitcnt_depctr 0xfff
	v_fma_f64 v[9:10], -v[5:6], v[7:8], 1.0
	s_delay_alu instid0(VALU_DEP_1) | instskip(NEXT) | instid1(VALU_DEP_1)
	v_fma_f64 v[7:8], v[7:8], v[9:10], v[7:8]
	v_fma_f64 v[9:10], -v[5:6], v[7:8], 1.0
	s_delay_alu instid0(VALU_DEP_1) | instskip(NEXT) | instid1(VALU_DEP_1)
	v_fma_f64 v[7:8], v[7:8], v[9:10], v[7:8]
	v_mul_f64 v[9:10], v[11:12], v[7:8]
	s_delay_alu instid0(VALU_DEP_1) | instskip(NEXT) | instid1(VALU_DEP_1)
	v_fma_f64 v[5:6], -v[5:6], v[9:10], v[11:12]
	v_div_fmas_f64 v[5:6], v[5:6], v[7:8], v[9:10]
	s_delay_alu instid0(VALU_DEP_1) | instskip(NEXT) | instid1(VALU_DEP_1)
	v_div_fixup_f64 v[5:6], v[5:6], v[0:1], v[2:3]
	v_fma_f64 v[0:1], v[2:3], v[5:6], v[0:1]
	s_delay_alu instid0(VALU_DEP_1) | instskip(NEXT) | instid1(VALU_DEP_1)
	v_div_scale_f64 v[2:3], null, v[0:1], v[0:1], 1.0
	v_rcp_f64_e32 v[7:8], v[2:3]
	s_waitcnt_depctr 0xfff
	v_fma_f64 v[9:10], -v[2:3], v[7:8], 1.0
	s_delay_alu instid0(VALU_DEP_1) | instskip(NEXT) | instid1(VALU_DEP_1)
	v_fma_f64 v[7:8], v[7:8], v[9:10], v[7:8]
	v_fma_f64 v[9:10], -v[2:3], v[7:8], 1.0
	s_delay_alu instid0(VALU_DEP_1) | instskip(SKIP_1) | instid1(VALU_DEP_1)
	v_fma_f64 v[7:8], v[7:8], v[9:10], v[7:8]
	v_div_scale_f64 v[9:10], vcc_lo, 1.0, v[0:1], 1.0
	v_mul_f64 v[11:12], v[9:10], v[7:8]
	s_delay_alu instid0(VALU_DEP_1) | instskip(NEXT) | instid1(VALU_DEP_1)
	v_fma_f64 v[2:3], -v[2:3], v[11:12], v[9:10]
	v_div_fmas_f64 v[2:3], v[2:3], v[7:8], v[11:12]
	s_delay_alu instid0(VALU_DEP_1) | instskip(NEXT) | instid1(VALU_DEP_1)
	v_div_fixup_f64 v[0:1], v[2:3], v[0:1], 1.0
	v_mul_f64 v[2:3], v[5:6], -v[0:1]
.LBB124_209:
	s_or_b32 exec_lo, exec_lo, s2
.LBB124_210:
	s_delay_alu instid0(SALU_CYCLE_1) | instskip(NEXT) | instid1(SALU_CYCLE_1)
	s_or_b32 exec_lo, exec_lo, s3
	s_mov_b32 s2, exec_lo
	v_cmpx_ne_u32_e64 v40, v4
	s_xor_b32 s2, exec_lo, s2
	s_cbranch_execz .LBB124_216
; %bb.211:
	s_mov_b32 s3, exec_lo
	v_cmpx_eq_u32_e32 8, v40
	s_cbranch_execz .LBB124_215
; %bb.212:
	v_cmp_ne_u32_e32 vcc_lo, 8, v4
	s_xor_b32 s6, s4, -1
	s_delay_alu instid0(SALU_CYCLE_1) | instskip(NEXT) | instid1(SALU_CYCLE_1)
	s_and_b32 s7, s6, vcc_lo
	s_and_saveexec_b32 s6, s7
	s_cbranch_execz .LBB124_214
; %bb.213:
	v_ashrrev_i32_e32 v5, 31, v4
	s_delay_alu instid0(VALU_DEP_1) | instskip(NEXT) | instid1(VALU_DEP_1)
	v_lshlrev_b64 v[5:6], 2, v[4:5]
	v_add_co_u32 v5, vcc_lo, v145, v5
	s_delay_alu instid0(VALU_DEP_2)
	v_add_co_ci_u32_e32 v6, vcc_lo, v146, v6, vcc_lo
	s_clause 0x1
	flat_load_b32 v7, v[5:6]
	flat_load_b32 v8, v[145:146] offset:32
	s_waitcnt vmcnt(1) lgkmcnt(1)
	flat_store_b32 v[145:146], v7 offset:32
	s_waitcnt vmcnt(0) lgkmcnt(1)
	flat_store_b32 v[5:6], v8
.LBB124_214:
	s_or_b32 exec_lo, exec_lo, s6
	v_mov_b32_e32 v40, v4
	v_mov_b32_e32 v39, v4
.LBB124_215:
	s_or_b32 exec_lo, exec_lo, s3
.LBB124_216:
	s_and_not1_saveexec_b32 s2, s2
	s_cbranch_execz .LBB124_220
; %bb.217:
	v_add3_u32 v4, v38, 0, 0x90
	v_mov_b32_e32 v5, 0
	s_mov_b32 s3, 0
.LBB124_218:                            ; =>This Inner Loop Header: Depth=1
	s_delay_alu instid0(VALU_DEP_1) | instskip(NEXT) | instid1(VALU_DEP_3)
	v_readfirstlane_b32 s6, v5
	v_add_nc_u32_e32 v18, s3, v4
	s_delay_alu instid0(VALU_DEP_2)
	s_add_i32 s6, s6, s3
	s_addk_i32 s3, 0x120
	s_add_i32 s7, s6, 0x90
	s_add_i32 s9, s6, 0xa0
	;; [unrolled: 1-line block ×17, first 2 shown]
	s_addk_i32 s6, 0x1a0
	s_clause 0x11
	scratch_load_b128 v[6:9], off, s7
	scratch_load_b128 v[10:13], off, s9
	;; [unrolled: 1-line block ×18, first 2 shown]
	s_cmpk_eq_i32 s3, 0x360
	s_waitcnt vmcnt(17)
	ds_store_2addr_b64 v18, v[6:7], v[8:9] offset1:1
	s_waitcnt vmcnt(16)
	ds_store_2addr_b64 v18, v[10:11], v[12:13] offset0:2 offset1:3
	s_waitcnt vmcnt(15)
	ds_store_2addr_b64 v18, v[14:15], v[16:17] offset0:4 offset1:5
	;; [unrolled: 2-line block ×17, first 2 shown]
	s_cbranch_scc0 .LBB124_218
; %bb.219:
	v_mov_b32_e32 v40, 8
.LBB124_220:
	s_or_b32 exec_lo, exec_lo, s2
	s_delay_alu instid0(SALU_CYCLE_1)
	s_mov_b32 s2, exec_lo
	s_waitcnt lgkmcnt(0)
	s_waitcnt_vscnt null, 0x0
	s_barrier
	buffer_gl0_inv
	v_cmpx_lt_i32_e32 8, v40
	s_cbranch_execz .LBB124_223
; %bb.221:
	scratch_load_b128 v[4:7], off, off offset:128
	s_mov_b32 s3, 0
	s_waitcnt vmcnt(0)
	v_mul_f64 v[8:9], v[2:3], v[6:7]
	v_mul_f64 v[6:7], v[0:1], v[6:7]
	s_delay_alu instid0(VALU_DEP_2) | instskip(NEXT) | instid1(VALU_DEP_2)
	v_fma_f64 v[0:1], v[0:1], v[4:5], -v[8:9]
	v_fma_f64 v[2:3], v[2:3], v[4:5], v[6:7]
	v_add3_u32 v4, v38, 0, 0x90
	v_mov_b32_e32 v5, 0
	scratch_store_b128 off, v[0:3], off offset:128
.LBB124_222:                            ; =>This Inner Loop Header: Depth=1
	v_readfirstlane_b32 s6, v5
	v_add_nc_u32_e32 v18, s3, v4
	s_delay_alu instid0(VALU_DEP_2)
	s_add_i32 s7, s6, s3
	s_addk_i32 s3, 0x60
	s_add_i32 s6, s7, 0x90
	s_add_i32 s9, s7, 0xa0
	;; [unrolled: 1-line block ×5, first 2 shown]
	s_addk_i32 s7, 0xe0
	s_clause 0x5
	scratch_load_b128 v[6:9], off, s6
	scratch_load_b128 v[10:13], off, s9
	;; [unrolled: 1-line block ×6, first 2 shown]
	ds_load_2addr_b64 v[65:68], v18 offset1:1
	ds_load_2addr_b64 v[73:76], v18 offset0:2 offset1:3
	ds_load_2addr_b64 v[85:88], v18 offset0:4 offset1:5
	;; [unrolled: 1-line block ×5, first 2 shown]
	s_cmpk_lg_i32 s3, 0x360
	s_waitcnt lgkmcnt(5)
	v_mul_f64 v[18:19], v[67:68], v[2:3]
	v_mul_f64 v[45:46], v[65:66], v[2:3]
	s_waitcnt lgkmcnt(4)
	v_mul_f64 v[49:50], v[75:76], v[2:3]
	v_mul_f64 v[61:62], v[73:74], v[2:3]
	;; [unrolled: 3-line block ×6, first 2 shown]
	v_fma_f64 v[18:19], v[65:66], v[0:1], -v[18:19]
	v_fma_f64 v[45:46], v[67:68], v[0:1], v[45:46]
	v_fma_f64 v[49:50], v[73:74], v[0:1], -v[49:50]
	v_fma_f64 v[61:62], v[75:76], v[0:1], v[61:62]
	;; [unrolled: 2-line block ×6, first 2 shown]
	s_waitcnt vmcnt(5)
	v_add_f64 v[6:7], v[6:7], -v[18:19]
	v_add_f64 v[8:9], v[8:9], -v[45:46]
	s_waitcnt vmcnt(4)
	v_add_f64 v[10:11], v[10:11], -v[49:50]
	v_add_f64 v[12:13], v[12:13], -v[61:62]
	;; [unrolled: 3-line block ×6, first 2 shown]
	s_clause 0x5
	scratch_store_b128 off, v[6:9], s6
	scratch_store_b128 off, v[10:13], s9
	;; [unrolled: 1-line block ×6, first 2 shown]
	s_cbranch_scc1 .LBB124_222
.LBB124_223:
	s_or_b32 exec_lo, exec_lo, s2
	s_waitcnt_vscnt null, 0x0
	s_barrier
	buffer_gl0_inv
	scratch_load_b128 v[0:3], v35, off
	v_lshl_add_u32 v4, v40, 4, v20
	s_cmp_lt_i32 s5, 11
	s_waitcnt vmcnt(0)
	ds_store_2addr_b64 v4, v[0:1], v[2:3] offset1:1
	s_waitcnt lgkmcnt(0)
	s_barrier
	buffer_gl0_inv
	ds_load_2addr_b64 v[0:3], v20 offset0:18 offset1:19
	v_mov_b32_e32 v4, 9
	s_cbranch_scc1 .LBB124_226
; %bb.224:
	v_add3_u32 v5, v38, 0, 0xa0
	v_mov_b32_e32 v4, 9
	s_mov_b32 s6, 10
	s_set_inst_prefetch_distance 0x1
	.p2align	6
.LBB124_225:                            ; =>This Inner Loop Header: Depth=1
	ds_load_2addr_b64 v[6:9], v5 offset1:1
	s_waitcnt lgkmcnt(1)
	v_cmp_gt_f64_e32 vcc_lo, 0, v[0:1]
	v_xor_b32_e32 v10, 0x80000000, v1
	v_cmp_gt_f64_e64 s2, 0, v[2:3]
	v_xor_b32_e32 v12, 0x80000000, v3
	v_add_nc_u32_e32 v5, 16, v5
	s_waitcnt lgkmcnt(0)
	v_cmp_gt_f64_e64 s3, 0, v[6:7]
	v_mov_b32_e32 v14, v6
	v_dual_mov_b32 v16, v8 :: v_dual_cndmask_b32 v11, v1, v10
	v_xor_b32_e32 v10, 0x80000000, v7
	v_cndmask_b32_e64 v13, v3, v12, s2
	v_xor_b32_e32 v12, 0x80000000, v9
	s_delay_alu instid0(VALU_DEP_3) | instskip(SKIP_2) | instid1(VALU_DEP_2)
	v_cndmask_b32_e64 v15, v7, v10, s3
	v_cmp_gt_f64_e64 s3, 0, v[8:9]
	v_cndmask_b32_e32 v10, v0, v0, vcc_lo
	v_cndmask_b32_e64 v17, v9, v12, s3
	v_cndmask_b32_e64 v12, v2, v2, s2
	s_delay_alu instid0(VALU_DEP_2) | instskip(NEXT) | instid1(VALU_DEP_2)
	v_add_f64 v[14:15], v[14:15], v[16:17]
	v_add_f64 v[10:11], v[10:11], v[12:13]
	s_delay_alu instid0(VALU_DEP_1)
	v_cmp_lt_f64_e32 vcc_lo, v[10:11], v[14:15]
	v_cndmask_b32_e32 v3, v3, v9, vcc_lo
	v_dual_cndmask_b32 v1, v1, v7 :: v_dual_cndmask_b32 v0, v0, v6
	v_cndmask_b32_e32 v2, v2, v8, vcc_lo
	v_cndmask_b32_e64 v4, v4, s6, vcc_lo
	s_add_i32 s6, s6, 1
	s_delay_alu instid0(SALU_CYCLE_1)
	s_cmp_lg_u32 s5, s6
	s_cbranch_scc1 .LBB124_225
.LBB124_226:
	s_set_inst_prefetch_distance 0x2
	s_waitcnt lgkmcnt(0)
	v_cmp_eq_f64_e32 vcc_lo, 0, v[0:1]
	v_cmp_eq_f64_e64 s2, 0, v[2:3]
	s_delay_alu instid0(VALU_DEP_1) | instskip(NEXT) | instid1(SALU_CYCLE_1)
	s_and_b32 s2, vcc_lo, s2
	s_and_saveexec_b32 s3, s2
	s_delay_alu instid0(SALU_CYCLE_1)
	s_xor_b32 s2, exec_lo, s3
; %bb.227:
	v_cmp_ne_u32_e32 vcc_lo, 0, v37
	v_cndmask_b32_e32 v37, 10, v37, vcc_lo
; %bb.228:
	s_and_not1_saveexec_b32 s3, s2
	s_cbranch_execz .LBB124_234
; %bb.229:
	v_cmp_gt_f64_e32 vcc_lo, 0, v[0:1]
	v_cmp_gt_f64_e64 s2, 0, v[2:3]
	v_xor_b32_e32 v5, 0x80000000, v1
	v_xor_b32_e32 v7, 0x80000000, v3
	s_delay_alu instid0(VALU_DEP_2) | instskip(NEXT) | instid1(VALU_DEP_2)
	v_dual_cndmask_b32 v6, v1, v5 :: v_dual_cndmask_b32 v5, v0, v0
	v_cndmask_b32_e64 v8, v3, v7, s2
	v_cndmask_b32_e64 v7, v2, v2, s2
	s_mov_b32 s2, exec_lo
	s_delay_alu instid0(VALU_DEP_1)
	v_cmpx_ngt_f64_e32 v[5:6], v[7:8]
	s_xor_b32 s2, exec_lo, s2
	s_cbranch_execz .LBB124_231
; %bb.230:
	v_div_scale_f64 v[5:6], null, v[2:3], v[2:3], v[0:1]
	v_div_scale_f64 v[11:12], vcc_lo, v[0:1], v[2:3], v[0:1]
	s_delay_alu instid0(VALU_DEP_2) | instskip(SKIP_2) | instid1(VALU_DEP_1)
	v_rcp_f64_e32 v[7:8], v[5:6]
	s_waitcnt_depctr 0xfff
	v_fma_f64 v[9:10], -v[5:6], v[7:8], 1.0
	v_fma_f64 v[7:8], v[7:8], v[9:10], v[7:8]
	s_delay_alu instid0(VALU_DEP_1) | instskip(NEXT) | instid1(VALU_DEP_1)
	v_fma_f64 v[9:10], -v[5:6], v[7:8], 1.0
	v_fma_f64 v[7:8], v[7:8], v[9:10], v[7:8]
	s_delay_alu instid0(VALU_DEP_1) | instskip(NEXT) | instid1(VALU_DEP_1)
	v_mul_f64 v[9:10], v[11:12], v[7:8]
	v_fma_f64 v[5:6], -v[5:6], v[9:10], v[11:12]
	s_delay_alu instid0(VALU_DEP_1) | instskip(NEXT) | instid1(VALU_DEP_1)
	v_div_fmas_f64 v[5:6], v[5:6], v[7:8], v[9:10]
	v_div_fixup_f64 v[5:6], v[5:6], v[2:3], v[0:1]
	s_delay_alu instid0(VALU_DEP_1) | instskip(NEXT) | instid1(VALU_DEP_1)
	v_fma_f64 v[0:1], v[0:1], v[5:6], v[2:3]
	v_div_scale_f64 v[2:3], null, v[0:1], v[0:1], 1.0
	s_delay_alu instid0(VALU_DEP_1) | instskip(SKIP_2) | instid1(VALU_DEP_1)
	v_rcp_f64_e32 v[7:8], v[2:3]
	s_waitcnt_depctr 0xfff
	v_fma_f64 v[9:10], -v[2:3], v[7:8], 1.0
	v_fma_f64 v[7:8], v[7:8], v[9:10], v[7:8]
	s_delay_alu instid0(VALU_DEP_1) | instskip(NEXT) | instid1(VALU_DEP_1)
	v_fma_f64 v[9:10], -v[2:3], v[7:8], 1.0
	v_fma_f64 v[7:8], v[7:8], v[9:10], v[7:8]
	v_div_scale_f64 v[9:10], vcc_lo, 1.0, v[0:1], 1.0
	s_delay_alu instid0(VALU_DEP_1) | instskip(NEXT) | instid1(VALU_DEP_1)
	v_mul_f64 v[11:12], v[9:10], v[7:8]
	v_fma_f64 v[2:3], -v[2:3], v[11:12], v[9:10]
	s_delay_alu instid0(VALU_DEP_1) | instskip(NEXT) | instid1(VALU_DEP_1)
	v_div_fmas_f64 v[2:3], v[2:3], v[7:8], v[11:12]
	v_div_fixup_f64 v[2:3], v[2:3], v[0:1], 1.0
	s_delay_alu instid0(VALU_DEP_1)
	v_mul_f64 v[0:1], v[5:6], v[2:3]
	v_xor_b32_e32 v3, 0x80000000, v3
.LBB124_231:
	s_and_not1_saveexec_b32 s2, s2
	s_cbranch_execz .LBB124_233
; %bb.232:
	s_delay_alu instid0(VALU_DEP_1) | instskip(SKIP_1) | instid1(VALU_DEP_2)
	v_div_scale_f64 v[5:6], null, v[0:1], v[0:1], v[2:3]
	v_div_scale_f64 v[11:12], vcc_lo, v[2:3], v[0:1], v[2:3]
	v_rcp_f64_e32 v[7:8], v[5:6]
	s_waitcnt_depctr 0xfff
	v_fma_f64 v[9:10], -v[5:6], v[7:8], 1.0
	s_delay_alu instid0(VALU_DEP_1) | instskip(NEXT) | instid1(VALU_DEP_1)
	v_fma_f64 v[7:8], v[7:8], v[9:10], v[7:8]
	v_fma_f64 v[9:10], -v[5:6], v[7:8], 1.0
	s_delay_alu instid0(VALU_DEP_1) | instskip(NEXT) | instid1(VALU_DEP_1)
	v_fma_f64 v[7:8], v[7:8], v[9:10], v[7:8]
	v_mul_f64 v[9:10], v[11:12], v[7:8]
	s_delay_alu instid0(VALU_DEP_1) | instskip(NEXT) | instid1(VALU_DEP_1)
	v_fma_f64 v[5:6], -v[5:6], v[9:10], v[11:12]
	v_div_fmas_f64 v[5:6], v[5:6], v[7:8], v[9:10]
	s_delay_alu instid0(VALU_DEP_1) | instskip(NEXT) | instid1(VALU_DEP_1)
	v_div_fixup_f64 v[5:6], v[5:6], v[0:1], v[2:3]
	v_fma_f64 v[0:1], v[2:3], v[5:6], v[0:1]
	s_delay_alu instid0(VALU_DEP_1) | instskip(NEXT) | instid1(VALU_DEP_1)
	v_div_scale_f64 v[2:3], null, v[0:1], v[0:1], 1.0
	v_rcp_f64_e32 v[7:8], v[2:3]
	s_waitcnt_depctr 0xfff
	v_fma_f64 v[9:10], -v[2:3], v[7:8], 1.0
	s_delay_alu instid0(VALU_DEP_1) | instskip(NEXT) | instid1(VALU_DEP_1)
	v_fma_f64 v[7:8], v[7:8], v[9:10], v[7:8]
	v_fma_f64 v[9:10], -v[2:3], v[7:8], 1.0
	s_delay_alu instid0(VALU_DEP_1) | instskip(SKIP_1) | instid1(VALU_DEP_1)
	v_fma_f64 v[7:8], v[7:8], v[9:10], v[7:8]
	v_div_scale_f64 v[9:10], vcc_lo, 1.0, v[0:1], 1.0
	v_mul_f64 v[11:12], v[9:10], v[7:8]
	s_delay_alu instid0(VALU_DEP_1) | instskip(NEXT) | instid1(VALU_DEP_1)
	v_fma_f64 v[2:3], -v[2:3], v[11:12], v[9:10]
	v_div_fmas_f64 v[2:3], v[2:3], v[7:8], v[11:12]
	s_delay_alu instid0(VALU_DEP_1) | instskip(NEXT) | instid1(VALU_DEP_1)
	v_div_fixup_f64 v[0:1], v[2:3], v[0:1], 1.0
	v_mul_f64 v[2:3], v[5:6], -v[0:1]
.LBB124_233:
	s_or_b32 exec_lo, exec_lo, s2
.LBB124_234:
	s_delay_alu instid0(SALU_CYCLE_1) | instskip(NEXT) | instid1(SALU_CYCLE_1)
	s_or_b32 exec_lo, exec_lo, s3
	s_mov_b32 s2, exec_lo
	v_cmpx_ne_u32_e64 v40, v4
	s_xor_b32 s2, exec_lo, s2
	s_cbranch_execz .LBB124_240
; %bb.235:
	s_mov_b32 s3, exec_lo
	v_cmpx_eq_u32_e32 9, v40
	s_cbranch_execz .LBB124_239
; %bb.236:
	v_cmp_ne_u32_e32 vcc_lo, 9, v4
	s_xor_b32 s6, s4, -1
	s_delay_alu instid0(SALU_CYCLE_1) | instskip(NEXT) | instid1(SALU_CYCLE_1)
	s_and_b32 s7, s6, vcc_lo
	s_and_saveexec_b32 s6, s7
	s_cbranch_execz .LBB124_238
; %bb.237:
	v_ashrrev_i32_e32 v5, 31, v4
	s_delay_alu instid0(VALU_DEP_1) | instskip(NEXT) | instid1(VALU_DEP_1)
	v_lshlrev_b64 v[5:6], 2, v[4:5]
	v_add_co_u32 v5, vcc_lo, v145, v5
	s_delay_alu instid0(VALU_DEP_2)
	v_add_co_ci_u32_e32 v6, vcc_lo, v146, v6, vcc_lo
	s_clause 0x1
	flat_load_b32 v7, v[5:6]
	flat_load_b32 v8, v[145:146] offset:36
	s_waitcnt vmcnt(1) lgkmcnt(1)
	flat_store_b32 v[145:146], v7 offset:36
	s_waitcnt vmcnt(0) lgkmcnt(1)
	flat_store_b32 v[5:6], v8
.LBB124_238:
	s_or_b32 exec_lo, exec_lo, s6
	v_mov_b32_e32 v40, v4
	v_mov_b32_e32 v39, v4
.LBB124_239:
	s_or_b32 exec_lo, exec_lo, s3
.LBB124_240:
	s_and_not1_saveexec_b32 s2, s2
	s_cbranch_execz .LBB124_246
; %bb.241:
	v_add3_u32 v4, v38, 0, 0xa0
	v_mov_b32_e32 v5, 0
	s_mov_b32 s3, 0
	s_branch .LBB124_243
.LBB124_242:                            ;   in Loop: Header=BB124_243 Depth=1
	s_and_not1_b32 vcc_lo, exec_lo, s7
	s_cbranch_vccz .LBB124_245
.LBB124_243:                            ; =>This Inner Loop Header: Depth=1
	s_delay_alu instid0(VALU_DEP_1) | instskip(SKIP_1) | instid1(VALU_DEP_2)
	v_readfirstlane_b32 s6, v5
	v_add_nc_u32_e32 v6, s3, v4
	s_add_i32 s6, s6, s3
	s_delay_alu instid0(SALU_CYCLE_1)
	s_add_i32 s7, s6, 0xa0
	s_add_i32 s9, s6, 0xb0
	;; [unrolled: 1-line block ×5, first 2 shown]
	s_clause 0x4
	scratch_load_b128 v[7:10], off, s7
	scratch_load_b128 v[11:14], off, s9
	;; [unrolled: 1-line block ×5, first 2 shown]
	s_mov_b32 s7, -1
	s_cmpk_eq_i32 s3, 0x300
	s_waitcnt vmcnt(4)
	ds_store_2addr_b64 v6, v[7:8], v[9:10] offset1:1
	s_waitcnt vmcnt(3)
	ds_store_2addr_b64 v6, v[11:12], v[13:14] offset0:2 offset1:3
	s_waitcnt vmcnt(2)
	ds_store_2addr_b64 v6, v[15:16], v[17:18] offset0:4 offset1:5
	;; [unrolled: 2-line block ×4, first 2 shown]
	s_cbranch_scc1 .LBB124_242
; %bb.244:                              ;   in Loop: Header=BB124_243 Depth=1
	s_add_i32 s7, s6, 0xf0
	s_add_i32 s9, s6, 0x100
	s_addk_i32 s6, 0x110
	s_clause 0x2
	scratch_load_b128 v[7:10], off, s7
	scratch_load_b128 v[11:14], off, s9
	;; [unrolled: 1-line block ×3, first 2 shown]
	s_addk_i32 s3, 0x80
	s_mov_b32 s7, 0
	s_waitcnt vmcnt(2)
	ds_store_2addr_b64 v6, v[7:8], v[9:10] offset0:10 offset1:11
	s_waitcnt vmcnt(1)
	ds_store_2addr_b64 v6, v[11:12], v[13:14] offset0:12 offset1:13
	;; [unrolled: 2-line block ×3, first 2 shown]
	s_branch .LBB124_242
.LBB124_245:
	v_mov_b32_e32 v40, 9
.LBB124_246:
	s_or_b32 exec_lo, exec_lo, s2
	s_delay_alu instid0(SALU_CYCLE_1)
	s_mov_b32 s2, exec_lo
	s_waitcnt lgkmcnt(0)
	s_waitcnt_vscnt null, 0x0
	s_barrier
	buffer_gl0_inv
	v_cmpx_lt_i32_e32 9, v40
	s_cbranch_execz .LBB124_251
; %bb.247:
	scratch_load_b128 v[4:7], off, off offset:144
	s_mov_b32 s3, 0
	s_waitcnt vmcnt(0)
	v_mul_f64 v[8:9], v[2:3], v[6:7]
	v_mul_f64 v[6:7], v[0:1], v[6:7]
	s_delay_alu instid0(VALU_DEP_2) | instskip(NEXT) | instid1(VALU_DEP_2)
	v_fma_f64 v[0:1], v[0:1], v[4:5], -v[8:9]
	v_fma_f64 v[2:3], v[2:3], v[4:5], v[6:7]
	v_add3_u32 v4, v38, 0, 0xa0
	v_mov_b32_e32 v5, 0
	scratch_store_b128 off, v[0:3], off offset:144
	s_branch .LBB124_249
.LBB124_248:                            ;   in Loop: Header=BB124_249 Depth=1
	s_and_not1_b32 vcc_lo, exec_lo, s7
	s_cbranch_vccz .LBB124_251
.LBB124_249:                            ; =>This Inner Loop Header: Depth=1
	v_readfirstlane_b32 s6, v5
	v_add_nc_u32_e32 v6, s3, v4
	s_mov_b32 s7, -1
	s_delay_alu instid0(VALU_DEP_2)
	s_add_i32 s6, s6, s3
	ds_load_2addr_b64 v[11:14], v6 offset1:1
	s_add_i32 s9, s6, 0xa0
	s_cmpk_eq_i32 s3, 0x340
	scratch_load_b128 v[7:10], off, s9
	s_waitcnt lgkmcnt(0)
	v_mul_f64 v[15:16], v[13:14], v[2:3]
	v_mul_f64 v[17:18], v[11:12], v[2:3]
	s_delay_alu instid0(VALU_DEP_2) | instskip(NEXT) | instid1(VALU_DEP_2)
	v_fma_f64 v[11:12], v[11:12], v[0:1], -v[15:16]
	v_fma_f64 v[13:14], v[13:14], v[0:1], v[17:18]
	s_waitcnt vmcnt(0)
	s_delay_alu instid0(VALU_DEP_2) | instskip(NEXT) | instid1(VALU_DEP_2)
	v_add_f64 v[7:8], v[7:8], -v[11:12]
	v_add_f64 v[9:10], v[9:10], -v[13:14]
	scratch_store_b128 off, v[7:10], s9
	s_cbranch_scc1 .LBB124_248
; %bb.250:                              ;   in Loop: Header=BB124_249 Depth=1
	s_add_i32 s9, s6, 0xb0
	s_add_i32 s12, s6, 0xc0
	scratch_load_b128 v[7:10], off, s9
	s_addk_i32 s6, 0xd0
	s_clause 0x1
	scratch_load_b128 v[11:14], off, s12
	scratch_load_b128 v[15:18], off, s6
	ds_load_2addr_b64 v[41:44], v6 offset0:2 offset1:3
	ds_load_2addr_b64 v[53:56], v6 offset0:4 offset1:5
	;; [unrolled: 1-line block ×3, first 2 shown]
	s_add_i32 s3, s3, 64
	s_mov_b32 s7, 0
	s_waitcnt lgkmcnt(2)
	v_mul_f64 v[45:46], v[43:44], v[2:3]
	v_mul_f64 v[49:50], v[41:42], v[2:3]
	s_waitcnt lgkmcnt(1)
	v_mul_f64 v[61:62], v[55:56], v[2:3]
	v_mul_f64 v[65:66], v[53:54], v[2:3]
	;; [unrolled: 3-line block ×3, first 2 shown]
	v_fma_f64 v[41:42], v[41:42], v[0:1], -v[45:46]
	v_fma_f64 v[43:44], v[43:44], v[0:1], v[49:50]
	v_fma_f64 v[45:46], v[53:54], v[0:1], -v[61:62]
	v_fma_f64 v[49:50], v[55:56], v[0:1], v[65:66]
	;; [unrolled: 2-line block ×3, first 2 shown]
	s_waitcnt vmcnt(2)
	v_add_f64 v[6:7], v[7:8], -v[41:42]
	v_add_f64 v[8:9], v[9:10], -v[43:44]
	s_waitcnt vmcnt(1)
	v_add_f64 v[10:11], v[11:12], -v[45:46]
	v_add_f64 v[12:13], v[13:14], -v[49:50]
	;; [unrolled: 3-line block ×3, first 2 shown]
	s_clause 0x2
	scratch_store_b128 off, v[6:9], s9
	scratch_store_b128 off, v[10:13], s12
	;; [unrolled: 1-line block ×3, first 2 shown]
	s_branch .LBB124_248
.LBB124_251:
	s_or_b32 exec_lo, exec_lo, s2
	s_waitcnt_vscnt null, 0x0
	s_barrier
	buffer_gl0_inv
	scratch_load_b128 v[0:3], v34, off
	v_lshl_add_u32 v4, v40, 4, v20
	s_cmp_lt_i32 s5, 12
	s_waitcnt vmcnt(0)
	ds_store_2addr_b64 v4, v[0:1], v[2:3] offset1:1
	s_waitcnt lgkmcnt(0)
	s_barrier
	buffer_gl0_inv
	ds_load_2addr_b64 v[0:3], v20 offset0:20 offset1:21
	v_mov_b32_e32 v4, 10
	s_cbranch_scc1 .LBB124_254
; %bb.252:
	v_add3_u32 v5, v38, 0, 0xb0
	v_mov_b32_e32 v4, 10
	s_mov_b32 s6, 11
	s_set_inst_prefetch_distance 0x1
	.p2align	6
.LBB124_253:                            ; =>This Inner Loop Header: Depth=1
	ds_load_2addr_b64 v[6:9], v5 offset1:1
	s_waitcnt lgkmcnt(1)
	v_cmp_gt_f64_e32 vcc_lo, 0, v[0:1]
	v_xor_b32_e32 v10, 0x80000000, v1
	v_cmp_gt_f64_e64 s2, 0, v[2:3]
	v_xor_b32_e32 v12, 0x80000000, v3
	v_add_nc_u32_e32 v5, 16, v5
	s_waitcnt lgkmcnt(0)
	v_cmp_gt_f64_e64 s3, 0, v[6:7]
	v_mov_b32_e32 v14, v6
	v_dual_mov_b32 v16, v8 :: v_dual_cndmask_b32 v11, v1, v10
	v_xor_b32_e32 v10, 0x80000000, v7
	v_cndmask_b32_e64 v13, v3, v12, s2
	v_xor_b32_e32 v12, 0x80000000, v9
	s_delay_alu instid0(VALU_DEP_3) | instskip(SKIP_2) | instid1(VALU_DEP_2)
	v_cndmask_b32_e64 v15, v7, v10, s3
	v_cmp_gt_f64_e64 s3, 0, v[8:9]
	v_cndmask_b32_e32 v10, v0, v0, vcc_lo
	v_cndmask_b32_e64 v17, v9, v12, s3
	v_cndmask_b32_e64 v12, v2, v2, s2
	s_delay_alu instid0(VALU_DEP_2) | instskip(NEXT) | instid1(VALU_DEP_2)
	v_add_f64 v[14:15], v[14:15], v[16:17]
	v_add_f64 v[10:11], v[10:11], v[12:13]
	s_delay_alu instid0(VALU_DEP_1)
	v_cmp_lt_f64_e32 vcc_lo, v[10:11], v[14:15]
	v_cndmask_b32_e32 v3, v3, v9, vcc_lo
	v_dual_cndmask_b32 v1, v1, v7 :: v_dual_cndmask_b32 v0, v0, v6
	v_cndmask_b32_e32 v2, v2, v8, vcc_lo
	v_cndmask_b32_e64 v4, v4, s6, vcc_lo
	s_add_i32 s6, s6, 1
	s_delay_alu instid0(SALU_CYCLE_1)
	s_cmp_lg_u32 s5, s6
	s_cbranch_scc1 .LBB124_253
.LBB124_254:
	s_set_inst_prefetch_distance 0x2
	s_waitcnt lgkmcnt(0)
	v_cmp_eq_f64_e32 vcc_lo, 0, v[0:1]
	v_cmp_eq_f64_e64 s2, 0, v[2:3]
	s_delay_alu instid0(VALU_DEP_1) | instskip(NEXT) | instid1(SALU_CYCLE_1)
	s_and_b32 s2, vcc_lo, s2
	s_and_saveexec_b32 s3, s2
	s_delay_alu instid0(SALU_CYCLE_1)
	s_xor_b32 s2, exec_lo, s3
; %bb.255:
	v_cmp_ne_u32_e32 vcc_lo, 0, v37
	v_cndmask_b32_e32 v37, 11, v37, vcc_lo
; %bb.256:
	s_and_not1_saveexec_b32 s3, s2
	s_cbranch_execz .LBB124_262
; %bb.257:
	v_cmp_gt_f64_e32 vcc_lo, 0, v[0:1]
	v_cmp_gt_f64_e64 s2, 0, v[2:3]
	v_xor_b32_e32 v5, 0x80000000, v1
	v_xor_b32_e32 v7, 0x80000000, v3
	s_delay_alu instid0(VALU_DEP_2) | instskip(NEXT) | instid1(VALU_DEP_2)
	v_dual_cndmask_b32 v6, v1, v5 :: v_dual_cndmask_b32 v5, v0, v0
	v_cndmask_b32_e64 v8, v3, v7, s2
	v_cndmask_b32_e64 v7, v2, v2, s2
	s_mov_b32 s2, exec_lo
	s_delay_alu instid0(VALU_DEP_1)
	v_cmpx_ngt_f64_e32 v[5:6], v[7:8]
	s_xor_b32 s2, exec_lo, s2
	s_cbranch_execz .LBB124_259
; %bb.258:
	v_div_scale_f64 v[5:6], null, v[2:3], v[2:3], v[0:1]
	v_div_scale_f64 v[11:12], vcc_lo, v[0:1], v[2:3], v[0:1]
	s_delay_alu instid0(VALU_DEP_2) | instskip(SKIP_2) | instid1(VALU_DEP_1)
	v_rcp_f64_e32 v[7:8], v[5:6]
	s_waitcnt_depctr 0xfff
	v_fma_f64 v[9:10], -v[5:6], v[7:8], 1.0
	v_fma_f64 v[7:8], v[7:8], v[9:10], v[7:8]
	s_delay_alu instid0(VALU_DEP_1) | instskip(NEXT) | instid1(VALU_DEP_1)
	v_fma_f64 v[9:10], -v[5:6], v[7:8], 1.0
	v_fma_f64 v[7:8], v[7:8], v[9:10], v[7:8]
	s_delay_alu instid0(VALU_DEP_1) | instskip(NEXT) | instid1(VALU_DEP_1)
	v_mul_f64 v[9:10], v[11:12], v[7:8]
	v_fma_f64 v[5:6], -v[5:6], v[9:10], v[11:12]
	s_delay_alu instid0(VALU_DEP_1) | instskip(NEXT) | instid1(VALU_DEP_1)
	v_div_fmas_f64 v[5:6], v[5:6], v[7:8], v[9:10]
	v_div_fixup_f64 v[5:6], v[5:6], v[2:3], v[0:1]
	s_delay_alu instid0(VALU_DEP_1) | instskip(NEXT) | instid1(VALU_DEP_1)
	v_fma_f64 v[0:1], v[0:1], v[5:6], v[2:3]
	v_div_scale_f64 v[2:3], null, v[0:1], v[0:1], 1.0
	s_delay_alu instid0(VALU_DEP_1) | instskip(SKIP_2) | instid1(VALU_DEP_1)
	v_rcp_f64_e32 v[7:8], v[2:3]
	s_waitcnt_depctr 0xfff
	v_fma_f64 v[9:10], -v[2:3], v[7:8], 1.0
	v_fma_f64 v[7:8], v[7:8], v[9:10], v[7:8]
	s_delay_alu instid0(VALU_DEP_1) | instskip(NEXT) | instid1(VALU_DEP_1)
	v_fma_f64 v[9:10], -v[2:3], v[7:8], 1.0
	v_fma_f64 v[7:8], v[7:8], v[9:10], v[7:8]
	v_div_scale_f64 v[9:10], vcc_lo, 1.0, v[0:1], 1.0
	s_delay_alu instid0(VALU_DEP_1) | instskip(NEXT) | instid1(VALU_DEP_1)
	v_mul_f64 v[11:12], v[9:10], v[7:8]
	v_fma_f64 v[2:3], -v[2:3], v[11:12], v[9:10]
	s_delay_alu instid0(VALU_DEP_1) | instskip(NEXT) | instid1(VALU_DEP_1)
	v_div_fmas_f64 v[2:3], v[2:3], v[7:8], v[11:12]
	v_div_fixup_f64 v[2:3], v[2:3], v[0:1], 1.0
	s_delay_alu instid0(VALU_DEP_1)
	v_mul_f64 v[0:1], v[5:6], v[2:3]
	v_xor_b32_e32 v3, 0x80000000, v3
.LBB124_259:
	s_and_not1_saveexec_b32 s2, s2
	s_cbranch_execz .LBB124_261
; %bb.260:
	s_delay_alu instid0(VALU_DEP_1) | instskip(SKIP_1) | instid1(VALU_DEP_2)
	v_div_scale_f64 v[5:6], null, v[0:1], v[0:1], v[2:3]
	v_div_scale_f64 v[11:12], vcc_lo, v[2:3], v[0:1], v[2:3]
	v_rcp_f64_e32 v[7:8], v[5:6]
	s_waitcnt_depctr 0xfff
	v_fma_f64 v[9:10], -v[5:6], v[7:8], 1.0
	s_delay_alu instid0(VALU_DEP_1) | instskip(NEXT) | instid1(VALU_DEP_1)
	v_fma_f64 v[7:8], v[7:8], v[9:10], v[7:8]
	v_fma_f64 v[9:10], -v[5:6], v[7:8], 1.0
	s_delay_alu instid0(VALU_DEP_1) | instskip(NEXT) | instid1(VALU_DEP_1)
	v_fma_f64 v[7:8], v[7:8], v[9:10], v[7:8]
	v_mul_f64 v[9:10], v[11:12], v[7:8]
	s_delay_alu instid0(VALU_DEP_1) | instskip(NEXT) | instid1(VALU_DEP_1)
	v_fma_f64 v[5:6], -v[5:6], v[9:10], v[11:12]
	v_div_fmas_f64 v[5:6], v[5:6], v[7:8], v[9:10]
	s_delay_alu instid0(VALU_DEP_1) | instskip(NEXT) | instid1(VALU_DEP_1)
	v_div_fixup_f64 v[5:6], v[5:6], v[0:1], v[2:3]
	v_fma_f64 v[0:1], v[2:3], v[5:6], v[0:1]
	s_delay_alu instid0(VALU_DEP_1) | instskip(NEXT) | instid1(VALU_DEP_1)
	v_div_scale_f64 v[2:3], null, v[0:1], v[0:1], 1.0
	v_rcp_f64_e32 v[7:8], v[2:3]
	s_waitcnt_depctr 0xfff
	v_fma_f64 v[9:10], -v[2:3], v[7:8], 1.0
	s_delay_alu instid0(VALU_DEP_1) | instskip(NEXT) | instid1(VALU_DEP_1)
	v_fma_f64 v[7:8], v[7:8], v[9:10], v[7:8]
	v_fma_f64 v[9:10], -v[2:3], v[7:8], 1.0
	s_delay_alu instid0(VALU_DEP_1) | instskip(SKIP_1) | instid1(VALU_DEP_1)
	v_fma_f64 v[7:8], v[7:8], v[9:10], v[7:8]
	v_div_scale_f64 v[9:10], vcc_lo, 1.0, v[0:1], 1.0
	v_mul_f64 v[11:12], v[9:10], v[7:8]
	s_delay_alu instid0(VALU_DEP_1) | instskip(NEXT) | instid1(VALU_DEP_1)
	v_fma_f64 v[2:3], -v[2:3], v[11:12], v[9:10]
	v_div_fmas_f64 v[2:3], v[2:3], v[7:8], v[11:12]
	s_delay_alu instid0(VALU_DEP_1) | instskip(NEXT) | instid1(VALU_DEP_1)
	v_div_fixup_f64 v[0:1], v[2:3], v[0:1], 1.0
	v_mul_f64 v[2:3], v[5:6], -v[0:1]
.LBB124_261:
	s_or_b32 exec_lo, exec_lo, s2
.LBB124_262:
	s_delay_alu instid0(SALU_CYCLE_1) | instskip(NEXT) | instid1(SALU_CYCLE_1)
	s_or_b32 exec_lo, exec_lo, s3
	s_mov_b32 s2, exec_lo
	v_cmpx_ne_u32_e64 v40, v4
	s_xor_b32 s2, exec_lo, s2
	s_cbranch_execz .LBB124_268
; %bb.263:
	s_mov_b32 s3, exec_lo
	v_cmpx_eq_u32_e32 10, v40
	s_cbranch_execz .LBB124_267
; %bb.264:
	v_cmp_ne_u32_e32 vcc_lo, 10, v4
	s_xor_b32 s6, s4, -1
	s_delay_alu instid0(SALU_CYCLE_1) | instskip(NEXT) | instid1(SALU_CYCLE_1)
	s_and_b32 s7, s6, vcc_lo
	s_and_saveexec_b32 s6, s7
	s_cbranch_execz .LBB124_266
; %bb.265:
	v_ashrrev_i32_e32 v5, 31, v4
	s_delay_alu instid0(VALU_DEP_1) | instskip(NEXT) | instid1(VALU_DEP_1)
	v_lshlrev_b64 v[5:6], 2, v[4:5]
	v_add_co_u32 v5, vcc_lo, v145, v5
	s_delay_alu instid0(VALU_DEP_2)
	v_add_co_ci_u32_e32 v6, vcc_lo, v146, v6, vcc_lo
	s_clause 0x1
	flat_load_b32 v7, v[5:6]
	flat_load_b32 v8, v[145:146] offset:40
	s_waitcnt vmcnt(1) lgkmcnt(1)
	flat_store_b32 v[145:146], v7 offset:40
	s_waitcnt vmcnt(0) lgkmcnt(1)
	flat_store_b32 v[5:6], v8
.LBB124_266:
	s_or_b32 exec_lo, exec_lo, s6
	v_mov_b32_e32 v40, v4
	v_mov_b32_e32 v39, v4
.LBB124_267:
	s_or_b32 exec_lo, exec_lo, s3
.LBB124_268:
	s_and_not1_saveexec_b32 s2, s2
	s_cbranch_execz .LBB124_272
; %bb.269:
	v_add3_u32 v4, v38, 0, 0xb0
	v_mov_b32_e32 v5, 0
	s_mov_b32 s3, 0
.LBB124_270:                            ; =>This Inner Loop Header: Depth=1
	s_delay_alu instid0(VALU_DEP_1) | instskip(NEXT) | instid1(VALU_DEP_3)
	v_readfirstlane_b32 s6, v5
	v_add_nc_u32_e32 v18, s3, v4
	s_delay_alu instid0(VALU_DEP_2)
	s_add_i32 s6, s6, s3
	s_addk_i32 s3, 0xd0
	s_add_i32 s7, s6, 0xb0
	s_add_i32 s9, s6, 0xc0
	;; [unrolled: 1-line block ×12, first 2 shown]
	s_addk_i32 s6, 0x170
	s_clause 0xc
	scratch_load_b128 v[6:9], off, s7
	scratch_load_b128 v[10:13], off, s9
	;; [unrolled: 1-line block ×13, first 2 shown]
	s_cmpk_eq_i32 s3, 0x340
	s_waitcnt vmcnt(12)
	ds_store_2addr_b64 v18, v[6:7], v[8:9] offset1:1
	s_waitcnt vmcnt(11)
	ds_store_2addr_b64 v18, v[10:11], v[12:13] offset0:2 offset1:3
	s_waitcnt vmcnt(10)
	ds_store_2addr_b64 v18, v[14:15], v[16:17] offset0:4 offset1:5
	;; [unrolled: 2-line block ×12, first 2 shown]
	s_cbranch_scc0 .LBB124_270
; %bb.271:
	v_mov_b32_e32 v40, 10
.LBB124_272:
	s_or_b32 exec_lo, exec_lo, s2
	s_delay_alu instid0(SALU_CYCLE_1)
	s_mov_b32 s2, exec_lo
	s_waitcnt lgkmcnt(0)
	s_waitcnt_vscnt null, 0x0
	s_barrier
	buffer_gl0_inv
	v_cmpx_lt_i32_e32 10, v40
	s_cbranch_execz .LBB124_275
; %bb.273:
	scratch_load_b128 v[4:7], off, off offset:160
	s_mov_b32 s3, 0
	s_waitcnt vmcnt(0)
	v_mul_f64 v[8:9], v[2:3], v[6:7]
	v_mul_f64 v[6:7], v[0:1], v[6:7]
	s_delay_alu instid0(VALU_DEP_2) | instskip(NEXT) | instid1(VALU_DEP_2)
	v_fma_f64 v[0:1], v[0:1], v[4:5], -v[8:9]
	v_fma_f64 v[2:3], v[2:3], v[4:5], v[6:7]
	v_add3_u32 v4, v38, 0, 0xb0
	v_mov_b32_e32 v5, 0
	scratch_store_b128 off, v[0:3], off offset:160
.LBB124_274:                            ; =>This Inner Loop Header: Depth=1
	v_readfirstlane_b32 s6, v5
	v_add_nc_u32_e32 v18, s3, v4
	s_delay_alu instid0(VALU_DEP_2)
	s_add_i32 s6, s6, s3
	s_add_i32 s3, s3, 64
	;; [unrolled: 1-line block ×5, first 2 shown]
	s_addk_i32 s6, 0xe0
	s_clause 0x3
	scratch_load_b128 v[6:9], off, s7
	scratch_load_b128 v[10:13], off, s9
	scratch_load_b128 v[14:17], off, s12
	scratch_load_b128 v[41:44], off, s6
	ds_load_2addr_b64 v[53:56], v18 offset1:1
	ds_load_2addr_b64 v[57:60], v18 offset0:2 offset1:3
	ds_load_2addr_b64 v[65:68], v18 offset0:4 offset1:5
	;; [unrolled: 1-line block ×3, first 2 shown]
	s_cmpk_lg_i32 s3, 0x340
	s_waitcnt lgkmcnt(3)
	v_mul_f64 v[18:19], v[55:56], v[2:3]
	v_mul_f64 v[45:46], v[53:54], v[2:3]
	s_waitcnt lgkmcnt(2)
	v_mul_f64 v[49:50], v[59:60], v[2:3]
	v_mul_f64 v[61:62], v[57:58], v[2:3]
	;; [unrolled: 3-line block ×4, first 2 shown]
	v_fma_f64 v[18:19], v[53:54], v[0:1], -v[18:19]
	v_fma_f64 v[45:46], v[55:56], v[0:1], v[45:46]
	v_fma_f64 v[49:50], v[57:58], v[0:1], -v[49:50]
	v_fma_f64 v[53:54], v[59:60], v[0:1], v[61:62]
	;; [unrolled: 2-line block ×4, first 2 shown]
	s_waitcnt vmcnt(3)
	v_add_f64 v[6:7], v[6:7], -v[18:19]
	v_add_f64 v[8:9], v[8:9], -v[45:46]
	s_waitcnt vmcnt(2)
	v_add_f64 v[10:11], v[10:11], -v[49:50]
	v_add_f64 v[12:13], v[12:13], -v[53:54]
	;; [unrolled: 3-line block ×4, first 2 shown]
	s_clause 0x3
	scratch_store_b128 off, v[6:9], s7
	scratch_store_b128 off, v[10:13], s9
	;; [unrolled: 1-line block ×4, first 2 shown]
	s_cbranch_scc1 .LBB124_274
.LBB124_275:
	s_or_b32 exec_lo, exec_lo, s2
	s_waitcnt_vscnt null, 0x0
	s_barrier
	buffer_gl0_inv
	scratch_load_b128 v[0:3], v33, off
	v_lshl_add_u32 v4, v40, 4, v20
	s_cmp_lt_i32 s5, 13
	s_waitcnt vmcnt(0)
	ds_store_2addr_b64 v4, v[0:1], v[2:3] offset1:1
	s_waitcnt lgkmcnt(0)
	s_barrier
	buffer_gl0_inv
	ds_load_2addr_b64 v[0:3], v20 offset0:22 offset1:23
	v_mov_b32_e32 v4, 11
	s_cbranch_scc1 .LBB124_278
; %bb.276:
	v_add3_u32 v5, v38, 0, 0xc0
	v_mov_b32_e32 v4, 11
	s_mov_b32 s6, 12
	s_set_inst_prefetch_distance 0x1
	.p2align	6
.LBB124_277:                            ; =>This Inner Loop Header: Depth=1
	ds_load_2addr_b64 v[6:9], v5 offset1:1
	s_waitcnt lgkmcnt(1)
	v_cmp_gt_f64_e32 vcc_lo, 0, v[0:1]
	v_xor_b32_e32 v10, 0x80000000, v1
	v_cmp_gt_f64_e64 s2, 0, v[2:3]
	v_xor_b32_e32 v12, 0x80000000, v3
	v_add_nc_u32_e32 v5, 16, v5
	s_waitcnt lgkmcnt(0)
	v_cmp_gt_f64_e64 s3, 0, v[6:7]
	v_mov_b32_e32 v14, v6
	v_dual_mov_b32 v16, v8 :: v_dual_cndmask_b32 v11, v1, v10
	v_xor_b32_e32 v10, 0x80000000, v7
	v_cndmask_b32_e64 v13, v3, v12, s2
	v_xor_b32_e32 v12, 0x80000000, v9
	s_delay_alu instid0(VALU_DEP_3) | instskip(SKIP_2) | instid1(VALU_DEP_2)
	v_cndmask_b32_e64 v15, v7, v10, s3
	v_cmp_gt_f64_e64 s3, 0, v[8:9]
	v_cndmask_b32_e32 v10, v0, v0, vcc_lo
	v_cndmask_b32_e64 v17, v9, v12, s3
	v_cndmask_b32_e64 v12, v2, v2, s2
	s_delay_alu instid0(VALU_DEP_2) | instskip(NEXT) | instid1(VALU_DEP_2)
	v_add_f64 v[14:15], v[14:15], v[16:17]
	v_add_f64 v[10:11], v[10:11], v[12:13]
	s_delay_alu instid0(VALU_DEP_1)
	v_cmp_lt_f64_e32 vcc_lo, v[10:11], v[14:15]
	v_cndmask_b32_e32 v3, v3, v9, vcc_lo
	v_dual_cndmask_b32 v1, v1, v7 :: v_dual_cndmask_b32 v0, v0, v6
	v_cndmask_b32_e32 v2, v2, v8, vcc_lo
	v_cndmask_b32_e64 v4, v4, s6, vcc_lo
	s_add_i32 s6, s6, 1
	s_delay_alu instid0(SALU_CYCLE_1)
	s_cmp_lg_u32 s5, s6
	s_cbranch_scc1 .LBB124_277
.LBB124_278:
	s_set_inst_prefetch_distance 0x2
	s_waitcnt lgkmcnt(0)
	v_cmp_eq_f64_e32 vcc_lo, 0, v[0:1]
	v_cmp_eq_f64_e64 s2, 0, v[2:3]
	s_delay_alu instid0(VALU_DEP_1) | instskip(NEXT) | instid1(SALU_CYCLE_1)
	s_and_b32 s2, vcc_lo, s2
	s_and_saveexec_b32 s3, s2
	s_delay_alu instid0(SALU_CYCLE_1)
	s_xor_b32 s2, exec_lo, s3
; %bb.279:
	v_cmp_ne_u32_e32 vcc_lo, 0, v37
	v_cndmask_b32_e32 v37, 12, v37, vcc_lo
; %bb.280:
	s_and_not1_saveexec_b32 s3, s2
	s_cbranch_execz .LBB124_286
; %bb.281:
	v_cmp_gt_f64_e32 vcc_lo, 0, v[0:1]
	v_cmp_gt_f64_e64 s2, 0, v[2:3]
	v_xor_b32_e32 v5, 0x80000000, v1
	v_xor_b32_e32 v7, 0x80000000, v3
	s_delay_alu instid0(VALU_DEP_2) | instskip(NEXT) | instid1(VALU_DEP_2)
	v_dual_cndmask_b32 v6, v1, v5 :: v_dual_cndmask_b32 v5, v0, v0
	v_cndmask_b32_e64 v8, v3, v7, s2
	v_cndmask_b32_e64 v7, v2, v2, s2
	s_mov_b32 s2, exec_lo
	s_delay_alu instid0(VALU_DEP_1)
	v_cmpx_ngt_f64_e32 v[5:6], v[7:8]
	s_xor_b32 s2, exec_lo, s2
	s_cbranch_execz .LBB124_283
; %bb.282:
	v_div_scale_f64 v[5:6], null, v[2:3], v[2:3], v[0:1]
	v_div_scale_f64 v[11:12], vcc_lo, v[0:1], v[2:3], v[0:1]
	s_delay_alu instid0(VALU_DEP_2) | instskip(SKIP_2) | instid1(VALU_DEP_1)
	v_rcp_f64_e32 v[7:8], v[5:6]
	s_waitcnt_depctr 0xfff
	v_fma_f64 v[9:10], -v[5:6], v[7:8], 1.0
	v_fma_f64 v[7:8], v[7:8], v[9:10], v[7:8]
	s_delay_alu instid0(VALU_DEP_1) | instskip(NEXT) | instid1(VALU_DEP_1)
	v_fma_f64 v[9:10], -v[5:6], v[7:8], 1.0
	v_fma_f64 v[7:8], v[7:8], v[9:10], v[7:8]
	s_delay_alu instid0(VALU_DEP_1) | instskip(NEXT) | instid1(VALU_DEP_1)
	v_mul_f64 v[9:10], v[11:12], v[7:8]
	v_fma_f64 v[5:6], -v[5:6], v[9:10], v[11:12]
	s_delay_alu instid0(VALU_DEP_1) | instskip(NEXT) | instid1(VALU_DEP_1)
	v_div_fmas_f64 v[5:6], v[5:6], v[7:8], v[9:10]
	v_div_fixup_f64 v[5:6], v[5:6], v[2:3], v[0:1]
	s_delay_alu instid0(VALU_DEP_1) | instskip(NEXT) | instid1(VALU_DEP_1)
	v_fma_f64 v[0:1], v[0:1], v[5:6], v[2:3]
	v_div_scale_f64 v[2:3], null, v[0:1], v[0:1], 1.0
	s_delay_alu instid0(VALU_DEP_1) | instskip(SKIP_2) | instid1(VALU_DEP_1)
	v_rcp_f64_e32 v[7:8], v[2:3]
	s_waitcnt_depctr 0xfff
	v_fma_f64 v[9:10], -v[2:3], v[7:8], 1.0
	v_fma_f64 v[7:8], v[7:8], v[9:10], v[7:8]
	s_delay_alu instid0(VALU_DEP_1) | instskip(NEXT) | instid1(VALU_DEP_1)
	v_fma_f64 v[9:10], -v[2:3], v[7:8], 1.0
	v_fma_f64 v[7:8], v[7:8], v[9:10], v[7:8]
	v_div_scale_f64 v[9:10], vcc_lo, 1.0, v[0:1], 1.0
	s_delay_alu instid0(VALU_DEP_1) | instskip(NEXT) | instid1(VALU_DEP_1)
	v_mul_f64 v[11:12], v[9:10], v[7:8]
	v_fma_f64 v[2:3], -v[2:3], v[11:12], v[9:10]
	s_delay_alu instid0(VALU_DEP_1) | instskip(NEXT) | instid1(VALU_DEP_1)
	v_div_fmas_f64 v[2:3], v[2:3], v[7:8], v[11:12]
	v_div_fixup_f64 v[2:3], v[2:3], v[0:1], 1.0
	s_delay_alu instid0(VALU_DEP_1)
	v_mul_f64 v[0:1], v[5:6], v[2:3]
	v_xor_b32_e32 v3, 0x80000000, v3
.LBB124_283:
	s_and_not1_saveexec_b32 s2, s2
	s_cbranch_execz .LBB124_285
; %bb.284:
	s_delay_alu instid0(VALU_DEP_1) | instskip(SKIP_1) | instid1(VALU_DEP_2)
	v_div_scale_f64 v[5:6], null, v[0:1], v[0:1], v[2:3]
	v_div_scale_f64 v[11:12], vcc_lo, v[2:3], v[0:1], v[2:3]
	v_rcp_f64_e32 v[7:8], v[5:6]
	s_waitcnt_depctr 0xfff
	v_fma_f64 v[9:10], -v[5:6], v[7:8], 1.0
	s_delay_alu instid0(VALU_DEP_1) | instskip(NEXT) | instid1(VALU_DEP_1)
	v_fma_f64 v[7:8], v[7:8], v[9:10], v[7:8]
	v_fma_f64 v[9:10], -v[5:6], v[7:8], 1.0
	s_delay_alu instid0(VALU_DEP_1) | instskip(NEXT) | instid1(VALU_DEP_1)
	v_fma_f64 v[7:8], v[7:8], v[9:10], v[7:8]
	v_mul_f64 v[9:10], v[11:12], v[7:8]
	s_delay_alu instid0(VALU_DEP_1) | instskip(NEXT) | instid1(VALU_DEP_1)
	v_fma_f64 v[5:6], -v[5:6], v[9:10], v[11:12]
	v_div_fmas_f64 v[5:6], v[5:6], v[7:8], v[9:10]
	s_delay_alu instid0(VALU_DEP_1) | instskip(NEXT) | instid1(VALU_DEP_1)
	v_div_fixup_f64 v[5:6], v[5:6], v[0:1], v[2:3]
	v_fma_f64 v[0:1], v[2:3], v[5:6], v[0:1]
	s_delay_alu instid0(VALU_DEP_1) | instskip(NEXT) | instid1(VALU_DEP_1)
	v_div_scale_f64 v[2:3], null, v[0:1], v[0:1], 1.0
	v_rcp_f64_e32 v[7:8], v[2:3]
	s_waitcnt_depctr 0xfff
	v_fma_f64 v[9:10], -v[2:3], v[7:8], 1.0
	s_delay_alu instid0(VALU_DEP_1) | instskip(NEXT) | instid1(VALU_DEP_1)
	v_fma_f64 v[7:8], v[7:8], v[9:10], v[7:8]
	v_fma_f64 v[9:10], -v[2:3], v[7:8], 1.0
	s_delay_alu instid0(VALU_DEP_1) | instskip(SKIP_1) | instid1(VALU_DEP_1)
	v_fma_f64 v[7:8], v[7:8], v[9:10], v[7:8]
	v_div_scale_f64 v[9:10], vcc_lo, 1.0, v[0:1], 1.0
	v_mul_f64 v[11:12], v[9:10], v[7:8]
	s_delay_alu instid0(VALU_DEP_1) | instskip(NEXT) | instid1(VALU_DEP_1)
	v_fma_f64 v[2:3], -v[2:3], v[11:12], v[9:10]
	v_div_fmas_f64 v[2:3], v[2:3], v[7:8], v[11:12]
	s_delay_alu instid0(VALU_DEP_1) | instskip(NEXT) | instid1(VALU_DEP_1)
	v_div_fixup_f64 v[0:1], v[2:3], v[0:1], 1.0
	v_mul_f64 v[2:3], v[5:6], -v[0:1]
.LBB124_285:
	s_or_b32 exec_lo, exec_lo, s2
.LBB124_286:
	s_delay_alu instid0(SALU_CYCLE_1) | instskip(NEXT) | instid1(SALU_CYCLE_1)
	s_or_b32 exec_lo, exec_lo, s3
	s_mov_b32 s2, exec_lo
	v_cmpx_ne_u32_e64 v40, v4
	s_xor_b32 s2, exec_lo, s2
	s_cbranch_execz .LBB124_292
; %bb.287:
	s_mov_b32 s3, exec_lo
	v_cmpx_eq_u32_e32 11, v40
	s_cbranch_execz .LBB124_291
; %bb.288:
	v_cmp_ne_u32_e32 vcc_lo, 11, v4
	s_xor_b32 s6, s4, -1
	s_delay_alu instid0(SALU_CYCLE_1) | instskip(NEXT) | instid1(SALU_CYCLE_1)
	s_and_b32 s7, s6, vcc_lo
	s_and_saveexec_b32 s6, s7
	s_cbranch_execz .LBB124_290
; %bb.289:
	v_ashrrev_i32_e32 v5, 31, v4
	s_delay_alu instid0(VALU_DEP_1) | instskip(NEXT) | instid1(VALU_DEP_1)
	v_lshlrev_b64 v[5:6], 2, v[4:5]
	v_add_co_u32 v5, vcc_lo, v145, v5
	s_delay_alu instid0(VALU_DEP_2)
	v_add_co_ci_u32_e32 v6, vcc_lo, v146, v6, vcc_lo
	s_clause 0x1
	flat_load_b32 v7, v[5:6]
	flat_load_b32 v8, v[145:146] offset:44
	s_waitcnt vmcnt(1) lgkmcnt(1)
	flat_store_b32 v[145:146], v7 offset:44
	s_waitcnt vmcnt(0) lgkmcnt(1)
	flat_store_b32 v[5:6], v8
.LBB124_290:
	s_or_b32 exec_lo, exec_lo, s6
	v_mov_b32_e32 v40, v4
	v_mov_b32_e32 v39, v4
.LBB124_291:
	s_or_b32 exec_lo, exec_lo, s3
.LBB124_292:
	s_and_not1_saveexec_b32 s2, s2
	s_cbranch_execz .LBB124_296
; %bb.293:
	v_add3_u32 v4, v38, 0, 0xc0
	v_mov_b32_e32 v5, 0
	s_mov_b32 s3, 0
.LBB124_294:                            ; =>This Inner Loop Header: Depth=1
	s_delay_alu instid0(VALU_DEP_1) | instskip(NEXT) | instid1(VALU_DEP_3)
	v_readfirstlane_b32 s6, v5
	v_add_nc_u32_e32 v18, s3, v4
	s_delay_alu instid0(VALU_DEP_2)
	s_add_i32 s6, s6, s3
	s_addk_i32 s3, 0x110
	s_add_i32 s7, s6, 0xc0
	s_add_i32 s9, s6, 0xd0
	s_add_i32 s12, s6, 0xe0
	s_add_i32 s14, s6, 0xf0
	s_add_i32 s15, s6, 0x100
	s_add_i32 s16, s6, 0x110
	s_add_i32 s17, s6, 0x120
	s_add_i32 s18, s6, 0x130
	s_add_i32 s19, s6, 0x140
	s_add_i32 s20, s6, 0x150
	s_add_i32 s21, s6, 0x160
	s_add_i32 s22, s6, 0x170
	s_add_i32 s23, s6, 0x180
	s_add_i32 s24, s6, 0x190
	s_add_i32 s25, s6, 0x1a0
	s_add_i32 s26, s6, 0x1b0
	s_addk_i32 s6, 0x1c0
	s_clause 0x10
	scratch_load_b128 v[6:9], off, s7
	scratch_load_b128 v[10:13], off, s9
	;; [unrolled: 1-line block ×17, first 2 shown]
	s_cmpk_eq_i32 s3, 0x330
	s_waitcnt vmcnt(16)
	ds_store_2addr_b64 v18, v[6:7], v[8:9] offset1:1
	s_waitcnt vmcnt(15)
	ds_store_2addr_b64 v18, v[10:11], v[12:13] offset0:2 offset1:3
	s_waitcnt vmcnt(14)
	ds_store_2addr_b64 v18, v[14:15], v[16:17] offset0:4 offset1:5
	;; [unrolled: 2-line block ×16, first 2 shown]
	s_cbranch_scc0 .LBB124_294
; %bb.295:
	v_mov_b32_e32 v40, 11
.LBB124_296:
	s_or_b32 exec_lo, exec_lo, s2
	s_delay_alu instid0(SALU_CYCLE_1)
	s_mov_b32 s2, exec_lo
	s_waitcnt lgkmcnt(0)
	s_waitcnt_vscnt null, 0x0
	s_barrier
	buffer_gl0_inv
	v_cmpx_lt_i32_e32 11, v40
	s_cbranch_execz .LBB124_299
; %bb.297:
	scratch_load_b128 v[4:7], off, off offset:176
	s_mov_b32 s3, 0
	s_waitcnt vmcnt(0)
	v_mul_f64 v[8:9], v[2:3], v[6:7]
	v_mul_f64 v[6:7], v[0:1], v[6:7]
	s_delay_alu instid0(VALU_DEP_2) | instskip(NEXT) | instid1(VALU_DEP_2)
	v_fma_f64 v[0:1], v[0:1], v[4:5], -v[8:9]
	v_fma_f64 v[2:3], v[2:3], v[4:5], v[6:7]
	v_add3_u32 v4, v38, 0, 0xc0
	v_mov_b32_e32 v5, 0
	scratch_store_b128 off, v[0:3], off offset:176
.LBB124_298:                            ; =>This Inner Loop Header: Depth=1
	v_readfirstlane_b32 s6, v5
	v_add_nc_u32_e32 v18, s3, v4
	s_delay_alu instid0(VALU_DEP_2)
	s_add_i32 s6, s6, s3
	s_add_i32 s3, s3, 48
	;; [unrolled: 1-line block ×4, first 2 shown]
	s_addk_i32 s6, 0xe0
	s_clause 0x2
	scratch_load_b128 v[6:9], off, s7
	scratch_load_b128 v[10:13], off, s9
	scratch_load_b128 v[14:17], off, s6
	ds_load_2addr_b64 v[41:44], v18 offset1:1
	ds_load_2addr_b64 v[53:56], v18 offset0:2 offset1:3
	ds_load_2addr_b64 v[57:60], v18 offset0:4 offset1:5
	s_cmpk_lg_i32 s3, 0x330
	s_waitcnt lgkmcnt(2)
	v_mul_f64 v[18:19], v[43:44], v[2:3]
	v_mul_f64 v[45:46], v[41:42], v[2:3]
	s_waitcnt lgkmcnt(1)
	v_mul_f64 v[49:50], v[55:56], v[2:3]
	v_mul_f64 v[61:62], v[53:54], v[2:3]
	;; [unrolled: 3-line block ×3, first 2 shown]
	v_fma_f64 v[18:19], v[41:42], v[0:1], -v[18:19]
	v_fma_f64 v[41:42], v[43:44], v[0:1], v[45:46]
	v_fma_f64 v[43:44], v[53:54], v[0:1], -v[49:50]
	v_fma_f64 v[45:46], v[55:56], v[0:1], v[61:62]
	;; [unrolled: 2-line block ×3, first 2 shown]
	s_waitcnt vmcnt(2)
	v_add_f64 v[6:7], v[6:7], -v[18:19]
	v_add_f64 v[8:9], v[8:9], -v[41:42]
	s_waitcnt vmcnt(1)
	v_add_f64 v[10:11], v[10:11], -v[43:44]
	v_add_f64 v[12:13], v[12:13], -v[45:46]
	;; [unrolled: 3-line block ×3, first 2 shown]
	s_clause 0x2
	scratch_store_b128 off, v[6:9], s7
	scratch_store_b128 off, v[10:13], s9
	scratch_store_b128 off, v[14:17], s6
	s_cbranch_scc1 .LBB124_298
.LBB124_299:
	s_or_b32 exec_lo, exec_lo, s2
	s_waitcnt_vscnt null, 0x0
	s_barrier
	buffer_gl0_inv
	scratch_load_b128 v[0:3], v23, off
	v_lshl_add_u32 v4, v40, 4, v20
	s_cmp_lt_i32 s5, 14
	s_waitcnt vmcnt(0)
	ds_store_2addr_b64 v4, v[0:1], v[2:3] offset1:1
	s_waitcnt lgkmcnt(0)
	s_barrier
	buffer_gl0_inv
	ds_load_2addr_b64 v[0:3], v20 offset0:24 offset1:25
	v_mov_b32_e32 v4, 12
	s_cbranch_scc1 .LBB124_302
; %bb.300:
	v_add3_u32 v5, v38, 0, 0xd0
	v_mov_b32_e32 v4, 12
	s_mov_b32 s6, 13
	s_set_inst_prefetch_distance 0x1
	.p2align	6
.LBB124_301:                            ; =>This Inner Loop Header: Depth=1
	ds_load_2addr_b64 v[6:9], v5 offset1:1
	s_waitcnt lgkmcnt(1)
	v_cmp_gt_f64_e32 vcc_lo, 0, v[0:1]
	v_xor_b32_e32 v10, 0x80000000, v1
	v_cmp_gt_f64_e64 s2, 0, v[2:3]
	v_xor_b32_e32 v12, 0x80000000, v3
	v_add_nc_u32_e32 v5, 16, v5
	s_waitcnt lgkmcnt(0)
	v_cmp_gt_f64_e64 s3, 0, v[6:7]
	v_mov_b32_e32 v14, v6
	v_dual_mov_b32 v16, v8 :: v_dual_cndmask_b32 v11, v1, v10
	v_xor_b32_e32 v10, 0x80000000, v7
	v_cndmask_b32_e64 v13, v3, v12, s2
	v_xor_b32_e32 v12, 0x80000000, v9
	s_delay_alu instid0(VALU_DEP_3) | instskip(SKIP_2) | instid1(VALU_DEP_2)
	v_cndmask_b32_e64 v15, v7, v10, s3
	v_cmp_gt_f64_e64 s3, 0, v[8:9]
	v_cndmask_b32_e32 v10, v0, v0, vcc_lo
	v_cndmask_b32_e64 v17, v9, v12, s3
	v_cndmask_b32_e64 v12, v2, v2, s2
	s_delay_alu instid0(VALU_DEP_2) | instskip(NEXT) | instid1(VALU_DEP_2)
	v_add_f64 v[14:15], v[14:15], v[16:17]
	v_add_f64 v[10:11], v[10:11], v[12:13]
	s_delay_alu instid0(VALU_DEP_1)
	v_cmp_lt_f64_e32 vcc_lo, v[10:11], v[14:15]
	v_cndmask_b32_e32 v3, v3, v9, vcc_lo
	v_dual_cndmask_b32 v1, v1, v7 :: v_dual_cndmask_b32 v0, v0, v6
	v_cndmask_b32_e32 v2, v2, v8, vcc_lo
	v_cndmask_b32_e64 v4, v4, s6, vcc_lo
	s_add_i32 s6, s6, 1
	s_delay_alu instid0(SALU_CYCLE_1)
	s_cmp_lg_u32 s5, s6
	s_cbranch_scc1 .LBB124_301
.LBB124_302:
	s_set_inst_prefetch_distance 0x2
	s_waitcnt lgkmcnt(0)
	v_cmp_eq_f64_e32 vcc_lo, 0, v[0:1]
	v_cmp_eq_f64_e64 s2, 0, v[2:3]
	s_delay_alu instid0(VALU_DEP_1) | instskip(NEXT) | instid1(SALU_CYCLE_1)
	s_and_b32 s2, vcc_lo, s2
	s_and_saveexec_b32 s3, s2
	s_delay_alu instid0(SALU_CYCLE_1)
	s_xor_b32 s2, exec_lo, s3
; %bb.303:
	v_cmp_ne_u32_e32 vcc_lo, 0, v37
	v_cndmask_b32_e32 v37, 13, v37, vcc_lo
; %bb.304:
	s_and_not1_saveexec_b32 s3, s2
	s_cbranch_execz .LBB124_310
; %bb.305:
	v_cmp_gt_f64_e32 vcc_lo, 0, v[0:1]
	v_cmp_gt_f64_e64 s2, 0, v[2:3]
	v_xor_b32_e32 v5, 0x80000000, v1
	v_xor_b32_e32 v7, 0x80000000, v3
	s_delay_alu instid0(VALU_DEP_2) | instskip(NEXT) | instid1(VALU_DEP_2)
	v_dual_cndmask_b32 v6, v1, v5 :: v_dual_cndmask_b32 v5, v0, v0
	v_cndmask_b32_e64 v8, v3, v7, s2
	v_cndmask_b32_e64 v7, v2, v2, s2
	s_mov_b32 s2, exec_lo
	s_delay_alu instid0(VALU_DEP_1)
	v_cmpx_ngt_f64_e32 v[5:6], v[7:8]
	s_xor_b32 s2, exec_lo, s2
	s_cbranch_execz .LBB124_307
; %bb.306:
	v_div_scale_f64 v[5:6], null, v[2:3], v[2:3], v[0:1]
	v_div_scale_f64 v[11:12], vcc_lo, v[0:1], v[2:3], v[0:1]
	s_delay_alu instid0(VALU_DEP_2) | instskip(SKIP_2) | instid1(VALU_DEP_1)
	v_rcp_f64_e32 v[7:8], v[5:6]
	s_waitcnt_depctr 0xfff
	v_fma_f64 v[9:10], -v[5:6], v[7:8], 1.0
	v_fma_f64 v[7:8], v[7:8], v[9:10], v[7:8]
	s_delay_alu instid0(VALU_DEP_1) | instskip(NEXT) | instid1(VALU_DEP_1)
	v_fma_f64 v[9:10], -v[5:6], v[7:8], 1.0
	v_fma_f64 v[7:8], v[7:8], v[9:10], v[7:8]
	s_delay_alu instid0(VALU_DEP_1) | instskip(NEXT) | instid1(VALU_DEP_1)
	v_mul_f64 v[9:10], v[11:12], v[7:8]
	v_fma_f64 v[5:6], -v[5:6], v[9:10], v[11:12]
	s_delay_alu instid0(VALU_DEP_1) | instskip(NEXT) | instid1(VALU_DEP_1)
	v_div_fmas_f64 v[5:6], v[5:6], v[7:8], v[9:10]
	v_div_fixup_f64 v[5:6], v[5:6], v[2:3], v[0:1]
	s_delay_alu instid0(VALU_DEP_1) | instskip(NEXT) | instid1(VALU_DEP_1)
	v_fma_f64 v[0:1], v[0:1], v[5:6], v[2:3]
	v_div_scale_f64 v[2:3], null, v[0:1], v[0:1], 1.0
	s_delay_alu instid0(VALU_DEP_1) | instskip(SKIP_2) | instid1(VALU_DEP_1)
	v_rcp_f64_e32 v[7:8], v[2:3]
	s_waitcnt_depctr 0xfff
	v_fma_f64 v[9:10], -v[2:3], v[7:8], 1.0
	v_fma_f64 v[7:8], v[7:8], v[9:10], v[7:8]
	s_delay_alu instid0(VALU_DEP_1) | instskip(NEXT) | instid1(VALU_DEP_1)
	v_fma_f64 v[9:10], -v[2:3], v[7:8], 1.0
	v_fma_f64 v[7:8], v[7:8], v[9:10], v[7:8]
	v_div_scale_f64 v[9:10], vcc_lo, 1.0, v[0:1], 1.0
	s_delay_alu instid0(VALU_DEP_1) | instskip(NEXT) | instid1(VALU_DEP_1)
	v_mul_f64 v[11:12], v[9:10], v[7:8]
	v_fma_f64 v[2:3], -v[2:3], v[11:12], v[9:10]
	s_delay_alu instid0(VALU_DEP_1) | instskip(NEXT) | instid1(VALU_DEP_1)
	v_div_fmas_f64 v[2:3], v[2:3], v[7:8], v[11:12]
	v_div_fixup_f64 v[2:3], v[2:3], v[0:1], 1.0
	s_delay_alu instid0(VALU_DEP_1)
	v_mul_f64 v[0:1], v[5:6], v[2:3]
	v_xor_b32_e32 v3, 0x80000000, v3
.LBB124_307:
	s_and_not1_saveexec_b32 s2, s2
	s_cbranch_execz .LBB124_309
; %bb.308:
	s_delay_alu instid0(VALU_DEP_1) | instskip(SKIP_1) | instid1(VALU_DEP_2)
	v_div_scale_f64 v[5:6], null, v[0:1], v[0:1], v[2:3]
	v_div_scale_f64 v[11:12], vcc_lo, v[2:3], v[0:1], v[2:3]
	v_rcp_f64_e32 v[7:8], v[5:6]
	s_waitcnt_depctr 0xfff
	v_fma_f64 v[9:10], -v[5:6], v[7:8], 1.0
	s_delay_alu instid0(VALU_DEP_1) | instskip(NEXT) | instid1(VALU_DEP_1)
	v_fma_f64 v[7:8], v[7:8], v[9:10], v[7:8]
	v_fma_f64 v[9:10], -v[5:6], v[7:8], 1.0
	s_delay_alu instid0(VALU_DEP_1) | instskip(NEXT) | instid1(VALU_DEP_1)
	v_fma_f64 v[7:8], v[7:8], v[9:10], v[7:8]
	v_mul_f64 v[9:10], v[11:12], v[7:8]
	s_delay_alu instid0(VALU_DEP_1) | instskip(NEXT) | instid1(VALU_DEP_1)
	v_fma_f64 v[5:6], -v[5:6], v[9:10], v[11:12]
	v_div_fmas_f64 v[5:6], v[5:6], v[7:8], v[9:10]
	s_delay_alu instid0(VALU_DEP_1) | instskip(NEXT) | instid1(VALU_DEP_1)
	v_div_fixup_f64 v[5:6], v[5:6], v[0:1], v[2:3]
	v_fma_f64 v[0:1], v[2:3], v[5:6], v[0:1]
	s_delay_alu instid0(VALU_DEP_1) | instskip(NEXT) | instid1(VALU_DEP_1)
	v_div_scale_f64 v[2:3], null, v[0:1], v[0:1], 1.0
	v_rcp_f64_e32 v[7:8], v[2:3]
	s_waitcnt_depctr 0xfff
	v_fma_f64 v[9:10], -v[2:3], v[7:8], 1.0
	s_delay_alu instid0(VALU_DEP_1) | instskip(NEXT) | instid1(VALU_DEP_1)
	v_fma_f64 v[7:8], v[7:8], v[9:10], v[7:8]
	v_fma_f64 v[9:10], -v[2:3], v[7:8], 1.0
	s_delay_alu instid0(VALU_DEP_1) | instskip(SKIP_1) | instid1(VALU_DEP_1)
	v_fma_f64 v[7:8], v[7:8], v[9:10], v[7:8]
	v_div_scale_f64 v[9:10], vcc_lo, 1.0, v[0:1], 1.0
	v_mul_f64 v[11:12], v[9:10], v[7:8]
	s_delay_alu instid0(VALU_DEP_1) | instskip(NEXT) | instid1(VALU_DEP_1)
	v_fma_f64 v[2:3], -v[2:3], v[11:12], v[9:10]
	v_div_fmas_f64 v[2:3], v[2:3], v[7:8], v[11:12]
	s_delay_alu instid0(VALU_DEP_1) | instskip(NEXT) | instid1(VALU_DEP_1)
	v_div_fixup_f64 v[0:1], v[2:3], v[0:1], 1.0
	v_mul_f64 v[2:3], v[5:6], -v[0:1]
.LBB124_309:
	s_or_b32 exec_lo, exec_lo, s2
.LBB124_310:
	s_delay_alu instid0(SALU_CYCLE_1) | instskip(NEXT) | instid1(SALU_CYCLE_1)
	s_or_b32 exec_lo, exec_lo, s3
	s_mov_b32 s2, exec_lo
	v_cmpx_ne_u32_e64 v40, v4
	s_xor_b32 s2, exec_lo, s2
	s_cbranch_execz .LBB124_316
; %bb.311:
	s_mov_b32 s3, exec_lo
	v_cmpx_eq_u32_e32 12, v40
	s_cbranch_execz .LBB124_315
; %bb.312:
	v_cmp_ne_u32_e32 vcc_lo, 12, v4
	s_xor_b32 s6, s4, -1
	s_delay_alu instid0(SALU_CYCLE_1) | instskip(NEXT) | instid1(SALU_CYCLE_1)
	s_and_b32 s7, s6, vcc_lo
	s_and_saveexec_b32 s6, s7
	s_cbranch_execz .LBB124_314
; %bb.313:
	v_ashrrev_i32_e32 v5, 31, v4
	s_delay_alu instid0(VALU_DEP_1) | instskip(NEXT) | instid1(VALU_DEP_1)
	v_lshlrev_b64 v[5:6], 2, v[4:5]
	v_add_co_u32 v5, vcc_lo, v145, v5
	s_delay_alu instid0(VALU_DEP_2)
	v_add_co_ci_u32_e32 v6, vcc_lo, v146, v6, vcc_lo
	s_clause 0x1
	flat_load_b32 v7, v[5:6]
	flat_load_b32 v8, v[145:146] offset:48
	s_waitcnt vmcnt(1) lgkmcnt(1)
	flat_store_b32 v[145:146], v7 offset:48
	s_waitcnt vmcnt(0) lgkmcnt(1)
	flat_store_b32 v[5:6], v8
.LBB124_314:
	s_or_b32 exec_lo, exec_lo, s6
	v_mov_b32_e32 v40, v4
	v_mov_b32_e32 v39, v4
.LBB124_315:
	s_or_b32 exec_lo, exec_lo, s3
.LBB124_316:
	s_and_not1_saveexec_b32 s2, s2
	s_cbranch_execz .LBB124_320
; %bb.317:
	v_add3_u32 v4, v38, 0, 0xd0
	v_mov_b32_e32 v5, 0
	s_mov_b32 s3, 0
.LBB124_318:                            ; =>This Inner Loop Header: Depth=1
	s_delay_alu instid0(VALU_DEP_1) | instskip(NEXT) | instid1(VALU_DEP_3)
	v_readfirstlane_b32 s6, v5
	v_add_nc_u32_e32 v18, s3, v4
	s_delay_alu instid0(VALU_DEP_2)
	s_add_i32 s6, s6, s3
	s_addk_i32 s3, 0xa0
	s_add_i32 s7, s6, 0xd0
	s_add_i32 s9, s6, 0xe0
	;; [unrolled: 1-line block ×9, first 2 shown]
	s_addk_i32 s6, 0x160
	s_clause 0x9
	scratch_load_b128 v[6:9], off, s7
	scratch_load_b128 v[10:13], off, s9
	;; [unrolled: 1-line block ×10, first 2 shown]
	s_cmpk_eq_i32 s3, 0x320
	s_waitcnt vmcnt(9)
	ds_store_2addr_b64 v18, v[6:7], v[8:9] offset1:1
	s_waitcnt vmcnt(8)
	ds_store_2addr_b64 v18, v[10:11], v[12:13] offset0:2 offset1:3
	s_waitcnt vmcnt(7)
	ds_store_2addr_b64 v18, v[14:15], v[16:17] offset0:4 offset1:5
	;; [unrolled: 2-line block ×9, first 2 shown]
	s_cbranch_scc0 .LBB124_318
; %bb.319:
	v_mov_b32_e32 v40, 12
.LBB124_320:
	s_or_b32 exec_lo, exec_lo, s2
	s_delay_alu instid0(SALU_CYCLE_1)
	s_mov_b32 s2, exec_lo
	s_waitcnt lgkmcnt(0)
	s_waitcnt_vscnt null, 0x0
	s_barrier
	buffer_gl0_inv
	v_cmpx_lt_i32_e32 12, v40
	s_cbranch_execz .LBB124_323
; %bb.321:
	scratch_load_b128 v[4:7], off, off offset:192
	s_mov_b32 s3, 0
	s_waitcnt vmcnt(0)
	v_mul_f64 v[8:9], v[2:3], v[6:7]
	v_mul_f64 v[6:7], v[0:1], v[6:7]
	s_delay_alu instid0(VALU_DEP_2) | instskip(NEXT) | instid1(VALU_DEP_2)
	v_fma_f64 v[0:1], v[0:1], v[4:5], -v[8:9]
	v_fma_f64 v[2:3], v[2:3], v[4:5], v[6:7]
	v_add3_u32 v4, v38, 0, 0xd0
	v_mov_b32_e32 v5, 0
	scratch_store_b128 off, v[0:3], off offset:192
.LBB124_322:                            ; =>This Inner Loop Header: Depth=1
	v_readfirstlane_b32 s6, v5
	v_add_nc_u32_e32 v18, s3, v4
	s_delay_alu instid0(VALU_DEP_2)
	s_add_i32 s6, s6, s3
	s_addk_i32 s3, 0x50
	s_add_i32 s7, s6, 0xd0
	s_add_i32 s9, s6, 0xe0
	s_add_i32 s12, s6, 0xf0
	s_add_i32 s14, s6, 0x100
	s_addk_i32 s6, 0x110
	s_clause 0x4
	scratch_load_b128 v[6:9], off, s7
	scratch_load_b128 v[10:13], off, s9
	;; [unrolled: 1-line block ×5, first 2 shown]
	ds_load_2addr_b64 v[57:60], v18 offset1:1
	ds_load_2addr_b64 v[65:68], v18 offset0:2 offset1:3
	ds_load_2addr_b64 v[73:76], v18 offset0:4 offset1:5
	;; [unrolled: 1-line block ×4, first 2 shown]
	s_cmpk_lg_i32 s3, 0x320
	s_waitcnt lgkmcnt(4)
	v_mul_f64 v[18:19], v[59:60], v[2:3]
	v_mul_f64 v[45:46], v[57:58], v[2:3]
	s_waitcnt lgkmcnt(3)
	v_mul_f64 v[49:50], v[67:68], v[2:3]
	v_mul_f64 v[61:62], v[65:66], v[2:3]
	;; [unrolled: 3-line block ×5, first 2 shown]
	v_fma_f64 v[18:19], v[57:58], v[0:1], -v[18:19]
	v_fma_f64 v[45:46], v[59:60], v[0:1], v[45:46]
	v_fma_f64 v[49:50], v[65:66], v[0:1], -v[49:50]
	v_fma_f64 v[57:58], v[67:68], v[0:1], v[61:62]
	v_fma_f64 v[59:60], v[73:74], v[0:1], -v[69:70]
	v_fma_f64 v[61:62], v[75:76], v[0:1], v[77:78]
	v_fma_f64 v[65:66], v[85:86], v[0:1], -v[81:82]
	v_fma_f64 v[67:68], v[87:88], v[0:1], v[83:84]
	v_fma_f64 v[69:70], v[130:131], v[0:1], -v[89:90]
	v_fma_f64 v[73:74], v[132:133], v[0:1], v[91:92]
	s_waitcnt vmcnt(4)
	v_add_f64 v[6:7], v[6:7], -v[18:19]
	v_add_f64 v[8:9], v[8:9], -v[45:46]
	s_waitcnt vmcnt(3)
	v_add_f64 v[10:11], v[10:11], -v[49:50]
	v_add_f64 v[12:13], v[12:13], -v[57:58]
	;; [unrolled: 3-line block ×5, first 2 shown]
	s_clause 0x4
	scratch_store_b128 off, v[6:9], s7
	scratch_store_b128 off, v[10:13], s9
	scratch_store_b128 off, v[14:17], s12
	scratch_store_b128 off, v[41:44], s14
	scratch_store_b128 off, v[53:56], s6
	s_cbranch_scc1 .LBB124_322
.LBB124_323:
	s_or_b32 exec_lo, exec_lo, s2
	s_waitcnt_vscnt null, 0x0
	s_barrier
	buffer_gl0_inv
	scratch_load_b128 v[0:3], v22, off
	v_lshl_add_u32 v4, v40, 4, v20
	s_cmp_lt_i32 s5, 15
	s_waitcnt vmcnt(0)
	ds_store_2addr_b64 v4, v[0:1], v[2:3] offset1:1
	s_waitcnt lgkmcnt(0)
	s_barrier
	buffer_gl0_inv
	ds_load_2addr_b64 v[0:3], v20 offset0:26 offset1:27
	v_mov_b32_e32 v4, 13
	s_cbranch_scc1 .LBB124_326
; %bb.324:
	v_add3_u32 v5, v38, 0, 0xe0
	v_mov_b32_e32 v4, 13
	s_mov_b32 s6, 14
	s_set_inst_prefetch_distance 0x1
	.p2align	6
.LBB124_325:                            ; =>This Inner Loop Header: Depth=1
	ds_load_2addr_b64 v[6:9], v5 offset1:1
	s_waitcnt lgkmcnt(1)
	v_cmp_gt_f64_e32 vcc_lo, 0, v[0:1]
	v_xor_b32_e32 v10, 0x80000000, v1
	v_cmp_gt_f64_e64 s2, 0, v[2:3]
	v_xor_b32_e32 v12, 0x80000000, v3
	v_add_nc_u32_e32 v5, 16, v5
	s_waitcnt lgkmcnt(0)
	v_cmp_gt_f64_e64 s3, 0, v[6:7]
	v_mov_b32_e32 v14, v6
	v_dual_mov_b32 v16, v8 :: v_dual_cndmask_b32 v11, v1, v10
	v_xor_b32_e32 v10, 0x80000000, v7
	v_cndmask_b32_e64 v13, v3, v12, s2
	v_xor_b32_e32 v12, 0x80000000, v9
	s_delay_alu instid0(VALU_DEP_3) | instskip(SKIP_2) | instid1(VALU_DEP_2)
	v_cndmask_b32_e64 v15, v7, v10, s3
	v_cmp_gt_f64_e64 s3, 0, v[8:9]
	v_cndmask_b32_e32 v10, v0, v0, vcc_lo
	v_cndmask_b32_e64 v17, v9, v12, s3
	v_cndmask_b32_e64 v12, v2, v2, s2
	s_delay_alu instid0(VALU_DEP_2) | instskip(NEXT) | instid1(VALU_DEP_2)
	v_add_f64 v[14:15], v[14:15], v[16:17]
	v_add_f64 v[10:11], v[10:11], v[12:13]
	s_delay_alu instid0(VALU_DEP_1)
	v_cmp_lt_f64_e32 vcc_lo, v[10:11], v[14:15]
	v_cndmask_b32_e32 v3, v3, v9, vcc_lo
	v_dual_cndmask_b32 v1, v1, v7 :: v_dual_cndmask_b32 v0, v0, v6
	v_cndmask_b32_e32 v2, v2, v8, vcc_lo
	v_cndmask_b32_e64 v4, v4, s6, vcc_lo
	s_add_i32 s6, s6, 1
	s_delay_alu instid0(SALU_CYCLE_1)
	s_cmp_lg_u32 s5, s6
	s_cbranch_scc1 .LBB124_325
.LBB124_326:
	s_set_inst_prefetch_distance 0x2
	s_waitcnt lgkmcnt(0)
	v_cmp_eq_f64_e32 vcc_lo, 0, v[0:1]
	v_cmp_eq_f64_e64 s2, 0, v[2:3]
	s_delay_alu instid0(VALU_DEP_1) | instskip(NEXT) | instid1(SALU_CYCLE_1)
	s_and_b32 s2, vcc_lo, s2
	s_and_saveexec_b32 s3, s2
	s_delay_alu instid0(SALU_CYCLE_1)
	s_xor_b32 s2, exec_lo, s3
; %bb.327:
	v_cmp_ne_u32_e32 vcc_lo, 0, v37
	v_cndmask_b32_e32 v37, 14, v37, vcc_lo
; %bb.328:
	s_and_not1_saveexec_b32 s3, s2
	s_cbranch_execz .LBB124_334
; %bb.329:
	v_cmp_gt_f64_e32 vcc_lo, 0, v[0:1]
	v_cmp_gt_f64_e64 s2, 0, v[2:3]
	v_xor_b32_e32 v5, 0x80000000, v1
	v_xor_b32_e32 v7, 0x80000000, v3
	s_delay_alu instid0(VALU_DEP_2) | instskip(NEXT) | instid1(VALU_DEP_2)
	v_dual_cndmask_b32 v6, v1, v5 :: v_dual_cndmask_b32 v5, v0, v0
	v_cndmask_b32_e64 v8, v3, v7, s2
	v_cndmask_b32_e64 v7, v2, v2, s2
	s_mov_b32 s2, exec_lo
	s_delay_alu instid0(VALU_DEP_1)
	v_cmpx_ngt_f64_e32 v[5:6], v[7:8]
	s_xor_b32 s2, exec_lo, s2
	s_cbranch_execz .LBB124_331
; %bb.330:
	v_div_scale_f64 v[5:6], null, v[2:3], v[2:3], v[0:1]
	v_div_scale_f64 v[11:12], vcc_lo, v[0:1], v[2:3], v[0:1]
	s_delay_alu instid0(VALU_DEP_2) | instskip(SKIP_2) | instid1(VALU_DEP_1)
	v_rcp_f64_e32 v[7:8], v[5:6]
	s_waitcnt_depctr 0xfff
	v_fma_f64 v[9:10], -v[5:6], v[7:8], 1.0
	v_fma_f64 v[7:8], v[7:8], v[9:10], v[7:8]
	s_delay_alu instid0(VALU_DEP_1) | instskip(NEXT) | instid1(VALU_DEP_1)
	v_fma_f64 v[9:10], -v[5:6], v[7:8], 1.0
	v_fma_f64 v[7:8], v[7:8], v[9:10], v[7:8]
	s_delay_alu instid0(VALU_DEP_1) | instskip(NEXT) | instid1(VALU_DEP_1)
	v_mul_f64 v[9:10], v[11:12], v[7:8]
	v_fma_f64 v[5:6], -v[5:6], v[9:10], v[11:12]
	s_delay_alu instid0(VALU_DEP_1) | instskip(NEXT) | instid1(VALU_DEP_1)
	v_div_fmas_f64 v[5:6], v[5:6], v[7:8], v[9:10]
	v_div_fixup_f64 v[5:6], v[5:6], v[2:3], v[0:1]
	s_delay_alu instid0(VALU_DEP_1) | instskip(NEXT) | instid1(VALU_DEP_1)
	v_fma_f64 v[0:1], v[0:1], v[5:6], v[2:3]
	v_div_scale_f64 v[2:3], null, v[0:1], v[0:1], 1.0
	s_delay_alu instid0(VALU_DEP_1) | instskip(SKIP_2) | instid1(VALU_DEP_1)
	v_rcp_f64_e32 v[7:8], v[2:3]
	s_waitcnt_depctr 0xfff
	v_fma_f64 v[9:10], -v[2:3], v[7:8], 1.0
	v_fma_f64 v[7:8], v[7:8], v[9:10], v[7:8]
	s_delay_alu instid0(VALU_DEP_1) | instskip(NEXT) | instid1(VALU_DEP_1)
	v_fma_f64 v[9:10], -v[2:3], v[7:8], 1.0
	v_fma_f64 v[7:8], v[7:8], v[9:10], v[7:8]
	v_div_scale_f64 v[9:10], vcc_lo, 1.0, v[0:1], 1.0
	s_delay_alu instid0(VALU_DEP_1) | instskip(NEXT) | instid1(VALU_DEP_1)
	v_mul_f64 v[11:12], v[9:10], v[7:8]
	v_fma_f64 v[2:3], -v[2:3], v[11:12], v[9:10]
	s_delay_alu instid0(VALU_DEP_1) | instskip(NEXT) | instid1(VALU_DEP_1)
	v_div_fmas_f64 v[2:3], v[2:3], v[7:8], v[11:12]
	v_div_fixup_f64 v[2:3], v[2:3], v[0:1], 1.0
	s_delay_alu instid0(VALU_DEP_1)
	v_mul_f64 v[0:1], v[5:6], v[2:3]
	v_xor_b32_e32 v3, 0x80000000, v3
.LBB124_331:
	s_and_not1_saveexec_b32 s2, s2
	s_cbranch_execz .LBB124_333
; %bb.332:
	s_delay_alu instid0(VALU_DEP_1) | instskip(SKIP_1) | instid1(VALU_DEP_2)
	v_div_scale_f64 v[5:6], null, v[0:1], v[0:1], v[2:3]
	v_div_scale_f64 v[11:12], vcc_lo, v[2:3], v[0:1], v[2:3]
	v_rcp_f64_e32 v[7:8], v[5:6]
	s_waitcnt_depctr 0xfff
	v_fma_f64 v[9:10], -v[5:6], v[7:8], 1.0
	s_delay_alu instid0(VALU_DEP_1) | instskip(NEXT) | instid1(VALU_DEP_1)
	v_fma_f64 v[7:8], v[7:8], v[9:10], v[7:8]
	v_fma_f64 v[9:10], -v[5:6], v[7:8], 1.0
	s_delay_alu instid0(VALU_DEP_1) | instskip(NEXT) | instid1(VALU_DEP_1)
	v_fma_f64 v[7:8], v[7:8], v[9:10], v[7:8]
	v_mul_f64 v[9:10], v[11:12], v[7:8]
	s_delay_alu instid0(VALU_DEP_1) | instskip(NEXT) | instid1(VALU_DEP_1)
	v_fma_f64 v[5:6], -v[5:6], v[9:10], v[11:12]
	v_div_fmas_f64 v[5:6], v[5:6], v[7:8], v[9:10]
	s_delay_alu instid0(VALU_DEP_1) | instskip(NEXT) | instid1(VALU_DEP_1)
	v_div_fixup_f64 v[5:6], v[5:6], v[0:1], v[2:3]
	v_fma_f64 v[0:1], v[2:3], v[5:6], v[0:1]
	s_delay_alu instid0(VALU_DEP_1) | instskip(NEXT) | instid1(VALU_DEP_1)
	v_div_scale_f64 v[2:3], null, v[0:1], v[0:1], 1.0
	v_rcp_f64_e32 v[7:8], v[2:3]
	s_waitcnt_depctr 0xfff
	v_fma_f64 v[9:10], -v[2:3], v[7:8], 1.0
	s_delay_alu instid0(VALU_DEP_1) | instskip(NEXT) | instid1(VALU_DEP_1)
	v_fma_f64 v[7:8], v[7:8], v[9:10], v[7:8]
	v_fma_f64 v[9:10], -v[2:3], v[7:8], 1.0
	s_delay_alu instid0(VALU_DEP_1) | instskip(SKIP_1) | instid1(VALU_DEP_1)
	v_fma_f64 v[7:8], v[7:8], v[9:10], v[7:8]
	v_div_scale_f64 v[9:10], vcc_lo, 1.0, v[0:1], 1.0
	v_mul_f64 v[11:12], v[9:10], v[7:8]
	s_delay_alu instid0(VALU_DEP_1) | instskip(NEXT) | instid1(VALU_DEP_1)
	v_fma_f64 v[2:3], -v[2:3], v[11:12], v[9:10]
	v_div_fmas_f64 v[2:3], v[2:3], v[7:8], v[11:12]
	s_delay_alu instid0(VALU_DEP_1) | instskip(NEXT) | instid1(VALU_DEP_1)
	v_div_fixup_f64 v[0:1], v[2:3], v[0:1], 1.0
	v_mul_f64 v[2:3], v[5:6], -v[0:1]
.LBB124_333:
	s_or_b32 exec_lo, exec_lo, s2
.LBB124_334:
	s_delay_alu instid0(SALU_CYCLE_1) | instskip(NEXT) | instid1(SALU_CYCLE_1)
	s_or_b32 exec_lo, exec_lo, s3
	s_mov_b32 s2, exec_lo
	v_cmpx_ne_u32_e64 v40, v4
	s_xor_b32 s2, exec_lo, s2
	s_cbranch_execz .LBB124_340
; %bb.335:
	s_mov_b32 s3, exec_lo
	v_cmpx_eq_u32_e32 13, v40
	s_cbranch_execz .LBB124_339
; %bb.336:
	v_cmp_ne_u32_e32 vcc_lo, 13, v4
	s_xor_b32 s6, s4, -1
	s_delay_alu instid0(SALU_CYCLE_1) | instskip(NEXT) | instid1(SALU_CYCLE_1)
	s_and_b32 s7, s6, vcc_lo
	s_and_saveexec_b32 s6, s7
	s_cbranch_execz .LBB124_338
; %bb.337:
	v_ashrrev_i32_e32 v5, 31, v4
	s_delay_alu instid0(VALU_DEP_1) | instskip(NEXT) | instid1(VALU_DEP_1)
	v_lshlrev_b64 v[5:6], 2, v[4:5]
	v_add_co_u32 v5, vcc_lo, v145, v5
	s_delay_alu instid0(VALU_DEP_2)
	v_add_co_ci_u32_e32 v6, vcc_lo, v146, v6, vcc_lo
	s_clause 0x1
	flat_load_b32 v7, v[5:6]
	flat_load_b32 v8, v[145:146] offset:52
	s_waitcnt vmcnt(1) lgkmcnt(1)
	flat_store_b32 v[145:146], v7 offset:52
	s_waitcnt vmcnt(0) lgkmcnt(1)
	flat_store_b32 v[5:6], v8
.LBB124_338:
	s_or_b32 exec_lo, exec_lo, s6
	v_mov_b32_e32 v40, v4
	v_mov_b32_e32 v39, v4
.LBB124_339:
	s_or_b32 exec_lo, exec_lo, s3
.LBB124_340:
	s_and_not1_saveexec_b32 s2, s2
	s_cbranch_execz .LBB124_344
; %bb.341:
	v_add3_u32 v4, v38, 0, 0xe0
	v_mov_b32_e32 v5, 0
	s_mov_b32 s3, 0
	s_set_inst_prefetch_distance 0x1
	.p2align	6
.LBB124_342:                            ; =>This Inner Loop Header: Depth=1
	s_delay_alu instid0(VALU_DEP_1) | instskip(SKIP_1) | instid1(VALU_DEP_2)
	v_readfirstlane_b32 s6, v5
	v_add_nc_u32_e32 v18, s3, v4
	s_add_i32 s6, s6, s3
	s_addk_i32 s3, 0x70
	s_add_i32 s7, s6, 0xe0
	s_add_i32 s9, s6, 0xf0
	;; [unrolled: 1-line block ×6, first 2 shown]
	s_addk_i32 s6, 0x140
	s_clause 0x6
	scratch_load_b128 v[6:9], off, s7
	scratch_load_b128 v[10:13], off, s9
	;; [unrolled: 1-line block ×7, first 2 shown]
	s_cmpk_eq_i32 s3, 0x310
	s_waitcnt vmcnt(6)
	ds_store_2addr_b64 v18, v[6:7], v[8:9] offset1:1
	s_waitcnt vmcnt(5)
	ds_store_2addr_b64 v18, v[10:11], v[12:13] offset0:2 offset1:3
	s_waitcnt vmcnt(4)
	ds_store_2addr_b64 v18, v[14:15], v[16:17] offset0:4 offset1:5
	;; [unrolled: 2-line block ×6, first 2 shown]
	s_cbranch_scc0 .LBB124_342
; %bb.343:
	s_set_inst_prefetch_distance 0x2
	v_mov_b32_e32 v40, 13
.LBB124_344:
	s_or_b32 exec_lo, exec_lo, s2
	s_delay_alu instid0(SALU_CYCLE_1)
	s_mov_b32 s2, exec_lo
	s_waitcnt lgkmcnt(0)
	s_waitcnt_vscnt null, 0x0
	s_barrier
	buffer_gl0_inv
	v_cmpx_lt_i32_e32 13, v40
	s_cbranch_execz .LBB124_347
; %bb.345:
	scratch_load_b128 v[4:7], off, off offset:208
	s_mov_b32 s3, 0
	s_waitcnt vmcnt(0)
	v_mul_f64 v[8:9], v[2:3], v[6:7]
	v_mul_f64 v[6:7], v[0:1], v[6:7]
	s_delay_alu instid0(VALU_DEP_2) | instskip(NEXT) | instid1(VALU_DEP_2)
	v_fma_f64 v[0:1], v[0:1], v[4:5], -v[8:9]
	v_fma_f64 v[2:3], v[2:3], v[4:5], v[6:7]
	v_add3_u32 v4, v38, 0, 0xe0
	v_mov_b32_e32 v5, 0
	scratch_store_b128 off, v[0:3], off offset:208
.LBB124_346:                            ; =>This Inner Loop Header: Depth=1
	v_add_nc_u32_e32 v47, s3, v4
	v_readfirstlane_b32 s6, v5
	ds_load_2addr_b64 v[6:9], v47 offset1:1
	ds_load_2addr_b64 v[10:13], v47 offset0:2 offset1:3
	ds_load_2addr_b64 v[14:17], v47 offset0:4 offset1:5
	;; [unrolled: 1-line block ×5, first 2 shown]
	s_add_i32 s6, s6, s3
	s_addk_i32 s3, 0x70
	s_add_i32 s7, s6, 0xe0
	s_add_i32 s9, s6, 0xf0
	;; [unrolled: 1-line block ×6, first 2 shown]
	s_addk_i32 s6, 0x140
	s_cmpk_lg_i32 s3, 0x310
	s_waitcnt lgkmcnt(5)
	v_mul_f64 v[18:19], v[8:9], v[2:3]
	v_mul_f64 v[45:46], v[6:7], v[2:3]
	s_waitcnt lgkmcnt(4)
	v_mul_f64 v[49:50], v[12:13], v[2:3]
	v_mul_f64 v[61:62], v[10:11], v[2:3]
	;; [unrolled: 3-line block ×6, first 2 shown]
	v_fma_f64 v[18:19], v[6:7], v[0:1], -v[18:19]
	v_fma_f64 v[45:46], v[8:9], v[0:1], v[45:46]
	v_fma_f64 v[49:50], v[10:11], v[0:1], -v[49:50]
	v_fma_f64 v[61:62], v[12:13], v[0:1], v[61:62]
	;; [unrolled: 2-line block ×6, first 2 shown]
	scratch_load_b128 v[0:3], off, off offset:208
	s_clause 0x6
	scratch_load_b128 v[6:9], off, s7
	scratch_load_b128 v[10:13], off, s9
	;; [unrolled: 1-line block ×7, first 2 shown]
	ds_load_2addr_b64 v[73:76], v47 offset0:12 offset1:13
	s_waitcnt vmcnt(6)
	v_add_f64 v[6:7], v[6:7], -v[18:19]
	v_add_f64 v[8:9], v[8:9], -v[45:46]
	s_waitcnt vmcnt(5)
	v_add_f64 v[10:11], v[10:11], -v[49:50]
	v_add_f64 v[12:13], v[12:13], -v[61:62]
	s_waitcnt vmcnt(4)
	v_add_f64 v[14:15], v[14:15], -v[83:84]
	s_waitcnt lgkmcnt(0)
	v_mul_f64 v[93:94], v[75:76], v[2:3]
	v_mul_f64 v[95:96], v[73:74], v[2:3]
	v_add_f64 v[16:17], v[16:17], -v[85:86]
	s_waitcnt vmcnt(3)
	v_add_f64 v[41:42], v[41:42], -v[69:70]
	v_add_f64 v[43:44], v[43:44], -v[87:88]
	s_waitcnt vmcnt(2)
	v_add_f64 v[53:54], v[53:54], -v[89:90]
	;; [unrolled: 3-line block ×3, first 2 shown]
	v_add_f64 v[59:60], v[59:60], -v[91:92]
	v_fma_f64 v[73:74], v[73:74], v[0:1], -v[93:94]
	v_fma_f64 v[75:76], v[75:76], v[0:1], v[95:96]
	s_waitcnt vmcnt(0)
	s_delay_alu instid0(VALU_DEP_2) | instskip(NEXT) | instid1(VALU_DEP_2)
	v_add_f64 v[65:66], v[65:66], -v[73:74]
	v_add_f64 v[67:68], v[67:68], -v[75:76]
	s_clause 0x6
	scratch_store_b128 off, v[6:9], s7
	scratch_store_b128 off, v[10:13], s9
	;; [unrolled: 1-line block ×7, first 2 shown]
	s_cbranch_scc1 .LBB124_346
.LBB124_347:
	s_or_b32 exec_lo, exec_lo, s2
	s_waitcnt_vscnt null, 0x0
	s_barrier
	buffer_gl0_inv
	scratch_load_b128 v[0:3], v21, off
	v_lshl_add_u32 v4, v40, 4, v20
	s_cmp_lt_i32 s5, 16
	s_waitcnt vmcnt(0)
	ds_store_2addr_b64 v4, v[0:1], v[2:3] offset1:1
	s_waitcnt lgkmcnt(0)
	s_barrier
	buffer_gl0_inv
	ds_load_2addr_b64 v[0:3], v20 offset0:28 offset1:29
	v_mov_b32_e32 v4, 14
	s_cbranch_scc1 .LBB124_350
; %bb.348:
	v_add3_u32 v5, v38, 0, 0xf0
	v_mov_b32_e32 v4, 14
	s_mov_b32 s6, 15
	s_set_inst_prefetch_distance 0x1
	.p2align	6
.LBB124_349:                            ; =>This Inner Loop Header: Depth=1
	ds_load_2addr_b64 v[6:9], v5 offset1:1
	s_waitcnt lgkmcnt(1)
	v_cmp_gt_f64_e32 vcc_lo, 0, v[0:1]
	v_xor_b32_e32 v10, 0x80000000, v1
	v_cmp_gt_f64_e64 s2, 0, v[2:3]
	v_xor_b32_e32 v12, 0x80000000, v3
	v_add_nc_u32_e32 v5, 16, v5
	s_waitcnt lgkmcnt(0)
	v_cmp_gt_f64_e64 s3, 0, v[6:7]
	v_mov_b32_e32 v14, v6
	v_dual_mov_b32 v16, v8 :: v_dual_cndmask_b32 v11, v1, v10
	v_xor_b32_e32 v10, 0x80000000, v7
	v_cndmask_b32_e64 v13, v3, v12, s2
	v_xor_b32_e32 v12, 0x80000000, v9
	s_delay_alu instid0(VALU_DEP_3) | instskip(SKIP_2) | instid1(VALU_DEP_2)
	v_cndmask_b32_e64 v15, v7, v10, s3
	v_cmp_gt_f64_e64 s3, 0, v[8:9]
	v_cndmask_b32_e32 v10, v0, v0, vcc_lo
	v_cndmask_b32_e64 v17, v9, v12, s3
	v_cndmask_b32_e64 v12, v2, v2, s2
	s_delay_alu instid0(VALU_DEP_2) | instskip(NEXT) | instid1(VALU_DEP_2)
	v_add_f64 v[14:15], v[14:15], v[16:17]
	v_add_f64 v[10:11], v[10:11], v[12:13]
	s_delay_alu instid0(VALU_DEP_1)
	v_cmp_lt_f64_e32 vcc_lo, v[10:11], v[14:15]
	v_cndmask_b32_e32 v3, v3, v9, vcc_lo
	v_dual_cndmask_b32 v1, v1, v7 :: v_dual_cndmask_b32 v0, v0, v6
	v_cndmask_b32_e32 v2, v2, v8, vcc_lo
	v_cndmask_b32_e64 v4, v4, s6, vcc_lo
	s_add_i32 s6, s6, 1
	s_delay_alu instid0(SALU_CYCLE_1)
	s_cmp_lg_u32 s5, s6
	s_cbranch_scc1 .LBB124_349
.LBB124_350:
	s_set_inst_prefetch_distance 0x2
	s_waitcnt lgkmcnt(0)
	v_cmp_eq_f64_e32 vcc_lo, 0, v[0:1]
	v_cmp_eq_f64_e64 s2, 0, v[2:3]
	s_delay_alu instid0(VALU_DEP_1) | instskip(NEXT) | instid1(SALU_CYCLE_1)
	s_and_b32 s2, vcc_lo, s2
	s_and_saveexec_b32 s3, s2
	s_delay_alu instid0(SALU_CYCLE_1)
	s_xor_b32 s2, exec_lo, s3
; %bb.351:
	v_cmp_ne_u32_e32 vcc_lo, 0, v37
	v_cndmask_b32_e32 v37, 15, v37, vcc_lo
; %bb.352:
	s_and_not1_saveexec_b32 s3, s2
	s_cbranch_execz .LBB124_358
; %bb.353:
	v_cmp_gt_f64_e32 vcc_lo, 0, v[0:1]
	v_cmp_gt_f64_e64 s2, 0, v[2:3]
	v_xor_b32_e32 v5, 0x80000000, v1
	v_xor_b32_e32 v7, 0x80000000, v3
	s_delay_alu instid0(VALU_DEP_2) | instskip(NEXT) | instid1(VALU_DEP_2)
	v_dual_cndmask_b32 v6, v1, v5 :: v_dual_cndmask_b32 v5, v0, v0
	v_cndmask_b32_e64 v8, v3, v7, s2
	v_cndmask_b32_e64 v7, v2, v2, s2
	s_mov_b32 s2, exec_lo
	s_delay_alu instid0(VALU_DEP_1)
	v_cmpx_ngt_f64_e32 v[5:6], v[7:8]
	s_xor_b32 s2, exec_lo, s2
	s_cbranch_execz .LBB124_355
; %bb.354:
	v_div_scale_f64 v[5:6], null, v[2:3], v[2:3], v[0:1]
	v_div_scale_f64 v[11:12], vcc_lo, v[0:1], v[2:3], v[0:1]
	s_delay_alu instid0(VALU_DEP_2) | instskip(SKIP_2) | instid1(VALU_DEP_1)
	v_rcp_f64_e32 v[7:8], v[5:6]
	s_waitcnt_depctr 0xfff
	v_fma_f64 v[9:10], -v[5:6], v[7:8], 1.0
	v_fma_f64 v[7:8], v[7:8], v[9:10], v[7:8]
	s_delay_alu instid0(VALU_DEP_1) | instskip(NEXT) | instid1(VALU_DEP_1)
	v_fma_f64 v[9:10], -v[5:6], v[7:8], 1.0
	v_fma_f64 v[7:8], v[7:8], v[9:10], v[7:8]
	s_delay_alu instid0(VALU_DEP_1) | instskip(NEXT) | instid1(VALU_DEP_1)
	v_mul_f64 v[9:10], v[11:12], v[7:8]
	v_fma_f64 v[5:6], -v[5:6], v[9:10], v[11:12]
	s_delay_alu instid0(VALU_DEP_1) | instskip(NEXT) | instid1(VALU_DEP_1)
	v_div_fmas_f64 v[5:6], v[5:6], v[7:8], v[9:10]
	v_div_fixup_f64 v[5:6], v[5:6], v[2:3], v[0:1]
	s_delay_alu instid0(VALU_DEP_1) | instskip(NEXT) | instid1(VALU_DEP_1)
	v_fma_f64 v[0:1], v[0:1], v[5:6], v[2:3]
	v_div_scale_f64 v[2:3], null, v[0:1], v[0:1], 1.0
	s_delay_alu instid0(VALU_DEP_1) | instskip(SKIP_2) | instid1(VALU_DEP_1)
	v_rcp_f64_e32 v[7:8], v[2:3]
	s_waitcnt_depctr 0xfff
	v_fma_f64 v[9:10], -v[2:3], v[7:8], 1.0
	v_fma_f64 v[7:8], v[7:8], v[9:10], v[7:8]
	s_delay_alu instid0(VALU_DEP_1) | instskip(NEXT) | instid1(VALU_DEP_1)
	v_fma_f64 v[9:10], -v[2:3], v[7:8], 1.0
	v_fma_f64 v[7:8], v[7:8], v[9:10], v[7:8]
	v_div_scale_f64 v[9:10], vcc_lo, 1.0, v[0:1], 1.0
	s_delay_alu instid0(VALU_DEP_1) | instskip(NEXT) | instid1(VALU_DEP_1)
	v_mul_f64 v[11:12], v[9:10], v[7:8]
	v_fma_f64 v[2:3], -v[2:3], v[11:12], v[9:10]
	s_delay_alu instid0(VALU_DEP_1) | instskip(NEXT) | instid1(VALU_DEP_1)
	v_div_fmas_f64 v[2:3], v[2:3], v[7:8], v[11:12]
	v_div_fixup_f64 v[2:3], v[2:3], v[0:1], 1.0
	s_delay_alu instid0(VALU_DEP_1)
	v_mul_f64 v[0:1], v[5:6], v[2:3]
	v_xor_b32_e32 v3, 0x80000000, v3
.LBB124_355:
	s_and_not1_saveexec_b32 s2, s2
	s_cbranch_execz .LBB124_357
; %bb.356:
	s_delay_alu instid0(VALU_DEP_1) | instskip(SKIP_1) | instid1(VALU_DEP_2)
	v_div_scale_f64 v[5:6], null, v[0:1], v[0:1], v[2:3]
	v_div_scale_f64 v[11:12], vcc_lo, v[2:3], v[0:1], v[2:3]
	v_rcp_f64_e32 v[7:8], v[5:6]
	s_waitcnt_depctr 0xfff
	v_fma_f64 v[9:10], -v[5:6], v[7:8], 1.0
	s_delay_alu instid0(VALU_DEP_1) | instskip(NEXT) | instid1(VALU_DEP_1)
	v_fma_f64 v[7:8], v[7:8], v[9:10], v[7:8]
	v_fma_f64 v[9:10], -v[5:6], v[7:8], 1.0
	s_delay_alu instid0(VALU_DEP_1) | instskip(NEXT) | instid1(VALU_DEP_1)
	v_fma_f64 v[7:8], v[7:8], v[9:10], v[7:8]
	v_mul_f64 v[9:10], v[11:12], v[7:8]
	s_delay_alu instid0(VALU_DEP_1) | instskip(NEXT) | instid1(VALU_DEP_1)
	v_fma_f64 v[5:6], -v[5:6], v[9:10], v[11:12]
	v_div_fmas_f64 v[5:6], v[5:6], v[7:8], v[9:10]
	s_delay_alu instid0(VALU_DEP_1) | instskip(NEXT) | instid1(VALU_DEP_1)
	v_div_fixup_f64 v[5:6], v[5:6], v[0:1], v[2:3]
	v_fma_f64 v[0:1], v[2:3], v[5:6], v[0:1]
	s_delay_alu instid0(VALU_DEP_1) | instskip(NEXT) | instid1(VALU_DEP_1)
	v_div_scale_f64 v[2:3], null, v[0:1], v[0:1], 1.0
	v_rcp_f64_e32 v[7:8], v[2:3]
	s_waitcnt_depctr 0xfff
	v_fma_f64 v[9:10], -v[2:3], v[7:8], 1.0
	s_delay_alu instid0(VALU_DEP_1) | instskip(NEXT) | instid1(VALU_DEP_1)
	v_fma_f64 v[7:8], v[7:8], v[9:10], v[7:8]
	v_fma_f64 v[9:10], -v[2:3], v[7:8], 1.0
	s_delay_alu instid0(VALU_DEP_1) | instskip(SKIP_1) | instid1(VALU_DEP_1)
	v_fma_f64 v[7:8], v[7:8], v[9:10], v[7:8]
	v_div_scale_f64 v[9:10], vcc_lo, 1.0, v[0:1], 1.0
	v_mul_f64 v[11:12], v[9:10], v[7:8]
	s_delay_alu instid0(VALU_DEP_1) | instskip(NEXT) | instid1(VALU_DEP_1)
	v_fma_f64 v[2:3], -v[2:3], v[11:12], v[9:10]
	v_div_fmas_f64 v[2:3], v[2:3], v[7:8], v[11:12]
	s_delay_alu instid0(VALU_DEP_1) | instskip(NEXT) | instid1(VALU_DEP_1)
	v_div_fixup_f64 v[0:1], v[2:3], v[0:1], 1.0
	v_mul_f64 v[2:3], v[5:6], -v[0:1]
.LBB124_357:
	s_or_b32 exec_lo, exec_lo, s2
.LBB124_358:
	s_delay_alu instid0(SALU_CYCLE_1) | instskip(NEXT) | instid1(SALU_CYCLE_1)
	s_or_b32 exec_lo, exec_lo, s3
	s_mov_b32 s2, exec_lo
	v_cmpx_ne_u32_e64 v40, v4
	s_xor_b32 s2, exec_lo, s2
	s_cbranch_execz .LBB124_364
; %bb.359:
	s_mov_b32 s3, exec_lo
	v_cmpx_eq_u32_e32 14, v40
	s_cbranch_execz .LBB124_363
; %bb.360:
	v_cmp_ne_u32_e32 vcc_lo, 14, v4
	s_xor_b32 s6, s4, -1
	s_delay_alu instid0(SALU_CYCLE_1) | instskip(NEXT) | instid1(SALU_CYCLE_1)
	s_and_b32 s7, s6, vcc_lo
	s_and_saveexec_b32 s6, s7
	s_cbranch_execz .LBB124_362
; %bb.361:
	v_ashrrev_i32_e32 v5, 31, v4
	s_delay_alu instid0(VALU_DEP_1) | instskip(NEXT) | instid1(VALU_DEP_1)
	v_lshlrev_b64 v[5:6], 2, v[4:5]
	v_add_co_u32 v5, vcc_lo, v145, v5
	s_delay_alu instid0(VALU_DEP_2)
	v_add_co_ci_u32_e32 v6, vcc_lo, v146, v6, vcc_lo
	s_clause 0x1
	flat_load_b32 v7, v[5:6]
	flat_load_b32 v8, v[145:146] offset:56
	s_waitcnt vmcnt(1) lgkmcnt(1)
	flat_store_b32 v[145:146], v7 offset:56
	s_waitcnt vmcnt(0) lgkmcnt(1)
	flat_store_b32 v[5:6], v8
.LBB124_362:
	s_or_b32 exec_lo, exec_lo, s6
	v_mov_b32_e32 v40, v4
	v_mov_b32_e32 v39, v4
.LBB124_363:
	s_or_b32 exec_lo, exec_lo, s3
.LBB124_364:
	s_and_not1_saveexec_b32 s2, s2
	s_cbranch_execz .LBB124_368
; %bb.365:
	v_add3_u32 v4, v38, 0, 0xf0
	v_mov_b32_e32 v5, 0
	s_mov_b32 s3, 0
.LBB124_366:                            ; =>This Inner Loop Header: Depth=1
	s_delay_alu instid0(VALU_DEP_1) | instskip(NEXT) | instid1(VALU_DEP_3)
	v_readfirstlane_b32 s6, v5
	v_add_nc_u32_e32 v18, s3, v4
	s_delay_alu instid0(VALU_DEP_2)
	s_add_i32 s6, s6, s3
	s_addk_i32 s3, 0x100
	s_add_i32 s7, s6, 0xf0
	s_add_i32 s9, s6, 0x100
	s_add_i32 s12, s6, 0x110
	s_add_i32 s14, s6, 0x120
	s_add_i32 s15, s6, 0x130
	s_add_i32 s16, s6, 0x140
	s_add_i32 s17, s6, 0x150
	s_add_i32 s18, s6, 0x160
	s_add_i32 s19, s6, 0x170
	s_add_i32 s20, s6, 0x180
	s_add_i32 s21, s6, 0x190
	s_add_i32 s22, s6, 0x1a0
	s_add_i32 s23, s6, 0x1b0
	s_add_i32 s24, s6, 0x1c0
	s_add_i32 s25, s6, 0x1d0
	s_addk_i32 s6, 0x1e0
	s_clause 0xf
	scratch_load_b128 v[6:9], off, s7
	scratch_load_b128 v[10:13], off, s9
	;; [unrolled: 1-line block ×16, first 2 shown]
	s_cmpk_eq_i32 s3, 0x300
	s_waitcnt vmcnt(15)
	ds_store_2addr_b64 v18, v[6:7], v[8:9] offset1:1
	s_waitcnt vmcnt(14)
	ds_store_2addr_b64 v18, v[10:11], v[12:13] offset0:2 offset1:3
	s_waitcnt vmcnt(13)
	ds_store_2addr_b64 v18, v[14:15], v[16:17] offset0:4 offset1:5
	;; [unrolled: 2-line block ×15, first 2 shown]
	s_cbranch_scc0 .LBB124_366
; %bb.367:
	v_mov_b32_e32 v40, 14
.LBB124_368:
	s_or_b32 exec_lo, exec_lo, s2
	s_delay_alu instid0(SALU_CYCLE_1)
	s_mov_b32 s2, exec_lo
	s_waitcnt lgkmcnt(0)
	s_waitcnt_vscnt null, 0x0
	s_barrier
	buffer_gl0_inv
	v_cmpx_lt_i32_e32 14, v40
	s_cbranch_execz .LBB124_371
; %bb.369:
	scratch_load_b128 v[4:7], off, off offset:224
	s_mov_b32 s3, 0
	s_waitcnt vmcnt(0)
	v_mul_f64 v[8:9], v[2:3], v[6:7]
	v_mul_f64 v[6:7], v[0:1], v[6:7]
	s_delay_alu instid0(VALU_DEP_2) | instskip(NEXT) | instid1(VALU_DEP_2)
	v_fma_f64 v[0:1], v[0:1], v[4:5], -v[8:9]
	v_fma_f64 v[2:3], v[2:3], v[4:5], v[6:7]
	v_add3_u32 v4, v38, 0, 0xf0
	v_mov_b32_e32 v5, 0
	scratch_store_b128 off, v[0:3], off offset:224
.LBB124_370:                            ; =>This Inner Loop Header: Depth=1
	v_readfirstlane_b32 s6, v5
	v_add_nc_u32_e32 v18, s3, v4
	s_delay_alu instid0(VALU_DEP_2)
	s_add_i32 s7, s6, s3
	s_addk_i32 s3, 0x60
	s_add_i32 s6, s7, 0xf0
	s_add_i32 s9, s7, 0x100
	;; [unrolled: 1-line block ×5, first 2 shown]
	s_addk_i32 s7, 0x140
	s_clause 0x5
	scratch_load_b128 v[6:9], off, s6
	scratch_load_b128 v[10:13], off, s9
	;; [unrolled: 1-line block ×6, first 2 shown]
	ds_load_2addr_b64 v[65:68], v18 offset1:1
	ds_load_2addr_b64 v[73:76], v18 offset0:2 offset1:3
	ds_load_2addr_b64 v[85:88], v18 offset0:4 offset1:5
	;; [unrolled: 1-line block ×5, first 2 shown]
	s_cmpk_lg_i32 s3, 0x300
	s_waitcnt lgkmcnt(5)
	v_mul_f64 v[18:19], v[67:68], v[2:3]
	v_mul_f64 v[45:46], v[65:66], v[2:3]
	s_waitcnt lgkmcnt(4)
	v_mul_f64 v[49:50], v[75:76], v[2:3]
	v_mul_f64 v[61:62], v[73:74], v[2:3]
	;; [unrolled: 3-line block ×6, first 2 shown]
	v_fma_f64 v[18:19], v[65:66], v[0:1], -v[18:19]
	v_fma_f64 v[45:46], v[67:68], v[0:1], v[45:46]
	v_fma_f64 v[49:50], v[73:74], v[0:1], -v[49:50]
	v_fma_f64 v[61:62], v[75:76], v[0:1], v[61:62]
	;; [unrolled: 2-line block ×6, first 2 shown]
	s_waitcnt vmcnt(5)
	v_add_f64 v[6:7], v[6:7], -v[18:19]
	v_add_f64 v[8:9], v[8:9], -v[45:46]
	s_waitcnt vmcnt(4)
	v_add_f64 v[10:11], v[10:11], -v[49:50]
	v_add_f64 v[12:13], v[12:13], -v[61:62]
	;; [unrolled: 3-line block ×6, first 2 shown]
	s_clause 0x5
	scratch_store_b128 off, v[6:9], s6
	scratch_store_b128 off, v[10:13], s9
	;; [unrolled: 1-line block ×6, first 2 shown]
	s_cbranch_scc1 .LBB124_370
.LBB124_371:
	s_or_b32 exec_lo, exec_lo, s2
	s_waitcnt_vscnt null, 0x0
	s_barrier
	buffer_gl0_inv
	scratch_load_b128 v[0:3], v32, off
	v_lshl_add_u32 v4, v40, 4, v20
	s_cmp_lt_i32 s5, 17
	s_waitcnt vmcnt(0)
	ds_store_2addr_b64 v4, v[0:1], v[2:3] offset1:1
	s_waitcnt lgkmcnt(0)
	s_barrier
	buffer_gl0_inv
	ds_load_2addr_b64 v[0:3], v20 offset0:30 offset1:31
	v_mov_b32_e32 v4, 15
	s_cbranch_scc1 .LBB124_374
; %bb.372:
	v_add3_u32 v5, v38, 0, 0x100
	v_mov_b32_e32 v4, 15
	s_mov_b32 s6, 16
	s_set_inst_prefetch_distance 0x1
	.p2align	6
.LBB124_373:                            ; =>This Inner Loop Header: Depth=1
	ds_load_2addr_b64 v[6:9], v5 offset1:1
	s_waitcnt lgkmcnt(1)
	v_cmp_gt_f64_e32 vcc_lo, 0, v[0:1]
	v_xor_b32_e32 v10, 0x80000000, v1
	v_cmp_gt_f64_e64 s2, 0, v[2:3]
	v_xor_b32_e32 v12, 0x80000000, v3
	v_add_nc_u32_e32 v5, 16, v5
	s_waitcnt lgkmcnt(0)
	v_cmp_gt_f64_e64 s3, 0, v[6:7]
	v_mov_b32_e32 v14, v6
	v_dual_mov_b32 v16, v8 :: v_dual_cndmask_b32 v11, v1, v10
	v_xor_b32_e32 v10, 0x80000000, v7
	v_cndmask_b32_e64 v13, v3, v12, s2
	v_xor_b32_e32 v12, 0x80000000, v9
	s_delay_alu instid0(VALU_DEP_3) | instskip(SKIP_2) | instid1(VALU_DEP_2)
	v_cndmask_b32_e64 v15, v7, v10, s3
	v_cmp_gt_f64_e64 s3, 0, v[8:9]
	v_cndmask_b32_e32 v10, v0, v0, vcc_lo
	v_cndmask_b32_e64 v17, v9, v12, s3
	v_cndmask_b32_e64 v12, v2, v2, s2
	s_delay_alu instid0(VALU_DEP_2) | instskip(NEXT) | instid1(VALU_DEP_2)
	v_add_f64 v[14:15], v[14:15], v[16:17]
	v_add_f64 v[10:11], v[10:11], v[12:13]
	s_delay_alu instid0(VALU_DEP_1)
	v_cmp_lt_f64_e32 vcc_lo, v[10:11], v[14:15]
	v_cndmask_b32_e32 v3, v3, v9, vcc_lo
	v_dual_cndmask_b32 v1, v1, v7 :: v_dual_cndmask_b32 v0, v0, v6
	v_cndmask_b32_e32 v2, v2, v8, vcc_lo
	v_cndmask_b32_e64 v4, v4, s6, vcc_lo
	s_add_i32 s6, s6, 1
	s_delay_alu instid0(SALU_CYCLE_1)
	s_cmp_lg_u32 s5, s6
	s_cbranch_scc1 .LBB124_373
.LBB124_374:
	s_set_inst_prefetch_distance 0x2
	s_waitcnt lgkmcnt(0)
	v_cmp_eq_f64_e32 vcc_lo, 0, v[0:1]
	v_cmp_eq_f64_e64 s2, 0, v[2:3]
	s_delay_alu instid0(VALU_DEP_1) | instskip(NEXT) | instid1(SALU_CYCLE_1)
	s_and_b32 s2, vcc_lo, s2
	s_and_saveexec_b32 s3, s2
	s_delay_alu instid0(SALU_CYCLE_1)
	s_xor_b32 s2, exec_lo, s3
; %bb.375:
	v_cmp_ne_u32_e32 vcc_lo, 0, v37
	v_cndmask_b32_e32 v37, 16, v37, vcc_lo
; %bb.376:
	s_and_not1_saveexec_b32 s3, s2
	s_cbranch_execz .LBB124_382
; %bb.377:
	v_cmp_gt_f64_e32 vcc_lo, 0, v[0:1]
	v_cmp_gt_f64_e64 s2, 0, v[2:3]
	v_xor_b32_e32 v5, 0x80000000, v1
	v_xor_b32_e32 v7, 0x80000000, v3
	s_delay_alu instid0(VALU_DEP_2) | instskip(NEXT) | instid1(VALU_DEP_2)
	v_dual_cndmask_b32 v6, v1, v5 :: v_dual_cndmask_b32 v5, v0, v0
	v_cndmask_b32_e64 v8, v3, v7, s2
	v_cndmask_b32_e64 v7, v2, v2, s2
	s_mov_b32 s2, exec_lo
	s_delay_alu instid0(VALU_DEP_1)
	v_cmpx_ngt_f64_e32 v[5:6], v[7:8]
	s_xor_b32 s2, exec_lo, s2
	s_cbranch_execz .LBB124_379
; %bb.378:
	v_div_scale_f64 v[5:6], null, v[2:3], v[2:3], v[0:1]
	v_div_scale_f64 v[11:12], vcc_lo, v[0:1], v[2:3], v[0:1]
	s_delay_alu instid0(VALU_DEP_2) | instskip(SKIP_2) | instid1(VALU_DEP_1)
	v_rcp_f64_e32 v[7:8], v[5:6]
	s_waitcnt_depctr 0xfff
	v_fma_f64 v[9:10], -v[5:6], v[7:8], 1.0
	v_fma_f64 v[7:8], v[7:8], v[9:10], v[7:8]
	s_delay_alu instid0(VALU_DEP_1) | instskip(NEXT) | instid1(VALU_DEP_1)
	v_fma_f64 v[9:10], -v[5:6], v[7:8], 1.0
	v_fma_f64 v[7:8], v[7:8], v[9:10], v[7:8]
	s_delay_alu instid0(VALU_DEP_1) | instskip(NEXT) | instid1(VALU_DEP_1)
	v_mul_f64 v[9:10], v[11:12], v[7:8]
	v_fma_f64 v[5:6], -v[5:6], v[9:10], v[11:12]
	s_delay_alu instid0(VALU_DEP_1) | instskip(NEXT) | instid1(VALU_DEP_1)
	v_div_fmas_f64 v[5:6], v[5:6], v[7:8], v[9:10]
	v_div_fixup_f64 v[5:6], v[5:6], v[2:3], v[0:1]
	s_delay_alu instid0(VALU_DEP_1) | instskip(NEXT) | instid1(VALU_DEP_1)
	v_fma_f64 v[0:1], v[0:1], v[5:6], v[2:3]
	v_div_scale_f64 v[2:3], null, v[0:1], v[0:1], 1.0
	s_delay_alu instid0(VALU_DEP_1) | instskip(SKIP_2) | instid1(VALU_DEP_1)
	v_rcp_f64_e32 v[7:8], v[2:3]
	s_waitcnt_depctr 0xfff
	v_fma_f64 v[9:10], -v[2:3], v[7:8], 1.0
	v_fma_f64 v[7:8], v[7:8], v[9:10], v[7:8]
	s_delay_alu instid0(VALU_DEP_1) | instskip(NEXT) | instid1(VALU_DEP_1)
	v_fma_f64 v[9:10], -v[2:3], v[7:8], 1.0
	v_fma_f64 v[7:8], v[7:8], v[9:10], v[7:8]
	v_div_scale_f64 v[9:10], vcc_lo, 1.0, v[0:1], 1.0
	s_delay_alu instid0(VALU_DEP_1) | instskip(NEXT) | instid1(VALU_DEP_1)
	v_mul_f64 v[11:12], v[9:10], v[7:8]
	v_fma_f64 v[2:3], -v[2:3], v[11:12], v[9:10]
	s_delay_alu instid0(VALU_DEP_1) | instskip(NEXT) | instid1(VALU_DEP_1)
	v_div_fmas_f64 v[2:3], v[2:3], v[7:8], v[11:12]
	v_div_fixup_f64 v[2:3], v[2:3], v[0:1], 1.0
	s_delay_alu instid0(VALU_DEP_1)
	v_mul_f64 v[0:1], v[5:6], v[2:3]
	v_xor_b32_e32 v3, 0x80000000, v3
.LBB124_379:
	s_and_not1_saveexec_b32 s2, s2
	s_cbranch_execz .LBB124_381
; %bb.380:
	s_delay_alu instid0(VALU_DEP_1) | instskip(SKIP_1) | instid1(VALU_DEP_2)
	v_div_scale_f64 v[5:6], null, v[0:1], v[0:1], v[2:3]
	v_div_scale_f64 v[11:12], vcc_lo, v[2:3], v[0:1], v[2:3]
	v_rcp_f64_e32 v[7:8], v[5:6]
	s_waitcnt_depctr 0xfff
	v_fma_f64 v[9:10], -v[5:6], v[7:8], 1.0
	s_delay_alu instid0(VALU_DEP_1) | instskip(NEXT) | instid1(VALU_DEP_1)
	v_fma_f64 v[7:8], v[7:8], v[9:10], v[7:8]
	v_fma_f64 v[9:10], -v[5:6], v[7:8], 1.0
	s_delay_alu instid0(VALU_DEP_1) | instskip(NEXT) | instid1(VALU_DEP_1)
	v_fma_f64 v[7:8], v[7:8], v[9:10], v[7:8]
	v_mul_f64 v[9:10], v[11:12], v[7:8]
	s_delay_alu instid0(VALU_DEP_1) | instskip(NEXT) | instid1(VALU_DEP_1)
	v_fma_f64 v[5:6], -v[5:6], v[9:10], v[11:12]
	v_div_fmas_f64 v[5:6], v[5:6], v[7:8], v[9:10]
	s_delay_alu instid0(VALU_DEP_1) | instskip(NEXT) | instid1(VALU_DEP_1)
	v_div_fixup_f64 v[5:6], v[5:6], v[0:1], v[2:3]
	v_fma_f64 v[0:1], v[2:3], v[5:6], v[0:1]
	s_delay_alu instid0(VALU_DEP_1) | instskip(NEXT) | instid1(VALU_DEP_1)
	v_div_scale_f64 v[2:3], null, v[0:1], v[0:1], 1.0
	v_rcp_f64_e32 v[7:8], v[2:3]
	s_waitcnt_depctr 0xfff
	v_fma_f64 v[9:10], -v[2:3], v[7:8], 1.0
	s_delay_alu instid0(VALU_DEP_1) | instskip(NEXT) | instid1(VALU_DEP_1)
	v_fma_f64 v[7:8], v[7:8], v[9:10], v[7:8]
	v_fma_f64 v[9:10], -v[2:3], v[7:8], 1.0
	s_delay_alu instid0(VALU_DEP_1) | instskip(SKIP_1) | instid1(VALU_DEP_1)
	v_fma_f64 v[7:8], v[7:8], v[9:10], v[7:8]
	v_div_scale_f64 v[9:10], vcc_lo, 1.0, v[0:1], 1.0
	v_mul_f64 v[11:12], v[9:10], v[7:8]
	s_delay_alu instid0(VALU_DEP_1) | instskip(NEXT) | instid1(VALU_DEP_1)
	v_fma_f64 v[2:3], -v[2:3], v[11:12], v[9:10]
	v_div_fmas_f64 v[2:3], v[2:3], v[7:8], v[11:12]
	s_delay_alu instid0(VALU_DEP_1) | instskip(NEXT) | instid1(VALU_DEP_1)
	v_div_fixup_f64 v[0:1], v[2:3], v[0:1], 1.0
	v_mul_f64 v[2:3], v[5:6], -v[0:1]
.LBB124_381:
	s_or_b32 exec_lo, exec_lo, s2
.LBB124_382:
	s_delay_alu instid0(SALU_CYCLE_1) | instskip(NEXT) | instid1(SALU_CYCLE_1)
	s_or_b32 exec_lo, exec_lo, s3
	s_mov_b32 s2, exec_lo
	v_cmpx_ne_u32_e64 v40, v4
	s_xor_b32 s2, exec_lo, s2
	s_cbranch_execz .LBB124_388
; %bb.383:
	s_mov_b32 s3, exec_lo
	v_cmpx_eq_u32_e32 15, v40
	s_cbranch_execz .LBB124_387
; %bb.384:
	v_cmp_ne_u32_e32 vcc_lo, 15, v4
	s_xor_b32 s6, s4, -1
	s_delay_alu instid0(SALU_CYCLE_1) | instskip(NEXT) | instid1(SALU_CYCLE_1)
	s_and_b32 s7, s6, vcc_lo
	s_and_saveexec_b32 s6, s7
	s_cbranch_execz .LBB124_386
; %bb.385:
	v_ashrrev_i32_e32 v5, 31, v4
	s_delay_alu instid0(VALU_DEP_1) | instskip(NEXT) | instid1(VALU_DEP_1)
	v_lshlrev_b64 v[5:6], 2, v[4:5]
	v_add_co_u32 v5, vcc_lo, v145, v5
	s_delay_alu instid0(VALU_DEP_2)
	v_add_co_ci_u32_e32 v6, vcc_lo, v146, v6, vcc_lo
	s_clause 0x1
	flat_load_b32 v7, v[5:6]
	flat_load_b32 v8, v[145:146] offset:60
	s_waitcnt vmcnt(1) lgkmcnt(1)
	flat_store_b32 v[145:146], v7 offset:60
	s_waitcnt vmcnt(0) lgkmcnt(1)
	flat_store_b32 v[5:6], v8
.LBB124_386:
	s_or_b32 exec_lo, exec_lo, s6
	v_mov_b32_e32 v40, v4
	v_mov_b32_e32 v39, v4
.LBB124_387:
	s_or_b32 exec_lo, exec_lo, s3
.LBB124_388:
	s_and_not1_saveexec_b32 s2, s2
	s_cbranch_execz .LBB124_394
; %bb.389:
	v_add3_u32 v4, v38, 0, 0x100
	v_mov_b32_e32 v5, 0
	s_mov_b32 s3, 0
	s_branch .LBB124_391
.LBB124_390:                            ;   in Loop: Header=BB124_391 Depth=1
	s_and_not1_b32 vcc_lo, exec_lo, s7
	s_cbranch_vccz .LBB124_393
.LBB124_391:                            ; =>This Inner Loop Header: Depth=1
	s_delay_alu instid0(VALU_DEP_1) | instskip(SKIP_1) | instid1(VALU_DEP_2)
	v_readfirstlane_b32 s6, v5
	v_add_nc_u32_e32 v6, s3, v4
	s_add_i32 s6, s6, s3
	s_delay_alu instid0(SALU_CYCLE_1)
	s_add_i32 s7, s6, 0x100
	s_add_i32 s9, s6, 0x110
	;; [unrolled: 1-line block ×7, first 2 shown]
	s_clause 0x6
	scratch_load_b128 v[7:10], off, s7
	scratch_load_b128 v[11:14], off, s9
	;; [unrolled: 1-line block ×7, first 2 shown]
	s_mov_b32 s7, -1
	s_cmpk_eq_i32 s3, 0x280
	s_waitcnt vmcnt(6)
	ds_store_2addr_b64 v6, v[7:8], v[9:10] offset1:1
	s_waitcnt vmcnt(5)
	ds_store_2addr_b64 v6, v[11:12], v[13:14] offset0:2 offset1:3
	s_waitcnt vmcnt(4)
	ds_store_2addr_b64 v6, v[15:16], v[17:18] offset0:4 offset1:5
	;; [unrolled: 2-line block ×6, first 2 shown]
	s_cbranch_scc1 .LBB124_390
; %bb.392:                              ;   in Loop: Header=BB124_391 Depth=1
	s_addk_i32 s6, 0x170
	s_addk_i32 s3, 0x80
	scratch_load_b128 v[7:10], off, s6
	s_mov_b32 s7, 0
	s_waitcnt vmcnt(0)
	ds_store_2addr_b64 v6, v[7:8], v[9:10] offset0:14 offset1:15
	s_branch .LBB124_390
.LBB124_393:
	v_mov_b32_e32 v40, 15
.LBB124_394:
	s_or_b32 exec_lo, exec_lo, s2
	s_delay_alu instid0(SALU_CYCLE_1)
	s_mov_b32 s2, exec_lo
	s_waitcnt lgkmcnt(0)
	s_waitcnt_vscnt null, 0x0
	s_barrier
	buffer_gl0_inv
	v_cmpx_lt_i32_e32 15, v40
	s_cbranch_execz .LBB124_399
; %bb.395:
	scratch_load_b128 v[4:7], off, off offset:240
	s_mov_b32 s3, 0
	s_waitcnt vmcnt(0)
	v_mul_f64 v[8:9], v[2:3], v[6:7]
	v_mul_f64 v[6:7], v[0:1], v[6:7]
	s_delay_alu instid0(VALU_DEP_2) | instskip(NEXT) | instid1(VALU_DEP_2)
	v_fma_f64 v[0:1], v[0:1], v[4:5], -v[8:9]
	v_fma_f64 v[2:3], v[2:3], v[4:5], v[6:7]
	v_add3_u32 v4, v38, 0, 0x100
	v_mov_b32_e32 v5, 0
	scratch_store_b128 off, v[0:3], off offset:240
	s_branch .LBB124_397
.LBB124_396:                            ;   in Loop: Header=BB124_397 Depth=1
	s_and_not1_b32 vcc_lo, exec_lo, s7
	s_cbranch_vccz .LBB124_399
.LBB124_397:                            ; =>This Inner Loop Header: Depth=1
	v_readfirstlane_b32 s6, v5
	v_add_nc_u32_e32 v6, s3, v4
	s_mov_b32 s7, -1
	s_delay_alu instid0(VALU_DEP_2) | instskip(NEXT) | instid1(SALU_CYCLE_1)
	s_add_i32 s6, s6, s3
	s_add_i32 s9, s6, 0x100
	;; [unrolled: 1-line block ×3, first 2 shown]
	scratch_load_b128 v[7:10], off, s9
	s_add_i32 s14, s6, 0x120
	s_clause 0x1
	scratch_load_b128 v[11:14], off, s12
	scratch_load_b128 v[15:18], off, s14
	ds_load_2addr_b64 v[41:44], v6 offset1:1
	ds_load_2addr_b64 v[53:56], v6 offset0:2 offset1:3
	ds_load_2addr_b64 v[57:60], v6 offset0:4 offset1:5
	s_cmpk_eq_i32 s3, 0x2c0
	s_waitcnt lgkmcnt(2)
	v_mul_f64 v[45:46], v[43:44], v[2:3]
	v_mul_f64 v[49:50], v[41:42], v[2:3]
	s_waitcnt lgkmcnt(1)
	v_mul_f64 v[61:62], v[55:56], v[2:3]
	v_mul_f64 v[65:66], v[53:54], v[2:3]
	;; [unrolled: 3-line block ×3, first 2 shown]
	v_fma_f64 v[41:42], v[41:42], v[0:1], -v[45:46]
	v_fma_f64 v[43:44], v[43:44], v[0:1], v[49:50]
	v_fma_f64 v[45:46], v[53:54], v[0:1], -v[61:62]
	v_fma_f64 v[49:50], v[55:56], v[0:1], v[65:66]
	;; [unrolled: 2-line block ×3, first 2 shown]
	s_waitcnt vmcnt(2)
	v_add_f64 v[7:8], v[7:8], -v[41:42]
	v_add_f64 v[9:10], v[9:10], -v[43:44]
	s_waitcnt vmcnt(1)
	v_add_f64 v[11:12], v[11:12], -v[45:46]
	v_add_f64 v[13:14], v[13:14], -v[49:50]
	s_waitcnt vmcnt(0)
	v_add_f64 v[15:16], v[15:16], -v[53:54]
	v_add_f64 v[17:18], v[17:18], -v[55:56]
	s_clause 0x2
	scratch_store_b128 off, v[7:10], s9
	scratch_store_b128 off, v[11:14], s12
	;; [unrolled: 1-line block ×3, first 2 shown]
	s_cbranch_scc1 .LBB124_396
; %bb.398:                              ;   in Loop: Header=BB124_397 Depth=1
	s_addk_i32 s6, 0x130
	ds_load_2addr_b64 v[11:14], v6 offset0:6 offset1:7
	scratch_load_b128 v[7:10], off, s6
	s_add_i32 s3, s3, 64
	s_mov_b32 s7, 0
	s_waitcnt lgkmcnt(0)
	v_mul_f64 v[15:16], v[13:14], v[2:3]
	v_mul_f64 v[17:18], v[11:12], v[2:3]
	s_delay_alu instid0(VALU_DEP_2) | instskip(NEXT) | instid1(VALU_DEP_2)
	v_fma_f64 v[11:12], v[11:12], v[0:1], -v[15:16]
	v_fma_f64 v[13:14], v[13:14], v[0:1], v[17:18]
	s_waitcnt vmcnt(0)
	s_delay_alu instid0(VALU_DEP_2) | instskip(NEXT) | instid1(VALU_DEP_2)
	v_add_f64 v[6:7], v[7:8], -v[11:12]
	v_add_f64 v[8:9], v[9:10], -v[13:14]
	scratch_store_b128 off, v[6:9], s6
	s_branch .LBB124_396
.LBB124_399:
	s_or_b32 exec_lo, exec_lo, s2
	s_waitcnt_vscnt null, 0x0
	s_barrier
	buffer_gl0_inv
	scratch_load_b128 v[0:3], v36, off
	v_lshl_add_u32 v4, v40, 4, v20
	s_cmp_lt_i32 s5, 18
	s_waitcnt vmcnt(0)
	ds_store_2addr_b64 v4, v[0:1], v[2:3] offset1:1
	s_waitcnt lgkmcnt(0)
	s_barrier
	buffer_gl0_inv
	ds_load_2addr_b64 v[0:3], v20 offset0:32 offset1:33
	v_mov_b32_e32 v4, 16
	s_cbranch_scc1 .LBB124_402
; %bb.400:
	v_add3_u32 v5, v38, 0, 0x110
	v_mov_b32_e32 v4, 16
	s_mov_b32 s6, 17
	s_set_inst_prefetch_distance 0x1
	.p2align	6
.LBB124_401:                            ; =>This Inner Loop Header: Depth=1
	ds_load_2addr_b64 v[6:9], v5 offset1:1
	s_waitcnt lgkmcnt(1)
	v_cmp_gt_f64_e32 vcc_lo, 0, v[0:1]
	v_xor_b32_e32 v10, 0x80000000, v1
	v_cmp_gt_f64_e64 s2, 0, v[2:3]
	v_xor_b32_e32 v12, 0x80000000, v3
	v_add_nc_u32_e32 v5, 16, v5
	s_waitcnt lgkmcnt(0)
	v_cmp_gt_f64_e64 s3, 0, v[6:7]
	v_mov_b32_e32 v14, v6
	v_dual_mov_b32 v16, v8 :: v_dual_cndmask_b32 v11, v1, v10
	v_xor_b32_e32 v10, 0x80000000, v7
	v_cndmask_b32_e64 v13, v3, v12, s2
	v_xor_b32_e32 v12, 0x80000000, v9
	s_delay_alu instid0(VALU_DEP_3) | instskip(SKIP_2) | instid1(VALU_DEP_2)
	v_cndmask_b32_e64 v15, v7, v10, s3
	v_cmp_gt_f64_e64 s3, 0, v[8:9]
	v_cndmask_b32_e32 v10, v0, v0, vcc_lo
	v_cndmask_b32_e64 v17, v9, v12, s3
	v_cndmask_b32_e64 v12, v2, v2, s2
	s_delay_alu instid0(VALU_DEP_2) | instskip(NEXT) | instid1(VALU_DEP_2)
	v_add_f64 v[14:15], v[14:15], v[16:17]
	v_add_f64 v[10:11], v[10:11], v[12:13]
	s_delay_alu instid0(VALU_DEP_1)
	v_cmp_lt_f64_e32 vcc_lo, v[10:11], v[14:15]
	v_cndmask_b32_e32 v3, v3, v9, vcc_lo
	v_dual_cndmask_b32 v1, v1, v7 :: v_dual_cndmask_b32 v0, v0, v6
	v_cndmask_b32_e32 v2, v2, v8, vcc_lo
	v_cndmask_b32_e64 v4, v4, s6, vcc_lo
	s_add_i32 s6, s6, 1
	s_delay_alu instid0(SALU_CYCLE_1)
	s_cmp_lg_u32 s5, s6
	s_cbranch_scc1 .LBB124_401
.LBB124_402:
	s_set_inst_prefetch_distance 0x2
	s_waitcnt lgkmcnt(0)
	v_cmp_eq_f64_e32 vcc_lo, 0, v[0:1]
	v_cmp_eq_f64_e64 s2, 0, v[2:3]
	s_delay_alu instid0(VALU_DEP_1) | instskip(NEXT) | instid1(SALU_CYCLE_1)
	s_and_b32 s2, vcc_lo, s2
	s_and_saveexec_b32 s3, s2
	s_delay_alu instid0(SALU_CYCLE_1)
	s_xor_b32 s2, exec_lo, s3
; %bb.403:
	v_cmp_ne_u32_e32 vcc_lo, 0, v37
	v_cndmask_b32_e32 v37, 17, v37, vcc_lo
; %bb.404:
	s_and_not1_saveexec_b32 s3, s2
	s_cbranch_execz .LBB124_410
; %bb.405:
	v_cmp_gt_f64_e32 vcc_lo, 0, v[0:1]
	v_cmp_gt_f64_e64 s2, 0, v[2:3]
	v_xor_b32_e32 v5, 0x80000000, v1
	v_xor_b32_e32 v7, 0x80000000, v3
	s_delay_alu instid0(VALU_DEP_2) | instskip(NEXT) | instid1(VALU_DEP_2)
	v_dual_cndmask_b32 v6, v1, v5 :: v_dual_cndmask_b32 v5, v0, v0
	v_cndmask_b32_e64 v8, v3, v7, s2
	v_cndmask_b32_e64 v7, v2, v2, s2
	s_mov_b32 s2, exec_lo
	s_delay_alu instid0(VALU_DEP_1)
	v_cmpx_ngt_f64_e32 v[5:6], v[7:8]
	s_xor_b32 s2, exec_lo, s2
	s_cbranch_execz .LBB124_407
; %bb.406:
	v_div_scale_f64 v[5:6], null, v[2:3], v[2:3], v[0:1]
	v_div_scale_f64 v[11:12], vcc_lo, v[0:1], v[2:3], v[0:1]
	s_delay_alu instid0(VALU_DEP_2) | instskip(SKIP_2) | instid1(VALU_DEP_1)
	v_rcp_f64_e32 v[7:8], v[5:6]
	s_waitcnt_depctr 0xfff
	v_fma_f64 v[9:10], -v[5:6], v[7:8], 1.0
	v_fma_f64 v[7:8], v[7:8], v[9:10], v[7:8]
	s_delay_alu instid0(VALU_DEP_1) | instskip(NEXT) | instid1(VALU_DEP_1)
	v_fma_f64 v[9:10], -v[5:6], v[7:8], 1.0
	v_fma_f64 v[7:8], v[7:8], v[9:10], v[7:8]
	s_delay_alu instid0(VALU_DEP_1) | instskip(NEXT) | instid1(VALU_DEP_1)
	v_mul_f64 v[9:10], v[11:12], v[7:8]
	v_fma_f64 v[5:6], -v[5:6], v[9:10], v[11:12]
	s_delay_alu instid0(VALU_DEP_1) | instskip(NEXT) | instid1(VALU_DEP_1)
	v_div_fmas_f64 v[5:6], v[5:6], v[7:8], v[9:10]
	v_div_fixup_f64 v[5:6], v[5:6], v[2:3], v[0:1]
	s_delay_alu instid0(VALU_DEP_1) | instskip(NEXT) | instid1(VALU_DEP_1)
	v_fma_f64 v[0:1], v[0:1], v[5:6], v[2:3]
	v_div_scale_f64 v[2:3], null, v[0:1], v[0:1], 1.0
	s_delay_alu instid0(VALU_DEP_1) | instskip(SKIP_2) | instid1(VALU_DEP_1)
	v_rcp_f64_e32 v[7:8], v[2:3]
	s_waitcnt_depctr 0xfff
	v_fma_f64 v[9:10], -v[2:3], v[7:8], 1.0
	v_fma_f64 v[7:8], v[7:8], v[9:10], v[7:8]
	s_delay_alu instid0(VALU_DEP_1) | instskip(NEXT) | instid1(VALU_DEP_1)
	v_fma_f64 v[9:10], -v[2:3], v[7:8], 1.0
	v_fma_f64 v[7:8], v[7:8], v[9:10], v[7:8]
	v_div_scale_f64 v[9:10], vcc_lo, 1.0, v[0:1], 1.0
	s_delay_alu instid0(VALU_DEP_1) | instskip(NEXT) | instid1(VALU_DEP_1)
	v_mul_f64 v[11:12], v[9:10], v[7:8]
	v_fma_f64 v[2:3], -v[2:3], v[11:12], v[9:10]
	s_delay_alu instid0(VALU_DEP_1) | instskip(NEXT) | instid1(VALU_DEP_1)
	v_div_fmas_f64 v[2:3], v[2:3], v[7:8], v[11:12]
	v_div_fixup_f64 v[2:3], v[2:3], v[0:1], 1.0
	s_delay_alu instid0(VALU_DEP_1)
	v_mul_f64 v[0:1], v[5:6], v[2:3]
	v_xor_b32_e32 v3, 0x80000000, v3
.LBB124_407:
	s_and_not1_saveexec_b32 s2, s2
	s_cbranch_execz .LBB124_409
; %bb.408:
	s_delay_alu instid0(VALU_DEP_1) | instskip(SKIP_1) | instid1(VALU_DEP_2)
	v_div_scale_f64 v[5:6], null, v[0:1], v[0:1], v[2:3]
	v_div_scale_f64 v[11:12], vcc_lo, v[2:3], v[0:1], v[2:3]
	v_rcp_f64_e32 v[7:8], v[5:6]
	s_waitcnt_depctr 0xfff
	v_fma_f64 v[9:10], -v[5:6], v[7:8], 1.0
	s_delay_alu instid0(VALU_DEP_1) | instskip(NEXT) | instid1(VALU_DEP_1)
	v_fma_f64 v[7:8], v[7:8], v[9:10], v[7:8]
	v_fma_f64 v[9:10], -v[5:6], v[7:8], 1.0
	s_delay_alu instid0(VALU_DEP_1) | instskip(NEXT) | instid1(VALU_DEP_1)
	v_fma_f64 v[7:8], v[7:8], v[9:10], v[7:8]
	v_mul_f64 v[9:10], v[11:12], v[7:8]
	s_delay_alu instid0(VALU_DEP_1) | instskip(NEXT) | instid1(VALU_DEP_1)
	v_fma_f64 v[5:6], -v[5:6], v[9:10], v[11:12]
	v_div_fmas_f64 v[5:6], v[5:6], v[7:8], v[9:10]
	s_delay_alu instid0(VALU_DEP_1) | instskip(NEXT) | instid1(VALU_DEP_1)
	v_div_fixup_f64 v[5:6], v[5:6], v[0:1], v[2:3]
	v_fma_f64 v[0:1], v[2:3], v[5:6], v[0:1]
	s_delay_alu instid0(VALU_DEP_1) | instskip(NEXT) | instid1(VALU_DEP_1)
	v_div_scale_f64 v[2:3], null, v[0:1], v[0:1], 1.0
	v_rcp_f64_e32 v[7:8], v[2:3]
	s_waitcnt_depctr 0xfff
	v_fma_f64 v[9:10], -v[2:3], v[7:8], 1.0
	s_delay_alu instid0(VALU_DEP_1) | instskip(NEXT) | instid1(VALU_DEP_1)
	v_fma_f64 v[7:8], v[7:8], v[9:10], v[7:8]
	v_fma_f64 v[9:10], -v[2:3], v[7:8], 1.0
	s_delay_alu instid0(VALU_DEP_1) | instskip(SKIP_1) | instid1(VALU_DEP_1)
	v_fma_f64 v[7:8], v[7:8], v[9:10], v[7:8]
	v_div_scale_f64 v[9:10], vcc_lo, 1.0, v[0:1], 1.0
	v_mul_f64 v[11:12], v[9:10], v[7:8]
	s_delay_alu instid0(VALU_DEP_1) | instskip(NEXT) | instid1(VALU_DEP_1)
	v_fma_f64 v[2:3], -v[2:3], v[11:12], v[9:10]
	v_div_fmas_f64 v[2:3], v[2:3], v[7:8], v[11:12]
	s_delay_alu instid0(VALU_DEP_1) | instskip(NEXT) | instid1(VALU_DEP_1)
	v_div_fixup_f64 v[0:1], v[2:3], v[0:1], 1.0
	v_mul_f64 v[2:3], v[5:6], -v[0:1]
.LBB124_409:
	s_or_b32 exec_lo, exec_lo, s2
.LBB124_410:
	s_delay_alu instid0(SALU_CYCLE_1) | instskip(NEXT) | instid1(SALU_CYCLE_1)
	s_or_b32 exec_lo, exec_lo, s3
	s_mov_b32 s2, exec_lo
	v_cmpx_ne_u32_e64 v40, v4
	s_xor_b32 s2, exec_lo, s2
	s_cbranch_execz .LBB124_416
; %bb.411:
	s_mov_b32 s3, exec_lo
	v_cmpx_eq_u32_e32 16, v40
	s_cbranch_execz .LBB124_415
; %bb.412:
	v_cmp_ne_u32_e32 vcc_lo, 16, v4
	s_xor_b32 s6, s4, -1
	s_delay_alu instid0(SALU_CYCLE_1) | instskip(NEXT) | instid1(SALU_CYCLE_1)
	s_and_b32 s7, s6, vcc_lo
	s_and_saveexec_b32 s6, s7
	s_cbranch_execz .LBB124_414
; %bb.413:
	v_ashrrev_i32_e32 v5, 31, v4
	s_delay_alu instid0(VALU_DEP_1) | instskip(NEXT) | instid1(VALU_DEP_1)
	v_lshlrev_b64 v[5:6], 2, v[4:5]
	v_add_co_u32 v5, vcc_lo, v145, v5
	s_delay_alu instid0(VALU_DEP_2)
	v_add_co_ci_u32_e32 v6, vcc_lo, v146, v6, vcc_lo
	s_clause 0x1
	flat_load_b32 v7, v[5:6]
	flat_load_b32 v8, v[145:146] offset:64
	s_waitcnt vmcnt(1) lgkmcnt(1)
	flat_store_b32 v[145:146], v7 offset:64
	s_waitcnt vmcnt(0) lgkmcnt(1)
	flat_store_b32 v[5:6], v8
.LBB124_414:
	s_or_b32 exec_lo, exec_lo, s6
	v_mov_b32_e32 v40, v4
	v_mov_b32_e32 v39, v4
.LBB124_415:
	s_or_b32 exec_lo, exec_lo, s3
.LBB124_416:
	s_and_not1_saveexec_b32 s2, s2
	s_cbranch_execz .LBB124_420
; %bb.417:
	v_add3_u32 v4, v38, 0, 0x110
	s_mov_b32 s3, 0
	.p2align	6
.LBB124_418:                            ; =>This Inner Loop Header: Depth=1
	s_delay_alu instid0(SALU_CYCLE_1) | instskip(NEXT) | instid1(VALU_DEP_2)
	v_add_nc_u32_e64 v5, s3, 0
	v_add_nc_u32_e32 v13, s3, v4
	s_add_i32 s3, s3, 32
	s_delay_alu instid0(SALU_CYCLE_1) | instskip(NEXT) | instid1(VALU_DEP_2)
	s_cmpk_eq_i32 s3, 0x2e0
	v_add_nc_u32_e32 v6, 0x110, v5
	v_add_nc_u32_e32 v9, 0x120, v5
	s_clause 0x1
	scratch_load_b128 v[5:8], v6, off
	scratch_load_b128 v[9:12], v9, off
	s_waitcnt vmcnt(1)
	ds_store_2addr_b64 v13, v[5:6], v[7:8] offset1:1
	s_waitcnt vmcnt(0)
	ds_store_2addr_b64 v13, v[9:10], v[11:12] offset0:2 offset1:3
	s_cbranch_scc0 .LBB124_418
; %bb.419:
	v_mov_b32_e32 v40, 16
.LBB124_420:
	s_or_b32 exec_lo, exec_lo, s2
	s_delay_alu instid0(SALU_CYCLE_1)
	s_mov_b32 s2, exec_lo
	s_waitcnt lgkmcnt(0)
	s_waitcnt_vscnt null, 0x0
	s_barrier
	buffer_gl0_inv
	v_cmpx_lt_i32_e32 16, v40
	s_cbranch_execz .LBB124_423
; %bb.421:
	scratch_load_b128 v[4:7], off, off offset:256
	s_mov_b32 s3, 0
	s_waitcnt vmcnt(0)
	v_mul_f64 v[8:9], v[2:3], v[6:7]
	v_mul_f64 v[6:7], v[0:1], v[6:7]
	s_delay_alu instid0(VALU_DEP_2) | instskip(NEXT) | instid1(VALU_DEP_2)
	v_fma_f64 v[0:1], v[0:1], v[4:5], -v[8:9]
	v_fma_f64 v[2:3], v[2:3], v[4:5], v[6:7]
	v_add3_u32 v4, v38, 0, 0x110
	scratch_store_b128 off, v[0:3], off offset:256
	s_set_inst_prefetch_distance 0x1
	.p2align	6
.LBB124_422:                            ; =>This Inner Loop Header: Depth=1
	v_add_nc_u32_e64 v5, s3, 0
	v_add_nc_u32_e32 v17, s3, v4
	s_add_i32 s3, s3, 32
	s_delay_alu instid0(SALU_CYCLE_1) | instskip(NEXT) | instid1(VALU_DEP_2)
	s_cmpk_lg_i32 s3, 0x2e0
	v_add_nc_u32_e32 v19, 0x110, v5
	v_add_nc_u32_e32 v47, 0x120, v5
	s_clause 0x1
	scratch_load_b128 v[5:8], v19, off
	scratch_load_b128 v[9:12], v47, off
	ds_load_2addr_b64 v[13:16], v17 offset1:1
	ds_load_2addr_b64 v[41:44], v17 offset0:2 offset1:3
	s_waitcnt lgkmcnt(1)
	v_mul_f64 v[17:18], v[15:16], v[2:3]
	v_mul_f64 v[45:46], v[13:14], v[2:3]
	s_waitcnt lgkmcnt(0)
	v_mul_f64 v[49:50], v[43:44], v[2:3]
	v_mul_f64 v[53:54], v[41:42], v[2:3]
	s_delay_alu instid0(VALU_DEP_4) | instskip(NEXT) | instid1(VALU_DEP_4)
	v_fma_f64 v[13:14], v[13:14], v[0:1], -v[17:18]
	v_fma_f64 v[15:16], v[15:16], v[0:1], v[45:46]
	s_delay_alu instid0(VALU_DEP_4) | instskip(NEXT) | instid1(VALU_DEP_4)
	v_fma_f64 v[17:18], v[41:42], v[0:1], -v[49:50]
	v_fma_f64 v[41:42], v[43:44], v[0:1], v[53:54]
	s_waitcnt vmcnt(1)
	s_delay_alu instid0(VALU_DEP_4) | instskip(NEXT) | instid1(VALU_DEP_4)
	v_add_f64 v[5:6], v[5:6], -v[13:14]
	v_add_f64 v[7:8], v[7:8], -v[15:16]
	s_waitcnt vmcnt(0)
	s_delay_alu instid0(VALU_DEP_4) | instskip(NEXT) | instid1(VALU_DEP_4)
	v_add_f64 v[9:10], v[9:10], -v[17:18]
	v_add_f64 v[11:12], v[11:12], -v[41:42]
	s_clause 0x1
	scratch_store_b128 v19, v[5:8], off
	scratch_store_b128 v47, v[9:12], off
	s_cbranch_scc1 .LBB124_422
.LBB124_423:
	s_set_inst_prefetch_distance 0x2
	s_or_b32 exec_lo, exec_lo, s2
	s_waitcnt_vscnt null, 0x0
	s_barrier
	buffer_gl0_inv
	scratch_load_b128 v[0:3], v48, off
	v_lshl_add_u32 v4, v40, 4, v20
	s_cmp_lt_i32 s5, 19
	s_waitcnt vmcnt(0)
	ds_store_2addr_b64 v4, v[0:1], v[2:3] offset1:1
	s_waitcnt lgkmcnt(0)
	s_barrier
	buffer_gl0_inv
	ds_load_2addr_b64 v[0:3], v20 offset0:34 offset1:35
	v_mov_b32_e32 v4, 17
	s_cbranch_scc1 .LBB124_426
; %bb.424:
	v_add3_u32 v5, v38, 0, 0x120
	v_mov_b32_e32 v4, 17
	s_mov_b32 s6, 18
	s_set_inst_prefetch_distance 0x1
	.p2align	6
.LBB124_425:                            ; =>This Inner Loop Header: Depth=1
	ds_load_2addr_b64 v[6:9], v5 offset1:1
	s_waitcnt lgkmcnt(1)
	v_cmp_gt_f64_e32 vcc_lo, 0, v[0:1]
	v_xor_b32_e32 v10, 0x80000000, v1
	v_cmp_gt_f64_e64 s2, 0, v[2:3]
	v_xor_b32_e32 v12, 0x80000000, v3
	v_add_nc_u32_e32 v5, 16, v5
	s_waitcnt lgkmcnt(0)
	v_cmp_gt_f64_e64 s3, 0, v[6:7]
	v_mov_b32_e32 v14, v6
	v_dual_mov_b32 v16, v8 :: v_dual_cndmask_b32 v11, v1, v10
	v_xor_b32_e32 v10, 0x80000000, v7
	v_cndmask_b32_e64 v13, v3, v12, s2
	v_xor_b32_e32 v12, 0x80000000, v9
	s_delay_alu instid0(VALU_DEP_3) | instskip(SKIP_2) | instid1(VALU_DEP_2)
	v_cndmask_b32_e64 v15, v7, v10, s3
	v_cmp_gt_f64_e64 s3, 0, v[8:9]
	v_cndmask_b32_e32 v10, v0, v0, vcc_lo
	v_cndmask_b32_e64 v17, v9, v12, s3
	v_cndmask_b32_e64 v12, v2, v2, s2
	s_delay_alu instid0(VALU_DEP_2) | instskip(NEXT) | instid1(VALU_DEP_2)
	v_add_f64 v[14:15], v[14:15], v[16:17]
	v_add_f64 v[10:11], v[10:11], v[12:13]
	s_delay_alu instid0(VALU_DEP_1)
	v_cmp_lt_f64_e32 vcc_lo, v[10:11], v[14:15]
	v_cndmask_b32_e32 v3, v3, v9, vcc_lo
	v_dual_cndmask_b32 v1, v1, v7 :: v_dual_cndmask_b32 v0, v0, v6
	v_cndmask_b32_e32 v2, v2, v8, vcc_lo
	v_cndmask_b32_e64 v4, v4, s6, vcc_lo
	s_add_i32 s6, s6, 1
	s_delay_alu instid0(SALU_CYCLE_1)
	s_cmp_lg_u32 s5, s6
	s_cbranch_scc1 .LBB124_425
.LBB124_426:
	s_set_inst_prefetch_distance 0x2
	s_waitcnt lgkmcnt(0)
	v_cmp_eq_f64_e32 vcc_lo, 0, v[0:1]
	v_cmp_eq_f64_e64 s2, 0, v[2:3]
	s_delay_alu instid0(VALU_DEP_1) | instskip(NEXT) | instid1(SALU_CYCLE_1)
	s_and_b32 s2, vcc_lo, s2
	s_and_saveexec_b32 s3, s2
	s_delay_alu instid0(SALU_CYCLE_1)
	s_xor_b32 s2, exec_lo, s3
; %bb.427:
	v_cmp_ne_u32_e32 vcc_lo, 0, v37
	v_cndmask_b32_e32 v37, 18, v37, vcc_lo
; %bb.428:
	s_and_not1_saveexec_b32 s3, s2
	s_cbranch_execz .LBB124_434
; %bb.429:
	v_cmp_gt_f64_e32 vcc_lo, 0, v[0:1]
	v_cmp_gt_f64_e64 s2, 0, v[2:3]
	v_xor_b32_e32 v5, 0x80000000, v1
	v_xor_b32_e32 v7, 0x80000000, v3
	s_delay_alu instid0(VALU_DEP_2) | instskip(NEXT) | instid1(VALU_DEP_2)
	v_dual_cndmask_b32 v6, v1, v5 :: v_dual_cndmask_b32 v5, v0, v0
	v_cndmask_b32_e64 v8, v3, v7, s2
	v_cndmask_b32_e64 v7, v2, v2, s2
	s_mov_b32 s2, exec_lo
	s_delay_alu instid0(VALU_DEP_1)
	v_cmpx_ngt_f64_e32 v[5:6], v[7:8]
	s_xor_b32 s2, exec_lo, s2
	s_cbranch_execz .LBB124_431
; %bb.430:
	v_div_scale_f64 v[5:6], null, v[2:3], v[2:3], v[0:1]
	v_div_scale_f64 v[11:12], vcc_lo, v[0:1], v[2:3], v[0:1]
	s_delay_alu instid0(VALU_DEP_2) | instskip(SKIP_2) | instid1(VALU_DEP_1)
	v_rcp_f64_e32 v[7:8], v[5:6]
	s_waitcnt_depctr 0xfff
	v_fma_f64 v[9:10], -v[5:6], v[7:8], 1.0
	v_fma_f64 v[7:8], v[7:8], v[9:10], v[7:8]
	s_delay_alu instid0(VALU_DEP_1) | instskip(NEXT) | instid1(VALU_DEP_1)
	v_fma_f64 v[9:10], -v[5:6], v[7:8], 1.0
	v_fma_f64 v[7:8], v[7:8], v[9:10], v[7:8]
	s_delay_alu instid0(VALU_DEP_1) | instskip(NEXT) | instid1(VALU_DEP_1)
	v_mul_f64 v[9:10], v[11:12], v[7:8]
	v_fma_f64 v[5:6], -v[5:6], v[9:10], v[11:12]
	s_delay_alu instid0(VALU_DEP_1) | instskip(NEXT) | instid1(VALU_DEP_1)
	v_div_fmas_f64 v[5:6], v[5:6], v[7:8], v[9:10]
	v_div_fixup_f64 v[5:6], v[5:6], v[2:3], v[0:1]
	s_delay_alu instid0(VALU_DEP_1) | instskip(NEXT) | instid1(VALU_DEP_1)
	v_fma_f64 v[0:1], v[0:1], v[5:6], v[2:3]
	v_div_scale_f64 v[2:3], null, v[0:1], v[0:1], 1.0
	s_delay_alu instid0(VALU_DEP_1) | instskip(SKIP_2) | instid1(VALU_DEP_1)
	v_rcp_f64_e32 v[7:8], v[2:3]
	s_waitcnt_depctr 0xfff
	v_fma_f64 v[9:10], -v[2:3], v[7:8], 1.0
	v_fma_f64 v[7:8], v[7:8], v[9:10], v[7:8]
	s_delay_alu instid0(VALU_DEP_1) | instskip(NEXT) | instid1(VALU_DEP_1)
	v_fma_f64 v[9:10], -v[2:3], v[7:8], 1.0
	v_fma_f64 v[7:8], v[7:8], v[9:10], v[7:8]
	v_div_scale_f64 v[9:10], vcc_lo, 1.0, v[0:1], 1.0
	s_delay_alu instid0(VALU_DEP_1) | instskip(NEXT) | instid1(VALU_DEP_1)
	v_mul_f64 v[11:12], v[9:10], v[7:8]
	v_fma_f64 v[2:3], -v[2:3], v[11:12], v[9:10]
	s_delay_alu instid0(VALU_DEP_1) | instskip(NEXT) | instid1(VALU_DEP_1)
	v_div_fmas_f64 v[2:3], v[2:3], v[7:8], v[11:12]
	v_div_fixup_f64 v[2:3], v[2:3], v[0:1], 1.0
	s_delay_alu instid0(VALU_DEP_1)
	v_mul_f64 v[0:1], v[5:6], v[2:3]
	v_xor_b32_e32 v3, 0x80000000, v3
.LBB124_431:
	s_and_not1_saveexec_b32 s2, s2
	s_cbranch_execz .LBB124_433
; %bb.432:
	s_delay_alu instid0(VALU_DEP_1) | instskip(SKIP_1) | instid1(VALU_DEP_2)
	v_div_scale_f64 v[5:6], null, v[0:1], v[0:1], v[2:3]
	v_div_scale_f64 v[11:12], vcc_lo, v[2:3], v[0:1], v[2:3]
	v_rcp_f64_e32 v[7:8], v[5:6]
	s_waitcnt_depctr 0xfff
	v_fma_f64 v[9:10], -v[5:6], v[7:8], 1.0
	s_delay_alu instid0(VALU_DEP_1) | instskip(NEXT) | instid1(VALU_DEP_1)
	v_fma_f64 v[7:8], v[7:8], v[9:10], v[7:8]
	v_fma_f64 v[9:10], -v[5:6], v[7:8], 1.0
	s_delay_alu instid0(VALU_DEP_1) | instskip(NEXT) | instid1(VALU_DEP_1)
	v_fma_f64 v[7:8], v[7:8], v[9:10], v[7:8]
	v_mul_f64 v[9:10], v[11:12], v[7:8]
	s_delay_alu instid0(VALU_DEP_1) | instskip(NEXT) | instid1(VALU_DEP_1)
	v_fma_f64 v[5:6], -v[5:6], v[9:10], v[11:12]
	v_div_fmas_f64 v[5:6], v[5:6], v[7:8], v[9:10]
	s_delay_alu instid0(VALU_DEP_1) | instskip(NEXT) | instid1(VALU_DEP_1)
	v_div_fixup_f64 v[5:6], v[5:6], v[0:1], v[2:3]
	v_fma_f64 v[0:1], v[2:3], v[5:6], v[0:1]
	s_delay_alu instid0(VALU_DEP_1) | instskip(NEXT) | instid1(VALU_DEP_1)
	v_div_scale_f64 v[2:3], null, v[0:1], v[0:1], 1.0
	v_rcp_f64_e32 v[7:8], v[2:3]
	s_waitcnt_depctr 0xfff
	v_fma_f64 v[9:10], -v[2:3], v[7:8], 1.0
	s_delay_alu instid0(VALU_DEP_1) | instskip(NEXT) | instid1(VALU_DEP_1)
	v_fma_f64 v[7:8], v[7:8], v[9:10], v[7:8]
	v_fma_f64 v[9:10], -v[2:3], v[7:8], 1.0
	s_delay_alu instid0(VALU_DEP_1) | instskip(SKIP_1) | instid1(VALU_DEP_1)
	v_fma_f64 v[7:8], v[7:8], v[9:10], v[7:8]
	v_div_scale_f64 v[9:10], vcc_lo, 1.0, v[0:1], 1.0
	v_mul_f64 v[11:12], v[9:10], v[7:8]
	s_delay_alu instid0(VALU_DEP_1) | instskip(NEXT) | instid1(VALU_DEP_1)
	v_fma_f64 v[2:3], -v[2:3], v[11:12], v[9:10]
	v_div_fmas_f64 v[2:3], v[2:3], v[7:8], v[11:12]
	s_delay_alu instid0(VALU_DEP_1) | instskip(NEXT) | instid1(VALU_DEP_1)
	v_div_fixup_f64 v[0:1], v[2:3], v[0:1], 1.0
	v_mul_f64 v[2:3], v[5:6], -v[0:1]
.LBB124_433:
	s_or_b32 exec_lo, exec_lo, s2
.LBB124_434:
	s_delay_alu instid0(SALU_CYCLE_1) | instskip(NEXT) | instid1(SALU_CYCLE_1)
	s_or_b32 exec_lo, exec_lo, s3
	s_mov_b32 s2, exec_lo
	v_cmpx_ne_u32_e64 v40, v4
	s_xor_b32 s2, exec_lo, s2
	s_cbranch_execz .LBB124_440
; %bb.435:
	s_mov_b32 s3, exec_lo
	v_cmpx_eq_u32_e32 17, v40
	s_cbranch_execz .LBB124_439
; %bb.436:
	v_cmp_ne_u32_e32 vcc_lo, 17, v4
	s_xor_b32 s6, s4, -1
	s_delay_alu instid0(SALU_CYCLE_1) | instskip(NEXT) | instid1(SALU_CYCLE_1)
	s_and_b32 s7, s6, vcc_lo
	s_and_saveexec_b32 s6, s7
	s_cbranch_execz .LBB124_438
; %bb.437:
	v_ashrrev_i32_e32 v5, 31, v4
	s_delay_alu instid0(VALU_DEP_1) | instskip(NEXT) | instid1(VALU_DEP_1)
	v_lshlrev_b64 v[5:6], 2, v[4:5]
	v_add_co_u32 v5, vcc_lo, v145, v5
	s_delay_alu instid0(VALU_DEP_2)
	v_add_co_ci_u32_e32 v6, vcc_lo, v146, v6, vcc_lo
	s_clause 0x1
	flat_load_b32 v7, v[5:6]
	flat_load_b32 v8, v[145:146] offset:68
	s_waitcnt vmcnt(1) lgkmcnt(1)
	flat_store_b32 v[145:146], v7 offset:68
	s_waitcnt vmcnt(0) lgkmcnt(1)
	flat_store_b32 v[5:6], v8
.LBB124_438:
	s_or_b32 exec_lo, exec_lo, s6
	v_mov_b32_e32 v40, v4
	v_mov_b32_e32 v39, v4
.LBB124_439:
	s_or_b32 exec_lo, exec_lo, s3
.LBB124_440:
	s_and_not1_saveexec_b32 s2, s2
	s_cbranch_execz .LBB124_444
; %bb.441:
	v_add3_u32 v4, v38, 0, 0x120
	v_mov_b32_e32 v5, 0
	s_mov_b32 s3, 0
.LBB124_442:                            ; =>This Inner Loop Header: Depth=1
	s_delay_alu instid0(VALU_DEP_1) | instskip(NEXT) | instid1(VALU_DEP_3)
	v_readfirstlane_b32 s6, v5
	v_add_nc_u32_e32 v18, s3, v4
	s_delay_alu instid0(VALU_DEP_2)
	s_add_i32 s6, s6, s3
	s_addk_i32 s3, 0xf0
	s_add_i32 s7, s6, 0x120
	s_add_i32 s9, s6, 0x130
	;; [unrolled: 1-line block ×14, first 2 shown]
	s_addk_i32 s6, 0x200
	s_clause 0xe
	scratch_load_b128 v[6:9], off, s7
	scratch_load_b128 v[10:13], off, s9
	;; [unrolled: 1-line block ×15, first 2 shown]
	s_cmpk_eq_i32 s3, 0x2d0
	s_waitcnt vmcnt(14)
	ds_store_2addr_b64 v18, v[6:7], v[8:9] offset1:1
	s_waitcnt vmcnt(13)
	ds_store_2addr_b64 v18, v[10:11], v[12:13] offset0:2 offset1:3
	s_waitcnt vmcnt(12)
	ds_store_2addr_b64 v18, v[14:15], v[16:17] offset0:4 offset1:5
	;; [unrolled: 2-line block ×14, first 2 shown]
	s_cbranch_scc0 .LBB124_442
; %bb.443:
	v_mov_b32_e32 v40, 17
.LBB124_444:
	s_or_b32 exec_lo, exec_lo, s2
	s_delay_alu instid0(SALU_CYCLE_1)
	s_mov_b32 s2, exec_lo
	s_waitcnt lgkmcnt(0)
	s_waitcnt_vscnt null, 0x0
	s_barrier
	buffer_gl0_inv
	v_cmpx_lt_i32_e32 17, v40
	s_cbranch_execz .LBB124_447
; %bb.445:
	scratch_load_b128 v[4:7], off, off offset:272
	s_mov_b32 s3, 0
	s_waitcnt vmcnt(0)
	v_mul_f64 v[8:9], v[2:3], v[6:7]
	v_mul_f64 v[6:7], v[0:1], v[6:7]
	s_delay_alu instid0(VALU_DEP_2) | instskip(NEXT) | instid1(VALU_DEP_2)
	v_fma_f64 v[0:1], v[0:1], v[4:5], -v[8:9]
	v_fma_f64 v[2:3], v[2:3], v[4:5], v[6:7]
	v_add3_u32 v4, v38, 0, 0x120
	v_mov_b32_e32 v5, 0
	scratch_store_b128 off, v[0:3], off offset:272
.LBB124_446:                            ; =>This Inner Loop Header: Depth=1
	v_readfirstlane_b32 s6, v5
	v_add_nc_u32_e32 v18, s3, v4
	s_delay_alu instid0(VALU_DEP_2)
	s_add_i32 s6, s6, s3
	s_addk_i32 s3, 0x50
	s_add_i32 s7, s6, 0x120
	s_add_i32 s9, s6, 0x130
	;; [unrolled: 1-line block ×4, first 2 shown]
	s_addk_i32 s6, 0x160
	s_clause 0x4
	scratch_load_b128 v[6:9], off, s7
	scratch_load_b128 v[10:13], off, s9
	;; [unrolled: 1-line block ×5, first 2 shown]
	ds_load_2addr_b64 v[57:60], v18 offset1:1
	ds_load_2addr_b64 v[65:68], v18 offset0:2 offset1:3
	ds_load_2addr_b64 v[73:76], v18 offset0:4 offset1:5
	;; [unrolled: 1-line block ×4, first 2 shown]
	s_cmpk_lg_i32 s3, 0x2d0
	s_waitcnt lgkmcnt(4)
	v_mul_f64 v[18:19], v[59:60], v[2:3]
	v_mul_f64 v[45:46], v[57:58], v[2:3]
	s_waitcnt lgkmcnt(3)
	v_mul_f64 v[49:50], v[67:68], v[2:3]
	v_mul_f64 v[61:62], v[65:66], v[2:3]
	;; [unrolled: 3-line block ×5, first 2 shown]
	v_fma_f64 v[18:19], v[57:58], v[0:1], -v[18:19]
	v_fma_f64 v[45:46], v[59:60], v[0:1], v[45:46]
	v_fma_f64 v[49:50], v[65:66], v[0:1], -v[49:50]
	v_fma_f64 v[57:58], v[67:68], v[0:1], v[61:62]
	;; [unrolled: 2-line block ×5, first 2 shown]
	s_waitcnt vmcnt(4)
	v_add_f64 v[6:7], v[6:7], -v[18:19]
	v_add_f64 v[8:9], v[8:9], -v[45:46]
	s_waitcnt vmcnt(3)
	v_add_f64 v[10:11], v[10:11], -v[49:50]
	v_add_f64 v[12:13], v[12:13], -v[57:58]
	s_waitcnt vmcnt(2)
	v_add_f64 v[14:15], v[14:15], -v[59:60]
	v_add_f64 v[16:17], v[16:17], -v[61:62]
	s_waitcnt vmcnt(1)
	v_add_f64 v[41:42], v[41:42], -v[65:66]
	v_add_f64 v[43:44], v[43:44], -v[67:68]
	s_waitcnt vmcnt(0)
	v_add_f64 v[53:54], v[53:54], -v[69:70]
	v_add_f64 v[55:56], v[55:56], -v[73:74]
	s_clause 0x4
	scratch_store_b128 off, v[6:9], s7
	scratch_store_b128 off, v[10:13], s9
	scratch_store_b128 off, v[14:17], s12
	scratch_store_b128 off, v[41:44], s14
	scratch_store_b128 off, v[53:56], s6
	s_cbranch_scc1 .LBB124_446
.LBB124_447:
	s_or_b32 exec_lo, exec_lo, s2
	s_waitcnt_vscnt null, 0x0
	s_barrier
	buffer_gl0_inv
	scratch_load_b128 v[0:3], v52, off
	v_lshl_add_u32 v4, v40, 4, v20
	s_cmp_lt_i32 s5, 20
	s_waitcnt vmcnt(0)
	ds_store_2addr_b64 v4, v[0:1], v[2:3] offset1:1
	s_waitcnt lgkmcnt(0)
	s_barrier
	buffer_gl0_inv
	ds_load_2addr_b64 v[0:3], v20 offset0:36 offset1:37
	v_mov_b32_e32 v4, 18
	s_cbranch_scc1 .LBB124_450
; %bb.448:
	v_add3_u32 v5, v38, 0, 0x130
	v_mov_b32_e32 v4, 18
	s_mov_b32 s6, 19
	s_set_inst_prefetch_distance 0x1
	.p2align	6
.LBB124_449:                            ; =>This Inner Loop Header: Depth=1
	ds_load_2addr_b64 v[6:9], v5 offset1:1
	s_waitcnt lgkmcnt(1)
	v_cmp_gt_f64_e32 vcc_lo, 0, v[0:1]
	v_xor_b32_e32 v10, 0x80000000, v1
	v_cmp_gt_f64_e64 s2, 0, v[2:3]
	v_xor_b32_e32 v12, 0x80000000, v3
	v_add_nc_u32_e32 v5, 16, v5
	s_waitcnt lgkmcnt(0)
	v_cmp_gt_f64_e64 s3, 0, v[6:7]
	v_mov_b32_e32 v14, v6
	v_dual_mov_b32 v16, v8 :: v_dual_cndmask_b32 v11, v1, v10
	v_xor_b32_e32 v10, 0x80000000, v7
	v_cndmask_b32_e64 v13, v3, v12, s2
	v_xor_b32_e32 v12, 0x80000000, v9
	s_delay_alu instid0(VALU_DEP_3) | instskip(SKIP_2) | instid1(VALU_DEP_2)
	v_cndmask_b32_e64 v15, v7, v10, s3
	v_cmp_gt_f64_e64 s3, 0, v[8:9]
	v_cndmask_b32_e32 v10, v0, v0, vcc_lo
	v_cndmask_b32_e64 v17, v9, v12, s3
	v_cndmask_b32_e64 v12, v2, v2, s2
	s_delay_alu instid0(VALU_DEP_2) | instskip(NEXT) | instid1(VALU_DEP_2)
	v_add_f64 v[14:15], v[14:15], v[16:17]
	v_add_f64 v[10:11], v[10:11], v[12:13]
	s_delay_alu instid0(VALU_DEP_1)
	v_cmp_lt_f64_e32 vcc_lo, v[10:11], v[14:15]
	v_cndmask_b32_e32 v3, v3, v9, vcc_lo
	v_dual_cndmask_b32 v1, v1, v7 :: v_dual_cndmask_b32 v0, v0, v6
	v_cndmask_b32_e32 v2, v2, v8, vcc_lo
	v_cndmask_b32_e64 v4, v4, s6, vcc_lo
	s_add_i32 s6, s6, 1
	s_delay_alu instid0(SALU_CYCLE_1)
	s_cmp_lg_u32 s5, s6
	s_cbranch_scc1 .LBB124_449
.LBB124_450:
	s_set_inst_prefetch_distance 0x2
	s_waitcnt lgkmcnt(0)
	v_cmp_eq_f64_e32 vcc_lo, 0, v[0:1]
	v_cmp_eq_f64_e64 s2, 0, v[2:3]
	s_delay_alu instid0(VALU_DEP_1) | instskip(NEXT) | instid1(SALU_CYCLE_1)
	s_and_b32 s2, vcc_lo, s2
	s_and_saveexec_b32 s3, s2
	s_delay_alu instid0(SALU_CYCLE_1)
	s_xor_b32 s2, exec_lo, s3
; %bb.451:
	v_cmp_ne_u32_e32 vcc_lo, 0, v37
	v_cndmask_b32_e32 v37, 19, v37, vcc_lo
; %bb.452:
	s_and_not1_saveexec_b32 s3, s2
	s_cbranch_execz .LBB124_458
; %bb.453:
	v_cmp_gt_f64_e32 vcc_lo, 0, v[0:1]
	v_cmp_gt_f64_e64 s2, 0, v[2:3]
	v_xor_b32_e32 v5, 0x80000000, v1
	v_xor_b32_e32 v7, 0x80000000, v3
	s_delay_alu instid0(VALU_DEP_2) | instskip(NEXT) | instid1(VALU_DEP_2)
	v_dual_cndmask_b32 v6, v1, v5 :: v_dual_cndmask_b32 v5, v0, v0
	v_cndmask_b32_e64 v8, v3, v7, s2
	v_cndmask_b32_e64 v7, v2, v2, s2
	s_mov_b32 s2, exec_lo
	s_delay_alu instid0(VALU_DEP_1)
	v_cmpx_ngt_f64_e32 v[5:6], v[7:8]
	s_xor_b32 s2, exec_lo, s2
	s_cbranch_execz .LBB124_455
; %bb.454:
	v_div_scale_f64 v[5:6], null, v[2:3], v[2:3], v[0:1]
	v_div_scale_f64 v[11:12], vcc_lo, v[0:1], v[2:3], v[0:1]
	s_delay_alu instid0(VALU_DEP_2) | instskip(SKIP_2) | instid1(VALU_DEP_1)
	v_rcp_f64_e32 v[7:8], v[5:6]
	s_waitcnt_depctr 0xfff
	v_fma_f64 v[9:10], -v[5:6], v[7:8], 1.0
	v_fma_f64 v[7:8], v[7:8], v[9:10], v[7:8]
	s_delay_alu instid0(VALU_DEP_1) | instskip(NEXT) | instid1(VALU_DEP_1)
	v_fma_f64 v[9:10], -v[5:6], v[7:8], 1.0
	v_fma_f64 v[7:8], v[7:8], v[9:10], v[7:8]
	s_delay_alu instid0(VALU_DEP_1) | instskip(NEXT) | instid1(VALU_DEP_1)
	v_mul_f64 v[9:10], v[11:12], v[7:8]
	v_fma_f64 v[5:6], -v[5:6], v[9:10], v[11:12]
	s_delay_alu instid0(VALU_DEP_1) | instskip(NEXT) | instid1(VALU_DEP_1)
	v_div_fmas_f64 v[5:6], v[5:6], v[7:8], v[9:10]
	v_div_fixup_f64 v[5:6], v[5:6], v[2:3], v[0:1]
	s_delay_alu instid0(VALU_DEP_1) | instskip(NEXT) | instid1(VALU_DEP_1)
	v_fma_f64 v[0:1], v[0:1], v[5:6], v[2:3]
	v_div_scale_f64 v[2:3], null, v[0:1], v[0:1], 1.0
	s_delay_alu instid0(VALU_DEP_1) | instskip(SKIP_2) | instid1(VALU_DEP_1)
	v_rcp_f64_e32 v[7:8], v[2:3]
	s_waitcnt_depctr 0xfff
	v_fma_f64 v[9:10], -v[2:3], v[7:8], 1.0
	v_fma_f64 v[7:8], v[7:8], v[9:10], v[7:8]
	s_delay_alu instid0(VALU_DEP_1) | instskip(NEXT) | instid1(VALU_DEP_1)
	v_fma_f64 v[9:10], -v[2:3], v[7:8], 1.0
	v_fma_f64 v[7:8], v[7:8], v[9:10], v[7:8]
	v_div_scale_f64 v[9:10], vcc_lo, 1.0, v[0:1], 1.0
	s_delay_alu instid0(VALU_DEP_1) | instskip(NEXT) | instid1(VALU_DEP_1)
	v_mul_f64 v[11:12], v[9:10], v[7:8]
	v_fma_f64 v[2:3], -v[2:3], v[11:12], v[9:10]
	s_delay_alu instid0(VALU_DEP_1) | instskip(NEXT) | instid1(VALU_DEP_1)
	v_div_fmas_f64 v[2:3], v[2:3], v[7:8], v[11:12]
	v_div_fixup_f64 v[2:3], v[2:3], v[0:1], 1.0
	s_delay_alu instid0(VALU_DEP_1)
	v_mul_f64 v[0:1], v[5:6], v[2:3]
	v_xor_b32_e32 v3, 0x80000000, v3
.LBB124_455:
	s_and_not1_saveexec_b32 s2, s2
	s_cbranch_execz .LBB124_457
; %bb.456:
	s_delay_alu instid0(VALU_DEP_1) | instskip(SKIP_1) | instid1(VALU_DEP_2)
	v_div_scale_f64 v[5:6], null, v[0:1], v[0:1], v[2:3]
	v_div_scale_f64 v[11:12], vcc_lo, v[2:3], v[0:1], v[2:3]
	v_rcp_f64_e32 v[7:8], v[5:6]
	s_waitcnt_depctr 0xfff
	v_fma_f64 v[9:10], -v[5:6], v[7:8], 1.0
	s_delay_alu instid0(VALU_DEP_1) | instskip(NEXT) | instid1(VALU_DEP_1)
	v_fma_f64 v[7:8], v[7:8], v[9:10], v[7:8]
	v_fma_f64 v[9:10], -v[5:6], v[7:8], 1.0
	s_delay_alu instid0(VALU_DEP_1) | instskip(NEXT) | instid1(VALU_DEP_1)
	v_fma_f64 v[7:8], v[7:8], v[9:10], v[7:8]
	v_mul_f64 v[9:10], v[11:12], v[7:8]
	s_delay_alu instid0(VALU_DEP_1) | instskip(NEXT) | instid1(VALU_DEP_1)
	v_fma_f64 v[5:6], -v[5:6], v[9:10], v[11:12]
	v_div_fmas_f64 v[5:6], v[5:6], v[7:8], v[9:10]
	s_delay_alu instid0(VALU_DEP_1) | instskip(NEXT) | instid1(VALU_DEP_1)
	v_div_fixup_f64 v[5:6], v[5:6], v[0:1], v[2:3]
	v_fma_f64 v[0:1], v[2:3], v[5:6], v[0:1]
	s_delay_alu instid0(VALU_DEP_1) | instskip(NEXT) | instid1(VALU_DEP_1)
	v_div_scale_f64 v[2:3], null, v[0:1], v[0:1], 1.0
	v_rcp_f64_e32 v[7:8], v[2:3]
	s_waitcnt_depctr 0xfff
	v_fma_f64 v[9:10], -v[2:3], v[7:8], 1.0
	s_delay_alu instid0(VALU_DEP_1) | instskip(NEXT) | instid1(VALU_DEP_1)
	v_fma_f64 v[7:8], v[7:8], v[9:10], v[7:8]
	v_fma_f64 v[9:10], -v[2:3], v[7:8], 1.0
	s_delay_alu instid0(VALU_DEP_1) | instskip(SKIP_1) | instid1(VALU_DEP_1)
	v_fma_f64 v[7:8], v[7:8], v[9:10], v[7:8]
	v_div_scale_f64 v[9:10], vcc_lo, 1.0, v[0:1], 1.0
	v_mul_f64 v[11:12], v[9:10], v[7:8]
	s_delay_alu instid0(VALU_DEP_1) | instskip(NEXT) | instid1(VALU_DEP_1)
	v_fma_f64 v[2:3], -v[2:3], v[11:12], v[9:10]
	v_div_fmas_f64 v[2:3], v[2:3], v[7:8], v[11:12]
	s_delay_alu instid0(VALU_DEP_1) | instskip(NEXT) | instid1(VALU_DEP_1)
	v_div_fixup_f64 v[0:1], v[2:3], v[0:1], 1.0
	v_mul_f64 v[2:3], v[5:6], -v[0:1]
.LBB124_457:
	s_or_b32 exec_lo, exec_lo, s2
.LBB124_458:
	s_delay_alu instid0(SALU_CYCLE_1) | instskip(NEXT) | instid1(SALU_CYCLE_1)
	s_or_b32 exec_lo, exec_lo, s3
	s_mov_b32 s2, exec_lo
	v_cmpx_ne_u32_e64 v40, v4
	s_xor_b32 s2, exec_lo, s2
	s_cbranch_execz .LBB124_464
; %bb.459:
	s_mov_b32 s3, exec_lo
	v_cmpx_eq_u32_e32 18, v40
	s_cbranch_execz .LBB124_463
; %bb.460:
	v_cmp_ne_u32_e32 vcc_lo, 18, v4
	s_xor_b32 s6, s4, -1
	s_delay_alu instid0(SALU_CYCLE_1) | instskip(NEXT) | instid1(SALU_CYCLE_1)
	s_and_b32 s7, s6, vcc_lo
	s_and_saveexec_b32 s6, s7
	s_cbranch_execz .LBB124_462
; %bb.461:
	v_ashrrev_i32_e32 v5, 31, v4
	s_delay_alu instid0(VALU_DEP_1) | instskip(NEXT) | instid1(VALU_DEP_1)
	v_lshlrev_b64 v[5:6], 2, v[4:5]
	v_add_co_u32 v5, vcc_lo, v145, v5
	s_delay_alu instid0(VALU_DEP_2)
	v_add_co_ci_u32_e32 v6, vcc_lo, v146, v6, vcc_lo
	s_clause 0x1
	flat_load_b32 v7, v[5:6]
	flat_load_b32 v8, v[145:146] offset:72
	s_waitcnt vmcnt(1) lgkmcnt(1)
	flat_store_b32 v[145:146], v7 offset:72
	s_waitcnt vmcnt(0) lgkmcnt(1)
	flat_store_b32 v[5:6], v8
.LBB124_462:
	s_or_b32 exec_lo, exec_lo, s6
	v_mov_b32_e32 v40, v4
	v_mov_b32_e32 v39, v4
.LBB124_463:
	s_or_b32 exec_lo, exec_lo, s3
.LBB124_464:
	s_and_not1_saveexec_b32 s2, s2
	s_cbranch_execz .LBB124_468
; %bb.465:
	v_add3_u32 v4, v38, 0, 0x130
	v_mov_b32_e32 v5, 0
	s_mov_b32 s3, 0
.LBB124_466:                            ; =>This Inner Loop Header: Depth=1
	s_delay_alu instid0(VALU_DEP_1) | instskip(NEXT) | instid1(VALU_DEP_3)
	v_readfirstlane_b32 s6, v5
	v_add_nc_u32_e32 v18, s3, v4
	s_delay_alu instid0(VALU_DEP_2)
	s_add_i32 s6, s6, s3
	s_addk_i32 s3, 0xb0
	s_add_i32 s7, s6, 0x130
	s_add_i32 s9, s6, 0x140
	;; [unrolled: 1-line block ×10, first 2 shown]
	s_addk_i32 s6, 0x1d0
	s_clause 0xa
	scratch_load_b128 v[6:9], off, s7
	scratch_load_b128 v[10:13], off, s9
	;; [unrolled: 1-line block ×11, first 2 shown]
	s_cmpk_eq_i32 s3, 0x2c0
	s_waitcnt vmcnt(10)
	ds_store_2addr_b64 v18, v[6:7], v[8:9] offset1:1
	s_waitcnt vmcnt(9)
	ds_store_2addr_b64 v18, v[10:11], v[12:13] offset0:2 offset1:3
	s_waitcnt vmcnt(8)
	ds_store_2addr_b64 v18, v[14:15], v[16:17] offset0:4 offset1:5
	;; [unrolled: 2-line block ×10, first 2 shown]
	s_cbranch_scc0 .LBB124_466
; %bb.467:
	v_mov_b32_e32 v40, 18
.LBB124_468:
	s_or_b32 exec_lo, exec_lo, s2
	s_delay_alu instid0(SALU_CYCLE_1)
	s_mov_b32 s2, exec_lo
	s_waitcnt lgkmcnt(0)
	s_waitcnt_vscnt null, 0x0
	s_barrier
	buffer_gl0_inv
	v_cmpx_lt_i32_e32 18, v40
	s_cbranch_execz .LBB124_471
; %bb.469:
	scratch_load_b128 v[4:7], off, off offset:288
	s_mov_b32 s3, 0
	s_waitcnt vmcnt(0)
	v_mul_f64 v[8:9], v[2:3], v[6:7]
	v_mul_f64 v[6:7], v[0:1], v[6:7]
	s_delay_alu instid0(VALU_DEP_2) | instskip(NEXT) | instid1(VALU_DEP_2)
	v_fma_f64 v[0:1], v[0:1], v[4:5], -v[8:9]
	v_fma_f64 v[2:3], v[2:3], v[4:5], v[6:7]
	v_add3_u32 v4, v38, 0, 0x130
	v_mov_b32_e32 v5, 0
	scratch_store_b128 off, v[0:3], off offset:288
.LBB124_470:                            ; =>This Inner Loop Header: Depth=1
	v_readfirstlane_b32 s6, v5
	v_add_nc_u32_e32 v18, s3, v4
	s_delay_alu instid0(VALU_DEP_2)
	s_add_i32 s6, s6, s3
	s_add_i32 s3, s3, 64
	;; [unrolled: 1-line block ×5, first 2 shown]
	s_addk_i32 s6, 0x160
	s_clause 0x3
	scratch_load_b128 v[6:9], off, s7
	scratch_load_b128 v[10:13], off, s9
	scratch_load_b128 v[14:17], off, s12
	scratch_load_b128 v[41:44], off, s6
	ds_load_2addr_b64 v[53:56], v18 offset1:1
	ds_load_2addr_b64 v[57:60], v18 offset0:2 offset1:3
	ds_load_2addr_b64 v[65:68], v18 offset0:4 offset1:5
	;; [unrolled: 1-line block ×3, first 2 shown]
	s_cmpk_lg_i32 s3, 0x2c0
	s_waitcnt lgkmcnt(3)
	v_mul_f64 v[18:19], v[55:56], v[2:3]
	v_mul_f64 v[45:46], v[53:54], v[2:3]
	s_waitcnt lgkmcnt(2)
	v_mul_f64 v[49:50], v[59:60], v[2:3]
	v_mul_f64 v[61:62], v[57:58], v[2:3]
	;; [unrolled: 3-line block ×4, first 2 shown]
	v_fma_f64 v[18:19], v[53:54], v[0:1], -v[18:19]
	v_fma_f64 v[45:46], v[55:56], v[0:1], v[45:46]
	v_fma_f64 v[49:50], v[57:58], v[0:1], -v[49:50]
	v_fma_f64 v[53:54], v[59:60], v[0:1], v[61:62]
	;; [unrolled: 2-line block ×4, first 2 shown]
	s_waitcnt vmcnt(3)
	v_add_f64 v[6:7], v[6:7], -v[18:19]
	v_add_f64 v[8:9], v[8:9], -v[45:46]
	s_waitcnt vmcnt(2)
	v_add_f64 v[10:11], v[10:11], -v[49:50]
	v_add_f64 v[12:13], v[12:13], -v[53:54]
	;; [unrolled: 3-line block ×4, first 2 shown]
	s_clause 0x3
	scratch_store_b128 off, v[6:9], s7
	scratch_store_b128 off, v[10:13], s9
	;; [unrolled: 1-line block ×4, first 2 shown]
	s_cbranch_scc1 .LBB124_470
.LBB124_471:
	s_or_b32 exec_lo, exec_lo, s2
	s_waitcnt_vscnt null, 0x0
	s_barrier
	buffer_gl0_inv
	scratch_load_b128 v[0:3], v64, off
	v_lshl_add_u32 v4, v40, 4, v20
	s_cmp_lt_i32 s5, 21
	s_waitcnt vmcnt(0)
	ds_store_2addr_b64 v4, v[0:1], v[2:3] offset1:1
	s_waitcnt lgkmcnt(0)
	s_barrier
	buffer_gl0_inv
	ds_load_2addr_b64 v[0:3], v20 offset0:38 offset1:39
	v_mov_b32_e32 v4, 19
	s_cbranch_scc1 .LBB124_474
; %bb.472:
	v_add3_u32 v5, v38, 0, 0x140
	v_mov_b32_e32 v4, 19
	s_mov_b32 s6, 20
	s_set_inst_prefetch_distance 0x1
	.p2align	6
.LBB124_473:                            ; =>This Inner Loop Header: Depth=1
	ds_load_2addr_b64 v[6:9], v5 offset1:1
	s_waitcnt lgkmcnt(1)
	v_cmp_gt_f64_e32 vcc_lo, 0, v[0:1]
	v_xor_b32_e32 v10, 0x80000000, v1
	v_cmp_gt_f64_e64 s2, 0, v[2:3]
	v_xor_b32_e32 v12, 0x80000000, v3
	v_add_nc_u32_e32 v5, 16, v5
	s_waitcnt lgkmcnt(0)
	v_cmp_gt_f64_e64 s3, 0, v[6:7]
	v_mov_b32_e32 v14, v6
	v_dual_mov_b32 v16, v8 :: v_dual_cndmask_b32 v11, v1, v10
	v_xor_b32_e32 v10, 0x80000000, v7
	v_cndmask_b32_e64 v13, v3, v12, s2
	v_xor_b32_e32 v12, 0x80000000, v9
	s_delay_alu instid0(VALU_DEP_3) | instskip(SKIP_2) | instid1(VALU_DEP_2)
	v_cndmask_b32_e64 v15, v7, v10, s3
	v_cmp_gt_f64_e64 s3, 0, v[8:9]
	v_cndmask_b32_e32 v10, v0, v0, vcc_lo
	v_cndmask_b32_e64 v17, v9, v12, s3
	v_cndmask_b32_e64 v12, v2, v2, s2
	s_delay_alu instid0(VALU_DEP_2) | instskip(NEXT) | instid1(VALU_DEP_2)
	v_add_f64 v[14:15], v[14:15], v[16:17]
	v_add_f64 v[10:11], v[10:11], v[12:13]
	s_delay_alu instid0(VALU_DEP_1)
	v_cmp_lt_f64_e32 vcc_lo, v[10:11], v[14:15]
	v_cndmask_b32_e32 v3, v3, v9, vcc_lo
	v_dual_cndmask_b32 v1, v1, v7 :: v_dual_cndmask_b32 v0, v0, v6
	v_cndmask_b32_e32 v2, v2, v8, vcc_lo
	v_cndmask_b32_e64 v4, v4, s6, vcc_lo
	s_add_i32 s6, s6, 1
	s_delay_alu instid0(SALU_CYCLE_1)
	s_cmp_lg_u32 s5, s6
	s_cbranch_scc1 .LBB124_473
.LBB124_474:
	s_set_inst_prefetch_distance 0x2
	s_waitcnt lgkmcnt(0)
	v_cmp_eq_f64_e32 vcc_lo, 0, v[0:1]
	v_cmp_eq_f64_e64 s2, 0, v[2:3]
	s_delay_alu instid0(VALU_DEP_1) | instskip(NEXT) | instid1(SALU_CYCLE_1)
	s_and_b32 s2, vcc_lo, s2
	s_and_saveexec_b32 s3, s2
	s_delay_alu instid0(SALU_CYCLE_1)
	s_xor_b32 s2, exec_lo, s3
; %bb.475:
	v_cmp_ne_u32_e32 vcc_lo, 0, v37
	v_cndmask_b32_e32 v37, 20, v37, vcc_lo
; %bb.476:
	s_and_not1_saveexec_b32 s3, s2
	s_cbranch_execz .LBB124_482
; %bb.477:
	v_cmp_gt_f64_e32 vcc_lo, 0, v[0:1]
	v_cmp_gt_f64_e64 s2, 0, v[2:3]
	v_xor_b32_e32 v5, 0x80000000, v1
	v_xor_b32_e32 v7, 0x80000000, v3
	s_delay_alu instid0(VALU_DEP_2) | instskip(NEXT) | instid1(VALU_DEP_2)
	v_dual_cndmask_b32 v6, v1, v5 :: v_dual_cndmask_b32 v5, v0, v0
	v_cndmask_b32_e64 v8, v3, v7, s2
	v_cndmask_b32_e64 v7, v2, v2, s2
	s_mov_b32 s2, exec_lo
	s_delay_alu instid0(VALU_DEP_1)
	v_cmpx_ngt_f64_e32 v[5:6], v[7:8]
	s_xor_b32 s2, exec_lo, s2
	s_cbranch_execz .LBB124_479
; %bb.478:
	v_div_scale_f64 v[5:6], null, v[2:3], v[2:3], v[0:1]
	v_div_scale_f64 v[11:12], vcc_lo, v[0:1], v[2:3], v[0:1]
	s_delay_alu instid0(VALU_DEP_2) | instskip(SKIP_2) | instid1(VALU_DEP_1)
	v_rcp_f64_e32 v[7:8], v[5:6]
	s_waitcnt_depctr 0xfff
	v_fma_f64 v[9:10], -v[5:6], v[7:8], 1.0
	v_fma_f64 v[7:8], v[7:8], v[9:10], v[7:8]
	s_delay_alu instid0(VALU_DEP_1) | instskip(NEXT) | instid1(VALU_DEP_1)
	v_fma_f64 v[9:10], -v[5:6], v[7:8], 1.0
	v_fma_f64 v[7:8], v[7:8], v[9:10], v[7:8]
	s_delay_alu instid0(VALU_DEP_1) | instskip(NEXT) | instid1(VALU_DEP_1)
	v_mul_f64 v[9:10], v[11:12], v[7:8]
	v_fma_f64 v[5:6], -v[5:6], v[9:10], v[11:12]
	s_delay_alu instid0(VALU_DEP_1) | instskip(NEXT) | instid1(VALU_DEP_1)
	v_div_fmas_f64 v[5:6], v[5:6], v[7:8], v[9:10]
	v_div_fixup_f64 v[5:6], v[5:6], v[2:3], v[0:1]
	s_delay_alu instid0(VALU_DEP_1) | instskip(NEXT) | instid1(VALU_DEP_1)
	v_fma_f64 v[0:1], v[0:1], v[5:6], v[2:3]
	v_div_scale_f64 v[2:3], null, v[0:1], v[0:1], 1.0
	s_delay_alu instid0(VALU_DEP_1) | instskip(SKIP_2) | instid1(VALU_DEP_1)
	v_rcp_f64_e32 v[7:8], v[2:3]
	s_waitcnt_depctr 0xfff
	v_fma_f64 v[9:10], -v[2:3], v[7:8], 1.0
	v_fma_f64 v[7:8], v[7:8], v[9:10], v[7:8]
	s_delay_alu instid0(VALU_DEP_1) | instskip(NEXT) | instid1(VALU_DEP_1)
	v_fma_f64 v[9:10], -v[2:3], v[7:8], 1.0
	v_fma_f64 v[7:8], v[7:8], v[9:10], v[7:8]
	v_div_scale_f64 v[9:10], vcc_lo, 1.0, v[0:1], 1.0
	s_delay_alu instid0(VALU_DEP_1) | instskip(NEXT) | instid1(VALU_DEP_1)
	v_mul_f64 v[11:12], v[9:10], v[7:8]
	v_fma_f64 v[2:3], -v[2:3], v[11:12], v[9:10]
	s_delay_alu instid0(VALU_DEP_1) | instskip(NEXT) | instid1(VALU_DEP_1)
	v_div_fmas_f64 v[2:3], v[2:3], v[7:8], v[11:12]
	v_div_fixup_f64 v[2:3], v[2:3], v[0:1], 1.0
	s_delay_alu instid0(VALU_DEP_1)
	v_mul_f64 v[0:1], v[5:6], v[2:3]
	v_xor_b32_e32 v3, 0x80000000, v3
.LBB124_479:
	s_and_not1_saveexec_b32 s2, s2
	s_cbranch_execz .LBB124_481
; %bb.480:
	s_delay_alu instid0(VALU_DEP_1) | instskip(SKIP_1) | instid1(VALU_DEP_2)
	v_div_scale_f64 v[5:6], null, v[0:1], v[0:1], v[2:3]
	v_div_scale_f64 v[11:12], vcc_lo, v[2:3], v[0:1], v[2:3]
	v_rcp_f64_e32 v[7:8], v[5:6]
	s_waitcnt_depctr 0xfff
	v_fma_f64 v[9:10], -v[5:6], v[7:8], 1.0
	s_delay_alu instid0(VALU_DEP_1) | instskip(NEXT) | instid1(VALU_DEP_1)
	v_fma_f64 v[7:8], v[7:8], v[9:10], v[7:8]
	v_fma_f64 v[9:10], -v[5:6], v[7:8], 1.0
	s_delay_alu instid0(VALU_DEP_1) | instskip(NEXT) | instid1(VALU_DEP_1)
	v_fma_f64 v[7:8], v[7:8], v[9:10], v[7:8]
	v_mul_f64 v[9:10], v[11:12], v[7:8]
	s_delay_alu instid0(VALU_DEP_1) | instskip(NEXT) | instid1(VALU_DEP_1)
	v_fma_f64 v[5:6], -v[5:6], v[9:10], v[11:12]
	v_div_fmas_f64 v[5:6], v[5:6], v[7:8], v[9:10]
	s_delay_alu instid0(VALU_DEP_1) | instskip(NEXT) | instid1(VALU_DEP_1)
	v_div_fixup_f64 v[5:6], v[5:6], v[0:1], v[2:3]
	v_fma_f64 v[0:1], v[2:3], v[5:6], v[0:1]
	s_delay_alu instid0(VALU_DEP_1) | instskip(NEXT) | instid1(VALU_DEP_1)
	v_div_scale_f64 v[2:3], null, v[0:1], v[0:1], 1.0
	v_rcp_f64_e32 v[7:8], v[2:3]
	s_waitcnt_depctr 0xfff
	v_fma_f64 v[9:10], -v[2:3], v[7:8], 1.0
	s_delay_alu instid0(VALU_DEP_1) | instskip(NEXT) | instid1(VALU_DEP_1)
	v_fma_f64 v[7:8], v[7:8], v[9:10], v[7:8]
	v_fma_f64 v[9:10], -v[2:3], v[7:8], 1.0
	s_delay_alu instid0(VALU_DEP_1) | instskip(SKIP_1) | instid1(VALU_DEP_1)
	v_fma_f64 v[7:8], v[7:8], v[9:10], v[7:8]
	v_div_scale_f64 v[9:10], vcc_lo, 1.0, v[0:1], 1.0
	v_mul_f64 v[11:12], v[9:10], v[7:8]
	s_delay_alu instid0(VALU_DEP_1) | instskip(NEXT) | instid1(VALU_DEP_1)
	v_fma_f64 v[2:3], -v[2:3], v[11:12], v[9:10]
	v_div_fmas_f64 v[2:3], v[2:3], v[7:8], v[11:12]
	s_delay_alu instid0(VALU_DEP_1) | instskip(NEXT) | instid1(VALU_DEP_1)
	v_div_fixup_f64 v[0:1], v[2:3], v[0:1], 1.0
	v_mul_f64 v[2:3], v[5:6], -v[0:1]
.LBB124_481:
	s_or_b32 exec_lo, exec_lo, s2
.LBB124_482:
	s_delay_alu instid0(SALU_CYCLE_1) | instskip(NEXT) | instid1(SALU_CYCLE_1)
	s_or_b32 exec_lo, exec_lo, s3
	s_mov_b32 s2, exec_lo
	v_cmpx_ne_u32_e64 v40, v4
	s_xor_b32 s2, exec_lo, s2
	s_cbranch_execz .LBB124_488
; %bb.483:
	s_mov_b32 s3, exec_lo
	v_cmpx_eq_u32_e32 19, v40
	s_cbranch_execz .LBB124_487
; %bb.484:
	v_cmp_ne_u32_e32 vcc_lo, 19, v4
	s_xor_b32 s6, s4, -1
	s_delay_alu instid0(SALU_CYCLE_1) | instskip(NEXT) | instid1(SALU_CYCLE_1)
	s_and_b32 s7, s6, vcc_lo
	s_and_saveexec_b32 s6, s7
	s_cbranch_execz .LBB124_486
; %bb.485:
	v_ashrrev_i32_e32 v5, 31, v4
	s_delay_alu instid0(VALU_DEP_1) | instskip(NEXT) | instid1(VALU_DEP_1)
	v_lshlrev_b64 v[5:6], 2, v[4:5]
	v_add_co_u32 v5, vcc_lo, v145, v5
	s_delay_alu instid0(VALU_DEP_2)
	v_add_co_ci_u32_e32 v6, vcc_lo, v146, v6, vcc_lo
	s_clause 0x1
	flat_load_b32 v7, v[5:6]
	flat_load_b32 v8, v[145:146] offset:76
	s_waitcnt vmcnt(1) lgkmcnt(1)
	flat_store_b32 v[145:146], v7 offset:76
	s_waitcnt vmcnt(0) lgkmcnt(1)
	flat_store_b32 v[5:6], v8
.LBB124_486:
	s_or_b32 exec_lo, exec_lo, s6
	v_mov_b32_e32 v40, v4
	v_mov_b32_e32 v39, v4
.LBB124_487:
	s_or_b32 exec_lo, exec_lo, s3
.LBB124_488:
	s_and_not1_saveexec_b32 s2, s2
	s_cbranch_execz .LBB124_494
; %bb.489:
	v_add3_u32 v4, v38, 0, 0x140
	v_mov_b32_e32 v5, 0
	s_mov_b32 s3, 0
	s_branch .LBB124_491
.LBB124_490:                            ;   in Loop: Header=BB124_491 Depth=1
	s_and_not1_b32 vcc_lo, exec_lo, s7
	s_cbranch_vccz .LBB124_493
.LBB124_491:                            ; =>This Inner Loop Header: Depth=1
	s_delay_alu instid0(VALU_DEP_1) | instskip(SKIP_1) | instid1(VALU_DEP_2)
	v_readfirstlane_b32 s6, v5
	v_add_nc_u32_e32 v6, s3, v4
	s_add_i32 s6, s6, s3
	s_delay_alu instid0(SALU_CYCLE_1)
	s_add_i32 s7, s6, 0x140
	s_add_i32 s9, s6, 0x150
	;; [unrolled: 1-line block ×3, first 2 shown]
	s_clause 0x2
	scratch_load_b128 v[7:10], off, s7
	scratch_load_b128 v[11:14], off, s9
	;; [unrolled: 1-line block ×3, first 2 shown]
	s_mov_b32 s7, -1
	s_cmpk_eq_i32 s3, 0x280
	s_waitcnt vmcnt(2)
	ds_store_2addr_b64 v6, v[7:8], v[9:10] offset1:1
	s_waitcnt vmcnt(1)
	ds_store_2addr_b64 v6, v[11:12], v[13:14] offset0:2 offset1:3
	s_waitcnt vmcnt(0)
	ds_store_2addr_b64 v6, v[15:16], v[17:18] offset0:4 offset1:5
	s_cbranch_scc1 .LBB124_490
; %bb.492:                              ;   in Loop: Header=BB124_491 Depth=1
	s_add_i32 s7, s6, 0x170
	s_add_i32 s9, s6, 0x180
	s_clause 0x1
	scratch_load_b128 v[7:10], off, s7
	scratch_load_b128 v[11:14], off, s9
	s_add_i32 s7, s6, 0x190
	s_add_i32 s9, s6, 0x1a0
	s_addk_i32 s6, 0x1b0
	s_clause 0x2
	scratch_load_b128 v[15:18], off, s7
	scratch_load_b128 v[40:43], off, s9
	;; [unrolled: 1-line block ×3, first 2 shown]
	s_addk_i32 s3, 0x80
	s_mov_b32 s7, 0
	s_waitcnt vmcnt(4)
	ds_store_2addr_b64 v6, v[7:8], v[9:10] offset0:6 offset1:7
	s_waitcnt vmcnt(3)
	ds_store_2addr_b64 v6, v[11:12], v[13:14] offset0:8 offset1:9
	;; [unrolled: 2-line block ×5, first 2 shown]
	s_branch .LBB124_490
.LBB124_493:
	v_mov_b32_e32 v40, 19
.LBB124_494:
	s_or_b32 exec_lo, exec_lo, s2
	s_delay_alu instid0(SALU_CYCLE_1)
	s_mov_b32 s2, exec_lo
	s_waitcnt lgkmcnt(0)
	s_waitcnt_vscnt null, 0x0
	s_barrier
	buffer_gl0_inv
	v_cmpx_lt_i32_e32 19, v40
	s_cbranch_execz .LBB124_499
; %bb.495:
	scratch_load_b128 v[4:7], off, off offset:304
	s_mov_b32 s3, 0
	s_waitcnt vmcnt(0)
	v_mul_f64 v[8:9], v[2:3], v[6:7]
	v_mul_f64 v[6:7], v[0:1], v[6:7]
	s_delay_alu instid0(VALU_DEP_2) | instskip(NEXT) | instid1(VALU_DEP_2)
	v_fma_f64 v[0:1], v[0:1], v[4:5], -v[8:9]
	v_fma_f64 v[2:3], v[2:3], v[4:5], v[6:7]
	v_add3_u32 v4, v38, 0, 0x140
	v_mov_b32_e32 v5, 0
	scratch_store_b128 off, v[0:3], off offset:304
	s_branch .LBB124_497
.LBB124_496:                            ;   in Loop: Header=BB124_497 Depth=1
	s_and_not1_b32 vcc_lo, exec_lo, s7
	s_cbranch_vccz .LBB124_499
.LBB124_497:                            ; =>This Inner Loop Header: Depth=1
	v_readfirstlane_b32 s6, v5
	v_add_nc_u32_e32 v6, s3, v4
	s_mov_b32 s7, -1
	s_delay_alu instid0(VALU_DEP_2) | instskip(NEXT) | instid1(SALU_CYCLE_1)
	s_add_i32 s6, s6, s3
	s_add_i32 s9, s6, 0x140
	;; [unrolled: 1-line block ×3, first 2 shown]
	scratch_load_b128 v[7:10], off, s9
	s_add_i32 s14, s6, 0x160
	s_clause 0x1
	scratch_load_b128 v[11:14], off, s12
	scratch_load_b128 v[15:18], off, s14
	ds_load_2addr_b64 v[41:44], v6 offset1:1
	ds_load_2addr_b64 v[53:56], v6 offset0:2 offset1:3
	ds_load_2addr_b64 v[57:60], v6 offset0:4 offset1:5
	s_cmpk_eq_i32 s3, 0x280
	s_waitcnt lgkmcnt(2)
	v_mul_f64 v[45:46], v[43:44], v[2:3]
	v_mul_f64 v[49:50], v[41:42], v[2:3]
	s_waitcnt lgkmcnt(1)
	v_mul_f64 v[61:62], v[55:56], v[2:3]
	v_mul_f64 v[65:66], v[53:54], v[2:3]
	;; [unrolled: 3-line block ×3, first 2 shown]
	v_fma_f64 v[41:42], v[41:42], v[0:1], -v[45:46]
	v_fma_f64 v[43:44], v[43:44], v[0:1], v[49:50]
	v_fma_f64 v[45:46], v[53:54], v[0:1], -v[61:62]
	v_fma_f64 v[49:50], v[55:56], v[0:1], v[65:66]
	;; [unrolled: 2-line block ×3, first 2 shown]
	s_waitcnt vmcnt(2)
	v_add_f64 v[7:8], v[7:8], -v[41:42]
	v_add_f64 v[9:10], v[9:10], -v[43:44]
	s_waitcnt vmcnt(1)
	v_add_f64 v[11:12], v[11:12], -v[45:46]
	v_add_f64 v[13:14], v[13:14], -v[49:50]
	;; [unrolled: 3-line block ×3, first 2 shown]
	s_clause 0x2
	scratch_store_b128 off, v[7:10], s9
	scratch_store_b128 off, v[11:14], s12
	;; [unrolled: 1-line block ×3, first 2 shown]
	s_cbranch_scc1 .LBB124_496
; %bb.498:                              ;   in Loop: Header=BB124_497 Depth=1
	s_addk_i32 s6, 0x170
	ds_load_2addr_b64 v[11:14], v6 offset0:6 offset1:7
	scratch_load_b128 v[7:10], off, s6
	s_add_i32 s3, s3, 64
	s_mov_b32 s7, 0
	s_waitcnt lgkmcnt(0)
	v_mul_f64 v[15:16], v[13:14], v[2:3]
	v_mul_f64 v[17:18], v[11:12], v[2:3]
	s_delay_alu instid0(VALU_DEP_2) | instskip(NEXT) | instid1(VALU_DEP_2)
	v_fma_f64 v[11:12], v[11:12], v[0:1], -v[15:16]
	v_fma_f64 v[13:14], v[13:14], v[0:1], v[17:18]
	s_waitcnt vmcnt(0)
	s_delay_alu instid0(VALU_DEP_2) | instskip(NEXT) | instid1(VALU_DEP_2)
	v_add_f64 v[6:7], v[7:8], -v[11:12]
	v_add_f64 v[8:9], v[9:10], -v[13:14]
	scratch_store_b128 off, v[6:9], s6
	s_branch .LBB124_496
.LBB124_499:
	s_or_b32 exec_lo, exec_lo, s2
	s_waitcnt_vscnt null, 0x0
	s_barrier
	buffer_gl0_inv
	scratch_load_b128 v[0:3], v72, off
	v_lshl_add_u32 v4, v40, 4, v20
	s_cmp_lt_i32 s5, 22
	s_waitcnt vmcnt(0)
	ds_store_2addr_b64 v4, v[0:1], v[2:3] offset1:1
	s_waitcnt lgkmcnt(0)
	s_barrier
	buffer_gl0_inv
	ds_load_2addr_b64 v[0:3], v20 offset0:40 offset1:41
	v_mov_b32_e32 v4, 20
	s_cbranch_scc1 .LBB124_502
; %bb.500:
	v_add3_u32 v5, v38, 0, 0x150
	v_mov_b32_e32 v4, 20
	s_mov_b32 s6, 21
	s_set_inst_prefetch_distance 0x1
	.p2align	6
.LBB124_501:                            ; =>This Inner Loop Header: Depth=1
	ds_load_2addr_b64 v[6:9], v5 offset1:1
	s_waitcnt lgkmcnt(1)
	v_cmp_gt_f64_e32 vcc_lo, 0, v[0:1]
	v_xor_b32_e32 v10, 0x80000000, v1
	v_cmp_gt_f64_e64 s2, 0, v[2:3]
	v_xor_b32_e32 v12, 0x80000000, v3
	v_add_nc_u32_e32 v5, 16, v5
	s_waitcnt lgkmcnt(0)
	v_cmp_gt_f64_e64 s3, 0, v[6:7]
	v_mov_b32_e32 v14, v6
	v_dual_mov_b32 v16, v8 :: v_dual_cndmask_b32 v11, v1, v10
	v_xor_b32_e32 v10, 0x80000000, v7
	v_cndmask_b32_e64 v13, v3, v12, s2
	v_xor_b32_e32 v12, 0x80000000, v9
	s_delay_alu instid0(VALU_DEP_3) | instskip(SKIP_2) | instid1(VALU_DEP_2)
	v_cndmask_b32_e64 v15, v7, v10, s3
	v_cmp_gt_f64_e64 s3, 0, v[8:9]
	v_cndmask_b32_e32 v10, v0, v0, vcc_lo
	v_cndmask_b32_e64 v17, v9, v12, s3
	v_cndmask_b32_e64 v12, v2, v2, s2
	s_delay_alu instid0(VALU_DEP_2) | instskip(NEXT) | instid1(VALU_DEP_2)
	v_add_f64 v[14:15], v[14:15], v[16:17]
	v_add_f64 v[10:11], v[10:11], v[12:13]
	s_delay_alu instid0(VALU_DEP_1)
	v_cmp_lt_f64_e32 vcc_lo, v[10:11], v[14:15]
	v_cndmask_b32_e32 v3, v3, v9, vcc_lo
	v_dual_cndmask_b32 v1, v1, v7 :: v_dual_cndmask_b32 v0, v0, v6
	v_cndmask_b32_e32 v2, v2, v8, vcc_lo
	v_cndmask_b32_e64 v4, v4, s6, vcc_lo
	s_add_i32 s6, s6, 1
	s_delay_alu instid0(SALU_CYCLE_1)
	s_cmp_lg_u32 s5, s6
	s_cbranch_scc1 .LBB124_501
.LBB124_502:
	s_set_inst_prefetch_distance 0x2
	s_waitcnt lgkmcnt(0)
	v_cmp_eq_f64_e32 vcc_lo, 0, v[0:1]
	v_cmp_eq_f64_e64 s2, 0, v[2:3]
	s_delay_alu instid0(VALU_DEP_1) | instskip(NEXT) | instid1(SALU_CYCLE_1)
	s_and_b32 s2, vcc_lo, s2
	s_and_saveexec_b32 s3, s2
	s_delay_alu instid0(SALU_CYCLE_1)
	s_xor_b32 s2, exec_lo, s3
; %bb.503:
	v_cmp_ne_u32_e32 vcc_lo, 0, v37
	v_cndmask_b32_e32 v37, 21, v37, vcc_lo
; %bb.504:
	s_and_not1_saveexec_b32 s3, s2
	s_cbranch_execz .LBB124_510
; %bb.505:
	v_cmp_gt_f64_e32 vcc_lo, 0, v[0:1]
	v_cmp_gt_f64_e64 s2, 0, v[2:3]
	v_xor_b32_e32 v5, 0x80000000, v1
	v_xor_b32_e32 v7, 0x80000000, v3
	s_delay_alu instid0(VALU_DEP_2) | instskip(NEXT) | instid1(VALU_DEP_2)
	v_dual_cndmask_b32 v6, v1, v5 :: v_dual_cndmask_b32 v5, v0, v0
	v_cndmask_b32_e64 v8, v3, v7, s2
	v_cndmask_b32_e64 v7, v2, v2, s2
	s_mov_b32 s2, exec_lo
	s_delay_alu instid0(VALU_DEP_1)
	v_cmpx_ngt_f64_e32 v[5:6], v[7:8]
	s_xor_b32 s2, exec_lo, s2
	s_cbranch_execz .LBB124_507
; %bb.506:
	v_div_scale_f64 v[5:6], null, v[2:3], v[2:3], v[0:1]
	v_div_scale_f64 v[11:12], vcc_lo, v[0:1], v[2:3], v[0:1]
	s_delay_alu instid0(VALU_DEP_2) | instskip(SKIP_2) | instid1(VALU_DEP_1)
	v_rcp_f64_e32 v[7:8], v[5:6]
	s_waitcnt_depctr 0xfff
	v_fma_f64 v[9:10], -v[5:6], v[7:8], 1.0
	v_fma_f64 v[7:8], v[7:8], v[9:10], v[7:8]
	s_delay_alu instid0(VALU_DEP_1) | instskip(NEXT) | instid1(VALU_DEP_1)
	v_fma_f64 v[9:10], -v[5:6], v[7:8], 1.0
	v_fma_f64 v[7:8], v[7:8], v[9:10], v[7:8]
	s_delay_alu instid0(VALU_DEP_1) | instskip(NEXT) | instid1(VALU_DEP_1)
	v_mul_f64 v[9:10], v[11:12], v[7:8]
	v_fma_f64 v[5:6], -v[5:6], v[9:10], v[11:12]
	s_delay_alu instid0(VALU_DEP_1) | instskip(NEXT) | instid1(VALU_DEP_1)
	v_div_fmas_f64 v[5:6], v[5:6], v[7:8], v[9:10]
	v_div_fixup_f64 v[5:6], v[5:6], v[2:3], v[0:1]
	s_delay_alu instid0(VALU_DEP_1) | instskip(NEXT) | instid1(VALU_DEP_1)
	v_fma_f64 v[0:1], v[0:1], v[5:6], v[2:3]
	v_div_scale_f64 v[2:3], null, v[0:1], v[0:1], 1.0
	s_delay_alu instid0(VALU_DEP_1) | instskip(SKIP_2) | instid1(VALU_DEP_1)
	v_rcp_f64_e32 v[7:8], v[2:3]
	s_waitcnt_depctr 0xfff
	v_fma_f64 v[9:10], -v[2:3], v[7:8], 1.0
	v_fma_f64 v[7:8], v[7:8], v[9:10], v[7:8]
	s_delay_alu instid0(VALU_DEP_1) | instskip(NEXT) | instid1(VALU_DEP_1)
	v_fma_f64 v[9:10], -v[2:3], v[7:8], 1.0
	v_fma_f64 v[7:8], v[7:8], v[9:10], v[7:8]
	v_div_scale_f64 v[9:10], vcc_lo, 1.0, v[0:1], 1.0
	s_delay_alu instid0(VALU_DEP_1) | instskip(NEXT) | instid1(VALU_DEP_1)
	v_mul_f64 v[11:12], v[9:10], v[7:8]
	v_fma_f64 v[2:3], -v[2:3], v[11:12], v[9:10]
	s_delay_alu instid0(VALU_DEP_1) | instskip(NEXT) | instid1(VALU_DEP_1)
	v_div_fmas_f64 v[2:3], v[2:3], v[7:8], v[11:12]
	v_div_fixup_f64 v[2:3], v[2:3], v[0:1], 1.0
	s_delay_alu instid0(VALU_DEP_1)
	v_mul_f64 v[0:1], v[5:6], v[2:3]
	v_xor_b32_e32 v3, 0x80000000, v3
.LBB124_507:
	s_and_not1_saveexec_b32 s2, s2
	s_cbranch_execz .LBB124_509
; %bb.508:
	s_delay_alu instid0(VALU_DEP_1) | instskip(SKIP_1) | instid1(VALU_DEP_2)
	v_div_scale_f64 v[5:6], null, v[0:1], v[0:1], v[2:3]
	v_div_scale_f64 v[11:12], vcc_lo, v[2:3], v[0:1], v[2:3]
	v_rcp_f64_e32 v[7:8], v[5:6]
	s_waitcnt_depctr 0xfff
	v_fma_f64 v[9:10], -v[5:6], v[7:8], 1.0
	s_delay_alu instid0(VALU_DEP_1) | instskip(NEXT) | instid1(VALU_DEP_1)
	v_fma_f64 v[7:8], v[7:8], v[9:10], v[7:8]
	v_fma_f64 v[9:10], -v[5:6], v[7:8], 1.0
	s_delay_alu instid0(VALU_DEP_1) | instskip(NEXT) | instid1(VALU_DEP_1)
	v_fma_f64 v[7:8], v[7:8], v[9:10], v[7:8]
	v_mul_f64 v[9:10], v[11:12], v[7:8]
	s_delay_alu instid0(VALU_DEP_1) | instskip(NEXT) | instid1(VALU_DEP_1)
	v_fma_f64 v[5:6], -v[5:6], v[9:10], v[11:12]
	v_div_fmas_f64 v[5:6], v[5:6], v[7:8], v[9:10]
	s_delay_alu instid0(VALU_DEP_1) | instskip(NEXT) | instid1(VALU_DEP_1)
	v_div_fixup_f64 v[5:6], v[5:6], v[0:1], v[2:3]
	v_fma_f64 v[0:1], v[2:3], v[5:6], v[0:1]
	s_delay_alu instid0(VALU_DEP_1) | instskip(NEXT) | instid1(VALU_DEP_1)
	v_div_scale_f64 v[2:3], null, v[0:1], v[0:1], 1.0
	v_rcp_f64_e32 v[7:8], v[2:3]
	s_waitcnt_depctr 0xfff
	v_fma_f64 v[9:10], -v[2:3], v[7:8], 1.0
	s_delay_alu instid0(VALU_DEP_1) | instskip(NEXT) | instid1(VALU_DEP_1)
	v_fma_f64 v[7:8], v[7:8], v[9:10], v[7:8]
	v_fma_f64 v[9:10], -v[2:3], v[7:8], 1.0
	s_delay_alu instid0(VALU_DEP_1) | instskip(SKIP_1) | instid1(VALU_DEP_1)
	v_fma_f64 v[7:8], v[7:8], v[9:10], v[7:8]
	v_div_scale_f64 v[9:10], vcc_lo, 1.0, v[0:1], 1.0
	v_mul_f64 v[11:12], v[9:10], v[7:8]
	s_delay_alu instid0(VALU_DEP_1) | instskip(NEXT) | instid1(VALU_DEP_1)
	v_fma_f64 v[2:3], -v[2:3], v[11:12], v[9:10]
	v_div_fmas_f64 v[2:3], v[2:3], v[7:8], v[11:12]
	s_delay_alu instid0(VALU_DEP_1) | instskip(NEXT) | instid1(VALU_DEP_1)
	v_div_fixup_f64 v[0:1], v[2:3], v[0:1], 1.0
	v_mul_f64 v[2:3], v[5:6], -v[0:1]
.LBB124_509:
	s_or_b32 exec_lo, exec_lo, s2
.LBB124_510:
	s_delay_alu instid0(SALU_CYCLE_1) | instskip(NEXT) | instid1(SALU_CYCLE_1)
	s_or_b32 exec_lo, exec_lo, s3
	s_mov_b32 s2, exec_lo
	v_cmpx_ne_u32_e64 v40, v4
	s_xor_b32 s2, exec_lo, s2
	s_cbranch_execz .LBB124_516
; %bb.511:
	s_mov_b32 s3, exec_lo
	v_cmpx_eq_u32_e32 20, v40
	s_cbranch_execz .LBB124_515
; %bb.512:
	v_cmp_ne_u32_e32 vcc_lo, 20, v4
	s_xor_b32 s6, s4, -1
	s_delay_alu instid0(SALU_CYCLE_1) | instskip(NEXT) | instid1(SALU_CYCLE_1)
	s_and_b32 s7, s6, vcc_lo
	s_and_saveexec_b32 s6, s7
	s_cbranch_execz .LBB124_514
; %bb.513:
	v_ashrrev_i32_e32 v5, 31, v4
	s_delay_alu instid0(VALU_DEP_1) | instskip(NEXT) | instid1(VALU_DEP_1)
	v_lshlrev_b64 v[5:6], 2, v[4:5]
	v_add_co_u32 v5, vcc_lo, v145, v5
	s_delay_alu instid0(VALU_DEP_2)
	v_add_co_ci_u32_e32 v6, vcc_lo, v146, v6, vcc_lo
	s_clause 0x1
	flat_load_b32 v7, v[5:6]
	flat_load_b32 v8, v[145:146] offset:80
	s_waitcnt vmcnt(1) lgkmcnt(1)
	flat_store_b32 v[145:146], v7 offset:80
	s_waitcnt vmcnt(0) lgkmcnt(1)
	flat_store_b32 v[5:6], v8
.LBB124_514:
	s_or_b32 exec_lo, exec_lo, s6
	v_mov_b32_e32 v40, v4
	v_mov_b32_e32 v39, v4
.LBB124_515:
	s_or_b32 exec_lo, exec_lo, s3
.LBB124_516:
	s_and_not1_saveexec_b32 s2, s2
	s_cbranch_execz .LBB124_520
; %bb.517:
	v_add3_u32 v4, v38, 0, 0x150
	v_mov_b32_e32 v5, 0
	s_mov_b32 s3, 0
.LBB124_518:                            ; =>This Inner Loop Header: Depth=1
	s_delay_alu instid0(VALU_DEP_1) | instskip(NEXT) | instid1(VALU_DEP_3)
	v_readfirstlane_b32 s6, v5
	v_add_nc_u32_e32 v18, s3, v4
	s_delay_alu instid0(VALU_DEP_2)
	s_add_i32 s6, s6, s3
	s_addk_i32 s3, 0xe0
	s_add_i32 s7, s6, 0x150
	s_add_i32 s9, s6, 0x160
	s_add_i32 s12, s6, 0x170
	s_add_i32 s14, s6, 0x180
	s_add_i32 s15, s6, 0x190
	s_add_i32 s16, s6, 0x1a0
	s_add_i32 s17, s6, 0x1b0
	s_add_i32 s18, s6, 0x1c0
	s_add_i32 s19, s6, 0x1d0
	s_add_i32 s20, s6, 0x1e0
	s_add_i32 s21, s6, 0x1f0
	s_add_i32 s22, s6, 0x200
	s_add_i32 s23, s6, 0x210
	s_addk_i32 s6, 0x220
	s_clause 0xd
	scratch_load_b128 v[6:9], off, s7
	scratch_load_b128 v[10:13], off, s9
	;; [unrolled: 1-line block ×14, first 2 shown]
	s_cmpk_eq_i32 s3, 0x2a0
	s_waitcnt vmcnt(13)
	ds_store_2addr_b64 v18, v[6:7], v[8:9] offset1:1
	s_waitcnt vmcnt(12)
	ds_store_2addr_b64 v18, v[10:11], v[12:13] offset0:2 offset1:3
	s_waitcnt vmcnt(11)
	ds_store_2addr_b64 v18, v[14:15], v[16:17] offset0:4 offset1:5
	;; [unrolled: 2-line block ×13, first 2 shown]
	s_cbranch_scc0 .LBB124_518
; %bb.519:
	v_mov_b32_e32 v40, 20
.LBB124_520:
	s_or_b32 exec_lo, exec_lo, s2
	s_delay_alu instid0(SALU_CYCLE_1)
	s_mov_b32 s2, exec_lo
	s_waitcnt lgkmcnt(0)
	s_waitcnt_vscnt null, 0x0
	s_barrier
	buffer_gl0_inv
	v_cmpx_lt_i32_e32 20, v40
	s_cbranch_execz .LBB124_523
; %bb.521:
	scratch_load_b128 v[4:7], off, off offset:320
	s_mov_b32 s3, 0
	s_waitcnt vmcnt(0)
	v_mul_f64 v[8:9], v[2:3], v[6:7]
	v_mul_f64 v[6:7], v[0:1], v[6:7]
	s_delay_alu instid0(VALU_DEP_2) | instskip(NEXT) | instid1(VALU_DEP_2)
	v_fma_f64 v[0:1], v[0:1], v[4:5], -v[8:9]
	v_fma_f64 v[2:3], v[2:3], v[4:5], v[6:7]
	v_add3_u32 v4, v38, 0, 0x150
	v_mov_b32_e32 v5, 0
	scratch_store_b128 off, v[0:3], off offset:320
.LBB124_522:                            ; =>This Inner Loop Header: Depth=1
	v_add_nc_u32_e32 v47, s3, v4
	v_readfirstlane_b32 s6, v5
	ds_load_2addr_b64 v[6:9], v47 offset1:1
	ds_load_2addr_b64 v[10:13], v47 offset0:2 offset1:3
	ds_load_2addr_b64 v[14:17], v47 offset0:4 offset1:5
	;; [unrolled: 1-line block ×5, first 2 shown]
	s_add_i32 s6, s6, s3
	s_addk_i32 s3, 0x70
	s_add_i32 s7, s6, 0x150
	s_add_i32 s9, s6, 0x160
	;; [unrolled: 1-line block ×6, first 2 shown]
	s_addk_i32 s6, 0x1b0
	s_cmpk_lg_i32 s3, 0x2a0
	s_waitcnt lgkmcnt(5)
	v_mul_f64 v[18:19], v[8:9], v[2:3]
	v_mul_f64 v[45:46], v[6:7], v[2:3]
	s_waitcnt lgkmcnt(4)
	v_mul_f64 v[49:50], v[12:13], v[2:3]
	v_mul_f64 v[61:62], v[10:11], v[2:3]
	;; [unrolled: 3-line block ×6, first 2 shown]
	v_fma_f64 v[18:19], v[6:7], v[0:1], -v[18:19]
	v_fma_f64 v[45:46], v[8:9], v[0:1], v[45:46]
	v_fma_f64 v[49:50], v[10:11], v[0:1], -v[49:50]
	v_fma_f64 v[61:62], v[12:13], v[0:1], v[61:62]
	;; [unrolled: 2-line block ×6, first 2 shown]
	scratch_load_b128 v[0:3], off, off offset:320
	s_clause 0x6
	scratch_load_b128 v[6:9], off, s7
	scratch_load_b128 v[10:13], off, s9
	;; [unrolled: 1-line block ×7, first 2 shown]
	ds_load_2addr_b64 v[73:76], v47 offset0:12 offset1:13
	s_waitcnt vmcnt(6)
	v_add_f64 v[6:7], v[6:7], -v[18:19]
	v_add_f64 v[8:9], v[8:9], -v[45:46]
	s_waitcnt vmcnt(5)
	v_add_f64 v[10:11], v[10:11], -v[49:50]
	v_add_f64 v[12:13], v[12:13], -v[61:62]
	s_waitcnt vmcnt(4)
	v_add_f64 v[14:15], v[14:15], -v[83:84]
	s_waitcnt lgkmcnt(0)
	v_mul_f64 v[93:94], v[75:76], v[2:3]
	v_mul_f64 v[95:96], v[73:74], v[2:3]
	v_add_f64 v[16:17], v[16:17], -v[85:86]
	s_waitcnt vmcnt(3)
	v_add_f64 v[41:42], v[41:42], -v[69:70]
	v_add_f64 v[43:44], v[43:44], -v[87:88]
	s_waitcnt vmcnt(2)
	v_add_f64 v[53:54], v[53:54], -v[89:90]
	;; [unrolled: 3-line block ×3, first 2 shown]
	v_add_f64 v[59:60], v[59:60], -v[91:92]
	v_fma_f64 v[73:74], v[73:74], v[0:1], -v[93:94]
	v_fma_f64 v[75:76], v[75:76], v[0:1], v[95:96]
	s_waitcnt vmcnt(0)
	s_delay_alu instid0(VALU_DEP_2) | instskip(NEXT) | instid1(VALU_DEP_2)
	v_add_f64 v[65:66], v[65:66], -v[73:74]
	v_add_f64 v[67:68], v[67:68], -v[75:76]
	s_clause 0x6
	scratch_store_b128 off, v[6:9], s7
	scratch_store_b128 off, v[10:13], s9
	;; [unrolled: 1-line block ×7, first 2 shown]
	s_cbranch_scc1 .LBB124_522
.LBB124_523:
	s_or_b32 exec_lo, exec_lo, s2
	s_waitcnt_vscnt null, 0x0
	s_barrier
	buffer_gl0_inv
	scratch_load_b128 v[0:3], v80, off
	v_lshl_add_u32 v4, v40, 4, v20
	s_cmp_lt_i32 s5, 23
	s_waitcnt vmcnt(0)
	ds_store_2addr_b64 v4, v[0:1], v[2:3] offset1:1
	s_waitcnt lgkmcnt(0)
	s_barrier
	buffer_gl0_inv
	ds_load_2addr_b64 v[0:3], v20 offset0:42 offset1:43
	v_mov_b32_e32 v4, 21
	s_cbranch_scc1 .LBB124_526
; %bb.524:
	v_add3_u32 v5, v38, 0, 0x160
	v_mov_b32_e32 v4, 21
	s_mov_b32 s6, 22
	s_set_inst_prefetch_distance 0x1
	.p2align	6
.LBB124_525:                            ; =>This Inner Loop Header: Depth=1
	ds_load_2addr_b64 v[6:9], v5 offset1:1
	s_waitcnt lgkmcnt(1)
	v_cmp_gt_f64_e32 vcc_lo, 0, v[0:1]
	v_xor_b32_e32 v10, 0x80000000, v1
	v_cmp_gt_f64_e64 s2, 0, v[2:3]
	v_xor_b32_e32 v12, 0x80000000, v3
	v_add_nc_u32_e32 v5, 16, v5
	s_waitcnt lgkmcnt(0)
	v_cmp_gt_f64_e64 s3, 0, v[6:7]
	v_mov_b32_e32 v14, v6
	v_dual_mov_b32 v16, v8 :: v_dual_cndmask_b32 v11, v1, v10
	v_xor_b32_e32 v10, 0x80000000, v7
	v_cndmask_b32_e64 v13, v3, v12, s2
	v_xor_b32_e32 v12, 0x80000000, v9
	s_delay_alu instid0(VALU_DEP_3) | instskip(SKIP_2) | instid1(VALU_DEP_2)
	v_cndmask_b32_e64 v15, v7, v10, s3
	v_cmp_gt_f64_e64 s3, 0, v[8:9]
	v_cndmask_b32_e32 v10, v0, v0, vcc_lo
	v_cndmask_b32_e64 v17, v9, v12, s3
	v_cndmask_b32_e64 v12, v2, v2, s2
	s_delay_alu instid0(VALU_DEP_2) | instskip(NEXT) | instid1(VALU_DEP_2)
	v_add_f64 v[14:15], v[14:15], v[16:17]
	v_add_f64 v[10:11], v[10:11], v[12:13]
	s_delay_alu instid0(VALU_DEP_1)
	v_cmp_lt_f64_e32 vcc_lo, v[10:11], v[14:15]
	v_cndmask_b32_e32 v3, v3, v9, vcc_lo
	v_dual_cndmask_b32 v1, v1, v7 :: v_dual_cndmask_b32 v0, v0, v6
	v_cndmask_b32_e32 v2, v2, v8, vcc_lo
	v_cndmask_b32_e64 v4, v4, s6, vcc_lo
	s_add_i32 s6, s6, 1
	s_delay_alu instid0(SALU_CYCLE_1)
	s_cmp_lg_u32 s5, s6
	s_cbranch_scc1 .LBB124_525
.LBB124_526:
	s_set_inst_prefetch_distance 0x2
	s_waitcnt lgkmcnt(0)
	v_cmp_eq_f64_e32 vcc_lo, 0, v[0:1]
	v_cmp_eq_f64_e64 s2, 0, v[2:3]
	s_delay_alu instid0(VALU_DEP_1) | instskip(NEXT) | instid1(SALU_CYCLE_1)
	s_and_b32 s2, vcc_lo, s2
	s_and_saveexec_b32 s3, s2
	s_delay_alu instid0(SALU_CYCLE_1)
	s_xor_b32 s2, exec_lo, s3
; %bb.527:
	v_cmp_ne_u32_e32 vcc_lo, 0, v37
	v_cndmask_b32_e32 v37, 22, v37, vcc_lo
; %bb.528:
	s_and_not1_saveexec_b32 s3, s2
	s_cbranch_execz .LBB124_534
; %bb.529:
	v_cmp_gt_f64_e32 vcc_lo, 0, v[0:1]
	v_cmp_gt_f64_e64 s2, 0, v[2:3]
	v_xor_b32_e32 v5, 0x80000000, v1
	v_xor_b32_e32 v7, 0x80000000, v3
	s_delay_alu instid0(VALU_DEP_2) | instskip(NEXT) | instid1(VALU_DEP_2)
	v_dual_cndmask_b32 v6, v1, v5 :: v_dual_cndmask_b32 v5, v0, v0
	v_cndmask_b32_e64 v8, v3, v7, s2
	v_cndmask_b32_e64 v7, v2, v2, s2
	s_mov_b32 s2, exec_lo
	s_delay_alu instid0(VALU_DEP_1)
	v_cmpx_ngt_f64_e32 v[5:6], v[7:8]
	s_xor_b32 s2, exec_lo, s2
	s_cbranch_execz .LBB124_531
; %bb.530:
	v_div_scale_f64 v[5:6], null, v[2:3], v[2:3], v[0:1]
	v_div_scale_f64 v[11:12], vcc_lo, v[0:1], v[2:3], v[0:1]
	s_delay_alu instid0(VALU_DEP_2) | instskip(SKIP_2) | instid1(VALU_DEP_1)
	v_rcp_f64_e32 v[7:8], v[5:6]
	s_waitcnt_depctr 0xfff
	v_fma_f64 v[9:10], -v[5:6], v[7:8], 1.0
	v_fma_f64 v[7:8], v[7:8], v[9:10], v[7:8]
	s_delay_alu instid0(VALU_DEP_1) | instskip(NEXT) | instid1(VALU_DEP_1)
	v_fma_f64 v[9:10], -v[5:6], v[7:8], 1.0
	v_fma_f64 v[7:8], v[7:8], v[9:10], v[7:8]
	s_delay_alu instid0(VALU_DEP_1) | instskip(NEXT) | instid1(VALU_DEP_1)
	v_mul_f64 v[9:10], v[11:12], v[7:8]
	v_fma_f64 v[5:6], -v[5:6], v[9:10], v[11:12]
	s_delay_alu instid0(VALU_DEP_1) | instskip(NEXT) | instid1(VALU_DEP_1)
	v_div_fmas_f64 v[5:6], v[5:6], v[7:8], v[9:10]
	v_div_fixup_f64 v[5:6], v[5:6], v[2:3], v[0:1]
	s_delay_alu instid0(VALU_DEP_1) | instskip(NEXT) | instid1(VALU_DEP_1)
	v_fma_f64 v[0:1], v[0:1], v[5:6], v[2:3]
	v_div_scale_f64 v[2:3], null, v[0:1], v[0:1], 1.0
	s_delay_alu instid0(VALU_DEP_1) | instskip(SKIP_2) | instid1(VALU_DEP_1)
	v_rcp_f64_e32 v[7:8], v[2:3]
	s_waitcnt_depctr 0xfff
	v_fma_f64 v[9:10], -v[2:3], v[7:8], 1.0
	v_fma_f64 v[7:8], v[7:8], v[9:10], v[7:8]
	s_delay_alu instid0(VALU_DEP_1) | instskip(NEXT) | instid1(VALU_DEP_1)
	v_fma_f64 v[9:10], -v[2:3], v[7:8], 1.0
	v_fma_f64 v[7:8], v[7:8], v[9:10], v[7:8]
	v_div_scale_f64 v[9:10], vcc_lo, 1.0, v[0:1], 1.0
	s_delay_alu instid0(VALU_DEP_1) | instskip(NEXT) | instid1(VALU_DEP_1)
	v_mul_f64 v[11:12], v[9:10], v[7:8]
	v_fma_f64 v[2:3], -v[2:3], v[11:12], v[9:10]
	s_delay_alu instid0(VALU_DEP_1) | instskip(NEXT) | instid1(VALU_DEP_1)
	v_div_fmas_f64 v[2:3], v[2:3], v[7:8], v[11:12]
	v_div_fixup_f64 v[2:3], v[2:3], v[0:1], 1.0
	s_delay_alu instid0(VALU_DEP_1)
	v_mul_f64 v[0:1], v[5:6], v[2:3]
	v_xor_b32_e32 v3, 0x80000000, v3
.LBB124_531:
	s_and_not1_saveexec_b32 s2, s2
	s_cbranch_execz .LBB124_533
; %bb.532:
	s_delay_alu instid0(VALU_DEP_1) | instskip(SKIP_1) | instid1(VALU_DEP_2)
	v_div_scale_f64 v[5:6], null, v[0:1], v[0:1], v[2:3]
	v_div_scale_f64 v[11:12], vcc_lo, v[2:3], v[0:1], v[2:3]
	v_rcp_f64_e32 v[7:8], v[5:6]
	s_waitcnt_depctr 0xfff
	v_fma_f64 v[9:10], -v[5:6], v[7:8], 1.0
	s_delay_alu instid0(VALU_DEP_1) | instskip(NEXT) | instid1(VALU_DEP_1)
	v_fma_f64 v[7:8], v[7:8], v[9:10], v[7:8]
	v_fma_f64 v[9:10], -v[5:6], v[7:8], 1.0
	s_delay_alu instid0(VALU_DEP_1) | instskip(NEXT) | instid1(VALU_DEP_1)
	v_fma_f64 v[7:8], v[7:8], v[9:10], v[7:8]
	v_mul_f64 v[9:10], v[11:12], v[7:8]
	s_delay_alu instid0(VALU_DEP_1) | instskip(NEXT) | instid1(VALU_DEP_1)
	v_fma_f64 v[5:6], -v[5:6], v[9:10], v[11:12]
	v_div_fmas_f64 v[5:6], v[5:6], v[7:8], v[9:10]
	s_delay_alu instid0(VALU_DEP_1) | instskip(NEXT) | instid1(VALU_DEP_1)
	v_div_fixup_f64 v[5:6], v[5:6], v[0:1], v[2:3]
	v_fma_f64 v[0:1], v[2:3], v[5:6], v[0:1]
	s_delay_alu instid0(VALU_DEP_1) | instskip(NEXT) | instid1(VALU_DEP_1)
	v_div_scale_f64 v[2:3], null, v[0:1], v[0:1], 1.0
	v_rcp_f64_e32 v[7:8], v[2:3]
	s_waitcnt_depctr 0xfff
	v_fma_f64 v[9:10], -v[2:3], v[7:8], 1.0
	s_delay_alu instid0(VALU_DEP_1) | instskip(NEXT) | instid1(VALU_DEP_1)
	v_fma_f64 v[7:8], v[7:8], v[9:10], v[7:8]
	v_fma_f64 v[9:10], -v[2:3], v[7:8], 1.0
	s_delay_alu instid0(VALU_DEP_1) | instskip(SKIP_1) | instid1(VALU_DEP_1)
	v_fma_f64 v[7:8], v[7:8], v[9:10], v[7:8]
	v_div_scale_f64 v[9:10], vcc_lo, 1.0, v[0:1], 1.0
	v_mul_f64 v[11:12], v[9:10], v[7:8]
	s_delay_alu instid0(VALU_DEP_1) | instskip(NEXT) | instid1(VALU_DEP_1)
	v_fma_f64 v[2:3], -v[2:3], v[11:12], v[9:10]
	v_div_fmas_f64 v[2:3], v[2:3], v[7:8], v[11:12]
	s_delay_alu instid0(VALU_DEP_1) | instskip(NEXT) | instid1(VALU_DEP_1)
	v_div_fixup_f64 v[0:1], v[2:3], v[0:1], 1.0
	v_mul_f64 v[2:3], v[5:6], -v[0:1]
.LBB124_533:
	s_or_b32 exec_lo, exec_lo, s2
.LBB124_534:
	s_delay_alu instid0(SALU_CYCLE_1) | instskip(NEXT) | instid1(SALU_CYCLE_1)
	s_or_b32 exec_lo, exec_lo, s3
	s_mov_b32 s2, exec_lo
	v_cmpx_ne_u32_e64 v40, v4
	s_xor_b32 s2, exec_lo, s2
	s_cbranch_execz .LBB124_540
; %bb.535:
	s_mov_b32 s3, exec_lo
	v_cmpx_eq_u32_e32 21, v40
	s_cbranch_execz .LBB124_539
; %bb.536:
	v_cmp_ne_u32_e32 vcc_lo, 21, v4
	s_xor_b32 s6, s4, -1
	s_delay_alu instid0(SALU_CYCLE_1) | instskip(NEXT) | instid1(SALU_CYCLE_1)
	s_and_b32 s7, s6, vcc_lo
	s_and_saveexec_b32 s6, s7
	s_cbranch_execz .LBB124_538
; %bb.537:
	v_ashrrev_i32_e32 v5, 31, v4
	s_delay_alu instid0(VALU_DEP_1) | instskip(NEXT) | instid1(VALU_DEP_1)
	v_lshlrev_b64 v[5:6], 2, v[4:5]
	v_add_co_u32 v5, vcc_lo, v145, v5
	s_delay_alu instid0(VALU_DEP_2)
	v_add_co_ci_u32_e32 v6, vcc_lo, v146, v6, vcc_lo
	s_clause 0x1
	flat_load_b32 v7, v[5:6]
	flat_load_b32 v8, v[145:146] offset:84
	s_waitcnt vmcnt(1) lgkmcnt(1)
	flat_store_b32 v[145:146], v7 offset:84
	s_waitcnt vmcnt(0) lgkmcnt(1)
	flat_store_b32 v[5:6], v8
.LBB124_538:
	s_or_b32 exec_lo, exec_lo, s6
	v_mov_b32_e32 v40, v4
	v_mov_b32_e32 v39, v4
.LBB124_539:
	s_or_b32 exec_lo, exec_lo, s3
.LBB124_540:
	s_and_not1_saveexec_b32 s2, s2
	s_cbranch_execz .LBB124_546
; %bb.541:
	v_add3_u32 v4, v38, 0, 0x160
	v_mov_b32_e32 v5, 0
	s_mov_b32 s3, 0
	s_branch .LBB124_543
.LBB124_542:                            ;   in Loop: Header=BB124_543 Depth=1
	s_and_not1_b32 vcc_lo, exec_lo, s7
	s_cbranch_vccz .LBB124_545
.LBB124_543:                            ; =>This Inner Loop Header: Depth=1
	s_delay_alu instid0(VALU_DEP_1) | instskip(SKIP_1) | instid1(VALU_DEP_2)
	v_readfirstlane_b32 s6, v5
	v_add_nc_u32_e32 v6, s3, v4
	s_add_i32 s6, s6, s3
	s_delay_alu instid0(SALU_CYCLE_1)
	s_add_i32 s7, s6, 0x160
	s_cmpk_eq_i32 s3, 0x280
	scratch_load_b128 v[7:10], off, s7
	s_mov_b32 s7, -1
	s_waitcnt vmcnt(0)
	ds_store_2addr_b64 v6, v[7:8], v[9:10] offset1:1
	s_cbranch_scc1 .LBB124_542
; %bb.544:                              ;   in Loop: Header=BB124_543 Depth=1
	s_add_i32 s7, s6, 0x170
	s_add_i32 s9, s6, 0x180
	s_clause 0x1
	scratch_load_b128 v[7:10], off, s7
	scratch_load_b128 v[11:14], off, s9
	s_add_i32 s7, s6, 0x190
	s_add_i32 s9, s6, 0x1a0
	s_clause 0x1
	scratch_load_b128 v[15:18], off, s7
	scratch_load_b128 v[40:43], off, s9
	s_add_i32 s7, s6, 0x1b0
	s_add_i32 s9, s6, 0x1c0
	s_addk_i32 s6, 0x1d0
	s_clause 0x2
	scratch_load_b128 v[44:47], off, s7
	scratch_load_b128 v[53:56], off, s9
	;; [unrolled: 1-line block ×3, first 2 shown]
	s_addk_i32 s3, 0x80
	s_mov_b32 s7, 0
	s_waitcnt vmcnt(6)
	ds_store_2addr_b64 v6, v[7:8], v[9:10] offset0:2 offset1:3
	s_waitcnt vmcnt(5)
	ds_store_2addr_b64 v6, v[11:12], v[13:14] offset0:4 offset1:5
	s_waitcnt vmcnt(4)
	ds_store_2addr_b64 v6, v[15:16], v[17:18] offset0:6 offset1:7
	s_waitcnt vmcnt(3)
	ds_store_2addr_b64 v6, v[40:41], v[42:43] offset0:8 offset1:9
	s_waitcnt vmcnt(2)
	ds_store_2addr_b64 v6, v[44:45], v[46:47] offset0:10 offset1:11
	s_waitcnt vmcnt(1)
	ds_store_2addr_b64 v6, v[53:54], v[55:56] offset0:12 offset1:13
	s_waitcnt vmcnt(0)
	ds_store_2addr_b64 v6, v[57:58], v[59:60] offset0:14 offset1:15
	s_branch .LBB124_542
.LBB124_545:
	v_mov_b32_e32 v40, 21
.LBB124_546:
	s_or_b32 exec_lo, exec_lo, s2
	s_delay_alu instid0(SALU_CYCLE_1)
	s_mov_b32 s2, exec_lo
	s_waitcnt lgkmcnt(0)
	s_waitcnt_vscnt null, 0x0
	s_barrier
	buffer_gl0_inv
	v_cmpx_lt_i32_e32 21, v40
	s_cbranch_execz .LBB124_551
; %bb.547:
	scratch_load_b128 v[4:7], off, off offset:336
	s_mov_b32 s3, 0
	s_waitcnt vmcnt(0)
	v_mul_f64 v[8:9], v[2:3], v[6:7]
	v_mul_f64 v[6:7], v[0:1], v[6:7]
	s_delay_alu instid0(VALU_DEP_2) | instskip(NEXT) | instid1(VALU_DEP_2)
	v_fma_f64 v[0:1], v[0:1], v[4:5], -v[8:9]
	v_fma_f64 v[2:3], v[2:3], v[4:5], v[6:7]
	v_add3_u32 v4, v38, 0, 0x160
	v_mov_b32_e32 v5, 0
	scratch_store_b128 off, v[0:3], off offset:336
	s_branch .LBB124_549
.LBB124_548:                            ;   in Loop: Header=BB124_549 Depth=1
	s_and_not1_b32 vcc_lo, exec_lo, s7
	s_cbranch_vccz .LBB124_551
.LBB124_549:                            ; =>This Inner Loop Header: Depth=1
	v_readfirstlane_b32 s6, v5
	v_add_nc_u32_e32 v6, s3, v4
	s_mov_b32 s7, -1
	s_delay_alu instid0(VALU_DEP_2)
	s_add_i32 s6, s6, s3
	ds_load_2addr_b64 v[11:14], v6 offset1:1
	s_add_i32 s9, s6, 0x160
	s_cmpk_eq_i32 s3, 0x280
	scratch_load_b128 v[7:10], off, s9
	s_waitcnt lgkmcnt(0)
	v_mul_f64 v[15:16], v[13:14], v[2:3]
	v_mul_f64 v[17:18], v[11:12], v[2:3]
	s_delay_alu instid0(VALU_DEP_2) | instskip(NEXT) | instid1(VALU_DEP_2)
	v_fma_f64 v[11:12], v[11:12], v[0:1], -v[15:16]
	v_fma_f64 v[13:14], v[13:14], v[0:1], v[17:18]
	s_waitcnt vmcnt(0)
	s_delay_alu instid0(VALU_DEP_2) | instskip(NEXT) | instid1(VALU_DEP_2)
	v_add_f64 v[7:8], v[7:8], -v[11:12]
	v_add_f64 v[9:10], v[9:10], -v[13:14]
	scratch_store_b128 off, v[7:10], s9
	s_cbranch_scc1 .LBB124_548
; %bb.550:                              ;   in Loop: Header=BB124_549 Depth=1
	s_add_i32 s9, s6, 0x170
	s_add_i32 s12, s6, 0x180
	scratch_load_b128 v[7:10], off, s9
	s_addk_i32 s6, 0x190
	s_clause 0x1
	scratch_load_b128 v[11:14], off, s12
	scratch_load_b128 v[15:18], off, s6
	ds_load_2addr_b64 v[41:44], v6 offset0:2 offset1:3
	ds_load_2addr_b64 v[53:56], v6 offset0:4 offset1:5
	;; [unrolled: 1-line block ×3, first 2 shown]
	s_add_i32 s3, s3, 64
	s_mov_b32 s7, 0
	s_waitcnt lgkmcnt(2)
	v_mul_f64 v[45:46], v[43:44], v[2:3]
	v_mul_f64 v[49:50], v[41:42], v[2:3]
	s_waitcnt lgkmcnt(1)
	v_mul_f64 v[61:62], v[55:56], v[2:3]
	v_mul_f64 v[65:66], v[53:54], v[2:3]
	;; [unrolled: 3-line block ×3, first 2 shown]
	v_fma_f64 v[41:42], v[41:42], v[0:1], -v[45:46]
	v_fma_f64 v[43:44], v[43:44], v[0:1], v[49:50]
	v_fma_f64 v[45:46], v[53:54], v[0:1], -v[61:62]
	v_fma_f64 v[49:50], v[55:56], v[0:1], v[65:66]
	;; [unrolled: 2-line block ×3, first 2 shown]
	s_waitcnt vmcnt(2)
	v_add_f64 v[6:7], v[7:8], -v[41:42]
	v_add_f64 v[8:9], v[9:10], -v[43:44]
	s_waitcnt vmcnt(1)
	v_add_f64 v[10:11], v[11:12], -v[45:46]
	v_add_f64 v[12:13], v[13:14], -v[49:50]
	;; [unrolled: 3-line block ×3, first 2 shown]
	s_clause 0x2
	scratch_store_b128 off, v[6:9], s9
	scratch_store_b128 off, v[10:13], s12
	;; [unrolled: 1-line block ×3, first 2 shown]
	s_branch .LBB124_548
.LBB124_551:
	s_or_b32 exec_lo, exec_lo, s2
	s_waitcnt_vscnt null, 0x0
	s_barrier
	buffer_gl0_inv
	scratch_load_b128 v[0:3], v110, off
	v_lshl_add_u32 v4, v40, 4, v20
	s_cmp_lt_i32 s5, 24
	s_waitcnt vmcnt(0)
	ds_store_2addr_b64 v4, v[0:1], v[2:3] offset1:1
	s_waitcnt lgkmcnt(0)
	s_barrier
	buffer_gl0_inv
	ds_load_2addr_b64 v[0:3], v20 offset0:44 offset1:45
	v_mov_b32_e32 v4, 22
	s_cbranch_scc1 .LBB124_554
; %bb.552:
	v_add3_u32 v5, v38, 0, 0x170
	v_mov_b32_e32 v4, 22
	s_mov_b32 s6, 23
	s_set_inst_prefetch_distance 0x1
	.p2align	6
.LBB124_553:                            ; =>This Inner Loop Header: Depth=1
	ds_load_2addr_b64 v[6:9], v5 offset1:1
	s_waitcnt lgkmcnt(1)
	v_cmp_gt_f64_e32 vcc_lo, 0, v[0:1]
	v_xor_b32_e32 v10, 0x80000000, v1
	v_cmp_gt_f64_e64 s2, 0, v[2:3]
	v_xor_b32_e32 v12, 0x80000000, v3
	v_add_nc_u32_e32 v5, 16, v5
	s_waitcnt lgkmcnt(0)
	v_cmp_gt_f64_e64 s3, 0, v[6:7]
	v_mov_b32_e32 v14, v6
	v_dual_mov_b32 v16, v8 :: v_dual_cndmask_b32 v11, v1, v10
	v_xor_b32_e32 v10, 0x80000000, v7
	v_cndmask_b32_e64 v13, v3, v12, s2
	v_xor_b32_e32 v12, 0x80000000, v9
	s_delay_alu instid0(VALU_DEP_3) | instskip(SKIP_2) | instid1(VALU_DEP_2)
	v_cndmask_b32_e64 v15, v7, v10, s3
	v_cmp_gt_f64_e64 s3, 0, v[8:9]
	v_cndmask_b32_e32 v10, v0, v0, vcc_lo
	v_cndmask_b32_e64 v17, v9, v12, s3
	v_cndmask_b32_e64 v12, v2, v2, s2
	s_delay_alu instid0(VALU_DEP_2) | instskip(NEXT) | instid1(VALU_DEP_2)
	v_add_f64 v[14:15], v[14:15], v[16:17]
	v_add_f64 v[10:11], v[10:11], v[12:13]
	s_delay_alu instid0(VALU_DEP_1)
	v_cmp_lt_f64_e32 vcc_lo, v[10:11], v[14:15]
	v_cndmask_b32_e32 v3, v3, v9, vcc_lo
	v_dual_cndmask_b32 v1, v1, v7 :: v_dual_cndmask_b32 v0, v0, v6
	v_cndmask_b32_e32 v2, v2, v8, vcc_lo
	v_cndmask_b32_e64 v4, v4, s6, vcc_lo
	s_add_i32 s6, s6, 1
	s_delay_alu instid0(SALU_CYCLE_1)
	s_cmp_lg_u32 s5, s6
	s_cbranch_scc1 .LBB124_553
.LBB124_554:
	s_set_inst_prefetch_distance 0x2
	s_waitcnt lgkmcnt(0)
	v_cmp_eq_f64_e32 vcc_lo, 0, v[0:1]
	v_cmp_eq_f64_e64 s2, 0, v[2:3]
	s_delay_alu instid0(VALU_DEP_1) | instskip(NEXT) | instid1(SALU_CYCLE_1)
	s_and_b32 s2, vcc_lo, s2
	s_and_saveexec_b32 s3, s2
	s_delay_alu instid0(SALU_CYCLE_1)
	s_xor_b32 s2, exec_lo, s3
; %bb.555:
	v_cmp_ne_u32_e32 vcc_lo, 0, v37
	v_cndmask_b32_e32 v37, 23, v37, vcc_lo
; %bb.556:
	s_and_not1_saveexec_b32 s3, s2
	s_cbranch_execz .LBB124_562
; %bb.557:
	v_cmp_gt_f64_e32 vcc_lo, 0, v[0:1]
	v_cmp_gt_f64_e64 s2, 0, v[2:3]
	v_xor_b32_e32 v5, 0x80000000, v1
	v_xor_b32_e32 v7, 0x80000000, v3
	s_delay_alu instid0(VALU_DEP_2) | instskip(NEXT) | instid1(VALU_DEP_2)
	v_dual_cndmask_b32 v6, v1, v5 :: v_dual_cndmask_b32 v5, v0, v0
	v_cndmask_b32_e64 v8, v3, v7, s2
	v_cndmask_b32_e64 v7, v2, v2, s2
	s_mov_b32 s2, exec_lo
	s_delay_alu instid0(VALU_DEP_1)
	v_cmpx_ngt_f64_e32 v[5:6], v[7:8]
	s_xor_b32 s2, exec_lo, s2
	s_cbranch_execz .LBB124_559
; %bb.558:
	v_div_scale_f64 v[5:6], null, v[2:3], v[2:3], v[0:1]
	v_div_scale_f64 v[11:12], vcc_lo, v[0:1], v[2:3], v[0:1]
	s_delay_alu instid0(VALU_DEP_2) | instskip(SKIP_2) | instid1(VALU_DEP_1)
	v_rcp_f64_e32 v[7:8], v[5:6]
	s_waitcnt_depctr 0xfff
	v_fma_f64 v[9:10], -v[5:6], v[7:8], 1.0
	v_fma_f64 v[7:8], v[7:8], v[9:10], v[7:8]
	s_delay_alu instid0(VALU_DEP_1) | instskip(NEXT) | instid1(VALU_DEP_1)
	v_fma_f64 v[9:10], -v[5:6], v[7:8], 1.0
	v_fma_f64 v[7:8], v[7:8], v[9:10], v[7:8]
	s_delay_alu instid0(VALU_DEP_1) | instskip(NEXT) | instid1(VALU_DEP_1)
	v_mul_f64 v[9:10], v[11:12], v[7:8]
	v_fma_f64 v[5:6], -v[5:6], v[9:10], v[11:12]
	s_delay_alu instid0(VALU_DEP_1) | instskip(NEXT) | instid1(VALU_DEP_1)
	v_div_fmas_f64 v[5:6], v[5:6], v[7:8], v[9:10]
	v_div_fixup_f64 v[5:6], v[5:6], v[2:3], v[0:1]
	s_delay_alu instid0(VALU_DEP_1) | instskip(NEXT) | instid1(VALU_DEP_1)
	v_fma_f64 v[0:1], v[0:1], v[5:6], v[2:3]
	v_div_scale_f64 v[2:3], null, v[0:1], v[0:1], 1.0
	s_delay_alu instid0(VALU_DEP_1) | instskip(SKIP_2) | instid1(VALU_DEP_1)
	v_rcp_f64_e32 v[7:8], v[2:3]
	s_waitcnt_depctr 0xfff
	v_fma_f64 v[9:10], -v[2:3], v[7:8], 1.0
	v_fma_f64 v[7:8], v[7:8], v[9:10], v[7:8]
	s_delay_alu instid0(VALU_DEP_1) | instskip(NEXT) | instid1(VALU_DEP_1)
	v_fma_f64 v[9:10], -v[2:3], v[7:8], 1.0
	v_fma_f64 v[7:8], v[7:8], v[9:10], v[7:8]
	v_div_scale_f64 v[9:10], vcc_lo, 1.0, v[0:1], 1.0
	s_delay_alu instid0(VALU_DEP_1) | instskip(NEXT) | instid1(VALU_DEP_1)
	v_mul_f64 v[11:12], v[9:10], v[7:8]
	v_fma_f64 v[2:3], -v[2:3], v[11:12], v[9:10]
	s_delay_alu instid0(VALU_DEP_1) | instskip(NEXT) | instid1(VALU_DEP_1)
	v_div_fmas_f64 v[2:3], v[2:3], v[7:8], v[11:12]
	v_div_fixup_f64 v[2:3], v[2:3], v[0:1], 1.0
	s_delay_alu instid0(VALU_DEP_1)
	v_mul_f64 v[0:1], v[5:6], v[2:3]
	v_xor_b32_e32 v3, 0x80000000, v3
.LBB124_559:
	s_and_not1_saveexec_b32 s2, s2
	s_cbranch_execz .LBB124_561
; %bb.560:
	s_delay_alu instid0(VALU_DEP_1) | instskip(SKIP_1) | instid1(VALU_DEP_2)
	v_div_scale_f64 v[5:6], null, v[0:1], v[0:1], v[2:3]
	v_div_scale_f64 v[11:12], vcc_lo, v[2:3], v[0:1], v[2:3]
	v_rcp_f64_e32 v[7:8], v[5:6]
	s_waitcnt_depctr 0xfff
	v_fma_f64 v[9:10], -v[5:6], v[7:8], 1.0
	s_delay_alu instid0(VALU_DEP_1) | instskip(NEXT) | instid1(VALU_DEP_1)
	v_fma_f64 v[7:8], v[7:8], v[9:10], v[7:8]
	v_fma_f64 v[9:10], -v[5:6], v[7:8], 1.0
	s_delay_alu instid0(VALU_DEP_1) | instskip(NEXT) | instid1(VALU_DEP_1)
	v_fma_f64 v[7:8], v[7:8], v[9:10], v[7:8]
	v_mul_f64 v[9:10], v[11:12], v[7:8]
	s_delay_alu instid0(VALU_DEP_1) | instskip(NEXT) | instid1(VALU_DEP_1)
	v_fma_f64 v[5:6], -v[5:6], v[9:10], v[11:12]
	v_div_fmas_f64 v[5:6], v[5:6], v[7:8], v[9:10]
	s_delay_alu instid0(VALU_DEP_1) | instskip(NEXT) | instid1(VALU_DEP_1)
	v_div_fixup_f64 v[5:6], v[5:6], v[0:1], v[2:3]
	v_fma_f64 v[0:1], v[2:3], v[5:6], v[0:1]
	s_delay_alu instid0(VALU_DEP_1) | instskip(NEXT) | instid1(VALU_DEP_1)
	v_div_scale_f64 v[2:3], null, v[0:1], v[0:1], 1.0
	v_rcp_f64_e32 v[7:8], v[2:3]
	s_waitcnt_depctr 0xfff
	v_fma_f64 v[9:10], -v[2:3], v[7:8], 1.0
	s_delay_alu instid0(VALU_DEP_1) | instskip(NEXT) | instid1(VALU_DEP_1)
	v_fma_f64 v[7:8], v[7:8], v[9:10], v[7:8]
	v_fma_f64 v[9:10], -v[2:3], v[7:8], 1.0
	s_delay_alu instid0(VALU_DEP_1) | instskip(SKIP_1) | instid1(VALU_DEP_1)
	v_fma_f64 v[7:8], v[7:8], v[9:10], v[7:8]
	v_div_scale_f64 v[9:10], vcc_lo, 1.0, v[0:1], 1.0
	v_mul_f64 v[11:12], v[9:10], v[7:8]
	s_delay_alu instid0(VALU_DEP_1) | instskip(NEXT) | instid1(VALU_DEP_1)
	v_fma_f64 v[2:3], -v[2:3], v[11:12], v[9:10]
	v_div_fmas_f64 v[2:3], v[2:3], v[7:8], v[11:12]
	s_delay_alu instid0(VALU_DEP_1) | instskip(NEXT) | instid1(VALU_DEP_1)
	v_div_fixup_f64 v[0:1], v[2:3], v[0:1], 1.0
	v_mul_f64 v[2:3], v[5:6], -v[0:1]
.LBB124_561:
	s_or_b32 exec_lo, exec_lo, s2
.LBB124_562:
	s_delay_alu instid0(SALU_CYCLE_1) | instskip(NEXT) | instid1(SALU_CYCLE_1)
	s_or_b32 exec_lo, exec_lo, s3
	s_mov_b32 s2, exec_lo
	v_cmpx_ne_u32_e64 v40, v4
	s_xor_b32 s2, exec_lo, s2
	s_cbranch_execz .LBB124_568
; %bb.563:
	s_mov_b32 s3, exec_lo
	v_cmpx_eq_u32_e32 22, v40
	s_cbranch_execz .LBB124_567
; %bb.564:
	v_cmp_ne_u32_e32 vcc_lo, 22, v4
	s_xor_b32 s6, s4, -1
	s_delay_alu instid0(SALU_CYCLE_1) | instskip(NEXT) | instid1(SALU_CYCLE_1)
	s_and_b32 s7, s6, vcc_lo
	s_and_saveexec_b32 s6, s7
	s_cbranch_execz .LBB124_566
; %bb.565:
	v_ashrrev_i32_e32 v5, 31, v4
	s_delay_alu instid0(VALU_DEP_1) | instskip(NEXT) | instid1(VALU_DEP_1)
	v_lshlrev_b64 v[5:6], 2, v[4:5]
	v_add_co_u32 v5, vcc_lo, v145, v5
	s_delay_alu instid0(VALU_DEP_2)
	v_add_co_ci_u32_e32 v6, vcc_lo, v146, v6, vcc_lo
	s_clause 0x1
	flat_load_b32 v7, v[5:6]
	flat_load_b32 v8, v[145:146] offset:88
	s_waitcnt vmcnt(1) lgkmcnt(1)
	flat_store_b32 v[145:146], v7 offset:88
	s_waitcnt vmcnt(0) lgkmcnt(1)
	flat_store_b32 v[5:6], v8
.LBB124_566:
	s_or_b32 exec_lo, exec_lo, s6
	v_mov_b32_e32 v40, v4
	v_mov_b32_e32 v39, v4
.LBB124_567:
	s_or_b32 exec_lo, exec_lo, s3
.LBB124_568:
	s_and_not1_saveexec_b32 s2, s2
	s_cbranch_execz .LBB124_572
; %bb.569:
	v_add3_u32 v4, v38, 0, 0x170
	v_mov_b32_e32 v5, 0
	s_mov_b32 s3, 0
.LBB124_570:                            ; =>This Inner Loop Header: Depth=1
	s_delay_alu instid0(VALU_DEP_1) | instskip(NEXT) | instid1(VALU_DEP_3)
	v_readfirstlane_b32 s6, v5
	v_add_nc_u32_e32 v18, s3, v4
	s_delay_alu instid0(VALU_DEP_2)
	s_add_i32 s6, s6, s3
	s_addk_i32 s3, 0xa0
	s_add_i32 s7, s6, 0x170
	s_add_i32 s9, s6, 0x180
	;; [unrolled: 1-line block ×9, first 2 shown]
	s_addk_i32 s6, 0x200
	s_clause 0x9
	scratch_load_b128 v[6:9], off, s7
	scratch_load_b128 v[10:13], off, s9
	;; [unrolled: 1-line block ×10, first 2 shown]
	s_cmpk_eq_i32 s3, 0x280
	s_waitcnt vmcnt(9)
	ds_store_2addr_b64 v18, v[6:7], v[8:9] offset1:1
	s_waitcnt vmcnt(8)
	ds_store_2addr_b64 v18, v[10:11], v[12:13] offset0:2 offset1:3
	s_waitcnt vmcnt(7)
	ds_store_2addr_b64 v18, v[14:15], v[16:17] offset0:4 offset1:5
	;; [unrolled: 2-line block ×9, first 2 shown]
	s_cbranch_scc0 .LBB124_570
; %bb.571:
	v_mov_b32_e32 v40, 22
.LBB124_572:
	s_or_b32 exec_lo, exec_lo, s2
	s_delay_alu instid0(SALU_CYCLE_1)
	s_mov_b32 s2, exec_lo
	s_waitcnt lgkmcnt(0)
	s_waitcnt_vscnt null, 0x0
	s_barrier
	buffer_gl0_inv
	v_cmpx_lt_i32_e32 22, v40
	s_cbranch_execz .LBB124_575
; %bb.573:
	scratch_load_b128 v[4:7], off, off offset:352
	s_mov_b32 s3, 0
	s_waitcnt vmcnt(0)
	v_mul_f64 v[8:9], v[2:3], v[6:7]
	v_mul_f64 v[6:7], v[0:1], v[6:7]
	s_delay_alu instid0(VALU_DEP_2) | instskip(NEXT) | instid1(VALU_DEP_2)
	v_fma_f64 v[0:1], v[0:1], v[4:5], -v[8:9]
	v_fma_f64 v[2:3], v[2:3], v[4:5], v[6:7]
	v_add3_u32 v4, v38, 0, 0x170
	v_mov_b32_e32 v5, 0
	scratch_store_b128 off, v[0:3], off offset:352
.LBB124_574:                            ; =>This Inner Loop Header: Depth=1
	v_readfirstlane_b32 s6, v5
	v_add_nc_u32_e32 v18, s3, v4
	s_delay_alu instid0(VALU_DEP_2)
	s_add_i32 s6, s6, s3
	s_addk_i32 s3, 0x50
	s_add_i32 s7, s6, 0x170
	s_add_i32 s9, s6, 0x180
	;; [unrolled: 1-line block ×4, first 2 shown]
	s_addk_i32 s6, 0x1b0
	s_clause 0x4
	scratch_load_b128 v[6:9], off, s7
	scratch_load_b128 v[10:13], off, s9
	;; [unrolled: 1-line block ×5, first 2 shown]
	ds_load_2addr_b64 v[57:60], v18 offset1:1
	ds_load_2addr_b64 v[65:68], v18 offset0:2 offset1:3
	ds_load_2addr_b64 v[73:76], v18 offset0:4 offset1:5
	ds_load_2addr_b64 v[85:88], v18 offset0:6 offset1:7
	ds_load_2addr_b64 v[130:133], v18 offset0:8 offset1:9
	s_cmpk_lg_i32 s3, 0x280
	s_waitcnt lgkmcnt(4)
	v_mul_f64 v[18:19], v[59:60], v[2:3]
	v_mul_f64 v[45:46], v[57:58], v[2:3]
	s_waitcnt lgkmcnt(3)
	v_mul_f64 v[49:50], v[67:68], v[2:3]
	v_mul_f64 v[61:62], v[65:66], v[2:3]
	;; [unrolled: 3-line block ×5, first 2 shown]
	v_fma_f64 v[18:19], v[57:58], v[0:1], -v[18:19]
	v_fma_f64 v[45:46], v[59:60], v[0:1], v[45:46]
	v_fma_f64 v[49:50], v[65:66], v[0:1], -v[49:50]
	v_fma_f64 v[57:58], v[67:68], v[0:1], v[61:62]
	;; [unrolled: 2-line block ×5, first 2 shown]
	s_waitcnt vmcnt(4)
	v_add_f64 v[6:7], v[6:7], -v[18:19]
	v_add_f64 v[8:9], v[8:9], -v[45:46]
	s_waitcnt vmcnt(3)
	v_add_f64 v[10:11], v[10:11], -v[49:50]
	v_add_f64 v[12:13], v[12:13], -v[57:58]
	;; [unrolled: 3-line block ×5, first 2 shown]
	s_clause 0x4
	scratch_store_b128 off, v[6:9], s7
	scratch_store_b128 off, v[10:13], s9
	;; [unrolled: 1-line block ×5, first 2 shown]
	s_cbranch_scc1 .LBB124_574
.LBB124_575:
	s_or_b32 exec_lo, exec_lo, s2
	s_waitcnt_vscnt null, 0x0
	s_barrier
	buffer_gl0_inv
	scratch_load_b128 v[0:3], v109, off
	v_lshl_add_u32 v4, v40, 4, v20
	s_cmp_lt_i32 s5, 25
	s_waitcnt vmcnt(0)
	ds_store_2addr_b64 v4, v[0:1], v[2:3] offset1:1
	s_waitcnt lgkmcnt(0)
	s_barrier
	buffer_gl0_inv
	ds_load_2addr_b64 v[0:3], v20 offset0:46 offset1:47
	v_mov_b32_e32 v4, 23
	s_cbranch_scc1 .LBB124_578
; %bb.576:
	v_add3_u32 v5, v38, 0, 0x180
	v_mov_b32_e32 v4, 23
	s_mov_b32 s6, 24
	s_set_inst_prefetch_distance 0x1
	.p2align	6
.LBB124_577:                            ; =>This Inner Loop Header: Depth=1
	ds_load_2addr_b64 v[6:9], v5 offset1:1
	s_waitcnt lgkmcnt(1)
	v_cmp_gt_f64_e32 vcc_lo, 0, v[0:1]
	v_xor_b32_e32 v10, 0x80000000, v1
	v_cmp_gt_f64_e64 s2, 0, v[2:3]
	v_xor_b32_e32 v12, 0x80000000, v3
	v_add_nc_u32_e32 v5, 16, v5
	s_waitcnt lgkmcnt(0)
	v_cmp_gt_f64_e64 s3, 0, v[6:7]
	v_mov_b32_e32 v14, v6
	v_dual_mov_b32 v16, v8 :: v_dual_cndmask_b32 v11, v1, v10
	v_xor_b32_e32 v10, 0x80000000, v7
	v_cndmask_b32_e64 v13, v3, v12, s2
	v_xor_b32_e32 v12, 0x80000000, v9
	s_delay_alu instid0(VALU_DEP_3) | instskip(SKIP_2) | instid1(VALU_DEP_2)
	v_cndmask_b32_e64 v15, v7, v10, s3
	v_cmp_gt_f64_e64 s3, 0, v[8:9]
	v_cndmask_b32_e32 v10, v0, v0, vcc_lo
	v_cndmask_b32_e64 v17, v9, v12, s3
	v_cndmask_b32_e64 v12, v2, v2, s2
	s_delay_alu instid0(VALU_DEP_2) | instskip(NEXT) | instid1(VALU_DEP_2)
	v_add_f64 v[14:15], v[14:15], v[16:17]
	v_add_f64 v[10:11], v[10:11], v[12:13]
	s_delay_alu instid0(VALU_DEP_1)
	v_cmp_lt_f64_e32 vcc_lo, v[10:11], v[14:15]
	v_cndmask_b32_e32 v3, v3, v9, vcc_lo
	v_dual_cndmask_b32 v1, v1, v7 :: v_dual_cndmask_b32 v0, v0, v6
	v_cndmask_b32_e32 v2, v2, v8, vcc_lo
	v_cndmask_b32_e64 v4, v4, s6, vcc_lo
	s_add_i32 s6, s6, 1
	s_delay_alu instid0(SALU_CYCLE_1)
	s_cmp_lg_u32 s5, s6
	s_cbranch_scc1 .LBB124_577
.LBB124_578:
	s_set_inst_prefetch_distance 0x2
	s_waitcnt lgkmcnt(0)
	v_cmp_eq_f64_e32 vcc_lo, 0, v[0:1]
	v_cmp_eq_f64_e64 s2, 0, v[2:3]
	s_delay_alu instid0(VALU_DEP_1) | instskip(NEXT) | instid1(SALU_CYCLE_1)
	s_and_b32 s2, vcc_lo, s2
	s_and_saveexec_b32 s3, s2
	s_delay_alu instid0(SALU_CYCLE_1)
	s_xor_b32 s2, exec_lo, s3
; %bb.579:
	v_cmp_ne_u32_e32 vcc_lo, 0, v37
	v_cndmask_b32_e32 v37, 24, v37, vcc_lo
; %bb.580:
	s_and_not1_saveexec_b32 s3, s2
	s_cbranch_execz .LBB124_586
; %bb.581:
	v_cmp_gt_f64_e32 vcc_lo, 0, v[0:1]
	v_cmp_gt_f64_e64 s2, 0, v[2:3]
	v_xor_b32_e32 v5, 0x80000000, v1
	v_xor_b32_e32 v7, 0x80000000, v3
	s_delay_alu instid0(VALU_DEP_2) | instskip(NEXT) | instid1(VALU_DEP_2)
	v_dual_cndmask_b32 v6, v1, v5 :: v_dual_cndmask_b32 v5, v0, v0
	v_cndmask_b32_e64 v8, v3, v7, s2
	v_cndmask_b32_e64 v7, v2, v2, s2
	s_mov_b32 s2, exec_lo
	s_delay_alu instid0(VALU_DEP_1)
	v_cmpx_ngt_f64_e32 v[5:6], v[7:8]
	s_xor_b32 s2, exec_lo, s2
	s_cbranch_execz .LBB124_583
; %bb.582:
	v_div_scale_f64 v[5:6], null, v[2:3], v[2:3], v[0:1]
	v_div_scale_f64 v[11:12], vcc_lo, v[0:1], v[2:3], v[0:1]
	s_delay_alu instid0(VALU_DEP_2) | instskip(SKIP_2) | instid1(VALU_DEP_1)
	v_rcp_f64_e32 v[7:8], v[5:6]
	s_waitcnt_depctr 0xfff
	v_fma_f64 v[9:10], -v[5:6], v[7:8], 1.0
	v_fma_f64 v[7:8], v[7:8], v[9:10], v[7:8]
	s_delay_alu instid0(VALU_DEP_1) | instskip(NEXT) | instid1(VALU_DEP_1)
	v_fma_f64 v[9:10], -v[5:6], v[7:8], 1.0
	v_fma_f64 v[7:8], v[7:8], v[9:10], v[7:8]
	s_delay_alu instid0(VALU_DEP_1) | instskip(NEXT) | instid1(VALU_DEP_1)
	v_mul_f64 v[9:10], v[11:12], v[7:8]
	v_fma_f64 v[5:6], -v[5:6], v[9:10], v[11:12]
	s_delay_alu instid0(VALU_DEP_1) | instskip(NEXT) | instid1(VALU_DEP_1)
	v_div_fmas_f64 v[5:6], v[5:6], v[7:8], v[9:10]
	v_div_fixup_f64 v[5:6], v[5:6], v[2:3], v[0:1]
	s_delay_alu instid0(VALU_DEP_1) | instskip(NEXT) | instid1(VALU_DEP_1)
	v_fma_f64 v[0:1], v[0:1], v[5:6], v[2:3]
	v_div_scale_f64 v[2:3], null, v[0:1], v[0:1], 1.0
	s_delay_alu instid0(VALU_DEP_1) | instskip(SKIP_2) | instid1(VALU_DEP_1)
	v_rcp_f64_e32 v[7:8], v[2:3]
	s_waitcnt_depctr 0xfff
	v_fma_f64 v[9:10], -v[2:3], v[7:8], 1.0
	v_fma_f64 v[7:8], v[7:8], v[9:10], v[7:8]
	s_delay_alu instid0(VALU_DEP_1) | instskip(NEXT) | instid1(VALU_DEP_1)
	v_fma_f64 v[9:10], -v[2:3], v[7:8], 1.0
	v_fma_f64 v[7:8], v[7:8], v[9:10], v[7:8]
	v_div_scale_f64 v[9:10], vcc_lo, 1.0, v[0:1], 1.0
	s_delay_alu instid0(VALU_DEP_1) | instskip(NEXT) | instid1(VALU_DEP_1)
	v_mul_f64 v[11:12], v[9:10], v[7:8]
	v_fma_f64 v[2:3], -v[2:3], v[11:12], v[9:10]
	s_delay_alu instid0(VALU_DEP_1) | instskip(NEXT) | instid1(VALU_DEP_1)
	v_div_fmas_f64 v[2:3], v[2:3], v[7:8], v[11:12]
	v_div_fixup_f64 v[2:3], v[2:3], v[0:1], 1.0
	s_delay_alu instid0(VALU_DEP_1)
	v_mul_f64 v[0:1], v[5:6], v[2:3]
	v_xor_b32_e32 v3, 0x80000000, v3
.LBB124_583:
	s_and_not1_saveexec_b32 s2, s2
	s_cbranch_execz .LBB124_585
; %bb.584:
	s_delay_alu instid0(VALU_DEP_1) | instskip(SKIP_1) | instid1(VALU_DEP_2)
	v_div_scale_f64 v[5:6], null, v[0:1], v[0:1], v[2:3]
	v_div_scale_f64 v[11:12], vcc_lo, v[2:3], v[0:1], v[2:3]
	v_rcp_f64_e32 v[7:8], v[5:6]
	s_waitcnt_depctr 0xfff
	v_fma_f64 v[9:10], -v[5:6], v[7:8], 1.0
	s_delay_alu instid0(VALU_DEP_1) | instskip(NEXT) | instid1(VALU_DEP_1)
	v_fma_f64 v[7:8], v[7:8], v[9:10], v[7:8]
	v_fma_f64 v[9:10], -v[5:6], v[7:8], 1.0
	s_delay_alu instid0(VALU_DEP_1) | instskip(NEXT) | instid1(VALU_DEP_1)
	v_fma_f64 v[7:8], v[7:8], v[9:10], v[7:8]
	v_mul_f64 v[9:10], v[11:12], v[7:8]
	s_delay_alu instid0(VALU_DEP_1) | instskip(NEXT) | instid1(VALU_DEP_1)
	v_fma_f64 v[5:6], -v[5:6], v[9:10], v[11:12]
	v_div_fmas_f64 v[5:6], v[5:6], v[7:8], v[9:10]
	s_delay_alu instid0(VALU_DEP_1) | instskip(NEXT) | instid1(VALU_DEP_1)
	v_div_fixup_f64 v[5:6], v[5:6], v[0:1], v[2:3]
	v_fma_f64 v[0:1], v[2:3], v[5:6], v[0:1]
	s_delay_alu instid0(VALU_DEP_1) | instskip(NEXT) | instid1(VALU_DEP_1)
	v_div_scale_f64 v[2:3], null, v[0:1], v[0:1], 1.0
	v_rcp_f64_e32 v[7:8], v[2:3]
	s_waitcnt_depctr 0xfff
	v_fma_f64 v[9:10], -v[2:3], v[7:8], 1.0
	s_delay_alu instid0(VALU_DEP_1) | instskip(NEXT) | instid1(VALU_DEP_1)
	v_fma_f64 v[7:8], v[7:8], v[9:10], v[7:8]
	v_fma_f64 v[9:10], -v[2:3], v[7:8], 1.0
	s_delay_alu instid0(VALU_DEP_1) | instskip(SKIP_1) | instid1(VALU_DEP_1)
	v_fma_f64 v[7:8], v[7:8], v[9:10], v[7:8]
	v_div_scale_f64 v[9:10], vcc_lo, 1.0, v[0:1], 1.0
	v_mul_f64 v[11:12], v[9:10], v[7:8]
	s_delay_alu instid0(VALU_DEP_1) | instskip(NEXT) | instid1(VALU_DEP_1)
	v_fma_f64 v[2:3], -v[2:3], v[11:12], v[9:10]
	v_div_fmas_f64 v[2:3], v[2:3], v[7:8], v[11:12]
	s_delay_alu instid0(VALU_DEP_1) | instskip(NEXT) | instid1(VALU_DEP_1)
	v_div_fixup_f64 v[0:1], v[2:3], v[0:1], 1.0
	v_mul_f64 v[2:3], v[5:6], -v[0:1]
.LBB124_585:
	s_or_b32 exec_lo, exec_lo, s2
.LBB124_586:
	s_delay_alu instid0(SALU_CYCLE_1) | instskip(NEXT) | instid1(SALU_CYCLE_1)
	s_or_b32 exec_lo, exec_lo, s3
	s_mov_b32 s2, exec_lo
	v_cmpx_ne_u32_e64 v40, v4
	s_xor_b32 s2, exec_lo, s2
	s_cbranch_execz .LBB124_592
; %bb.587:
	s_mov_b32 s3, exec_lo
	v_cmpx_eq_u32_e32 23, v40
	s_cbranch_execz .LBB124_591
; %bb.588:
	v_cmp_ne_u32_e32 vcc_lo, 23, v4
	s_xor_b32 s6, s4, -1
	s_delay_alu instid0(SALU_CYCLE_1) | instskip(NEXT) | instid1(SALU_CYCLE_1)
	s_and_b32 s7, s6, vcc_lo
	s_and_saveexec_b32 s6, s7
	s_cbranch_execz .LBB124_590
; %bb.589:
	v_ashrrev_i32_e32 v5, 31, v4
	s_delay_alu instid0(VALU_DEP_1) | instskip(NEXT) | instid1(VALU_DEP_1)
	v_lshlrev_b64 v[5:6], 2, v[4:5]
	v_add_co_u32 v5, vcc_lo, v145, v5
	s_delay_alu instid0(VALU_DEP_2)
	v_add_co_ci_u32_e32 v6, vcc_lo, v146, v6, vcc_lo
	s_clause 0x1
	flat_load_b32 v7, v[5:6]
	flat_load_b32 v8, v[145:146] offset:92
	s_waitcnt vmcnt(1) lgkmcnt(1)
	flat_store_b32 v[145:146], v7 offset:92
	s_waitcnt vmcnt(0) lgkmcnt(1)
	flat_store_b32 v[5:6], v8
.LBB124_590:
	s_or_b32 exec_lo, exec_lo, s6
	v_mov_b32_e32 v40, v4
	v_mov_b32_e32 v39, v4
.LBB124_591:
	s_or_b32 exec_lo, exec_lo, s3
.LBB124_592:
	s_and_not1_saveexec_b32 s2, s2
	s_cbranch_execz .LBB124_596
; %bb.593:
	v_add3_u32 v4, v38, 0, 0x180
	v_mov_b32_e32 v5, 0
	s_mov_b32 s3, 0
.LBB124_594:                            ; =>This Inner Loop Header: Depth=1
	s_delay_alu instid0(VALU_DEP_1) | instskip(NEXT) | instid1(VALU_DEP_3)
	v_readfirstlane_b32 s6, v5
	v_add_nc_u32_e32 v18, s3, v4
	s_delay_alu instid0(VALU_DEP_2)
	s_add_i32 s6, s6, s3
	s_addk_i32 s3, 0xd0
	s_add_i32 s7, s6, 0x180
	s_add_i32 s9, s6, 0x190
	;; [unrolled: 1-line block ×12, first 2 shown]
	s_addk_i32 s6, 0x240
	s_clause 0xc
	scratch_load_b128 v[6:9], off, s7
	scratch_load_b128 v[10:13], off, s9
	;; [unrolled: 1-line block ×13, first 2 shown]
	s_cmpk_eq_i32 s3, 0x270
	s_waitcnt vmcnt(12)
	ds_store_2addr_b64 v18, v[6:7], v[8:9] offset1:1
	s_waitcnt vmcnt(11)
	ds_store_2addr_b64 v18, v[10:11], v[12:13] offset0:2 offset1:3
	s_waitcnt vmcnt(10)
	ds_store_2addr_b64 v18, v[14:15], v[16:17] offset0:4 offset1:5
	;; [unrolled: 2-line block ×12, first 2 shown]
	s_cbranch_scc0 .LBB124_594
; %bb.595:
	v_mov_b32_e32 v40, 23
.LBB124_596:
	s_or_b32 exec_lo, exec_lo, s2
	s_delay_alu instid0(SALU_CYCLE_1)
	s_mov_b32 s2, exec_lo
	s_waitcnt lgkmcnt(0)
	s_waitcnt_vscnt null, 0x0
	s_barrier
	buffer_gl0_inv
	v_cmpx_lt_i32_e32 23, v40
	s_cbranch_execz .LBB124_599
; %bb.597:
	scratch_load_b128 v[4:7], off, off offset:368
	s_mov_b32 s3, 0
	s_waitcnt vmcnt(0)
	v_mul_f64 v[8:9], v[2:3], v[6:7]
	v_mul_f64 v[6:7], v[0:1], v[6:7]
	s_delay_alu instid0(VALU_DEP_2) | instskip(NEXT) | instid1(VALU_DEP_2)
	v_fma_f64 v[0:1], v[0:1], v[4:5], -v[8:9]
	v_fma_f64 v[2:3], v[2:3], v[4:5], v[6:7]
	v_add3_u32 v4, v38, 0, 0x180
	v_mov_b32_e32 v5, 0
	scratch_store_b128 off, v[0:3], off offset:368
.LBB124_598:                            ; =>This Inner Loop Header: Depth=1
	v_readfirstlane_b32 s6, v5
	v_add_nc_u32_e32 v18, s3, v4
	s_delay_alu instid0(VALU_DEP_2)
	s_add_i32 s6, s6, s3
	s_add_i32 s3, s3, 48
	s_add_i32 s7, s6, 0x180
	s_add_i32 s9, s6, 0x190
	s_addk_i32 s6, 0x1a0
	s_clause 0x2
	scratch_load_b128 v[6:9], off, s7
	scratch_load_b128 v[10:13], off, s9
	;; [unrolled: 1-line block ×3, first 2 shown]
	ds_load_2addr_b64 v[41:44], v18 offset1:1
	ds_load_2addr_b64 v[53:56], v18 offset0:2 offset1:3
	ds_load_2addr_b64 v[57:60], v18 offset0:4 offset1:5
	s_cmpk_lg_i32 s3, 0x270
	s_waitcnt lgkmcnt(2)
	v_mul_f64 v[18:19], v[43:44], v[2:3]
	v_mul_f64 v[45:46], v[41:42], v[2:3]
	s_waitcnt lgkmcnt(1)
	v_mul_f64 v[49:50], v[55:56], v[2:3]
	v_mul_f64 v[61:62], v[53:54], v[2:3]
	;; [unrolled: 3-line block ×3, first 2 shown]
	v_fma_f64 v[18:19], v[41:42], v[0:1], -v[18:19]
	v_fma_f64 v[41:42], v[43:44], v[0:1], v[45:46]
	v_fma_f64 v[43:44], v[53:54], v[0:1], -v[49:50]
	v_fma_f64 v[45:46], v[55:56], v[0:1], v[61:62]
	;; [unrolled: 2-line block ×3, first 2 shown]
	s_waitcnt vmcnt(2)
	v_add_f64 v[6:7], v[6:7], -v[18:19]
	v_add_f64 v[8:9], v[8:9], -v[41:42]
	s_waitcnt vmcnt(1)
	v_add_f64 v[10:11], v[10:11], -v[43:44]
	v_add_f64 v[12:13], v[12:13], -v[45:46]
	;; [unrolled: 3-line block ×3, first 2 shown]
	s_clause 0x2
	scratch_store_b128 off, v[6:9], s7
	scratch_store_b128 off, v[10:13], s9
	;; [unrolled: 1-line block ×3, first 2 shown]
	s_cbranch_scc1 .LBB124_598
.LBB124_599:
	s_or_b32 exec_lo, exec_lo, s2
	s_waitcnt_vscnt null, 0x0
	s_barrier
	buffer_gl0_inv
	scratch_load_b128 v[0:3], v107, off
	v_lshl_add_u32 v4, v40, 4, v20
	s_cmp_lt_i32 s5, 26
	s_waitcnt vmcnt(0)
	ds_store_2addr_b64 v4, v[0:1], v[2:3] offset1:1
	s_waitcnt lgkmcnt(0)
	s_barrier
	buffer_gl0_inv
	ds_load_2addr_b64 v[0:3], v20 offset0:48 offset1:49
	v_mov_b32_e32 v4, 24
	s_cbranch_scc1 .LBB124_602
; %bb.600:
	v_add3_u32 v5, v38, 0, 0x190
	v_mov_b32_e32 v4, 24
	s_mov_b32 s6, 25
	s_set_inst_prefetch_distance 0x1
	.p2align	6
.LBB124_601:                            ; =>This Inner Loop Header: Depth=1
	ds_load_2addr_b64 v[6:9], v5 offset1:1
	s_waitcnt lgkmcnt(1)
	v_cmp_gt_f64_e32 vcc_lo, 0, v[0:1]
	v_xor_b32_e32 v10, 0x80000000, v1
	v_cmp_gt_f64_e64 s2, 0, v[2:3]
	v_xor_b32_e32 v12, 0x80000000, v3
	v_add_nc_u32_e32 v5, 16, v5
	s_waitcnt lgkmcnt(0)
	v_cmp_gt_f64_e64 s3, 0, v[6:7]
	v_mov_b32_e32 v14, v6
	v_dual_mov_b32 v16, v8 :: v_dual_cndmask_b32 v11, v1, v10
	v_xor_b32_e32 v10, 0x80000000, v7
	v_cndmask_b32_e64 v13, v3, v12, s2
	v_xor_b32_e32 v12, 0x80000000, v9
	s_delay_alu instid0(VALU_DEP_3) | instskip(SKIP_2) | instid1(VALU_DEP_2)
	v_cndmask_b32_e64 v15, v7, v10, s3
	v_cmp_gt_f64_e64 s3, 0, v[8:9]
	v_cndmask_b32_e32 v10, v0, v0, vcc_lo
	v_cndmask_b32_e64 v17, v9, v12, s3
	v_cndmask_b32_e64 v12, v2, v2, s2
	s_delay_alu instid0(VALU_DEP_2) | instskip(NEXT) | instid1(VALU_DEP_2)
	v_add_f64 v[14:15], v[14:15], v[16:17]
	v_add_f64 v[10:11], v[10:11], v[12:13]
	s_delay_alu instid0(VALU_DEP_1)
	v_cmp_lt_f64_e32 vcc_lo, v[10:11], v[14:15]
	v_cndmask_b32_e32 v3, v3, v9, vcc_lo
	v_dual_cndmask_b32 v1, v1, v7 :: v_dual_cndmask_b32 v0, v0, v6
	v_cndmask_b32_e32 v2, v2, v8, vcc_lo
	v_cndmask_b32_e64 v4, v4, s6, vcc_lo
	s_add_i32 s6, s6, 1
	s_delay_alu instid0(SALU_CYCLE_1)
	s_cmp_lg_u32 s5, s6
	s_cbranch_scc1 .LBB124_601
.LBB124_602:
	s_set_inst_prefetch_distance 0x2
	s_waitcnt lgkmcnt(0)
	v_cmp_eq_f64_e32 vcc_lo, 0, v[0:1]
	v_cmp_eq_f64_e64 s2, 0, v[2:3]
	s_delay_alu instid0(VALU_DEP_1) | instskip(NEXT) | instid1(SALU_CYCLE_1)
	s_and_b32 s2, vcc_lo, s2
	s_and_saveexec_b32 s3, s2
	s_delay_alu instid0(SALU_CYCLE_1)
	s_xor_b32 s2, exec_lo, s3
; %bb.603:
	v_cmp_ne_u32_e32 vcc_lo, 0, v37
	v_cndmask_b32_e32 v37, 25, v37, vcc_lo
; %bb.604:
	s_and_not1_saveexec_b32 s3, s2
	s_cbranch_execz .LBB124_610
; %bb.605:
	v_cmp_gt_f64_e32 vcc_lo, 0, v[0:1]
	v_cmp_gt_f64_e64 s2, 0, v[2:3]
	v_xor_b32_e32 v5, 0x80000000, v1
	v_xor_b32_e32 v7, 0x80000000, v3
	s_delay_alu instid0(VALU_DEP_2) | instskip(NEXT) | instid1(VALU_DEP_2)
	v_dual_cndmask_b32 v6, v1, v5 :: v_dual_cndmask_b32 v5, v0, v0
	v_cndmask_b32_e64 v8, v3, v7, s2
	v_cndmask_b32_e64 v7, v2, v2, s2
	s_mov_b32 s2, exec_lo
	s_delay_alu instid0(VALU_DEP_1)
	v_cmpx_ngt_f64_e32 v[5:6], v[7:8]
	s_xor_b32 s2, exec_lo, s2
	s_cbranch_execz .LBB124_607
; %bb.606:
	v_div_scale_f64 v[5:6], null, v[2:3], v[2:3], v[0:1]
	v_div_scale_f64 v[11:12], vcc_lo, v[0:1], v[2:3], v[0:1]
	s_delay_alu instid0(VALU_DEP_2) | instskip(SKIP_2) | instid1(VALU_DEP_1)
	v_rcp_f64_e32 v[7:8], v[5:6]
	s_waitcnt_depctr 0xfff
	v_fma_f64 v[9:10], -v[5:6], v[7:8], 1.0
	v_fma_f64 v[7:8], v[7:8], v[9:10], v[7:8]
	s_delay_alu instid0(VALU_DEP_1) | instskip(NEXT) | instid1(VALU_DEP_1)
	v_fma_f64 v[9:10], -v[5:6], v[7:8], 1.0
	v_fma_f64 v[7:8], v[7:8], v[9:10], v[7:8]
	s_delay_alu instid0(VALU_DEP_1) | instskip(NEXT) | instid1(VALU_DEP_1)
	v_mul_f64 v[9:10], v[11:12], v[7:8]
	v_fma_f64 v[5:6], -v[5:6], v[9:10], v[11:12]
	s_delay_alu instid0(VALU_DEP_1) | instskip(NEXT) | instid1(VALU_DEP_1)
	v_div_fmas_f64 v[5:6], v[5:6], v[7:8], v[9:10]
	v_div_fixup_f64 v[5:6], v[5:6], v[2:3], v[0:1]
	s_delay_alu instid0(VALU_DEP_1) | instskip(NEXT) | instid1(VALU_DEP_1)
	v_fma_f64 v[0:1], v[0:1], v[5:6], v[2:3]
	v_div_scale_f64 v[2:3], null, v[0:1], v[0:1], 1.0
	s_delay_alu instid0(VALU_DEP_1) | instskip(SKIP_2) | instid1(VALU_DEP_1)
	v_rcp_f64_e32 v[7:8], v[2:3]
	s_waitcnt_depctr 0xfff
	v_fma_f64 v[9:10], -v[2:3], v[7:8], 1.0
	v_fma_f64 v[7:8], v[7:8], v[9:10], v[7:8]
	s_delay_alu instid0(VALU_DEP_1) | instskip(NEXT) | instid1(VALU_DEP_1)
	v_fma_f64 v[9:10], -v[2:3], v[7:8], 1.0
	v_fma_f64 v[7:8], v[7:8], v[9:10], v[7:8]
	v_div_scale_f64 v[9:10], vcc_lo, 1.0, v[0:1], 1.0
	s_delay_alu instid0(VALU_DEP_1) | instskip(NEXT) | instid1(VALU_DEP_1)
	v_mul_f64 v[11:12], v[9:10], v[7:8]
	v_fma_f64 v[2:3], -v[2:3], v[11:12], v[9:10]
	s_delay_alu instid0(VALU_DEP_1) | instskip(NEXT) | instid1(VALU_DEP_1)
	v_div_fmas_f64 v[2:3], v[2:3], v[7:8], v[11:12]
	v_div_fixup_f64 v[2:3], v[2:3], v[0:1], 1.0
	s_delay_alu instid0(VALU_DEP_1)
	v_mul_f64 v[0:1], v[5:6], v[2:3]
	v_xor_b32_e32 v3, 0x80000000, v3
.LBB124_607:
	s_and_not1_saveexec_b32 s2, s2
	s_cbranch_execz .LBB124_609
; %bb.608:
	s_delay_alu instid0(VALU_DEP_1) | instskip(SKIP_1) | instid1(VALU_DEP_2)
	v_div_scale_f64 v[5:6], null, v[0:1], v[0:1], v[2:3]
	v_div_scale_f64 v[11:12], vcc_lo, v[2:3], v[0:1], v[2:3]
	v_rcp_f64_e32 v[7:8], v[5:6]
	s_waitcnt_depctr 0xfff
	v_fma_f64 v[9:10], -v[5:6], v[7:8], 1.0
	s_delay_alu instid0(VALU_DEP_1) | instskip(NEXT) | instid1(VALU_DEP_1)
	v_fma_f64 v[7:8], v[7:8], v[9:10], v[7:8]
	v_fma_f64 v[9:10], -v[5:6], v[7:8], 1.0
	s_delay_alu instid0(VALU_DEP_1) | instskip(NEXT) | instid1(VALU_DEP_1)
	v_fma_f64 v[7:8], v[7:8], v[9:10], v[7:8]
	v_mul_f64 v[9:10], v[11:12], v[7:8]
	s_delay_alu instid0(VALU_DEP_1) | instskip(NEXT) | instid1(VALU_DEP_1)
	v_fma_f64 v[5:6], -v[5:6], v[9:10], v[11:12]
	v_div_fmas_f64 v[5:6], v[5:6], v[7:8], v[9:10]
	s_delay_alu instid0(VALU_DEP_1) | instskip(NEXT) | instid1(VALU_DEP_1)
	v_div_fixup_f64 v[5:6], v[5:6], v[0:1], v[2:3]
	v_fma_f64 v[0:1], v[2:3], v[5:6], v[0:1]
	s_delay_alu instid0(VALU_DEP_1) | instskip(NEXT) | instid1(VALU_DEP_1)
	v_div_scale_f64 v[2:3], null, v[0:1], v[0:1], 1.0
	v_rcp_f64_e32 v[7:8], v[2:3]
	s_waitcnt_depctr 0xfff
	v_fma_f64 v[9:10], -v[2:3], v[7:8], 1.0
	s_delay_alu instid0(VALU_DEP_1) | instskip(NEXT) | instid1(VALU_DEP_1)
	v_fma_f64 v[7:8], v[7:8], v[9:10], v[7:8]
	v_fma_f64 v[9:10], -v[2:3], v[7:8], 1.0
	s_delay_alu instid0(VALU_DEP_1) | instskip(SKIP_1) | instid1(VALU_DEP_1)
	v_fma_f64 v[7:8], v[7:8], v[9:10], v[7:8]
	v_div_scale_f64 v[9:10], vcc_lo, 1.0, v[0:1], 1.0
	v_mul_f64 v[11:12], v[9:10], v[7:8]
	s_delay_alu instid0(VALU_DEP_1) | instskip(NEXT) | instid1(VALU_DEP_1)
	v_fma_f64 v[2:3], -v[2:3], v[11:12], v[9:10]
	v_div_fmas_f64 v[2:3], v[2:3], v[7:8], v[11:12]
	s_delay_alu instid0(VALU_DEP_1) | instskip(NEXT) | instid1(VALU_DEP_1)
	v_div_fixup_f64 v[0:1], v[2:3], v[0:1], 1.0
	v_mul_f64 v[2:3], v[5:6], -v[0:1]
.LBB124_609:
	s_or_b32 exec_lo, exec_lo, s2
.LBB124_610:
	s_delay_alu instid0(SALU_CYCLE_1) | instskip(NEXT) | instid1(SALU_CYCLE_1)
	s_or_b32 exec_lo, exec_lo, s3
	s_mov_b32 s2, exec_lo
	v_cmpx_ne_u32_e64 v40, v4
	s_xor_b32 s2, exec_lo, s2
	s_cbranch_execz .LBB124_616
; %bb.611:
	s_mov_b32 s3, exec_lo
	v_cmpx_eq_u32_e32 24, v40
	s_cbranch_execz .LBB124_615
; %bb.612:
	v_cmp_ne_u32_e32 vcc_lo, 24, v4
	s_xor_b32 s6, s4, -1
	s_delay_alu instid0(SALU_CYCLE_1) | instskip(NEXT) | instid1(SALU_CYCLE_1)
	s_and_b32 s7, s6, vcc_lo
	s_and_saveexec_b32 s6, s7
	s_cbranch_execz .LBB124_614
; %bb.613:
	v_ashrrev_i32_e32 v5, 31, v4
	s_delay_alu instid0(VALU_DEP_1) | instskip(NEXT) | instid1(VALU_DEP_1)
	v_lshlrev_b64 v[5:6], 2, v[4:5]
	v_add_co_u32 v5, vcc_lo, v145, v5
	s_delay_alu instid0(VALU_DEP_2)
	v_add_co_ci_u32_e32 v6, vcc_lo, v146, v6, vcc_lo
	s_clause 0x1
	flat_load_b32 v7, v[5:6]
	flat_load_b32 v8, v[145:146] offset:96
	s_waitcnt vmcnt(1) lgkmcnt(1)
	flat_store_b32 v[145:146], v7 offset:96
	s_waitcnt vmcnt(0) lgkmcnt(1)
	flat_store_b32 v[5:6], v8
.LBB124_614:
	s_or_b32 exec_lo, exec_lo, s6
	v_mov_b32_e32 v40, v4
	v_mov_b32_e32 v39, v4
.LBB124_615:
	s_or_b32 exec_lo, exec_lo, s3
.LBB124_616:
	s_and_not1_saveexec_b32 s2, s2
	s_cbranch_execz .LBB124_620
; %bb.617:
	v_add3_u32 v4, v38, 0, 0x190
	s_mov_b32 s3, 0
	.p2align	6
.LBB124_618:                            ; =>This Inner Loop Header: Depth=1
	s_delay_alu instid0(SALU_CYCLE_1) | instskip(NEXT) | instid1(VALU_DEP_2)
	v_add_nc_u32_e64 v5, s3, 0
	v_add_nc_u32_e32 v13, s3, v4
	s_add_i32 s3, s3, 32
	s_delay_alu instid0(SALU_CYCLE_1) | instskip(NEXT) | instid1(VALU_DEP_2)
	s_cmpk_eq_i32 s3, 0x260
	v_add_nc_u32_e32 v6, 0x190, v5
	v_add_nc_u32_e32 v9, 0x1a0, v5
	s_clause 0x1
	scratch_load_b128 v[5:8], v6, off
	scratch_load_b128 v[9:12], v9, off
	s_waitcnt vmcnt(1)
	ds_store_2addr_b64 v13, v[5:6], v[7:8] offset1:1
	s_waitcnt vmcnt(0)
	ds_store_2addr_b64 v13, v[9:10], v[11:12] offset0:2 offset1:3
	s_cbranch_scc0 .LBB124_618
; %bb.619:
	v_mov_b32_e32 v40, 24
.LBB124_620:
	s_or_b32 exec_lo, exec_lo, s2
	s_delay_alu instid0(SALU_CYCLE_1)
	s_mov_b32 s2, exec_lo
	s_waitcnt lgkmcnt(0)
	s_waitcnt_vscnt null, 0x0
	s_barrier
	buffer_gl0_inv
	v_cmpx_lt_i32_e32 24, v40
	s_cbranch_execz .LBB124_623
; %bb.621:
	scratch_load_b128 v[4:7], off, off offset:384
	s_mov_b32 s3, 0
	s_waitcnt vmcnt(0)
	v_mul_f64 v[8:9], v[2:3], v[6:7]
	v_mul_f64 v[6:7], v[0:1], v[6:7]
	s_delay_alu instid0(VALU_DEP_2) | instskip(NEXT) | instid1(VALU_DEP_2)
	v_fma_f64 v[0:1], v[0:1], v[4:5], -v[8:9]
	v_fma_f64 v[2:3], v[2:3], v[4:5], v[6:7]
	v_add3_u32 v4, v38, 0, 0x190
	scratch_store_b128 off, v[0:3], off offset:384
	s_set_inst_prefetch_distance 0x1
	.p2align	6
.LBB124_622:                            ; =>This Inner Loop Header: Depth=1
	v_add_nc_u32_e64 v5, s3, 0
	v_add_nc_u32_e32 v17, s3, v4
	s_add_i32 s3, s3, 32
	s_delay_alu instid0(SALU_CYCLE_1) | instskip(NEXT) | instid1(VALU_DEP_2)
	s_cmpk_lg_i32 s3, 0x260
	v_add_nc_u32_e32 v19, 0x190, v5
	v_add_nc_u32_e32 v47, 0x1a0, v5
	s_clause 0x1
	scratch_load_b128 v[5:8], v19, off
	scratch_load_b128 v[9:12], v47, off
	ds_load_2addr_b64 v[13:16], v17 offset1:1
	ds_load_2addr_b64 v[41:44], v17 offset0:2 offset1:3
	s_waitcnt lgkmcnt(1)
	v_mul_f64 v[17:18], v[15:16], v[2:3]
	v_mul_f64 v[45:46], v[13:14], v[2:3]
	s_waitcnt lgkmcnt(0)
	v_mul_f64 v[49:50], v[43:44], v[2:3]
	v_mul_f64 v[53:54], v[41:42], v[2:3]
	s_delay_alu instid0(VALU_DEP_4) | instskip(NEXT) | instid1(VALU_DEP_4)
	v_fma_f64 v[13:14], v[13:14], v[0:1], -v[17:18]
	v_fma_f64 v[15:16], v[15:16], v[0:1], v[45:46]
	s_delay_alu instid0(VALU_DEP_4) | instskip(NEXT) | instid1(VALU_DEP_4)
	v_fma_f64 v[17:18], v[41:42], v[0:1], -v[49:50]
	v_fma_f64 v[41:42], v[43:44], v[0:1], v[53:54]
	s_waitcnt vmcnt(1)
	s_delay_alu instid0(VALU_DEP_4) | instskip(NEXT) | instid1(VALU_DEP_4)
	v_add_f64 v[5:6], v[5:6], -v[13:14]
	v_add_f64 v[7:8], v[7:8], -v[15:16]
	s_waitcnt vmcnt(0)
	s_delay_alu instid0(VALU_DEP_4) | instskip(NEXT) | instid1(VALU_DEP_4)
	v_add_f64 v[9:10], v[9:10], -v[17:18]
	v_add_f64 v[11:12], v[11:12], -v[41:42]
	s_clause 0x1
	scratch_store_b128 v19, v[5:8], off
	scratch_store_b128 v47, v[9:12], off
	s_cbranch_scc1 .LBB124_622
.LBB124_623:
	s_set_inst_prefetch_distance 0x2
	s_or_b32 exec_lo, exec_lo, s2
	s_waitcnt_vscnt null, 0x0
	s_barrier
	buffer_gl0_inv
	scratch_load_b128 v[0:3], v106, off
	v_lshl_add_u32 v4, v40, 4, v20
	s_cmp_lt_i32 s5, 27
	s_waitcnt vmcnt(0)
	ds_store_2addr_b64 v4, v[0:1], v[2:3] offset1:1
	s_waitcnt lgkmcnt(0)
	s_barrier
	buffer_gl0_inv
	ds_load_2addr_b64 v[0:3], v20 offset0:50 offset1:51
	v_mov_b32_e32 v4, 25
	s_cbranch_scc1 .LBB124_626
; %bb.624:
	v_add3_u32 v5, v38, 0, 0x1a0
	v_mov_b32_e32 v4, 25
	s_mov_b32 s6, 26
	s_set_inst_prefetch_distance 0x1
	.p2align	6
.LBB124_625:                            ; =>This Inner Loop Header: Depth=1
	ds_load_2addr_b64 v[6:9], v5 offset1:1
	s_waitcnt lgkmcnt(1)
	v_cmp_gt_f64_e32 vcc_lo, 0, v[0:1]
	v_xor_b32_e32 v10, 0x80000000, v1
	v_cmp_gt_f64_e64 s2, 0, v[2:3]
	v_xor_b32_e32 v12, 0x80000000, v3
	v_add_nc_u32_e32 v5, 16, v5
	s_waitcnt lgkmcnt(0)
	v_cmp_gt_f64_e64 s3, 0, v[6:7]
	v_mov_b32_e32 v14, v6
	v_dual_mov_b32 v16, v8 :: v_dual_cndmask_b32 v11, v1, v10
	v_xor_b32_e32 v10, 0x80000000, v7
	v_cndmask_b32_e64 v13, v3, v12, s2
	v_xor_b32_e32 v12, 0x80000000, v9
	s_delay_alu instid0(VALU_DEP_3) | instskip(SKIP_2) | instid1(VALU_DEP_2)
	v_cndmask_b32_e64 v15, v7, v10, s3
	v_cmp_gt_f64_e64 s3, 0, v[8:9]
	v_cndmask_b32_e32 v10, v0, v0, vcc_lo
	v_cndmask_b32_e64 v17, v9, v12, s3
	v_cndmask_b32_e64 v12, v2, v2, s2
	s_delay_alu instid0(VALU_DEP_2) | instskip(NEXT) | instid1(VALU_DEP_2)
	v_add_f64 v[14:15], v[14:15], v[16:17]
	v_add_f64 v[10:11], v[10:11], v[12:13]
	s_delay_alu instid0(VALU_DEP_1)
	v_cmp_lt_f64_e32 vcc_lo, v[10:11], v[14:15]
	v_cndmask_b32_e32 v3, v3, v9, vcc_lo
	v_dual_cndmask_b32 v1, v1, v7 :: v_dual_cndmask_b32 v0, v0, v6
	v_cndmask_b32_e32 v2, v2, v8, vcc_lo
	v_cndmask_b32_e64 v4, v4, s6, vcc_lo
	s_add_i32 s6, s6, 1
	s_delay_alu instid0(SALU_CYCLE_1)
	s_cmp_lg_u32 s5, s6
	s_cbranch_scc1 .LBB124_625
.LBB124_626:
	s_set_inst_prefetch_distance 0x2
	s_waitcnt lgkmcnt(0)
	v_cmp_eq_f64_e32 vcc_lo, 0, v[0:1]
	v_cmp_eq_f64_e64 s2, 0, v[2:3]
	s_delay_alu instid0(VALU_DEP_1) | instskip(NEXT) | instid1(SALU_CYCLE_1)
	s_and_b32 s2, vcc_lo, s2
	s_and_saveexec_b32 s3, s2
	s_delay_alu instid0(SALU_CYCLE_1)
	s_xor_b32 s2, exec_lo, s3
; %bb.627:
	v_cmp_ne_u32_e32 vcc_lo, 0, v37
	v_cndmask_b32_e32 v37, 26, v37, vcc_lo
; %bb.628:
	s_and_not1_saveexec_b32 s3, s2
	s_cbranch_execz .LBB124_634
; %bb.629:
	v_cmp_gt_f64_e32 vcc_lo, 0, v[0:1]
	v_cmp_gt_f64_e64 s2, 0, v[2:3]
	v_xor_b32_e32 v5, 0x80000000, v1
	v_xor_b32_e32 v7, 0x80000000, v3
	s_delay_alu instid0(VALU_DEP_2) | instskip(NEXT) | instid1(VALU_DEP_2)
	v_dual_cndmask_b32 v6, v1, v5 :: v_dual_cndmask_b32 v5, v0, v0
	v_cndmask_b32_e64 v8, v3, v7, s2
	v_cndmask_b32_e64 v7, v2, v2, s2
	s_mov_b32 s2, exec_lo
	s_delay_alu instid0(VALU_DEP_1)
	v_cmpx_ngt_f64_e32 v[5:6], v[7:8]
	s_xor_b32 s2, exec_lo, s2
	s_cbranch_execz .LBB124_631
; %bb.630:
	v_div_scale_f64 v[5:6], null, v[2:3], v[2:3], v[0:1]
	v_div_scale_f64 v[11:12], vcc_lo, v[0:1], v[2:3], v[0:1]
	s_delay_alu instid0(VALU_DEP_2) | instskip(SKIP_2) | instid1(VALU_DEP_1)
	v_rcp_f64_e32 v[7:8], v[5:6]
	s_waitcnt_depctr 0xfff
	v_fma_f64 v[9:10], -v[5:6], v[7:8], 1.0
	v_fma_f64 v[7:8], v[7:8], v[9:10], v[7:8]
	s_delay_alu instid0(VALU_DEP_1) | instskip(NEXT) | instid1(VALU_DEP_1)
	v_fma_f64 v[9:10], -v[5:6], v[7:8], 1.0
	v_fma_f64 v[7:8], v[7:8], v[9:10], v[7:8]
	s_delay_alu instid0(VALU_DEP_1) | instskip(NEXT) | instid1(VALU_DEP_1)
	v_mul_f64 v[9:10], v[11:12], v[7:8]
	v_fma_f64 v[5:6], -v[5:6], v[9:10], v[11:12]
	s_delay_alu instid0(VALU_DEP_1) | instskip(NEXT) | instid1(VALU_DEP_1)
	v_div_fmas_f64 v[5:6], v[5:6], v[7:8], v[9:10]
	v_div_fixup_f64 v[5:6], v[5:6], v[2:3], v[0:1]
	s_delay_alu instid0(VALU_DEP_1) | instskip(NEXT) | instid1(VALU_DEP_1)
	v_fma_f64 v[0:1], v[0:1], v[5:6], v[2:3]
	v_div_scale_f64 v[2:3], null, v[0:1], v[0:1], 1.0
	s_delay_alu instid0(VALU_DEP_1) | instskip(SKIP_2) | instid1(VALU_DEP_1)
	v_rcp_f64_e32 v[7:8], v[2:3]
	s_waitcnt_depctr 0xfff
	v_fma_f64 v[9:10], -v[2:3], v[7:8], 1.0
	v_fma_f64 v[7:8], v[7:8], v[9:10], v[7:8]
	s_delay_alu instid0(VALU_DEP_1) | instskip(NEXT) | instid1(VALU_DEP_1)
	v_fma_f64 v[9:10], -v[2:3], v[7:8], 1.0
	v_fma_f64 v[7:8], v[7:8], v[9:10], v[7:8]
	v_div_scale_f64 v[9:10], vcc_lo, 1.0, v[0:1], 1.0
	s_delay_alu instid0(VALU_DEP_1) | instskip(NEXT) | instid1(VALU_DEP_1)
	v_mul_f64 v[11:12], v[9:10], v[7:8]
	v_fma_f64 v[2:3], -v[2:3], v[11:12], v[9:10]
	s_delay_alu instid0(VALU_DEP_1) | instskip(NEXT) | instid1(VALU_DEP_1)
	v_div_fmas_f64 v[2:3], v[2:3], v[7:8], v[11:12]
	v_div_fixup_f64 v[2:3], v[2:3], v[0:1], 1.0
	s_delay_alu instid0(VALU_DEP_1)
	v_mul_f64 v[0:1], v[5:6], v[2:3]
	v_xor_b32_e32 v3, 0x80000000, v3
.LBB124_631:
	s_and_not1_saveexec_b32 s2, s2
	s_cbranch_execz .LBB124_633
; %bb.632:
	s_delay_alu instid0(VALU_DEP_1) | instskip(SKIP_1) | instid1(VALU_DEP_2)
	v_div_scale_f64 v[5:6], null, v[0:1], v[0:1], v[2:3]
	v_div_scale_f64 v[11:12], vcc_lo, v[2:3], v[0:1], v[2:3]
	v_rcp_f64_e32 v[7:8], v[5:6]
	s_waitcnt_depctr 0xfff
	v_fma_f64 v[9:10], -v[5:6], v[7:8], 1.0
	s_delay_alu instid0(VALU_DEP_1) | instskip(NEXT) | instid1(VALU_DEP_1)
	v_fma_f64 v[7:8], v[7:8], v[9:10], v[7:8]
	v_fma_f64 v[9:10], -v[5:6], v[7:8], 1.0
	s_delay_alu instid0(VALU_DEP_1) | instskip(NEXT) | instid1(VALU_DEP_1)
	v_fma_f64 v[7:8], v[7:8], v[9:10], v[7:8]
	v_mul_f64 v[9:10], v[11:12], v[7:8]
	s_delay_alu instid0(VALU_DEP_1) | instskip(NEXT) | instid1(VALU_DEP_1)
	v_fma_f64 v[5:6], -v[5:6], v[9:10], v[11:12]
	v_div_fmas_f64 v[5:6], v[5:6], v[7:8], v[9:10]
	s_delay_alu instid0(VALU_DEP_1) | instskip(NEXT) | instid1(VALU_DEP_1)
	v_div_fixup_f64 v[5:6], v[5:6], v[0:1], v[2:3]
	v_fma_f64 v[0:1], v[2:3], v[5:6], v[0:1]
	s_delay_alu instid0(VALU_DEP_1) | instskip(NEXT) | instid1(VALU_DEP_1)
	v_div_scale_f64 v[2:3], null, v[0:1], v[0:1], 1.0
	v_rcp_f64_e32 v[7:8], v[2:3]
	s_waitcnt_depctr 0xfff
	v_fma_f64 v[9:10], -v[2:3], v[7:8], 1.0
	s_delay_alu instid0(VALU_DEP_1) | instskip(NEXT) | instid1(VALU_DEP_1)
	v_fma_f64 v[7:8], v[7:8], v[9:10], v[7:8]
	v_fma_f64 v[9:10], -v[2:3], v[7:8], 1.0
	s_delay_alu instid0(VALU_DEP_1) | instskip(SKIP_1) | instid1(VALU_DEP_1)
	v_fma_f64 v[7:8], v[7:8], v[9:10], v[7:8]
	v_div_scale_f64 v[9:10], vcc_lo, 1.0, v[0:1], 1.0
	v_mul_f64 v[11:12], v[9:10], v[7:8]
	s_delay_alu instid0(VALU_DEP_1) | instskip(NEXT) | instid1(VALU_DEP_1)
	v_fma_f64 v[2:3], -v[2:3], v[11:12], v[9:10]
	v_div_fmas_f64 v[2:3], v[2:3], v[7:8], v[11:12]
	s_delay_alu instid0(VALU_DEP_1) | instskip(NEXT) | instid1(VALU_DEP_1)
	v_div_fixup_f64 v[0:1], v[2:3], v[0:1], 1.0
	v_mul_f64 v[2:3], v[5:6], -v[0:1]
.LBB124_633:
	s_or_b32 exec_lo, exec_lo, s2
.LBB124_634:
	s_delay_alu instid0(SALU_CYCLE_1) | instskip(NEXT) | instid1(SALU_CYCLE_1)
	s_or_b32 exec_lo, exec_lo, s3
	s_mov_b32 s2, exec_lo
	v_cmpx_ne_u32_e64 v40, v4
	s_xor_b32 s2, exec_lo, s2
	s_cbranch_execz .LBB124_640
; %bb.635:
	s_mov_b32 s3, exec_lo
	v_cmpx_eq_u32_e32 25, v40
	s_cbranch_execz .LBB124_639
; %bb.636:
	v_cmp_ne_u32_e32 vcc_lo, 25, v4
	s_xor_b32 s6, s4, -1
	s_delay_alu instid0(SALU_CYCLE_1) | instskip(NEXT) | instid1(SALU_CYCLE_1)
	s_and_b32 s7, s6, vcc_lo
	s_and_saveexec_b32 s6, s7
	s_cbranch_execz .LBB124_638
; %bb.637:
	v_ashrrev_i32_e32 v5, 31, v4
	s_delay_alu instid0(VALU_DEP_1) | instskip(NEXT) | instid1(VALU_DEP_1)
	v_lshlrev_b64 v[5:6], 2, v[4:5]
	v_add_co_u32 v5, vcc_lo, v145, v5
	s_delay_alu instid0(VALU_DEP_2)
	v_add_co_ci_u32_e32 v6, vcc_lo, v146, v6, vcc_lo
	s_clause 0x1
	flat_load_b32 v7, v[5:6]
	flat_load_b32 v8, v[145:146] offset:100
	s_waitcnt vmcnt(1) lgkmcnt(1)
	flat_store_b32 v[145:146], v7 offset:100
	s_waitcnt vmcnt(0) lgkmcnt(1)
	flat_store_b32 v[5:6], v8
.LBB124_638:
	s_or_b32 exec_lo, exec_lo, s6
	v_mov_b32_e32 v40, v4
	v_mov_b32_e32 v39, v4
.LBB124_639:
	s_or_b32 exec_lo, exec_lo, s3
.LBB124_640:
	s_and_not1_saveexec_b32 s2, s2
	s_cbranch_execz .LBB124_646
; %bb.641:
	v_add3_u32 v4, v38, 0, 0x1a0
	v_mov_b32_e32 v5, 0
	s_mov_b32 s3, 0
	s_branch .LBB124_643
.LBB124_642:                            ;   in Loop: Header=BB124_643 Depth=1
	s_and_not1_b32 vcc_lo, exec_lo, s7
	s_cbranch_vccz .LBB124_645
.LBB124_643:                            ; =>This Inner Loop Header: Depth=1
	s_delay_alu instid0(VALU_DEP_1) | instskip(SKIP_1) | instid1(VALU_DEP_2)
	v_readfirstlane_b32 s6, v5
	v_add_nc_u32_e32 v6, s3, v4
	s_add_i32 s6, s6, s3
	s_delay_alu instid0(SALU_CYCLE_1)
	s_add_i32 s7, s6, 0x1a0
	s_add_i32 s9, s6, 0x1b0
	;; [unrolled: 1-line block ×5, first 2 shown]
	s_clause 0x4
	scratch_load_b128 v[7:10], off, s7
	scratch_load_b128 v[11:14], off, s9
	;; [unrolled: 1-line block ×5, first 2 shown]
	s_mov_b32 s7, -1
	s_cmpk_eq_i32 s3, 0x200
	s_waitcnt vmcnt(4)
	ds_store_2addr_b64 v6, v[7:8], v[9:10] offset1:1
	s_waitcnt vmcnt(3)
	ds_store_2addr_b64 v6, v[11:12], v[13:14] offset0:2 offset1:3
	s_waitcnt vmcnt(2)
	ds_store_2addr_b64 v6, v[15:16], v[17:18] offset0:4 offset1:5
	;; [unrolled: 2-line block ×4, first 2 shown]
	s_cbranch_scc1 .LBB124_642
; %bb.644:                              ;   in Loop: Header=BB124_643 Depth=1
	s_add_i32 s7, s6, 0x1f0
	s_add_i32 s9, s6, 0x200
	s_addk_i32 s6, 0x210
	s_clause 0x2
	scratch_load_b128 v[7:10], off, s7
	scratch_load_b128 v[11:14], off, s9
	;; [unrolled: 1-line block ×3, first 2 shown]
	s_addk_i32 s3, 0x80
	s_mov_b32 s7, 0
	s_waitcnt vmcnt(2)
	ds_store_2addr_b64 v6, v[7:8], v[9:10] offset0:10 offset1:11
	s_waitcnt vmcnt(1)
	ds_store_2addr_b64 v6, v[11:12], v[13:14] offset0:12 offset1:13
	;; [unrolled: 2-line block ×3, first 2 shown]
	s_branch .LBB124_642
.LBB124_645:
	v_mov_b32_e32 v40, 25
.LBB124_646:
	s_or_b32 exec_lo, exec_lo, s2
	s_delay_alu instid0(SALU_CYCLE_1)
	s_mov_b32 s2, exec_lo
	s_waitcnt lgkmcnt(0)
	s_waitcnt_vscnt null, 0x0
	s_barrier
	buffer_gl0_inv
	v_cmpx_lt_i32_e32 25, v40
	s_cbranch_execz .LBB124_651
; %bb.647:
	scratch_load_b128 v[4:7], off, off offset:400
	s_mov_b32 s3, 0
	s_waitcnt vmcnt(0)
	v_mul_f64 v[8:9], v[2:3], v[6:7]
	v_mul_f64 v[6:7], v[0:1], v[6:7]
	s_delay_alu instid0(VALU_DEP_2) | instskip(NEXT) | instid1(VALU_DEP_2)
	v_fma_f64 v[0:1], v[0:1], v[4:5], -v[8:9]
	v_fma_f64 v[2:3], v[2:3], v[4:5], v[6:7]
	v_add3_u32 v4, v38, 0, 0x1a0
	v_mov_b32_e32 v5, 0
	scratch_store_b128 off, v[0:3], off offset:400
	s_branch .LBB124_649
.LBB124_648:                            ;   in Loop: Header=BB124_649 Depth=1
	s_and_not1_b32 vcc_lo, exec_lo, s7
	s_cbranch_vccz .LBB124_651
.LBB124_649:                            ; =>This Inner Loop Header: Depth=1
	v_readfirstlane_b32 s6, v5
	v_add_nc_u32_e32 v6, s3, v4
	s_mov_b32 s7, -1
	s_delay_alu instid0(VALU_DEP_2)
	s_add_i32 s6, s6, s3
	ds_load_2addr_b64 v[11:14], v6 offset1:1
	s_add_i32 s9, s6, 0x1a0
	s_cmpk_eq_i32 s3, 0x240
	scratch_load_b128 v[7:10], off, s9
	s_waitcnt lgkmcnt(0)
	v_mul_f64 v[15:16], v[13:14], v[2:3]
	v_mul_f64 v[17:18], v[11:12], v[2:3]
	s_delay_alu instid0(VALU_DEP_2) | instskip(NEXT) | instid1(VALU_DEP_2)
	v_fma_f64 v[11:12], v[11:12], v[0:1], -v[15:16]
	v_fma_f64 v[13:14], v[13:14], v[0:1], v[17:18]
	s_waitcnt vmcnt(0)
	s_delay_alu instid0(VALU_DEP_2) | instskip(NEXT) | instid1(VALU_DEP_2)
	v_add_f64 v[7:8], v[7:8], -v[11:12]
	v_add_f64 v[9:10], v[9:10], -v[13:14]
	scratch_store_b128 off, v[7:10], s9
	s_cbranch_scc1 .LBB124_648
; %bb.650:                              ;   in Loop: Header=BB124_649 Depth=1
	s_add_i32 s9, s6, 0x1b0
	s_add_i32 s12, s6, 0x1c0
	scratch_load_b128 v[7:10], off, s9
	s_addk_i32 s6, 0x1d0
	s_clause 0x1
	scratch_load_b128 v[11:14], off, s12
	scratch_load_b128 v[15:18], off, s6
	ds_load_2addr_b64 v[41:44], v6 offset0:2 offset1:3
	ds_load_2addr_b64 v[53:56], v6 offset0:4 offset1:5
	;; [unrolled: 1-line block ×3, first 2 shown]
	s_add_i32 s3, s3, 64
	s_mov_b32 s7, 0
	s_waitcnt lgkmcnt(2)
	v_mul_f64 v[45:46], v[43:44], v[2:3]
	v_mul_f64 v[49:50], v[41:42], v[2:3]
	s_waitcnt lgkmcnt(1)
	v_mul_f64 v[61:62], v[55:56], v[2:3]
	v_mul_f64 v[65:66], v[53:54], v[2:3]
	;; [unrolled: 3-line block ×3, first 2 shown]
	v_fma_f64 v[41:42], v[41:42], v[0:1], -v[45:46]
	v_fma_f64 v[43:44], v[43:44], v[0:1], v[49:50]
	v_fma_f64 v[45:46], v[53:54], v[0:1], -v[61:62]
	v_fma_f64 v[49:50], v[55:56], v[0:1], v[65:66]
	;; [unrolled: 2-line block ×3, first 2 shown]
	s_waitcnt vmcnt(2)
	v_add_f64 v[6:7], v[7:8], -v[41:42]
	v_add_f64 v[8:9], v[9:10], -v[43:44]
	s_waitcnt vmcnt(1)
	v_add_f64 v[10:11], v[11:12], -v[45:46]
	v_add_f64 v[12:13], v[13:14], -v[49:50]
	;; [unrolled: 3-line block ×3, first 2 shown]
	s_clause 0x2
	scratch_store_b128 off, v[6:9], s9
	scratch_store_b128 off, v[10:13], s12
	scratch_store_b128 off, v[14:17], s6
	s_branch .LBB124_648
.LBB124_651:
	s_or_b32 exec_lo, exec_lo, s2
	s_waitcnt_vscnt null, 0x0
	s_barrier
	buffer_gl0_inv
	scratch_load_b128 v[0:3], v105, off
	v_lshl_add_u32 v4, v40, 4, v20
	s_cmp_lt_i32 s5, 28
	s_waitcnt vmcnt(0)
	ds_store_2addr_b64 v4, v[0:1], v[2:3] offset1:1
	s_waitcnt lgkmcnt(0)
	s_barrier
	buffer_gl0_inv
	ds_load_2addr_b64 v[0:3], v20 offset0:52 offset1:53
	v_mov_b32_e32 v4, 26
	s_cbranch_scc1 .LBB124_654
; %bb.652:
	v_add3_u32 v5, v38, 0, 0x1b0
	v_mov_b32_e32 v4, 26
	s_mov_b32 s6, 27
	s_set_inst_prefetch_distance 0x1
	.p2align	6
.LBB124_653:                            ; =>This Inner Loop Header: Depth=1
	ds_load_2addr_b64 v[6:9], v5 offset1:1
	s_waitcnt lgkmcnt(1)
	v_cmp_gt_f64_e32 vcc_lo, 0, v[0:1]
	v_xor_b32_e32 v10, 0x80000000, v1
	v_cmp_gt_f64_e64 s2, 0, v[2:3]
	v_xor_b32_e32 v12, 0x80000000, v3
	v_add_nc_u32_e32 v5, 16, v5
	s_waitcnt lgkmcnt(0)
	v_cmp_gt_f64_e64 s3, 0, v[6:7]
	v_mov_b32_e32 v14, v6
	v_dual_mov_b32 v16, v8 :: v_dual_cndmask_b32 v11, v1, v10
	v_xor_b32_e32 v10, 0x80000000, v7
	v_cndmask_b32_e64 v13, v3, v12, s2
	v_xor_b32_e32 v12, 0x80000000, v9
	s_delay_alu instid0(VALU_DEP_3) | instskip(SKIP_2) | instid1(VALU_DEP_2)
	v_cndmask_b32_e64 v15, v7, v10, s3
	v_cmp_gt_f64_e64 s3, 0, v[8:9]
	v_cndmask_b32_e32 v10, v0, v0, vcc_lo
	v_cndmask_b32_e64 v17, v9, v12, s3
	v_cndmask_b32_e64 v12, v2, v2, s2
	s_delay_alu instid0(VALU_DEP_2) | instskip(NEXT) | instid1(VALU_DEP_2)
	v_add_f64 v[14:15], v[14:15], v[16:17]
	v_add_f64 v[10:11], v[10:11], v[12:13]
	s_delay_alu instid0(VALU_DEP_1)
	v_cmp_lt_f64_e32 vcc_lo, v[10:11], v[14:15]
	v_cndmask_b32_e32 v3, v3, v9, vcc_lo
	v_dual_cndmask_b32 v1, v1, v7 :: v_dual_cndmask_b32 v0, v0, v6
	v_cndmask_b32_e32 v2, v2, v8, vcc_lo
	v_cndmask_b32_e64 v4, v4, s6, vcc_lo
	s_add_i32 s6, s6, 1
	s_delay_alu instid0(SALU_CYCLE_1)
	s_cmp_lg_u32 s5, s6
	s_cbranch_scc1 .LBB124_653
.LBB124_654:
	s_set_inst_prefetch_distance 0x2
	s_waitcnt lgkmcnt(0)
	v_cmp_eq_f64_e32 vcc_lo, 0, v[0:1]
	v_cmp_eq_f64_e64 s2, 0, v[2:3]
	s_delay_alu instid0(VALU_DEP_1) | instskip(NEXT) | instid1(SALU_CYCLE_1)
	s_and_b32 s2, vcc_lo, s2
	s_and_saveexec_b32 s3, s2
	s_delay_alu instid0(SALU_CYCLE_1)
	s_xor_b32 s2, exec_lo, s3
; %bb.655:
	v_cmp_ne_u32_e32 vcc_lo, 0, v37
	v_cndmask_b32_e32 v37, 27, v37, vcc_lo
; %bb.656:
	s_and_not1_saveexec_b32 s3, s2
	s_cbranch_execz .LBB124_662
; %bb.657:
	v_cmp_gt_f64_e32 vcc_lo, 0, v[0:1]
	v_cmp_gt_f64_e64 s2, 0, v[2:3]
	v_xor_b32_e32 v5, 0x80000000, v1
	v_xor_b32_e32 v7, 0x80000000, v3
	s_delay_alu instid0(VALU_DEP_2) | instskip(NEXT) | instid1(VALU_DEP_2)
	v_dual_cndmask_b32 v6, v1, v5 :: v_dual_cndmask_b32 v5, v0, v0
	v_cndmask_b32_e64 v8, v3, v7, s2
	v_cndmask_b32_e64 v7, v2, v2, s2
	s_mov_b32 s2, exec_lo
	s_delay_alu instid0(VALU_DEP_1)
	v_cmpx_ngt_f64_e32 v[5:6], v[7:8]
	s_xor_b32 s2, exec_lo, s2
	s_cbranch_execz .LBB124_659
; %bb.658:
	v_div_scale_f64 v[5:6], null, v[2:3], v[2:3], v[0:1]
	v_div_scale_f64 v[11:12], vcc_lo, v[0:1], v[2:3], v[0:1]
	s_delay_alu instid0(VALU_DEP_2) | instskip(SKIP_2) | instid1(VALU_DEP_1)
	v_rcp_f64_e32 v[7:8], v[5:6]
	s_waitcnt_depctr 0xfff
	v_fma_f64 v[9:10], -v[5:6], v[7:8], 1.0
	v_fma_f64 v[7:8], v[7:8], v[9:10], v[7:8]
	s_delay_alu instid0(VALU_DEP_1) | instskip(NEXT) | instid1(VALU_DEP_1)
	v_fma_f64 v[9:10], -v[5:6], v[7:8], 1.0
	v_fma_f64 v[7:8], v[7:8], v[9:10], v[7:8]
	s_delay_alu instid0(VALU_DEP_1) | instskip(NEXT) | instid1(VALU_DEP_1)
	v_mul_f64 v[9:10], v[11:12], v[7:8]
	v_fma_f64 v[5:6], -v[5:6], v[9:10], v[11:12]
	s_delay_alu instid0(VALU_DEP_1) | instskip(NEXT) | instid1(VALU_DEP_1)
	v_div_fmas_f64 v[5:6], v[5:6], v[7:8], v[9:10]
	v_div_fixup_f64 v[5:6], v[5:6], v[2:3], v[0:1]
	s_delay_alu instid0(VALU_DEP_1) | instskip(NEXT) | instid1(VALU_DEP_1)
	v_fma_f64 v[0:1], v[0:1], v[5:6], v[2:3]
	v_div_scale_f64 v[2:3], null, v[0:1], v[0:1], 1.0
	s_delay_alu instid0(VALU_DEP_1) | instskip(SKIP_2) | instid1(VALU_DEP_1)
	v_rcp_f64_e32 v[7:8], v[2:3]
	s_waitcnt_depctr 0xfff
	v_fma_f64 v[9:10], -v[2:3], v[7:8], 1.0
	v_fma_f64 v[7:8], v[7:8], v[9:10], v[7:8]
	s_delay_alu instid0(VALU_DEP_1) | instskip(NEXT) | instid1(VALU_DEP_1)
	v_fma_f64 v[9:10], -v[2:3], v[7:8], 1.0
	v_fma_f64 v[7:8], v[7:8], v[9:10], v[7:8]
	v_div_scale_f64 v[9:10], vcc_lo, 1.0, v[0:1], 1.0
	s_delay_alu instid0(VALU_DEP_1) | instskip(NEXT) | instid1(VALU_DEP_1)
	v_mul_f64 v[11:12], v[9:10], v[7:8]
	v_fma_f64 v[2:3], -v[2:3], v[11:12], v[9:10]
	s_delay_alu instid0(VALU_DEP_1) | instskip(NEXT) | instid1(VALU_DEP_1)
	v_div_fmas_f64 v[2:3], v[2:3], v[7:8], v[11:12]
	v_div_fixup_f64 v[2:3], v[2:3], v[0:1], 1.0
	s_delay_alu instid0(VALU_DEP_1)
	v_mul_f64 v[0:1], v[5:6], v[2:3]
	v_xor_b32_e32 v3, 0x80000000, v3
.LBB124_659:
	s_and_not1_saveexec_b32 s2, s2
	s_cbranch_execz .LBB124_661
; %bb.660:
	s_delay_alu instid0(VALU_DEP_1) | instskip(SKIP_1) | instid1(VALU_DEP_2)
	v_div_scale_f64 v[5:6], null, v[0:1], v[0:1], v[2:3]
	v_div_scale_f64 v[11:12], vcc_lo, v[2:3], v[0:1], v[2:3]
	v_rcp_f64_e32 v[7:8], v[5:6]
	s_waitcnt_depctr 0xfff
	v_fma_f64 v[9:10], -v[5:6], v[7:8], 1.0
	s_delay_alu instid0(VALU_DEP_1) | instskip(NEXT) | instid1(VALU_DEP_1)
	v_fma_f64 v[7:8], v[7:8], v[9:10], v[7:8]
	v_fma_f64 v[9:10], -v[5:6], v[7:8], 1.0
	s_delay_alu instid0(VALU_DEP_1) | instskip(NEXT) | instid1(VALU_DEP_1)
	v_fma_f64 v[7:8], v[7:8], v[9:10], v[7:8]
	v_mul_f64 v[9:10], v[11:12], v[7:8]
	s_delay_alu instid0(VALU_DEP_1) | instskip(NEXT) | instid1(VALU_DEP_1)
	v_fma_f64 v[5:6], -v[5:6], v[9:10], v[11:12]
	v_div_fmas_f64 v[5:6], v[5:6], v[7:8], v[9:10]
	s_delay_alu instid0(VALU_DEP_1) | instskip(NEXT) | instid1(VALU_DEP_1)
	v_div_fixup_f64 v[5:6], v[5:6], v[0:1], v[2:3]
	v_fma_f64 v[0:1], v[2:3], v[5:6], v[0:1]
	s_delay_alu instid0(VALU_DEP_1) | instskip(NEXT) | instid1(VALU_DEP_1)
	v_div_scale_f64 v[2:3], null, v[0:1], v[0:1], 1.0
	v_rcp_f64_e32 v[7:8], v[2:3]
	s_waitcnt_depctr 0xfff
	v_fma_f64 v[9:10], -v[2:3], v[7:8], 1.0
	s_delay_alu instid0(VALU_DEP_1) | instskip(NEXT) | instid1(VALU_DEP_1)
	v_fma_f64 v[7:8], v[7:8], v[9:10], v[7:8]
	v_fma_f64 v[9:10], -v[2:3], v[7:8], 1.0
	s_delay_alu instid0(VALU_DEP_1) | instskip(SKIP_1) | instid1(VALU_DEP_1)
	v_fma_f64 v[7:8], v[7:8], v[9:10], v[7:8]
	v_div_scale_f64 v[9:10], vcc_lo, 1.0, v[0:1], 1.0
	v_mul_f64 v[11:12], v[9:10], v[7:8]
	s_delay_alu instid0(VALU_DEP_1) | instskip(NEXT) | instid1(VALU_DEP_1)
	v_fma_f64 v[2:3], -v[2:3], v[11:12], v[9:10]
	v_div_fmas_f64 v[2:3], v[2:3], v[7:8], v[11:12]
	s_delay_alu instid0(VALU_DEP_1) | instskip(NEXT) | instid1(VALU_DEP_1)
	v_div_fixup_f64 v[0:1], v[2:3], v[0:1], 1.0
	v_mul_f64 v[2:3], v[5:6], -v[0:1]
.LBB124_661:
	s_or_b32 exec_lo, exec_lo, s2
.LBB124_662:
	s_delay_alu instid0(SALU_CYCLE_1) | instskip(NEXT) | instid1(SALU_CYCLE_1)
	s_or_b32 exec_lo, exec_lo, s3
	s_mov_b32 s2, exec_lo
	v_cmpx_ne_u32_e64 v40, v4
	s_xor_b32 s2, exec_lo, s2
	s_cbranch_execz .LBB124_668
; %bb.663:
	s_mov_b32 s3, exec_lo
	v_cmpx_eq_u32_e32 26, v40
	s_cbranch_execz .LBB124_667
; %bb.664:
	v_cmp_ne_u32_e32 vcc_lo, 26, v4
	s_xor_b32 s6, s4, -1
	s_delay_alu instid0(SALU_CYCLE_1) | instskip(NEXT) | instid1(SALU_CYCLE_1)
	s_and_b32 s7, s6, vcc_lo
	s_and_saveexec_b32 s6, s7
	s_cbranch_execz .LBB124_666
; %bb.665:
	v_ashrrev_i32_e32 v5, 31, v4
	s_delay_alu instid0(VALU_DEP_1) | instskip(NEXT) | instid1(VALU_DEP_1)
	v_lshlrev_b64 v[5:6], 2, v[4:5]
	v_add_co_u32 v5, vcc_lo, v145, v5
	s_delay_alu instid0(VALU_DEP_2)
	v_add_co_ci_u32_e32 v6, vcc_lo, v146, v6, vcc_lo
	s_clause 0x1
	flat_load_b32 v7, v[5:6]
	flat_load_b32 v8, v[145:146] offset:104
	s_waitcnt vmcnt(1) lgkmcnt(1)
	flat_store_b32 v[145:146], v7 offset:104
	s_waitcnt vmcnt(0) lgkmcnt(1)
	flat_store_b32 v[5:6], v8
.LBB124_666:
	s_or_b32 exec_lo, exec_lo, s6
	v_mov_b32_e32 v40, v4
	v_mov_b32_e32 v39, v4
.LBB124_667:
	s_or_b32 exec_lo, exec_lo, s3
.LBB124_668:
	s_and_not1_saveexec_b32 s2, s2
	s_cbranch_execz .LBB124_670
; %bb.669:
	s_clause 0x1f
	scratch_load_b128 v[4:7], v108, off
	scratch_load_b128 v[8:11], v112, off
	;; [unrolled: 1-line block ×32, first 2 shown]
	s_clause 0x3
	scratch_load_b128 v[97:100], v255, off
	scratch_load_b128 v[93:96], v153, off
	;; [unrolled: 1-line block ×4, first 2 shown]
	v_mov_b32_e32 v40, 26
	s_waitcnt vmcnt(35)
	ds_store_2addr_b64 v20, v[4:5], v[6:7] offset0:54 offset1:55
	s_waitcnt vmcnt(34)
	ds_store_2addr_b64 v20, v[8:9], v[10:11] offset0:56 offset1:57
	;; [unrolled: 2-line block ×36, first 2 shown]
.LBB124_670:
	s_or_b32 exec_lo, exec_lo, s2
	s_delay_alu instid0(SALU_CYCLE_1)
	s_mov_b32 s2, exec_lo
	s_waitcnt lgkmcnt(0)
	s_waitcnt_vscnt null, 0x0
	s_barrier
	buffer_gl0_inv
	v_cmpx_lt_i32_e32 26, v40
	s_cbranch_execz .LBB124_673
; %bb.671:
	scratch_load_b128 v[4:7], off, off offset:416
	s_mov_b32 s3, 0
	s_waitcnt vmcnt(0)
	v_mul_f64 v[8:9], v[2:3], v[6:7]
	v_mul_f64 v[6:7], v[0:1], v[6:7]
	s_delay_alu instid0(VALU_DEP_2) | instskip(NEXT) | instid1(VALU_DEP_2)
	v_fma_f64 v[0:1], v[0:1], v[4:5], -v[8:9]
	v_fma_f64 v[2:3], v[2:3], v[4:5], v[6:7]
	v_add3_u32 v4, v38, 0, 0x1b0
	v_mov_b32_e32 v5, 0
	scratch_store_b128 off, v[0:3], off offset:416
.LBB124_672:                            ; =>This Inner Loop Header: Depth=1
	v_readfirstlane_b32 s6, v5
	v_add_nc_u32_e32 v18, s3, v4
	s_delay_alu instid0(VALU_DEP_2)
	s_add_i32 s7, s6, s3
	s_addk_i32 s3, 0x60
	s_add_i32 s6, s7, 0x1b0
	s_add_i32 s9, s7, 0x1c0
	;; [unrolled: 1-line block ×5, first 2 shown]
	s_addk_i32 s7, 0x200
	s_clause 0x5
	scratch_load_b128 v[6:9], off, s6
	scratch_load_b128 v[10:13], off, s9
	;; [unrolled: 1-line block ×6, first 2 shown]
	ds_load_2addr_b64 v[65:68], v18 offset1:1
	ds_load_2addr_b64 v[73:76], v18 offset0:2 offset1:3
	ds_load_2addr_b64 v[81:84], v18 offset0:4 offset1:5
	;; [unrolled: 1-line block ×5, first 2 shown]
	s_cmpk_lg_i32 s3, 0x240
	s_waitcnt lgkmcnt(5)
	v_mul_f64 v[18:19], v[67:68], v[2:3]
	v_mul_f64 v[45:46], v[65:66], v[2:3]
	s_waitcnt lgkmcnt(4)
	v_mul_f64 v[49:50], v[75:76], v[2:3]
	v_mul_f64 v[61:62], v[73:74], v[2:3]
	;; [unrolled: 3-line block ×6, first 2 shown]
	v_fma_f64 v[18:19], v[65:66], v[0:1], -v[18:19]
	v_fma_f64 v[45:46], v[67:68], v[0:1], v[45:46]
	v_fma_f64 v[49:50], v[73:74], v[0:1], -v[49:50]
	v_fma_f64 v[61:62], v[75:76], v[0:1], v[61:62]
	v_fma_f64 v[65:66], v[81:82], v[0:1], -v[69:70]
	v_fma_f64 v[67:68], v[83:84], v[0:1], v[77:78]
	v_fma_f64 v[69:70], v[85:86], v[0:1], -v[97:98]
	v_fma_f64 v[73:74], v[87:88], v[0:1], v[99:100]
	v_fma_f64 v[75:76], v[89:90], v[0:1], -v[101:102]
	v_fma_f64 v[77:78], v[91:92], v[0:1], v[103:104]
	v_fma_f64 v[81:82], v[93:94], v[0:1], -v[113:114]
	v_fma_f64 v[83:84], v[95:96], v[0:1], v[117:118]
	s_waitcnt vmcnt(5)
	v_add_f64 v[6:7], v[6:7], -v[18:19]
	v_add_f64 v[8:9], v[8:9], -v[45:46]
	s_waitcnt vmcnt(4)
	v_add_f64 v[10:11], v[10:11], -v[49:50]
	v_add_f64 v[12:13], v[12:13], -v[61:62]
	;; [unrolled: 3-line block ×6, first 2 shown]
	s_clause 0x5
	scratch_store_b128 off, v[6:9], s6
	scratch_store_b128 off, v[10:13], s9
	;; [unrolled: 1-line block ×6, first 2 shown]
	s_cbranch_scc1 .LBB124_672
.LBB124_673:
	s_or_b32 exec_lo, exec_lo, s2
	s_waitcnt_vscnt null, 0x0
	s_barrier
	buffer_gl0_inv
	scratch_load_b128 v[0:3], v108, off
	v_lshl_add_u32 v4, v40, 4, v20
	s_cmp_lt_i32 s5, 29
	s_waitcnt vmcnt(0)
	ds_store_2addr_b64 v4, v[0:1], v[2:3] offset1:1
	s_waitcnt lgkmcnt(0)
	s_barrier
	buffer_gl0_inv
	ds_load_2addr_b64 v[0:3], v20 offset0:54 offset1:55
	v_mov_b32_e32 v4, 27
	s_cbranch_scc1 .LBB124_676
; %bb.674:
	v_add3_u32 v5, v38, 0, 0x1c0
	v_mov_b32_e32 v4, 27
	s_mov_b32 s6, 28
	s_set_inst_prefetch_distance 0x1
	.p2align	6
.LBB124_675:                            ; =>This Inner Loop Header: Depth=1
	ds_load_2addr_b64 v[6:9], v5 offset1:1
	s_waitcnt lgkmcnt(1)
	v_cmp_gt_f64_e32 vcc_lo, 0, v[0:1]
	v_xor_b32_e32 v10, 0x80000000, v1
	v_cmp_gt_f64_e64 s2, 0, v[2:3]
	v_xor_b32_e32 v12, 0x80000000, v3
	v_add_nc_u32_e32 v5, 16, v5
	s_waitcnt lgkmcnt(0)
	v_cmp_gt_f64_e64 s3, 0, v[6:7]
	v_mov_b32_e32 v14, v6
	v_dual_mov_b32 v16, v8 :: v_dual_cndmask_b32 v11, v1, v10
	v_xor_b32_e32 v10, 0x80000000, v7
	v_cndmask_b32_e64 v13, v3, v12, s2
	v_xor_b32_e32 v12, 0x80000000, v9
	s_delay_alu instid0(VALU_DEP_3) | instskip(SKIP_2) | instid1(VALU_DEP_2)
	v_cndmask_b32_e64 v15, v7, v10, s3
	v_cmp_gt_f64_e64 s3, 0, v[8:9]
	v_cndmask_b32_e32 v10, v0, v0, vcc_lo
	v_cndmask_b32_e64 v17, v9, v12, s3
	v_cndmask_b32_e64 v12, v2, v2, s2
	s_delay_alu instid0(VALU_DEP_2) | instskip(NEXT) | instid1(VALU_DEP_2)
	v_add_f64 v[14:15], v[14:15], v[16:17]
	v_add_f64 v[10:11], v[10:11], v[12:13]
	s_delay_alu instid0(VALU_DEP_1)
	v_cmp_lt_f64_e32 vcc_lo, v[10:11], v[14:15]
	v_cndmask_b32_e32 v3, v3, v9, vcc_lo
	v_dual_cndmask_b32 v1, v1, v7 :: v_dual_cndmask_b32 v0, v0, v6
	v_cndmask_b32_e32 v2, v2, v8, vcc_lo
	v_cndmask_b32_e64 v4, v4, s6, vcc_lo
	s_add_i32 s6, s6, 1
	s_delay_alu instid0(SALU_CYCLE_1)
	s_cmp_lg_u32 s5, s6
	s_cbranch_scc1 .LBB124_675
.LBB124_676:
	s_set_inst_prefetch_distance 0x2
	s_waitcnt lgkmcnt(0)
	v_cmp_eq_f64_e32 vcc_lo, 0, v[0:1]
	v_cmp_eq_f64_e64 s2, 0, v[2:3]
	s_delay_alu instid0(VALU_DEP_1) | instskip(NEXT) | instid1(SALU_CYCLE_1)
	s_and_b32 s2, vcc_lo, s2
	s_and_saveexec_b32 s3, s2
	s_delay_alu instid0(SALU_CYCLE_1)
	s_xor_b32 s2, exec_lo, s3
; %bb.677:
	v_cmp_ne_u32_e32 vcc_lo, 0, v37
	v_cndmask_b32_e32 v37, 28, v37, vcc_lo
; %bb.678:
	s_and_not1_saveexec_b32 s3, s2
	s_cbranch_execz .LBB124_684
; %bb.679:
	v_cmp_gt_f64_e32 vcc_lo, 0, v[0:1]
	v_cmp_gt_f64_e64 s2, 0, v[2:3]
	v_xor_b32_e32 v5, 0x80000000, v1
	v_xor_b32_e32 v7, 0x80000000, v3
	s_delay_alu instid0(VALU_DEP_2) | instskip(NEXT) | instid1(VALU_DEP_2)
	v_dual_cndmask_b32 v6, v1, v5 :: v_dual_cndmask_b32 v5, v0, v0
	v_cndmask_b32_e64 v8, v3, v7, s2
	v_cndmask_b32_e64 v7, v2, v2, s2
	s_mov_b32 s2, exec_lo
	s_delay_alu instid0(VALU_DEP_1)
	v_cmpx_ngt_f64_e32 v[5:6], v[7:8]
	s_xor_b32 s2, exec_lo, s2
	s_cbranch_execz .LBB124_681
; %bb.680:
	v_div_scale_f64 v[5:6], null, v[2:3], v[2:3], v[0:1]
	v_div_scale_f64 v[11:12], vcc_lo, v[0:1], v[2:3], v[0:1]
	s_delay_alu instid0(VALU_DEP_2) | instskip(SKIP_2) | instid1(VALU_DEP_1)
	v_rcp_f64_e32 v[7:8], v[5:6]
	s_waitcnt_depctr 0xfff
	v_fma_f64 v[9:10], -v[5:6], v[7:8], 1.0
	v_fma_f64 v[7:8], v[7:8], v[9:10], v[7:8]
	s_delay_alu instid0(VALU_DEP_1) | instskip(NEXT) | instid1(VALU_DEP_1)
	v_fma_f64 v[9:10], -v[5:6], v[7:8], 1.0
	v_fma_f64 v[7:8], v[7:8], v[9:10], v[7:8]
	s_delay_alu instid0(VALU_DEP_1) | instskip(NEXT) | instid1(VALU_DEP_1)
	v_mul_f64 v[9:10], v[11:12], v[7:8]
	v_fma_f64 v[5:6], -v[5:6], v[9:10], v[11:12]
	s_delay_alu instid0(VALU_DEP_1) | instskip(NEXT) | instid1(VALU_DEP_1)
	v_div_fmas_f64 v[5:6], v[5:6], v[7:8], v[9:10]
	v_div_fixup_f64 v[5:6], v[5:6], v[2:3], v[0:1]
	s_delay_alu instid0(VALU_DEP_1) | instskip(NEXT) | instid1(VALU_DEP_1)
	v_fma_f64 v[0:1], v[0:1], v[5:6], v[2:3]
	v_div_scale_f64 v[2:3], null, v[0:1], v[0:1], 1.0
	s_delay_alu instid0(VALU_DEP_1) | instskip(SKIP_2) | instid1(VALU_DEP_1)
	v_rcp_f64_e32 v[7:8], v[2:3]
	s_waitcnt_depctr 0xfff
	v_fma_f64 v[9:10], -v[2:3], v[7:8], 1.0
	v_fma_f64 v[7:8], v[7:8], v[9:10], v[7:8]
	s_delay_alu instid0(VALU_DEP_1) | instskip(NEXT) | instid1(VALU_DEP_1)
	v_fma_f64 v[9:10], -v[2:3], v[7:8], 1.0
	v_fma_f64 v[7:8], v[7:8], v[9:10], v[7:8]
	v_div_scale_f64 v[9:10], vcc_lo, 1.0, v[0:1], 1.0
	s_delay_alu instid0(VALU_DEP_1) | instskip(NEXT) | instid1(VALU_DEP_1)
	v_mul_f64 v[11:12], v[9:10], v[7:8]
	v_fma_f64 v[2:3], -v[2:3], v[11:12], v[9:10]
	s_delay_alu instid0(VALU_DEP_1) | instskip(NEXT) | instid1(VALU_DEP_1)
	v_div_fmas_f64 v[2:3], v[2:3], v[7:8], v[11:12]
	v_div_fixup_f64 v[2:3], v[2:3], v[0:1], 1.0
	s_delay_alu instid0(VALU_DEP_1)
	v_mul_f64 v[0:1], v[5:6], v[2:3]
	v_xor_b32_e32 v3, 0x80000000, v3
.LBB124_681:
	s_and_not1_saveexec_b32 s2, s2
	s_cbranch_execz .LBB124_683
; %bb.682:
	s_delay_alu instid0(VALU_DEP_1) | instskip(SKIP_1) | instid1(VALU_DEP_2)
	v_div_scale_f64 v[5:6], null, v[0:1], v[0:1], v[2:3]
	v_div_scale_f64 v[11:12], vcc_lo, v[2:3], v[0:1], v[2:3]
	v_rcp_f64_e32 v[7:8], v[5:6]
	s_waitcnt_depctr 0xfff
	v_fma_f64 v[9:10], -v[5:6], v[7:8], 1.0
	s_delay_alu instid0(VALU_DEP_1) | instskip(NEXT) | instid1(VALU_DEP_1)
	v_fma_f64 v[7:8], v[7:8], v[9:10], v[7:8]
	v_fma_f64 v[9:10], -v[5:6], v[7:8], 1.0
	s_delay_alu instid0(VALU_DEP_1) | instskip(NEXT) | instid1(VALU_DEP_1)
	v_fma_f64 v[7:8], v[7:8], v[9:10], v[7:8]
	v_mul_f64 v[9:10], v[11:12], v[7:8]
	s_delay_alu instid0(VALU_DEP_1) | instskip(NEXT) | instid1(VALU_DEP_1)
	v_fma_f64 v[5:6], -v[5:6], v[9:10], v[11:12]
	v_div_fmas_f64 v[5:6], v[5:6], v[7:8], v[9:10]
	s_delay_alu instid0(VALU_DEP_1) | instskip(NEXT) | instid1(VALU_DEP_1)
	v_div_fixup_f64 v[5:6], v[5:6], v[0:1], v[2:3]
	v_fma_f64 v[0:1], v[2:3], v[5:6], v[0:1]
	s_delay_alu instid0(VALU_DEP_1) | instskip(NEXT) | instid1(VALU_DEP_1)
	v_div_scale_f64 v[2:3], null, v[0:1], v[0:1], 1.0
	v_rcp_f64_e32 v[7:8], v[2:3]
	s_waitcnt_depctr 0xfff
	v_fma_f64 v[9:10], -v[2:3], v[7:8], 1.0
	s_delay_alu instid0(VALU_DEP_1) | instskip(NEXT) | instid1(VALU_DEP_1)
	v_fma_f64 v[7:8], v[7:8], v[9:10], v[7:8]
	v_fma_f64 v[9:10], -v[2:3], v[7:8], 1.0
	s_delay_alu instid0(VALU_DEP_1) | instskip(SKIP_1) | instid1(VALU_DEP_1)
	v_fma_f64 v[7:8], v[7:8], v[9:10], v[7:8]
	v_div_scale_f64 v[9:10], vcc_lo, 1.0, v[0:1], 1.0
	v_mul_f64 v[11:12], v[9:10], v[7:8]
	s_delay_alu instid0(VALU_DEP_1) | instskip(NEXT) | instid1(VALU_DEP_1)
	v_fma_f64 v[2:3], -v[2:3], v[11:12], v[9:10]
	v_div_fmas_f64 v[2:3], v[2:3], v[7:8], v[11:12]
	s_delay_alu instid0(VALU_DEP_1) | instskip(NEXT) | instid1(VALU_DEP_1)
	v_div_fixup_f64 v[0:1], v[2:3], v[0:1], 1.0
	v_mul_f64 v[2:3], v[5:6], -v[0:1]
.LBB124_683:
	s_or_b32 exec_lo, exec_lo, s2
.LBB124_684:
	s_delay_alu instid0(SALU_CYCLE_1) | instskip(NEXT) | instid1(SALU_CYCLE_1)
	s_or_b32 exec_lo, exec_lo, s3
	s_mov_b32 s2, exec_lo
	v_cmpx_ne_u32_e64 v40, v4
	s_xor_b32 s2, exec_lo, s2
	s_cbranch_execz .LBB124_690
; %bb.685:
	s_mov_b32 s3, exec_lo
	v_cmpx_eq_u32_e32 27, v40
	s_cbranch_execz .LBB124_689
; %bb.686:
	v_cmp_ne_u32_e32 vcc_lo, 27, v4
	s_xor_b32 s6, s4, -1
	s_delay_alu instid0(SALU_CYCLE_1) | instskip(NEXT) | instid1(SALU_CYCLE_1)
	s_and_b32 s7, s6, vcc_lo
	s_and_saveexec_b32 s6, s7
	s_cbranch_execz .LBB124_688
; %bb.687:
	v_ashrrev_i32_e32 v5, 31, v4
	s_delay_alu instid0(VALU_DEP_1) | instskip(NEXT) | instid1(VALU_DEP_1)
	v_lshlrev_b64 v[5:6], 2, v[4:5]
	v_add_co_u32 v5, vcc_lo, v145, v5
	s_delay_alu instid0(VALU_DEP_2)
	v_add_co_ci_u32_e32 v6, vcc_lo, v146, v6, vcc_lo
	s_clause 0x1
	flat_load_b32 v7, v[5:6]
	flat_load_b32 v8, v[145:146] offset:108
	s_waitcnt vmcnt(1) lgkmcnt(1)
	flat_store_b32 v[145:146], v7 offset:108
	s_waitcnt vmcnt(0) lgkmcnt(1)
	flat_store_b32 v[5:6], v8
.LBB124_688:
	s_or_b32 exec_lo, exec_lo, s6
	v_mov_b32_e32 v40, v4
	v_mov_b32_e32 v39, v4
.LBB124_689:
	s_or_b32 exec_lo, exec_lo, s3
.LBB124_690:
	s_and_not1_saveexec_b32 s2, s2
	s_cbranch_execz .LBB124_692
; %bb.691:
	s_clause 0x1f
	scratch_load_b128 v[4:7], v112, off
	scratch_load_b128 v[8:11], v116, off
	;; [unrolled: 1-line block ×32, first 2 shown]
	s_clause 0x2
	scratch_load_b128 v[236:239], v153, off
	scratch_load_b128 v[240:243], v162, off
	;; [unrolled: 1-line block ×3, first 2 shown]
	v_mov_b32_e32 v40, 27
	s_waitcnt vmcnt(34)
	ds_store_2addr_b64 v20, v[4:5], v[6:7] offset0:56 offset1:57
	s_waitcnt vmcnt(33)
	ds_store_2addr_b64 v20, v[8:9], v[10:11] offset0:58 offset1:59
	;; [unrolled: 2-line block ×35, first 2 shown]
.LBB124_692:
	s_or_b32 exec_lo, exec_lo, s2
	s_delay_alu instid0(SALU_CYCLE_1)
	s_mov_b32 s2, exec_lo
	s_waitcnt lgkmcnt(0)
	s_waitcnt_vscnt null, 0x0
	s_barrier
	buffer_gl0_inv
	v_cmpx_lt_i32_e32 27, v40
	s_cbranch_execz .LBB124_695
; %bb.693:
	scratch_load_b128 v[4:7], off, off offset:432
	s_mov_b32 s3, 0
	s_waitcnt vmcnt(0)
	v_mul_f64 v[8:9], v[2:3], v[6:7]
	v_mul_f64 v[6:7], v[0:1], v[6:7]
	s_delay_alu instid0(VALU_DEP_2) | instskip(NEXT) | instid1(VALU_DEP_2)
	v_fma_f64 v[0:1], v[0:1], v[4:5], -v[8:9]
	v_fma_f64 v[2:3], v[2:3], v[4:5], v[6:7]
	v_add3_u32 v4, v38, 0, 0x1c0
	v_mov_b32_e32 v5, 0
	scratch_store_b128 off, v[0:3], off offset:432
.LBB124_694:                            ; =>This Inner Loop Header: Depth=1
	v_add_nc_u32_e32 v47, s3, v4
	v_readfirstlane_b32 s6, v5
	ds_load_2addr_b64 v[6:9], v47 offset1:1
	ds_load_2addr_b64 v[10:13], v47 offset0:2 offset1:3
	ds_load_2addr_b64 v[14:17], v47 offset0:4 offset1:5
	;; [unrolled: 1-line block ×5, first 2 shown]
	s_add_i32 s6, s6, s3
	s_addk_i32 s3, 0x70
	s_add_i32 s7, s6, 0x1c0
	s_add_i32 s9, s6, 0x1d0
	;; [unrolled: 1-line block ×6, first 2 shown]
	s_addk_i32 s6, 0x220
	s_cmpk_lg_i32 s3, 0x230
	s_waitcnt lgkmcnt(5)
	v_mul_f64 v[18:19], v[8:9], v[2:3]
	v_mul_f64 v[45:46], v[6:7], v[2:3]
	s_waitcnt lgkmcnt(4)
	v_mul_f64 v[49:50], v[12:13], v[2:3]
	v_mul_f64 v[61:62], v[10:11], v[2:3]
	;; [unrolled: 3-line block ×6, first 2 shown]
	v_fma_f64 v[18:19], v[6:7], v[0:1], -v[18:19]
	v_fma_f64 v[45:46], v[8:9], v[0:1], v[45:46]
	v_fma_f64 v[49:50], v[10:11], v[0:1], -v[49:50]
	v_fma_f64 v[61:62], v[12:13], v[0:1], v[61:62]
	;; [unrolled: 2-line block ×6, first 2 shown]
	scratch_load_b128 v[0:3], off, off offset:432
	s_clause 0x6
	scratch_load_b128 v[6:9], off, s7
	scratch_load_b128 v[10:13], off, s9
	scratch_load_b128 v[14:17], off, s12
	scratch_load_b128 v[41:44], off, s14
	scratch_load_b128 v[53:56], off, s15
	scratch_load_b128 v[57:60], off, s16
	scratch_load_b128 v[65:68], off, s6
	ds_load_2addr_b64 v[73:76], v47 offset0:12 offset1:13
	s_waitcnt vmcnt(6)
	v_add_f64 v[6:7], v[6:7], -v[18:19]
	v_add_f64 v[8:9], v[8:9], -v[45:46]
	s_waitcnt vmcnt(5)
	v_add_f64 v[10:11], v[10:11], -v[49:50]
	v_add_f64 v[12:13], v[12:13], -v[61:62]
	s_waitcnt vmcnt(4)
	v_add_f64 v[14:15], v[14:15], -v[83:84]
	s_waitcnt lgkmcnt(0)
	v_mul_f64 v[93:94], v[75:76], v[2:3]
	v_mul_f64 v[95:96], v[73:74], v[2:3]
	v_add_f64 v[16:17], v[16:17], -v[85:86]
	s_waitcnt vmcnt(3)
	v_add_f64 v[41:42], v[41:42], -v[69:70]
	v_add_f64 v[43:44], v[43:44], -v[87:88]
	s_waitcnt vmcnt(2)
	v_add_f64 v[53:54], v[53:54], -v[89:90]
	;; [unrolled: 3-line block ×3, first 2 shown]
	v_add_f64 v[59:60], v[59:60], -v[91:92]
	v_fma_f64 v[73:74], v[73:74], v[0:1], -v[93:94]
	v_fma_f64 v[75:76], v[75:76], v[0:1], v[95:96]
	s_waitcnt vmcnt(0)
	s_delay_alu instid0(VALU_DEP_2) | instskip(NEXT) | instid1(VALU_DEP_2)
	v_add_f64 v[65:66], v[65:66], -v[73:74]
	v_add_f64 v[67:68], v[67:68], -v[75:76]
	s_clause 0x6
	scratch_store_b128 off, v[6:9], s7
	scratch_store_b128 off, v[10:13], s9
	;; [unrolled: 1-line block ×7, first 2 shown]
	s_cbranch_scc1 .LBB124_694
.LBB124_695:
	s_or_b32 exec_lo, exec_lo, s2
	s_waitcnt_vscnt null, 0x0
	s_barrier
	buffer_gl0_inv
	scratch_load_b128 v[0:3], v112, off
	v_lshl_add_u32 v4, v40, 4, v20
	s_cmp_lt_i32 s5, 30
	s_waitcnt vmcnt(0)
	ds_store_2addr_b64 v4, v[0:1], v[2:3] offset1:1
	s_waitcnt lgkmcnt(0)
	s_barrier
	buffer_gl0_inv
	ds_load_2addr_b64 v[0:3], v20 offset0:56 offset1:57
	v_mov_b32_e32 v4, 28
	s_cbranch_scc1 .LBB124_698
; %bb.696:
	v_add3_u32 v5, v38, 0, 0x1d0
	v_mov_b32_e32 v4, 28
	s_mov_b32 s6, 29
	s_set_inst_prefetch_distance 0x1
	.p2align	6
.LBB124_697:                            ; =>This Inner Loop Header: Depth=1
	ds_load_2addr_b64 v[6:9], v5 offset1:1
	s_waitcnt lgkmcnt(1)
	v_cmp_gt_f64_e32 vcc_lo, 0, v[0:1]
	v_xor_b32_e32 v10, 0x80000000, v1
	v_cmp_gt_f64_e64 s2, 0, v[2:3]
	v_xor_b32_e32 v12, 0x80000000, v3
	v_add_nc_u32_e32 v5, 16, v5
	s_waitcnt lgkmcnt(0)
	v_cmp_gt_f64_e64 s3, 0, v[6:7]
	v_mov_b32_e32 v14, v6
	v_dual_mov_b32 v16, v8 :: v_dual_cndmask_b32 v11, v1, v10
	v_xor_b32_e32 v10, 0x80000000, v7
	v_cndmask_b32_e64 v13, v3, v12, s2
	v_xor_b32_e32 v12, 0x80000000, v9
	s_delay_alu instid0(VALU_DEP_3) | instskip(SKIP_2) | instid1(VALU_DEP_2)
	v_cndmask_b32_e64 v15, v7, v10, s3
	v_cmp_gt_f64_e64 s3, 0, v[8:9]
	v_cndmask_b32_e32 v10, v0, v0, vcc_lo
	v_cndmask_b32_e64 v17, v9, v12, s3
	v_cndmask_b32_e64 v12, v2, v2, s2
	s_delay_alu instid0(VALU_DEP_2) | instskip(NEXT) | instid1(VALU_DEP_2)
	v_add_f64 v[14:15], v[14:15], v[16:17]
	v_add_f64 v[10:11], v[10:11], v[12:13]
	s_delay_alu instid0(VALU_DEP_1)
	v_cmp_lt_f64_e32 vcc_lo, v[10:11], v[14:15]
	v_cndmask_b32_e32 v3, v3, v9, vcc_lo
	v_dual_cndmask_b32 v1, v1, v7 :: v_dual_cndmask_b32 v0, v0, v6
	v_cndmask_b32_e32 v2, v2, v8, vcc_lo
	v_cndmask_b32_e64 v4, v4, s6, vcc_lo
	s_add_i32 s6, s6, 1
	s_delay_alu instid0(SALU_CYCLE_1)
	s_cmp_lg_u32 s5, s6
	s_cbranch_scc1 .LBB124_697
.LBB124_698:
	s_set_inst_prefetch_distance 0x2
	s_waitcnt lgkmcnt(0)
	v_cmp_eq_f64_e32 vcc_lo, 0, v[0:1]
	v_cmp_eq_f64_e64 s2, 0, v[2:3]
	s_delay_alu instid0(VALU_DEP_1) | instskip(NEXT) | instid1(SALU_CYCLE_1)
	s_and_b32 s2, vcc_lo, s2
	s_and_saveexec_b32 s3, s2
	s_delay_alu instid0(SALU_CYCLE_1)
	s_xor_b32 s2, exec_lo, s3
; %bb.699:
	v_cmp_ne_u32_e32 vcc_lo, 0, v37
	v_cndmask_b32_e32 v37, 29, v37, vcc_lo
; %bb.700:
	s_and_not1_saveexec_b32 s3, s2
	s_cbranch_execz .LBB124_706
; %bb.701:
	v_cmp_gt_f64_e32 vcc_lo, 0, v[0:1]
	v_cmp_gt_f64_e64 s2, 0, v[2:3]
	v_xor_b32_e32 v5, 0x80000000, v1
	v_xor_b32_e32 v7, 0x80000000, v3
	s_delay_alu instid0(VALU_DEP_2) | instskip(NEXT) | instid1(VALU_DEP_2)
	v_dual_cndmask_b32 v6, v1, v5 :: v_dual_cndmask_b32 v5, v0, v0
	v_cndmask_b32_e64 v8, v3, v7, s2
	v_cndmask_b32_e64 v7, v2, v2, s2
	s_mov_b32 s2, exec_lo
	s_delay_alu instid0(VALU_DEP_1)
	v_cmpx_ngt_f64_e32 v[5:6], v[7:8]
	s_xor_b32 s2, exec_lo, s2
	s_cbranch_execz .LBB124_703
; %bb.702:
	v_div_scale_f64 v[5:6], null, v[2:3], v[2:3], v[0:1]
	v_div_scale_f64 v[11:12], vcc_lo, v[0:1], v[2:3], v[0:1]
	s_delay_alu instid0(VALU_DEP_2) | instskip(SKIP_2) | instid1(VALU_DEP_1)
	v_rcp_f64_e32 v[7:8], v[5:6]
	s_waitcnt_depctr 0xfff
	v_fma_f64 v[9:10], -v[5:6], v[7:8], 1.0
	v_fma_f64 v[7:8], v[7:8], v[9:10], v[7:8]
	s_delay_alu instid0(VALU_DEP_1) | instskip(NEXT) | instid1(VALU_DEP_1)
	v_fma_f64 v[9:10], -v[5:6], v[7:8], 1.0
	v_fma_f64 v[7:8], v[7:8], v[9:10], v[7:8]
	s_delay_alu instid0(VALU_DEP_1) | instskip(NEXT) | instid1(VALU_DEP_1)
	v_mul_f64 v[9:10], v[11:12], v[7:8]
	v_fma_f64 v[5:6], -v[5:6], v[9:10], v[11:12]
	s_delay_alu instid0(VALU_DEP_1) | instskip(NEXT) | instid1(VALU_DEP_1)
	v_div_fmas_f64 v[5:6], v[5:6], v[7:8], v[9:10]
	v_div_fixup_f64 v[5:6], v[5:6], v[2:3], v[0:1]
	s_delay_alu instid0(VALU_DEP_1) | instskip(NEXT) | instid1(VALU_DEP_1)
	v_fma_f64 v[0:1], v[0:1], v[5:6], v[2:3]
	v_div_scale_f64 v[2:3], null, v[0:1], v[0:1], 1.0
	s_delay_alu instid0(VALU_DEP_1) | instskip(SKIP_2) | instid1(VALU_DEP_1)
	v_rcp_f64_e32 v[7:8], v[2:3]
	s_waitcnt_depctr 0xfff
	v_fma_f64 v[9:10], -v[2:3], v[7:8], 1.0
	v_fma_f64 v[7:8], v[7:8], v[9:10], v[7:8]
	s_delay_alu instid0(VALU_DEP_1) | instskip(NEXT) | instid1(VALU_DEP_1)
	v_fma_f64 v[9:10], -v[2:3], v[7:8], 1.0
	v_fma_f64 v[7:8], v[7:8], v[9:10], v[7:8]
	v_div_scale_f64 v[9:10], vcc_lo, 1.0, v[0:1], 1.0
	s_delay_alu instid0(VALU_DEP_1) | instskip(NEXT) | instid1(VALU_DEP_1)
	v_mul_f64 v[11:12], v[9:10], v[7:8]
	v_fma_f64 v[2:3], -v[2:3], v[11:12], v[9:10]
	s_delay_alu instid0(VALU_DEP_1) | instskip(NEXT) | instid1(VALU_DEP_1)
	v_div_fmas_f64 v[2:3], v[2:3], v[7:8], v[11:12]
	v_div_fixup_f64 v[2:3], v[2:3], v[0:1], 1.0
	s_delay_alu instid0(VALU_DEP_1)
	v_mul_f64 v[0:1], v[5:6], v[2:3]
	v_xor_b32_e32 v3, 0x80000000, v3
.LBB124_703:
	s_and_not1_saveexec_b32 s2, s2
	s_cbranch_execz .LBB124_705
; %bb.704:
	s_delay_alu instid0(VALU_DEP_1) | instskip(SKIP_1) | instid1(VALU_DEP_2)
	v_div_scale_f64 v[5:6], null, v[0:1], v[0:1], v[2:3]
	v_div_scale_f64 v[11:12], vcc_lo, v[2:3], v[0:1], v[2:3]
	v_rcp_f64_e32 v[7:8], v[5:6]
	s_waitcnt_depctr 0xfff
	v_fma_f64 v[9:10], -v[5:6], v[7:8], 1.0
	s_delay_alu instid0(VALU_DEP_1) | instskip(NEXT) | instid1(VALU_DEP_1)
	v_fma_f64 v[7:8], v[7:8], v[9:10], v[7:8]
	v_fma_f64 v[9:10], -v[5:6], v[7:8], 1.0
	s_delay_alu instid0(VALU_DEP_1) | instskip(NEXT) | instid1(VALU_DEP_1)
	v_fma_f64 v[7:8], v[7:8], v[9:10], v[7:8]
	v_mul_f64 v[9:10], v[11:12], v[7:8]
	s_delay_alu instid0(VALU_DEP_1) | instskip(NEXT) | instid1(VALU_DEP_1)
	v_fma_f64 v[5:6], -v[5:6], v[9:10], v[11:12]
	v_div_fmas_f64 v[5:6], v[5:6], v[7:8], v[9:10]
	s_delay_alu instid0(VALU_DEP_1) | instskip(NEXT) | instid1(VALU_DEP_1)
	v_div_fixup_f64 v[5:6], v[5:6], v[0:1], v[2:3]
	v_fma_f64 v[0:1], v[2:3], v[5:6], v[0:1]
	s_delay_alu instid0(VALU_DEP_1) | instskip(NEXT) | instid1(VALU_DEP_1)
	v_div_scale_f64 v[2:3], null, v[0:1], v[0:1], 1.0
	v_rcp_f64_e32 v[7:8], v[2:3]
	s_waitcnt_depctr 0xfff
	v_fma_f64 v[9:10], -v[2:3], v[7:8], 1.0
	s_delay_alu instid0(VALU_DEP_1) | instskip(NEXT) | instid1(VALU_DEP_1)
	v_fma_f64 v[7:8], v[7:8], v[9:10], v[7:8]
	v_fma_f64 v[9:10], -v[2:3], v[7:8], 1.0
	s_delay_alu instid0(VALU_DEP_1) | instskip(SKIP_1) | instid1(VALU_DEP_1)
	v_fma_f64 v[7:8], v[7:8], v[9:10], v[7:8]
	v_div_scale_f64 v[9:10], vcc_lo, 1.0, v[0:1], 1.0
	v_mul_f64 v[11:12], v[9:10], v[7:8]
	s_delay_alu instid0(VALU_DEP_1) | instskip(NEXT) | instid1(VALU_DEP_1)
	v_fma_f64 v[2:3], -v[2:3], v[11:12], v[9:10]
	v_div_fmas_f64 v[2:3], v[2:3], v[7:8], v[11:12]
	s_delay_alu instid0(VALU_DEP_1) | instskip(NEXT) | instid1(VALU_DEP_1)
	v_div_fixup_f64 v[0:1], v[2:3], v[0:1], 1.0
	v_mul_f64 v[2:3], v[5:6], -v[0:1]
.LBB124_705:
	s_or_b32 exec_lo, exec_lo, s2
.LBB124_706:
	s_delay_alu instid0(SALU_CYCLE_1) | instskip(NEXT) | instid1(SALU_CYCLE_1)
	s_or_b32 exec_lo, exec_lo, s3
	s_mov_b32 s2, exec_lo
	v_cmpx_ne_u32_e64 v40, v4
	s_xor_b32 s2, exec_lo, s2
	s_cbranch_execz .LBB124_712
; %bb.707:
	s_mov_b32 s3, exec_lo
	v_cmpx_eq_u32_e32 28, v40
	s_cbranch_execz .LBB124_711
; %bb.708:
	v_cmp_ne_u32_e32 vcc_lo, 28, v4
	s_xor_b32 s6, s4, -1
	s_delay_alu instid0(SALU_CYCLE_1) | instskip(NEXT) | instid1(SALU_CYCLE_1)
	s_and_b32 s7, s6, vcc_lo
	s_and_saveexec_b32 s6, s7
	s_cbranch_execz .LBB124_710
; %bb.709:
	v_ashrrev_i32_e32 v5, 31, v4
	s_delay_alu instid0(VALU_DEP_1) | instskip(NEXT) | instid1(VALU_DEP_1)
	v_lshlrev_b64 v[5:6], 2, v[4:5]
	v_add_co_u32 v5, vcc_lo, v145, v5
	s_delay_alu instid0(VALU_DEP_2)
	v_add_co_ci_u32_e32 v6, vcc_lo, v146, v6, vcc_lo
	s_clause 0x1
	flat_load_b32 v7, v[5:6]
	flat_load_b32 v8, v[145:146] offset:112
	s_waitcnt vmcnt(1) lgkmcnt(1)
	flat_store_b32 v[145:146], v7 offset:112
	s_waitcnt vmcnt(0) lgkmcnt(1)
	flat_store_b32 v[5:6], v8
.LBB124_710:
	s_or_b32 exec_lo, exec_lo, s6
	v_mov_b32_e32 v40, v4
	v_mov_b32_e32 v39, v4
.LBB124_711:
	s_or_b32 exec_lo, exec_lo, s3
.LBB124_712:
	s_and_not1_saveexec_b32 s2, s2
	s_cbranch_execz .LBB124_714
; %bb.713:
	s_clause 0x1f
	scratch_load_b128 v[4:7], v116, off
	scratch_load_b128 v[8:11], v120, off
	;; [unrolled: 1-line block ×32, first 2 shown]
	s_clause 0x1
	scratch_load_b128 v[236:239], v162, off
	scratch_load_b128 v[240:243], v151, off
	v_mov_b32_e32 v40, 28
	s_waitcnt vmcnt(33)
	ds_store_2addr_b64 v20, v[4:5], v[6:7] offset0:58 offset1:59
	s_waitcnt vmcnt(32)
	ds_store_2addr_b64 v20, v[8:9], v[10:11] offset0:60 offset1:61
	;; [unrolled: 2-line block ×34, first 2 shown]
.LBB124_714:
	s_or_b32 exec_lo, exec_lo, s2
	s_delay_alu instid0(SALU_CYCLE_1)
	s_mov_b32 s2, exec_lo
	s_waitcnt lgkmcnt(0)
	s_waitcnt_vscnt null, 0x0
	s_barrier
	buffer_gl0_inv
	v_cmpx_lt_i32_e32 28, v40
	s_cbranch_execz .LBB124_717
; %bb.715:
	scratch_load_b128 v[4:7], off, off offset:448
	s_mov_b32 s3, 0
	s_waitcnt vmcnt(0)
	v_mul_f64 v[8:9], v[2:3], v[6:7]
	v_mul_f64 v[6:7], v[0:1], v[6:7]
	s_delay_alu instid0(VALU_DEP_2) | instskip(NEXT) | instid1(VALU_DEP_2)
	v_fma_f64 v[0:1], v[0:1], v[4:5], -v[8:9]
	v_fma_f64 v[2:3], v[2:3], v[4:5], v[6:7]
	v_add3_u32 v4, v38, 0, 0x1d0
	scratch_store_b128 off, v[0:3], off offset:448
	s_set_inst_prefetch_distance 0x1
	.p2align	6
.LBB124_716:                            ; =>This Inner Loop Header: Depth=1
	v_add_nc_u32_e64 v5, s3, 0
	v_add_nc_u32_e32 v17, s3, v4
	s_add_i32 s3, s3, 32
	s_delay_alu instid0(SALU_CYCLE_1) | instskip(NEXT) | instid1(VALU_DEP_2)
	s_cmpk_lg_i32 s3, 0x220
	v_add_nc_u32_e32 v19, 0x1d0, v5
	v_add_nc_u32_e32 v47, 0x1e0, v5
	s_clause 0x1
	scratch_load_b128 v[5:8], v19, off
	scratch_load_b128 v[9:12], v47, off
	ds_load_2addr_b64 v[13:16], v17 offset1:1
	ds_load_2addr_b64 v[41:44], v17 offset0:2 offset1:3
	s_waitcnt lgkmcnt(1)
	v_mul_f64 v[17:18], v[15:16], v[2:3]
	v_mul_f64 v[45:46], v[13:14], v[2:3]
	s_waitcnt lgkmcnt(0)
	v_mul_f64 v[49:50], v[43:44], v[2:3]
	v_mul_f64 v[53:54], v[41:42], v[2:3]
	s_delay_alu instid0(VALU_DEP_4) | instskip(NEXT) | instid1(VALU_DEP_4)
	v_fma_f64 v[13:14], v[13:14], v[0:1], -v[17:18]
	v_fma_f64 v[15:16], v[15:16], v[0:1], v[45:46]
	s_delay_alu instid0(VALU_DEP_4) | instskip(NEXT) | instid1(VALU_DEP_4)
	v_fma_f64 v[17:18], v[41:42], v[0:1], -v[49:50]
	v_fma_f64 v[41:42], v[43:44], v[0:1], v[53:54]
	s_waitcnt vmcnt(1)
	s_delay_alu instid0(VALU_DEP_4) | instskip(NEXT) | instid1(VALU_DEP_4)
	v_add_f64 v[5:6], v[5:6], -v[13:14]
	v_add_f64 v[7:8], v[7:8], -v[15:16]
	s_waitcnt vmcnt(0)
	s_delay_alu instid0(VALU_DEP_4) | instskip(NEXT) | instid1(VALU_DEP_4)
	v_add_f64 v[9:10], v[9:10], -v[17:18]
	v_add_f64 v[11:12], v[11:12], -v[41:42]
	s_clause 0x1
	scratch_store_b128 v19, v[5:8], off
	scratch_store_b128 v47, v[9:12], off
	s_cbranch_scc1 .LBB124_716
.LBB124_717:
	s_set_inst_prefetch_distance 0x2
	s_or_b32 exec_lo, exec_lo, s2
	s_waitcnt_vscnt null, 0x0
	s_barrier
	buffer_gl0_inv
	scratch_load_b128 v[0:3], v116, off
	v_lshl_add_u32 v4, v40, 4, v20
	s_cmp_lt_i32 s5, 31
	s_waitcnt vmcnt(0)
	ds_store_2addr_b64 v4, v[0:1], v[2:3] offset1:1
	s_waitcnt lgkmcnt(0)
	s_barrier
	buffer_gl0_inv
	ds_load_2addr_b64 v[0:3], v20 offset0:58 offset1:59
	v_mov_b32_e32 v4, 29
	s_cbranch_scc1 .LBB124_720
; %bb.718:
	v_add3_u32 v5, v38, 0, 0x1e0
	v_mov_b32_e32 v4, 29
	s_mov_b32 s6, 30
	s_set_inst_prefetch_distance 0x1
	.p2align	6
.LBB124_719:                            ; =>This Inner Loop Header: Depth=1
	ds_load_2addr_b64 v[6:9], v5 offset1:1
	s_waitcnt lgkmcnt(1)
	v_cmp_gt_f64_e32 vcc_lo, 0, v[0:1]
	v_xor_b32_e32 v10, 0x80000000, v1
	v_cmp_gt_f64_e64 s2, 0, v[2:3]
	v_xor_b32_e32 v12, 0x80000000, v3
	v_add_nc_u32_e32 v5, 16, v5
	s_waitcnt lgkmcnt(0)
	v_cmp_gt_f64_e64 s3, 0, v[6:7]
	v_mov_b32_e32 v14, v6
	v_dual_mov_b32 v16, v8 :: v_dual_cndmask_b32 v11, v1, v10
	v_xor_b32_e32 v10, 0x80000000, v7
	v_cndmask_b32_e64 v13, v3, v12, s2
	v_xor_b32_e32 v12, 0x80000000, v9
	s_delay_alu instid0(VALU_DEP_3) | instskip(SKIP_2) | instid1(VALU_DEP_2)
	v_cndmask_b32_e64 v15, v7, v10, s3
	v_cmp_gt_f64_e64 s3, 0, v[8:9]
	v_cndmask_b32_e32 v10, v0, v0, vcc_lo
	v_cndmask_b32_e64 v17, v9, v12, s3
	v_cndmask_b32_e64 v12, v2, v2, s2
	s_delay_alu instid0(VALU_DEP_2) | instskip(NEXT) | instid1(VALU_DEP_2)
	v_add_f64 v[14:15], v[14:15], v[16:17]
	v_add_f64 v[10:11], v[10:11], v[12:13]
	s_delay_alu instid0(VALU_DEP_1)
	v_cmp_lt_f64_e32 vcc_lo, v[10:11], v[14:15]
	v_cndmask_b32_e32 v3, v3, v9, vcc_lo
	v_dual_cndmask_b32 v1, v1, v7 :: v_dual_cndmask_b32 v0, v0, v6
	v_cndmask_b32_e32 v2, v2, v8, vcc_lo
	v_cndmask_b32_e64 v4, v4, s6, vcc_lo
	s_add_i32 s6, s6, 1
	s_delay_alu instid0(SALU_CYCLE_1)
	s_cmp_lg_u32 s5, s6
	s_cbranch_scc1 .LBB124_719
.LBB124_720:
	s_set_inst_prefetch_distance 0x2
	s_waitcnt lgkmcnt(0)
	v_cmp_eq_f64_e32 vcc_lo, 0, v[0:1]
	v_cmp_eq_f64_e64 s2, 0, v[2:3]
	s_delay_alu instid0(VALU_DEP_1) | instskip(NEXT) | instid1(SALU_CYCLE_1)
	s_and_b32 s2, vcc_lo, s2
	s_and_saveexec_b32 s3, s2
	s_delay_alu instid0(SALU_CYCLE_1)
	s_xor_b32 s2, exec_lo, s3
; %bb.721:
	v_cmp_ne_u32_e32 vcc_lo, 0, v37
	v_cndmask_b32_e32 v37, 30, v37, vcc_lo
; %bb.722:
	s_and_not1_saveexec_b32 s3, s2
	s_cbranch_execz .LBB124_728
; %bb.723:
	v_cmp_gt_f64_e32 vcc_lo, 0, v[0:1]
	v_cmp_gt_f64_e64 s2, 0, v[2:3]
	v_xor_b32_e32 v5, 0x80000000, v1
	v_xor_b32_e32 v7, 0x80000000, v3
	s_delay_alu instid0(VALU_DEP_2) | instskip(NEXT) | instid1(VALU_DEP_2)
	v_dual_cndmask_b32 v6, v1, v5 :: v_dual_cndmask_b32 v5, v0, v0
	v_cndmask_b32_e64 v8, v3, v7, s2
	v_cndmask_b32_e64 v7, v2, v2, s2
	s_mov_b32 s2, exec_lo
	s_delay_alu instid0(VALU_DEP_1)
	v_cmpx_ngt_f64_e32 v[5:6], v[7:8]
	s_xor_b32 s2, exec_lo, s2
	s_cbranch_execz .LBB124_725
; %bb.724:
	v_div_scale_f64 v[5:6], null, v[2:3], v[2:3], v[0:1]
	v_div_scale_f64 v[11:12], vcc_lo, v[0:1], v[2:3], v[0:1]
	s_delay_alu instid0(VALU_DEP_2) | instskip(SKIP_2) | instid1(VALU_DEP_1)
	v_rcp_f64_e32 v[7:8], v[5:6]
	s_waitcnt_depctr 0xfff
	v_fma_f64 v[9:10], -v[5:6], v[7:8], 1.0
	v_fma_f64 v[7:8], v[7:8], v[9:10], v[7:8]
	s_delay_alu instid0(VALU_DEP_1) | instskip(NEXT) | instid1(VALU_DEP_1)
	v_fma_f64 v[9:10], -v[5:6], v[7:8], 1.0
	v_fma_f64 v[7:8], v[7:8], v[9:10], v[7:8]
	s_delay_alu instid0(VALU_DEP_1) | instskip(NEXT) | instid1(VALU_DEP_1)
	v_mul_f64 v[9:10], v[11:12], v[7:8]
	v_fma_f64 v[5:6], -v[5:6], v[9:10], v[11:12]
	s_delay_alu instid0(VALU_DEP_1) | instskip(NEXT) | instid1(VALU_DEP_1)
	v_div_fmas_f64 v[5:6], v[5:6], v[7:8], v[9:10]
	v_div_fixup_f64 v[5:6], v[5:6], v[2:3], v[0:1]
	s_delay_alu instid0(VALU_DEP_1) | instskip(NEXT) | instid1(VALU_DEP_1)
	v_fma_f64 v[0:1], v[0:1], v[5:6], v[2:3]
	v_div_scale_f64 v[2:3], null, v[0:1], v[0:1], 1.0
	s_delay_alu instid0(VALU_DEP_1) | instskip(SKIP_2) | instid1(VALU_DEP_1)
	v_rcp_f64_e32 v[7:8], v[2:3]
	s_waitcnt_depctr 0xfff
	v_fma_f64 v[9:10], -v[2:3], v[7:8], 1.0
	v_fma_f64 v[7:8], v[7:8], v[9:10], v[7:8]
	s_delay_alu instid0(VALU_DEP_1) | instskip(NEXT) | instid1(VALU_DEP_1)
	v_fma_f64 v[9:10], -v[2:3], v[7:8], 1.0
	v_fma_f64 v[7:8], v[7:8], v[9:10], v[7:8]
	v_div_scale_f64 v[9:10], vcc_lo, 1.0, v[0:1], 1.0
	s_delay_alu instid0(VALU_DEP_1) | instskip(NEXT) | instid1(VALU_DEP_1)
	v_mul_f64 v[11:12], v[9:10], v[7:8]
	v_fma_f64 v[2:3], -v[2:3], v[11:12], v[9:10]
	s_delay_alu instid0(VALU_DEP_1) | instskip(NEXT) | instid1(VALU_DEP_1)
	v_div_fmas_f64 v[2:3], v[2:3], v[7:8], v[11:12]
	v_div_fixup_f64 v[2:3], v[2:3], v[0:1], 1.0
	s_delay_alu instid0(VALU_DEP_1)
	v_mul_f64 v[0:1], v[5:6], v[2:3]
	v_xor_b32_e32 v3, 0x80000000, v3
.LBB124_725:
	s_and_not1_saveexec_b32 s2, s2
	s_cbranch_execz .LBB124_727
; %bb.726:
	s_delay_alu instid0(VALU_DEP_1) | instskip(SKIP_1) | instid1(VALU_DEP_2)
	v_div_scale_f64 v[5:6], null, v[0:1], v[0:1], v[2:3]
	v_div_scale_f64 v[11:12], vcc_lo, v[2:3], v[0:1], v[2:3]
	v_rcp_f64_e32 v[7:8], v[5:6]
	s_waitcnt_depctr 0xfff
	v_fma_f64 v[9:10], -v[5:6], v[7:8], 1.0
	s_delay_alu instid0(VALU_DEP_1) | instskip(NEXT) | instid1(VALU_DEP_1)
	v_fma_f64 v[7:8], v[7:8], v[9:10], v[7:8]
	v_fma_f64 v[9:10], -v[5:6], v[7:8], 1.0
	s_delay_alu instid0(VALU_DEP_1) | instskip(NEXT) | instid1(VALU_DEP_1)
	v_fma_f64 v[7:8], v[7:8], v[9:10], v[7:8]
	v_mul_f64 v[9:10], v[11:12], v[7:8]
	s_delay_alu instid0(VALU_DEP_1) | instskip(NEXT) | instid1(VALU_DEP_1)
	v_fma_f64 v[5:6], -v[5:6], v[9:10], v[11:12]
	v_div_fmas_f64 v[5:6], v[5:6], v[7:8], v[9:10]
	s_delay_alu instid0(VALU_DEP_1) | instskip(NEXT) | instid1(VALU_DEP_1)
	v_div_fixup_f64 v[5:6], v[5:6], v[0:1], v[2:3]
	v_fma_f64 v[0:1], v[2:3], v[5:6], v[0:1]
	s_delay_alu instid0(VALU_DEP_1) | instskip(NEXT) | instid1(VALU_DEP_1)
	v_div_scale_f64 v[2:3], null, v[0:1], v[0:1], 1.0
	v_rcp_f64_e32 v[7:8], v[2:3]
	s_waitcnt_depctr 0xfff
	v_fma_f64 v[9:10], -v[2:3], v[7:8], 1.0
	s_delay_alu instid0(VALU_DEP_1) | instskip(NEXT) | instid1(VALU_DEP_1)
	v_fma_f64 v[7:8], v[7:8], v[9:10], v[7:8]
	v_fma_f64 v[9:10], -v[2:3], v[7:8], 1.0
	s_delay_alu instid0(VALU_DEP_1) | instskip(SKIP_1) | instid1(VALU_DEP_1)
	v_fma_f64 v[7:8], v[7:8], v[9:10], v[7:8]
	v_div_scale_f64 v[9:10], vcc_lo, 1.0, v[0:1], 1.0
	v_mul_f64 v[11:12], v[9:10], v[7:8]
	s_delay_alu instid0(VALU_DEP_1) | instskip(NEXT) | instid1(VALU_DEP_1)
	v_fma_f64 v[2:3], -v[2:3], v[11:12], v[9:10]
	v_div_fmas_f64 v[2:3], v[2:3], v[7:8], v[11:12]
	s_delay_alu instid0(VALU_DEP_1) | instskip(NEXT) | instid1(VALU_DEP_1)
	v_div_fixup_f64 v[0:1], v[2:3], v[0:1], 1.0
	v_mul_f64 v[2:3], v[5:6], -v[0:1]
.LBB124_727:
	s_or_b32 exec_lo, exec_lo, s2
.LBB124_728:
	s_delay_alu instid0(SALU_CYCLE_1) | instskip(NEXT) | instid1(SALU_CYCLE_1)
	s_or_b32 exec_lo, exec_lo, s3
	s_mov_b32 s2, exec_lo
	v_cmpx_ne_u32_e64 v40, v4
	s_xor_b32 s2, exec_lo, s2
	s_cbranch_execz .LBB124_734
; %bb.729:
	s_mov_b32 s3, exec_lo
	v_cmpx_eq_u32_e32 29, v40
	s_cbranch_execz .LBB124_733
; %bb.730:
	v_cmp_ne_u32_e32 vcc_lo, 29, v4
	s_xor_b32 s6, s4, -1
	s_delay_alu instid0(SALU_CYCLE_1) | instskip(NEXT) | instid1(SALU_CYCLE_1)
	s_and_b32 s7, s6, vcc_lo
	s_and_saveexec_b32 s6, s7
	s_cbranch_execz .LBB124_732
; %bb.731:
	v_ashrrev_i32_e32 v5, 31, v4
	s_delay_alu instid0(VALU_DEP_1) | instskip(NEXT) | instid1(VALU_DEP_1)
	v_lshlrev_b64 v[5:6], 2, v[4:5]
	v_add_co_u32 v5, vcc_lo, v145, v5
	s_delay_alu instid0(VALU_DEP_2)
	v_add_co_ci_u32_e32 v6, vcc_lo, v146, v6, vcc_lo
	s_clause 0x1
	flat_load_b32 v7, v[5:6]
	flat_load_b32 v8, v[145:146] offset:116
	s_waitcnt vmcnt(1) lgkmcnt(1)
	flat_store_b32 v[145:146], v7 offset:116
	s_waitcnt vmcnt(0) lgkmcnt(1)
	flat_store_b32 v[5:6], v8
.LBB124_732:
	s_or_b32 exec_lo, exec_lo, s6
	v_mov_b32_e32 v40, v4
	v_mov_b32_e32 v39, v4
.LBB124_733:
	s_or_b32 exec_lo, exec_lo, s3
.LBB124_734:
	s_and_not1_saveexec_b32 s2, s2
	s_cbranch_execz .LBB124_736
; %bb.735:
	s_clause 0x1f
	scratch_load_b128 v[4:7], v120, off
	scratch_load_b128 v[8:11], v124, off
	;; [unrolled: 1-line block ×33, first 2 shown]
	v_mov_b32_e32 v40, 29
	s_waitcnt vmcnt(32)
	ds_store_2addr_b64 v20, v[4:5], v[6:7] offset0:60 offset1:61
	s_waitcnt vmcnt(31)
	ds_store_2addr_b64 v20, v[8:9], v[10:11] offset0:62 offset1:63
	;; [unrolled: 2-line block ×33, first 2 shown]
.LBB124_736:
	s_or_b32 exec_lo, exec_lo, s2
	s_delay_alu instid0(SALU_CYCLE_1)
	s_mov_b32 s2, exec_lo
	s_waitcnt lgkmcnt(0)
	s_waitcnt_vscnt null, 0x0
	s_barrier
	buffer_gl0_inv
	v_cmpx_lt_i32_e32 29, v40
	s_cbranch_execz .LBB124_739
; %bb.737:
	scratch_load_b128 v[4:7], off, off offset:464
	s_mov_b32 s3, 0
	s_waitcnt vmcnt(0)
	v_mul_f64 v[8:9], v[2:3], v[6:7]
	v_mul_f64 v[6:7], v[0:1], v[6:7]
	s_delay_alu instid0(VALU_DEP_2) | instskip(NEXT) | instid1(VALU_DEP_2)
	v_fma_f64 v[0:1], v[0:1], v[4:5], -v[8:9]
	v_fma_f64 v[2:3], v[2:3], v[4:5], v[6:7]
	v_add3_u32 v4, v38, 0, 0x1e0
	v_mov_b32_e32 v5, 0
	scratch_store_b128 off, v[0:3], off offset:464
.LBB124_738:                            ; =>This Inner Loop Header: Depth=1
	v_readfirstlane_b32 s6, v5
	v_add_nc_u32_e32 v18, s3, v4
	s_delay_alu instid0(VALU_DEP_2)
	s_add_i32 s6, s6, s3
	s_add_i32 s3, s3, 48
	;; [unrolled: 1-line block ×4, first 2 shown]
	s_addk_i32 s6, 0x200
	s_clause 0x2
	scratch_load_b128 v[6:9], off, s7
	scratch_load_b128 v[10:13], off, s9
	;; [unrolled: 1-line block ×3, first 2 shown]
	ds_load_2addr_b64 v[41:44], v18 offset1:1
	ds_load_2addr_b64 v[53:56], v18 offset0:2 offset1:3
	ds_load_2addr_b64 v[57:60], v18 offset0:4 offset1:5
	s_cmpk_lg_i32 s3, 0x210
	s_waitcnt lgkmcnt(2)
	v_mul_f64 v[18:19], v[43:44], v[2:3]
	v_mul_f64 v[45:46], v[41:42], v[2:3]
	s_waitcnt lgkmcnt(1)
	v_mul_f64 v[49:50], v[55:56], v[2:3]
	v_mul_f64 v[61:62], v[53:54], v[2:3]
	;; [unrolled: 3-line block ×3, first 2 shown]
	v_fma_f64 v[18:19], v[41:42], v[0:1], -v[18:19]
	v_fma_f64 v[41:42], v[43:44], v[0:1], v[45:46]
	v_fma_f64 v[43:44], v[53:54], v[0:1], -v[49:50]
	v_fma_f64 v[45:46], v[55:56], v[0:1], v[61:62]
	;; [unrolled: 2-line block ×3, first 2 shown]
	s_waitcnt vmcnt(2)
	v_add_f64 v[6:7], v[6:7], -v[18:19]
	v_add_f64 v[8:9], v[8:9], -v[41:42]
	s_waitcnt vmcnt(1)
	v_add_f64 v[10:11], v[10:11], -v[43:44]
	v_add_f64 v[12:13], v[12:13], -v[45:46]
	;; [unrolled: 3-line block ×3, first 2 shown]
	s_clause 0x2
	scratch_store_b128 off, v[6:9], s7
	scratch_store_b128 off, v[10:13], s9
	;; [unrolled: 1-line block ×3, first 2 shown]
	s_cbranch_scc1 .LBB124_738
.LBB124_739:
	s_or_b32 exec_lo, exec_lo, s2
	s_waitcnt_vscnt null, 0x0
	s_barrier
	buffer_gl0_inv
	scratch_load_b128 v[0:3], v120, off
	v_lshl_add_u32 v4, v40, 4, v20
	s_cmp_lt_i32 s5, 32
	s_waitcnt vmcnt(0)
	ds_store_2addr_b64 v4, v[0:1], v[2:3] offset1:1
	s_waitcnt lgkmcnt(0)
	s_barrier
	buffer_gl0_inv
	ds_load_2addr_b64 v[0:3], v20 offset0:60 offset1:61
	v_mov_b32_e32 v4, 30
	s_cbranch_scc1 .LBB124_742
; %bb.740:
	v_add3_u32 v5, v38, 0, 0x1f0
	v_mov_b32_e32 v4, 30
	s_mov_b32 s6, 31
	s_set_inst_prefetch_distance 0x1
	.p2align	6
.LBB124_741:                            ; =>This Inner Loop Header: Depth=1
	ds_load_2addr_b64 v[6:9], v5 offset1:1
	s_waitcnt lgkmcnt(1)
	v_cmp_gt_f64_e32 vcc_lo, 0, v[0:1]
	v_xor_b32_e32 v10, 0x80000000, v1
	v_cmp_gt_f64_e64 s2, 0, v[2:3]
	v_xor_b32_e32 v12, 0x80000000, v3
	v_add_nc_u32_e32 v5, 16, v5
	s_waitcnt lgkmcnt(0)
	v_cmp_gt_f64_e64 s3, 0, v[6:7]
	v_mov_b32_e32 v14, v6
	v_dual_mov_b32 v16, v8 :: v_dual_cndmask_b32 v11, v1, v10
	v_xor_b32_e32 v10, 0x80000000, v7
	v_cndmask_b32_e64 v13, v3, v12, s2
	v_xor_b32_e32 v12, 0x80000000, v9
	s_delay_alu instid0(VALU_DEP_3) | instskip(SKIP_2) | instid1(VALU_DEP_2)
	v_cndmask_b32_e64 v15, v7, v10, s3
	v_cmp_gt_f64_e64 s3, 0, v[8:9]
	v_cndmask_b32_e32 v10, v0, v0, vcc_lo
	v_cndmask_b32_e64 v17, v9, v12, s3
	v_cndmask_b32_e64 v12, v2, v2, s2
	s_delay_alu instid0(VALU_DEP_2) | instskip(NEXT) | instid1(VALU_DEP_2)
	v_add_f64 v[14:15], v[14:15], v[16:17]
	v_add_f64 v[10:11], v[10:11], v[12:13]
	s_delay_alu instid0(VALU_DEP_1)
	v_cmp_lt_f64_e32 vcc_lo, v[10:11], v[14:15]
	v_cndmask_b32_e32 v3, v3, v9, vcc_lo
	v_dual_cndmask_b32 v1, v1, v7 :: v_dual_cndmask_b32 v0, v0, v6
	v_cndmask_b32_e32 v2, v2, v8, vcc_lo
	v_cndmask_b32_e64 v4, v4, s6, vcc_lo
	s_add_i32 s6, s6, 1
	s_delay_alu instid0(SALU_CYCLE_1)
	s_cmp_lg_u32 s5, s6
	s_cbranch_scc1 .LBB124_741
.LBB124_742:
	s_set_inst_prefetch_distance 0x2
	s_waitcnt lgkmcnt(0)
	v_cmp_eq_f64_e32 vcc_lo, 0, v[0:1]
	v_cmp_eq_f64_e64 s2, 0, v[2:3]
	s_delay_alu instid0(VALU_DEP_1) | instskip(NEXT) | instid1(SALU_CYCLE_1)
	s_and_b32 s2, vcc_lo, s2
	s_and_saveexec_b32 s3, s2
	s_delay_alu instid0(SALU_CYCLE_1)
	s_xor_b32 s2, exec_lo, s3
; %bb.743:
	v_cmp_ne_u32_e32 vcc_lo, 0, v37
	v_cndmask_b32_e32 v37, 31, v37, vcc_lo
; %bb.744:
	s_and_not1_saveexec_b32 s3, s2
	s_cbranch_execz .LBB124_750
; %bb.745:
	v_cmp_gt_f64_e32 vcc_lo, 0, v[0:1]
	v_cmp_gt_f64_e64 s2, 0, v[2:3]
	v_xor_b32_e32 v5, 0x80000000, v1
	v_xor_b32_e32 v7, 0x80000000, v3
	s_delay_alu instid0(VALU_DEP_2) | instskip(NEXT) | instid1(VALU_DEP_2)
	v_dual_cndmask_b32 v6, v1, v5 :: v_dual_cndmask_b32 v5, v0, v0
	v_cndmask_b32_e64 v8, v3, v7, s2
	v_cndmask_b32_e64 v7, v2, v2, s2
	s_mov_b32 s2, exec_lo
	s_delay_alu instid0(VALU_DEP_1)
	v_cmpx_ngt_f64_e32 v[5:6], v[7:8]
	s_xor_b32 s2, exec_lo, s2
	s_cbranch_execz .LBB124_747
; %bb.746:
	v_div_scale_f64 v[5:6], null, v[2:3], v[2:3], v[0:1]
	v_div_scale_f64 v[11:12], vcc_lo, v[0:1], v[2:3], v[0:1]
	s_delay_alu instid0(VALU_DEP_2) | instskip(SKIP_2) | instid1(VALU_DEP_1)
	v_rcp_f64_e32 v[7:8], v[5:6]
	s_waitcnt_depctr 0xfff
	v_fma_f64 v[9:10], -v[5:6], v[7:8], 1.0
	v_fma_f64 v[7:8], v[7:8], v[9:10], v[7:8]
	s_delay_alu instid0(VALU_DEP_1) | instskip(NEXT) | instid1(VALU_DEP_1)
	v_fma_f64 v[9:10], -v[5:6], v[7:8], 1.0
	v_fma_f64 v[7:8], v[7:8], v[9:10], v[7:8]
	s_delay_alu instid0(VALU_DEP_1) | instskip(NEXT) | instid1(VALU_DEP_1)
	v_mul_f64 v[9:10], v[11:12], v[7:8]
	v_fma_f64 v[5:6], -v[5:6], v[9:10], v[11:12]
	s_delay_alu instid0(VALU_DEP_1) | instskip(NEXT) | instid1(VALU_DEP_1)
	v_div_fmas_f64 v[5:6], v[5:6], v[7:8], v[9:10]
	v_div_fixup_f64 v[5:6], v[5:6], v[2:3], v[0:1]
	s_delay_alu instid0(VALU_DEP_1) | instskip(NEXT) | instid1(VALU_DEP_1)
	v_fma_f64 v[0:1], v[0:1], v[5:6], v[2:3]
	v_div_scale_f64 v[2:3], null, v[0:1], v[0:1], 1.0
	s_delay_alu instid0(VALU_DEP_1) | instskip(SKIP_2) | instid1(VALU_DEP_1)
	v_rcp_f64_e32 v[7:8], v[2:3]
	s_waitcnt_depctr 0xfff
	v_fma_f64 v[9:10], -v[2:3], v[7:8], 1.0
	v_fma_f64 v[7:8], v[7:8], v[9:10], v[7:8]
	s_delay_alu instid0(VALU_DEP_1) | instskip(NEXT) | instid1(VALU_DEP_1)
	v_fma_f64 v[9:10], -v[2:3], v[7:8], 1.0
	v_fma_f64 v[7:8], v[7:8], v[9:10], v[7:8]
	v_div_scale_f64 v[9:10], vcc_lo, 1.0, v[0:1], 1.0
	s_delay_alu instid0(VALU_DEP_1) | instskip(NEXT) | instid1(VALU_DEP_1)
	v_mul_f64 v[11:12], v[9:10], v[7:8]
	v_fma_f64 v[2:3], -v[2:3], v[11:12], v[9:10]
	s_delay_alu instid0(VALU_DEP_1) | instskip(NEXT) | instid1(VALU_DEP_1)
	v_div_fmas_f64 v[2:3], v[2:3], v[7:8], v[11:12]
	v_div_fixup_f64 v[2:3], v[2:3], v[0:1], 1.0
	s_delay_alu instid0(VALU_DEP_1)
	v_mul_f64 v[0:1], v[5:6], v[2:3]
	v_xor_b32_e32 v3, 0x80000000, v3
.LBB124_747:
	s_and_not1_saveexec_b32 s2, s2
	s_cbranch_execz .LBB124_749
; %bb.748:
	s_delay_alu instid0(VALU_DEP_1) | instskip(SKIP_1) | instid1(VALU_DEP_2)
	v_div_scale_f64 v[5:6], null, v[0:1], v[0:1], v[2:3]
	v_div_scale_f64 v[11:12], vcc_lo, v[2:3], v[0:1], v[2:3]
	v_rcp_f64_e32 v[7:8], v[5:6]
	s_waitcnt_depctr 0xfff
	v_fma_f64 v[9:10], -v[5:6], v[7:8], 1.0
	s_delay_alu instid0(VALU_DEP_1) | instskip(NEXT) | instid1(VALU_DEP_1)
	v_fma_f64 v[7:8], v[7:8], v[9:10], v[7:8]
	v_fma_f64 v[9:10], -v[5:6], v[7:8], 1.0
	s_delay_alu instid0(VALU_DEP_1) | instskip(NEXT) | instid1(VALU_DEP_1)
	v_fma_f64 v[7:8], v[7:8], v[9:10], v[7:8]
	v_mul_f64 v[9:10], v[11:12], v[7:8]
	s_delay_alu instid0(VALU_DEP_1) | instskip(NEXT) | instid1(VALU_DEP_1)
	v_fma_f64 v[5:6], -v[5:6], v[9:10], v[11:12]
	v_div_fmas_f64 v[5:6], v[5:6], v[7:8], v[9:10]
	s_delay_alu instid0(VALU_DEP_1) | instskip(NEXT) | instid1(VALU_DEP_1)
	v_div_fixup_f64 v[5:6], v[5:6], v[0:1], v[2:3]
	v_fma_f64 v[0:1], v[2:3], v[5:6], v[0:1]
	s_delay_alu instid0(VALU_DEP_1) | instskip(NEXT) | instid1(VALU_DEP_1)
	v_div_scale_f64 v[2:3], null, v[0:1], v[0:1], 1.0
	v_rcp_f64_e32 v[7:8], v[2:3]
	s_waitcnt_depctr 0xfff
	v_fma_f64 v[9:10], -v[2:3], v[7:8], 1.0
	s_delay_alu instid0(VALU_DEP_1) | instskip(NEXT) | instid1(VALU_DEP_1)
	v_fma_f64 v[7:8], v[7:8], v[9:10], v[7:8]
	v_fma_f64 v[9:10], -v[2:3], v[7:8], 1.0
	s_delay_alu instid0(VALU_DEP_1) | instskip(SKIP_1) | instid1(VALU_DEP_1)
	v_fma_f64 v[7:8], v[7:8], v[9:10], v[7:8]
	v_div_scale_f64 v[9:10], vcc_lo, 1.0, v[0:1], 1.0
	v_mul_f64 v[11:12], v[9:10], v[7:8]
	s_delay_alu instid0(VALU_DEP_1) | instskip(NEXT) | instid1(VALU_DEP_1)
	v_fma_f64 v[2:3], -v[2:3], v[11:12], v[9:10]
	v_div_fmas_f64 v[2:3], v[2:3], v[7:8], v[11:12]
	s_delay_alu instid0(VALU_DEP_1) | instskip(NEXT) | instid1(VALU_DEP_1)
	v_div_fixup_f64 v[0:1], v[2:3], v[0:1], 1.0
	v_mul_f64 v[2:3], v[5:6], -v[0:1]
.LBB124_749:
	s_or_b32 exec_lo, exec_lo, s2
.LBB124_750:
	s_delay_alu instid0(SALU_CYCLE_1) | instskip(NEXT) | instid1(SALU_CYCLE_1)
	s_or_b32 exec_lo, exec_lo, s3
	s_mov_b32 s2, exec_lo
	v_cmpx_ne_u32_e64 v40, v4
	s_xor_b32 s2, exec_lo, s2
	s_cbranch_execz .LBB124_756
; %bb.751:
	s_mov_b32 s3, exec_lo
	v_cmpx_eq_u32_e32 30, v40
	s_cbranch_execz .LBB124_755
; %bb.752:
	v_cmp_ne_u32_e32 vcc_lo, 30, v4
	s_xor_b32 s6, s4, -1
	s_delay_alu instid0(SALU_CYCLE_1) | instskip(NEXT) | instid1(SALU_CYCLE_1)
	s_and_b32 s7, s6, vcc_lo
	s_and_saveexec_b32 s6, s7
	s_cbranch_execz .LBB124_754
; %bb.753:
	v_ashrrev_i32_e32 v5, 31, v4
	s_delay_alu instid0(VALU_DEP_1) | instskip(NEXT) | instid1(VALU_DEP_1)
	v_lshlrev_b64 v[5:6], 2, v[4:5]
	v_add_co_u32 v5, vcc_lo, v145, v5
	s_delay_alu instid0(VALU_DEP_2)
	v_add_co_ci_u32_e32 v6, vcc_lo, v146, v6, vcc_lo
	s_clause 0x1
	flat_load_b32 v7, v[5:6]
	flat_load_b32 v8, v[145:146] offset:120
	s_waitcnt vmcnt(1) lgkmcnt(1)
	flat_store_b32 v[145:146], v7 offset:120
	s_waitcnt vmcnt(0) lgkmcnt(1)
	flat_store_b32 v[5:6], v8
.LBB124_754:
	s_or_b32 exec_lo, exec_lo, s6
	v_mov_b32_e32 v40, v4
	v_mov_b32_e32 v39, v4
.LBB124_755:
	s_or_b32 exec_lo, exec_lo, s3
.LBB124_756:
	s_and_not1_saveexec_b32 s2, s2
	s_cbranch_execz .LBB124_758
; %bb.757:
	s_clause 0x1f
	scratch_load_b128 v[4:7], v124, off
	scratch_load_b128 v[8:11], v129, off
	;; [unrolled: 1-line block ×32, first 2 shown]
	v_mov_b32_e32 v40, 30
	s_waitcnt vmcnt(31)
	ds_store_2addr_b64 v20, v[4:5], v[6:7] offset0:62 offset1:63
	s_waitcnt vmcnt(30)
	ds_store_2addr_b64 v20, v[8:9], v[10:11] offset0:64 offset1:65
	s_waitcnt vmcnt(29)
	ds_store_2addr_b64 v20, v[12:13], v[14:15] offset0:66 offset1:67
	s_waitcnt vmcnt(28)
	ds_store_2addr_b64 v20, v[16:17], v[18:19] offset0:68 offset1:69
	s_waitcnt vmcnt(27)
	ds_store_2addr_b64 v20, v[41:42], v[43:44] offset0:70 offset1:71
	s_waitcnt vmcnt(26)
	ds_store_2addr_b64 v20, v[53:54], v[55:56] offset0:72 offset1:73
	s_waitcnt vmcnt(25)
	ds_store_2addr_b64 v20, v[57:58], v[59:60] offset0:74 offset1:75
	s_waitcnt vmcnt(24)
	ds_store_2addr_b64 v20, v[65:66], v[67:68] offset0:76 offset1:77
	s_waitcnt vmcnt(23)
	ds_store_2addr_b64 v20, v[73:74], v[75:76] offset0:78 offset1:79
	s_waitcnt vmcnt(22)
	ds_store_2addr_b64 v20, v[81:82], v[83:84] offset0:80 offset1:81
	s_waitcnt vmcnt(21)
	ds_store_2addr_b64 v20, v[85:86], v[87:88] offset0:82 offset1:83
	s_waitcnt vmcnt(20)
	ds_store_2addr_b64 v20, v[89:90], v[91:92] offset0:84 offset1:85
	s_waitcnt vmcnt(19)
	ds_store_2addr_b64 v20, v[93:94], v[95:96] offset0:86 offset1:87
	s_waitcnt vmcnt(18)
	ds_store_2addr_b64 v20, v[97:98], v[99:100] offset0:88 offset1:89
	s_waitcnt vmcnt(17)
	ds_store_2addr_b64 v20, v[101:102], v[103:104] offset0:90 offset1:91
	s_waitcnt vmcnt(16)
	ds_store_2addr_b64 v20, v[130:131], v[132:133] offset0:92 offset1:93
	s_waitcnt vmcnt(15)
	ds_store_2addr_b64 v20, v[141:142], v[143:144] offset0:94 offset1:95
	s_waitcnt vmcnt(14)
	ds_store_2addr_b64 v20, v[176:177], v[178:179] offset0:96 offset1:97
	s_waitcnt vmcnt(13)
	ds_store_2addr_b64 v20, v[180:181], v[182:183] offset0:98 offset1:99
	s_waitcnt vmcnt(12)
	ds_store_2addr_b64 v20, v[184:185], v[186:187] offset0:100 offset1:101
	s_waitcnt vmcnt(11)
	ds_store_2addr_b64 v20, v[188:189], v[190:191] offset0:102 offset1:103
	s_waitcnt vmcnt(10)
	ds_store_2addr_b64 v20, v[192:193], v[194:195] offset0:104 offset1:105
	s_waitcnt vmcnt(9)
	ds_store_2addr_b64 v20, v[196:197], v[198:199] offset0:106 offset1:107
	s_waitcnt vmcnt(8)
	ds_store_2addr_b64 v20, v[200:201], v[202:203] offset0:108 offset1:109
	s_waitcnt vmcnt(7)
	ds_store_2addr_b64 v20, v[204:205], v[206:207] offset0:110 offset1:111
	s_waitcnt vmcnt(6)
	ds_store_2addr_b64 v20, v[208:209], v[210:211] offset0:112 offset1:113
	s_waitcnt vmcnt(5)
	ds_store_2addr_b64 v20, v[212:213], v[214:215] offset0:114 offset1:115
	s_waitcnt vmcnt(4)
	ds_store_2addr_b64 v20, v[216:217], v[218:219] offset0:116 offset1:117
	s_waitcnt vmcnt(3)
	ds_store_2addr_b64 v20, v[220:221], v[222:223] offset0:118 offset1:119
	s_waitcnt vmcnt(2)
	ds_store_2addr_b64 v20, v[224:225], v[226:227] offset0:120 offset1:121
	s_waitcnt vmcnt(1)
	ds_store_2addr_b64 v20, v[228:229], v[230:231] offset0:122 offset1:123
	s_waitcnt vmcnt(0)
	ds_store_2addr_b64 v20, v[232:233], v[234:235] offset0:124 offset1:125
.LBB124_758:
	s_or_b32 exec_lo, exec_lo, s2
	s_delay_alu instid0(SALU_CYCLE_1)
	s_mov_b32 s2, exec_lo
	s_waitcnt lgkmcnt(0)
	s_waitcnt_vscnt null, 0x0
	s_barrier
	buffer_gl0_inv
	v_cmpx_lt_i32_e32 30, v40
	s_cbranch_execz .LBB124_761
; %bb.759:
	scratch_load_b128 v[4:7], off, off offset:480
	s_mov_b32 s3, 0
	s_waitcnt vmcnt(0)
	v_mul_f64 v[8:9], v[2:3], v[6:7]
	v_mul_f64 v[6:7], v[0:1], v[6:7]
	s_delay_alu instid0(VALU_DEP_2) | instskip(NEXT) | instid1(VALU_DEP_2)
	v_fma_f64 v[0:1], v[0:1], v[4:5], -v[8:9]
	v_fma_f64 v[2:3], v[2:3], v[4:5], v[6:7]
	v_add3_u32 v4, v38, 0, 0x1f0
	v_mov_b32_e32 v5, 0
	scratch_store_b128 off, v[0:3], off offset:480
.LBB124_760:                            ; =>This Inner Loop Header: Depth=1
	v_readfirstlane_b32 s6, v5
	v_add_nc_u32_e32 v18, s3, v4
	s_delay_alu instid0(VALU_DEP_2)
	s_add_i32 s6, s6, s3
	s_add_i32 s3, s3, 64
	;; [unrolled: 1-line block ×5, first 2 shown]
	s_addk_i32 s6, 0x220
	s_clause 0x3
	scratch_load_b128 v[6:9], off, s7
	scratch_load_b128 v[10:13], off, s9
	;; [unrolled: 1-line block ×4, first 2 shown]
	ds_load_2addr_b64 v[53:56], v18 offset1:1
	ds_load_2addr_b64 v[57:60], v18 offset0:2 offset1:3
	ds_load_2addr_b64 v[65:68], v18 offset0:4 offset1:5
	;; [unrolled: 1-line block ×3, first 2 shown]
	s_cmpk_lg_i32 s3, 0x200
	s_waitcnt lgkmcnt(3)
	v_mul_f64 v[18:19], v[55:56], v[2:3]
	v_mul_f64 v[45:46], v[53:54], v[2:3]
	s_waitcnt lgkmcnt(2)
	v_mul_f64 v[49:50], v[59:60], v[2:3]
	v_mul_f64 v[61:62], v[57:58], v[2:3]
	;; [unrolled: 3-line block ×4, first 2 shown]
	v_fma_f64 v[18:19], v[53:54], v[0:1], -v[18:19]
	v_fma_f64 v[45:46], v[55:56], v[0:1], v[45:46]
	v_fma_f64 v[49:50], v[57:58], v[0:1], -v[49:50]
	v_fma_f64 v[53:54], v[59:60], v[0:1], v[61:62]
	;; [unrolled: 2-line block ×4, first 2 shown]
	s_waitcnt vmcnt(3)
	v_add_f64 v[6:7], v[6:7], -v[18:19]
	v_add_f64 v[8:9], v[8:9], -v[45:46]
	s_waitcnt vmcnt(2)
	v_add_f64 v[10:11], v[10:11], -v[49:50]
	v_add_f64 v[12:13], v[12:13], -v[53:54]
	;; [unrolled: 3-line block ×4, first 2 shown]
	s_clause 0x3
	scratch_store_b128 off, v[6:9], s7
	scratch_store_b128 off, v[10:13], s9
	;; [unrolled: 1-line block ×4, first 2 shown]
	s_cbranch_scc1 .LBB124_760
.LBB124_761:
	s_or_b32 exec_lo, exec_lo, s2
	s_waitcnt_vscnt null, 0x0
	s_barrier
	buffer_gl0_inv
	scratch_load_b128 v[0:3], v124, off
	v_lshl_add_u32 v4, v40, 4, v20
	s_cmp_lt_i32 s5, 33
	s_waitcnt vmcnt(0)
	ds_store_2addr_b64 v4, v[0:1], v[2:3] offset1:1
	s_waitcnt lgkmcnt(0)
	s_barrier
	buffer_gl0_inv
	ds_load_2addr_b64 v[0:3], v20 offset0:62 offset1:63
	v_mov_b32_e32 v4, 31
	s_cbranch_scc1 .LBB124_764
; %bb.762:
	v_add3_u32 v5, v38, 0, 0x200
	v_mov_b32_e32 v4, 31
	s_mov_b32 s6, 32
	s_set_inst_prefetch_distance 0x1
	.p2align	6
.LBB124_763:                            ; =>This Inner Loop Header: Depth=1
	ds_load_2addr_b64 v[6:9], v5 offset1:1
	s_waitcnt lgkmcnt(1)
	v_cmp_gt_f64_e32 vcc_lo, 0, v[0:1]
	v_xor_b32_e32 v10, 0x80000000, v1
	v_cmp_gt_f64_e64 s2, 0, v[2:3]
	v_xor_b32_e32 v12, 0x80000000, v3
	v_add_nc_u32_e32 v5, 16, v5
	s_waitcnt lgkmcnt(0)
	v_cmp_gt_f64_e64 s3, 0, v[6:7]
	v_mov_b32_e32 v14, v6
	v_dual_mov_b32 v16, v8 :: v_dual_cndmask_b32 v11, v1, v10
	v_xor_b32_e32 v10, 0x80000000, v7
	v_cndmask_b32_e64 v13, v3, v12, s2
	v_xor_b32_e32 v12, 0x80000000, v9
	s_delay_alu instid0(VALU_DEP_3) | instskip(SKIP_2) | instid1(VALU_DEP_2)
	v_cndmask_b32_e64 v15, v7, v10, s3
	v_cmp_gt_f64_e64 s3, 0, v[8:9]
	v_cndmask_b32_e32 v10, v0, v0, vcc_lo
	v_cndmask_b32_e64 v17, v9, v12, s3
	v_cndmask_b32_e64 v12, v2, v2, s2
	s_delay_alu instid0(VALU_DEP_2) | instskip(NEXT) | instid1(VALU_DEP_2)
	v_add_f64 v[14:15], v[14:15], v[16:17]
	v_add_f64 v[10:11], v[10:11], v[12:13]
	s_delay_alu instid0(VALU_DEP_1)
	v_cmp_lt_f64_e32 vcc_lo, v[10:11], v[14:15]
	v_cndmask_b32_e32 v3, v3, v9, vcc_lo
	v_dual_cndmask_b32 v1, v1, v7 :: v_dual_cndmask_b32 v0, v0, v6
	v_cndmask_b32_e32 v2, v2, v8, vcc_lo
	v_cndmask_b32_e64 v4, v4, s6, vcc_lo
	s_add_i32 s6, s6, 1
	s_delay_alu instid0(SALU_CYCLE_1)
	s_cmp_lg_u32 s5, s6
	s_cbranch_scc1 .LBB124_763
.LBB124_764:
	s_set_inst_prefetch_distance 0x2
	s_waitcnt lgkmcnt(0)
	v_cmp_eq_f64_e32 vcc_lo, 0, v[0:1]
	v_cmp_eq_f64_e64 s2, 0, v[2:3]
	s_delay_alu instid0(VALU_DEP_1) | instskip(NEXT) | instid1(SALU_CYCLE_1)
	s_and_b32 s2, vcc_lo, s2
	s_and_saveexec_b32 s3, s2
	s_delay_alu instid0(SALU_CYCLE_1)
	s_xor_b32 s2, exec_lo, s3
; %bb.765:
	v_cmp_ne_u32_e32 vcc_lo, 0, v37
	v_cndmask_b32_e32 v37, 32, v37, vcc_lo
; %bb.766:
	s_and_not1_saveexec_b32 s3, s2
	s_cbranch_execz .LBB124_772
; %bb.767:
	v_cmp_gt_f64_e32 vcc_lo, 0, v[0:1]
	v_cmp_gt_f64_e64 s2, 0, v[2:3]
	v_xor_b32_e32 v5, 0x80000000, v1
	v_xor_b32_e32 v7, 0x80000000, v3
	s_delay_alu instid0(VALU_DEP_2) | instskip(NEXT) | instid1(VALU_DEP_2)
	v_dual_cndmask_b32 v6, v1, v5 :: v_dual_cndmask_b32 v5, v0, v0
	v_cndmask_b32_e64 v8, v3, v7, s2
	v_cndmask_b32_e64 v7, v2, v2, s2
	s_mov_b32 s2, exec_lo
	s_delay_alu instid0(VALU_DEP_1)
	v_cmpx_ngt_f64_e32 v[5:6], v[7:8]
	s_xor_b32 s2, exec_lo, s2
	s_cbranch_execz .LBB124_769
; %bb.768:
	v_div_scale_f64 v[5:6], null, v[2:3], v[2:3], v[0:1]
	v_div_scale_f64 v[11:12], vcc_lo, v[0:1], v[2:3], v[0:1]
	s_delay_alu instid0(VALU_DEP_2) | instskip(SKIP_2) | instid1(VALU_DEP_1)
	v_rcp_f64_e32 v[7:8], v[5:6]
	s_waitcnt_depctr 0xfff
	v_fma_f64 v[9:10], -v[5:6], v[7:8], 1.0
	v_fma_f64 v[7:8], v[7:8], v[9:10], v[7:8]
	s_delay_alu instid0(VALU_DEP_1) | instskip(NEXT) | instid1(VALU_DEP_1)
	v_fma_f64 v[9:10], -v[5:6], v[7:8], 1.0
	v_fma_f64 v[7:8], v[7:8], v[9:10], v[7:8]
	s_delay_alu instid0(VALU_DEP_1) | instskip(NEXT) | instid1(VALU_DEP_1)
	v_mul_f64 v[9:10], v[11:12], v[7:8]
	v_fma_f64 v[5:6], -v[5:6], v[9:10], v[11:12]
	s_delay_alu instid0(VALU_DEP_1) | instskip(NEXT) | instid1(VALU_DEP_1)
	v_div_fmas_f64 v[5:6], v[5:6], v[7:8], v[9:10]
	v_div_fixup_f64 v[5:6], v[5:6], v[2:3], v[0:1]
	s_delay_alu instid0(VALU_DEP_1) | instskip(NEXT) | instid1(VALU_DEP_1)
	v_fma_f64 v[0:1], v[0:1], v[5:6], v[2:3]
	v_div_scale_f64 v[2:3], null, v[0:1], v[0:1], 1.0
	s_delay_alu instid0(VALU_DEP_1) | instskip(SKIP_2) | instid1(VALU_DEP_1)
	v_rcp_f64_e32 v[7:8], v[2:3]
	s_waitcnt_depctr 0xfff
	v_fma_f64 v[9:10], -v[2:3], v[7:8], 1.0
	v_fma_f64 v[7:8], v[7:8], v[9:10], v[7:8]
	s_delay_alu instid0(VALU_DEP_1) | instskip(NEXT) | instid1(VALU_DEP_1)
	v_fma_f64 v[9:10], -v[2:3], v[7:8], 1.0
	v_fma_f64 v[7:8], v[7:8], v[9:10], v[7:8]
	v_div_scale_f64 v[9:10], vcc_lo, 1.0, v[0:1], 1.0
	s_delay_alu instid0(VALU_DEP_1) | instskip(NEXT) | instid1(VALU_DEP_1)
	v_mul_f64 v[11:12], v[9:10], v[7:8]
	v_fma_f64 v[2:3], -v[2:3], v[11:12], v[9:10]
	s_delay_alu instid0(VALU_DEP_1) | instskip(NEXT) | instid1(VALU_DEP_1)
	v_div_fmas_f64 v[2:3], v[2:3], v[7:8], v[11:12]
	v_div_fixup_f64 v[2:3], v[2:3], v[0:1], 1.0
	s_delay_alu instid0(VALU_DEP_1)
	v_mul_f64 v[0:1], v[5:6], v[2:3]
	v_xor_b32_e32 v3, 0x80000000, v3
.LBB124_769:
	s_and_not1_saveexec_b32 s2, s2
	s_cbranch_execz .LBB124_771
; %bb.770:
	s_delay_alu instid0(VALU_DEP_1) | instskip(SKIP_1) | instid1(VALU_DEP_2)
	v_div_scale_f64 v[5:6], null, v[0:1], v[0:1], v[2:3]
	v_div_scale_f64 v[11:12], vcc_lo, v[2:3], v[0:1], v[2:3]
	v_rcp_f64_e32 v[7:8], v[5:6]
	s_waitcnt_depctr 0xfff
	v_fma_f64 v[9:10], -v[5:6], v[7:8], 1.0
	s_delay_alu instid0(VALU_DEP_1) | instskip(NEXT) | instid1(VALU_DEP_1)
	v_fma_f64 v[7:8], v[7:8], v[9:10], v[7:8]
	v_fma_f64 v[9:10], -v[5:6], v[7:8], 1.0
	s_delay_alu instid0(VALU_DEP_1) | instskip(NEXT) | instid1(VALU_DEP_1)
	v_fma_f64 v[7:8], v[7:8], v[9:10], v[7:8]
	v_mul_f64 v[9:10], v[11:12], v[7:8]
	s_delay_alu instid0(VALU_DEP_1) | instskip(NEXT) | instid1(VALU_DEP_1)
	v_fma_f64 v[5:6], -v[5:6], v[9:10], v[11:12]
	v_div_fmas_f64 v[5:6], v[5:6], v[7:8], v[9:10]
	s_delay_alu instid0(VALU_DEP_1) | instskip(NEXT) | instid1(VALU_DEP_1)
	v_div_fixup_f64 v[5:6], v[5:6], v[0:1], v[2:3]
	v_fma_f64 v[0:1], v[2:3], v[5:6], v[0:1]
	s_delay_alu instid0(VALU_DEP_1) | instskip(NEXT) | instid1(VALU_DEP_1)
	v_div_scale_f64 v[2:3], null, v[0:1], v[0:1], 1.0
	v_rcp_f64_e32 v[7:8], v[2:3]
	s_waitcnt_depctr 0xfff
	v_fma_f64 v[9:10], -v[2:3], v[7:8], 1.0
	s_delay_alu instid0(VALU_DEP_1) | instskip(NEXT) | instid1(VALU_DEP_1)
	v_fma_f64 v[7:8], v[7:8], v[9:10], v[7:8]
	v_fma_f64 v[9:10], -v[2:3], v[7:8], 1.0
	s_delay_alu instid0(VALU_DEP_1) | instskip(SKIP_1) | instid1(VALU_DEP_1)
	v_fma_f64 v[7:8], v[7:8], v[9:10], v[7:8]
	v_div_scale_f64 v[9:10], vcc_lo, 1.0, v[0:1], 1.0
	v_mul_f64 v[11:12], v[9:10], v[7:8]
	s_delay_alu instid0(VALU_DEP_1) | instskip(NEXT) | instid1(VALU_DEP_1)
	v_fma_f64 v[2:3], -v[2:3], v[11:12], v[9:10]
	v_div_fmas_f64 v[2:3], v[2:3], v[7:8], v[11:12]
	s_delay_alu instid0(VALU_DEP_1) | instskip(NEXT) | instid1(VALU_DEP_1)
	v_div_fixup_f64 v[0:1], v[2:3], v[0:1], 1.0
	v_mul_f64 v[2:3], v[5:6], -v[0:1]
.LBB124_771:
	s_or_b32 exec_lo, exec_lo, s2
.LBB124_772:
	s_delay_alu instid0(SALU_CYCLE_1) | instskip(NEXT) | instid1(SALU_CYCLE_1)
	s_or_b32 exec_lo, exec_lo, s3
	s_mov_b32 s2, exec_lo
	v_cmpx_ne_u32_e64 v40, v4
	s_xor_b32 s2, exec_lo, s2
	s_cbranch_execz .LBB124_778
; %bb.773:
	s_mov_b32 s3, exec_lo
	v_cmpx_eq_u32_e32 31, v40
	s_cbranch_execz .LBB124_777
; %bb.774:
	v_cmp_ne_u32_e32 vcc_lo, 31, v4
	s_xor_b32 s6, s4, -1
	s_delay_alu instid0(SALU_CYCLE_1) | instskip(NEXT) | instid1(SALU_CYCLE_1)
	s_and_b32 s7, s6, vcc_lo
	s_and_saveexec_b32 s6, s7
	s_cbranch_execz .LBB124_776
; %bb.775:
	v_ashrrev_i32_e32 v5, 31, v4
	s_delay_alu instid0(VALU_DEP_1) | instskip(NEXT) | instid1(VALU_DEP_1)
	v_lshlrev_b64 v[5:6], 2, v[4:5]
	v_add_co_u32 v5, vcc_lo, v145, v5
	s_delay_alu instid0(VALU_DEP_2)
	v_add_co_ci_u32_e32 v6, vcc_lo, v146, v6, vcc_lo
	s_clause 0x1
	flat_load_b32 v7, v[5:6]
	flat_load_b32 v8, v[145:146] offset:124
	s_waitcnt vmcnt(1) lgkmcnt(1)
	flat_store_b32 v[145:146], v7 offset:124
	s_waitcnt vmcnt(0) lgkmcnt(1)
	flat_store_b32 v[5:6], v8
.LBB124_776:
	s_or_b32 exec_lo, exec_lo, s6
	v_mov_b32_e32 v40, v4
	v_mov_b32_e32 v39, v4
.LBB124_777:
	s_or_b32 exec_lo, exec_lo, s3
.LBB124_778:
	s_and_not1_saveexec_b32 s2, s2
	s_cbranch_execz .LBB124_780
; %bb.779:
	s_clause 0x1e
	scratch_load_b128 v[4:7], v129, off
	scratch_load_b128 v[8:11], v128, off
	;; [unrolled: 1-line block ×31, first 2 shown]
	v_mov_b32_e32 v40, 31
	s_waitcnt vmcnt(30)
	ds_store_2addr_b64 v20, v[4:5], v[6:7] offset0:64 offset1:65
	s_waitcnt vmcnt(29)
	ds_store_2addr_b64 v20, v[8:9], v[10:11] offset0:66 offset1:67
	;; [unrolled: 2-line block ×31, first 2 shown]
.LBB124_780:
	s_or_b32 exec_lo, exec_lo, s2
	s_delay_alu instid0(SALU_CYCLE_1)
	s_mov_b32 s2, exec_lo
	s_waitcnt lgkmcnt(0)
	s_waitcnt_vscnt null, 0x0
	s_barrier
	buffer_gl0_inv
	v_cmpx_lt_i32_e32 31, v40
	s_cbranch_execz .LBB124_785
; %bb.781:
	scratch_load_b128 v[4:7], off, off offset:496
	s_mov_b32 s3, 0
	s_waitcnt vmcnt(0)
	v_mul_f64 v[8:9], v[2:3], v[6:7]
	v_mul_f64 v[6:7], v[0:1], v[6:7]
	s_delay_alu instid0(VALU_DEP_2) | instskip(NEXT) | instid1(VALU_DEP_2)
	v_fma_f64 v[0:1], v[0:1], v[4:5], -v[8:9]
	v_fma_f64 v[2:3], v[2:3], v[4:5], v[6:7]
	v_add3_u32 v4, v38, 0, 0x200
	v_mov_b32_e32 v5, 0
	scratch_store_b128 off, v[0:3], off offset:496
	s_branch .LBB124_783
.LBB124_782:                            ;   in Loop: Header=BB124_783 Depth=1
	s_and_not1_b32 vcc_lo, exec_lo, s7
	s_cbranch_vccz .LBB124_785
.LBB124_783:                            ; =>This Inner Loop Header: Depth=1
	v_readfirstlane_b32 s6, v5
	v_add_nc_u32_e32 v6, s3, v4
	s_mov_b32 s7, -1
	s_delay_alu instid0(VALU_DEP_2) | instskip(NEXT) | instid1(SALU_CYCLE_1)
	s_add_i32 s6, s6, s3
	s_add_i32 s9, s6, 0x200
	;; [unrolled: 1-line block ×3, first 2 shown]
	scratch_load_b128 v[7:10], off, s9
	s_add_i32 s14, s6, 0x220
	s_clause 0x1
	scratch_load_b128 v[11:14], off, s12
	scratch_load_b128 v[15:18], off, s14
	ds_load_2addr_b64 v[41:44], v6 offset1:1
	ds_load_2addr_b64 v[53:56], v6 offset0:2 offset1:3
	ds_load_2addr_b64 v[57:60], v6 offset0:4 offset1:5
	s_cmpk_eq_i32 s3, 0x1c0
	s_waitcnt lgkmcnt(2)
	v_mul_f64 v[45:46], v[43:44], v[2:3]
	v_mul_f64 v[49:50], v[41:42], v[2:3]
	s_waitcnt lgkmcnt(1)
	v_mul_f64 v[61:62], v[55:56], v[2:3]
	v_mul_f64 v[65:66], v[53:54], v[2:3]
	;; [unrolled: 3-line block ×3, first 2 shown]
	v_fma_f64 v[41:42], v[41:42], v[0:1], -v[45:46]
	v_fma_f64 v[43:44], v[43:44], v[0:1], v[49:50]
	v_fma_f64 v[45:46], v[53:54], v[0:1], -v[61:62]
	v_fma_f64 v[49:50], v[55:56], v[0:1], v[65:66]
	v_fma_f64 v[53:54], v[57:58], v[0:1], -v[67:68]
	v_fma_f64 v[55:56], v[59:60], v[0:1], v[69:70]
	s_waitcnt vmcnt(2)
	v_add_f64 v[7:8], v[7:8], -v[41:42]
	v_add_f64 v[9:10], v[9:10], -v[43:44]
	s_waitcnt vmcnt(1)
	v_add_f64 v[11:12], v[11:12], -v[45:46]
	v_add_f64 v[13:14], v[13:14], -v[49:50]
	;; [unrolled: 3-line block ×3, first 2 shown]
	s_clause 0x2
	scratch_store_b128 off, v[7:10], s9
	scratch_store_b128 off, v[11:14], s12
	;; [unrolled: 1-line block ×3, first 2 shown]
	s_cbranch_scc1 .LBB124_782
; %bb.784:                              ;   in Loop: Header=BB124_783 Depth=1
	s_addk_i32 s6, 0x230
	ds_load_2addr_b64 v[11:14], v6 offset0:6 offset1:7
	scratch_load_b128 v[7:10], off, s6
	s_add_i32 s3, s3, 64
	s_mov_b32 s7, 0
	s_waitcnt lgkmcnt(0)
	v_mul_f64 v[15:16], v[13:14], v[2:3]
	v_mul_f64 v[17:18], v[11:12], v[2:3]
	s_delay_alu instid0(VALU_DEP_2) | instskip(NEXT) | instid1(VALU_DEP_2)
	v_fma_f64 v[11:12], v[11:12], v[0:1], -v[15:16]
	v_fma_f64 v[13:14], v[13:14], v[0:1], v[17:18]
	s_waitcnt vmcnt(0)
	s_delay_alu instid0(VALU_DEP_2) | instskip(NEXT) | instid1(VALU_DEP_2)
	v_add_f64 v[6:7], v[7:8], -v[11:12]
	v_add_f64 v[8:9], v[9:10], -v[13:14]
	scratch_store_b128 off, v[6:9], s6
	s_branch .LBB124_782
.LBB124_785:
	s_or_b32 exec_lo, exec_lo, s2
	s_waitcnt_vscnt null, 0x0
	s_barrier
	buffer_gl0_inv
	scratch_load_b128 v[0:3], v129, off
	v_lshl_add_u32 v4, v40, 4, v20
	s_cmp_lt_i32 s5, 34
	s_waitcnt vmcnt(0)
	ds_store_2addr_b64 v4, v[0:1], v[2:3] offset1:1
	s_waitcnt lgkmcnt(0)
	s_barrier
	buffer_gl0_inv
	ds_load_2addr_b64 v[0:3], v20 offset0:64 offset1:65
	v_mov_b32_e32 v4, 32
	s_cbranch_scc1 .LBB124_788
; %bb.786:
	v_add3_u32 v5, v38, 0, 0x210
	v_mov_b32_e32 v4, 32
	s_mov_b32 s6, 33
	s_set_inst_prefetch_distance 0x1
	.p2align	6
.LBB124_787:                            ; =>This Inner Loop Header: Depth=1
	ds_load_2addr_b64 v[6:9], v5 offset1:1
	s_waitcnt lgkmcnt(1)
	v_cmp_gt_f64_e32 vcc_lo, 0, v[0:1]
	v_xor_b32_e32 v10, 0x80000000, v1
	v_cmp_gt_f64_e64 s2, 0, v[2:3]
	v_xor_b32_e32 v12, 0x80000000, v3
	v_add_nc_u32_e32 v5, 16, v5
	s_waitcnt lgkmcnt(0)
	v_cmp_gt_f64_e64 s3, 0, v[6:7]
	v_mov_b32_e32 v14, v6
	v_dual_mov_b32 v16, v8 :: v_dual_cndmask_b32 v11, v1, v10
	v_xor_b32_e32 v10, 0x80000000, v7
	v_cndmask_b32_e64 v13, v3, v12, s2
	v_xor_b32_e32 v12, 0x80000000, v9
	s_delay_alu instid0(VALU_DEP_3) | instskip(SKIP_2) | instid1(VALU_DEP_2)
	v_cndmask_b32_e64 v15, v7, v10, s3
	v_cmp_gt_f64_e64 s3, 0, v[8:9]
	v_cndmask_b32_e32 v10, v0, v0, vcc_lo
	v_cndmask_b32_e64 v17, v9, v12, s3
	v_cndmask_b32_e64 v12, v2, v2, s2
	s_delay_alu instid0(VALU_DEP_2) | instskip(NEXT) | instid1(VALU_DEP_2)
	v_add_f64 v[14:15], v[14:15], v[16:17]
	v_add_f64 v[10:11], v[10:11], v[12:13]
	s_delay_alu instid0(VALU_DEP_1)
	v_cmp_lt_f64_e32 vcc_lo, v[10:11], v[14:15]
	v_cndmask_b32_e32 v3, v3, v9, vcc_lo
	v_dual_cndmask_b32 v1, v1, v7 :: v_dual_cndmask_b32 v0, v0, v6
	v_cndmask_b32_e32 v2, v2, v8, vcc_lo
	v_cndmask_b32_e64 v4, v4, s6, vcc_lo
	s_add_i32 s6, s6, 1
	s_delay_alu instid0(SALU_CYCLE_1)
	s_cmp_lg_u32 s5, s6
	s_cbranch_scc1 .LBB124_787
.LBB124_788:
	s_set_inst_prefetch_distance 0x2
	s_waitcnt lgkmcnt(0)
	v_cmp_eq_f64_e32 vcc_lo, 0, v[0:1]
	v_cmp_eq_f64_e64 s2, 0, v[2:3]
	s_delay_alu instid0(VALU_DEP_1) | instskip(NEXT) | instid1(SALU_CYCLE_1)
	s_and_b32 s2, vcc_lo, s2
	s_and_saveexec_b32 s3, s2
	s_delay_alu instid0(SALU_CYCLE_1)
	s_xor_b32 s2, exec_lo, s3
; %bb.789:
	v_cmp_ne_u32_e32 vcc_lo, 0, v37
	v_cndmask_b32_e32 v37, 33, v37, vcc_lo
; %bb.790:
	s_and_not1_saveexec_b32 s3, s2
	s_cbranch_execz .LBB124_796
; %bb.791:
	v_cmp_gt_f64_e32 vcc_lo, 0, v[0:1]
	v_cmp_gt_f64_e64 s2, 0, v[2:3]
	v_xor_b32_e32 v5, 0x80000000, v1
	v_xor_b32_e32 v7, 0x80000000, v3
	s_delay_alu instid0(VALU_DEP_2) | instskip(NEXT) | instid1(VALU_DEP_2)
	v_dual_cndmask_b32 v6, v1, v5 :: v_dual_cndmask_b32 v5, v0, v0
	v_cndmask_b32_e64 v8, v3, v7, s2
	v_cndmask_b32_e64 v7, v2, v2, s2
	s_mov_b32 s2, exec_lo
	s_delay_alu instid0(VALU_DEP_1)
	v_cmpx_ngt_f64_e32 v[5:6], v[7:8]
	s_xor_b32 s2, exec_lo, s2
	s_cbranch_execz .LBB124_793
; %bb.792:
	v_div_scale_f64 v[5:6], null, v[2:3], v[2:3], v[0:1]
	v_div_scale_f64 v[11:12], vcc_lo, v[0:1], v[2:3], v[0:1]
	s_delay_alu instid0(VALU_DEP_2) | instskip(SKIP_2) | instid1(VALU_DEP_1)
	v_rcp_f64_e32 v[7:8], v[5:6]
	s_waitcnt_depctr 0xfff
	v_fma_f64 v[9:10], -v[5:6], v[7:8], 1.0
	v_fma_f64 v[7:8], v[7:8], v[9:10], v[7:8]
	s_delay_alu instid0(VALU_DEP_1) | instskip(NEXT) | instid1(VALU_DEP_1)
	v_fma_f64 v[9:10], -v[5:6], v[7:8], 1.0
	v_fma_f64 v[7:8], v[7:8], v[9:10], v[7:8]
	s_delay_alu instid0(VALU_DEP_1) | instskip(NEXT) | instid1(VALU_DEP_1)
	v_mul_f64 v[9:10], v[11:12], v[7:8]
	v_fma_f64 v[5:6], -v[5:6], v[9:10], v[11:12]
	s_delay_alu instid0(VALU_DEP_1) | instskip(NEXT) | instid1(VALU_DEP_1)
	v_div_fmas_f64 v[5:6], v[5:6], v[7:8], v[9:10]
	v_div_fixup_f64 v[5:6], v[5:6], v[2:3], v[0:1]
	s_delay_alu instid0(VALU_DEP_1) | instskip(NEXT) | instid1(VALU_DEP_1)
	v_fma_f64 v[0:1], v[0:1], v[5:6], v[2:3]
	v_div_scale_f64 v[2:3], null, v[0:1], v[0:1], 1.0
	s_delay_alu instid0(VALU_DEP_1) | instskip(SKIP_2) | instid1(VALU_DEP_1)
	v_rcp_f64_e32 v[7:8], v[2:3]
	s_waitcnt_depctr 0xfff
	v_fma_f64 v[9:10], -v[2:3], v[7:8], 1.0
	v_fma_f64 v[7:8], v[7:8], v[9:10], v[7:8]
	s_delay_alu instid0(VALU_DEP_1) | instskip(NEXT) | instid1(VALU_DEP_1)
	v_fma_f64 v[9:10], -v[2:3], v[7:8], 1.0
	v_fma_f64 v[7:8], v[7:8], v[9:10], v[7:8]
	v_div_scale_f64 v[9:10], vcc_lo, 1.0, v[0:1], 1.0
	s_delay_alu instid0(VALU_DEP_1) | instskip(NEXT) | instid1(VALU_DEP_1)
	v_mul_f64 v[11:12], v[9:10], v[7:8]
	v_fma_f64 v[2:3], -v[2:3], v[11:12], v[9:10]
	s_delay_alu instid0(VALU_DEP_1) | instskip(NEXT) | instid1(VALU_DEP_1)
	v_div_fmas_f64 v[2:3], v[2:3], v[7:8], v[11:12]
	v_div_fixup_f64 v[2:3], v[2:3], v[0:1], 1.0
	s_delay_alu instid0(VALU_DEP_1)
	v_mul_f64 v[0:1], v[5:6], v[2:3]
	v_xor_b32_e32 v3, 0x80000000, v3
.LBB124_793:
	s_and_not1_saveexec_b32 s2, s2
	s_cbranch_execz .LBB124_795
; %bb.794:
	s_delay_alu instid0(VALU_DEP_1) | instskip(SKIP_1) | instid1(VALU_DEP_2)
	v_div_scale_f64 v[5:6], null, v[0:1], v[0:1], v[2:3]
	v_div_scale_f64 v[11:12], vcc_lo, v[2:3], v[0:1], v[2:3]
	v_rcp_f64_e32 v[7:8], v[5:6]
	s_waitcnt_depctr 0xfff
	v_fma_f64 v[9:10], -v[5:6], v[7:8], 1.0
	s_delay_alu instid0(VALU_DEP_1) | instskip(NEXT) | instid1(VALU_DEP_1)
	v_fma_f64 v[7:8], v[7:8], v[9:10], v[7:8]
	v_fma_f64 v[9:10], -v[5:6], v[7:8], 1.0
	s_delay_alu instid0(VALU_DEP_1) | instskip(NEXT) | instid1(VALU_DEP_1)
	v_fma_f64 v[7:8], v[7:8], v[9:10], v[7:8]
	v_mul_f64 v[9:10], v[11:12], v[7:8]
	s_delay_alu instid0(VALU_DEP_1) | instskip(NEXT) | instid1(VALU_DEP_1)
	v_fma_f64 v[5:6], -v[5:6], v[9:10], v[11:12]
	v_div_fmas_f64 v[5:6], v[5:6], v[7:8], v[9:10]
	s_delay_alu instid0(VALU_DEP_1) | instskip(NEXT) | instid1(VALU_DEP_1)
	v_div_fixup_f64 v[5:6], v[5:6], v[0:1], v[2:3]
	v_fma_f64 v[0:1], v[2:3], v[5:6], v[0:1]
	s_delay_alu instid0(VALU_DEP_1) | instskip(NEXT) | instid1(VALU_DEP_1)
	v_div_scale_f64 v[2:3], null, v[0:1], v[0:1], 1.0
	v_rcp_f64_e32 v[7:8], v[2:3]
	s_waitcnt_depctr 0xfff
	v_fma_f64 v[9:10], -v[2:3], v[7:8], 1.0
	s_delay_alu instid0(VALU_DEP_1) | instskip(NEXT) | instid1(VALU_DEP_1)
	v_fma_f64 v[7:8], v[7:8], v[9:10], v[7:8]
	v_fma_f64 v[9:10], -v[2:3], v[7:8], 1.0
	s_delay_alu instid0(VALU_DEP_1) | instskip(SKIP_1) | instid1(VALU_DEP_1)
	v_fma_f64 v[7:8], v[7:8], v[9:10], v[7:8]
	v_div_scale_f64 v[9:10], vcc_lo, 1.0, v[0:1], 1.0
	v_mul_f64 v[11:12], v[9:10], v[7:8]
	s_delay_alu instid0(VALU_DEP_1) | instskip(NEXT) | instid1(VALU_DEP_1)
	v_fma_f64 v[2:3], -v[2:3], v[11:12], v[9:10]
	v_div_fmas_f64 v[2:3], v[2:3], v[7:8], v[11:12]
	s_delay_alu instid0(VALU_DEP_1) | instskip(NEXT) | instid1(VALU_DEP_1)
	v_div_fixup_f64 v[0:1], v[2:3], v[0:1], 1.0
	v_mul_f64 v[2:3], v[5:6], -v[0:1]
.LBB124_795:
	s_or_b32 exec_lo, exec_lo, s2
.LBB124_796:
	s_delay_alu instid0(SALU_CYCLE_1) | instskip(NEXT) | instid1(SALU_CYCLE_1)
	s_or_b32 exec_lo, exec_lo, s3
	s_mov_b32 s2, exec_lo
	v_cmpx_ne_u32_e64 v40, v4
	s_xor_b32 s2, exec_lo, s2
	s_cbranch_execz .LBB124_802
; %bb.797:
	s_mov_b32 s3, exec_lo
	v_cmpx_eq_u32_e32 32, v40
	s_cbranch_execz .LBB124_801
; %bb.798:
	v_cmp_ne_u32_e32 vcc_lo, 32, v4
	s_xor_b32 s6, s4, -1
	s_delay_alu instid0(SALU_CYCLE_1) | instskip(NEXT) | instid1(SALU_CYCLE_1)
	s_and_b32 s7, s6, vcc_lo
	s_and_saveexec_b32 s6, s7
	s_cbranch_execz .LBB124_800
; %bb.799:
	v_ashrrev_i32_e32 v5, 31, v4
	s_delay_alu instid0(VALU_DEP_1) | instskip(NEXT) | instid1(VALU_DEP_1)
	v_lshlrev_b64 v[5:6], 2, v[4:5]
	v_add_co_u32 v5, vcc_lo, v145, v5
	s_delay_alu instid0(VALU_DEP_2)
	v_add_co_ci_u32_e32 v6, vcc_lo, v146, v6, vcc_lo
	s_clause 0x1
	flat_load_b32 v7, v[5:6]
	flat_load_b32 v8, v[145:146] offset:128
	s_waitcnt vmcnt(1) lgkmcnt(1)
	flat_store_b32 v[145:146], v7 offset:128
	s_waitcnt vmcnt(0) lgkmcnt(1)
	flat_store_b32 v[5:6], v8
.LBB124_800:
	s_or_b32 exec_lo, exec_lo, s6
	v_mov_b32_e32 v40, v4
	v_mov_b32_e32 v39, v4
.LBB124_801:
	s_or_b32 exec_lo, exec_lo, s3
.LBB124_802:
	s_and_not1_saveexec_b32 s2, s2
	s_cbranch_execz .LBB124_804
; %bb.803:
	s_clause 0x1d
	scratch_load_b128 v[4:7], v128, off
	scratch_load_b128 v[8:11], v136, off
	;; [unrolled: 1-line block ×30, first 2 shown]
	v_mov_b32_e32 v40, 32
	s_waitcnt vmcnt(29)
	ds_store_2addr_b64 v20, v[4:5], v[6:7] offset0:66 offset1:67
	s_waitcnt vmcnt(28)
	ds_store_2addr_b64 v20, v[8:9], v[10:11] offset0:68 offset1:69
	;; [unrolled: 2-line block ×30, first 2 shown]
.LBB124_804:
	s_or_b32 exec_lo, exec_lo, s2
	s_delay_alu instid0(SALU_CYCLE_1)
	s_mov_b32 s2, exec_lo
	s_waitcnt lgkmcnt(0)
	s_waitcnt_vscnt null, 0x0
	s_barrier
	buffer_gl0_inv
	v_cmpx_lt_i32_e32 32, v40
	s_cbranch_execz .LBB124_807
; %bb.805:
	scratch_load_b128 v[4:7], off, off offset:512
	s_mov_b32 s3, 0
	s_waitcnt vmcnt(0)
	v_mul_f64 v[8:9], v[2:3], v[6:7]
	v_mul_f64 v[6:7], v[0:1], v[6:7]
	s_delay_alu instid0(VALU_DEP_2) | instskip(NEXT) | instid1(VALU_DEP_2)
	v_fma_f64 v[0:1], v[0:1], v[4:5], -v[8:9]
	v_fma_f64 v[2:3], v[2:3], v[4:5], v[6:7]
	v_add3_u32 v4, v38, 0, 0x210
	v_mov_b32_e32 v5, 0
	scratch_store_b128 off, v[0:3], off offset:512
.LBB124_806:                            ; =>This Inner Loop Header: Depth=1
	v_readfirstlane_b32 s6, v5
	v_add_nc_u32_e32 v18, s3, v4
	s_delay_alu instid0(VALU_DEP_2)
	s_add_i32 s7, s6, s3
	s_addk_i32 s3, 0x60
	s_add_i32 s6, s7, 0x210
	s_add_i32 s9, s7, 0x220
	;; [unrolled: 1-line block ×5, first 2 shown]
	s_addk_i32 s7, 0x260
	s_clause 0x5
	scratch_load_b128 v[6:9], off, s6
	scratch_load_b128 v[10:13], off, s9
	;; [unrolled: 1-line block ×6, first 2 shown]
	ds_load_2addr_b64 v[65:68], v18 offset1:1
	ds_load_2addr_b64 v[73:76], v18 offset0:2 offset1:3
	ds_load_2addr_b64 v[81:84], v18 offset0:4 offset1:5
	;; [unrolled: 1-line block ×5, first 2 shown]
	s_cmpk_lg_i32 s3, 0x1e0
	s_waitcnt lgkmcnt(5)
	v_mul_f64 v[18:19], v[67:68], v[2:3]
	v_mul_f64 v[45:46], v[65:66], v[2:3]
	s_waitcnt lgkmcnt(4)
	v_mul_f64 v[49:50], v[75:76], v[2:3]
	v_mul_f64 v[61:62], v[73:74], v[2:3]
	;; [unrolled: 3-line block ×6, first 2 shown]
	v_fma_f64 v[18:19], v[65:66], v[0:1], -v[18:19]
	v_fma_f64 v[45:46], v[67:68], v[0:1], v[45:46]
	v_fma_f64 v[49:50], v[73:74], v[0:1], -v[49:50]
	v_fma_f64 v[61:62], v[75:76], v[0:1], v[61:62]
	;; [unrolled: 2-line block ×6, first 2 shown]
	s_waitcnt vmcnt(5)
	v_add_f64 v[6:7], v[6:7], -v[18:19]
	v_add_f64 v[8:9], v[8:9], -v[45:46]
	s_waitcnt vmcnt(4)
	v_add_f64 v[10:11], v[10:11], -v[49:50]
	v_add_f64 v[12:13], v[12:13], -v[61:62]
	;; [unrolled: 3-line block ×6, first 2 shown]
	s_clause 0x5
	scratch_store_b128 off, v[6:9], s6
	scratch_store_b128 off, v[10:13], s9
	;; [unrolled: 1-line block ×6, first 2 shown]
	s_cbranch_scc1 .LBB124_806
.LBB124_807:
	s_or_b32 exec_lo, exec_lo, s2
	s_waitcnt_vscnt null, 0x0
	s_barrier
	buffer_gl0_inv
	scratch_load_b128 v[0:3], v128, off
	v_lshl_add_u32 v4, v40, 4, v20
	s_cmp_lt_i32 s5, 35
	s_waitcnt vmcnt(0)
	ds_store_2addr_b64 v4, v[0:1], v[2:3] offset1:1
	s_waitcnt lgkmcnt(0)
	s_barrier
	buffer_gl0_inv
	ds_load_2addr_b64 v[0:3], v20 offset0:66 offset1:67
	v_mov_b32_e32 v4, 33
	s_cbranch_scc1 .LBB124_810
; %bb.808:
	v_add3_u32 v5, v38, 0, 0x220
	v_mov_b32_e32 v4, 33
	s_mov_b32 s6, 34
	s_set_inst_prefetch_distance 0x1
	.p2align	6
.LBB124_809:                            ; =>This Inner Loop Header: Depth=1
	ds_load_2addr_b64 v[6:9], v5 offset1:1
	s_waitcnt lgkmcnt(1)
	v_cmp_gt_f64_e32 vcc_lo, 0, v[0:1]
	v_xor_b32_e32 v10, 0x80000000, v1
	v_cmp_gt_f64_e64 s2, 0, v[2:3]
	v_xor_b32_e32 v12, 0x80000000, v3
	v_add_nc_u32_e32 v5, 16, v5
	s_waitcnt lgkmcnt(0)
	v_cmp_gt_f64_e64 s3, 0, v[6:7]
	v_mov_b32_e32 v14, v6
	v_dual_mov_b32 v16, v8 :: v_dual_cndmask_b32 v11, v1, v10
	v_xor_b32_e32 v10, 0x80000000, v7
	v_cndmask_b32_e64 v13, v3, v12, s2
	v_xor_b32_e32 v12, 0x80000000, v9
	s_delay_alu instid0(VALU_DEP_3) | instskip(SKIP_2) | instid1(VALU_DEP_2)
	v_cndmask_b32_e64 v15, v7, v10, s3
	v_cmp_gt_f64_e64 s3, 0, v[8:9]
	v_cndmask_b32_e32 v10, v0, v0, vcc_lo
	v_cndmask_b32_e64 v17, v9, v12, s3
	v_cndmask_b32_e64 v12, v2, v2, s2
	s_delay_alu instid0(VALU_DEP_2) | instskip(NEXT) | instid1(VALU_DEP_2)
	v_add_f64 v[14:15], v[14:15], v[16:17]
	v_add_f64 v[10:11], v[10:11], v[12:13]
	s_delay_alu instid0(VALU_DEP_1)
	v_cmp_lt_f64_e32 vcc_lo, v[10:11], v[14:15]
	v_cndmask_b32_e32 v3, v3, v9, vcc_lo
	v_dual_cndmask_b32 v1, v1, v7 :: v_dual_cndmask_b32 v0, v0, v6
	v_cndmask_b32_e32 v2, v2, v8, vcc_lo
	v_cndmask_b32_e64 v4, v4, s6, vcc_lo
	s_add_i32 s6, s6, 1
	s_delay_alu instid0(SALU_CYCLE_1)
	s_cmp_lg_u32 s5, s6
	s_cbranch_scc1 .LBB124_809
.LBB124_810:
	s_set_inst_prefetch_distance 0x2
	s_waitcnt lgkmcnt(0)
	v_cmp_eq_f64_e32 vcc_lo, 0, v[0:1]
	v_cmp_eq_f64_e64 s2, 0, v[2:3]
	s_delay_alu instid0(VALU_DEP_1) | instskip(NEXT) | instid1(SALU_CYCLE_1)
	s_and_b32 s2, vcc_lo, s2
	s_and_saveexec_b32 s3, s2
	s_delay_alu instid0(SALU_CYCLE_1)
	s_xor_b32 s2, exec_lo, s3
; %bb.811:
	v_cmp_ne_u32_e32 vcc_lo, 0, v37
	v_cndmask_b32_e32 v37, 34, v37, vcc_lo
; %bb.812:
	s_and_not1_saveexec_b32 s3, s2
	s_cbranch_execz .LBB124_818
; %bb.813:
	v_cmp_gt_f64_e32 vcc_lo, 0, v[0:1]
	v_cmp_gt_f64_e64 s2, 0, v[2:3]
	v_xor_b32_e32 v5, 0x80000000, v1
	v_xor_b32_e32 v7, 0x80000000, v3
	s_delay_alu instid0(VALU_DEP_2) | instskip(NEXT) | instid1(VALU_DEP_2)
	v_dual_cndmask_b32 v6, v1, v5 :: v_dual_cndmask_b32 v5, v0, v0
	v_cndmask_b32_e64 v8, v3, v7, s2
	v_cndmask_b32_e64 v7, v2, v2, s2
	s_mov_b32 s2, exec_lo
	s_delay_alu instid0(VALU_DEP_1)
	v_cmpx_ngt_f64_e32 v[5:6], v[7:8]
	s_xor_b32 s2, exec_lo, s2
	s_cbranch_execz .LBB124_815
; %bb.814:
	v_div_scale_f64 v[5:6], null, v[2:3], v[2:3], v[0:1]
	v_div_scale_f64 v[11:12], vcc_lo, v[0:1], v[2:3], v[0:1]
	s_delay_alu instid0(VALU_DEP_2) | instskip(SKIP_2) | instid1(VALU_DEP_1)
	v_rcp_f64_e32 v[7:8], v[5:6]
	s_waitcnt_depctr 0xfff
	v_fma_f64 v[9:10], -v[5:6], v[7:8], 1.0
	v_fma_f64 v[7:8], v[7:8], v[9:10], v[7:8]
	s_delay_alu instid0(VALU_DEP_1) | instskip(NEXT) | instid1(VALU_DEP_1)
	v_fma_f64 v[9:10], -v[5:6], v[7:8], 1.0
	v_fma_f64 v[7:8], v[7:8], v[9:10], v[7:8]
	s_delay_alu instid0(VALU_DEP_1) | instskip(NEXT) | instid1(VALU_DEP_1)
	v_mul_f64 v[9:10], v[11:12], v[7:8]
	v_fma_f64 v[5:6], -v[5:6], v[9:10], v[11:12]
	s_delay_alu instid0(VALU_DEP_1) | instskip(NEXT) | instid1(VALU_DEP_1)
	v_div_fmas_f64 v[5:6], v[5:6], v[7:8], v[9:10]
	v_div_fixup_f64 v[5:6], v[5:6], v[2:3], v[0:1]
	s_delay_alu instid0(VALU_DEP_1) | instskip(NEXT) | instid1(VALU_DEP_1)
	v_fma_f64 v[0:1], v[0:1], v[5:6], v[2:3]
	v_div_scale_f64 v[2:3], null, v[0:1], v[0:1], 1.0
	s_delay_alu instid0(VALU_DEP_1) | instskip(SKIP_2) | instid1(VALU_DEP_1)
	v_rcp_f64_e32 v[7:8], v[2:3]
	s_waitcnt_depctr 0xfff
	v_fma_f64 v[9:10], -v[2:3], v[7:8], 1.0
	v_fma_f64 v[7:8], v[7:8], v[9:10], v[7:8]
	s_delay_alu instid0(VALU_DEP_1) | instskip(NEXT) | instid1(VALU_DEP_1)
	v_fma_f64 v[9:10], -v[2:3], v[7:8], 1.0
	v_fma_f64 v[7:8], v[7:8], v[9:10], v[7:8]
	v_div_scale_f64 v[9:10], vcc_lo, 1.0, v[0:1], 1.0
	s_delay_alu instid0(VALU_DEP_1) | instskip(NEXT) | instid1(VALU_DEP_1)
	v_mul_f64 v[11:12], v[9:10], v[7:8]
	v_fma_f64 v[2:3], -v[2:3], v[11:12], v[9:10]
	s_delay_alu instid0(VALU_DEP_1) | instskip(NEXT) | instid1(VALU_DEP_1)
	v_div_fmas_f64 v[2:3], v[2:3], v[7:8], v[11:12]
	v_div_fixup_f64 v[2:3], v[2:3], v[0:1], 1.0
	s_delay_alu instid0(VALU_DEP_1)
	v_mul_f64 v[0:1], v[5:6], v[2:3]
	v_xor_b32_e32 v3, 0x80000000, v3
.LBB124_815:
	s_and_not1_saveexec_b32 s2, s2
	s_cbranch_execz .LBB124_817
; %bb.816:
	s_delay_alu instid0(VALU_DEP_1) | instskip(SKIP_1) | instid1(VALU_DEP_2)
	v_div_scale_f64 v[5:6], null, v[0:1], v[0:1], v[2:3]
	v_div_scale_f64 v[11:12], vcc_lo, v[2:3], v[0:1], v[2:3]
	v_rcp_f64_e32 v[7:8], v[5:6]
	s_waitcnt_depctr 0xfff
	v_fma_f64 v[9:10], -v[5:6], v[7:8], 1.0
	s_delay_alu instid0(VALU_DEP_1) | instskip(NEXT) | instid1(VALU_DEP_1)
	v_fma_f64 v[7:8], v[7:8], v[9:10], v[7:8]
	v_fma_f64 v[9:10], -v[5:6], v[7:8], 1.0
	s_delay_alu instid0(VALU_DEP_1) | instskip(NEXT) | instid1(VALU_DEP_1)
	v_fma_f64 v[7:8], v[7:8], v[9:10], v[7:8]
	v_mul_f64 v[9:10], v[11:12], v[7:8]
	s_delay_alu instid0(VALU_DEP_1) | instskip(NEXT) | instid1(VALU_DEP_1)
	v_fma_f64 v[5:6], -v[5:6], v[9:10], v[11:12]
	v_div_fmas_f64 v[5:6], v[5:6], v[7:8], v[9:10]
	s_delay_alu instid0(VALU_DEP_1) | instskip(NEXT) | instid1(VALU_DEP_1)
	v_div_fixup_f64 v[5:6], v[5:6], v[0:1], v[2:3]
	v_fma_f64 v[0:1], v[2:3], v[5:6], v[0:1]
	s_delay_alu instid0(VALU_DEP_1) | instskip(NEXT) | instid1(VALU_DEP_1)
	v_div_scale_f64 v[2:3], null, v[0:1], v[0:1], 1.0
	v_rcp_f64_e32 v[7:8], v[2:3]
	s_waitcnt_depctr 0xfff
	v_fma_f64 v[9:10], -v[2:3], v[7:8], 1.0
	s_delay_alu instid0(VALU_DEP_1) | instskip(NEXT) | instid1(VALU_DEP_1)
	v_fma_f64 v[7:8], v[7:8], v[9:10], v[7:8]
	v_fma_f64 v[9:10], -v[2:3], v[7:8], 1.0
	s_delay_alu instid0(VALU_DEP_1) | instskip(SKIP_1) | instid1(VALU_DEP_1)
	v_fma_f64 v[7:8], v[7:8], v[9:10], v[7:8]
	v_div_scale_f64 v[9:10], vcc_lo, 1.0, v[0:1], 1.0
	v_mul_f64 v[11:12], v[9:10], v[7:8]
	s_delay_alu instid0(VALU_DEP_1) | instskip(NEXT) | instid1(VALU_DEP_1)
	v_fma_f64 v[2:3], -v[2:3], v[11:12], v[9:10]
	v_div_fmas_f64 v[2:3], v[2:3], v[7:8], v[11:12]
	s_delay_alu instid0(VALU_DEP_1) | instskip(NEXT) | instid1(VALU_DEP_1)
	v_div_fixup_f64 v[0:1], v[2:3], v[0:1], 1.0
	v_mul_f64 v[2:3], v[5:6], -v[0:1]
.LBB124_817:
	s_or_b32 exec_lo, exec_lo, s2
.LBB124_818:
	s_delay_alu instid0(SALU_CYCLE_1) | instskip(NEXT) | instid1(SALU_CYCLE_1)
	s_or_b32 exec_lo, exec_lo, s3
	s_mov_b32 s2, exec_lo
	v_cmpx_ne_u32_e64 v40, v4
	s_xor_b32 s2, exec_lo, s2
	s_cbranch_execz .LBB124_824
; %bb.819:
	s_mov_b32 s3, exec_lo
	v_cmpx_eq_u32_e32 33, v40
	s_cbranch_execz .LBB124_823
; %bb.820:
	v_cmp_ne_u32_e32 vcc_lo, 33, v4
	s_xor_b32 s6, s4, -1
	s_delay_alu instid0(SALU_CYCLE_1) | instskip(NEXT) | instid1(SALU_CYCLE_1)
	s_and_b32 s7, s6, vcc_lo
	s_and_saveexec_b32 s6, s7
	s_cbranch_execz .LBB124_822
; %bb.821:
	v_ashrrev_i32_e32 v5, 31, v4
	s_delay_alu instid0(VALU_DEP_1) | instskip(NEXT) | instid1(VALU_DEP_1)
	v_lshlrev_b64 v[5:6], 2, v[4:5]
	v_add_co_u32 v5, vcc_lo, v145, v5
	s_delay_alu instid0(VALU_DEP_2)
	v_add_co_ci_u32_e32 v6, vcc_lo, v146, v6, vcc_lo
	s_clause 0x1
	flat_load_b32 v7, v[5:6]
	flat_load_b32 v8, v[145:146] offset:132
	s_waitcnt vmcnt(1) lgkmcnt(1)
	flat_store_b32 v[145:146], v7 offset:132
	s_waitcnt vmcnt(0) lgkmcnt(1)
	flat_store_b32 v[5:6], v8
.LBB124_822:
	s_or_b32 exec_lo, exec_lo, s6
	v_mov_b32_e32 v40, v4
	v_mov_b32_e32 v39, v4
.LBB124_823:
	s_or_b32 exec_lo, exec_lo, s3
.LBB124_824:
	s_and_not1_saveexec_b32 s2, s2
	s_cbranch_execz .LBB124_826
; %bb.825:
	s_clause 0x1c
	scratch_load_b128 v[4:7], v136, off
	scratch_load_b128 v[8:11], v140, off
	;; [unrolled: 1-line block ×29, first 2 shown]
	v_mov_b32_e32 v40, 33
	s_waitcnt vmcnt(28)
	ds_store_2addr_b64 v20, v[4:5], v[6:7] offset0:68 offset1:69
	s_waitcnt vmcnt(27)
	ds_store_2addr_b64 v20, v[8:9], v[10:11] offset0:70 offset1:71
	;; [unrolled: 2-line block ×29, first 2 shown]
.LBB124_826:
	s_or_b32 exec_lo, exec_lo, s2
	s_delay_alu instid0(SALU_CYCLE_1)
	s_mov_b32 s2, exec_lo
	s_waitcnt lgkmcnt(0)
	s_waitcnt_vscnt null, 0x0
	s_barrier
	buffer_gl0_inv
	v_cmpx_lt_i32_e32 33, v40
	s_cbranch_execz .LBB124_831
; %bb.827:
	scratch_load_b128 v[4:7], off, off offset:528
	s_mov_b32 s3, 0
	s_waitcnt vmcnt(0)
	v_mul_f64 v[8:9], v[2:3], v[6:7]
	v_mul_f64 v[6:7], v[0:1], v[6:7]
	s_delay_alu instid0(VALU_DEP_2) | instskip(NEXT) | instid1(VALU_DEP_2)
	v_fma_f64 v[0:1], v[0:1], v[4:5], -v[8:9]
	v_fma_f64 v[2:3], v[2:3], v[4:5], v[6:7]
	v_add3_u32 v4, v38, 0, 0x220
	v_mov_b32_e32 v5, 0
	scratch_store_b128 off, v[0:3], off offset:528
	s_branch .LBB124_829
.LBB124_828:                            ;   in Loop: Header=BB124_829 Depth=1
	s_and_not1_b32 vcc_lo, exec_lo, s7
	s_cbranch_vccz .LBB124_831
.LBB124_829:                            ; =>This Inner Loop Header: Depth=1
	v_readfirstlane_b32 s6, v5
	v_add_nc_u32_e32 v6, s3, v4
	s_mov_b32 s7, -1
	s_delay_alu instid0(VALU_DEP_2)
	s_add_i32 s6, s6, s3
	ds_load_2addr_b64 v[11:14], v6 offset1:1
	s_add_i32 s9, s6, 0x220
	s_cmpk_eq_i32 s3, 0x1c0
	scratch_load_b128 v[7:10], off, s9
	s_waitcnt lgkmcnt(0)
	v_mul_f64 v[15:16], v[13:14], v[2:3]
	v_mul_f64 v[17:18], v[11:12], v[2:3]
	s_delay_alu instid0(VALU_DEP_2) | instskip(NEXT) | instid1(VALU_DEP_2)
	v_fma_f64 v[11:12], v[11:12], v[0:1], -v[15:16]
	v_fma_f64 v[13:14], v[13:14], v[0:1], v[17:18]
	s_waitcnt vmcnt(0)
	s_delay_alu instid0(VALU_DEP_2) | instskip(NEXT) | instid1(VALU_DEP_2)
	v_add_f64 v[7:8], v[7:8], -v[11:12]
	v_add_f64 v[9:10], v[9:10], -v[13:14]
	scratch_store_b128 off, v[7:10], s9
	s_cbranch_scc1 .LBB124_828
; %bb.830:                              ;   in Loop: Header=BB124_829 Depth=1
	s_add_i32 s9, s6, 0x230
	s_add_i32 s12, s6, 0x240
	scratch_load_b128 v[7:10], off, s9
	s_addk_i32 s6, 0x250
	s_clause 0x1
	scratch_load_b128 v[11:14], off, s12
	scratch_load_b128 v[15:18], off, s6
	ds_load_2addr_b64 v[41:44], v6 offset0:2 offset1:3
	ds_load_2addr_b64 v[53:56], v6 offset0:4 offset1:5
	;; [unrolled: 1-line block ×3, first 2 shown]
	s_add_i32 s3, s3, 64
	s_mov_b32 s7, 0
	s_waitcnt lgkmcnt(2)
	v_mul_f64 v[45:46], v[43:44], v[2:3]
	v_mul_f64 v[49:50], v[41:42], v[2:3]
	s_waitcnt lgkmcnt(1)
	v_mul_f64 v[61:62], v[55:56], v[2:3]
	v_mul_f64 v[65:66], v[53:54], v[2:3]
	;; [unrolled: 3-line block ×3, first 2 shown]
	v_fma_f64 v[41:42], v[41:42], v[0:1], -v[45:46]
	v_fma_f64 v[43:44], v[43:44], v[0:1], v[49:50]
	v_fma_f64 v[45:46], v[53:54], v[0:1], -v[61:62]
	v_fma_f64 v[49:50], v[55:56], v[0:1], v[65:66]
	;; [unrolled: 2-line block ×3, first 2 shown]
	s_waitcnt vmcnt(2)
	v_add_f64 v[6:7], v[7:8], -v[41:42]
	v_add_f64 v[8:9], v[9:10], -v[43:44]
	s_waitcnt vmcnt(1)
	v_add_f64 v[10:11], v[11:12], -v[45:46]
	v_add_f64 v[12:13], v[13:14], -v[49:50]
	;; [unrolled: 3-line block ×3, first 2 shown]
	s_clause 0x2
	scratch_store_b128 off, v[6:9], s9
	scratch_store_b128 off, v[10:13], s12
	;; [unrolled: 1-line block ×3, first 2 shown]
	s_branch .LBB124_828
.LBB124_831:
	s_or_b32 exec_lo, exec_lo, s2
	s_waitcnt_vscnt null, 0x0
	s_barrier
	buffer_gl0_inv
	scratch_load_b128 v[0:3], v136, off
	v_lshl_add_u32 v4, v40, 4, v20
	s_cmp_lt_i32 s5, 36
	s_waitcnt vmcnt(0)
	ds_store_2addr_b64 v4, v[0:1], v[2:3] offset1:1
	s_waitcnt lgkmcnt(0)
	s_barrier
	buffer_gl0_inv
	ds_load_2addr_b64 v[0:3], v20 offset0:68 offset1:69
	v_mov_b32_e32 v4, 34
	s_cbranch_scc1 .LBB124_834
; %bb.832:
	v_add3_u32 v5, v38, 0, 0x230
	v_mov_b32_e32 v4, 34
	s_mov_b32 s6, 35
	s_set_inst_prefetch_distance 0x1
	.p2align	6
.LBB124_833:                            ; =>This Inner Loop Header: Depth=1
	ds_load_2addr_b64 v[6:9], v5 offset1:1
	s_waitcnt lgkmcnt(1)
	v_cmp_gt_f64_e32 vcc_lo, 0, v[0:1]
	v_xor_b32_e32 v10, 0x80000000, v1
	v_cmp_gt_f64_e64 s2, 0, v[2:3]
	v_xor_b32_e32 v12, 0x80000000, v3
	v_add_nc_u32_e32 v5, 16, v5
	s_waitcnt lgkmcnt(0)
	v_cmp_gt_f64_e64 s3, 0, v[6:7]
	v_mov_b32_e32 v14, v6
	v_dual_mov_b32 v16, v8 :: v_dual_cndmask_b32 v11, v1, v10
	v_xor_b32_e32 v10, 0x80000000, v7
	v_cndmask_b32_e64 v13, v3, v12, s2
	v_xor_b32_e32 v12, 0x80000000, v9
	s_delay_alu instid0(VALU_DEP_3) | instskip(SKIP_2) | instid1(VALU_DEP_2)
	v_cndmask_b32_e64 v15, v7, v10, s3
	v_cmp_gt_f64_e64 s3, 0, v[8:9]
	v_cndmask_b32_e32 v10, v0, v0, vcc_lo
	v_cndmask_b32_e64 v17, v9, v12, s3
	v_cndmask_b32_e64 v12, v2, v2, s2
	s_delay_alu instid0(VALU_DEP_2) | instskip(NEXT) | instid1(VALU_DEP_2)
	v_add_f64 v[14:15], v[14:15], v[16:17]
	v_add_f64 v[10:11], v[10:11], v[12:13]
	s_delay_alu instid0(VALU_DEP_1)
	v_cmp_lt_f64_e32 vcc_lo, v[10:11], v[14:15]
	v_cndmask_b32_e32 v3, v3, v9, vcc_lo
	v_dual_cndmask_b32 v1, v1, v7 :: v_dual_cndmask_b32 v0, v0, v6
	v_cndmask_b32_e32 v2, v2, v8, vcc_lo
	v_cndmask_b32_e64 v4, v4, s6, vcc_lo
	s_add_i32 s6, s6, 1
	s_delay_alu instid0(SALU_CYCLE_1)
	s_cmp_lg_u32 s5, s6
	s_cbranch_scc1 .LBB124_833
.LBB124_834:
	s_set_inst_prefetch_distance 0x2
	s_waitcnt lgkmcnt(0)
	v_cmp_eq_f64_e32 vcc_lo, 0, v[0:1]
	v_cmp_eq_f64_e64 s2, 0, v[2:3]
	s_delay_alu instid0(VALU_DEP_1) | instskip(NEXT) | instid1(SALU_CYCLE_1)
	s_and_b32 s2, vcc_lo, s2
	s_and_saveexec_b32 s3, s2
	s_delay_alu instid0(SALU_CYCLE_1)
	s_xor_b32 s2, exec_lo, s3
; %bb.835:
	v_cmp_ne_u32_e32 vcc_lo, 0, v37
	v_cndmask_b32_e32 v37, 35, v37, vcc_lo
; %bb.836:
	s_and_not1_saveexec_b32 s3, s2
	s_cbranch_execz .LBB124_842
; %bb.837:
	v_cmp_gt_f64_e32 vcc_lo, 0, v[0:1]
	v_cmp_gt_f64_e64 s2, 0, v[2:3]
	v_xor_b32_e32 v5, 0x80000000, v1
	v_xor_b32_e32 v7, 0x80000000, v3
	s_delay_alu instid0(VALU_DEP_2) | instskip(NEXT) | instid1(VALU_DEP_2)
	v_dual_cndmask_b32 v6, v1, v5 :: v_dual_cndmask_b32 v5, v0, v0
	v_cndmask_b32_e64 v8, v3, v7, s2
	v_cndmask_b32_e64 v7, v2, v2, s2
	s_mov_b32 s2, exec_lo
	s_delay_alu instid0(VALU_DEP_1)
	v_cmpx_ngt_f64_e32 v[5:6], v[7:8]
	s_xor_b32 s2, exec_lo, s2
	s_cbranch_execz .LBB124_839
; %bb.838:
	v_div_scale_f64 v[5:6], null, v[2:3], v[2:3], v[0:1]
	v_div_scale_f64 v[11:12], vcc_lo, v[0:1], v[2:3], v[0:1]
	s_delay_alu instid0(VALU_DEP_2) | instskip(SKIP_2) | instid1(VALU_DEP_1)
	v_rcp_f64_e32 v[7:8], v[5:6]
	s_waitcnt_depctr 0xfff
	v_fma_f64 v[9:10], -v[5:6], v[7:8], 1.0
	v_fma_f64 v[7:8], v[7:8], v[9:10], v[7:8]
	s_delay_alu instid0(VALU_DEP_1) | instskip(NEXT) | instid1(VALU_DEP_1)
	v_fma_f64 v[9:10], -v[5:6], v[7:8], 1.0
	v_fma_f64 v[7:8], v[7:8], v[9:10], v[7:8]
	s_delay_alu instid0(VALU_DEP_1) | instskip(NEXT) | instid1(VALU_DEP_1)
	v_mul_f64 v[9:10], v[11:12], v[7:8]
	v_fma_f64 v[5:6], -v[5:6], v[9:10], v[11:12]
	s_delay_alu instid0(VALU_DEP_1) | instskip(NEXT) | instid1(VALU_DEP_1)
	v_div_fmas_f64 v[5:6], v[5:6], v[7:8], v[9:10]
	v_div_fixup_f64 v[5:6], v[5:6], v[2:3], v[0:1]
	s_delay_alu instid0(VALU_DEP_1) | instskip(NEXT) | instid1(VALU_DEP_1)
	v_fma_f64 v[0:1], v[0:1], v[5:6], v[2:3]
	v_div_scale_f64 v[2:3], null, v[0:1], v[0:1], 1.0
	s_delay_alu instid0(VALU_DEP_1) | instskip(SKIP_2) | instid1(VALU_DEP_1)
	v_rcp_f64_e32 v[7:8], v[2:3]
	s_waitcnt_depctr 0xfff
	v_fma_f64 v[9:10], -v[2:3], v[7:8], 1.0
	v_fma_f64 v[7:8], v[7:8], v[9:10], v[7:8]
	s_delay_alu instid0(VALU_DEP_1) | instskip(NEXT) | instid1(VALU_DEP_1)
	v_fma_f64 v[9:10], -v[2:3], v[7:8], 1.0
	v_fma_f64 v[7:8], v[7:8], v[9:10], v[7:8]
	v_div_scale_f64 v[9:10], vcc_lo, 1.0, v[0:1], 1.0
	s_delay_alu instid0(VALU_DEP_1) | instskip(NEXT) | instid1(VALU_DEP_1)
	v_mul_f64 v[11:12], v[9:10], v[7:8]
	v_fma_f64 v[2:3], -v[2:3], v[11:12], v[9:10]
	s_delay_alu instid0(VALU_DEP_1) | instskip(NEXT) | instid1(VALU_DEP_1)
	v_div_fmas_f64 v[2:3], v[2:3], v[7:8], v[11:12]
	v_div_fixup_f64 v[2:3], v[2:3], v[0:1], 1.0
	s_delay_alu instid0(VALU_DEP_1)
	v_mul_f64 v[0:1], v[5:6], v[2:3]
	v_xor_b32_e32 v3, 0x80000000, v3
.LBB124_839:
	s_and_not1_saveexec_b32 s2, s2
	s_cbranch_execz .LBB124_841
; %bb.840:
	s_delay_alu instid0(VALU_DEP_1) | instskip(SKIP_1) | instid1(VALU_DEP_2)
	v_div_scale_f64 v[5:6], null, v[0:1], v[0:1], v[2:3]
	v_div_scale_f64 v[11:12], vcc_lo, v[2:3], v[0:1], v[2:3]
	v_rcp_f64_e32 v[7:8], v[5:6]
	s_waitcnt_depctr 0xfff
	v_fma_f64 v[9:10], -v[5:6], v[7:8], 1.0
	s_delay_alu instid0(VALU_DEP_1) | instskip(NEXT) | instid1(VALU_DEP_1)
	v_fma_f64 v[7:8], v[7:8], v[9:10], v[7:8]
	v_fma_f64 v[9:10], -v[5:6], v[7:8], 1.0
	s_delay_alu instid0(VALU_DEP_1) | instskip(NEXT) | instid1(VALU_DEP_1)
	v_fma_f64 v[7:8], v[7:8], v[9:10], v[7:8]
	v_mul_f64 v[9:10], v[11:12], v[7:8]
	s_delay_alu instid0(VALU_DEP_1) | instskip(NEXT) | instid1(VALU_DEP_1)
	v_fma_f64 v[5:6], -v[5:6], v[9:10], v[11:12]
	v_div_fmas_f64 v[5:6], v[5:6], v[7:8], v[9:10]
	s_delay_alu instid0(VALU_DEP_1) | instskip(NEXT) | instid1(VALU_DEP_1)
	v_div_fixup_f64 v[5:6], v[5:6], v[0:1], v[2:3]
	v_fma_f64 v[0:1], v[2:3], v[5:6], v[0:1]
	s_delay_alu instid0(VALU_DEP_1) | instskip(NEXT) | instid1(VALU_DEP_1)
	v_div_scale_f64 v[2:3], null, v[0:1], v[0:1], 1.0
	v_rcp_f64_e32 v[7:8], v[2:3]
	s_waitcnt_depctr 0xfff
	v_fma_f64 v[9:10], -v[2:3], v[7:8], 1.0
	s_delay_alu instid0(VALU_DEP_1) | instskip(NEXT) | instid1(VALU_DEP_1)
	v_fma_f64 v[7:8], v[7:8], v[9:10], v[7:8]
	v_fma_f64 v[9:10], -v[2:3], v[7:8], 1.0
	s_delay_alu instid0(VALU_DEP_1) | instskip(SKIP_1) | instid1(VALU_DEP_1)
	v_fma_f64 v[7:8], v[7:8], v[9:10], v[7:8]
	v_div_scale_f64 v[9:10], vcc_lo, 1.0, v[0:1], 1.0
	v_mul_f64 v[11:12], v[9:10], v[7:8]
	s_delay_alu instid0(VALU_DEP_1) | instskip(NEXT) | instid1(VALU_DEP_1)
	v_fma_f64 v[2:3], -v[2:3], v[11:12], v[9:10]
	v_div_fmas_f64 v[2:3], v[2:3], v[7:8], v[11:12]
	s_delay_alu instid0(VALU_DEP_1) | instskip(NEXT) | instid1(VALU_DEP_1)
	v_div_fixup_f64 v[0:1], v[2:3], v[0:1], 1.0
	v_mul_f64 v[2:3], v[5:6], -v[0:1]
.LBB124_841:
	s_or_b32 exec_lo, exec_lo, s2
.LBB124_842:
	s_delay_alu instid0(SALU_CYCLE_1) | instskip(NEXT) | instid1(SALU_CYCLE_1)
	s_or_b32 exec_lo, exec_lo, s3
	s_mov_b32 s2, exec_lo
	v_cmpx_ne_u32_e64 v40, v4
	s_xor_b32 s2, exec_lo, s2
	s_cbranch_execz .LBB124_848
; %bb.843:
	s_mov_b32 s3, exec_lo
	v_cmpx_eq_u32_e32 34, v40
	s_cbranch_execz .LBB124_847
; %bb.844:
	v_cmp_ne_u32_e32 vcc_lo, 34, v4
	s_xor_b32 s6, s4, -1
	s_delay_alu instid0(SALU_CYCLE_1) | instskip(NEXT) | instid1(SALU_CYCLE_1)
	s_and_b32 s7, s6, vcc_lo
	s_and_saveexec_b32 s6, s7
	s_cbranch_execz .LBB124_846
; %bb.845:
	v_ashrrev_i32_e32 v5, 31, v4
	s_delay_alu instid0(VALU_DEP_1) | instskip(NEXT) | instid1(VALU_DEP_1)
	v_lshlrev_b64 v[5:6], 2, v[4:5]
	v_add_co_u32 v5, vcc_lo, v145, v5
	s_delay_alu instid0(VALU_DEP_2)
	v_add_co_ci_u32_e32 v6, vcc_lo, v146, v6, vcc_lo
	s_clause 0x1
	flat_load_b32 v7, v[5:6]
	flat_load_b32 v8, v[145:146] offset:136
	s_waitcnt vmcnt(1) lgkmcnt(1)
	flat_store_b32 v[145:146], v7 offset:136
	s_waitcnt vmcnt(0) lgkmcnt(1)
	flat_store_b32 v[5:6], v8
.LBB124_846:
	s_or_b32 exec_lo, exec_lo, s6
	v_mov_b32_e32 v40, v4
	v_mov_b32_e32 v39, v4
.LBB124_847:
	s_or_b32 exec_lo, exec_lo, s3
.LBB124_848:
	s_and_not1_saveexec_b32 s2, s2
	s_cbranch_execz .LBB124_850
; %bb.849:
	s_clause 0x1b
	scratch_load_b128 v[4:7], v140, off
	scratch_load_b128 v[8:11], v147, off
	;; [unrolled: 1-line block ×28, first 2 shown]
	v_mov_b32_e32 v40, 34
	s_waitcnt vmcnt(27)
	ds_store_2addr_b64 v20, v[4:5], v[6:7] offset0:70 offset1:71
	s_waitcnt vmcnt(26)
	ds_store_2addr_b64 v20, v[8:9], v[10:11] offset0:72 offset1:73
	;; [unrolled: 2-line block ×28, first 2 shown]
.LBB124_850:
	s_or_b32 exec_lo, exec_lo, s2
	s_delay_alu instid0(SALU_CYCLE_1)
	s_mov_b32 s2, exec_lo
	s_waitcnt lgkmcnt(0)
	s_waitcnt_vscnt null, 0x0
	s_barrier
	buffer_gl0_inv
	v_cmpx_lt_i32_e32 34, v40
	s_cbranch_execz .LBB124_853
; %bb.851:
	scratch_load_b128 v[4:7], off, off offset:544
	s_mov_b32 s3, 0
	s_waitcnt vmcnt(0)
	v_mul_f64 v[8:9], v[2:3], v[6:7]
	v_mul_f64 v[6:7], v[0:1], v[6:7]
	s_delay_alu instid0(VALU_DEP_2) | instskip(NEXT) | instid1(VALU_DEP_2)
	v_fma_f64 v[0:1], v[0:1], v[4:5], -v[8:9]
	v_fma_f64 v[2:3], v[2:3], v[4:5], v[6:7]
	v_add3_u32 v4, v38, 0, 0x230
	v_mov_b32_e32 v5, 0
	scratch_store_b128 off, v[0:3], off offset:544
.LBB124_852:                            ; =>This Inner Loop Header: Depth=1
	v_add_nc_u32_e32 v47, s3, v4
	v_readfirstlane_b32 s6, v5
	ds_load_2addr_b64 v[6:9], v47 offset1:1
	ds_load_2addr_b64 v[10:13], v47 offset0:2 offset1:3
	ds_load_2addr_b64 v[14:17], v47 offset0:4 offset1:5
	ds_load_2addr_b64 v[41:44], v47 offset0:6 offset1:7
	ds_load_2addr_b64 v[53:56], v47 offset0:8 offset1:9
	ds_load_2addr_b64 v[57:60], v47 offset0:10 offset1:11
	s_add_i32 s6, s6, s3
	s_addk_i32 s3, 0x70
	s_add_i32 s7, s6, 0x230
	s_add_i32 s9, s6, 0x240
	s_add_i32 s12, s6, 0x250
	s_add_i32 s14, s6, 0x260
	s_add_i32 s15, s6, 0x270
	s_add_i32 s16, s6, 0x280
	s_addk_i32 s6, 0x290
	s_cmpk_lg_i32 s3, 0x1c0
	s_waitcnt lgkmcnt(5)
	v_mul_f64 v[18:19], v[8:9], v[2:3]
	v_mul_f64 v[45:46], v[6:7], v[2:3]
	s_waitcnt lgkmcnt(4)
	v_mul_f64 v[49:50], v[12:13], v[2:3]
	v_mul_f64 v[61:62], v[10:11], v[2:3]
	;; [unrolled: 3-line block ×6, first 2 shown]
	v_fma_f64 v[18:19], v[6:7], v[0:1], -v[18:19]
	v_fma_f64 v[45:46], v[8:9], v[0:1], v[45:46]
	v_fma_f64 v[49:50], v[10:11], v[0:1], -v[49:50]
	v_fma_f64 v[61:62], v[12:13], v[0:1], v[61:62]
	;; [unrolled: 2-line block ×6, first 2 shown]
	scratch_load_b128 v[0:3], off, off offset:544
	s_clause 0x6
	scratch_load_b128 v[6:9], off, s7
	scratch_load_b128 v[10:13], off, s9
	;; [unrolled: 1-line block ×7, first 2 shown]
	ds_load_2addr_b64 v[73:76], v47 offset0:12 offset1:13
	s_waitcnt vmcnt(6)
	v_add_f64 v[6:7], v[6:7], -v[18:19]
	v_add_f64 v[8:9], v[8:9], -v[45:46]
	s_waitcnt vmcnt(5)
	v_add_f64 v[10:11], v[10:11], -v[49:50]
	v_add_f64 v[12:13], v[12:13], -v[61:62]
	s_waitcnt vmcnt(4)
	v_add_f64 v[14:15], v[14:15], -v[83:84]
	s_waitcnt lgkmcnt(0)
	v_mul_f64 v[93:94], v[75:76], v[2:3]
	v_mul_f64 v[95:96], v[73:74], v[2:3]
	v_add_f64 v[16:17], v[16:17], -v[85:86]
	s_waitcnt vmcnt(3)
	v_add_f64 v[41:42], v[41:42], -v[69:70]
	v_add_f64 v[43:44], v[43:44], -v[87:88]
	s_waitcnt vmcnt(2)
	v_add_f64 v[53:54], v[53:54], -v[89:90]
	;; [unrolled: 3-line block ×3, first 2 shown]
	v_add_f64 v[59:60], v[59:60], -v[91:92]
	v_fma_f64 v[73:74], v[73:74], v[0:1], -v[93:94]
	v_fma_f64 v[75:76], v[75:76], v[0:1], v[95:96]
	s_waitcnt vmcnt(0)
	s_delay_alu instid0(VALU_DEP_2) | instskip(NEXT) | instid1(VALU_DEP_2)
	v_add_f64 v[65:66], v[65:66], -v[73:74]
	v_add_f64 v[67:68], v[67:68], -v[75:76]
	s_clause 0x6
	scratch_store_b128 off, v[6:9], s7
	scratch_store_b128 off, v[10:13], s9
	;; [unrolled: 1-line block ×7, first 2 shown]
	s_cbranch_scc1 .LBB124_852
.LBB124_853:
	s_or_b32 exec_lo, exec_lo, s2
	s_waitcnt_vscnt null, 0x0
	s_barrier
	buffer_gl0_inv
	scratch_load_b128 v[0:3], v140, off
	v_lshl_add_u32 v4, v40, 4, v20
	s_cmp_lt_i32 s5, 37
	s_waitcnt vmcnt(0)
	ds_store_2addr_b64 v4, v[0:1], v[2:3] offset1:1
	s_waitcnt lgkmcnt(0)
	s_barrier
	buffer_gl0_inv
	ds_load_2addr_b64 v[0:3], v20 offset0:70 offset1:71
	v_mov_b32_e32 v4, 35
	s_cbranch_scc1 .LBB124_856
; %bb.854:
	v_add3_u32 v5, v38, 0, 0x240
	v_mov_b32_e32 v4, 35
	s_mov_b32 s6, 36
	s_set_inst_prefetch_distance 0x1
	.p2align	6
.LBB124_855:                            ; =>This Inner Loop Header: Depth=1
	ds_load_2addr_b64 v[6:9], v5 offset1:1
	s_waitcnt lgkmcnt(1)
	v_cmp_gt_f64_e32 vcc_lo, 0, v[0:1]
	v_xor_b32_e32 v10, 0x80000000, v1
	v_cmp_gt_f64_e64 s2, 0, v[2:3]
	v_xor_b32_e32 v12, 0x80000000, v3
	v_add_nc_u32_e32 v5, 16, v5
	s_waitcnt lgkmcnt(0)
	v_cmp_gt_f64_e64 s3, 0, v[6:7]
	v_mov_b32_e32 v14, v6
	v_dual_mov_b32 v16, v8 :: v_dual_cndmask_b32 v11, v1, v10
	v_xor_b32_e32 v10, 0x80000000, v7
	v_cndmask_b32_e64 v13, v3, v12, s2
	v_xor_b32_e32 v12, 0x80000000, v9
	s_delay_alu instid0(VALU_DEP_3) | instskip(SKIP_2) | instid1(VALU_DEP_2)
	v_cndmask_b32_e64 v15, v7, v10, s3
	v_cmp_gt_f64_e64 s3, 0, v[8:9]
	v_cndmask_b32_e32 v10, v0, v0, vcc_lo
	v_cndmask_b32_e64 v17, v9, v12, s3
	v_cndmask_b32_e64 v12, v2, v2, s2
	s_delay_alu instid0(VALU_DEP_2) | instskip(NEXT) | instid1(VALU_DEP_2)
	v_add_f64 v[14:15], v[14:15], v[16:17]
	v_add_f64 v[10:11], v[10:11], v[12:13]
	s_delay_alu instid0(VALU_DEP_1)
	v_cmp_lt_f64_e32 vcc_lo, v[10:11], v[14:15]
	v_cndmask_b32_e32 v3, v3, v9, vcc_lo
	v_dual_cndmask_b32 v1, v1, v7 :: v_dual_cndmask_b32 v0, v0, v6
	v_cndmask_b32_e32 v2, v2, v8, vcc_lo
	v_cndmask_b32_e64 v4, v4, s6, vcc_lo
	s_add_i32 s6, s6, 1
	s_delay_alu instid0(SALU_CYCLE_1)
	s_cmp_lg_u32 s5, s6
	s_cbranch_scc1 .LBB124_855
.LBB124_856:
	s_set_inst_prefetch_distance 0x2
	s_waitcnt lgkmcnt(0)
	v_cmp_eq_f64_e32 vcc_lo, 0, v[0:1]
	v_cmp_eq_f64_e64 s2, 0, v[2:3]
	s_delay_alu instid0(VALU_DEP_1) | instskip(NEXT) | instid1(SALU_CYCLE_1)
	s_and_b32 s2, vcc_lo, s2
	s_and_saveexec_b32 s3, s2
	s_delay_alu instid0(SALU_CYCLE_1)
	s_xor_b32 s2, exec_lo, s3
; %bb.857:
	v_cmp_ne_u32_e32 vcc_lo, 0, v37
	v_cndmask_b32_e32 v37, 36, v37, vcc_lo
; %bb.858:
	s_and_not1_saveexec_b32 s3, s2
	s_cbranch_execz .LBB124_864
; %bb.859:
	v_cmp_gt_f64_e32 vcc_lo, 0, v[0:1]
	v_cmp_gt_f64_e64 s2, 0, v[2:3]
	v_xor_b32_e32 v5, 0x80000000, v1
	v_xor_b32_e32 v7, 0x80000000, v3
	s_delay_alu instid0(VALU_DEP_2) | instskip(NEXT) | instid1(VALU_DEP_2)
	v_dual_cndmask_b32 v6, v1, v5 :: v_dual_cndmask_b32 v5, v0, v0
	v_cndmask_b32_e64 v8, v3, v7, s2
	v_cndmask_b32_e64 v7, v2, v2, s2
	s_mov_b32 s2, exec_lo
	s_delay_alu instid0(VALU_DEP_1)
	v_cmpx_ngt_f64_e32 v[5:6], v[7:8]
	s_xor_b32 s2, exec_lo, s2
	s_cbranch_execz .LBB124_861
; %bb.860:
	v_div_scale_f64 v[5:6], null, v[2:3], v[2:3], v[0:1]
	v_div_scale_f64 v[11:12], vcc_lo, v[0:1], v[2:3], v[0:1]
	s_delay_alu instid0(VALU_DEP_2) | instskip(SKIP_2) | instid1(VALU_DEP_1)
	v_rcp_f64_e32 v[7:8], v[5:6]
	s_waitcnt_depctr 0xfff
	v_fma_f64 v[9:10], -v[5:6], v[7:8], 1.0
	v_fma_f64 v[7:8], v[7:8], v[9:10], v[7:8]
	s_delay_alu instid0(VALU_DEP_1) | instskip(NEXT) | instid1(VALU_DEP_1)
	v_fma_f64 v[9:10], -v[5:6], v[7:8], 1.0
	v_fma_f64 v[7:8], v[7:8], v[9:10], v[7:8]
	s_delay_alu instid0(VALU_DEP_1) | instskip(NEXT) | instid1(VALU_DEP_1)
	v_mul_f64 v[9:10], v[11:12], v[7:8]
	v_fma_f64 v[5:6], -v[5:6], v[9:10], v[11:12]
	s_delay_alu instid0(VALU_DEP_1) | instskip(NEXT) | instid1(VALU_DEP_1)
	v_div_fmas_f64 v[5:6], v[5:6], v[7:8], v[9:10]
	v_div_fixup_f64 v[5:6], v[5:6], v[2:3], v[0:1]
	s_delay_alu instid0(VALU_DEP_1) | instskip(NEXT) | instid1(VALU_DEP_1)
	v_fma_f64 v[0:1], v[0:1], v[5:6], v[2:3]
	v_div_scale_f64 v[2:3], null, v[0:1], v[0:1], 1.0
	s_delay_alu instid0(VALU_DEP_1) | instskip(SKIP_2) | instid1(VALU_DEP_1)
	v_rcp_f64_e32 v[7:8], v[2:3]
	s_waitcnt_depctr 0xfff
	v_fma_f64 v[9:10], -v[2:3], v[7:8], 1.0
	v_fma_f64 v[7:8], v[7:8], v[9:10], v[7:8]
	s_delay_alu instid0(VALU_DEP_1) | instskip(NEXT) | instid1(VALU_DEP_1)
	v_fma_f64 v[9:10], -v[2:3], v[7:8], 1.0
	v_fma_f64 v[7:8], v[7:8], v[9:10], v[7:8]
	v_div_scale_f64 v[9:10], vcc_lo, 1.0, v[0:1], 1.0
	s_delay_alu instid0(VALU_DEP_1) | instskip(NEXT) | instid1(VALU_DEP_1)
	v_mul_f64 v[11:12], v[9:10], v[7:8]
	v_fma_f64 v[2:3], -v[2:3], v[11:12], v[9:10]
	s_delay_alu instid0(VALU_DEP_1) | instskip(NEXT) | instid1(VALU_DEP_1)
	v_div_fmas_f64 v[2:3], v[2:3], v[7:8], v[11:12]
	v_div_fixup_f64 v[2:3], v[2:3], v[0:1], 1.0
	s_delay_alu instid0(VALU_DEP_1)
	v_mul_f64 v[0:1], v[5:6], v[2:3]
	v_xor_b32_e32 v3, 0x80000000, v3
.LBB124_861:
	s_and_not1_saveexec_b32 s2, s2
	s_cbranch_execz .LBB124_863
; %bb.862:
	s_delay_alu instid0(VALU_DEP_1) | instskip(SKIP_1) | instid1(VALU_DEP_2)
	v_div_scale_f64 v[5:6], null, v[0:1], v[0:1], v[2:3]
	v_div_scale_f64 v[11:12], vcc_lo, v[2:3], v[0:1], v[2:3]
	v_rcp_f64_e32 v[7:8], v[5:6]
	s_waitcnt_depctr 0xfff
	v_fma_f64 v[9:10], -v[5:6], v[7:8], 1.0
	s_delay_alu instid0(VALU_DEP_1) | instskip(NEXT) | instid1(VALU_DEP_1)
	v_fma_f64 v[7:8], v[7:8], v[9:10], v[7:8]
	v_fma_f64 v[9:10], -v[5:6], v[7:8], 1.0
	s_delay_alu instid0(VALU_DEP_1) | instskip(NEXT) | instid1(VALU_DEP_1)
	v_fma_f64 v[7:8], v[7:8], v[9:10], v[7:8]
	v_mul_f64 v[9:10], v[11:12], v[7:8]
	s_delay_alu instid0(VALU_DEP_1) | instskip(NEXT) | instid1(VALU_DEP_1)
	v_fma_f64 v[5:6], -v[5:6], v[9:10], v[11:12]
	v_div_fmas_f64 v[5:6], v[5:6], v[7:8], v[9:10]
	s_delay_alu instid0(VALU_DEP_1) | instskip(NEXT) | instid1(VALU_DEP_1)
	v_div_fixup_f64 v[5:6], v[5:6], v[0:1], v[2:3]
	v_fma_f64 v[0:1], v[2:3], v[5:6], v[0:1]
	s_delay_alu instid0(VALU_DEP_1) | instskip(NEXT) | instid1(VALU_DEP_1)
	v_div_scale_f64 v[2:3], null, v[0:1], v[0:1], 1.0
	v_rcp_f64_e32 v[7:8], v[2:3]
	s_waitcnt_depctr 0xfff
	v_fma_f64 v[9:10], -v[2:3], v[7:8], 1.0
	s_delay_alu instid0(VALU_DEP_1) | instskip(NEXT) | instid1(VALU_DEP_1)
	v_fma_f64 v[7:8], v[7:8], v[9:10], v[7:8]
	v_fma_f64 v[9:10], -v[2:3], v[7:8], 1.0
	s_delay_alu instid0(VALU_DEP_1) | instskip(SKIP_1) | instid1(VALU_DEP_1)
	v_fma_f64 v[7:8], v[7:8], v[9:10], v[7:8]
	v_div_scale_f64 v[9:10], vcc_lo, 1.0, v[0:1], 1.0
	v_mul_f64 v[11:12], v[9:10], v[7:8]
	s_delay_alu instid0(VALU_DEP_1) | instskip(NEXT) | instid1(VALU_DEP_1)
	v_fma_f64 v[2:3], -v[2:3], v[11:12], v[9:10]
	v_div_fmas_f64 v[2:3], v[2:3], v[7:8], v[11:12]
	s_delay_alu instid0(VALU_DEP_1) | instskip(NEXT) | instid1(VALU_DEP_1)
	v_div_fixup_f64 v[0:1], v[2:3], v[0:1], 1.0
	v_mul_f64 v[2:3], v[5:6], -v[0:1]
.LBB124_863:
	s_or_b32 exec_lo, exec_lo, s2
.LBB124_864:
	s_delay_alu instid0(SALU_CYCLE_1) | instskip(NEXT) | instid1(SALU_CYCLE_1)
	s_or_b32 exec_lo, exec_lo, s3
	s_mov_b32 s2, exec_lo
	v_cmpx_ne_u32_e64 v40, v4
	s_xor_b32 s2, exec_lo, s2
	s_cbranch_execz .LBB124_870
; %bb.865:
	s_mov_b32 s3, exec_lo
	v_cmpx_eq_u32_e32 35, v40
	s_cbranch_execz .LBB124_869
; %bb.866:
	v_cmp_ne_u32_e32 vcc_lo, 35, v4
	s_xor_b32 s6, s4, -1
	s_delay_alu instid0(SALU_CYCLE_1) | instskip(NEXT) | instid1(SALU_CYCLE_1)
	s_and_b32 s7, s6, vcc_lo
	s_and_saveexec_b32 s6, s7
	s_cbranch_execz .LBB124_868
; %bb.867:
	v_ashrrev_i32_e32 v5, 31, v4
	s_delay_alu instid0(VALU_DEP_1) | instskip(NEXT) | instid1(VALU_DEP_1)
	v_lshlrev_b64 v[5:6], 2, v[4:5]
	v_add_co_u32 v5, vcc_lo, v145, v5
	s_delay_alu instid0(VALU_DEP_2)
	v_add_co_ci_u32_e32 v6, vcc_lo, v146, v6, vcc_lo
	s_clause 0x1
	flat_load_b32 v7, v[5:6]
	flat_load_b32 v8, v[145:146] offset:140
	s_waitcnt vmcnt(1) lgkmcnt(1)
	flat_store_b32 v[145:146], v7 offset:140
	s_waitcnt vmcnt(0) lgkmcnt(1)
	flat_store_b32 v[5:6], v8
.LBB124_868:
	s_or_b32 exec_lo, exec_lo, s6
	v_mov_b32_e32 v40, v4
	v_mov_b32_e32 v39, v4
.LBB124_869:
	s_or_b32 exec_lo, exec_lo, s3
.LBB124_870:
	s_and_not1_saveexec_b32 s2, s2
	s_cbranch_execz .LBB124_872
; %bb.871:
	s_clause 0x1a
	scratch_load_b128 v[4:7], v147, off
	scratch_load_b128 v[8:11], v175, off
	;; [unrolled: 1-line block ×27, first 2 shown]
	v_mov_b32_e32 v40, 35
	s_waitcnt vmcnt(26)
	ds_store_2addr_b64 v20, v[4:5], v[6:7] offset0:72 offset1:73
	s_waitcnt vmcnt(25)
	ds_store_2addr_b64 v20, v[8:9], v[10:11] offset0:74 offset1:75
	;; [unrolled: 2-line block ×27, first 2 shown]
.LBB124_872:
	s_or_b32 exec_lo, exec_lo, s2
	s_delay_alu instid0(SALU_CYCLE_1)
	s_mov_b32 s2, exec_lo
	s_waitcnt lgkmcnt(0)
	s_waitcnt_vscnt null, 0x0
	s_barrier
	buffer_gl0_inv
	v_cmpx_lt_i32_e32 35, v40
	s_cbranch_execz .LBB124_875
; %bb.873:
	scratch_load_b128 v[4:7], off, off offset:560
	s_mov_b32 s3, 0
	s_waitcnt vmcnt(0)
	v_mul_f64 v[8:9], v[2:3], v[6:7]
	v_mul_f64 v[6:7], v[0:1], v[6:7]
	s_delay_alu instid0(VALU_DEP_2) | instskip(NEXT) | instid1(VALU_DEP_2)
	v_fma_f64 v[0:1], v[0:1], v[4:5], -v[8:9]
	v_fma_f64 v[2:3], v[2:3], v[4:5], v[6:7]
	v_add3_u32 v4, v38, 0, 0x240
	v_mov_b32_e32 v5, 0
	scratch_store_b128 off, v[0:3], off offset:560
.LBB124_874:                            ; =>This Inner Loop Header: Depth=1
	v_readfirstlane_b32 s6, v5
	v_add_nc_u32_e32 v18, s3, v4
	s_delay_alu instid0(VALU_DEP_2)
	s_add_i32 s6, s6, s3
	s_add_i32 s3, s3, 48
	;; [unrolled: 1-line block ×4, first 2 shown]
	s_addk_i32 s6, 0x260
	s_clause 0x2
	scratch_load_b128 v[6:9], off, s7
	scratch_load_b128 v[10:13], off, s9
	scratch_load_b128 v[14:17], off, s6
	ds_load_2addr_b64 v[41:44], v18 offset1:1
	ds_load_2addr_b64 v[53:56], v18 offset0:2 offset1:3
	ds_load_2addr_b64 v[57:60], v18 offset0:4 offset1:5
	s_cmpk_lg_i32 s3, 0x1b0
	s_waitcnt lgkmcnt(2)
	v_mul_f64 v[18:19], v[43:44], v[2:3]
	v_mul_f64 v[45:46], v[41:42], v[2:3]
	s_waitcnt lgkmcnt(1)
	v_mul_f64 v[49:50], v[55:56], v[2:3]
	v_mul_f64 v[61:62], v[53:54], v[2:3]
	;; [unrolled: 3-line block ×3, first 2 shown]
	v_fma_f64 v[18:19], v[41:42], v[0:1], -v[18:19]
	v_fma_f64 v[41:42], v[43:44], v[0:1], v[45:46]
	v_fma_f64 v[43:44], v[53:54], v[0:1], -v[49:50]
	v_fma_f64 v[45:46], v[55:56], v[0:1], v[61:62]
	;; [unrolled: 2-line block ×3, first 2 shown]
	s_waitcnt vmcnt(2)
	v_add_f64 v[6:7], v[6:7], -v[18:19]
	v_add_f64 v[8:9], v[8:9], -v[41:42]
	s_waitcnt vmcnt(1)
	v_add_f64 v[10:11], v[10:11], -v[43:44]
	v_add_f64 v[12:13], v[12:13], -v[45:46]
	;; [unrolled: 3-line block ×3, first 2 shown]
	s_clause 0x2
	scratch_store_b128 off, v[6:9], s7
	scratch_store_b128 off, v[10:13], s9
	;; [unrolled: 1-line block ×3, first 2 shown]
	s_cbranch_scc1 .LBB124_874
.LBB124_875:
	s_or_b32 exec_lo, exec_lo, s2
	s_waitcnt_vscnt null, 0x0
	s_barrier
	buffer_gl0_inv
	scratch_load_b128 v[0:3], v147, off
	v_lshl_add_u32 v4, v40, 4, v20
	s_cmp_lt_i32 s5, 38
	s_waitcnt vmcnt(0)
	ds_store_2addr_b64 v4, v[0:1], v[2:3] offset1:1
	s_waitcnt lgkmcnt(0)
	s_barrier
	buffer_gl0_inv
	ds_load_2addr_b64 v[0:3], v20 offset0:72 offset1:73
	v_mov_b32_e32 v4, 36
	s_cbranch_scc1 .LBB124_878
; %bb.876:
	v_add3_u32 v5, v38, 0, 0x250
	v_mov_b32_e32 v4, 36
	s_mov_b32 s6, 37
	s_set_inst_prefetch_distance 0x1
	.p2align	6
.LBB124_877:                            ; =>This Inner Loop Header: Depth=1
	ds_load_2addr_b64 v[6:9], v5 offset1:1
	s_waitcnt lgkmcnt(1)
	v_cmp_gt_f64_e32 vcc_lo, 0, v[0:1]
	v_xor_b32_e32 v10, 0x80000000, v1
	v_cmp_gt_f64_e64 s2, 0, v[2:3]
	v_xor_b32_e32 v12, 0x80000000, v3
	v_add_nc_u32_e32 v5, 16, v5
	s_waitcnt lgkmcnt(0)
	v_cmp_gt_f64_e64 s3, 0, v[6:7]
	v_mov_b32_e32 v14, v6
	v_dual_mov_b32 v16, v8 :: v_dual_cndmask_b32 v11, v1, v10
	v_xor_b32_e32 v10, 0x80000000, v7
	v_cndmask_b32_e64 v13, v3, v12, s2
	v_xor_b32_e32 v12, 0x80000000, v9
	s_delay_alu instid0(VALU_DEP_3) | instskip(SKIP_2) | instid1(VALU_DEP_2)
	v_cndmask_b32_e64 v15, v7, v10, s3
	v_cmp_gt_f64_e64 s3, 0, v[8:9]
	v_cndmask_b32_e32 v10, v0, v0, vcc_lo
	v_cndmask_b32_e64 v17, v9, v12, s3
	v_cndmask_b32_e64 v12, v2, v2, s2
	s_delay_alu instid0(VALU_DEP_2) | instskip(NEXT) | instid1(VALU_DEP_2)
	v_add_f64 v[14:15], v[14:15], v[16:17]
	v_add_f64 v[10:11], v[10:11], v[12:13]
	s_delay_alu instid0(VALU_DEP_1)
	v_cmp_lt_f64_e32 vcc_lo, v[10:11], v[14:15]
	v_cndmask_b32_e32 v3, v3, v9, vcc_lo
	v_dual_cndmask_b32 v1, v1, v7 :: v_dual_cndmask_b32 v0, v0, v6
	v_cndmask_b32_e32 v2, v2, v8, vcc_lo
	v_cndmask_b32_e64 v4, v4, s6, vcc_lo
	s_add_i32 s6, s6, 1
	s_delay_alu instid0(SALU_CYCLE_1)
	s_cmp_lg_u32 s5, s6
	s_cbranch_scc1 .LBB124_877
.LBB124_878:
	s_set_inst_prefetch_distance 0x2
	s_waitcnt lgkmcnt(0)
	v_cmp_eq_f64_e32 vcc_lo, 0, v[0:1]
	v_cmp_eq_f64_e64 s2, 0, v[2:3]
	s_delay_alu instid0(VALU_DEP_1) | instskip(NEXT) | instid1(SALU_CYCLE_1)
	s_and_b32 s2, vcc_lo, s2
	s_and_saveexec_b32 s3, s2
	s_delay_alu instid0(SALU_CYCLE_1)
	s_xor_b32 s2, exec_lo, s3
; %bb.879:
	v_cmp_ne_u32_e32 vcc_lo, 0, v37
	v_cndmask_b32_e32 v37, 37, v37, vcc_lo
; %bb.880:
	s_and_not1_saveexec_b32 s3, s2
	s_cbranch_execz .LBB124_886
; %bb.881:
	v_cmp_gt_f64_e32 vcc_lo, 0, v[0:1]
	v_cmp_gt_f64_e64 s2, 0, v[2:3]
	v_xor_b32_e32 v5, 0x80000000, v1
	v_xor_b32_e32 v7, 0x80000000, v3
	s_delay_alu instid0(VALU_DEP_2) | instskip(NEXT) | instid1(VALU_DEP_2)
	v_dual_cndmask_b32 v6, v1, v5 :: v_dual_cndmask_b32 v5, v0, v0
	v_cndmask_b32_e64 v8, v3, v7, s2
	v_cndmask_b32_e64 v7, v2, v2, s2
	s_mov_b32 s2, exec_lo
	s_delay_alu instid0(VALU_DEP_1)
	v_cmpx_ngt_f64_e32 v[5:6], v[7:8]
	s_xor_b32 s2, exec_lo, s2
	s_cbranch_execz .LBB124_883
; %bb.882:
	v_div_scale_f64 v[5:6], null, v[2:3], v[2:3], v[0:1]
	v_div_scale_f64 v[11:12], vcc_lo, v[0:1], v[2:3], v[0:1]
	s_delay_alu instid0(VALU_DEP_2) | instskip(SKIP_2) | instid1(VALU_DEP_1)
	v_rcp_f64_e32 v[7:8], v[5:6]
	s_waitcnt_depctr 0xfff
	v_fma_f64 v[9:10], -v[5:6], v[7:8], 1.0
	v_fma_f64 v[7:8], v[7:8], v[9:10], v[7:8]
	s_delay_alu instid0(VALU_DEP_1) | instskip(NEXT) | instid1(VALU_DEP_1)
	v_fma_f64 v[9:10], -v[5:6], v[7:8], 1.0
	v_fma_f64 v[7:8], v[7:8], v[9:10], v[7:8]
	s_delay_alu instid0(VALU_DEP_1) | instskip(NEXT) | instid1(VALU_DEP_1)
	v_mul_f64 v[9:10], v[11:12], v[7:8]
	v_fma_f64 v[5:6], -v[5:6], v[9:10], v[11:12]
	s_delay_alu instid0(VALU_DEP_1) | instskip(NEXT) | instid1(VALU_DEP_1)
	v_div_fmas_f64 v[5:6], v[5:6], v[7:8], v[9:10]
	v_div_fixup_f64 v[5:6], v[5:6], v[2:3], v[0:1]
	s_delay_alu instid0(VALU_DEP_1) | instskip(NEXT) | instid1(VALU_DEP_1)
	v_fma_f64 v[0:1], v[0:1], v[5:6], v[2:3]
	v_div_scale_f64 v[2:3], null, v[0:1], v[0:1], 1.0
	s_delay_alu instid0(VALU_DEP_1) | instskip(SKIP_2) | instid1(VALU_DEP_1)
	v_rcp_f64_e32 v[7:8], v[2:3]
	s_waitcnt_depctr 0xfff
	v_fma_f64 v[9:10], -v[2:3], v[7:8], 1.0
	v_fma_f64 v[7:8], v[7:8], v[9:10], v[7:8]
	s_delay_alu instid0(VALU_DEP_1) | instskip(NEXT) | instid1(VALU_DEP_1)
	v_fma_f64 v[9:10], -v[2:3], v[7:8], 1.0
	v_fma_f64 v[7:8], v[7:8], v[9:10], v[7:8]
	v_div_scale_f64 v[9:10], vcc_lo, 1.0, v[0:1], 1.0
	s_delay_alu instid0(VALU_DEP_1) | instskip(NEXT) | instid1(VALU_DEP_1)
	v_mul_f64 v[11:12], v[9:10], v[7:8]
	v_fma_f64 v[2:3], -v[2:3], v[11:12], v[9:10]
	s_delay_alu instid0(VALU_DEP_1) | instskip(NEXT) | instid1(VALU_DEP_1)
	v_div_fmas_f64 v[2:3], v[2:3], v[7:8], v[11:12]
	v_div_fixup_f64 v[2:3], v[2:3], v[0:1], 1.0
	s_delay_alu instid0(VALU_DEP_1)
	v_mul_f64 v[0:1], v[5:6], v[2:3]
	v_xor_b32_e32 v3, 0x80000000, v3
.LBB124_883:
	s_and_not1_saveexec_b32 s2, s2
	s_cbranch_execz .LBB124_885
; %bb.884:
	s_delay_alu instid0(VALU_DEP_1) | instskip(SKIP_1) | instid1(VALU_DEP_2)
	v_div_scale_f64 v[5:6], null, v[0:1], v[0:1], v[2:3]
	v_div_scale_f64 v[11:12], vcc_lo, v[2:3], v[0:1], v[2:3]
	v_rcp_f64_e32 v[7:8], v[5:6]
	s_waitcnt_depctr 0xfff
	v_fma_f64 v[9:10], -v[5:6], v[7:8], 1.0
	s_delay_alu instid0(VALU_DEP_1) | instskip(NEXT) | instid1(VALU_DEP_1)
	v_fma_f64 v[7:8], v[7:8], v[9:10], v[7:8]
	v_fma_f64 v[9:10], -v[5:6], v[7:8], 1.0
	s_delay_alu instid0(VALU_DEP_1) | instskip(NEXT) | instid1(VALU_DEP_1)
	v_fma_f64 v[7:8], v[7:8], v[9:10], v[7:8]
	v_mul_f64 v[9:10], v[11:12], v[7:8]
	s_delay_alu instid0(VALU_DEP_1) | instskip(NEXT) | instid1(VALU_DEP_1)
	v_fma_f64 v[5:6], -v[5:6], v[9:10], v[11:12]
	v_div_fmas_f64 v[5:6], v[5:6], v[7:8], v[9:10]
	s_delay_alu instid0(VALU_DEP_1) | instskip(NEXT) | instid1(VALU_DEP_1)
	v_div_fixup_f64 v[5:6], v[5:6], v[0:1], v[2:3]
	v_fma_f64 v[0:1], v[2:3], v[5:6], v[0:1]
	s_delay_alu instid0(VALU_DEP_1) | instskip(NEXT) | instid1(VALU_DEP_1)
	v_div_scale_f64 v[2:3], null, v[0:1], v[0:1], 1.0
	v_rcp_f64_e32 v[7:8], v[2:3]
	s_waitcnt_depctr 0xfff
	v_fma_f64 v[9:10], -v[2:3], v[7:8], 1.0
	s_delay_alu instid0(VALU_DEP_1) | instskip(NEXT) | instid1(VALU_DEP_1)
	v_fma_f64 v[7:8], v[7:8], v[9:10], v[7:8]
	v_fma_f64 v[9:10], -v[2:3], v[7:8], 1.0
	s_delay_alu instid0(VALU_DEP_1) | instskip(SKIP_1) | instid1(VALU_DEP_1)
	v_fma_f64 v[7:8], v[7:8], v[9:10], v[7:8]
	v_div_scale_f64 v[9:10], vcc_lo, 1.0, v[0:1], 1.0
	v_mul_f64 v[11:12], v[9:10], v[7:8]
	s_delay_alu instid0(VALU_DEP_1) | instskip(NEXT) | instid1(VALU_DEP_1)
	v_fma_f64 v[2:3], -v[2:3], v[11:12], v[9:10]
	v_div_fmas_f64 v[2:3], v[2:3], v[7:8], v[11:12]
	s_delay_alu instid0(VALU_DEP_1) | instskip(NEXT) | instid1(VALU_DEP_1)
	v_div_fixup_f64 v[0:1], v[2:3], v[0:1], 1.0
	v_mul_f64 v[2:3], v[5:6], -v[0:1]
.LBB124_885:
	s_or_b32 exec_lo, exec_lo, s2
.LBB124_886:
	s_delay_alu instid0(SALU_CYCLE_1) | instskip(NEXT) | instid1(SALU_CYCLE_1)
	s_or_b32 exec_lo, exec_lo, s3
	s_mov_b32 s2, exec_lo
	v_cmpx_ne_u32_e64 v40, v4
	s_xor_b32 s2, exec_lo, s2
	s_cbranch_execz .LBB124_892
; %bb.887:
	s_mov_b32 s3, exec_lo
	v_cmpx_eq_u32_e32 36, v40
	s_cbranch_execz .LBB124_891
; %bb.888:
	v_cmp_ne_u32_e32 vcc_lo, 36, v4
	s_xor_b32 s6, s4, -1
	s_delay_alu instid0(SALU_CYCLE_1) | instskip(NEXT) | instid1(SALU_CYCLE_1)
	s_and_b32 s7, s6, vcc_lo
	s_and_saveexec_b32 s6, s7
	s_cbranch_execz .LBB124_890
; %bb.889:
	v_ashrrev_i32_e32 v5, 31, v4
	s_delay_alu instid0(VALU_DEP_1) | instskip(NEXT) | instid1(VALU_DEP_1)
	v_lshlrev_b64 v[5:6], 2, v[4:5]
	v_add_co_u32 v5, vcc_lo, v145, v5
	s_delay_alu instid0(VALU_DEP_2)
	v_add_co_ci_u32_e32 v6, vcc_lo, v146, v6, vcc_lo
	s_clause 0x1
	flat_load_b32 v7, v[5:6]
	flat_load_b32 v8, v[145:146] offset:144
	s_waitcnt vmcnt(1) lgkmcnt(1)
	flat_store_b32 v[145:146], v7 offset:144
	s_waitcnt vmcnt(0) lgkmcnt(1)
	flat_store_b32 v[5:6], v8
.LBB124_890:
	s_or_b32 exec_lo, exec_lo, s6
	v_mov_b32_e32 v40, v4
	v_mov_b32_e32 v39, v4
.LBB124_891:
	s_or_b32 exec_lo, exec_lo, s3
.LBB124_892:
	s_and_not1_saveexec_b32 s2, s2
	s_cbranch_execz .LBB124_894
; %bb.893:
	s_clause 0x19
	scratch_load_b128 v[4:7], v175, off
	scratch_load_b128 v[8:11], v174, off
	;; [unrolled: 1-line block ×26, first 2 shown]
	v_mov_b32_e32 v40, 36
	s_waitcnt vmcnt(25)
	ds_store_2addr_b64 v20, v[4:5], v[6:7] offset0:74 offset1:75
	s_waitcnt vmcnt(24)
	ds_store_2addr_b64 v20, v[8:9], v[10:11] offset0:76 offset1:77
	;; [unrolled: 2-line block ×26, first 2 shown]
.LBB124_894:
	s_or_b32 exec_lo, exec_lo, s2
	s_delay_alu instid0(SALU_CYCLE_1)
	s_mov_b32 s2, exec_lo
	s_waitcnt lgkmcnt(0)
	s_waitcnt_vscnt null, 0x0
	s_barrier
	buffer_gl0_inv
	v_cmpx_lt_i32_e32 36, v40
	s_cbranch_execz .LBB124_897
; %bb.895:
	scratch_load_b128 v[4:7], off, off offset:576
	s_mov_b32 s3, 0
	s_waitcnt vmcnt(0)
	v_mul_f64 v[8:9], v[2:3], v[6:7]
	v_mul_f64 v[6:7], v[0:1], v[6:7]
	s_delay_alu instid0(VALU_DEP_2) | instskip(NEXT) | instid1(VALU_DEP_2)
	v_fma_f64 v[0:1], v[0:1], v[4:5], -v[8:9]
	v_fma_f64 v[2:3], v[2:3], v[4:5], v[6:7]
	v_add3_u32 v4, v38, 0, 0x250
	scratch_store_b128 off, v[0:3], off offset:576
	s_set_inst_prefetch_distance 0x1
	.p2align	6
.LBB124_896:                            ; =>This Inner Loop Header: Depth=1
	v_add_nc_u32_e64 v5, s3, 0
	v_add_nc_u32_e32 v17, s3, v4
	s_add_i32 s3, s3, 32
	s_delay_alu instid0(SALU_CYCLE_1) | instskip(NEXT) | instid1(VALU_DEP_2)
	s_cmpk_lg_i32 s3, 0x1a0
	v_add_nc_u32_e32 v19, 0x250, v5
	v_add_nc_u32_e32 v47, 0x260, v5
	s_clause 0x1
	scratch_load_b128 v[5:8], v19, off
	scratch_load_b128 v[9:12], v47, off
	ds_load_2addr_b64 v[13:16], v17 offset1:1
	ds_load_2addr_b64 v[41:44], v17 offset0:2 offset1:3
	s_waitcnt lgkmcnt(1)
	v_mul_f64 v[17:18], v[15:16], v[2:3]
	v_mul_f64 v[45:46], v[13:14], v[2:3]
	s_waitcnt lgkmcnt(0)
	v_mul_f64 v[49:50], v[43:44], v[2:3]
	v_mul_f64 v[53:54], v[41:42], v[2:3]
	s_delay_alu instid0(VALU_DEP_4) | instskip(NEXT) | instid1(VALU_DEP_4)
	v_fma_f64 v[13:14], v[13:14], v[0:1], -v[17:18]
	v_fma_f64 v[15:16], v[15:16], v[0:1], v[45:46]
	s_delay_alu instid0(VALU_DEP_4) | instskip(NEXT) | instid1(VALU_DEP_4)
	v_fma_f64 v[17:18], v[41:42], v[0:1], -v[49:50]
	v_fma_f64 v[41:42], v[43:44], v[0:1], v[53:54]
	s_waitcnt vmcnt(1)
	s_delay_alu instid0(VALU_DEP_4) | instskip(NEXT) | instid1(VALU_DEP_4)
	v_add_f64 v[5:6], v[5:6], -v[13:14]
	v_add_f64 v[7:8], v[7:8], -v[15:16]
	s_waitcnt vmcnt(0)
	s_delay_alu instid0(VALU_DEP_4) | instskip(NEXT) | instid1(VALU_DEP_4)
	v_add_f64 v[9:10], v[9:10], -v[17:18]
	v_add_f64 v[11:12], v[11:12], -v[41:42]
	s_clause 0x1
	scratch_store_b128 v19, v[5:8], off
	scratch_store_b128 v47, v[9:12], off
	s_cbranch_scc1 .LBB124_896
.LBB124_897:
	s_set_inst_prefetch_distance 0x2
	s_or_b32 exec_lo, exec_lo, s2
	s_waitcnt_vscnt null, 0x0
	s_barrier
	buffer_gl0_inv
	scratch_load_b128 v[0:3], v175, off
	v_lshl_add_u32 v4, v40, 4, v20
	s_cmp_lt_i32 s5, 39
	s_waitcnt vmcnt(0)
	ds_store_2addr_b64 v4, v[0:1], v[2:3] offset1:1
	s_waitcnt lgkmcnt(0)
	s_barrier
	buffer_gl0_inv
	ds_load_2addr_b64 v[0:3], v20 offset0:74 offset1:75
	v_mov_b32_e32 v4, 37
	s_cbranch_scc1 .LBB124_900
; %bb.898:
	v_add3_u32 v5, v38, 0, 0x260
	v_mov_b32_e32 v4, 37
	s_mov_b32 s6, 38
	s_set_inst_prefetch_distance 0x1
	.p2align	6
.LBB124_899:                            ; =>This Inner Loop Header: Depth=1
	ds_load_2addr_b64 v[6:9], v5 offset1:1
	s_waitcnt lgkmcnt(1)
	v_cmp_gt_f64_e32 vcc_lo, 0, v[0:1]
	v_xor_b32_e32 v10, 0x80000000, v1
	v_cmp_gt_f64_e64 s2, 0, v[2:3]
	v_xor_b32_e32 v12, 0x80000000, v3
	v_add_nc_u32_e32 v5, 16, v5
	s_waitcnt lgkmcnt(0)
	v_cmp_gt_f64_e64 s3, 0, v[6:7]
	v_mov_b32_e32 v14, v6
	v_dual_mov_b32 v16, v8 :: v_dual_cndmask_b32 v11, v1, v10
	v_xor_b32_e32 v10, 0x80000000, v7
	v_cndmask_b32_e64 v13, v3, v12, s2
	v_xor_b32_e32 v12, 0x80000000, v9
	s_delay_alu instid0(VALU_DEP_3) | instskip(SKIP_2) | instid1(VALU_DEP_2)
	v_cndmask_b32_e64 v15, v7, v10, s3
	v_cmp_gt_f64_e64 s3, 0, v[8:9]
	v_cndmask_b32_e32 v10, v0, v0, vcc_lo
	v_cndmask_b32_e64 v17, v9, v12, s3
	v_cndmask_b32_e64 v12, v2, v2, s2
	s_delay_alu instid0(VALU_DEP_2) | instskip(NEXT) | instid1(VALU_DEP_2)
	v_add_f64 v[14:15], v[14:15], v[16:17]
	v_add_f64 v[10:11], v[10:11], v[12:13]
	s_delay_alu instid0(VALU_DEP_1)
	v_cmp_lt_f64_e32 vcc_lo, v[10:11], v[14:15]
	v_cndmask_b32_e32 v3, v3, v9, vcc_lo
	v_dual_cndmask_b32 v1, v1, v7 :: v_dual_cndmask_b32 v0, v0, v6
	v_cndmask_b32_e32 v2, v2, v8, vcc_lo
	v_cndmask_b32_e64 v4, v4, s6, vcc_lo
	s_add_i32 s6, s6, 1
	s_delay_alu instid0(SALU_CYCLE_1)
	s_cmp_lg_u32 s5, s6
	s_cbranch_scc1 .LBB124_899
.LBB124_900:
	s_set_inst_prefetch_distance 0x2
	s_waitcnt lgkmcnt(0)
	v_cmp_eq_f64_e32 vcc_lo, 0, v[0:1]
	v_cmp_eq_f64_e64 s2, 0, v[2:3]
	s_delay_alu instid0(VALU_DEP_1) | instskip(NEXT) | instid1(SALU_CYCLE_1)
	s_and_b32 s2, vcc_lo, s2
	s_and_saveexec_b32 s3, s2
	s_delay_alu instid0(SALU_CYCLE_1)
	s_xor_b32 s2, exec_lo, s3
; %bb.901:
	v_cmp_ne_u32_e32 vcc_lo, 0, v37
	v_cndmask_b32_e32 v37, 38, v37, vcc_lo
; %bb.902:
	s_and_not1_saveexec_b32 s3, s2
	s_cbranch_execz .LBB124_908
; %bb.903:
	v_cmp_gt_f64_e32 vcc_lo, 0, v[0:1]
	v_cmp_gt_f64_e64 s2, 0, v[2:3]
	v_xor_b32_e32 v5, 0x80000000, v1
	v_xor_b32_e32 v7, 0x80000000, v3
	s_delay_alu instid0(VALU_DEP_2) | instskip(NEXT) | instid1(VALU_DEP_2)
	v_dual_cndmask_b32 v6, v1, v5 :: v_dual_cndmask_b32 v5, v0, v0
	v_cndmask_b32_e64 v8, v3, v7, s2
	v_cndmask_b32_e64 v7, v2, v2, s2
	s_mov_b32 s2, exec_lo
	s_delay_alu instid0(VALU_DEP_1)
	v_cmpx_ngt_f64_e32 v[5:6], v[7:8]
	s_xor_b32 s2, exec_lo, s2
	s_cbranch_execz .LBB124_905
; %bb.904:
	v_div_scale_f64 v[5:6], null, v[2:3], v[2:3], v[0:1]
	v_div_scale_f64 v[11:12], vcc_lo, v[0:1], v[2:3], v[0:1]
	s_delay_alu instid0(VALU_DEP_2) | instskip(SKIP_2) | instid1(VALU_DEP_1)
	v_rcp_f64_e32 v[7:8], v[5:6]
	s_waitcnt_depctr 0xfff
	v_fma_f64 v[9:10], -v[5:6], v[7:8], 1.0
	v_fma_f64 v[7:8], v[7:8], v[9:10], v[7:8]
	s_delay_alu instid0(VALU_DEP_1) | instskip(NEXT) | instid1(VALU_DEP_1)
	v_fma_f64 v[9:10], -v[5:6], v[7:8], 1.0
	v_fma_f64 v[7:8], v[7:8], v[9:10], v[7:8]
	s_delay_alu instid0(VALU_DEP_1) | instskip(NEXT) | instid1(VALU_DEP_1)
	v_mul_f64 v[9:10], v[11:12], v[7:8]
	v_fma_f64 v[5:6], -v[5:6], v[9:10], v[11:12]
	s_delay_alu instid0(VALU_DEP_1) | instskip(NEXT) | instid1(VALU_DEP_1)
	v_div_fmas_f64 v[5:6], v[5:6], v[7:8], v[9:10]
	v_div_fixup_f64 v[5:6], v[5:6], v[2:3], v[0:1]
	s_delay_alu instid0(VALU_DEP_1) | instskip(NEXT) | instid1(VALU_DEP_1)
	v_fma_f64 v[0:1], v[0:1], v[5:6], v[2:3]
	v_div_scale_f64 v[2:3], null, v[0:1], v[0:1], 1.0
	s_delay_alu instid0(VALU_DEP_1) | instskip(SKIP_2) | instid1(VALU_DEP_1)
	v_rcp_f64_e32 v[7:8], v[2:3]
	s_waitcnt_depctr 0xfff
	v_fma_f64 v[9:10], -v[2:3], v[7:8], 1.0
	v_fma_f64 v[7:8], v[7:8], v[9:10], v[7:8]
	s_delay_alu instid0(VALU_DEP_1) | instskip(NEXT) | instid1(VALU_DEP_1)
	v_fma_f64 v[9:10], -v[2:3], v[7:8], 1.0
	v_fma_f64 v[7:8], v[7:8], v[9:10], v[7:8]
	v_div_scale_f64 v[9:10], vcc_lo, 1.0, v[0:1], 1.0
	s_delay_alu instid0(VALU_DEP_1) | instskip(NEXT) | instid1(VALU_DEP_1)
	v_mul_f64 v[11:12], v[9:10], v[7:8]
	v_fma_f64 v[2:3], -v[2:3], v[11:12], v[9:10]
	s_delay_alu instid0(VALU_DEP_1) | instskip(NEXT) | instid1(VALU_DEP_1)
	v_div_fmas_f64 v[2:3], v[2:3], v[7:8], v[11:12]
	v_div_fixup_f64 v[2:3], v[2:3], v[0:1], 1.0
	s_delay_alu instid0(VALU_DEP_1)
	v_mul_f64 v[0:1], v[5:6], v[2:3]
	v_xor_b32_e32 v3, 0x80000000, v3
.LBB124_905:
	s_and_not1_saveexec_b32 s2, s2
	s_cbranch_execz .LBB124_907
; %bb.906:
	s_delay_alu instid0(VALU_DEP_1) | instskip(SKIP_1) | instid1(VALU_DEP_2)
	v_div_scale_f64 v[5:6], null, v[0:1], v[0:1], v[2:3]
	v_div_scale_f64 v[11:12], vcc_lo, v[2:3], v[0:1], v[2:3]
	v_rcp_f64_e32 v[7:8], v[5:6]
	s_waitcnt_depctr 0xfff
	v_fma_f64 v[9:10], -v[5:6], v[7:8], 1.0
	s_delay_alu instid0(VALU_DEP_1) | instskip(NEXT) | instid1(VALU_DEP_1)
	v_fma_f64 v[7:8], v[7:8], v[9:10], v[7:8]
	v_fma_f64 v[9:10], -v[5:6], v[7:8], 1.0
	s_delay_alu instid0(VALU_DEP_1) | instskip(NEXT) | instid1(VALU_DEP_1)
	v_fma_f64 v[7:8], v[7:8], v[9:10], v[7:8]
	v_mul_f64 v[9:10], v[11:12], v[7:8]
	s_delay_alu instid0(VALU_DEP_1) | instskip(NEXT) | instid1(VALU_DEP_1)
	v_fma_f64 v[5:6], -v[5:6], v[9:10], v[11:12]
	v_div_fmas_f64 v[5:6], v[5:6], v[7:8], v[9:10]
	s_delay_alu instid0(VALU_DEP_1) | instskip(NEXT) | instid1(VALU_DEP_1)
	v_div_fixup_f64 v[5:6], v[5:6], v[0:1], v[2:3]
	v_fma_f64 v[0:1], v[2:3], v[5:6], v[0:1]
	s_delay_alu instid0(VALU_DEP_1) | instskip(NEXT) | instid1(VALU_DEP_1)
	v_div_scale_f64 v[2:3], null, v[0:1], v[0:1], 1.0
	v_rcp_f64_e32 v[7:8], v[2:3]
	s_waitcnt_depctr 0xfff
	v_fma_f64 v[9:10], -v[2:3], v[7:8], 1.0
	s_delay_alu instid0(VALU_DEP_1) | instskip(NEXT) | instid1(VALU_DEP_1)
	v_fma_f64 v[7:8], v[7:8], v[9:10], v[7:8]
	v_fma_f64 v[9:10], -v[2:3], v[7:8], 1.0
	s_delay_alu instid0(VALU_DEP_1) | instskip(SKIP_1) | instid1(VALU_DEP_1)
	v_fma_f64 v[7:8], v[7:8], v[9:10], v[7:8]
	v_div_scale_f64 v[9:10], vcc_lo, 1.0, v[0:1], 1.0
	v_mul_f64 v[11:12], v[9:10], v[7:8]
	s_delay_alu instid0(VALU_DEP_1) | instskip(NEXT) | instid1(VALU_DEP_1)
	v_fma_f64 v[2:3], -v[2:3], v[11:12], v[9:10]
	v_div_fmas_f64 v[2:3], v[2:3], v[7:8], v[11:12]
	s_delay_alu instid0(VALU_DEP_1) | instskip(NEXT) | instid1(VALU_DEP_1)
	v_div_fixup_f64 v[0:1], v[2:3], v[0:1], 1.0
	v_mul_f64 v[2:3], v[5:6], -v[0:1]
.LBB124_907:
	s_or_b32 exec_lo, exec_lo, s2
.LBB124_908:
	s_delay_alu instid0(SALU_CYCLE_1) | instskip(NEXT) | instid1(SALU_CYCLE_1)
	s_or_b32 exec_lo, exec_lo, s3
	s_mov_b32 s2, exec_lo
	v_cmpx_ne_u32_e64 v40, v4
	s_xor_b32 s2, exec_lo, s2
	s_cbranch_execz .LBB124_914
; %bb.909:
	s_mov_b32 s3, exec_lo
	v_cmpx_eq_u32_e32 37, v40
	s_cbranch_execz .LBB124_913
; %bb.910:
	v_cmp_ne_u32_e32 vcc_lo, 37, v4
	s_xor_b32 s6, s4, -1
	s_delay_alu instid0(SALU_CYCLE_1) | instskip(NEXT) | instid1(SALU_CYCLE_1)
	s_and_b32 s7, s6, vcc_lo
	s_and_saveexec_b32 s6, s7
	s_cbranch_execz .LBB124_912
; %bb.911:
	v_ashrrev_i32_e32 v5, 31, v4
	s_delay_alu instid0(VALU_DEP_1) | instskip(NEXT) | instid1(VALU_DEP_1)
	v_lshlrev_b64 v[5:6], 2, v[4:5]
	v_add_co_u32 v5, vcc_lo, v145, v5
	s_delay_alu instid0(VALU_DEP_2)
	v_add_co_ci_u32_e32 v6, vcc_lo, v146, v6, vcc_lo
	s_clause 0x1
	flat_load_b32 v7, v[5:6]
	flat_load_b32 v8, v[145:146] offset:148
	s_waitcnt vmcnt(1) lgkmcnt(1)
	flat_store_b32 v[145:146], v7 offset:148
	s_waitcnt vmcnt(0) lgkmcnt(1)
	flat_store_b32 v[5:6], v8
.LBB124_912:
	s_or_b32 exec_lo, exec_lo, s6
	v_mov_b32_e32 v40, v4
	v_mov_b32_e32 v39, v4
.LBB124_913:
	s_or_b32 exec_lo, exec_lo, s3
.LBB124_914:
	s_and_not1_saveexec_b32 s2, s2
	s_cbranch_execz .LBB124_916
; %bb.915:
	s_clause 0x18
	scratch_load_b128 v[4:7], v174, off
	scratch_load_b128 v[8:11], v173, off
	;; [unrolled: 1-line block ×25, first 2 shown]
	v_mov_b32_e32 v40, 37
	s_waitcnt vmcnt(24)
	ds_store_2addr_b64 v20, v[4:5], v[6:7] offset0:76 offset1:77
	s_waitcnt vmcnt(23)
	ds_store_2addr_b64 v20, v[8:9], v[10:11] offset0:78 offset1:79
	;; [unrolled: 2-line block ×25, first 2 shown]
.LBB124_916:
	s_or_b32 exec_lo, exec_lo, s2
	s_delay_alu instid0(SALU_CYCLE_1)
	s_mov_b32 s2, exec_lo
	s_waitcnt lgkmcnt(0)
	s_waitcnt_vscnt null, 0x0
	s_barrier
	buffer_gl0_inv
	v_cmpx_lt_i32_e32 37, v40
	s_cbranch_execz .LBB124_919
; %bb.917:
	scratch_load_b128 v[4:7], off, off offset:592
	s_mov_b32 s3, 0
	s_waitcnt vmcnt(0)
	v_mul_f64 v[8:9], v[2:3], v[6:7]
	v_mul_f64 v[6:7], v[0:1], v[6:7]
	s_delay_alu instid0(VALU_DEP_2) | instskip(NEXT) | instid1(VALU_DEP_2)
	v_fma_f64 v[0:1], v[0:1], v[4:5], -v[8:9]
	v_fma_f64 v[2:3], v[2:3], v[4:5], v[6:7]
	v_add3_u32 v4, v38, 0, 0x260
	v_mov_b32_e32 v5, 0
	scratch_store_b128 off, v[0:3], off offset:592
.LBB124_918:                            ; =>This Inner Loop Header: Depth=1
	v_readfirstlane_b32 s6, v5
	v_add_nc_u32_e32 v18, s3, v4
	s_delay_alu instid0(VALU_DEP_2)
	s_add_i32 s6, s6, s3
	s_addk_i32 s3, 0x50
	s_add_i32 s7, s6, 0x260
	s_add_i32 s9, s6, 0x270
	;; [unrolled: 1-line block ×4, first 2 shown]
	s_addk_i32 s6, 0x2a0
	s_clause 0x4
	scratch_load_b128 v[6:9], off, s7
	scratch_load_b128 v[10:13], off, s9
	;; [unrolled: 1-line block ×5, first 2 shown]
	ds_load_2addr_b64 v[57:60], v18 offset1:1
	ds_load_2addr_b64 v[65:68], v18 offset0:2 offset1:3
	ds_load_2addr_b64 v[73:76], v18 offset0:4 offset1:5
	ds_load_2addr_b64 v[81:84], v18 offset0:6 offset1:7
	ds_load_2addr_b64 v[85:88], v18 offset0:8 offset1:9
	s_cmpk_lg_i32 s3, 0x190
	s_waitcnt lgkmcnt(4)
	v_mul_f64 v[18:19], v[59:60], v[2:3]
	v_mul_f64 v[45:46], v[57:58], v[2:3]
	s_waitcnt lgkmcnt(3)
	v_mul_f64 v[49:50], v[67:68], v[2:3]
	v_mul_f64 v[61:62], v[65:66], v[2:3]
	;; [unrolled: 3-line block ×5, first 2 shown]
	v_fma_f64 v[18:19], v[57:58], v[0:1], -v[18:19]
	v_fma_f64 v[45:46], v[59:60], v[0:1], v[45:46]
	v_fma_f64 v[49:50], v[65:66], v[0:1], -v[49:50]
	v_fma_f64 v[57:58], v[67:68], v[0:1], v[61:62]
	;; [unrolled: 2-line block ×5, first 2 shown]
	s_waitcnt vmcnt(4)
	v_add_f64 v[6:7], v[6:7], -v[18:19]
	v_add_f64 v[8:9], v[8:9], -v[45:46]
	s_waitcnt vmcnt(3)
	v_add_f64 v[10:11], v[10:11], -v[49:50]
	v_add_f64 v[12:13], v[12:13], -v[57:58]
	;; [unrolled: 3-line block ×5, first 2 shown]
	s_clause 0x4
	scratch_store_b128 off, v[6:9], s7
	scratch_store_b128 off, v[10:13], s9
	;; [unrolled: 1-line block ×5, first 2 shown]
	s_cbranch_scc1 .LBB124_918
.LBB124_919:
	s_or_b32 exec_lo, exec_lo, s2
	s_waitcnt_vscnt null, 0x0
	s_barrier
	buffer_gl0_inv
	scratch_load_b128 v[0:3], v174, off
	v_lshl_add_u32 v4, v40, 4, v20
	s_cmp_lt_i32 s5, 40
	s_waitcnt vmcnt(0)
	ds_store_2addr_b64 v4, v[0:1], v[2:3] offset1:1
	s_waitcnt lgkmcnt(0)
	s_barrier
	buffer_gl0_inv
	ds_load_2addr_b64 v[0:3], v20 offset0:76 offset1:77
	v_mov_b32_e32 v4, 38
	s_cbranch_scc1 .LBB124_922
; %bb.920:
	v_add3_u32 v5, v38, 0, 0x270
	v_mov_b32_e32 v4, 38
	s_mov_b32 s6, 39
	s_set_inst_prefetch_distance 0x1
	.p2align	6
.LBB124_921:                            ; =>This Inner Loop Header: Depth=1
	ds_load_2addr_b64 v[6:9], v5 offset1:1
	s_waitcnt lgkmcnt(1)
	v_cmp_gt_f64_e32 vcc_lo, 0, v[0:1]
	v_xor_b32_e32 v10, 0x80000000, v1
	v_cmp_gt_f64_e64 s2, 0, v[2:3]
	v_xor_b32_e32 v12, 0x80000000, v3
	v_add_nc_u32_e32 v5, 16, v5
	s_waitcnt lgkmcnt(0)
	v_cmp_gt_f64_e64 s3, 0, v[6:7]
	v_mov_b32_e32 v14, v6
	v_dual_mov_b32 v16, v8 :: v_dual_cndmask_b32 v11, v1, v10
	v_xor_b32_e32 v10, 0x80000000, v7
	v_cndmask_b32_e64 v13, v3, v12, s2
	v_xor_b32_e32 v12, 0x80000000, v9
	s_delay_alu instid0(VALU_DEP_3) | instskip(SKIP_2) | instid1(VALU_DEP_2)
	v_cndmask_b32_e64 v15, v7, v10, s3
	v_cmp_gt_f64_e64 s3, 0, v[8:9]
	v_cndmask_b32_e32 v10, v0, v0, vcc_lo
	v_cndmask_b32_e64 v17, v9, v12, s3
	v_cndmask_b32_e64 v12, v2, v2, s2
	s_delay_alu instid0(VALU_DEP_2) | instskip(NEXT) | instid1(VALU_DEP_2)
	v_add_f64 v[14:15], v[14:15], v[16:17]
	v_add_f64 v[10:11], v[10:11], v[12:13]
	s_delay_alu instid0(VALU_DEP_1)
	v_cmp_lt_f64_e32 vcc_lo, v[10:11], v[14:15]
	v_cndmask_b32_e32 v3, v3, v9, vcc_lo
	v_dual_cndmask_b32 v1, v1, v7 :: v_dual_cndmask_b32 v0, v0, v6
	v_cndmask_b32_e32 v2, v2, v8, vcc_lo
	v_cndmask_b32_e64 v4, v4, s6, vcc_lo
	s_add_i32 s6, s6, 1
	s_delay_alu instid0(SALU_CYCLE_1)
	s_cmp_lg_u32 s5, s6
	s_cbranch_scc1 .LBB124_921
.LBB124_922:
	s_set_inst_prefetch_distance 0x2
	s_waitcnt lgkmcnt(0)
	v_cmp_eq_f64_e32 vcc_lo, 0, v[0:1]
	v_cmp_eq_f64_e64 s2, 0, v[2:3]
	s_delay_alu instid0(VALU_DEP_1) | instskip(NEXT) | instid1(SALU_CYCLE_1)
	s_and_b32 s2, vcc_lo, s2
	s_and_saveexec_b32 s3, s2
	s_delay_alu instid0(SALU_CYCLE_1)
	s_xor_b32 s2, exec_lo, s3
; %bb.923:
	v_cmp_ne_u32_e32 vcc_lo, 0, v37
	v_cndmask_b32_e32 v37, 39, v37, vcc_lo
; %bb.924:
	s_and_not1_saveexec_b32 s3, s2
	s_cbranch_execz .LBB124_930
; %bb.925:
	v_cmp_gt_f64_e32 vcc_lo, 0, v[0:1]
	v_cmp_gt_f64_e64 s2, 0, v[2:3]
	v_xor_b32_e32 v5, 0x80000000, v1
	v_xor_b32_e32 v7, 0x80000000, v3
	s_delay_alu instid0(VALU_DEP_2) | instskip(NEXT) | instid1(VALU_DEP_2)
	v_dual_cndmask_b32 v6, v1, v5 :: v_dual_cndmask_b32 v5, v0, v0
	v_cndmask_b32_e64 v8, v3, v7, s2
	v_cndmask_b32_e64 v7, v2, v2, s2
	s_mov_b32 s2, exec_lo
	s_delay_alu instid0(VALU_DEP_1)
	v_cmpx_ngt_f64_e32 v[5:6], v[7:8]
	s_xor_b32 s2, exec_lo, s2
	s_cbranch_execz .LBB124_927
; %bb.926:
	v_div_scale_f64 v[5:6], null, v[2:3], v[2:3], v[0:1]
	v_div_scale_f64 v[11:12], vcc_lo, v[0:1], v[2:3], v[0:1]
	s_delay_alu instid0(VALU_DEP_2) | instskip(SKIP_2) | instid1(VALU_DEP_1)
	v_rcp_f64_e32 v[7:8], v[5:6]
	s_waitcnt_depctr 0xfff
	v_fma_f64 v[9:10], -v[5:6], v[7:8], 1.0
	v_fma_f64 v[7:8], v[7:8], v[9:10], v[7:8]
	s_delay_alu instid0(VALU_DEP_1) | instskip(NEXT) | instid1(VALU_DEP_1)
	v_fma_f64 v[9:10], -v[5:6], v[7:8], 1.0
	v_fma_f64 v[7:8], v[7:8], v[9:10], v[7:8]
	s_delay_alu instid0(VALU_DEP_1) | instskip(NEXT) | instid1(VALU_DEP_1)
	v_mul_f64 v[9:10], v[11:12], v[7:8]
	v_fma_f64 v[5:6], -v[5:6], v[9:10], v[11:12]
	s_delay_alu instid0(VALU_DEP_1) | instskip(NEXT) | instid1(VALU_DEP_1)
	v_div_fmas_f64 v[5:6], v[5:6], v[7:8], v[9:10]
	v_div_fixup_f64 v[5:6], v[5:6], v[2:3], v[0:1]
	s_delay_alu instid0(VALU_DEP_1) | instskip(NEXT) | instid1(VALU_DEP_1)
	v_fma_f64 v[0:1], v[0:1], v[5:6], v[2:3]
	v_div_scale_f64 v[2:3], null, v[0:1], v[0:1], 1.0
	s_delay_alu instid0(VALU_DEP_1) | instskip(SKIP_2) | instid1(VALU_DEP_1)
	v_rcp_f64_e32 v[7:8], v[2:3]
	s_waitcnt_depctr 0xfff
	v_fma_f64 v[9:10], -v[2:3], v[7:8], 1.0
	v_fma_f64 v[7:8], v[7:8], v[9:10], v[7:8]
	s_delay_alu instid0(VALU_DEP_1) | instskip(NEXT) | instid1(VALU_DEP_1)
	v_fma_f64 v[9:10], -v[2:3], v[7:8], 1.0
	v_fma_f64 v[7:8], v[7:8], v[9:10], v[7:8]
	v_div_scale_f64 v[9:10], vcc_lo, 1.0, v[0:1], 1.0
	s_delay_alu instid0(VALU_DEP_1) | instskip(NEXT) | instid1(VALU_DEP_1)
	v_mul_f64 v[11:12], v[9:10], v[7:8]
	v_fma_f64 v[2:3], -v[2:3], v[11:12], v[9:10]
	s_delay_alu instid0(VALU_DEP_1) | instskip(NEXT) | instid1(VALU_DEP_1)
	v_div_fmas_f64 v[2:3], v[2:3], v[7:8], v[11:12]
	v_div_fixup_f64 v[2:3], v[2:3], v[0:1], 1.0
	s_delay_alu instid0(VALU_DEP_1)
	v_mul_f64 v[0:1], v[5:6], v[2:3]
	v_xor_b32_e32 v3, 0x80000000, v3
.LBB124_927:
	s_and_not1_saveexec_b32 s2, s2
	s_cbranch_execz .LBB124_929
; %bb.928:
	s_delay_alu instid0(VALU_DEP_1) | instskip(SKIP_1) | instid1(VALU_DEP_2)
	v_div_scale_f64 v[5:6], null, v[0:1], v[0:1], v[2:3]
	v_div_scale_f64 v[11:12], vcc_lo, v[2:3], v[0:1], v[2:3]
	v_rcp_f64_e32 v[7:8], v[5:6]
	s_waitcnt_depctr 0xfff
	v_fma_f64 v[9:10], -v[5:6], v[7:8], 1.0
	s_delay_alu instid0(VALU_DEP_1) | instskip(NEXT) | instid1(VALU_DEP_1)
	v_fma_f64 v[7:8], v[7:8], v[9:10], v[7:8]
	v_fma_f64 v[9:10], -v[5:6], v[7:8], 1.0
	s_delay_alu instid0(VALU_DEP_1) | instskip(NEXT) | instid1(VALU_DEP_1)
	v_fma_f64 v[7:8], v[7:8], v[9:10], v[7:8]
	v_mul_f64 v[9:10], v[11:12], v[7:8]
	s_delay_alu instid0(VALU_DEP_1) | instskip(NEXT) | instid1(VALU_DEP_1)
	v_fma_f64 v[5:6], -v[5:6], v[9:10], v[11:12]
	v_div_fmas_f64 v[5:6], v[5:6], v[7:8], v[9:10]
	s_delay_alu instid0(VALU_DEP_1) | instskip(NEXT) | instid1(VALU_DEP_1)
	v_div_fixup_f64 v[5:6], v[5:6], v[0:1], v[2:3]
	v_fma_f64 v[0:1], v[2:3], v[5:6], v[0:1]
	s_delay_alu instid0(VALU_DEP_1) | instskip(NEXT) | instid1(VALU_DEP_1)
	v_div_scale_f64 v[2:3], null, v[0:1], v[0:1], 1.0
	v_rcp_f64_e32 v[7:8], v[2:3]
	s_waitcnt_depctr 0xfff
	v_fma_f64 v[9:10], -v[2:3], v[7:8], 1.0
	s_delay_alu instid0(VALU_DEP_1) | instskip(NEXT) | instid1(VALU_DEP_1)
	v_fma_f64 v[7:8], v[7:8], v[9:10], v[7:8]
	v_fma_f64 v[9:10], -v[2:3], v[7:8], 1.0
	s_delay_alu instid0(VALU_DEP_1) | instskip(SKIP_1) | instid1(VALU_DEP_1)
	v_fma_f64 v[7:8], v[7:8], v[9:10], v[7:8]
	v_div_scale_f64 v[9:10], vcc_lo, 1.0, v[0:1], 1.0
	v_mul_f64 v[11:12], v[9:10], v[7:8]
	s_delay_alu instid0(VALU_DEP_1) | instskip(NEXT) | instid1(VALU_DEP_1)
	v_fma_f64 v[2:3], -v[2:3], v[11:12], v[9:10]
	v_div_fmas_f64 v[2:3], v[2:3], v[7:8], v[11:12]
	s_delay_alu instid0(VALU_DEP_1) | instskip(NEXT) | instid1(VALU_DEP_1)
	v_div_fixup_f64 v[0:1], v[2:3], v[0:1], 1.0
	v_mul_f64 v[2:3], v[5:6], -v[0:1]
.LBB124_929:
	s_or_b32 exec_lo, exec_lo, s2
.LBB124_930:
	s_delay_alu instid0(SALU_CYCLE_1) | instskip(NEXT) | instid1(SALU_CYCLE_1)
	s_or_b32 exec_lo, exec_lo, s3
	s_mov_b32 s2, exec_lo
	v_cmpx_ne_u32_e64 v40, v4
	s_xor_b32 s2, exec_lo, s2
	s_cbranch_execz .LBB124_936
; %bb.931:
	s_mov_b32 s3, exec_lo
	v_cmpx_eq_u32_e32 38, v40
	s_cbranch_execz .LBB124_935
; %bb.932:
	v_cmp_ne_u32_e32 vcc_lo, 38, v4
	s_xor_b32 s6, s4, -1
	s_delay_alu instid0(SALU_CYCLE_1) | instskip(NEXT) | instid1(SALU_CYCLE_1)
	s_and_b32 s7, s6, vcc_lo
	s_and_saveexec_b32 s6, s7
	s_cbranch_execz .LBB124_934
; %bb.933:
	v_ashrrev_i32_e32 v5, 31, v4
	s_delay_alu instid0(VALU_DEP_1) | instskip(NEXT) | instid1(VALU_DEP_1)
	v_lshlrev_b64 v[5:6], 2, v[4:5]
	v_add_co_u32 v5, vcc_lo, v145, v5
	s_delay_alu instid0(VALU_DEP_2)
	v_add_co_ci_u32_e32 v6, vcc_lo, v146, v6, vcc_lo
	s_clause 0x1
	flat_load_b32 v7, v[5:6]
	flat_load_b32 v8, v[145:146] offset:152
	s_waitcnt vmcnt(1) lgkmcnt(1)
	flat_store_b32 v[145:146], v7 offset:152
	s_waitcnt vmcnt(0) lgkmcnt(1)
	flat_store_b32 v[5:6], v8
.LBB124_934:
	s_or_b32 exec_lo, exec_lo, s6
	v_mov_b32_e32 v40, v4
	v_mov_b32_e32 v39, v4
.LBB124_935:
	s_or_b32 exec_lo, exec_lo, s3
.LBB124_936:
	s_and_not1_saveexec_b32 s2, s2
	s_cbranch_execz .LBB124_938
; %bb.937:
	s_clause 0x17
	scratch_load_b128 v[4:7], v173, off
	scratch_load_b128 v[8:11], v172, off
	;; [unrolled: 1-line block ×24, first 2 shown]
	v_mov_b32_e32 v40, 38
	s_waitcnt vmcnt(23)
	ds_store_2addr_b64 v20, v[4:5], v[6:7] offset0:78 offset1:79
	s_waitcnt vmcnt(22)
	ds_store_2addr_b64 v20, v[8:9], v[10:11] offset0:80 offset1:81
	;; [unrolled: 2-line block ×24, first 2 shown]
.LBB124_938:
	s_or_b32 exec_lo, exec_lo, s2
	s_delay_alu instid0(SALU_CYCLE_1)
	s_mov_b32 s2, exec_lo
	s_waitcnt lgkmcnt(0)
	s_waitcnt_vscnt null, 0x0
	s_barrier
	buffer_gl0_inv
	v_cmpx_lt_i32_e32 38, v40
	s_cbranch_execz .LBB124_941
; %bb.939:
	scratch_load_b128 v[4:7], off, off offset:608
	s_mov_b32 s3, 0
	s_waitcnt vmcnt(0)
	v_mul_f64 v[8:9], v[2:3], v[6:7]
	v_mul_f64 v[6:7], v[0:1], v[6:7]
	s_delay_alu instid0(VALU_DEP_2) | instskip(NEXT) | instid1(VALU_DEP_2)
	v_fma_f64 v[0:1], v[0:1], v[4:5], -v[8:9]
	v_fma_f64 v[2:3], v[2:3], v[4:5], v[6:7]
	v_add3_u32 v4, v38, 0, 0x270
	v_mov_b32_e32 v5, 0
	scratch_store_b128 off, v[0:3], off offset:608
.LBB124_940:                            ; =>This Inner Loop Header: Depth=1
	v_readfirstlane_b32 s6, v5
	v_add_nc_u32_e32 v18, s3, v4
	s_delay_alu instid0(VALU_DEP_2)
	s_add_i32 s7, s6, s3
	s_addk_i32 s3, 0x60
	s_add_i32 s6, s7, 0x270
	s_add_i32 s9, s7, 0x280
	s_add_i32 s12, s7, 0x290
	s_add_i32 s14, s7, 0x2a0
	s_add_i32 s15, s7, 0x2b0
	s_addk_i32 s7, 0x2c0
	s_clause 0x5
	scratch_load_b128 v[6:9], off, s6
	scratch_load_b128 v[10:13], off, s9
	;; [unrolled: 1-line block ×6, first 2 shown]
	ds_load_2addr_b64 v[65:68], v18 offset1:1
	ds_load_2addr_b64 v[73:76], v18 offset0:2 offset1:3
	ds_load_2addr_b64 v[81:84], v18 offset0:4 offset1:5
	;; [unrolled: 1-line block ×5, first 2 shown]
	s_cmpk_lg_i32 s3, 0x180
	s_waitcnt lgkmcnt(5)
	v_mul_f64 v[18:19], v[67:68], v[2:3]
	v_mul_f64 v[45:46], v[65:66], v[2:3]
	s_waitcnt lgkmcnt(4)
	v_mul_f64 v[49:50], v[75:76], v[2:3]
	v_mul_f64 v[61:62], v[73:74], v[2:3]
	;; [unrolled: 3-line block ×6, first 2 shown]
	v_fma_f64 v[18:19], v[65:66], v[0:1], -v[18:19]
	v_fma_f64 v[45:46], v[67:68], v[0:1], v[45:46]
	v_fma_f64 v[49:50], v[73:74], v[0:1], -v[49:50]
	v_fma_f64 v[61:62], v[75:76], v[0:1], v[61:62]
	;; [unrolled: 2-line block ×6, first 2 shown]
	s_waitcnt vmcnt(5)
	v_add_f64 v[6:7], v[6:7], -v[18:19]
	v_add_f64 v[8:9], v[8:9], -v[45:46]
	s_waitcnt vmcnt(4)
	v_add_f64 v[10:11], v[10:11], -v[49:50]
	v_add_f64 v[12:13], v[12:13], -v[61:62]
	;; [unrolled: 3-line block ×6, first 2 shown]
	s_clause 0x5
	scratch_store_b128 off, v[6:9], s6
	scratch_store_b128 off, v[10:13], s9
	;; [unrolled: 1-line block ×6, first 2 shown]
	s_cbranch_scc1 .LBB124_940
.LBB124_941:
	s_or_b32 exec_lo, exec_lo, s2
	s_waitcnt_vscnt null, 0x0
	s_barrier
	buffer_gl0_inv
	scratch_load_b128 v[0:3], v173, off
	v_lshl_add_u32 v4, v40, 4, v20
	s_cmp_lt_i32 s5, 41
	s_waitcnt vmcnt(0)
	ds_store_2addr_b64 v4, v[0:1], v[2:3] offset1:1
	s_waitcnt lgkmcnt(0)
	s_barrier
	buffer_gl0_inv
	ds_load_2addr_b64 v[0:3], v20 offset0:78 offset1:79
	v_mov_b32_e32 v4, 39
	s_cbranch_scc1 .LBB124_944
; %bb.942:
	v_add3_u32 v5, v38, 0, 0x280
	v_mov_b32_e32 v4, 39
	s_mov_b32 s6, 40
	s_set_inst_prefetch_distance 0x1
	.p2align	6
.LBB124_943:                            ; =>This Inner Loop Header: Depth=1
	ds_load_2addr_b64 v[6:9], v5 offset1:1
	s_waitcnt lgkmcnt(1)
	v_cmp_gt_f64_e32 vcc_lo, 0, v[0:1]
	v_xor_b32_e32 v10, 0x80000000, v1
	v_cmp_gt_f64_e64 s2, 0, v[2:3]
	v_xor_b32_e32 v12, 0x80000000, v3
	v_add_nc_u32_e32 v5, 16, v5
	s_waitcnt lgkmcnt(0)
	v_cmp_gt_f64_e64 s3, 0, v[6:7]
	v_mov_b32_e32 v14, v6
	v_dual_mov_b32 v16, v8 :: v_dual_cndmask_b32 v11, v1, v10
	v_xor_b32_e32 v10, 0x80000000, v7
	v_cndmask_b32_e64 v13, v3, v12, s2
	v_xor_b32_e32 v12, 0x80000000, v9
	s_delay_alu instid0(VALU_DEP_3) | instskip(SKIP_2) | instid1(VALU_DEP_2)
	v_cndmask_b32_e64 v15, v7, v10, s3
	v_cmp_gt_f64_e64 s3, 0, v[8:9]
	v_cndmask_b32_e32 v10, v0, v0, vcc_lo
	v_cndmask_b32_e64 v17, v9, v12, s3
	v_cndmask_b32_e64 v12, v2, v2, s2
	s_delay_alu instid0(VALU_DEP_2) | instskip(NEXT) | instid1(VALU_DEP_2)
	v_add_f64 v[14:15], v[14:15], v[16:17]
	v_add_f64 v[10:11], v[10:11], v[12:13]
	s_delay_alu instid0(VALU_DEP_1)
	v_cmp_lt_f64_e32 vcc_lo, v[10:11], v[14:15]
	v_cndmask_b32_e32 v3, v3, v9, vcc_lo
	v_dual_cndmask_b32 v1, v1, v7 :: v_dual_cndmask_b32 v0, v0, v6
	v_cndmask_b32_e32 v2, v2, v8, vcc_lo
	v_cndmask_b32_e64 v4, v4, s6, vcc_lo
	s_add_i32 s6, s6, 1
	s_delay_alu instid0(SALU_CYCLE_1)
	s_cmp_lg_u32 s5, s6
	s_cbranch_scc1 .LBB124_943
.LBB124_944:
	s_set_inst_prefetch_distance 0x2
	s_waitcnt lgkmcnt(0)
	v_cmp_eq_f64_e32 vcc_lo, 0, v[0:1]
	v_cmp_eq_f64_e64 s2, 0, v[2:3]
	s_delay_alu instid0(VALU_DEP_1) | instskip(NEXT) | instid1(SALU_CYCLE_1)
	s_and_b32 s2, vcc_lo, s2
	s_and_saveexec_b32 s3, s2
	s_delay_alu instid0(SALU_CYCLE_1)
	s_xor_b32 s2, exec_lo, s3
; %bb.945:
	v_cmp_ne_u32_e32 vcc_lo, 0, v37
	v_cndmask_b32_e32 v37, 40, v37, vcc_lo
; %bb.946:
	s_and_not1_saveexec_b32 s3, s2
	s_cbranch_execz .LBB124_952
; %bb.947:
	v_cmp_gt_f64_e32 vcc_lo, 0, v[0:1]
	v_cmp_gt_f64_e64 s2, 0, v[2:3]
	v_xor_b32_e32 v5, 0x80000000, v1
	v_xor_b32_e32 v7, 0x80000000, v3
	s_delay_alu instid0(VALU_DEP_2) | instskip(NEXT) | instid1(VALU_DEP_2)
	v_dual_cndmask_b32 v6, v1, v5 :: v_dual_cndmask_b32 v5, v0, v0
	v_cndmask_b32_e64 v8, v3, v7, s2
	v_cndmask_b32_e64 v7, v2, v2, s2
	s_mov_b32 s2, exec_lo
	s_delay_alu instid0(VALU_DEP_1)
	v_cmpx_ngt_f64_e32 v[5:6], v[7:8]
	s_xor_b32 s2, exec_lo, s2
	s_cbranch_execz .LBB124_949
; %bb.948:
	v_div_scale_f64 v[5:6], null, v[2:3], v[2:3], v[0:1]
	v_div_scale_f64 v[11:12], vcc_lo, v[0:1], v[2:3], v[0:1]
	s_delay_alu instid0(VALU_DEP_2) | instskip(SKIP_2) | instid1(VALU_DEP_1)
	v_rcp_f64_e32 v[7:8], v[5:6]
	s_waitcnt_depctr 0xfff
	v_fma_f64 v[9:10], -v[5:6], v[7:8], 1.0
	v_fma_f64 v[7:8], v[7:8], v[9:10], v[7:8]
	s_delay_alu instid0(VALU_DEP_1) | instskip(NEXT) | instid1(VALU_DEP_1)
	v_fma_f64 v[9:10], -v[5:6], v[7:8], 1.0
	v_fma_f64 v[7:8], v[7:8], v[9:10], v[7:8]
	s_delay_alu instid0(VALU_DEP_1) | instskip(NEXT) | instid1(VALU_DEP_1)
	v_mul_f64 v[9:10], v[11:12], v[7:8]
	v_fma_f64 v[5:6], -v[5:6], v[9:10], v[11:12]
	s_delay_alu instid0(VALU_DEP_1) | instskip(NEXT) | instid1(VALU_DEP_1)
	v_div_fmas_f64 v[5:6], v[5:6], v[7:8], v[9:10]
	v_div_fixup_f64 v[5:6], v[5:6], v[2:3], v[0:1]
	s_delay_alu instid0(VALU_DEP_1) | instskip(NEXT) | instid1(VALU_DEP_1)
	v_fma_f64 v[0:1], v[0:1], v[5:6], v[2:3]
	v_div_scale_f64 v[2:3], null, v[0:1], v[0:1], 1.0
	s_delay_alu instid0(VALU_DEP_1) | instskip(SKIP_2) | instid1(VALU_DEP_1)
	v_rcp_f64_e32 v[7:8], v[2:3]
	s_waitcnt_depctr 0xfff
	v_fma_f64 v[9:10], -v[2:3], v[7:8], 1.0
	v_fma_f64 v[7:8], v[7:8], v[9:10], v[7:8]
	s_delay_alu instid0(VALU_DEP_1) | instskip(NEXT) | instid1(VALU_DEP_1)
	v_fma_f64 v[9:10], -v[2:3], v[7:8], 1.0
	v_fma_f64 v[7:8], v[7:8], v[9:10], v[7:8]
	v_div_scale_f64 v[9:10], vcc_lo, 1.0, v[0:1], 1.0
	s_delay_alu instid0(VALU_DEP_1) | instskip(NEXT) | instid1(VALU_DEP_1)
	v_mul_f64 v[11:12], v[9:10], v[7:8]
	v_fma_f64 v[2:3], -v[2:3], v[11:12], v[9:10]
	s_delay_alu instid0(VALU_DEP_1) | instskip(NEXT) | instid1(VALU_DEP_1)
	v_div_fmas_f64 v[2:3], v[2:3], v[7:8], v[11:12]
	v_div_fixup_f64 v[2:3], v[2:3], v[0:1], 1.0
	s_delay_alu instid0(VALU_DEP_1)
	v_mul_f64 v[0:1], v[5:6], v[2:3]
	v_xor_b32_e32 v3, 0x80000000, v3
.LBB124_949:
	s_and_not1_saveexec_b32 s2, s2
	s_cbranch_execz .LBB124_951
; %bb.950:
	s_delay_alu instid0(VALU_DEP_1) | instskip(SKIP_1) | instid1(VALU_DEP_2)
	v_div_scale_f64 v[5:6], null, v[0:1], v[0:1], v[2:3]
	v_div_scale_f64 v[11:12], vcc_lo, v[2:3], v[0:1], v[2:3]
	v_rcp_f64_e32 v[7:8], v[5:6]
	s_waitcnt_depctr 0xfff
	v_fma_f64 v[9:10], -v[5:6], v[7:8], 1.0
	s_delay_alu instid0(VALU_DEP_1) | instskip(NEXT) | instid1(VALU_DEP_1)
	v_fma_f64 v[7:8], v[7:8], v[9:10], v[7:8]
	v_fma_f64 v[9:10], -v[5:6], v[7:8], 1.0
	s_delay_alu instid0(VALU_DEP_1) | instskip(NEXT) | instid1(VALU_DEP_1)
	v_fma_f64 v[7:8], v[7:8], v[9:10], v[7:8]
	v_mul_f64 v[9:10], v[11:12], v[7:8]
	s_delay_alu instid0(VALU_DEP_1) | instskip(NEXT) | instid1(VALU_DEP_1)
	v_fma_f64 v[5:6], -v[5:6], v[9:10], v[11:12]
	v_div_fmas_f64 v[5:6], v[5:6], v[7:8], v[9:10]
	s_delay_alu instid0(VALU_DEP_1) | instskip(NEXT) | instid1(VALU_DEP_1)
	v_div_fixup_f64 v[5:6], v[5:6], v[0:1], v[2:3]
	v_fma_f64 v[0:1], v[2:3], v[5:6], v[0:1]
	s_delay_alu instid0(VALU_DEP_1) | instskip(NEXT) | instid1(VALU_DEP_1)
	v_div_scale_f64 v[2:3], null, v[0:1], v[0:1], 1.0
	v_rcp_f64_e32 v[7:8], v[2:3]
	s_waitcnt_depctr 0xfff
	v_fma_f64 v[9:10], -v[2:3], v[7:8], 1.0
	s_delay_alu instid0(VALU_DEP_1) | instskip(NEXT) | instid1(VALU_DEP_1)
	v_fma_f64 v[7:8], v[7:8], v[9:10], v[7:8]
	v_fma_f64 v[9:10], -v[2:3], v[7:8], 1.0
	s_delay_alu instid0(VALU_DEP_1) | instskip(SKIP_1) | instid1(VALU_DEP_1)
	v_fma_f64 v[7:8], v[7:8], v[9:10], v[7:8]
	v_div_scale_f64 v[9:10], vcc_lo, 1.0, v[0:1], 1.0
	v_mul_f64 v[11:12], v[9:10], v[7:8]
	s_delay_alu instid0(VALU_DEP_1) | instskip(NEXT) | instid1(VALU_DEP_1)
	v_fma_f64 v[2:3], -v[2:3], v[11:12], v[9:10]
	v_div_fmas_f64 v[2:3], v[2:3], v[7:8], v[11:12]
	s_delay_alu instid0(VALU_DEP_1) | instskip(NEXT) | instid1(VALU_DEP_1)
	v_div_fixup_f64 v[0:1], v[2:3], v[0:1], 1.0
	v_mul_f64 v[2:3], v[5:6], -v[0:1]
.LBB124_951:
	s_or_b32 exec_lo, exec_lo, s2
.LBB124_952:
	s_delay_alu instid0(SALU_CYCLE_1) | instskip(NEXT) | instid1(SALU_CYCLE_1)
	s_or_b32 exec_lo, exec_lo, s3
	s_mov_b32 s2, exec_lo
	v_cmpx_ne_u32_e64 v40, v4
	s_xor_b32 s2, exec_lo, s2
	s_cbranch_execz .LBB124_958
; %bb.953:
	s_mov_b32 s3, exec_lo
	v_cmpx_eq_u32_e32 39, v40
	s_cbranch_execz .LBB124_957
; %bb.954:
	v_cmp_ne_u32_e32 vcc_lo, 39, v4
	s_xor_b32 s6, s4, -1
	s_delay_alu instid0(SALU_CYCLE_1) | instskip(NEXT) | instid1(SALU_CYCLE_1)
	s_and_b32 s7, s6, vcc_lo
	s_and_saveexec_b32 s6, s7
	s_cbranch_execz .LBB124_956
; %bb.955:
	v_ashrrev_i32_e32 v5, 31, v4
	s_delay_alu instid0(VALU_DEP_1) | instskip(NEXT) | instid1(VALU_DEP_1)
	v_lshlrev_b64 v[5:6], 2, v[4:5]
	v_add_co_u32 v5, vcc_lo, v145, v5
	s_delay_alu instid0(VALU_DEP_2)
	v_add_co_ci_u32_e32 v6, vcc_lo, v146, v6, vcc_lo
	s_clause 0x1
	flat_load_b32 v7, v[5:6]
	flat_load_b32 v8, v[145:146] offset:156
	s_waitcnt vmcnt(1) lgkmcnt(1)
	flat_store_b32 v[145:146], v7 offset:156
	s_waitcnt vmcnt(0) lgkmcnt(1)
	flat_store_b32 v[5:6], v8
.LBB124_956:
	s_or_b32 exec_lo, exec_lo, s6
	v_mov_b32_e32 v40, v4
	v_mov_b32_e32 v39, v4
.LBB124_957:
	s_or_b32 exec_lo, exec_lo, s3
.LBB124_958:
	s_and_not1_saveexec_b32 s2, s2
	s_cbranch_execz .LBB124_960
; %bb.959:
	s_clause 0x16
	scratch_load_b128 v[4:7], v172, off
	scratch_load_b128 v[8:11], v171, off
	scratch_load_b128 v[12:15], v170, off
	scratch_load_b128 v[16:19], v169, off
	scratch_load_b128 v[41:44], v168, off
	scratch_load_b128 v[53:56], v167, off
	scratch_load_b128 v[57:60], v166, off
	scratch_load_b128 v[65:68], v165, off
	scratch_load_b128 v[73:76], v164, off
	scratch_load_b128 v[81:84], v163, off
	scratch_load_b128 v[85:88], v154, off
	scratch_load_b128 v[89:92], v161, off
	scratch_load_b128 v[93:96], v160, off
	scratch_load_b128 v[97:100], v159, off
	scratch_load_b128 v[101:104], v158, off
	scratch_load_b128 v[130:133], v152, off
	scratch_load_b128 v[141:144], v157, off
	scratch_load_b128 v[176:179], v150, off
	scratch_load_b128 v[180:183], v155, off
	scratch_load_b128 v[184:187], v255, off
	scratch_load_b128 v[188:191], v153, off
	scratch_load_b128 v[192:195], v162, off
	scratch_load_b128 v[196:199], v151, off
	v_mov_b32_e32 v40, 39
	s_waitcnt vmcnt(22)
	ds_store_2addr_b64 v20, v[4:5], v[6:7] offset0:80 offset1:81
	s_waitcnt vmcnt(21)
	ds_store_2addr_b64 v20, v[8:9], v[10:11] offset0:82 offset1:83
	;; [unrolled: 2-line block ×23, first 2 shown]
.LBB124_960:
	s_or_b32 exec_lo, exec_lo, s2
	s_delay_alu instid0(SALU_CYCLE_1)
	s_mov_b32 s2, exec_lo
	s_waitcnt lgkmcnt(0)
	s_waitcnt_vscnt null, 0x0
	s_barrier
	buffer_gl0_inv
	v_cmpx_lt_i32_e32 39, v40
	s_cbranch_execz .LBB124_965
; %bb.961:
	scratch_load_b128 v[4:7], off, off offset:624
	s_mov_b32 s3, 0
	s_waitcnt vmcnt(0)
	v_mul_f64 v[8:9], v[2:3], v[6:7]
	v_mul_f64 v[6:7], v[0:1], v[6:7]
	s_delay_alu instid0(VALU_DEP_2) | instskip(NEXT) | instid1(VALU_DEP_2)
	v_fma_f64 v[0:1], v[0:1], v[4:5], -v[8:9]
	v_fma_f64 v[2:3], v[2:3], v[4:5], v[6:7]
	v_add3_u32 v4, v38, 0, 0x280
	v_mov_b32_e32 v5, 0
	scratch_store_b128 off, v[0:3], off offset:624
	s_branch .LBB124_963
.LBB124_962:                            ;   in Loop: Header=BB124_963 Depth=1
	s_and_not1_b32 vcc_lo, exec_lo, s7
	s_cbranch_vccz .LBB124_965
.LBB124_963:                            ; =>This Inner Loop Header: Depth=1
	v_readfirstlane_b32 s6, v5
	v_add_nc_u32_e32 v6, s3, v4
	s_mov_b32 s7, -1
	s_delay_alu instid0(VALU_DEP_2) | instskip(NEXT) | instid1(SALU_CYCLE_1)
	s_add_i32 s6, s6, s3
	s_add_i32 s9, s6, 0x280
	;; [unrolled: 1-line block ×3, first 2 shown]
	scratch_load_b128 v[7:10], off, s9
	s_add_i32 s14, s6, 0x2a0
	s_clause 0x1
	scratch_load_b128 v[11:14], off, s12
	scratch_load_b128 v[15:18], off, s14
	ds_load_2addr_b64 v[41:44], v6 offset1:1
	ds_load_2addr_b64 v[53:56], v6 offset0:2 offset1:3
	ds_load_2addr_b64 v[57:60], v6 offset0:4 offset1:5
	s_cmpk_eq_i32 s3, 0x140
	s_waitcnt lgkmcnt(2)
	v_mul_f64 v[45:46], v[43:44], v[2:3]
	v_mul_f64 v[49:50], v[41:42], v[2:3]
	s_waitcnt lgkmcnt(1)
	v_mul_f64 v[61:62], v[55:56], v[2:3]
	v_mul_f64 v[65:66], v[53:54], v[2:3]
	;; [unrolled: 3-line block ×3, first 2 shown]
	v_fma_f64 v[41:42], v[41:42], v[0:1], -v[45:46]
	v_fma_f64 v[43:44], v[43:44], v[0:1], v[49:50]
	v_fma_f64 v[45:46], v[53:54], v[0:1], -v[61:62]
	v_fma_f64 v[49:50], v[55:56], v[0:1], v[65:66]
	;; [unrolled: 2-line block ×3, first 2 shown]
	s_waitcnt vmcnt(2)
	v_add_f64 v[7:8], v[7:8], -v[41:42]
	v_add_f64 v[9:10], v[9:10], -v[43:44]
	s_waitcnt vmcnt(1)
	v_add_f64 v[11:12], v[11:12], -v[45:46]
	v_add_f64 v[13:14], v[13:14], -v[49:50]
	;; [unrolled: 3-line block ×3, first 2 shown]
	s_clause 0x2
	scratch_store_b128 off, v[7:10], s9
	scratch_store_b128 off, v[11:14], s12
	;; [unrolled: 1-line block ×3, first 2 shown]
	s_cbranch_scc1 .LBB124_962
; %bb.964:                              ;   in Loop: Header=BB124_963 Depth=1
	s_addk_i32 s6, 0x2b0
	ds_load_2addr_b64 v[11:14], v6 offset0:6 offset1:7
	scratch_load_b128 v[7:10], off, s6
	s_add_i32 s3, s3, 64
	s_mov_b32 s7, 0
	s_waitcnt lgkmcnt(0)
	v_mul_f64 v[15:16], v[13:14], v[2:3]
	v_mul_f64 v[17:18], v[11:12], v[2:3]
	s_delay_alu instid0(VALU_DEP_2) | instskip(NEXT) | instid1(VALU_DEP_2)
	v_fma_f64 v[11:12], v[11:12], v[0:1], -v[15:16]
	v_fma_f64 v[13:14], v[13:14], v[0:1], v[17:18]
	s_waitcnt vmcnt(0)
	s_delay_alu instid0(VALU_DEP_2) | instskip(NEXT) | instid1(VALU_DEP_2)
	v_add_f64 v[6:7], v[7:8], -v[11:12]
	v_add_f64 v[8:9], v[9:10], -v[13:14]
	scratch_store_b128 off, v[6:9], s6
	s_branch .LBB124_962
.LBB124_965:
	s_or_b32 exec_lo, exec_lo, s2
	s_waitcnt_vscnt null, 0x0
	s_barrier
	buffer_gl0_inv
	scratch_load_b128 v[0:3], v172, off
	v_lshl_add_u32 v4, v40, 4, v20
	s_cmp_lt_i32 s5, 42
	s_waitcnt vmcnt(0)
	ds_store_2addr_b64 v4, v[0:1], v[2:3] offset1:1
	s_waitcnt lgkmcnt(0)
	s_barrier
	buffer_gl0_inv
	ds_load_2addr_b64 v[0:3], v20 offset0:80 offset1:81
	v_mov_b32_e32 v4, 40
	s_cbranch_scc1 .LBB124_968
; %bb.966:
	v_add3_u32 v5, v38, 0, 0x290
	v_mov_b32_e32 v4, 40
	s_mov_b32 s6, 41
	s_set_inst_prefetch_distance 0x1
	.p2align	6
.LBB124_967:                            ; =>This Inner Loop Header: Depth=1
	ds_load_2addr_b64 v[6:9], v5 offset1:1
	s_waitcnt lgkmcnt(1)
	v_cmp_gt_f64_e32 vcc_lo, 0, v[0:1]
	v_xor_b32_e32 v10, 0x80000000, v1
	v_cmp_gt_f64_e64 s2, 0, v[2:3]
	v_xor_b32_e32 v12, 0x80000000, v3
	v_add_nc_u32_e32 v5, 16, v5
	s_waitcnt lgkmcnt(0)
	v_cmp_gt_f64_e64 s3, 0, v[6:7]
	v_mov_b32_e32 v14, v6
	v_dual_mov_b32 v16, v8 :: v_dual_cndmask_b32 v11, v1, v10
	v_xor_b32_e32 v10, 0x80000000, v7
	v_cndmask_b32_e64 v13, v3, v12, s2
	v_xor_b32_e32 v12, 0x80000000, v9
	s_delay_alu instid0(VALU_DEP_3) | instskip(SKIP_2) | instid1(VALU_DEP_2)
	v_cndmask_b32_e64 v15, v7, v10, s3
	v_cmp_gt_f64_e64 s3, 0, v[8:9]
	v_cndmask_b32_e32 v10, v0, v0, vcc_lo
	v_cndmask_b32_e64 v17, v9, v12, s3
	v_cndmask_b32_e64 v12, v2, v2, s2
	s_delay_alu instid0(VALU_DEP_2) | instskip(NEXT) | instid1(VALU_DEP_2)
	v_add_f64 v[14:15], v[14:15], v[16:17]
	v_add_f64 v[10:11], v[10:11], v[12:13]
	s_delay_alu instid0(VALU_DEP_1)
	v_cmp_lt_f64_e32 vcc_lo, v[10:11], v[14:15]
	v_cndmask_b32_e32 v3, v3, v9, vcc_lo
	v_dual_cndmask_b32 v1, v1, v7 :: v_dual_cndmask_b32 v0, v0, v6
	v_cndmask_b32_e32 v2, v2, v8, vcc_lo
	v_cndmask_b32_e64 v4, v4, s6, vcc_lo
	s_add_i32 s6, s6, 1
	s_delay_alu instid0(SALU_CYCLE_1)
	s_cmp_lg_u32 s5, s6
	s_cbranch_scc1 .LBB124_967
.LBB124_968:
	s_set_inst_prefetch_distance 0x2
	s_waitcnt lgkmcnt(0)
	v_cmp_eq_f64_e32 vcc_lo, 0, v[0:1]
	v_cmp_eq_f64_e64 s2, 0, v[2:3]
	s_delay_alu instid0(VALU_DEP_1) | instskip(NEXT) | instid1(SALU_CYCLE_1)
	s_and_b32 s2, vcc_lo, s2
	s_and_saveexec_b32 s3, s2
	s_delay_alu instid0(SALU_CYCLE_1)
	s_xor_b32 s2, exec_lo, s3
; %bb.969:
	v_cmp_ne_u32_e32 vcc_lo, 0, v37
	v_cndmask_b32_e32 v37, 41, v37, vcc_lo
; %bb.970:
	s_and_not1_saveexec_b32 s3, s2
	s_cbranch_execz .LBB124_976
; %bb.971:
	v_cmp_gt_f64_e32 vcc_lo, 0, v[0:1]
	v_cmp_gt_f64_e64 s2, 0, v[2:3]
	v_xor_b32_e32 v5, 0x80000000, v1
	v_xor_b32_e32 v7, 0x80000000, v3
	s_delay_alu instid0(VALU_DEP_2) | instskip(NEXT) | instid1(VALU_DEP_2)
	v_dual_cndmask_b32 v6, v1, v5 :: v_dual_cndmask_b32 v5, v0, v0
	v_cndmask_b32_e64 v8, v3, v7, s2
	v_cndmask_b32_e64 v7, v2, v2, s2
	s_mov_b32 s2, exec_lo
	s_delay_alu instid0(VALU_DEP_1)
	v_cmpx_ngt_f64_e32 v[5:6], v[7:8]
	s_xor_b32 s2, exec_lo, s2
	s_cbranch_execz .LBB124_973
; %bb.972:
	v_div_scale_f64 v[5:6], null, v[2:3], v[2:3], v[0:1]
	v_div_scale_f64 v[11:12], vcc_lo, v[0:1], v[2:3], v[0:1]
	s_delay_alu instid0(VALU_DEP_2) | instskip(SKIP_2) | instid1(VALU_DEP_1)
	v_rcp_f64_e32 v[7:8], v[5:6]
	s_waitcnt_depctr 0xfff
	v_fma_f64 v[9:10], -v[5:6], v[7:8], 1.0
	v_fma_f64 v[7:8], v[7:8], v[9:10], v[7:8]
	s_delay_alu instid0(VALU_DEP_1) | instskip(NEXT) | instid1(VALU_DEP_1)
	v_fma_f64 v[9:10], -v[5:6], v[7:8], 1.0
	v_fma_f64 v[7:8], v[7:8], v[9:10], v[7:8]
	s_delay_alu instid0(VALU_DEP_1) | instskip(NEXT) | instid1(VALU_DEP_1)
	v_mul_f64 v[9:10], v[11:12], v[7:8]
	v_fma_f64 v[5:6], -v[5:6], v[9:10], v[11:12]
	s_delay_alu instid0(VALU_DEP_1) | instskip(NEXT) | instid1(VALU_DEP_1)
	v_div_fmas_f64 v[5:6], v[5:6], v[7:8], v[9:10]
	v_div_fixup_f64 v[5:6], v[5:6], v[2:3], v[0:1]
	s_delay_alu instid0(VALU_DEP_1) | instskip(NEXT) | instid1(VALU_DEP_1)
	v_fma_f64 v[0:1], v[0:1], v[5:6], v[2:3]
	v_div_scale_f64 v[2:3], null, v[0:1], v[0:1], 1.0
	s_delay_alu instid0(VALU_DEP_1) | instskip(SKIP_2) | instid1(VALU_DEP_1)
	v_rcp_f64_e32 v[7:8], v[2:3]
	s_waitcnt_depctr 0xfff
	v_fma_f64 v[9:10], -v[2:3], v[7:8], 1.0
	v_fma_f64 v[7:8], v[7:8], v[9:10], v[7:8]
	s_delay_alu instid0(VALU_DEP_1) | instskip(NEXT) | instid1(VALU_DEP_1)
	v_fma_f64 v[9:10], -v[2:3], v[7:8], 1.0
	v_fma_f64 v[7:8], v[7:8], v[9:10], v[7:8]
	v_div_scale_f64 v[9:10], vcc_lo, 1.0, v[0:1], 1.0
	s_delay_alu instid0(VALU_DEP_1) | instskip(NEXT) | instid1(VALU_DEP_1)
	v_mul_f64 v[11:12], v[9:10], v[7:8]
	v_fma_f64 v[2:3], -v[2:3], v[11:12], v[9:10]
	s_delay_alu instid0(VALU_DEP_1) | instskip(NEXT) | instid1(VALU_DEP_1)
	v_div_fmas_f64 v[2:3], v[2:3], v[7:8], v[11:12]
	v_div_fixup_f64 v[2:3], v[2:3], v[0:1], 1.0
	s_delay_alu instid0(VALU_DEP_1)
	v_mul_f64 v[0:1], v[5:6], v[2:3]
	v_xor_b32_e32 v3, 0x80000000, v3
.LBB124_973:
	s_and_not1_saveexec_b32 s2, s2
	s_cbranch_execz .LBB124_975
; %bb.974:
	s_delay_alu instid0(VALU_DEP_1) | instskip(SKIP_1) | instid1(VALU_DEP_2)
	v_div_scale_f64 v[5:6], null, v[0:1], v[0:1], v[2:3]
	v_div_scale_f64 v[11:12], vcc_lo, v[2:3], v[0:1], v[2:3]
	v_rcp_f64_e32 v[7:8], v[5:6]
	s_waitcnt_depctr 0xfff
	v_fma_f64 v[9:10], -v[5:6], v[7:8], 1.0
	s_delay_alu instid0(VALU_DEP_1) | instskip(NEXT) | instid1(VALU_DEP_1)
	v_fma_f64 v[7:8], v[7:8], v[9:10], v[7:8]
	v_fma_f64 v[9:10], -v[5:6], v[7:8], 1.0
	s_delay_alu instid0(VALU_DEP_1) | instskip(NEXT) | instid1(VALU_DEP_1)
	v_fma_f64 v[7:8], v[7:8], v[9:10], v[7:8]
	v_mul_f64 v[9:10], v[11:12], v[7:8]
	s_delay_alu instid0(VALU_DEP_1) | instskip(NEXT) | instid1(VALU_DEP_1)
	v_fma_f64 v[5:6], -v[5:6], v[9:10], v[11:12]
	v_div_fmas_f64 v[5:6], v[5:6], v[7:8], v[9:10]
	s_delay_alu instid0(VALU_DEP_1) | instskip(NEXT) | instid1(VALU_DEP_1)
	v_div_fixup_f64 v[5:6], v[5:6], v[0:1], v[2:3]
	v_fma_f64 v[0:1], v[2:3], v[5:6], v[0:1]
	s_delay_alu instid0(VALU_DEP_1) | instskip(NEXT) | instid1(VALU_DEP_1)
	v_div_scale_f64 v[2:3], null, v[0:1], v[0:1], 1.0
	v_rcp_f64_e32 v[7:8], v[2:3]
	s_waitcnt_depctr 0xfff
	v_fma_f64 v[9:10], -v[2:3], v[7:8], 1.0
	s_delay_alu instid0(VALU_DEP_1) | instskip(NEXT) | instid1(VALU_DEP_1)
	v_fma_f64 v[7:8], v[7:8], v[9:10], v[7:8]
	v_fma_f64 v[9:10], -v[2:3], v[7:8], 1.0
	s_delay_alu instid0(VALU_DEP_1) | instskip(SKIP_1) | instid1(VALU_DEP_1)
	v_fma_f64 v[7:8], v[7:8], v[9:10], v[7:8]
	v_div_scale_f64 v[9:10], vcc_lo, 1.0, v[0:1], 1.0
	v_mul_f64 v[11:12], v[9:10], v[7:8]
	s_delay_alu instid0(VALU_DEP_1) | instskip(NEXT) | instid1(VALU_DEP_1)
	v_fma_f64 v[2:3], -v[2:3], v[11:12], v[9:10]
	v_div_fmas_f64 v[2:3], v[2:3], v[7:8], v[11:12]
	s_delay_alu instid0(VALU_DEP_1) | instskip(NEXT) | instid1(VALU_DEP_1)
	v_div_fixup_f64 v[0:1], v[2:3], v[0:1], 1.0
	v_mul_f64 v[2:3], v[5:6], -v[0:1]
.LBB124_975:
	s_or_b32 exec_lo, exec_lo, s2
.LBB124_976:
	s_delay_alu instid0(SALU_CYCLE_1) | instskip(NEXT) | instid1(SALU_CYCLE_1)
	s_or_b32 exec_lo, exec_lo, s3
	s_mov_b32 s2, exec_lo
	v_cmpx_ne_u32_e64 v40, v4
	s_xor_b32 s2, exec_lo, s2
	s_cbranch_execz .LBB124_982
; %bb.977:
	s_mov_b32 s3, exec_lo
	v_cmpx_eq_u32_e32 40, v40
	s_cbranch_execz .LBB124_981
; %bb.978:
	v_cmp_ne_u32_e32 vcc_lo, 40, v4
	s_xor_b32 s6, s4, -1
	s_delay_alu instid0(SALU_CYCLE_1) | instskip(NEXT) | instid1(SALU_CYCLE_1)
	s_and_b32 s7, s6, vcc_lo
	s_and_saveexec_b32 s6, s7
	s_cbranch_execz .LBB124_980
; %bb.979:
	v_ashrrev_i32_e32 v5, 31, v4
	s_delay_alu instid0(VALU_DEP_1) | instskip(NEXT) | instid1(VALU_DEP_1)
	v_lshlrev_b64 v[5:6], 2, v[4:5]
	v_add_co_u32 v5, vcc_lo, v145, v5
	s_delay_alu instid0(VALU_DEP_2)
	v_add_co_ci_u32_e32 v6, vcc_lo, v146, v6, vcc_lo
	s_clause 0x1
	flat_load_b32 v7, v[5:6]
	flat_load_b32 v8, v[145:146] offset:160
	s_waitcnt vmcnt(1) lgkmcnt(1)
	flat_store_b32 v[145:146], v7 offset:160
	s_waitcnt vmcnt(0) lgkmcnt(1)
	flat_store_b32 v[5:6], v8
.LBB124_980:
	s_or_b32 exec_lo, exec_lo, s6
	v_mov_b32_e32 v40, v4
	v_mov_b32_e32 v39, v4
.LBB124_981:
	s_or_b32 exec_lo, exec_lo, s3
.LBB124_982:
	s_and_not1_saveexec_b32 s2, s2
	s_cbranch_execz .LBB124_984
; %bb.983:
	s_clause 0x15
	scratch_load_b128 v[4:7], v171, off
	scratch_load_b128 v[8:11], v170, off
	;; [unrolled: 1-line block ×22, first 2 shown]
	v_mov_b32_e32 v40, 40
	s_waitcnt vmcnt(21)
	ds_store_2addr_b64 v20, v[4:5], v[6:7] offset0:82 offset1:83
	s_waitcnt vmcnt(20)
	ds_store_2addr_b64 v20, v[8:9], v[10:11] offset0:84 offset1:85
	;; [unrolled: 2-line block ×22, first 2 shown]
.LBB124_984:
	s_or_b32 exec_lo, exec_lo, s2
	s_delay_alu instid0(SALU_CYCLE_1)
	s_mov_b32 s2, exec_lo
	s_waitcnt lgkmcnt(0)
	s_waitcnt_vscnt null, 0x0
	s_barrier
	buffer_gl0_inv
	v_cmpx_lt_i32_e32 40, v40
	s_cbranch_execz .LBB124_987
; %bb.985:
	scratch_load_b128 v[4:7], off, off offset:640
	s_mov_b32 s3, 0
	s_waitcnt vmcnt(0)
	v_mul_f64 v[8:9], v[2:3], v[6:7]
	v_mul_f64 v[6:7], v[0:1], v[6:7]
	s_delay_alu instid0(VALU_DEP_2) | instskip(NEXT) | instid1(VALU_DEP_2)
	v_fma_f64 v[0:1], v[0:1], v[4:5], -v[8:9]
	v_fma_f64 v[2:3], v[2:3], v[4:5], v[6:7]
	v_add3_u32 v4, v38, 0, 0x290
	scratch_store_b128 off, v[0:3], off offset:640
	s_set_inst_prefetch_distance 0x1
	.p2align	6
.LBB124_986:                            ; =>This Inner Loop Header: Depth=1
	v_add_nc_u32_e64 v5, s3, 0
	v_add_nc_u32_e32 v17, s3, v4
	s_add_i32 s3, s3, 32
	s_delay_alu instid0(SALU_CYCLE_1) | instskip(NEXT) | instid1(VALU_DEP_2)
	s_cmpk_lg_i32 s3, 0x160
	v_add_nc_u32_e32 v19, 0x290, v5
	v_add_nc_u32_e32 v47, 0x2a0, v5
	s_clause 0x1
	scratch_load_b128 v[5:8], v19, off
	scratch_load_b128 v[9:12], v47, off
	ds_load_2addr_b64 v[13:16], v17 offset1:1
	ds_load_2addr_b64 v[41:44], v17 offset0:2 offset1:3
	s_waitcnt lgkmcnt(1)
	v_mul_f64 v[17:18], v[15:16], v[2:3]
	v_mul_f64 v[45:46], v[13:14], v[2:3]
	s_waitcnt lgkmcnt(0)
	v_mul_f64 v[49:50], v[43:44], v[2:3]
	v_mul_f64 v[53:54], v[41:42], v[2:3]
	s_delay_alu instid0(VALU_DEP_4) | instskip(NEXT) | instid1(VALU_DEP_4)
	v_fma_f64 v[13:14], v[13:14], v[0:1], -v[17:18]
	v_fma_f64 v[15:16], v[15:16], v[0:1], v[45:46]
	s_delay_alu instid0(VALU_DEP_4) | instskip(NEXT) | instid1(VALU_DEP_4)
	v_fma_f64 v[17:18], v[41:42], v[0:1], -v[49:50]
	v_fma_f64 v[41:42], v[43:44], v[0:1], v[53:54]
	s_waitcnt vmcnt(1)
	s_delay_alu instid0(VALU_DEP_4) | instskip(NEXT) | instid1(VALU_DEP_4)
	v_add_f64 v[5:6], v[5:6], -v[13:14]
	v_add_f64 v[7:8], v[7:8], -v[15:16]
	s_waitcnt vmcnt(0)
	s_delay_alu instid0(VALU_DEP_4) | instskip(NEXT) | instid1(VALU_DEP_4)
	v_add_f64 v[9:10], v[9:10], -v[17:18]
	v_add_f64 v[11:12], v[11:12], -v[41:42]
	s_clause 0x1
	scratch_store_b128 v19, v[5:8], off
	scratch_store_b128 v47, v[9:12], off
	s_cbranch_scc1 .LBB124_986
.LBB124_987:
	s_set_inst_prefetch_distance 0x2
	s_or_b32 exec_lo, exec_lo, s2
	s_waitcnt_vscnt null, 0x0
	s_barrier
	buffer_gl0_inv
	scratch_load_b128 v[0:3], v171, off
	v_lshl_add_u32 v4, v40, 4, v20
	s_cmp_lt_i32 s5, 43
	s_waitcnt vmcnt(0)
	ds_store_2addr_b64 v4, v[0:1], v[2:3] offset1:1
	s_waitcnt lgkmcnt(0)
	s_barrier
	buffer_gl0_inv
	ds_load_2addr_b64 v[0:3], v20 offset0:82 offset1:83
	v_mov_b32_e32 v4, 41
	s_cbranch_scc1 .LBB124_990
; %bb.988:
	v_add3_u32 v5, v38, 0, 0x2a0
	v_mov_b32_e32 v4, 41
	s_mov_b32 s6, 42
	s_set_inst_prefetch_distance 0x1
	.p2align	6
.LBB124_989:                            ; =>This Inner Loop Header: Depth=1
	ds_load_2addr_b64 v[6:9], v5 offset1:1
	s_waitcnt lgkmcnt(1)
	v_cmp_gt_f64_e32 vcc_lo, 0, v[0:1]
	v_xor_b32_e32 v10, 0x80000000, v1
	v_cmp_gt_f64_e64 s2, 0, v[2:3]
	v_xor_b32_e32 v12, 0x80000000, v3
	v_add_nc_u32_e32 v5, 16, v5
	s_waitcnt lgkmcnt(0)
	v_cmp_gt_f64_e64 s3, 0, v[6:7]
	v_mov_b32_e32 v14, v6
	v_dual_mov_b32 v16, v8 :: v_dual_cndmask_b32 v11, v1, v10
	v_xor_b32_e32 v10, 0x80000000, v7
	v_cndmask_b32_e64 v13, v3, v12, s2
	v_xor_b32_e32 v12, 0x80000000, v9
	s_delay_alu instid0(VALU_DEP_3) | instskip(SKIP_2) | instid1(VALU_DEP_2)
	v_cndmask_b32_e64 v15, v7, v10, s3
	v_cmp_gt_f64_e64 s3, 0, v[8:9]
	v_cndmask_b32_e32 v10, v0, v0, vcc_lo
	v_cndmask_b32_e64 v17, v9, v12, s3
	v_cndmask_b32_e64 v12, v2, v2, s2
	s_delay_alu instid0(VALU_DEP_2) | instskip(NEXT) | instid1(VALU_DEP_2)
	v_add_f64 v[14:15], v[14:15], v[16:17]
	v_add_f64 v[10:11], v[10:11], v[12:13]
	s_delay_alu instid0(VALU_DEP_1)
	v_cmp_lt_f64_e32 vcc_lo, v[10:11], v[14:15]
	v_cndmask_b32_e32 v3, v3, v9, vcc_lo
	v_dual_cndmask_b32 v1, v1, v7 :: v_dual_cndmask_b32 v0, v0, v6
	v_cndmask_b32_e32 v2, v2, v8, vcc_lo
	v_cndmask_b32_e64 v4, v4, s6, vcc_lo
	s_add_i32 s6, s6, 1
	s_delay_alu instid0(SALU_CYCLE_1)
	s_cmp_lg_u32 s5, s6
	s_cbranch_scc1 .LBB124_989
.LBB124_990:
	s_set_inst_prefetch_distance 0x2
	s_waitcnt lgkmcnt(0)
	v_cmp_eq_f64_e32 vcc_lo, 0, v[0:1]
	v_cmp_eq_f64_e64 s2, 0, v[2:3]
	s_delay_alu instid0(VALU_DEP_1) | instskip(NEXT) | instid1(SALU_CYCLE_1)
	s_and_b32 s2, vcc_lo, s2
	s_and_saveexec_b32 s3, s2
	s_delay_alu instid0(SALU_CYCLE_1)
	s_xor_b32 s2, exec_lo, s3
; %bb.991:
	v_cmp_ne_u32_e32 vcc_lo, 0, v37
	v_cndmask_b32_e32 v37, 42, v37, vcc_lo
; %bb.992:
	s_and_not1_saveexec_b32 s3, s2
	s_cbranch_execz .LBB124_998
; %bb.993:
	v_cmp_gt_f64_e32 vcc_lo, 0, v[0:1]
	v_cmp_gt_f64_e64 s2, 0, v[2:3]
	v_xor_b32_e32 v5, 0x80000000, v1
	v_xor_b32_e32 v7, 0x80000000, v3
	s_delay_alu instid0(VALU_DEP_2) | instskip(NEXT) | instid1(VALU_DEP_2)
	v_dual_cndmask_b32 v6, v1, v5 :: v_dual_cndmask_b32 v5, v0, v0
	v_cndmask_b32_e64 v8, v3, v7, s2
	v_cndmask_b32_e64 v7, v2, v2, s2
	s_mov_b32 s2, exec_lo
	s_delay_alu instid0(VALU_DEP_1)
	v_cmpx_ngt_f64_e32 v[5:6], v[7:8]
	s_xor_b32 s2, exec_lo, s2
	s_cbranch_execz .LBB124_995
; %bb.994:
	v_div_scale_f64 v[5:6], null, v[2:3], v[2:3], v[0:1]
	v_div_scale_f64 v[11:12], vcc_lo, v[0:1], v[2:3], v[0:1]
	s_delay_alu instid0(VALU_DEP_2) | instskip(SKIP_2) | instid1(VALU_DEP_1)
	v_rcp_f64_e32 v[7:8], v[5:6]
	s_waitcnt_depctr 0xfff
	v_fma_f64 v[9:10], -v[5:6], v[7:8], 1.0
	v_fma_f64 v[7:8], v[7:8], v[9:10], v[7:8]
	s_delay_alu instid0(VALU_DEP_1) | instskip(NEXT) | instid1(VALU_DEP_1)
	v_fma_f64 v[9:10], -v[5:6], v[7:8], 1.0
	v_fma_f64 v[7:8], v[7:8], v[9:10], v[7:8]
	s_delay_alu instid0(VALU_DEP_1) | instskip(NEXT) | instid1(VALU_DEP_1)
	v_mul_f64 v[9:10], v[11:12], v[7:8]
	v_fma_f64 v[5:6], -v[5:6], v[9:10], v[11:12]
	s_delay_alu instid0(VALU_DEP_1) | instskip(NEXT) | instid1(VALU_DEP_1)
	v_div_fmas_f64 v[5:6], v[5:6], v[7:8], v[9:10]
	v_div_fixup_f64 v[5:6], v[5:6], v[2:3], v[0:1]
	s_delay_alu instid0(VALU_DEP_1) | instskip(NEXT) | instid1(VALU_DEP_1)
	v_fma_f64 v[0:1], v[0:1], v[5:6], v[2:3]
	v_div_scale_f64 v[2:3], null, v[0:1], v[0:1], 1.0
	s_delay_alu instid0(VALU_DEP_1) | instskip(SKIP_2) | instid1(VALU_DEP_1)
	v_rcp_f64_e32 v[7:8], v[2:3]
	s_waitcnt_depctr 0xfff
	v_fma_f64 v[9:10], -v[2:3], v[7:8], 1.0
	v_fma_f64 v[7:8], v[7:8], v[9:10], v[7:8]
	s_delay_alu instid0(VALU_DEP_1) | instskip(NEXT) | instid1(VALU_DEP_1)
	v_fma_f64 v[9:10], -v[2:3], v[7:8], 1.0
	v_fma_f64 v[7:8], v[7:8], v[9:10], v[7:8]
	v_div_scale_f64 v[9:10], vcc_lo, 1.0, v[0:1], 1.0
	s_delay_alu instid0(VALU_DEP_1) | instskip(NEXT) | instid1(VALU_DEP_1)
	v_mul_f64 v[11:12], v[9:10], v[7:8]
	v_fma_f64 v[2:3], -v[2:3], v[11:12], v[9:10]
	s_delay_alu instid0(VALU_DEP_1) | instskip(NEXT) | instid1(VALU_DEP_1)
	v_div_fmas_f64 v[2:3], v[2:3], v[7:8], v[11:12]
	v_div_fixup_f64 v[2:3], v[2:3], v[0:1], 1.0
	s_delay_alu instid0(VALU_DEP_1)
	v_mul_f64 v[0:1], v[5:6], v[2:3]
	v_xor_b32_e32 v3, 0x80000000, v3
.LBB124_995:
	s_and_not1_saveexec_b32 s2, s2
	s_cbranch_execz .LBB124_997
; %bb.996:
	s_delay_alu instid0(VALU_DEP_1) | instskip(SKIP_1) | instid1(VALU_DEP_2)
	v_div_scale_f64 v[5:6], null, v[0:1], v[0:1], v[2:3]
	v_div_scale_f64 v[11:12], vcc_lo, v[2:3], v[0:1], v[2:3]
	v_rcp_f64_e32 v[7:8], v[5:6]
	s_waitcnt_depctr 0xfff
	v_fma_f64 v[9:10], -v[5:6], v[7:8], 1.0
	s_delay_alu instid0(VALU_DEP_1) | instskip(NEXT) | instid1(VALU_DEP_1)
	v_fma_f64 v[7:8], v[7:8], v[9:10], v[7:8]
	v_fma_f64 v[9:10], -v[5:6], v[7:8], 1.0
	s_delay_alu instid0(VALU_DEP_1) | instskip(NEXT) | instid1(VALU_DEP_1)
	v_fma_f64 v[7:8], v[7:8], v[9:10], v[7:8]
	v_mul_f64 v[9:10], v[11:12], v[7:8]
	s_delay_alu instid0(VALU_DEP_1) | instskip(NEXT) | instid1(VALU_DEP_1)
	v_fma_f64 v[5:6], -v[5:6], v[9:10], v[11:12]
	v_div_fmas_f64 v[5:6], v[5:6], v[7:8], v[9:10]
	s_delay_alu instid0(VALU_DEP_1) | instskip(NEXT) | instid1(VALU_DEP_1)
	v_div_fixup_f64 v[5:6], v[5:6], v[0:1], v[2:3]
	v_fma_f64 v[0:1], v[2:3], v[5:6], v[0:1]
	s_delay_alu instid0(VALU_DEP_1) | instskip(NEXT) | instid1(VALU_DEP_1)
	v_div_scale_f64 v[2:3], null, v[0:1], v[0:1], 1.0
	v_rcp_f64_e32 v[7:8], v[2:3]
	s_waitcnt_depctr 0xfff
	v_fma_f64 v[9:10], -v[2:3], v[7:8], 1.0
	s_delay_alu instid0(VALU_DEP_1) | instskip(NEXT) | instid1(VALU_DEP_1)
	v_fma_f64 v[7:8], v[7:8], v[9:10], v[7:8]
	v_fma_f64 v[9:10], -v[2:3], v[7:8], 1.0
	s_delay_alu instid0(VALU_DEP_1) | instskip(SKIP_1) | instid1(VALU_DEP_1)
	v_fma_f64 v[7:8], v[7:8], v[9:10], v[7:8]
	v_div_scale_f64 v[9:10], vcc_lo, 1.0, v[0:1], 1.0
	v_mul_f64 v[11:12], v[9:10], v[7:8]
	s_delay_alu instid0(VALU_DEP_1) | instskip(NEXT) | instid1(VALU_DEP_1)
	v_fma_f64 v[2:3], -v[2:3], v[11:12], v[9:10]
	v_div_fmas_f64 v[2:3], v[2:3], v[7:8], v[11:12]
	s_delay_alu instid0(VALU_DEP_1) | instskip(NEXT) | instid1(VALU_DEP_1)
	v_div_fixup_f64 v[0:1], v[2:3], v[0:1], 1.0
	v_mul_f64 v[2:3], v[5:6], -v[0:1]
.LBB124_997:
	s_or_b32 exec_lo, exec_lo, s2
.LBB124_998:
	s_delay_alu instid0(SALU_CYCLE_1) | instskip(NEXT) | instid1(SALU_CYCLE_1)
	s_or_b32 exec_lo, exec_lo, s3
	s_mov_b32 s2, exec_lo
	v_cmpx_ne_u32_e64 v40, v4
	s_xor_b32 s2, exec_lo, s2
	s_cbranch_execz .LBB124_1004
; %bb.999:
	s_mov_b32 s3, exec_lo
	v_cmpx_eq_u32_e32 41, v40
	s_cbranch_execz .LBB124_1003
; %bb.1000:
	v_cmp_ne_u32_e32 vcc_lo, 41, v4
	s_xor_b32 s6, s4, -1
	s_delay_alu instid0(SALU_CYCLE_1) | instskip(NEXT) | instid1(SALU_CYCLE_1)
	s_and_b32 s7, s6, vcc_lo
	s_and_saveexec_b32 s6, s7
	s_cbranch_execz .LBB124_1002
; %bb.1001:
	v_ashrrev_i32_e32 v5, 31, v4
	s_delay_alu instid0(VALU_DEP_1) | instskip(NEXT) | instid1(VALU_DEP_1)
	v_lshlrev_b64 v[5:6], 2, v[4:5]
	v_add_co_u32 v5, vcc_lo, v145, v5
	s_delay_alu instid0(VALU_DEP_2)
	v_add_co_ci_u32_e32 v6, vcc_lo, v146, v6, vcc_lo
	s_clause 0x1
	flat_load_b32 v7, v[5:6]
	flat_load_b32 v8, v[145:146] offset:164
	s_waitcnt vmcnt(1) lgkmcnt(1)
	flat_store_b32 v[145:146], v7 offset:164
	s_waitcnt vmcnt(0) lgkmcnt(1)
	flat_store_b32 v[5:6], v8
.LBB124_1002:
	s_or_b32 exec_lo, exec_lo, s6
	v_mov_b32_e32 v40, v4
	v_mov_b32_e32 v39, v4
.LBB124_1003:
	s_or_b32 exec_lo, exec_lo, s3
.LBB124_1004:
	s_and_not1_saveexec_b32 s2, s2
	s_cbranch_execz .LBB124_1006
; %bb.1005:
	s_clause 0x14
	scratch_load_b128 v[4:7], v170, off
	scratch_load_b128 v[8:11], v169, off
	;; [unrolled: 1-line block ×21, first 2 shown]
	v_mov_b32_e32 v40, 41
	s_waitcnt vmcnt(20)
	ds_store_2addr_b64 v20, v[4:5], v[6:7] offset0:84 offset1:85
	s_waitcnt vmcnt(19)
	ds_store_2addr_b64 v20, v[8:9], v[10:11] offset0:86 offset1:87
	;; [unrolled: 2-line block ×21, first 2 shown]
.LBB124_1006:
	s_or_b32 exec_lo, exec_lo, s2
	s_delay_alu instid0(SALU_CYCLE_1)
	s_mov_b32 s2, exec_lo
	s_waitcnt lgkmcnt(0)
	s_waitcnt_vscnt null, 0x0
	s_barrier
	buffer_gl0_inv
	v_cmpx_lt_i32_e32 41, v40
	s_cbranch_execz .LBB124_1009
; %bb.1007:
	scratch_load_b128 v[4:7], off, off offset:656
	s_mov_b32 s3, 0
	s_waitcnt vmcnt(0)
	v_mul_f64 v[8:9], v[2:3], v[6:7]
	v_mul_f64 v[6:7], v[0:1], v[6:7]
	s_delay_alu instid0(VALU_DEP_2) | instskip(NEXT) | instid1(VALU_DEP_2)
	v_fma_f64 v[0:1], v[0:1], v[4:5], -v[8:9]
	v_fma_f64 v[2:3], v[2:3], v[4:5], v[6:7]
	v_add3_u32 v4, v38, 0, 0x2a0
	v_mov_b32_e32 v5, 0
	scratch_store_b128 off, v[0:3], off offset:656
.LBB124_1008:                           ; =>This Inner Loop Header: Depth=1
	v_add_nc_u32_e32 v47, s3, v4
	v_readfirstlane_b32 s6, v5
	ds_load_2addr_b64 v[6:9], v47 offset1:1
	ds_load_2addr_b64 v[10:13], v47 offset0:2 offset1:3
	ds_load_2addr_b64 v[14:17], v47 offset0:4 offset1:5
	;; [unrolled: 1-line block ×5, first 2 shown]
	s_add_i32 s6, s6, s3
	s_addk_i32 s3, 0x70
	s_add_i32 s7, s6, 0x2a0
	s_add_i32 s9, s6, 0x2b0
	;; [unrolled: 1-line block ×6, first 2 shown]
	s_addk_i32 s6, 0x300
	s_cmpk_lg_i32 s3, 0x150
	s_waitcnt lgkmcnt(5)
	v_mul_f64 v[18:19], v[8:9], v[2:3]
	v_mul_f64 v[45:46], v[6:7], v[2:3]
	s_waitcnt lgkmcnt(4)
	v_mul_f64 v[49:50], v[12:13], v[2:3]
	v_mul_f64 v[61:62], v[10:11], v[2:3]
	;; [unrolled: 3-line block ×6, first 2 shown]
	v_fma_f64 v[18:19], v[6:7], v[0:1], -v[18:19]
	v_fma_f64 v[45:46], v[8:9], v[0:1], v[45:46]
	v_fma_f64 v[49:50], v[10:11], v[0:1], -v[49:50]
	v_fma_f64 v[61:62], v[12:13], v[0:1], v[61:62]
	;; [unrolled: 2-line block ×6, first 2 shown]
	scratch_load_b128 v[0:3], off, off offset:656
	s_clause 0x6
	scratch_load_b128 v[6:9], off, s7
	scratch_load_b128 v[10:13], off, s9
	;; [unrolled: 1-line block ×7, first 2 shown]
	ds_load_2addr_b64 v[73:76], v47 offset0:12 offset1:13
	s_waitcnt vmcnt(6)
	v_add_f64 v[6:7], v[6:7], -v[18:19]
	v_add_f64 v[8:9], v[8:9], -v[45:46]
	s_waitcnt vmcnt(5)
	v_add_f64 v[10:11], v[10:11], -v[49:50]
	v_add_f64 v[12:13], v[12:13], -v[61:62]
	s_waitcnt vmcnt(4)
	v_add_f64 v[14:15], v[14:15], -v[83:84]
	s_waitcnt lgkmcnt(0)
	v_mul_f64 v[93:94], v[75:76], v[2:3]
	v_mul_f64 v[95:96], v[73:74], v[2:3]
	v_add_f64 v[16:17], v[16:17], -v[85:86]
	s_waitcnt vmcnt(3)
	v_add_f64 v[41:42], v[41:42], -v[69:70]
	v_add_f64 v[43:44], v[43:44], -v[87:88]
	s_waitcnt vmcnt(2)
	v_add_f64 v[53:54], v[53:54], -v[89:90]
	;; [unrolled: 3-line block ×3, first 2 shown]
	v_add_f64 v[59:60], v[59:60], -v[91:92]
	v_fma_f64 v[73:74], v[73:74], v[0:1], -v[93:94]
	v_fma_f64 v[75:76], v[75:76], v[0:1], v[95:96]
	s_waitcnt vmcnt(0)
	s_delay_alu instid0(VALU_DEP_2) | instskip(NEXT) | instid1(VALU_DEP_2)
	v_add_f64 v[65:66], v[65:66], -v[73:74]
	v_add_f64 v[67:68], v[67:68], -v[75:76]
	s_clause 0x6
	scratch_store_b128 off, v[6:9], s7
	scratch_store_b128 off, v[10:13], s9
	;; [unrolled: 1-line block ×7, first 2 shown]
	s_cbranch_scc1 .LBB124_1008
.LBB124_1009:
	s_or_b32 exec_lo, exec_lo, s2
	s_waitcnt_vscnt null, 0x0
	s_barrier
	buffer_gl0_inv
	scratch_load_b128 v[0:3], v170, off
	v_lshl_add_u32 v4, v40, 4, v20
	s_cmp_lt_i32 s5, 44
	s_waitcnt vmcnt(0)
	ds_store_2addr_b64 v4, v[0:1], v[2:3] offset1:1
	s_waitcnt lgkmcnt(0)
	s_barrier
	buffer_gl0_inv
	ds_load_2addr_b64 v[0:3], v20 offset0:84 offset1:85
	v_mov_b32_e32 v4, 42
	s_cbranch_scc1 .LBB124_1012
; %bb.1010:
	v_add3_u32 v5, v38, 0, 0x2b0
	v_mov_b32_e32 v4, 42
	s_mov_b32 s6, 43
	s_set_inst_prefetch_distance 0x1
	.p2align	6
.LBB124_1011:                           ; =>This Inner Loop Header: Depth=1
	ds_load_2addr_b64 v[6:9], v5 offset1:1
	s_waitcnt lgkmcnt(1)
	v_cmp_gt_f64_e32 vcc_lo, 0, v[0:1]
	v_xor_b32_e32 v10, 0x80000000, v1
	v_cmp_gt_f64_e64 s2, 0, v[2:3]
	v_xor_b32_e32 v12, 0x80000000, v3
	v_add_nc_u32_e32 v5, 16, v5
	s_waitcnt lgkmcnt(0)
	v_cmp_gt_f64_e64 s3, 0, v[6:7]
	v_mov_b32_e32 v14, v6
	v_dual_mov_b32 v16, v8 :: v_dual_cndmask_b32 v11, v1, v10
	v_xor_b32_e32 v10, 0x80000000, v7
	v_cndmask_b32_e64 v13, v3, v12, s2
	v_xor_b32_e32 v12, 0x80000000, v9
	s_delay_alu instid0(VALU_DEP_3) | instskip(SKIP_2) | instid1(VALU_DEP_2)
	v_cndmask_b32_e64 v15, v7, v10, s3
	v_cmp_gt_f64_e64 s3, 0, v[8:9]
	v_cndmask_b32_e32 v10, v0, v0, vcc_lo
	v_cndmask_b32_e64 v17, v9, v12, s3
	v_cndmask_b32_e64 v12, v2, v2, s2
	s_delay_alu instid0(VALU_DEP_2) | instskip(NEXT) | instid1(VALU_DEP_2)
	v_add_f64 v[14:15], v[14:15], v[16:17]
	v_add_f64 v[10:11], v[10:11], v[12:13]
	s_delay_alu instid0(VALU_DEP_1)
	v_cmp_lt_f64_e32 vcc_lo, v[10:11], v[14:15]
	v_cndmask_b32_e32 v3, v3, v9, vcc_lo
	v_dual_cndmask_b32 v1, v1, v7 :: v_dual_cndmask_b32 v0, v0, v6
	v_cndmask_b32_e32 v2, v2, v8, vcc_lo
	v_cndmask_b32_e64 v4, v4, s6, vcc_lo
	s_add_i32 s6, s6, 1
	s_delay_alu instid0(SALU_CYCLE_1)
	s_cmp_lg_u32 s5, s6
	s_cbranch_scc1 .LBB124_1011
.LBB124_1012:
	s_set_inst_prefetch_distance 0x2
	s_waitcnt lgkmcnt(0)
	v_cmp_eq_f64_e32 vcc_lo, 0, v[0:1]
	v_cmp_eq_f64_e64 s2, 0, v[2:3]
	s_delay_alu instid0(VALU_DEP_1) | instskip(NEXT) | instid1(SALU_CYCLE_1)
	s_and_b32 s2, vcc_lo, s2
	s_and_saveexec_b32 s3, s2
	s_delay_alu instid0(SALU_CYCLE_1)
	s_xor_b32 s2, exec_lo, s3
; %bb.1013:
	v_cmp_ne_u32_e32 vcc_lo, 0, v37
	v_cndmask_b32_e32 v37, 43, v37, vcc_lo
; %bb.1014:
	s_and_not1_saveexec_b32 s3, s2
	s_cbranch_execz .LBB124_1020
; %bb.1015:
	v_cmp_gt_f64_e32 vcc_lo, 0, v[0:1]
	v_cmp_gt_f64_e64 s2, 0, v[2:3]
	v_xor_b32_e32 v5, 0x80000000, v1
	v_xor_b32_e32 v7, 0x80000000, v3
	s_delay_alu instid0(VALU_DEP_2) | instskip(NEXT) | instid1(VALU_DEP_2)
	v_dual_cndmask_b32 v6, v1, v5 :: v_dual_cndmask_b32 v5, v0, v0
	v_cndmask_b32_e64 v8, v3, v7, s2
	v_cndmask_b32_e64 v7, v2, v2, s2
	s_mov_b32 s2, exec_lo
	s_delay_alu instid0(VALU_DEP_1)
	v_cmpx_ngt_f64_e32 v[5:6], v[7:8]
	s_xor_b32 s2, exec_lo, s2
	s_cbranch_execz .LBB124_1017
; %bb.1016:
	v_div_scale_f64 v[5:6], null, v[2:3], v[2:3], v[0:1]
	v_div_scale_f64 v[11:12], vcc_lo, v[0:1], v[2:3], v[0:1]
	s_delay_alu instid0(VALU_DEP_2) | instskip(SKIP_2) | instid1(VALU_DEP_1)
	v_rcp_f64_e32 v[7:8], v[5:6]
	s_waitcnt_depctr 0xfff
	v_fma_f64 v[9:10], -v[5:6], v[7:8], 1.0
	v_fma_f64 v[7:8], v[7:8], v[9:10], v[7:8]
	s_delay_alu instid0(VALU_DEP_1) | instskip(NEXT) | instid1(VALU_DEP_1)
	v_fma_f64 v[9:10], -v[5:6], v[7:8], 1.0
	v_fma_f64 v[7:8], v[7:8], v[9:10], v[7:8]
	s_delay_alu instid0(VALU_DEP_1) | instskip(NEXT) | instid1(VALU_DEP_1)
	v_mul_f64 v[9:10], v[11:12], v[7:8]
	v_fma_f64 v[5:6], -v[5:6], v[9:10], v[11:12]
	s_delay_alu instid0(VALU_DEP_1) | instskip(NEXT) | instid1(VALU_DEP_1)
	v_div_fmas_f64 v[5:6], v[5:6], v[7:8], v[9:10]
	v_div_fixup_f64 v[5:6], v[5:6], v[2:3], v[0:1]
	s_delay_alu instid0(VALU_DEP_1) | instskip(NEXT) | instid1(VALU_DEP_1)
	v_fma_f64 v[0:1], v[0:1], v[5:6], v[2:3]
	v_div_scale_f64 v[2:3], null, v[0:1], v[0:1], 1.0
	s_delay_alu instid0(VALU_DEP_1) | instskip(SKIP_2) | instid1(VALU_DEP_1)
	v_rcp_f64_e32 v[7:8], v[2:3]
	s_waitcnt_depctr 0xfff
	v_fma_f64 v[9:10], -v[2:3], v[7:8], 1.0
	v_fma_f64 v[7:8], v[7:8], v[9:10], v[7:8]
	s_delay_alu instid0(VALU_DEP_1) | instskip(NEXT) | instid1(VALU_DEP_1)
	v_fma_f64 v[9:10], -v[2:3], v[7:8], 1.0
	v_fma_f64 v[7:8], v[7:8], v[9:10], v[7:8]
	v_div_scale_f64 v[9:10], vcc_lo, 1.0, v[0:1], 1.0
	s_delay_alu instid0(VALU_DEP_1) | instskip(NEXT) | instid1(VALU_DEP_1)
	v_mul_f64 v[11:12], v[9:10], v[7:8]
	v_fma_f64 v[2:3], -v[2:3], v[11:12], v[9:10]
	s_delay_alu instid0(VALU_DEP_1) | instskip(NEXT) | instid1(VALU_DEP_1)
	v_div_fmas_f64 v[2:3], v[2:3], v[7:8], v[11:12]
	v_div_fixup_f64 v[2:3], v[2:3], v[0:1], 1.0
	s_delay_alu instid0(VALU_DEP_1)
	v_mul_f64 v[0:1], v[5:6], v[2:3]
	v_xor_b32_e32 v3, 0x80000000, v3
.LBB124_1017:
	s_and_not1_saveexec_b32 s2, s2
	s_cbranch_execz .LBB124_1019
; %bb.1018:
	s_delay_alu instid0(VALU_DEP_1) | instskip(SKIP_1) | instid1(VALU_DEP_2)
	v_div_scale_f64 v[5:6], null, v[0:1], v[0:1], v[2:3]
	v_div_scale_f64 v[11:12], vcc_lo, v[2:3], v[0:1], v[2:3]
	v_rcp_f64_e32 v[7:8], v[5:6]
	s_waitcnt_depctr 0xfff
	v_fma_f64 v[9:10], -v[5:6], v[7:8], 1.0
	s_delay_alu instid0(VALU_DEP_1) | instskip(NEXT) | instid1(VALU_DEP_1)
	v_fma_f64 v[7:8], v[7:8], v[9:10], v[7:8]
	v_fma_f64 v[9:10], -v[5:6], v[7:8], 1.0
	s_delay_alu instid0(VALU_DEP_1) | instskip(NEXT) | instid1(VALU_DEP_1)
	v_fma_f64 v[7:8], v[7:8], v[9:10], v[7:8]
	v_mul_f64 v[9:10], v[11:12], v[7:8]
	s_delay_alu instid0(VALU_DEP_1) | instskip(NEXT) | instid1(VALU_DEP_1)
	v_fma_f64 v[5:6], -v[5:6], v[9:10], v[11:12]
	v_div_fmas_f64 v[5:6], v[5:6], v[7:8], v[9:10]
	s_delay_alu instid0(VALU_DEP_1) | instskip(NEXT) | instid1(VALU_DEP_1)
	v_div_fixup_f64 v[5:6], v[5:6], v[0:1], v[2:3]
	v_fma_f64 v[0:1], v[2:3], v[5:6], v[0:1]
	s_delay_alu instid0(VALU_DEP_1) | instskip(NEXT) | instid1(VALU_DEP_1)
	v_div_scale_f64 v[2:3], null, v[0:1], v[0:1], 1.0
	v_rcp_f64_e32 v[7:8], v[2:3]
	s_waitcnt_depctr 0xfff
	v_fma_f64 v[9:10], -v[2:3], v[7:8], 1.0
	s_delay_alu instid0(VALU_DEP_1) | instskip(NEXT) | instid1(VALU_DEP_1)
	v_fma_f64 v[7:8], v[7:8], v[9:10], v[7:8]
	v_fma_f64 v[9:10], -v[2:3], v[7:8], 1.0
	s_delay_alu instid0(VALU_DEP_1) | instskip(SKIP_1) | instid1(VALU_DEP_1)
	v_fma_f64 v[7:8], v[7:8], v[9:10], v[7:8]
	v_div_scale_f64 v[9:10], vcc_lo, 1.0, v[0:1], 1.0
	v_mul_f64 v[11:12], v[9:10], v[7:8]
	s_delay_alu instid0(VALU_DEP_1) | instskip(NEXT) | instid1(VALU_DEP_1)
	v_fma_f64 v[2:3], -v[2:3], v[11:12], v[9:10]
	v_div_fmas_f64 v[2:3], v[2:3], v[7:8], v[11:12]
	s_delay_alu instid0(VALU_DEP_1) | instskip(NEXT) | instid1(VALU_DEP_1)
	v_div_fixup_f64 v[0:1], v[2:3], v[0:1], 1.0
	v_mul_f64 v[2:3], v[5:6], -v[0:1]
.LBB124_1019:
	s_or_b32 exec_lo, exec_lo, s2
.LBB124_1020:
	s_delay_alu instid0(SALU_CYCLE_1) | instskip(NEXT) | instid1(SALU_CYCLE_1)
	s_or_b32 exec_lo, exec_lo, s3
	s_mov_b32 s2, exec_lo
	v_cmpx_ne_u32_e64 v40, v4
	s_xor_b32 s2, exec_lo, s2
	s_cbranch_execz .LBB124_1026
; %bb.1021:
	s_mov_b32 s3, exec_lo
	v_cmpx_eq_u32_e32 42, v40
	s_cbranch_execz .LBB124_1025
; %bb.1022:
	v_cmp_ne_u32_e32 vcc_lo, 42, v4
	s_xor_b32 s6, s4, -1
	s_delay_alu instid0(SALU_CYCLE_1) | instskip(NEXT) | instid1(SALU_CYCLE_1)
	s_and_b32 s7, s6, vcc_lo
	s_and_saveexec_b32 s6, s7
	s_cbranch_execz .LBB124_1024
; %bb.1023:
	v_ashrrev_i32_e32 v5, 31, v4
	s_delay_alu instid0(VALU_DEP_1) | instskip(NEXT) | instid1(VALU_DEP_1)
	v_lshlrev_b64 v[5:6], 2, v[4:5]
	v_add_co_u32 v5, vcc_lo, v145, v5
	s_delay_alu instid0(VALU_DEP_2)
	v_add_co_ci_u32_e32 v6, vcc_lo, v146, v6, vcc_lo
	s_clause 0x1
	flat_load_b32 v7, v[5:6]
	flat_load_b32 v8, v[145:146] offset:168
	s_waitcnt vmcnt(1) lgkmcnt(1)
	flat_store_b32 v[145:146], v7 offset:168
	s_waitcnt vmcnt(0) lgkmcnt(1)
	flat_store_b32 v[5:6], v8
.LBB124_1024:
	s_or_b32 exec_lo, exec_lo, s6
	v_mov_b32_e32 v40, v4
	v_mov_b32_e32 v39, v4
.LBB124_1025:
	s_or_b32 exec_lo, exec_lo, s3
.LBB124_1026:
	s_and_not1_saveexec_b32 s2, s2
	s_cbranch_execz .LBB124_1028
; %bb.1027:
	s_clause 0x13
	scratch_load_b128 v[4:7], v169, off
	scratch_load_b128 v[8:11], v168, off
	;; [unrolled: 1-line block ×20, first 2 shown]
	v_mov_b32_e32 v40, 42
	s_waitcnt vmcnt(19)
	ds_store_2addr_b64 v20, v[4:5], v[6:7] offset0:86 offset1:87
	s_waitcnt vmcnt(18)
	ds_store_2addr_b64 v20, v[8:9], v[10:11] offset0:88 offset1:89
	;; [unrolled: 2-line block ×20, first 2 shown]
.LBB124_1028:
	s_or_b32 exec_lo, exec_lo, s2
	s_delay_alu instid0(SALU_CYCLE_1)
	s_mov_b32 s2, exec_lo
	s_waitcnt lgkmcnt(0)
	s_waitcnt_vscnt null, 0x0
	s_barrier
	buffer_gl0_inv
	v_cmpx_lt_i32_e32 42, v40
	s_cbranch_execz .LBB124_1031
; %bb.1029:
	scratch_load_b128 v[4:7], off, off offset:672
	s_mov_b32 s3, 0
	s_waitcnt vmcnt(0)
	v_mul_f64 v[8:9], v[2:3], v[6:7]
	v_mul_f64 v[6:7], v[0:1], v[6:7]
	s_delay_alu instid0(VALU_DEP_2) | instskip(NEXT) | instid1(VALU_DEP_2)
	v_fma_f64 v[0:1], v[0:1], v[4:5], -v[8:9]
	v_fma_f64 v[2:3], v[2:3], v[4:5], v[6:7]
	v_add3_u32 v4, v38, 0, 0x2b0
	v_mov_b32_e32 v5, 0
	scratch_store_b128 off, v[0:3], off offset:672
.LBB124_1030:                           ; =>This Inner Loop Header: Depth=1
	v_readfirstlane_b32 s6, v5
	v_add_nc_u32_e32 v18, s3, v4
	s_delay_alu instid0(VALU_DEP_2)
	s_add_i32 s6, s6, s3
	s_addk_i32 s3, 0x50
	s_add_i32 s7, s6, 0x2b0
	s_add_i32 s9, s6, 0x2c0
	;; [unrolled: 1-line block ×4, first 2 shown]
	s_addk_i32 s6, 0x2f0
	s_clause 0x4
	scratch_load_b128 v[6:9], off, s7
	scratch_load_b128 v[10:13], off, s9
	;; [unrolled: 1-line block ×5, first 2 shown]
	ds_load_2addr_b64 v[57:60], v18 offset1:1
	ds_load_2addr_b64 v[65:68], v18 offset0:2 offset1:3
	ds_load_2addr_b64 v[73:76], v18 offset0:4 offset1:5
	;; [unrolled: 1-line block ×4, first 2 shown]
	s_cmpk_lg_i32 s3, 0x140
	s_waitcnt lgkmcnt(4)
	v_mul_f64 v[18:19], v[59:60], v[2:3]
	v_mul_f64 v[45:46], v[57:58], v[2:3]
	s_waitcnt lgkmcnt(3)
	v_mul_f64 v[49:50], v[67:68], v[2:3]
	v_mul_f64 v[61:62], v[65:66], v[2:3]
	;; [unrolled: 3-line block ×5, first 2 shown]
	v_fma_f64 v[18:19], v[57:58], v[0:1], -v[18:19]
	v_fma_f64 v[45:46], v[59:60], v[0:1], v[45:46]
	v_fma_f64 v[49:50], v[65:66], v[0:1], -v[49:50]
	v_fma_f64 v[57:58], v[67:68], v[0:1], v[61:62]
	;; [unrolled: 2-line block ×5, first 2 shown]
	s_waitcnt vmcnt(4)
	v_add_f64 v[6:7], v[6:7], -v[18:19]
	v_add_f64 v[8:9], v[8:9], -v[45:46]
	s_waitcnt vmcnt(3)
	v_add_f64 v[10:11], v[10:11], -v[49:50]
	v_add_f64 v[12:13], v[12:13], -v[57:58]
	;; [unrolled: 3-line block ×5, first 2 shown]
	s_clause 0x4
	scratch_store_b128 off, v[6:9], s7
	scratch_store_b128 off, v[10:13], s9
	;; [unrolled: 1-line block ×5, first 2 shown]
	s_cbranch_scc1 .LBB124_1030
.LBB124_1031:
	s_or_b32 exec_lo, exec_lo, s2
	s_waitcnt_vscnt null, 0x0
	s_barrier
	buffer_gl0_inv
	scratch_load_b128 v[0:3], v169, off
	v_lshl_add_u32 v4, v40, 4, v20
	s_cmp_lt_i32 s5, 45
	s_waitcnt vmcnt(0)
	ds_store_2addr_b64 v4, v[0:1], v[2:3] offset1:1
	s_waitcnt lgkmcnt(0)
	s_barrier
	buffer_gl0_inv
	ds_load_2addr_b64 v[0:3], v20 offset0:86 offset1:87
	v_mov_b32_e32 v4, 43
	s_cbranch_scc1 .LBB124_1034
; %bb.1032:
	v_add3_u32 v5, v38, 0, 0x2c0
	v_mov_b32_e32 v4, 43
	s_mov_b32 s6, 44
	s_set_inst_prefetch_distance 0x1
	.p2align	6
.LBB124_1033:                           ; =>This Inner Loop Header: Depth=1
	ds_load_2addr_b64 v[6:9], v5 offset1:1
	s_waitcnt lgkmcnt(1)
	v_cmp_gt_f64_e32 vcc_lo, 0, v[0:1]
	v_xor_b32_e32 v10, 0x80000000, v1
	v_cmp_gt_f64_e64 s2, 0, v[2:3]
	v_xor_b32_e32 v12, 0x80000000, v3
	v_add_nc_u32_e32 v5, 16, v5
	s_waitcnt lgkmcnt(0)
	v_cmp_gt_f64_e64 s3, 0, v[6:7]
	v_mov_b32_e32 v14, v6
	v_dual_mov_b32 v16, v8 :: v_dual_cndmask_b32 v11, v1, v10
	v_xor_b32_e32 v10, 0x80000000, v7
	v_cndmask_b32_e64 v13, v3, v12, s2
	v_xor_b32_e32 v12, 0x80000000, v9
	s_delay_alu instid0(VALU_DEP_3) | instskip(SKIP_2) | instid1(VALU_DEP_2)
	v_cndmask_b32_e64 v15, v7, v10, s3
	v_cmp_gt_f64_e64 s3, 0, v[8:9]
	v_cndmask_b32_e32 v10, v0, v0, vcc_lo
	v_cndmask_b32_e64 v17, v9, v12, s3
	v_cndmask_b32_e64 v12, v2, v2, s2
	s_delay_alu instid0(VALU_DEP_2) | instskip(NEXT) | instid1(VALU_DEP_2)
	v_add_f64 v[14:15], v[14:15], v[16:17]
	v_add_f64 v[10:11], v[10:11], v[12:13]
	s_delay_alu instid0(VALU_DEP_1)
	v_cmp_lt_f64_e32 vcc_lo, v[10:11], v[14:15]
	v_cndmask_b32_e32 v3, v3, v9, vcc_lo
	v_dual_cndmask_b32 v1, v1, v7 :: v_dual_cndmask_b32 v0, v0, v6
	v_cndmask_b32_e32 v2, v2, v8, vcc_lo
	v_cndmask_b32_e64 v4, v4, s6, vcc_lo
	s_add_i32 s6, s6, 1
	s_delay_alu instid0(SALU_CYCLE_1)
	s_cmp_lg_u32 s5, s6
	s_cbranch_scc1 .LBB124_1033
.LBB124_1034:
	s_set_inst_prefetch_distance 0x2
	s_waitcnt lgkmcnt(0)
	v_cmp_eq_f64_e32 vcc_lo, 0, v[0:1]
	v_cmp_eq_f64_e64 s2, 0, v[2:3]
	s_delay_alu instid0(VALU_DEP_1) | instskip(NEXT) | instid1(SALU_CYCLE_1)
	s_and_b32 s2, vcc_lo, s2
	s_and_saveexec_b32 s3, s2
	s_delay_alu instid0(SALU_CYCLE_1)
	s_xor_b32 s2, exec_lo, s3
; %bb.1035:
	v_cmp_ne_u32_e32 vcc_lo, 0, v37
	v_cndmask_b32_e32 v37, 44, v37, vcc_lo
; %bb.1036:
	s_and_not1_saveexec_b32 s3, s2
	s_cbranch_execz .LBB124_1042
; %bb.1037:
	v_cmp_gt_f64_e32 vcc_lo, 0, v[0:1]
	v_cmp_gt_f64_e64 s2, 0, v[2:3]
	v_xor_b32_e32 v5, 0x80000000, v1
	v_xor_b32_e32 v7, 0x80000000, v3
	s_delay_alu instid0(VALU_DEP_2) | instskip(NEXT) | instid1(VALU_DEP_2)
	v_dual_cndmask_b32 v6, v1, v5 :: v_dual_cndmask_b32 v5, v0, v0
	v_cndmask_b32_e64 v8, v3, v7, s2
	v_cndmask_b32_e64 v7, v2, v2, s2
	s_mov_b32 s2, exec_lo
	s_delay_alu instid0(VALU_DEP_1)
	v_cmpx_ngt_f64_e32 v[5:6], v[7:8]
	s_xor_b32 s2, exec_lo, s2
	s_cbranch_execz .LBB124_1039
; %bb.1038:
	v_div_scale_f64 v[5:6], null, v[2:3], v[2:3], v[0:1]
	v_div_scale_f64 v[11:12], vcc_lo, v[0:1], v[2:3], v[0:1]
	s_delay_alu instid0(VALU_DEP_2) | instskip(SKIP_2) | instid1(VALU_DEP_1)
	v_rcp_f64_e32 v[7:8], v[5:6]
	s_waitcnt_depctr 0xfff
	v_fma_f64 v[9:10], -v[5:6], v[7:8], 1.0
	v_fma_f64 v[7:8], v[7:8], v[9:10], v[7:8]
	s_delay_alu instid0(VALU_DEP_1) | instskip(NEXT) | instid1(VALU_DEP_1)
	v_fma_f64 v[9:10], -v[5:6], v[7:8], 1.0
	v_fma_f64 v[7:8], v[7:8], v[9:10], v[7:8]
	s_delay_alu instid0(VALU_DEP_1) | instskip(NEXT) | instid1(VALU_DEP_1)
	v_mul_f64 v[9:10], v[11:12], v[7:8]
	v_fma_f64 v[5:6], -v[5:6], v[9:10], v[11:12]
	s_delay_alu instid0(VALU_DEP_1) | instskip(NEXT) | instid1(VALU_DEP_1)
	v_div_fmas_f64 v[5:6], v[5:6], v[7:8], v[9:10]
	v_div_fixup_f64 v[5:6], v[5:6], v[2:3], v[0:1]
	s_delay_alu instid0(VALU_DEP_1) | instskip(NEXT) | instid1(VALU_DEP_1)
	v_fma_f64 v[0:1], v[0:1], v[5:6], v[2:3]
	v_div_scale_f64 v[2:3], null, v[0:1], v[0:1], 1.0
	s_delay_alu instid0(VALU_DEP_1) | instskip(SKIP_2) | instid1(VALU_DEP_1)
	v_rcp_f64_e32 v[7:8], v[2:3]
	s_waitcnt_depctr 0xfff
	v_fma_f64 v[9:10], -v[2:3], v[7:8], 1.0
	v_fma_f64 v[7:8], v[7:8], v[9:10], v[7:8]
	s_delay_alu instid0(VALU_DEP_1) | instskip(NEXT) | instid1(VALU_DEP_1)
	v_fma_f64 v[9:10], -v[2:3], v[7:8], 1.0
	v_fma_f64 v[7:8], v[7:8], v[9:10], v[7:8]
	v_div_scale_f64 v[9:10], vcc_lo, 1.0, v[0:1], 1.0
	s_delay_alu instid0(VALU_DEP_1) | instskip(NEXT) | instid1(VALU_DEP_1)
	v_mul_f64 v[11:12], v[9:10], v[7:8]
	v_fma_f64 v[2:3], -v[2:3], v[11:12], v[9:10]
	s_delay_alu instid0(VALU_DEP_1) | instskip(NEXT) | instid1(VALU_DEP_1)
	v_div_fmas_f64 v[2:3], v[2:3], v[7:8], v[11:12]
	v_div_fixup_f64 v[2:3], v[2:3], v[0:1], 1.0
	s_delay_alu instid0(VALU_DEP_1)
	v_mul_f64 v[0:1], v[5:6], v[2:3]
	v_xor_b32_e32 v3, 0x80000000, v3
.LBB124_1039:
	s_and_not1_saveexec_b32 s2, s2
	s_cbranch_execz .LBB124_1041
; %bb.1040:
	s_delay_alu instid0(VALU_DEP_1) | instskip(SKIP_1) | instid1(VALU_DEP_2)
	v_div_scale_f64 v[5:6], null, v[0:1], v[0:1], v[2:3]
	v_div_scale_f64 v[11:12], vcc_lo, v[2:3], v[0:1], v[2:3]
	v_rcp_f64_e32 v[7:8], v[5:6]
	s_waitcnt_depctr 0xfff
	v_fma_f64 v[9:10], -v[5:6], v[7:8], 1.0
	s_delay_alu instid0(VALU_DEP_1) | instskip(NEXT) | instid1(VALU_DEP_1)
	v_fma_f64 v[7:8], v[7:8], v[9:10], v[7:8]
	v_fma_f64 v[9:10], -v[5:6], v[7:8], 1.0
	s_delay_alu instid0(VALU_DEP_1) | instskip(NEXT) | instid1(VALU_DEP_1)
	v_fma_f64 v[7:8], v[7:8], v[9:10], v[7:8]
	v_mul_f64 v[9:10], v[11:12], v[7:8]
	s_delay_alu instid0(VALU_DEP_1) | instskip(NEXT) | instid1(VALU_DEP_1)
	v_fma_f64 v[5:6], -v[5:6], v[9:10], v[11:12]
	v_div_fmas_f64 v[5:6], v[5:6], v[7:8], v[9:10]
	s_delay_alu instid0(VALU_DEP_1) | instskip(NEXT) | instid1(VALU_DEP_1)
	v_div_fixup_f64 v[5:6], v[5:6], v[0:1], v[2:3]
	v_fma_f64 v[0:1], v[2:3], v[5:6], v[0:1]
	s_delay_alu instid0(VALU_DEP_1) | instskip(NEXT) | instid1(VALU_DEP_1)
	v_div_scale_f64 v[2:3], null, v[0:1], v[0:1], 1.0
	v_rcp_f64_e32 v[7:8], v[2:3]
	s_waitcnt_depctr 0xfff
	v_fma_f64 v[9:10], -v[2:3], v[7:8], 1.0
	s_delay_alu instid0(VALU_DEP_1) | instskip(NEXT) | instid1(VALU_DEP_1)
	v_fma_f64 v[7:8], v[7:8], v[9:10], v[7:8]
	v_fma_f64 v[9:10], -v[2:3], v[7:8], 1.0
	s_delay_alu instid0(VALU_DEP_1) | instskip(SKIP_1) | instid1(VALU_DEP_1)
	v_fma_f64 v[7:8], v[7:8], v[9:10], v[7:8]
	v_div_scale_f64 v[9:10], vcc_lo, 1.0, v[0:1], 1.0
	v_mul_f64 v[11:12], v[9:10], v[7:8]
	s_delay_alu instid0(VALU_DEP_1) | instskip(NEXT) | instid1(VALU_DEP_1)
	v_fma_f64 v[2:3], -v[2:3], v[11:12], v[9:10]
	v_div_fmas_f64 v[2:3], v[2:3], v[7:8], v[11:12]
	s_delay_alu instid0(VALU_DEP_1) | instskip(NEXT) | instid1(VALU_DEP_1)
	v_div_fixup_f64 v[0:1], v[2:3], v[0:1], 1.0
	v_mul_f64 v[2:3], v[5:6], -v[0:1]
.LBB124_1041:
	s_or_b32 exec_lo, exec_lo, s2
.LBB124_1042:
	s_delay_alu instid0(SALU_CYCLE_1) | instskip(NEXT) | instid1(SALU_CYCLE_1)
	s_or_b32 exec_lo, exec_lo, s3
	s_mov_b32 s2, exec_lo
	v_cmpx_ne_u32_e64 v40, v4
	s_xor_b32 s2, exec_lo, s2
	s_cbranch_execz .LBB124_1048
; %bb.1043:
	s_mov_b32 s3, exec_lo
	v_cmpx_eq_u32_e32 43, v40
	s_cbranch_execz .LBB124_1047
; %bb.1044:
	v_cmp_ne_u32_e32 vcc_lo, 43, v4
	s_xor_b32 s6, s4, -1
	s_delay_alu instid0(SALU_CYCLE_1) | instskip(NEXT) | instid1(SALU_CYCLE_1)
	s_and_b32 s7, s6, vcc_lo
	s_and_saveexec_b32 s6, s7
	s_cbranch_execz .LBB124_1046
; %bb.1045:
	v_ashrrev_i32_e32 v5, 31, v4
	s_delay_alu instid0(VALU_DEP_1) | instskip(NEXT) | instid1(VALU_DEP_1)
	v_lshlrev_b64 v[5:6], 2, v[4:5]
	v_add_co_u32 v5, vcc_lo, v145, v5
	s_delay_alu instid0(VALU_DEP_2)
	v_add_co_ci_u32_e32 v6, vcc_lo, v146, v6, vcc_lo
	s_clause 0x1
	flat_load_b32 v7, v[5:6]
	flat_load_b32 v8, v[145:146] offset:172
	s_waitcnt vmcnt(1) lgkmcnt(1)
	flat_store_b32 v[145:146], v7 offset:172
	s_waitcnt vmcnt(0) lgkmcnt(1)
	flat_store_b32 v[5:6], v8
.LBB124_1046:
	s_or_b32 exec_lo, exec_lo, s6
	v_mov_b32_e32 v40, v4
	v_mov_b32_e32 v39, v4
.LBB124_1047:
	s_or_b32 exec_lo, exec_lo, s3
.LBB124_1048:
	s_and_not1_saveexec_b32 s2, s2
	s_cbranch_execz .LBB124_1050
; %bb.1049:
	s_clause 0x12
	scratch_load_b128 v[4:7], v168, off
	scratch_load_b128 v[8:11], v167, off
	;; [unrolled: 1-line block ×19, first 2 shown]
	v_mov_b32_e32 v40, 43
	s_waitcnt vmcnt(18)
	ds_store_2addr_b64 v20, v[4:5], v[6:7] offset0:88 offset1:89
	s_waitcnt vmcnt(17)
	ds_store_2addr_b64 v20, v[8:9], v[10:11] offset0:90 offset1:91
	s_waitcnt vmcnt(16)
	ds_store_2addr_b64 v20, v[12:13], v[14:15] offset0:92 offset1:93
	s_waitcnt vmcnt(15)
	ds_store_2addr_b64 v20, v[16:17], v[18:19] offset0:94 offset1:95
	s_waitcnt vmcnt(14)
	ds_store_2addr_b64 v20, v[41:42], v[43:44] offset0:96 offset1:97
	s_waitcnt vmcnt(13)
	ds_store_2addr_b64 v20, v[53:54], v[55:56] offset0:98 offset1:99
	s_waitcnt vmcnt(12)
	ds_store_2addr_b64 v20, v[57:58], v[59:60] offset0:100 offset1:101
	s_waitcnt vmcnt(11)
	ds_store_2addr_b64 v20, v[65:66], v[67:68] offset0:102 offset1:103
	s_waitcnt vmcnt(10)
	ds_store_2addr_b64 v20, v[73:74], v[75:76] offset0:104 offset1:105
	s_waitcnt vmcnt(9)
	ds_store_2addr_b64 v20, v[81:82], v[83:84] offset0:106 offset1:107
	s_waitcnt vmcnt(8)
	ds_store_2addr_b64 v20, v[85:86], v[87:88] offset0:108 offset1:109
	s_waitcnt vmcnt(7)
	ds_store_2addr_b64 v20, v[89:90], v[91:92] offset0:110 offset1:111
	s_waitcnt vmcnt(6)
	ds_store_2addr_b64 v20, v[93:94], v[95:96] offset0:112 offset1:113
	s_waitcnt vmcnt(5)
	ds_store_2addr_b64 v20, v[97:98], v[99:100] offset0:114 offset1:115
	s_waitcnt vmcnt(4)
	ds_store_2addr_b64 v20, v[101:102], v[103:104] offset0:116 offset1:117
	s_waitcnt vmcnt(3)
	ds_store_2addr_b64 v20, v[130:131], v[132:133] offset0:118 offset1:119
	s_waitcnt vmcnt(2)
	ds_store_2addr_b64 v20, v[141:142], v[143:144] offset0:120 offset1:121
	s_waitcnt vmcnt(1)
	ds_store_2addr_b64 v20, v[176:177], v[178:179] offset0:122 offset1:123
	s_waitcnt vmcnt(0)
	ds_store_2addr_b64 v20, v[180:181], v[182:183] offset0:124 offset1:125
.LBB124_1050:
	s_or_b32 exec_lo, exec_lo, s2
	s_delay_alu instid0(SALU_CYCLE_1)
	s_mov_b32 s2, exec_lo
	s_waitcnt lgkmcnt(0)
	s_waitcnt_vscnt null, 0x0
	s_barrier
	buffer_gl0_inv
	v_cmpx_lt_i32_e32 43, v40
	s_cbranch_execz .LBB124_1055
; %bb.1051:
	scratch_load_b128 v[4:7], off, off offset:688
	s_mov_b32 s3, 0
	s_waitcnt vmcnt(0)
	v_mul_f64 v[8:9], v[2:3], v[6:7]
	v_mul_f64 v[6:7], v[0:1], v[6:7]
	s_delay_alu instid0(VALU_DEP_2) | instskip(NEXT) | instid1(VALU_DEP_2)
	v_fma_f64 v[0:1], v[0:1], v[4:5], -v[8:9]
	v_fma_f64 v[2:3], v[2:3], v[4:5], v[6:7]
	v_add3_u32 v4, v38, 0, 0x2c0
	v_mov_b32_e32 v5, 0
	scratch_store_b128 off, v[0:3], off offset:688
	s_branch .LBB124_1053
.LBB124_1052:                           ;   in Loop: Header=BB124_1053 Depth=1
	s_and_not1_b32 vcc_lo, exec_lo, s7
	s_cbranch_vccz .LBB124_1055
.LBB124_1053:                           ; =>This Inner Loop Header: Depth=1
	v_readfirstlane_b32 s6, v5
	v_add_nc_u32_e32 v6, s3, v4
	s_mov_b32 s7, -1
	s_delay_alu instid0(VALU_DEP_2) | instskip(NEXT) | instid1(SALU_CYCLE_1)
	s_add_i32 s6, s6, s3
	s_add_i32 s9, s6, 0x2c0
	;; [unrolled: 1-line block ×3, first 2 shown]
	scratch_load_b128 v[7:10], off, s9
	s_add_i32 s14, s6, 0x2e0
	s_clause 0x1
	scratch_load_b128 v[11:14], off, s12
	scratch_load_b128 v[15:18], off, s14
	ds_load_2addr_b64 v[41:44], v6 offset1:1
	ds_load_2addr_b64 v[53:56], v6 offset0:2 offset1:3
	ds_load_2addr_b64 v[57:60], v6 offset0:4 offset1:5
	s_cmpk_eq_i32 s3, 0x100
	s_waitcnt lgkmcnt(2)
	v_mul_f64 v[45:46], v[43:44], v[2:3]
	v_mul_f64 v[49:50], v[41:42], v[2:3]
	s_waitcnt lgkmcnt(1)
	v_mul_f64 v[61:62], v[55:56], v[2:3]
	v_mul_f64 v[65:66], v[53:54], v[2:3]
	;; [unrolled: 3-line block ×3, first 2 shown]
	v_fma_f64 v[41:42], v[41:42], v[0:1], -v[45:46]
	v_fma_f64 v[43:44], v[43:44], v[0:1], v[49:50]
	v_fma_f64 v[45:46], v[53:54], v[0:1], -v[61:62]
	v_fma_f64 v[49:50], v[55:56], v[0:1], v[65:66]
	;; [unrolled: 2-line block ×3, first 2 shown]
	s_waitcnt vmcnt(2)
	v_add_f64 v[7:8], v[7:8], -v[41:42]
	v_add_f64 v[9:10], v[9:10], -v[43:44]
	s_waitcnt vmcnt(1)
	v_add_f64 v[11:12], v[11:12], -v[45:46]
	v_add_f64 v[13:14], v[13:14], -v[49:50]
	;; [unrolled: 3-line block ×3, first 2 shown]
	s_clause 0x2
	scratch_store_b128 off, v[7:10], s9
	scratch_store_b128 off, v[11:14], s12
	scratch_store_b128 off, v[15:18], s14
	s_cbranch_scc1 .LBB124_1052
; %bb.1054:                             ;   in Loop: Header=BB124_1053 Depth=1
	s_addk_i32 s6, 0x2f0
	ds_load_2addr_b64 v[11:14], v6 offset0:6 offset1:7
	scratch_load_b128 v[7:10], off, s6
	s_add_i32 s3, s3, 64
	s_mov_b32 s7, 0
	s_waitcnt lgkmcnt(0)
	v_mul_f64 v[15:16], v[13:14], v[2:3]
	v_mul_f64 v[17:18], v[11:12], v[2:3]
	s_delay_alu instid0(VALU_DEP_2) | instskip(NEXT) | instid1(VALU_DEP_2)
	v_fma_f64 v[11:12], v[11:12], v[0:1], -v[15:16]
	v_fma_f64 v[13:14], v[13:14], v[0:1], v[17:18]
	s_waitcnt vmcnt(0)
	s_delay_alu instid0(VALU_DEP_2) | instskip(NEXT) | instid1(VALU_DEP_2)
	v_add_f64 v[6:7], v[7:8], -v[11:12]
	v_add_f64 v[8:9], v[9:10], -v[13:14]
	scratch_store_b128 off, v[6:9], s6
	s_branch .LBB124_1052
.LBB124_1055:
	s_or_b32 exec_lo, exec_lo, s2
	s_waitcnt_vscnt null, 0x0
	s_barrier
	buffer_gl0_inv
	scratch_load_b128 v[0:3], v168, off
	v_lshl_add_u32 v4, v40, 4, v20
	s_cmp_lt_i32 s5, 46
	s_waitcnt vmcnt(0)
	ds_store_2addr_b64 v4, v[0:1], v[2:3] offset1:1
	s_waitcnt lgkmcnt(0)
	s_barrier
	buffer_gl0_inv
	ds_load_2addr_b64 v[0:3], v20 offset0:88 offset1:89
	v_mov_b32_e32 v4, 44
	s_cbranch_scc1 .LBB124_1058
; %bb.1056:
	v_add3_u32 v5, v38, 0, 0x2d0
	v_mov_b32_e32 v4, 44
	s_mov_b32 s6, 45
	s_set_inst_prefetch_distance 0x1
	.p2align	6
.LBB124_1057:                           ; =>This Inner Loop Header: Depth=1
	ds_load_2addr_b64 v[6:9], v5 offset1:1
	s_waitcnt lgkmcnt(1)
	v_cmp_gt_f64_e32 vcc_lo, 0, v[0:1]
	v_xor_b32_e32 v10, 0x80000000, v1
	v_cmp_gt_f64_e64 s2, 0, v[2:3]
	v_xor_b32_e32 v12, 0x80000000, v3
	v_add_nc_u32_e32 v5, 16, v5
	s_waitcnt lgkmcnt(0)
	v_cmp_gt_f64_e64 s3, 0, v[6:7]
	v_mov_b32_e32 v14, v6
	v_dual_mov_b32 v16, v8 :: v_dual_cndmask_b32 v11, v1, v10
	v_xor_b32_e32 v10, 0x80000000, v7
	v_cndmask_b32_e64 v13, v3, v12, s2
	v_xor_b32_e32 v12, 0x80000000, v9
	s_delay_alu instid0(VALU_DEP_3) | instskip(SKIP_2) | instid1(VALU_DEP_2)
	v_cndmask_b32_e64 v15, v7, v10, s3
	v_cmp_gt_f64_e64 s3, 0, v[8:9]
	v_cndmask_b32_e32 v10, v0, v0, vcc_lo
	v_cndmask_b32_e64 v17, v9, v12, s3
	v_cndmask_b32_e64 v12, v2, v2, s2
	s_delay_alu instid0(VALU_DEP_2) | instskip(NEXT) | instid1(VALU_DEP_2)
	v_add_f64 v[14:15], v[14:15], v[16:17]
	v_add_f64 v[10:11], v[10:11], v[12:13]
	s_delay_alu instid0(VALU_DEP_1)
	v_cmp_lt_f64_e32 vcc_lo, v[10:11], v[14:15]
	v_cndmask_b32_e32 v3, v3, v9, vcc_lo
	v_dual_cndmask_b32 v1, v1, v7 :: v_dual_cndmask_b32 v0, v0, v6
	v_cndmask_b32_e32 v2, v2, v8, vcc_lo
	v_cndmask_b32_e64 v4, v4, s6, vcc_lo
	s_add_i32 s6, s6, 1
	s_delay_alu instid0(SALU_CYCLE_1)
	s_cmp_lg_u32 s5, s6
	s_cbranch_scc1 .LBB124_1057
.LBB124_1058:
	s_set_inst_prefetch_distance 0x2
	s_waitcnt lgkmcnt(0)
	v_cmp_eq_f64_e32 vcc_lo, 0, v[0:1]
	v_cmp_eq_f64_e64 s2, 0, v[2:3]
	s_delay_alu instid0(VALU_DEP_1) | instskip(NEXT) | instid1(SALU_CYCLE_1)
	s_and_b32 s2, vcc_lo, s2
	s_and_saveexec_b32 s3, s2
	s_delay_alu instid0(SALU_CYCLE_1)
	s_xor_b32 s2, exec_lo, s3
; %bb.1059:
	v_cmp_ne_u32_e32 vcc_lo, 0, v37
	v_cndmask_b32_e32 v37, 45, v37, vcc_lo
; %bb.1060:
	s_and_not1_saveexec_b32 s3, s2
	s_cbranch_execz .LBB124_1066
; %bb.1061:
	v_cmp_gt_f64_e32 vcc_lo, 0, v[0:1]
	v_cmp_gt_f64_e64 s2, 0, v[2:3]
	v_xor_b32_e32 v5, 0x80000000, v1
	v_xor_b32_e32 v7, 0x80000000, v3
	s_delay_alu instid0(VALU_DEP_2) | instskip(NEXT) | instid1(VALU_DEP_2)
	v_dual_cndmask_b32 v6, v1, v5 :: v_dual_cndmask_b32 v5, v0, v0
	v_cndmask_b32_e64 v8, v3, v7, s2
	v_cndmask_b32_e64 v7, v2, v2, s2
	s_mov_b32 s2, exec_lo
	s_delay_alu instid0(VALU_DEP_1)
	v_cmpx_ngt_f64_e32 v[5:6], v[7:8]
	s_xor_b32 s2, exec_lo, s2
	s_cbranch_execz .LBB124_1063
; %bb.1062:
	v_div_scale_f64 v[5:6], null, v[2:3], v[2:3], v[0:1]
	v_div_scale_f64 v[11:12], vcc_lo, v[0:1], v[2:3], v[0:1]
	s_delay_alu instid0(VALU_DEP_2) | instskip(SKIP_2) | instid1(VALU_DEP_1)
	v_rcp_f64_e32 v[7:8], v[5:6]
	s_waitcnt_depctr 0xfff
	v_fma_f64 v[9:10], -v[5:6], v[7:8], 1.0
	v_fma_f64 v[7:8], v[7:8], v[9:10], v[7:8]
	s_delay_alu instid0(VALU_DEP_1) | instskip(NEXT) | instid1(VALU_DEP_1)
	v_fma_f64 v[9:10], -v[5:6], v[7:8], 1.0
	v_fma_f64 v[7:8], v[7:8], v[9:10], v[7:8]
	s_delay_alu instid0(VALU_DEP_1) | instskip(NEXT) | instid1(VALU_DEP_1)
	v_mul_f64 v[9:10], v[11:12], v[7:8]
	v_fma_f64 v[5:6], -v[5:6], v[9:10], v[11:12]
	s_delay_alu instid0(VALU_DEP_1) | instskip(NEXT) | instid1(VALU_DEP_1)
	v_div_fmas_f64 v[5:6], v[5:6], v[7:8], v[9:10]
	v_div_fixup_f64 v[5:6], v[5:6], v[2:3], v[0:1]
	s_delay_alu instid0(VALU_DEP_1) | instskip(NEXT) | instid1(VALU_DEP_1)
	v_fma_f64 v[0:1], v[0:1], v[5:6], v[2:3]
	v_div_scale_f64 v[2:3], null, v[0:1], v[0:1], 1.0
	s_delay_alu instid0(VALU_DEP_1) | instskip(SKIP_2) | instid1(VALU_DEP_1)
	v_rcp_f64_e32 v[7:8], v[2:3]
	s_waitcnt_depctr 0xfff
	v_fma_f64 v[9:10], -v[2:3], v[7:8], 1.0
	v_fma_f64 v[7:8], v[7:8], v[9:10], v[7:8]
	s_delay_alu instid0(VALU_DEP_1) | instskip(NEXT) | instid1(VALU_DEP_1)
	v_fma_f64 v[9:10], -v[2:3], v[7:8], 1.0
	v_fma_f64 v[7:8], v[7:8], v[9:10], v[7:8]
	v_div_scale_f64 v[9:10], vcc_lo, 1.0, v[0:1], 1.0
	s_delay_alu instid0(VALU_DEP_1) | instskip(NEXT) | instid1(VALU_DEP_1)
	v_mul_f64 v[11:12], v[9:10], v[7:8]
	v_fma_f64 v[2:3], -v[2:3], v[11:12], v[9:10]
	s_delay_alu instid0(VALU_DEP_1) | instskip(NEXT) | instid1(VALU_DEP_1)
	v_div_fmas_f64 v[2:3], v[2:3], v[7:8], v[11:12]
	v_div_fixup_f64 v[2:3], v[2:3], v[0:1], 1.0
	s_delay_alu instid0(VALU_DEP_1)
	v_mul_f64 v[0:1], v[5:6], v[2:3]
	v_xor_b32_e32 v3, 0x80000000, v3
.LBB124_1063:
	s_and_not1_saveexec_b32 s2, s2
	s_cbranch_execz .LBB124_1065
; %bb.1064:
	s_delay_alu instid0(VALU_DEP_1) | instskip(SKIP_1) | instid1(VALU_DEP_2)
	v_div_scale_f64 v[5:6], null, v[0:1], v[0:1], v[2:3]
	v_div_scale_f64 v[11:12], vcc_lo, v[2:3], v[0:1], v[2:3]
	v_rcp_f64_e32 v[7:8], v[5:6]
	s_waitcnt_depctr 0xfff
	v_fma_f64 v[9:10], -v[5:6], v[7:8], 1.0
	s_delay_alu instid0(VALU_DEP_1) | instskip(NEXT) | instid1(VALU_DEP_1)
	v_fma_f64 v[7:8], v[7:8], v[9:10], v[7:8]
	v_fma_f64 v[9:10], -v[5:6], v[7:8], 1.0
	s_delay_alu instid0(VALU_DEP_1) | instskip(NEXT) | instid1(VALU_DEP_1)
	v_fma_f64 v[7:8], v[7:8], v[9:10], v[7:8]
	v_mul_f64 v[9:10], v[11:12], v[7:8]
	s_delay_alu instid0(VALU_DEP_1) | instskip(NEXT) | instid1(VALU_DEP_1)
	v_fma_f64 v[5:6], -v[5:6], v[9:10], v[11:12]
	v_div_fmas_f64 v[5:6], v[5:6], v[7:8], v[9:10]
	s_delay_alu instid0(VALU_DEP_1) | instskip(NEXT) | instid1(VALU_DEP_1)
	v_div_fixup_f64 v[5:6], v[5:6], v[0:1], v[2:3]
	v_fma_f64 v[0:1], v[2:3], v[5:6], v[0:1]
	s_delay_alu instid0(VALU_DEP_1) | instskip(NEXT) | instid1(VALU_DEP_1)
	v_div_scale_f64 v[2:3], null, v[0:1], v[0:1], 1.0
	v_rcp_f64_e32 v[7:8], v[2:3]
	s_waitcnt_depctr 0xfff
	v_fma_f64 v[9:10], -v[2:3], v[7:8], 1.0
	s_delay_alu instid0(VALU_DEP_1) | instskip(NEXT) | instid1(VALU_DEP_1)
	v_fma_f64 v[7:8], v[7:8], v[9:10], v[7:8]
	v_fma_f64 v[9:10], -v[2:3], v[7:8], 1.0
	s_delay_alu instid0(VALU_DEP_1) | instskip(SKIP_1) | instid1(VALU_DEP_1)
	v_fma_f64 v[7:8], v[7:8], v[9:10], v[7:8]
	v_div_scale_f64 v[9:10], vcc_lo, 1.0, v[0:1], 1.0
	v_mul_f64 v[11:12], v[9:10], v[7:8]
	s_delay_alu instid0(VALU_DEP_1) | instskip(NEXT) | instid1(VALU_DEP_1)
	v_fma_f64 v[2:3], -v[2:3], v[11:12], v[9:10]
	v_div_fmas_f64 v[2:3], v[2:3], v[7:8], v[11:12]
	s_delay_alu instid0(VALU_DEP_1) | instskip(NEXT) | instid1(VALU_DEP_1)
	v_div_fixup_f64 v[0:1], v[2:3], v[0:1], 1.0
	v_mul_f64 v[2:3], v[5:6], -v[0:1]
.LBB124_1065:
	s_or_b32 exec_lo, exec_lo, s2
.LBB124_1066:
	s_delay_alu instid0(SALU_CYCLE_1) | instskip(NEXT) | instid1(SALU_CYCLE_1)
	s_or_b32 exec_lo, exec_lo, s3
	s_mov_b32 s2, exec_lo
	v_cmpx_ne_u32_e64 v40, v4
	s_xor_b32 s2, exec_lo, s2
	s_cbranch_execz .LBB124_1072
; %bb.1067:
	s_mov_b32 s3, exec_lo
	v_cmpx_eq_u32_e32 44, v40
	s_cbranch_execz .LBB124_1071
; %bb.1068:
	v_cmp_ne_u32_e32 vcc_lo, 44, v4
	s_xor_b32 s6, s4, -1
	s_delay_alu instid0(SALU_CYCLE_1) | instskip(NEXT) | instid1(SALU_CYCLE_1)
	s_and_b32 s7, s6, vcc_lo
	s_and_saveexec_b32 s6, s7
	s_cbranch_execz .LBB124_1070
; %bb.1069:
	v_ashrrev_i32_e32 v5, 31, v4
	s_delay_alu instid0(VALU_DEP_1) | instskip(NEXT) | instid1(VALU_DEP_1)
	v_lshlrev_b64 v[5:6], 2, v[4:5]
	v_add_co_u32 v5, vcc_lo, v145, v5
	s_delay_alu instid0(VALU_DEP_2)
	v_add_co_ci_u32_e32 v6, vcc_lo, v146, v6, vcc_lo
	s_clause 0x1
	flat_load_b32 v7, v[5:6]
	flat_load_b32 v8, v[145:146] offset:176
	s_waitcnt vmcnt(1) lgkmcnt(1)
	flat_store_b32 v[145:146], v7 offset:176
	s_waitcnt vmcnt(0) lgkmcnt(1)
	flat_store_b32 v[5:6], v8
.LBB124_1070:
	s_or_b32 exec_lo, exec_lo, s6
	v_mov_b32_e32 v40, v4
	v_mov_b32_e32 v39, v4
.LBB124_1071:
	s_or_b32 exec_lo, exec_lo, s3
.LBB124_1072:
	s_and_not1_saveexec_b32 s2, s2
	s_cbranch_execz .LBB124_1074
; %bb.1073:
	s_clause 0x11
	scratch_load_b128 v[4:7], v167, off
	scratch_load_b128 v[8:11], v166, off
	;; [unrolled: 1-line block ×18, first 2 shown]
	v_mov_b32_e32 v40, 44
	s_waitcnt vmcnt(17)
	ds_store_2addr_b64 v20, v[4:5], v[6:7] offset0:90 offset1:91
	s_waitcnt vmcnt(16)
	ds_store_2addr_b64 v20, v[8:9], v[10:11] offset0:92 offset1:93
	;; [unrolled: 2-line block ×18, first 2 shown]
.LBB124_1074:
	s_or_b32 exec_lo, exec_lo, s2
	s_delay_alu instid0(SALU_CYCLE_1)
	s_mov_b32 s2, exec_lo
	s_waitcnt lgkmcnt(0)
	s_waitcnt_vscnt null, 0x0
	s_barrier
	buffer_gl0_inv
	v_cmpx_lt_i32_e32 44, v40
	s_cbranch_execz .LBB124_1077
; %bb.1075:
	scratch_load_b128 v[4:7], off, off offset:704
	s_mov_b32 s3, 0
	s_waitcnt vmcnt(0)
	v_mul_f64 v[8:9], v[2:3], v[6:7]
	v_mul_f64 v[6:7], v[0:1], v[6:7]
	s_delay_alu instid0(VALU_DEP_2) | instskip(NEXT) | instid1(VALU_DEP_2)
	v_fma_f64 v[0:1], v[0:1], v[4:5], -v[8:9]
	v_fma_f64 v[2:3], v[2:3], v[4:5], v[6:7]
	v_add3_u32 v4, v38, 0, 0x2d0
	v_mov_b32_e32 v5, 0
	scratch_store_b128 off, v[0:3], off offset:704
.LBB124_1076:                           ; =>This Inner Loop Header: Depth=1
	v_readfirstlane_b32 s6, v5
	v_add_nc_u32_e32 v18, s3, v4
	s_delay_alu instid0(VALU_DEP_2)
	s_add_i32 s7, s6, s3
	s_addk_i32 s3, 0x60
	s_add_i32 s6, s7, 0x2d0
	s_add_i32 s9, s7, 0x2e0
	;; [unrolled: 1-line block ×5, first 2 shown]
	s_addk_i32 s7, 0x320
	s_clause 0x5
	scratch_load_b128 v[6:9], off, s6
	scratch_load_b128 v[10:13], off, s9
	scratch_load_b128 v[14:17], off, s12
	scratch_load_b128 v[41:44], off, s14
	scratch_load_b128 v[53:56], off, s15
	scratch_load_b128 v[57:60], off, s7
	ds_load_2addr_b64 v[65:68], v18 offset1:1
	ds_load_2addr_b64 v[73:76], v18 offset0:2 offset1:3
	ds_load_2addr_b64 v[81:84], v18 offset0:4 offset1:5
	;; [unrolled: 1-line block ×5, first 2 shown]
	s_cmpk_lg_i32 s3, 0x120
	s_waitcnt lgkmcnt(5)
	v_mul_f64 v[18:19], v[67:68], v[2:3]
	v_mul_f64 v[45:46], v[65:66], v[2:3]
	s_waitcnt lgkmcnt(4)
	v_mul_f64 v[49:50], v[75:76], v[2:3]
	v_mul_f64 v[61:62], v[73:74], v[2:3]
	;; [unrolled: 3-line block ×6, first 2 shown]
	v_fma_f64 v[18:19], v[65:66], v[0:1], -v[18:19]
	v_fma_f64 v[45:46], v[67:68], v[0:1], v[45:46]
	v_fma_f64 v[49:50], v[73:74], v[0:1], -v[49:50]
	v_fma_f64 v[61:62], v[75:76], v[0:1], v[61:62]
	;; [unrolled: 2-line block ×6, first 2 shown]
	s_waitcnt vmcnt(5)
	v_add_f64 v[6:7], v[6:7], -v[18:19]
	v_add_f64 v[8:9], v[8:9], -v[45:46]
	s_waitcnt vmcnt(4)
	v_add_f64 v[10:11], v[10:11], -v[49:50]
	v_add_f64 v[12:13], v[12:13], -v[61:62]
	;; [unrolled: 3-line block ×6, first 2 shown]
	s_clause 0x5
	scratch_store_b128 off, v[6:9], s6
	scratch_store_b128 off, v[10:13], s9
	;; [unrolled: 1-line block ×6, first 2 shown]
	s_cbranch_scc1 .LBB124_1076
.LBB124_1077:
	s_or_b32 exec_lo, exec_lo, s2
	s_waitcnt_vscnt null, 0x0
	s_barrier
	buffer_gl0_inv
	scratch_load_b128 v[0:3], v167, off
	v_lshl_add_u32 v4, v40, 4, v20
	s_cmp_lt_i32 s5, 47
	s_waitcnt vmcnt(0)
	ds_store_2addr_b64 v4, v[0:1], v[2:3] offset1:1
	s_waitcnt lgkmcnt(0)
	s_barrier
	buffer_gl0_inv
	ds_load_2addr_b64 v[0:3], v20 offset0:90 offset1:91
	v_mov_b32_e32 v4, 45
	s_cbranch_scc1 .LBB124_1080
; %bb.1078:
	v_add3_u32 v5, v38, 0, 0x2e0
	v_mov_b32_e32 v4, 45
	s_mov_b32 s6, 46
	s_set_inst_prefetch_distance 0x1
	.p2align	6
.LBB124_1079:                           ; =>This Inner Loop Header: Depth=1
	ds_load_2addr_b64 v[6:9], v5 offset1:1
	s_waitcnt lgkmcnt(1)
	v_cmp_gt_f64_e32 vcc_lo, 0, v[0:1]
	v_xor_b32_e32 v10, 0x80000000, v1
	v_cmp_gt_f64_e64 s2, 0, v[2:3]
	v_xor_b32_e32 v12, 0x80000000, v3
	v_add_nc_u32_e32 v5, 16, v5
	s_waitcnt lgkmcnt(0)
	v_cmp_gt_f64_e64 s3, 0, v[6:7]
	v_mov_b32_e32 v14, v6
	v_dual_mov_b32 v16, v8 :: v_dual_cndmask_b32 v11, v1, v10
	v_xor_b32_e32 v10, 0x80000000, v7
	v_cndmask_b32_e64 v13, v3, v12, s2
	v_xor_b32_e32 v12, 0x80000000, v9
	s_delay_alu instid0(VALU_DEP_3) | instskip(SKIP_2) | instid1(VALU_DEP_2)
	v_cndmask_b32_e64 v15, v7, v10, s3
	v_cmp_gt_f64_e64 s3, 0, v[8:9]
	v_cndmask_b32_e32 v10, v0, v0, vcc_lo
	v_cndmask_b32_e64 v17, v9, v12, s3
	v_cndmask_b32_e64 v12, v2, v2, s2
	s_delay_alu instid0(VALU_DEP_2) | instskip(NEXT) | instid1(VALU_DEP_2)
	v_add_f64 v[14:15], v[14:15], v[16:17]
	v_add_f64 v[10:11], v[10:11], v[12:13]
	s_delay_alu instid0(VALU_DEP_1)
	v_cmp_lt_f64_e32 vcc_lo, v[10:11], v[14:15]
	v_cndmask_b32_e32 v3, v3, v9, vcc_lo
	v_dual_cndmask_b32 v1, v1, v7 :: v_dual_cndmask_b32 v0, v0, v6
	v_cndmask_b32_e32 v2, v2, v8, vcc_lo
	v_cndmask_b32_e64 v4, v4, s6, vcc_lo
	s_add_i32 s6, s6, 1
	s_delay_alu instid0(SALU_CYCLE_1)
	s_cmp_lg_u32 s5, s6
	s_cbranch_scc1 .LBB124_1079
.LBB124_1080:
	s_set_inst_prefetch_distance 0x2
	s_waitcnt lgkmcnt(0)
	v_cmp_eq_f64_e32 vcc_lo, 0, v[0:1]
	v_cmp_eq_f64_e64 s2, 0, v[2:3]
	s_delay_alu instid0(VALU_DEP_1) | instskip(NEXT) | instid1(SALU_CYCLE_1)
	s_and_b32 s2, vcc_lo, s2
	s_and_saveexec_b32 s3, s2
	s_delay_alu instid0(SALU_CYCLE_1)
	s_xor_b32 s2, exec_lo, s3
; %bb.1081:
	v_cmp_ne_u32_e32 vcc_lo, 0, v37
	v_cndmask_b32_e32 v37, 46, v37, vcc_lo
; %bb.1082:
	s_and_not1_saveexec_b32 s3, s2
	s_cbranch_execz .LBB124_1088
; %bb.1083:
	v_cmp_gt_f64_e32 vcc_lo, 0, v[0:1]
	v_cmp_gt_f64_e64 s2, 0, v[2:3]
	v_xor_b32_e32 v5, 0x80000000, v1
	v_xor_b32_e32 v7, 0x80000000, v3
	s_delay_alu instid0(VALU_DEP_2) | instskip(NEXT) | instid1(VALU_DEP_2)
	v_dual_cndmask_b32 v6, v1, v5 :: v_dual_cndmask_b32 v5, v0, v0
	v_cndmask_b32_e64 v8, v3, v7, s2
	v_cndmask_b32_e64 v7, v2, v2, s2
	s_mov_b32 s2, exec_lo
	s_delay_alu instid0(VALU_DEP_1)
	v_cmpx_ngt_f64_e32 v[5:6], v[7:8]
	s_xor_b32 s2, exec_lo, s2
	s_cbranch_execz .LBB124_1085
; %bb.1084:
	v_div_scale_f64 v[5:6], null, v[2:3], v[2:3], v[0:1]
	v_div_scale_f64 v[11:12], vcc_lo, v[0:1], v[2:3], v[0:1]
	s_delay_alu instid0(VALU_DEP_2) | instskip(SKIP_2) | instid1(VALU_DEP_1)
	v_rcp_f64_e32 v[7:8], v[5:6]
	s_waitcnt_depctr 0xfff
	v_fma_f64 v[9:10], -v[5:6], v[7:8], 1.0
	v_fma_f64 v[7:8], v[7:8], v[9:10], v[7:8]
	s_delay_alu instid0(VALU_DEP_1) | instskip(NEXT) | instid1(VALU_DEP_1)
	v_fma_f64 v[9:10], -v[5:6], v[7:8], 1.0
	v_fma_f64 v[7:8], v[7:8], v[9:10], v[7:8]
	s_delay_alu instid0(VALU_DEP_1) | instskip(NEXT) | instid1(VALU_DEP_1)
	v_mul_f64 v[9:10], v[11:12], v[7:8]
	v_fma_f64 v[5:6], -v[5:6], v[9:10], v[11:12]
	s_delay_alu instid0(VALU_DEP_1) | instskip(NEXT) | instid1(VALU_DEP_1)
	v_div_fmas_f64 v[5:6], v[5:6], v[7:8], v[9:10]
	v_div_fixup_f64 v[5:6], v[5:6], v[2:3], v[0:1]
	s_delay_alu instid0(VALU_DEP_1) | instskip(NEXT) | instid1(VALU_DEP_1)
	v_fma_f64 v[0:1], v[0:1], v[5:6], v[2:3]
	v_div_scale_f64 v[2:3], null, v[0:1], v[0:1], 1.0
	s_delay_alu instid0(VALU_DEP_1) | instskip(SKIP_2) | instid1(VALU_DEP_1)
	v_rcp_f64_e32 v[7:8], v[2:3]
	s_waitcnt_depctr 0xfff
	v_fma_f64 v[9:10], -v[2:3], v[7:8], 1.0
	v_fma_f64 v[7:8], v[7:8], v[9:10], v[7:8]
	s_delay_alu instid0(VALU_DEP_1) | instskip(NEXT) | instid1(VALU_DEP_1)
	v_fma_f64 v[9:10], -v[2:3], v[7:8], 1.0
	v_fma_f64 v[7:8], v[7:8], v[9:10], v[7:8]
	v_div_scale_f64 v[9:10], vcc_lo, 1.0, v[0:1], 1.0
	s_delay_alu instid0(VALU_DEP_1) | instskip(NEXT) | instid1(VALU_DEP_1)
	v_mul_f64 v[11:12], v[9:10], v[7:8]
	v_fma_f64 v[2:3], -v[2:3], v[11:12], v[9:10]
	s_delay_alu instid0(VALU_DEP_1) | instskip(NEXT) | instid1(VALU_DEP_1)
	v_div_fmas_f64 v[2:3], v[2:3], v[7:8], v[11:12]
	v_div_fixup_f64 v[2:3], v[2:3], v[0:1], 1.0
	s_delay_alu instid0(VALU_DEP_1)
	v_mul_f64 v[0:1], v[5:6], v[2:3]
	v_xor_b32_e32 v3, 0x80000000, v3
.LBB124_1085:
	s_and_not1_saveexec_b32 s2, s2
	s_cbranch_execz .LBB124_1087
; %bb.1086:
	s_delay_alu instid0(VALU_DEP_1) | instskip(SKIP_1) | instid1(VALU_DEP_2)
	v_div_scale_f64 v[5:6], null, v[0:1], v[0:1], v[2:3]
	v_div_scale_f64 v[11:12], vcc_lo, v[2:3], v[0:1], v[2:3]
	v_rcp_f64_e32 v[7:8], v[5:6]
	s_waitcnt_depctr 0xfff
	v_fma_f64 v[9:10], -v[5:6], v[7:8], 1.0
	s_delay_alu instid0(VALU_DEP_1) | instskip(NEXT) | instid1(VALU_DEP_1)
	v_fma_f64 v[7:8], v[7:8], v[9:10], v[7:8]
	v_fma_f64 v[9:10], -v[5:6], v[7:8], 1.0
	s_delay_alu instid0(VALU_DEP_1) | instskip(NEXT) | instid1(VALU_DEP_1)
	v_fma_f64 v[7:8], v[7:8], v[9:10], v[7:8]
	v_mul_f64 v[9:10], v[11:12], v[7:8]
	s_delay_alu instid0(VALU_DEP_1) | instskip(NEXT) | instid1(VALU_DEP_1)
	v_fma_f64 v[5:6], -v[5:6], v[9:10], v[11:12]
	v_div_fmas_f64 v[5:6], v[5:6], v[7:8], v[9:10]
	s_delay_alu instid0(VALU_DEP_1) | instskip(NEXT) | instid1(VALU_DEP_1)
	v_div_fixup_f64 v[5:6], v[5:6], v[0:1], v[2:3]
	v_fma_f64 v[0:1], v[2:3], v[5:6], v[0:1]
	s_delay_alu instid0(VALU_DEP_1) | instskip(NEXT) | instid1(VALU_DEP_1)
	v_div_scale_f64 v[2:3], null, v[0:1], v[0:1], 1.0
	v_rcp_f64_e32 v[7:8], v[2:3]
	s_waitcnt_depctr 0xfff
	v_fma_f64 v[9:10], -v[2:3], v[7:8], 1.0
	s_delay_alu instid0(VALU_DEP_1) | instskip(NEXT) | instid1(VALU_DEP_1)
	v_fma_f64 v[7:8], v[7:8], v[9:10], v[7:8]
	v_fma_f64 v[9:10], -v[2:3], v[7:8], 1.0
	s_delay_alu instid0(VALU_DEP_1) | instskip(SKIP_1) | instid1(VALU_DEP_1)
	v_fma_f64 v[7:8], v[7:8], v[9:10], v[7:8]
	v_div_scale_f64 v[9:10], vcc_lo, 1.0, v[0:1], 1.0
	v_mul_f64 v[11:12], v[9:10], v[7:8]
	s_delay_alu instid0(VALU_DEP_1) | instskip(NEXT) | instid1(VALU_DEP_1)
	v_fma_f64 v[2:3], -v[2:3], v[11:12], v[9:10]
	v_div_fmas_f64 v[2:3], v[2:3], v[7:8], v[11:12]
	s_delay_alu instid0(VALU_DEP_1) | instskip(NEXT) | instid1(VALU_DEP_1)
	v_div_fixup_f64 v[0:1], v[2:3], v[0:1], 1.0
	v_mul_f64 v[2:3], v[5:6], -v[0:1]
.LBB124_1087:
	s_or_b32 exec_lo, exec_lo, s2
.LBB124_1088:
	s_delay_alu instid0(SALU_CYCLE_1) | instskip(NEXT) | instid1(SALU_CYCLE_1)
	s_or_b32 exec_lo, exec_lo, s3
	s_mov_b32 s2, exec_lo
	v_cmpx_ne_u32_e64 v40, v4
	s_xor_b32 s2, exec_lo, s2
	s_cbranch_execz .LBB124_1094
; %bb.1089:
	s_mov_b32 s3, exec_lo
	v_cmpx_eq_u32_e32 45, v40
	s_cbranch_execz .LBB124_1093
; %bb.1090:
	v_cmp_ne_u32_e32 vcc_lo, 45, v4
	s_xor_b32 s6, s4, -1
	s_delay_alu instid0(SALU_CYCLE_1) | instskip(NEXT) | instid1(SALU_CYCLE_1)
	s_and_b32 s7, s6, vcc_lo
	s_and_saveexec_b32 s6, s7
	s_cbranch_execz .LBB124_1092
; %bb.1091:
	v_ashrrev_i32_e32 v5, 31, v4
	s_delay_alu instid0(VALU_DEP_1) | instskip(NEXT) | instid1(VALU_DEP_1)
	v_lshlrev_b64 v[5:6], 2, v[4:5]
	v_add_co_u32 v5, vcc_lo, v145, v5
	s_delay_alu instid0(VALU_DEP_2)
	v_add_co_ci_u32_e32 v6, vcc_lo, v146, v6, vcc_lo
	s_clause 0x1
	flat_load_b32 v7, v[5:6]
	flat_load_b32 v8, v[145:146] offset:180
	s_waitcnt vmcnt(1) lgkmcnt(1)
	flat_store_b32 v[145:146], v7 offset:180
	s_waitcnt vmcnt(0) lgkmcnt(1)
	flat_store_b32 v[5:6], v8
.LBB124_1092:
	s_or_b32 exec_lo, exec_lo, s6
	v_mov_b32_e32 v40, v4
	v_mov_b32_e32 v39, v4
.LBB124_1093:
	s_or_b32 exec_lo, exec_lo, s3
.LBB124_1094:
	s_and_not1_saveexec_b32 s2, s2
	s_cbranch_execz .LBB124_1096
; %bb.1095:
	s_clause 0x10
	scratch_load_b128 v[4:7], v166, off
	scratch_load_b128 v[8:11], v165, off
	;; [unrolled: 1-line block ×17, first 2 shown]
	v_mov_b32_e32 v40, 45
	s_waitcnt vmcnt(16)
	ds_store_2addr_b64 v20, v[4:5], v[6:7] offset0:92 offset1:93
	s_waitcnt vmcnt(15)
	ds_store_2addr_b64 v20, v[8:9], v[10:11] offset0:94 offset1:95
	;; [unrolled: 2-line block ×17, first 2 shown]
.LBB124_1096:
	s_or_b32 exec_lo, exec_lo, s2
	s_delay_alu instid0(SALU_CYCLE_1)
	s_mov_b32 s2, exec_lo
	s_waitcnt lgkmcnt(0)
	s_waitcnt_vscnt null, 0x0
	s_barrier
	buffer_gl0_inv
	v_cmpx_lt_i32_e32 45, v40
	s_cbranch_execz .LBB124_1098
; %bb.1097:
	s_clause 0x1
	scratch_load_b128 v[4:7], off, off offset:720
	scratch_load_b128 v[8:11], off, off offset:736
	s_waitcnt vmcnt(1)
	v_mul_f64 v[12:13], v[0:1], v[6:7]
	v_mul_f64 v[6:7], v[2:3], v[6:7]
	s_delay_alu instid0(VALU_DEP_2)
	v_fma_f64 v[2:3], v[2:3], v[4:5], v[12:13]
	ds_load_2addr_b64 v[12:15], v20 offset0:92 offset1:93
	ds_load_2addr_b64 v[16:19], v20 offset0:96 offset1:97
	;; [unrolled: 1-line block ×3, first 2 shown]
	v_fma_f64 v[0:1], v[0:1], v[4:5], -v[6:7]
	ds_load_2addr_b64 v[4:7], v20 offset0:98 offset1:99
	ds_load_2addr_b64 v[53:56], v20 offset0:100 offset1:101
	s_waitcnt lgkmcnt(4)
	v_mul_f64 v[45:46], v[14:15], v[2:3]
	v_mul_f64 v[49:50], v[12:13], v[2:3]
	s_waitcnt lgkmcnt(3)
	v_mul_f64 v[57:58], v[18:19], v[2:3]
	s_waitcnt lgkmcnt(1)
	v_mul_f64 v[61:62], v[6:7], v[2:3]
	v_mul_f64 v[59:60], v[16:17], v[2:3]
	;; [unrolled: 1-line block ×3, first 2 shown]
	s_waitcnt lgkmcnt(0)
	v_mul_f64 v[67:68], v[55:56], v[2:3]
	v_mul_f64 v[69:70], v[43:44], v[2:3]
	scratch_store_b128 off, v[0:3], off offset:720
	v_fma_f64 v[45:46], v[12:13], v[0:1], -v[45:46]
	v_fma_f64 v[49:50], v[14:15], v[0:1], v[49:50]
	ds_load_2addr_b64 v[12:15], v20 offset0:102 offset1:103
	v_fma_f64 v[57:58], v[16:17], v[0:1], -v[57:58]
	v_mul_f64 v[16:17], v[53:54], v[2:3]
	v_fma_f64 v[61:62], v[4:5], v[0:1], -v[61:62]
	v_fma_f64 v[59:60], v[18:19], v[0:1], v[59:60]
	v_fma_f64 v[65:66], v[6:7], v[0:1], v[65:66]
	v_fma_f64 v[67:68], v[53:54], v[0:1], -v[67:68]
	v_fma_f64 v[69:70], v[41:42], v[0:1], -v[69:70]
	s_waitcnt lgkmcnt(0)
	v_mul_f64 v[4:5], v[12:13], v[2:3]
	v_mul_f64 v[18:19], v[14:15], v[2:3]
	s_waitcnt vmcnt(0)
	v_add_f64 v[8:9], v[8:9], -v[45:46]
	v_add_f64 v[10:11], v[10:11], -v[49:50]
	s_clause 0x1
	scratch_load_b64 v[49:50], off, off offset:728
	scratch_load_b64 v[45:46], off, off offset:720
	v_fma_f64 v[73:74], v[55:56], v[0:1], v[16:17]
	v_mul_f64 v[16:17], v[41:42], v[2:3]
	scratch_load_b128 v[53:56], off, off offset:752
	v_fma_f64 v[77:78], v[14:15], v[0:1], v[4:5]
	scratch_load_b128 v[4:7], off, off offset:768
	v_fma_f64 v[75:76], v[12:13], v[0:1], -v[18:19]
	scratch_load_b128 v[12:15], off, off offset:784
	v_fma_f64 v[81:82], v[43:44], v[0:1], v[16:17]
	s_clause 0x2
	scratch_load_b128 v[16:19], off, off offset:800
	scratch_load_b128 v[41:44], off, off offset:816
	;; [unrolled: 1-line block ×3, first 2 shown]
	s_waitcnt vmcnt(5)
	v_add_f64 v[53:54], v[53:54], -v[69:70]
	v_add_f64 v[55:56], v[55:56], -v[81:82]
	s_waitcnt vmcnt(4)
	v_add_f64 v[4:5], v[4:5], -v[57:58]
	v_add_f64 v[6:7], v[6:7], -v[59:60]
	ds_load_2addr_b64 v[57:60], v20 offset0:104 offset1:105
	s_waitcnt vmcnt(3)
	v_add_f64 v[12:13], v[12:13], -v[61:62]
	v_add_f64 v[14:15], v[14:15], -v[65:66]
	s_waitcnt vmcnt(2)
	v_add_f64 v[16:17], v[16:17], -v[67:68]
	ds_load_2addr_b64 v[65:68], v20 offset0:106 offset1:107
	s_waitcnt vmcnt(0) lgkmcnt(1)
	v_mul_f64 v[61:62], v[59:60], v[2:3]
	v_add_f64 v[43:44], v[43:44], -v[77:78]
	v_add_f64 v[18:19], v[18:19], -v[73:74]
	;; [unrolled: 1-line block ×3, first 2 shown]
	s_delay_alu instid0(VALU_DEP_4) | instskip(SKIP_1) | instid1(VALU_DEP_1)
	v_fma_f64 v[61:62], v[57:58], v[45:46], -v[61:62]
	v_mul_f64 v[57:58], v[57:58], v[2:3]
	v_fma_f64 v[69:70], v[59:60], v[45:46], v[57:58]
	s_waitcnt lgkmcnt(0)
	v_mul_f64 v[57:58], v[67:68], v[2:3]
	s_delay_alu instid0(VALU_DEP_1) | instskip(SKIP_1) | instid1(VALU_DEP_1)
	v_fma_f64 v[77:78], v[65:66], v[45:46], -v[57:58]
	v_mul_f64 v[57:58], v[65:66], v[2:3]
	v_fma_f64 v[81:82], v[67:68], v[45:46], v[57:58]
	ds_load_2addr_b64 v[57:60], v20 offset0:108 offset1:109
	ds_load_2addr_b64 v[65:68], v20 offset0:110 offset1:111
	s_waitcnt lgkmcnt(1)
	v_mul_f64 v[73:74], v[59:60], v[2:3]
	s_delay_alu instid0(VALU_DEP_1) | instskip(SKIP_1) | instid1(VALU_DEP_1)
	v_fma_f64 v[83:84], v[57:58], v[45:46], -v[73:74]
	v_mul_f64 v[57:58], v[57:58], v[2:3]
	v_fma_f64 v[85:86], v[59:60], v[45:46], v[57:58]
	s_waitcnt lgkmcnt(0)
	v_mul_f64 v[57:58], v[67:68], v[2:3]
	s_delay_alu instid0(VALU_DEP_1) | instskip(SKIP_1) | instid1(VALU_DEP_1)
	v_fma_f64 v[87:88], v[65:66], v[45:46], -v[57:58]
	v_mul_f64 v[57:58], v[65:66], v[2:3]
	v_fma_f64 v[89:90], v[67:68], v[45:46], v[57:58]
	ds_load_2addr_b64 v[57:60], v20 offset0:112 offset1:113
	ds_load_2addr_b64 v[65:68], v20 offset0:114 offset1:115
	s_waitcnt lgkmcnt(1)
	v_mul_f64 v[73:74], v[59:60], v[2:3]
	s_delay_alu instid0(VALU_DEP_1) | instskip(SKIP_1) | instid1(VALU_DEP_1)
	v_fma_f64 v[91:92], v[57:58], v[45:46], -v[73:74]
	v_mul_f64 v[57:58], v[57:58], v[2:3]
	v_fma_f64 v[93:94], v[59:60], v[45:46], v[57:58]
	ds_load_2addr_b64 v[57:60], v20 offset0:116 offset1:117
	ds_load_2addr_b64 v[73:76], v20 offset0:118 offset1:119
	s_waitcnt lgkmcnt(1)
	v_mul_f64 v[95:96], v[59:60], v[49:50]
	s_delay_alu instid0(VALU_DEP_1) | instskip(SKIP_1) | instid1(VALU_DEP_1)
	v_fma_f64 v[97:98], v[57:58], v[0:1], -v[95:96]
	v_mul_f64 v[57:58], v[57:58], v[49:50]
	v_fma_f64 v[99:100], v[59:60], v[0:1], v[57:58]
	s_waitcnt lgkmcnt(0)
	v_mul_f64 v[57:58], v[75:76], v[49:50]
	s_delay_alu instid0(VALU_DEP_1) | instskip(SKIP_1) | instid1(VALU_DEP_1)
	v_fma_f64 v[101:102], v[73:74], v[0:1], -v[57:58]
	v_mul_f64 v[57:58], v[73:74], v[49:50]
	v_fma_f64 v[103:104], v[75:76], v[0:1], v[57:58]
	ds_load_2addr_b64 v[57:60], v20 offset0:120 offset1:121
	ds_load_2addr_b64 v[73:76], v20 offset0:122 offset1:123
	s_waitcnt lgkmcnt(1)
	v_mul_f64 v[95:96], v[59:60], v[49:50]
	s_delay_alu instid0(VALU_DEP_1) | instskip(SKIP_1) | instid1(VALU_DEP_1)
	v_fma_f64 v[113:114], v[57:58], v[0:1], -v[95:96]
	v_mul_f64 v[57:58], v[57:58], v[49:50]
	v_fma_f64 v[117:118], v[59:60], v[0:1], v[57:58]
	s_waitcnt lgkmcnt(0)
	v_mul_f64 v[57:58], v[75:76], v[49:50]
	s_delay_alu instid0(VALU_DEP_1) | instskip(SKIP_1) | instid1(VALU_DEP_1)
	v_fma_f64 v[121:122], v[73:74], v[0:1], -v[57:58]
	v_mul_f64 v[57:58], v[73:74], v[49:50]
	v_fma_f64 v[125:126], v[75:76], v[0:1], v[57:58]
	ds_load_2addr_b64 v[57:60], v20 offset0:124 offset1:125
	s_waitcnt lgkmcnt(0)
	v_mul_f64 v[73:74], v[59:60], v[49:50]
	v_mul_f64 v[49:50], v[57:58], v[49:50]
	s_delay_alu instid0(VALU_DEP_2) | instskip(NEXT) | instid1(VALU_DEP_2)
	v_fma_f64 v[134:135], v[57:58], v[0:1], -v[73:74]
	v_fma_f64 v[49:50], v[59:60], v[0:1], v[49:50]
	v_mul_f64 v[0:1], v[67:68], v[2:3]
	v_mul_f64 v[2:3], v[65:66], v[2:3]
	s_delay_alu instid0(VALU_DEP_2) | instskip(NEXT) | instid1(VALU_DEP_2)
	v_fma_f64 v[95:96], v[65:66], v[45:46], -v[0:1]
	v_fma_f64 v[45:46], v[67:68], v[45:46], v[2:3]
	s_clause 0x3
	scratch_load_b128 v[0:3], off, off offset:832
	scratch_load_b128 v[57:60], off, off offset:848
	;; [unrolled: 1-line block ×4, first 2 shown]
	s_waitcnt vmcnt(3)
	v_add_f64 v[0:1], v[0:1], -v[61:62]
	s_waitcnt vmcnt(2)
	v_add_f64 v[59:60], v[59:60], -v[81:82]
	;; [unrolled: 2-line block ×3, first 2 shown]
	v_add_f64 v[67:68], v[67:68], -v[85:86]
	s_waitcnt vmcnt(0)
	v_add_f64 v[73:74], v[73:74], -v[87:88]
	s_clause 0x1
	scratch_load_b128 v[81:84], off, off offset:896
	scratch_load_b128 v[85:88], off, off offset:912
	v_add_f64 v[75:76], v[75:76], -v[89:90]
	v_add_f64 v[2:3], v[2:3], -v[69:70]
	;; [unrolled: 1-line block ×3, first 2 shown]
	s_waitcnt vmcnt(1)
	v_add_f64 v[81:82], v[81:82], -v[91:92]
	v_add_f64 v[83:84], v[83:84], -v[93:94]
	s_waitcnt vmcnt(0)
	v_add_f64 v[85:86], v[85:86], -v[95:96]
	s_clause 0x1
	scratch_load_b128 v[89:92], off, off offset:928
	scratch_load_b128 v[93:96], off, off offset:944
	v_add_f64 v[87:88], v[87:88], -v[45:46]
	s_waitcnt vmcnt(1)
	v_add_f64 v[89:90], v[89:90], -v[97:98]
	v_add_f64 v[91:92], v[91:92], -v[99:100]
	s_waitcnt vmcnt(0)
	v_add_f64 v[93:94], v[93:94], -v[101:102]
	v_add_f64 v[95:96], v[95:96], -v[103:104]
	s_clause 0x2
	scratch_load_b128 v[97:100], off, off offset:960
	scratch_load_b128 v[101:104], off, off offset:976
	;; [unrolled: 1-line block ×3, first 2 shown]
	s_waitcnt vmcnt(2)
	v_add_f64 v[97:98], v[97:98], -v[113:114]
	v_add_f64 v[99:100], v[99:100], -v[117:118]
	s_waitcnt vmcnt(1)
	v_add_f64 v[101:102], v[101:102], -v[121:122]
	v_add_f64 v[103:104], v[103:104], -v[125:126]
	;; [unrolled: 3-line block ×3, first 2 shown]
	s_clause 0x10
	scratch_store_b128 off, v[8:11], off offset:736
	scratch_store_b128 off, v[12:15], off offset:784
	;; [unrolled: 1-line block ×17, first 2 shown]
.LBB124_1098:
	s_or_b32 exec_lo, exec_lo, s2
	s_waitcnt_vscnt null, 0x0
	s_barrier
	buffer_gl0_inv
	scratch_load_b128 v[0:3], v166, off
	v_lshl_add_u32 v4, v40, 4, v20
	s_cmp_lt_i32 s5, 48
	s_waitcnt vmcnt(0)
	ds_store_2addr_b64 v4, v[0:1], v[2:3] offset1:1
	s_waitcnt lgkmcnt(0)
	s_barrier
	buffer_gl0_inv
	ds_load_2addr_b64 v[0:3], v20 offset0:92 offset1:93
	v_mov_b32_e32 v4, 46
	s_cbranch_scc1 .LBB124_1101
; %bb.1099:
	v_add3_u32 v5, v38, 0, 0x2f0
	v_mov_b32_e32 v4, 46
	s_mov_b32 s6, 47
	s_set_inst_prefetch_distance 0x1
	.p2align	6
.LBB124_1100:                           ; =>This Inner Loop Header: Depth=1
	ds_load_2addr_b64 v[6:9], v5 offset1:1
	s_waitcnt lgkmcnt(1)
	v_cmp_gt_f64_e32 vcc_lo, 0, v[0:1]
	v_xor_b32_e32 v10, 0x80000000, v1
	v_cmp_gt_f64_e64 s2, 0, v[2:3]
	v_xor_b32_e32 v12, 0x80000000, v3
	v_add_nc_u32_e32 v5, 16, v5
	s_waitcnt lgkmcnt(0)
	v_cmp_gt_f64_e64 s3, 0, v[6:7]
	v_mov_b32_e32 v14, v6
	v_dual_mov_b32 v16, v8 :: v_dual_cndmask_b32 v11, v1, v10
	v_xor_b32_e32 v10, 0x80000000, v7
	v_cndmask_b32_e64 v13, v3, v12, s2
	v_xor_b32_e32 v12, 0x80000000, v9
	s_delay_alu instid0(VALU_DEP_3) | instskip(SKIP_2) | instid1(VALU_DEP_2)
	v_cndmask_b32_e64 v15, v7, v10, s3
	v_cmp_gt_f64_e64 s3, 0, v[8:9]
	v_cndmask_b32_e32 v10, v0, v0, vcc_lo
	v_cndmask_b32_e64 v17, v9, v12, s3
	v_cndmask_b32_e64 v12, v2, v2, s2
	s_delay_alu instid0(VALU_DEP_2) | instskip(NEXT) | instid1(VALU_DEP_2)
	v_add_f64 v[14:15], v[14:15], v[16:17]
	v_add_f64 v[10:11], v[10:11], v[12:13]
	s_delay_alu instid0(VALU_DEP_1)
	v_cmp_lt_f64_e32 vcc_lo, v[10:11], v[14:15]
	v_cndmask_b32_e32 v3, v3, v9, vcc_lo
	v_dual_cndmask_b32 v1, v1, v7 :: v_dual_cndmask_b32 v0, v0, v6
	v_cndmask_b32_e32 v2, v2, v8, vcc_lo
	v_cndmask_b32_e64 v4, v4, s6, vcc_lo
	s_add_i32 s6, s6, 1
	s_delay_alu instid0(SALU_CYCLE_1)
	s_cmp_lg_u32 s5, s6
	s_cbranch_scc1 .LBB124_1100
.LBB124_1101:
	s_set_inst_prefetch_distance 0x2
	s_waitcnt lgkmcnt(0)
	v_cmp_eq_f64_e32 vcc_lo, 0, v[0:1]
	v_cmp_eq_f64_e64 s2, 0, v[2:3]
	s_delay_alu instid0(VALU_DEP_1) | instskip(NEXT) | instid1(SALU_CYCLE_1)
	s_and_b32 s2, vcc_lo, s2
	s_and_saveexec_b32 s3, s2
	s_delay_alu instid0(SALU_CYCLE_1)
	s_xor_b32 s2, exec_lo, s3
; %bb.1102:
	v_cmp_ne_u32_e32 vcc_lo, 0, v37
	v_cndmask_b32_e32 v37, 47, v37, vcc_lo
; %bb.1103:
	s_and_not1_saveexec_b32 s3, s2
	s_cbranch_execz .LBB124_1109
; %bb.1104:
	v_cmp_gt_f64_e32 vcc_lo, 0, v[0:1]
	v_cmp_gt_f64_e64 s2, 0, v[2:3]
	v_xor_b32_e32 v5, 0x80000000, v1
	v_xor_b32_e32 v7, 0x80000000, v3
	s_delay_alu instid0(VALU_DEP_2) | instskip(NEXT) | instid1(VALU_DEP_2)
	v_dual_cndmask_b32 v6, v1, v5 :: v_dual_cndmask_b32 v5, v0, v0
	v_cndmask_b32_e64 v8, v3, v7, s2
	v_cndmask_b32_e64 v7, v2, v2, s2
	s_mov_b32 s2, exec_lo
	s_delay_alu instid0(VALU_DEP_1)
	v_cmpx_ngt_f64_e32 v[5:6], v[7:8]
	s_xor_b32 s2, exec_lo, s2
	s_cbranch_execz .LBB124_1106
; %bb.1105:
	v_div_scale_f64 v[5:6], null, v[2:3], v[2:3], v[0:1]
	v_div_scale_f64 v[11:12], vcc_lo, v[0:1], v[2:3], v[0:1]
	s_delay_alu instid0(VALU_DEP_2) | instskip(SKIP_2) | instid1(VALU_DEP_1)
	v_rcp_f64_e32 v[7:8], v[5:6]
	s_waitcnt_depctr 0xfff
	v_fma_f64 v[9:10], -v[5:6], v[7:8], 1.0
	v_fma_f64 v[7:8], v[7:8], v[9:10], v[7:8]
	s_delay_alu instid0(VALU_DEP_1) | instskip(NEXT) | instid1(VALU_DEP_1)
	v_fma_f64 v[9:10], -v[5:6], v[7:8], 1.0
	v_fma_f64 v[7:8], v[7:8], v[9:10], v[7:8]
	s_delay_alu instid0(VALU_DEP_1) | instskip(NEXT) | instid1(VALU_DEP_1)
	v_mul_f64 v[9:10], v[11:12], v[7:8]
	v_fma_f64 v[5:6], -v[5:6], v[9:10], v[11:12]
	s_delay_alu instid0(VALU_DEP_1) | instskip(NEXT) | instid1(VALU_DEP_1)
	v_div_fmas_f64 v[5:6], v[5:6], v[7:8], v[9:10]
	v_div_fixup_f64 v[5:6], v[5:6], v[2:3], v[0:1]
	s_delay_alu instid0(VALU_DEP_1) | instskip(NEXT) | instid1(VALU_DEP_1)
	v_fma_f64 v[0:1], v[0:1], v[5:6], v[2:3]
	v_div_scale_f64 v[2:3], null, v[0:1], v[0:1], 1.0
	s_delay_alu instid0(VALU_DEP_1) | instskip(SKIP_2) | instid1(VALU_DEP_1)
	v_rcp_f64_e32 v[7:8], v[2:3]
	s_waitcnt_depctr 0xfff
	v_fma_f64 v[9:10], -v[2:3], v[7:8], 1.0
	v_fma_f64 v[7:8], v[7:8], v[9:10], v[7:8]
	s_delay_alu instid0(VALU_DEP_1) | instskip(NEXT) | instid1(VALU_DEP_1)
	v_fma_f64 v[9:10], -v[2:3], v[7:8], 1.0
	v_fma_f64 v[7:8], v[7:8], v[9:10], v[7:8]
	v_div_scale_f64 v[9:10], vcc_lo, 1.0, v[0:1], 1.0
	s_delay_alu instid0(VALU_DEP_1) | instskip(NEXT) | instid1(VALU_DEP_1)
	v_mul_f64 v[11:12], v[9:10], v[7:8]
	v_fma_f64 v[2:3], -v[2:3], v[11:12], v[9:10]
	s_delay_alu instid0(VALU_DEP_1) | instskip(NEXT) | instid1(VALU_DEP_1)
	v_div_fmas_f64 v[2:3], v[2:3], v[7:8], v[11:12]
	v_div_fixup_f64 v[2:3], v[2:3], v[0:1], 1.0
	s_delay_alu instid0(VALU_DEP_1)
	v_mul_f64 v[0:1], v[5:6], v[2:3]
	v_xor_b32_e32 v3, 0x80000000, v3
.LBB124_1106:
	s_and_not1_saveexec_b32 s2, s2
	s_cbranch_execz .LBB124_1108
; %bb.1107:
	s_delay_alu instid0(VALU_DEP_1) | instskip(SKIP_1) | instid1(VALU_DEP_2)
	v_div_scale_f64 v[5:6], null, v[0:1], v[0:1], v[2:3]
	v_div_scale_f64 v[11:12], vcc_lo, v[2:3], v[0:1], v[2:3]
	v_rcp_f64_e32 v[7:8], v[5:6]
	s_waitcnt_depctr 0xfff
	v_fma_f64 v[9:10], -v[5:6], v[7:8], 1.0
	s_delay_alu instid0(VALU_DEP_1) | instskip(NEXT) | instid1(VALU_DEP_1)
	v_fma_f64 v[7:8], v[7:8], v[9:10], v[7:8]
	v_fma_f64 v[9:10], -v[5:6], v[7:8], 1.0
	s_delay_alu instid0(VALU_DEP_1) | instskip(NEXT) | instid1(VALU_DEP_1)
	v_fma_f64 v[7:8], v[7:8], v[9:10], v[7:8]
	v_mul_f64 v[9:10], v[11:12], v[7:8]
	s_delay_alu instid0(VALU_DEP_1) | instskip(NEXT) | instid1(VALU_DEP_1)
	v_fma_f64 v[5:6], -v[5:6], v[9:10], v[11:12]
	v_div_fmas_f64 v[5:6], v[5:6], v[7:8], v[9:10]
	s_delay_alu instid0(VALU_DEP_1) | instskip(NEXT) | instid1(VALU_DEP_1)
	v_div_fixup_f64 v[5:6], v[5:6], v[0:1], v[2:3]
	v_fma_f64 v[0:1], v[2:3], v[5:6], v[0:1]
	s_delay_alu instid0(VALU_DEP_1) | instskip(NEXT) | instid1(VALU_DEP_1)
	v_div_scale_f64 v[2:3], null, v[0:1], v[0:1], 1.0
	v_rcp_f64_e32 v[7:8], v[2:3]
	s_waitcnt_depctr 0xfff
	v_fma_f64 v[9:10], -v[2:3], v[7:8], 1.0
	s_delay_alu instid0(VALU_DEP_1) | instskip(NEXT) | instid1(VALU_DEP_1)
	v_fma_f64 v[7:8], v[7:8], v[9:10], v[7:8]
	v_fma_f64 v[9:10], -v[2:3], v[7:8], 1.0
	s_delay_alu instid0(VALU_DEP_1) | instskip(SKIP_1) | instid1(VALU_DEP_1)
	v_fma_f64 v[7:8], v[7:8], v[9:10], v[7:8]
	v_div_scale_f64 v[9:10], vcc_lo, 1.0, v[0:1], 1.0
	v_mul_f64 v[11:12], v[9:10], v[7:8]
	s_delay_alu instid0(VALU_DEP_1) | instskip(NEXT) | instid1(VALU_DEP_1)
	v_fma_f64 v[2:3], -v[2:3], v[11:12], v[9:10]
	v_div_fmas_f64 v[2:3], v[2:3], v[7:8], v[11:12]
	s_delay_alu instid0(VALU_DEP_1) | instskip(NEXT) | instid1(VALU_DEP_1)
	v_div_fixup_f64 v[0:1], v[2:3], v[0:1], 1.0
	v_mul_f64 v[2:3], v[5:6], -v[0:1]
.LBB124_1108:
	s_or_b32 exec_lo, exec_lo, s2
.LBB124_1109:
	s_delay_alu instid0(SALU_CYCLE_1) | instskip(NEXT) | instid1(SALU_CYCLE_1)
	s_or_b32 exec_lo, exec_lo, s3
	s_mov_b32 s2, exec_lo
	v_cmpx_ne_u32_e64 v40, v4
	s_xor_b32 s2, exec_lo, s2
	s_cbranch_execz .LBB124_1115
; %bb.1110:
	s_mov_b32 s3, exec_lo
	v_cmpx_eq_u32_e32 46, v40
	s_cbranch_execz .LBB124_1114
; %bb.1111:
	v_cmp_ne_u32_e32 vcc_lo, 46, v4
	s_xor_b32 s6, s4, -1
	s_delay_alu instid0(SALU_CYCLE_1) | instskip(NEXT) | instid1(SALU_CYCLE_1)
	s_and_b32 s7, s6, vcc_lo
	s_and_saveexec_b32 s6, s7
	s_cbranch_execz .LBB124_1113
; %bb.1112:
	v_ashrrev_i32_e32 v5, 31, v4
	s_delay_alu instid0(VALU_DEP_1) | instskip(NEXT) | instid1(VALU_DEP_1)
	v_lshlrev_b64 v[5:6], 2, v[4:5]
	v_add_co_u32 v5, vcc_lo, v145, v5
	s_delay_alu instid0(VALU_DEP_2)
	v_add_co_ci_u32_e32 v6, vcc_lo, v146, v6, vcc_lo
	s_clause 0x1
	flat_load_b32 v7, v[5:6]
	flat_load_b32 v8, v[145:146] offset:184
	s_waitcnt vmcnt(1) lgkmcnt(1)
	flat_store_b32 v[145:146], v7 offset:184
	s_waitcnt vmcnt(0) lgkmcnt(1)
	flat_store_b32 v[5:6], v8
.LBB124_1113:
	s_or_b32 exec_lo, exec_lo, s6
	v_mov_b32_e32 v40, v4
	v_mov_b32_e32 v39, v4
.LBB124_1114:
	s_or_b32 exec_lo, exec_lo, s3
.LBB124_1115:
	s_and_not1_saveexec_b32 s2, s2
	s_cbranch_execz .LBB124_1117
; %bb.1116:
	s_clause 0xf
	scratch_load_b128 v[4:7], v165, off
	scratch_load_b128 v[8:11], v164, off
	;; [unrolled: 1-line block ×16, first 2 shown]
	v_mov_b32_e32 v40, 46
	s_waitcnt vmcnt(15)
	ds_store_2addr_b64 v20, v[4:5], v[6:7] offset0:94 offset1:95
	s_waitcnt vmcnt(14)
	ds_store_2addr_b64 v20, v[8:9], v[10:11] offset0:96 offset1:97
	;; [unrolled: 2-line block ×16, first 2 shown]
.LBB124_1117:
	s_or_b32 exec_lo, exec_lo, s2
	s_delay_alu instid0(SALU_CYCLE_1)
	s_mov_b32 s2, exec_lo
	s_waitcnt lgkmcnt(0)
	s_waitcnt_vscnt null, 0x0
	s_barrier
	buffer_gl0_inv
	v_cmpx_lt_i32_e32 46, v40
	s_cbranch_execz .LBB124_1119
; %bb.1118:
	s_clause 0x1
	scratch_load_b128 v[4:7], off, off offset:736
	scratch_load_b128 v[8:11], off, off offset:752
	s_waitcnt vmcnt(1)
	v_mul_f64 v[12:13], v[0:1], v[6:7]
	v_mul_f64 v[6:7], v[2:3], v[6:7]
	s_delay_alu instid0(VALU_DEP_2)
	v_fma_f64 v[2:3], v[2:3], v[4:5], v[12:13]
	ds_load_2addr_b64 v[12:15], v20 offset0:94 offset1:95
	ds_load_2addr_b64 v[16:19], v20 offset0:98 offset1:99
	;; [unrolled: 1-line block ×3, first 2 shown]
	v_fma_f64 v[0:1], v[0:1], v[4:5], -v[6:7]
	ds_load_2addr_b64 v[4:7], v20 offset0:100 offset1:101
	ds_load_2addr_b64 v[53:56], v20 offset0:102 offset1:103
	s_waitcnt lgkmcnt(4)
	v_mul_f64 v[45:46], v[14:15], v[2:3]
	v_mul_f64 v[49:50], v[12:13], v[2:3]
	s_waitcnt lgkmcnt(3)
	v_mul_f64 v[57:58], v[18:19], v[2:3]
	s_waitcnt lgkmcnt(1)
	v_mul_f64 v[61:62], v[6:7], v[2:3]
	v_mul_f64 v[59:60], v[16:17], v[2:3]
	;; [unrolled: 1-line block ×3, first 2 shown]
	s_waitcnt lgkmcnt(0)
	v_mul_f64 v[67:68], v[55:56], v[2:3]
	v_mul_f64 v[69:70], v[43:44], v[2:3]
	scratch_store_b128 off, v[0:3], off offset:736
	v_fma_f64 v[45:46], v[12:13], v[0:1], -v[45:46]
	v_fma_f64 v[49:50], v[14:15], v[0:1], v[49:50]
	ds_load_2addr_b64 v[12:15], v20 offset0:104 offset1:105
	v_fma_f64 v[57:58], v[16:17], v[0:1], -v[57:58]
	v_mul_f64 v[16:17], v[53:54], v[2:3]
	v_fma_f64 v[61:62], v[4:5], v[0:1], -v[61:62]
	v_fma_f64 v[59:60], v[18:19], v[0:1], v[59:60]
	v_fma_f64 v[65:66], v[6:7], v[0:1], v[65:66]
	v_fma_f64 v[67:68], v[53:54], v[0:1], -v[67:68]
	v_fma_f64 v[69:70], v[41:42], v[0:1], -v[69:70]
	s_waitcnt lgkmcnt(0)
	v_mul_f64 v[4:5], v[12:13], v[2:3]
	v_mul_f64 v[18:19], v[14:15], v[2:3]
	s_waitcnt vmcnt(0)
	v_add_f64 v[8:9], v[8:9], -v[45:46]
	v_add_f64 v[10:11], v[10:11], -v[49:50]
	s_clause 0x1
	scratch_load_b64 v[49:50], off, off offset:744
	scratch_load_b64 v[45:46], off, off offset:736
	v_fma_f64 v[73:74], v[55:56], v[0:1], v[16:17]
	v_mul_f64 v[16:17], v[41:42], v[2:3]
	scratch_load_b128 v[53:56], off, off offset:768
	v_fma_f64 v[77:78], v[14:15], v[0:1], v[4:5]
	scratch_load_b128 v[4:7], off, off offset:784
	v_fma_f64 v[75:76], v[12:13], v[0:1], -v[18:19]
	scratch_load_b128 v[12:15], off, off offset:800
	v_fma_f64 v[81:82], v[43:44], v[0:1], v[16:17]
	s_clause 0x2
	scratch_load_b128 v[16:19], off, off offset:816
	scratch_load_b128 v[41:44], off, off offset:832
	;; [unrolled: 1-line block ×3, first 2 shown]
	s_waitcnt vmcnt(5)
	v_add_f64 v[53:54], v[53:54], -v[69:70]
	v_add_f64 v[55:56], v[55:56], -v[81:82]
	s_waitcnt vmcnt(4)
	v_add_f64 v[4:5], v[4:5], -v[57:58]
	v_add_f64 v[6:7], v[6:7], -v[59:60]
	ds_load_2addr_b64 v[57:60], v20 offset0:106 offset1:107
	s_waitcnt vmcnt(3)
	v_add_f64 v[12:13], v[12:13], -v[61:62]
	v_add_f64 v[14:15], v[14:15], -v[65:66]
	s_waitcnt vmcnt(2)
	v_add_f64 v[16:17], v[16:17], -v[67:68]
	ds_load_2addr_b64 v[65:68], v20 offset0:108 offset1:109
	s_waitcnt vmcnt(0) lgkmcnt(1)
	v_mul_f64 v[61:62], v[59:60], v[2:3]
	v_add_f64 v[43:44], v[43:44], -v[77:78]
	v_add_f64 v[18:19], v[18:19], -v[73:74]
	;; [unrolled: 1-line block ×3, first 2 shown]
	s_delay_alu instid0(VALU_DEP_4) | instskip(SKIP_1) | instid1(VALU_DEP_1)
	v_fma_f64 v[61:62], v[57:58], v[45:46], -v[61:62]
	v_mul_f64 v[57:58], v[57:58], v[2:3]
	v_fma_f64 v[69:70], v[59:60], v[45:46], v[57:58]
	s_waitcnt lgkmcnt(0)
	v_mul_f64 v[57:58], v[67:68], v[2:3]
	s_delay_alu instid0(VALU_DEP_1) | instskip(SKIP_1) | instid1(VALU_DEP_1)
	v_fma_f64 v[77:78], v[65:66], v[45:46], -v[57:58]
	v_mul_f64 v[57:58], v[65:66], v[2:3]
	v_fma_f64 v[81:82], v[67:68], v[45:46], v[57:58]
	ds_load_2addr_b64 v[57:60], v20 offset0:110 offset1:111
	ds_load_2addr_b64 v[65:68], v20 offset0:112 offset1:113
	s_waitcnt lgkmcnt(1)
	v_mul_f64 v[73:74], v[59:60], v[2:3]
	s_delay_alu instid0(VALU_DEP_1) | instskip(SKIP_1) | instid1(VALU_DEP_1)
	v_fma_f64 v[83:84], v[57:58], v[45:46], -v[73:74]
	v_mul_f64 v[57:58], v[57:58], v[2:3]
	v_fma_f64 v[85:86], v[59:60], v[45:46], v[57:58]
	s_waitcnt lgkmcnt(0)
	v_mul_f64 v[57:58], v[67:68], v[2:3]
	s_delay_alu instid0(VALU_DEP_1) | instskip(SKIP_1) | instid1(VALU_DEP_1)
	v_fma_f64 v[87:88], v[65:66], v[45:46], -v[57:58]
	v_mul_f64 v[57:58], v[65:66], v[2:3]
	v_fma_f64 v[89:90], v[67:68], v[45:46], v[57:58]
	ds_load_2addr_b64 v[57:60], v20 offset0:114 offset1:115
	ds_load_2addr_b64 v[65:68], v20 offset0:116 offset1:117
	s_waitcnt lgkmcnt(1)
	v_mul_f64 v[73:74], v[59:60], v[2:3]
	s_delay_alu instid0(VALU_DEP_1) | instskip(SKIP_1) | instid1(VALU_DEP_1)
	v_fma_f64 v[91:92], v[57:58], v[45:46], -v[73:74]
	v_mul_f64 v[57:58], v[57:58], v[2:3]
	v_fma_f64 v[93:94], v[59:60], v[45:46], v[57:58]
	ds_load_2addr_b64 v[57:60], v20 offset0:118 offset1:119
	ds_load_2addr_b64 v[73:76], v20 offset0:120 offset1:121
	s_waitcnt lgkmcnt(1)
	v_mul_f64 v[95:96], v[59:60], v[49:50]
	s_delay_alu instid0(VALU_DEP_1) | instskip(SKIP_1) | instid1(VALU_DEP_1)
	v_fma_f64 v[97:98], v[57:58], v[0:1], -v[95:96]
	v_mul_f64 v[57:58], v[57:58], v[49:50]
	v_fma_f64 v[99:100], v[59:60], v[0:1], v[57:58]
	s_waitcnt lgkmcnt(0)
	v_mul_f64 v[57:58], v[75:76], v[49:50]
	s_delay_alu instid0(VALU_DEP_1) | instskip(SKIP_1) | instid1(VALU_DEP_1)
	v_fma_f64 v[101:102], v[73:74], v[0:1], -v[57:58]
	v_mul_f64 v[57:58], v[73:74], v[49:50]
	v_fma_f64 v[103:104], v[75:76], v[0:1], v[57:58]
	ds_load_2addr_b64 v[57:60], v20 offset0:122 offset1:123
	ds_load_2addr_b64 v[73:76], v20 offset0:124 offset1:125
	s_waitcnt lgkmcnt(1)
	v_mul_f64 v[95:96], v[59:60], v[49:50]
	s_delay_alu instid0(VALU_DEP_1) | instskip(SKIP_1) | instid1(VALU_DEP_1)
	v_fma_f64 v[113:114], v[57:58], v[0:1], -v[95:96]
	v_mul_f64 v[57:58], v[57:58], v[49:50]
	v_fma_f64 v[117:118], v[59:60], v[0:1], v[57:58]
	s_waitcnt lgkmcnt(0)
	v_mul_f64 v[57:58], v[75:76], v[49:50]
	v_mul_f64 v[49:50], v[73:74], v[49:50]
	s_delay_alu instid0(VALU_DEP_2) | instskip(NEXT) | instid1(VALU_DEP_2)
	v_fma_f64 v[121:122], v[73:74], v[0:1], -v[57:58]
	v_fma_f64 v[49:50], v[75:76], v[0:1], v[49:50]
	v_mul_f64 v[0:1], v[67:68], v[2:3]
	v_mul_f64 v[2:3], v[65:66], v[2:3]
	s_delay_alu instid0(VALU_DEP_2) | instskip(NEXT) | instid1(VALU_DEP_2)
	v_fma_f64 v[95:96], v[65:66], v[45:46], -v[0:1]
	v_fma_f64 v[45:46], v[67:68], v[45:46], v[2:3]
	s_clause 0x3
	scratch_load_b128 v[0:3], off, off offset:848
	scratch_load_b128 v[57:60], off, off offset:864
	scratch_load_b128 v[65:68], off, off offset:880
	scratch_load_b128 v[73:76], off, off offset:896
	s_waitcnt vmcnt(3)
	v_add_f64 v[0:1], v[0:1], -v[61:62]
	s_waitcnt vmcnt(2)
	v_add_f64 v[59:60], v[59:60], -v[81:82]
	;; [unrolled: 2-line block ×3, first 2 shown]
	v_add_f64 v[67:68], v[67:68], -v[85:86]
	s_waitcnt vmcnt(0)
	v_add_f64 v[73:74], v[73:74], -v[87:88]
	s_clause 0x1
	scratch_load_b128 v[81:84], off, off offset:912
	scratch_load_b128 v[85:88], off, off offset:928
	v_add_f64 v[75:76], v[75:76], -v[89:90]
	v_add_f64 v[2:3], v[2:3], -v[69:70]
	;; [unrolled: 1-line block ×3, first 2 shown]
	s_waitcnt vmcnt(1)
	v_add_f64 v[81:82], v[81:82], -v[91:92]
	v_add_f64 v[83:84], v[83:84], -v[93:94]
	s_waitcnt vmcnt(0)
	v_add_f64 v[85:86], v[85:86], -v[95:96]
	s_clause 0x1
	scratch_load_b128 v[89:92], off, off offset:944
	scratch_load_b128 v[93:96], off, off offset:960
	v_add_f64 v[87:88], v[87:88], -v[45:46]
	s_waitcnt vmcnt(1)
	v_add_f64 v[89:90], v[89:90], -v[97:98]
	v_add_f64 v[91:92], v[91:92], -v[99:100]
	s_waitcnt vmcnt(0)
	v_add_f64 v[93:94], v[93:94], -v[101:102]
	v_add_f64 v[95:96], v[95:96], -v[103:104]
	s_clause 0x1
	scratch_load_b128 v[97:100], off, off offset:976
	scratch_load_b128 v[101:104], off, off offset:992
	s_waitcnt vmcnt(1)
	v_add_f64 v[97:98], v[97:98], -v[113:114]
	v_add_f64 v[99:100], v[99:100], -v[117:118]
	s_waitcnt vmcnt(0)
	v_add_f64 v[101:102], v[101:102], -v[121:122]
	v_add_f64 v[103:104], v[103:104], -v[49:50]
	s_clause 0xf
	scratch_store_b128 off, v[8:11], off offset:752
	scratch_store_b128 off, v[12:15], off offset:800
	;; [unrolled: 1-line block ×16, first 2 shown]
.LBB124_1119:
	s_or_b32 exec_lo, exec_lo, s2
	s_waitcnt_vscnt null, 0x0
	s_barrier
	buffer_gl0_inv
	scratch_load_b128 v[0:3], v165, off
	v_lshl_add_u32 v4, v40, 4, v20
	s_cmp_lt_i32 s5, 49
	s_waitcnt vmcnt(0)
	ds_store_2addr_b64 v4, v[0:1], v[2:3] offset1:1
	s_waitcnt lgkmcnt(0)
	s_barrier
	buffer_gl0_inv
	ds_load_2addr_b64 v[0:3], v20 offset0:94 offset1:95
	v_mov_b32_e32 v4, 47
	s_cbranch_scc1 .LBB124_1122
; %bb.1120:
	v_add3_u32 v5, v38, 0, 0x300
	v_mov_b32_e32 v4, 47
	s_mov_b32 s6, 48
	s_set_inst_prefetch_distance 0x1
	.p2align	6
.LBB124_1121:                           ; =>This Inner Loop Header: Depth=1
	ds_load_2addr_b64 v[6:9], v5 offset1:1
	s_waitcnt lgkmcnt(1)
	v_cmp_gt_f64_e32 vcc_lo, 0, v[0:1]
	v_xor_b32_e32 v10, 0x80000000, v1
	v_cmp_gt_f64_e64 s2, 0, v[2:3]
	v_xor_b32_e32 v12, 0x80000000, v3
	v_add_nc_u32_e32 v5, 16, v5
	s_waitcnt lgkmcnt(0)
	v_cmp_gt_f64_e64 s3, 0, v[6:7]
	v_mov_b32_e32 v14, v6
	v_dual_mov_b32 v16, v8 :: v_dual_cndmask_b32 v11, v1, v10
	v_xor_b32_e32 v10, 0x80000000, v7
	v_cndmask_b32_e64 v13, v3, v12, s2
	v_xor_b32_e32 v12, 0x80000000, v9
	s_delay_alu instid0(VALU_DEP_3) | instskip(SKIP_2) | instid1(VALU_DEP_2)
	v_cndmask_b32_e64 v15, v7, v10, s3
	v_cmp_gt_f64_e64 s3, 0, v[8:9]
	v_cndmask_b32_e32 v10, v0, v0, vcc_lo
	v_cndmask_b32_e64 v17, v9, v12, s3
	v_cndmask_b32_e64 v12, v2, v2, s2
	s_delay_alu instid0(VALU_DEP_2) | instskip(NEXT) | instid1(VALU_DEP_2)
	v_add_f64 v[14:15], v[14:15], v[16:17]
	v_add_f64 v[10:11], v[10:11], v[12:13]
	s_delay_alu instid0(VALU_DEP_1)
	v_cmp_lt_f64_e32 vcc_lo, v[10:11], v[14:15]
	v_cndmask_b32_e32 v3, v3, v9, vcc_lo
	v_dual_cndmask_b32 v1, v1, v7 :: v_dual_cndmask_b32 v0, v0, v6
	v_cndmask_b32_e32 v2, v2, v8, vcc_lo
	v_cndmask_b32_e64 v4, v4, s6, vcc_lo
	s_add_i32 s6, s6, 1
	s_delay_alu instid0(SALU_CYCLE_1)
	s_cmp_lg_u32 s5, s6
	s_cbranch_scc1 .LBB124_1121
.LBB124_1122:
	s_set_inst_prefetch_distance 0x2
	s_waitcnt lgkmcnt(0)
	v_cmp_eq_f64_e32 vcc_lo, 0, v[0:1]
	v_cmp_eq_f64_e64 s2, 0, v[2:3]
	s_delay_alu instid0(VALU_DEP_1) | instskip(NEXT) | instid1(SALU_CYCLE_1)
	s_and_b32 s2, vcc_lo, s2
	s_and_saveexec_b32 s3, s2
	s_delay_alu instid0(SALU_CYCLE_1)
	s_xor_b32 s2, exec_lo, s3
; %bb.1123:
	v_cmp_ne_u32_e32 vcc_lo, 0, v37
	v_cndmask_b32_e32 v37, 48, v37, vcc_lo
; %bb.1124:
	s_and_not1_saveexec_b32 s3, s2
	s_cbranch_execz .LBB124_1130
; %bb.1125:
	v_cmp_gt_f64_e32 vcc_lo, 0, v[0:1]
	v_cmp_gt_f64_e64 s2, 0, v[2:3]
	v_xor_b32_e32 v5, 0x80000000, v1
	v_xor_b32_e32 v7, 0x80000000, v3
	s_delay_alu instid0(VALU_DEP_2) | instskip(NEXT) | instid1(VALU_DEP_2)
	v_dual_cndmask_b32 v6, v1, v5 :: v_dual_cndmask_b32 v5, v0, v0
	v_cndmask_b32_e64 v8, v3, v7, s2
	v_cndmask_b32_e64 v7, v2, v2, s2
	s_mov_b32 s2, exec_lo
	s_delay_alu instid0(VALU_DEP_1)
	v_cmpx_ngt_f64_e32 v[5:6], v[7:8]
	s_xor_b32 s2, exec_lo, s2
	s_cbranch_execz .LBB124_1127
; %bb.1126:
	v_div_scale_f64 v[5:6], null, v[2:3], v[2:3], v[0:1]
	v_div_scale_f64 v[11:12], vcc_lo, v[0:1], v[2:3], v[0:1]
	s_delay_alu instid0(VALU_DEP_2) | instskip(SKIP_2) | instid1(VALU_DEP_1)
	v_rcp_f64_e32 v[7:8], v[5:6]
	s_waitcnt_depctr 0xfff
	v_fma_f64 v[9:10], -v[5:6], v[7:8], 1.0
	v_fma_f64 v[7:8], v[7:8], v[9:10], v[7:8]
	s_delay_alu instid0(VALU_DEP_1) | instskip(NEXT) | instid1(VALU_DEP_1)
	v_fma_f64 v[9:10], -v[5:6], v[7:8], 1.0
	v_fma_f64 v[7:8], v[7:8], v[9:10], v[7:8]
	s_delay_alu instid0(VALU_DEP_1) | instskip(NEXT) | instid1(VALU_DEP_1)
	v_mul_f64 v[9:10], v[11:12], v[7:8]
	v_fma_f64 v[5:6], -v[5:6], v[9:10], v[11:12]
	s_delay_alu instid0(VALU_DEP_1) | instskip(NEXT) | instid1(VALU_DEP_1)
	v_div_fmas_f64 v[5:6], v[5:6], v[7:8], v[9:10]
	v_div_fixup_f64 v[5:6], v[5:6], v[2:3], v[0:1]
	s_delay_alu instid0(VALU_DEP_1) | instskip(NEXT) | instid1(VALU_DEP_1)
	v_fma_f64 v[0:1], v[0:1], v[5:6], v[2:3]
	v_div_scale_f64 v[2:3], null, v[0:1], v[0:1], 1.0
	s_delay_alu instid0(VALU_DEP_1) | instskip(SKIP_2) | instid1(VALU_DEP_1)
	v_rcp_f64_e32 v[7:8], v[2:3]
	s_waitcnt_depctr 0xfff
	v_fma_f64 v[9:10], -v[2:3], v[7:8], 1.0
	v_fma_f64 v[7:8], v[7:8], v[9:10], v[7:8]
	s_delay_alu instid0(VALU_DEP_1) | instskip(NEXT) | instid1(VALU_DEP_1)
	v_fma_f64 v[9:10], -v[2:3], v[7:8], 1.0
	v_fma_f64 v[7:8], v[7:8], v[9:10], v[7:8]
	v_div_scale_f64 v[9:10], vcc_lo, 1.0, v[0:1], 1.0
	s_delay_alu instid0(VALU_DEP_1) | instskip(NEXT) | instid1(VALU_DEP_1)
	v_mul_f64 v[11:12], v[9:10], v[7:8]
	v_fma_f64 v[2:3], -v[2:3], v[11:12], v[9:10]
	s_delay_alu instid0(VALU_DEP_1) | instskip(NEXT) | instid1(VALU_DEP_1)
	v_div_fmas_f64 v[2:3], v[2:3], v[7:8], v[11:12]
	v_div_fixup_f64 v[2:3], v[2:3], v[0:1], 1.0
	s_delay_alu instid0(VALU_DEP_1)
	v_mul_f64 v[0:1], v[5:6], v[2:3]
	v_xor_b32_e32 v3, 0x80000000, v3
.LBB124_1127:
	s_and_not1_saveexec_b32 s2, s2
	s_cbranch_execz .LBB124_1129
; %bb.1128:
	s_delay_alu instid0(VALU_DEP_1) | instskip(SKIP_1) | instid1(VALU_DEP_2)
	v_div_scale_f64 v[5:6], null, v[0:1], v[0:1], v[2:3]
	v_div_scale_f64 v[11:12], vcc_lo, v[2:3], v[0:1], v[2:3]
	v_rcp_f64_e32 v[7:8], v[5:6]
	s_waitcnt_depctr 0xfff
	v_fma_f64 v[9:10], -v[5:6], v[7:8], 1.0
	s_delay_alu instid0(VALU_DEP_1) | instskip(NEXT) | instid1(VALU_DEP_1)
	v_fma_f64 v[7:8], v[7:8], v[9:10], v[7:8]
	v_fma_f64 v[9:10], -v[5:6], v[7:8], 1.0
	s_delay_alu instid0(VALU_DEP_1) | instskip(NEXT) | instid1(VALU_DEP_1)
	v_fma_f64 v[7:8], v[7:8], v[9:10], v[7:8]
	v_mul_f64 v[9:10], v[11:12], v[7:8]
	s_delay_alu instid0(VALU_DEP_1) | instskip(NEXT) | instid1(VALU_DEP_1)
	v_fma_f64 v[5:6], -v[5:6], v[9:10], v[11:12]
	v_div_fmas_f64 v[5:6], v[5:6], v[7:8], v[9:10]
	s_delay_alu instid0(VALU_DEP_1) | instskip(NEXT) | instid1(VALU_DEP_1)
	v_div_fixup_f64 v[5:6], v[5:6], v[0:1], v[2:3]
	v_fma_f64 v[0:1], v[2:3], v[5:6], v[0:1]
	s_delay_alu instid0(VALU_DEP_1) | instskip(NEXT) | instid1(VALU_DEP_1)
	v_div_scale_f64 v[2:3], null, v[0:1], v[0:1], 1.0
	v_rcp_f64_e32 v[7:8], v[2:3]
	s_waitcnt_depctr 0xfff
	v_fma_f64 v[9:10], -v[2:3], v[7:8], 1.0
	s_delay_alu instid0(VALU_DEP_1) | instskip(NEXT) | instid1(VALU_DEP_1)
	v_fma_f64 v[7:8], v[7:8], v[9:10], v[7:8]
	v_fma_f64 v[9:10], -v[2:3], v[7:8], 1.0
	s_delay_alu instid0(VALU_DEP_1) | instskip(SKIP_1) | instid1(VALU_DEP_1)
	v_fma_f64 v[7:8], v[7:8], v[9:10], v[7:8]
	v_div_scale_f64 v[9:10], vcc_lo, 1.0, v[0:1], 1.0
	v_mul_f64 v[11:12], v[9:10], v[7:8]
	s_delay_alu instid0(VALU_DEP_1) | instskip(NEXT) | instid1(VALU_DEP_1)
	v_fma_f64 v[2:3], -v[2:3], v[11:12], v[9:10]
	v_div_fmas_f64 v[2:3], v[2:3], v[7:8], v[11:12]
	s_delay_alu instid0(VALU_DEP_1) | instskip(NEXT) | instid1(VALU_DEP_1)
	v_div_fixup_f64 v[0:1], v[2:3], v[0:1], 1.0
	v_mul_f64 v[2:3], v[5:6], -v[0:1]
.LBB124_1129:
	s_or_b32 exec_lo, exec_lo, s2
.LBB124_1130:
	s_delay_alu instid0(SALU_CYCLE_1) | instskip(NEXT) | instid1(SALU_CYCLE_1)
	s_or_b32 exec_lo, exec_lo, s3
	s_mov_b32 s2, exec_lo
	v_cmpx_ne_u32_e64 v40, v4
	s_xor_b32 s2, exec_lo, s2
	s_cbranch_execz .LBB124_1136
; %bb.1131:
	s_mov_b32 s3, exec_lo
	v_cmpx_eq_u32_e32 47, v40
	s_cbranch_execz .LBB124_1135
; %bb.1132:
	v_cmp_ne_u32_e32 vcc_lo, 47, v4
	s_xor_b32 s6, s4, -1
	s_delay_alu instid0(SALU_CYCLE_1) | instskip(NEXT) | instid1(SALU_CYCLE_1)
	s_and_b32 s7, s6, vcc_lo
	s_and_saveexec_b32 s6, s7
	s_cbranch_execz .LBB124_1134
; %bb.1133:
	v_ashrrev_i32_e32 v5, 31, v4
	s_delay_alu instid0(VALU_DEP_1) | instskip(NEXT) | instid1(VALU_DEP_1)
	v_lshlrev_b64 v[5:6], 2, v[4:5]
	v_add_co_u32 v5, vcc_lo, v145, v5
	s_delay_alu instid0(VALU_DEP_2)
	v_add_co_ci_u32_e32 v6, vcc_lo, v146, v6, vcc_lo
	s_clause 0x1
	flat_load_b32 v7, v[5:6]
	flat_load_b32 v8, v[145:146] offset:188
	s_waitcnt vmcnt(1) lgkmcnt(1)
	flat_store_b32 v[145:146], v7 offset:188
	s_waitcnt vmcnt(0) lgkmcnt(1)
	flat_store_b32 v[5:6], v8
.LBB124_1134:
	s_or_b32 exec_lo, exec_lo, s6
	v_mov_b32_e32 v40, v4
	v_mov_b32_e32 v39, v4
.LBB124_1135:
	s_or_b32 exec_lo, exec_lo, s3
.LBB124_1136:
	s_and_not1_saveexec_b32 s2, s2
	s_cbranch_execz .LBB124_1138
; %bb.1137:
	s_clause 0xe
	scratch_load_b128 v[4:7], v164, off
	scratch_load_b128 v[8:11], v163, off
	;; [unrolled: 1-line block ×15, first 2 shown]
	v_mov_b32_e32 v40, 47
	s_waitcnt vmcnt(14)
	ds_store_2addr_b64 v20, v[4:5], v[6:7] offset0:96 offset1:97
	s_waitcnt vmcnt(13)
	ds_store_2addr_b64 v20, v[8:9], v[10:11] offset0:98 offset1:99
	;; [unrolled: 2-line block ×15, first 2 shown]
.LBB124_1138:
	s_or_b32 exec_lo, exec_lo, s2
	s_delay_alu instid0(SALU_CYCLE_1)
	s_mov_b32 s2, exec_lo
	s_waitcnt lgkmcnt(0)
	s_waitcnt_vscnt null, 0x0
	s_barrier
	buffer_gl0_inv
	v_cmpx_lt_i32_e32 47, v40
	s_cbranch_execz .LBB124_1140
; %bb.1139:
	s_clause 0x1
	scratch_load_b128 v[4:7], off, off offset:752
	scratch_load_b128 v[8:11], off, off offset:768
	s_waitcnt vmcnt(1)
	v_mul_f64 v[12:13], v[0:1], v[6:7]
	v_mul_f64 v[6:7], v[2:3], v[6:7]
	s_delay_alu instid0(VALU_DEP_2)
	v_fma_f64 v[2:3], v[2:3], v[4:5], v[12:13]
	ds_load_2addr_b64 v[12:15], v20 offset0:96 offset1:97
	ds_load_2addr_b64 v[16:19], v20 offset0:100 offset1:101
	;; [unrolled: 1-line block ×3, first 2 shown]
	v_fma_f64 v[0:1], v[0:1], v[4:5], -v[6:7]
	ds_load_2addr_b64 v[4:7], v20 offset0:102 offset1:103
	ds_load_2addr_b64 v[53:56], v20 offset0:104 offset1:105
	;; [unrolled: 1-line block ×3, first 2 shown]
	s_waitcnt lgkmcnt(5)
	v_mul_f64 v[45:46], v[14:15], v[2:3]
	v_mul_f64 v[49:50], v[12:13], v[2:3]
	s_waitcnt lgkmcnt(4)
	v_mul_f64 v[61:62], v[18:19], v[2:3]
	v_mul_f64 v[65:66], v[16:17], v[2:3]
	s_waitcnt lgkmcnt(2)
	v_mul_f64 v[67:68], v[6:7], v[2:3]
	scratch_store_b128 off, v[0:3], off offset:752
	v_fma_f64 v[45:46], v[12:13], v[0:1], -v[45:46]
	v_fma_f64 v[49:50], v[14:15], v[0:1], v[49:50]
	v_mul_f64 v[12:13], v[4:5], v[2:3]
	s_waitcnt lgkmcnt(1)
	v_mul_f64 v[14:15], v[55:56], v[2:3]
	v_fma_f64 v[61:62], v[16:17], v[0:1], -v[61:62]
	v_fma_f64 v[65:66], v[18:19], v[0:1], v[65:66]
	v_mul_f64 v[16:17], v[53:54], v[2:3]
	s_waitcnt lgkmcnt(0)
	v_mul_f64 v[18:19], v[59:60], v[2:3]
	v_fma_f64 v[67:68], v[4:5], v[0:1], -v[67:68]
	v_mul_f64 v[4:5], v[57:58], v[2:3]
	s_waitcnt vmcnt(0)
	v_add_f64 v[8:9], v[8:9], -v[45:46]
	scratch_load_b64 v[45:46], off, off offset:752
	v_fma_f64 v[69:70], v[6:7], v[0:1], v[12:13]
	v_mul_f64 v[12:13], v[43:44], v[2:3]
	v_fma_f64 v[73:74], v[53:54], v[0:1], -v[14:15]
	v_mul_f64 v[14:15], v[41:42], v[2:3]
	v_fma_f64 v[75:76], v[55:56], v[0:1], v[16:17]
	v_fma_f64 v[57:58], v[57:58], v[0:1], -v[18:19]
	scratch_load_b128 v[53:56], off, off offset:752
	v_fma_f64 v[59:60], v[59:60], v[0:1], v[4:5]
	scratch_load_b128 v[4:7], off, off offset:800
	v_add_f64 v[10:11], v[10:11], -v[49:50]
	scratch_load_b128 v[16:19], off, off offset:832
	v_fma_f64 v[77:78], v[41:42], v[0:1], -v[12:13]
	v_fma_f64 v[81:82], v[43:44], v[0:1], v[14:15]
	s_clause 0x2
	scratch_load_b128 v[41:44], off, off offset:784
	scratch_load_b128 v[0:3], off, off offset:848
	;; [unrolled: 1-line block ×3, first 2 shown]
	s_waitcnt vmcnt(4)
	v_add_f64 v[4:5], v[4:5], -v[61:62]
	v_add_f64 v[6:7], v[6:7], -v[65:66]
	s_waitcnt vmcnt(3)
	v_add_f64 v[16:17], v[16:17], -v[73:74]
	v_add_f64 v[18:19], v[18:19], -v[75:76]
	s_waitcnt vmcnt(2)
	v_add_f64 v[41:42], v[41:42], -v[77:78]
	s_waitcnt vmcnt(1)
	v_add_f64 v[0:1], v[0:1], -v[57:58]
	v_add_f64 v[2:3], v[2:3], -v[59:60]
	ds_load_2addr_b64 v[57:60], v20 offset0:108 offset1:109
	s_waitcnt vmcnt(0)
	v_add_f64 v[12:13], v[12:13], -v[67:68]
	ds_load_2addr_b64 v[65:68], v20 offset0:110 offset1:111
	v_add_f64 v[14:15], v[14:15], -v[69:70]
	v_add_f64 v[43:44], v[43:44], -v[81:82]
	s_waitcnt lgkmcnt(1)
	v_mul_f64 v[49:50], v[59:60], v[55:56]
	v_mul_f64 v[61:62], v[57:58], v[55:56]
	s_delay_alu instid0(VALU_DEP_2) | instskip(NEXT) | instid1(VALU_DEP_2)
	v_fma_f64 v[49:50], v[57:58], v[45:46], -v[49:50]
	v_fma_f64 v[61:62], v[59:60], v[45:46], v[61:62]
	s_waitcnt lgkmcnt(0)
	v_mul_f64 v[57:58], v[67:68], v[55:56]
	v_mul_f64 v[59:60], v[65:66], v[55:56]
	s_delay_alu instid0(VALU_DEP_2) | instskip(NEXT) | instid1(VALU_DEP_2)
	v_fma_f64 v[69:70], v[65:66], v[45:46], -v[57:58]
	v_fma_f64 v[77:78], v[67:68], v[45:46], v[59:60]
	ds_load_2addr_b64 v[57:60], v20 offset0:112 offset1:113
	ds_load_2addr_b64 v[65:68], v20 offset0:114 offset1:115
	s_waitcnt lgkmcnt(1)
	v_mul_f64 v[73:74], v[59:60], v[55:56]
	s_delay_alu instid0(VALU_DEP_1) | instskip(SKIP_1) | instid1(VALU_DEP_1)
	v_fma_f64 v[81:82], v[57:58], v[45:46], -v[73:74]
	v_mul_f64 v[57:58], v[57:58], v[55:56]
	v_fma_f64 v[83:84], v[59:60], v[45:46], v[57:58]
	s_waitcnt lgkmcnt(0)
	v_mul_f64 v[57:58], v[67:68], v[55:56]
	s_delay_alu instid0(VALU_DEP_1) | instskip(SKIP_1) | instid1(VALU_DEP_1)
	v_fma_f64 v[85:86], v[65:66], v[45:46], -v[57:58]
	v_mul_f64 v[57:58], v[65:66], v[55:56]
	v_fma_f64 v[87:88], v[67:68], v[45:46], v[57:58]
	ds_load_2addr_b64 v[57:60], v20 offset0:116 offset1:117
	ds_load_2addr_b64 v[65:68], v20 offset0:118 offset1:119
	scratch_load_b64 v[93:94], off, off offset:760
	s_waitcnt lgkmcnt(1)
	v_mul_f64 v[73:74], v[59:60], v[55:56]
	s_delay_alu instid0(VALU_DEP_1) | instskip(SKIP_1) | instid1(VALU_DEP_1)
	v_fma_f64 v[89:90], v[57:58], v[45:46], -v[73:74]
	v_mul_f64 v[57:58], v[57:58], v[55:56]
	v_fma_f64 v[91:92], v[59:60], v[45:46], v[57:58]
	ds_load_2addr_b64 v[57:60], v20 offset0:120 offset1:121
	ds_load_2addr_b64 v[73:76], v20 offset0:122 offset1:123
	s_waitcnt vmcnt(0) lgkmcnt(1)
	v_mul_f64 v[95:96], v[59:60], v[93:94]
	s_delay_alu instid0(VALU_DEP_1) | instskip(SKIP_1) | instid1(VALU_DEP_1)
	v_fma_f64 v[97:98], v[57:58], v[53:54], -v[95:96]
	v_mul_f64 v[57:58], v[57:58], v[93:94]
	v_fma_f64 v[99:100], v[59:60], v[53:54], v[57:58]
	s_waitcnt lgkmcnt(0)
	v_mul_f64 v[57:58], v[75:76], v[93:94]
	s_delay_alu instid0(VALU_DEP_1) | instskip(SKIP_1) | instid1(VALU_DEP_1)
	v_fma_f64 v[101:102], v[73:74], v[53:54], -v[57:58]
	v_mul_f64 v[57:58], v[73:74], v[93:94]
	v_fma_f64 v[103:104], v[75:76], v[53:54], v[57:58]
	ds_load_2addr_b64 v[57:60], v20 offset0:124 offset1:125
	s_waitcnt lgkmcnt(0)
	v_mul_f64 v[73:74], v[59:60], v[93:94]
	v_mul_f64 v[75:76], v[57:58], v[93:94]
	s_delay_alu instid0(VALU_DEP_2) | instskip(NEXT) | instid1(VALU_DEP_2)
	v_fma_f64 v[113:114], v[57:58], v[53:54], -v[73:74]
	v_fma_f64 v[117:118], v[59:60], v[53:54], v[75:76]
	v_mul_f64 v[53:54], v[67:68], v[55:56]
	v_mul_f64 v[55:56], v[65:66], v[55:56]
	s_delay_alu instid0(VALU_DEP_2) | instskip(NEXT) | instid1(VALU_DEP_2)
	v_fma_f64 v[93:94], v[65:66], v[45:46], -v[53:54]
	v_fma_f64 v[45:46], v[67:68], v[45:46], v[55:56]
	s_clause 0x3
	scratch_load_b128 v[53:56], off, off offset:864
	scratch_load_b128 v[57:60], off, off offset:880
	;; [unrolled: 1-line block ×4, first 2 shown]
	s_waitcnt vmcnt(3)
	v_add_f64 v[53:54], v[53:54], -v[49:50]
	s_waitcnt vmcnt(1)
	v_add_f64 v[65:66], v[65:66], -v[81:82]
	v_add_f64 v[67:68], v[67:68], -v[83:84]
	s_waitcnt vmcnt(0)
	v_add_f64 v[73:74], v[73:74], -v[85:86]
	v_add_f64 v[75:76], v[75:76], -v[87:88]
	s_clause 0x1
	scratch_load_b128 v[81:84], off, off offset:928
	scratch_load_b128 v[85:88], off, off offset:944
	v_add_f64 v[55:56], v[55:56], -v[61:62]
	v_add_f64 v[57:58], v[57:58], -v[69:70]
	;; [unrolled: 1-line block ×3, first 2 shown]
	s_waitcnt vmcnt(1)
	v_add_f64 v[81:82], v[81:82], -v[89:90]
	v_add_f64 v[83:84], v[83:84], -v[91:92]
	s_waitcnt vmcnt(0)
	v_add_f64 v[85:86], v[85:86], -v[93:94]
	s_clause 0x1
	scratch_load_b128 v[89:92], off, off offset:960
	scratch_load_b128 v[93:96], off, off offset:976
	v_add_f64 v[87:88], v[87:88], -v[45:46]
	s_waitcnt vmcnt(1)
	v_add_f64 v[89:90], v[89:90], -v[97:98]
	v_add_f64 v[91:92], v[91:92], -v[99:100]
	scratch_load_b128 v[97:100], off, off offset:992
	s_waitcnt vmcnt(1)
	v_add_f64 v[93:94], v[93:94], -v[101:102]
	v_add_f64 v[95:96], v[95:96], -v[103:104]
	s_waitcnt vmcnt(0)
	v_add_f64 v[97:98], v[97:98], -v[113:114]
	v_add_f64 v[99:100], v[99:100], -v[117:118]
	s_clause 0xe
	scratch_store_b128 off, v[8:11], off offset:768
	scratch_store_b128 off, v[12:15], off offset:816
	;; [unrolled: 1-line block ×15, first 2 shown]
.LBB124_1140:
	s_or_b32 exec_lo, exec_lo, s2
	s_waitcnt_vscnt null, 0x0
	s_barrier
	buffer_gl0_inv
	scratch_load_b128 v[0:3], v164, off
	v_lshl_add_u32 v4, v40, 4, v20
	s_cmp_lt_i32 s5, 50
	s_waitcnt vmcnt(0)
	ds_store_2addr_b64 v4, v[0:1], v[2:3] offset1:1
	s_waitcnt lgkmcnt(0)
	s_barrier
	buffer_gl0_inv
	ds_load_2addr_b64 v[0:3], v20 offset0:96 offset1:97
	v_mov_b32_e32 v4, 48
	s_cbranch_scc1 .LBB124_1143
; %bb.1141:
	v_add3_u32 v5, v38, 0, 0x310
	v_mov_b32_e32 v4, 48
	s_mov_b32 s6, 49
	s_set_inst_prefetch_distance 0x1
	.p2align	6
.LBB124_1142:                           ; =>This Inner Loop Header: Depth=1
	ds_load_2addr_b64 v[6:9], v5 offset1:1
	s_waitcnt lgkmcnt(1)
	v_cmp_gt_f64_e32 vcc_lo, 0, v[0:1]
	v_xor_b32_e32 v10, 0x80000000, v1
	v_cmp_gt_f64_e64 s2, 0, v[2:3]
	v_xor_b32_e32 v12, 0x80000000, v3
	v_add_nc_u32_e32 v5, 16, v5
	s_waitcnt lgkmcnt(0)
	v_cmp_gt_f64_e64 s3, 0, v[6:7]
	v_mov_b32_e32 v14, v6
	v_dual_mov_b32 v16, v8 :: v_dual_cndmask_b32 v11, v1, v10
	v_xor_b32_e32 v10, 0x80000000, v7
	v_cndmask_b32_e64 v13, v3, v12, s2
	v_xor_b32_e32 v12, 0x80000000, v9
	s_delay_alu instid0(VALU_DEP_3) | instskip(SKIP_2) | instid1(VALU_DEP_2)
	v_cndmask_b32_e64 v15, v7, v10, s3
	v_cmp_gt_f64_e64 s3, 0, v[8:9]
	v_cndmask_b32_e32 v10, v0, v0, vcc_lo
	v_cndmask_b32_e64 v17, v9, v12, s3
	v_cndmask_b32_e64 v12, v2, v2, s2
	s_delay_alu instid0(VALU_DEP_2) | instskip(NEXT) | instid1(VALU_DEP_2)
	v_add_f64 v[14:15], v[14:15], v[16:17]
	v_add_f64 v[10:11], v[10:11], v[12:13]
	s_delay_alu instid0(VALU_DEP_1)
	v_cmp_lt_f64_e32 vcc_lo, v[10:11], v[14:15]
	v_cndmask_b32_e32 v3, v3, v9, vcc_lo
	v_dual_cndmask_b32 v1, v1, v7 :: v_dual_cndmask_b32 v0, v0, v6
	v_cndmask_b32_e32 v2, v2, v8, vcc_lo
	v_cndmask_b32_e64 v4, v4, s6, vcc_lo
	s_add_i32 s6, s6, 1
	s_delay_alu instid0(SALU_CYCLE_1)
	s_cmp_lg_u32 s5, s6
	s_cbranch_scc1 .LBB124_1142
.LBB124_1143:
	s_set_inst_prefetch_distance 0x2
	s_waitcnt lgkmcnt(0)
	v_cmp_eq_f64_e32 vcc_lo, 0, v[0:1]
	v_cmp_eq_f64_e64 s2, 0, v[2:3]
	s_delay_alu instid0(VALU_DEP_1) | instskip(NEXT) | instid1(SALU_CYCLE_1)
	s_and_b32 s2, vcc_lo, s2
	s_and_saveexec_b32 s3, s2
	s_delay_alu instid0(SALU_CYCLE_1)
	s_xor_b32 s2, exec_lo, s3
; %bb.1144:
	v_cmp_ne_u32_e32 vcc_lo, 0, v37
	v_cndmask_b32_e32 v37, 49, v37, vcc_lo
; %bb.1145:
	s_and_not1_saveexec_b32 s3, s2
	s_cbranch_execz .LBB124_1151
; %bb.1146:
	v_cmp_gt_f64_e32 vcc_lo, 0, v[0:1]
	v_cmp_gt_f64_e64 s2, 0, v[2:3]
	v_xor_b32_e32 v5, 0x80000000, v1
	v_xor_b32_e32 v7, 0x80000000, v3
	s_delay_alu instid0(VALU_DEP_2) | instskip(NEXT) | instid1(VALU_DEP_2)
	v_dual_cndmask_b32 v6, v1, v5 :: v_dual_cndmask_b32 v5, v0, v0
	v_cndmask_b32_e64 v8, v3, v7, s2
	v_cndmask_b32_e64 v7, v2, v2, s2
	s_mov_b32 s2, exec_lo
	s_delay_alu instid0(VALU_DEP_1)
	v_cmpx_ngt_f64_e32 v[5:6], v[7:8]
	s_xor_b32 s2, exec_lo, s2
	s_cbranch_execz .LBB124_1148
; %bb.1147:
	v_div_scale_f64 v[5:6], null, v[2:3], v[2:3], v[0:1]
	v_div_scale_f64 v[11:12], vcc_lo, v[0:1], v[2:3], v[0:1]
	s_delay_alu instid0(VALU_DEP_2) | instskip(SKIP_2) | instid1(VALU_DEP_1)
	v_rcp_f64_e32 v[7:8], v[5:6]
	s_waitcnt_depctr 0xfff
	v_fma_f64 v[9:10], -v[5:6], v[7:8], 1.0
	v_fma_f64 v[7:8], v[7:8], v[9:10], v[7:8]
	s_delay_alu instid0(VALU_DEP_1) | instskip(NEXT) | instid1(VALU_DEP_1)
	v_fma_f64 v[9:10], -v[5:6], v[7:8], 1.0
	v_fma_f64 v[7:8], v[7:8], v[9:10], v[7:8]
	s_delay_alu instid0(VALU_DEP_1) | instskip(NEXT) | instid1(VALU_DEP_1)
	v_mul_f64 v[9:10], v[11:12], v[7:8]
	v_fma_f64 v[5:6], -v[5:6], v[9:10], v[11:12]
	s_delay_alu instid0(VALU_DEP_1) | instskip(NEXT) | instid1(VALU_DEP_1)
	v_div_fmas_f64 v[5:6], v[5:6], v[7:8], v[9:10]
	v_div_fixup_f64 v[5:6], v[5:6], v[2:3], v[0:1]
	s_delay_alu instid0(VALU_DEP_1) | instskip(NEXT) | instid1(VALU_DEP_1)
	v_fma_f64 v[0:1], v[0:1], v[5:6], v[2:3]
	v_div_scale_f64 v[2:3], null, v[0:1], v[0:1], 1.0
	s_delay_alu instid0(VALU_DEP_1) | instskip(SKIP_2) | instid1(VALU_DEP_1)
	v_rcp_f64_e32 v[7:8], v[2:3]
	s_waitcnt_depctr 0xfff
	v_fma_f64 v[9:10], -v[2:3], v[7:8], 1.0
	v_fma_f64 v[7:8], v[7:8], v[9:10], v[7:8]
	s_delay_alu instid0(VALU_DEP_1) | instskip(NEXT) | instid1(VALU_DEP_1)
	v_fma_f64 v[9:10], -v[2:3], v[7:8], 1.0
	v_fma_f64 v[7:8], v[7:8], v[9:10], v[7:8]
	v_div_scale_f64 v[9:10], vcc_lo, 1.0, v[0:1], 1.0
	s_delay_alu instid0(VALU_DEP_1) | instskip(NEXT) | instid1(VALU_DEP_1)
	v_mul_f64 v[11:12], v[9:10], v[7:8]
	v_fma_f64 v[2:3], -v[2:3], v[11:12], v[9:10]
	s_delay_alu instid0(VALU_DEP_1) | instskip(NEXT) | instid1(VALU_DEP_1)
	v_div_fmas_f64 v[2:3], v[2:3], v[7:8], v[11:12]
	v_div_fixup_f64 v[2:3], v[2:3], v[0:1], 1.0
	s_delay_alu instid0(VALU_DEP_1)
	v_mul_f64 v[0:1], v[5:6], v[2:3]
	v_xor_b32_e32 v3, 0x80000000, v3
.LBB124_1148:
	s_and_not1_saveexec_b32 s2, s2
	s_cbranch_execz .LBB124_1150
; %bb.1149:
	s_delay_alu instid0(VALU_DEP_1) | instskip(SKIP_1) | instid1(VALU_DEP_2)
	v_div_scale_f64 v[5:6], null, v[0:1], v[0:1], v[2:3]
	v_div_scale_f64 v[11:12], vcc_lo, v[2:3], v[0:1], v[2:3]
	v_rcp_f64_e32 v[7:8], v[5:6]
	s_waitcnt_depctr 0xfff
	v_fma_f64 v[9:10], -v[5:6], v[7:8], 1.0
	s_delay_alu instid0(VALU_DEP_1) | instskip(NEXT) | instid1(VALU_DEP_1)
	v_fma_f64 v[7:8], v[7:8], v[9:10], v[7:8]
	v_fma_f64 v[9:10], -v[5:6], v[7:8], 1.0
	s_delay_alu instid0(VALU_DEP_1) | instskip(NEXT) | instid1(VALU_DEP_1)
	v_fma_f64 v[7:8], v[7:8], v[9:10], v[7:8]
	v_mul_f64 v[9:10], v[11:12], v[7:8]
	s_delay_alu instid0(VALU_DEP_1) | instskip(NEXT) | instid1(VALU_DEP_1)
	v_fma_f64 v[5:6], -v[5:6], v[9:10], v[11:12]
	v_div_fmas_f64 v[5:6], v[5:6], v[7:8], v[9:10]
	s_delay_alu instid0(VALU_DEP_1) | instskip(NEXT) | instid1(VALU_DEP_1)
	v_div_fixup_f64 v[5:6], v[5:6], v[0:1], v[2:3]
	v_fma_f64 v[0:1], v[2:3], v[5:6], v[0:1]
	s_delay_alu instid0(VALU_DEP_1) | instskip(NEXT) | instid1(VALU_DEP_1)
	v_div_scale_f64 v[2:3], null, v[0:1], v[0:1], 1.0
	v_rcp_f64_e32 v[7:8], v[2:3]
	s_waitcnt_depctr 0xfff
	v_fma_f64 v[9:10], -v[2:3], v[7:8], 1.0
	s_delay_alu instid0(VALU_DEP_1) | instskip(NEXT) | instid1(VALU_DEP_1)
	v_fma_f64 v[7:8], v[7:8], v[9:10], v[7:8]
	v_fma_f64 v[9:10], -v[2:3], v[7:8], 1.0
	s_delay_alu instid0(VALU_DEP_1) | instskip(SKIP_1) | instid1(VALU_DEP_1)
	v_fma_f64 v[7:8], v[7:8], v[9:10], v[7:8]
	v_div_scale_f64 v[9:10], vcc_lo, 1.0, v[0:1], 1.0
	v_mul_f64 v[11:12], v[9:10], v[7:8]
	s_delay_alu instid0(VALU_DEP_1) | instskip(NEXT) | instid1(VALU_DEP_1)
	v_fma_f64 v[2:3], -v[2:3], v[11:12], v[9:10]
	v_div_fmas_f64 v[2:3], v[2:3], v[7:8], v[11:12]
	s_delay_alu instid0(VALU_DEP_1) | instskip(NEXT) | instid1(VALU_DEP_1)
	v_div_fixup_f64 v[0:1], v[2:3], v[0:1], 1.0
	v_mul_f64 v[2:3], v[5:6], -v[0:1]
.LBB124_1150:
	s_or_b32 exec_lo, exec_lo, s2
.LBB124_1151:
	s_delay_alu instid0(SALU_CYCLE_1) | instskip(NEXT) | instid1(SALU_CYCLE_1)
	s_or_b32 exec_lo, exec_lo, s3
	s_mov_b32 s2, exec_lo
	v_cmpx_ne_u32_e64 v40, v4
	s_xor_b32 s2, exec_lo, s2
	s_cbranch_execz .LBB124_1157
; %bb.1152:
	s_mov_b32 s3, exec_lo
	v_cmpx_eq_u32_e32 48, v40
	s_cbranch_execz .LBB124_1156
; %bb.1153:
	v_cmp_ne_u32_e32 vcc_lo, 48, v4
	s_xor_b32 s6, s4, -1
	s_delay_alu instid0(SALU_CYCLE_1) | instskip(NEXT) | instid1(SALU_CYCLE_1)
	s_and_b32 s7, s6, vcc_lo
	s_and_saveexec_b32 s6, s7
	s_cbranch_execz .LBB124_1155
; %bb.1154:
	v_ashrrev_i32_e32 v5, 31, v4
	s_delay_alu instid0(VALU_DEP_1) | instskip(NEXT) | instid1(VALU_DEP_1)
	v_lshlrev_b64 v[5:6], 2, v[4:5]
	v_add_co_u32 v5, vcc_lo, v145, v5
	s_delay_alu instid0(VALU_DEP_2)
	v_add_co_ci_u32_e32 v6, vcc_lo, v146, v6, vcc_lo
	s_clause 0x1
	flat_load_b32 v7, v[5:6]
	flat_load_b32 v8, v[145:146] offset:192
	s_waitcnt vmcnt(1) lgkmcnt(1)
	flat_store_b32 v[145:146], v7 offset:192
	s_waitcnt vmcnt(0) lgkmcnt(1)
	flat_store_b32 v[5:6], v8
.LBB124_1155:
	s_or_b32 exec_lo, exec_lo, s6
	v_mov_b32_e32 v40, v4
	v_mov_b32_e32 v39, v4
.LBB124_1156:
	s_or_b32 exec_lo, exec_lo, s3
.LBB124_1157:
	s_and_not1_saveexec_b32 s2, s2
	s_cbranch_execz .LBB124_1159
; %bb.1158:
	s_clause 0xd
	scratch_load_b128 v[4:7], v163, off
	scratch_load_b128 v[8:11], v154, off
	;; [unrolled: 1-line block ×14, first 2 shown]
	v_mov_b32_e32 v40, 48
	s_waitcnt vmcnt(13)
	ds_store_2addr_b64 v20, v[4:5], v[6:7] offset0:98 offset1:99
	s_waitcnt vmcnt(12)
	ds_store_2addr_b64 v20, v[8:9], v[10:11] offset0:100 offset1:101
	;; [unrolled: 2-line block ×14, first 2 shown]
.LBB124_1159:
	s_or_b32 exec_lo, exec_lo, s2
	s_delay_alu instid0(SALU_CYCLE_1)
	s_mov_b32 s2, exec_lo
	s_waitcnt lgkmcnt(0)
	s_waitcnt_vscnt null, 0x0
	s_barrier
	buffer_gl0_inv
	v_cmpx_lt_i32_e32 48, v40
	s_cbranch_execz .LBB124_1161
; %bb.1160:
	s_clause 0x1
	scratch_load_b128 v[4:7], off, off offset:768
	scratch_load_b128 v[8:11], off, off offset:784
	s_waitcnt vmcnt(1)
	v_mul_f64 v[12:13], v[0:1], v[6:7]
	v_mul_f64 v[41:42], v[2:3], v[6:7]
	s_delay_alu instid0(VALU_DEP_2)
	v_fma_f64 v[6:7], v[2:3], v[4:5], v[12:13]
	ds_load_2addr_b64 v[12:15], v20 offset0:98 offset1:99
	ds_load_2addr_b64 v[16:19], v20 offset0:100 offset1:101
	v_fma_f64 v[4:5], v[0:1], v[4:5], -v[41:42]
	s_waitcnt lgkmcnt(1)
	v_mul_f64 v[0:1], v[14:15], v[6:7]
	v_mul_f64 v[2:3], v[12:13], v[6:7]
	scratch_store_b128 off, v[4:7], off offset:768
	s_waitcnt lgkmcnt(0)
	v_mul_f64 v[137:138], v[18:19], v[6:7]
	v_fma_f64 v[0:1], v[12:13], v[4:5], -v[0:1]
	v_fma_f64 v[2:3], v[14:15], v[4:5], v[2:3]
	s_delay_alu instid0(VALU_DEP_3) | instskip(SKIP_1) | instid1(VALU_DEP_3)
	v_fma_f64 v[137:138], v[16:17], v[4:5], -v[137:138]
	s_waitcnt vmcnt(0)
	v_add_f64 v[0:1], v[8:9], -v[0:1]
	s_delay_alu instid0(VALU_DEP_3)
	v_add_f64 v[2:3], v[10:11], -v[2:3]
	s_clause 0xf
	scratch_load_b128 v[8:11], off, off offset:768
	scratch_load_b64 v[45:46], off, off offset:776
	scratch_load_b64 v[49:50], off, off offset:768
	scratch_load_b128 v[12:15], off, off offset:816
	scratch_load_b128 v[41:44], off, off offset:832
	;; [unrolled: 1-line block ×13, first 2 shown]
	ds_load_2addr_b64 v[141:144], v20 offset0:102 offset1:103
	ds_load_2addr_b64 v[176:179], v20 offset0:104 offset1:105
	;; [unrolled: 1-line block ×12, first 2 shown]
	s_waitcnt lgkmcnt(11)
	v_mul_f64 v[61:62], v[143:144], v[6:7]
	s_waitcnt lgkmcnt(10)
	v_mul_f64 v[77:78], v[178:179], v[6:7]
	v_mul_f64 v[113:114], v[176:177], v[6:7]
	v_mul_f64 v[69:70], v[141:142], v[6:7]
	s_waitcnt lgkmcnt(9)
	v_mul_f64 v[117:118], v[182:183], v[6:7]
	v_mul_f64 v[121:122], v[180:181], v[6:7]
	s_waitcnt lgkmcnt(8)
	v_mul_f64 v[125:126], v[186:187], v[6:7]
	v_mul_f64 v[134:135], v[184:185], v[6:7]
	;; [unrolled: 1-line block ×3, first 2 shown]
	v_fma_f64 v[61:62], v[141:142], v[4:5], -v[61:62]
	v_fma_f64 v[77:78], v[176:177], v[4:5], -v[77:78]
	v_fma_f64 v[113:114], v[178:179], v[4:5], v[113:114]
	v_fma_f64 v[69:70], v[143:144], v[4:5], v[69:70]
	v_fma_f64 v[117:118], v[180:181], v[4:5], -v[117:118]
	v_fma_f64 v[121:122], v[182:183], v[4:5], v[121:122]
	v_fma_f64 v[125:126], v[184:185], v[4:5], -v[125:126]
	v_fma_f64 v[134:135], v[186:187], v[4:5], v[134:135]
	v_fma_f64 v[141:142], v[18:19], v[4:5], v[6:7]
	s_waitcnt vmcnt(15) lgkmcnt(7)
	v_mul_f64 v[220:221], v[190:191], v[10:11]
	v_mul_f64 v[222:223], v[188:189], v[10:11]
	s_waitcnt lgkmcnt(6)
	v_mul_f64 v[224:225], v[194:195], v[10:11]
	v_mul_f64 v[226:227], v[192:193], v[10:11]
	s_waitcnt lgkmcnt(5)
	;; [unrolled: 3-line block ×5, first 2 shown]
	v_mul_f64 v[240:241], v[210:211], v[10:11]
	v_mul_f64 v[10:11], v[208:209], v[10:11]
	s_waitcnt vmcnt(14) lgkmcnt(1)
	v_mul_f64 v[242:243], v[214:215], v[45:46]
	v_mul_f64 v[244:245], v[212:213], v[45:46]
	s_waitcnt lgkmcnt(0)
	v_mul_f64 v[246:247], v[218:219], v[45:46]
	v_mul_f64 v[45:46], v[216:217], v[45:46]
	s_waitcnt vmcnt(12)
	v_add_f64 v[4:5], v[12:13], -v[61:62]
	v_add_f64 v[6:7], v[14:15], -v[69:70]
	s_waitcnt vmcnt(10)
	v_add_f64 v[12:13], v[53:54], -v[117:118]
	v_add_f64 v[14:15], v[55:56], -v[121:122]
	;; [unrolled: 3-line block ×3, first 2 shown]
	v_fma_f64 v[143:144], v[188:189], v[49:50], -v[220:221]
	v_fma_f64 v[176:177], v[190:191], v[49:50], v[222:223]
	v_fma_f64 v[178:179], v[192:193], v[49:50], -v[224:225]
	v_fma_f64 v[180:181], v[194:195], v[49:50], v[226:227]
	;; [unrolled: 2-line block ×8, first 2 shown]
	v_add_f64 v[8:9], v[41:42], -v[77:78]
	v_add_f64 v[10:11], v[43:44], -v[113:114]
	s_waitcnt vmcnt(8)
	v_add_f64 v[41:42], v[65:66], -v[137:138]
	v_add_f64 v[43:44], v[67:68], -v[141:142]
	s_waitcnt vmcnt(7)
	;; [unrolled: 3-line block ×9, first 2 shown]
	v_add_f64 v[93:94], v[130:131], -v[200:201]
	v_add_f64 v[95:96], v[132:133], -v[45:46]
	s_clause 0xd
	scratch_store_b128 off, v[0:3], off offset:784
	scratch_store_b128 off, v[8:11], off offset:832
	;; [unrolled: 1-line block ×14, first 2 shown]
.LBB124_1161:
	s_or_b32 exec_lo, exec_lo, s2
	s_waitcnt_vscnt null, 0x0
	s_barrier
	buffer_gl0_inv
	scratch_load_b128 v[0:3], v163, off
	v_lshl_add_u32 v4, v40, 4, v20
	s_cmp_lt_i32 s5, 51
	s_waitcnt vmcnt(0)
	ds_store_2addr_b64 v4, v[0:1], v[2:3] offset1:1
	s_waitcnt lgkmcnt(0)
	s_barrier
	buffer_gl0_inv
	ds_load_2addr_b64 v[0:3], v20 offset0:98 offset1:99
	v_mov_b32_e32 v4, 49
	s_cbranch_scc1 .LBB124_1164
; %bb.1162:
	v_add3_u32 v5, v38, 0, 0x320
	v_mov_b32_e32 v4, 49
	s_mov_b32 s6, 50
	s_set_inst_prefetch_distance 0x1
	.p2align	6
.LBB124_1163:                           ; =>This Inner Loop Header: Depth=1
	ds_load_2addr_b64 v[6:9], v5 offset1:1
	s_waitcnt lgkmcnt(1)
	v_cmp_gt_f64_e32 vcc_lo, 0, v[0:1]
	v_xor_b32_e32 v10, 0x80000000, v1
	v_cmp_gt_f64_e64 s2, 0, v[2:3]
	v_xor_b32_e32 v12, 0x80000000, v3
	v_add_nc_u32_e32 v5, 16, v5
	s_waitcnt lgkmcnt(0)
	v_cmp_gt_f64_e64 s3, 0, v[6:7]
	v_mov_b32_e32 v14, v6
	v_dual_mov_b32 v16, v8 :: v_dual_cndmask_b32 v11, v1, v10
	v_xor_b32_e32 v10, 0x80000000, v7
	v_cndmask_b32_e64 v13, v3, v12, s2
	v_xor_b32_e32 v12, 0x80000000, v9
	s_delay_alu instid0(VALU_DEP_3) | instskip(SKIP_2) | instid1(VALU_DEP_2)
	v_cndmask_b32_e64 v15, v7, v10, s3
	v_cmp_gt_f64_e64 s3, 0, v[8:9]
	v_cndmask_b32_e32 v10, v0, v0, vcc_lo
	v_cndmask_b32_e64 v17, v9, v12, s3
	v_cndmask_b32_e64 v12, v2, v2, s2
	s_delay_alu instid0(VALU_DEP_2) | instskip(NEXT) | instid1(VALU_DEP_2)
	v_add_f64 v[14:15], v[14:15], v[16:17]
	v_add_f64 v[10:11], v[10:11], v[12:13]
	s_delay_alu instid0(VALU_DEP_1)
	v_cmp_lt_f64_e32 vcc_lo, v[10:11], v[14:15]
	v_cndmask_b32_e32 v3, v3, v9, vcc_lo
	v_dual_cndmask_b32 v1, v1, v7 :: v_dual_cndmask_b32 v0, v0, v6
	v_cndmask_b32_e32 v2, v2, v8, vcc_lo
	v_cndmask_b32_e64 v4, v4, s6, vcc_lo
	s_add_i32 s6, s6, 1
	s_delay_alu instid0(SALU_CYCLE_1)
	s_cmp_lg_u32 s5, s6
	s_cbranch_scc1 .LBB124_1163
.LBB124_1164:
	s_set_inst_prefetch_distance 0x2
	s_waitcnt lgkmcnt(0)
	v_cmp_eq_f64_e32 vcc_lo, 0, v[0:1]
	v_cmp_eq_f64_e64 s2, 0, v[2:3]
	s_delay_alu instid0(VALU_DEP_1) | instskip(NEXT) | instid1(SALU_CYCLE_1)
	s_and_b32 s2, vcc_lo, s2
	s_and_saveexec_b32 s3, s2
	s_delay_alu instid0(SALU_CYCLE_1)
	s_xor_b32 s2, exec_lo, s3
; %bb.1165:
	v_cmp_ne_u32_e32 vcc_lo, 0, v37
	v_cndmask_b32_e32 v37, 50, v37, vcc_lo
; %bb.1166:
	s_and_not1_saveexec_b32 s3, s2
	s_cbranch_execz .LBB124_1172
; %bb.1167:
	v_cmp_gt_f64_e32 vcc_lo, 0, v[0:1]
	v_cmp_gt_f64_e64 s2, 0, v[2:3]
	v_xor_b32_e32 v5, 0x80000000, v1
	v_xor_b32_e32 v7, 0x80000000, v3
	s_delay_alu instid0(VALU_DEP_2) | instskip(NEXT) | instid1(VALU_DEP_2)
	v_dual_cndmask_b32 v6, v1, v5 :: v_dual_cndmask_b32 v5, v0, v0
	v_cndmask_b32_e64 v8, v3, v7, s2
	v_cndmask_b32_e64 v7, v2, v2, s2
	s_mov_b32 s2, exec_lo
	s_delay_alu instid0(VALU_DEP_1)
	v_cmpx_ngt_f64_e32 v[5:6], v[7:8]
	s_xor_b32 s2, exec_lo, s2
	s_cbranch_execz .LBB124_1169
; %bb.1168:
	v_div_scale_f64 v[5:6], null, v[2:3], v[2:3], v[0:1]
	v_div_scale_f64 v[11:12], vcc_lo, v[0:1], v[2:3], v[0:1]
	s_delay_alu instid0(VALU_DEP_2) | instskip(SKIP_2) | instid1(VALU_DEP_1)
	v_rcp_f64_e32 v[7:8], v[5:6]
	s_waitcnt_depctr 0xfff
	v_fma_f64 v[9:10], -v[5:6], v[7:8], 1.0
	v_fma_f64 v[7:8], v[7:8], v[9:10], v[7:8]
	s_delay_alu instid0(VALU_DEP_1) | instskip(NEXT) | instid1(VALU_DEP_1)
	v_fma_f64 v[9:10], -v[5:6], v[7:8], 1.0
	v_fma_f64 v[7:8], v[7:8], v[9:10], v[7:8]
	s_delay_alu instid0(VALU_DEP_1) | instskip(NEXT) | instid1(VALU_DEP_1)
	v_mul_f64 v[9:10], v[11:12], v[7:8]
	v_fma_f64 v[5:6], -v[5:6], v[9:10], v[11:12]
	s_delay_alu instid0(VALU_DEP_1) | instskip(NEXT) | instid1(VALU_DEP_1)
	v_div_fmas_f64 v[5:6], v[5:6], v[7:8], v[9:10]
	v_div_fixup_f64 v[5:6], v[5:6], v[2:3], v[0:1]
	s_delay_alu instid0(VALU_DEP_1) | instskip(NEXT) | instid1(VALU_DEP_1)
	v_fma_f64 v[0:1], v[0:1], v[5:6], v[2:3]
	v_div_scale_f64 v[2:3], null, v[0:1], v[0:1], 1.0
	s_delay_alu instid0(VALU_DEP_1) | instskip(SKIP_2) | instid1(VALU_DEP_1)
	v_rcp_f64_e32 v[7:8], v[2:3]
	s_waitcnt_depctr 0xfff
	v_fma_f64 v[9:10], -v[2:3], v[7:8], 1.0
	v_fma_f64 v[7:8], v[7:8], v[9:10], v[7:8]
	s_delay_alu instid0(VALU_DEP_1) | instskip(NEXT) | instid1(VALU_DEP_1)
	v_fma_f64 v[9:10], -v[2:3], v[7:8], 1.0
	v_fma_f64 v[7:8], v[7:8], v[9:10], v[7:8]
	v_div_scale_f64 v[9:10], vcc_lo, 1.0, v[0:1], 1.0
	s_delay_alu instid0(VALU_DEP_1) | instskip(NEXT) | instid1(VALU_DEP_1)
	v_mul_f64 v[11:12], v[9:10], v[7:8]
	v_fma_f64 v[2:3], -v[2:3], v[11:12], v[9:10]
	s_delay_alu instid0(VALU_DEP_1) | instskip(NEXT) | instid1(VALU_DEP_1)
	v_div_fmas_f64 v[2:3], v[2:3], v[7:8], v[11:12]
	v_div_fixup_f64 v[2:3], v[2:3], v[0:1], 1.0
	s_delay_alu instid0(VALU_DEP_1)
	v_mul_f64 v[0:1], v[5:6], v[2:3]
	v_xor_b32_e32 v3, 0x80000000, v3
.LBB124_1169:
	s_and_not1_saveexec_b32 s2, s2
	s_cbranch_execz .LBB124_1171
; %bb.1170:
	s_delay_alu instid0(VALU_DEP_1) | instskip(SKIP_1) | instid1(VALU_DEP_2)
	v_div_scale_f64 v[5:6], null, v[0:1], v[0:1], v[2:3]
	v_div_scale_f64 v[11:12], vcc_lo, v[2:3], v[0:1], v[2:3]
	v_rcp_f64_e32 v[7:8], v[5:6]
	s_waitcnt_depctr 0xfff
	v_fma_f64 v[9:10], -v[5:6], v[7:8], 1.0
	s_delay_alu instid0(VALU_DEP_1) | instskip(NEXT) | instid1(VALU_DEP_1)
	v_fma_f64 v[7:8], v[7:8], v[9:10], v[7:8]
	v_fma_f64 v[9:10], -v[5:6], v[7:8], 1.0
	s_delay_alu instid0(VALU_DEP_1) | instskip(NEXT) | instid1(VALU_DEP_1)
	v_fma_f64 v[7:8], v[7:8], v[9:10], v[7:8]
	v_mul_f64 v[9:10], v[11:12], v[7:8]
	s_delay_alu instid0(VALU_DEP_1) | instskip(NEXT) | instid1(VALU_DEP_1)
	v_fma_f64 v[5:6], -v[5:6], v[9:10], v[11:12]
	v_div_fmas_f64 v[5:6], v[5:6], v[7:8], v[9:10]
	s_delay_alu instid0(VALU_DEP_1) | instskip(NEXT) | instid1(VALU_DEP_1)
	v_div_fixup_f64 v[5:6], v[5:6], v[0:1], v[2:3]
	v_fma_f64 v[0:1], v[2:3], v[5:6], v[0:1]
	s_delay_alu instid0(VALU_DEP_1) | instskip(NEXT) | instid1(VALU_DEP_1)
	v_div_scale_f64 v[2:3], null, v[0:1], v[0:1], 1.0
	v_rcp_f64_e32 v[7:8], v[2:3]
	s_waitcnt_depctr 0xfff
	v_fma_f64 v[9:10], -v[2:3], v[7:8], 1.0
	s_delay_alu instid0(VALU_DEP_1) | instskip(NEXT) | instid1(VALU_DEP_1)
	v_fma_f64 v[7:8], v[7:8], v[9:10], v[7:8]
	v_fma_f64 v[9:10], -v[2:3], v[7:8], 1.0
	s_delay_alu instid0(VALU_DEP_1) | instskip(SKIP_1) | instid1(VALU_DEP_1)
	v_fma_f64 v[7:8], v[7:8], v[9:10], v[7:8]
	v_div_scale_f64 v[9:10], vcc_lo, 1.0, v[0:1], 1.0
	v_mul_f64 v[11:12], v[9:10], v[7:8]
	s_delay_alu instid0(VALU_DEP_1) | instskip(NEXT) | instid1(VALU_DEP_1)
	v_fma_f64 v[2:3], -v[2:3], v[11:12], v[9:10]
	v_div_fmas_f64 v[2:3], v[2:3], v[7:8], v[11:12]
	s_delay_alu instid0(VALU_DEP_1) | instskip(NEXT) | instid1(VALU_DEP_1)
	v_div_fixup_f64 v[0:1], v[2:3], v[0:1], 1.0
	v_mul_f64 v[2:3], v[5:6], -v[0:1]
.LBB124_1171:
	s_or_b32 exec_lo, exec_lo, s2
.LBB124_1172:
	s_delay_alu instid0(SALU_CYCLE_1) | instskip(NEXT) | instid1(SALU_CYCLE_1)
	s_or_b32 exec_lo, exec_lo, s3
	s_mov_b32 s2, exec_lo
	v_cmpx_ne_u32_e64 v40, v4
	s_xor_b32 s2, exec_lo, s2
	s_cbranch_execz .LBB124_1178
; %bb.1173:
	s_mov_b32 s3, exec_lo
	v_cmpx_eq_u32_e32 49, v40
	s_cbranch_execz .LBB124_1177
; %bb.1174:
	v_cmp_ne_u32_e32 vcc_lo, 49, v4
	s_xor_b32 s6, s4, -1
	s_delay_alu instid0(SALU_CYCLE_1) | instskip(NEXT) | instid1(SALU_CYCLE_1)
	s_and_b32 s7, s6, vcc_lo
	s_and_saveexec_b32 s6, s7
	s_cbranch_execz .LBB124_1176
; %bb.1175:
	v_ashrrev_i32_e32 v5, 31, v4
	s_delay_alu instid0(VALU_DEP_1) | instskip(NEXT) | instid1(VALU_DEP_1)
	v_lshlrev_b64 v[5:6], 2, v[4:5]
	v_add_co_u32 v5, vcc_lo, v145, v5
	s_delay_alu instid0(VALU_DEP_2)
	v_add_co_ci_u32_e32 v6, vcc_lo, v146, v6, vcc_lo
	s_clause 0x1
	flat_load_b32 v7, v[5:6]
	flat_load_b32 v8, v[145:146] offset:196
	s_waitcnt vmcnt(1) lgkmcnt(1)
	flat_store_b32 v[145:146], v7 offset:196
	s_waitcnt vmcnt(0) lgkmcnt(1)
	flat_store_b32 v[5:6], v8
.LBB124_1176:
	s_or_b32 exec_lo, exec_lo, s6
	v_mov_b32_e32 v40, v4
	v_mov_b32_e32 v39, v4
.LBB124_1177:
	s_or_b32 exec_lo, exec_lo, s3
.LBB124_1178:
	s_and_not1_saveexec_b32 s2, s2
	s_cbranch_execz .LBB124_1180
; %bb.1179:
	s_clause 0xc
	scratch_load_b128 v[4:7], v154, off
	scratch_load_b128 v[8:11], v161, off
	;; [unrolled: 1-line block ×13, first 2 shown]
	v_mov_b32_e32 v40, 49
	s_waitcnt vmcnt(12)
	ds_store_2addr_b64 v20, v[4:5], v[6:7] offset0:100 offset1:101
	s_waitcnt vmcnt(11)
	ds_store_2addr_b64 v20, v[8:9], v[10:11] offset0:102 offset1:103
	;; [unrolled: 2-line block ×13, first 2 shown]
.LBB124_1180:
	s_or_b32 exec_lo, exec_lo, s2
	s_delay_alu instid0(SALU_CYCLE_1)
	s_mov_b32 s2, exec_lo
	s_waitcnt lgkmcnt(0)
	s_waitcnt_vscnt null, 0x0
	s_barrier
	buffer_gl0_inv
	v_cmpx_lt_i32_e32 49, v40
	s_cbranch_execz .LBB124_1182
; %bb.1181:
	s_clause 0x1
	scratch_load_b128 v[4:7], off, off offset:784
	scratch_load_b128 v[8:11], off, off offset:800
	s_waitcnt vmcnt(1)
	v_mul_f64 v[12:13], v[0:1], v[6:7]
	v_mul_f64 v[6:7], v[2:3], v[6:7]
	s_delay_alu instid0(VALU_DEP_2)
	v_fma_f64 v[2:3], v[2:3], v[4:5], v[12:13]
	ds_load_2addr_b64 v[12:15], v20 offset0:100 offset1:101
	ds_load_2addr_b64 v[16:19], v20 offset0:102 offset1:103
	v_fma_f64 v[0:1], v[0:1], v[4:5], -v[6:7]
	s_waitcnt lgkmcnt(1)
	v_mul_f64 v[4:5], v[14:15], v[2:3]
	v_mul_f64 v[6:7], v[12:13], v[2:3]
	scratch_store_b128 off, v[0:3], off offset:784
	s_waitcnt lgkmcnt(0)
	v_mul_f64 v[137:138], v[18:19], v[2:3]
	v_fma_f64 v[4:5], v[12:13], v[0:1], -v[4:5]
	v_fma_f64 v[6:7], v[14:15], v[0:1], v[6:7]
	s_waitcnt vmcnt(0)
	s_delay_alu instid0(VALU_DEP_2) | instskip(NEXT) | instid1(VALU_DEP_2)
	v_add_f64 v[4:5], v[8:9], -v[4:5]
	v_add_f64 v[6:7], v[10:11], -v[6:7]
	s_clause 0xe
	scratch_load_b128 v[8:11], off, off offset:784
	scratch_load_b64 v[45:46], off, off offset:792
	scratch_load_b64 v[49:50], off, off offset:784
	scratch_load_b128 v[12:15], off, off offset:832
	scratch_load_b128 v[41:44], off, off offset:848
	scratch_load_b128 v[53:56], off, off offset:864
	scratch_load_b128 v[57:60], off, off offset:880
	scratch_load_b128 v[65:68], off, off offset:816
	scratch_load_b128 v[73:76], off, off offset:896
	scratch_load_b128 v[81:84], off, off offset:912
	scratch_load_b128 v[85:88], off, off offset:928
	scratch_load_b128 v[89:92], off, off offset:944
	scratch_load_b128 v[93:96], off, off offset:960
	scratch_load_b128 v[97:100], off, off offset:976
	scratch_load_b128 v[101:104], off, off offset:992
	ds_load_2addr_b64 v[130:133], v20 offset0:104 offset1:105
	ds_load_2addr_b64 v[141:144], v20 offset0:106 offset1:107
	;; [unrolled: 1-line block ×11, first 2 shown]
	s_waitcnt lgkmcnt(10)
	v_mul_f64 v[61:62], v[132:133], v[2:3]
	s_waitcnt lgkmcnt(9)
	v_mul_f64 v[77:78], v[143:144], v[2:3]
	v_mul_f64 v[113:114], v[141:142], v[2:3]
	;; [unrolled: 1-line block ×3, first 2 shown]
	s_waitcnt lgkmcnt(8)
	v_mul_f64 v[117:118], v[178:179], v[2:3]
	v_mul_f64 v[121:122], v[176:177], v[2:3]
	s_waitcnt lgkmcnt(7)
	v_mul_f64 v[125:126], v[182:183], v[2:3]
	v_mul_f64 v[134:135], v[180:181], v[2:3]
	;; [unrolled: 1-line block ×3, first 2 shown]
	v_fma_f64 v[61:62], v[130:131], v[0:1], -v[61:62]
	v_fma_f64 v[77:78], v[141:142], v[0:1], -v[77:78]
	v_fma_f64 v[113:114], v[143:144], v[0:1], v[113:114]
	v_fma_f64 v[69:70], v[132:133], v[0:1], v[69:70]
	v_fma_f64 v[117:118], v[176:177], v[0:1], -v[117:118]
	v_fma_f64 v[121:122], v[178:179], v[0:1], v[121:122]
	v_fma_f64 v[132:133], v[16:17], v[0:1], -v[137:138]
	v_fma_f64 v[130:131], v[182:183], v[0:1], v[134:135]
	v_fma_f64 v[134:135], v[18:19], v[0:1], v[2:3]
	v_fma_f64 v[125:126], v[180:181], v[0:1], -v[125:126]
	s_waitcnt vmcnt(14) lgkmcnt(6)
	v_mul_f64 v[212:213], v[186:187], v[10:11]
	v_mul_f64 v[214:215], v[184:185], v[10:11]
	s_waitcnt lgkmcnt(5)
	v_mul_f64 v[216:217], v[190:191], v[10:11]
	v_mul_f64 v[218:219], v[188:189], v[10:11]
	s_waitcnt lgkmcnt(4)
	;; [unrolled: 3-line block ×5, first 2 shown]
	v_mul_f64 v[232:233], v[206:207], v[10:11]
	v_mul_f64 v[10:11], v[204:205], v[10:11]
	s_waitcnt vmcnt(13) lgkmcnt(0)
	v_mul_f64 v[234:235], v[210:211], v[45:46]
	v_mul_f64 v[45:46], v[208:209], v[45:46]
	s_waitcnt vmcnt(11)
	v_add_f64 v[0:1], v[12:13], -v[61:62]
	v_add_f64 v[2:3], v[14:15], -v[69:70]
	s_waitcnt vmcnt(9)
	v_add_f64 v[12:13], v[53:54], -v[117:118]
	v_add_f64 v[14:15], v[55:56], -v[121:122]
	;; [unrolled: 3-line block ×3, first 2 shown]
	v_fma_f64 v[137:138], v[184:185], v[49:50], -v[212:213]
	v_fma_f64 v[141:142], v[186:187], v[49:50], v[214:215]
	v_fma_f64 v[143:144], v[188:189], v[49:50], -v[216:217]
	v_fma_f64 v[176:177], v[190:191], v[49:50], v[218:219]
	;; [unrolled: 2-line block ×7, first 2 shown]
	v_add_f64 v[8:9], v[41:42], -v[77:78]
	v_add_f64 v[10:11], v[43:44], -v[113:114]
	s_waitcnt vmcnt(7)
	v_add_f64 v[41:42], v[65:66], -v[132:133]
	v_add_f64 v[43:44], v[67:68], -v[134:135]
	s_waitcnt vmcnt(6)
	;; [unrolled: 3-line block ×8, first 2 shown]
	v_add_f64 v[89:90], v[101:102], -v[192:193]
	v_add_f64 v[91:92], v[103:104], -v[45:46]
	s_clause 0xc
	scratch_store_b128 off, v[4:7], off offset:800
	scratch_store_b128 off, v[8:11], off offset:848
	;; [unrolled: 1-line block ×13, first 2 shown]
.LBB124_1182:
	s_or_b32 exec_lo, exec_lo, s2
	s_waitcnt_vscnt null, 0x0
	s_barrier
	buffer_gl0_inv
	scratch_load_b128 v[0:3], v154, off
	v_lshl_add_u32 v4, v40, 4, v20
	s_cmp_lt_i32 s5, 52
	s_waitcnt vmcnt(0)
	ds_store_2addr_b64 v4, v[0:1], v[2:3] offset1:1
	s_waitcnt lgkmcnt(0)
	s_barrier
	buffer_gl0_inv
	ds_load_2addr_b64 v[0:3], v20 offset0:100 offset1:101
	v_mov_b32_e32 v4, 50
	s_cbranch_scc1 .LBB124_1185
; %bb.1183:
	v_add3_u32 v5, v38, 0, 0x330
	v_mov_b32_e32 v4, 50
	s_mov_b32 s6, 51
	s_set_inst_prefetch_distance 0x1
	.p2align	6
.LBB124_1184:                           ; =>This Inner Loop Header: Depth=1
	ds_load_2addr_b64 v[6:9], v5 offset1:1
	s_waitcnt lgkmcnt(1)
	v_cmp_gt_f64_e32 vcc_lo, 0, v[0:1]
	v_xor_b32_e32 v10, 0x80000000, v1
	v_cmp_gt_f64_e64 s2, 0, v[2:3]
	v_xor_b32_e32 v12, 0x80000000, v3
	v_add_nc_u32_e32 v5, 16, v5
	s_waitcnt lgkmcnt(0)
	v_cmp_gt_f64_e64 s3, 0, v[6:7]
	v_mov_b32_e32 v14, v6
	v_dual_mov_b32 v16, v8 :: v_dual_cndmask_b32 v11, v1, v10
	v_xor_b32_e32 v10, 0x80000000, v7
	v_cndmask_b32_e64 v13, v3, v12, s2
	v_xor_b32_e32 v12, 0x80000000, v9
	s_delay_alu instid0(VALU_DEP_3) | instskip(SKIP_2) | instid1(VALU_DEP_2)
	v_cndmask_b32_e64 v15, v7, v10, s3
	v_cmp_gt_f64_e64 s3, 0, v[8:9]
	v_cndmask_b32_e32 v10, v0, v0, vcc_lo
	v_cndmask_b32_e64 v17, v9, v12, s3
	v_cndmask_b32_e64 v12, v2, v2, s2
	s_delay_alu instid0(VALU_DEP_2) | instskip(NEXT) | instid1(VALU_DEP_2)
	v_add_f64 v[14:15], v[14:15], v[16:17]
	v_add_f64 v[10:11], v[10:11], v[12:13]
	s_delay_alu instid0(VALU_DEP_1)
	v_cmp_lt_f64_e32 vcc_lo, v[10:11], v[14:15]
	v_cndmask_b32_e32 v3, v3, v9, vcc_lo
	v_dual_cndmask_b32 v1, v1, v7 :: v_dual_cndmask_b32 v0, v0, v6
	v_cndmask_b32_e32 v2, v2, v8, vcc_lo
	v_cndmask_b32_e64 v4, v4, s6, vcc_lo
	s_add_i32 s6, s6, 1
	s_delay_alu instid0(SALU_CYCLE_1)
	s_cmp_lg_u32 s5, s6
	s_cbranch_scc1 .LBB124_1184
.LBB124_1185:
	s_set_inst_prefetch_distance 0x2
	s_waitcnt lgkmcnt(0)
	v_cmp_eq_f64_e32 vcc_lo, 0, v[0:1]
	v_cmp_eq_f64_e64 s2, 0, v[2:3]
	s_delay_alu instid0(VALU_DEP_1) | instskip(NEXT) | instid1(SALU_CYCLE_1)
	s_and_b32 s2, vcc_lo, s2
	s_and_saveexec_b32 s3, s2
	s_delay_alu instid0(SALU_CYCLE_1)
	s_xor_b32 s2, exec_lo, s3
; %bb.1186:
	v_cmp_ne_u32_e32 vcc_lo, 0, v37
	v_cndmask_b32_e32 v37, 51, v37, vcc_lo
; %bb.1187:
	s_and_not1_saveexec_b32 s3, s2
	s_cbranch_execz .LBB124_1193
; %bb.1188:
	v_cmp_gt_f64_e32 vcc_lo, 0, v[0:1]
	v_cmp_gt_f64_e64 s2, 0, v[2:3]
	v_xor_b32_e32 v5, 0x80000000, v1
	v_xor_b32_e32 v7, 0x80000000, v3
	s_delay_alu instid0(VALU_DEP_2) | instskip(NEXT) | instid1(VALU_DEP_2)
	v_dual_cndmask_b32 v6, v1, v5 :: v_dual_cndmask_b32 v5, v0, v0
	v_cndmask_b32_e64 v8, v3, v7, s2
	v_cndmask_b32_e64 v7, v2, v2, s2
	s_mov_b32 s2, exec_lo
	s_delay_alu instid0(VALU_DEP_1)
	v_cmpx_ngt_f64_e32 v[5:6], v[7:8]
	s_xor_b32 s2, exec_lo, s2
	s_cbranch_execz .LBB124_1190
; %bb.1189:
	v_div_scale_f64 v[5:6], null, v[2:3], v[2:3], v[0:1]
	v_div_scale_f64 v[11:12], vcc_lo, v[0:1], v[2:3], v[0:1]
	s_delay_alu instid0(VALU_DEP_2) | instskip(SKIP_2) | instid1(VALU_DEP_1)
	v_rcp_f64_e32 v[7:8], v[5:6]
	s_waitcnt_depctr 0xfff
	v_fma_f64 v[9:10], -v[5:6], v[7:8], 1.0
	v_fma_f64 v[7:8], v[7:8], v[9:10], v[7:8]
	s_delay_alu instid0(VALU_DEP_1) | instskip(NEXT) | instid1(VALU_DEP_1)
	v_fma_f64 v[9:10], -v[5:6], v[7:8], 1.0
	v_fma_f64 v[7:8], v[7:8], v[9:10], v[7:8]
	s_delay_alu instid0(VALU_DEP_1) | instskip(NEXT) | instid1(VALU_DEP_1)
	v_mul_f64 v[9:10], v[11:12], v[7:8]
	v_fma_f64 v[5:6], -v[5:6], v[9:10], v[11:12]
	s_delay_alu instid0(VALU_DEP_1) | instskip(NEXT) | instid1(VALU_DEP_1)
	v_div_fmas_f64 v[5:6], v[5:6], v[7:8], v[9:10]
	v_div_fixup_f64 v[5:6], v[5:6], v[2:3], v[0:1]
	s_delay_alu instid0(VALU_DEP_1) | instskip(NEXT) | instid1(VALU_DEP_1)
	v_fma_f64 v[0:1], v[0:1], v[5:6], v[2:3]
	v_div_scale_f64 v[2:3], null, v[0:1], v[0:1], 1.0
	s_delay_alu instid0(VALU_DEP_1) | instskip(SKIP_2) | instid1(VALU_DEP_1)
	v_rcp_f64_e32 v[7:8], v[2:3]
	s_waitcnt_depctr 0xfff
	v_fma_f64 v[9:10], -v[2:3], v[7:8], 1.0
	v_fma_f64 v[7:8], v[7:8], v[9:10], v[7:8]
	s_delay_alu instid0(VALU_DEP_1) | instskip(NEXT) | instid1(VALU_DEP_1)
	v_fma_f64 v[9:10], -v[2:3], v[7:8], 1.0
	v_fma_f64 v[7:8], v[7:8], v[9:10], v[7:8]
	v_div_scale_f64 v[9:10], vcc_lo, 1.0, v[0:1], 1.0
	s_delay_alu instid0(VALU_DEP_1) | instskip(NEXT) | instid1(VALU_DEP_1)
	v_mul_f64 v[11:12], v[9:10], v[7:8]
	v_fma_f64 v[2:3], -v[2:3], v[11:12], v[9:10]
	s_delay_alu instid0(VALU_DEP_1) | instskip(NEXT) | instid1(VALU_DEP_1)
	v_div_fmas_f64 v[2:3], v[2:3], v[7:8], v[11:12]
	v_div_fixup_f64 v[2:3], v[2:3], v[0:1], 1.0
	s_delay_alu instid0(VALU_DEP_1)
	v_mul_f64 v[0:1], v[5:6], v[2:3]
	v_xor_b32_e32 v3, 0x80000000, v3
.LBB124_1190:
	s_and_not1_saveexec_b32 s2, s2
	s_cbranch_execz .LBB124_1192
; %bb.1191:
	s_delay_alu instid0(VALU_DEP_1) | instskip(SKIP_1) | instid1(VALU_DEP_2)
	v_div_scale_f64 v[5:6], null, v[0:1], v[0:1], v[2:3]
	v_div_scale_f64 v[11:12], vcc_lo, v[2:3], v[0:1], v[2:3]
	v_rcp_f64_e32 v[7:8], v[5:6]
	s_waitcnt_depctr 0xfff
	v_fma_f64 v[9:10], -v[5:6], v[7:8], 1.0
	s_delay_alu instid0(VALU_DEP_1) | instskip(NEXT) | instid1(VALU_DEP_1)
	v_fma_f64 v[7:8], v[7:8], v[9:10], v[7:8]
	v_fma_f64 v[9:10], -v[5:6], v[7:8], 1.0
	s_delay_alu instid0(VALU_DEP_1) | instskip(NEXT) | instid1(VALU_DEP_1)
	v_fma_f64 v[7:8], v[7:8], v[9:10], v[7:8]
	v_mul_f64 v[9:10], v[11:12], v[7:8]
	s_delay_alu instid0(VALU_DEP_1) | instskip(NEXT) | instid1(VALU_DEP_1)
	v_fma_f64 v[5:6], -v[5:6], v[9:10], v[11:12]
	v_div_fmas_f64 v[5:6], v[5:6], v[7:8], v[9:10]
	s_delay_alu instid0(VALU_DEP_1) | instskip(NEXT) | instid1(VALU_DEP_1)
	v_div_fixup_f64 v[5:6], v[5:6], v[0:1], v[2:3]
	v_fma_f64 v[0:1], v[2:3], v[5:6], v[0:1]
	s_delay_alu instid0(VALU_DEP_1) | instskip(NEXT) | instid1(VALU_DEP_1)
	v_div_scale_f64 v[2:3], null, v[0:1], v[0:1], 1.0
	v_rcp_f64_e32 v[7:8], v[2:3]
	s_waitcnt_depctr 0xfff
	v_fma_f64 v[9:10], -v[2:3], v[7:8], 1.0
	s_delay_alu instid0(VALU_DEP_1) | instskip(NEXT) | instid1(VALU_DEP_1)
	v_fma_f64 v[7:8], v[7:8], v[9:10], v[7:8]
	v_fma_f64 v[9:10], -v[2:3], v[7:8], 1.0
	s_delay_alu instid0(VALU_DEP_1) | instskip(SKIP_1) | instid1(VALU_DEP_1)
	v_fma_f64 v[7:8], v[7:8], v[9:10], v[7:8]
	v_div_scale_f64 v[9:10], vcc_lo, 1.0, v[0:1], 1.0
	v_mul_f64 v[11:12], v[9:10], v[7:8]
	s_delay_alu instid0(VALU_DEP_1) | instskip(NEXT) | instid1(VALU_DEP_1)
	v_fma_f64 v[2:3], -v[2:3], v[11:12], v[9:10]
	v_div_fmas_f64 v[2:3], v[2:3], v[7:8], v[11:12]
	s_delay_alu instid0(VALU_DEP_1) | instskip(NEXT) | instid1(VALU_DEP_1)
	v_div_fixup_f64 v[0:1], v[2:3], v[0:1], 1.0
	v_mul_f64 v[2:3], v[5:6], -v[0:1]
.LBB124_1192:
	s_or_b32 exec_lo, exec_lo, s2
.LBB124_1193:
	s_delay_alu instid0(SALU_CYCLE_1) | instskip(NEXT) | instid1(SALU_CYCLE_1)
	s_or_b32 exec_lo, exec_lo, s3
	s_mov_b32 s2, exec_lo
	v_cmpx_ne_u32_e64 v40, v4
	s_xor_b32 s2, exec_lo, s2
	s_cbranch_execz .LBB124_1199
; %bb.1194:
	s_mov_b32 s3, exec_lo
	v_cmpx_eq_u32_e32 50, v40
	s_cbranch_execz .LBB124_1198
; %bb.1195:
	v_cmp_ne_u32_e32 vcc_lo, 50, v4
	s_xor_b32 s6, s4, -1
	s_delay_alu instid0(SALU_CYCLE_1) | instskip(NEXT) | instid1(SALU_CYCLE_1)
	s_and_b32 s7, s6, vcc_lo
	s_and_saveexec_b32 s6, s7
	s_cbranch_execz .LBB124_1197
; %bb.1196:
	v_ashrrev_i32_e32 v5, 31, v4
	s_delay_alu instid0(VALU_DEP_1) | instskip(NEXT) | instid1(VALU_DEP_1)
	v_lshlrev_b64 v[5:6], 2, v[4:5]
	v_add_co_u32 v5, vcc_lo, v145, v5
	s_delay_alu instid0(VALU_DEP_2)
	v_add_co_ci_u32_e32 v6, vcc_lo, v146, v6, vcc_lo
	s_clause 0x1
	flat_load_b32 v7, v[5:6]
	flat_load_b32 v8, v[145:146] offset:200
	s_waitcnt vmcnt(1) lgkmcnt(1)
	flat_store_b32 v[145:146], v7 offset:200
	s_waitcnt vmcnt(0) lgkmcnt(1)
	flat_store_b32 v[5:6], v8
.LBB124_1197:
	s_or_b32 exec_lo, exec_lo, s6
	v_mov_b32_e32 v40, v4
	v_mov_b32_e32 v39, v4
.LBB124_1198:
	s_or_b32 exec_lo, exec_lo, s3
.LBB124_1199:
	s_and_not1_saveexec_b32 s2, s2
	s_cbranch_execz .LBB124_1201
; %bb.1200:
	s_clause 0xb
	scratch_load_b128 v[4:7], v161, off
	scratch_load_b128 v[8:11], v160, off
	;; [unrolled: 1-line block ×12, first 2 shown]
	v_mov_b32_e32 v40, 50
	s_waitcnt vmcnt(11)
	ds_store_2addr_b64 v20, v[4:5], v[6:7] offset0:102 offset1:103
	s_waitcnt vmcnt(10)
	ds_store_2addr_b64 v20, v[8:9], v[10:11] offset0:104 offset1:105
	;; [unrolled: 2-line block ×12, first 2 shown]
.LBB124_1201:
	s_or_b32 exec_lo, exec_lo, s2
	s_delay_alu instid0(SALU_CYCLE_1)
	s_mov_b32 s2, exec_lo
	s_waitcnt lgkmcnt(0)
	s_waitcnt_vscnt null, 0x0
	s_barrier
	buffer_gl0_inv
	v_cmpx_lt_i32_e32 50, v40
	s_cbranch_execz .LBB124_1203
; %bb.1202:
	s_clause 0x1
	scratch_load_b128 v[4:7], off, off offset:800
	scratch_load_b128 v[8:11], off, off offset:816
	s_waitcnt vmcnt(1)
	v_mul_f64 v[12:13], v[0:1], v[6:7]
	v_mul_f64 v[6:7], v[2:3], v[6:7]
	s_delay_alu instid0(VALU_DEP_2)
	v_fma_f64 v[2:3], v[2:3], v[4:5], v[12:13]
	ds_load_2addr_b64 v[12:15], v20 offset0:102 offset1:103
	ds_load_2addr_b64 v[16:19], v20 offset0:104 offset1:105
	v_fma_f64 v[0:1], v[0:1], v[4:5], -v[6:7]
	s_waitcnt lgkmcnt(1)
	v_mul_f64 v[4:5], v[14:15], v[2:3]
	v_mul_f64 v[6:7], v[12:13], v[2:3]
	scratch_store_b128 off, v[0:3], off offset:800
	s_waitcnt lgkmcnt(0)
	v_mul_f64 v[125:126], v[18:19], v[2:3]
	v_fma_f64 v[4:5], v[12:13], v[0:1], -v[4:5]
	v_fma_f64 v[6:7], v[14:15], v[0:1], v[6:7]
	s_waitcnt vmcnt(0)
	s_delay_alu instid0(VALU_DEP_2) | instskip(NEXT) | instid1(VALU_DEP_2)
	v_add_f64 v[4:5], v[8:9], -v[4:5]
	v_add_f64 v[6:7], v[10:11], -v[6:7]
	s_clause 0xb
	scratch_load_b128 v[8:11], off, off offset:800
	scratch_load_b128 v[12:15], off, off offset:848
	;; [unrolled: 1-line block ×12, first 2 shown]
	ds_load_2addr_b64 v[101:104], v20 offset0:106 offset1:107
	ds_load_2addr_b64 v[130:133], v20 offset0:108 offset1:109
	;; [unrolled: 1-line block ×10, first 2 shown]
	s_waitcnt lgkmcnt(9)
	v_mul_f64 v[45:46], v[103:104], v[2:3]
	s_waitcnt lgkmcnt(8)
	v_mul_f64 v[61:62], v[132:133], v[2:3]
	v_mul_f64 v[69:70], v[130:131], v[2:3]
	;; [unrolled: 1-line block ×3, first 2 shown]
	s_waitcnt lgkmcnt(7)
	v_mul_f64 v[77:78], v[143:144], v[2:3]
	v_mul_f64 v[113:114], v[141:142], v[2:3]
	s_waitcnt lgkmcnt(6)
	v_mul_f64 v[117:118], v[178:179], v[2:3]
	v_mul_f64 v[121:122], v[176:177], v[2:3]
	;; [unrolled: 1-line block ×3, first 2 shown]
	v_fma_f64 v[45:46], v[101:102], v[0:1], -v[45:46]
	v_fma_f64 v[61:62], v[130:131], v[0:1], -v[61:62]
	v_fma_f64 v[69:70], v[132:133], v[0:1], v[69:70]
	v_fma_f64 v[49:50], v[103:104], v[0:1], v[49:50]
	v_fma_f64 v[77:78], v[141:142], v[0:1], -v[77:78]
	v_fma_f64 v[101:102], v[143:144], v[0:1], v[113:114]
	v_fma_f64 v[103:104], v[176:177], v[0:1], -v[117:118]
	;; [unrolled: 2-line block ×3, first 2 shown]
	v_fma_f64 v[121:122], v[18:19], v[0:1], v[2:3]
	s_waitcnt vmcnt(11) lgkmcnt(5)
	v_mul_f64 v[134:135], v[182:183], v[10:11]
	v_mul_f64 v[137:138], v[180:181], v[10:11]
	s_waitcnt lgkmcnt(4)
	v_mul_f64 v[204:205], v[186:187], v[10:11]
	v_mul_f64 v[206:207], v[184:185], v[10:11]
	s_waitcnt lgkmcnt(3)
	;; [unrolled: 3-line block ×5, first 2 shown]
	v_mul_f64 v[220:221], v[202:203], v[10:11]
	v_mul_f64 v[10:11], v[200:201], v[10:11]
	s_waitcnt vmcnt(10)
	v_add_f64 v[0:1], v[12:13], -v[45:46]
	v_add_f64 v[2:3], v[14:15], -v[49:50]
	s_waitcnt vmcnt(8)
	v_add_f64 v[12:13], v[53:54], -v[77:78]
	v_add_f64 v[14:15], v[55:56], -v[101:102]
	;; [unrolled: 3-line block ×3, first 2 shown]
	v_fma_f64 v[125:126], v[180:181], v[8:9], -v[134:135]
	v_fma_f64 v[130:131], v[182:183], v[8:9], v[137:138]
	v_fma_f64 v[132:133], v[184:185], v[8:9], -v[204:205]
	v_fma_f64 v[134:135], v[186:187], v[8:9], v[206:207]
	;; [unrolled: 2-line block ×6, first 2 shown]
	v_add_f64 v[8:9], v[41:42], -v[61:62]
	v_add_f64 v[10:11], v[43:44], -v[69:70]
	s_waitcnt vmcnt(6)
	v_add_f64 v[41:42], v[65:66], -v[117:118]
	v_add_f64 v[43:44], v[67:68], -v[121:122]
	s_waitcnt vmcnt(5)
	;; [unrolled: 3-line block ×7, first 2 shown]
	v_add_f64 v[85:86], v[97:98], -v[182:183]
	v_add_f64 v[87:88], v[99:100], -v[184:185]
	s_clause 0xb
	scratch_store_b128 off, v[4:7], off offset:816
	scratch_store_b128 off, v[8:11], off offset:864
	;; [unrolled: 1-line block ×12, first 2 shown]
.LBB124_1203:
	s_or_b32 exec_lo, exec_lo, s2
	s_waitcnt_vscnt null, 0x0
	s_barrier
	buffer_gl0_inv
	scratch_load_b128 v[0:3], v161, off
	v_lshl_add_u32 v4, v40, 4, v20
	s_cmp_lt_i32 s5, 53
	s_waitcnt vmcnt(0)
	ds_store_2addr_b64 v4, v[0:1], v[2:3] offset1:1
	s_waitcnt lgkmcnt(0)
	s_barrier
	buffer_gl0_inv
	ds_load_2addr_b64 v[0:3], v20 offset0:102 offset1:103
	v_mov_b32_e32 v4, 51
	s_cbranch_scc1 .LBB124_1206
; %bb.1204:
	v_add3_u32 v5, v38, 0, 0x340
	v_mov_b32_e32 v4, 51
	s_mov_b32 s6, 52
	s_set_inst_prefetch_distance 0x1
	.p2align	6
.LBB124_1205:                           ; =>This Inner Loop Header: Depth=1
	ds_load_2addr_b64 v[6:9], v5 offset1:1
	s_waitcnt lgkmcnt(1)
	v_cmp_gt_f64_e32 vcc_lo, 0, v[0:1]
	v_xor_b32_e32 v10, 0x80000000, v1
	v_cmp_gt_f64_e64 s2, 0, v[2:3]
	v_xor_b32_e32 v12, 0x80000000, v3
	v_add_nc_u32_e32 v5, 16, v5
	s_waitcnt lgkmcnt(0)
	v_cmp_gt_f64_e64 s3, 0, v[6:7]
	v_mov_b32_e32 v14, v6
	v_dual_mov_b32 v16, v8 :: v_dual_cndmask_b32 v11, v1, v10
	v_xor_b32_e32 v10, 0x80000000, v7
	v_cndmask_b32_e64 v13, v3, v12, s2
	v_xor_b32_e32 v12, 0x80000000, v9
	s_delay_alu instid0(VALU_DEP_3) | instskip(SKIP_2) | instid1(VALU_DEP_2)
	v_cndmask_b32_e64 v15, v7, v10, s3
	v_cmp_gt_f64_e64 s3, 0, v[8:9]
	v_cndmask_b32_e32 v10, v0, v0, vcc_lo
	v_cndmask_b32_e64 v17, v9, v12, s3
	v_cndmask_b32_e64 v12, v2, v2, s2
	s_delay_alu instid0(VALU_DEP_2) | instskip(NEXT) | instid1(VALU_DEP_2)
	v_add_f64 v[14:15], v[14:15], v[16:17]
	v_add_f64 v[10:11], v[10:11], v[12:13]
	s_delay_alu instid0(VALU_DEP_1)
	v_cmp_lt_f64_e32 vcc_lo, v[10:11], v[14:15]
	v_cndmask_b32_e32 v3, v3, v9, vcc_lo
	v_dual_cndmask_b32 v1, v1, v7 :: v_dual_cndmask_b32 v0, v0, v6
	v_cndmask_b32_e32 v2, v2, v8, vcc_lo
	v_cndmask_b32_e64 v4, v4, s6, vcc_lo
	s_add_i32 s6, s6, 1
	s_delay_alu instid0(SALU_CYCLE_1)
	s_cmp_lg_u32 s5, s6
	s_cbranch_scc1 .LBB124_1205
.LBB124_1206:
	s_set_inst_prefetch_distance 0x2
	s_waitcnt lgkmcnt(0)
	v_cmp_eq_f64_e32 vcc_lo, 0, v[0:1]
	v_cmp_eq_f64_e64 s2, 0, v[2:3]
	s_delay_alu instid0(VALU_DEP_1) | instskip(NEXT) | instid1(SALU_CYCLE_1)
	s_and_b32 s2, vcc_lo, s2
	s_and_saveexec_b32 s3, s2
	s_delay_alu instid0(SALU_CYCLE_1)
	s_xor_b32 s2, exec_lo, s3
; %bb.1207:
	v_cmp_ne_u32_e32 vcc_lo, 0, v37
	v_cndmask_b32_e32 v37, 52, v37, vcc_lo
; %bb.1208:
	s_and_not1_saveexec_b32 s3, s2
	s_cbranch_execz .LBB124_1214
; %bb.1209:
	v_cmp_gt_f64_e32 vcc_lo, 0, v[0:1]
	v_cmp_gt_f64_e64 s2, 0, v[2:3]
	v_xor_b32_e32 v5, 0x80000000, v1
	v_xor_b32_e32 v7, 0x80000000, v3
	s_delay_alu instid0(VALU_DEP_2) | instskip(NEXT) | instid1(VALU_DEP_2)
	v_dual_cndmask_b32 v6, v1, v5 :: v_dual_cndmask_b32 v5, v0, v0
	v_cndmask_b32_e64 v8, v3, v7, s2
	v_cndmask_b32_e64 v7, v2, v2, s2
	s_mov_b32 s2, exec_lo
	s_delay_alu instid0(VALU_DEP_1)
	v_cmpx_ngt_f64_e32 v[5:6], v[7:8]
	s_xor_b32 s2, exec_lo, s2
	s_cbranch_execz .LBB124_1211
; %bb.1210:
	v_div_scale_f64 v[5:6], null, v[2:3], v[2:3], v[0:1]
	v_div_scale_f64 v[11:12], vcc_lo, v[0:1], v[2:3], v[0:1]
	s_delay_alu instid0(VALU_DEP_2) | instskip(SKIP_2) | instid1(VALU_DEP_1)
	v_rcp_f64_e32 v[7:8], v[5:6]
	s_waitcnt_depctr 0xfff
	v_fma_f64 v[9:10], -v[5:6], v[7:8], 1.0
	v_fma_f64 v[7:8], v[7:8], v[9:10], v[7:8]
	s_delay_alu instid0(VALU_DEP_1) | instskip(NEXT) | instid1(VALU_DEP_1)
	v_fma_f64 v[9:10], -v[5:6], v[7:8], 1.0
	v_fma_f64 v[7:8], v[7:8], v[9:10], v[7:8]
	s_delay_alu instid0(VALU_DEP_1) | instskip(NEXT) | instid1(VALU_DEP_1)
	v_mul_f64 v[9:10], v[11:12], v[7:8]
	v_fma_f64 v[5:6], -v[5:6], v[9:10], v[11:12]
	s_delay_alu instid0(VALU_DEP_1) | instskip(NEXT) | instid1(VALU_DEP_1)
	v_div_fmas_f64 v[5:6], v[5:6], v[7:8], v[9:10]
	v_div_fixup_f64 v[5:6], v[5:6], v[2:3], v[0:1]
	s_delay_alu instid0(VALU_DEP_1) | instskip(NEXT) | instid1(VALU_DEP_1)
	v_fma_f64 v[0:1], v[0:1], v[5:6], v[2:3]
	v_div_scale_f64 v[2:3], null, v[0:1], v[0:1], 1.0
	s_delay_alu instid0(VALU_DEP_1) | instskip(SKIP_2) | instid1(VALU_DEP_1)
	v_rcp_f64_e32 v[7:8], v[2:3]
	s_waitcnt_depctr 0xfff
	v_fma_f64 v[9:10], -v[2:3], v[7:8], 1.0
	v_fma_f64 v[7:8], v[7:8], v[9:10], v[7:8]
	s_delay_alu instid0(VALU_DEP_1) | instskip(NEXT) | instid1(VALU_DEP_1)
	v_fma_f64 v[9:10], -v[2:3], v[7:8], 1.0
	v_fma_f64 v[7:8], v[7:8], v[9:10], v[7:8]
	v_div_scale_f64 v[9:10], vcc_lo, 1.0, v[0:1], 1.0
	s_delay_alu instid0(VALU_DEP_1) | instskip(NEXT) | instid1(VALU_DEP_1)
	v_mul_f64 v[11:12], v[9:10], v[7:8]
	v_fma_f64 v[2:3], -v[2:3], v[11:12], v[9:10]
	s_delay_alu instid0(VALU_DEP_1) | instskip(NEXT) | instid1(VALU_DEP_1)
	v_div_fmas_f64 v[2:3], v[2:3], v[7:8], v[11:12]
	v_div_fixup_f64 v[2:3], v[2:3], v[0:1], 1.0
	s_delay_alu instid0(VALU_DEP_1)
	v_mul_f64 v[0:1], v[5:6], v[2:3]
	v_xor_b32_e32 v3, 0x80000000, v3
.LBB124_1211:
	s_and_not1_saveexec_b32 s2, s2
	s_cbranch_execz .LBB124_1213
; %bb.1212:
	s_delay_alu instid0(VALU_DEP_1) | instskip(SKIP_1) | instid1(VALU_DEP_2)
	v_div_scale_f64 v[5:6], null, v[0:1], v[0:1], v[2:3]
	v_div_scale_f64 v[11:12], vcc_lo, v[2:3], v[0:1], v[2:3]
	v_rcp_f64_e32 v[7:8], v[5:6]
	s_waitcnt_depctr 0xfff
	v_fma_f64 v[9:10], -v[5:6], v[7:8], 1.0
	s_delay_alu instid0(VALU_DEP_1) | instskip(NEXT) | instid1(VALU_DEP_1)
	v_fma_f64 v[7:8], v[7:8], v[9:10], v[7:8]
	v_fma_f64 v[9:10], -v[5:6], v[7:8], 1.0
	s_delay_alu instid0(VALU_DEP_1) | instskip(NEXT) | instid1(VALU_DEP_1)
	v_fma_f64 v[7:8], v[7:8], v[9:10], v[7:8]
	v_mul_f64 v[9:10], v[11:12], v[7:8]
	s_delay_alu instid0(VALU_DEP_1) | instskip(NEXT) | instid1(VALU_DEP_1)
	v_fma_f64 v[5:6], -v[5:6], v[9:10], v[11:12]
	v_div_fmas_f64 v[5:6], v[5:6], v[7:8], v[9:10]
	s_delay_alu instid0(VALU_DEP_1) | instskip(NEXT) | instid1(VALU_DEP_1)
	v_div_fixup_f64 v[5:6], v[5:6], v[0:1], v[2:3]
	v_fma_f64 v[0:1], v[2:3], v[5:6], v[0:1]
	s_delay_alu instid0(VALU_DEP_1) | instskip(NEXT) | instid1(VALU_DEP_1)
	v_div_scale_f64 v[2:3], null, v[0:1], v[0:1], 1.0
	v_rcp_f64_e32 v[7:8], v[2:3]
	s_waitcnt_depctr 0xfff
	v_fma_f64 v[9:10], -v[2:3], v[7:8], 1.0
	s_delay_alu instid0(VALU_DEP_1) | instskip(NEXT) | instid1(VALU_DEP_1)
	v_fma_f64 v[7:8], v[7:8], v[9:10], v[7:8]
	v_fma_f64 v[9:10], -v[2:3], v[7:8], 1.0
	s_delay_alu instid0(VALU_DEP_1) | instskip(SKIP_1) | instid1(VALU_DEP_1)
	v_fma_f64 v[7:8], v[7:8], v[9:10], v[7:8]
	v_div_scale_f64 v[9:10], vcc_lo, 1.0, v[0:1], 1.0
	v_mul_f64 v[11:12], v[9:10], v[7:8]
	s_delay_alu instid0(VALU_DEP_1) | instskip(NEXT) | instid1(VALU_DEP_1)
	v_fma_f64 v[2:3], -v[2:3], v[11:12], v[9:10]
	v_div_fmas_f64 v[2:3], v[2:3], v[7:8], v[11:12]
	s_delay_alu instid0(VALU_DEP_1) | instskip(NEXT) | instid1(VALU_DEP_1)
	v_div_fixup_f64 v[0:1], v[2:3], v[0:1], 1.0
	v_mul_f64 v[2:3], v[5:6], -v[0:1]
.LBB124_1213:
	s_or_b32 exec_lo, exec_lo, s2
.LBB124_1214:
	s_delay_alu instid0(SALU_CYCLE_1) | instskip(NEXT) | instid1(SALU_CYCLE_1)
	s_or_b32 exec_lo, exec_lo, s3
	s_mov_b32 s2, exec_lo
	v_cmpx_ne_u32_e64 v40, v4
	s_xor_b32 s2, exec_lo, s2
	s_cbranch_execz .LBB124_1220
; %bb.1215:
	s_mov_b32 s3, exec_lo
	v_cmpx_eq_u32_e32 51, v40
	s_cbranch_execz .LBB124_1219
; %bb.1216:
	v_cmp_ne_u32_e32 vcc_lo, 51, v4
	s_xor_b32 s6, s4, -1
	s_delay_alu instid0(SALU_CYCLE_1) | instskip(NEXT) | instid1(SALU_CYCLE_1)
	s_and_b32 s7, s6, vcc_lo
	s_and_saveexec_b32 s6, s7
	s_cbranch_execz .LBB124_1218
; %bb.1217:
	v_ashrrev_i32_e32 v5, 31, v4
	s_delay_alu instid0(VALU_DEP_1) | instskip(NEXT) | instid1(VALU_DEP_1)
	v_lshlrev_b64 v[5:6], 2, v[4:5]
	v_add_co_u32 v5, vcc_lo, v145, v5
	s_delay_alu instid0(VALU_DEP_2)
	v_add_co_ci_u32_e32 v6, vcc_lo, v146, v6, vcc_lo
	s_clause 0x1
	flat_load_b32 v7, v[5:6]
	flat_load_b32 v8, v[145:146] offset:204
	s_waitcnt vmcnt(1) lgkmcnt(1)
	flat_store_b32 v[145:146], v7 offset:204
	s_waitcnt vmcnt(0) lgkmcnt(1)
	flat_store_b32 v[5:6], v8
.LBB124_1218:
	s_or_b32 exec_lo, exec_lo, s6
	v_mov_b32_e32 v40, v4
	v_mov_b32_e32 v39, v4
.LBB124_1219:
	s_or_b32 exec_lo, exec_lo, s3
.LBB124_1220:
	s_and_not1_saveexec_b32 s2, s2
	s_cbranch_execz .LBB124_1222
; %bb.1221:
	s_clause 0xa
	scratch_load_b128 v[4:7], v160, off
	scratch_load_b128 v[8:11], v159, off
	;; [unrolled: 1-line block ×11, first 2 shown]
	v_mov_b32_e32 v40, 51
	s_waitcnt vmcnt(10)
	ds_store_2addr_b64 v20, v[4:5], v[6:7] offset0:104 offset1:105
	s_waitcnt vmcnt(9)
	ds_store_2addr_b64 v20, v[8:9], v[10:11] offset0:106 offset1:107
	;; [unrolled: 2-line block ×11, first 2 shown]
.LBB124_1222:
	s_or_b32 exec_lo, exec_lo, s2
	s_delay_alu instid0(SALU_CYCLE_1)
	s_mov_b32 s2, exec_lo
	s_waitcnt lgkmcnt(0)
	s_waitcnt_vscnt null, 0x0
	s_barrier
	buffer_gl0_inv
	v_cmpx_lt_i32_e32 51, v40
	s_cbranch_execz .LBB124_1224
; %bb.1223:
	s_clause 0x1
	scratch_load_b128 v[4:7], off, off offset:816
	scratch_load_b128 v[8:11], off, off offset:832
	s_waitcnt vmcnt(1)
	v_mul_f64 v[12:13], v[0:1], v[6:7]
	v_mul_f64 v[6:7], v[2:3], v[6:7]
	s_delay_alu instid0(VALU_DEP_2)
	v_fma_f64 v[2:3], v[2:3], v[4:5], v[12:13]
	ds_load_2addr_b64 v[12:15], v20 offset0:104 offset1:105
	ds_load_2addr_b64 v[16:19], v20 offset0:106 offset1:107
	v_fma_f64 v[0:1], v[0:1], v[4:5], -v[6:7]
	s_waitcnt lgkmcnt(1)
	v_mul_f64 v[4:5], v[14:15], v[2:3]
	v_mul_f64 v[6:7], v[12:13], v[2:3]
	scratch_store_b128 off, v[0:3], off offset:816
	s_waitcnt lgkmcnt(0)
	v_mul_f64 v[125:126], v[18:19], v[2:3]
	v_fma_f64 v[4:5], v[12:13], v[0:1], -v[4:5]
	v_fma_f64 v[6:7], v[14:15], v[0:1], v[6:7]
	s_waitcnt vmcnt(0)
	s_delay_alu instid0(VALU_DEP_2) | instskip(NEXT) | instid1(VALU_DEP_2)
	v_add_f64 v[4:5], v[8:9], -v[4:5]
	v_add_f64 v[6:7], v[10:11], -v[6:7]
	s_clause 0xa
	scratch_load_b128 v[8:11], off, off offset:816
	scratch_load_b128 v[12:15], off, off offset:864
	;; [unrolled: 1-line block ×11, first 2 shown]
	ds_load_2addr_b64 v[97:100], v20 offset0:108 offset1:109
	ds_load_2addr_b64 v[101:104], v20 offset0:110 offset1:111
	;; [unrolled: 1-line block ×9, first 2 shown]
	s_waitcnt lgkmcnt(8)
	v_mul_f64 v[45:46], v[99:100], v[2:3]
	s_waitcnt lgkmcnt(7)
	v_mul_f64 v[61:62], v[103:104], v[2:3]
	v_mul_f64 v[69:70], v[101:102], v[2:3]
	;; [unrolled: 1-line block ×3, first 2 shown]
	s_waitcnt lgkmcnt(6)
	v_mul_f64 v[77:78], v[132:133], v[2:3]
	v_mul_f64 v[113:114], v[130:131], v[2:3]
	s_waitcnt lgkmcnt(5)
	v_mul_f64 v[117:118], v[143:144], v[2:3]
	v_mul_f64 v[121:122], v[141:142], v[2:3]
	;; [unrolled: 1-line block ×3, first 2 shown]
	v_fma_f64 v[45:46], v[97:98], v[0:1], -v[45:46]
	v_fma_f64 v[61:62], v[101:102], v[0:1], -v[61:62]
	v_fma_f64 v[69:70], v[103:104], v[0:1], v[69:70]
	v_fma_f64 v[49:50], v[99:100], v[0:1], v[49:50]
	v_fma_f64 v[77:78], v[130:131], v[0:1], -v[77:78]
	v_fma_f64 v[97:98], v[132:133], v[0:1], v[113:114]
	v_fma_f64 v[103:104], v[16:17], v[0:1], -v[125:126]
	v_fma_f64 v[99:100], v[141:142], v[0:1], -v[117:118]
	v_fma_f64 v[113:114], v[18:19], v[0:1], v[2:3]
	v_fma_f64 v[101:102], v[143:144], v[0:1], v[121:122]
	s_waitcnt vmcnt(10) lgkmcnt(4)
	v_mul_f64 v[134:135], v[178:179], v[10:11]
	v_mul_f64 v[137:138], v[176:177], v[10:11]
	s_waitcnt lgkmcnt(3)
	v_mul_f64 v[196:197], v[182:183], v[10:11]
	v_mul_f64 v[198:199], v[180:181], v[10:11]
	s_waitcnt lgkmcnt(2)
	v_mul_f64 v[200:201], v[186:187], v[10:11]
	v_mul_f64 v[202:203], v[184:185], v[10:11]
	s_waitcnt lgkmcnt(1)
	v_mul_f64 v[204:205], v[190:191], v[10:11]
	v_mul_f64 v[206:207], v[188:189], v[10:11]
	s_waitcnt lgkmcnt(0)
	v_mul_f64 v[208:209], v[194:195], v[10:11]
	v_mul_f64 v[10:11], v[192:193], v[10:11]
	s_waitcnt vmcnt(9)
	v_add_f64 v[0:1], v[12:13], -v[45:46]
	v_add_f64 v[2:3], v[14:15], -v[49:50]
	s_waitcnt vmcnt(7)
	v_add_f64 v[12:13], v[53:54], -v[77:78]
	v_add_f64 v[14:15], v[55:56], -v[97:98]
	s_waitcnt vmcnt(6)
	v_add_f64 v[16:17], v[57:58], -v[99:100]
	v_add_f64 v[18:19], v[59:60], -v[101:102]
	v_fma_f64 v[117:118], v[176:177], v[8:9], -v[134:135]
	v_fma_f64 v[121:122], v[178:179], v[8:9], v[137:138]
	v_fma_f64 v[125:126], v[180:181], v[8:9], -v[196:197]
	v_fma_f64 v[130:131], v[182:183], v[8:9], v[198:199]
	;; [unrolled: 2-line block ×5, first 2 shown]
	v_add_f64 v[8:9], v[41:42], -v[61:62]
	v_add_f64 v[10:11], v[43:44], -v[69:70]
	s_waitcnt vmcnt(5)
	v_add_f64 v[41:42], v[65:66], -v[103:104]
	v_add_f64 v[43:44], v[67:68], -v[113:114]
	s_waitcnt vmcnt(4)
	;; [unrolled: 3-line block ×6, first 2 shown]
	v_add_f64 v[81:82], v[93:94], -v[143:144]
	v_add_f64 v[83:84], v[95:96], -v[176:177]
	s_clause 0xa
	scratch_store_b128 off, v[4:7], off offset:832
	scratch_store_b128 off, v[8:11], off offset:880
	;; [unrolled: 1-line block ×11, first 2 shown]
.LBB124_1224:
	s_or_b32 exec_lo, exec_lo, s2
	s_waitcnt_vscnt null, 0x0
	s_barrier
	buffer_gl0_inv
	scratch_load_b128 v[0:3], v160, off
	v_lshl_add_u32 v4, v40, 4, v20
	s_cmp_lt_i32 s5, 54
	s_waitcnt vmcnt(0)
	ds_store_2addr_b64 v4, v[0:1], v[2:3] offset1:1
	s_waitcnt lgkmcnt(0)
	s_barrier
	buffer_gl0_inv
	ds_load_2addr_b64 v[0:3], v20 offset0:104 offset1:105
	v_mov_b32_e32 v4, 52
	s_cbranch_scc1 .LBB124_1227
; %bb.1225:
	v_add3_u32 v5, v38, 0, 0x350
	v_mov_b32_e32 v4, 52
	s_mov_b32 s6, 53
	s_set_inst_prefetch_distance 0x1
	.p2align	6
.LBB124_1226:                           ; =>This Inner Loop Header: Depth=1
	ds_load_2addr_b64 v[6:9], v5 offset1:1
	s_waitcnt lgkmcnt(1)
	v_cmp_gt_f64_e32 vcc_lo, 0, v[0:1]
	v_xor_b32_e32 v10, 0x80000000, v1
	v_cmp_gt_f64_e64 s2, 0, v[2:3]
	v_xor_b32_e32 v12, 0x80000000, v3
	v_add_nc_u32_e32 v5, 16, v5
	s_waitcnt lgkmcnt(0)
	v_cmp_gt_f64_e64 s3, 0, v[6:7]
	v_mov_b32_e32 v14, v6
	v_dual_mov_b32 v16, v8 :: v_dual_cndmask_b32 v11, v1, v10
	v_xor_b32_e32 v10, 0x80000000, v7
	v_cndmask_b32_e64 v13, v3, v12, s2
	v_xor_b32_e32 v12, 0x80000000, v9
	s_delay_alu instid0(VALU_DEP_3) | instskip(SKIP_2) | instid1(VALU_DEP_2)
	v_cndmask_b32_e64 v15, v7, v10, s3
	v_cmp_gt_f64_e64 s3, 0, v[8:9]
	v_cndmask_b32_e32 v10, v0, v0, vcc_lo
	v_cndmask_b32_e64 v17, v9, v12, s3
	v_cndmask_b32_e64 v12, v2, v2, s2
	s_delay_alu instid0(VALU_DEP_2) | instskip(NEXT) | instid1(VALU_DEP_2)
	v_add_f64 v[14:15], v[14:15], v[16:17]
	v_add_f64 v[10:11], v[10:11], v[12:13]
	s_delay_alu instid0(VALU_DEP_1)
	v_cmp_lt_f64_e32 vcc_lo, v[10:11], v[14:15]
	v_cndmask_b32_e32 v3, v3, v9, vcc_lo
	v_dual_cndmask_b32 v1, v1, v7 :: v_dual_cndmask_b32 v0, v0, v6
	v_cndmask_b32_e32 v2, v2, v8, vcc_lo
	v_cndmask_b32_e64 v4, v4, s6, vcc_lo
	s_add_i32 s6, s6, 1
	s_delay_alu instid0(SALU_CYCLE_1)
	s_cmp_lg_u32 s5, s6
	s_cbranch_scc1 .LBB124_1226
.LBB124_1227:
	s_set_inst_prefetch_distance 0x2
	s_waitcnt lgkmcnt(0)
	v_cmp_eq_f64_e32 vcc_lo, 0, v[0:1]
	v_cmp_eq_f64_e64 s2, 0, v[2:3]
	s_delay_alu instid0(VALU_DEP_1) | instskip(NEXT) | instid1(SALU_CYCLE_1)
	s_and_b32 s2, vcc_lo, s2
	s_and_saveexec_b32 s3, s2
	s_delay_alu instid0(SALU_CYCLE_1)
	s_xor_b32 s2, exec_lo, s3
; %bb.1228:
	v_cmp_ne_u32_e32 vcc_lo, 0, v37
	v_cndmask_b32_e32 v37, 53, v37, vcc_lo
; %bb.1229:
	s_and_not1_saveexec_b32 s3, s2
	s_cbranch_execz .LBB124_1235
; %bb.1230:
	v_cmp_gt_f64_e32 vcc_lo, 0, v[0:1]
	v_cmp_gt_f64_e64 s2, 0, v[2:3]
	v_xor_b32_e32 v5, 0x80000000, v1
	v_xor_b32_e32 v7, 0x80000000, v3
	s_delay_alu instid0(VALU_DEP_2) | instskip(NEXT) | instid1(VALU_DEP_2)
	v_dual_cndmask_b32 v6, v1, v5 :: v_dual_cndmask_b32 v5, v0, v0
	v_cndmask_b32_e64 v8, v3, v7, s2
	v_cndmask_b32_e64 v7, v2, v2, s2
	s_mov_b32 s2, exec_lo
	s_delay_alu instid0(VALU_DEP_1)
	v_cmpx_ngt_f64_e32 v[5:6], v[7:8]
	s_xor_b32 s2, exec_lo, s2
	s_cbranch_execz .LBB124_1232
; %bb.1231:
	v_div_scale_f64 v[5:6], null, v[2:3], v[2:3], v[0:1]
	v_div_scale_f64 v[11:12], vcc_lo, v[0:1], v[2:3], v[0:1]
	s_delay_alu instid0(VALU_DEP_2) | instskip(SKIP_2) | instid1(VALU_DEP_1)
	v_rcp_f64_e32 v[7:8], v[5:6]
	s_waitcnt_depctr 0xfff
	v_fma_f64 v[9:10], -v[5:6], v[7:8], 1.0
	v_fma_f64 v[7:8], v[7:8], v[9:10], v[7:8]
	s_delay_alu instid0(VALU_DEP_1) | instskip(NEXT) | instid1(VALU_DEP_1)
	v_fma_f64 v[9:10], -v[5:6], v[7:8], 1.0
	v_fma_f64 v[7:8], v[7:8], v[9:10], v[7:8]
	s_delay_alu instid0(VALU_DEP_1) | instskip(NEXT) | instid1(VALU_DEP_1)
	v_mul_f64 v[9:10], v[11:12], v[7:8]
	v_fma_f64 v[5:6], -v[5:6], v[9:10], v[11:12]
	s_delay_alu instid0(VALU_DEP_1) | instskip(NEXT) | instid1(VALU_DEP_1)
	v_div_fmas_f64 v[5:6], v[5:6], v[7:8], v[9:10]
	v_div_fixup_f64 v[5:6], v[5:6], v[2:3], v[0:1]
	s_delay_alu instid0(VALU_DEP_1) | instskip(NEXT) | instid1(VALU_DEP_1)
	v_fma_f64 v[0:1], v[0:1], v[5:6], v[2:3]
	v_div_scale_f64 v[2:3], null, v[0:1], v[0:1], 1.0
	s_delay_alu instid0(VALU_DEP_1) | instskip(SKIP_2) | instid1(VALU_DEP_1)
	v_rcp_f64_e32 v[7:8], v[2:3]
	s_waitcnt_depctr 0xfff
	v_fma_f64 v[9:10], -v[2:3], v[7:8], 1.0
	v_fma_f64 v[7:8], v[7:8], v[9:10], v[7:8]
	s_delay_alu instid0(VALU_DEP_1) | instskip(NEXT) | instid1(VALU_DEP_1)
	v_fma_f64 v[9:10], -v[2:3], v[7:8], 1.0
	v_fma_f64 v[7:8], v[7:8], v[9:10], v[7:8]
	v_div_scale_f64 v[9:10], vcc_lo, 1.0, v[0:1], 1.0
	s_delay_alu instid0(VALU_DEP_1) | instskip(NEXT) | instid1(VALU_DEP_1)
	v_mul_f64 v[11:12], v[9:10], v[7:8]
	v_fma_f64 v[2:3], -v[2:3], v[11:12], v[9:10]
	s_delay_alu instid0(VALU_DEP_1) | instskip(NEXT) | instid1(VALU_DEP_1)
	v_div_fmas_f64 v[2:3], v[2:3], v[7:8], v[11:12]
	v_div_fixup_f64 v[2:3], v[2:3], v[0:1], 1.0
	s_delay_alu instid0(VALU_DEP_1)
	v_mul_f64 v[0:1], v[5:6], v[2:3]
	v_xor_b32_e32 v3, 0x80000000, v3
.LBB124_1232:
	s_and_not1_saveexec_b32 s2, s2
	s_cbranch_execz .LBB124_1234
; %bb.1233:
	s_delay_alu instid0(VALU_DEP_1) | instskip(SKIP_1) | instid1(VALU_DEP_2)
	v_div_scale_f64 v[5:6], null, v[0:1], v[0:1], v[2:3]
	v_div_scale_f64 v[11:12], vcc_lo, v[2:3], v[0:1], v[2:3]
	v_rcp_f64_e32 v[7:8], v[5:6]
	s_waitcnt_depctr 0xfff
	v_fma_f64 v[9:10], -v[5:6], v[7:8], 1.0
	s_delay_alu instid0(VALU_DEP_1) | instskip(NEXT) | instid1(VALU_DEP_1)
	v_fma_f64 v[7:8], v[7:8], v[9:10], v[7:8]
	v_fma_f64 v[9:10], -v[5:6], v[7:8], 1.0
	s_delay_alu instid0(VALU_DEP_1) | instskip(NEXT) | instid1(VALU_DEP_1)
	v_fma_f64 v[7:8], v[7:8], v[9:10], v[7:8]
	v_mul_f64 v[9:10], v[11:12], v[7:8]
	s_delay_alu instid0(VALU_DEP_1) | instskip(NEXT) | instid1(VALU_DEP_1)
	v_fma_f64 v[5:6], -v[5:6], v[9:10], v[11:12]
	v_div_fmas_f64 v[5:6], v[5:6], v[7:8], v[9:10]
	s_delay_alu instid0(VALU_DEP_1) | instskip(NEXT) | instid1(VALU_DEP_1)
	v_div_fixup_f64 v[5:6], v[5:6], v[0:1], v[2:3]
	v_fma_f64 v[0:1], v[2:3], v[5:6], v[0:1]
	s_delay_alu instid0(VALU_DEP_1) | instskip(NEXT) | instid1(VALU_DEP_1)
	v_div_scale_f64 v[2:3], null, v[0:1], v[0:1], 1.0
	v_rcp_f64_e32 v[7:8], v[2:3]
	s_waitcnt_depctr 0xfff
	v_fma_f64 v[9:10], -v[2:3], v[7:8], 1.0
	s_delay_alu instid0(VALU_DEP_1) | instskip(NEXT) | instid1(VALU_DEP_1)
	v_fma_f64 v[7:8], v[7:8], v[9:10], v[7:8]
	v_fma_f64 v[9:10], -v[2:3], v[7:8], 1.0
	s_delay_alu instid0(VALU_DEP_1) | instskip(SKIP_1) | instid1(VALU_DEP_1)
	v_fma_f64 v[7:8], v[7:8], v[9:10], v[7:8]
	v_div_scale_f64 v[9:10], vcc_lo, 1.0, v[0:1], 1.0
	v_mul_f64 v[11:12], v[9:10], v[7:8]
	s_delay_alu instid0(VALU_DEP_1) | instskip(NEXT) | instid1(VALU_DEP_1)
	v_fma_f64 v[2:3], -v[2:3], v[11:12], v[9:10]
	v_div_fmas_f64 v[2:3], v[2:3], v[7:8], v[11:12]
	s_delay_alu instid0(VALU_DEP_1) | instskip(NEXT) | instid1(VALU_DEP_1)
	v_div_fixup_f64 v[0:1], v[2:3], v[0:1], 1.0
	v_mul_f64 v[2:3], v[5:6], -v[0:1]
.LBB124_1234:
	s_or_b32 exec_lo, exec_lo, s2
.LBB124_1235:
	s_delay_alu instid0(SALU_CYCLE_1) | instskip(NEXT) | instid1(SALU_CYCLE_1)
	s_or_b32 exec_lo, exec_lo, s3
	s_mov_b32 s2, exec_lo
	v_cmpx_ne_u32_e64 v40, v4
	s_xor_b32 s2, exec_lo, s2
	s_cbranch_execz .LBB124_1241
; %bb.1236:
	s_mov_b32 s3, exec_lo
	v_cmpx_eq_u32_e32 52, v40
	s_cbranch_execz .LBB124_1240
; %bb.1237:
	v_cmp_ne_u32_e32 vcc_lo, 52, v4
	s_xor_b32 s6, s4, -1
	s_delay_alu instid0(SALU_CYCLE_1) | instskip(NEXT) | instid1(SALU_CYCLE_1)
	s_and_b32 s7, s6, vcc_lo
	s_and_saveexec_b32 s6, s7
	s_cbranch_execz .LBB124_1239
; %bb.1238:
	v_ashrrev_i32_e32 v5, 31, v4
	s_delay_alu instid0(VALU_DEP_1) | instskip(NEXT) | instid1(VALU_DEP_1)
	v_lshlrev_b64 v[5:6], 2, v[4:5]
	v_add_co_u32 v5, vcc_lo, v145, v5
	s_delay_alu instid0(VALU_DEP_2)
	v_add_co_ci_u32_e32 v6, vcc_lo, v146, v6, vcc_lo
	s_clause 0x1
	flat_load_b32 v7, v[5:6]
	flat_load_b32 v8, v[145:146] offset:208
	s_waitcnt vmcnt(1) lgkmcnt(1)
	flat_store_b32 v[145:146], v7 offset:208
	s_waitcnt vmcnt(0) lgkmcnt(1)
	flat_store_b32 v[5:6], v8
.LBB124_1239:
	s_or_b32 exec_lo, exec_lo, s6
	v_mov_b32_e32 v40, v4
	v_mov_b32_e32 v39, v4
.LBB124_1240:
	s_or_b32 exec_lo, exec_lo, s3
.LBB124_1241:
	s_and_not1_saveexec_b32 s2, s2
	s_cbranch_execz .LBB124_1243
; %bb.1242:
	s_clause 0x9
	scratch_load_b128 v[4:7], v159, off
	scratch_load_b128 v[8:11], v158, off
	;; [unrolled: 1-line block ×10, first 2 shown]
	v_mov_b32_e32 v40, 52
	s_waitcnt vmcnt(9)
	ds_store_2addr_b64 v20, v[4:5], v[6:7] offset0:106 offset1:107
	s_waitcnt vmcnt(8)
	ds_store_2addr_b64 v20, v[8:9], v[10:11] offset0:108 offset1:109
	;; [unrolled: 2-line block ×10, first 2 shown]
.LBB124_1243:
	s_or_b32 exec_lo, exec_lo, s2
	s_delay_alu instid0(SALU_CYCLE_1)
	s_mov_b32 s2, exec_lo
	s_waitcnt lgkmcnt(0)
	s_waitcnt_vscnt null, 0x0
	s_barrier
	buffer_gl0_inv
	v_cmpx_lt_i32_e32 52, v40
	s_cbranch_execz .LBB124_1245
; %bb.1244:
	s_clause 0x1
	scratch_load_b128 v[4:7], off, off offset:832
	scratch_load_b128 v[8:11], off, off offset:848
	s_waitcnt vmcnt(1)
	v_mul_f64 v[12:13], v[0:1], v[6:7]
	v_mul_f64 v[6:7], v[2:3], v[6:7]
	s_delay_alu instid0(VALU_DEP_2)
	v_fma_f64 v[2:3], v[2:3], v[4:5], v[12:13]
	ds_load_2addr_b64 v[12:15], v20 offset0:106 offset1:107
	ds_load_2addr_b64 v[16:19], v20 offset0:108 offset1:109
	v_fma_f64 v[0:1], v[0:1], v[4:5], -v[6:7]
	s_waitcnt lgkmcnt(1)
	v_mul_f64 v[4:5], v[14:15], v[2:3]
	v_mul_f64 v[6:7], v[12:13], v[2:3]
	scratch_store_b128 off, v[0:3], off offset:832
	s_waitcnt lgkmcnt(0)
	v_mul_f64 v[125:126], v[18:19], v[2:3]
	v_fma_f64 v[4:5], v[12:13], v[0:1], -v[4:5]
	v_fma_f64 v[6:7], v[14:15], v[0:1], v[6:7]
	s_waitcnt vmcnt(0)
	s_delay_alu instid0(VALU_DEP_2) | instskip(NEXT) | instid1(VALU_DEP_2)
	v_add_f64 v[4:5], v[8:9], -v[4:5]
	v_add_f64 v[6:7], v[10:11], -v[6:7]
	s_clause 0x9
	scratch_load_b128 v[8:11], off, off offset:832
	scratch_load_b128 v[12:15], off, off offset:880
	;; [unrolled: 1-line block ×10, first 2 shown]
	ds_load_2addr_b64 v[93:96], v20 offset0:110 offset1:111
	ds_load_2addr_b64 v[97:100], v20 offset0:112 offset1:113
	;; [unrolled: 1-line block ×8, first 2 shown]
	s_waitcnt lgkmcnt(7)
	v_mul_f64 v[45:46], v[95:96], v[2:3]
	s_waitcnt lgkmcnt(6)
	v_mul_f64 v[61:62], v[99:100], v[2:3]
	v_mul_f64 v[69:70], v[97:98], v[2:3]
	;; [unrolled: 1-line block ×3, first 2 shown]
	s_waitcnt lgkmcnt(5)
	v_mul_f64 v[77:78], v[103:104], v[2:3]
	v_mul_f64 v[113:114], v[101:102], v[2:3]
	s_waitcnt lgkmcnt(4)
	v_mul_f64 v[117:118], v[132:133], v[2:3]
	v_mul_f64 v[121:122], v[130:131], v[2:3]
	;; [unrolled: 1-line block ×3, first 2 shown]
	v_fma_f64 v[45:46], v[93:94], v[0:1], -v[45:46]
	v_fma_f64 v[61:62], v[97:98], v[0:1], -v[61:62]
	v_fma_f64 v[69:70], v[99:100], v[0:1], v[69:70]
	v_fma_f64 v[49:50], v[95:96], v[0:1], v[49:50]
	v_fma_f64 v[77:78], v[101:102], v[0:1], -v[77:78]
	v_fma_f64 v[93:94], v[103:104], v[0:1], v[113:114]
	v_fma_f64 v[99:100], v[16:17], v[0:1], -v[125:126]
	v_fma_f64 v[95:96], v[130:131], v[0:1], -v[117:118]
	v_fma_f64 v[101:102], v[18:19], v[0:1], v[2:3]
	v_fma_f64 v[97:98], v[132:133], v[0:1], v[121:122]
	s_waitcnt vmcnt(9) lgkmcnt(3)
	v_mul_f64 v[134:135], v[143:144], v[10:11]
	v_mul_f64 v[137:138], v[141:142], v[10:11]
	s_waitcnt lgkmcnt(2)
	v_mul_f64 v[188:189], v[178:179], v[10:11]
	v_mul_f64 v[190:191], v[176:177], v[10:11]
	s_waitcnt lgkmcnt(1)
	;; [unrolled: 3-line block ×3, first 2 shown]
	v_mul_f64 v[196:197], v[186:187], v[10:11]
	v_mul_f64 v[10:11], v[184:185], v[10:11]
	s_waitcnt vmcnt(8)
	v_add_f64 v[0:1], v[12:13], -v[45:46]
	v_add_f64 v[2:3], v[14:15], -v[49:50]
	s_waitcnt vmcnt(6)
	v_add_f64 v[12:13], v[53:54], -v[77:78]
	v_add_f64 v[14:15], v[55:56], -v[93:94]
	;; [unrolled: 3-line block ×3, first 2 shown]
	v_fma_f64 v[103:104], v[141:142], v[8:9], -v[134:135]
	v_fma_f64 v[113:114], v[143:144], v[8:9], v[137:138]
	v_fma_f64 v[117:118], v[176:177], v[8:9], -v[188:189]
	v_fma_f64 v[121:122], v[178:179], v[8:9], v[190:191]
	;; [unrolled: 2-line block ×4, first 2 shown]
	v_add_f64 v[8:9], v[41:42], -v[61:62]
	v_add_f64 v[10:11], v[43:44], -v[69:70]
	s_waitcnt vmcnt(4)
	v_add_f64 v[41:42], v[65:66], -v[99:100]
	v_add_f64 v[43:44], v[67:68], -v[101:102]
	s_waitcnt vmcnt(3)
	;; [unrolled: 3-line block ×5, first 2 shown]
	v_add_f64 v[73:74], v[89:90], -v[132:133]
	v_add_f64 v[75:76], v[91:92], -v[134:135]
	s_clause 0x9
	scratch_store_b128 off, v[4:7], off offset:848
	scratch_store_b128 off, v[8:11], off offset:896
	;; [unrolled: 1-line block ×10, first 2 shown]
.LBB124_1245:
	s_or_b32 exec_lo, exec_lo, s2
	s_waitcnt_vscnt null, 0x0
	s_barrier
	buffer_gl0_inv
	scratch_load_b128 v[0:3], v159, off
	v_lshl_add_u32 v4, v40, 4, v20
	s_cmp_lt_i32 s5, 55
	s_waitcnt vmcnt(0)
	ds_store_2addr_b64 v4, v[0:1], v[2:3] offset1:1
	s_waitcnt lgkmcnt(0)
	s_barrier
	buffer_gl0_inv
	ds_load_2addr_b64 v[0:3], v20 offset0:106 offset1:107
	v_mov_b32_e32 v4, 53
	s_cbranch_scc1 .LBB124_1248
; %bb.1246:
	v_add3_u32 v5, v38, 0, 0x360
	v_mov_b32_e32 v4, 53
	s_mov_b32 s6, 54
	s_set_inst_prefetch_distance 0x1
	.p2align	6
.LBB124_1247:                           ; =>This Inner Loop Header: Depth=1
	ds_load_2addr_b64 v[6:9], v5 offset1:1
	s_waitcnt lgkmcnt(1)
	v_cmp_gt_f64_e32 vcc_lo, 0, v[0:1]
	v_xor_b32_e32 v10, 0x80000000, v1
	v_cmp_gt_f64_e64 s2, 0, v[2:3]
	v_xor_b32_e32 v12, 0x80000000, v3
	v_add_nc_u32_e32 v5, 16, v5
	s_waitcnt lgkmcnt(0)
	v_cmp_gt_f64_e64 s3, 0, v[6:7]
	v_mov_b32_e32 v14, v6
	v_dual_mov_b32 v16, v8 :: v_dual_cndmask_b32 v11, v1, v10
	v_xor_b32_e32 v10, 0x80000000, v7
	v_cndmask_b32_e64 v13, v3, v12, s2
	v_xor_b32_e32 v12, 0x80000000, v9
	s_delay_alu instid0(VALU_DEP_3) | instskip(SKIP_2) | instid1(VALU_DEP_2)
	v_cndmask_b32_e64 v15, v7, v10, s3
	v_cmp_gt_f64_e64 s3, 0, v[8:9]
	v_cndmask_b32_e32 v10, v0, v0, vcc_lo
	v_cndmask_b32_e64 v17, v9, v12, s3
	v_cndmask_b32_e64 v12, v2, v2, s2
	s_delay_alu instid0(VALU_DEP_2) | instskip(NEXT) | instid1(VALU_DEP_2)
	v_add_f64 v[14:15], v[14:15], v[16:17]
	v_add_f64 v[10:11], v[10:11], v[12:13]
	s_delay_alu instid0(VALU_DEP_1)
	v_cmp_lt_f64_e32 vcc_lo, v[10:11], v[14:15]
	v_cndmask_b32_e32 v3, v3, v9, vcc_lo
	v_dual_cndmask_b32 v1, v1, v7 :: v_dual_cndmask_b32 v0, v0, v6
	v_cndmask_b32_e32 v2, v2, v8, vcc_lo
	v_cndmask_b32_e64 v4, v4, s6, vcc_lo
	s_add_i32 s6, s6, 1
	s_delay_alu instid0(SALU_CYCLE_1)
	s_cmp_lg_u32 s5, s6
	s_cbranch_scc1 .LBB124_1247
.LBB124_1248:
	s_set_inst_prefetch_distance 0x2
	s_waitcnt lgkmcnt(0)
	v_cmp_eq_f64_e32 vcc_lo, 0, v[0:1]
	v_cmp_eq_f64_e64 s2, 0, v[2:3]
	s_delay_alu instid0(VALU_DEP_1) | instskip(NEXT) | instid1(SALU_CYCLE_1)
	s_and_b32 s2, vcc_lo, s2
	s_and_saveexec_b32 s3, s2
	s_delay_alu instid0(SALU_CYCLE_1)
	s_xor_b32 s2, exec_lo, s3
; %bb.1249:
	v_cmp_ne_u32_e32 vcc_lo, 0, v37
	v_cndmask_b32_e32 v37, 54, v37, vcc_lo
; %bb.1250:
	s_and_not1_saveexec_b32 s3, s2
	s_cbranch_execz .LBB124_1256
; %bb.1251:
	v_cmp_gt_f64_e32 vcc_lo, 0, v[0:1]
	v_cmp_gt_f64_e64 s2, 0, v[2:3]
	v_xor_b32_e32 v5, 0x80000000, v1
	v_xor_b32_e32 v7, 0x80000000, v3
	s_delay_alu instid0(VALU_DEP_2) | instskip(NEXT) | instid1(VALU_DEP_2)
	v_dual_cndmask_b32 v6, v1, v5 :: v_dual_cndmask_b32 v5, v0, v0
	v_cndmask_b32_e64 v8, v3, v7, s2
	v_cndmask_b32_e64 v7, v2, v2, s2
	s_mov_b32 s2, exec_lo
	s_delay_alu instid0(VALU_DEP_1)
	v_cmpx_ngt_f64_e32 v[5:6], v[7:8]
	s_xor_b32 s2, exec_lo, s2
	s_cbranch_execz .LBB124_1253
; %bb.1252:
	v_div_scale_f64 v[5:6], null, v[2:3], v[2:3], v[0:1]
	v_div_scale_f64 v[11:12], vcc_lo, v[0:1], v[2:3], v[0:1]
	s_delay_alu instid0(VALU_DEP_2) | instskip(SKIP_2) | instid1(VALU_DEP_1)
	v_rcp_f64_e32 v[7:8], v[5:6]
	s_waitcnt_depctr 0xfff
	v_fma_f64 v[9:10], -v[5:6], v[7:8], 1.0
	v_fma_f64 v[7:8], v[7:8], v[9:10], v[7:8]
	s_delay_alu instid0(VALU_DEP_1) | instskip(NEXT) | instid1(VALU_DEP_1)
	v_fma_f64 v[9:10], -v[5:6], v[7:8], 1.0
	v_fma_f64 v[7:8], v[7:8], v[9:10], v[7:8]
	s_delay_alu instid0(VALU_DEP_1) | instskip(NEXT) | instid1(VALU_DEP_1)
	v_mul_f64 v[9:10], v[11:12], v[7:8]
	v_fma_f64 v[5:6], -v[5:6], v[9:10], v[11:12]
	s_delay_alu instid0(VALU_DEP_1) | instskip(NEXT) | instid1(VALU_DEP_1)
	v_div_fmas_f64 v[5:6], v[5:6], v[7:8], v[9:10]
	v_div_fixup_f64 v[5:6], v[5:6], v[2:3], v[0:1]
	s_delay_alu instid0(VALU_DEP_1) | instskip(NEXT) | instid1(VALU_DEP_1)
	v_fma_f64 v[0:1], v[0:1], v[5:6], v[2:3]
	v_div_scale_f64 v[2:3], null, v[0:1], v[0:1], 1.0
	s_delay_alu instid0(VALU_DEP_1) | instskip(SKIP_2) | instid1(VALU_DEP_1)
	v_rcp_f64_e32 v[7:8], v[2:3]
	s_waitcnt_depctr 0xfff
	v_fma_f64 v[9:10], -v[2:3], v[7:8], 1.0
	v_fma_f64 v[7:8], v[7:8], v[9:10], v[7:8]
	s_delay_alu instid0(VALU_DEP_1) | instskip(NEXT) | instid1(VALU_DEP_1)
	v_fma_f64 v[9:10], -v[2:3], v[7:8], 1.0
	v_fma_f64 v[7:8], v[7:8], v[9:10], v[7:8]
	v_div_scale_f64 v[9:10], vcc_lo, 1.0, v[0:1], 1.0
	s_delay_alu instid0(VALU_DEP_1) | instskip(NEXT) | instid1(VALU_DEP_1)
	v_mul_f64 v[11:12], v[9:10], v[7:8]
	v_fma_f64 v[2:3], -v[2:3], v[11:12], v[9:10]
	s_delay_alu instid0(VALU_DEP_1) | instskip(NEXT) | instid1(VALU_DEP_1)
	v_div_fmas_f64 v[2:3], v[2:3], v[7:8], v[11:12]
	v_div_fixup_f64 v[2:3], v[2:3], v[0:1], 1.0
	s_delay_alu instid0(VALU_DEP_1)
	v_mul_f64 v[0:1], v[5:6], v[2:3]
	v_xor_b32_e32 v3, 0x80000000, v3
.LBB124_1253:
	s_and_not1_saveexec_b32 s2, s2
	s_cbranch_execz .LBB124_1255
; %bb.1254:
	s_delay_alu instid0(VALU_DEP_1) | instskip(SKIP_1) | instid1(VALU_DEP_2)
	v_div_scale_f64 v[5:6], null, v[0:1], v[0:1], v[2:3]
	v_div_scale_f64 v[11:12], vcc_lo, v[2:3], v[0:1], v[2:3]
	v_rcp_f64_e32 v[7:8], v[5:6]
	s_waitcnt_depctr 0xfff
	v_fma_f64 v[9:10], -v[5:6], v[7:8], 1.0
	s_delay_alu instid0(VALU_DEP_1) | instskip(NEXT) | instid1(VALU_DEP_1)
	v_fma_f64 v[7:8], v[7:8], v[9:10], v[7:8]
	v_fma_f64 v[9:10], -v[5:6], v[7:8], 1.0
	s_delay_alu instid0(VALU_DEP_1) | instskip(NEXT) | instid1(VALU_DEP_1)
	v_fma_f64 v[7:8], v[7:8], v[9:10], v[7:8]
	v_mul_f64 v[9:10], v[11:12], v[7:8]
	s_delay_alu instid0(VALU_DEP_1) | instskip(NEXT) | instid1(VALU_DEP_1)
	v_fma_f64 v[5:6], -v[5:6], v[9:10], v[11:12]
	v_div_fmas_f64 v[5:6], v[5:6], v[7:8], v[9:10]
	s_delay_alu instid0(VALU_DEP_1) | instskip(NEXT) | instid1(VALU_DEP_1)
	v_div_fixup_f64 v[5:6], v[5:6], v[0:1], v[2:3]
	v_fma_f64 v[0:1], v[2:3], v[5:6], v[0:1]
	s_delay_alu instid0(VALU_DEP_1) | instskip(NEXT) | instid1(VALU_DEP_1)
	v_div_scale_f64 v[2:3], null, v[0:1], v[0:1], 1.0
	v_rcp_f64_e32 v[7:8], v[2:3]
	s_waitcnt_depctr 0xfff
	v_fma_f64 v[9:10], -v[2:3], v[7:8], 1.0
	s_delay_alu instid0(VALU_DEP_1) | instskip(NEXT) | instid1(VALU_DEP_1)
	v_fma_f64 v[7:8], v[7:8], v[9:10], v[7:8]
	v_fma_f64 v[9:10], -v[2:3], v[7:8], 1.0
	s_delay_alu instid0(VALU_DEP_1) | instskip(SKIP_1) | instid1(VALU_DEP_1)
	v_fma_f64 v[7:8], v[7:8], v[9:10], v[7:8]
	v_div_scale_f64 v[9:10], vcc_lo, 1.0, v[0:1], 1.0
	v_mul_f64 v[11:12], v[9:10], v[7:8]
	s_delay_alu instid0(VALU_DEP_1) | instskip(NEXT) | instid1(VALU_DEP_1)
	v_fma_f64 v[2:3], -v[2:3], v[11:12], v[9:10]
	v_div_fmas_f64 v[2:3], v[2:3], v[7:8], v[11:12]
	s_delay_alu instid0(VALU_DEP_1) | instskip(NEXT) | instid1(VALU_DEP_1)
	v_div_fixup_f64 v[0:1], v[2:3], v[0:1], 1.0
	v_mul_f64 v[2:3], v[5:6], -v[0:1]
.LBB124_1255:
	s_or_b32 exec_lo, exec_lo, s2
.LBB124_1256:
	s_delay_alu instid0(SALU_CYCLE_1) | instskip(NEXT) | instid1(SALU_CYCLE_1)
	s_or_b32 exec_lo, exec_lo, s3
	s_mov_b32 s2, exec_lo
	v_cmpx_ne_u32_e64 v40, v4
	s_xor_b32 s2, exec_lo, s2
	s_cbranch_execz .LBB124_1262
; %bb.1257:
	s_mov_b32 s3, exec_lo
	v_cmpx_eq_u32_e32 53, v40
	s_cbranch_execz .LBB124_1261
; %bb.1258:
	v_cmp_ne_u32_e32 vcc_lo, 53, v4
	s_xor_b32 s6, s4, -1
	s_delay_alu instid0(SALU_CYCLE_1) | instskip(NEXT) | instid1(SALU_CYCLE_1)
	s_and_b32 s7, s6, vcc_lo
	s_and_saveexec_b32 s6, s7
	s_cbranch_execz .LBB124_1260
; %bb.1259:
	v_ashrrev_i32_e32 v5, 31, v4
	s_delay_alu instid0(VALU_DEP_1) | instskip(NEXT) | instid1(VALU_DEP_1)
	v_lshlrev_b64 v[5:6], 2, v[4:5]
	v_add_co_u32 v5, vcc_lo, v145, v5
	s_delay_alu instid0(VALU_DEP_2)
	v_add_co_ci_u32_e32 v6, vcc_lo, v146, v6, vcc_lo
	s_clause 0x1
	flat_load_b32 v7, v[5:6]
	flat_load_b32 v8, v[145:146] offset:212
	s_waitcnt vmcnt(1) lgkmcnt(1)
	flat_store_b32 v[145:146], v7 offset:212
	s_waitcnt vmcnt(0) lgkmcnt(1)
	flat_store_b32 v[5:6], v8
.LBB124_1260:
	s_or_b32 exec_lo, exec_lo, s6
	v_mov_b32_e32 v40, v4
	v_mov_b32_e32 v39, v4
.LBB124_1261:
	s_or_b32 exec_lo, exec_lo, s3
.LBB124_1262:
	s_and_not1_saveexec_b32 s2, s2
	s_cbranch_execz .LBB124_1264
; %bb.1263:
	s_clause 0x8
	scratch_load_b128 v[4:7], v158, off
	scratch_load_b128 v[8:11], v152, off
	;; [unrolled: 1-line block ×9, first 2 shown]
	v_mov_b32_e32 v40, 53
	s_waitcnt vmcnt(8)
	ds_store_2addr_b64 v20, v[4:5], v[6:7] offset0:108 offset1:109
	s_waitcnt vmcnt(7)
	ds_store_2addr_b64 v20, v[8:9], v[10:11] offset0:110 offset1:111
	;; [unrolled: 2-line block ×9, first 2 shown]
.LBB124_1264:
	s_or_b32 exec_lo, exec_lo, s2
	s_delay_alu instid0(SALU_CYCLE_1)
	s_mov_b32 s2, exec_lo
	s_waitcnt lgkmcnt(0)
	s_waitcnt_vscnt null, 0x0
	s_barrier
	buffer_gl0_inv
	v_cmpx_lt_i32_e32 53, v40
	s_cbranch_execz .LBB124_1266
; %bb.1265:
	s_clause 0x1
	scratch_load_b128 v[4:7], off, off offset:848
	scratch_load_b128 v[8:11], off, off offset:864
	s_waitcnt vmcnt(1)
	v_mul_f64 v[12:13], v[0:1], v[6:7]
	v_mul_f64 v[6:7], v[2:3], v[6:7]
	s_delay_alu instid0(VALU_DEP_2)
	v_fma_f64 v[2:3], v[2:3], v[4:5], v[12:13]
	ds_load_2addr_b64 v[12:15], v20 offset0:108 offset1:109
	ds_load_2addr_b64 v[16:19], v20 offset0:110 offset1:111
	v_fma_f64 v[0:1], v[0:1], v[4:5], -v[6:7]
	s_waitcnt lgkmcnt(1)
	v_mul_f64 v[4:5], v[14:15], v[2:3]
	v_mul_f64 v[6:7], v[12:13], v[2:3]
	scratch_store_b128 off, v[0:3], off offset:848
	s_waitcnt lgkmcnt(0)
	v_mul_f64 v[125:126], v[18:19], v[2:3]
	v_fma_f64 v[4:5], v[12:13], v[0:1], -v[4:5]
	v_fma_f64 v[6:7], v[14:15], v[0:1], v[6:7]
	s_waitcnt vmcnt(0)
	s_delay_alu instid0(VALU_DEP_2) | instskip(NEXT) | instid1(VALU_DEP_2)
	v_add_f64 v[4:5], v[8:9], -v[4:5]
	v_add_f64 v[6:7], v[10:11], -v[6:7]
	s_clause 0x8
	scratch_load_b128 v[8:11], off, off offset:848
	scratch_load_b128 v[12:15], off, off offset:896
	;; [unrolled: 1-line block ×9, first 2 shown]
	ds_load_2addr_b64 v[89:92], v20 offset0:112 offset1:113
	ds_load_2addr_b64 v[93:96], v20 offset0:114 offset1:115
	;; [unrolled: 1-line block ×7, first 2 shown]
	s_waitcnt lgkmcnt(6)
	v_mul_f64 v[45:46], v[91:92], v[2:3]
	s_waitcnt lgkmcnt(5)
	v_mul_f64 v[61:62], v[95:96], v[2:3]
	v_mul_f64 v[69:70], v[93:94], v[2:3]
	;; [unrolled: 1-line block ×3, first 2 shown]
	s_waitcnt lgkmcnt(4)
	v_mul_f64 v[77:78], v[99:100], v[2:3]
	v_mul_f64 v[113:114], v[97:98], v[2:3]
	s_waitcnt lgkmcnt(3)
	v_mul_f64 v[117:118], v[103:104], v[2:3]
	v_mul_f64 v[121:122], v[101:102], v[2:3]
	v_mul_f64 v[2:3], v[16:17], v[2:3]
	v_fma_f64 v[45:46], v[89:90], v[0:1], -v[45:46]
	v_fma_f64 v[61:62], v[93:94], v[0:1], -v[61:62]
	v_fma_f64 v[69:70], v[95:96], v[0:1], v[69:70]
	v_fma_f64 v[49:50], v[91:92], v[0:1], v[49:50]
	v_fma_f64 v[77:78], v[97:98], v[0:1], -v[77:78]
	v_fma_f64 v[89:90], v[99:100], v[0:1], v[113:114]
	v_fma_f64 v[95:96], v[16:17], v[0:1], -v[125:126]
	v_fma_f64 v[91:92], v[101:102], v[0:1], -v[117:118]
	v_fma_f64 v[97:98], v[18:19], v[0:1], v[2:3]
	v_fma_f64 v[93:94], v[103:104], v[0:1], v[121:122]
	s_waitcnt vmcnt(8) lgkmcnt(2)
	v_mul_f64 v[134:135], v[132:133], v[10:11]
	v_mul_f64 v[137:138], v[130:131], v[10:11]
	s_waitcnt lgkmcnt(1)
	v_mul_f64 v[180:181], v[143:144], v[10:11]
	v_mul_f64 v[182:183], v[141:142], v[10:11]
	s_waitcnt lgkmcnt(0)
	v_mul_f64 v[184:185], v[178:179], v[10:11]
	v_mul_f64 v[10:11], v[176:177], v[10:11]
	s_waitcnt vmcnt(7)
	v_add_f64 v[0:1], v[12:13], -v[45:46]
	v_add_f64 v[2:3], v[14:15], -v[49:50]
	s_waitcnt vmcnt(5)
	v_add_f64 v[12:13], v[53:54], -v[77:78]
	v_add_f64 v[14:15], v[55:56], -v[89:90]
	;; [unrolled: 3-line block ×3, first 2 shown]
	v_fma_f64 v[99:100], v[130:131], v[8:9], -v[134:135]
	v_fma_f64 v[101:102], v[132:133], v[8:9], v[137:138]
	v_fma_f64 v[103:104], v[141:142], v[8:9], -v[180:181]
	v_fma_f64 v[113:114], v[143:144], v[8:9], v[182:183]
	;; [unrolled: 2-line block ×3, first 2 shown]
	v_add_f64 v[8:9], v[41:42], -v[61:62]
	v_add_f64 v[10:11], v[43:44], -v[69:70]
	s_waitcnt vmcnt(3)
	v_add_f64 v[41:42], v[65:66], -v[95:96]
	v_add_f64 v[43:44], v[67:68], -v[97:98]
	s_waitcnt vmcnt(2)
	;; [unrolled: 3-line block ×4, first 2 shown]
	v_add_f64 v[65:66], v[85:86], -v[117:118]
	v_add_f64 v[67:68], v[87:88], -v[121:122]
	s_clause 0x8
	scratch_store_b128 off, v[4:7], off offset:864
	scratch_store_b128 off, v[8:11], off offset:912
	;; [unrolled: 1-line block ×9, first 2 shown]
.LBB124_1266:
	s_or_b32 exec_lo, exec_lo, s2
	s_waitcnt_vscnt null, 0x0
	s_barrier
	buffer_gl0_inv
	scratch_load_b128 v[0:3], v158, off
	v_lshl_add_u32 v4, v40, 4, v20
	s_cmp_lt_i32 s5, 56
	s_waitcnt vmcnt(0)
	ds_store_2addr_b64 v4, v[0:1], v[2:3] offset1:1
	s_waitcnt lgkmcnt(0)
	s_barrier
	buffer_gl0_inv
	ds_load_2addr_b64 v[0:3], v20 offset0:108 offset1:109
	v_mov_b32_e32 v4, 54
	s_cbranch_scc1 .LBB124_1269
; %bb.1267:
	v_add3_u32 v5, v38, 0, 0x370
	v_mov_b32_e32 v4, 54
	s_mov_b32 s6, 55
	s_set_inst_prefetch_distance 0x1
	.p2align	6
.LBB124_1268:                           ; =>This Inner Loop Header: Depth=1
	ds_load_2addr_b64 v[6:9], v5 offset1:1
	s_waitcnt lgkmcnt(1)
	v_cmp_gt_f64_e32 vcc_lo, 0, v[0:1]
	v_xor_b32_e32 v10, 0x80000000, v1
	v_cmp_gt_f64_e64 s2, 0, v[2:3]
	v_xor_b32_e32 v12, 0x80000000, v3
	v_add_nc_u32_e32 v5, 16, v5
	s_waitcnt lgkmcnt(0)
	v_cmp_gt_f64_e64 s3, 0, v[6:7]
	v_mov_b32_e32 v14, v6
	v_dual_mov_b32 v16, v8 :: v_dual_cndmask_b32 v11, v1, v10
	v_xor_b32_e32 v10, 0x80000000, v7
	v_cndmask_b32_e64 v13, v3, v12, s2
	v_xor_b32_e32 v12, 0x80000000, v9
	s_delay_alu instid0(VALU_DEP_3) | instskip(SKIP_2) | instid1(VALU_DEP_2)
	v_cndmask_b32_e64 v15, v7, v10, s3
	v_cmp_gt_f64_e64 s3, 0, v[8:9]
	v_cndmask_b32_e32 v10, v0, v0, vcc_lo
	v_cndmask_b32_e64 v17, v9, v12, s3
	v_cndmask_b32_e64 v12, v2, v2, s2
	s_delay_alu instid0(VALU_DEP_2) | instskip(NEXT) | instid1(VALU_DEP_2)
	v_add_f64 v[14:15], v[14:15], v[16:17]
	v_add_f64 v[10:11], v[10:11], v[12:13]
	s_delay_alu instid0(VALU_DEP_1)
	v_cmp_lt_f64_e32 vcc_lo, v[10:11], v[14:15]
	v_cndmask_b32_e32 v3, v3, v9, vcc_lo
	v_dual_cndmask_b32 v1, v1, v7 :: v_dual_cndmask_b32 v0, v0, v6
	v_cndmask_b32_e32 v2, v2, v8, vcc_lo
	v_cndmask_b32_e64 v4, v4, s6, vcc_lo
	s_add_i32 s6, s6, 1
	s_delay_alu instid0(SALU_CYCLE_1)
	s_cmp_lg_u32 s5, s6
	s_cbranch_scc1 .LBB124_1268
.LBB124_1269:
	s_set_inst_prefetch_distance 0x2
	s_waitcnt lgkmcnt(0)
	v_cmp_eq_f64_e32 vcc_lo, 0, v[0:1]
	v_cmp_eq_f64_e64 s2, 0, v[2:3]
	s_delay_alu instid0(VALU_DEP_1) | instskip(NEXT) | instid1(SALU_CYCLE_1)
	s_and_b32 s2, vcc_lo, s2
	s_and_saveexec_b32 s3, s2
	s_delay_alu instid0(SALU_CYCLE_1)
	s_xor_b32 s2, exec_lo, s3
; %bb.1270:
	v_cmp_ne_u32_e32 vcc_lo, 0, v37
	v_cndmask_b32_e32 v37, 55, v37, vcc_lo
; %bb.1271:
	s_and_not1_saveexec_b32 s3, s2
	s_cbranch_execz .LBB124_1277
; %bb.1272:
	v_cmp_gt_f64_e32 vcc_lo, 0, v[0:1]
	v_cmp_gt_f64_e64 s2, 0, v[2:3]
	v_xor_b32_e32 v5, 0x80000000, v1
	v_xor_b32_e32 v7, 0x80000000, v3
	s_delay_alu instid0(VALU_DEP_2) | instskip(NEXT) | instid1(VALU_DEP_2)
	v_dual_cndmask_b32 v6, v1, v5 :: v_dual_cndmask_b32 v5, v0, v0
	v_cndmask_b32_e64 v8, v3, v7, s2
	v_cndmask_b32_e64 v7, v2, v2, s2
	s_mov_b32 s2, exec_lo
	s_delay_alu instid0(VALU_DEP_1)
	v_cmpx_ngt_f64_e32 v[5:6], v[7:8]
	s_xor_b32 s2, exec_lo, s2
	s_cbranch_execz .LBB124_1274
; %bb.1273:
	v_div_scale_f64 v[5:6], null, v[2:3], v[2:3], v[0:1]
	v_div_scale_f64 v[11:12], vcc_lo, v[0:1], v[2:3], v[0:1]
	s_delay_alu instid0(VALU_DEP_2) | instskip(SKIP_2) | instid1(VALU_DEP_1)
	v_rcp_f64_e32 v[7:8], v[5:6]
	s_waitcnt_depctr 0xfff
	v_fma_f64 v[9:10], -v[5:6], v[7:8], 1.0
	v_fma_f64 v[7:8], v[7:8], v[9:10], v[7:8]
	s_delay_alu instid0(VALU_DEP_1) | instskip(NEXT) | instid1(VALU_DEP_1)
	v_fma_f64 v[9:10], -v[5:6], v[7:8], 1.0
	v_fma_f64 v[7:8], v[7:8], v[9:10], v[7:8]
	s_delay_alu instid0(VALU_DEP_1) | instskip(NEXT) | instid1(VALU_DEP_1)
	v_mul_f64 v[9:10], v[11:12], v[7:8]
	v_fma_f64 v[5:6], -v[5:6], v[9:10], v[11:12]
	s_delay_alu instid0(VALU_DEP_1) | instskip(NEXT) | instid1(VALU_DEP_1)
	v_div_fmas_f64 v[5:6], v[5:6], v[7:8], v[9:10]
	v_div_fixup_f64 v[5:6], v[5:6], v[2:3], v[0:1]
	s_delay_alu instid0(VALU_DEP_1) | instskip(NEXT) | instid1(VALU_DEP_1)
	v_fma_f64 v[0:1], v[0:1], v[5:6], v[2:3]
	v_div_scale_f64 v[2:3], null, v[0:1], v[0:1], 1.0
	s_delay_alu instid0(VALU_DEP_1) | instskip(SKIP_2) | instid1(VALU_DEP_1)
	v_rcp_f64_e32 v[7:8], v[2:3]
	s_waitcnt_depctr 0xfff
	v_fma_f64 v[9:10], -v[2:3], v[7:8], 1.0
	v_fma_f64 v[7:8], v[7:8], v[9:10], v[7:8]
	s_delay_alu instid0(VALU_DEP_1) | instskip(NEXT) | instid1(VALU_DEP_1)
	v_fma_f64 v[9:10], -v[2:3], v[7:8], 1.0
	v_fma_f64 v[7:8], v[7:8], v[9:10], v[7:8]
	v_div_scale_f64 v[9:10], vcc_lo, 1.0, v[0:1], 1.0
	s_delay_alu instid0(VALU_DEP_1) | instskip(NEXT) | instid1(VALU_DEP_1)
	v_mul_f64 v[11:12], v[9:10], v[7:8]
	v_fma_f64 v[2:3], -v[2:3], v[11:12], v[9:10]
	s_delay_alu instid0(VALU_DEP_1) | instskip(NEXT) | instid1(VALU_DEP_1)
	v_div_fmas_f64 v[2:3], v[2:3], v[7:8], v[11:12]
	v_div_fixup_f64 v[2:3], v[2:3], v[0:1], 1.0
	s_delay_alu instid0(VALU_DEP_1)
	v_mul_f64 v[0:1], v[5:6], v[2:3]
	v_xor_b32_e32 v3, 0x80000000, v3
.LBB124_1274:
	s_and_not1_saveexec_b32 s2, s2
	s_cbranch_execz .LBB124_1276
; %bb.1275:
	s_delay_alu instid0(VALU_DEP_1) | instskip(SKIP_1) | instid1(VALU_DEP_2)
	v_div_scale_f64 v[5:6], null, v[0:1], v[0:1], v[2:3]
	v_div_scale_f64 v[11:12], vcc_lo, v[2:3], v[0:1], v[2:3]
	v_rcp_f64_e32 v[7:8], v[5:6]
	s_waitcnt_depctr 0xfff
	v_fma_f64 v[9:10], -v[5:6], v[7:8], 1.0
	s_delay_alu instid0(VALU_DEP_1) | instskip(NEXT) | instid1(VALU_DEP_1)
	v_fma_f64 v[7:8], v[7:8], v[9:10], v[7:8]
	v_fma_f64 v[9:10], -v[5:6], v[7:8], 1.0
	s_delay_alu instid0(VALU_DEP_1) | instskip(NEXT) | instid1(VALU_DEP_1)
	v_fma_f64 v[7:8], v[7:8], v[9:10], v[7:8]
	v_mul_f64 v[9:10], v[11:12], v[7:8]
	s_delay_alu instid0(VALU_DEP_1) | instskip(NEXT) | instid1(VALU_DEP_1)
	v_fma_f64 v[5:6], -v[5:6], v[9:10], v[11:12]
	v_div_fmas_f64 v[5:6], v[5:6], v[7:8], v[9:10]
	s_delay_alu instid0(VALU_DEP_1) | instskip(NEXT) | instid1(VALU_DEP_1)
	v_div_fixup_f64 v[5:6], v[5:6], v[0:1], v[2:3]
	v_fma_f64 v[0:1], v[2:3], v[5:6], v[0:1]
	s_delay_alu instid0(VALU_DEP_1) | instskip(NEXT) | instid1(VALU_DEP_1)
	v_div_scale_f64 v[2:3], null, v[0:1], v[0:1], 1.0
	v_rcp_f64_e32 v[7:8], v[2:3]
	s_waitcnt_depctr 0xfff
	v_fma_f64 v[9:10], -v[2:3], v[7:8], 1.0
	s_delay_alu instid0(VALU_DEP_1) | instskip(NEXT) | instid1(VALU_DEP_1)
	v_fma_f64 v[7:8], v[7:8], v[9:10], v[7:8]
	v_fma_f64 v[9:10], -v[2:3], v[7:8], 1.0
	s_delay_alu instid0(VALU_DEP_1) | instskip(SKIP_1) | instid1(VALU_DEP_1)
	v_fma_f64 v[7:8], v[7:8], v[9:10], v[7:8]
	v_div_scale_f64 v[9:10], vcc_lo, 1.0, v[0:1], 1.0
	v_mul_f64 v[11:12], v[9:10], v[7:8]
	s_delay_alu instid0(VALU_DEP_1) | instskip(NEXT) | instid1(VALU_DEP_1)
	v_fma_f64 v[2:3], -v[2:3], v[11:12], v[9:10]
	v_div_fmas_f64 v[2:3], v[2:3], v[7:8], v[11:12]
	s_delay_alu instid0(VALU_DEP_1) | instskip(NEXT) | instid1(VALU_DEP_1)
	v_div_fixup_f64 v[0:1], v[2:3], v[0:1], 1.0
	v_mul_f64 v[2:3], v[5:6], -v[0:1]
.LBB124_1276:
	s_or_b32 exec_lo, exec_lo, s2
.LBB124_1277:
	s_delay_alu instid0(SALU_CYCLE_1) | instskip(NEXT) | instid1(SALU_CYCLE_1)
	s_or_b32 exec_lo, exec_lo, s3
	s_mov_b32 s2, exec_lo
	v_cmpx_ne_u32_e64 v40, v4
	s_xor_b32 s2, exec_lo, s2
	s_cbranch_execz .LBB124_1283
; %bb.1278:
	s_mov_b32 s3, exec_lo
	v_cmpx_eq_u32_e32 54, v40
	s_cbranch_execz .LBB124_1282
; %bb.1279:
	v_cmp_ne_u32_e32 vcc_lo, 54, v4
	s_xor_b32 s6, s4, -1
	s_delay_alu instid0(SALU_CYCLE_1) | instskip(NEXT) | instid1(SALU_CYCLE_1)
	s_and_b32 s7, s6, vcc_lo
	s_and_saveexec_b32 s6, s7
	s_cbranch_execz .LBB124_1281
; %bb.1280:
	v_ashrrev_i32_e32 v5, 31, v4
	s_delay_alu instid0(VALU_DEP_1) | instskip(NEXT) | instid1(VALU_DEP_1)
	v_lshlrev_b64 v[5:6], 2, v[4:5]
	v_add_co_u32 v5, vcc_lo, v145, v5
	s_delay_alu instid0(VALU_DEP_2)
	v_add_co_ci_u32_e32 v6, vcc_lo, v146, v6, vcc_lo
	s_clause 0x1
	flat_load_b32 v7, v[5:6]
	flat_load_b32 v8, v[145:146] offset:216
	s_waitcnt vmcnt(1) lgkmcnt(1)
	flat_store_b32 v[145:146], v7 offset:216
	s_waitcnt vmcnt(0) lgkmcnt(1)
	flat_store_b32 v[5:6], v8
.LBB124_1281:
	s_or_b32 exec_lo, exec_lo, s6
	v_mov_b32_e32 v40, v4
	v_mov_b32_e32 v39, v4
.LBB124_1282:
	s_or_b32 exec_lo, exec_lo, s3
.LBB124_1283:
	s_and_not1_saveexec_b32 s2, s2
	s_cbranch_execz .LBB124_1285
; %bb.1284:
	s_clause 0x7
	scratch_load_b128 v[4:7], v152, off
	scratch_load_b128 v[8:11], v157, off
	;; [unrolled: 1-line block ×8, first 2 shown]
	v_mov_b32_e32 v40, 54
	s_waitcnt vmcnt(7)
	ds_store_2addr_b64 v20, v[4:5], v[6:7] offset0:110 offset1:111
	s_waitcnt vmcnt(6)
	ds_store_2addr_b64 v20, v[8:9], v[10:11] offset0:112 offset1:113
	;; [unrolled: 2-line block ×8, first 2 shown]
.LBB124_1285:
	s_or_b32 exec_lo, exec_lo, s2
	s_delay_alu instid0(SALU_CYCLE_1)
	s_mov_b32 s2, exec_lo
	s_waitcnt lgkmcnt(0)
	s_waitcnt_vscnt null, 0x0
	s_barrier
	buffer_gl0_inv
	v_cmpx_lt_i32_e32 54, v40
	s_cbranch_execz .LBB124_1287
; %bb.1286:
	s_clause 0x1
	scratch_load_b128 v[4:7], off, off offset:864
	scratch_load_b128 v[8:11], off, off offset:880
	s_waitcnt vmcnt(1)
	v_mul_f64 v[12:13], v[0:1], v[6:7]
	v_mul_f64 v[6:7], v[2:3], v[6:7]
	s_delay_alu instid0(VALU_DEP_2)
	v_fma_f64 v[2:3], v[2:3], v[4:5], v[12:13]
	ds_load_2addr_b64 v[12:15], v20 offset0:110 offset1:111
	ds_load_2addr_b64 v[16:19], v20 offset0:112 offset1:113
	v_fma_f64 v[0:1], v[0:1], v[4:5], -v[6:7]
	s_waitcnt lgkmcnt(1)
	v_mul_f64 v[4:5], v[14:15], v[2:3]
	v_mul_f64 v[6:7], v[12:13], v[2:3]
	scratch_store_b128 off, v[0:3], off offset:864
	s_waitcnt lgkmcnt(0)
	v_mul_f64 v[125:126], v[18:19], v[2:3]
	v_fma_f64 v[4:5], v[12:13], v[0:1], -v[4:5]
	v_fma_f64 v[6:7], v[14:15], v[0:1], v[6:7]
	s_waitcnt vmcnt(0)
	s_delay_alu instid0(VALU_DEP_2) | instskip(NEXT) | instid1(VALU_DEP_2)
	v_add_f64 v[4:5], v[8:9], -v[4:5]
	v_add_f64 v[6:7], v[10:11], -v[6:7]
	s_clause 0x7
	scratch_load_b128 v[8:11], off, off offset:864
	scratch_load_b128 v[12:15], off, off offset:912
	;; [unrolled: 1-line block ×8, first 2 shown]
	ds_load_2addr_b64 v[85:88], v20 offset0:114 offset1:115
	ds_load_2addr_b64 v[89:92], v20 offset0:116 offset1:117
	;; [unrolled: 1-line block ×6, first 2 shown]
	s_waitcnt lgkmcnt(5)
	v_mul_f64 v[45:46], v[87:88], v[2:3]
	s_waitcnt lgkmcnt(4)
	v_mul_f64 v[61:62], v[91:92], v[2:3]
	v_mul_f64 v[69:70], v[89:90], v[2:3]
	;; [unrolled: 1-line block ×3, first 2 shown]
	s_waitcnt lgkmcnt(3)
	v_mul_f64 v[77:78], v[95:96], v[2:3]
	v_mul_f64 v[113:114], v[93:94], v[2:3]
	s_waitcnt lgkmcnt(2)
	v_mul_f64 v[117:118], v[99:100], v[2:3]
	v_mul_f64 v[121:122], v[97:98], v[2:3]
	;; [unrolled: 1-line block ×3, first 2 shown]
	v_fma_f64 v[45:46], v[85:86], v[0:1], -v[45:46]
	v_fma_f64 v[61:62], v[89:90], v[0:1], -v[61:62]
	v_fma_f64 v[69:70], v[91:92], v[0:1], v[69:70]
	v_fma_f64 v[49:50], v[87:88], v[0:1], v[49:50]
	v_fma_f64 v[77:78], v[93:94], v[0:1], -v[77:78]
	v_fma_f64 v[85:86], v[95:96], v[0:1], v[113:114]
	v_fma_f64 v[91:92], v[16:17], v[0:1], -v[125:126]
	v_fma_f64 v[87:88], v[97:98], v[0:1], -v[117:118]
	v_fma_f64 v[93:94], v[18:19], v[0:1], v[2:3]
	v_fma_f64 v[89:90], v[99:100], v[0:1], v[121:122]
	s_waitcnt vmcnt(7) lgkmcnt(1)
	v_mul_f64 v[134:135], v[103:104], v[10:11]
	v_mul_f64 v[137:138], v[101:102], v[10:11]
	s_waitcnt lgkmcnt(0)
	v_mul_f64 v[141:142], v[132:133], v[10:11]
	v_mul_f64 v[10:11], v[130:131], v[10:11]
	s_waitcnt vmcnt(6)
	v_add_f64 v[0:1], v[12:13], -v[45:46]
	v_add_f64 v[2:3], v[14:15], -v[49:50]
	s_waitcnt vmcnt(4)
	v_add_f64 v[12:13], v[53:54], -v[77:78]
	v_add_f64 v[14:15], v[55:56], -v[85:86]
	;; [unrolled: 3-line block ×3, first 2 shown]
	v_fma_f64 v[95:96], v[101:102], v[8:9], -v[134:135]
	v_fma_f64 v[97:98], v[103:104], v[8:9], v[137:138]
	v_fma_f64 v[99:100], v[130:131], v[8:9], -v[141:142]
	v_fma_f64 v[101:102], v[132:133], v[8:9], v[10:11]
	v_add_f64 v[8:9], v[41:42], -v[61:62]
	v_add_f64 v[10:11], v[43:44], -v[69:70]
	s_waitcnt vmcnt(2)
	v_add_f64 v[41:42], v[65:66], -v[91:92]
	v_add_f64 v[43:44], v[67:68], -v[93:94]
	s_waitcnt vmcnt(1)
	;; [unrolled: 3-line block ×3, first 2 shown]
	v_add_f64 v[57:58], v[81:82], -v[99:100]
	v_add_f64 v[59:60], v[83:84], -v[101:102]
	s_clause 0x7
	scratch_store_b128 off, v[4:7], off offset:880
	scratch_store_b128 off, v[8:11], off offset:928
	;; [unrolled: 1-line block ×8, first 2 shown]
.LBB124_1287:
	s_or_b32 exec_lo, exec_lo, s2
	s_waitcnt_vscnt null, 0x0
	s_barrier
	buffer_gl0_inv
	scratch_load_b128 v[0:3], v152, off
	v_lshl_add_u32 v4, v40, 4, v20
	s_cmp_lt_i32 s5, 57
	s_waitcnt vmcnt(0)
	ds_store_2addr_b64 v4, v[0:1], v[2:3] offset1:1
	s_waitcnt lgkmcnt(0)
	s_barrier
	buffer_gl0_inv
	ds_load_2addr_b64 v[0:3], v20 offset0:110 offset1:111
	v_mov_b32_e32 v4, 55
	s_cbranch_scc1 .LBB124_1290
; %bb.1288:
	v_add3_u32 v5, v38, 0, 0x380
	v_mov_b32_e32 v4, 55
	s_mov_b32 s6, 56
	s_set_inst_prefetch_distance 0x1
	.p2align	6
.LBB124_1289:                           ; =>This Inner Loop Header: Depth=1
	ds_load_2addr_b64 v[6:9], v5 offset1:1
	s_waitcnt lgkmcnt(1)
	v_cmp_gt_f64_e32 vcc_lo, 0, v[0:1]
	v_xor_b32_e32 v10, 0x80000000, v1
	v_cmp_gt_f64_e64 s2, 0, v[2:3]
	v_xor_b32_e32 v12, 0x80000000, v3
	v_add_nc_u32_e32 v5, 16, v5
	s_waitcnt lgkmcnt(0)
	v_cmp_gt_f64_e64 s3, 0, v[6:7]
	v_mov_b32_e32 v14, v6
	v_dual_mov_b32 v16, v8 :: v_dual_cndmask_b32 v11, v1, v10
	v_xor_b32_e32 v10, 0x80000000, v7
	v_cndmask_b32_e64 v13, v3, v12, s2
	v_xor_b32_e32 v12, 0x80000000, v9
	s_delay_alu instid0(VALU_DEP_3) | instskip(SKIP_2) | instid1(VALU_DEP_2)
	v_cndmask_b32_e64 v15, v7, v10, s3
	v_cmp_gt_f64_e64 s3, 0, v[8:9]
	v_cndmask_b32_e32 v10, v0, v0, vcc_lo
	v_cndmask_b32_e64 v17, v9, v12, s3
	v_cndmask_b32_e64 v12, v2, v2, s2
	s_delay_alu instid0(VALU_DEP_2) | instskip(NEXT) | instid1(VALU_DEP_2)
	v_add_f64 v[14:15], v[14:15], v[16:17]
	v_add_f64 v[10:11], v[10:11], v[12:13]
	s_delay_alu instid0(VALU_DEP_1)
	v_cmp_lt_f64_e32 vcc_lo, v[10:11], v[14:15]
	v_cndmask_b32_e32 v3, v3, v9, vcc_lo
	v_dual_cndmask_b32 v1, v1, v7 :: v_dual_cndmask_b32 v0, v0, v6
	v_cndmask_b32_e32 v2, v2, v8, vcc_lo
	v_cndmask_b32_e64 v4, v4, s6, vcc_lo
	s_add_i32 s6, s6, 1
	s_delay_alu instid0(SALU_CYCLE_1)
	s_cmp_lg_u32 s5, s6
	s_cbranch_scc1 .LBB124_1289
.LBB124_1290:
	s_set_inst_prefetch_distance 0x2
	s_waitcnt lgkmcnt(0)
	v_cmp_eq_f64_e32 vcc_lo, 0, v[0:1]
	v_cmp_eq_f64_e64 s2, 0, v[2:3]
	s_delay_alu instid0(VALU_DEP_1) | instskip(NEXT) | instid1(SALU_CYCLE_1)
	s_and_b32 s2, vcc_lo, s2
	s_and_saveexec_b32 s3, s2
	s_delay_alu instid0(SALU_CYCLE_1)
	s_xor_b32 s2, exec_lo, s3
; %bb.1291:
	v_cmp_ne_u32_e32 vcc_lo, 0, v37
	v_cndmask_b32_e32 v37, 56, v37, vcc_lo
; %bb.1292:
	s_and_not1_saveexec_b32 s3, s2
	s_cbranch_execz .LBB124_1298
; %bb.1293:
	v_cmp_gt_f64_e32 vcc_lo, 0, v[0:1]
	v_cmp_gt_f64_e64 s2, 0, v[2:3]
	v_xor_b32_e32 v5, 0x80000000, v1
	v_xor_b32_e32 v7, 0x80000000, v3
	s_delay_alu instid0(VALU_DEP_2) | instskip(NEXT) | instid1(VALU_DEP_2)
	v_dual_cndmask_b32 v6, v1, v5 :: v_dual_cndmask_b32 v5, v0, v0
	v_cndmask_b32_e64 v8, v3, v7, s2
	v_cndmask_b32_e64 v7, v2, v2, s2
	s_mov_b32 s2, exec_lo
	s_delay_alu instid0(VALU_DEP_1)
	v_cmpx_ngt_f64_e32 v[5:6], v[7:8]
	s_xor_b32 s2, exec_lo, s2
	s_cbranch_execz .LBB124_1295
; %bb.1294:
	v_div_scale_f64 v[5:6], null, v[2:3], v[2:3], v[0:1]
	v_div_scale_f64 v[11:12], vcc_lo, v[0:1], v[2:3], v[0:1]
	s_delay_alu instid0(VALU_DEP_2) | instskip(SKIP_2) | instid1(VALU_DEP_1)
	v_rcp_f64_e32 v[7:8], v[5:6]
	s_waitcnt_depctr 0xfff
	v_fma_f64 v[9:10], -v[5:6], v[7:8], 1.0
	v_fma_f64 v[7:8], v[7:8], v[9:10], v[7:8]
	s_delay_alu instid0(VALU_DEP_1) | instskip(NEXT) | instid1(VALU_DEP_1)
	v_fma_f64 v[9:10], -v[5:6], v[7:8], 1.0
	v_fma_f64 v[7:8], v[7:8], v[9:10], v[7:8]
	s_delay_alu instid0(VALU_DEP_1) | instskip(NEXT) | instid1(VALU_DEP_1)
	v_mul_f64 v[9:10], v[11:12], v[7:8]
	v_fma_f64 v[5:6], -v[5:6], v[9:10], v[11:12]
	s_delay_alu instid0(VALU_DEP_1) | instskip(NEXT) | instid1(VALU_DEP_1)
	v_div_fmas_f64 v[5:6], v[5:6], v[7:8], v[9:10]
	v_div_fixup_f64 v[5:6], v[5:6], v[2:3], v[0:1]
	s_delay_alu instid0(VALU_DEP_1) | instskip(NEXT) | instid1(VALU_DEP_1)
	v_fma_f64 v[0:1], v[0:1], v[5:6], v[2:3]
	v_div_scale_f64 v[2:3], null, v[0:1], v[0:1], 1.0
	s_delay_alu instid0(VALU_DEP_1) | instskip(SKIP_2) | instid1(VALU_DEP_1)
	v_rcp_f64_e32 v[7:8], v[2:3]
	s_waitcnt_depctr 0xfff
	v_fma_f64 v[9:10], -v[2:3], v[7:8], 1.0
	v_fma_f64 v[7:8], v[7:8], v[9:10], v[7:8]
	s_delay_alu instid0(VALU_DEP_1) | instskip(NEXT) | instid1(VALU_DEP_1)
	v_fma_f64 v[9:10], -v[2:3], v[7:8], 1.0
	v_fma_f64 v[7:8], v[7:8], v[9:10], v[7:8]
	v_div_scale_f64 v[9:10], vcc_lo, 1.0, v[0:1], 1.0
	s_delay_alu instid0(VALU_DEP_1) | instskip(NEXT) | instid1(VALU_DEP_1)
	v_mul_f64 v[11:12], v[9:10], v[7:8]
	v_fma_f64 v[2:3], -v[2:3], v[11:12], v[9:10]
	s_delay_alu instid0(VALU_DEP_1) | instskip(NEXT) | instid1(VALU_DEP_1)
	v_div_fmas_f64 v[2:3], v[2:3], v[7:8], v[11:12]
	v_div_fixup_f64 v[2:3], v[2:3], v[0:1], 1.0
	s_delay_alu instid0(VALU_DEP_1)
	v_mul_f64 v[0:1], v[5:6], v[2:3]
	v_xor_b32_e32 v3, 0x80000000, v3
.LBB124_1295:
	s_and_not1_saveexec_b32 s2, s2
	s_cbranch_execz .LBB124_1297
; %bb.1296:
	s_delay_alu instid0(VALU_DEP_1) | instskip(SKIP_1) | instid1(VALU_DEP_2)
	v_div_scale_f64 v[5:6], null, v[0:1], v[0:1], v[2:3]
	v_div_scale_f64 v[11:12], vcc_lo, v[2:3], v[0:1], v[2:3]
	v_rcp_f64_e32 v[7:8], v[5:6]
	s_waitcnt_depctr 0xfff
	v_fma_f64 v[9:10], -v[5:6], v[7:8], 1.0
	s_delay_alu instid0(VALU_DEP_1) | instskip(NEXT) | instid1(VALU_DEP_1)
	v_fma_f64 v[7:8], v[7:8], v[9:10], v[7:8]
	v_fma_f64 v[9:10], -v[5:6], v[7:8], 1.0
	s_delay_alu instid0(VALU_DEP_1) | instskip(NEXT) | instid1(VALU_DEP_1)
	v_fma_f64 v[7:8], v[7:8], v[9:10], v[7:8]
	v_mul_f64 v[9:10], v[11:12], v[7:8]
	s_delay_alu instid0(VALU_DEP_1) | instskip(NEXT) | instid1(VALU_DEP_1)
	v_fma_f64 v[5:6], -v[5:6], v[9:10], v[11:12]
	v_div_fmas_f64 v[5:6], v[5:6], v[7:8], v[9:10]
	s_delay_alu instid0(VALU_DEP_1) | instskip(NEXT) | instid1(VALU_DEP_1)
	v_div_fixup_f64 v[5:6], v[5:6], v[0:1], v[2:3]
	v_fma_f64 v[0:1], v[2:3], v[5:6], v[0:1]
	s_delay_alu instid0(VALU_DEP_1) | instskip(NEXT) | instid1(VALU_DEP_1)
	v_div_scale_f64 v[2:3], null, v[0:1], v[0:1], 1.0
	v_rcp_f64_e32 v[7:8], v[2:3]
	s_waitcnt_depctr 0xfff
	v_fma_f64 v[9:10], -v[2:3], v[7:8], 1.0
	s_delay_alu instid0(VALU_DEP_1) | instskip(NEXT) | instid1(VALU_DEP_1)
	v_fma_f64 v[7:8], v[7:8], v[9:10], v[7:8]
	v_fma_f64 v[9:10], -v[2:3], v[7:8], 1.0
	s_delay_alu instid0(VALU_DEP_1) | instskip(SKIP_1) | instid1(VALU_DEP_1)
	v_fma_f64 v[7:8], v[7:8], v[9:10], v[7:8]
	v_div_scale_f64 v[9:10], vcc_lo, 1.0, v[0:1], 1.0
	v_mul_f64 v[11:12], v[9:10], v[7:8]
	s_delay_alu instid0(VALU_DEP_1) | instskip(NEXT) | instid1(VALU_DEP_1)
	v_fma_f64 v[2:3], -v[2:3], v[11:12], v[9:10]
	v_div_fmas_f64 v[2:3], v[2:3], v[7:8], v[11:12]
	s_delay_alu instid0(VALU_DEP_1) | instskip(NEXT) | instid1(VALU_DEP_1)
	v_div_fixup_f64 v[0:1], v[2:3], v[0:1], 1.0
	v_mul_f64 v[2:3], v[5:6], -v[0:1]
.LBB124_1297:
	s_or_b32 exec_lo, exec_lo, s2
.LBB124_1298:
	s_delay_alu instid0(SALU_CYCLE_1) | instskip(NEXT) | instid1(SALU_CYCLE_1)
	s_or_b32 exec_lo, exec_lo, s3
	s_mov_b32 s2, exec_lo
	v_cmpx_ne_u32_e64 v40, v4
	s_xor_b32 s2, exec_lo, s2
	s_cbranch_execz .LBB124_1304
; %bb.1299:
	s_mov_b32 s3, exec_lo
	v_cmpx_eq_u32_e32 55, v40
	s_cbranch_execz .LBB124_1303
; %bb.1300:
	v_cmp_ne_u32_e32 vcc_lo, 55, v4
	s_xor_b32 s6, s4, -1
	s_delay_alu instid0(SALU_CYCLE_1) | instskip(NEXT) | instid1(SALU_CYCLE_1)
	s_and_b32 s7, s6, vcc_lo
	s_and_saveexec_b32 s6, s7
	s_cbranch_execz .LBB124_1302
; %bb.1301:
	v_ashrrev_i32_e32 v5, 31, v4
	s_delay_alu instid0(VALU_DEP_1) | instskip(NEXT) | instid1(VALU_DEP_1)
	v_lshlrev_b64 v[5:6], 2, v[4:5]
	v_add_co_u32 v5, vcc_lo, v145, v5
	s_delay_alu instid0(VALU_DEP_2)
	v_add_co_ci_u32_e32 v6, vcc_lo, v146, v6, vcc_lo
	s_clause 0x1
	flat_load_b32 v7, v[5:6]
	flat_load_b32 v8, v[145:146] offset:220
	s_waitcnt vmcnt(1) lgkmcnt(1)
	flat_store_b32 v[145:146], v7 offset:220
	s_waitcnt vmcnt(0) lgkmcnt(1)
	flat_store_b32 v[5:6], v8
.LBB124_1302:
	s_or_b32 exec_lo, exec_lo, s6
	v_mov_b32_e32 v40, v4
	v_mov_b32_e32 v39, v4
.LBB124_1303:
	s_or_b32 exec_lo, exec_lo, s3
.LBB124_1304:
	s_and_not1_saveexec_b32 s2, s2
	s_cbranch_execz .LBB124_1306
; %bb.1305:
	s_clause 0x6
	scratch_load_b128 v[4:7], v157, off
	scratch_load_b128 v[8:11], v150, off
	;; [unrolled: 1-line block ×7, first 2 shown]
	v_mov_b32_e32 v40, 55
	s_waitcnt vmcnt(6)
	ds_store_2addr_b64 v20, v[4:5], v[6:7] offset0:112 offset1:113
	s_waitcnt vmcnt(5)
	ds_store_2addr_b64 v20, v[8:9], v[10:11] offset0:114 offset1:115
	;; [unrolled: 2-line block ×7, first 2 shown]
.LBB124_1306:
	s_or_b32 exec_lo, exec_lo, s2
	s_delay_alu instid0(SALU_CYCLE_1)
	s_mov_b32 s2, exec_lo
	s_waitcnt lgkmcnt(0)
	s_waitcnt_vscnt null, 0x0
	s_barrier
	buffer_gl0_inv
	v_cmpx_lt_i32_e32 55, v40
	s_cbranch_execz .LBB124_1308
; %bb.1307:
	s_clause 0x1
	scratch_load_b128 v[4:7], off, off offset:880
	scratch_load_b128 v[8:11], off, off offset:896
	s_waitcnt vmcnt(1)
	v_mul_f64 v[12:13], v[0:1], v[6:7]
	v_mul_f64 v[6:7], v[2:3], v[6:7]
	s_delay_alu instid0(VALU_DEP_2)
	v_fma_f64 v[2:3], v[2:3], v[4:5], v[12:13]
	ds_load_2addr_b64 v[12:15], v20 offset0:112 offset1:113
	ds_load_2addr_b64 v[16:19], v20 offset0:114 offset1:115
	v_fma_f64 v[0:1], v[0:1], v[4:5], -v[6:7]
	s_waitcnt lgkmcnt(1)
	v_mul_f64 v[4:5], v[14:15], v[2:3]
	v_mul_f64 v[6:7], v[12:13], v[2:3]
	scratch_store_b128 off, v[0:3], off offset:880
	s_waitcnt lgkmcnt(0)
	v_mul_f64 v[101:102], v[18:19], v[2:3]
	v_mul_f64 v[103:104], v[16:17], v[2:3]
	v_fma_f64 v[4:5], v[12:13], v[0:1], -v[4:5]
	v_fma_f64 v[6:7], v[14:15], v[0:1], v[6:7]
	s_delay_alu instid0(VALU_DEP_4) | instskip(NEXT) | instid1(VALU_DEP_4)
	v_fma_f64 v[16:17], v[16:17], v[0:1], -v[101:102]
	v_fma_f64 v[18:19], v[18:19], v[0:1], v[103:104]
	s_waitcnt vmcnt(0)
	s_delay_alu instid0(VALU_DEP_4) | instskip(NEXT) | instid1(VALU_DEP_4)
	v_add_f64 v[4:5], v[8:9], -v[4:5]
	v_add_f64 v[6:7], v[10:11], -v[6:7]
	s_clause 0x6
	scratch_load_b128 v[8:11], off, off offset:880
	scratch_load_b128 v[12:15], off, off offset:928
	;; [unrolled: 1-line block ×7, first 2 shown]
	ds_load_2addr_b64 v[81:84], v20 offset0:116 offset1:117
	ds_load_2addr_b64 v[85:88], v20 offset0:118 offset1:119
	;; [unrolled: 1-line block ×5, first 2 shown]
	s_waitcnt lgkmcnt(4)
	v_mul_f64 v[45:46], v[83:84], v[2:3]
	v_mul_f64 v[49:50], v[81:82], v[2:3]
	s_waitcnt lgkmcnt(3)
	v_mul_f64 v[61:62], v[87:88], v[2:3]
	v_mul_f64 v[69:70], v[85:86], v[2:3]
	;; [unrolled: 3-line block ×4, first 2 shown]
	v_fma_f64 v[45:46], v[81:82], v[0:1], -v[45:46]
	v_fma_f64 v[49:50], v[83:84], v[0:1], v[49:50]
	v_fma_f64 v[61:62], v[85:86], v[0:1], -v[61:62]
	v_fma_f64 v[69:70], v[87:88], v[0:1], v[69:70]
	;; [unrolled: 2-line block ×4, first 2 shown]
	s_waitcnt vmcnt(6) lgkmcnt(0)
	v_mul_f64 v[121:122], v[99:100], v[10:11]
	v_mul_f64 v[10:11], v[97:98], v[10:11]
	s_waitcnt vmcnt(5)
	v_add_f64 v[0:1], v[12:13], -v[45:46]
	v_add_f64 v[2:3], v[14:15], -v[49:50]
	s_waitcnt vmcnt(2)
	v_add_f64 v[16:17], v[57:58], -v[16:17]
	v_add_f64 v[18:19], v[59:60], -v[18:19]
	v_add_f64 v[12:13], v[53:54], -v[77:78]
	v_add_f64 v[14:15], v[55:56], -v[81:82]
	v_fma_f64 v[87:88], v[97:98], v[8:9], -v[121:122]
	v_fma_f64 v[89:90], v[99:100], v[8:9], v[10:11]
	v_add_f64 v[8:9], v[41:42], -v[61:62]
	v_add_f64 v[10:11], v[43:44], -v[69:70]
	s_waitcnt vmcnt(1)
	v_add_f64 v[41:42], v[65:66], -v[83:84]
	v_add_f64 v[43:44], v[67:68], -v[85:86]
	s_waitcnt vmcnt(0)
	v_add_f64 v[53:54], v[73:74], -v[87:88]
	v_add_f64 v[55:56], v[75:76], -v[89:90]
	s_clause 0x6
	scratch_store_b128 off, v[4:7], off offset:896
	scratch_store_b128 off, v[16:19], off offset:912
	;; [unrolled: 1-line block ×7, first 2 shown]
.LBB124_1308:
	s_or_b32 exec_lo, exec_lo, s2
	s_waitcnt_vscnt null, 0x0
	s_barrier
	buffer_gl0_inv
	scratch_load_b128 v[0:3], v157, off
	v_lshl_add_u32 v4, v40, 4, v20
	s_cmp_lt_i32 s5, 58
	s_waitcnt vmcnt(0)
	ds_store_2addr_b64 v4, v[0:1], v[2:3] offset1:1
	s_waitcnt lgkmcnt(0)
	s_barrier
	buffer_gl0_inv
	ds_load_2addr_b64 v[0:3], v20 offset0:112 offset1:113
	v_mov_b32_e32 v4, 56
	s_cbranch_scc1 .LBB124_1311
; %bb.1309:
	v_add3_u32 v5, v38, 0, 0x390
	v_mov_b32_e32 v4, 56
	s_mov_b32 s6, 57
	s_set_inst_prefetch_distance 0x1
	.p2align	6
.LBB124_1310:                           ; =>This Inner Loop Header: Depth=1
	ds_load_2addr_b64 v[6:9], v5 offset1:1
	s_waitcnt lgkmcnt(1)
	v_cmp_gt_f64_e32 vcc_lo, 0, v[0:1]
	v_xor_b32_e32 v10, 0x80000000, v1
	v_cmp_gt_f64_e64 s2, 0, v[2:3]
	v_xor_b32_e32 v12, 0x80000000, v3
	v_add_nc_u32_e32 v5, 16, v5
	s_waitcnt lgkmcnt(0)
	v_cmp_gt_f64_e64 s3, 0, v[6:7]
	v_mov_b32_e32 v14, v6
	v_dual_mov_b32 v16, v8 :: v_dual_cndmask_b32 v11, v1, v10
	v_xor_b32_e32 v10, 0x80000000, v7
	v_cndmask_b32_e64 v13, v3, v12, s2
	v_xor_b32_e32 v12, 0x80000000, v9
	s_delay_alu instid0(VALU_DEP_3) | instskip(SKIP_2) | instid1(VALU_DEP_2)
	v_cndmask_b32_e64 v15, v7, v10, s3
	v_cmp_gt_f64_e64 s3, 0, v[8:9]
	v_cndmask_b32_e32 v10, v0, v0, vcc_lo
	v_cndmask_b32_e64 v17, v9, v12, s3
	v_cndmask_b32_e64 v12, v2, v2, s2
	s_delay_alu instid0(VALU_DEP_2) | instskip(NEXT) | instid1(VALU_DEP_2)
	v_add_f64 v[14:15], v[14:15], v[16:17]
	v_add_f64 v[10:11], v[10:11], v[12:13]
	s_delay_alu instid0(VALU_DEP_1)
	v_cmp_lt_f64_e32 vcc_lo, v[10:11], v[14:15]
	v_cndmask_b32_e32 v3, v3, v9, vcc_lo
	v_dual_cndmask_b32 v1, v1, v7 :: v_dual_cndmask_b32 v0, v0, v6
	v_cndmask_b32_e32 v2, v2, v8, vcc_lo
	v_cndmask_b32_e64 v4, v4, s6, vcc_lo
	s_add_i32 s6, s6, 1
	s_delay_alu instid0(SALU_CYCLE_1)
	s_cmp_lg_u32 s5, s6
	s_cbranch_scc1 .LBB124_1310
.LBB124_1311:
	s_set_inst_prefetch_distance 0x2
	s_waitcnt lgkmcnt(0)
	v_cmp_eq_f64_e32 vcc_lo, 0, v[0:1]
	v_cmp_eq_f64_e64 s2, 0, v[2:3]
	s_delay_alu instid0(VALU_DEP_1) | instskip(NEXT) | instid1(SALU_CYCLE_1)
	s_and_b32 s2, vcc_lo, s2
	s_and_saveexec_b32 s3, s2
	s_delay_alu instid0(SALU_CYCLE_1)
	s_xor_b32 s2, exec_lo, s3
; %bb.1312:
	v_cmp_ne_u32_e32 vcc_lo, 0, v37
	v_cndmask_b32_e32 v37, 57, v37, vcc_lo
; %bb.1313:
	s_and_not1_saveexec_b32 s3, s2
	s_cbranch_execz .LBB124_1319
; %bb.1314:
	v_cmp_gt_f64_e32 vcc_lo, 0, v[0:1]
	v_cmp_gt_f64_e64 s2, 0, v[2:3]
	v_xor_b32_e32 v5, 0x80000000, v1
	v_xor_b32_e32 v7, 0x80000000, v3
	s_delay_alu instid0(VALU_DEP_2) | instskip(NEXT) | instid1(VALU_DEP_2)
	v_dual_cndmask_b32 v6, v1, v5 :: v_dual_cndmask_b32 v5, v0, v0
	v_cndmask_b32_e64 v8, v3, v7, s2
	v_cndmask_b32_e64 v7, v2, v2, s2
	s_mov_b32 s2, exec_lo
	s_delay_alu instid0(VALU_DEP_1)
	v_cmpx_ngt_f64_e32 v[5:6], v[7:8]
	s_xor_b32 s2, exec_lo, s2
	s_cbranch_execz .LBB124_1316
; %bb.1315:
	v_div_scale_f64 v[5:6], null, v[2:3], v[2:3], v[0:1]
	v_div_scale_f64 v[11:12], vcc_lo, v[0:1], v[2:3], v[0:1]
	s_delay_alu instid0(VALU_DEP_2) | instskip(SKIP_2) | instid1(VALU_DEP_1)
	v_rcp_f64_e32 v[7:8], v[5:6]
	s_waitcnt_depctr 0xfff
	v_fma_f64 v[9:10], -v[5:6], v[7:8], 1.0
	v_fma_f64 v[7:8], v[7:8], v[9:10], v[7:8]
	s_delay_alu instid0(VALU_DEP_1) | instskip(NEXT) | instid1(VALU_DEP_1)
	v_fma_f64 v[9:10], -v[5:6], v[7:8], 1.0
	v_fma_f64 v[7:8], v[7:8], v[9:10], v[7:8]
	s_delay_alu instid0(VALU_DEP_1) | instskip(NEXT) | instid1(VALU_DEP_1)
	v_mul_f64 v[9:10], v[11:12], v[7:8]
	v_fma_f64 v[5:6], -v[5:6], v[9:10], v[11:12]
	s_delay_alu instid0(VALU_DEP_1) | instskip(NEXT) | instid1(VALU_DEP_1)
	v_div_fmas_f64 v[5:6], v[5:6], v[7:8], v[9:10]
	v_div_fixup_f64 v[5:6], v[5:6], v[2:3], v[0:1]
	s_delay_alu instid0(VALU_DEP_1) | instskip(NEXT) | instid1(VALU_DEP_1)
	v_fma_f64 v[0:1], v[0:1], v[5:6], v[2:3]
	v_div_scale_f64 v[2:3], null, v[0:1], v[0:1], 1.0
	s_delay_alu instid0(VALU_DEP_1) | instskip(SKIP_2) | instid1(VALU_DEP_1)
	v_rcp_f64_e32 v[7:8], v[2:3]
	s_waitcnt_depctr 0xfff
	v_fma_f64 v[9:10], -v[2:3], v[7:8], 1.0
	v_fma_f64 v[7:8], v[7:8], v[9:10], v[7:8]
	s_delay_alu instid0(VALU_DEP_1) | instskip(NEXT) | instid1(VALU_DEP_1)
	v_fma_f64 v[9:10], -v[2:3], v[7:8], 1.0
	v_fma_f64 v[7:8], v[7:8], v[9:10], v[7:8]
	v_div_scale_f64 v[9:10], vcc_lo, 1.0, v[0:1], 1.0
	s_delay_alu instid0(VALU_DEP_1) | instskip(NEXT) | instid1(VALU_DEP_1)
	v_mul_f64 v[11:12], v[9:10], v[7:8]
	v_fma_f64 v[2:3], -v[2:3], v[11:12], v[9:10]
	s_delay_alu instid0(VALU_DEP_1) | instskip(NEXT) | instid1(VALU_DEP_1)
	v_div_fmas_f64 v[2:3], v[2:3], v[7:8], v[11:12]
	v_div_fixup_f64 v[2:3], v[2:3], v[0:1], 1.0
	s_delay_alu instid0(VALU_DEP_1)
	v_mul_f64 v[0:1], v[5:6], v[2:3]
	v_xor_b32_e32 v3, 0x80000000, v3
.LBB124_1316:
	s_and_not1_saveexec_b32 s2, s2
	s_cbranch_execz .LBB124_1318
; %bb.1317:
	s_delay_alu instid0(VALU_DEP_1) | instskip(SKIP_1) | instid1(VALU_DEP_2)
	v_div_scale_f64 v[5:6], null, v[0:1], v[0:1], v[2:3]
	v_div_scale_f64 v[11:12], vcc_lo, v[2:3], v[0:1], v[2:3]
	v_rcp_f64_e32 v[7:8], v[5:6]
	s_waitcnt_depctr 0xfff
	v_fma_f64 v[9:10], -v[5:6], v[7:8], 1.0
	s_delay_alu instid0(VALU_DEP_1) | instskip(NEXT) | instid1(VALU_DEP_1)
	v_fma_f64 v[7:8], v[7:8], v[9:10], v[7:8]
	v_fma_f64 v[9:10], -v[5:6], v[7:8], 1.0
	s_delay_alu instid0(VALU_DEP_1) | instskip(NEXT) | instid1(VALU_DEP_1)
	v_fma_f64 v[7:8], v[7:8], v[9:10], v[7:8]
	v_mul_f64 v[9:10], v[11:12], v[7:8]
	s_delay_alu instid0(VALU_DEP_1) | instskip(NEXT) | instid1(VALU_DEP_1)
	v_fma_f64 v[5:6], -v[5:6], v[9:10], v[11:12]
	v_div_fmas_f64 v[5:6], v[5:6], v[7:8], v[9:10]
	s_delay_alu instid0(VALU_DEP_1) | instskip(NEXT) | instid1(VALU_DEP_1)
	v_div_fixup_f64 v[5:6], v[5:6], v[0:1], v[2:3]
	v_fma_f64 v[0:1], v[2:3], v[5:6], v[0:1]
	s_delay_alu instid0(VALU_DEP_1) | instskip(NEXT) | instid1(VALU_DEP_1)
	v_div_scale_f64 v[2:3], null, v[0:1], v[0:1], 1.0
	v_rcp_f64_e32 v[7:8], v[2:3]
	s_waitcnt_depctr 0xfff
	v_fma_f64 v[9:10], -v[2:3], v[7:8], 1.0
	s_delay_alu instid0(VALU_DEP_1) | instskip(NEXT) | instid1(VALU_DEP_1)
	v_fma_f64 v[7:8], v[7:8], v[9:10], v[7:8]
	v_fma_f64 v[9:10], -v[2:3], v[7:8], 1.0
	s_delay_alu instid0(VALU_DEP_1) | instskip(SKIP_1) | instid1(VALU_DEP_1)
	v_fma_f64 v[7:8], v[7:8], v[9:10], v[7:8]
	v_div_scale_f64 v[9:10], vcc_lo, 1.0, v[0:1], 1.0
	v_mul_f64 v[11:12], v[9:10], v[7:8]
	s_delay_alu instid0(VALU_DEP_1) | instskip(NEXT) | instid1(VALU_DEP_1)
	v_fma_f64 v[2:3], -v[2:3], v[11:12], v[9:10]
	v_div_fmas_f64 v[2:3], v[2:3], v[7:8], v[11:12]
	s_delay_alu instid0(VALU_DEP_1) | instskip(NEXT) | instid1(VALU_DEP_1)
	v_div_fixup_f64 v[0:1], v[2:3], v[0:1], 1.0
	v_mul_f64 v[2:3], v[5:6], -v[0:1]
.LBB124_1318:
	s_or_b32 exec_lo, exec_lo, s2
.LBB124_1319:
	s_delay_alu instid0(SALU_CYCLE_1) | instskip(NEXT) | instid1(SALU_CYCLE_1)
	s_or_b32 exec_lo, exec_lo, s3
	s_mov_b32 s2, exec_lo
	v_cmpx_ne_u32_e64 v40, v4
	s_xor_b32 s2, exec_lo, s2
	s_cbranch_execz .LBB124_1325
; %bb.1320:
	s_mov_b32 s3, exec_lo
	v_cmpx_eq_u32_e32 56, v40
	s_cbranch_execz .LBB124_1324
; %bb.1321:
	v_cmp_ne_u32_e32 vcc_lo, 56, v4
	s_xor_b32 s6, s4, -1
	s_delay_alu instid0(SALU_CYCLE_1) | instskip(NEXT) | instid1(SALU_CYCLE_1)
	s_and_b32 s7, s6, vcc_lo
	s_and_saveexec_b32 s6, s7
	s_cbranch_execz .LBB124_1323
; %bb.1322:
	v_ashrrev_i32_e32 v5, 31, v4
	s_delay_alu instid0(VALU_DEP_1) | instskip(NEXT) | instid1(VALU_DEP_1)
	v_lshlrev_b64 v[5:6], 2, v[4:5]
	v_add_co_u32 v5, vcc_lo, v145, v5
	s_delay_alu instid0(VALU_DEP_2)
	v_add_co_ci_u32_e32 v6, vcc_lo, v146, v6, vcc_lo
	s_clause 0x1
	flat_load_b32 v7, v[5:6]
	flat_load_b32 v8, v[145:146] offset:224
	s_waitcnt vmcnt(1) lgkmcnt(1)
	flat_store_b32 v[145:146], v7 offset:224
	s_waitcnt vmcnt(0) lgkmcnt(1)
	flat_store_b32 v[5:6], v8
.LBB124_1323:
	s_or_b32 exec_lo, exec_lo, s6
	v_mov_b32_e32 v40, v4
	v_mov_b32_e32 v39, v4
.LBB124_1324:
	s_or_b32 exec_lo, exec_lo, s3
.LBB124_1325:
	s_and_not1_saveexec_b32 s2, s2
	s_cbranch_execz .LBB124_1327
; %bb.1326:
	s_clause 0x5
	scratch_load_b128 v[4:7], v150, off
	scratch_load_b128 v[8:11], v155, off
	;; [unrolled: 1-line block ×6, first 2 shown]
	v_mov_b32_e32 v40, 56
	s_waitcnt vmcnt(5)
	ds_store_2addr_b64 v20, v[4:5], v[6:7] offset0:114 offset1:115
	s_waitcnt vmcnt(4)
	ds_store_2addr_b64 v20, v[8:9], v[10:11] offset0:116 offset1:117
	;; [unrolled: 2-line block ×6, first 2 shown]
.LBB124_1327:
	s_or_b32 exec_lo, exec_lo, s2
	s_delay_alu instid0(SALU_CYCLE_1)
	s_mov_b32 s2, exec_lo
	s_waitcnt lgkmcnt(0)
	s_waitcnt_vscnt null, 0x0
	s_barrier
	buffer_gl0_inv
	v_cmpx_lt_i32_e32 56, v40
	s_cbranch_execz .LBB124_1329
; %bb.1328:
	s_clause 0x6
	scratch_load_b128 v[4:7], off, off offset:896
	scratch_load_b128 v[8:11], off, off offset:912
	;; [unrolled: 1-line block ×7, first 2 shown]
	ds_load_2addr_b64 v[65:68], v20 offset0:114 offset1:115
	ds_load_2addr_b64 v[73:76], v20 offset0:116 offset1:117
	;; [unrolled: 1-line block ×6, first 2 shown]
	s_waitcnt vmcnt(6)
	v_mul_f64 v[45:46], v[0:1], v[6:7]
	v_mul_f64 v[6:7], v[2:3], v[6:7]
	s_delay_alu instid0(VALU_DEP_2) | instskip(NEXT) | instid1(VALU_DEP_2)
	v_fma_f64 v[2:3], v[2:3], v[4:5], v[45:46]
	v_fma_f64 v[0:1], v[0:1], v[4:5], -v[6:7]
	s_waitcnt lgkmcnt(5)
	s_delay_alu instid0(VALU_DEP_2)
	v_mul_f64 v[4:5], v[67:68], v[2:3]
	v_mul_f64 v[6:7], v[65:66], v[2:3]
	s_waitcnt lgkmcnt(4)
	v_mul_f64 v[45:46], v[75:76], v[2:3]
	v_mul_f64 v[49:50], v[73:74], v[2:3]
	s_waitcnt lgkmcnt(3)
	;; [unrolled: 3-line block ×5, first 2 shown]
	v_mul_f64 v[103:104], v[95:96], v[2:3]
	v_mul_f64 v[113:114], v[93:94], v[2:3]
	v_fma_f64 v[4:5], v[65:66], v[0:1], -v[4:5]
	v_fma_f64 v[6:7], v[67:68], v[0:1], v[6:7]
	v_fma_f64 v[45:46], v[73:74], v[0:1], -v[45:46]
	v_fma_f64 v[49:50], v[75:76], v[0:1], v[49:50]
	v_fma_f64 v[61:62], v[81:82], v[0:1], -v[61:62]
	v_fma_f64 v[65:66], v[83:84], v[0:1], v[69:70]
	v_fma_f64 v[67:68], v[85:86], v[0:1], -v[77:78]
	v_fma_f64 v[69:70], v[87:88], v[0:1], v[97:98]
	v_fma_f64 v[73:74], v[89:90], v[0:1], -v[99:100]
	v_fma_f64 v[75:76], v[91:92], v[0:1], v[101:102]
	v_fma_f64 v[77:78], v[93:94], v[0:1], -v[103:104]
	v_fma_f64 v[81:82], v[95:96], v[0:1], v[113:114]
	s_waitcnt vmcnt(5)
	v_add_f64 v[4:5], v[8:9], -v[4:5]
	v_add_f64 v[6:7], v[10:11], -v[6:7]
	s_waitcnt vmcnt(4)
	v_add_f64 v[8:9], v[12:13], -v[45:46]
	v_add_f64 v[10:11], v[14:15], -v[49:50]
	;; [unrolled: 3-line block ×6, first 2 shown]
	s_clause 0x6
	scratch_store_b128 off, v[0:3], off offset:896
	scratch_store_b128 off, v[4:7], off offset:912
	;; [unrolled: 1-line block ×7, first 2 shown]
.LBB124_1329:
	s_or_b32 exec_lo, exec_lo, s2
	s_waitcnt_vscnt null, 0x0
	s_barrier
	buffer_gl0_inv
	scratch_load_b128 v[0:3], v150, off
	v_lshl_add_u32 v4, v40, 4, v20
	s_cmp_lt_i32 s5, 59
	s_waitcnt vmcnt(0)
	ds_store_2addr_b64 v4, v[0:1], v[2:3] offset1:1
	s_waitcnt lgkmcnt(0)
	s_barrier
	buffer_gl0_inv
	ds_load_2addr_b64 v[0:3], v20 offset0:114 offset1:115
	v_mov_b32_e32 v4, 57
	s_cbranch_scc1 .LBB124_1332
; %bb.1330:
	v_add3_u32 v5, v38, 0, 0x3a0
	v_mov_b32_e32 v4, 57
	s_mov_b32 s6, 58
	s_set_inst_prefetch_distance 0x1
	.p2align	6
.LBB124_1331:                           ; =>This Inner Loop Header: Depth=1
	ds_load_2addr_b64 v[6:9], v5 offset1:1
	s_waitcnt lgkmcnt(1)
	v_cmp_gt_f64_e32 vcc_lo, 0, v[0:1]
	v_xor_b32_e32 v10, 0x80000000, v1
	v_cmp_gt_f64_e64 s2, 0, v[2:3]
	v_xor_b32_e32 v12, 0x80000000, v3
	v_add_nc_u32_e32 v5, 16, v5
	s_waitcnt lgkmcnt(0)
	v_cmp_gt_f64_e64 s3, 0, v[6:7]
	v_mov_b32_e32 v14, v6
	v_dual_mov_b32 v16, v8 :: v_dual_cndmask_b32 v11, v1, v10
	v_xor_b32_e32 v10, 0x80000000, v7
	v_cndmask_b32_e64 v13, v3, v12, s2
	v_xor_b32_e32 v12, 0x80000000, v9
	s_delay_alu instid0(VALU_DEP_3) | instskip(SKIP_2) | instid1(VALU_DEP_2)
	v_cndmask_b32_e64 v15, v7, v10, s3
	v_cmp_gt_f64_e64 s3, 0, v[8:9]
	v_cndmask_b32_e32 v10, v0, v0, vcc_lo
	v_cndmask_b32_e64 v17, v9, v12, s3
	v_cndmask_b32_e64 v12, v2, v2, s2
	s_delay_alu instid0(VALU_DEP_2) | instskip(NEXT) | instid1(VALU_DEP_2)
	v_add_f64 v[14:15], v[14:15], v[16:17]
	v_add_f64 v[10:11], v[10:11], v[12:13]
	s_delay_alu instid0(VALU_DEP_1)
	v_cmp_lt_f64_e32 vcc_lo, v[10:11], v[14:15]
	v_cndmask_b32_e32 v3, v3, v9, vcc_lo
	v_dual_cndmask_b32 v1, v1, v7 :: v_dual_cndmask_b32 v0, v0, v6
	v_cndmask_b32_e32 v2, v2, v8, vcc_lo
	v_cndmask_b32_e64 v4, v4, s6, vcc_lo
	s_add_i32 s6, s6, 1
	s_delay_alu instid0(SALU_CYCLE_1)
	s_cmp_lg_u32 s5, s6
	s_cbranch_scc1 .LBB124_1331
.LBB124_1332:
	s_set_inst_prefetch_distance 0x2
	s_waitcnt lgkmcnt(0)
	v_cmp_eq_f64_e32 vcc_lo, 0, v[0:1]
	v_cmp_eq_f64_e64 s2, 0, v[2:3]
	s_delay_alu instid0(VALU_DEP_1) | instskip(NEXT) | instid1(SALU_CYCLE_1)
	s_and_b32 s2, vcc_lo, s2
	s_and_saveexec_b32 s3, s2
	s_delay_alu instid0(SALU_CYCLE_1)
	s_xor_b32 s2, exec_lo, s3
; %bb.1333:
	v_cmp_ne_u32_e32 vcc_lo, 0, v37
	v_cndmask_b32_e32 v37, 58, v37, vcc_lo
; %bb.1334:
	s_and_not1_saveexec_b32 s3, s2
	s_cbranch_execz .LBB124_1340
; %bb.1335:
	v_cmp_gt_f64_e32 vcc_lo, 0, v[0:1]
	v_cmp_gt_f64_e64 s2, 0, v[2:3]
	v_xor_b32_e32 v5, 0x80000000, v1
	v_xor_b32_e32 v7, 0x80000000, v3
	s_delay_alu instid0(VALU_DEP_2) | instskip(NEXT) | instid1(VALU_DEP_2)
	v_dual_cndmask_b32 v6, v1, v5 :: v_dual_cndmask_b32 v5, v0, v0
	v_cndmask_b32_e64 v8, v3, v7, s2
	v_cndmask_b32_e64 v7, v2, v2, s2
	s_mov_b32 s2, exec_lo
	s_delay_alu instid0(VALU_DEP_1)
	v_cmpx_ngt_f64_e32 v[5:6], v[7:8]
	s_xor_b32 s2, exec_lo, s2
	s_cbranch_execz .LBB124_1337
; %bb.1336:
	v_div_scale_f64 v[5:6], null, v[2:3], v[2:3], v[0:1]
	v_div_scale_f64 v[11:12], vcc_lo, v[0:1], v[2:3], v[0:1]
	s_delay_alu instid0(VALU_DEP_2) | instskip(SKIP_2) | instid1(VALU_DEP_1)
	v_rcp_f64_e32 v[7:8], v[5:6]
	s_waitcnt_depctr 0xfff
	v_fma_f64 v[9:10], -v[5:6], v[7:8], 1.0
	v_fma_f64 v[7:8], v[7:8], v[9:10], v[7:8]
	s_delay_alu instid0(VALU_DEP_1) | instskip(NEXT) | instid1(VALU_DEP_1)
	v_fma_f64 v[9:10], -v[5:6], v[7:8], 1.0
	v_fma_f64 v[7:8], v[7:8], v[9:10], v[7:8]
	s_delay_alu instid0(VALU_DEP_1) | instskip(NEXT) | instid1(VALU_DEP_1)
	v_mul_f64 v[9:10], v[11:12], v[7:8]
	v_fma_f64 v[5:6], -v[5:6], v[9:10], v[11:12]
	s_delay_alu instid0(VALU_DEP_1) | instskip(NEXT) | instid1(VALU_DEP_1)
	v_div_fmas_f64 v[5:6], v[5:6], v[7:8], v[9:10]
	v_div_fixup_f64 v[5:6], v[5:6], v[2:3], v[0:1]
	s_delay_alu instid0(VALU_DEP_1) | instskip(NEXT) | instid1(VALU_DEP_1)
	v_fma_f64 v[0:1], v[0:1], v[5:6], v[2:3]
	v_div_scale_f64 v[2:3], null, v[0:1], v[0:1], 1.0
	s_delay_alu instid0(VALU_DEP_1) | instskip(SKIP_2) | instid1(VALU_DEP_1)
	v_rcp_f64_e32 v[7:8], v[2:3]
	s_waitcnt_depctr 0xfff
	v_fma_f64 v[9:10], -v[2:3], v[7:8], 1.0
	v_fma_f64 v[7:8], v[7:8], v[9:10], v[7:8]
	s_delay_alu instid0(VALU_DEP_1) | instskip(NEXT) | instid1(VALU_DEP_1)
	v_fma_f64 v[9:10], -v[2:3], v[7:8], 1.0
	v_fma_f64 v[7:8], v[7:8], v[9:10], v[7:8]
	v_div_scale_f64 v[9:10], vcc_lo, 1.0, v[0:1], 1.0
	s_delay_alu instid0(VALU_DEP_1) | instskip(NEXT) | instid1(VALU_DEP_1)
	v_mul_f64 v[11:12], v[9:10], v[7:8]
	v_fma_f64 v[2:3], -v[2:3], v[11:12], v[9:10]
	s_delay_alu instid0(VALU_DEP_1) | instskip(NEXT) | instid1(VALU_DEP_1)
	v_div_fmas_f64 v[2:3], v[2:3], v[7:8], v[11:12]
	v_div_fixup_f64 v[2:3], v[2:3], v[0:1], 1.0
	s_delay_alu instid0(VALU_DEP_1)
	v_mul_f64 v[0:1], v[5:6], v[2:3]
	v_xor_b32_e32 v3, 0x80000000, v3
.LBB124_1337:
	s_and_not1_saveexec_b32 s2, s2
	s_cbranch_execz .LBB124_1339
; %bb.1338:
	s_delay_alu instid0(VALU_DEP_1) | instskip(SKIP_1) | instid1(VALU_DEP_2)
	v_div_scale_f64 v[5:6], null, v[0:1], v[0:1], v[2:3]
	v_div_scale_f64 v[11:12], vcc_lo, v[2:3], v[0:1], v[2:3]
	v_rcp_f64_e32 v[7:8], v[5:6]
	s_waitcnt_depctr 0xfff
	v_fma_f64 v[9:10], -v[5:6], v[7:8], 1.0
	s_delay_alu instid0(VALU_DEP_1) | instskip(NEXT) | instid1(VALU_DEP_1)
	v_fma_f64 v[7:8], v[7:8], v[9:10], v[7:8]
	v_fma_f64 v[9:10], -v[5:6], v[7:8], 1.0
	s_delay_alu instid0(VALU_DEP_1) | instskip(NEXT) | instid1(VALU_DEP_1)
	v_fma_f64 v[7:8], v[7:8], v[9:10], v[7:8]
	v_mul_f64 v[9:10], v[11:12], v[7:8]
	s_delay_alu instid0(VALU_DEP_1) | instskip(NEXT) | instid1(VALU_DEP_1)
	v_fma_f64 v[5:6], -v[5:6], v[9:10], v[11:12]
	v_div_fmas_f64 v[5:6], v[5:6], v[7:8], v[9:10]
	s_delay_alu instid0(VALU_DEP_1) | instskip(NEXT) | instid1(VALU_DEP_1)
	v_div_fixup_f64 v[5:6], v[5:6], v[0:1], v[2:3]
	v_fma_f64 v[0:1], v[2:3], v[5:6], v[0:1]
	s_delay_alu instid0(VALU_DEP_1) | instskip(NEXT) | instid1(VALU_DEP_1)
	v_div_scale_f64 v[2:3], null, v[0:1], v[0:1], 1.0
	v_rcp_f64_e32 v[7:8], v[2:3]
	s_waitcnt_depctr 0xfff
	v_fma_f64 v[9:10], -v[2:3], v[7:8], 1.0
	s_delay_alu instid0(VALU_DEP_1) | instskip(NEXT) | instid1(VALU_DEP_1)
	v_fma_f64 v[7:8], v[7:8], v[9:10], v[7:8]
	v_fma_f64 v[9:10], -v[2:3], v[7:8], 1.0
	s_delay_alu instid0(VALU_DEP_1) | instskip(SKIP_1) | instid1(VALU_DEP_1)
	v_fma_f64 v[7:8], v[7:8], v[9:10], v[7:8]
	v_div_scale_f64 v[9:10], vcc_lo, 1.0, v[0:1], 1.0
	v_mul_f64 v[11:12], v[9:10], v[7:8]
	s_delay_alu instid0(VALU_DEP_1) | instskip(NEXT) | instid1(VALU_DEP_1)
	v_fma_f64 v[2:3], -v[2:3], v[11:12], v[9:10]
	v_div_fmas_f64 v[2:3], v[2:3], v[7:8], v[11:12]
	s_delay_alu instid0(VALU_DEP_1) | instskip(NEXT) | instid1(VALU_DEP_1)
	v_div_fixup_f64 v[0:1], v[2:3], v[0:1], 1.0
	v_mul_f64 v[2:3], v[5:6], -v[0:1]
.LBB124_1339:
	s_or_b32 exec_lo, exec_lo, s2
.LBB124_1340:
	s_delay_alu instid0(SALU_CYCLE_1) | instskip(NEXT) | instid1(SALU_CYCLE_1)
	s_or_b32 exec_lo, exec_lo, s3
	s_mov_b32 s2, exec_lo
	v_cmpx_ne_u32_e64 v40, v4
	s_xor_b32 s2, exec_lo, s2
	s_cbranch_execz .LBB124_1346
; %bb.1341:
	s_mov_b32 s3, exec_lo
	v_cmpx_eq_u32_e32 57, v40
	s_cbranch_execz .LBB124_1345
; %bb.1342:
	v_cmp_ne_u32_e32 vcc_lo, 57, v4
	s_xor_b32 s6, s4, -1
	s_delay_alu instid0(SALU_CYCLE_1) | instskip(NEXT) | instid1(SALU_CYCLE_1)
	s_and_b32 s7, s6, vcc_lo
	s_and_saveexec_b32 s6, s7
	s_cbranch_execz .LBB124_1344
; %bb.1343:
	v_ashrrev_i32_e32 v5, 31, v4
	s_delay_alu instid0(VALU_DEP_1) | instskip(NEXT) | instid1(VALU_DEP_1)
	v_lshlrev_b64 v[5:6], 2, v[4:5]
	v_add_co_u32 v5, vcc_lo, v145, v5
	s_delay_alu instid0(VALU_DEP_2)
	v_add_co_ci_u32_e32 v6, vcc_lo, v146, v6, vcc_lo
	s_clause 0x1
	flat_load_b32 v7, v[5:6]
	flat_load_b32 v8, v[145:146] offset:228
	s_waitcnt vmcnt(1) lgkmcnt(1)
	flat_store_b32 v[145:146], v7 offset:228
	s_waitcnt vmcnt(0) lgkmcnt(1)
	flat_store_b32 v[5:6], v8
.LBB124_1344:
	s_or_b32 exec_lo, exec_lo, s6
	v_mov_b32_e32 v40, v4
	v_mov_b32_e32 v39, v4
.LBB124_1345:
	s_or_b32 exec_lo, exec_lo, s3
.LBB124_1346:
	s_and_not1_saveexec_b32 s2, s2
	s_cbranch_execz .LBB124_1348
; %bb.1347:
	s_clause 0x4
	scratch_load_b128 v[4:7], v155, off
	scratch_load_b128 v[8:11], v255, off
	;; [unrolled: 1-line block ×5, first 2 shown]
	v_mov_b32_e32 v40, 57
	s_waitcnt vmcnt(4)
	ds_store_2addr_b64 v20, v[4:5], v[6:7] offset0:116 offset1:117
	s_waitcnt vmcnt(3)
	ds_store_2addr_b64 v20, v[8:9], v[10:11] offset0:118 offset1:119
	;; [unrolled: 2-line block ×5, first 2 shown]
.LBB124_1348:
	s_or_b32 exec_lo, exec_lo, s2
	s_delay_alu instid0(SALU_CYCLE_1)
	s_mov_b32 s2, exec_lo
	s_waitcnt lgkmcnt(0)
	s_waitcnt_vscnt null, 0x0
	s_barrier
	buffer_gl0_inv
	v_cmpx_lt_i32_e32 57, v40
	s_cbranch_execz .LBB124_1350
; %bb.1349:
	s_clause 0x5
	scratch_load_b128 v[4:7], off, off offset:912
	scratch_load_b128 v[8:11], off, off offset:928
	;; [unrolled: 1-line block ×6, first 2 shown]
	ds_load_2addr_b64 v[57:60], v20 offset0:116 offset1:117
	ds_load_2addr_b64 v[65:68], v20 offset0:118 offset1:119
	;; [unrolled: 1-line block ×5, first 2 shown]
	s_waitcnt vmcnt(5)
	v_mul_f64 v[45:46], v[0:1], v[6:7]
	v_mul_f64 v[6:7], v[2:3], v[6:7]
	s_delay_alu instid0(VALU_DEP_2) | instskip(NEXT) | instid1(VALU_DEP_2)
	v_fma_f64 v[2:3], v[2:3], v[4:5], v[45:46]
	v_fma_f64 v[0:1], v[0:1], v[4:5], -v[6:7]
	s_waitcnt lgkmcnt(4)
	s_delay_alu instid0(VALU_DEP_2)
	v_mul_f64 v[4:5], v[59:60], v[2:3]
	v_mul_f64 v[6:7], v[57:58], v[2:3]
	s_waitcnt lgkmcnt(3)
	v_mul_f64 v[45:46], v[67:68], v[2:3]
	v_mul_f64 v[49:50], v[65:66], v[2:3]
	s_waitcnt lgkmcnt(2)
	;; [unrolled: 3-line block ×4, first 2 shown]
	v_mul_f64 v[91:92], v[87:88], v[2:3]
	v_mul_f64 v[93:94], v[85:86], v[2:3]
	v_fma_f64 v[4:5], v[57:58], v[0:1], -v[4:5]
	v_fma_f64 v[6:7], v[59:60], v[0:1], v[6:7]
	v_fma_f64 v[45:46], v[65:66], v[0:1], -v[45:46]
	v_fma_f64 v[49:50], v[67:68], v[0:1], v[49:50]
	;; [unrolled: 2-line block ×5, first 2 shown]
	s_waitcnt vmcnt(4)
	v_add_f64 v[4:5], v[8:9], -v[4:5]
	v_add_f64 v[6:7], v[10:11], -v[6:7]
	s_waitcnt vmcnt(3)
	v_add_f64 v[8:9], v[12:13], -v[45:46]
	v_add_f64 v[10:11], v[14:15], -v[49:50]
	;; [unrolled: 3-line block ×5, first 2 shown]
	s_clause 0x5
	scratch_store_b128 off, v[0:3], off offset:912
	scratch_store_b128 off, v[4:7], off offset:928
	;; [unrolled: 1-line block ×6, first 2 shown]
.LBB124_1350:
	s_or_b32 exec_lo, exec_lo, s2
	s_waitcnt_vscnt null, 0x0
	s_barrier
	buffer_gl0_inv
	scratch_load_b128 v[0:3], v155, off
	v_lshl_add_u32 v4, v40, 4, v20
	s_cmp_lt_i32 s5, 60
	s_waitcnt vmcnt(0)
	ds_store_2addr_b64 v4, v[0:1], v[2:3] offset1:1
	s_waitcnt lgkmcnt(0)
	s_barrier
	buffer_gl0_inv
	ds_load_2addr_b64 v[0:3], v20 offset0:116 offset1:117
	v_mov_b32_e32 v4, 58
	s_cbranch_scc1 .LBB124_1353
; %bb.1351:
	v_add3_u32 v5, v38, 0, 0x3b0
	v_mov_b32_e32 v4, 58
	s_mov_b32 s6, 59
	s_set_inst_prefetch_distance 0x1
	.p2align	6
.LBB124_1352:                           ; =>This Inner Loop Header: Depth=1
	ds_load_2addr_b64 v[6:9], v5 offset1:1
	s_waitcnt lgkmcnt(1)
	v_cmp_gt_f64_e32 vcc_lo, 0, v[0:1]
	v_xor_b32_e32 v10, 0x80000000, v1
	v_cmp_gt_f64_e64 s2, 0, v[2:3]
	v_xor_b32_e32 v12, 0x80000000, v3
	v_add_nc_u32_e32 v5, 16, v5
	s_waitcnt lgkmcnt(0)
	v_cmp_gt_f64_e64 s3, 0, v[6:7]
	v_mov_b32_e32 v14, v6
	v_dual_mov_b32 v16, v8 :: v_dual_cndmask_b32 v11, v1, v10
	v_xor_b32_e32 v10, 0x80000000, v7
	v_cndmask_b32_e64 v13, v3, v12, s2
	v_xor_b32_e32 v12, 0x80000000, v9
	s_delay_alu instid0(VALU_DEP_3) | instskip(SKIP_2) | instid1(VALU_DEP_2)
	v_cndmask_b32_e64 v15, v7, v10, s3
	v_cmp_gt_f64_e64 s3, 0, v[8:9]
	v_cndmask_b32_e32 v10, v0, v0, vcc_lo
	v_cndmask_b32_e64 v17, v9, v12, s3
	v_cndmask_b32_e64 v12, v2, v2, s2
	s_delay_alu instid0(VALU_DEP_2) | instskip(NEXT) | instid1(VALU_DEP_2)
	v_add_f64 v[14:15], v[14:15], v[16:17]
	v_add_f64 v[10:11], v[10:11], v[12:13]
	s_delay_alu instid0(VALU_DEP_1)
	v_cmp_lt_f64_e32 vcc_lo, v[10:11], v[14:15]
	v_cndmask_b32_e32 v3, v3, v9, vcc_lo
	v_dual_cndmask_b32 v1, v1, v7 :: v_dual_cndmask_b32 v0, v0, v6
	v_cndmask_b32_e32 v2, v2, v8, vcc_lo
	v_cndmask_b32_e64 v4, v4, s6, vcc_lo
	s_add_i32 s6, s6, 1
	s_delay_alu instid0(SALU_CYCLE_1)
	s_cmp_lg_u32 s5, s6
	s_cbranch_scc1 .LBB124_1352
.LBB124_1353:
	s_set_inst_prefetch_distance 0x2
	s_waitcnt lgkmcnt(0)
	v_cmp_eq_f64_e32 vcc_lo, 0, v[0:1]
	v_cmp_eq_f64_e64 s2, 0, v[2:3]
	s_delay_alu instid0(VALU_DEP_1) | instskip(NEXT) | instid1(SALU_CYCLE_1)
	s_and_b32 s2, vcc_lo, s2
	s_and_saveexec_b32 s3, s2
	s_delay_alu instid0(SALU_CYCLE_1)
	s_xor_b32 s2, exec_lo, s3
; %bb.1354:
	v_cmp_ne_u32_e32 vcc_lo, 0, v37
	v_cndmask_b32_e32 v37, 59, v37, vcc_lo
; %bb.1355:
	s_and_not1_saveexec_b32 s3, s2
	s_cbranch_execz .LBB124_1361
; %bb.1356:
	v_cmp_gt_f64_e32 vcc_lo, 0, v[0:1]
	v_cmp_gt_f64_e64 s2, 0, v[2:3]
	v_xor_b32_e32 v5, 0x80000000, v1
	v_xor_b32_e32 v7, 0x80000000, v3
	s_delay_alu instid0(VALU_DEP_2) | instskip(NEXT) | instid1(VALU_DEP_2)
	v_dual_cndmask_b32 v6, v1, v5 :: v_dual_cndmask_b32 v5, v0, v0
	v_cndmask_b32_e64 v8, v3, v7, s2
	v_cndmask_b32_e64 v7, v2, v2, s2
	s_mov_b32 s2, exec_lo
	s_delay_alu instid0(VALU_DEP_1)
	v_cmpx_ngt_f64_e32 v[5:6], v[7:8]
	s_xor_b32 s2, exec_lo, s2
	s_cbranch_execz .LBB124_1358
; %bb.1357:
	v_div_scale_f64 v[5:6], null, v[2:3], v[2:3], v[0:1]
	v_div_scale_f64 v[11:12], vcc_lo, v[0:1], v[2:3], v[0:1]
	s_delay_alu instid0(VALU_DEP_2) | instskip(SKIP_2) | instid1(VALU_DEP_1)
	v_rcp_f64_e32 v[7:8], v[5:6]
	s_waitcnt_depctr 0xfff
	v_fma_f64 v[9:10], -v[5:6], v[7:8], 1.0
	v_fma_f64 v[7:8], v[7:8], v[9:10], v[7:8]
	s_delay_alu instid0(VALU_DEP_1) | instskip(NEXT) | instid1(VALU_DEP_1)
	v_fma_f64 v[9:10], -v[5:6], v[7:8], 1.0
	v_fma_f64 v[7:8], v[7:8], v[9:10], v[7:8]
	s_delay_alu instid0(VALU_DEP_1) | instskip(NEXT) | instid1(VALU_DEP_1)
	v_mul_f64 v[9:10], v[11:12], v[7:8]
	v_fma_f64 v[5:6], -v[5:6], v[9:10], v[11:12]
	s_delay_alu instid0(VALU_DEP_1) | instskip(NEXT) | instid1(VALU_DEP_1)
	v_div_fmas_f64 v[5:6], v[5:6], v[7:8], v[9:10]
	v_div_fixup_f64 v[5:6], v[5:6], v[2:3], v[0:1]
	s_delay_alu instid0(VALU_DEP_1) | instskip(NEXT) | instid1(VALU_DEP_1)
	v_fma_f64 v[0:1], v[0:1], v[5:6], v[2:3]
	v_div_scale_f64 v[2:3], null, v[0:1], v[0:1], 1.0
	s_delay_alu instid0(VALU_DEP_1) | instskip(SKIP_2) | instid1(VALU_DEP_1)
	v_rcp_f64_e32 v[7:8], v[2:3]
	s_waitcnt_depctr 0xfff
	v_fma_f64 v[9:10], -v[2:3], v[7:8], 1.0
	v_fma_f64 v[7:8], v[7:8], v[9:10], v[7:8]
	s_delay_alu instid0(VALU_DEP_1) | instskip(NEXT) | instid1(VALU_DEP_1)
	v_fma_f64 v[9:10], -v[2:3], v[7:8], 1.0
	v_fma_f64 v[7:8], v[7:8], v[9:10], v[7:8]
	v_div_scale_f64 v[9:10], vcc_lo, 1.0, v[0:1], 1.0
	s_delay_alu instid0(VALU_DEP_1) | instskip(NEXT) | instid1(VALU_DEP_1)
	v_mul_f64 v[11:12], v[9:10], v[7:8]
	v_fma_f64 v[2:3], -v[2:3], v[11:12], v[9:10]
	s_delay_alu instid0(VALU_DEP_1) | instskip(NEXT) | instid1(VALU_DEP_1)
	v_div_fmas_f64 v[2:3], v[2:3], v[7:8], v[11:12]
	v_div_fixup_f64 v[2:3], v[2:3], v[0:1], 1.0
	s_delay_alu instid0(VALU_DEP_1)
	v_mul_f64 v[0:1], v[5:6], v[2:3]
	v_xor_b32_e32 v3, 0x80000000, v3
.LBB124_1358:
	s_and_not1_saveexec_b32 s2, s2
	s_cbranch_execz .LBB124_1360
; %bb.1359:
	s_delay_alu instid0(VALU_DEP_1) | instskip(SKIP_1) | instid1(VALU_DEP_2)
	v_div_scale_f64 v[5:6], null, v[0:1], v[0:1], v[2:3]
	v_div_scale_f64 v[11:12], vcc_lo, v[2:3], v[0:1], v[2:3]
	v_rcp_f64_e32 v[7:8], v[5:6]
	s_waitcnt_depctr 0xfff
	v_fma_f64 v[9:10], -v[5:6], v[7:8], 1.0
	s_delay_alu instid0(VALU_DEP_1) | instskip(NEXT) | instid1(VALU_DEP_1)
	v_fma_f64 v[7:8], v[7:8], v[9:10], v[7:8]
	v_fma_f64 v[9:10], -v[5:6], v[7:8], 1.0
	s_delay_alu instid0(VALU_DEP_1) | instskip(NEXT) | instid1(VALU_DEP_1)
	v_fma_f64 v[7:8], v[7:8], v[9:10], v[7:8]
	v_mul_f64 v[9:10], v[11:12], v[7:8]
	s_delay_alu instid0(VALU_DEP_1) | instskip(NEXT) | instid1(VALU_DEP_1)
	v_fma_f64 v[5:6], -v[5:6], v[9:10], v[11:12]
	v_div_fmas_f64 v[5:6], v[5:6], v[7:8], v[9:10]
	s_delay_alu instid0(VALU_DEP_1) | instskip(NEXT) | instid1(VALU_DEP_1)
	v_div_fixup_f64 v[5:6], v[5:6], v[0:1], v[2:3]
	v_fma_f64 v[0:1], v[2:3], v[5:6], v[0:1]
	s_delay_alu instid0(VALU_DEP_1) | instskip(NEXT) | instid1(VALU_DEP_1)
	v_div_scale_f64 v[2:3], null, v[0:1], v[0:1], 1.0
	v_rcp_f64_e32 v[7:8], v[2:3]
	s_waitcnt_depctr 0xfff
	v_fma_f64 v[9:10], -v[2:3], v[7:8], 1.0
	s_delay_alu instid0(VALU_DEP_1) | instskip(NEXT) | instid1(VALU_DEP_1)
	v_fma_f64 v[7:8], v[7:8], v[9:10], v[7:8]
	v_fma_f64 v[9:10], -v[2:3], v[7:8], 1.0
	s_delay_alu instid0(VALU_DEP_1) | instskip(SKIP_1) | instid1(VALU_DEP_1)
	v_fma_f64 v[7:8], v[7:8], v[9:10], v[7:8]
	v_div_scale_f64 v[9:10], vcc_lo, 1.0, v[0:1], 1.0
	v_mul_f64 v[11:12], v[9:10], v[7:8]
	s_delay_alu instid0(VALU_DEP_1) | instskip(NEXT) | instid1(VALU_DEP_1)
	v_fma_f64 v[2:3], -v[2:3], v[11:12], v[9:10]
	v_div_fmas_f64 v[2:3], v[2:3], v[7:8], v[11:12]
	s_delay_alu instid0(VALU_DEP_1) | instskip(NEXT) | instid1(VALU_DEP_1)
	v_div_fixup_f64 v[0:1], v[2:3], v[0:1], 1.0
	v_mul_f64 v[2:3], v[5:6], -v[0:1]
.LBB124_1360:
	s_or_b32 exec_lo, exec_lo, s2
.LBB124_1361:
	s_delay_alu instid0(SALU_CYCLE_1) | instskip(NEXT) | instid1(SALU_CYCLE_1)
	s_or_b32 exec_lo, exec_lo, s3
	s_mov_b32 s2, exec_lo
	v_cmpx_ne_u32_e64 v40, v4
	s_xor_b32 s2, exec_lo, s2
	s_cbranch_execz .LBB124_1367
; %bb.1362:
	s_mov_b32 s3, exec_lo
	v_cmpx_eq_u32_e32 58, v40
	s_cbranch_execz .LBB124_1366
; %bb.1363:
	v_cmp_ne_u32_e32 vcc_lo, 58, v4
	s_xor_b32 s6, s4, -1
	s_delay_alu instid0(SALU_CYCLE_1) | instskip(NEXT) | instid1(SALU_CYCLE_1)
	s_and_b32 s7, s6, vcc_lo
	s_and_saveexec_b32 s6, s7
	s_cbranch_execz .LBB124_1365
; %bb.1364:
	v_ashrrev_i32_e32 v5, 31, v4
	s_delay_alu instid0(VALU_DEP_1) | instskip(NEXT) | instid1(VALU_DEP_1)
	v_lshlrev_b64 v[5:6], 2, v[4:5]
	v_add_co_u32 v5, vcc_lo, v145, v5
	s_delay_alu instid0(VALU_DEP_2)
	v_add_co_ci_u32_e32 v6, vcc_lo, v146, v6, vcc_lo
	s_clause 0x1
	flat_load_b32 v7, v[5:6]
	flat_load_b32 v8, v[145:146] offset:232
	s_waitcnt vmcnt(1) lgkmcnt(1)
	flat_store_b32 v[145:146], v7 offset:232
	s_waitcnt vmcnt(0) lgkmcnt(1)
	flat_store_b32 v[5:6], v8
.LBB124_1365:
	s_or_b32 exec_lo, exec_lo, s6
	v_mov_b32_e32 v40, v4
	v_mov_b32_e32 v39, v4
.LBB124_1366:
	s_or_b32 exec_lo, exec_lo, s3
.LBB124_1367:
	s_and_not1_saveexec_b32 s2, s2
	s_cbranch_execz .LBB124_1369
; %bb.1368:
	s_clause 0x3
	scratch_load_b128 v[4:7], v255, off
	scratch_load_b128 v[8:11], v153, off
	scratch_load_b128 v[12:15], v162, off
	scratch_load_b128 v[16:19], v151, off
	v_mov_b32_e32 v40, 58
	s_waitcnt vmcnt(3)
	ds_store_2addr_b64 v20, v[4:5], v[6:7] offset0:118 offset1:119
	s_waitcnt vmcnt(2)
	ds_store_2addr_b64 v20, v[8:9], v[10:11] offset0:120 offset1:121
	;; [unrolled: 2-line block ×4, first 2 shown]
.LBB124_1369:
	s_or_b32 exec_lo, exec_lo, s2
	s_delay_alu instid0(SALU_CYCLE_1)
	s_mov_b32 s2, exec_lo
	s_waitcnt lgkmcnt(0)
	s_waitcnt_vscnt null, 0x0
	s_barrier
	buffer_gl0_inv
	v_cmpx_lt_i32_e32 58, v40
	s_cbranch_execz .LBB124_1371
; %bb.1370:
	s_clause 0x4
	scratch_load_b128 v[4:7], off, off offset:928
	scratch_load_b128 v[8:11], off, off offset:944
	;; [unrolled: 1-line block ×5, first 2 shown]
	ds_load_2addr_b64 v[53:56], v20 offset0:118 offset1:119
	ds_load_2addr_b64 v[57:60], v20 offset0:120 offset1:121
	;; [unrolled: 1-line block ×4, first 2 shown]
	s_waitcnt vmcnt(4)
	v_mul_f64 v[45:46], v[0:1], v[6:7]
	v_mul_f64 v[6:7], v[2:3], v[6:7]
	s_delay_alu instid0(VALU_DEP_2) | instskip(NEXT) | instid1(VALU_DEP_2)
	v_fma_f64 v[2:3], v[2:3], v[4:5], v[45:46]
	v_fma_f64 v[0:1], v[0:1], v[4:5], -v[6:7]
	s_waitcnt lgkmcnt(3)
	s_delay_alu instid0(VALU_DEP_2)
	v_mul_f64 v[4:5], v[55:56], v[2:3]
	v_mul_f64 v[6:7], v[53:54], v[2:3]
	s_waitcnt lgkmcnt(2)
	v_mul_f64 v[45:46], v[59:60], v[2:3]
	v_mul_f64 v[49:50], v[57:58], v[2:3]
	s_waitcnt lgkmcnt(1)
	;; [unrolled: 3-line block ×3, first 2 shown]
	v_mul_f64 v[77:78], v[75:76], v[2:3]
	v_mul_f64 v[81:82], v[73:74], v[2:3]
	v_fma_f64 v[4:5], v[53:54], v[0:1], -v[4:5]
	v_fma_f64 v[6:7], v[55:56], v[0:1], v[6:7]
	v_fma_f64 v[45:46], v[57:58], v[0:1], -v[45:46]
	v_fma_f64 v[49:50], v[59:60], v[0:1], v[49:50]
	;; [unrolled: 2-line block ×4, first 2 shown]
	s_waitcnt vmcnt(3)
	v_add_f64 v[4:5], v[8:9], -v[4:5]
	v_add_f64 v[6:7], v[10:11], -v[6:7]
	s_waitcnt vmcnt(2)
	v_add_f64 v[8:9], v[12:13], -v[45:46]
	v_add_f64 v[10:11], v[14:15], -v[49:50]
	;; [unrolled: 3-line block ×4, first 2 shown]
	s_clause 0x4
	scratch_store_b128 off, v[0:3], off offset:928
	scratch_store_b128 off, v[4:7], off offset:944
	;; [unrolled: 1-line block ×5, first 2 shown]
.LBB124_1371:
	s_or_b32 exec_lo, exec_lo, s2
	s_waitcnt_vscnt null, 0x0
	s_barrier
	buffer_gl0_inv
	scratch_load_b128 v[0:3], v255, off
	v_lshl_add_u32 v4, v40, 4, v20
	s_cmp_lt_i32 s5, 61
	s_waitcnt vmcnt(0)
	ds_store_2addr_b64 v4, v[0:1], v[2:3] offset1:1
	s_waitcnt lgkmcnt(0)
	s_barrier
	buffer_gl0_inv
	ds_load_2addr_b64 v[0:3], v20 offset0:118 offset1:119
	v_mov_b32_e32 v4, 59
	s_cbranch_scc1 .LBB124_1374
; %bb.1372:
	v_add3_u32 v5, v38, 0, 0x3c0
	v_mov_b32_e32 v4, 59
	s_mov_b32 s6, 60
	s_set_inst_prefetch_distance 0x1
	.p2align	6
.LBB124_1373:                           ; =>This Inner Loop Header: Depth=1
	ds_load_2addr_b64 v[6:9], v5 offset1:1
	s_waitcnt lgkmcnt(1)
	v_cmp_gt_f64_e32 vcc_lo, 0, v[0:1]
	v_xor_b32_e32 v10, 0x80000000, v1
	v_cmp_gt_f64_e64 s2, 0, v[2:3]
	v_xor_b32_e32 v12, 0x80000000, v3
	v_add_nc_u32_e32 v5, 16, v5
	s_waitcnt lgkmcnt(0)
	v_cmp_gt_f64_e64 s3, 0, v[6:7]
	v_mov_b32_e32 v14, v6
	v_dual_mov_b32 v16, v8 :: v_dual_cndmask_b32 v11, v1, v10
	v_xor_b32_e32 v10, 0x80000000, v7
	v_cndmask_b32_e64 v13, v3, v12, s2
	v_xor_b32_e32 v12, 0x80000000, v9
	s_delay_alu instid0(VALU_DEP_3) | instskip(SKIP_2) | instid1(VALU_DEP_2)
	v_cndmask_b32_e64 v15, v7, v10, s3
	v_cmp_gt_f64_e64 s3, 0, v[8:9]
	v_cndmask_b32_e32 v10, v0, v0, vcc_lo
	v_cndmask_b32_e64 v17, v9, v12, s3
	v_cndmask_b32_e64 v12, v2, v2, s2
	s_delay_alu instid0(VALU_DEP_2) | instskip(NEXT) | instid1(VALU_DEP_2)
	v_add_f64 v[14:15], v[14:15], v[16:17]
	v_add_f64 v[10:11], v[10:11], v[12:13]
	s_delay_alu instid0(VALU_DEP_1)
	v_cmp_lt_f64_e32 vcc_lo, v[10:11], v[14:15]
	v_cndmask_b32_e32 v3, v3, v9, vcc_lo
	v_dual_cndmask_b32 v1, v1, v7 :: v_dual_cndmask_b32 v0, v0, v6
	v_cndmask_b32_e32 v2, v2, v8, vcc_lo
	v_cndmask_b32_e64 v4, v4, s6, vcc_lo
	s_add_i32 s6, s6, 1
	s_delay_alu instid0(SALU_CYCLE_1)
	s_cmp_lg_u32 s5, s6
	s_cbranch_scc1 .LBB124_1373
.LBB124_1374:
	s_set_inst_prefetch_distance 0x2
	s_waitcnt lgkmcnt(0)
	v_cmp_eq_f64_e32 vcc_lo, 0, v[0:1]
	v_cmp_eq_f64_e64 s2, 0, v[2:3]
	s_delay_alu instid0(VALU_DEP_1) | instskip(NEXT) | instid1(SALU_CYCLE_1)
	s_and_b32 s2, vcc_lo, s2
	s_and_saveexec_b32 s3, s2
	s_delay_alu instid0(SALU_CYCLE_1)
	s_xor_b32 s2, exec_lo, s3
; %bb.1375:
	v_cmp_ne_u32_e32 vcc_lo, 0, v37
	v_cndmask_b32_e32 v37, 60, v37, vcc_lo
; %bb.1376:
	s_and_not1_saveexec_b32 s3, s2
	s_cbranch_execz .LBB124_1382
; %bb.1377:
	v_cmp_gt_f64_e32 vcc_lo, 0, v[0:1]
	v_cmp_gt_f64_e64 s2, 0, v[2:3]
	v_xor_b32_e32 v5, 0x80000000, v1
	v_xor_b32_e32 v7, 0x80000000, v3
	s_delay_alu instid0(VALU_DEP_2) | instskip(NEXT) | instid1(VALU_DEP_2)
	v_dual_cndmask_b32 v6, v1, v5 :: v_dual_cndmask_b32 v5, v0, v0
	v_cndmask_b32_e64 v8, v3, v7, s2
	v_cndmask_b32_e64 v7, v2, v2, s2
	s_mov_b32 s2, exec_lo
	s_delay_alu instid0(VALU_DEP_1)
	v_cmpx_ngt_f64_e32 v[5:6], v[7:8]
	s_xor_b32 s2, exec_lo, s2
	s_cbranch_execz .LBB124_1379
; %bb.1378:
	v_div_scale_f64 v[5:6], null, v[2:3], v[2:3], v[0:1]
	v_div_scale_f64 v[11:12], vcc_lo, v[0:1], v[2:3], v[0:1]
	s_delay_alu instid0(VALU_DEP_2) | instskip(SKIP_2) | instid1(VALU_DEP_1)
	v_rcp_f64_e32 v[7:8], v[5:6]
	s_waitcnt_depctr 0xfff
	v_fma_f64 v[9:10], -v[5:6], v[7:8], 1.0
	v_fma_f64 v[7:8], v[7:8], v[9:10], v[7:8]
	s_delay_alu instid0(VALU_DEP_1) | instskip(NEXT) | instid1(VALU_DEP_1)
	v_fma_f64 v[9:10], -v[5:6], v[7:8], 1.0
	v_fma_f64 v[7:8], v[7:8], v[9:10], v[7:8]
	s_delay_alu instid0(VALU_DEP_1) | instskip(NEXT) | instid1(VALU_DEP_1)
	v_mul_f64 v[9:10], v[11:12], v[7:8]
	v_fma_f64 v[5:6], -v[5:6], v[9:10], v[11:12]
	s_delay_alu instid0(VALU_DEP_1) | instskip(NEXT) | instid1(VALU_DEP_1)
	v_div_fmas_f64 v[5:6], v[5:6], v[7:8], v[9:10]
	v_div_fixup_f64 v[5:6], v[5:6], v[2:3], v[0:1]
	s_delay_alu instid0(VALU_DEP_1) | instskip(NEXT) | instid1(VALU_DEP_1)
	v_fma_f64 v[0:1], v[0:1], v[5:6], v[2:3]
	v_div_scale_f64 v[2:3], null, v[0:1], v[0:1], 1.0
	s_delay_alu instid0(VALU_DEP_1) | instskip(SKIP_2) | instid1(VALU_DEP_1)
	v_rcp_f64_e32 v[7:8], v[2:3]
	s_waitcnt_depctr 0xfff
	v_fma_f64 v[9:10], -v[2:3], v[7:8], 1.0
	v_fma_f64 v[7:8], v[7:8], v[9:10], v[7:8]
	s_delay_alu instid0(VALU_DEP_1) | instskip(NEXT) | instid1(VALU_DEP_1)
	v_fma_f64 v[9:10], -v[2:3], v[7:8], 1.0
	v_fma_f64 v[7:8], v[7:8], v[9:10], v[7:8]
	v_div_scale_f64 v[9:10], vcc_lo, 1.0, v[0:1], 1.0
	s_delay_alu instid0(VALU_DEP_1) | instskip(NEXT) | instid1(VALU_DEP_1)
	v_mul_f64 v[11:12], v[9:10], v[7:8]
	v_fma_f64 v[2:3], -v[2:3], v[11:12], v[9:10]
	s_delay_alu instid0(VALU_DEP_1) | instskip(NEXT) | instid1(VALU_DEP_1)
	v_div_fmas_f64 v[2:3], v[2:3], v[7:8], v[11:12]
	v_div_fixup_f64 v[2:3], v[2:3], v[0:1], 1.0
	s_delay_alu instid0(VALU_DEP_1)
	v_mul_f64 v[0:1], v[5:6], v[2:3]
	v_xor_b32_e32 v3, 0x80000000, v3
.LBB124_1379:
	s_and_not1_saveexec_b32 s2, s2
	s_cbranch_execz .LBB124_1381
; %bb.1380:
	s_delay_alu instid0(VALU_DEP_1) | instskip(SKIP_1) | instid1(VALU_DEP_2)
	v_div_scale_f64 v[5:6], null, v[0:1], v[0:1], v[2:3]
	v_div_scale_f64 v[11:12], vcc_lo, v[2:3], v[0:1], v[2:3]
	v_rcp_f64_e32 v[7:8], v[5:6]
	s_waitcnt_depctr 0xfff
	v_fma_f64 v[9:10], -v[5:6], v[7:8], 1.0
	s_delay_alu instid0(VALU_DEP_1) | instskip(NEXT) | instid1(VALU_DEP_1)
	v_fma_f64 v[7:8], v[7:8], v[9:10], v[7:8]
	v_fma_f64 v[9:10], -v[5:6], v[7:8], 1.0
	s_delay_alu instid0(VALU_DEP_1) | instskip(NEXT) | instid1(VALU_DEP_1)
	v_fma_f64 v[7:8], v[7:8], v[9:10], v[7:8]
	v_mul_f64 v[9:10], v[11:12], v[7:8]
	s_delay_alu instid0(VALU_DEP_1) | instskip(NEXT) | instid1(VALU_DEP_1)
	v_fma_f64 v[5:6], -v[5:6], v[9:10], v[11:12]
	v_div_fmas_f64 v[5:6], v[5:6], v[7:8], v[9:10]
	s_delay_alu instid0(VALU_DEP_1) | instskip(NEXT) | instid1(VALU_DEP_1)
	v_div_fixup_f64 v[5:6], v[5:6], v[0:1], v[2:3]
	v_fma_f64 v[0:1], v[2:3], v[5:6], v[0:1]
	s_delay_alu instid0(VALU_DEP_1) | instskip(NEXT) | instid1(VALU_DEP_1)
	v_div_scale_f64 v[2:3], null, v[0:1], v[0:1], 1.0
	v_rcp_f64_e32 v[7:8], v[2:3]
	s_waitcnt_depctr 0xfff
	v_fma_f64 v[9:10], -v[2:3], v[7:8], 1.0
	s_delay_alu instid0(VALU_DEP_1) | instskip(NEXT) | instid1(VALU_DEP_1)
	v_fma_f64 v[7:8], v[7:8], v[9:10], v[7:8]
	v_fma_f64 v[9:10], -v[2:3], v[7:8], 1.0
	s_delay_alu instid0(VALU_DEP_1) | instskip(SKIP_1) | instid1(VALU_DEP_1)
	v_fma_f64 v[7:8], v[7:8], v[9:10], v[7:8]
	v_div_scale_f64 v[9:10], vcc_lo, 1.0, v[0:1], 1.0
	v_mul_f64 v[11:12], v[9:10], v[7:8]
	s_delay_alu instid0(VALU_DEP_1) | instskip(NEXT) | instid1(VALU_DEP_1)
	v_fma_f64 v[2:3], -v[2:3], v[11:12], v[9:10]
	v_div_fmas_f64 v[2:3], v[2:3], v[7:8], v[11:12]
	s_delay_alu instid0(VALU_DEP_1) | instskip(NEXT) | instid1(VALU_DEP_1)
	v_div_fixup_f64 v[0:1], v[2:3], v[0:1], 1.0
	v_mul_f64 v[2:3], v[5:6], -v[0:1]
.LBB124_1381:
	s_or_b32 exec_lo, exec_lo, s2
.LBB124_1382:
	s_delay_alu instid0(SALU_CYCLE_1) | instskip(NEXT) | instid1(SALU_CYCLE_1)
	s_or_b32 exec_lo, exec_lo, s3
	s_mov_b32 s2, exec_lo
	v_cmpx_ne_u32_e64 v40, v4
	s_xor_b32 s2, exec_lo, s2
	s_cbranch_execz .LBB124_1388
; %bb.1383:
	s_mov_b32 s3, exec_lo
	v_cmpx_eq_u32_e32 59, v40
	s_cbranch_execz .LBB124_1387
; %bb.1384:
	v_cmp_ne_u32_e32 vcc_lo, 59, v4
	s_xor_b32 s6, s4, -1
	s_delay_alu instid0(SALU_CYCLE_1) | instskip(NEXT) | instid1(SALU_CYCLE_1)
	s_and_b32 s7, s6, vcc_lo
	s_and_saveexec_b32 s6, s7
	s_cbranch_execz .LBB124_1386
; %bb.1385:
	v_ashrrev_i32_e32 v5, 31, v4
	s_delay_alu instid0(VALU_DEP_1) | instskip(NEXT) | instid1(VALU_DEP_1)
	v_lshlrev_b64 v[5:6], 2, v[4:5]
	v_add_co_u32 v5, vcc_lo, v145, v5
	s_delay_alu instid0(VALU_DEP_2)
	v_add_co_ci_u32_e32 v6, vcc_lo, v146, v6, vcc_lo
	s_clause 0x1
	flat_load_b32 v7, v[5:6]
	flat_load_b32 v8, v[145:146] offset:236
	s_waitcnt vmcnt(1) lgkmcnt(1)
	flat_store_b32 v[145:146], v7 offset:236
	s_waitcnt vmcnt(0) lgkmcnt(1)
	flat_store_b32 v[5:6], v8
.LBB124_1386:
	s_or_b32 exec_lo, exec_lo, s6
	v_mov_b32_e32 v40, v4
	v_mov_b32_e32 v39, v4
.LBB124_1387:
	s_or_b32 exec_lo, exec_lo, s3
.LBB124_1388:
	s_and_not1_saveexec_b32 s2, s2
	s_cbranch_execz .LBB124_1390
; %bb.1389:
	s_clause 0x2
	scratch_load_b128 v[4:7], v153, off
	scratch_load_b128 v[8:11], v162, off
	;; [unrolled: 1-line block ×3, first 2 shown]
	v_mov_b32_e32 v40, 59
	s_waitcnt vmcnt(2)
	ds_store_2addr_b64 v20, v[4:5], v[6:7] offset0:120 offset1:121
	s_waitcnt vmcnt(1)
	ds_store_2addr_b64 v20, v[8:9], v[10:11] offset0:122 offset1:123
	s_waitcnt vmcnt(0)
	ds_store_2addr_b64 v20, v[12:13], v[14:15] offset0:124 offset1:125
.LBB124_1390:
	s_or_b32 exec_lo, exec_lo, s2
	s_delay_alu instid0(SALU_CYCLE_1)
	s_mov_b32 s2, exec_lo
	s_waitcnt lgkmcnt(0)
	s_waitcnt_vscnt null, 0x0
	s_barrier
	buffer_gl0_inv
	v_cmpx_lt_i32_e32 59, v40
	s_cbranch_execz .LBB124_1392
; %bb.1391:
	s_clause 0x3
	scratch_load_b128 v[4:7], off, off offset:944
	scratch_load_b128 v[8:11], off, off offset:960
	;; [unrolled: 1-line block ×4, first 2 shown]
	s_waitcnt vmcnt(3)
	v_mul_f64 v[41:42], v[0:1], v[6:7]
	v_mul_f64 v[6:7], v[2:3], v[6:7]
	s_delay_alu instid0(VALU_DEP_2)
	v_fma_f64 v[2:3], v[2:3], v[4:5], v[41:42]
	ds_load_2addr_b64 v[41:44], v20 offset0:120 offset1:121
	ds_load_2addr_b64 v[53:56], v20 offset0:122 offset1:123
	;; [unrolled: 1-line block ×3, first 2 shown]
	v_fma_f64 v[0:1], v[0:1], v[4:5], -v[6:7]
	s_waitcnt lgkmcnt(2)
	v_mul_f64 v[4:5], v[43:44], v[2:3]
	v_mul_f64 v[6:7], v[41:42], v[2:3]
	s_waitcnt lgkmcnt(1)
	v_mul_f64 v[45:46], v[55:56], v[2:3]
	v_mul_f64 v[49:50], v[53:54], v[2:3]
	;; [unrolled: 3-line block ×3, first 2 shown]
	v_fma_f64 v[4:5], v[41:42], v[0:1], -v[4:5]
	v_fma_f64 v[6:7], v[43:44], v[0:1], v[6:7]
	v_fma_f64 v[41:42], v[53:54], v[0:1], -v[45:46]
	v_fma_f64 v[43:44], v[55:56], v[0:1], v[49:50]
	;; [unrolled: 2-line block ×3, first 2 shown]
	s_waitcnt vmcnt(2)
	v_add_f64 v[4:5], v[8:9], -v[4:5]
	v_add_f64 v[6:7], v[10:11], -v[6:7]
	s_waitcnt vmcnt(1)
	v_add_f64 v[8:9], v[12:13], -v[41:42]
	v_add_f64 v[10:11], v[14:15], -v[43:44]
	;; [unrolled: 3-line block ×3, first 2 shown]
	s_clause 0x3
	scratch_store_b128 off, v[0:3], off offset:944
	scratch_store_b128 off, v[4:7], off offset:960
	;; [unrolled: 1-line block ×4, first 2 shown]
.LBB124_1392:
	s_or_b32 exec_lo, exec_lo, s2
	s_waitcnt_vscnt null, 0x0
	s_barrier
	buffer_gl0_inv
	scratch_load_b128 v[0:3], v153, off
	v_lshl_add_u32 v4, v40, 4, v20
	s_cmp_lt_i32 s5, 62
	s_waitcnt vmcnt(0)
	ds_store_2addr_b64 v4, v[0:1], v[2:3] offset1:1
	s_waitcnt lgkmcnt(0)
	s_barrier
	buffer_gl0_inv
	ds_load_2addr_b64 v[0:3], v20 offset0:120 offset1:121
	v_mov_b32_e32 v4, 60
	s_cbranch_scc1 .LBB124_1395
; %bb.1393:
	v_add3_u32 v5, v38, 0, 0x3d0
	v_mov_b32_e32 v4, 60
	s_mov_b32 s6, 61
	s_set_inst_prefetch_distance 0x1
	.p2align	6
.LBB124_1394:                           ; =>This Inner Loop Header: Depth=1
	ds_load_2addr_b64 v[6:9], v5 offset1:1
	s_waitcnt lgkmcnt(1)
	v_cmp_gt_f64_e32 vcc_lo, 0, v[0:1]
	v_xor_b32_e32 v10, 0x80000000, v1
	v_cmp_gt_f64_e64 s2, 0, v[2:3]
	v_xor_b32_e32 v12, 0x80000000, v3
	v_add_nc_u32_e32 v5, 16, v5
	s_waitcnt lgkmcnt(0)
	v_cmp_gt_f64_e64 s3, 0, v[6:7]
	v_mov_b32_e32 v14, v6
	v_dual_mov_b32 v16, v8 :: v_dual_cndmask_b32 v11, v1, v10
	v_xor_b32_e32 v10, 0x80000000, v7
	v_cndmask_b32_e64 v13, v3, v12, s2
	v_xor_b32_e32 v12, 0x80000000, v9
	s_delay_alu instid0(VALU_DEP_3) | instskip(SKIP_2) | instid1(VALU_DEP_2)
	v_cndmask_b32_e64 v15, v7, v10, s3
	v_cmp_gt_f64_e64 s3, 0, v[8:9]
	v_cndmask_b32_e32 v10, v0, v0, vcc_lo
	v_cndmask_b32_e64 v17, v9, v12, s3
	v_cndmask_b32_e64 v12, v2, v2, s2
	s_delay_alu instid0(VALU_DEP_2) | instskip(NEXT) | instid1(VALU_DEP_2)
	v_add_f64 v[14:15], v[14:15], v[16:17]
	v_add_f64 v[10:11], v[10:11], v[12:13]
	s_delay_alu instid0(VALU_DEP_1)
	v_cmp_lt_f64_e32 vcc_lo, v[10:11], v[14:15]
	v_cndmask_b32_e32 v3, v3, v9, vcc_lo
	v_dual_cndmask_b32 v1, v1, v7 :: v_dual_cndmask_b32 v0, v0, v6
	v_cndmask_b32_e32 v2, v2, v8, vcc_lo
	v_cndmask_b32_e64 v4, v4, s6, vcc_lo
	s_add_i32 s6, s6, 1
	s_delay_alu instid0(SALU_CYCLE_1)
	s_cmp_lg_u32 s5, s6
	s_cbranch_scc1 .LBB124_1394
.LBB124_1395:
	s_set_inst_prefetch_distance 0x2
	s_waitcnt lgkmcnt(0)
	v_cmp_eq_f64_e32 vcc_lo, 0, v[0:1]
	v_cmp_eq_f64_e64 s2, 0, v[2:3]
	s_delay_alu instid0(VALU_DEP_1) | instskip(NEXT) | instid1(SALU_CYCLE_1)
	s_and_b32 s2, vcc_lo, s2
	s_and_saveexec_b32 s3, s2
	s_delay_alu instid0(SALU_CYCLE_1)
	s_xor_b32 s2, exec_lo, s3
; %bb.1396:
	v_cmp_ne_u32_e32 vcc_lo, 0, v37
	v_cndmask_b32_e32 v37, 61, v37, vcc_lo
; %bb.1397:
	s_and_not1_saveexec_b32 s3, s2
	s_cbranch_execz .LBB124_1403
; %bb.1398:
	v_cmp_gt_f64_e32 vcc_lo, 0, v[0:1]
	v_cmp_gt_f64_e64 s2, 0, v[2:3]
	v_xor_b32_e32 v5, 0x80000000, v1
	v_xor_b32_e32 v7, 0x80000000, v3
	s_delay_alu instid0(VALU_DEP_2) | instskip(NEXT) | instid1(VALU_DEP_2)
	v_dual_cndmask_b32 v6, v1, v5 :: v_dual_cndmask_b32 v5, v0, v0
	v_cndmask_b32_e64 v8, v3, v7, s2
	v_cndmask_b32_e64 v7, v2, v2, s2
	s_mov_b32 s2, exec_lo
	s_delay_alu instid0(VALU_DEP_1)
	v_cmpx_ngt_f64_e32 v[5:6], v[7:8]
	s_xor_b32 s2, exec_lo, s2
	s_cbranch_execz .LBB124_1400
; %bb.1399:
	v_div_scale_f64 v[5:6], null, v[2:3], v[2:3], v[0:1]
	v_div_scale_f64 v[11:12], vcc_lo, v[0:1], v[2:3], v[0:1]
	s_delay_alu instid0(VALU_DEP_2) | instskip(SKIP_2) | instid1(VALU_DEP_1)
	v_rcp_f64_e32 v[7:8], v[5:6]
	s_waitcnt_depctr 0xfff
	v_fma_f64 v[9:10], -v[5:6], v[7:8], 1.0
	v_fma_f64 v[7:8], v[7:8], v[9:10], v[7:8]
	s_delay_alu instid0(VALU_DEP_1) | instskip(NEXT) | instid1(VALU_DEP_1)
	v_fma_f64 v[9:10], -v[5:6], v[7:8], 1.0
	v_fma_f64 v[7:8], v[7:8], v[9:10], v[7:8]
	s_delay_alu instid0(VALU_DEP_1) | instskip(NEXT) | instid1(VALU_DEP_1)
	v_mul_f64 v[9:10], v[11:12], v[7:8]
	v_fma_f64 v[5:6], -v[5:6], v[9:10], v[11:12]
	s_delay_alu instid0(VALU_DEP_1) | instskip(NEXT) | instid1(VALU_DEP_1)
	v_div_fmas_f64 v[5:6], v[5:6], v[7:8], v[9:10]
	v_div_fixup_f64 v[5:6], v[5:6], v[2:3], v[0:1]
	s_delay_alu instid0(VALU_DEP_1) | instskip(NEXT) | instid1(VALU_DEP_1)
	v_fma_f64 v[0:1], v[0:1], v[5:6], v[2:3]
	v_div_scale_f64 v[2:3], null, v[0:1], v[0:1], 1.0
	s_delay_alu instid0(VALU_DEP_1) | instskip(SKIP_2) | instid1(VALU_DEP_1)
	v_rcp_f64_e32 v[7:8], v[2:3]
	s_waitcnt_depctr 0xfff
	v_fma_f64 v[9:10], -v[2:3], v[7:8], 1.0
	v_fma_f64 v[7:8], v[7:8], v[9:10], v[7:8]
	s_delay_alu instid0(VALU_DEP_1) | instskip(NEXT) | instid1(VALU_DEP_1)
	v_fma_f64 v[9:10], -v[2:3], v[7:8], 1.0
	v_fma_f64 v[7:8], v[7:8], v[9:10], v[7:8]
	v_div_scale_f64 v[9:10], vcc_lo, 1.0, v[0:1], 1.0
	s_delay_alu instid0(VALU_DEP_1) | instskip(NEXT) | instid1(VALU_DEP_1)
	v_mul_f64 v[11:12], v[9:10], v[7:8]
	v_fma_f64 v[2:3], -v[2:3], v[11:12], v[9:10]
	s_delay_alu instid0(VALU_DEP_1) | instskip(NEXT) | instid1(VALU_DEP_1)
	v_div_fmas_f64 v[2:3], v[2:3], v[7:8], v[11:12]
	v_div_fixup_f64 v[2:3], v[2:3], v[0:1], 1.0
	s_delay_alu instid0(VALU_DEP_1)
	v_mul_f64 v[0:1], v[5:6], v[2:3]
	v_xor_b32_e32 v3, 0x80000000, v3
.LBB124_1400:
	s_and_not1_saveexec_b32 s2, s2
	s_cbranch_execz .LBB124_1402
; %bb.1401:
	s_delay_alu instid0(VALU_DEP_1) | instskip(SKIP_1) | instid1(VALU_DEP_2)
	v_div_scale_f64 v[5:6], null, v[0:1], v[0:1], v[2:3]
	v_div_scale_f64 v[11:12], vcc_lo, v[2:3], v[0:1], v[2:3]
	v_rcp_f64_e32 v[7:8], v[5:6]
	s_waitcnt_depctr 0xfff
	v_fma_f64 v[9:10], -v[5:6], v[7:8], 1.0
	s_delay_alu instid0(VALU_DEP_1) | instskip(NEXT) | instid1(VALU_DEP_1)
	v_fma_f64 v[7:8], v[7:8], v[9:10], v[7:8]
	v_fma_f64 v[9:10], -v[5:6], v[7:8], 1.0
	s_delay_alu instid0(VALU_DEP_1) | instskip(NEXT) | instid1(VALU_DEP_1)
	v_fma_f64 v[7:8], v[7:8], v[9:10], v[7:8]
	v_mul_f64 v[9:10], v[11:12], v[7:8]
	s_delay_alu instid0(VALU_DEP_1) | instskip(NEXT) | instid1(VALU_DEP_1)
	v_fma_f64 v[5:6], -v[5:6], v[9:10], v[11:12]
	v_div_fmas_f64 v[5:6], v[5:6], v[7:8], v[9:10]
	s_delay_alu instid0(VALU_DEP_1) | instskip(NEXT) | instid1(VALU_DEP_1)
	v_div_fixup_f64 v[5:6], v[5:6], v[0:1], v[2:3]
	v_fma_f64 v[0:1], v[2:3], v[5:6], v[0:1]
	s_delay_alu instid0(VALU_DEP_1) | instskip(NEXT) | instid1(VALU_DEP_1)
	v_div_scale_f64 v[2:3], null, v[0:1], v[0:1], 1.0
	v_rcp_f64_e32 v[7:8], v[2:3]
	s_waitcnt_depctr 0xfff
	v_fma_f64 v[9:10], -v[2:3], v[7:8], 1.0
	s_delay_alu instid0(VALU_DEP_1) | instskip(NEXT) | instid1(VALU_DEP_1)
	v_fma_f64 v[7:8], v[7:8], v[9:10], v[7:8]
	v_fma_f64 v[9:10], -v[2:3], v[7:8], 1.0
	s_delay_alu instid0(VALU_DEP_1) | instskip(SKIP_1) | instid1(VALU_DEP_1)
	v_fma_f64 v[7:8], v[7:8], v[9:10], v[7:8]
	v_div_scale_f64 v[9:10], vcc_lo, 1.0, v[0:1], 1.0
	v_mul_f64 v[11:12], v[9:10], v[7:8]
	s_delay_alu instid0(VALU_DEP_1) | instskip(NEXT) | instid1(VALU_DEP_1)
	v_fma_f64 v[2:3], -v[2:3], v[11:12], v[9:10]
	v_div_fmas_f64 v[2:3], v[2:3], v[7:8], v[11:12]
	s_delay_alu instid0(VALU_DEP_1) | instskip(NEXT) | instid1(VALU_DEP_1)
	v_div_fixup_f64 v[0:1], v[2:3], v[0:1], 1.0
	v_mul_f64 v[2:3], v[5:6], -v[0:1]
.LBB124_1402:
	s_or_b32 exec_lo, exec_lo, s2
.LBB124_1403:
	s_delay_alu instid0(SALU_CYCLE_1) | instskip(NEXT) | instid1(SALU_CYCLE_1)
	s_or_b32 exec_lo, exec_lo, s3
	s_mov_b32 s2, exec_lo
	v_cmpx_ne_u32_e64 v40, v4
	s_xor_b32 s2, exec_lo, s2
	s_cbranch_execz .LBB124_1409
; %bb.1404:
	s_mov_b32 s3, exec_lo
	v_cmpx_eq_u32_e32 60, v40
	s_cbranch_execz .LBB124_1408
; %bb.1405:
	v_cmp_ne_u32_e32 vcc_lo, 60, v4
	s_xor_b32 s6, s4, -1
	s_delay_alu instid0(SALU_CYCLE_1) | instskip(NEXT) | instid1(SALU_CYCLE_1)
	s_and_b32 s7, s6, vcc_lo
	s_and_saveexec_b32 s6, s7
	s_cbranch_execz .LBB124_1407
; %bb.1406:
	v_ashrrev_i32_e32 v5, 31, v4
	s_delay_alu instid0(VALU_DEP_1) | instskip(NEXT) | instid1(VALU_DEP_1)
	v_lshlrev_b64 v[5:6], 2, v[4:5]
	v_add_co_u32 v5, vcc_lo, v145, v5
	s_delay_alu instid0(VALU_DEP_2)
	v_add_co_ci_u32_e32 v6, vcc_lo, v146, v6, vcc_lo
	s_clause 0x1
	flat_load_b32 v7, v[5:6]
	flat_load_b32 v8, v[145:146] offset:240
	s_waitcnt vmcnt(1) lgkmcnt(1)
	flat_store_b32 v[145:146], v7 offset:240
	s_waitcnt vmcnt(0) lgkmcnt(1)
	flat_store_b32 v[5:6], v8
.LBB124_1407:
	s_or_b32 exec_lo, exec_lo, s6
	v_mov_b32_e32 v40, v4
	v_mov_b32_e32 v39, v4
.LBB124_1408:
	s_or_b32 exec_lo, exec_lo, s3
.LBB124_1409:
	s_and_not1_saveexec_b32 s2, s2
	s_cbranch_execz .LBB124_1411
; %bb.1410:
	s_clause 0x1
	scratch_load_b128 v[4:7], v162, off
	scratch_load_b128 v[8:11], v151, off
	v_mov_b32_e32 v40, 60
	s_waitcnt vmcnt(1)
	ds_store_2addr_b64 v20, v[4:5], v[6:7] offset0:122 offset1:123
	s_waitcnt vmcnt(0)
	ds_store_2addr_b64 v20, v[8:9], v[10:11] offset0:124 offset1:125
.LBB124_1411:
	s_or_b32 exec_lo, exec_lo, s2
	s_delay_alu instid0(SALU_CYCLE_1)
	s_mov_b32 s2, exec_lo
	s_waitcnt lgkmcnt(0)
	s_waitcnt_vscnt null, 0x0
	s_barrier
	buffer_gl0_inv
	v_cmpx_lt_i32_e32 60, v40
	s_cbranch_execz .LBB124_1413
; %bb.1412:
	s_clause 0x2
	scratch_load_b128 v[4:7], off, off offset:960
	scratch_load_b128 v[8:11], off, off offset:976
	;; [unrolled: 1-line block ×3, first 2 shown]
	s_waitcnt vmcnt(2)
	v_mul_f64 v[16:17], v[0:1], v[6:7]
	v_mul_f64 v[6:7], v[2:3], v[6:7]
	s_delay_alu instid0(VALU_DEP_2)
	v_fma_f64 v[2:3], v[2:3], v[4:5], v[16:17]
	ds_load_2addr_b64 v[16:19], v20 offset0:122 offset1:123
	ds_load_2addr_b64 v[41:44], v20 offset0:124 offset1:125
	v_fma_f64 v[0:1], v[0:1], v[4:5], -v[6:7]
	s_waitcnt lgkmcnt(1)
	v_mul_f64 v[4:5], v[18:19], v[2:3]
	v_mul_f64 v[6:7], v[16:17], v[2:3]
	s_waitcnt lgkmcnt(0)
	v_mul_f64 v[45:46], v[43:44], v[2:3]
	v_mul_f64 v[49:50], v[41:42], v[2:3]
	s_delay_alu instid0(VALU_DEP_4) | instskip(NEXT) | instid1(VALU_DEP_4)
	v_fma_f64 v[4:5], v[16:17], v[0:1], -v[4:5]
	v_fma_f64 v[6:7], v[18:19], v[0:1], v[6:7]
	s_delay_alu instid0(VALU_DEP_4) | instskip(NEXT) | instid1(VALU_DEP_4)
	v_fma_f64 v[16:17], v[41:42], v[0:1], -v[45:46]
	v_fma_f64 v[18:19], v[43:44], v[0:1], v[49:50]
	s_waitcnt vmcnt(1)
	s_delay_alu instid0(VALU_DEP_4) | instskip(NEXT) | instid1(VALU_DEP_4)
	v_add_f64 v[4:5], v[8:9], -v[4:5]
	v_add_f64 v[6:7], v[10:11], -v[6:7]
	s_waitcnt vmcnt(0)
	s_delay_alu instid0(VALU_DEP_4) | instskip(NEXT) | instid1(VALU_DEP_4)
	v_add_f64 v[8:9], v[12:13], -v[16:17]
	v_add_f64 v[10:11], v[14:15], -v[18:19]
	s_clause 0x2
	scratch_store_b128 off, v[0:3], off offset:960
	scratch_store_b128 off, v[4:7], off offset:976
	scratch_store_b128 off, v[8:11], off offset:992
.LBB124_1413:
	s_or_b32 exec_lo, exec_lo, s2
	s_waitcnt_vscnt null, 0x0
	s_barrier
	buffer_gl0_inv
	scratch_load_b128 v[0:3], v162, off
	v_lshl_add_u32 v4, v40, 4, v20
	s_cmp_lt_i32 s5, 63
	s_waitcnt vmcnt(0)
	ds_store_2addr_b64 v4, v[0:1], v[2:3] offset1:1
	s_waitcnt lgkmcnt(0)
	s_barrier
	buffer_gl0_inv
	ds_load_2addr_b64 v[0:3], v20 offset0:122 offset1:123
	v_mov_b32_e32 v4, 61
	s_cbranch_scc1 .LBB124_1416
; %bb.1414:
	v_add3_u32 v5, v38, 0, 0x3e0
	v_mov_b32_e32 v4, 61
	s_mov_b32 s6, 62
	s_set_inst_prefetch_distance 0x1
	.p2align	6
.LBB124_1415:                           ; =>This Inner Loop Header: Depth=1
	ds_load_2addr_b64 v[6:9], v5 offset1:1
	s_waitcnt lgkmcnt(1)
	v_cmp_gt_f64_e32 vcc_lo, 0, v[0:1]
	v_xor_b32_e32 v10, 0x80000000, v1
	v_cmp_gt_f64_e64 s2, 0, v[2:3]
	v_xor_b32_e32 v12, 0x80000000, v3
	v_add_nc_u32_e32 v5, 16, v5
	s_waitcnt lgkmcnt(0)
	v_cmp_gt_f64_e64 s3, 0, v[6:7]
	v_mov_b32_e32 v14, v6
	v_dual_mov_b32 v16, v8 :: v_dual_cndmask_b32 v11, v1, v10
	v_xor_b32_e32 v10, 0x80000000, v7
	v_cndmask_b32_e64 v13, v3, v12, s2
	v_xor_b32_e32 v12, 0x80000000, v9
	s_delay_alu instid0(VALU_DEP_3) | instskip(SKIP_2) | instid1(VALU_DEP_2)
	v_cndmask_b32_e64 v15, v7, v10, s3
	v_cmp_gt_f64_e64 s3, 0, v[8:9]
	v_cndmask_b32_e32 v10, v0, v0, vcc_lo
	v_cndmask_b32_e64 v17, v9, v12, s3
	v_cndmask_b32_e64 v12, v2, v2, s2
	s_delay_alu instid0(VALU_DEP_2) | instskip(NEXT) | instid1(VALU_DEP_2)
	v_add_f64 v[14:15], v[14:15], v[16:17]
	v_add_f64 v[10:11], v[10:11], v[12:13]
	s_delay_alu instid0(VALU_DEP_1)
	v_cmp_lt_f64_e32 vcc_lo, v[10:11], v[14:15]
	v_cndmask_b32_e32 v3, v3, v9, vcc_lo
	v_dual_cndmask_b32 v1, v1, v7 :: v_dual_cndmask_b32 v0, v0, v6
	v_cndmask_b32_e32 v2, v2, v8, vcc_lo
	v_cndmask_b32_e64 v4, v4, s6, vcc_lo
	s_add_i32 s6, s6, 1
	s_delay_alu instid0(SALU_CYCLE_1)
	s_cmp_lg_u32 s5, s6
	s_cbranch_scc1 .LBB124_1415
.LBB124_1416:
	s_set_inst_prefetch_distance 0x2
	s_waitcnt lgkmcnt(0)
	v_cmp_eq_f64_e32 vcc_lo, 0, v[0:1]
	v_cmp_eq_f64_e64 s2, 0, v[2:3]
	s_delay_alu instid0(VALU_DEP_1) | instskip(NEXT) | instid1(SALU_CYCLE_1)
	s_and_b32 s2, vcc_lo, s2
	s_and_saveexec_b32 s3, s2
	s_delay_alu instid0(SALU_CYCLE_1)
	s_xor_b32 s2, exec_lo, s3
; %bb.1417:
	v_cmp_ne_u32_e32 vcc_lo, 0, v37
	v_cndmask_b32_e32 v37, 62, v37, vcc_lo
; %bb.1418:
	s_and_not1_saveexec_b32 s3, s2
	s_cbranch_execz .LBB124_1424
; %bb.1419:
	v_cmp_gt_f64_e32 vcc_lo, 0, v[0:1]
	v_cmp_gt_f64_e64 s2, 0, v[2:3]
	v_xor_b32_e32 v5, 0x80000000, v1
	v_xor_b32_e32 v7, 0x80000000, v3
	s_delay_alu instid0(VALU_DEP_2) | instskip(NEXT) | instid1(VALU_DEP_2)
	v_dual_cndmask_b32 v6, v1, v5 :: v_dual_cndmask_b32 v5, v0, v0
	v_cndmask_b32_e64 v8, v3, v7, s2
	v_cndmask_b32_e64 v7, v2, v2, s2
	s_mov_b32 s2, exec_lo
	s_delay_alu instid0(VALU_DEP_1)
	v_cmpx_ngt_f64_e32 v[5:6], v[7:8]
	s_xor_b32 s2, exec_lo, s2
	s_cbranch_execz .LBB124_1421
; %bb.1420:
	v_div_scale_f64 v[5:6], null, v[2:3], v[2:3], v[0:1]
	v_div_scale_f64 v[11:12], vcc_lo, v[0:1], v[2:3], v[0:1]
	s_delay_alu instid0(VALU_DEP_2) | instskip(SKIP_2) | instid1(VALU_DEP_1)
	v_rcp_f64_e32 v[7:8], v[5:6]
	s_waitcnt_depctr 0xfff
	v_fma_f64 v[9:10], -v[5:6], v[7:8], 1.0
	v_fma_f64 v[7:8], v[7:8], v[9:10], v[7:8]
	s_delay_alu instid0(VALU_DEP_1) | instskip(NEXT) | instid1(VALU_DEP_1)
	v_fma_f64 v[9:10], -v[5:6], v[7:8], 1.0
	v_fma_f64 v[7:8], v[7:8], v[9:10], v[7:8]
	s_delay_alu instid0(VALU_DEP_1) | instskip(NEXT) | instid1(VALU_DEP_1)
	v_mul_f64 v[9:10], v[11:12], v[7:8]
	v_fma_f64 v[5:6], -v[5:6], v[9:10], v[11:12]
	s_delay_alu instid0(VALU_DEP_1) | instskip(NEXT) | instid1(VALU_DEP_1)
	v_div_fmas_f64 v[5:6], v[5:6], v[7:8], v[9:10]
	v_div_fixup_f64 v[5:6], v[5:6], v[2:3], v[0:1]
	s_delay_alu instid0(VALU_DEP_1) | instskip(NEXT) | instid1(VALU_DEP_1)
	v_fma_f64 v[0:1], v[0:1], v[5:6], v[2:3]
	v_div_scale_f64 v[2:3], null, v[0:1], v[0:1], 1.0
	s_delay_alu instid0(VALU_DEP_1) | instskip(SKIP_2) | instid1(VALU_DEP_1)
	v_rcp_f64_e32 v[7:8], v[2:3]
	s_waitcnt_depctr 0xfff
	v_fma_f64 v[9:10], -v[2:3], v[7:8], 1.0
	v_fma_f64 v[7:8], v[7:8], v[9:10], v[7:8]
	s_delay_alu instid0(VALU_DEP_1) | instskip(NEXT) | instid1(VALU_DEP_1)
	v_fma_f64 v[9:10], -v[2:3], v[7:8], 1.0
	v_fma_f64 v[7:8], v[7:8], v[9:10], v[7:8]
	v_div_scale_f64 v[9:10], vcc_lo, 1.0, v[0:1], 1.0
	s_delay_alu instid0(VALU_DEP_1) | instskip(NEXT) | instid1(VALU_DEP_1)
	v_mul_f64 v[11:12], v[9:10], v[7:8]
	v_fma_f64 v[2:3], -v[2:3], v[11:12], v[9:10]
	s_delay_alu instid0(VALU_DEP_1) | instskip(NEXT) | instid1(VALU_DEP_1)
	v_div_fmas_f64 v[2:3], v[2:3], v[7:8], v[11:12]
	v_div_fixup_f64 v[2:3], v[2:3], v[0:1], 1.0
	s_delay_alu instid0(VALU_DEP_1)
	v_mul_f64 v[0:1], v[5:6], v[2:3]
	v_xor_b32_e32 v3, 0x80000000, v3
.LBB124_1421:
	s_and_not1_saveexec_b32 s2, s2
	s_cbranch_execz .LBB124_1423
; %bb.1422:
	s_delay_alu instid0(VALU_DEP_1) | instskip(SKIP_1) | instid1(VALU_DEP_2)
	v_div_scale_f64 v[5:6], null, v[0:1], v[0:1], v[2:3]
	v_div_scale_f64 v[11:12], vcc_lo, v[2:3], v[0:1], v[2:3]
	v_rcp_f64_e32 v[7:8], v[5:6]
	s_waitcnt_depctr 0xfff
	v_fma_f64 v[9:10], -v[5:6], v[7:8], 1.0
	s_delay_alu instid0(VALU_DEP_1) | instskip(NEXT) | instid1(VALU_DEP_1)
	v_fma_f64 v[7:8], v[7:8], v[9:10], v[7:8]
	v_fma_f64 v[9:10], -v[5:6], v[7:8], 1.0
	s_delay_alu instid0(VALU_DEP_1) | instskip(NEXT) | instid1(VALU_DEP_1)
	v_fma_f64 v[7:8], v[7:8], v[9:10], v[7:8]
	v_mul_f64 v[9:10], v[11:12], v[7:8]
	s_delay_alu instid0(VALU_DEP_1) | instskip(NEXT) | instid1(VALU_DEP_1)
	v_fma_f64 v[5:6], -v[5:6], v[9:10], v[11:12]
	v_div_fmas_f64 v[5:6], v[5:6], v[7:8], v[9:10]
	s_delay_alu instid0(VALU_DEP_1) | instskip(NEXT) | instid1(VALU_DEP_1)
	v_div_fixup_f64 v[5:6], v[5:6], v[0:1], v[2:3]
	v_fma_f64 v[0:1], v[2:3], v[5:6], v[0:1]
	s_delay_alu instid0(VALU_DEP_1) | instskip(NEXT) | instid1(VALU_DEP_1)
	v_div_scale_f64 v[2:3], null, v[0:1], v[0:1], 1.0
	v_rcp_f64_e32 v[7:8], v[2:3]
	s_waitcnt_depctr 0xfff
	v_fma_f64 v[9:10], -v[2:3], v[7:8], 1.0
	s_delay_alu instid0(VALU_DEP_1) | instskip(NEXT) | instid1(VALU_DEP_1)
	v_fma_f64 v[7:8], v[7:8], v[9:10], v[7:8]
	v_fma_f64 v[9:10], -v[2:3], v[7:8], 1.0
	s_delay_alu instid0(VALU_DEP_1) | instskip(SKIP_1) | instid1(VALU_DEP_1)
	v_fma_f64 v[7:8], v[7:8], v[9:10], v[7:8]
	v_div_scale_f64 v[9:10], vcc_lo, 1.0, v[0:1], 1.0
	v_mul_f64 v[11:12], v[9:10], v[7:8]
	s_delay_alu instid0(VALU_DEP_1) | instskip(NEXT) | instid1(VALU_DEP_1)
	v_fma_f64 v[2:3], -v[2:3], v[11:12], v[9:10]
	v_div_fmas_f64 v[2:3], v[2:3], v[7:8], v[11:12]
	s_delay_alu instid0(VALU_DEP_1) | instskip(NEXT) | instid1(VALU_DEP_1)
	v_div_fixup_f64 v[0:1], v[2:3], v[0:1], 1.0
	v_mul_f64 v[2:3], v[5:6], -v[0:1]
.LBB124_1423:
	s_or_b32 exec_lo, exec_lo, s2
.LBB124_1424:
	s_delay_alu instid0(SALU_CYCLE_1) | instskip(NEXT) | instid1(SALU_CYCLE_1)
	s_or_b32 exec_lo, exec_lo, s3
	s_mov_b32 s2, exec_lo
	v_cmpx_ne_u32_e64 v40, v4
	s_xor_b32 s2, exec_lo, s2
	s_cbranch_execz .LBB124_1430
; %bb.1425:
	s_mov_b32 s3, exec_lo
	v_cmpx_eq_u32_e32 61, v40
	s_cbranch_execz .LBB124_1429
; %bb.1426:
	v_cmp_ne_u32_e32 vcc_lo, 61, v4
	s_xor_b32 s6, s4, -1
	s_delay_alu instid0(SALU_CYCLE_1) | instskip(NEXT) | instid1(SALU_CYCLE_1)
	s_and_b32 s7, s6, vcc_lo
	s_and_saveexec_b32 s6, s7
	s_cbranch_execz .LBB124_1428
; %bb.1427:
	v_ashrrev_i32_e32 v5, 31, v4
	s_delay_alu instid0(VALU_DEP_1) | instskip(NEXT) | instid1(VALU_DEP_1)
	v_lshlrev_b64 v[5:6], 2, v[4:5]
	v_add_co_u32 v5, vcc_lo, v145, v5
	s_delay_alu instid0(VALU_DEP_2)
	v_add_co_ci_u32_e32 v6, vcc_lo, v146, v6, vcc_lo
	s_clause 0x1
	flat_load_b32 v7, v[5:6]
	flat_load_b32 v8, v[145:146] offset:244
	s_waitcnt vmcnt(1) lgkmcnt(1)
	flat_store_b32 v[145:146], v7 offset:244
	s_waitcnt vmcnt(0) lgkmcnt(1)
	flat_store_b32 v[5:6], v8
.LBB124_1428:
	s_or_b32 exec_lo, exec_lo, s6
	v_mov_b32_e32 v40, v4
	v_mov_b32_e32 v39, v4
.LBB124_1429:
	s_or_b32 exec_lo, exec_lo, s3
.LBB124_1430:
	s_and_not1_saveexec_b32 s2, s2
	s_cbranch_execz .LBB124_1432
; %bb.1431:
	scratch_load_b128 v[4:7], v151, off
	v_mov_b32_e32 v40, 61
	s_waitcnt vmcnt(0)
	ds_store_2addr_b64 v20, v[4:5], v[6:7] offset0:124 offset1:125
.LBB124_1432:
	s_or_b32 exec_lo, exec_lo, s2
	s_delay_alu instid0(SALU_CYCLE_1)
	s_mov_b32 s2, exec_lo
	s_waitcnt lgkmcnt(0)
	s_waitcnt_vscnt null, 0x0
	s_barrier
	buffer_gl0_inv
	v_cmpx_lt_i32_e32 61, v40
	s_cbranch_execz .LBB124_1434
; %bb.1433:
	s_clause 0x1
	scratch_load_b128 v[4:7], off, off offset:976
	scratch_load_b128 v[8:11], off, off offset:992
	s_waitcnt vmcnt(1)
	v_mul_f64 v[12:13], v[0:1], v[6:7]
	v_mul_f64 v[6:7], v[2:3], v[6:7]
	s_delay_alu instid0(VALU_DEP_2)
	v_fma_f64 v[2:3], v[2:3], v[4:5], v[12:13]
	ds_load_2addr_b64 v[12:15], v20 offset0:124 offset1:125
	v_fma_f64 v[0:1], v[0:1], v[4:5], -v[6:7]
	s_waitcnt lgkmcnt(0)
	v_mul_f64 v[4:5], v[14:15], v[2:3]
	v_mul_f64 v[6:7], v[12:13], v[2:3]
	s_delay_alu instid0(VALU_DEP_2) | instskip(NEXT) | instid1(VALU_DEP_2)
	v_fma_f64 v[4:5], v[12:13], v[0:1], -v[4:5]
	v_fma_f64 v[6:7], v[14:15], v[0:1], v[6:7]
	s_waitcnt vmcnt(0)
	s_delay_alu instid0(VALU_DEP_2) | instskip(NEXT) | instid1(VALU_DEP_2)
	v_add_f64 v[4:5], v[8:9], -v[4:5]
	v_add_f64 v[6:7], v[10:11], -v[6:7]
	s_clause 0x1
	scratch_store_b128 off, v[0:3], off offset:976
	scratch_store_b128 off, v[4:7], off offset:992
.LBB124_1434:
	s_or_b32 exec_lo, exec_lo, s2
	s_waitcnt_vscnt null, 0x0
	s_barrier
	buffer_gl0_inv
	scratch_load_b128 v[0:3], v151, off
	v_lshl_add_u32 v4, v40, 4, v20
	s_cmp_lt_i32 s5, 64
	s_waitcnt vmcnt(0)
	ds_store_2addr_b64 v4, v[0:1], v[2:3] offset1:1
	s_waitcnt lgkmcnt(0)
	s_barrier
	buffer_gl0_inv
	ds_load_2addr_b64 v[0:3], v20 offset0:124 offset1:125
	v_mov_b32_e32 v4, 62
	s_cbranch_scc1 .LBB124_1437
; %bb.1435:
	v_add3_u32 v5, v38, 0, 0x3f0
	v_mov_b32_e32 v4, 62
	s_mov_b32 s6, 63
	s_set_inst_prefetch_distance 0x1
	.p2align	6
.LBB124_1436:                           ; =>This Inner Loop Header: Depth=1
	ds_load_2addr_b64 v[6:9], v5 offset1:1
	s_waitcnt lgkmcnt(1)
	v_cmp_gt_f64_e32 vcc_lo, 0, v[0:1]
	v_xor_b32_e32 v10, 0x80000000, v1
	v_cmp_gt_f64_e64 s2, 0, v[2:3]
	v_xor_b32_e32 v12, 0x80000000, v3
	v_add_nc_u32_e32 v5, 16, v5
	s_waitcnt lgkmcnt(0)
	v_cmp_gt_f64_e64 s3, 0, v[6:7]
	v_mov_b32_e32 v14, v6
	v_dual_mov_b32 v16, v8 :: v_dual_cndmask_b32 v11, v1, v10
	v_xor_b32_e32 v10, 0x80000000, v7
	v_cndmask_b32_e64 v13, v3, v12, s2
	v_xor_b32_e32 v12, 0x80000000, v9
	s_delay_alu instid0(VALU_DEP_3) | instskip(SKIP_2) | instid1(VALU_DEP_2)
	v_cndmask_b32_e64 v15, v7, v10, s3
	v_cmp_gt_f64_e64 s3, 0, v[8:9]
	v_cndmask_b32_e32 v10, v0, v0, vcc_lo
	v_cndmask_b32_e64 v17, v9, v12, s3
	v_cndmask_b32_e64 v12, v2, v2, s2
	s_delay_alu instid0(VALU_DEP_2) | instskip(NEXT) | instid1(VALU_DEP_2)
	v_add_f64 v[14:15], v[14:15], v[16:17]
	v_add_f64 v[10:11], v[10:11], v[12:13]
	s_delay_alu instid0(VALU_DEP_1)
	v_cmp_lt_f64_e32 vcc_lo, v[10:11], v[14:15]
	v_cndmask_b32_e32 v3, v3, v9, vcc_lo
	v_dual_cndmask_b32 v1, v1, v7 :: v_dual_cndmask_b32 v0, v0, v6
	v_cndmask_b32_e32 v2, v2, v8, vcc_lo
	v_cndmask_b32_e64 v4, v4, s6, vcc_lo
	s_add_i32 s6, s6, 1
	s_delay_alu instid0(SALU_CYCLE_1)
	s_cmp_lg_u32 s5, s6
	s_cbranch_scc1 .LBB124_1436
.LBB124_1437:
	s_set_inst_prefetch_distance 0x2
	s_waitcnt lgkmcnt(0)
	v_cmp_eq_f64_e32 vcc_lo, 0, v[0:1]
	v_cmp_eq_f64_e64 s2, 0, v[2:3]
	s_delay_alu instid0(VALU_DEP_1) | instskip(NEXT) | instid1(SALU_CYCLE_1)
	s_and_b32 s2, vcc_lo, s2
	s_and_saveexec_b32 s3, s2
	s_delay_alu instid0(SALU_CYCLE_1)
	s_xor_b32 s2, exec_lo, s3
; %bb.1438:
	v_cmp_ne_u32_e32 vcc_lo, 0, v37
	v_cndmask_b32_e32 v37, 63, v37, vcc_lo
; %bb.1439:
	s_and_not1_saveexec_b32 s3, s2
	s_cbranch_execz .LBB124_1445
; %bb.1440:
	v_cmp_gt_f64_e32 vcc_lo, 0, v[0:1]
	v_cmp_gt_f64_e64 s2, 0, v[2:3]
	v_xor_b32_e32 v5, 0x80000000, v1
	v_xor_b32_e32 v7, 0x80000000, v3
	s_delay_alu instid0(VALU_DEP_2) | instskip(NEXT) | instid1(VALU_DEP_2)
	v_dual_cndmask_b32 v6, v1, v5 :: v_dual_cndmask_b32 v5, v0, v0
	v_cndmask_b32_e64 v8, v3, v7, s2
	v_cndmask_b32_e64 v7, v2, v2, s2
	s_mov_b32 s2, exec_lo
	s_delay_alu instid0(VALU_DEP_1)
	v_cmpx_ngt_f64_e32 v[5:6], v[7:8]
	s_xor_b32 s2, exec_lo, s2
	s_cbranch_execz .LBB124_1442
; %bb.1441:
	v_div_scale_f64 v[5:6], null, v[2:3], v[2:3], v[0:1]
	v_div_scale_f64 v[11:12], vcc_lo, v[0:1], v[2:3], v[0:1]
	s_delay_alu instid0(VALU_DEP_2) | instskip(SKIP_2) | instid1(VALU_DEP_1)
	v_rcp_f64_e32 v[7:8], v[5:6]
	s_waitcnt_depctr 0xfff
	v_fma_f64 v[9:10], -v[5:6], v[7:8], 1.0
	v_fma_f64 v[7:8], v[7:8], v[9:10], v[7:8]
	s_delay_alu instid0(VALU_DEP_1) | instskip(NEXT) | instid1(VALU_DEP_1)
	v_fma_f64 v[9:10], -v[5:6], v[7:8], 1.0
	v_fma_f64 v[7:8], v[7:8], v[9:10], v[7:8]
	s_delay_alu instid0(VALU_DEP_1) | instskip(NEXT) | instid1(VALU_DEP_1)
	v_mul_f64 v[9:10], v[11:12], v[7:8]
	v_fma_f64 v[5:6], -v[5:6], v[9:10], v[11:12]
	s_delay_alu instid0(VALU_DEP_1) | instskip(NEXT) | instid1(VALU_DEP_1)
	v_div_fmas_f64 v[5:6], v[5:6], v[7:8], v[9:10]
	v_div_fixup_f64 v[5:6], v[5:6], v[2:3], v[0:1]
	s_delay_alu instid0(VALU_DEP_1) | instskip(NEXT) | instid1(VALU_DEP_1)
	v_fma_f64 v[0:1], v[0:1], v[5:6], v[2:3]
	v_div_scale_f64 v[2:3], null, v[0:1], v[0:1], 1.0
	s_delay_alu instid0(VALU_DEP_1) | instskip(SKIP_2) | instid1(VALU_DEP_1)
	v_rcp_f64_e32 v[7:8], v[2:3]
	s_waitcnt_depctr 0xfff
	v_fma_f64 v[9:10], -v[2:3], v[7:8], 1.0
	v_fma_f64 v[7:8], v[7:8], v[9:10], v[7:8]
	s_delay_alu instid0(VALU_DEP_1) | instskip(NEXT) | instid1(VALU_DEP_1)
	v_fma_f64 v[9:10], -v[2:3], v[7:8], 1.0
	v_fma_f64 v[7:8], v[7:8], v[9:10], v[7:8]
	v_div_scale_f64 v[9:10], vcc_lo, 1.0, v[0:1], 1.0
	s_delay_alu instid0(VALU_DEP_1) | instskip(NEXT) | instid1(VALU_DEP_1)
	v_mul_f64 v[11:12], v[9:10], v[7:8]
	v_fma_f64 v[2:3], -v[2:3], v[11:12], v[9:10]
	s_delay_alu instid0(VALU_DEP_1) | instskip(NEXT) | instid1(VALU_DEP_1)
	v_div_fmas_f64 v[2:3], v[2:3], v[7:8], v[11:12]
	v_div_fixup_f64 v[2:3], v[2:3], v[0:1], 1.0
	s_delay_alu instid0(VALU_DEP_1)
	v_mul_f64 v[0:1], v[5:6], v[2:3]
	v_xor_b32_e32 v3, 0x80000000, v3
.LBB124_1442:
	s_and_not1_saveexec_b32 s2, s2
	s_cbranch_execz .LBB124_1444
; %bb.1443:
	s_delay_alu instid0(VALU_DEP_1) | instskip(SKIP_1) | instid1(VALU_DEP_2)
	v_div_scale_f64 v[5:6], null, v[0:1], v[0:1], v[2:3]
	v_div_scale_f64 v[11:12], vcc_lo, v[2:3], v[0:1], v[2:3]
	v_rcp_f64_e32 v[7:8], v[5:6]
	s_waitcnt_depctr 0xfff
	v_fma_f64 v[9:10], -v[5:6], v[7:8], 1.0
	s_delay_alu instid0(VALU_DEP_1) | instskip(NEXT) | instid1(VALU_DEP_1)
	v_fma_f64 v[7:8], v[7:8], v[9:10], v[7:8]
	v_fma_f64 v[9:10], -v[5:6], v[7:8], 1.0
	s_delay_alu instid0(VALU_DEP_1) | instskip(NEXT) | instid1(VALU_DEP_1)
	v_fma_f64 v[7:8], v[7:8], v[9:10], v[7:8]
	v_mul_f64 v[9:10], v[11:12], v[7:8]
	s_delay_alu instid0(VALU_DEP_1) | instskip(NEXT) | instid1(VALU_DEP_1)
	v_fma_f64 v[5:6], -v[5:6], v[9:10], v[11:12]
	v_div_fmas_f64 v[5:6], v[5:6], v[7:8], v[9:10]
	s_delay_alu instid0(VALU_DEP_1) | instskip(NEXT) | instid1(VALU_DEP_1)
	v_div_fixup_f64 v[5:6], v[5:6], v[0:1], v[2:3]
	v_fma_f64 v[0:1], v[2:3], v[5:6], v[0:1]
	s_delay_alu instid0(VALU_DEP_1) | instskip(NEXT) | instid1(VALU_DEP_1)
	v_div_scale_f64 v[2:3], null, v[0:1], v[0:1], 1.0
	v_rcp_f64_e32 v[7:8], v[2:3]
	s_waitcnt_depctr 0xfff
	v_fma_f64 v[9:10], -v[2:3], v[7:8], 1.0
	s_delay_alu instid0(VALU_DEP_1) | instskip(NEXT) | instid1(VALU_DEP_1)
	v_fma_f64 v[7:8], v[7:8], v[9:10], v[7:8]
	v_fma_f64 v[9:10], -v[2:3], v[7:8], 1.0
	s_delay_alu instid0(VALU_DEP_1) | instskip(SKIP_1) | instid1(VALU_DEP_1)
	v_fma_f64 v[7:8], v[7:8], v[9:10], v[7:8]
	v_div_scale_f64 v[9:10], vcc_lo, 1.0, v[0:1], 1.0
	v_mul_f64 v[11:12], v[9:10], v[7:8]
	s_delay_alu instid0(VALU_DEP_1) | instskip(NEXT) | instid1(VALU_DEP_1)
	v_fma_f64 v[2:3], -v[2:3], v[11:12], v[9:10]
	v_div_fmas_f64 v[2:3], v[2:3], v[7:8], v[11:12]
	s_delay_alu instid0(VALU_DEP_1) | instskip(NEXT) | instid1(VALU_DEP_1)
	v_div_fixup_f64 v[0:1], v[2:3], v[0:1], 1.0
	v_mul_f64 v[2:3], v[5:6], -v[0:1]
.LBB124_1444:
	s_or_b32 exec_lo, exec_lo, s2
.LBB124_1445:
	s_delay_alu instid0(SALU_CYCLE_1)
	s_or_b32 exec_lo, exec_lo, s3
	v_mov_b32_e32 v144, 62
	s_mov_b32 s2, exec_lo
	v_cmpx_ne_u32_e64 v40, v4
	s_cbranch_execz .LBB124_1451
; %bb.1446:
	s_mov_b32 s3, exec_lo
	v_cmpx_eq_u32_e32 62, v40
	s_cbranch_execz .LBB124_1450
; %bb.1447:
	v_cmp_ne_u32_e32 vcc_lo, 62, v4
	s_xor_b32 s4, s4, -1
	s_delay_alu instid0(SALU_CYCLE_1) | instskip(NEXT) | instid1(SALU_CYCLE_1)
	s_and_b32 s5, s4, vcc_lo
	s_and_saveexec_b32 s4, s5
	s_cbranch_execz .LBB124_1449
; %bb.1448:
	v_ashrrev_i32_e32 v5, 31, v4
	s_delay_alu instid0(VALU_DEP_1) | instskip(NEXT) | instid1(VALU_DEP_1)
	v_lshlrev_b64 v[5:6], 2, v[4:5]
	v_add_co_u32 v5, vcc_lo, v145, v5
	s_delay_alu instid0(VALU_DEP_2)
	v_add_co_ci_u32_e32 v6, vcc_lo, v146, v6, vcc_lo
	s_clause 0x1
	flat_load_b32 v7, v[5:6]
	flat_load_b32 v8, v[145:146] offset:248
	s_waitcnt vmcnt(1) lgkmcnt(1)
	flat_store_b32 v[145:146], v7 offset:248
	s_waitcnt vmcnt(0) lgkmcnt(1)
	flat_store_b32 v[5:6], v8
.LBB124_1449:
	s_or_b32 exec_lo, exec_lo, s4
	v_mov_b32_e32 v40, v4
	v_mov_b32_e32 v39, v4
.LBB124_1450:
	s_or_b32 exec_lo, exec_lo, s3
	s_delay_alu instid0(VALU_DEP_2)
	v_mov_b32_e32 v144, v40
.LBB124_1451:
	s_or_b32 exec_lo, exec_lo, s2
	s_delay_alu instid0(SALU_CYCLE_1)
	s_mov_b32 s2, exec_lo
	s_waitcnt lgkmcnt(0)
	s_waitcnt_vscnt null, 0x0
	s_barrier
	buffer_gl0_inv
	v_cmpx_lt_i32_e32 62, v144
	s_cbranch_execz .LBB124_1453
; %bb.1452:
	scratch_load_b128 v[4:7], off, off offset:992
	s_waitcnt vmcnt(0)
	v_mul_f64 v[8:9], v[2:3], v[6:7]
	v_mul_f64 v[6:7], v[0:1], v[6:7]
	s_delay_alu instid0(VALU_DEP_2) | instskip(NEXT) | instid1(VALU_DEP_2)
	v_fma_f64 v[0:1], v[0:1], v[4:5], -v[8:9]
	v_fma_f64 v[2:3], v[2:3], v[4:5], v[6:7]
	scratch_store_b128 off, v[0:3], off offset:992
.LBB124_1453:
	s_or_b32 exec_lo, exec_lo, s2
	s_load_b256 s[0:7], s[0:1], 0x28
	v_ashrrev_i32_e32 v145, 31, v144
	s_mov_b32 s9, exec_lo
	s_waitcnt lgkmcnt(0)
	s_waitcnt_vscnt null, 0x0
	s_barrier
	buffer_gl0_inv
	v_cmpx_gt_i32_e32 63, v144
	s_cbranch_execz .LBB124_1455
; %bb.1454:
	v_mul_lo_u32 v2, v253, s4
	v_mul_lo_u32 v3, v252, s5
	v_mad_u64_u32 v[0:1], null, v252, s4, 0
	s_lshl_b64 s[2:3], s[2:3], 2
	s_delay_alu instid0(SALU_CYCLE_1) | instskip(SKIP_1) | instid1(VALU_DEP_1)
	s_add_u32 s0, s2, s0
	s_addc_u32 s1, s3, s1
	v_add3_u32 v1, v1, v3, v2
	v_lshlrev_b64 v[2:3], 2, v[144:145]
	s_delay_alu instid0(VALU_DEP_2) | instskip(NEXT) | instid1(VALU_DEP_1)
	v_lshlrev_b64 v[0:1], 2, v[0:1]
	v_add_co_u32 v0, vcc_lo, s0, v0
	s_delay_alu instid0(VALU_DEP_2) | instskip(NEXT) | instid1(VALU_DEP_2)
	v_add_co_ci_u32_e32 v1, vcc_lo, s1, v1, vcc_lo
	v_add_co_u32 v0, vcc_lo, v0, v2
	s_delay_alu instid0(VALU_DEP_2)
	v_add_co_ci_u32_e32 v1, vcc_lo, v1, v3, vcc_lo
	v_add3_u32 v2, v39, s13, 1
	global_store_b32 v[0:1], v2, off
.LBB124_1455:
	s_or_b32 exec_lo, exec_lo, s9
	s_delay_alu instid0(SALU_CYCLE_1)
	s_mov_b32 s1, exec_lo
	v_cmpx_eq_u32_e32 0, v144
	s_cbranch_execz .LBB124_1458
; %bb.1456:
	v_lshlrev_b64 v[0:1], 2, v[252:253]
	v_cmp_lt_i32_e64 s0, 0, v37
	s_delay_alu instid0(VALU_DEP_2) | instskip(NEXT) | instid1(VALU_DEP_3)
	v_add_co_u32 v0, vcc_lo, s6, v0
	v_add_co_ci_u32_e32 v1, vcc_lo, s7, v1, vcc_lo
	global_load_b32 v2, v[0:1], off
	s_waitcnt vmcnt(0)
	v_cmp_eq_u32_e32 vcc_lo, 0, v2
	s_and_b32 s0, vcc_lo, s0
	s_delay_alu instid0(SALU_CYCLE_1)
	s_and_b32 exec_lo, exec_lo, s0
	s_cbranch_execz .LBB124_1458
; %bb.1457:
	v_add_nc_u32_e32 v2, s13, v37
	global_store_b32 v[0:1], v2, off
.LBB124_1458:
	s_or_b32 exec_lo, exec_lo, s1
	scratch_load_b128 v[88:91], off, off
	s_clause 0x1f
	scratch_load_b128 v[76:79], v31, off
	scratch_load_b128 v[68:71], v30, off
	;; [unrolled: 1-line block ×32, first 2 shown]
	s_clause 0x2
	scratch_load_b128 v[128:131], v128, off
	scratch_load_b128 v[136:139], v136, off
	scratch_load_b128 v[140:143], v140, off
	v_lshlrev_b64 v[227:228], 4, v[144:145]
	v_add3_u32 v229, s8, s8, v144
	s_clause 0x10
	scratch_load_b128 v[144:147], v147, off
	scratch_load_b128 v[175:178], v175, off
	;; [unrolled: 1-line block ×17, first 2 shown]
	v_add_nc_u32_e32 v160, s8, v229
	v_ashrrev_i32_e32 v230, 31, v229
	v_add_co_u32 v227, vcc_lo, v148, v227
	v_add_co_ci_u32_e32 v228, vcc_lo, v149, v228, vcc_lo
	s_delay_alu instid0(VALU_DEP_4) | instskip(SKIP_3) | instid1(VALU_DEP_4)
	v_add_nc_u32_e32 v231, s8, v160
	v_ashrrev_i32_e32 v161, 31, v160
	v_lshlrev_b64 v[229:230], 4, v[229:230]
	v_add_co_u32 v233, vcc_lo, v227, s10
	v_add_nc_u32_e32 v235, s8, v231
	s_delay_alu instid0(VALU_DEP_4)
	v_lshlrev_b64 v[160:161], 4, v[160:161]
	v_add_co_ci_u32_e32 v234, vcc_lo, s11, v228, vcc_lo
	v_ashrrev_i32_e32 v232, 31, v231
	v_add_co_u32 v229, vcc_lo, v148, v229
	v_ashrrev_i32_e32 v236, 31, v235
	v_add_nc_u32_e32 v237, s8, v235
	v_add_co_ci_u32_e32 v230, vcc_lo, v149, v230, vcc_lo
	v_add_co_u32 v239, vcc_lo, v148, v160
	v_lshlrev_b64 v[231:232], 4, v[231:232]
	v_add_co_ci_u32_e32 v240, vcc_lo, v149, v161, vcc_lo
	v_lshlrev_b64 v[160:161], 4, v[235:236]
	v_add_nc_u32_e32 v235, s8, v237
	v_ashrrev_i32_e32 v238, 31, v237
	v_add_co_u32 v231, vcc_lo, v148, v231
	v_add_co_ci_u32_e32 v232, vcc_lo, v149, v232, vcc_lo
	s_delay_alu instid0(VALU_DEP_4)
	v_ashrrev_i32_e32 v236, 31, v235
	v_add_nc_u32_e32 v241, s8, v235
	v_add_co_u32 v243, vcc_lo, v148, v160
	v_lshlrev_b64 v[237:238], 4, v[237:238]
	v_add_co_ci_u32_e32 v244, vcc_lo, v149, v161, vcc_lo
	v_lshlrev_b64 v[160:161], 4, v[235:236]
	v_add_nc_u32_e32 v235, s8, v241
	v_ashrrev_i32_e32 v242, 31, v241
	v_add_co_u32 v237, vcc_lo, v148, v237
	v_add_co_ci_u32_e32 v238, vcc_lo, v149, v238, vcc_lo
	s_delay_alu instid0(VALU_DEP_4) | instskip(SKIP_3) | instid1(VALU_DEP_4)
	v_ashrrev_i32_e32 v236, 31, v235
	v_add_nc_u32_e32 v245, s8, v235
	v_add_co_u32 v247, vcc_lo, v148, v160
	v_add_co_ci_u32_e32 v248, vcc_lo, v149, v161, vcc_lo
	v_lshlrev_b64 v[160:161], 4, v[235:236]
	s_delay_alu instid0(VALU_DEP_4) | instskip(SKIP_2) | instid1(VALU_DEP_3)
	v_add_nc_u32_e32 v235, s8, v245
	v_lshlrev_b64 v[241:242], 4, v[241:242]
	v_ashrrev_i32_e32 v246, 31, v245
	v_add_nc_u32_e32 v249, s8, v235
	v_ashrrev_i32_e32 v236, 31, v235
	s_delay_alu instid0(VALU_DEP_4) | instskip(SKIP_1) | instid1(VALU_DEP_4)
	v_add_co_u32 v241, vcc_lo, v148, v241
	v_add_co_ci_u32_e32 v242, vcc_lo, v149, v242, vcc_lo
	v_add_nc_u32_e32 v253, s8, v249
	v_lshlrev_b64 v[245:246], 4, v[245:246]
	v_add_co_u32 v251, vcc_lo, v148, v160
	v_ashrrev_i32_e32 v250, 31, v249
	v_add_co_ci_u32_e32 v252, vcc_lo, v149, v161, vcc_lo
	v_ashrrev_i32_e32 v254, 31, v253
	v_add_co_u32 v245, vcc_lo, v148, v245
	v_add_co_ci_u32_e32 v246, vcc_lo, v149, v246, vcc_lo
	s_waitcnt vmcnt(52)
	global_store_b128 v[227:228], v[88:91], off
	s_clause 0x1
	scratch_load_b128 v[88:91], v159, off
	scratch_load_b128 v[158:161], v158, off
	s_waitcnt vmcnt(53)
	global_store_b128 v[233:234], v[76:79], off
	v_add_nc_u32_e32 v233, s8, v253
	v_lshlrev_b64 v[227:228], 4, v[235:236]
	v_lshlrev_b64 v[235:236], 4, v[249:250]
	;; [unrolled: 1-line block ×3, first 2 shown]
	s_waitcnt vmcnt(52)
	global_store_b128 v[229:230], v[68:71], off
	v_add_nc_u32_e32 v249, s8, v233
	v_ashrrev_i32_e32 v234, 31, v233
	v_add_co_u32 v227, vcc_lo, v148, v227
	v_add_co_ci_u32_e32 v228, vcc_lo, v149, v228, vcc_lo
	v_add_co_u32 v235, vcc_lo, v148, v235
	v_add_nc_u32_e32 v156, s8, v249
	v_add_co_ci_u32_e32 v236, vcc_lo, v149, v236, vcc_lo
	v_add_co_u32 v253, vcc_lo, v148, v76
	v_ashrrev_i32_e32 v250, 31, v249
	v_add_co_ci_u32_e32 v254, vcc_lo, v149, v77, vcc_lo
	s_clause 0x1
	scratch_load_b128 v[68:71], v152, off
	scratch_load_b128 v[76:79], v157, off
	v_ashrrev_i32_e32 v157, 31, v156
	s_waitcnt vmcnt(53)
	global_store_b128 v[239:240], v[60:63], off
	v_add_nc_u32_e32 v239, s8, v156
	v_lshlrev_b64 v[229:230], 4, v[233:234]
	v_lshlrev_b64 v[233:234], 4, v[249:250]
	;; [unrolled: 1-line block ×3, first 2 shown]
	s_waitcnt vmcnt(52)
	global_store_b128 v[231:232], v[56:59], off
	v_add_nc_u32_e32 v156, s8, v239
	v_ashrrev_i32_e32 v240, 31, v239
	v_add_co_u32 v229, vcc_lo, v148, v229
	v_add_co_ci_u32_e32 v230, vcc_lo, v149, v230, vcc_lo
	v_add_co_u32 v233, vcc_lo, v148, v233
	v_add_nc_u32_e32 v154, s8, v156
	v_add_co_ci_u32_e32 v234, vcc_lo, v149, v234, vcc_lo
	v_add_co_u32 v249, vcc_lo, v148, v60
	v_ashrrev_i32_e32 v157, 31, v156
	v_add_co_ci_u32_e32 v250, vcc_lo, v149, v61, vcc_lo
	s_clause 0x1
	scratch_load_b128 v[56:59], v150, off
	scratch_load_b128 v[60:63], v155, off
	v_lshlrev_b64 v[231:232], 4, v[239:240]
	v_ashrrev_i32_e32 v155, 31, v154
	v_add_nc_u32_e32 v239, s8, v154
	v_lshlrev_b64 v[156:157], 4, v[156:157]
	s_waitcnt vmcnt(53)
	global_store_b128 v[243:244], v[44:47], off
	s_waitcnt vmcnt(52)
	global_store_b128 v[237:238], v[40:43], off
	v_lshlrev_b64 v[44:45], 4, v[154:155]
	v_add_nc_u32_e32 v154, s8, v239
	v_add_co_u32 v231, vcc_lo, v148, v231
	v_add_co_ci_u32_e32 v232, vcc_lo, v149, v232, vcc_lo
	v_ashrrev_i32_e32 v240, 31, v239
	v_add_co_u32 v156, vcc_lo, v148, v156
	v_add_nc_u32_e32 v152, s8, v154
	v_add_co_ci_u32_e32 v157, vcc_lo, v149, v157, vcc_lo
	v_ashrrev_i32_e32 v155, 31, v154
	v_add_co_u32 v243, vcc_lo, v148, v44
	v_lshlrev_b64 v[237:238], 4, v[239:240]
	v_add_co_ci_u32_e32 v244, vcc_lo, v149, v45, vcc_lo
	s_clause 0x1
	scratch_load_b128 v[40:43], v255, off
	scratch_load_b128 v[44:47], v153, off
	v_ashrrev_i32_e32 v153, 31, v152
	v_lshlrev_b64 v[154:155], 4, v[154:155]
	s_waitcnt vmcnt(53)
	global_store_b128 v[247:248], v[28:31], off
	v_add_co_u32 v237, vcc_lo, v148, v237
	v_lshlrev_b64 v[28:29], 4, v[152:153]
	v_add_co_ci_u32_e32 v238, vcc_lo, v149, v238, vcc_lo
	v_add_co_u32 v154, vcc_lo, v148, v154
	v_add_co_ci_u32_e32 v155, vcc_lo, v149, v155, vcc_lo
	s_delay_alu instid0(VALU_DEP_4)
	v_add_co_u32 v247, vcc_lo, v148, v28
	s_waitcnt vmcnt(52)
	global_store_b128 v[241:242], v[24:27], off
	v_add_co_ci_u32_e32 v248, vcc_lo, v149, v29, vcc_lo
	s_clause 0x1
	scratch_load_b128 v[24:27], v162, off
	scratch_load_b128 v[28:31], v151, off
	v_add_nc_u32_e32 v239, s8, v152
	s_waitcnt vmcnt(53)
	global_store_b128 v[251:252], v[16:19], off
	s_waitcnt vmcnt(52)
	global_store_b128 v[245:246], v[8:11], off
	;; [unrolled: 2-line block ×3, first 2 shown]
	v_add_nc_u32_e32 v152, s8, v239
	v_ashrrev_i32_e32 v240, 31, v239
	s_delay_alu instid0(VALU_DEP_2) | instskip(NEXT) | instid1(VALU_DEP_2)
	v_add_nc_u32_e32 v150, s8, v152
	v_lshlrev_b64 v[239:240], 4, v[239:240]
	v_ashrrev_i32_e32 v153, 31, v152
	s_delay_alu instid0(VALU_DEP_3) | instskip(SKIP_1) | instid1(VALU_DEP_4)
	v_add_nc_u32_e32 v16, s8, v150
	v_ashrrev_i32_e32 v151, 31, v150
	v_add_co_u32 v18, vcc_lo, v148, v239
	s_delay_alu instid0(VALU_DEP_4) | instskip(NEXT) | instid1(VALU_DEP_4)
	v_lshlrev_b64 v[152:153], 4, v[152:153]
	v_add_nc_u32_e32 v239, s8, v16
	v_ashrrev_i32_e32 v17, 31, v16
	v_lshlrev_b64 v[150:151], 4, v[150:151]
	v_add_co_ci_u32_e32 v19, vcc_lo, v149, v240, vcc_lo
	s_delay_alu instid0(VALU_DEP_4)
	v_add_nc_u32_e32 v241, s8, v239
	v_add_co_u32 v152, vcc_lo, v148, v152
	v_lshlrev_b64 v[16:17], 4, v[16:17]
	v_add_co_ci_u32_e32 v153, vcc_lo, v149, v153, vcc_lo
	v_add_co_u32 v150, vcc_lo, v148, v150
	v_ashrrev_i32_e32 v242, 31, v241
	v_add_nc_u32_e32 v8, s8, v241
	v_add_co_ci_u32_e32 v151, vcc_lo, v149, v151, vcc_lo
	v_add_co_u32 v10, vcc_lo, v148, v16
	v_add_co_ci_u32_e32 v11, vcc_lo, v149, v17, vcc_lo
	v_lshlrev_b64 v[16:17], 4, v[241:242]
	v_add_nc_u32_e32 v241, s8, v8
	v_ashrrev_i32_e32 v240, 31, v239
	v_ashrrev_i32_e32 v9, 31, v8
	s_delay_alu instid0(VALU_DEP_3) | instskip(NEXT) | instid1(VALU_DEP_3)
	v_add_nc_u32_e32 v245, s8, v241
	v_lshlrev_b64 v[239:240], 4, v[239:240]
	v_ashrrev_i32_e32 v242, 31, v241
	s_delay_alu instid0(VALU_DEP_4) | instskip(NEXT) | instid1(VALU_DEP_4)
	v_lshlrev_b64 v[8:9], 4, v[8:9]
	v_add_nc_u32_e32 v4, s8, v245
	v_ashrrev_i32_e32 v246, 31, v245
	v_add_co_u32 v239, vcc_lo, v148, v239
	v_add_co_ci_u32_e32 v240, vcc_lo, v149, v240, vcc_lo
	v_add_co_u32 v16, vcc_lo, v148, v16
	v_add_nc_u32_e32 v227, s8, v4
	v_add_co_ci_u32_e32 v17, vcc_lo, v149, v17, vcc_lo
	v_lshlrev_b64 v[241:242], 4, v[241:242]
	v_add_co_u32 v6, vcc_lo, v148, v8
	v_ashrrev_i32_e32 v5, 31, v4
	v_add_co_ci_u32_e32 v7, vcc_lo, v149, v9, vcc_lo
	v_lshlrev_b64 v[8:9], 4, v[245:246]
	v_add_nc_u32_e32 v245, s8, v227
	v_add_co_u32 v241, vcc_lo, v148, v241
	v_lshlrev_b64 v[4:5], 4, v[4:5]
	v_add_co_ci_u32_e32 v242, vcc_lo, v149, v242, vcc_lo
	s_waitcnt vmcnt(50)
	global_store_b128 v[235:236], v[0:3], off
	s_waitcnt vmcnt(49)
	global_store_b128 v[253:254], v[12:15], off
	;; [unrolled: 2-line block ×19, first 2 shown]
	v_add_nc_u32_e32 v2, s8, v245
	v_add_co_u32 v8, vcc_lo, v148, v8
	v_ashrrev_i32_e32 v228, 31, v227
	v_add_co_ci_u32_e32 v9, vcc_lo, v149, v9, vcc_lo
	v_add_co_u32 v0, vcc_lo, v148, v4
	v_ashrrev_i32_e32 v246, 31, v245
	v_ashrrev_i32_e32 v3, 31, v2
	v_add_co_ci_u32_e32 v1, vcc_lo, v149, v5, vcc_lo
	v_lshlrev_b64 v[4:5], 4, v[227:228]
	s_waitcnt vmcnt(31)
	global_store_b128 v[8:9], v[124:127], off
	s_waitcnt vmcnt(30)
	global_store_b128 v[0:1], v[132:135], off
	v_lshlrev_b64 v[0:1], 4, v[245:246]
	v_lshlrev_b64 v[6:7], 4, v[2:3]
	v_add_nc_u32_e32 v2, s8, v2
	v_add_co_u32 v4, vcc_lo, v148, v4
	v_add_co_ci_u32_e32 v5, vcc_lo, v149, v5, vcc_lo
	s_delay_alu instid0(VALU_DEP_3)
	v_add_nc_u32_e32 v8, s8, v2
	v_add_co_u32 v0, vcc_lo, v148, v0
	v_ashrrev_i32_e32 v3, 31, v2
	v_add_co_ci_u32_e32 v1, vcc_lo, v149, v1, vcc_lo
	v_add_co_u32 v6, vcc_lo, v148, v6
	v_ashrrev_i32_e32 v9, 31, v8
	s_waitcnt vmcnt(29)
	global_store_b128 v[4:5], v[128:131], off
	v_add_nc_u32_e32 v4, s8, v8
	v_add_co_ci_u32_e32 v7, vcc_lo, v149, v7, vcc_lo
	v_lshlrev_b64 v[2:3], 4, v[2:3]
	s_waitcnt vmcnt(28)
	global_store_b128 v[0:1], v[136:139], off
	s_waitcnt vmcnt(27)
	global_store_b128 v[6:7], v[140:143], off
	v_lshlrev_b64 v[0:1], 4, v[8:9]
	v_add_nc_u32_e32 v6, s8, v4
	v_ashrrev_i32_e32 v5, 31, v4
	v_add_co_u32 v2, vcc_lo, v148, v2
	v_add_co_ci_u32_e32 v3, vcc_lo, v149, v3, vcc_lo
	s_delay_alu instid0(VALU_DEP_4)
	v_add_nc_u32_e32 v8, s8, v6
	v_add_co_u32 v0, vcc_lo, v148, v0
	v_ashrrev_i32_e32 v7, 31, v6
	v_lshlrev_b64 v[4:5], 4, v[4:5]
	v_add_co_ci_u32_e32 v1, vcc_lo, v149, v1, vcc_lo
	v_ashrrev_i32_e32 v9, 31, v8
	s_waitcnt vmcnt(26)
	global_store_b128 v[2:3], v[144:147], off
	s_waitcnt vmcnt(25)
	global_store_b128 v[0:1], v[175:178], off
	v_lshlrev_b64 v[0:1], 4, v[6:7]
	v_add_co_u32 v2, vcc_lo, v148, v4
	v_add_co_ci_u32_e32 v3, vcc_lo, v149, v5, vcc_lo
	v_lshlrev_b64 v[4:5], 4, v[8:9]
	v_add_nc_u32_e32 v6, s8, v8
	v_add_co_u32 v0, vcc_lo, v148, v0
	v_add_co_ci_u32_e32 v1, vcc_lo, v149, v1, vcc_lo
	s_delay_alu instid0(VALU_DEP_4) | instskip(NEXT) | instid1(VALU_DEP_4)
	v_add_co_u32 v4, vcc_lo, v148, v4
	v_add_nc_u32_e32 v8, s8, v6
	v_add_co_ci_u32_e32 v5, vcc_lo, v149, v5, vcc_lo
	v_ashrrev_i32_e32 v7, 31, v6
	s_waitcnt vmcnt(24)
	global_store_b128 v[2:3], v[179:182], off
	v_ashrrev_i32_e32 v9, 31, v8
	s_waitcnt vmcnt(23)
	global_store_b128 v[0:1], v[183:186], off
	s_waitcnt vmcnt(22)
	global_store_b128 v[4:5], v[187:190], off
	v_add_nc_u32_e32 v4, s8, v8
	v_lshlrev_b64 v[2:3], 4, v[6:7]
	v_lshlrev_b64 v[0:1], 4, v[8:9]
	s_delay_alu instid0(VALU_DEP_3) | instskip(SKIP_1) | instid1(VALU_DEP_4)
	v_add_nc_u32_e32 v6, s8, v4
	v_ashrrev_i32_e32 v5, 31, v4
	v_add_co_u32 v2, vcc_lo, v148, v2
	v_add_co_ci_u32_e32 v3, vcc_lo, v149, v3, vcc_lo
	s_delay_alu instid0(VALU_DEP_4)
	v_add_nc_u32_e32 v8, s8, v6
	v_add_co_u32 v0, vcc_lo, v148, v0
	v_ashrrev_i32_e32 v7, 31, v6
	v_lshlrev_b64 v[4:5], 4, v[4:5]
	v_add_co_ci_u32_e32 v1, vcc_lo, v149, v1, vcc_lo
	v_ashrrev_i32_e32 v9, 31, v8
	s_waitcnt vmcnt(21)
	global_store_b128 v[2:3], v[171:174], off
	s_waitcnt vmcnt(20)
	global_store_b128 v[0:1], v[191:194], off
	v_lshlrev_b64 v[0:1], 4, v[6:7]
	v_add_co_u32 v2, vcc_lo, v148, v4
	v_add_co_ci_u32_e32 v3, vcc_lo, v149, v5, vcc_lo
	v_lshlrev_b64 v[4:5], 4, v[8:9]
	v_add_nc_u32_e32 v6, s8, v8
	v_add_co_u32 v0, vcc_lo, v148, v0
	v_add_co_ci_u32_e32 v1, vcc_lo, v149, v1, vcc_lo
	s_delay_alu instid0(VALU_DEP_4) | instskip(NEXT) | instid1(VALU_DEP_4)
	v_add_co_u32 v4, vcc_lo, v148, v4
	v_add_nc_u32_e32 v8, s8, v6
	v_add_co_ci_u32_e32 v5, vcc_lo, v149, v5, vcc_lo
	v_ashrrev_i32_e32 v7, 31, v6
	s_waitcnt vmcnt(19)
	global_store_b128 v[2:3], v[195:198], off
	v_ashrrev_i32_e32 v9, 31, v8
	s_waitcnt vmcnt(18)
	global_store_b128 v[0:1], v[199:202], off
	s_waitcnt vmcnt(17)
	global_store_b128 v[4:5], v[167:170], off
	v_add_nc_u32_e32 v4, s8, v8
	v_lshlrev_b64 v[2:3], 4, v[6:7]
	v_lshlrev_b64 v[0:1], 4, v[8:9]
	s_delay_alu instid0(VALU_DEP_3) | instskip(SKIP_1) | instid1(VALU_DEP_4)
	;; [unrolled: 38-line block ×3, first 2 shown]
	v_add_nc_u32_e32 v6, s8, v4
	v_ashrrev_i32_e32 v5, 31, v4
	v_add_co_u32 v2, vcc_lo, v148, v2
	v_add_co_ci_u32_e32 v3, vcc_lo, v149, v3, vcc_lo
	s_delay_alu instid0(VALU_DEP_4)
	v_add_nc_u32_e32 v8, s8, v6
	v_add_co_u32 v0, vcc_lo, v148, v0
	v_ashrrev_i32_e32 v7, 31, v6
	v_lshlrev_b64 v[4:5], 4, v[4:5]
	v_add_co_ci_u32_e32 v1, vcc_lo, v149, v1, vcc_lo
	v_ashrrev_i32_e32 v9, 31, v8
	s_waitcnt vmcnt(11)
	global_store_b128 v[2:3], v[219:222], off
	s_waitcnt vmcnt(10)
	global_store_b128 v[0:1], v[223:226], off
	v_lshlrev_b64 v[0:1], 4, v[6:7]
	v_add_co_u32 v2, vcc_lo, v148, v4
	v_add_co_ci_u32_e32 v3, vcc_lo, v149, v5, vcc_lo
	v_lshlrev_b64 v[4:5], 4, v[8:9]
	v_add_nc_u32_e32 v6, s8, v8
	v_add_co_u32 v0, vcc_lo, v148, v0
	v_add_co_ci_u32_e32 v1, vcc_lo, v149, v1, vcc_lo
	s_delay_alu instid0(VALU_DEP_4) | instskip(NEXT) | instid1(VALU_DEP_4)
	v_add_co_u32 v4, vcc_lo, v148, v4
	v_add_nc_u32_e32 v8, s8, v6
	v_add_co_ci_u32_e32 v5, vcc_lo, v149, v5, vcc_lo
	v_ashrrev_i32_e32 v7, 31, v6
	s_waitcnt vmcnt(9)
	global_store_b128 v[2:3], v[88:91], off
	s_waitcnt vmcnt(8)
	global_store_b128 v[0:1], v[158:161], off
	;; [unrolled: 2-line block ×3, first 2 shown]
	v_add_nc_u32_e32 v4, s8, v8
	v_ashrrev_i32_e32 v9, 31, v8
	v_lshlrev_b64 v[2:3], 4, v[6:7]
	s_delay_alu instid0(VALU_DEP_3) | instskip(NEXT) | instid1(VALU_DEP_3)
	v_add_nc_u32_e32 v6, s8, v4
	v_lshlrev_b64 v[0:1], 4, v[8:9]
	v_ashrrev_i32_e32 v5, 31, v4
	s_delay_alu instid0(VALU_DEP_4)
	v_add_co_u32 v2, vcc_lo, v148, v2
	v_add_co_ci_u32_e32 v3, vcc_lo, v149, v3, vcc_lo
	v_add_nc_u32_e32 v8, s8, v6
	v_add_co_u32 v0, vcc_lo, v148, v0
	v_add_co_ci_u32_e32 v1, vcc_lo, v149, v1, vcc_lo
	v_ashrrev_i32_e32 v7, 31, v6
	s_waitcnt vmcnt(6)
	global_store_b128 v[2:3], v[76:79], off
	v_lshlrev_b64 v[2:3], 4, v[4:5]
	v_ashrrev_i32_e32 v9, 31, v8
	v_add_nc_u32_e32 v4, s8, v8
	s_waitcnt vmcnt(5)
	global_store_b128 v[0:1], v[56:59], off
	v_lshlrev_b64 v[0:1], 4, v[6:7]
	v_lshlrev_b64 v[6:7], 4, v[8:9]
	v_add_nc_u32_e32 v8, s8, v4
	v_ashrrev_i32_e32 v5, 31, v4
	v_add_co_u32 v2, vcc_lo, v148, v2
	v_add_co_ci_u32_e32 v3, vcc_lo, v149, v3, vcc_lo
	s_delay_alu instid0(VALU_DEP_4)
	v_ashrrev_i32_e32 v9, 31, v8
	v_add_co_u32 v0, vcc_lo, v148, v0
	v_lshlrev_b64 v[4:5], 4, v[4:5]
	v_add_co_ci_u32_e32 v1, vcc_lo, v149, v1, vcc_lo
	v_add_co_u32 v6, vcc_lo, v148, v6
	v_lshlrev_b64 v[8:9], 4, v[8:9]
	v_add_co_ci_u32_e32 v7, vcc_lo, v149, v7, vcc_lo
	v_add_co_u32 v4, vcc_lo, v148, v4
	v_add_co_ci_u32_e32 v5, vcc_lo, v149, v5, vcc_lo
	s_delay_alu instid0(VALU_DEP_4)
	v_add_co_u32 v8, vcc_lo, v148, v8
	v_add_co_ci_u32_e32 v9, vcc_lo, v149, v9, vcc_lo
	s_waitcnt vmcnt(4)
	global_store_b128 v[2:3], v[60:63], off
	s_waitcnt vmcnt(3)
	global_store_b128 v[0:1], v[40:43], off
	;; [unrolled: 2-line block ×5, first 2 shown]
.LBB124_1459:
	s_nop 0
	s_sendmsg sendmsg(MSG_DEALLOC_VGPRS)
	s_endpgm
	.section	.rodata,"a",@progbits
	.p2align	6, 0x0
	.amdhsa_kernel _ZN9rocsolver6v33100L18getf2_small_kernelILi63E19rocblas_complex_numIdEiiPKPS3_EEvT1_T3_lS7_lPS7_llPT2_S7_S7_S9_l
		.amdhsa_group_segment_fixed_size 0
		.amdhsa_private_segment_fixed_size 1024
		.amdhsa_kernarg_size 352
		.amdhsa_user_sgpr_count 14
		.amdhsa_user_sgpr_dispatch_ptr 0
		.amdhsa_user_sgpr_queue_ptr 0
		.amdhsa_user_sgpr_kernarg_segment_ptr 1
		.amdhsa_user_sgpr_dispatch_id 0
		.amdhsa_user_sgpr_private_segment_size 0
		.amdhsa_wavefront_size32 1
		.amdhsa_uses_dynamic_stack 0
		.amdhsa_enable_private_segment 1
		.amdhsa_system_sgpr_workgroup_id_x 1
		.amdhsa_system_sgpr_workgroup_id_y 1
		.amdhsa_system_sgpr_workgroup_id_z 0
		.amdhsa_system_sgpr_workgroup_info 0
		.amdhsa_system_vgpr_workitem_id 1
		.amdhsa_next_free_vgpr 256
		.amdhsa_next_free_sgpr 72
		.amdhsa_reserve_vcc 1
		.amdhsa_float_round_mode_32 0
		.amdhsa_float_round_mode_16_64 0
		.amdhsa_float_denorm_mode_32 3
		.amdhsa_float_denorm_mode_16_64 3
		.amdhsa_dx10_clamp 1
		.amdhsa_ieee_mode 1
		.amdhsa_fp16_overflow 0
		.amdhsa_workgroup_processor_mode 1
		.amdhsa_memory_ordered 1
		.amdhsa_forward_progress 0
		.amdhsa_shared_vgpr_count 0
		.amdhsa_exception_fp_ieee_invalid_op 0
		.amdhsa_exception_fp_denorm_src 0
		.amdhsa_exception_fp_ieee_div_zero 0
		.amdhsa_exception_fp_ieee_overflow 0
		.amdhsa_exception_fp_ieee_underflow 0
		.amdhsa_exception_fp_ieee_inexact 0
		.amdhsa_exception_int_div_zero 0
	.end_amdhsa_kernel
	.section	.text._ZN9rocsolver6v33100L18getf2_small_kernelILi63E19rocblas_complex_numIdEiiPKPS3_EEvT1_T3_lS7_lPS7_llPT2_S7_S7_S9_l,"axG",@progbits,_ZN9rocsolver6v33100L18getf2_small_kernelILi63E19rocblas_complex_numIdEiiPKPS3_EEvT1_T3_lS7_lPS7_llPT2_S7_S7_S9_l,comdat
.Lfunc_end124:
	.size	_ZN9rocsolver6v33100L18getf2_small_kernelILi63E19rocblas_complex_numIdEiiPKPS3_EEvT1_T3_lS7_lPS7_llPT2_S7_S7_S9_l, .Lfunc_end124-_ZN9rocsolver6v33100L18getf2_small_kernelILi63E19rocblas_complex_numIdEiiPKPS3_EEvT1_T3_lS7_lPS7_llPT2_S7_S7_S9_l
                                        ; -- End function
	.section	.AMDGPU.csdata,"",@progbits
; Kernel info:
; codeLenInByte = 137656
; NumSgprs: 74
; NumVgprs: 256
; ScratchSize: 1024
; MemoryBound: 0
; FloatMode: 240
; IeeeMode: 1
; LDSByteSize: 0 bytes/workgroup (compile time only)
; SGPRBlocks: 9
; VGPRBlocks: 31
; NumSGPRsForWavesPerEU: 74
; NumVGPRsForWavesPerEU: 256
; Occupancy: 5
; WaveLimiterHint : 1
; COMPUTE_PGM_RSRC2:SCRATCH_EN: 1
; COMPUTE_PGM_RSRC2:USER_SGPR: 14
; COMPUTE_PGM_RSRC2:TRAP_HANDLER: 0
; COMPUTE_PGM_RSRC2:TGID_X_EN: 1
; COMPUTE_PGM_RSRC2:TGID_Y_EN: 1
; COMPUTE_PGM_RSRC2:TGID_Z_EN: 0
; COMPUTE_PGM_RSRC2:TIDIG_COMP_CNT: 1
	.section	.text._ZN9rocsolver6v33100L23getf2_npvt_small_kernelILi63E19rocblas_complex_numIdEiiPKPS3_EEvT1_T3_lS7_lPT2_S7_S7_,"axG",@progbits,_ZN9rocsolver6v33100L23getf2_npvt_small_kernelILi63E19rocblas_complex_numIdEiiPKPS3_EEvT1_T3_lS7_lPT2_S7_S7_,comdat
	.globl	_ZN9rocsolver6v33100L23getf2_npvt_small_kernelILi63E19rocblas_complex_numIdEiiPKPS3_EEvT1_T3_lS7_lPT2_S7_S7_ ; -- Begin function _ZN9rocsolver6v33100L23getf2_npvt_small_kernelILi63E19rocblas_complex_numIdEiiPKPS3_EEvT1_T3_lS7_lPT2_S7_S7_
	.p2align	8
	.type	_ZN9rocsolver6v33100L23getf2_npvt_small_kernelILi63E19rocblas_complex_numIdEiiPKPS3_EEvT1_T3_lS7_lPT2_S7_S7_,@function
_ZN9rocsolver6v33100L23getf2_npvt_small_kernelILi63E19rocblas_complex_numIdEiiPKPS3_EEvT1_T3_lS7_lPT2_S7_S7_: ; @_ZN9rocsolver6v33100L23getf2_npvt_small_kernelILi63E19rocblas_complex_numIdEiiPKPS3_EEvT1_T3_lS7_lPT2_S7_S7_
; %bb.0:
	s_clause 0x1
	s_load_b32 s2, s[0:1], 0x44
	s_load_b64 s[10:11], s[0:1], 0x30
	v_bfe_u32 v132, v0, 10, 10
	s_waitcnt lgkmcnt(0)
	s_lshr_b32 s8, s2, 16
	s_mov_b32 s2, exec_lo
	s_delay_alu instid0(VALU_DEP_1) | instskip(NEXT) | instid1(VALU_DEP_1)
	v_mad_u64_u32 v[1:2], null, s15, s8, v[132:133]
	v_cmpx_gt_i32_e64 s10, v1
	s_cbranch_execz .LBB125_705
; %bb.1:
	s_clause 0x1
	s_load_b128 s[4:7], s[0:1], 0x8
	s_load_b32 s2, s[0:1], 0x18
	v_ashrrev_i32_e32 v2, 31, v1
	v_and_b32_e32 v253, 0x3ff, v0
	s_movk_i32 s9, 0x90
	s_movk_i32 s10, 0xa0
	;; [unrolled: 1-line block ×3, first 2 shown]
	scratch_store_b64 off, v[1:2], off offset:1732 ; 8-byte Folded Spill
	v_lshlrev_b64 v[1:2], 3, v[1:2]
	v_lshlrev_b32_e32 v181, 4, v253
	s_movk_i32 s13, 0xc0
	s_movk_i32 s14, 0xd0
	;; [unrolled: 1-line block ×10, first 2 shown]
	s_waitcnt lgkmcnt(0)
	v_add_co_u32 v1, vcc_lo, s4, v1
	v_add_co_ci_u32_e32 v2, vcc_lo, s5, v2, vcc_lo
	v_add3_u32 v3, s2, s2, v253
	s_lshl_b64 s[4:5], s[6:7], 4
	s_ashr_i32 s3, s2, 31
	global_load_b64 v[1:2], v[1:2], off
	s_movk_i32 s6, 0x60
	v_add_nc_u32_e32 v5, s2, v3
	v_ashrrev_i32_e32 v4, 31, v3
	s_movk_i32 s7, 0x70
	s_movk_i32 s23, 0x160
	;; [unrolled: 1-line block ×3, first 2 shown]
	v_add_nc_u32_e32 v7, s2, v5
	v_lshlrev_b64 v[3:4], 4, v[3:4]
	v_ashrrev_i32_e32 v6, 31, v5
	s_movk_i32 s25, 0x180
	s_movk_i32 s26, 0x190
	v_add_nc_u32_e32 v9, s2, v7
	v_ashrrev_i32_e32 v8, 31, v7
	v_lshlrev_b64 v[31:32], 4, v[5:6]
	s_movk_i32 s27, 0x1a0
	s_movk_i32 s28, 0x1b0
	v_add_nc_u32_e32 v11, s2, v9
	v_lshlrev_b64 v[35:36], 4, v[7:8]
	v_ashrrev_i32_e32 v10, 31, v9
	s_movk_i32 s29, 0x1c0
	s_movk_i32 s30, 0x1d0
	v_add_nc_u32_e32 v13, s2, v11
	v_ashrrev_i32_e32 v12, 31, v11
	v_lshlrev_b64 v[37:38], 4, v[9:10]
	s_movk_i32 s31, 0x1e0
	s_movk_i32 s33, 0x1f0
	v_add_nc_u32_e32 v15, s2, v13
	v_ashrrev_i32_e32 v14, 31, v13
	v_lshlrev_b64 v[41:42], 4, v[11:12]
	;; [unrolled: 5-line block ×4, first 2 shown]
	s_movk_i32 s38, 0x240
	s_movk_i32 s39, 0x250
	v_add_nc_u32_e32 v21, s2, v19
	v_lshlrev_b64 v[16:17], 4, v[17:18]
	v_ashrrev_i32_e32 v20, 31, v19
	s_movk_i32 s40, 0x260
	s_movk_i32 s41, 0x270
	v_add_nc_u32_e32 v23, s2, v21
	v_ashrrev_i32_e32 v22, 31, v21
	v_lshlrev_b64 v[45:46], 4, v[19:20]
	s_movk_i32 s42, 0x280
	s_movk_i32 s43, 0x290
	v_add_nc_u32_e32 v25, s2, v23
	v_ashrrev_i32_e32 v24, 31, v23
	v_lshlrev_b64 v[20:21], 4, v[21:22]
	;; [unrolled: 5-line block ×3, first 2 shown]
	s_movk_i32 s46, 0x2c0
	s_movk_i32 s47, 0x2d0
	v_add_nc_u32_e32 v29, s2, v27
	v_lshlrev_b64 v[24:25], 4, v[25:26]
	v_ashrrev_i32_e32 v28, 31, v27
	s_movk_i32 s48, 0x2e0
	s_movk_i32 s49, 0x2f0
	v_add_nc_u32_e32 v0, s2, v29
	v_ashrrev_i32_e32 v30, 31, v29
	v_lshlrev_b64 v[53:54], 4, v[27:28]
	s_movk_i32 s50, 0x300
	s_movk_i32 s51, 0x310
	v_add_nc_u32_e32 v33, s2, v0
	v_lshlrev_b64 v[55:56], 4, v[29:30]
	s_movk_i32 s52, 0x320
	s_movk_i32 s53, 0x330
	s_movk_i32 s54, 0x340
	v_add_nc_u32_e32 v39, s2, v33
	v_ashrrev_i32_e32 v34, 31, v33
	s_movk_i32 s55, 0x350
	s_movk_i32 s56, 0x360
	;; [unrolled: 1-line block ×3, first 2 shown]
	v_add_nc_u32_e32 v14, s2, v39
	v_ashrrev_i32_e32 v40, 31, v39
	v_lshlrev_b64 v[33:34], 4, v[33:34]
	s_movk_i32 s58, 0x380
	s_movk_i32 s59, 0x390
	v_add_nc_u32_e32 v18, s2, v14
	v_ashrrev_i32_e32 v15, 31, v14
	v_lshlrev_b64 v[39:40], 4, v[39:40]
	s_movk_i32 s60, 0x3a0
	s_movk_i32 s61, 0x3b0
	;; [unrolled: 5-line block ×3, first 2 shown]
	v_add_nc_u32_e32 v26, s2, v22
	v_ashrrev_i32_e32 v23, 31, v22
	v_lshlrev_b64 v[18:19], 4, v[18:19]
	s_movk_i32 s64, 0x3e0
	s_delay_alu instid0(VALU_DEP_3) | instskip(SKIP_2) | instid1(VALU_DEP_3)
	v_add_nc_u32_e32 v49, s2, v26
	v_ashrrev_i32_e32 v27, 31, v26
	v_lshlrev_b64 v[22:23], 4, v[22:23]
	v_add_nc_u32_e32 v51, s2, v49
	v_ashrrev_i32_e32 v50, 31, v49
	s_delay_alu instid0(VALU_DEP_4) | instskip(NEXT) | instid1(VALU_DEP_3)
	v_lshlrev_b64 v[26:27], 4, v[26:27]
	v_add_nc_u32_e32 v28, s2, v51
	v_ashrrev_i32_e32 v52, 31, v51
	s_delay_alu instid0(VALU_DEP_4) | instskip(NEXT) | instid1(VALU_DEP_3)
	v_lshlrev_b64 v[49:50], 4, v[49:50]
	v_ashrrev_i32_e32 v29, 31, v28
	s_delay_alu instid0(VALU_DEP_3) | instskip(SKIP_4) | instid1(VALU_DEP_3)
	v_lshlrev_b64 v[51:52], 4, v[51:52]
	s_waitcnt vmcnt(0)
	v_add_co_u32 v133, vcc_lo, v1, s4
	v_add_co_ci_u32_e32 v134, vcc_lo, s5, v2, vcc_lo
	v_ashrrev_i32_e32 v1, 31, v0
	v_add_co_u32 v2, vcc_lo, v133, v3
	s_delay_alu instid0(VALU_DEP_3) | instskip(NEXT) | instid1(VALU_DEP_3)
	v_add_co_ci_u32_e32 v3, vcc_lo, v134, v4, vcc_lo
	v_lshlrev_b64 v[57:58], 4, v[0:1]
	s_lshl_b64 s[4:5], s[2:3], 4
	v_cmp_ne_u32_e64 s3, 0, v253
	scratch_store_b64 off, v[2:3], off offset:1200 ; 8-byte Folded Spill
	global_load_b128 v[4:7], v[2:3], off
	v_add_co_u32 v2, vcc_lo, v133, v31
	v_add_nc_u32_e32 v31, s2, v28
	v_add_co_ci_u32_e32 v3, vcc_lo, v134, v32, vcc_lo
	v_add_co_u32 v0, vcc_lo, v133, v35
	s_delay_alu instid0(VALU_DEP_3) | instskip(SKIP_2) | instid1(VALU_DEP_3)
	v_add_nc_u32_e32 v59, s2, v31
	v_add_co_ci_u32_e32 v1, vcc_lo, v134, v36, vcc_lo
	v_add_co_u32 v100, vcc_lo, v133, v37
	v_add_nc_u32_e32 v35, s2, v59
	v_add_co_ci_u32_e32 v101, vcc_lo, v134, v38, vcc_lo
	v_add_co_u32 v98, vcc_lo, v133, v41
	s_delay_alu instid0(VALU_DEP_3) | instskip(SKIP_3) | instid1(VALU_DEP_4)
	v_add_nc_u32_e32 v61, s2, v35
	v_ashrrev_i32_e32 v32, 31, v31
	v_add_co_ci_u32_e32 v99, vcc_lo, v134, v42, vcc_lo
	v_add_co_u32 v96, vcc_lo, v133, v12
	v_add_nc_u32_e32 v30, s2, v61
	v_add_co_ci_u32_e32 v97, vcc_lo, v134, v13, vcc_lo
	v_lshlrev_b64 v[69:70], 4, v[31:32]
	v_ashrrev_i32_e32 v36, 31, v35
	s_delay_alu instid0(VALU_DEP_4)
	v_add_nc_u32_e32 v63, s2, v30
	v_ashrrev_i32_e32 v31, 31, v30
	v_lshlrev_b64 v[28:29], 4, v[28:29]
	v_ashrrev_i32_e32 v60, 31, v59
	v_lshlrev_b64 v[71:72], 4, v[35:36]
	v_add_nc_u32_e32 v65, s2, v63
	v_lshlrev_b64 v[73:74], 4, v[30:31]
	v_ashrrev_i32_e32 v64, 31, v63
	global_load_b128 v[8:11], v[2:3], off
	v_lshlrev_b64 v[59:60], 4, v[59:60]
	v_add_nc_u32_e32 v67, s2, v65
	v_ashrrev_i32_e32 v66, 31, v65
	v_lshlrev_b64 v[88:89], 4, v[63:64]
	v_ashrrev_i32_e32 v62, 31, v61
	s_clause 0x2
	scratch_store_b64 off, v[100:101], off offset:1424
	scratch_store_b64 off, v[98:99], off offset:1416
	scratch_store_b64 off, v[96:97], off offset:1408
	v_ashrrev_i32_e32 v68, 31, v67
	v_add_nc_u32_e32 v124, s2, v67
	v_lshlrev_b64 v[104:105], 4, v[65:66]
	v_lshlrev_b64 v[61:62], 4, v[61:62]
	s_delay_alu instid0(VALU_DEP_4)
	v_lshlrev_b64 v[120:121], 4, v[67:68]
	v_add_co_u32 v67, vcc_lo, v133, v43
	v_add_co_ci_u32_e32 v68, vcc_lo, v134, v44, vcc_lo
	v_add_co_u32 v65, vcc_lo, v133, v16
	v_add_co_ci_u32_e32 v66, vcc_lo, v134, v17, vcc_lo
	;; [unrolled: 2-line block ×19, first 2 shown]
	global_load_b128 v[12:15], v[100:101], off
	v_add_co_u32 v100, vcc_lo, v133, v59
	v_add_co_ci_u32_e32 v101, vcc_lo, v134, v60, vcc_lo
	v_add_co_u32 v106, vcc_lo, v133, v71
	v_add_co_ci_u32_e32 v107, vcc_lo, v134, v72, vcc_lo
	v_add_co_u32 v108, vcc_lo, v133, v61
	s_clause 0x1
	scratch_store_b64 off, v[0:1], off offset:1280
	scratch_store_b64 off, v[86:87], off offset:1288
	v_add_co_ci_u32_e32 v109, vcc_lo, v134, v62, vcc_lo
	scratch_store_b64 off, v[36:37], off offset:1360 ; 8-byte Folded Spill
	global_load_b128 v[36:39], v[36:37], off
	s_clause 0x3
	scratch_store_b64 off, v[78:79], off offset:1216
	scratch_store_b64 off, v[84:85], off offset:1224
	;; [unrolled: 1-line block ×4, first 2 shown]
	global_load_b128 v[0:3], v[0:1], off
	v_add_co_u32 v110, vcc_lo, v133, v73
	v_ashrrev_i32_e32 v125, 31, v124
	s_clause 0x3
	global_load_b128 v[16:19], v[98:99], off
	global_load_b128 v[20:23], v[96:97], off
	;; [unrolled: 1-line block ×4, first 2 shown]
	v_add_co_ci_u32_e32 v111, vcc_lo, v134, v74, vcc_lo
	s_clause 0x2
	scratch_store_b64 off, v[67:68], off offset:1392
	scratch_store_b64 off, v[65:66], off offset:1384
	scratch_store_b64 off, v[30:31], off offset:1376
	global_load_b128 v[28:31], v[30:31], off
	v_add_co_u32 v116, vcc_lo, v133, v88
	s_clause 0x1
	scratch_store_b64 off, v[41:42], off offset:1352
	scratch_store_b64 off, v[46:47], off offset:1344
	s_clause 0x1
	global_load_b128 v[40:43], v[41:42], off
	global_load_b128 v[48:51], v[46:47], off
	s_clause 0x3
	scratch_store_b64 off, v[44:45], off offset:1328
	scratch_store_b64 off, v[106:107], off offset:1336
	scratch_store_b64 off, v[53:54], off offset:1320
	scratch_store_b64 off, v[56:57], off offset:1312
	s_clause 0x1
	global_load_b128 v[52:55], v[53:54], off
	global_load_b128 v[44:47], v[44:45], off
	v_add_co_ci_u32_e32 v117, vcc_lo, v134, v89, vcc_lo
	v_lshlrev_b64 v[125:126], 4, v[124:125]
	global_load_b128 v[56:59], v[56:57], off
	v_add_co_u32 v122, vcc_lo, v133, v104
	s_clause 0x1
	scratch_store_b64 off, v[63:64], off offset:1296
	scratch_store_b64 off, v[100:101], off offset:1304
	s_clause 0x4
	global_load_b128 v[64:67], v[63:64], off
	global_load_b128 v[60:63], v[86:87], off
	;; [unrolled: 1-line block ×5, first 2 shown]
	v_add_co_ci_u32_e32 v123, vcc_lo, v134, v105, vcc_lo
	scratch_store_b64 off, v[76:77], off offset:1208 ; 8-byte Folded Spill
	global_load_b128 v[84:87], v[84:85], off
	s_clause 0x3
	scratch_store_b64 off, v[90:91], off offset:1248
	scratch_store_b64 off, v[92:93], off offset:1256
	;; [unrolled: 1-line block ×4, first 2 shown]
	s_clause 0x2
	global_load_b128 v[80:83], v[76:77], off
	global_load_b128 v[76:79], v[78:79], off
	global_load_b128 v[88:91], v[90:91], off
	v_add_co_u32 v127, vcc_lo, v133, v120
	s_clause 0x1
	global_load_b128 v[92:95], v[94:95], off
	global_load_b128 v[100:103], v[100:101], off
	v_add_co_ci_u32_e32 v128, vcc_lo, v134, v121, vcc_lo
	s_clause 0x1
	global_load_b128 v[104:107], v[106:107], off
	global_load_b128 v[112:115], v[108:109], off
	v_add_co_u32 v129, vcc_lo, v133, v125
	s_clause 0x1
	scratch_store_b64 off, v[108:109], off offset:1368
	scratch_store_b64 off, v[110:111], off offset:1400
	global_load_b128 v[108:111], v[110:111], off
	s_clause 0x1
	scratch_store_b64 off, v[116:117], off offset:1432
	scratch_store_b64 off, v[122:123], off offset:1440
	global_load_b128 v[116:119], v[116:117], off
	v_add_co_ci_u32_e32 v130, vcc_lo, v134, v126, vcc_lo
	scratch_store_b64 off, v[127:128], off offset:1448 ; 8-byte Folded Spill
	global_load_b128 v[120:123], v[122:123], off
	v_add_nc_u32_e32 v135, s2, v124
	global_load_b128 v[124:127], v[127:128], off
	scratch_store_b64 off, v[129:130], off offset:1456 ; 8-byte Folded Spill
	global_load_b128 v[128:131], v[129:130], off
	v_add_nc_u32_e32 v137, s2, v135
	v_ashrrev_i32_e32 v136, 31, v135
	s_delay_alu instid0(VALU_DEP_2) | instskip(SKIP_1) | instid1(VALU_DEP_3)
	v_add_nc_u32_e32 v139, s2, v137
	v_ashrrev_i32_e32 v138, 31, v137
	v_lshlrev_b64 v[135:136], 4, v[135:136]
	s_delay_alu instid0(VALU_DEP_3) | instskip(SKIP_1) | instid1(VALU_DEP_4)
	v_add_nc_u32_e32 v141, s2, v139
	v_ashrrev_i32_e32 v140, 31, v139
	v_lshlrev_b64 v[137:138], 4, v[137:138]
	s_delay_alu instid0(VALU_DEP_4) | instskip(NEXT) | instid1(VALU_DEP_4)
	v_add_co_u32 v135, vcc_lo, v133, v135
	v_add_nc_u32_e32 v143, s2, v141
	v_ashrrev_i32_e32 v142, 31, v141
	v_lshlrev_b64 v[139:140], 4, v[139:140]
	v_add_co_ci_u32_e32 v136, vcc_lo, v134, v136, vcc_lo
	s_delay_alu instid0(VALU_DEP_4) | instskip(SKIP_3) | instid1(VALU_DEP_4)
	v_add_nc_u32_e32 v145, s2, v143
	v_ashrrev_i32_e32 v144, 31, v143
	v_lshlrev_b64 v[141:142], 4, v[141:142]
	v_add_co_u32 v137, vcc_lo, v133, v137
	v_add_nc_u32_e32 v147, s2, v145
	v_ashrrev_i32_e32 v146, 31, v145
	v_add_co_ci_u32_e32 v138, vcc_lo, v134, v138, vcc_lo
	v_lshlrev_b64 v[143:144], 4, v[143:144]
	s_delay_alu instid0(VALU_DEP_4) | instskip(SKIP_3) | instid1(VALU_DEP_4)
	v_add_nc_u32_e32 v149, s2, v147
	v_add_co_u32 v139, vcc_lo, v133, v139
	v_ashrrev_i32_e32 v148, 31, v147
	v_add_co_ci_u32_e32 v140, vcc_lo, v134, v140, vcc_lo
	v_add_nc_u32_e32 v151, s2, v149
	v_lshlrev_b64 v[145:146], 4, v[145:146]
	v_add_co_u32 v141, vcc_lo, v133, v141
	v_ashrrev_i32_e32 v150, 31, v149
	s_delay_alu instid0(VALU_DEP_4) | instskip(SKIP_3) | instid1(VALU_DEP_4)
	v_add_nc_u32_e32 v153, s2, v151
	v_add_co_ci_u32_e32 v142, vcc_lo, v134, v142, vcc_lo
	v_lshlrev_b64 v[147:148], 4, v[147:148]
	v_add_co_u32 v143, vcc_lo, v133, v143
	v_add_nc_u32_e32 v155, s2, v153
	v_ashrrev_i32_e32 v152, 31, v151
	v_add_co_ci_u32_e32 v144, vcc_lo, v134, v144, vcc_lo
	v_lshlrev_b64 v[149:150], 4, v[149:150]
	s_delay_alu instid0(VALU_DEP_4) | instskip(SKIP_3) | instid1(VALU_DEP_4)
	v_add_nc_u32_e32 v157, s2, v155
	v_add_co_u32 v145, vcc_lo, v133, v145
	v_ashrrev_i32_e32 v154, 31, v153
	v_add_co_ci_u32_e32 v146, vcc_lo, v134, v146, vcc_lo
	v_add_nc_u32_e32 v159, s2, v157
	v_lshlrev_b64 v[151:152], 4, v[151:152]
	v_add_co_u32 v147, vcc_lo, v133, v147
	v_ashrrev_i32_e32 v156, 31, v155
	s_delay_alu instid0(VALU_DEP_4) | instskip(SKIP_3) | instid1(VALU_DEP_4)
	v_add_nc_u32_e32 v161, s2, v159
	v_add_co_ci_u32_e32 v148, vcc_lo, v134, v148, vcc_lo
	v_lshlrev_b64 v[153:154], 4, v[153:154]
	v_add_co_u32 v149, vcc_lo, v133, v149
	v_add_nc_u32_e32 v163, s2, v161
	v_ashrrev_i32_e32 v158, 31, v157
	v_add_co_ci_u32_e32 v150, vcc_lo, v134, v150, vcc_lo
	v_lshlrev_b64 v[155:156], 4, v[155:156]
	s_delay_alu instid0(VALU_DEP_4) | instskip(SKIP_3) | instid1(VALU_DEP_4)
	v_add_nc_u32_e32 v165, s2, v163
	v_add_co_u32 v151, vcc_lo, v133, v151
	v_ashrrev_i32_e32 v160, 31, v159
	v_add_co_ci_u32_e32 v152, vcc_lo, v134, v152, vcc_lo
	v_add_nc_u32_e32 v167, s2, v165
	v_ashrrev_i32_e32 v166, 31, v165
	v_lshlrev_b64 v[157:158], 4, v[157:158]
	v_add_co_u32 v153, vcc_lo, v133, v153
	s_delay_alu instid0(VALU_DEP_4) | instskip(SKIP_3) | instid1(VALU_DEP_4)
	v_add_nc_u32_e32 v169, s2, v167
	v_ashrrev_i32_e32 v168, 31, v167
	v_ashrrev_i32_e32 v162, 31, v161
	v_add_co_ci_u32_e32 v154, vcc_lo, v134, v154, vcc_lo
	v_add_nc_u32_e32 v171, s2, v169
	v_lshlrev_b64 v[159:160], 4, v[159:160]
	v_add_co_u32 v155, vcc_lo, v133, v155
	v_ashrrev_i32_e32 v164, 31, v163
	s_delay_alu instid0(VALU_DEP_4)
	v_add_nc_u32_e32 v173, s2, v171
	s_waitcnt vmcnt(32)
	scratch_store_b128 off, v[4:7], off offset:32
	v_lshlrev_b64 v[6:7], 4, v[165:166]
	v_lshlrev_b64 v[165:166], 4, v[167:168]
	v_add_co_ci_u32_e32 v156, vcc_lo, v134, v156, vcc_lo
	v_add_nc_u32_e32 v175, s2, v173
	v_ashrrev_i32_e32 v174, 31, v173
	v_lshlrev_b64 v[161:162], 4, v[161:162]
	v_add_co_u32 v157, vcc_lo, v133, v157
	s_delay_alu instid0(VALU_DEP_4) | instskip(SKIP_3) | instid1(VALU_DEP_4)
	v_add_nc_u32_e32 v177, s2, v175
	v_add_co_ci_u32_e32 v158, vcc_lo, v134, v158, vcc_lo
	v_lshlrev_b64 v[163:164], 4, v[163:164]
	v_add_co_u32 v159, vcc_lo, v133, v159
	v_add_nc_u32_e32 v179, s2, v177
	v_add_co_ci_u32_e32 v160, vcc_lo, v134, v160, vcc_lo
	v_add_co_u32 v161, vcc_lo, v133, v161
	s_delay_alu instid0(VALU_DEP_3) | instskip(SKIP_3) | instid1(VALU_DEP_4)
	v_add_nc_u32_e32 v4, s2, v179
	v_ashrrev_i32_e32 v170, 31, v169
	v_add_co_ci_u32_e32 v162, vcc_lo, v134, v162, vcc_lo
	v_add_co_u32 v163, vcc_lo, v133, v163
	v_add_nc_u32_e32 v167, s2, v4
	v_ashrrev_i32_e32 v5, 31, v4
	v_ashrrev_i32_e32 v172, 31, v171
	v_add_co_ci_u32_e32 v164, vcc_lo, v134, v164, vcc_lo
	s_delay_alu instid0(VALU_DEP_4) | instskip(SKIP_1) | instid1(VALU_DEP_4)
	v_ashrrev_i32_e32 v168, 31, v167
	v_lshlrev_b64 v[169:170], 4, v[169:170]
	v_lshlrev_b64 v[171:172], 4, v[171:172]
	v_ashrrev_i32_e32 v176, 31, v175
	v_ashrrev_i32_e32 v178, 31, v177
	s_waitcnt vmcnt(31)
	scratch_store_b128 off, v[8:11], off offset:48
	v_add_nc_u32_e32 v8, s2, v167
	v_lshlrev_b64 v[10:11], 4, v[173:174]
	v_lshlrev_b64 v[175:176], 4, v[175:176]
	v_ashrrev_i32_e32 v180, 31, v179
	v_lshlrev_b64 v[177:178], 4, v[177:178]
	v_add_nc_u32_e32 v173, s2, v8
	v_ashrrev_i32_e32 v9, 31, v8
	s_delay_alu instid0(VALU_DEP_4) | instskip(NEXT) | instid1(VALU_DEP_3)
	v_lshlrev_b64 v[179:180], 4, v[179:180]
	v_ashrrev_i32_e32 v174, 31, v173
	s_delay_alu instid0(VALU_DEP_3)
	v_lshlrev_b64 v[8:9], 4, v[8:9]
	s_waitcnt vmcnt(28)
	scratch_store_b128 off, v[0:3], off offset:64
	v_add_nc_u32_e32 v0, s2, v173
	v_lshlrev_b64 v[2:3], 4, v[4:5]
	v_lshlrev_b64 v[4:5], 4, v[167:168]
	v_lshlrev_b64 v[167:168], 4, v[173:174]
	v_add_co_u32 v173, vcc_lo, v133, v6
	v_add_co_ci_u32_e32 v174, vcc_lo, v134, v7, vcc_lo
	v_add_co_u32 v165, vcc_lo, v133, v165
	v_add_co_ci_u32_e32 v166, vcc_lo, v134, v166, vcc_lo
	;; [unrolled: 2-line block ×8, first 2 shown]
	v_add_co_u32 v184, vcc_lo, v133, v2
	v_ashrrev_i32_e32 v1, 31, v0
	v_add_co_ci_u32_e32 v185, vcc_lo, v134, v3, vcc_lo
	v_add_co_u32 v186, vcc_lo, v133, v4
	v_add_co_ci_u32_e32 v187, vcc_lo, v134, v5, vcc_lo
	s_delay_alu instid0(VALU_DEP_4)
	v_lshlrev_b64 v[0:1], 4, v[0:1]
	v_add_co_u32 v188, vcc_lo, v133, v8
	v_add_co_ci_u32_e32 v189, vcc_lo, v134, v9, vcc_lo
	v_add_co_u32 v167, vcc_lo, v133, v167
	v_add_co_ci_u32_e32 v168, vcc_lo, v134, v168, vcc_lo
	v_add_co_u32 v190, vcc_lo, v133, v0
	s_clause 0x1
	scratch_store_b128 off, v[12:15], off offset:80
	scratch_store_b64 off, v[135:136], off offset:1464
	v_add_co_ci_u32_e32 v191, vcc_lo, v134, v1, vcc_lo
	global_load_b128 v[0:3], v[135:136], off
	s_waitcnt vmcnt(28)
	scratch_store_b128 off, v[16:19], off offset:96
	s_waitcnt vmcnt(27)
	s_clause 0x1
	scratch_store_b128 off, v[20:23], off offset:112
	scratch_store_b64 off, v[137:138], off offset:1472
	s_clause 0x1
	global_load_b128 v[4:7], v[137:138], off
	global_load_b128 v[8:11], v[139:140], off
	scratch_store_b64 off, v[139:140], off offset:1480 ; 8-byte Folded Spill
	s_waitcnt vmcnt(28)
	scratch_store_b128 off, v[24:27], off offset:128
	s_waitcnt vmcnt(27)
	s_clause 0x1
	scratch_store_b128 off, v[32:35], off offset:144
	scratch_store_b64 off, v[141:142], off offset:1488
	s_clause 0x1
	global_load_b128 v[12:15], v[141:142], off
	global_load_b128 v[16:19], v[143:144], off
	scratch_store_b64 off, v[143:144], off offset:1496 ; 8-byte Folded Spill
	s_waitcnt vmcnt(28)
	s_clause 0x2
	scratch_store_b128 off, v[28:31], off offset:160
	scratch_store_b128 off, v[36:39], off offset:176
	scratch_store_b64 off, v[145:146], off offset:1504
	s_clause 0x1
	global_load_b128 v[20:23], v[145:146], off
	global_load_b128 v[24:27], v[147:148], off
	scratch_store_b64 off, v[147:148], off offset:1512 ; 8-byte Folded Spill
	s_waitcnt vmcnt(29)
	scratch_store_b128 off, v[40:43], off offset:192
	s_waitcnt vmcnt(28)
	s_clause 0x1
	scratch_store_b128 off, v[48:51], off offset:208
	scratch_store_b64 off, v[149:150], off offset:1520
	s_clause 0x1
	global_load_b128 v[28:31], v[149:150], off
	global_load_b128 v[32:35], v[151:152], off
	scratch_store_b64 off, v[151:152], off offset:1528 ; 8-byte Folded Spill
	s_waitcnt vmcnt(28)
	s_clause 0x2
	scratch_store_b128 off, v[44:47], off offset:224
	scratch_store_b128 off, v[52:55], off offset:240
	scratch_store_b64 off, v[153:154], off offset:1536
	s_clause 0x1
	global_load_b128 v[36:39], v[153:154], off
	global_load_b128 v[40:43], v[155:156], off
	scratch_store_b64 off, v[155:156], off offset:1544 ; 8-byte Folded Spill
	s_waitcnt vmcnt(29)
	scratch_store_b128 off, v[56:59], off offset:256
	s_waitcnt vmcnt(28)
	s_clause 0x1
	scratch_store_b128 off, v[64:67], off offset:272
	scratch_store_b64 off, v[157:158], off offset:1552
	s_clause 0x1
	global_load_b128 v[44:47], v[157:158], off
	global_load_b128 v[48:51], v[159:160], off
	scratch_store_b64 off, v[159:160], off offset:1560 ; 8-byte Folded Spill
	s_waitcnt vmcnt(29)
	scratch_store_b128 off, v[60:63], off offset:288
	s_waitcnt vmcnt(27)
	s_clause 0x1
	scratch_store_b128 off, v[68:71], off offset:304
	scratch_store_b64 off, v[161:162], off offset:1568
	v_add_co_u32 v133, vcc_lo, v133, v181
	s_clause 0x1
	global_load_b128 v[52:55], v[161:162], off
	global_load_b128 v[56:59], v[163:164], off
	scratch_store_b64 off, v[163:164], off offset:1576 ; 8-byte Folded Spill
	s_waitcnt vmcnt(28)
	scratch_store_b128 off, v[72:75], off offset:320
	s_waitcnt vmcnt(26)
	s_clause 0x1
	scratch_store_b128 off, v[80:83], off offset:336
	scratch_store_b64 off, v[173:174], off offset:1584
	s_clause 0x1
	global_load_b128 v[60:63], v[173:174], off
	global_load_b128 v[64:67], v[165:166], off
	scratch_store_b64 off, v[165:166], off offset:1592 ; 8-byte Folded Spill
	s_waitcnt vmcnt(27)
	s_clause 0x2
	scratch_store_b128 off, v[76:79], off offset:352
	scratch_store_b128 off, v[84:87], off offset:368
	scratch_store_b64 off, v[169:170], off offset:1600
	v_add_co_ci_u32_e32 v134, vcc_lo, 0, v134, vcc_lo
	s_clause 0x1
	global_load_b128 v[68:71], v[169:170], off
	global_load_b128 v[72:75], v[171:172], off
	scratch_store_b64 off, v[171:172], off offset:1608 ; 8-byte Folded Spill
	s_waitcnt vmcnt(28)
	s_clause 0x2
	scratch_store_b128 off, v[88:91], off offset:384
	scratch_store_b128 off, v[96:99], off offset:400
	scratch_store_b64 off, v[182:183], off offset:1616
	s_clause 0x1
	global_load_b128 v[76:79], v[182:183], off
	global_load_b128 v[80:83], v[175:176], off
	scratch_store_b64 off, v[175:176], off offset:1624 ; 8-byte Folded Spill
	s_waitcnt vmcnt(29)
	scratch_store_b128 off, v[92:95], off offset:416
	s_waitcnt vmcnt(28)
	s_clause 0x1
	scratch_store_b128 off, v[100:103], off offset:432
	scratch_store_b64 off, v[177:178], off offset:1632
	s_clause 0x1
	global_load_b128 v[84:87], v[177:178], off
	global_load_b128 v[88:91], v[179:180], off
	scratch_store_b64 off, v[179:180], off offset:1640 ; 8-byte Folded Spill
	s_waitcnt vmcnt(29)
	scratch_store_b128 off, v[104:107], off offset:448
	s_waitcnt vmcnt(28)
	s_clause 0x1
	;; [unrolled: 10-line block ×3, first 2 shown]
	scratch_store_b128 off, v[116:119], off offset:496
	scratch_store_b64 off, v[188:189], off offset:1664
	v_add_co_u32 v116, vcc_lo, v133, s4
	v_add_co_ci_u32_e32 v117, vcc_lo, s5, v134, vcc_lo
	s_clause 0x1
	global_load_b128 v[100:103], v[188:189], off
	global_load_b128 v[104:107], v[167:168], off
	scratch_store_b64 off, v[167:168], off offset:1672 ; 8-byte Folded Spill
	s_waitcnt vmcnt(29)
	s_clause 0x1
	scratch_store_b128 off, v[120:123], off offset:512
	scratch_store_b64 off, v[190:191], off offset:1680
	global_load_b128 v[108:111], v[190:191], off
	s_waitcnt vmcnt(29)
	scratch_store_b128 off, v[124:127], off offset:528
	s_waitcnt vmcnt(28)
	s_clause 0x1
	scratch_store_b128 off, v[128:131], off offset:544
	scratch_store_b64 off, v[133:134], off offset:1144
	global_load_b128 v[112:115], v[133:134], off
	scratch_store_b64 off, v[116:117], off offset:1688 ; 8-byte Folded Spill
	global_load_b128 v[116:119], v[116:117], off
	v_mul_u32_u24_e32 v184, 0x3f0, v132
	v_lshlrev_b32_e32 v120, 4, v132
	s_mul_i32 s2, s8, 0x3f0
	s_movk_i32 s5, 0x50
	s_movk_i32 s8, 0x80
	s_mov_b32 s4, 0
	v_add3_u32 v254, 0, s2, v120
	v_cmp_eq_u32_e64 s2, 0, v253
	s_waitcnt vmcnt(29)
	scratch_store_b128 off, v[0:3], off offset:560
	s_waitcnt vmcnt(28)
	scratch_store_b128 off, v[4:7], off offset:576
	;; [unrolled: 2-line block ×28, first 2 shown]
	v_add3_u32 v10, v184, 0, 16
	s_waitcnt vmcnt(1)
	scratch_store_b128 off, v[112:115], off
	s_waitcnt vmcnt(0)
	scratch_store_b128 off, v[116:119], off offset:16
	s_and_saveexec_b32 s65, s2
	s_cbranch_execz .LBB125_10
; %bb.2:
	scratch_load_b64 v[0:1], off, off offset:1144 ; 8-byte Folded Reload
	s_waitcnt vmcnt(0)
	global_load_b128 v[0:3], v[0:1], off
	s_waitcnt vmcnt(0)
	ds_store_2addr_b64 v254, v[0:1], v[2:3] offset1:1
.LBB125_3:                              ; =>This Inner Loop Header: Depth=1
	v_add_nc_u32_e64 v0, s4, 0
	v_add_nc_u32_e32 v8, s4, v10
	s_add_i32 s4, s4, 32
	s_delay_alu instid0(SALU_CYCLE_1) | instskip(NEXT) | instid1(VALU_DEP_2)
	s_cmpk_eq_i32 s4, 0x3e0
	v_add_nc_u32_e32 v1, 16, v0
	v_add_nc_u32_e32 v4, 32, v0
	s_clause 0x1
	scratch_load_b128 v[0:3], v1, off
	scratch_load_b128 v[4:7], v4, off
	s_waitcnt vmcnt(1)
	ds_store_2addr_b64 v8, v[0:1], v[2:3] offset1:1
	s_waitcnt vmcnt(0)
	ds_store_2addr_b64 v8, v[4:5], v[6:7] offset0:2 offset1:3
	s_cbranch_scc0 .LBB125_3
; %bb.4:
	ds_load_2addr_b64 v[0:3], v254 offset1:1
	s_waitcnt lgkmcnt(0)
	v_cmp_neq_f64_e32 vcc_lo, 0, v[0:1]
	v_cmp_neq_f64_e64 s4, 0, v[2:3]
	s_delay_alu instid0(VALU_DEP_1) | instskip(NEXT) | instid1(SALU_CYCLE_1)
	s_or_b32 s4, vcc_lo, s4
	s_and_b32 exec_lo, exec_lo, s4
	s_cbranch_execz .LBB125_10
; %bb.5:
	v_cmp_gt_f64_e32 vcc_lo, 0, v[0:1]
	v_cmp_gt_f64_e64 s4, 0, v[2:3]
	v_xor_b32_e32 v4, 0x80000000, v1
	v_xor_b32_e32 v6, 0x80000000, v3
                                        ; implicit-def: $vgpr8_vgpr9
	s_delay_alu instid0(VALU_DEP_2) | instskip(NEXT) | instid1(VALU_DEP_2)
	v_cndmask_b32_e32 v5, v1, v4, vcc_lo
	v_cndmask_b32_e64 v7, v3, v6, s4
	v_cndmask_b32_e32 v4, v0, v0, vcc_lo
	v_cndmask_b32_e64 v6, v2, v2, s4
	s_mov_b32 s4, exec_lo
	s_delay_alu instid0(VALU_DEP_1)
	v_cmpx_ngt_f64_e32 v[4:5], v[6:7]
	s_xor_b32 s4, exec_lo, s4
                                        ; implicit-def: $vgpr4_vgpr5_vgpr6_vgpr7
	s_cbranch_execz .LBB125_7
; %bb.6:
	v_div_scale_f64 v[4:5], null, v[2:3], v[2:3], v[0:1]
	v_div_scale_f64 v[11:12], vcc_lo, v[0:1], v[2:3], v[0:1]
	s_delay_alu instid0(VALU_DEP_2) | instskip(SKIP_2) | instid1(VALU_DEP_1)
	v_rcp_f64_e32 v[6:7], v[4:5]
	s_waitcnt_depctr 0xfff
	v_fma_f64 v[8:9], -v[4:5], v[6:7], 1.0
	v_fma_f64 v[6:7], v[6:7], v[8:9], v[6:7]
	s_delay_alu instid0(VALU_DEP_1) | instskip(NEXT) | instid1(VALU_DEP_1)
	v_fma_f64 v[8:9], -v[4:5], v[6:7], 1.0
	v_fma_f64 v[6:7], v[6:7], v[8:9], v[6:7]
	s_delay_alu instid0(VALU_DEP_1) | instskip(NEXT) | instid1(VALU_DEP_1)
	v_mul_f64 v[8:9], v[11:12], v[6:7]
	v_fma_f64 v[4:5], -v[4:5], v[8:9], v[11:12]
	s_delay_alu instid0(VALU_DEP_1) | instskip(NEXT) | instid1(VALU_DEP_1)
	v_div_fmas_f64 v[4:5], v[4:5], v[6:7], v[8:9]
	v_div_fixup_f64 v[4:5], v[4:5], v[2:3], v[0:1]
	s_delay_alu instid0(VALU_DEP_1) | instskip(NEXT) | instid1(VALU_DEP_1)
	v_fma_f64 v[0:1], v[0:1], v[4:5], v[2:3]
	v_div_scale_f64 v[2:3], null, v[0:1], v[0:1], 1.0
	s_delay_alu instid0(VALU_DEP_1) | instskip(SKIP_2) | instid1(VALU_DEP_1)
	v_rcp_f64_e32 v[6:7], v[2:3]
	s_waitcnt_depctr 0xfff
	v_fma_f64 v[8:9], -v[2:3], v[6:7], 1.0
	v_fma_f64 v[6:7], v[6:7], v[8:9], v[6:7]
	s_delay_alu instid0(VALU_DEP_1) | instskip(NEXT) | instid1(VALU_DEP_1)
	v_fma_f64 v[8:9], -v[2:3], v[6:7], 1.0
	v_fma_f64 v[6:7], v[6:7], v[8:9], v[6:7]
	v_div_scale_f64 v[8:9], vcc_lo, 1.0, v[0:1], 1.0
	s_delay_alu instid0(VALU_DEP_1) | instskip(NEXT) | instid1(VALU_DEP_1)
	v_mul_f64 v[11:12], v[8:9], v[6:7]
	v_fma_f64 v[2:3], -v[2:3], v[11:12], v[8:9]
	s_delay_alu instid0(VALU_DEP_1) | instskip(NEXT) | instid1(VALU_DEP_1)
	v_div_fmas_f64 v[2:3], v[2:3], v[6:7], v[11:12]
	v_div_fixup_f64 v[6:7], v[2:3], v[0:1], 1.0
                                        ; implicit-def: $vgpr0_vgpr1
	s_delay_alu instid0(VALU_DEP_1)
	v_mul_f64 v[8:9], v[4:5], v[6:7]
	v_xor_b32_e32 v7, 0x80000000, v7
.LBB125_7:
	s_and_not1_saveexec_b32 s4, s4
	s_cbranch_execz .LBB125_9
; %bb.8:
	v_div_scale_f64 v[4:5], null, v[0:1], v[0:1], v[2:3]
	v_div_scale_f64 v[11:12], vcc_lo, v[2:3], v[0:1], v[2:3]
	s_delay_alu instid0(VALU_DEP_2) | instskip(SKIP_2) | instid1(VALU_DEP_1)
	v_rcp_f64_e32 v[6:7], v[4:5]
	s_waitcnt_depctr 0xfff
	v_fma_f64 v[8:9], -v[4:5], v[6:7], 1.0
	v_fma_f64 v[6:7], v[6:7], v[8:9], v[6:7]
	s_delay_alu instid0(VALU_DEP_1) | instskip(NEXT) | instid1(VALU_DEP_1)
	v_fma_f64 v[8:9], -v[4:5], v[6:7], 1.0
	v_fma_f64 v[6:7], v[6:7], v[8:9], v[6:7]
	s_delay_alu instid0(VALU_DEP_1) | instskip(NEXT) | instid1(VALU_DEP_1)
	v_mul_f64 v[8:9], v[11:12], v[6:7]
	v_fma_f64 v[4:5], -v[4:5], v[8:9], v[11:12]
	s_delay_alu instid0(VALU_DEP_1) | instskip(NEXT) | instid1(VALU_DEP_1)
	v_div_fmas_f64 v[4:5], v[4:5], v[6:7], v[8:9]
	v_div_fixup_f64 v[4:5], v[4:5], v[0:1], v[2:3]
	s_delay_alu instid0(VALU_DEP_1) | instskip(NEXT) | instid1(VALU_DEP_1)
	v_fma_f64 v[0:1], v[2:3], v[4:5], v[0:1]
	v_div_scale_f64 v[2:3], null, v[0:1], v[0:1], 1.0
	s_delay_alu instid0(VALU_DEP_1) | instskip(SKIP_2) | instid1(VALU_DEP_1)
	v_rcp_f64_e32 v[6:7], v[2:3]
	s_waitcnt_depctr 0xfff
	v_fma_f64 v[8:9], -v[2:3], v[6:7], 1.0
	v_fma_f64 v[6:7], v[6:7], v[8:9], v[6:7]
	s_delay_alu instid0(VALU_DEP_1) | instskip(NEXT) | instid1(VALU_DEP_1)
	v_fma_f64 v[8:9], -v[2:3], v[6:7], 1.0
	v_fma_f64 v[6:7], v[6:7], v[8:9], v[6:7]
	v_div_scale_f64 v[8:9], vcc_lo, 1.0, v[0:1], 1.0
	s_delay_alu instid0(VALU_DEP_1) | instskip(NEXT) | instid1(VALU_DEP_1)
	v_mul_f64 v[11:12], v[8:9], v[6:7]
	v_fma_f64 v[2:3], -v[2:3], v[11:12], v[8:9]
	s_delay_alu instid0(VALU_DEP_1) | instskip(NEXT) | instid1(VALU_DEP_1)
	v_div_fmas_f64 v[2:3], v[2:3], v[6:7], v[11:12]
	v_div_fixup_f64 v[8:9], v[2:3], v[0:1], 1.0
	s_delay_alu instid0(VALU_DEP_1)
	v_mul_f64 v[6:7], v[4:5], -v[8:9]
.LBB125_9:
	s_or_b32 exec_lo, exec_lo, s4
	ds_store_2addr_b64 v254, v[8:9], v[6:7] offset1:1
.LBB125_10:
	s_or_b32 exec_lo, exec_lo, s65
	v_add_nc_u32_e64 v0, s16, 0
	v_add_nc_u32_e64 v79, 0, 16
	v_add_nc_u32_e64 v45, 0, 32
	v_add_nc_u32_e64 v62, 0, 48
	v_add_nc_u32_e64 v61, 0, 64
	scratch_store_b32 off, v0, off offset:1196 ; 4-byte Folded Spill
	v_add_nc_u32_e64 v0, s17, 0
	v_add_nc_u32_e64 v78, s5, 0
	v_add_nc_u32_e64 v77, s6, 0
	v_add_nc_u32_e64 v76, s7, 0
	v_add_nc_u32_e64 v75, s8, 0
	scratch_store_b32 off, v0, off offset:1192 ; 4-byte Folded Spill
	;; [unrolled: 6-line block ×4, first 2 shown]
	v_add_nc_u32_e64 v0, s20, 0
	scratch_store_b32 off, v0, off offset:1180 ; 4-byte Folded Spill
	v_add_nc_u32_e64 v0, s21, 0
	scratch_store_b32 off, v0, off offset:1176 ; 4-byte Folded Spill
	;; [unrolled: 2-line block ×42, first 2 shown]
	s_waitcnt lgkmcnt(0)
	s_waitcnt_vscnt null, 0x0
	s_barrier
	buffer_gl0_inv
	ds_load_2addr_b64 v[46:49], v254 offset1:1
	s_and_saveexec_b32 s4, s3
	s_cbranch_execz .LBB125_13
; %bb.11:
	scratch_load_b128 v[6:9], off, off
	s_mov_b32 s3, 0
	s_waitcnt vmcnt(0) lgkmcnt(0)
	v_mul_f64 v[0:1], v[48:49], v[8:9]
	v_mul_f64 v[8:9], v[46:47], v[8:9]
	s_delay_alu instid0(VALU_DEP_2) | instskip(NEXT) | instid1(VALU_DEP_2)
	v_fma_f64 v[4:5], v[46:47], v[6:7], -v[0:1]
	v_fma_f64 v[6:7], v[48:49], v[6:7], v[8:9]
	scratch_store_b128 off, v[4:7], off
	s_set_inst_prefetch_distance 0x1
	.p2align	6
.LBB125_12:                             ; =>This Inner Loop Header: Depth=1
	v_add_nc_u32_e64 v0, s3, 0
	s_delay_alu instid0(VALU_DEP_1)
	v_add_nc_u32_e32 v31, 16, v0
	v_add_nc_u32_e32 v32, 32, v0
	;; [unrolled: 1-line block ×3, first 2 shown]
	s_add_i32 s3, s3, 32
	s_clause 0x1
	scratch_load_b128 v[11:14], v31, off
	scratch_load_b128 v[15:18], v32, off
	ds_load_2addr_b64 v[19:22], v0 offset1:1
	ds_load_2addr_b64 v[23:26], v0 offset0:2 offset1:3
	s_cmpk_lg_i32 s3, 0x3e0
	s_waitcnt lgkmcnt(1)
	v_mul_f64 v[0:1], v[21:22], v[6:7]
	v_mul_f64 v[8:9], v[19:20], v[6:7]
	s_waitcnt lgkmcnt(0)
	v_mul_f64 v[27:28], v[25:26], v[6:7]
	v_mul_f64 v[29:30], v[23:24], v[6:7]
	s_delay_alu instid0(VALU_DEP_4) | instskip(NEXT) | instid1(VALU_DEP_4)
	v_fma_f64 v[0:1], v[19:20], v[4:5], -v[0:1]
	v_fma_f64 v[8:9], v[21:22], v[4:5], v[8:9]
	s_delay_alu instid0(VALU_DEP_4) | instskip(NEXT) | instid1(VALU_DEP_4)
	v_fma_f64 v[19:20], v[23:24], v[4:5], -v[27:28]
	v_fma_f64 v[21:22], v[25:26], v[4:5], v[29:30]
	s_waitcnt vmcnt(1)
	s_delay_alu instid0(VALU_DEP_4) | instskip(NEXT) | instid1(VALU_DEP_4)
	v_add_f64 v[11:12], v[11:12], -v[0:1]
	v_add_f64 v[13:14], v[13:14], -v[8:9]
	s_waitcnt vmcnt(0)
	s_delay_alu instid0(VALU_DEP_4) | instskip(NEXT) | instid1(VALU_DEP_4)
	v_add_f64 v[15:16], v[15:16], -v[19:20]
	v_add_f64 v[17:18], v[17:18], -v[21:22]
	s_clause 0x1
	scratch_store_b128 v31, v[11:14], off
	scratch_store_b128 v32, v[15:18], off
	s_cbranch_scc1 .LBB125_12
.LBB125_13:
	s_set_inst_prefetch_distance 0x2
	s_or_b32 exec_lo, exec_lo, s4
	v_add3_u32 v12, v184, 0, 32
	s_mov_b32 s4, exec_lo
	s_waitcnt lgkmcnt(0)
	s_waitcnt_vscnt null, 0x0
	s_barrier
	buffer_gl0_inv
	v_cmpx_eq_u32_e32 1, v253
	s_cbranch_execz .LBB125_24
; %bb.14:
	scratch_load_b128 v[4:7], v79, off
	v_mov_b32_e32 v0, 0
	s_movk_i32 s3, 0xfc80
	s_waitcnt vmcnt(0)
	ds_store_2addr_b64 v254, v[4:5], v[6:7] offset1:1
	s_branch .LBB125_16
.LBB125_15:                             ;   in Loop: Header=BB125_16 Depth=1
	s_add_i32 s6, s5, 0x3f0
	s_add_i32 s7, s5, 0x400
	s_addk_i32 s5, 0x410
	s_clause 0x2
	scratch_load_b128 v[4:7], off, s6
	scratch_load_b128 v[8:11], off, s7
	;; [unrolled: 1-line block ×3, first 2 shown]
	s_addk_i32 s3, 0x80
	s_waitcnt vmcnt(2)
	ds_store_2addr_b64 v1, v[4:5], v[6:7] offset0:122 offset1:123
	s_waitcnt vmcnt(1)
	ds_store_2addr_b64 v1, v[8:9], v[10:11] offset0:124 offset1:125
	;; [unrolled: 2-line block ×3, first 2 shown]
	s_cbranch_execz .LBB125_18
.LBB125_16:                             ; =>This Inner Loop Header: Depth=1
	v_readfirstlane_b32 s5, v0
	v_add_nc_u32_e32 v1, s3, v12
	s_delay_alu instid0(VALU_DEP_2) | instskip(NEXT) | instid1(SALU_CYCLE_1)
	s_add_i32 s5, s5, s3
	s_add_i32 s6, s5, 0x3a0
	;; [unrolled: 1-line block ×6, first 2 shown]
	s_clause 0x4
	scratch_load_b128 v[4:7], off, s6
	scratch_load_b128 v[8:11], off, s7
	;; [unrolled: 1-line block ×5, first 2 shown]
	s_cmp_eq_u32 s3, 0
	s_waitcnt vmcnt(4)
	ds_store_2addr_b64 v1, v[4:5], v[6:7] offset0:112 offset1:113
	s_waitcnt vmcnt(3)
	ds_store_2addr_b64 v1, v[8:9], v[10:11] offset0:114 offset1:115
	;; [unrolled: 2-line block ×5, first 2 shown]
	s_cbranch_scc0 .LBB125_15
; %bb.17:
                                        ; implicit-def: $sgpr3
.LBB125_18:
	ds_load_2addr_b64 v[4:7], v254 offset1:1
	s_waitcnt lgkmcnt(0)
	v_cmp_neq_f64_e32 vcc_lo, 0, v[4:5]
	v_cmp_neq_f64_e64 s3, 0, v[6:7]
	s_delay_alu instid0(VALU_DEP_1) | instskip(NEXT) | instid1(SALU_CYCLE_1)
	s_or_b32 s3, vcc_lo, s3
	s_and_b32 exec_lo, exec_lo, s3
	s_cbranch_execz .LBB125_24
; %bb.19:
	v_cmp_gt_f64_e32 vcc_lo, 0, v[4:5]
	v_cmp_gt_f64_e64 s3, 0, v[6:7]
	v_xor_b32_e32 v0, 0x80000000, v5
	v_xor_b32_e32 v8, 0x80000000, v7
	s_delay_alu instid0(VALU_DEP_2) | instskip(NEXT) | instid1(VALU_DEP_2)
	v_cndmask_b32_e32 v1, v5, v0, vcc_lo
	v_cndmask_b32_e64 v9, v7, v8, s3
	v_cndmask_b32_e32 v0, v4, v4, vcc_lo
	v_cndmask_b32_e64 v8, v6, v6, s3
	s_delay_alu instid0(VALU_DEP_1) | instskip(SKIP_1) | instid1(SALU_CYCLE_1)
	v_cmp_ngt_f64_e32 vcc_lo, v[0:1], v[8:9]
                                        ; implicit-def: $vgpr0_vgpr1
	s_and_saveexec_b32 s3, vcc_lo
	s_xor_b32 s3, exec_lo, s3
                                        ; implicit-def: $vgpr8_vgpr9_vgpr10_vgpr11
	s_cbranch_execz .LBB125_21
; %bb.20:
	v_div_scale_f64 v[0:1], null, v[6:7], v[6:7], v[4:5]
	v_div_scale_f64 v[13:14], vcc_lo, v[4:5], v[6:7], v[4:5]
	s_delay_alu instid0(VALU_DEP_2) | instskip(SKIP_2) | instid1(VALU_DEP_1)
	v_rcp_f64_e32 v[8:9], v[0:1]
	s_waitcnt_depctr 0xfff
	v_fma_f64 v[10:11], -v[0:1], v[8:9], 1.0
	v_fma_f64 v[8:9], v[8:9], v[10:11], v[8:9]
	s_delay_alu instid0(VALU_DEP_1) | instskip(NEXT) | instid1(VALU_DEP_1)
	v_fma_f64 v[10:11], -v[0:1], v[8:9], 1.0
	v_fma_f64 v[8:9], v[8:9], v[10:11], v[8:9]
	s_delay_alu instid0(VALU_DEP_1) | instskip(NEXT) | instid1(VALU_DEP_1)
	v_mul_f64 v[10:11], v[13:14], v[8:9]
	v_fma_f64 v[0:1], -v[0:1], v[10:11], v[13:14]
	s_delay_alu instid0(VALU_DEP_1) | instskip(NEXT) | instid1(VALU_DEP_1)
	v_div_fmas_f64 v[0:1], v[0:1], v[8:9], v[10:11]
	v_div_fixup_f64 v[0:1], v[0:1], v[6:7], v[4:5]
	s_delay_alu instid0(VALU_DEP_1) | instskip(NEXT) | instid1(VALU_DEP_1)
	v_fma_f64 v[4:5], v[4:5], v[0:1], v[6:7]
	v_div_scale_f64 v[6:7], null, v[4:5], v[4:5], 1.0
	s_delay_alu instid0(VALU_DEP_1) | instskip(SKIP_2) | instid1(VALU_DEP_1)
	v_rcp_f64_e32 v[8:9], v[6:7]
	s_waitcnt_depctr 0xfff
	v_fma_f64 v[10:11], -v[6:7], v[8:9], 1.0
	v_fma_f64 v[8:9], v[8:9], v[10:11], v[8:9]
	s_delay_alu instid0(VALU_DEP_1) | instskip(NEXT) | instid1(VALU_DEP_1)
	v_fma_f64 v[10:11], -v[6:7], v[8:9], 1.0
	v_fma_f64 v[8:9], v[8:9], v[10:11], v[8:9]
	v_div_scale_f64 v[10:11], vcc_lo, 1.0, v[4:5], 1.0
	s_delay_alu instid0(VALU_DEP_1) | instskip(NEXT) | instid1(VALU_DEP_1)
	v_mul_f64 v[13:14], v[10:11], v[8:9]
	v_fma_f64 v[6:7], -v[6:7], v[13:14], v[10:11]
	s_delay_alu instid0(VALU_DEP_1) | instskip(NEXT) | instid1(VALU_DEP_1)
	v_div_fmas_f64 v[6:7], v[6:7], v[8:9], v[13:14]
	v_div_fixup_f64 v[10:11], v[6:7], v[4:5], 1.0
                                        ; implicit-def: $vgpr4_vgpr5
	s_delay_alu instid0(VALU_DEP_1)
	v_mul_f64 v[0:1], v[0:1], v[10:11]
	v_xor_b32_e32 v11, 0x80000000, v11
.LBB125_21:
	s_and_not1_saveexec_b32 s3, s3
	s_cbranch_execz .LBB125_23
; %bb.22:
	v_div_scale_f64 v[0:1], null, v[4:5], v[4:5], v[6:7]
	v_div_scale_f64 v[13:14], vcc_lo, v[6:7], v[4:5], v[6:7]
	s_delay_alu instid0(VALU_DEP_2) | instskip(SKIP_2) | instid1(VALU_DEP_1)
	v_rcp_f64_e32 v[8:9], v[0:1]
	s_waitcnt_depctr 0xfff
	v_fma_f64 v[10:11], -v[0:1], v[8:9], 1.0
	v_fma_f64 v[8:9], v[8:9], v[10:11], v[8:9]
	s_delay_alu instid0(VALU_DEP_1) | instskip(NEXT) | instid1(VALU_DEP_1)
	v_fma_f64 v[10:11], -v[0:1], v[8:9], 1.0
	v_fma_f64 v[8:9], v[8:9], v[10:11], v[8:9]
	s_delay_alu instid0(VALU_DEP_1) | instskip(NEXT) | instid1(VALU_DEP_1)
	v_mul_f64 v[10:11], v[13:14], v[8:9]
	v_fma_f64 v[0:1], -v[0:1], v[10:11], v[13:14]
	s_delay_alu instid0(VALU_DEP_1) | instskip(NEXT) | instid1(VALU_DEP_1)
	v_div_fmas_f64 v[0:1], v[0:1], v[8:9], v[10:11]
	v_div_fixup_f64 v[8:9], v[0:1], v[4:5], v[6:7]
	s_delay_alu instid0(VALU_DEP_1) | instskip(NEXT) | instid1(VALU_DEP_1)
	v_fma_f64 v[0:1], v[6:7], v[8:9], v[4:5]
	v_div_scale_f64 v[4:5], null, v[0:1], v[0:1], 1.0
	s_delay_alu instid0(VALU_DEP_1) | instskip(SKIP_2) | instid1(VALU_DEP_1)
	v_rcp_f64_e32 v[6:7], v[4:5]
	s_waitcnt_depctr 0xfff
	v_fma_f64 v[10:11], -v[4:5], v[6:7], 1.0
	v_fma_f64 v[6:7], v[6:7], v[10:11], v[6:7]
	s_delay_alu instid0(VALU_DEP_1) | instskip(NEXT) | instid1(VALU_DEP_1)
	v_fma_f64 v[10:11], -v[4:5], v[6:7], 1.0
	v_fma_f64 v[6:7], v[6:7], v[10:11], v[6:7]
	v_div_scale_f64 v[10:11], vcc_lo, 1.0, v[0:1], 1.0
	s_delay_alu instid0(VALU_DEP_1) | instskip(NEXT) | instid1(VALU_DEP_1)
	v_mul_f64 v[13:14], v[10:11], v[6:7]
	v_fma_f64 v[4:5], -v[4:5], v[13:14], v[10:11]
	s_delay_alu instid0(VALU_DEP_1) | instskip(NEXT) | instid1(VALU_DEP_1)
	v_div_fmas_f64 v[4:5], v[4:5], v[6:7], v[13:14]
	v_div_fixup_f64 v[0:1], v[4:5], v[0:1], 1.0
	s_delay_alu instid0(VALU_DEP_1)
	v_mul_f64 v[10:11], v[8:9], -v[0:1]
.LBB125_23:
	s_or_b32 exec_lo, exec_lo, s3
	ds_store_2addr_b64 v254, v[0:1], v[10:11] offset1:1
.LBB125_24:
	s_or_b32 exec_lo, exec_lo, s4
	s_waitcnt lgkmcnt(0)
	s_barrier
	buffer_gl0_inv
	ds_load_2addr_b64 v[50:53], v254 offset1:1
	s_mov_b32 s3, exec_lo
	v_cmpx_lt_u32_e32 1, v253
	s_cbranch_execz .LBB125_29
; %bb.25:
	scratch_load_b128 v[13:16], off, off offset:16
	s_mov_b32 s4, 0
	s_waitcnt vmcnt(0) lgkmcnt(0)
	v_mul_f64 v[0:1], v[52:53], v[15:16]
	v_mul_f64 v[4:5], v[50:51], v[15:16]
	s_delay_alu instid0(VALU_DEP_2) | instskip(NEXT) | instid1(VALU_DEP_2)
	v_fma_f64 v[8:9], v[50:51], v[13:14], -v[0:1]
	v_fma_f64 v[10:11], v[52:53], v[13:14], v[4:5]
	v_mov_b32_e32 v0, 0
	scratch_store_b128 off, v[8:11], off offset:16
	s_branch .LBB125_27
.LBB125_26:                             ;   in Loop: Header=BB125_27 Depth=1
	s_and_not1_b32 vcc_lo, exec_lo, s6
	s_cbranch_vccz .LBB125_29
.LBB125_27:                             ; =>This Inner Loop Header: Depth=1
	v_readfirstlane_b32 s5, v0
	v_add_nc_u32_e32 v1, s4, v12
	s_mov_b32 s6, -1
	s_delay_alu instid0(VALU_DEP_2)
	s_add_i32 s5, s5, s4
	ds_load_2addr_b64 v[17:20], v1 offset1:1
	s_add_i32 s7, s5, 32
	s_cmpk_eq_i32 s4, 0x3c0
	scratch_load_b128 v[13:16], off, s7
	s_waitcnt lgkmcnt(0)
	v_mul_f64 v[4:5], v[19:20], v[10:11]
	v_mul_f64 v[6:7], v[17:18], v[10:11]
	s_delay_alu instid0(VALU_DEP_2) | instskip(NEXT) | instid1(VALU_DEP_2)
	v_fma_f64 v[4:5], v[17:18], v[8:9], -v[4:5]
	v_fma_f64 v[6:7], v[19:20], v[8:9], v[6:7]
	s_waitcnt vmcnt(0)
	s_delay_alu instid0(VALU_DEP_2) | instskip(NEXT) | instid1(VALU_DEP_2)
	v_add_f64 v[13:14], v[13:14], -v[4:5]
	v_add_f64 v[15:16], v[15:16], -v[6:7]
	scratch_store_b128 off, v[13:16], s7
	s_cbranch_scc1 .LBB125_26
; %bb.28:                               ;   in Loop: Header=BB125_27 Depth=1
	s_add_i32 s7, s5, 48
	s_add_i32 s8, s5, 64
	scratch_load_b128 v[13:16], off, s7
	s_addk_i32 s5, 0x50
	s_clause 0x1
	scratch_load_b128 v[17:20], off, s8
	scratch_load_b128 v[21:24], off, s5
	ds_load_2addr_b64 v[25:28], v1 offset0:2 offset1:3
	ds_load_2addr_b64 v[29:32], v1 offset0:4 offset1:5
	;; [unrolled: 1-line block ×3, first 2 shown]
	s_add_i32 s4, s4, 64
	s_mov_b32 s6, 0
	s_waitcnt lgkmcnt(2)
	v_mul_f64 v[4:5], v[27:28], v[10:11]
	v_mul_f64 v[6:7], v[25:26], v[10:11]
	s_waitcnt lgkmcnt(1)
	v_mul_f64 v[37:38], v[31:32], v[10:11]
	v_mul_f64 v[39:40], v[29:30], v[10:11]
	;; [unrolled: 3-line block ×3, first 2 shown]
	v_fma_f64 v[4:5], v[25:26], v[8:9], -v[4:5]
	v_fma_f64 v[6:7], v[27:28], v[8:9], v[6:7]
	v_fma_f64 v[25:26], v[29:30], v[8:9], -v[37:38]
	v_fma_f64 v[27:28], v[31:32], v[8:9], v[39:40]
	;; [unrolled: 2-line block ×3, first 2 shown]
	s_waitcnt vmcnt(2)
	v_add_f64 v[13:14], v[13:14], -v[4:5]
	v_add_f64 v[15:16], v[15:16], -v[6:7]
	s_waitcnt vmcnt(1)
	v_add_f64 v[17:18], v[17:18], -v[25:26]
	v_add_f64 v[19:20], v[19:20], -v[27:28]
	;; [unrolled: 3-line block ×3, first 2 shown]
	s_clause 0x2
	scratch_store_b128 off, v[13:16], s7
	scratch_store_b128 off, v[17:20], s8
	;; [unrolled: 1-line block ×3, first 2 shown]
	s_branch .LBB125_26
.LBB125_29:
	s_or_b32 exec_lo, exec_lo, s3
	v_add3_u32 v16, v184, 0, 48
	s_mov_b32 s4, exec_lo
	s_waitcnt lgkmcnt(0)
	s_waitcnt_vscnt null, 0x0
	s_barrier
	buffer_gl0_inv
	v_cmpx_eq_u32_e32 2, v253
	s_cbranch_execz .LBB125_38
; %bb.30:
	scratch_load_b128 v[8:11], v45, off
	v_mov_b32_e32 v0, 0
	s_movk_i32 s3, 0xfc40
	s_waitcnt vmcnt(0)
	ds_store_2addr_b64 v254, v[8:9], v[10:11] offset1:1
.LBB125_31:                             ; =>This Inner Loop Header: Depth=1
	v_readfirstlane_b32 s5, v0
	v_add_nc_u32_e32 v1, s3, v16
	s_delay_alu instid0(VALU_DEP_2)
	s_add_i32 s5, s5, s3
	s_addk_i32 s3, 0xf0
	s_add_i32 s6, s5, 0x3f0
	s_add_i32 s7, s5, 0x400
	s_add_i32 s8, s5, 0x410
	s_add_i32 s9, s5, 0x420
	s_add_i32 s10, s5, 0x430
	s_add_i32 s12, s5, 0x440
	s_add_i32 s13, s5, 0x450
	s_add_i32 s14, s5, 0x460
	s_clause 0x7
	scratch_load_b128 v[8:11], off, s6
	scratch_load_b128 v[12:15], off, s7
	;; [unrolled: 1-line block ×8, first 2 shown]
	s_add_i32 s15, s5, 0x470
	s_add_i32 s16, s5, 0x480
	;; [unrolled: 1-line block ×6, first 2 shown]
	s_addk_i32 s5, 0x4d0
	s_cmp_lg_u32 s3, 0
	s_waitcnt vmcnt(7)
	ds_store_2addr_b64 v1, v[8:9], v[10:11] offset0:120 offset1:121
	s_waitcnt vmcnt(6)
	ds_store_2addr_b64 v1, v[12:13], v[14:15] offset0:122 offset1:123
	s_clause 0x1
	scratch_load_b128 v[8:11], off, s15
	scratch_load_b128 v[12:15], off, s16
	s_waitcnt vmcnt(7)
	ds_store_2addr_b64 v1, v[17:18], v[19:20] offset0:124 offset1:125
	s_waitcnt vmcnt(6)
	ds_store_2addr_b64 v1, v[21:22], v[23:24] offset0:126 offset1:127
	s_clause 0x1
	scratch_load_b128 v[17:20], off, s17
	scratch_load_b128 v[21:24], off, s18
	;; [unrolled: 7-line block ×3, first 2 shown]
	s_waitcnt vmcnt(7)
	ds_store_2addr_b64 v1, v[33:34], v[35:36] offset0:132 offset1:133
	scratch_load_b128 v[33:36], off, s5
	s_waitcnt vmcnt(7)
	ds_store_2addr_b64 v1, v[37:38], v[39:40] offset0:134 offset1:135
	s_waitcnt vmcnt(6)
	ds_store_2addr_b64 v1, v[8:9], v[10:11] offset0:136 offset1:137
	;; [unrolled: 2-line block ×8, first 2 shown]
	s_cbranch_scc1 .LBB125_31
; %bb.32:
	ds_load_2addr_b64 v[8:11], v254 offset1:1
	s_waitcnt lgkmcnt(0)
	v_cmp_neq_f64_e32 vcc_lo, 0, v[8:9]
	v_cmp_neq_f64_e64 s3, 0, v[10:11]
	s_delay_alu instid0(VALU_DEP_1) | instskip(NEXT) | instid1(SALU_CYCLE_1)
	s_or_b32 s3, vcc_lo, s3
	s_and_b32 exec_lo, exec_lo, s3
	s_cbranch_execz .LBB125_38
; %bb.33:
	v_cmp_gt_f64_e32 vcc_lo, 0, v[8:9]
	v_cmp_gt_f64_e64 s3, 0, v[10:11]
	v_xor_b32_e32 v0, 0x80000000, v9
	v_xor_b32_e32 v4, 0x80000000, v11
	s_delay_alu instid0(VALU_DEP_2) | instskip(NEXT) | instid1(VALU_DEP_2)
	v_cndmask_b32_e32 v1, v9, v0, vcc_lo
	v_cndmask_b32_e64 v5, v11, v4, s3
	v_cndmask_b32_e32 v0, v8, v8, vcc_lo
	v_cndmask_b32_e64 v4, v10, v10, s3
	s_delay_alu instid0(VALU_DEP_1) | instskip(SKIP_1) | instid1(SALU_CYCLE_1)
	v_cmp_ngt_f64_e32 vcc_lo, v[0:1], v[4:5]
                                        ; implicit-def: $vgpr0_vgpr1
	s_and_saveexec_b32 s3, vcc_lo
	s_xor_b32 s3, exec_lo, s3
                                        ; implicit-def: $vgpr12_vgpr13_vgpr14_vgpr15
	s_cbranch_execz .LBB125_35
; %bb.34:
	v_div_scale_f64 v[0:1], null, v[10:11], v[10:11], v[8:9]
	v_div_scale_f64 v[12:13], vcc_lo, v[8:9], v[10:11], v[8:9]
	s_delay_alu instid0(VALU_DEP_2) | instskip(SKIP_2) | instid1(VALU_DEP_1)
	v_rcp_f64_e32 v[4:5], v[0:1]
	s_waitcnt_depctr 0xfff
	v_fma_f64 v[6:7], -v[0:1], v[4:5], 1.0
	v_fma_f64 v[4:5], v[4:5], v[6:7], v[4:5]
	s_delay_alu instid0(VALU_DEP_1) | instskip(NEXT) | instid1(VALU_DEP_1)
	v_fma_f64 v[6:7], -v[0:1], v[4:5], 1.0
	v_fma_f64 v[4:5], v[4:5], v[6:7], v[4:5]
	s_delay_alu instid0(VALU_DEP_1) | instskip(NEXT) | instid1(VALU_DEP_1)
	v_mul_f64 v[6:7], v[12:13], v[4:5]
	v_fma_f64 v[0:1], -v[0:1], v[6:7], v[12:13]
	s_delay_alu instid0(VALU_DEP_1) | instskip(NEXT) | instid1(VALU_DEP_1)
	v_div_fmas_f64 v[0:1], v[0:1], v[4:5], v[6:7]
	v_div_fixup_f64 v[0:1], v[0:1], v[10:11], v[8:9]
	s_delay_alu instid0(VALU_DEP_1) | instskip(NEXT) | instid1(VALU_DEP_1)
	v_fma_f64 v[4:5], v[8:9], v[0:1], v[10:11]
	v_div_scale_f64 v[6:7], null, v[4:5], v[4:5], 1.0
	s_delay_alu instid0(VALU_DEP_1) | instskip(SKIP_2) | instid1(VALU_DEP_1)
	v_rcp_f64_e32 v[8:9], v[6:7]
	s_waitcnt_depctr 0xfff
	v_fma_f64 v[10:11], -v[6:7], v[8:9], 1.0
	v_fma_f64 v[8:9], v[8:9], v[10:11], v[8:9]
	s_delay_alu instid0(VALU_DEP_1) | instskip(NEXT) | instid1(VALU_DEP_1)
	v_fma_f64 v[10:11], -v[6:7], v[8:9], 1.0
	v_fma_f64 v[8:9], v[8:9], v[10:11], v[8:9]
	v_div_scale_f64 v[10:11], vcc_lo, 1.0, v[4:5], 1.0
	s_delay_alu instid0(VALU_DEP_1) | instskip(NEXT) | instid1(VALU_DEP_1)
	v_mul_f64 v[12:13], v[10:11], v[8:9]
	v_fma_f64 v[6:7], -v[6:7], v[12:13], v[10:11]
	s_delay_alu instid0(VALU_DEP_1) | instskip(NEXT) | instid1(VALU_DEP_1)
	v_div_fmas_f64 v[6:7], v[6:7], v[8:9], v[12:13]
                                        ; implicit-def: $vgpr8_vgpr9
	v_div_fixup_f64 v[14:15], v[6:7], v[4:5], 1.0
	s_delay_alu instid0(VALU_DEP_1)
	v_mul_f64 v[0:1], v[0:1], v[14:15]
	v_xor_b32_e32 v15, 0x80000000, v15
.LBB125_35:
	s_and_not1_saveexec_b32 s3, s3
	s_cbranch_execz .LBB125_37
; %bb.36:
	v_div_scale_f64 v[0:1], null, v[8:9], v[8:9], v[10:11]
	v_div_scale_f64 v[12:13], vcc_lo, v[10:11], v[8:9], v[10:11]
	s_delay_alu instid0(VALU_DEP_2) | instskip(SKIP_2) | instid1(VALU_DEP_1)
	v_rcp_f64_e32 v[4:5], v[0:1]
	s_waitcnt_depctr 0xfff
	v_fma_f64 v[6:7], -v[0:1], v[4:5], 1.0
	v_fma_f64 v[4:5], v[4:5], v[6:7], v[4:5]
	s_delay_alu instid0(VALU_DEP_1) | instskip(NEXT) | instid1(VALU_DEP_1)
	v_fma_f64 v[6:7], -v[0:1], v[4:5], 1.0
	v_fma_f64 v[4:5], v[4:5], v[6:7], v[4:5]
	s_delay_alu instid0(VALU_DEP_1) | instskip(NEXT) | instid1(VALU_DEP_1)
	v_mul_f64 v[6:7], v[12:13], v[4:5]
	v_fma_f64 v[0:1], -v[0:1], v[6:7], v[12:13]
	s_delay_alu instid0(VALU_DEP_1) | instskip(NEXT) | instid1(VALU_DEP_1)
	v_div_fmas_f64 v[0:1], v[0:1], v[4:5], v[6:7]
	v_div_fixup_f64 v[4:5], v[0:1], v[8:9], v[10:11]
	s_delay_alu instid0(VALU_DEP_1) | instskip(NEXT) | instid1(VALU_DEP_1)
	v_fma_f64 v[0:1], v[10:11], v[4:5], v[8:9]
	v_div_scale_f64 v[6:7], null, v[0:1], v[0:1], 1.0
	s_delay_alu instid0(VALU_DEP_1) | instskip(SKIP_2) | instid1(VALU_DEP_1)
	v_rcp_f64_e32 v[8:9], v[6:7]
	s_waitcnt_depctr 0xfff
	v_fma_f64 v[10:11], -v[6:7], v[8:9], 1.0
	v_fma_f64 v[8:9], v[8:9], v[10:11], v[8:9]
	s_delay_alu instid0(VALU_DEP_1) | instskip(NEXT) | instid1(VALU_DEP_1)
	v_fma_f64 v[10:11], -v[6:7], v[8:9], 1.0
	v_fma_f64 v[8:9], v[8:9], v[10:11], v[8:9]
	v_div_scale_f64 v[10:11], vcc_lo, 1.0, v[0:1], 1.0
	s_delay_alu instid0(VALU_DEP_1) | instskip(NEXT) | instid1(VALU_DEP_1)
	v_mul_f64 v[12:13], v[10:11], v[8:9]
	v_fma_f64 v[6:7], -v[6:7], v[12:13], v[10:11]
	s_delay_alu instid0(VALU_DEP_1) | instskip(NEXT) | instid1(VALU_DEP_1)
	v_div_fmas_f64 v[6:7], v[6:7], v[8:9], v[12:13]
	v_div_fixup_f64 v[0:1], v[6:7], v[0:1], 1.0
	s_delay_alu instid0(VALU_DEP_1)
	v_mul_f64 v[14:15], v[4:5], -v[0:1]
.LBB125_37:
	s_or_b32 exec_lo, exec_lo, s3
	ds_store_2addr_b64 v254, v[0:1], v[14:15] offset1:1
.LBB125_38:
	s_or_b32 exec_lo, exec_lo, s4
	s_clause 0x1
	scratch_store_b128 off, v[50:53], off offset:1756
	scratch_store_b128 off, v[46:49], off offset:1740
	s_waitcnt lgkmcnt(0)
	s_waitcnt_vscnt null, 0x0
	s_barrier
	buffer_gl0_inv
	ds_load_2addr_b64 v[8:11], v254 offset1:1
	s_mov_b32 s3, exec_lo
	v_cmpx_lt_u32_e32 2, v253
	s_cbranch_execz .LBB125_41
; %bb.39:
	scratch_load_b128 v[17:20], off, off offset:32
	s_mov_b32 s4, 0
	s_waitcnt vmcnt(0) lgkmcnt(0)
	v_mul_f64 v[0:1], v[10:11], v[19:20]
	v_mul_f64 v[4:5], v[8:9], v[19:20]
	s_delay_alu instid0(VALU_DEP_2) | instskip(NEXT) | instid1(VALU_DEP_2)
	v_fma_f64 v[12:13], v[8:9], v[17:18], -v[0:1]
	v_fma_f64 v[14:15], v[10:11], v[17:18], v[4:5]
	v_mov_b32_e32 v0, 0
	scratch_store_b128 off, v[12:15], off offset:32
.LBB125_40:                             ; =>This Inner Loop Header: Depth=1
	v_add_nc_u32_e32 v1, s4, v16
	v_readfirstlane_b32 s5, v0
	ds_load_2addr_b64 v[17:20], v1 offset1:1
	ds_load_2addr_b64 v[21:24], v1 offset0:2 offset1:3
	ds_load_2addr_b64 v[25:28], v1 offset0:4 offset1:5
	;; [unrolled: 1-line block ×5, first 2 shown]
	s_add_i32 s5, s5, s4
	s_addk_i32 s4, 0x60
	s_add_i32 s6, s5, 48
	s_add_i32 s7, s5, 64
	s_add_i32 s8, s5, 0x50
	s_add_i32 s9, s5, 0x60
	s_add_i32 s10, s5, 0x70
	s_addk_i32 s5, 0x80
	s_cmpk_lg_i32 s4, 0x3c0
	s_waitcnt lgkmcnt(4)
	v_mul_f64 v[41:42], v[23:24], v[14:15]
	v_mul_f64 v[4:5], v[19:20], v[14:15]
	;; [unrolled: 1-line block ×3, first 2 shown]
	s_delay_alu instid0(VALU_DEP_3) | instskip(NEXT) | instid1(VALU_DEP_3)
	v_fma_f64 v[41:42], v[21:22], v[12:13], -v[41:42]
	v_fma_f64 v[4:5], v[17:18], v[12:13], -v[4:5]
	v_mul_f64 v[17:18], v[21:22], v[14:15]
	s_delay_alu instid0(VALU_DEP_4) | instskip(SKIP_4) | instid1(VALU_DEP_4)
	v_fma_f64 v[6:7], v[19:20], v[12:13], v[6:7]
	s_waitcnt lgkmcnt(3)
	v_mul_f64 v[19:20], v[27:28], v[14:15]
	s_waitcnt lgkmcnt(2)
	v_mul_f64 v[21:22], v[31:32], v[14:15]
	v_fma_f64 v[43:44], v[23:24], v[12:13], v[17:18]
	v_mul_f64 v[17:18], v[25:26], v[14:15]
	s_delay_alu instid0(VALU_DEP_4)
	v_fma_f64 v[45:46], v[25:26], v[12:13], -v[19:20]
	s_waitcnt lgkmcnt(1)
	v_mul_f64 v[19:20], v[35:36], v[14:15]
	v_fma_f64 v[49:50], v[29:30], v[12:13], -v[21:22]
	s_waitcnt lgkmcnt(0)
	v_mul_f64 v[21:22], v[39:40], v[14:15]
	v_fma_f64 v[47:48], v[27:28], v[12:13], v[17:18]
	v_mul_f64 v[17:18], v[29:30], v[14:15]
	v_fma_f64 v[53:54], v[33:34], v[12:13], -v[19:20]
	scratch_load_b128 v[25:28], off, s8
	v_fma_f64 v[57:58], v[37:38], v[12:13], -v[21:22]
	scratch_load_b128 v[21:24], off, s7
	v_fma_f64 v[51:52], v[31:32], v[12:13], v[17:18]
	v_mul_f64 v[17:18], v[33:34], v[14:15]
	scratch_load_b128 v[29:32], off, s9
	v_fma_f64 v[55:56], v[35:36], v[12:13], v[17:18]
	scratch_load_b128 v[33:36], off, s10
	v_mul_f64 v[17:18], v[37:38], v[14:15]
	s_delay_alu instid0(VALU_DEP_1)
	v_fma_f64 v[59:60], v[39:40], v[12:13], v[17:18]
	s_clause 0x1
	scratch_load_b128 v[17:20], off, s6
	scratch_load_b128 v[37:40], off, s5
	s_waitcnt vmcnt(5)
	v_add_f64 v[25:26], v[25:26], -v[45:46]
	v_add_f64 v[27:28], v[27:28], -v[47:48]
	s_waitcnt vmcnt(4)
	v_add_f64 v[21:22], v[21:22], -v[41:42]
	v_add_f64 v[23:24], v[23:24], -v[43:44]
	;; [unrolled: 3-line block ×6, first 2 shown]
	s_clause 0x5
	scratch_store_b128 off, v[17:20], s6
	scratch_store_b128 off, v[21:24], s7
	;; [unrolled: 1-line block ×6, first 2 shown]
	s_cbranch_scc1 .LBB125_40
.LBB125_41:
	s_or_b32 exec_lo, exec_lo, s3
	v_add3_u32 v20, v184, 0, 64
	s_mov_b32 s4, exec_lo
	s_waitcnt lgkmcnt(0)
	s_waitcnt_vscnt null, 0x0
	s_barrier
	buffer_gl0_inv
	v_cmpx_eq_u32_e32 3, v253
	s_cbranch_execz .LBB125_52
; %bb.42:
	scratch_load_b128 v[12:15], v62, off
	v_mov_b32_e32 v0, 0
	s_movk_i32 s3, 0xfc80
	s_waitcnt vmcnt(0)
	ds_store_2addr_b64 v254, v[12:13], v[14:15] offset1:1
	s_branch .LBB125_44
.LBB125_43:                             ;   in Loop: Header=BB125_44 Depth=1
	s_add_i32 s6, s5, 0x3f0
	s_add_i32 s7, s5, 0x400
	s_clause 0x1
	scratch_load_b128 v[12:15], off, s6
	scratch_load_b128 v[16:19], off, s7
	s_add_i32 s6, s5, 0x410
	s_add_i32 s7, s5, 0x420
	s_addk_i32 s5, 0x430
	s_clause 0x2
	scratch_load_b128 v[21:24], off, s6
	scratch_load_b128 v[25:28], off, s7
	;; [unrolled: 1-line block ×3, first 2 shown]
	s_addk_i32 s3, 0x80
	s_waitcnt vmcnt(4)
	ds_store_2addr_b64 v1, v[12:13], v[14:15] offset0:118 offset1:119
	s_waitcnt vmcnt(3)
	ds_store_2addr_b64 v1, v[16:17], v[18:19] offset0:120 offset1:121
	;; [unrolled: 2-line block ×5, first 2 shown]
	s_cbranch_execz .LBB125_46
.LBB125_44:                             ; =>This Inner Loop Header: Depth=1
	v_readfirstlane_b32 s5, v0
	v_add_nc_u32_e32 v1, s3, v20
	s_delay_alu instid0(VALU_DEP_2) | instskip(NEXT) | instid1(SALU_CYCLE_1)
	s_add_i32 s5, s5, s3
	s_add_i32 s6, s5, 0x3c0
	;; [unrolled: 1-line block ×4, first 2 shown]
	s_clause 0x2
	scratch_load_b128 v[12:15], off, s6
	scratch_load_b128 v[16:19], off, s7
	;; [unrolled: 1-line block ×3, first 2 shown]
	s_cmp_eq_u32 s3, 0
	s_waitcnt vmcnt(2)
	ds_store_2addr_b64 v1, v[12:13], v[14:15] offset0:112 offset1:113
	s_waitcnt vmcnt(1)
	ds_store_2addr_b64 v1, v[16:17], v[18:19] offset0:114 offset1:115
	;; [unrolled: 2-line block ×3, first 2 shown]
	s_cbranch_scc0 .LBB125_43
; %bb.45:
                                        ; implicit-def: $sgpr3
.LBB125_46:
	ds_load_2addr_b64 v[12:15], v254 offset1:1
	s_waitcnt lgkmcnt(0)
	v_cmp_neq_f64_e32 vcc_lo, 0, v[12:13]
	v_cmp_neq_f64_e64 s3, 0, v[14:15]
	s_delay_alu instid0(VALU_DEP_1) | instskip(NEXT) | instid1(SALU_CYCLE_1)
	s_or_b32 s3, vcc_lo, s3
	s_and_b32 exec_lo, exec_lo, s3
	s_cbranch_execz .LBB125_52
; %bb.47:
	v_cmp_gt_f64_e32 vcc_lo, 0, v[12:13]
	v_cmp_gt_f64_e64 s3, 0, v[14:15]
	v_xor_b32_e32 v0, 0x80000000, v13
	v_xor_b32_e32 v4, 0x80000000, v15
	s_delay_alu instid0(VALU_DEP_2) | instskip(NEXT) | instid1(VALU_DEP_2)
	v_cndmask_b32_e32 v1, v13, v0, vcc_lo
	v_cndmask_b32_e64 v5, v15, v4, s3
	v_cndmask_b32_e32 v0, v12, v12, vcc_lo
	v_cndmask_b32_e64 v4, v14, v14, s3
	s_delay_alu instid0(VALU_DEP_1) | instskip(SKIP_1) | instid1(SALU_CYCLE_1)
	v_cmp_ngt_f64_e32 vcc_lo, v[0:1], v[4:5]
                                        ; implicit-def: $vgpr0_vgpr1
	s_and_saveexec_b32 s3, vcc_lo
	s_xor_b32 s3, exec_lo, s3
                                        ; implicit-def: $vgpr16_vgpr17_vgpr18_vgpr19
	s_cbranch_execz .LBB125_49
; %bb.48:
	v_div_scale_f64 v[0:1], null, v[14:15], v[14:15], v[12:13]
	v_div_scale_f64 v[16:17], vcc_lo, v[12:13], v[14:15], v[12:13]
	s_delay_alu instid0(VALU_DEP_2) | instskip(SKIP_2) | instid1(VALU_DEP_1)
	v_rcp_f64_e32 v[4:5], v[0:1]
	s_waitcnt_depctr 0xfff
	v_fma_f64 v[6:7], -v[0:1], v[4:5], 1.0
	v_fma_f64 v[4:5], v[4:5], v[6:7], v[4:5]
	s_delay_alu instid0(VALU_DEP_1) | instskip(NEXT) | instid1(VALU_DEP_1)
	v_fma_f64 v[6:7], -v[0:1], v[4:5], 1.0
	v_fma_f64 v[4:5], v[4:5], v[6:7], v[4:5]
	s_delay_alu instid0(VALU_DEP_1) | instskip(NEXT) | instid1(VALU_DEP_1)
	v_mul_f64 v[6:7], v[16:17], v[4:5]
	v_fma_f64 v[0:1], -v[0:1], v[6:7], v[16:17]
	s_delay_alu instid0(VALU_DEP_1) | instskip(NEXT) | instid1(VALU_DEP_1)
	v_div_fmas_f64 v[0:1], v[0:1], v[4:5], v[6:7]
	v_div_fixup_f64 v[0:1], v[0:1], v[14:15], v[12:13]
	s_delay_alu instid0(VALU_DEP_1) | instskip(NEXT) | instid1(VALU_DEP_1)
	v_fma_f64 v[4:5], v[12:13], v[0:1], v[14:15]
	v_div_scale_f64 v[6:7], null, v[4:5], v[4:5], 1.0
	s_delay_alu instid0(VALU_DEP_1) | instskip(SKIP_2) | instid1(VALU_DEP_1)
	v_rcp_f64_e32 v[12:13], v[6:7]
	s_waitcnt_depctr 0xfff
	v_fma_f64 v[14:15], -v[6:7], v[12:13], 1.0
	v_fma_f64 v[12:13], v[12:13], v[14:15], v[12:13]
	s_delay_alu instid0(VALU_DEP_1) | instskip(NEXT) | instid1(VALU_DEP_1)
	v_fma_f64 v[14:15], -v[6:7], v[12:13], 1.0
	v_fma_f64 v[12:13], v[12:13], v[14:15], v[12:13]
	v_div_scale_f64 v[14:15], vcc_lo, 1.0, v[4:5], 1.0
	s_delay_alu instid0(VALU_DEP_1) | instskip(NEXT) | instid1(VALU_DEP_1)
	v_mul_f64 v[16:17], v[14:15], v[12:13]
	v_fma_f64 v[6:7], -v[6:7], v[16:17], v[14:15]
	s_delay_alu instid0(VALU_DEP_1) | instskip(NEXT) | instid1(VALU_DEP_1)
	v_div_fmas_f64 v[6:7], v[6:7], v[12:13], v[16:17]
                                        ; implicit-def: $vgpr12_vgpr13
	v_div_fixup_f64 v[18:19], v[6:7], v[4:5], 1.0
	s_delay_alu instid0(VALU_DEP_1)
	v_mul_f64 v[0:1], v[0:1], v[18:19]
	v_xor_b32_e32 v19, 0x80000000, v19
.LBB125_49:
	s_and_not1_saveexec_b32 s3, s3
	s_cbranch_execz .LBB125_51
; %bb.50:
	v_div_scale_f64 v[0:1], null, v[12:13], v[12:13], v[14:15]
	v_div_scale_f64 v[16:17], vcc_lo, v[14:15], v[12:13], v[14:15]
	s_delay_alu instid0(VALU_DEP_2) | instskip(SKIP_2) | instid1(VALU_DEP_1)
	v_rcp_f64_e32 v[4:5], v[0:1]
	s_waitcnt_depctr 0xfff
	v_fma_f64 v[6:7], -v[0:1], v[4:5], 1.0
	v_fma_f64 v[4:5], v[4:5], v[6:7], v[4:5]
	s_delay_alu instid0(VALU_DEP_1) | instskip(NEXT) | instid1(VALU_DEP_1)
	v_fma_f64 v[6:7], -v[0:1], v[4:5], 1.0
	v_fma_f64 v[4:5], v[4:5], v[6:7], v[4:5]
	s_delay_alu instid0(VALU_DEP_1) | instskip(NEXT) | instid1(VALU_DEP_1)
	v_mul_f64 v[6:7], v[16:17], v[4:5]
	v_fma_f64 v[0:1], -v[0:1], v[6:7], v[16:17]
	s_delay_alu instid0(VALU_DEP_1) | instskip(NEXT) | instid1(VALU_DEP_1)
	v_div_fmas_f64 v[0:1], v[0:1], v[4:5], v[6:7]
	v_div_fixup_f64 v[4:5], v[0:1], v[12:13], v[14:15]
	s_delay_alu instid0(VALU_DEP_1) | instskip(NEXT) | instid1(VALU_DEP_1)
	v_fma_f64 v[0:1], v[14:15], v[4:5], v[12:13]
	v_div_scale_f64 v[6:7], null, v[0:1], v[0:1], 1.0
	s_delay_alu instid0(VALU_DEP_1) | instskip(SKIP_2) | instid1(VALU_DEP_1)
	v_rcp_f64_e32 v[12:13], v[6:7]
	s_waitcnt_depctr 0xfff
	v_fma_f64 v[14:15], -v[6:7], v[12:13], 1.0
	v_fma_f64 v[12:13], v[12:13], v[14:15], v[12:13]
	s_delay_alu instid0(VALU_DEP_1) | instskip(NEXT) | instid1(VALU_DEP_1)
	v_fma_f64 v[14:15], -v[6:7], v[12:13], 1.0
	v_fma_f64 v[12:13], v[12:13], v[14:15], v[12:13]
	v_div_scale_f64 v[14:15], vcc_lo, 1.0, v[0:1], 1.0
	s_delay_alu instid0(VALU_DEP_1) | instskip(NEXT) | instid1(VALU_DEP_1)
	v_mul_f64 v[16:17], v[14:15], v[12:13]
	v_fma_f64 v[6:7], -v[6:7], v[16:17], v[14:15]
	s_delay_alu instid0(VALU_DEP_1) | instskip(NEXT) | instid1(VALU_DEP_1)
	v_div_fmas_f64 v[6:7], v[6:7], v[12:13], v[16:17]
	v_div_fixup_f64 v[0:1], v[6:7], v[0:1], 1.0
	s_delay_alu instid0(VALU_DEP_1)
	v_mul_f64 v[18:19], v[4:5], -v[0:1]
.LBB125_51:
	s_or_b32 exec_lo, exec_lo, s3
	ds_store_2addr_b64 v254, v[0:1], v[18:19] offset1:1
.LBB125_52:
	s_or_b32 exec_lo, exec_lo, s4
	s_waitcnt lgkmcnt(0)
	s_barrier
	buffer_gl0_inv
	ds_load_2addr_b64 v[12:15], v254 offset1:1
	s_mov_b32 s3, exec_lo
	v_cmpx_lt_u32_e32 3, v253
	s_cbranch_execz .LBB125_57
; %bb.53:
	scratch_load_b128 v[21:24], off, off offset:48
	s_mov_b32 s4, 0
	s_waitcnt vmcnt(0) lgkmcnt(0)
	v_mul_f64 v[0:1], v[14:15], v[23:24]
	v_mul_f64 v[4:5], v[12:13], v[23:24]
	s_delay_alu instid0(VALU_DEP_2) | instskip(NEXT) | instid1(VALU_DEP_2)
	v_fma_f64 v[16:17], v[12:13], v[21:22], -v[0:1]
	v_fma_f64 v[18:19], v[14:15], v[21:22], v[4:5]
	v_mov_b32_e32 v0, 0
	scratch_store_b128 off, v[16:19], off offset:48
	s_branch .LBB125_55
.LBB125_54:                             ;   in Loop: Header=BB125_55 Depth=1
	s_and_not1_b32 vcc_lo, exec_lo, s6
	s_cbranch_vccz .LBB125_57
.LBB125_55:                             ; =>This Inner Loop Header: Depth=1
	v_readfirstlane_b32 s5, v0
	v_add_nc_u32_e32 v1, s4, v20
	s_mov_b32 s6, -1
	s_delay_alu instid0(VALU_DEP_2) | instskip(NEXT) | instid1(SALU_CYCLE_1)
	s_add_i32 s5, s5, s4
	s_add_i32 s7, s5, 64
	;; [unrolled: 1-line block ×3, first 2 shown]
	scratch_load_b128 v[21:24], off, s7
	s_add_i32 s9, s5, 0x60
	s_clause 0x1
	scratch_load_b128 v[25:28], off, s8
	scratch_load_b128 v[29:32], off, s9
	ds_load_2addr_b64 v[33:36], v1 offset1:1
	ds_load_2addr_b64 v[37:40], v1 offset0:2 offset1:3
	ds_load_2addr_b64 v[41:44], v1 offset0:4 offset1:5
	s_cmpk_eq_i32 s4, 0x380
	s_waitcnt lgkmcnt(2)
	v_mul_f64 v[4:5], v[35:36], v[18:19]
	v_mul_f64 v[6:7], v[33:34], v[18:19]
	s_waitcnt lgkmcnt(1)
	v_mul_f64 v[45:46], v[39:40], v[18:19]
	v_mul_f64 v[47:48], v[37:38], v[18:19]
	;; [unrolled: 3-line block ×3, first 2 shown]
	v_fma_f64 v[4:5], v[33:34], v[16:17], -v[4:5]
	v_fma_f64 v[6:7], v[35:36], v[16:17], v[6:7]
	v_fma_f64 v[33:34], v[37:38], v[16:17], -v[45:46]
	v_fma_f64 v[35:36], v[39:40], v[16:17], v[47:48]
	;; [unrolled: 2-line block ×3, first 2 shown]
	s_waitcnt vmcnt(2)
	v_add_f64 v[21:22], v[21:22], -v[4:5]
	v_add_f64 v[23:24], v[23:24], -v[6:7]
	s_waitcnt vmcnt(1)
	v_add_f64 v[25:26], v[25:26], -v[33:34]
	v_add_f64 v[27:28], v[27:28], -v[35:36]
	;; [unrolled: 3-line block ×3, first 2 shown]
	s_clause 0x2
	scratch_store_b128 off, v[21:24], s7
	scratch_store_b128 off, v[25:28], s8
	;; [unrolled: 1-line block ×3, first 2 shown]
	s_cbranch_scc1 .LBB125_54
; %bb.56:                               ;   in Loop: Header=BB125_55 Depth=1
	s_addk_i32 s5, 0x70
	ds_load_2addr_b64 v[25:28], v1 offset0:6 offset1:7
	scratch_load_b128 v[21:24], off, s5
	s_add_i32 s4, s4, 64
	s_mov_b32 s6, 0
	s_waitcnt lgkmcnt(0)
	v_mul_f64 v[4:5], v[27:28], v[18:19]
	v_mul_f64 v[6:7], v[25:26], v[18:19]
	s_delay_alu instid0(VALU_DEP_2) | instskip(NEXT) | instid1(VALU_DEP_2)
	v_fma_f64 v[4:5], v[25:26], v[16:17], -v[4:5]
	v_fma_f64 v[6:7], v[27:28], v[16:17], v[6:7]
	s_waitcnt vmcnt(0)
	s_delay_alu instid0(VALU_DEP_2) | instskip(NEXT) | instid1(VALU_DEP_2)
	v_add_f64 v[21:22], v[21:22], -v[4:5]
	v_add_f64 v[23:24], v[23:24], -v[6:7]
	scratch_store_b128 off, v[21:24], s5
	s_branch .LBB125_54
.LBB125_57:
	s_or_b32 exec_lo, exec_lo, s3
	v_add3_u32 v24, v184, 0, 0x50
	s_mov_b32 s4, exec_lo
	s_waitcnt lgkmcnt(0)
	s_waitcnt_vscnt null, 0x0
	s_barrier
	buffer_gl0_inv
	v_cmpx_eq_u32_e32 4, v253
	s_cbranch_execz .LBB125_66
; %bb.58:
	scratch_load_b128 v[16:19], v61, off
	s_mov_b32 s3, 0
	s_waitcnt vmcnt(0)
	ds_store_2addr_b64 v254, v[16:17], v[18:19] offset1:1
	.p2align	6
.LBB125_59:                             ; =>This Inner Loop Header: Depth=1
	v_add_nc_u32_e64 v0, s3, 0
	s_delay_alu instid0(VALU_DEP_1)
	v_add_nc_u32_e32 v1, 0x50, v0
	v_add_nc_u32_e32 v0, 0x60, v0
	s_clause 0x1
	scratch_load_b128 v[16:19], v1, off
	scratch_load_b128 v[20:23], v0, off
	v_add_nc_u32_e32 v0, s3, v24
	s_add_i32 s3, s3, 32
	s_waitcnt vmcnt(1)
	ds_store_2addr_b64 v0, v[16:17], v[18:19] offset1:1
	s_waitcnt vmcnt(0)
	ds_store_2addr_b64 v0, v[20:21], v[22:23] offset0:2 offset1:3
	s_cmpk_lg_i32 s3, 0x3a0
	s_cbranch_scc1 .LBB125_59
; %bb.60:
	ds_load_2addr_b64 v[16:19], v254 offset1:1
	s_waitcnt lgkmcnt(0)
	v_cmp_neq_f64_e32 vcc_lo, 0, v[16:17]
	v_cmp_neq_f64_e64 s3, 0, v[18:19]
	s_delay_alu instid0(VALU_DEP_1) | instskip(NEXT) | instid1(SALU_CYCLE_1)
	s_or_b32 s3, vcc_lo, s3
	s_and_b32 exec_lo, exec_lo, s3
	s_cbranch_execz .LBB125_66
; %bb.61:
	v_cmp_gt_f64_e32 vcc_lo, 0, v[16:17]
	v_cmp_gt_f64_e64 s3, 0, v[18:19]
	v_xor_b32_e32 v0, 0x80000000, v17
	v_xor_b32_e32 v4, 0x80000000, v19
	s_delay_alu instid0(VALU_DEP_2) | instskip(NEXT) | instid1(VALU_DEP_2)
	v_cndmask_b32_e32 v1, v17, v0, vcc_lo
	v_cndmask_b32_e64 v5, v19, v4, s3
	v_cndmask_b32_e32 v0, v16, v16, vcc_lo
	v_cndmask_b32_e64 v4, v18, v18, s3
	s_delay_alu instid0(VALU_DEP_1) | instskip(SKIP_1) | instid1(SALU_CYCLE_1)
	v_cmp_ngt_f64_e32 vcc_lo, v[0:1], v[4:5]
                                        ; implicit-def: $vgpr0_vgpr1
	s_and_saveexec_b32 s3, vcc_lo
	s_xor_b32 s3, exec_lo, s3
                                        ; implicit-def: $vgpr20_vgpr21_vgpr22_vgpr23
	s_cbranch_execz .LBB125_63
; %bb.62:
	v_div_scale_f64 v[0:1], null, v[18:19], v[18:19], v[16:17]
	v_div_scale_f64 v[20:21], vcc_lo, v[16:17], v[18:19], v[16:17]
	s_delay_alu instid0(VALU_DEP_2) | instskip(SKIP_2) | instid1(VALU_DEP_1)
	v_rcp_f64_e32 v[4:5], v[0:1]
	s_waitcnt_depctr 0xfff
	v_fma_f64 v[6:7], -v[0:1], v[4:5], 1.0
	v_fma_f64 v[4:5], v[4:5], v[6:7], v[4:5]
	s_delay_alu instid0(VALU_DEP_1) | instskip(NEXT) | instid1(VALU_DEP_1)
	v_fma_f64 v[6:7], -v[0:1], v[4:5], 1.0
	v_fma_f64 v[4:5], v[4:5], v[6:7], v[4:5]
	s_delay_alu instid0(VALU_DEP_1) | instskip(NEXT) | instid1(VALU_DEP_1)
	v_mul_f64 v[6:7], v[20:21], v[4:5]
	v_fma_f64 v[0:1], -v[0:1], v[6:7], v[20:21]
	s_delay_alu instid0(VALU_DEP_1) | instskip(NEXT) | instid1(VALU_DEP_1)
	v_div_fmas_f64 v[0:1], v[0:1], v[4:5], v[6:7]
	v_div_fixup_f64 v[0:1], v[0:1], v[18:19], v[16:17]
	s_delay_alu instid0(VALU_DEP_1) | instskip(NEXT) | instid1(VALU_DEP_1)
	v_fma_f64 v[4:5], v[16:17], v[0:1], v[18:19]
	v_div_scale_f64 v[6:7], null, v[4:5], v[4:5], 1.0
	s_delay_alu instid0(VALU_DEP_1) | instskip(SKIP_2) | instid1(VALU_DEP_1)
	v_rcp_f64_e32 v[16:17], v[6:7]
	s_waitcnt_depctr 0xfff
	v_fma_f64 v[18:19], -v[6:7], v[16:17], 1.0
	v_fma_f64 v[16:17], v[16:17], v[18:19], v[16:17]
	s_delay_alu instid0(VALU_DEP_1) | instskip(NEXT) | instid1(VALU_DEP_1)
	v_fma_f64 v[18:19], -v[6:7], v[16:17], 1.0
	v_fma_f64 v[16:17], v[16:17], v[18:19], v[16:17]
	v_div_scale_f64 v[18:19], vcc_lo, 1.0, v[4:5], 1.0
	s_delay_alu instid0(VALU_DEP_1) | instskip(NEXT) | instid1(VALU_DEP_1)
	v_mul_f64 v[20:21], v[18:19], v[16:17]
	v_fma_f64 v[6:7], -v[6:7], v[20:21], v[18:19]
	s_delay_alu instid0(VALU_DEP_1) | instskip(NEXT) | instid1(VALU_DEP_1)
	v_div_fmas_f64 v[6:7], v[6:7], v[16:17], v[20:21]
                                        ; implicit-def: $vgpr16_vgpr17
	v_div_fixup_f64 v[22:23], v[6:7], v[4:5], 1.0
	s_delay_alu instid0(VALU_DEP_1)
	v_mul_f64 v[0:1], v[0:1], v[22:23]
	v_xor_b32_e32 v23, 0x80000000, v23
.LBB125_63:
	s_and_not1_saveexec_b32 s3, s3
	s_cbranch_execz .LBB125_65
; %bb.64:
	v_div_scale_f64 v[0:1], null, v[16:17], v[16:17], v[18:19]
	v_div_scale_f64 v[20:21], vcc_lo, v[18:19], v[16:17], v[18:19]
	s_delay_alu instid0(VALU_DEP_2) | instskip(SKIP_2) | instid1(VALU_DEP_1)
	v_rcp_f64_e32 v[4:5], v[0:1]
	s_waitcnt_depctr 0xfff
	v_fma_f64 v[6:7], -v[0:1], v[4:5], 1.0
	v_fma_f64 v[4:5], v[4:5], v[6:7], v[4:5]
	s_delay_alu instid0(VALU_DEP_1) | instskip(NEXT) | instid1(VALU_DEP_1)
	v_fma_f64 v[6:7], -v[0:1], v[4:5], 1.0
	v_fma_f64 v[4:5], v[4:5], v[6:7], v[4:5]
	s_delay_alu instid0(VALU_DEP_1) | instskip(NEXT) | instid1(VALU_DEP_1)
	v_mul_f64 v[6:7], v[20:21], v[4:5]
	v_fma_f64 v[0:1], -v[0:1], v[6:7], v[20:21]
	s_delay_alu instid0(VALU_DEP_1) | instskip(NEXT) | instid1(VALU_DEP_1)
	v_div_fmas_f64 v[0:1], v[0:1], v[4:5], v[6:7]
	v_div_fixup_f64 v[4:5], v[0:1], v[16:17], v[18:19]
	s_delay_alu instid0(VALU_DEP_1) | instskip(NEXT) | instid1(VALU_DEP_1)
	v_fma_f64 v[0:1], v[18:19], v[4:5], v[16:17]
	v_div_scale_f64 v[6:7], null, v[0:1], v[0:1], 1.0
	s_delay_alu instid0(VALU_DEP_1) | instskip(SKIP_2) | instid1(VALU_DEP_1)
	v_rcp_f64_e32 v[16:17], v[6:7]
	s_waitcnt_depctr 0xfff
	v_fma_f64 v[18:19], -v[6:7], v[16:17], 1.0
	v_fma_f64 v[16:17], v[16:17], v[18:19], v[16:17]
	s_delay_alu instid0(VALU_DEP_1) | instskip(NEXT) | instid1(VALU_DEP_1)
	v_fma_f64 v[18:19], -v[6:7], v[16:17], 1.0
	v_fma_f64 v[16:17], v[16:17], v[18:19], v[16:17]
	v_div_scale_f64 v[18:19], vcc_lo, 1.0, v[0:1], 1.0
	s_delay_alu instid0(VALU_DEP_1) | instskip(NEXT) | instid1(VALU_DEP_1)
	v_mul_f64 v[20:21], v[18:19], v[16:17]
	v_fma_f64 v[6:7], -v[6:7], v[20:21], v[18:19]
	s_delay_alu instid0(VALU_DEP_1) | instskip(NEXT) | instid1(VALU_DEP_1)
	v_div_fmas_f64 v[6:7], v[6:7], v[16:17], v[20:21]
	v_div_fixup_f64 v[0:1], v[6:7], v[0:1], 1.0
	s_delay_alu instid0(VALU_DEP_1)
	v_mul_f64 v[22:23], v[4:5], -v[0:1]
.LBB125_65:
	s_or_b32 exec_lo, exec_lo, s3
	ds_store_2addr_b64 v254, v[0:1], v[22:23] offset1:1
.LBB125_66:
	s_or_b32 exec_lo, exec_lo, s4
	s_waitcnt lgkmcnt(0)
	s_barrier
	buffer_gl0_inv
	ds_load_2addr_b64 v[16:19], v254 offset1:1
	s_mov_b32 s3, exec_lo
	v_cmpx_lt_u32_e32 4, v253
	s_cbranch_execz .LBB125_69
; %bb.67:
	scratch_load_b128 v[25:28], off, off offset:64
	s_mov_b32 s4, 0
	s_waitcnt vmcnt(0) lgkmcnt(0)
	v_mul_f64 v[0:1], v[18:19], v[27:28]
	v_mul_f64 v[4:5], v[16:17], v[27:28]
	s_delay_alu instid0(VALU_DEP_2) | instskip(NEXT) | instid1(VALU_DEP_2)
	v_fma_f64 v[20:21], v[16:17], v[25:26], -v[0:1]
	v_fma_f64 v[22:23], v[18:19], v[25:26], v[4:5]
	scratch_store_b128 off, v[20:23], off offset:64
	s_set_inst_prefetch_distance 0x1
	.p2align	6
.LBB125_68:                             ; =>This Inner Loop Header: Depth=1
	v_add_nc_u32_e64 v0, s4, 0
	s_delay_alu instid0(VALU_DEP_1)
	v_add_nc_u32_e32 v43, 0x50, v0
	v_add_nc_u32_e32 v44, 0x60, v0
	;; [unrolled: 1-line block ×3, first 2 shown]
	s_add_i32 s4, s4, 32
	s_clause 0x1
	scratch_load_b128 v[25:28], v43, off
	scratch_load_b128 v[29:32], v44, off
	ds_load_2addr_b64 v[33:36], v0 offset1:1
	ds_load_2addr_b64 v[37:40], v0 offset0:2 offset1:3
	s_cmpk_lg_i32 s4, 0x3a0
	s_waitcnt lgkmcnt(1)
	v_mul_f64 v[0:1], v[35:36], v[22:23]
	v_mul_f64 v[4:5], v[33:34], v[22:23]
	s_waitcnt lgkmcnt(0)
	v_mul_f64 v[6:7], v[39:40], v[22:23]
	v_mul_f64 v[41:42], v[37:38], v[22:23]
	s_delay_alu instid0(VALU_DEP_4) | instskip(NEXT) | instid1(VALU_DEP_4)
	v_fma_f64 v[0:1], v[33:34], v[20:21], -v[0:1]
	v_fma_f64 v[4:5], v[35:36], v[20:21], v[4:5]
	s_delay_alu instid0(VALU_DEP_4) | instskip(NEXT) | instid1(VALU_DEP_4)
	v_fma_f64 v[6:7], v[37:38], v[20:21], -v[6:7]
	v_fma_f64 v[33:34], v[39:40], v[20:21], v[41:42]
	s_waitcnt vmcnt(1)
	s_delay_alu instid0(VALU_DEP_4) | instskip(NEXT) | instid1(VALU_DEP_4)
	v_add_f64 v[25:26], v[25:26], -v[0:1]
	v_add_f64 v[27:28], v[27:28], -v[4:5]
	s_waitcnt vmcnt(0)
	s_delay_alu instid0(VALU_DEP_4) | instskip(NEXT) | instid1(VALU_DEP_4)
	v_add_f64 v[29:30], v[29:30], -v[6:7]
	v_add_f64 v[31:32], v[31:32], -v[33:34]
	s_clause 0x1
	scratch_store_b128 v43, v[25:28], off
	scratch_store_b128 v44, v[29:32], off
	s_cbranch_scc1 .LBB125_68
.LBB125_69:
	s_set_inst_prefetch_distance 0x2
	s_or_b32 exec_lo, exec_lo, s3
	v_add3_u32 v28, v184, 0, 0x60
	s_mov_b32 s4, exec_lo
	s_waitcnt lgkmcnt(0)
	s_waitcnt_vscnt null, 0x0
	s_barrier
	buffer_gl0_inv
	v_cmpx_eq_u32_e32 5, v253
	s_cbranch_execz .LBB125_78
; %bb.70:
	scratch_load_b128 v[20:23], v78, off
	v_mov_b32_e32 v0, 0
	s_mov_b32 s3, 0
	s_waitcnt vmcnt(0)
	ds_store_2addr_b64 v254, v[20:21], v[22:23] offset1:1
	.p2align	6
.LBB125_71:                             ; =>This Inner Loop Header: Depth=1
	v_readfirstlane_b32 s5, v0
	v_add_nc_u32_e32 v1, s3, v28
	s_delay_alu instid0(VALU_DEP_2)
	s_add_i32 s5, s5, s3
	s_add_i32 s3, s3, 48
	;; [unrolled: 1-line block ×4, first 2 shown]
	s_addk_i32 s5, 0x80
	s_clause 0x2
	scratch_load_b128 v[20:23], off, s6
	scratch_load_b128 v[24:27], off, s7
	;; [unrolled: 1-line block ×3, first 2 shown]
	s_cmpk_lg_i32 s3, 0x390
	s_waitcnt vmcnt(2)
	ds_store_2addr_b64 v1, v[20:21], v[22:23] offset1:1
	s_waitcnt vmcnt(1)
	ds_store_2addr_b64 v1, v[24:25], v[26:27] offset0:2 offset1:3
	s_waitcnt vmcnt(0)
	ds_store_2addr_b64 v1, v[29:30], v[31:32] offset0:4 offset1:5
	s_cbranch_scc1 .LBB125_71
; %bb.72:
	ds_load_2addr_b64 v[20:23], v254 offset1:1
	s_waitcnt lgkmcnt(0)
	v_cmp_neq_f64_e32 vcc_lo, 0, v[20:21]
	v_cmp_neq_f64_e64 s3, 0, v[22:23]
	s_delay_alu instid0(VALU_DEP_1) | instskip(NEXT) | instid1(SALU_CYCLE_1)
	s_or_b32 s3, vcc_lo, s3
	s_and_b32 exec_lo, exec_lo, s3
	s_cbranch_execz .LBB125_78
; %bb.73:
	v_cmp_gt_f64_e32 vcc_lo, 0, v[20:21]
	v_cmp_gt_f64_e64 s3, 0, v[22:23]
	v_xor_b32_e32 v0, 0x80000000, v21
	v_xor_b32_e32 v4, 0x80000000, v23
	s_delay_alu instid0(VALU_DEP_2) | instskip(NEXT) | instid1(VALU_DEP_2)
	v_cndmask_b32_e32 v1, v21, v0, vcc_lo
	v_cndmask_b32_e64 v5, v23, v4, s3
	v_cndmask_b32_e32 v0, v20, v20, vcc_lo
	v_cndmask_b32_e64 v4, v22, v22, s3
	s_delay_alu instid0(VALU_DEP_1) | instskip(SKIP_1) | instid1(SALU_CYCLE_1)
	v_cmp_ngt_f64_e32 vcc_lo, v[0:1], v[4:5]
                                        ; implicit-def: $vgpr0_vgpr1
	s_and_saveexec_b32 s3, vcc_lo
	s_xor_b32 s3, exec_lo, s3
                                        ; implicit-def: $vgpr24_vgpr25_vgpr26_vgpr27
	s_cbranch_execz .LBB125_75
; %bb.74:
	v_div_scale_f64 v[0:1], null, v[22:23], v[22:23], v[20:21]
	v_div_scale_f64 v[24:25], vcc_lo, v[20:21], v[22:23], v[20:21]
	s_delay_alu instid0(VALU_DEP_2) | instskip(SKIP_2) | instid1(VALU_DEP_1)
	v_rcp_f64_e32 v[4:5], v[0:1]
	s_waitcnt_depctr 0xfff
	v_fma_f64 v[6:7], -v[0:1], v[4:5], 1.0
	v_fma_f64 v[4:5], v[4:5], v[6:7], v[4:5]
	s_delay_alu instid0(VALU_DEP_1) | instskip(NEXT) | instid1(VALU_DEP_1)
	v_fma_f64 v[6:7], -v[0:1], v[4:5], 1.0
	v_fma_f64 v[4:5], v[4:5], v[6:7], v[4:5]
	s_delay_alu instid0(VALU_DEP_1) | instskip(NEXT) | instid1(VALU_DEP_1)
	v_mul_f64 v[6:7], v[24:25], v[4:5]
	v_fma_f64 v[0:1], -v[0:1], v[6:7], v[24:25]
	s_delay_alu instid0(VALU_DEP_1) | instskip(NEXT) | instid1(VALU_DEP_1)
	v_div_fmas_f64 v[0:1], v[0:1], v[4:5], v[6:7]
	v_div_fixup_f64 v[0:1], v[0:1], v[22:23], v[20:21]
	s_delay_alu instid0(VALU_DEP_1) | instskip(NEXT) | instid1(VALU_DEP_1)
	v_fma_f64 v[4:5], v[20:21], v[0:1], v[22:23]
	v_div_scale_f64 v[6:7], null, v[4:5], v[4:5], 1.0
	s_delay_alu instid0(VALU_DEP_1) | instskip(SKIP_2) | instid1(VALU_DEP_1)
	v_rcp_f64_e32 v[20:21], v[6:7]
	s_waitcnt_depctr 0xfff
	v_fma_f64 v[22:23], -v[6:7], v[20:21], 1.0
	v_fma_f64 v[20:21], v[20:21], v[22:23], v[20:21]
	s_delay_alu instid0(VALU_DEP_1) | instskip(NEXT) | instid1(VALU_DEP_1)
	v_fma_f64 v[22:23], -v[6:7], v[20:21], 1.0
	v_fma_f64 v[20:21], v[20:21], v[22:23], v[20:21]
	v_div_scale_f64 v[22:23], vcc_lo, 1.0, v[4:5], 1.0
	s_delay_alu instid0(VALU_DEP_1) | instskip(NEXT) | instid1(VALU_DEP_1)
	v_mul_f64 v[24:25], v[22:23], v[20:21]
	v_fma_f64 v[6:7], -v[6:7], v[24:25], v[22:23]
	s_delay_alu instid0(VALU_DEP_1) | instskip(NEXT) | instid1(VALU_DEP_1)
	v_div_fmas_f64 v[6:7], v[6:7], v[20:21], v[24:25]
                                        ; implicit-def: $vgpr20_vgpr21
	v_div_fixup_f64 v[26:27], v[6:7], v[4:5], 1.0
	s_delay_alu instid0(VALU_DEP_1)
	v_mul_f64 v[0:1], v[0:1], v[26:27]
	v_xor_b32_e32 v27, 0x80000000, v27
.LBB125_75:
	s_and_not1_saveexec_b32 s3, s3
	s_cbranch_execz .LBB125_77
; %bb.76:
	v_div_scale_f64 v[0:1], null, v[20:21], v[20:21], v[22:23]
	v_div_scale_f64 v[24:25], vcc_lo, v[22:23], v[20:21], v[22:23]
	s_delay_alu instid0(VALU_DEP_2) | instskip(SKIP_2) | instid1(VALU_DEP_1)
	v_rcp_f64_e32 v[4:5], v[0:1]
	s_waitcnt_depctr 0xfff
	v_fma_f64 v[6:7], -v[0:1], v[4:5], 1.0
	v_fma_f64 v[4:5], v[4:5], v[6:7], v[4:5]
	s_delay_alu instid0(VALU_DEP_1) | instskip(NEXT) | instid1(VALU_DEP_1)
	v_fma_f64 v[6:7], -v[0:1], v[4:5], 1.0
	v_fma_f64 v[4:5], v[4:5], v[6:7], v[4:5]
	s_delay_alu instid0(VALU_DEP_1) | instskip(NEXT) | instid1(VALU_DEP_1)
	v_mul_f64 v[6:7], v[24:25], v[4:5]
	v_fma_f64 v[0:1], -v[0:1], v[6:7], v[24:25]
	s_delay_alu instid0(VALU_DEP_1) | instskip(NEXT) | instid1(VALU_DEP_1)
	v_div_fmas_f64 v[0:1], v[0:1], v[4:5], v[6:7]
	v_div_fixup_f64 v[4:5], v[0:1], v[20:21], v[22:23]
	s_delay_alu instid0(VALU_DEP_1) | instskip(NEXT) | instid1(VALU_DEP_1)
	v_fma_f64 v[0:1], v[22:23], v[4:5], v[20:21]
	v_div_scale_f64 v[6:7], null, v[0:1], v[0:1], 1.0
	s_delay_alu instid0(VALU_DEP_1) | instskip(SKIP_2) | instid1(VALU_DEP_1)
	v_rcp_f64_e32 v[20:21], v[6:7]
	s_waitcnt_depctr 0xfff
	v_fma_f64 v[22:23], -v[6:7], v[20:21], 1.0
	v_fma_f64 v[20:21], v[20:21], v[22:23], v[20:21]
	s_delay_alu instid0(VALU_DEP_1) | instskip(NEXT) | instid1(VALU_DEP_1)
	v_fma_f64 v[22:23], -v[6:7], v[20:21], 1.0
	v_fma_f64 v[20:21], v[20:21], v[22:23], v[20:21]
	v_div_scale_f64 v[22:23], vcc_lo, 1.0, v[0:1], 1.0
	s_delay_alu instid0(VALU_DEP_1) | instskip(NEXT) | instid1(VALU_DEP_1)
	v_mul_f64 v[24:25], v[22:23], v[20:21]
	v_fma_f64 v[6:7], -v[6:7], v[24:25], v[22:23]
	s_delay_alu instid0(VALU_DEP_1) | instskip(NEXT) | instid1(VALU_DEP_1)
	v_div_fmas_f64 v[6:7], v[6:7], v[20:21], v[24:25]
	v_div_fixup_f64 v[0:1], v[6:7], v[0:1], 1.0
	s_delay_alu instid0(VALU_DEP_1)
	v_mul_f64 v[26:27], v[4:5], -v[0:1]
.LBB125_77:
	s_or_b32 exec_lo, exec_lo, s3
	ds_store_2addr_b64 v254, v[0:1], v[26:27] offset1:1
.LBB125_78:
	s_or_b32 exec_lo, exec_lo, s4
	s_waitcnt lgkmcnt(0)
	s_barrier
	buffer_gl0_inv
	ds_load_2addr_b64 v[20:23], v254 offset1:1
	s_mov_b32 s3, exec_lo
	v_cmpx_lt_u32_e32 5, v253
	s_cbranch_execz .LBB125_81
; %bb.79:
	scratch_load_b128 v[29:32], off, off offset:80
	s_mov_b32 s4, 0
	s_waitcnt vmcnt(0) lgkmcnt(0)
	v_mul_f64 v[0:1], v[22:23], v[31:32]
	v_mul_f64 v[4:5], v[20:21], v[31:32]
	s_delay_alu instid0(VALU_DEP_2) | instskip(NEXT) | instid1(VALU_DEP_2)
	v_fma_f64 v[24:25], v[20:21], v[29:30], -v[0:1]
	v_fma_f64 v[26:27], v[22:23], v[29:30], v[4:5]
	v_mov_b32_e32 v0, 0
	scratch_store_b128 off, v[24:27], off offset:80
.LBB125_80:                             ; =>This Inner Loop Header: Depth=1
	v_readfirstlane_b32 s5, v0
	v_add_nc_u32_e32 v1, s4, v28
	s_delay_alu instid0(VALU_DEP_2)
	s_add_i32 s5, s5, s4
	s_add_i32 s4, s4, 48
	;; [unrolled: 1-line block ×4, first 2 shown]
	s_addk_i32 s5, 0x80
	s_clause 0x2
	scratch_load_b128 v[29:32], off, s6
	scratch_load_b128 v[33:36], off, s7
	;; [unrolled: 1-line block ×3, first 2 shown]
	ds_load_2addr_b64 v[41:44], v1 offset1:1
	ds_load_2addr_b64 v[45:48], v1 offset0:2 offset1:3
	ds_load_2addr_b64 v[49:52], v1 offset0:4 offset1:5
	s_cmpk_lg_i32 s4, 0x390
	s_waitcnt lgkmcnt(2)
	v_mul_f64 v[4:5], v[43:44], v[26:27]
	v_mul_f64 v[6:7], v[41:42], v[26:27]
	s_waitcnt lgkmcnt(1)
	v_mul_f64 v[53:54], v[47:48], v[26:27]
	s_delay_alu instid0(VALU_DEP_3) | instskip(SKIP_1) | instid1(VALU_DEP_4)
	v_fma_f64 v[4:5], v[41:42], v[24:25], -v[4:5]
	v_mul_f64 v[41:42], v[45:46], v[26:27]
	v_fma_f64 v[6:7], v[43:44], v[24:25], v[6:7]
	s_waitcnt lgkmcnt(0)
	v_mul_f64 v[43:44], v[51:52], v[26:27]
	v_fma_f64 v[45:46], v[45:46], v[24:25], -v[53:54]
	s_delay_alu instid0(VALU_DEP_4) | instskip(SKIP_1) | instid1(VALU_DEP_4)
	v_fma_f64 v[41:42], v[47:48], v[24:25], v[41:42]
	v_mul_f64 v[47:48], v[49:50], v[26:27]
	v_fma_f64 v[43:44], v[49:50], v[24:25], -v[43:44]
	s_delay_alu instid0(VALU_DEP_2)
	v_fma_f64 v[47:48], v[51:52], v[24:25], v[47:48]
	s_waitcnt vmcnt(2)
	v_add_f64 v[29:30], v[29:30], -v[4:5]
	v_add_f64 v[31:32], v[31:32], -v[6:7]
	s_waitcnt vmcnt(1)
	v_add_f64 v[33:34], v[33:34], -v[45:46]
	v_add_f64 v[35:36], v[35:36], -v[41:42]
	;; [unrolled: 3-line block ×3, first 2 shown]
	s_clause 0x2
	scratch_store_b128 off, v[29:32], s6
	scratch_store_b128 off, v[33:36], s7
	;; [unrolled: 1-line block ×3, first 2 shown]
	s_cbranch_scc1 .LBB125_80
.LBB125_81:
	s_or_b32 exec_lo, exec_lo, s3
	v_add3_u32 v32, v184, 0, 0x70
	s_mov_b32 s4, exec_lo
	s_waitcnt lgkmcnt(0)
	s_waitcnt_vscnt null, 0x0
	s_barrier
	buffer_gl0_inv
	v_cmpx_eq_u32_e32 6, v253
	s_cbranch_execz .LBB125_90
; %bb.82:
	scratch_load_b128 v[24:27], v77, off
	v_mov_b32_e32 v0, 0
	s_movk_i32 s3, 0xfc80
	s_waitcnt vmcnt(0)
	ds_store_2addr_b64 v254, v[24:25], v[26:27] offset1:1
.LBB125_83:                             ; =>This Inner Loop Header: Depth=1
	v_readfirstlane_b32 s5, v0
	v_add_nc_u32_e32 v1, s3, v32
	s_delay_alu instid0(VALU_DEP_2)
	s_add_i32 s5, s5, s3
	s_addk_i32 s3, 0xe0
	s_add_i32 s6, s5, 0x3f0
	s_add_i32 s7, s5, 0x400
	s_add_i32 s8, s5, 0x410
	s_add_i32 s9, s5, 0x420
	s_add_i32 s10, s5, 0x430
	s_add_i32 s12, s5, 0x440
	s_add_i32 s13, s5, 0x450
	s_add_i32 s14, s5, 0x460
	s_clause 0x7
	scratch_load_b128 v[24:27], off, s6
	scratch_load_b128 v[28:31], off, s7
	;; [unrolled: 1-line block ×8, first 2 shown]
	s_add_i32 s15, s5, 0x470
	s_add_i32 s16, s5, 0x480
	;; [unrolled: 1-line block ×5, first 2 shown]
	s_addk_i32 s5, 0x4c0
	s_cmp_lg_u32 s3, 0
	s_waitcnt vmcnt(7)
	ds_store_2addr_b64 v1, v[24:25], v[26:27] offset0:112 offset1:113
	s_waitcnt vmcnt(6)
	ds_store_2addr_b64 v1, v[28:29], v[30:31] offset0:114 offset1:115
	s_clause 0x1
	scratch_load_b128 v[24:27], off, s15
	scratch_load_b128 v[28:31], off, s16
	s_waitcnt vmcnt(7)
	ds_store_2addr_b64 v1, v[33:34], v[35:36] offset0:116 offset1:117
	s_waitcnt vmcnt(6)
	ds_store_2addr_b64 v1, v[37:38], v[39:40] offset0:118 offset1:119
	s_clause 0x1
	scratch_load_b128 v[33:36], off, s17
	scratch_load_b128 v[37:40], off, s18
	;; [unrolled: 7-line block ×3, first 2 shown]
	s_waitcnt vmcnt(7)
	ds_store_2addr_b64 v1, v[49:50], v[51:52] offset0:124 offset1:125
	s_waitcnt vmcnt(6)
	ds_store_2addr_b64 v1, v[53:54], v[55:56] offset0:126 offset1:127
	;; [unrolled: 2-line block ×8, first 2 shown]
	s_cbranch_scc1 .LBB125_83
; %bb.84:
	ds_load_2addr_b64 v[24:27], v254 offset1:1
	s_waitcnt lgkmcnt(0)
	v_cmp_neq_f64_e32 vcc_lo, 0, v[24:25]
	v_cmp_neq_f64_e64 s3, 0, v[26:27]
	s_delay_alu instid0(VALU_DEP_1) | instskip(NEXT) | instid1(SALU_CYCLE_1)
	s_or_b32 s3, vcc_lo, s3
	s_and_b32 exec_lo, exec_lo, s3
	s_cbranch_execz .LBB125_90
; %bb.85:
	v_cmp_gt_f64_e32 vcc_lo, 0, v[24:25]
	v_cmp_gt_f64_e64 s3, 0, v[26:27]
	v_xor_b32_e32 v0, 0x80000000, v25
	v_xor_b32_e32 v4, 0x80000000, v27
	s_delay_alu instid0(VALU_DEP_2) | instskip(NEXT) | instid1(VALU_DEP_2)
	v_cndmask_b32_e32 v1, v25, v0, vcc_lo
	v_cndmask_b32_e64 v5, v27, v4, s3
	v_cndmask_b32_e32 v0, v24, v24, vcc_lo
	v_cndmask_b32_e64 v4, v26, v26, s3
	s_delay_alu instid0(VALU_DEP_1) | instskip(SKIP_1) | instid1(SALU_CYCLE_1)
	v_cmp_ngt_f64_e32 vcc_lo, v[0:1], v[4:5]
                                        ; implicit-def: $vgpr0_vgpr1
	s_and_saveexec_b32 s3, vcc_lo
	s_xor_b32 s3, exec_lo, s3
                                        ; implicit-def: $vgpr28_vgpr29_vgpr30_vgpr31
	s_cbranch_execz .LBB125_87
; %bb.86:
	v_div_scale_f64 v[0:1], null, v[26:27], v[26:27], v[24:25]
	v_div_scale_f64 v[28:29], vcc_lo, v[24:25], v[26:27], v[24:25]
	s_delay_alu instid0(VALU_DEP_2) | instskip(SKIP_2) | instid1(VALU_DEP_1)
	v_rcp_f64_e32 v[4:5], v[0:1]
	s_waitcnt_depctr 0xfff
	v_fma_f64 v[6:7], -v[0:1], v[4:5], 1.0
	v_fma_f64 v[4:5], v[4:5], v[6:7], v[4:5]
	s_delay_alu instid0(VALU_DEP_1) | instskip(NEXT) | instid1(VALU_DEP_1)
	v_fma_f64 v[6:7], -v[0:1], v[4:5], 1.0
	v_fma_f64 v[4:5], v[4:5], v[6:7], v[4:5]
	s_delay_alu instid0(VALU_DEP_1) | instskip(NEXT) | instid1(VALU_DEP_1)
	v_mul_f64 v[6:7], v[28:29], v[4:5]
	v_fma_f64 v[0:1], -v[0:1], v[6:7], v[28:29]
	s_delay_alu instid0(VALU_DEP_1) | instskip(NEXT) | instid1(VALU_DEP_1)
	v_div_fmas_f64 v[0:1], v[0:1], v[4:5], v[6:7]
	v_div_fixup_f64 v[0:1], v[0:1], v[26:27], v[24:25]
	s_delay_alu instid0(VALU_DEP_1) | instskip(NEXT) | instid1(VALU_DEP_1)
	v_fma_f64 v[4:5], v[24:25], v[0:1], v[26:27]
	v_div_scale_f64 v[6:7], null, v[4:5], v[4:5], 1.0
	s_delay_alu instid0(VALU_DEP_1) | instskip(SKIP_2) | instid1(VALU_DEP_1)
	v_rcp_f64_e32 v[24:25], v[6:7]
	s_waitcnt_depctr 0xfff
	v_fma_f64 v[26:27], -v[6:7], v[24:25], 1.0
	v_fma_f64 v[24:25], v[24:25], v[26:27], v[24:25]
	s_delay_alu instid0(VALU_DEP_1) | instskip(NEXT) | instid1(VALU_DEP_1)
	v_fma_f64 v[26:27], -v[6:7], v[24:25], 1.0
	v_fma_f64 v[24:25], v[24:25], v[26:27], v[24:25]
	v_div_scale_f64 v[26:27], vcc_lo, 1.0, v[4:5], 1.0
	s_delay_alu instid0(VALU_DEP_1) | instskip(NEXT) | instid1(VALU_DEP_1)
	v_mul_f64 v[28:29], v[26:27], v[24:25]
	v_fma_f64 v[6:7], -v[6:7], v[28:29], v[26:27]
	s_delay_alu instid0(VALU_DEP_1) | instskip(NEXT) | instid1(VALU_DEP_1)
	v_div_fmas_f64 v[6:7], v[6:7], v[24:25], v[28:29]
                                        ; implicit-def: $vgpr24_vgpr25
	v_div_fixup_f64 v[30:31], v[6:7], v[4:5], 1.0
	s_delay_alu instid0(VALU_DEP_1)
	v_mul_f64 v[0:1], v[0:1], v[30:31]
	v_xor_b32_e32 v31, 0x80000000, v31
.LBB125_87:
	s_and_not1_saveexec_b32 s3, s3
	s_cbranch_execz .LBB125_89
; %bb.88:
	v_div_scale_f64 v[0:1], null, v[24:25], v[24:25], v[26:27]
	v_div_scale_f64 v[28:29], vcc_lo, v[26:27], v[24:25], v[26:27]
	s_delay_alu instid0(VALU_DEP_2) | instskip(SKIP_2) | instid1(VALU_DEP_1)
	v_rcp_f64_e32 v[4:5], v[0:1]
	s_waitcnt_depctr 0xfff
	v_fma_f64 v[6:7], -v[0:1], v[4:5], 1.0
	v_fma_f64 v[4:5], v[4:5], v[6:7], v[4:5]
	s_delay_alu instid0(VALU_DEP_1) | instskip(NEXT) | instid1(VALU_DEP_1)
	v_fma_f64 v[6:7], -v[0:1], v[4:5], 1.0
	v_fma_f64 v[4:5], v[4:5], v[6:7], v[4:5]
	s_delay_alu instid0(VALU_DEP_1) | instskip(NEXT) | instid1(VALU_DEP_1)
	v_mul_f64 v[6:7], v[28:29], v[4:5]
	v_fma_f64 v[0:1], -v[0:1], v[6:7], v[28:29]
	s_delay_alu instid0(VALU_DEP_1) | instskip(NEXT) | instid1(VALU_DEP_1)
	v_div_fmas_f64 v[0:1], v[0:1], v[4:5], v[6:7]
	v_div_fixup_f64 v[4:5], v[0:1], v[24:25], v[26:27]
	s_delay_alu instid0(VALU_DEP_1) | instskip(NEXT) | instid1(VALU_DEP_1)
	v_fma_f64 v[0:1], v[26:27], v[4:5], v[24:25]
	v_div_scale_f64 v[6:7], null, v[0:1], v[0:1], 1.0
	s_delay_alu instid0(VALU_DEP_1) | instskip(SKIP_2) | instid1(VALU_DEP_1)
	v_rcp_f64_e32 v[24:25], v[6:7]
	s_waitcnt_depctr 0xfff
	v_fma_f64 v[26:27], -v[6:7], v[24:25], 1.0
	v_fma_f64 v[24:25], v[24:25], v[26:27], v[24:25]
	s_delay_alu instid0(VALU_DEP_1) | instskip(NEXT) | instid1(VALU_DEP_1)
	v_fma_f64 v[26:27], -v[6:7], v[24:25], 1.0
	v_fma_f64 v[24:25], v[24:25], v[26:27], v[24:25]
	v_div_scale_f64 v[26:27], vcc_lo, 1.0, v[0:1], 1.0
	s_delay_alu instid0(VALU_DEP_1) | instskip(NEXT) | instid1(VALU_DEP_1)
	v_mul_f64 v[28:29], v[26:27], v[24:25]
	v_fma_f64 v[6:7], -v[6:7], v[28:29], v[26:27]
	s_delay_alu instid0(VALU_DEP_1) | instskip(NEXT) | instid1(VALU_DEP_1)
	v_div_fmas_f64 v[6:7], v[6:7], v[24:25], v[28:29]
	v_div_fixup_f64 v[0:1], v[6:7], v[0:1], 1.0
	s_delay_alu instid0(VALU_DEP_1)
	v_mul_f64 v[30:31], v[4:5], -v[0:1]
.LBB125_89:
	s_or_b32 exec_lo, exec_lo, s3
	ds_store_2addr_b64 v254, v[0:1], v[30:31] offset1:1
.LBB125_90:
	s_or_b32 exec_lo, exec_lo, s4
	s_waitcnt lgkmcnt(0)
	s_barrier
	buffer_gl0_inv
	ds_load_2addr_b64 v[24:27], v254 offset1:1
	s_mov_b32 s3, exec_lo
	v_cmpx_lt_u32_e32 6, v253
	s_cbranch_execz .LBB125_93
; %bb.91:
	scratch_load_b128 v[33:36], off, off offset:96
	s_mov_b32 s4, 0
	s_waitcnt vmcnt(0) lgkmcnt(0)
	v_mul_f64 v[0:1], v[26:27], v[35:36]
	v_mul_f64 v[4:5], v[24:25], v[35:36]
	s_delay_alu instid0(VALU_DEP_2) | instskip(NEXT) | instid1(VALU_DEP_2)
	v_fma_f64 v[28:29], v[24:25], v[33:34], -v[0:1]
	v_fma_f64 v[30:31], v[26:27], v[33:34], v[4:5]
	v_mov_b32_e32 v0, 0
	scratch_store_b128 off, v[28:31], off offset:96
.LBB125_92:                             ; =>This Inner Loop Header: Depth=1
	v_add_nc_u32_e32 v1, s4, v32
	v_readfirstlane_b32 s5, v0
	ds_load_2addr_b64 v[33:36], v1 offset1:1
	s_add_i32 s5, s5, s4
	s_addk_i32 s4, 0x70
	s_add_i32 s6, s5, 0x70
	s_waitcnt lgkmcnt(0)
	v_mul_f64 v[4:5], v[35:36], v[30:31]
	v_mul_f64 v[6:7], v[33:34], v[30:31]
	s_delay_alu instid0(VALU_DEP_2) | instskip(NEXT) | instid1(VALU_DEP_2)
	v_fma_f64 v[4:5], v[33:34], v[28:29], -v[4:5]
	v_fma_f64 v[6:7], v[35:36], v[28:29], v[6:7]
	scratch_load_b128 v[33:36], off, s6
	s_waitcnt vmcnt(0)
	v_add_f64 v[33:34], v[33:34], -v[4:5]
	v_add_f64 v[35:36], v[35:36], -v[6:7]
	scratch_store_b128 off, v[33:36], s6
	ds_load_2addr_b64 v[33:36], v1 offset0:2 offset1:3
	s_add_i32 s6, s5, 0x80
	s_waitcnt lgkmcnt(0)
	v_mul_f64 v[4:5], v[35:36], v[30:31]
	v_mul_f64 v[6:7], v[33:34], v[30:31]
	s_delay_alu instid0(VALU_DEP_2) | instskip(NEXT) | instid1(VALU_DEP_2)
	v_fma_f64 v[4:5], v[33:34], v[28:29], -v[4:5]
	v_fma_f64 v[6:7], v[35:36], v[28:29], v[6:7]
	scratch_load_b128 v[33:36], off, s6
	s_waitcnt vmcnt(0)
	v_add_f64 v[33:34], v[33:34], -v[4:5]
	v_add_f64 v[35:36], v[35:36], -v[6:7]
	scratch_store_b128 off, v[33:36], s6
	ds_load_2addr_b64 v[33:36], v1 offset0:4 offset1:5
	;; [unrolled: 13-line block ×5, first 2 shown]
	s_add_i32 s6, s5, 0xc0
	s_addk_i32 s5, 0xd0
	s_cmpk_lg_i32 s4, 0x380
	s_waitcnt lgkmcnt(0)
	v_mul_f64 v[4:5], v[35:36], v[30:31]
	v_mul_f64 v[6:7], v[33:34], v[30:31]
	s_delay_alu instid0(VALU_DEP_2) | instskip(NEXT) | instid1(VALU_DEP_2)
	v_fma_f64 v[4:5], v[33:34], v[28:29], -v[4:5]
	v_fma_f64 v[6:7], v[35:36], v[28:29], v[6:7]
	scratch_load_b128 v[28:31], off, s6
	ds_load_2addr_b64 v[33:36], v1 offset0:12 offset1:13
	s_waitcnt vmcnt(0)
	v_add_f64 v[28:29], v[28:29], -v[4:5]
	v_add_f64 v[30:31], v[30:31], -v[6:7]
	scratch_store_b128 off, v[28:31], s6
	scratch_load_b128 v[28:31], off, off offset:96
	s_waitcnt vmcnt(0) lgkmcnt(0)
	v_mul_f64 v[4:5], v[35:36], v[30:31]
	v_mul_f64 v[6:7], v[33:34], v[30:31]
	s_delay_alu instid0(VALU_DEP_2) | instskip(NEXT) | instid1(VALU_DEP_2)
	v_fma_f64 v[4:5], v[33:34], v[28:29], -v[4:5]
	v_fma_f64 v[6:7], v[35:36], v[28:29], v[6:7]
	scratch_load_b128 v[33:36], off, s5
	s_waitcnt vmcnt(0)
	v_add_f64 v[33:34], v[33:34], -v[4:5]
	v_add_f64 v[35:36], v[35:36], -v[6:7]
	scratch_store_b128 off, v[33:36], s5
	s_cbranch_scc1 .LBB125_92
.LBB125_93:
	s_or_b32 exec_lo, exec_lo, s3
	v_add3_u32 v36, v184, 0, 0x80
	s_mov_b32 s4, exec_lo
	s_waitcnt lgkmcnt(0)
	s_waitcnt_vscnt null, 0x0
	s_barrier
	buffer_gl0_inv
	v_cmpx_eq_u32_e32 7, v253
	s_cbranch_execz .LBB125_102
; %bb.94:
	scratch_load_b128 v[28:31], v76, off
	v_mov_b32_e32 v0, 0
	s_movk_i32 s3, 0xfc90
	s_waitcnt vmcnt(0)
	ds_store_2addr_b64 v254, v[28:29], v[30:31] offset1:1
.LBB125_95:                             ; =>This Inner Loop Header: Depth=1
	v_readfirstlane_b32 s5, v0
	v_add_nc_u32_e32 v1, s3, v36
	s_delay_alu instid0(VALU_DEP_2)
	s_add_i32 s5, s5, s3
	s_addk_i32 s3, 0xb0
	s_add_i32 s6, s5, 0x3f0
	scratch_load_b128 v[28:31], off, s6
	s_add_i32 s6, s5, 0x400
	s_waitcnt vmcnt(0)
	ds_store_2addr_b64 v1, v[28:29], v[30:31] offset0:110 offset1:111
	scratch_load_b128 v[28:31], off, s6
	s_add_i32 s6, s5, 0x410
	s_waitcnt vmcnt(0)
	ds_store_2addr_b64 v1, v[28:29], v[30:31] offset0:112 offset1:113
	;; [unrolled: 4-line block ×8, first 2 shown]
	scratch_load_b128 v[28:31], off, s6
	s_add_i32 s6, s5, 0x480
	s_addk_i32 s5, 0x490
	s_cmp_lg_u32 s3, 0
	s_waitcnt vmcnt(0)
	ds_store_2addr_b64 v1, v[28:29], v[30:31] offset0:126 offset1:127
	scratch_load_b128 v[28:31], off, s6
	s_waitcnt vmcnt(0)
	ds_store_2addr_b64 v1, v[28:29], v[30:31] offset0:128 offset1:129
	scratch_load_b128 v[28:31], off, s5
	s_waitcnt vmcnt(0)
	ds_store_2addr_b64 v1, v[28:29], v[30:31] offset0:130 offset1:131
	s_cbranch_scc1 .LBB125_95
; %bb.96:
	ds_load_2addr_b64 v[28:31], v254 offset1:1
	s_waitcnt lgkmcnt(0)
	v_cmp_neq_f64_e32 vcc_lo, 0, v[28:29]
	v_cmp_neq_f64_e64 s3, 0, v[30:31]
	s_delay_alu instid0(VALU_DEP_1) | instskip(NEXT) | instid1(SALU_CYCLE_1)
	s_or_b32 s3, vcc_lo, s3
	s_and_b32 exec_lo, exec_lo, s3
	s_cbranch_execz .LBB125_102
; %bb.97:
	v_cmp_gt_f64_e32 vcc_lo, 0, v[28:29]
	v_cmp_gt_f64_e64 s3, 0, v[30:31]
	v_xor_b32_e32 v0, 0x80000000, v29
	v_xor_b32_e32 v4, 0x80000000, v31
	s_delay_alu instid0(VALU_DEP_2) | instskip(NEXT) | instid1(VALU_DEP_2)
	v_cndmask_b32_e32 v1, v29, v0, vcc_lo
	v_cndmask_b32_e64 v5, v31, v4, s3
	v_cndmask_b32_e32 v0, v28, v28, vcc_lo
	v_cndmask_b32_e64 v4, v30, v30, s3
	s_delay_alu instid0(VALU_DEP_1) | instskip(SKIP_1) | instid1(SALU_CYCLE_1)
	v_cmp_ngt_f64_e32 vcc_lo, v[0:1], v[4:5]
                                        ; implicit-def: $vgpr0_vgpr1
	s_and_saveexec_b32 s3, vcc_lo
	s_xor_b32 s3, exec_lo, s3
                                        ; implicit-def: $vgpr32_vgpr33_vgpr34_vgpr35
	s_cbranch_execz .LBB125_99
; %bb.98:
	v_div_scale_f64 v[0:1], null, v[30:31], v[30:31], v[28:29]
	v_div_scale_f64 v[32:33], vcc_lo, v[28:29], v[30:31], v[28:29]
	s_delay_alu instid0(VALU_DEP_2) | instskip(SKIP_2) | instid1(VALU_DEP_1)
	v_rcp_f64_e32 v[4:5], v[0:1]
	s_waitcnt_depctr 0xfff
	v_fma_f64 v[6:7], -v[0:1], v[4:5], 1.0
	v_fma_f64 v[4:5], v[4:5], v[6:7], v[4:5]
	s_delay_alu instid0(VALU_DEP_1) | instskip(NEXT) | instid1(VALU_DEP_1)
	v_fma_f64 v[6:7], -v[0:1], v[4:5], 1.0
	v_fma_f64 v[4:5], v[4:5], v[6:7], v[4:5]
	s_delay_alu instid0(VALU_DEP_1) | instskip(NEXT) | instid1(VALU_DEP_1)
	v_mul_f64 v[6:7], v[32:33], v[4:5]
	v_fma_f64 v[0:1], -v[0:1], v[6:7], v[32:33]
	s_delay_alu instid0(VALU_DEP_1) | instskip(NEXT) | instid1(VALU_DEP_1)
	v_div_fmas_f64 v[0:1], v[0:1], v[4:5], v[6:7]
	v_div_fixup_f64 v[0:1], v[0:1], v[30:31], v[28:29]
	s_delay_alu instid0(VALU_DEP_1) | instskip(NEXT) | instid1(VALU_DEP_1)
	v_fma_f64 v[4:5], v[28:29], v[0:1], v[30:31]
	v_div_scale_f64 v[6:7], null, v[4:5], v[4:5], 1.0
	s_delay_alu instid0(VALU_DEP_1) | instskip(SKIP_2) | instid1(VALU_DEP_1)
	v_rcp_f64_e32 v[28:29], v[6:7]
	s_waitcnt_depctr 0xfff
	v_fma_f64 v[30:31], -v[6:7], v[28:29], 1.0
	v_fma_f64 v[28:29], v[28:29], v[30:31], v[28:29]
	s_delay_alu instid0(VALU_DEP_1) | instskip(NEXT) | instid1(VALU_DEP_1)
	v_fma_f64 v[30:31], -v[6:7], v[28:29], 1.0
	v_fma_f64 v[28:29], v[28:29], v[30:31], v[28:29]
	v_div_scale_f64 v[30:31], vcc_lo, 1.0, v[4:5], 1.0
	s_delay_alu instid0(VALU_DEP_1) | instskip(NEXT) | instid1(VALU_DEP_1)
	v_mul_f64 v[32:33], v[30:31], v[28:29]
	v_fma_f64 v[6:7], -v[6:7], v[32:33], v[30:31]
	s_delay_alu instid0(VALU_DEP_1) | instskip(NEXT) | instid1(VALU_DEP_1)
	v_div_fmas_f64 v[6:7], v[6:7], v[28:29], v[32:33]
                                        ; implicit-def: $vgpr28_vgpr29
	v_div_fixup_f64 v[34:35], v[6:7], v[4:5], 1.0
	s_delay_alu instid0(VALU_DEP_1)
	v_mul_f64 v[0:1], v[0:1], v[34:35]
	v_xor_b32_e32 v35, 0x80000000, v35
.LBB125_99:
	s_and_not1_saveexec_b32 s3, s3
	s_cbranch_execz .LBB125_101
; %bb.100:
	v_div_scale_f64 v[0:1], null, v[28:29], v[28:29], v[30:31]
	v_div_scale_f64 v[32:33], vcc_lo, v[30:31], v[28:29], v[30:31]
	s_delay_alu instid0(VALU_DEP_2) | instskip(SKIP_2) | instid1(VALU_DEP_1)
	v_rcp_f64_e32 v[4:5], v[0:1]
	s_waitcnt_depctr 0xfff
	v_fma_f64 v[6:7], -v[0:1], v[4:5], 1.0
	v_fma_f64 v[4:5], v[4:5], v[6:7], v[4:5]
	s_delay_alu instid0(VALU_DEP_1) | instskip(NEXT) | instid1(VALU_DEP_1)
	v_fma_f64 v[6:7], -v[0:1], v[4:5], 1.0
	v_fma_f64 v[4:5], v[4:5], v[6:7], v[4:5]
	s_delay_alu instid0(VALU_DEP_1) | instskip(NEXT) | instid1(VALU_DEP_1)
	v_mul_f64 v[6:7], v[32:33], v[4:5]
	v_fma_f64 v[0:1], -v[0:1], v[6:7], v[32:33]
	s_delay_alu instid0(VALU_DEP_1) | instskip(NEXT) | instid1(VALU_DEP_1)
	v_div_fmas_f64 v[0:1], v[0:1], v[4:5], v[6:7]
	v_div_fixup_f64 v[4:5], v[0:1], v[28:29], v[30:31]
	s_delay_alu instid0(VALU_DEP_1) | instskip(NEXT) | instid1(VALU_DEP_1)
	v_fma_f64 v[0:1], v[30:31], v[4:5], v[28:29]
	v_div_scale_f64 v[6:7], null, v[0:1], v[0:1], 1.0
	s_delay_alu instid0(VALU_DEP_1) | instskip(SKIP_2) | instid1(VALU_DEP_1)
	v_rcp_f64_e32 v[28:29], v[6:7]
	s_waitcnt_depctr 0xfff
	v_fma_f64 v[30:31], -v[6:7], v[28:29], 1.0
	v_fma_f64 v[28:29], v[28:29], v[30:31], v[28:29]
	s_delay_alu instid0(VALU_DEP_1) | instskip(NEXT) | instid1(VALU_DEP_1)
	v_fma_f64 v[30:31], -v[6:7], v[28:29], 1.0
	v_fma_f64 v[28:29], v[28:29], v[30:31], v[28:29]
	v_div_scale_f64 v[30:31], vcc_lo, 1.0, v[0:1], 1.0
	s_delay_alu instid0(VALU_DEP_1) | instskip(NEXT) | instid1(VALU_DEP_1)
	v_mul_f64 v[32:33], v[30:31], v[28:29]
	v_fma_f64 v[6:7], -v[6:7], v[32:33], v[30:31]
	s_delay_alu instid0(VALU_DEP_1) | instskip(NEXT) | instid1(VALU_DEP_1)
	v_div_fmas_f64 v[6:7], v[6:7], v[28:29], v[32:33]
	v_div_fixup_f64 v[0:1], v[6:7], v[0:1], 1.0
	s_delay_alu instid0(VALU_DEP_1)
	v_mul_f64 v[34:35], v[4:5], -v[0:1]
.LBB125_101:
	s_or_b32 exec_lo, exec_lo, s3
	ds_store_2addr_b64 v254, v[0:1], v[34:35] offset1:1
.LBB125_102:
	s_or_b32 exec_lo, exec_lo, s4
	s_waitcnt lgkmcnt(0)
	s_barrier
	buffer_gl0_inv
	ds_load_2addr_b64 v[28:31], v254 offset1:1
	s_mov_b32 s3, exec_lo
	v_cmpx_lt_u32_e32 7, v253
	s_cbranch_execz .LBB125_105
; %bb.103:
	scratch_load_b128 v[37:40], off, off offset:112
	s_mov_b32 s4, 0
	s_waitcnt vmcnt(0) lgkmcnt(0)
	v_mul_f64 v[0:1], v[30:31], v[39:40]
	v_mul_f64 v[4:5], v[28:29], v[39:40]
	s_delay_alu instid0(VALU_DEP_2) | instskip(NEXT) | instid1(VALU_DEP_2)
	v_fma_f64 v[32:33], v[28:29], v[37:38], -v[0:1]
	v_fma_f64 v[34:35], v[30:31], v[37:38], v[4:5]
	v_mov_b32_e32 v0, 0
	scratch_store_b128 off, v[32:35], off offset:112
.LBB125_104:                            ; =>This Inner Loop Header: Depth=1
	v_add_nc_u32_e32 v1, s4, v36
	v_readfirstlane_b32 s5, v0
	ds_load_2addr_b64 v[37:40], v1 offset1:1
	s_add_i32 s5, s5, s4
	s_addk_i32 s4, 0x50
	s_add_i32 s6, s5, 0x80
	s_waitcnt lgkmcnt(0)
	v_mul_f64 v[4:5], v[39:40], v[34:35]
	v_mul_f64 v[6:7], v[37:38], v[34:35]
	s_delay_alu instid0(VALU_DEP_2) | instskip(NEXT) | instid1(VALU_DEP_2)
	v_fma_f64 v[4:5], v[37:38], v[32:33], -v[4:5]
	v_fma_f64 v[6:7], v[39:40], v[32:33], v[6:7]
	scratch_load_b128 v[37:40], off, s6
	s_waitcnt vmcnt(0)
	v_add_f64 v[37:38], v[37:38], -v[4:5]
	v_add_f64 v[39:40], v[39:40], -v[6:7]
	scratch_store_b128 off, v[37:40], s6
	ds_load_2addr_b64 v[37:40], v1 offset0:2 offset1:3
	s_add_i32 s6, s5, 0x90
	s_waitcnt lgkmcnt(0)
	v_mul_f64 v[4:5], v[39:40], v[34:35]
	v_mul_f64 v[6:7], v[37:38], v[34:35]
	s_delay_alu instid0(VALU_DEP_2) | instskip(NEXT) | instid1(VALU_DEP_2)
	v_fma_f64 v[4:5], v[37:38], v[32:33], -v[4:5]
	v_fma_f64 v[6:7], v[39:40], v[32:33], v[6:7]
	scratch_load_b128 v[37:40], off, s6
	s_waitcnt vmcnt(0)
	v_add_f64 v[37:38], v[37:38], -v[4:5]
	v_add_f64 v[39:40], v[39:40], -v[6:7]
	scratch_store_b128 off, v[37:40], s6
	ds_load_2addr_b64 v[37:40], v1 offset0:4 offset1:5
	s_add_i32 s6, s5, 0xa0
	s_waitcnt lgkmcnt(0)
	v_mul_f64 v[4:5], v[39:40], v[34:35]
	v_mul_f64 v[6:7], v[37:38], v[34:35]
	s_delay_alu instid0(VALU_DEP_2) | instskip(NEXT) | instid1(VALU_DEP_2)
	v_fma_f64 v[4:5], v[37:38], v[32:33], -v[4:5]
	v_fma_f64 v[6:7], v[39:40], v[32:33], v[6:7]
	scratch_load_b128 v[37:40], off, s6
	s_waitcnt vmcnt(0)
	v_add_f64 v[37:38], v[37:38], -v[4:5]
	v_add_f64 v[39:40], v[39:40], -v[6:7]
	scratch_store_b128 off, v[37:40], s6
	ds_load_2addr_b64 v[37:40], v1 offset0:6 offset1:7
	s_add_i32 s6, s5, 0xb0
	s_addk_i32 s5, 0xc0
	s_cmpk_lg_i32 s4, 0x370
	s_waitcnt lgkmcnt(0)
	v_mul_f64 v[4:5], v[39:40], v[34:35]
	v_mul_f64 v[6:7], v[37:38], v[34:35]
	s_delay_alu instid0(VALU_DEP_2) | instskip(NEXT) | instid1(VALU_DEP_2)
	v_fma_f64 v[4:5], v[37:38], v[32:33], -v[4:5]
	v_fma_f64 v[6:7], v[39:40], v[32:33], v[6:7]
	scratch_load_b128 v[37:40], off, s6
	s_waitcnt vmcnt(0)
	v_add_f64 v[37:38], v[37:38], -v[4:5]
	v_add_f64 v[39:40], v[39:40], -v[6:7]
	scratch_store_b128 off, v[37:40], s6
	ds_load_2addr_b64 v[37:40], v1 offset0:8 offset1:9
	s_waitcnt lgkmcnt(0)
	v_mul_f64 v[4:5], v[39:40], v[34:35]
	v_mul_f64 v[6:7], v[37:38], v[34:35]
	s_delay_alu instid0(VALU_DEP_2) | instskip(NEXT) | instid1(VALU_DEP_2)
	v_fma_f64 v[4:5], v[37:38], v[32:33], -v[4:5]
	v_fma_f64 v[6:7], v[39:40], v[32:33], v[6:7]
	scratch_load_b128 v[37:40], off, s5
	s_waitcnt vmcnt(0)
	v_add_f64 v[37:38], v[37:38], -v[4:5]
	v_add_f64 v[39:40], v[39:40], -v[6:7]
	scratch_store_b128 off, v[37:40], s5
	s_cbranch_scc1 .LBB125_104
.LBB125_105:
	s_or_b32 exec_lo, exec_lo, s3
	v_add3_u32 v40, v184, 0, 0x90
	s_mov_b32 s4, exec_lo
	s_waitcnt lgkmcnt(0)
	s_waitcnt_vscnt null, 0x0
	s_barrier
	buffer_gl0_inv
	v_cmpx_eq_u32_e32 8, v253
	s_cbranch_execz .LBB125_114
; %bb.106:
	scratch_load_b128 v[32:35], v75, off
	v_mov_b32_e32 v0, 0
	s_movk_i32 s3, 0xfca0
	s_waitcnt vmcnt(0)
	ds_store_2addr_b64 v254, v[32:33], v[34:35] offset1:1
.LBB125_107:                            ; =>This Inner Loop Header: Depth=1
	v_readfirstlane_b32 s5, v0
	v_add_nc_u32_e32 v1, s3, v40
	s_delay_alu instid0(VALU_DEP_2)
	s_add_i32 s5, s5, s3
	s_addk_i32 s3, 0x120
	s_add_i32 s6, s5, 0x3f0
	scratch_load_b128 v[32:35], off, s6
	s_add_i32 s6, s5, 0x400
	s_waitcnt vmcnt(0)
	ds_store_2addr_b64 v1, v[32:33], v[34:35] offset0:108 offset1:109
	scratch_load_b128 v[32:35], off, s6
	s_add_i32 s6, s5, 0x410
	s_waitcnt vmcnt(0)
	ds_store_2addr_b64 v1, v[32:33], v[34:35] offset0:110 offset1:111
	;; [unrolled: 4-line block ×15, first 2 shown]
	scratch_load_b128 v[32:35], off, s6
	s_add_i32 s6, s5, 0x4f0
	s_addk_i32 s5, 0x500
	s_cmp_lg_u32 s3, 0
	s_waitcnt vmcnt(0)
	ds_store_2addr_b64 v1, v[32:33], v[34:35] offset0:138 offset1:139
	scratch_load_b128 v[32:35], off, s6
	s_waitcnt vmcnt(0)
	ds_store_2addr_b64 v1, v[32:33], v[34:35] offset0:140 offset1:141
	scratch_load_b128 v[32:35], off, s5
	s_waitcnt vmcnt(0)
	ds_store_2addr_b64 v1, v[32:33], v[34:35] offset0:142 offset1:143
	s_cbranch_scc1 .LBB125_107
; %bb.108:
	ds_load_2addr_b64 v[32:35], v254 offset1:1
	s_waitcnt lgkmcnt(0)
	v_cmp_neq_f64_e32 vcc_lo, 0, v[32:33]
	v_cmp_neq_f64_e64 s3, 0, v[34:35]
	s_delay_alu instid0(VALU_DEP_1) | instskip(NEXT) | instid1(SALU_CYCLE_1)
	s_or_b32 s3, vcc_lo, s3
	s_and_b32 exec_lo, exec_lo, s3
	s_cbranch_execz .LBB125_114
; %bb.109:
	v_cmp_gt_f64_e32 vcc_lo, 0, v[32:33]
	v_cmp_gt_f64_e64 s3, 0, v[34:35]
	v_xor_b32_e32 v0, 0x80000000, v33
	v_xor_b32_e32 v4, 0x80000000, v35
	s_delay_alu instid0(VALU_DEP_2) | instskip(NEXT) | instid1(VALU_DEP_2)
	v_cndmask_b32_e32 v1, v33, v0, vcc_lo
	v_cndmask_b32_e64 v5, v35, v4, s3
	v_cndmask_b32_e32 v0, v32, v32, vcc_lo
	v_cndmask_b32_e64 v4, v34, v34, s3
	s_delay_alu instid0(VALU_DEP_1) | instskip(SKIP_1) | instid1(SALU_CYCLE_1)
	v_cmp_ngt_f64_e32 vcc_lo, v[0:1], v[4:5]
                                        ; implicit-def: $vgpr0_vgpr1
	s_and_saveexec_b32 s3, vcc_lo
	s_xor_b32 s3, exec_lo, s3
                                        ; implicit-def: $vgpr36_vgpr37_vgpr38_vgpr39
	s_cbranch_execz .LBB125_111
; %bb.110:
	v_div_scale_f64 v[0:1], null, v[34:35], v[34:35], v[32:33]
	v_div_scale_f64 v[36:37], vcc_lo, v[32:33], v[34:35], v[32:33]
	s_delay_alu instid0(VALU_DEP_2) | instskip(SKIP_2) | instid1(VALU_DEP_1)
	v_rcp_f64_e32 v[4:5], v[0:1]
	s_waitcnt_depctr 0xfff
	v_fma_f64 v[6:7], -v[0:1], v[4:5], 1.0
	v_fma_f64 v[4:5], v[4:5], v[6:7], v[4:5]
	s_delay_alu instid0(VALU_DEP_1) | instskip(NEXT) | instid1(VALU_DEP_1)
	v_fma_f64 v[6:7], -v[0:1], v[4:5], 1.0
	v_fma_f64 v[4:5], v[4:5], v[6:7], v[4:5]
	s_delay_alu instid0(VALU_DEP_1) | instskip(NEXT) | instid1(VALU_DEP_1)
	v_mul_f64 v[6:7], v[36:37], v[4:5]
	v_fma_f64 v[0:1], -v[0:1], v[6:7], v[36:37]
	s_delay_alu instid0(VALU_DEP_1) | instskip(NEXT) | instid1(VALU_DEP_1)
	v_div_fmas_f64 v[0:1], v[0:1], v[4:5], v[6:7]
	v_div_fixup_f64 v[0:1], v[0:1], v[34:35], v[32:33]
	s_delay_alu instid0(VALU_DEP_1) | instskip(NEXT) | instid1(VALU_DEP_1)
	v_fma_f64 v[4:5], v[32:33], v[0:1], v[34:35]
	v_div_scale_f64 v[6:7], null, v[4:5], v[4:5], 1.0
	s_delay_alu instid0(VALU_DEP_1) | instskip(SKIP_2) | instid1(VALU_DEP_1)
	v_rcp_f64_e32 v[32:33], v[6:7]
	s_waitcnt_depctr 0xfff
	v_fma_f64 v[34:35], -v[6:7], v[32:33], 1.0
	v_fma_f64 v[32:33], v[32:33], v[34:35], v[32:33]
	s_delay_alu instid0(VALU_DEP_1) | instskip(NEXT) | instid1(VALU_DEP_1)
	v_fma_f64 v[34:35], -v[6:7], v[32:33], 1.0
	v_fma_f64 v[32:33], v[32:33], v[34:35], v[32:33]
	v_div_scale_f64 v[34:35], vcc_lo, 1.0, v[4:5], 1.0
	s_delay_alu instid0(VALU_DEP_1) | instskip(NEXT) | instid1(VALU_DEP_1)
	v_mul_f64 v[36:37], v[34:35], v[32:33]
	v_fma_f64 v[6:7], -v[6:7], v[36:37], v[34:35]
	s_delay_alu instid0(VALU_DEP_1) | instskip(NEXT) | instid1(VALU_DEP_1)
	v_div_fmas_f64 v[6:7], v[6:7], v[32:33], v[36:37]
                                        ; implicit-def: $vgpr32_vgpr33
	v_div_fixup_f64 v[38:39], v[6:7], v[4:5], 1.0
	s_delay_alu instid0(VALU_DEP_1)
	v_mul_f64 v[0:1], v[0:1], v[38:39]
	v_xor_b32_e32 v39, 0x80000000, v39
.LBB125_111:
	s_and_not1_saveexec_b32 s3, s3
	s_cbranch_execz .LBB125_113
; %bb.112:
	v_div_scale_f64 v[0:1], null, v[32:33], v[32:33], v[34:35]
	v_div_scale_f64 v[36:37], vcc_lo, v[34:35], v[32:33], v[34:35]
	s_delay_alu instid0(VALU_DEP_2) | instskip(SKIP_2) | instid1(VALU_DEP_1)
	v_rcp_f64_e32 v[4:5], v[0:1]
	s_waitcnt_depctr 0xfff
	v_fma_f64 v[6:7], -v[0:1], v[4:5], 1.0
	v_fma_f64 v[4:5], v[4:5], v[6:7], v[4:5]
	s_delay_alu instid0(VALU_DEP_1) | instskip(NEXT) | instid1(VALU_DEP_1)
	v_fma_f64 v[6:7], -v[0:1], v[4:5], 1.0
	v_fma_f64 v[4:5], v[4:5], v[6:7], v[4:5]
	s_delay_alu instid0(VALU_DEP_1) | instskip(NEXT) | instid1(VALU_DEP_1)
	v_mul_f64 v[6:7], v[36:37], v[4:5]
	v_fma_f64 v[0:1], -v[0:1], v[6:7], v[36:37]
	s_delay_alu instid0(VALU_DEP_1) | instskip(NEXT) | instid1(VALU_DEP_1)
	v_div_fmas_f64 v[0:1], v[0:1], v[4:5], v[6:7]
	v_div_fixup_f64 v[4:5], v[0:1], v[32:33], v[34:35]
	s_delay_alu instid0(VALU_DEP_1) | instskip(NEXT) | instid1(VALU_DEP_1)
	v_fma_f64 v[0:1], v[34:35], v[4:5], v[32:33]
	v_div_scale_f64 v[6:7], null, v[0:1], v[0:1], 1.0
	s_delay_alu instid0(VALU_DEP_1) | instskip(SKIP_2) | instid1(VALU_DEP_1)
	v_rcp_f64_e32 v[32:33], v[6:7]
	s_waitcnt_depctr 0xfff
	v_fma_f64 v[34:35], -v[6:7], v[32:33], 1.0
	v_fma_f64 v[32:33], v[32:33], v[34:35], v[32:33]
	s_delay_alu instid0(VALU_DEP_1) | instskip(NEXT) | instid1(VALU_DEP_1)
	v_fma_f64 v[34:35], -v[6:7], v[32:33], 1.0
	v_fma_f64 v[32:33], v[32:33], v[34:35], v[32:33]
	v_div_scale_f64 v[34:35], vcc_lo, 1.0, v[0:1], 1.0
	s_delay_alu instid0(VALU_DEP_1) | instskip(NEXT) | instid1(VALU_DEP_1)
	v_mul_f64 v[36:37], v[34:35], v[32:33]
	v_fma_f64 v[6:7], -v[6:7], v[36:37], v[34:35]
	s_delay_alu instid0(VALU_DEP_1) | instskip(NEXT) | instid1(VALU_DEP_1)
	v_div_fmas_f64 v[6:7], v[6:7], v[32:33], v[36:37]
	v_div_fixup_f64 v[0:1], v[6:7], v[0:1], 1.0
	s_delay_alu instid0(VALU_DEP_1)
	v_mul_f64 v[38:39], v[4:5], -v[0:1]
.LBB125_113:
	s_or_b32 exec_lo, exec_lo, s3
	ds_store_2addr_b64 v254, v[0:1], v[38:39] offset1:1
.LBB125_114:
	s_or_b32 exec_lo, exec_lo, s4
	s_waitcnt lgkmcnt(0)
	s_barrier
	buffer_gl0_inv
	ds_load_2addr_b64 v[32:35], v254 offset1:1
	s_mov_b32 s3, exec_lo
	v_cmpx_lt_u32_e32 8, v253
	s_cbranch_execz .LBB125_117
; %bb.115:
	scratch_load_b128 v[41:44], off, off offset:128
	s_mov_b32 s4, 0
	s_waitcnt vmcnt(0) lgkmcnt(0)
	v_mul_f64 v[0:1], v[34:35], v[43:44]
	v_mul_f64 v[4:5], v[32:33], v[43:44]
	s_delay_alu instid0(VALU_DEP_2) | instskip(NEXT) | instid1(VALU_DEP_2)
	v_fma_f64 v[36:37], v[32:33], v[41:42], -v[0:1]
	v_fma_f64 v[38:39], v[34:35], v[41:42], v[4:5]
	v_mov_b32_e32 v0, 0
	scratch_store_b128 off, v[36:39], off offset:128
.LBB125_116:                            ; =>This Inner Loop Header: Depth=1
	v_add_nc_u32_e32 v1, s4, v40
	v_readfirstlane_b32 s5, v0
	ds_load_2addr_b64 v[41:44], v1 offset1:1
	s_add_i32 s5, s5, s4
	s_addk_i32 s4, 0x60
	s_add_i32 s6, s5, 0x90
	s_waitcnt lgkmcnt(0)
	v_mul_f64 v[4:5], v[43:44], v[38:39]
	v_mul_f64 v[6:7], v[41:42], v[38:39]
	s_delay_alu instid0(VALU_DEP_2) | instskip(NEXT) | instid1(VALU_DEP_2)
	v_fma_f64 v[4:5], v[41:42], v[36:37], -v[4:5]
	v_fma_f64 v[6:7], v[43:44], v[36:37], v[6:7]
	scratch_load_b128 v[41:44], off, s6
	s_waitcnt vmcnt(0)
	v_add_f64 v[41:42], v[41:42], -v[4:5]
	v_add_f64 v[43:44], v[43:44], -v[6:7]
	scratch_store_b128 off, v[41:44], s6
	ds_load_2addr_b64 v[41:44], v1 offset0:2 offset1:3
	s_add_i32 s6, s5, 0xa0
	s_waitcnt lgkmcnt(0)
	v_mul_f64 v[4:5], v[43:44], v[38:39]
	v_mul_f64 v[6:7], v[41:42], v[38:39]
	s_delay_alu instid0(VALU_DEP_2) | instskip(NEXT) | instid1(VALU_DEP_2)
	v_fma_f64 v[4:5], v[41:42], v[36:37], -v[4:5]
	v_fma_f64 v[6:7], v[43:44], v[36:37], v[6:7]
	scratch_load_b128 v[41:44], off, s6
	s_waitcnt vmcnt(0)
	v_add_f64 v[41:42], v[41:42], -v[4:5]
	v_add_f64 v[43:44], v[43:44], -v[6:7]
	scratch_store_b128 off, v[41:44], s6
	ds_load_2addr_b64 v[41:44], v1 offset0:4 offset1:5
	;; [unrolled: 13-line block ×4, first 2 shown]
	s_add_i32 s6, s5, 0xd0
	s_addk_i32 s5, 0xe0
	s_cmpk_lg_i32 s4, 0x360
	s_waitcnt lgkmcnt(0)
	v_mul_f64 v[4:5], v[43:44], v[38:39]
	v_mul_f64 v[6:7], v[41:42], v[38:39]
	s_delay_alu instid0(VALU_DEP_2) | instskip(NEXT) | instid1(VALU_DEP_2)
	v_fma_f64 v[4:5], v[41:42], v[36:37], -v[4:5]
	v_fma_f64 v[6:7], v[43:44], v[36:37], v[6:7]
	scratch_load_b128 v[41:44], off, s6
	s_waitcnt vmcnt(0)
	v_add_f64 v[41:42], v[41:42], -v[4:5]
	v_add_f64 v[43:44], v[43:44], -v[6:7]
	scratch_store_b128 off, v[41:44], s6
	ds_load_2addr_b64 v[41:44], v1 offset0:10 offset1:11
	s_waitcnt lgkmcnt(0)
	v_mul_f64 v[4:5], v[43:44], v[38:39]
	v_mul_f64 v[6:7], v[41:42], v[38:39]
	s_delay_alu instid0(VALU_DEP_2) | instskip(NEXT) | instid1(VALU_DEP_2)
	v_fma_f64 v[4:5], v[41:42], v[36:37], -v[4:5]
	v_fma_f64 v[6:7], v[43:44], v[36:37], v[6:7]
	scratch_load_b128 v[41:44], off, s5
	s_waitcnt vmcnt(0)
	v_add_f64 v[41:42], v[41:42], -v[4:5]
	v_add_f64 v[43:44], v[43:44], -v[6:7]
	scratch_store_b128 off, v[41:44], s5
	s_cbranch_scc1 .LBB125_116
.LBB125_117:
	s_or_b32 exec_lo, exec_lo, s3
	v_add3_u32 v44, v184, 0, 0xa0
	s_mov_b32 s4, exec_lo
	s_waitcnt lgkmcnt(0)
	s_waitcnt_vscnt null, 0x0
	s_barrier
	buffer_gl0_inv
	v_cmpx_eq_u32_e32 9, v253
	s_cbranch_execz .LBB125_128
; %bb.118:
	scratch_load_b128 v[36:39], v74, off
	v_mov_b32_e32 v0, 0
	s_movk_i32 s3, 0xfd00
	s_waitcnt vmcnt(0)
	ds_store_2addr_b64 v254, v[36:37], v[38:39] offset1:1
	s_branch .LBB125_120
.LBB125_119:                            ;   in Loop: Header=BB125_120 Depth=1
	s_add_i32 s6, s5, 0x3f0
	s_add_i32 s7, s5, 0x400
	s_addk_i32 s5, 0x410
	s_clause 0x2
	scratch_load_b128 v[36:39], off, s6
	scratch_load_b128 v[40:43], off, s7
	;; [unrolled: 1-line block ×3, first 2 shown]
	s_addk_i32 s3, 0x80
	s_waitcnt vmcnt(2)
	ds_store_2addr_b64 v1, v[36:37], v[38:39] offset0:106 offset1:107
	s_waitcnt vmcnt(1)
	ds_store_2addr_b64 v1, v[40:41], v[42:43] offset0:108 offset1:109
	;; [unrolled: 2-line block ×3, first 2 shown]
	s_cbranch_execz .LBB125_122
.LBB125_120:                            ; =>This Inner Loop Header: Depth=1
	v_readfirstlane_b32 s5, v0
	v_add_nc_u32_e32 v1, s3, v44
	s_delay_alu instid0(VALU_DEP_2) | instskip(NEXT) | instid1(SALU_CYCLE_1)
	s_add_i32 s5, s5, s3
	s_add_i32 s6, s5, 0x3a0
	;; [unrolled: 1-line block ×6, first 2 shown]
	s_clause 0x4
	scratch_load_b128 v[36:39], off, s6
	scratch_load_b128 v[40:43], off, s7
	;; [unrolled: 1-line block ×5, first 2 shown]
	s_cmp_eq_u32 s3, 0
	s_waitcnt vmcnt(4)
	ds_store_2addr_b64 v1, v[36:37], v[38:39] offset0:96 offset1:97
	s_waitcnt vmcnt(3)
	ds_store_2addr_b64 v1, v[40:41], v[42:43] offset0:98 offset1:99
	;; [unrolled: 2-line block ×5, first 2 shown]
	s_cbranch_scc0 .LBB125_119
; %bb.121:
                                        ; implicit-def: $sgpr3
.LBB125_122:
	ds_load_2addr_b64 v[36:39], v254 offset1:1
	s_waitcnt lgkmcnt(0)
	v_cmp_neq_f64_e32 vcc_lo, 0, v[36:37]
	v_cmp_neq_f64_e64 s3, 0, v[38:39]
	s_delay_alu instid0(VALU_DEP_1) | instskip(NEXT) | instid1(SALU_CYCLE_1)
	s_or_b32 s3, vcc_lo, s3
	s_and_b32 exec_lo, exec_lo, s3
	s_cbranch_execz .LBB125_128
; %bb.123:
	v_cmp_gt_f64_e32 vcc_lo, 0, v[36:37]
	v_cmp_gt_f64_e64 s3, 0, v[38:39]
	v_xor_b32_e32 v0, 0x80000000, v37
	v_xor_b32_e32 v4, 0x80000000, v39
	s_delay_alu instid0(VALU_DEP_2) | instskip(NEXT) | instid1(VALU_DEP_2)
	v_cndmask_b32_e32 v1, v37, v0, vcc_lo
	v_cndmask_b32_e64 v5, v39, v4, s3
	v_cndmask_b32_e32 v0, v36, v36, vcc_lo
	v_cndmask_b32_e64 v4, v38, v38, s3
	s_delay_alu instid0(VALU_DEP_1) | instskip(SKIP_1) | instid1(SALU_CYCLE_1)
	v_cmp_ngt_f64_e32 vcc_lo, v[0:1], v[4:5]
                                        ; implicit-def: $vgpr0_vgpr1
	s_and_saveexec_b32 s3, vcc_lo
	s_xor_b32 s3, exec_lo, s3
                                        ; implicit-def: $vgpr40_vgpr41_vgpr42_vgpr43
	s_cbranch_execz .LBB125_125
; %bb.124:
	v_div_scale_f64 v[0:1], null, v[38:39], v[38:39], v[36:37]
	v_div_scale_f64 v[40:41], vcc_lo, v[36:37], v[38:39], v[36:37]
	s_delay_alu instid0(VALU_DEP_2) | instskip(SKIP_2) | instid1(VALU_DEP_1)
	v_rcp_f64_e32 v[4:5], v[0:1]
	s_waitcnt_depctr 0xfff
	v_fma_f64 v[6:7], -v[0:1], v[4:5], 1.0
	v_fma_f64 v[4:5], v[4:5], v[6:7], v[4:5]
	s_delay_alu instid0(VALU_DEP_1) | instskip(NEXT) | instid1(VALU_DEP_1)
	v_fma_f64 v[6:7], -v[0:1], v[4:5], 1.0
	v_fma_f64 v[4:5], v[4:5], v[6:7], v[4:5]
	s_delay_alu instid0(VALU_DEP_1) | instskip(NEXT) | instid1(VALU_DEP_1)
	v_mul_f64 v[6:7], v[40:41], v[4:5]
	v_fma_f64 v[0:1], -v[0:1], v[6:7], v[40:41]
	s_delay_alu instid0(VALU_DEP_1) | instskip(NEXT) | instid1(VALU_DEP_1)
	v_div_fmas_f64 v[0:1], v[0:1], v[4:5], v[6:7]
	v_div_fixup_f64 v[0:1], v[0:1], v[38:39], v[36:37]
	s_delay_alu instid0(VALU_DEP_1) | instskip(NEXT) | instid1(VALU_DEP_1)
	v_fma_f64 v[4:5], v[36:37], v[0:1], v[38:39]
	v_div_scale_f64 v[6:7], null, v[4:5], v[4:5], 1.0
	s_delay_alu instid0(VALU_DEP_1) | instskip(SKIP_2) | instid1(VALU_DEP_1)
	v_rcp_f64_e32 v[36:37], v[6:7]
	s_waitcnt_depctr 0xfff
	v_fma_f64 v[38:39], -v[6:7], v[36:37], 1.0
	v_fma_f64 v[36:37], v[36:37], v[38:39], v[36:37]
	s_delay_alu instid0(VALU_DEP_1) | instskip(NEXT) | instid1(VALU_DEP_1)
	v_fma_f64 v[38:39], -v[6:7], v[36:37], 1.0
	v_fma_f64 v[36:37], v[36:37], v[38:39], v[36:37]
	v_div_scale_f64 v[38:39], vcc_lo, 1.0, v[4:5], 1.0
	s_delay_alu instid0(VALU_DEP_1) | instskip(NEXT) | instid1(VALU_DEP_1)
	v_mul_f64 v[40:41], v[38:39], v[36:37]
	v_fma_f64 v[6:7], -v[6:7], v[40:41], v[38:39]
	s_delay_alu instid0(VALU_DEP_1) | instskip(NEXT) | instid1(VALU_DEP_1)
	v_div_fmas_f64 v[6:7], v[6:7], v[36:37], v[40:41]
                                        ; implicit-def: $vgpr36_vgpr37
	v_div_fixup_f64 v[42:43], v[6:7], v[4:5], 1.0
	s_delay_alu instid0(VALU_DEP_1)
	v_mul_f64 v[0:1], v[0:1], v[42:43]
	v_xor_b32_e32 v43, 0x80000000, v43
.LBB125_125:
	s_and_not1_saveexec_b32 s3, s3
	s_cbranch_execz .LBB125_127
; %bb.126:
	v_div_scale_f64 v[0:1], null, v[36:37], v[36:37], v[38:39]
	v_div_scale_f64 v[40:41], vcc_lo, v[38:39], v[36:37], v[38:39]
	s_delay_alu instid0(VALU_DEP_2) | instskip(SKIP_2) | instid1(VALU_DEP_1)
	v_rcp_f64_e32 v[4:5], v[0:1]
	s_waitcnt_depctr 0xfff
	v_fma_f64 v[6:7], -v[0:1], v[4:5], 1.0
	v_fma_f64 v[4:5], v[4:5], v[6:7], v[4:5]
	s_delay_alu instid0(VALU_DEP_1) | instskip(NEXT) | instid1(VALU_DEP_1)
	v_fma_f64 v[6:7], -v[0:1], v[4:5], 1.0
	v_fma_f64 v[4:5], v[4:5], v[6:7], v[4:5]
	s_delay_alu instid0(VALU_DEP_1) | instskip(NEXT) | instid1(VALU_DEP_1)
	v_mul_f64 v[6:7], v[40:41], v[4:5]
	v_fma_f64 v[0:1], -v[0:1], v[6:7], v[40:41]
	s_delay_alu instid0(VALU_DEP_1) | instskip(NEXT) | instid1(VALU_DEP_1)
	v_div_fmas_f64 v[0:1], v[0:1], v[4:5], v[6:7]
	v_div_fixup_f64 v[4:5], v[0:1], v[36:37], v[38:39]
	s_delay_alu instid0(VALU_DEP_1) | instskip(NEXT) | instid1(VALU_DEP_1)
	v_fma_f64 v[0:1], v[38:39], v[4:5], v[36:37]
	v_div_scale_f64 v[6:7], null, v[0:1], v[0:1], 1.0
	s_delay_alu instid0(VALU_DEP_1) | instskip(SKIP_2) | instid1(VALU_DEP_1)
	v_rcp_f64_e32 v[36:37], v[6:7]
	s_waitcnt_depctr 0xfff
	v_fma_f64 v[38:39], -v[6:7], v[36:37], 1.0
	v_fma_f64 v[36:37], v[36:37], v[38:39], v[36:37]
	s_delay_alu instid0(VALU_DEP_1) | instskip(NEXT) | instid1(VALU_DEP_1)
	v_fma_f64 v[38:39], -v[6:7], v[36:37], 1.0
	v_fma_f64 v[36:37], v[36:37], v[38:39], v[36:37]
	v_div_scale_f64 v[38:39], vcc_lo, 1.0, v[0:1], 1.0
	s_delay_alu instid0(VALU_DEP_1) | instskip(NEXT) | instid1(VALU_DEP_1)
	v_mul_f64 v[40:41], v[38:39], v[36:37]
	v_fma_f64 v[6:7], -v[6:7], v[40:41], v[38:39]
	s_delay_alu instid0(VALU_DEP_1) | instskip(NEXT) | instid1(VALU_DEP_1)
	v_div_fmas_f64 v[6:7], v[6:7], v[36:37], v[40:41]
	v_div_fixup_f64 v[0:1], v[6:7], v[0:1], 1.0
	s_delay_alu instid0(VALU_DEP_1)
	v_mul_f64 v[42:43], v[4:5], -v[0:1]
.LBB125_127:
	s_or_b32 exec_lo, exec_lo, s3
	ds_store_2addr_b64 v254, v[0:1], v[42:43] offset1:1
.LBB125_128:
	s_or_b32 exec_lo, exec_lo, s4
	s_waitcnt lgkmcnt(0)
	s_barrier
	buffer_gl0_inv
	ds_load_2addr_b64 v[36:39], v254 offset1:1
	s_mov_b32 s3, exec_lo
	v_cmpx_lt_u32_e32 9, v253
	s_cbranch_execz .LBB125_133
; %bb.129:
	scratch_load_b128 v[45:48], off, off offset:144
	s_mov_b32 s4, 0
	s_waitcnt vmcnt(0) lgkmcnt(0)
	v_mul_f64 v[0:1], v[38:39], v[47:48]
	v_mul_f64 v[4:5], v[36:37], v[47:48]
	s_delay_alu instid0(VALU_DEP_2) | instskip(NEXT) | instid1(VALU_DEP_2)
	v_fma_f64 v[40:41], v[36:37], v[45:46], -v[0:1]
	v_fma_f64 v[42:43], v[38:39], v[45:46], v[4:5]
	v_mov_b32_e32 v0, 0
	scratch_store_b128 off, v[40:43], off offset:144
	s_branch .LBB125_131
.LBB125_130:                            ;   in Loop: Header=BB125_131 Depth=1
	s_and_not1_b32 vcc_lo, exec_lo, s6
	s_cbranch_vccz .LBB125_133
.LBB125_131:                            ; =>This Inner Loop Header: Depth=1
	v_readfirstlane_b32 s5, v0
	v_add_nc_u32_e32 v1, s4, v44
	s_mov_b32 s6, -1
	s_delay_alu instid0(VALU_DEP_2)
	s_add_i32 s5, s5, s4
	ds_load_2addr_b64 v[49:52], v1 offset1:1
	s_add_i32 s7, s5, 0xa0
	s_cmpk_eq_i32 s4, 0x340
	scratch_load_b128 v[45:48], off, s7
	s_waitcnt lgkmcnt(0)
	v_mul_f64 v[4:5], v[51:52], v[42:43]
	v_mul_f64 v[6:7], v[49:50], v[42:43]
	s_delay_alu instid0(VALU_DEP_2) | instskip(NEXT) | instid1(VALU_DEP_2)
	v_fma_f64 v[4:5], v[49:50], v[40:41], -v[4:5]
	v_fma_f64 v[6:7], v[51:52], v[40:41], v[6:7]
	s_waitcnt vmcnt(0)
	s_delay_alu instid0(VALU_DEP_2) | instskip(NEXT) | instid1(VALU_DEP_2)
	v_add_f64 v[45:46], v[45:46], -v[4:5]
	v_add_f64 v[47:48], v[47:48], -v[6:7]
	scratch_store_b128 off, v[45:48], s7
	s_cbranch_scc1 .LBB125_130
; %bb.132:                              ;   in Loop: Header=BB125_131 Depth=1
	ds_load_2addr_b64 v[45:48], v1 offset0:2 offset1:3
	s_add_i32 s6, s5, 0xb0
	s_add_i32 s4, s4, 64
	s_waitcnt lgkmcnt(0)
	v_mul_f64 v[4:5], v[47:48], v[42:43]
	v_mul_f64 v[6:7], v[45:46], v[42:43]
	s_delay_alu instid0(VALU_DEP_2) | instskip(NEXT) | instid1(VALU_DEP_2)
	v_fma_f64 v[4:5], v[45:46], v[40:41], -v[4:5]
	v_fma_f64 v[6:7], v[47:48], v[40:41], v[6:7]
	scratch_load_b128 v[45:48], off, s6
	s_waitcnt vmcnt(0)
	v_add_f64 v[45:46], v[45:46], -v[4:5]
	v_add_f64 v[47:48], v[47:48], -v[6:7]
	scratch_store_b128 off, v[45:48], s6
	ds_load_2addr_b64 v[45:48], v1 offset0:4 offset1:5
	s_add_i32 s6, s5, 0xc0
	s_addk_i32 s5, 0xd0
	s_waitcnt lgkmcnt(0)
	v_mul_f64 v[4:5], v[47:48], v[42:43]
	v_mul_f64 v[6:7], v[45:46], v[42:43]
	s_delay_alu instid0(VALU_DEP_2) | instskip(NEXT) | instid1(VALU_DEP_2)
	v_fma_f64 v[4:5], v[45:46], v[40:41], -v[4:5]
	v_fma_f64 v[6:7], v[47:48], v[40:41], v[6:7]
	scratch_load_b128 v[45:48], off, s6
	s_waitcnt vmcnt(0)
	v_add_f64 v[45:46], v[45:46], -v[4:5]
	v_add_f64 v[47:48], v[47:48], -v[6:7]
	scratch_store_b128 off, v[45:48], s6
	ds_load_2addr_b64 v[45:48], v1 offset0:6 offset1:7
	s_mov_b32 s6, 0
	s_waitcnt lgkmcnt(0)
	v_mul_f64 v[4:5], v[47:48], v[42:43]
	v_mul_f64 v[6:7], v[45:46], v[42:43]
	s_delay_alu instid0(VALU_DEP_2) | instskip(NEXT) | instid1(VALU_DEP_2)
	v_fma_f64 v[4:5], v[45:46], v[40:41], -v[4:5]
	v_fma_f64 v[6:7], v[47:48], v[40:41], v[6:7]
	scratch_load_b128 v[45:48], off, s5
	s_waitcnt vmcnt(0)
	v_add_f64 v[45:46], v[45:46], -v[4:5]
	v_add_f64 v[47:48], v[47:48], -v[6:7]
	scratch_store_b128 off, v[45:48], s5
	s_branch .LBB125_130
.LBB125_133:
	s_or_b32 exec_lo, exec_lo, s3
	v_add3_u32 v48, v184, 0, 0xb0
	s_mov_b32 s4, exec_lo
	s_waitcnt lgkmcnt(0)
	s_waitcnt_vscnt null, 0x0
	s_barrier
	buffer_gl0_inv
	v_cmpx_eq_u32_e32 10, v253
	s_cbranch_execz .LBB125_142
; %bb.134:
	scratch_load_b128 v[40:43], v73, off
	v_mov_b32_e32 v0, 0
	s_movk_i32 s3, 0xfcc0
	s_waitcnt vmcnt(0)
	ds_store_2addr_b64 v254, v[40:41], v[42:43] offset1:1
.LBB125_135:                            ; =>This Inner Loop Header: Depth=1
	v_readfirstlane_b32 s5, v0
	v_add_nc_u32_e32 v1, s3, v48
	s_delay_alu instid0(VALU_DEP_2)
	s_add_i32 s5, s5, s3
	s_addk_i32 s3, 0xd0
	s_add_i32 s6, s5, 0x3f0
	scratch_load_b128 v[40:43], off, s6
	s_add_i32 s6, s5, 0x400
	s_waitcnt vmcnt(0)
	ds_store_2addr_b64 v1, v[40:41], v[42:43] offset0:104 offset1:105
	scratch_load_b128 v[40:43], off, s6
	s_add_i32 s6, s5, 0x410
	s_waitcnt vmcnt(0)
	ds_store_2addr_b64 v1, v[40:41], v[42:43] offset0:106 offset1:107
	;; [unrolled: 4-line block ×10, first 2 shown]
	scratch_load_b128 v[40:43], off, s6
	s_add_i32 s6, s5, 0x4a0
	s_addk_i32 s5, 0x4b0
	s_cmp_lg_u32 s3, 0
	s_waitcnt vmcnt(0)
	ds_store_2addr_b64 v1, v[40:41], v[42:43] offset0:124 offset1:125
	scratch_load_b128 v[40:43], off, s6
	s_waitcnt vmcnt(0)
	ds_store_2addr_b64 v1, v[40:41], v[42:43] offset0:126 offset1:127
	scratch_load_b128 v[40:43], off, s5
	s_waitcnt vmcnt(0)
	ds_store_2addr_b64 v1, v[40:41], v[42:43] offset0:128 offset1:129
	s_cbranch_scc1 .LBB125_135
; %bb.136:
	ds_load_2addr_b64 v[40:43], v254 offset1:1
	s_waitcnt lgkmcnt(0)
	v_cmp_neq_f64_e32 vcc_lo, 0, v[40:41]
	v_cmp_neq_f64_e64 s3, 0, v[42:43]
	s_delay_alu instid0(VALU_DEP_1) | instskip(NEXT) | instid1(SALU_CYCLE_1)
	s_or_b32 s3, vcc_lo, s3
	s_and_b32 exec_lo, exec_lo, s3
	s_cbranch_execz .LBB125_142
; %bb.137:
	v_cmp_gt_f64_e32 vcc_lo, 0, v[40:41]
	v_cmp_gt_f64_e64 s3, 0, v[42:43]
	v_xor_b32_e32 v0, 0x80000000, v41
	v_xor_b32_e32 v4, 0x80000000, v43
	s_delay_alu instid0(VALU_DEP_2) | instskip(NEXT) | instid1(VALU_DEP_2)
	v_cndmask_b32_e32 v1, v41, v0, vcc_lo
	v_cndmask_b32_e64 v5, v43, v4, s3
	v_cndmask_b32_e32 v0, v40, v40, vcc_lo
	v_cndmask_b32_e64 v4, v42, v42, s3
	s_delay_alu instid0(VALU_DEP_1) | instskip(SKIP_1) | instid1(SALU_CYCLE_1)
	v_cmp_ngt_f64_e32 vcc_lo, v[0:1], v[4:5]
                                        ; implicit-def: $vgpr0_vgpr1
	s_and_saveexec_b32 s3, vcc_lo
	s_xor_b32 s3, exec_lo, s3
                                        ; implicit-def: $vgpr44_vgpr45_vgpr46_vgpr47
	s_cbranch_execz .LBB125_139
; %bb.138:
	v_div_scale_f64 v[0:1], null, v[42:43], v[42:43], v[40:41]
	v_div_scale_f64 v[44:45], vcc_lo, v[40:41], v[42:43], v[40:41]
	s_delay_alu instid0(VALU_DEP_2) | instskip(SKIP_2) | instid1(VALU_DEP_1)
	v_rcp_f64_e32 v[4:5], v[0:1]
	s_waitcnt_depctr 0xfff
	v_fma_f64 v[6:7], -v[0:1], v[4:5], 1.0
	v_fma_f64 v[4:5], v[4:5], v[6:7], v[4:5]
	s_delay_alu instid0(VALU_DEP_1) | instskip(NEXT) | instid1(VALU_DEP_1)
	v_fma_f64 v[6:7], -v[0:1], v[4:5], 1.0
	v_fma_f64 v[4:5], v[4:5], v[6:7], v[4:5]
	s_delay_alu instid0(VALU_DEP_1) | instskip(NEXT) | instid1(VALU_DEP_1)
	v_mul_f64 v[6:7], v[44:45], v[4:5]
	v_fma_f64 v[0:1], -v[0:1], v[6:7], v[44:45]
	s_delay_alu instid0(VALU_DEP_1) | instskip(NEXT) | instid1(VALU_DEP_1)
	v_div_fmas_f64 v[0:1], v[0:1], v[4:5], v[6:7]
	v_div_fixup_f64 v[0:1], v[0:1], v[42:43], v[40:41]
	s_delay_alu instid0(VALU_DEP_1) | instskip(NEXT) | instid1(VALU_DEP_1)
	v_fma_f64 v[4:5], v[40:41], v[0:1], v[42:43]
	v_div_scale_f64 v[6:7], null, v[4:5], v[4:5], 1.0
	s_delay_alu instid0(VALU_DEP_1) | instskip(SKIP_2) | instid1(VALU_DEP_1)
	v_rcp_f64_e32 v[40:41], v[6:7]
	s_waitcnt_depctr 0xfff
	v_fma_f64 v[42:43], -v[6:7], v[40:41], 1.0
	v_fma_f64 v[40:41], v[40:41], v[42:43], v[40:41]
	s_delay_alu instid0(VALU_DEP_1) | instskip(NEXT) | instid1(VALU_DEP_1)
	v_fma_f64 v[42:43], -v[6:7], v[40:41], 1.0
	v_fma_f64 v[40:41], v[40:41], v[42:43], v[40:41]
	v_div_scale_f64 v[42:43], vcc_lo, 1.0, v[4:5], 1.0
	s_delay_alu instid0(VALU_DEP_1) | instskip(NEXT) | instid1(VALU_DEP_1)
	v_mul_f64 v[44:45], v[42:43], v[40:41]
	v_fma_f64 v[6:7], -v[6:7], v[44:45], v[42:43]
	s_delay_alu instid0(VALU_DEP_1) | instskip(NEXT) | instid1(VALU_DEP_1)
	v_div_fmas_f64 v[6:7], v[6:7], v[40:41], v[44:45]
                                        ; implicit-def: $vgpr40_vgpr41
	v_div_fixup_f64 v[46:47], v[6:7], v[4:5], 1.0
	s_delay_alu instid0(VALU_DEP_1)
	v_mul_f64 v[0:1], v[0:1], v[46:47]
	v_xor_b32_e32 v47, 0x80000000, v47
.LBB125_139:
	s_and_not1_saveexec_b32 s3, s3
	s_cbranch_execz .LBB125_141
; %bb.140:
	v_div_scale_f64 v[0:1], null, v[40:41], v[40:41], v[42:43]
	v_div_scale_f64 v[44:45], vcc_lo, v[42:43], v[40:41], v[42:43]
	s_delay_alu instid0(VALU_DEP_2) | instskip(SKIP_2) | instid1(VALU_DEP_1)
	v_rcp_f64_e32 v[4:5], v[0:1]
	s_waitcnt_depctr 0xfff
	v_fma_f64 v[6:7], -v[0:1], v[4:5], 1.0
	v_fma_f64 v[4:5], v[4:5], v[6:7], v[4:5]
	s_delay_alu instid0(VALU_DEP_1) | instskip(NEXT) | instid1(VALU_DEP_1)
	v_fma_f64 v[6:7], -v[0:1], v[4:5], 1.0
	v_fma_f64 v[4:5], v[4:5], v[6:7], v[4:5]
	s_delay_alu instid0(VALU_DEP_1) | instskip(NEXT) | instid1(VALU_DEP_1)
	v_mul_f64 v[6:7], v[44:45], v[4:5]
	v_fma_f64 v[0:1], -v[0:1], v[6:7], v[44:45]
	s_delay_alu instid0(VALU_DEP_1) | instskip(NEXT) | instid1(VALU_DEP_1)
	v_div_fmas_f64 v[0:1], v[0:1], v[4:5], v[6:7]
	v_div_fixup_f64 v[4:5], v[0:1], v[40:41], v[42:43]
	s_delay_alu instid0(VALU_DEP_1) | instskip(NEXT) | instid1(VALU_DEP_1)
	v_fma_f64 v[0:1], v[42:43], v[4:5], v[40:41]
	v_div_scale_f64 v[6:7], null, v[0:1], v[0:1], 1.0
	s_delay_alu instid0(VALU_DEP_1) | instskip(SKIP_2) | instid1(VALU_DEP_1)
	v_rcp_f64_e32 v[40:41], v[6:7]
	s_waitcnt_depctr 0xfff
	v_fma_f64 v[42:43], -v[6:7], v[40:41], 1.0
	v_fma_f64 v[40:41], v[40:41], v[42:43], v[40:41]
	s_delay_alu instid0(VALU_DEP_1) | instskip(NEXT) | instid1(VALU_DEP_1)
	v_fma_f64 v[42:43], -v[6:7], v[40:41], 1.0
	v_fma_f64 v[40:41], v[40:41], v[42:43], v[40:41]
	v_div_scale_f64 v[42:43], vcc_lo, 1.0, v[0:1], 1.0
	s_delay_alu instid0(VALU_DEP_1) | instskip(NEXT) | instid1(VALU_DEP_1)
	v_mul_f64 v[44:45], v[42:43], v[40:41]
	v_fma_f64 v[6:7], -v[6:7], v[44:45], v[42:43]
	s_delay_alu instid0(VALU_DEP_1) | instskip(NEXT) | instid1(VALU_DEP_1)
	v_div_fmas_f64 v[6:7], v[6:7], v[40:41], v[44:45]
	v_div_fixup_f64 v[0:1], v[6:7], v[0:1], 1.0
	s_delay_alu instid0(VALU_DEP_1)
	v_mul_f64 v[46:47], v[4:5], -v[0:1]
.LBB125_141:
	s_or_b32 exec_lo, exec_lo, s3
	ds_store_2addr_b64 v254, v[0:1], v[46:47] offset1:1
.LBB125_142:
	s_or_b32 exec_lo, exec_lo, s4
	s_waitcnt lgkmcnt(0)
	s_barrier
	buffer_gl0_inv
	ds_load_2addr_b64 v[40:43], v254 offset1:1
	s_mov_b32 s3, exec_lo
	v_cmpx_lt_u32_e32 10, v253
	s_cbranch_execz .LBB125_145
; %bb.143:
	scratch_load_b128 v[49:52], off, off offset:160
	s_mov_b32 s4, 0
	s_waitcnt vmcnt(0) lgkmcnt(0)
	v_mul_f64 v[0:1], v[42:43], v[51:52]
	v_mul_f64 v[4:5], v[40:41], v[51:52]
	s_delay_alu instid0(VALU_DEP_2) | instskip(NEXT) | instid1(VALU_DEP_2)
	v_fma_f64 v[44:45], v[40:41], v[49:50], -v[0:1]
	v_fma_f64 v[46:47], v[42:43], v[49:50], v[4:5]
	v_mov_b32_e32 v0, 0
	scratch_store_b128 off, v[44:47], off offset:160
.LBB125_144:                            ; =>This Inner Loop Header: Depth=1
	v_add_nc_u32_e32 v1, s4, v48
	v_readfirstlane_b32 s5, v0
	ds_load_2addr_b64 v[49:52], v1 offset1:1
	s_add_i32 s5, s5, s4
	s_add_i32 s4, s4, 64
	;; [unrolled: 1-line block ×3, first 2 shown]
	s_waitcnt lgkmcnt(0)
	v_mul_f64 v[4:5], v[51:52], v[46:47]
	v_mul_f64 v[6:7], v[49:50], v[46:47]
	s_delay_alu instid0(VALU_DEP_2) | instskip(NEXT) | instid1(VALU_DEP_2)
	v_fma_f64 v[4:5], v[49:50], v[44:45], -v[4:5]
	v_fma_f64 v[6:7], v[51:52], v[44:45], v[6:7]
	scratch_load_b128 v[49:52], off, s6
	s_waitcnt vmcnt(0)
	v_add_f64 v[49:50], v[49:50], -v[4:5]
	v_add_f64 v[51:52], v[51:52], -v[6:7]
	scratch_store_b128 off, v[49:52], s6
	ds_load_2addr_b64 v[49:52], v1 offset0:2 offset1:3
	s_add_i32 s6, s5, 0xc0
	s_waitcnt lgkmcnt(0)
	v_mul_f64 v[4:5], v[51:52], v[46:47]
	v_mul_f64 v[6:7], v[49:50], v[46:47]
	s_delay_alu instid0(VALU_DEP_2) | instskip(NEXT) | instid1(VALU_DEP_2)
	v_fma_f64 v[4:5], v[49:50], v[44:45], -v[4:5]
	v_fma_f64 v[6:7], v[51:52], v[44:45], v[6:7]
	scratch_load_b128 v[49:52], off, s6
	s_waitcnt vmcnt(0)
	v_add_f64 v[49:50], v[49:50], -v[4:5]
	v_add_f64 v[51:52], v[51:52], -v[6:7]
	scratch_store_b128 off, v[49:52], s6
	ds_load_2addr_b64 v[49:52], v1 offset0:4 offset1:5
	s_add_i32 s6, s5, 0xd0
	s_addk_i32 s5, 0xe0
	s_cmpk_lg_i32 s4, 0x340
	s_waitcnt lgkmcnt(0)
	v_mul_f64 v[4:5], v[51:52], v[46:47]
	v_mul_f64 v[6:7], v[49:50], v[46:47]
	s_delay_alu instid0(VALU_DEP_2) | instskip(NEXT) | instid1(VALU_DEP_2)
	v_fma_f64 v[4:5], v[49:50], v[44:45], -v[4:5]
	v_fma_f64 v[6:7], v[51:52], v[44:45], v[6:7]
	scratch_load_b128 v[49:52], off, s6
	s_waitcnt vmcnt(0)
	v_add_f64 v[49:50], v[49:50], -v[4:5]
	v_add_f64 v[51:52], v[51:52], -v[6:7]
	scratch_store_b128 off, v[49:52], s6
	ds_load_2addr_b64 v[49:52], v1 offset0:6 offset1:7
	s_waitcnt lgkmcnt(0)
	v_mul_f64 v[4:5], v[51:52], v[46:47]
	v_mul_f64 v[6:7], v[49:50], v[46:47]
	s_delay_alu instid0(VALU_DEP_2) | instskip(NEXT) | instid1(VALU_DEP_2)
	v_fma_f64 v[4:5], v[49:50], v[44:45], -v[4:5]
	v_fma_f64 v[6:7], v[51:52], v[44:45], v[6:7]
	scratch_load_b128 v[49:52], off, s5
	s_waitcnt vmcnt(0)
	v_add_f64 v[49:50], v[49:50], -v[4:5]
	v_add_f64 v[51:52], v[51:52], -v[6:7]
	scratch_store_b128 off, v[49:52], s5
	s_cbranch_scc1 .LBB125_144
.LBB125_145:
	s_or_b32 exec_lo, exec_lo, s3
	v_add3_u32 v52, v184, 0, 0xc0
	s_mov_b32 s4, exec_lo
	s_waitcnt lgkmcnt(0)
	s_waitcnt_vscnt null, 0x0
	s_barrier
	buffer_gl0_inv
	v_cmpx_eq_u32_e32 11, v253
	s_cbranch_execz .LBB125_154
; %bb.146:
	scratch_load_b128 v[44:47], v72, off
	v_mov_b32_e32 v0, 0
	s_movk_i32 s3, 0xfcd0
	s_waitcnt vmcnt(0)
	ds_store_2addr_b64 v254, v[44:45], v[46:47] offset1:1
.LBB125_147:                            ; =>This Inner Loop Header: Depth=1
	v_readfirstlane_b32 s5, v0
	v_add_nc_u32_e32 v1, s3, v52
	s_delay_alu instid0(VALU_DEP_2)
	s_add_i32 s5, s5, s3
	s_addk_i32 s3, 0x110
	s_add_i32 s6, s5, 0x3f0
	scratch_load_b128 v[44:47], off, s6
	s_add_i32 s6, s5, 0x400
	s_waitcnt vmcnt(0)
	ds_store_2addr_b64 v1, v[44:45], v[46:47] offset0:102 offset1:103
	scratch_load_b128 v[44:47], off, s6
	s_add_i32 s6, s5, 0x410
	s_waitcnt vmcnt(0)
	ds_store_2addr_b64 v1, v[44:45], v[46:47] offset0:104 offset1:105
	scratch_load_b128 v[44:47], off, s6
	s_add_i32 s6, s5, 0x420
	s_waitcnt vmcnt(0)
	ds_store_2addr_b64 v1, v[44:45], v[46:47] offset0:106 offset1:107
	scratch_load_b128 v[44:47], off, s6
	s_add_i32 s6, s5, 0x430
	s_waitcnt vmcnt(0)
	ds_store_2addr_b64 v1, v[44:45], v[46:47] offset0:108 offset1:109
	scratch_load_b128 v[44:47], off, s6
	s_add_i32 s6, s5, 0x440
	s_waitcnt vmcnt(0)
	ds_store_2addr_b64 v1, v[44:45], v[46:47] offset0:110 offset1:111
	scratch_load_b128 v[44:47], off, s6
	s_add_i32 s6, s5, 0x450
	s_waitcnt vmcnt(0)
	ds_store_2addr_b64 v1, v[44:45], v[46:47] offset0:112 offset1:113
	scratch_load_b128 v[44:47], off, s6
	s_add_i32 s6, s5, 0x460
	s_waitcnt vmcnt(0)
	ds_store_2addr_b64 v1, v[44:45], v[46:47] offset0:114 offset1:115
	scratch_load_b128 v[44:47], off, s6
	s_add_i32 s6, s5, 0x470
	s_waitcnt vmcnt(0)
	ds_store_2addr_b64 v1, v[44:45], v[46:47] offset0:116 offset1:117
	scratch_load_b128 v[44:47], off, s6
	s_add_i32 s6, s5, 0x480
	s_waitcnt vmcnt(0)
	ds_store_2addr_b64 v1, v[44:45], v[46:47] offset0:118 offset1:119
	scratch_load_b128 v[44:47], off, s6
	s_add_i32 s6, s5, 0x490
	s_waitcnt vmcnt(0)
	ds_store_2addr_b64 v1, v[44:45], v[46:47] offset0:120 offset1:121
	scratch_load_b128 v[44:47], off, s6
	s_add_i32 s6, s5, 0x4a0
	s_waitcnt vmcnt(0)
	ds_store_2addr_b64 v1, v[44:45], v[46:47] offset0:122 offset1:123
	scratch_load_b128 v[44:47], off, s6
	s_add_i32 s6, s5, 0x4b0
	s_waitcnt vmcnt(0)
	ds_store_2addr_b64 v1, v[44:45], v[46:47] offset0:124 offset1:125
	scratch_load_b128 v[44:47], off, s6
	s_add_i32 s6, s5, 0x4c0
	s_waitcnt vmcnt(0)
	ds_store_2addr_b64 v1, v[44:45], v[46:47] offset0:126 offset1:127
	scratch_load_b128 v[44:47], off, s6
	s_add_i32 s6, s5, 0x4d0
	s_waitcnt vmcnt(0)
	ds_store_2addr_b64 v1, v[44:45], v[46:47] offset0:128 offset1:129
	scratch_load_b128 v[44:47], off, s6
	s_add_i32 s6, s5, 0x4e0
	s_addk_i32 s5, 0x4f0
	s_cmp_lg_u32 s3, 0
	s_waitcnt vmcnt(0)
	ds_store_2addr_b64 v1, v[44:45], v[46:47] offset0:130 offset1:131
	scratch_load_b128 v[44:47], off, s6
	s_waitcnt vmcnt(0)
	ds_store_2addr_b64 v1, v[44:45], v[46:47] offset0:132 offset1:133
	scratch_load_b128 v[44:47], off, s5
	s_waitcnt vmcnt(0)
	ds_store_2addr_b64 v1, v[44:45], v[46:47] offset0:134 offset1:135
	s_cbranch_scc1 .LBB125_147
; %bb.148:
	ds_load_2addr_b64 v[44:47], v254 offset1:1
	s_waitcnt lgkmcnt(0)
	v_cmp_neq_f64_e32 vcc_lo, 0, v[44:45]
	v_cmp_neq_f64_e64 s3, 0, v[46:47]
	s_delay_alu instid0(VALU_DEP_1) | instskip(NEXT) | instid1(SALU_CYCLE_1)
	s_or_b32 s3, vcc_lo, s3
	s_and_b32 exec_lo, exec_lo, s3
	s_cbranch_execz .LBB125_154
; %bb.149:
	v_cmp_gt_f64_e32 vcc_lo, 0, v[44:45]
	v_cmp_gt_f64_e64 s3, 0, v[46:47]
	v_xor_b32_e32 v0, 0x80000000, v45
	v_xor_b32_e32 v4, 0x80000000, v47
	s_delay_alu instid0(VALU_DEP_2) | instskip(NEXT) | instid1(VALU_DEP_2)
	v_cndmask_b32_e32 v1, v45, v0, vcc_lo
	v_cndmask_b32_e64 v5, v47, v4, s3
	v_cndmask_b32_e32 v0, v44, v44, vcc_lo
	v_cndmask_b32_e64 v4, v46, v46, s3
	s_delay_alu instid0(VALU_DEP_1) | instskip(SKIP_1) | instid1(SALU_CYCLE_1)
	v_cmp_ngt_f64_e32 vcc_lo, v[0:1], v[4:5]
                                        ; implicit-def: $vgpr0_vgpr1
	s_and_saveexec_b32 s3, vcc_lo
	s_xor_b32 s3, exec_lo, s3
                                        ; implicit-def: $vgpr48_vgpr49_vgpr50_vgpr51
	s_cbranch_execz .LBB125_151
; %bb.150:
	v_div_scale_f64 v[0:1], null, v[46:47], v[46:47], v[44:45]
	v_div_scale_f64 v[48:49], vcc_lo, v[44:45], v[46:47], v[44:45]
	s_delay_alu instid0(VALU_DEP_2) | instskip(SKIP_2) | instid1(VALU_DEP_1)
	v_rcp_f64_e32 v[4:5], v[0:1]
	s_waitcnt_depctr 0xfff
	v_fma_f64 v[6:7], -v[0:1], v[4:5], 1.0
	v_fma_f64 v[4:5], v[4:5], v[6:7], v[4:5]
	s_delay_alu instid0(VALU_DEP_1) | instskip(NEXT) | instid1(VALU_DEP_1)
	v_fma_f64 v[6:7], -v[0:1], v[4:5], 1.0
	v_fma_f64 v[4:5], v[4:5], v[6:7], v[4:5]
	s_delay_alu instid0(VALU_DEP_1) | instskip(NEXT) | instid1(VALU_DEP_1)
	v_mul_f64 v[6:7], v[48:49], v[4:5]
	v_fma_f64 v[0:1], -v[0:1], v[6:7], v[48:49]
	s_delay_alu instid0(VALU_DEP_1) | instskip(NEXT) | instid1(VALU_DEP_1)
	v_div_fmas_f64 v[0:1], v[0:1], v[4:5], v[6:7]
	v_div_fixup_f64 v[0:1], v[0:1], v[46:47], v[44:45]
	s_delay_alu instid0(VALU_DEP_1) | instskip(NEXT) | instid1(VALU_DEP_1)
	v_fma_f64 v[4:5], v[44:45], v[0:1], v[46:47]
	v_div_scale_f64 v[6:7], null, v[4:5], v[4:5], 1.0
	s_delay_alu instid0(VALU_DEP_1) | instskip(SKIP_2) | instid1(VALU_DEP_1)
	v_rcp_f64_e32 v[44:45], v[6:7]
	s_waitcnt_depctr 0xfff
	v_fma_f64 v[46:47], -v[6:7], v[44:45], 1.0
	v_fma_f64 v[44:45], v[44:45], v[46:47], v[44:45]
	s_delay_alu instid0(VALU_DEP_1) | instskip(NEXT) | instid1(VALU_DEP_1)
	v_fma_f64 v[46:47], -v[6:7], v[44:45], 1.0
	v_fma_f64 v[44:45], v[44:45], v[46:47], v[44:45]
	v_div_scale_f64 v[46:47], vcc_lo, 1.0, v[4:5], 1.0
	s_delay_alu instid0(VALU_DEP_1) | instskip(NEXT) | instid1(VALU_DEP_1)
	v_mul_f64 v[48:49], v[46:47], v[44:45]
	v_fma_f64 v[6:7], -v[6:7], v[48:49], v[46:47]
	s_delay_alu instid0(VALU_DEP_1) | instskip(NEXT) | instid1(VALU_DEP_1)
	v_div_fmas_f64 v[6:7], v[6:7], v[44:45], v[48:49]
                                        ; implicit-def: $vgpr44_vgpr45
	v_div_fixup_f64 v[50:51], v[6:7], v[4:5], 1.0
	s_delay_alu instid0(VALU_DEP_1)
	v_mul_f64 v[0:1], v[0:1], v[50:51]
	v_xor_b32_e32 v51, 0x80000000, v51
.LBB125_151:
	s_and_not1_saveexec_b32 s3, s3
	s_cbranch_execz .LBB125_153
; %bb.152:
	v_div_scale_f64 v[0:1], null, v[44:45], v[44:45], v[46:47]
	v_div_scale_f64 v[48:49], vcc_lo, v[46:47], v[44:45], v[46:47]
	s_delay_alu instid0(VALU_DEP_2) | instskip(SKIP_2) | instid1(VALU_DEP_1)
	v_rcp_f64_e32 v[4:5], v[0:1]
	s_waitcnt_depctr 0xfff
	v_fma_f64 v[6:7], -v[0:1], v[4:5], 1.0
	v_fma_f64 v[4:5], v[4:5], v[6:7], v[4:5]
	s_delay_alu instid0(VALU_DEP_1) | instskip(NEXT) | instid1(VALU_DEP_1)
	v_fma_f64 v[6:7], -v[0:1], v[4:5], 1.0
	v_fma_f64 v[4:5], v[4:5], v[6:7], v[4:5]
	s_delay_alu instid0(VALU_DEP_1) | instskip(NEXT) | instid1(VALU_DEP_1)
	v_mul_f64 v[6:7], v[48:49], v[4:5]
	v_fma_f64 v[0:1], -v[0:1], v[6:7], v[48:49]
	s_delay_alu instid0(VALU_DEP_1) | instskip(NEXT) | instid1(VALU_DEP_1)
	v_div_fmas_f64 v[0:1], v[0:1], v[4:5], v[6:7]
	v_div_fixup_f64 v[4:5], v[0:1], v[44:45], v[46:47]
	s_delay_alu instid0(VALU_DEP_1) | instskip(NEXT) | instid1(VALU_DEP_1)
	v_fma_f64 v[0:1], v[46:47], v[4:5], v[44:45]
	v_div_scale_f64 v[6:7], null, v[0:1], v[0:1], 1.0
	s_delay_alu instid0(VALU_DEP_1) | instskip(SKIP_2) | instid1(VALU_DEP_1)
	v_rcp_f64_e32 v[44:45], v[6:7]
	s_waitcnt_depctr 0xfff
	v_fma_f64 v[46:47], -v[6:7], v[44:45], 1.0
	v_fma_f64 v[44:45], v[44:45], v[46:47], v[44:45]
	s_delay_alu instid0(VALU_DEP_1) | instskip(NEXT) | instid1(VALU_DEP_1)
	v_fma_f64 v[46:47], -v[6:7], v[44:45], 1.0
	v_fma_f64 v[44:45], v[44:45], v[46:47], v[44:45]
	v_div_scale_f64 v[46:47], vcc_lo, 1.0, v[0:1], 1.0
	s_delay_alu instid0(VALU_DEP_1) | instskip(NEXT) | instid1(VALU_DEP_1)
	v_mul_f64 v[48:49], v[46:47], v[44:45]
	v_fma_f64 v[6:7], -v[6:7], v[48:49], v[46:47]
	s_delay_alu instid0(VALU_DEP_1) | instskip(NEXT) | instid1(VALU_DEP_1)
	v_div_fmas_f64 v[6:7], v[6:7], v[44:45], v[48:49]
	v_div_fixup_f64 v[0:1], v[6:7], v[0:1], 1.0
	s_delay_alu instid0(VALU_DEP_1)
	v_mul_f64 v[50:51], v[4:5], -v[0:1]
.LBB125_153:
	s_or_b32 exec_lo, exec_lo, s3
	ds_store_2addr_b64 v254, v[0:1], v[50:51] offset1:1
.LBB125_154:
	s_or_b32 exec_lo, exec_lo, s4
	s_waitcnt lgkmcnt(0)
	s_barrier
	buffer_gl0_inv
	ds_load_2addr_b64 v[44:47], v254 offset1:1
	s_mov_b32 s3, exec_lo
	v_cmpx_lt_u32_e32 11, v253
	s_cbranch_execz .LBB125_157
; %bb.155:
	scratch_load_b128 v[53:56], off, off offset:176
	s_mov_b32 s4, 0
	s_waitcnt vmcnt(0) lgkmcnt(0)
	v_mul_f64 v[0:1], v[46:47], v[55:56]
	v_mul_f64 v[4:5], v[44:45], v[55:56]
	s_delay_alu instid0(VALU_DEP_2) | instskip(NEXT) | instid1(VALU_DEP_2)
	v_fma_f64 v[48:49], v[44:45], v[53:54], -v[0:1]
	v_fma_f64 v[50:51], v[46:47], v[53:54], v[4:5]
	v_mov_b32_e32 v0, 0
	scratch_store_b128 off, v[48:51], off offset:176
.LBB125_156:                            ; =>This Inner Loop Header: Depth=1
	v_add_nc_u32_e32 v1, s4, v52
	v_readfirstlane_b32 s5, v0
	ds_load_2addr_b64 v[53:56], v1 offset1:1
	s_add_i32 s5, s5, s4
	s_add_i32 s4, s4, 48
	;; [unrolled: 1-line block ×3, first 2 shown]
	s_waitcnt lgkmcnt(0)
	v_mul_f64 v[4:5], v[55:56], v[50:51]
	v_mul_f64 v[6:7], v[53:54], v[50:51]
	s_delay_alu instid0(VALU_DEP_2) | instskip(NEXT) | instid1(VALU_DEP_2)
	v_fma_f64 v[4:5], v[53:54], v[48:49], -v[4:5]
	v_fma_f64 v[6:7], v[55:56], v[48:49], v[6:7]
	scratch_load_b128 v[53:56], off, s6
	s_waitcnt vmcnt(0)
	v_add_f64 v[53:54], v[53:54], -v[4:5]
	v_add_f64 v[55:56], v[55:56], -v[6:7]
	scratch_store_b128 off, v[53:56], s6
	ds_load_2addr_b64 v[53:56], v1 offset0:2 offset1:3
	s_add_i32 s6, s5, 0xd0
	s_addk_i32 s5, 0xe0
	s_cmpk_lg_i32 s4, 0x330
	s_waitcnt lgkmcnt(0)
	v_mul_f64 v[4:5], v[55:56], v[50:51]
	v_mul_f64 v[6:7], v[53:54], v[50:51]
	s_delay_alu instid0(VALU_DEP_2) | instskip(NEXT) | instid1(VALU_DEP_2)
	v_fma_f64 v[4:5], v[53:54], v[48:49], -v[4:5]
	v_fma_f64 v[6:7], v[55:56], v[48:49], v[6:7]
	scratch_load_b128 v[53:56], off, s6
	s_waitcnt vmcnt(0)
	v_add_f64 v[53:54], v[53:54], -v[4:5]
	v_add_f64 v[55:56], v[55:56], -v[6:7]
	scratch_store_b128 off, v[53:56], s6
	ds_load_2addr_b64 v[53:56], v1 offset0:4 offset1:5
	s_waitcnt lgkmcnt(0)
	v_mul_f64 v[4:5], v[55:56], v[50:51]
	v_mul_f64 v[6:7], v[53:54], v[50:51]
	s_delay_alu instid0(VALU_DEP_2) | instskip(NEXT) | instid1(VALU_DEP_2)
	v_fma_f64 v[4:5], v[53:54], v[48:49], -v[4:5]
	v_fma_f64 v[6:7], v[55:56], v[48:49], v[6:7]
	scratch_load_b128 v[53:56], off, s5
	s_waitcnt vmcnt(0)
	v_add_f64 v[53:54], v[53:54], -v[4:5]
	v_add_f64 v[55:56], v[55:56], -v[6:7]
	scratch_store_b128 off, v[53:56], s5
	s_cbranch_scc1 .LBB125_156
.LBB125_157:
	s_or_b32 exec_lo, exec_lo, s3
	v_add3_u32 v56, v184, 0, 0xd0
	s_mov_b32 s4, exec_lo
	s_waitcnt lgkmcnt(0)
	s_waitcnt_vscnt null, 0x0
	s_barrier
	buffer_gl0_inv
	v_cmpx_eq_u32_e32 12, v253
	s_cbranch_execz .LBB125_166
; %bb.158:
	scratch_load_b128 v[48:51], v71, off
	v_mov_b32_e32 v0, 0
	s_movk_i32 s3, 0xfce0
	s_waitcnt vmcnt(0)
	ds_store_2addr_b64 v254, v[48:49], v[50:51] offset1:1
.LBB125_159:                            ; =>This Inner Loop Header: Depth=1
	v_readfirstlane_b32 s5, v0
	v_add_nc_u32_e32 v1, s3, v56
	s_delay_alu instid0(VALU_DEP_2)
	s_add_i32 s5, s5, s3
	s_addk_i32 s3, 0xa0
	s_add_i32 s6, s5, 0x3f0
	scratch_load_b128 v[48:51], off, s6
	s_add_i32 s6, s5, 0x400
	s_waitcnt vmcnt(0)
	ds_store_2addr_b64 v1, v[48:49], v[50:51] offset0:100 offset1:101
	scratch_load_b128 v[48:51], off, s6
	s_add_i32 s6, s5, 0x410
	s_waitcnt vmcnt(0)
	ds_store_2addr_b64 v1, v[48:49], v[50:51] offset0:102 offset1:103
	;; [unrolled: 4-line block ×7, first 2 shown]
	scratch_load_b128 v[48:51], off, s6
	s_add_i32 s6, s5, 0x470
	s_addk_i32 s5, 0x480
	s_cmp_lg_u32 s3, 0
	s_waitcnt vmcnt(0)
	ds_store_2addr_b64 v1, v[48:49], v[50:51] offset0:114 offset1:115
	scratch_load_b128 v[48:51], off, s6
	s_waitcnt vmcnt(0)
	ds_store_2addr_b64 v1, v[48:49], v[50:51] offset0:116 offset1:117
	scratch_load_b128 v[48:51], off, s5
	s_waitcnt vmcnt(0)
	ds_store_2addr_b64 v1, v[48:49], v[50:51] offset0:118 offset1:119
	s_cbranch_scc1 .LBB125_159
; %bb.160:
	ds_load_2addr_b64 v[48:51], v254 offset1:1
	s_waitcnt lgkmcnt(0)
	v_cmp_neq_f64_e32 vcc_lo, 0, v[48:49]
	v_cmp_neq_f64_e64 s3, 0, v[50:51]
	s_delay_alu instid0(VALU_DEP_1) | instskip(NEXT) | instid1(SALU_CYCLE_1)
	s_or_b32 s3, vcc_lo, s3
	s_and_b32 exec_lo, exec_lo, s3
	s_cbranch_execz .LBB125_166
; %bb.161:
	v_cmp_gt_f64_e32 vcc_lo, 0, v[48:49]
	v_cmp_gt_f64_e64 s3, 0, v[50:51]
	v_xor_b32_e32 v0, 0x80000000, v49
	v_xor_b32_e32 v4, 0x80000000, v51
	s_delay_alu instid0(VALU_DEP_2) | instskip(NEXT) | instid1(VALU_DEP_2)
	v_cndmask_b32_e32 v1, v49, v0, vcc_lo
	v_cndmask_b32_e64 v5, v51, v4, s3
	v_cndmask_b32_e32 v0, v48, v48, vcc_lo
	v_cndmask_b32_e64 v4, v50, v50, s3
	s_delay_alu instid0(VALU_DEP_1) | instskip(SKIP_1) | instid1(SALU_CYCLE_1)
	v_cmp_ngt_f64_e32 vcc_lo, v[0:1], v[4:5]
                                        ; implicit-def: $vgpr0_vgpr1
	s_and_saveexec_b32 s3, vcc_lo
	s_xor_b32 s3, exec_lo, s3
                                        ; implicit-def: $vgpr52_vgpr53_vgpr54_vgpr55
	s_cbranch_execz .LBB125_163
; %bb.162:
	v_div_scale_f64 v[0:1], null, v[50:51], v[50:51], v[48:49]
	v_div_scale_f64 v[52:53], vcc_lo, v[48:49], v[50:51], v[48:49]
	s_delay_alu instid0(VALU_DEP_2) | instskip(SKIP_2) | instid1(VALU_DEP_1)
	v_rcp_f64_e32 v[4:5], v[0:1]
	s_waitcnt_depctr 0xfff
	v_fma_f64 v[6:7], -v[0:1], v[4:5], 1.0
	v_fma_f64 v[4:5], v[4:5], v[6:7], v[4:5]
	s_delay_alu instid0(VALU_DEP_1) | instskip(NEXT) | instid1(VALU_DEP_1)
	v_fma_f64 v[6:7], -v[0:1], v[4:5], 1.0
	v_fma_f64 v[4:5], v[4:5], v[6:7], v[4:5]
	s_delay_alu instid0(VALU_DEP_1) | instskip(NEXT) | instid1(VALU_DEP_1)
	v_mul_f64 v[6:7], v[52:53], v[4:5]
	v_fma_f64 v[0:1], -v[0:1], v[6:7], v[52:53]
	s_delay_alu instid0(VALU_DEP_1) | instskip(NEXT) | instid1(VALU_DEP_1)
	v_div_fmas_f64 v[0:1], v[0:1], v[4:5], v[6:7]
	v_div_fixup_f64 v[0:1], v[0:1], v[50:51], v[48:49]
	s_delay_alu instid0(VALU_DEP_1) | instskip(NEXT) | instid1(VALU_DEP_1)
	v_fma_f64 v[4:5], v[48:49], v[0:1], v[50:51]
	v_div_scale_f64 v[6:7], null, v[4:5], v[4:5], 1.0
	s_delay_alu instid0(VALU_DEP_1) | instskip(SKIP_2) | instid1(VALU_DEP_1)
	v_rcp_f64_e32 v[48:49], v[6:7]
	s_waitcnt_depctr 0xfff
	v_fma_f64 v[50:51], -v[6:7], v[48:49], 1.0
	v_fma_f64 v[48:49], v[48:49], v[50:51], v[48:49]
	s_delay_alu instid0(VALU_DEP_1) | instskip(NEXT) | instid1(VALU_DEP_1)
	v_fma_f64 v[50:51], -v[6:7], v[48:49], 1.0
	v_fma_f64 v[48:49], v[48:49], v[50:51], v[48:49]
	v_div_scale_f64 v[50:51], vcc_lo, 1.0, v[4:5], 1.0
	s_delay_alu instid0(VALU_DEP_1) | instskip(NEXT) | instid1(VALU_DEP_1)
	v_mul_f64 v[52:53], v[50:51], v[48:49]
	v_fma_f64 v[6:7], -v[6:7], v[52:53], v[50:51]
	s_delay_alu instid0(VALU_DEP_1) | instskip(NEXT) | instid1(VALU_DEP_1)
	v_div_fmas_f64 v[6:7], v[6:7], v[48:49], v[52:53]
                                        ; implicit-def: $vgpr48_vgpr49
	v_div_fixup_f64 v[54:55], v[6:7], v[4:5], 1.0
	s_delay_alu instid0(VALU_DEP_1)
	v_mul_f64 v[0:1], v[0:1], v[54:55]
	v_xor_b32_e32 v55, 0x80000000, v55
.LBB125_163:
	s_and_not1_saveexec_b32 s3, s3
	s_cbranch_execz .LBB125_165
; %bb.164:
	v_div_scale_f64 v[0:1], null, v[48:49], v[48:49], v[50:51]
	v_div_scale_f64 v[52:53], vcc_lo, v[50:51], v[48:49], v[50:51]
	s_delay_alu instid0(VALU_DEP_2) | instskip(SKIP_2) | instid1(VALU_DEP_1)
	v_rcp_f64_e32 v[4:5], v[0:1]
	s_waitcnt_depctr 0xfff
	v_fma_f64 v[6:7], -v[0:1], v[4:5], 1.0
	v_fma_f64 v[4:5], v[4:5], v[6:7], v[4:5]
	s_delay_alu instid0(VALU_DEP_1) | instskip(NEXT) | instid1(VALU_DEP_1)
	v_fma_f64 v[6:7], -v[0:1], v[4:5], 1.0
	v_fma_f64 v[4:5], v[4:5], v[6:7], v[4:5]
	s_delay_alu instid0(VALU_DEP_1) | instskip(NEXT) | instid1(VALU_DEP_1)
	v_mul_f64 v[6:7], v[52:53], v[4:5]
	v_fma_f64 v[0:1], -v[0:1], v[6:7], v[52:53]
	s_delay_alu instid0(VALU_DEP_1) | instskip(NEXT) | instid1(VALU_DEP_1)
	v_div_fmas_f64 v[0:1], v[0:1], v[4:5], v[6:7]
	v_div_fixup_f64 v[4:5], v[0:1], v[48:49], v[50:51]
	s_delay_alu instid0(VALU_DEP_1) | instskip(NEXT) | instid1(VALU_DEP_1)
	v_fma_f64 v[0:1], v[50:51], v[4:5], v[48:49]
	v_div_scale_f64 v[6:7], null, v[0:1], v[0:1], 1.0
	s_delay_alu instid0(VALU_DEP_1) | instskip(SKIP_2) | instid1(VALU_DEP_1)
	v_rcp_f64_e32 v[48:49], v[6:7]
	s_waitcnt_depctr 0xfff
	v_fma_f64 v[50:51], -v[6:7], v[48:49], 1.0
	v_fma_f64 v[48:49], v[48:49], v[50:51], v[48:49]
	s_delay_alu instid0(VALU_DEP_1) | instskip(NEXT) | instid1(VALU_DEP_1)
	v_fma_f64 v[50:51], -v[6:7], v[48:49], 1.0
	v_fma_f64 v[48:49], v[48:49], v[50:51], v[48:49]
	v_div_scale_f64 v[50:51], vcc_lo, 1.0, v[0:1], 1.0
	s_delay_alu instid0(VALU_DEP_1) | instskip(NEXT) | instid1(VALU_DEP_1)
	v_mul_f64 v[52:53], v[50:51], v[48:49]
	v_fma_f64 v[6:7], -v[6:7], v[52:53], v[50:51]
	s_delay_alu instid0(VALU_DEP_1) | instskip(NEXT) | instid1(VALU_DEP_1)
	v_div_fmas_f64 v[6:7], v[6:7], v[48:49], v[52:53]
	v_div_fixup_f64 v[0:1], v[6:7], v[0:1], 1.0
	s_delay_alu instid0(VALU_DEP_1)
	v_mul_f64 v[54:55], v[4:5], -v[0:1]
.LBB125_165:
	s_or_b32 exec_lo, exec_lo, s3
	ds_store_2addr_b64 v254, v[0:1], v[54:55] offset1:1
.LBB125_166:
	s_or_b32 exec_lo, exec_lo, s4
	s_waitcnt lgkmcnt(0)
	s_barrier
	buffer_gl0_inv
	ds_load_2addr_b64 v[48:51], v254 offset1:1
	s_mov_b32 s3, exec_lo
	v_cmpx_lt_u32_e32 12, v253
	s_cbranch_execz .LBB125_169
; %bb.167:
	scratch_load_b128 v[57:60], off, off offset:192
	s_mov_b32 s4, 0
	s_waitcnt vmcnt(0) lgkmcnt(0)
	v_mul_f64 v[0:1], v[50:51], v[59:60]
	v_mul_f64 v[4:5], v[48:49], v[59:60]
	s_delay_alu instid0(VALU_DEP_2) | instskip(NEXT) | instid1(VALU_DEP_2)
	v_fma_f64 v[52:53], v[48:49], v[57:58], -v[0:1]
	v_fma_f64 v[54:55], v[50:51], v[57:58], v[4:5]
	v_mov_b32_e32 v0, 0
	scratch_store_b128 off, v[52:55], off offset:192
.LBB125_168:                            ; =>This Inner Loop Header: Depth=1
	v_add_nc_u32_e32 v1, s4, v56
	v_readfirstlane_b32 s5, v0
	ds_load_2addr_b64 v[57:60], v1 offset1:1
	s_add_i32 s5, s5, s4
	s_addk_i32 s4, 0x50
	s_add_i32 s6, s5, 0xd0
	s_waitcnt lgkmcnt(0)
	v_mul_f64 v[4:5], v[59:60], v[54:55]
	v_mul_f64 v[6:7], v[57:58], v[54:55]
	s_delay_alu instid0(VALU_DEP_2) | instskip(NEXT) | instid1(VALU_DEP_2)
	v_fma_f64 v[4:5], v[57:58], v[52:53], -v[4:5]
	v_fma_f64 v[6:7], v[59:60], v[52:53], v[6:7]
	scratch_load_b128 v[57:60], off, s6
	s_waitcnt vmcnt(0)
	v_add_f64 v[57:58], v[57:58], -v[4:5]
	v_add_f64 v[59:60], v[59:60], -v[6:7]
	scratch_store_b128 off, v[57:60], s6
	ds_load_2addr_b64 v[57:60], v1 offset0:2 offset1:3
	s_add_i32 s6, s5, 0xe0
	s_waitcnt lgkmcnt(0)
	v_mul_f64 v[4:5], v[59:60], v[54:55]
	v_mul_f64 v[6:7], v[57:58], v[54:55]
	s_delay_alu instid0(VALU_DEP_2) | instskip(NEXT) | instid1(VALU_DEP_2)
	v_fma_f64 v[4:5], v[57:58], v[52:53], -v[4:5]
	v_fma_f64 v[6:7], v[59:60], v[52:53], v[6:7]
	scratch_load_b128 v[57:60], off, s6
	s_waitcnt vmcnt(0)
	v_add_f64 v[57:58], v[57:58], -v[4:5]
	v_add_f64 v[59:60], v[59:60], -v[6:7]
	scratch_store_b128 off, v[57:60], s6
	ds_load_2addr_b64 v[57:60], v1 offset0:4 offset1:5
	;; [unrolled: 13-line block ×3, first 2 shown]
	s_add_i32 s6, s5, 0x100
	s_addk_i32 s5, 0x110
	s_cmpk_lg_i32 s4, 0x320
	s_waitcnt lgkmcnt(0)
	v_mul_f64 v[4:5], v[59:60], v[54:55]
	v_mul_f64 v[6:7], v[57:58], v[54:55]
	s_delay_alu instid0(VALU_DEP_2) | instskip(NEXT) | instid1(VALU_DEP_2)
	v_fma_f64 v[4:5], v[57:58], v[52:53], -v[4:5]
	v_fma_f64 v[6:7], v[59:60], v[52:53], v[6:7]
	scratch_load_b128 v[57:60], off, s6
	s_waitcnt vmcnt(0)
	v_add_f64 v[57:58], v[57:58], -v[4:5]
	v_add_f64 v[59:60], v[59:60], -v[6:7]
	scratch_store_b128 off, v[57:60], s6
	ds_load_2addr_b64 v[57:60], v1 offset0:8 offset1:9
	s_waitcnt lgkmcnt(0)
	v_mul_f64 v[4:5], v[59:60], v[54:55]
	v_mul_f64 v[6:7], v[57:58], v[54:55]
	s_delay_alu instid0(VALU_DEP_2) | instskip(NEXT) | instid1(VALU_DEP_2)
	v_fma_f64 v[4:5], v[57:58], v[52:53], -v[4:5]
	v_fma_f64 v[6:7], v[59:60], v[52:53], v[6:7]
	scratch_load_b128 v[57:60], off, s5
	s_waitcnt vmcnt(0)
	v_add_f64 v[57:58], v[57:58], -v[4:5]
	v_add_f64 v[59:60], v[59:60], -v[6:7]
	scratch_store_b128 off, v[57:60], s5
	s_cbranch_scc1 .LBB125_168
.LBB125_169:
	s_or_b32 exec_lo, exec_lo, s3
	v_add3_u32 v60, v184, 0, 0xe0
	s_mov_b32 s4, exec_lo
	s_waitcnt lgkmcnt(0)
	s_waitcnt_vscnt null, 0x0
	s_barrier
	buffer_gl0_inv
	v_cmpx_eq_u32_e32 13, v253
	s_cbranch_execz .LBB125_178
; %bb.170:
	scratch_load_b128 v[52:55], v70, off
	v_mov_b32_e32 v0, 0
	s_movk_i32 s3, 0xfcf0
	s_waitcnt vmcnt(0)
	ds_store_2addr_b64 v254, v[52:53], v[54:55] offset1:1
	s_set_inst_prefetch_distance 0x1
	.p2align	6
.LBB125_171:                            ; =>This Inner Loop Header: Depth=1
	v_readfirstlane_b32 s5, v0
	v_add_nc_u32_e32 v1, s3, v60
	s_delay_alu instid0(VALU_DEP_2)
	s_add_i32 s5, s5, s3
	s_addk_i32 s3, 0x70
	s_add_i32 s6, s5, 0x3f0
	scratch_load_b128 v[52:55], off, s6
	s_add_i32 s6, s5, 0x400
	s_waitcnt vmcnt(0)
	ds_store_2addr_b64 v1, v[52:53], v[54:55] offset0:98 offset1:99
	scratch_load_b128 v[52:55], off, s6
	s_add_i32 s6, s5, 0x410
	s_waitcnt vmcnt(0)
	ds_store_2addr_b64 v1, v[52:53], v[54:55] offset0:100 offset1:101
	;; [unrolled: 4-line block ×4, first 2 shown]
	scratch_load_b128 v[52:55], off, s6
	s_add_i32 s6, s5, 0x440
	s_addk_i32 s5, 0x450
	s_cmp_lg_u32 s3, 0
	s_waitcnt vmcnt(0)
	ds_store_2addr_b64 v1, v[52:53], v[54:55] offset0:106 offset1:107
	scratch_load_b128 v[52:55], off, s6
	s_waitcnt vmcnt(0)
	ds_store_2addr_b64 v1, v[52:53], v[54:55] offset0:108 offset1:109
	scratch_load_b128 v[52:55], off, s5
	s_waitcnt vmcnt(0)
	ds_store_2addr_b64 v1, v[52:53], v[54:55] offset0:110 offset1:111
	s_cbranch_scc1 .LBB125_171
; %bb.172:
	s_set_inst_prefetch_distance 0x2
	ds_load_2addr_b64 v[52:55], v254 offset1:1
	s_waitcnt lgkmcnt(0)
	v_cmp_neq_f64_e32 vcc_lo, 0, v[52:53]
	v_cmp_neq_f64_e64 s3, 0, v[54:55]
	s_delay_alu instid0(VALU_DEP_1) | instskip(NEXT) | instid1(SALU_CYCLE_1)
	s_or_b32 s3, vcc_lo, s3
	s_and_b32 exec_lo, exec_lo, s3
	s_cbranch_execz .LBB125_178
; %bb.173:
	v_cmp_gt_f64_e32 vcc_lo, 0, v[52:53]
	v_cmp_gt_f64_e64 s3, 0, v[54:55]
	v_xor_b32_e32 v0, 0x80000000, v53
	v_xor_b32_e32 v4, 0x80000000, v55
	s_delay_alu instid0(VALU_DEP_2) | instskip(NEXT) | instid1(VALU_DEP_2)
	v_cndmask_b32_e32 v1, v53, v0, vcc_lo
	v_cndmask_b32_e64 v5, v55, v4, s3
	v_cndmask_b32_e32 v0, v52, v52, vcc_lo
	v_cndmask_b32_e64 v4, v54, v54, s3
	s_delay_alu instid0(VALU_DEP_1) | instskip(SKIP_1) | instid1(SALU_CYCLE_1)
	v_cmp_ngt_f64_e32 vcc_lo, v[0:1], v[4:5]
                                        ; implicit-def: $vgpr0_vgpr1
	s_and_saveexec_b32 s3, vcc_lo
	s_xor_b32 s3, exec_lo, s3
                                        ; implicit-def: $vgpr56_vgpr57_vgpr58_vgpr59
	s_cbranch_execz .LBB125_175
; %bb.174:
	v_div_scale_f64 v[0:1], null, v[54:55], v[54:55], v[52:53]
	v_div_scale_f64 v[56:57], vcc_lo, v[52:53], v[54:55], v[52:53]
	s_delay_alu instid0(VALU_DEP_2) | instskip(SKIP_2) | instid1(VALU_DEP_1)
	v_rcp_f64_e32 v[4:5], v[0:1]
	s_waitcnt_depctr 0xfff
	v_fma_f64 v[6:7], -v[0:1], v[4:5], 1.0
	v_fma_f64 v[4:5], v[4:5], v[6:7], v[4:5]
	s_delay_alu instid0(VALU_DEP_1) | instskip(NEXT) | instid1(VALU_DEP_1)
	v_fma_f64 v[6:7], -v[0:1], v[4:5], 1.0
	v_fma_f64 v[4:5], v[4:5], v[6:7], v[4:5]
	s_delay_alu instid0(VALU_DEP_1) | instskip(NEXT) | instid1(VALU_DEP_1)
	v_mul_f64 v[6:7], v[56:57], v[4:5]
	v_fma_f64 v[0:1], -v[0:1], v[6:7], v[56:57]
	s_delay_alu instid0(VALU_DEP_1) | instskip(NEXT) | instid1(VALU_DEP_1)
	v_div_fmas_f64 v[0:1], v[0:1], v[4:5], v[6:7]
	v_div_fixup_f64 v[0:1], v[0:1], v[54:55], v[52:53]
	s_delay_alu instid0(VALU_DEP_1) | instskip(NEXT) | instid1(VALU_DEP_1)
	v_fma_f64 v[4:5], v[52:53], v[0:1], v[54:55]
	v_div_scale_f64 v[6:7], null, v[4:5], v[4:5], 1.0
	s_delay_alu instid0(VALU_DEP_1) | instskip(SKIP_2) | instid1(VALU_DEP_1)
	v_rcp_f64_e32 v[52:53], v[6:7]
	s_waitcnt_depctr 0xfff
	v_fma_f64 v[54:55], -v[6:7], v[52:53], 1.0
	v_fma_f64 v[52:53], v[52:53], v[54:55], v[52:53]
	s_delay_alu instid0(VALU_DEP_1) | instskip(NEXT) | instid1(VALU_DEP_1)
	v_fma_f64 v[54:55], -v[6:7], v[52:53], 1.0
	v_fma_f64 v[52:53], v[52:53], v[54:55], v[52:53]
	v_div_scale_f64 v[54:55], vcc_lo, 1.0, v[4:5], 1.0
	s_delay_alu instid0(VALU_DEP_1) | instskip(NEXT) | instid1(VALU_DEP_1)
	v_mul_f64 v[56:57], v[54:55], v[52:53]
	v_fma_f64 v[6:7], -v[6:7], v[56:57], v[54:55]
	s_delay_alu instid0(VALU_DEP_1) | instskip(NEXT) | instid1(VALU_DEP_1)
	v_div_fmas_f64 v[6:7], v[6:7], v[52:53], v[56:57]
                                        ; implicit-def: $vgpr52_vgpr53
	v_div_fixup_f64 v[58:59], v[6:7], v[4:5], 1.0
	s_delay_alu instid0(VALU_DEP_1)
	v_mul_f64 v[0:1], v[0:1], v[58:59]
	v_xor_b32_e32 v59, 0x80000000, v59
.LBB125_175:
	s_and_not1_saveexec_b32 s3, s3
	s_cbranch_execz .LBB125_177
; %bb.176:
	v_div_scale_f64 v[0:1], null, v[52:53], v[52:53], v[54:55]
	v_div_scale_f64 v[56:57], vcc_lo, v[54:55], v[52:53], v[54:55]
	s_delay_alu instid0(VALU_DEP_2) | instskip(SKIP_2) | instid1(VALU_DEP_1)
	v_rcp_f64_e32 v[4:5], v[0:1]
	s_waitcnt_depctr 0xfff
	v_fma_f64 v[6:7], -v[0:1], v[4:5], 1.0
	v_fma_f64 v[4:5], v[4:5], v[6:7], v[4:5]
	s_delay_alu instid0(VALU_DEP_1) | instskip(NEXT) | instid1(VALU_DEP_1)
	v_fma_f64 v[6:7], -v[0:1], v[4:5], 1.0
	v_fma_f64 v[4:5], v[4:5], v[6:7], v[4:5]
	s_delay_alu instid0(VALU_DEP_1) | instskip(NEXT) | instid1(VALU_DEP_1)
	v_mul_f64 v[6:7], v[56:57], v[4:5]
	v_fma_f64 v[0:1], -v[0:1], v[6:7], v[56:57]
	s_delay_alu instid0(VALU_DEP_1) | instskip(NEXT) | instid1(VALU_DEP_1)
	v_div_fmas_f64 v[0:1], v[0:1], v[4:5], v[6:7]
	v_div_fixup_f64 v[4:5], v[0:1], v[52:53], v[54:55]
	s_delay_alu instid0(VALU_DEP_1) | instskip(NEXT) | instid1(VALU_DEP_1)
	v_fma_f64 v[0:1], v[54:55], v[4:5], v[52:53]
	v_div_scale_f64 v[6:7], null, v[0:1], v[0:1], 1.0
	s_delay_alu instid0(VALU_DEP_1) | instskip(SKIP_2) | instid1(VALU_DEP_1)
	v_rcp_f64_e32 v[52:53], v[6:7]
	s_waitcnt_depctr 0xfff
	v_fma_f64 v[54:55], -v[6:7], v[52:53], 1.0
	v_fma_f64 v[52:53], v[52:53], v[54:55], v[52:53]
	s_delay_alu instid0(VALU_DEP_1) | instskip(NEXT) | instid1(VALU_DEP_1)
	v_fma_f64 v[54:55], -v[6:7], v[52:53], 1.0
	v_fma_f64 v[52:53], v[52:53], v[54:55], v[52:53]
	v_div_scale_f64 v[54:55], vcc_lo, 1.0, v[0:1], 1.0
	s_delay_alu instid0(VALU_DEP_1) | instskip(NEXT) | instid1(VALU_DEP_1)
	v_mul_f64 v[56:57], v[54:55], v[52:53]
	v_fma_f64 v[6:7], -v[6:7], v[56:57], v[54:55]
	s_delay_alu instid0(VALU_DEP_1) | instskip(NEXT) | instid1(VALU_DEP_1)
	v_div_fmas_f64 v[6:7], v[6:7], v[52:53], v[56:57]
	v_div_fixup_f64 v[0:1], v[6:7], v[0:1], 1.0
	s_delay_alu instid0(VALU_DEP_1)
	v_mul_f64 v[58:59], v[4:5], -v[0:1]
.LBB125_177:
	s_or_b32 exec_lo, exec_lo, s3
	ds_store_2addr_b64 v254, v[0:1], v[58:59] offset1:1
.LBB125_178:
	s_or_b32 exec_lo, exec_lo, s4
	scratch_store_b128 off, v[8:11], off offset:1772 ; 16-byte Folded Spill
	s_waitcnt lgkmcnt(0)
	s_waitcnt_vscnt null, 0x0
	s_barrier
	buffer_gl0_inv
	ds_load_2addr_b64 v[52:55], v254 offset1:1
	s_mov_b32 s3, exec_lo
	v_cmpx_lt_u32_e32 13, v253
	s_cbranch_execz .LBB125_181
; %bb.179:
	scratch_load_b128 v[61:64], off, off offset:208
	s_mov_b32 s4, 0
	s_waitcnt vmcnt(0) lgkmcnt(0)
	v_mul_f64 v[0:1], v[54:55], v[63:64]
	s_delay_alu instid0(VALU_DEP_1) | instskip(SKIP_1) | instid1(VALU_DEP_1)
	v_fma_f64 v[56:57], v[52:53], v[61:62], -v[0:1]
	v_mul_f64 v[0:1], v[52:53], v[63:64]
	v_fma_f64 v[58:59], v[54:55], v[61:62], v[0:1]
	v_mov_b32_e32 v0, 0
	scratch_store_b128 off, v[56:59], off offset:208
.LBB125_180:                            ; =>This Inner Loop Header: Depth=1
	v_add_nc_u32_e32 v1, s4, v60
	v_readfirstlane_b32 s5, v0
	ds_load_2addr_b64 v[61:64], v1 offset1:1
	s_add_i32 s5, s5, s4
	s_addk_i32 s4, 0x70
	s_add_i32 s6, s5, 0xe0
	s_waitcnt lgkmcnt(0)
	v_mul_f64 v[4:5], v[63:64], v[58:59]
	v_mul_f64 v[6:7], v[61:62], v[58:59]
	s_delay_alu instid0(VALU_DEP_2) | instskip(NEXT) | instid1(VALU_DEP_2)
	v_fma_f64 v[4:5], v[61:62], v[56:57], -v[4:5]
	v_fma_f64 v[6:7], v[63:64], v[56:57], v[6:7]
	scratch_load_b128 v[61:64], off, s6
	s_waitcnt vmcnt(0)
	v_add_f64 v[61:62], v[61:62], -v[4:5]
	v_add_f64 v[63:64], v[63:64], -v[6:7]
	scratch_store_b128 off, v[61:64], s6
	ds_load_2addr_b64 v[61:64], v1 offset0:2 offset1:3
	s_add_i32 s6, s5, 0xf0
	s_waitcnt lgkmcnt(0)
	v_mul_f64 v[4:5], v[63:64], v[58:59]
	v_mul_f64 v[6:7], v[61:62], v[58:59]
	s_delay_alu instid0(VALU_DEP_2) | instskip(NEXT) | instid1(VALU_DEP_2)
	v_fma_f64 v[4:5], v[61:62], v[56:57], -v[4:5]
	v_fma_f64 v[6:7], v[63:64], v[56:57], v[6:7]
	scratch_load_b128 v[61:64], off, s6
	s_waitcnt vmcnt(0)
	v_add_f64 v[61:62], v[61:62], -v[4:5]
	v_add_f64 v[63:64], v[63:64], -v[6:7]
	scratch_store_b128 off, v[61:64], s6
	ds_load_2addr_b64 v[61:64], v1 offset0:4 offset1:5
	;; [unrolled: 13-line block ×5, first 2 shown]
	s_add_i32 s6, s5, 0x130
	s_addk_i32 s5, 0x140
	s_cmpk_lg_i32 s4, 0x310
	s_waitcnt lgkmcnt(0)
	v_mul_f64 v[4:5], v[63:64], v[58:59]
	v_mul_f64 v[6:7], v[61:62], v[58:59]
	s_delay_alu instid0(VALU_DEP_2) | instskip(NEXT) | instid1(VALU_DEP_2)
	v_fma_f64 v[4:5], v[61:62], v[56:57], -v[4:5]
	v_fma_f64 v[6:7], v[63:64], v[56:57], v[6:7]
	scratch_load_b128 v[56:59], off, s6
	ds_load_2addr_b64 v[61:64], v1 offset0:12 offset1:13
	s_waitcnt vmcnt(0)
	v_add_f64 v[56:57], v[56:57], -v[4:5]
	v_add_f64 v[58:59], v[58:59], -v[6:7]
	scratch_store_b128 off, v[56:59], s6
	scratch_load_b128 v[56:59], off, off offset:208
	s_waitcnt vmcnt(0) lgkmcnt(0)
	v_mul_f64 v[4:5], v[63:64], v[58:59]
	v_mul_f64 v[6:7], v[61:62], v[58:59]
	s_delay_alu instid0(VALU_DEP_2) | instskip(NEXT) | instid1(VALU_DEP_2)
	v_fma_f64 v[4:5], v[61:62], v[56:57], -v[4:5]
	v_fma_f64 v[6:7], v[63:64], v[56:57], v[6:7]
	scratch_load_b128 v[61:64], off, s5
	s_waitcnt vmcnt(0)
	v_add_f64 v[61:62], v[61:62], -v[4:5]
	v_add_f64 v[63:64], v[63:64], -v[6:7]
	scratch_store_b128 off, v[61:64], s5
	s_cbranch_scc1 .LBB125_180
.LBB125_181:
	s_or_b32 exec_lo, exec_lo, s3
	v_add3_u32 v64, v184, 0, 0xf0
	s_mov_b32 s4, exec_lo
	s_waitcnt lgkmcnt(0)
	s_waitcnt_vscnt null, 0x0
	s_barrier
	buffer_gl0_inv
	v_cmpx_eq_u32_e32 14, v253
	s_cbranch_execz .LBB125_190
; %bb.182:
	scratch_load_b128 v[56:59], v69, off
	v_mov_b32_e32 v0, 0
	s_movk_i32 s3, 0xfd00
	s_waitcnt vmcnt(0)
	ds_store_2addr_b64 v254, v[56:57], v[58:59] offset1:1
.LBB125_183:                            ; =>This Inner Loop Header: Depth=1
	v_readfirstlane_b32 s5, v0
	v_add_nc_u32_e32 v1, s3, v64
	s_delay_alu instid0(VALU_DEP_2)
	s_add_i32 s5, s5, s3
	s_addk_i32 s3, 0x100
	s_add_i32 s6, s5, 0x3f0
	scratch_load_b128 v[56:59], off, s6
	s_add_i32 s6, s5, 0x400
	s_waitcnt vmcnt(0)
	ds_store_2addr_b64 v1, v[56:57], v[58:59] offset0:96 offset1:97
	scratch_load_b128 v[56:59], off, s6
	s_add_i32 s6, s5, 0x410
	s_waitcnt vmcnt(0)
	ds_store_2addr_b64 v1, v[56:57], v[58:59] offset0:98 offset1:99
	;; [unrolled: 4-line block ×13, first 2 shown]
	scratch_load_b128 v[56:59], off, s6
	s_add_i32 s6, s5, 0x4d0
	s_addk_i32 s5, 0x4e0
	s_cmp_lg_u32 s3, 0
	s_waitcnt vmcnt(0)
	ds_store_2addr_b64 v1, v[56:57], v[58:59] offset0:122 offset1:123
	scratch_load_b128 v[56:59], off, s6
	s_waitcnt vmcnt(0)
	ds_store_2addr_b64 v1, v[56:57], v[58:59] offset0:124 offset1:125
	scratch_load_b128 v[56:59], off, s5
	s_waitcnt vmcnt(0)
	ds_store_2addr_b64 v1, v[56:57], v[58:59] offset0:126 offset1:127
	s_cbranch_scc1 .LBB125_183
; %bb.184:
	ds_load_2addr_b64 v[56:59], v254 offset1:1
	s_waitcnt lgkmcnt(0)
	v_cmp_neq_f64_e32 vcc_lo, 0, v[56:57]
	v_cmp_neq_f64_e64 s3, 0, v[58:59]
	s_delay_alu instid0(VALU_DEP_1) | instskip(NEXT) | instid1(SALU_CYCLE_1)
	s_or_b32 s3, vcc_lo, s3
	s_and_b32 exec_lo, exec_lo, s3
	s_cbranch_execz .LBB125_190
; %bb.185:
	v_cmp_gt_f64_e32 vcc_lo, 0, v[56:57]
	v_xor_b32_e32 v0, 0x80000000, v57
	v_xor_b32_e32 v4, 0x80000000, v59
	s_delay_alu instid0(VALU_DEP_2) | instskip(SKIP_2) | instid1(VALU_DEP_4)
	v_cndmask_b32_e32 v1, v57, v0, vcc_lo
	v_cndmask_b32_e32 v0, v56, v56, vcc_lo
	v_cmp_gt_f64_e32 vcc_lo, 0, v[58:59]
	v_dual_cndmask_b32 v5, v59, v4 :: v_dual_cndmask_b32 v4, v58, v58
	s_delay_alu instid0(VALU_DEP_1) | instskip(SKIP_1) | instid1(SALU_CYCLE_1)
	v_cmp_ngt_f64_e32 vcc_lo, v[0:1], v[4:5]
                                        ; implicit-def: $vgpr0_vgpr1
	s_and_saveexec_b32 s3, vcc_lo
	s_xor_b32 s3, exec_lo, s3
                                        ; implicit-def: $vgpr60_vgpr61_vgpr62_vgpr63
	s_cbranch_execz .LBB125_187
; %bb.186:
	v_div_scale_f64 v[0:1], null, v[58:59], v[58:59], v[56:57]
	v_div_scale_f64 v[60:61], vcc_lo, v[56:57], v[58:59], v[56:57]
	s_delay_alu instid0(VALU_DEP_2) | instskip(SKIP_2) | instid1(VALU_DEP_1)
	v_rcp_f64_e32 v[4:5], v[0:1]
	s_waitcnt_depctr 0xfff
	v_fma_f64 v[6:7], -v[0:1], v[4:5], 1.0
	v_fma_f64 v[4:5], v[4:5], v[6:7], v[4:5]
	s_delay_alu instid0(VALU_DEP_1) | instskip(NEXT) | instid1(VALU_DEP_1)
	v_fma_f64 v[6:7], -v[0:1], v[4:5], 1.0
	v_fma_f64 v[4:5], v[4:5], v[6:7], v[4:5]
	s_delay_alu instid0(VALU_DEP_1) | instskip(NEXT) | instid1(VALU_DEP_1)
	v_mul_f64 v[6:7], v[60:61], v[4:5]
	v_fma_f64 v[0:1], -v[0:1], v[6:7], v[60:61]
	s_delay_alu instid0(VALU_DEP_1) | instskip(NEXT) | instid1(VALU_DEP_1)
	v_div_fmas_f64 v[0:1], v[0:1], v[4:5], v[6:7]
	v_div_fixup_f64 v[0:1], v[0:1], v[58:59], v[56:57]
	s_delay_alu instid0(VALU_DEP_1) | instskip(NEXT) | instid1(VALU_DEP_1)
	v_fma_f64 v[4:5], v[56:57], v[0:1], v[58:59]
	v_div_scale_f64 v[6:7], null, v[4:5], v[4:5], 1.0
	s_delay_alu instid0(VALU_DEP_1) | instskip(SKIP_2) | instid1(VALU_DEP_1)
	v_rcp_f64_e32 v[56:57], v[6:7]
	s_waitcnt_depctr 0xfff
	v_fma_f64 v[58:59], -v[6:7], v[56:57], 1.0
	v_fma_f64 v[56:57], v[56:57], v[58:59], v[56:57]
	s_delay_alu instid0(VALU_DEP_1) | instskip(NEXT) | instid1(VALU_DEP_1)
	v_fma_f64 v[58:59], -v[6:7], v[56:57], 1.0
	v_fma_f64 v[56:57], v[56:57], v[58:59], v[56:57]
	v_div_scale_f64 v[58:59], vcc_lo, 1.0, v[4:5], 1.0
	s_delay_alu instid0(VALU_DEP_1) | instskip(NEXT) | instid1(VALU_DEP_1)
	v_mul_f64 v[60:61], v[58:59], v[56:57]
	v_fma_f64 v[6:7], -v[6:7], v[60:61], v[58:59]
	s_delay_alu instid0(VALU_DEP_1) | instskip(NEXT) | instid1(VALU_DEP_1)
	v_div_fmas_f64 v[6:7], v[6:7], v[56:57], v[60:61]
                                        ; implicit-def: $vgpr56_vgpr57
	v_div_fixup_f64 v[62:63], v[6:7], v[4:5], 1.0
	s_delay_alu instid0(VALU_DEP_1)
	v_mul_f64 v[0:1], v[0:1], v[62:63]
	v_xor_b32_e32 v63, 0x80000000, v63
.LBB125_187:
	s_and_not1_saveexec_b32 s3, s3
	s_cbranch_execz .LBB125_189
; %bb.188:
	v_div_scale_f64 v[0:1], null, v[56:57], v[56:57], v[58:59]
	v_div_scale_f64 v[60:61], vcc_lo, v[58:59], v[56:57], v[58:59]
	s_delay_alu instid0(VALU_DEP_2) | instskip(SKIP_2) | instid1(VALU_DEP_1)
	v_rcp_f64_e32 v[4:5], v[0:1]
	s_waitcnt_depctr 0xfff
	v_fma_f64 v[6:7], -v[0:1], v[4:5], 1.0
	v_fma_f64 v[4:5], v[4:5], v[6:7], v[4:5]
	s_delay_alu instid0(VALU_DEP_1) | instskip(NEXT) | instid1(VALU_DEP_1)
	v_fma_f64 v[6:7], -v[0:1], v[4:5], 1.0
	v_fma_f64 v[4:5], v[4:5], v[6:7], v[4:5]
	s_delay_alu instid0(VALU_DEP_1) | instskip(NEXT) | instid1(VALU_DEP_1)
	v_mul_f64 v[6:7], v[60:61], v[4:5]
	v_fma_f64 v[0:1], -v[0:1], v[6:7], v[60:61]
	s_delay_alu instid0(VALU_DEP_1) | instskip(NEXT) | instid1(VALU_DEP_1)
	v_div_fmas_f64 v[0:1], v[0:1], v[4:5], v[6:7]
	v_div_fixup_f64 v[4:5], v[0:1], v[56:57], v[58:59]
	s_delay_alu instid0(VALU_DEP_1) | instskip(NEXT) | instid1(VALU_DEP_1)
	v_fma_f64 v[0:1], v[58:59], v[4:5], v[56:57]
	v_div_scale_f64 v[6:7], null, v[0:1], v[0:1], 1.0
	s_delay_alu instid0(VALU_DEP_1) | instskip(SKIP_2) | instid1(VALU_DEP_1)
	v_rcp_f64_e32 v[56:57], v[6:7]
	s_waitcnt_depctr 0xfff
	v_fma_f64 v[58:59], -v[6:7], v[56:57], 1.0
	v_fma_f64 v[56:57], v[56:57], v[58:59], v[56:57]
	s_delay_alu instid0(VALU_DEP_1) | instskip(NEXT) | instid1(VALU_DEP_1)
	v_fma_f64 v[58:59], -v[6:7], v[56:57], 1.0
	v_fma_f64 v[56:57], v[56:57], v[58:59], v[56:57]
	v_div_scale_f64 v[58:59], vcc_lo, 1.0, v[0:1], 1.0
	s_delay_alu instid0(VALU_DEP_1) | instskip(NEXT) | instid1(VALU_DEP_1)
	v_mul_f64 v[60:61], v[58:59], v[56:57]
	v_fma_f64 v[6:7], -v[6:7], v[60:61], v[58:59]
	s_delay_alu instid0(VALU_DEP_1) | instskip(NEXT) | instid1(VALU_DEP_1)
	v_div_fmas_f64 v[6:7], v[6:7], v[56:57], v[60:61]
	v_div_fixup_f64 v[0:1], v[6:7], v[0:1], 1.0
	s_delay_alu instid0(VALU_DEP_1)
	v_mul_f64 v[62:63], v[4:5], -v[0:1]
.LBB125_189:
	s_or_b32 exec_lo, exec_lo, s3
	ds_store_2addr_b64 v254, v[0:1], v[62:63] offset1:1
.LBB125_190:
	s_or_b32 exec_lo, exec_lo, s4
	s_waitcnt lgkmcnt(0)
	s_barrier
	buffer_gl0_inv
	ds_load_2addr_b64 v[56:59], v254 offset1:1
	s_mov_b32 s3, exec_lo
	v_cmpx_lt_u32_e32 14, v253
	s_cbranch_execz .LBB125_193
; %bb.191:
	scratch_load_b128 v[65:68], off, off offset:224
	s_mov_b32 s4, 0
	s_waitcnt vmcnt(0) lgkmcnt(0)
	v_mul_f64 v[0:1], v[58:59], v[67:68]
	s_delay_alu instid0(VALU_DEP_1) | instskip(SKIP_1) | instid1(VALU_DEP_1)
	v_fma_f64 v[60:61], v[56:57], v[65:66], -v[0:1]
	v_mul_f64 v[0:1], v[56:57], v[67:68]
	v_fma_f64 v[62:63], v[58:59], v[65:66], v[0:1]
	v_mov_b32_e32 v0, 0
	scratch_store_b128 off, v[60:63], off offset:224
.LBB125_192:                            ; =>This Inner Loop Header: Depth=1
	v_add_nc_u32_e32 v1, s4, v64
	v_readfirstlane_b32 s5, v0
	ds_load_2addr_b64 v[65:68], v1 offset1:1
	s_add_i32 s5, s5, s4
	s_addk_i32 s4, 0x60
	s_add_i32 s6, s5, 0xf0
	s_waitcnt lgkmcnt(0)
	v_mul_f64 v[4:5], v[67:68], v[62:63]
	v_mul_f64 v[6:7], v[65:66], v[62:63]
	s_delay_alu instid0(VALU_DEP_2) | instskip(NEXT) | instid1(VALU_DEP_2)
	v_fma_f64 v[4:5], v[65:66], v[60:61], -v[4:5]
	v_fma_f64 v[6:7], v[67:68], v[60:61], v[6:7]
	scratch_load_b128 v[65:68], off, s6
	s_waitcnt vmcnt(0)
	v_add_f64 v[65:66], v[65:66], -v[4:5]
	v_add_f64 v[67:68], v[67:68], -v[6:7]
	scratch_store_b128 off, v[65:68], s6
	ds_load_2addr_b64 v[65:68], v1 offset0:2 offset1:3
	s_add_i32 s6, s5, 0x100
	s_waitcnt lgkmcnt(0)
	v_mul_f64 v[4:5], v[67:68], v[62:63]
	v_mul_f64 v[6:7], v[65:66], v[62:63]
	s_delay_alu instid0(VALU_DEP_2) | instskip(NEXT) | instid1(VALU_DEP_2)
	v_fma_f64 v[4:5], v[65:66], v[60:61], -v[4:5]
	v_fma_f64 v[6:7], v[67:68], v[60:61], v[6:7]
	scratch_load_b128 v[65:68], off, s6
	s_waitcnt vmcnt(0)
	v_add_f64 v[65:66], v[65:66], -v[4:5]
	v_add_f64 v[67:68], v[67:68], -v[6:7]
	scratch_store_b128 off, v[65:68], s6
	ds_load_2addr_b64 v[65:68], v1 offset0:4 offset1:5
	;; [unrolled: 13-line block ×4, first 2 shown]
	s_add_i32 s6, s5, 0x130
	s_addk_i32 s5, 0x140
	s_cmpk_lg_i32 s4, 0x300
	s_waitcnt lgkmcnt(0)
	v_mul_f64 v[4:5], v[67:68], v[62:63]
	v_mul_f64 v[6:7], v[65:66], v[62:63]
	s_delay_alu instid0(VALU_DEP_2) | instskip(NEXT) | instid1(VALU_DEP_2)
	v_fma_f64 v[4:5], v[65:66], v[60:61], -v[4:5]
	v_fma_f64 v[6:7], v[67:68], v[60:61], v[6:7]
	scratch_load_b128 v[65:68], off, s6
	s_waitcnt vmcnt(0)
	v_add_f64 v[65:66], v[65:66], -v[4:5]
	v_add_f64 v[67:68], v[67:68], -v[6:7]
	scratch_store_b128 off, v[65:68], s6
	ds_load_2addr_b64 v[65:68], v1 offset0:10 offset1:11
	s_waitcnt lgkmcnt(0)
	v_mul_f64 v[4:5], v[67:68], v[62:63]
	v_mul_f64 v[6:7], v[65:66], v[62:63]
	s_delay_alu instid0(VALU_DEP_2) | instskip(NEXT) | instid1(VALU_DEP_2)
	v_fma_f64 v[4:5], v[65:66], v[60:61], -v[4:5]
	v_fma_f64 v[6:7], v[67:68], v[60:61], v[6:7]
	scratch_load_b128 v[65:68], off, s5
	s_waitcnt vmcnt(0)
	v_add_f64 v[65:66], v[65:66], -v[4:5]
	v_add_f64 v[67:68], v[67:68], -v[6:7]
	scratch_store_b128 off, v[65:68], s5
	s_cbranch_scc1 .LBB125_192
.LBB125_193:
	s_or_b32 exec_lo, exec_lo, s3
	v_dual_mov_b32 v10, v79 :: v_dual_mov_b32 v9, v69
	v_add_nc_u32_e32 v252, 0, v184
	s_mov_b32 s4, exec_lo
	s_clause 0x8
	scratch_store_b32 off, v78, off offset:1728
	scratch_store_b32 off, v77, off offset:1724
	;; [unrolled: 1-line block ×9, first 2 shown]
	s_waitcnt lgkmcnt(0)
	s_waitcnt_vscnt null, 0x0
	s_barrier
	buffer_gl0_inv
	v_cmpx_eq_u32_e32 15, v253
	s_cbranch_execz .LBB125_204
; %bb.194:
	scratch_load_b32 v0, off, off offset:1196 ; 4-byte Folded Reload
	s_movk_i32 s3, 0xfd80
	s_waitcnt vmcnt(0)
	scratch_load_b128 v[60:63], v0, off
	v_mov_b32_e32 v0, 0
	s_waitcnt vmcnt(0)
	ds_store_2addr_b64 v254, v[60:61], v[62:63] offset1:1
	s_branch .LBB125_196
.LBB125_195:                            ;   in Loop: Header=BB125_196 Depth=1
	s_addk_i32 s5, 0x3f0
	s_addk_i32 s3, 0x80
	scratch_load_b128 v[60:63], off, s5
	s_waitcnt vmcnt(0)
	ds_store_2addr_b64 v1, v[60:61], v[62:63] offset0:126 offset1:127
	s_cbranch_execz .LBB125_198
.LBB125_196:                            ; =>This Inner Loop Header: Depth=1
	v_readfirstlane_b32 s5, v0
	v_add_nc_u32_e32 v1, s3, v252
	s_delay_alu instid0(VALU_DEP_2) | instskip(NEXT) | instid1(SALU_CYCLE_1)
	s_add_i32 s5, s5, s3
	s_add_i32 s6, s5, 0x380
	scratch_load_b128 v[60:63], off, s6
	s_add_i32 s6, s5, 0x390
	s_waitcnt vmcnt(0)
	ds_store_2addr_b64 v1, v[60:61], v[62:63] offset0:112 offset1:113
	scratch_load_b128 v[60:63], off, s6
	s_add_i32 s6, s5, 0x3a0
	s_waitcnt vmcnt(0)
	ds_store_2addr_b64 v1, v[60:61], v[62:63] offset0:114 offset1:115
	;; [unrolled: 4-line block ×5, first 2 shown]
	scratch_load_b128 v[60:63], off, s6
	s_add_i32 s6, s5, 0x3e0
	s_cmp_eq_u32 s3, 0
	s_waitcnt vmcnt(0)
	ds_store_2addr_b64 v1, v[60:61], v[62:63] offset0:122 offset1:123
	scratch_load_b128 v[60:63], off, s6
	s_waitcnt vmcnt(0)
	ds_store_2addr_b64 v1, v[60:61], v[62:63] offset0:124 offset1:125
	s_cbranch_scc0 .LBB125_195
; %bb.197:
                                        ; implicit-def: $sgpr3
.LBB125_198:
	ds_load_2addr_b64 v[60:63], v254 offset1:1
	s_waitcnt lgkmcnt(0)
	v_cmp_neq_f64_e32 vcc_lo, 0, v[60:61]
	v_cmp_neq_f64_e64 s3, 0, v[62:63]
	s_delay_alu instid0(VALU_DEP_1) | instskip(NEXT) | instid1(SALU_CYCLE_1)
	s_or_b32 s3, vcc_lo, s3
	s_and_b32 exec_lo, exec_lo, s3
	s_cbranch_execz .LBB125_204
; %bb.199:
	v_cmp_gt_f64_e32 vcc_lo, 0, v[60:61]
	v_xor_b32_e32 v0, 0x80000000, v61
	v_xor_b32_e32 v4, 0x80000000, v63
	s_delay_alu instid0(VALU_DEP_2) | instskip(SKIP_2) | instid1(VALU_DEP_4)
	v_cndmask_b32_e32 v1, v61, v0, vcc_lo
	v_cndmask_b32_e32 v0, v60, v60, vcc_lo
	v_cmp_gt_f64_e32 vcc_lo, 0, v[62:63]
	v_dual_cndmask_b32 v5, v63, v4 :: v_dual_cndmask_b32 v4, v62, v62
	s_delay_alu instid0(VALU_DEP_1) | instskip(SKIP_1) | instid1(SALU_CYCLE_1)
	v_cmp_ngt_f64_e32 vcc_lo, v[0:1], v[4:5]
                                        ; implicit-def: $vgpr0_vgpr1
	s_and_saveexec_b32 s3, vcc_lo
	s_xor_b32 s3, exec_lo, s3
                                        ; implicit-def: $vgpr64_vgpr65_vgpr66_vgpr67
	s_cbranch_execz .LBB125_201
; %bb.200:
	v_div_scale_f64 v[0:1], null, v[62:63], v[62:63], v[60:61]
	v_div_scale_f64 v[64:65], vcc_lo, v[60:61], v[62:63], v[60:61]
	s_delay_alu instid0(VALU_DEP_2) | instskip(SKIP_2) | instid1(VALU_DEP_1)
	v_rcp_f64_e32 v[4:5], v[0:1]
	s_waitcnt_depctr 0xfff
	v_fma_f64 v[6:7], -v[0:1], v[4:5], 1.0
	v_fma_f64 v[4:5], v[4:5], v[6:7], v[4:5]
	s_delay_alu instid0(VALU_DEP_1) | instskip(NEXT) | instid1(VALU_DEP_1)
	v_fma_f64 v[6:7], -v[0:1], v[4:5], 1.0
	v_fma_f64 v[4:5], v[4:5], v[6:7], v[4:5]
	s_delay_alu instid0(VALU_DEP_1) | instskip(NEXT) | instid1(VALU_DEP_1)
	v_mul_f64 v[6:7], v[64:65], v[4:5]
	v_fma_f64 v[0:1], -v[0:1], v[6:7], v[64:65]
	s_delay_alu instid0(VALU_DEP_1) | instskip(NEXT) | instid1(VALU_DEP_1)
	v_div_fmas_f64 v[0:1], v[0:1], v[4:5], v[6:7]
	v_div_fixup_f64 v[0:1], v[0:1], v[62:63], v[60:61]
	s_delay_alu instid0(VALU_DEP_1) | instskip(NEXT) | instid1(VALU_DEP_1)
	v_fma_f64 v[4:5], v[60:61], v[0:1], v[62:63]
	v_div_scale_f64 v[6:7], null, v[4:5], v[4:5], 1.0
	s_delay_alu instid0(VALU_DEP_1) | instskip(SKIP_2) | instid1(VALU_DEP_1)
	v_rcp_f64_e32 v[60:61], v[6:7]
	s_waitcnt_depctr 0xfff
	v_fma_f64 v[62:63], -v[6:7], v[60:61], 1.0
	v_fma_f64 v[60:61], v[60:61], v[62:63], v[60:61]
	s_delay_alu instid0(VALU_DEP_1) | instskip(NEXT) | instid1(VALU_DEP_1)
	v_fma_f64 v[62:63], -v[6:7], v[60:61], 1.0
	v_fma_f64 v[60:61], v[60:61], v[62:63], v[60:61]
	v_div_scale_f64 v[62:63], vcc_lo, 1.0, v[4:5], 1.0
	s_delay_alu instid0(VALU_DEP_1) | instskip(NEXT) | instid1(VALU_DEP_1)
	v_mul_f64 v[64:65], v[62:63], v[60:61]
	v_fma_f64 v[6:7], -v[6:7], v[64:65], v[62:63]
	s_delay_alu instid0(VALU_DEP_1) | instskip(NEXT) | instid1(VALU_DEP_1)
	v_div_fmas_f64 v[6:7], v[6:7], v[60:61], v[64:65]
                                        ; implicit-def: $vgpr60_vgpr61
	v_div_fixup_f64 v[66:67], v[6:7], v[4:5], 1.0
	s_delay_alu instid0(VALU_DEP_1)
	v_mul_f64 v[0:1], v[0:1], v[66:67]
	v_xor_b32_e32 v67, 0x80000000, v67
.LBB125_201:
	s_and_not1_saveexec_b32 s3, s3
	s_cbranch_execz .LBB125_203
; %bb.202:
	v_div_scale_f64 v[0:1], null, v[60:61], v[60:61], v[62:63]
	v_div_scale_f64 v[64:65], vcc_lo, v[62:63], v[60:61], v[62:63]
	s_delay_alu instid0(VALU_DEP_2) | instskip(SKIP_2) | instid1(VALU_DEP_1)
	v_rcp_f64_e32 v[4:5], v[0:1]
	s_waitcnt_depctr 0xfff
	v_fma_f64 v[6:7], -v[0:1], v[4:5], 1.0
	v_fma_f64 v[4:5], v[4:5], v[6:7], v[4:5]
	s_delay_alu instid0(VALU_DEP_1) | instskip(NEXT) | instid1(VALU_DEP_1)
	v_fma_f64 v[6:7], -v[0:1], v[4:5], 1.0
	v_fma_f64 v[4:5], v[4:5], v[6:7], v[4:5]
	s_delay_alu instid0(VALU_DEP_1) | instskip(NEXT) | instid1(VALU_DEP_1)
	v_mul_f64 v[6:7], v[64:65], v[4:5]
	v_fma_f64 v[0:1], -v[0:1], v[6:7], v[64:65]
	s_delay_alu instid0(VALU_DEP_1) | instskip(NEXT) | instid1(VALU_DEP_1)
	v_div_fmas_f64 v[0:1], v[0:1], v[4:5], v[6:7]
	v_div_fixup_f64 v[4:5], v[0:1], v[60:61], v[62:63]
	s_delay_alu instid0(VALU_DEP_1) | instskip(NEXT) | instid1(VALU_DEP_1)
	v_fma_f64 v[0:1], v[62:63], v[4:5], v[60:61]
	v_div_scale_f64 v[6:7], null, v[0:1], v[0:1], 1.0
	s_delay_alu instid0(VALU_DEP_1) | instskip(SKIP_2) | instid1(VALU_DEP_1)
	v_rcp_f64_e32 v[60:61], v[6:7]
	s_waitcnt_depctr 0xfff
	v_fma_f64 v[62:63], -v[6:7], v[60:61], 1.0
	v_fma_f64 v[60:61], v[60:61], v[62:63], v[60:61]
	s_delay_alu instid0(VALU_DEP_1) | instskip(NEXT) | instid1(VALU_DEP_1)
	v_fma_f64 v[62:63], -v[6:7], v[60:61], 1.0
	v_fma_f64 v[60:61], v[60:61], v[62:63], v[60:61]
	v_div_scale_f64 v[62:63], vcc_lo, 1.0, v[0:1], 1.0
	s_delay_alu instid0(VALU_DEP_1) | instskip(NEXT) | instid1(VALU_DEP_1)
	v_mul_f64 v[64:65], v[62:63], v[60:61]
	v_fma_f64 v[6:7], -v[6:7], v[64:65], v[62:63]
	s_delay_alu instid0(VALU_DEP_1) | instskip(NEXT) | instid1(VALU_DEP_1)
	v_div_fmas_f64 v[6:7], v[6:7], v[60:61], v[64:65]
	v_div_fixup_f64 v[0:1], v[6:7], v[0:1], 1.0
	s_delay_alu instid0(VALU_DEP_1)
	v_mul_f64 v[66:67], v[4:5], -v[0:1]
.LBB125_203:
	s_or_b32 exec_lo, exec_lo, s3
	ds_store_2addr_b64 v254, v[0:1], v[66:67] offset1:1
.LBB125_204:
	s_or_b32 exec_lo, exec_lo, s4
	s_waitcnt lgkmcnt(0)
	s_barrier
	buffer_gl0_inv
	ds_load_2addr_b64 v[60:63], v254 offset1:1
	s_mov_b32 s3, exec_lo
	v_cmpx_lt_u32_e32 15, v253
	s_cbranch_execz .LBB125_209
; %bb.205:
	scratch_load_b128 v[66:69], off, off offset:240
	s_mov_b32 s4, 0
	s_waitcnt vmcnt(0) lgkmcnt(0)
	v_mul_f64 v[0:1], v[62:63], v[68:69]
	s_delay_alu instid0(VALU_DEP_1) | instskip(SKIP_1) | instid1(VALU_DEP_1)
	v_fma_f64 v[64:65], v[60:61], v[66:67], -v[0:1]
	v_mul_f64 v[0:1], v[60:61], v[68:69]
	v_fma_f64 v[66:67], v[62:63], v[66:67], v[0:1]
	v_add3_u32 v0, v184, 0, 0x100
	v_mov_b32_e32 v1, 0
	scratch_store_b128 off, v[64:67], off offset:240
	s_branch .LBB125_207
.LBB125_206:                            ;   in Loop: Header=BB125_207 Depth=1
	s_and_not1_b32 vcc_lo, exec_lo, s6
	s_cbranch_vccz .LBB125_209
.LBB125_207:                            ; =>This Inner Loop Header: Depth=1
	v_add_nc_u32_e32 v68, s4, v0
	v_readfirstlane_b32 s5, v1
	ds_load_2addr_b64 v[69:72], v68 offset1:1
	s_add_i32 s5, s5, s4
	s_delay_alu instid0(SALU_CYCLE_1) | instskip(SKIP_3) | instid1(VALU_DEP_2)
	s_add_i32 s6, s5, 0x100
	s_waitcnt lgkmcnt(0)
	v_mul_f64 v[4:5], v[71:72], v[66:67]
	v_mul_f64 v[6:7], v[69:70], v[66:67]
	v_fma_f64 v[4:5], v[69:70], v[64:65], -v[4:5]
	s_delay_alu instid0(VALU_DEP_2)
	v_fma_f64 v[6:7], v[71:72], v[64:65], v[6:7]
	scratch_load_b128 v[69:72], off, s6
	s_waitcnt vmcnt(0)
	v_add_f64 v[69:70], v[69:70], -v[4:5]
	v_add_f64 v[71:72], v[71:72], -v[6:7]
	scratch_store_b128 off, v[69:72], s6
	ds_load_2addr_b64 v[69:72], v68 offset0:2 offset1:3
	s_add_i32 s6, s5, 0x110
	s_waitcnt lgkmcnt(0)
	v_mul_f64 v[4:5], v[71:72], v[66:67]
	v_mul_f64 v[6:7], v[69:70], v[66:67]
	s_delay_alu instid0(VALU_DEP_2) | instskip(NEXT) | instid1(VALU_DEP_2)
	v_fma_f64 v[4:5], v[69:70], v[64:65], -v[4:5]
	v_fma_f64 v[6:7], v[71:72], v[64:65], v[6:7]
	scratch_load_b128 v[69:72], off, s6
	s_waitcnt vmcnt(0)
	v_add_f64 v[69:70], v[69:70], -v[4:5]
	v_add_f64 v[71:72], v[71:72], -v[6:7]
	scratch_store_b128 off, v[69:72], s6
	ds_load_2addr_b64 v[69:72], v68 offset0:4 offset1:5
	s_add_i32 s6, s5, 0x120
	s_cmpk_eq_i32 s4, 0x2c0
	s_waitcnt lgkmcnt(0)
	v_mul_f64 v[4:5], v[71:72], v[66:67]
	v_mul_f64 v[6:7], v[69:70], v[66:67]
	s_delay_alu instid0(VALU_DEP_2) | instskip(NEXT) | instid1(VALU_DEP_2)
	v_fma_f64 v[4:5], v[69:70], v[64:65], -v[4:5]
	v_fma_f64 v[6:7], v[71:72], v[64:65], v[6:7]
	scratch_load_b128 v[69:72], off, s6
	s_waitcnt vmcnt(0)
	v_add_f64 v[69:70], v[69:70], -v[4:5]
	v_add_f64 v[71:72], v[71:72], -v[6:7]
	scratch_store_b128 off, v[69:72], s6
	s_mov_b32 s6, -1
	s_cbranch_scc1 .LBB125_206
; %bb.208:                              ;   in Loop: Header=BB125_207 Depth=1
	ds_load_2addr_b64 v[68:71], v68 offset0:6 offset1:7
	s_addk_i32 s5, 0x130
	s_add_i32 s4, s4, 64
	s_mov_b32 s6, 0
	s_waitcnt lgkmcnt(0)
	v_mul_f64 v[4:5], v[70:71], v[66:67]
	v_mul_f64 v[6:7], v[68:69], v[66:67]
	s_delay_alu instid0(VALU_DEP_2) | instskip(NEXT) | instid1(VALU_DEP_2)
	v_fma_f64 v[4:5], v[68:69], v[64:65], -v[4:5]
	v_fma_f64 v[6:7], v[70:71], v[64:65], v[6:7]
	scratch_load_b128 v[68:71], off, s5
	s_waitcnt vmcnt(0)
	v_add_f64 v[68:69], v[68:69], -v[4:5]
	v_add_f64 v[70:71], v[70:71], -v[6:7]
	scratch_store_b128 off, v[68:71], s5
	s_branch .LBB125_206
.LBB125_209:
	s_or_b32 exec_lo, exec_lo, s3
	v_add3_u32 v72, v184, 0, 0x110
	s_mov_b32 s4, exec_lo
	s_waitcnt lgkmcnt(0)
	s_waitcnt_vscnt null, 0x0
	s_barrier
	buffer_gl0_inv
	v_cmpx_eq_u32_e32 16, v253
	s_cbranch_execz .LBB125_218
; %bb.210:
	scratch_load_b32 v0, off, off offset:1192 ; 4-byte Folded Reload
	s_mov_b32 s3, 0
	s_waitcnt vmcnt(0)
	scratch_load_b128 v[64:67], v0, off
	s_waitcnt vmcnt(0)
	ds_store_2addr_b64 v254, v[64:65], v[66:67] offset1:1
	.p2align	6
.LBB125_211:                            ; =>This Inner Loop Header: Depth=1
	v_add_nc_u32_e64 v0, s3, 0
	v_add_nc_u32_e32 v4, s3, v72
	s_add_i32 s3, s3, 32
	s_delay_alu instid0(SALU_CYCLE_1) | instskip(NEXT) | instid1(VALU_DEP_2)
	s_cmpk_lg_i32 s3, 0x2e0
	v_add_nc_u32_e32 v1, 0x110, v0
	v_add_nc_u32_e32 v0, 0x120, v0
	scratch_load_b128 v[64:67], v1, off
	s_waitcnt vmcnt(0)
	ds_store_2addr_b64 v4, v[64:65], v[66:67] offset1:1
	scratch_load_b128 v[64:67], v0, off
	s_waitcnt vmcnt(0)
	ds_store_2addr_b64 v4, v[64:65], v[66:67] offset0:2 offset1:3
	s_cbranch_scc1 .LBB125_211
; %bb.212:
	ds_load_2addr_b64 v[64:67], v254 offset1:1
	s_waitcnt lgkmcnt(0)
	v_cmp_neq_f64_e32 vcc_lo, 0, v[64:65]
	v_cmp_neq_f64_e64 s3, 0, v[66:67]
	s_delay_alu instid0(VALU_DEP_1) | instskip(NEXT) | instid1(SALU_CYCLE_1)
	s_or_b32 s3, vcc_lo, s3
	s_and_b32 exec_lo, exec_lo, s3
	s_cbranch_execz .LBB125_218
; %bb.213:
	v_cmp_gt_f64_e32 vcc_lo, 0, v[64:65]
	v_xor_b32_e32 v0, 0x80000000, v65
	v_xor_b32_e32 v4, 0x80000000, v67
	s_delay_alu instid0(VALU_DEP_2) | instskip(SKIP_2) | instid1(VALU_DEP_4)
	v_cndmask_b32_e32 v1, v65, v0, vcc_lo
	v_cndmask_b32_e32 v0, v64, v64, vcc_lo
	v_cmp_gt_f64_e32 vcc_lo, 0, v[66:67]
	v_dual_cndmask_b32 v5, v67, v4 :: v_dual_cndmask_b32 v4, v66, v66
	s_delay_alu instid0(VALU_DEP_1) | instskip(SKIP_1) | instid1(SALU_CYCLE_1)
	v_cmp_ngt_f64_e32 vcc_lo, v[0:1], v[4:5]
                                        ; implicit-def: $vgpr0_vgpr1
	s_and_saveexec_b32 s3, vcc_lo
	s_xor_b32 s3, exec_lo, s3
                                        ; implicit-def: $vgpr68_vgpr69_vgpr70_vgpr71
	s_cbranch_execz .LBB125_215
; %bb.214:
	v_div_scale_f64 v[0:1], null, v[66:67], v[66:67], v[64:65]
	v_div_scale_f64 v[68:69], vcc_lo, v[64:65], v[66:67], v[64:65]
	s_delay_alu instid0(VALU_DEP_2) | instskip(SKIP_2) | instid1(VALU_DEP_1)
	v_rcp_f64_e32 v[4:5], v[0:1]
	s_waitcnt_depctr 0xfff
	v_fma_f64 v[6:7], -v[0:1], v[4:5], 1.0
	v_fma_f64 v[4:5], v[4:5], v[6:7], v[4:5]
	s_delay_alu instid0(VALU_DEP_1) | instskip(NEXT) | instid1(VALU_DEP_1)
	v_fma_f64 v[6:7], -v[0:1], v[4:5], 1.0
	v_fma_f64 v[4:5], v[4:5], v[6:7], v[4:5]
	s_delay_alu instid0(VALU_DEP_1) | instskip(NEXT) | instid1(VALU_DEP_1)
	v_mul_f64 v[6:7], v[68:69], v[4:5]
	v_fma_f64 v[0:1], -v[0:1], v[6:7], v[68:69]
	s_delay_alu instid0(VALU_DEP_1) | instskip(NEXT) | instid1(VALU_DEP_1)
	v_div_fmas_f64 v[0:1], v[0:1], v[4:5], v[6:7]
	v_div_fixup_f64 v[0:1], v[0:1], v[66:67], v[64:65]
	s_delay_alu instid0(VALU_DEP_1) | instskip(NEXT) | instid1(VALU_DEP_1)
	v_fma_f64 v[4:5], v[64:65], v[0:1], v[66:67]
	v_div_scale_f64 v[6:7], null, v[4:5], v[4:5], 1.0
	s_delay_alu instid0(VALU_DEP_1) | instskip(SKIP_2) | instid1(VALU_DEP_1)
	v_rcp_f64_e32 v[64:65], v[6:7]
	s_waitcnt_depctr 0xfff
	v_fma_f64 v[66:67], -v[6:7], v[64:65], 1.0
	v_fma_f64 v[64:65], v[64:65], v[66:67], v[64:65]
	s_delay_alu instid0(VALU_DEP_1) | instskip(NEXT) | instid1(VALU_DEP_1)
	v_fma_f64 v[66:67], -v[6:7], v[64:65], 1.0
	v_fma_f64 v[64:65], v[64:65], v[66:67], v[64:65]
	v_div_scale_f64 v[66:67], vcc_lo, 1.0, v[4:5], 1.0
	s_delay_alu instid0(VALU_DEP_1) | instskip(NEXT) | instid1(VALU_DEP_1)
	v_mul_f64 v[68:69], v[66:67], v[64:65]
	v_fma_f64 v[6:7], -v[6:7], v[68:69], v[66:67]
	s_delay_alu instid0(VALU_DEP_1) | instskip(NEXT) | instid1(VALU_DEP_1)
	v_div_fmas_f64 v[6:7], v[6:7], v[64:65], v[68:69]
                                        ; implicit-def: $vgpr64_vgpr65
	v_div_fixup_f64 v[70:71], v[6:7], v[4:5], 1.0
	s_delay_alu instid0(VALU_DEP_1)
	v_mul_f64 v[0:1], v[0:1], v[70:71]
	v_xor_b32_e32 v71, 0x80000000, v71
.LBB125_215:
	s_and_not1_saveexec_b32 s3, s3
	s_cbranch_execz .LBB125_217
; %bb.216:
	v_div_scale_f64 v[0:1], null, v[64:65], v[64:65], v[66:67]
	v_div_scale_f64 v[68:69], vcc_lo, v[66:67], v[64:65], v[66:67]
	s_delay_alu instid0(VALU_DEP_2) | instskip(SKIP_2) | instid1(VALU_DEP_1)
	v_rcp_f64_e32 v[4:5], v[0:1]
	s_waitcnt_depctr 0xfff
	v_fma_f64 v[6:7], -v[0:1], v[4:5], 1.0
	v_fma_f64 v[4:5], v[4:5], v[6:7], v[4:5]
	s_delay_alu instid0(VALU_DEP_1) | instskip(NEXT) | instid1(VALU_DEP_1)
	v_fma_f64 v[6:7], -v[0:1], v[4:5], 1.0
	v_fma_f64 v[4:5], v[4:5], v[6:7], v[4:5]
	s_delay_alu instid0(VALU_DEP_1) | instskip(NEXT) | instid1(VALU_DEP_1)
	v_mul_f64 v[6:7], v[68:69], v[4:5]
	v_fma_f64 v[0:1], -v[0:1], v[6:7], v[68:69]
	s_delay_alu instid0(VALU_DEP_1) | instskip(NEXT) | instid1(VALU_DEP_1)
	v_div_fmas_f64 v[0:1], v[0:1], v[4:5], v[6:7]
	v_div_fixup_f64 v[4:5], v[0:1], v[64:65], v[66:67]
	s_delay_alu instid0(VALU_DEP_1) | instskip(NEXT) | instid1(VALU_DEP_1)
	v_fma_f64 v[0:1], v[66:67], v[4:5], v[64:65]
	v_div_scale_f64 v[6:7], null, v[0:1], v[0:1], 1.0
	s_delay_alu instid0(VALU_DEP_1) | instskip(SKIP_2) | instid1(VALU_DEP_1)
	v_rcp_f64_e32 v[64:65], v[6:7]
	s_waitcnt_depctr 0xfff
	v_fma_f64 v[66:67], -v[6:7], v[64:65], 1.0
	v_fma_f64 v[64:65], v[64:65], v[66:67], v[64:65]
	s_delay_alu instid0(VALU_DEP_1) | instskip(NEXT) | instid1(VALU_DEP_1)
	v_fma_f64 v[66:67], -v[6:7], v[64:65], 1.0
	v_fma_f64 v[64:65], v[64:65], v[66:67], v[64:65]
	v_div_scale_f64 v[66:67], vcc_lo, 1.0, v[0:1], 1.0
	s_delay_alu instid0(VALU_DEP_1) | instskip(NEXT) | instid1(VALU_DEP_1)
	v_mul_f64 v[68:69], v[66:67], v[64:65]
	v_fma_f64 v[6:7], -v[6:7], v[68:69], v[66:67]
	s_delay_alu instid0(VALU_DEP_1) | instskip(NEXT) | instid1(VALU_DEP_1)
	v_div_fmas_f64 v[6:7], v[6:7], v[64:65], v[68:69]
	v_div_fixup_f64 v[0:1], v[6:7], v[0:1], 1.0
	s_delay_alu instid0(VALU_DEP_1)
	v_mul_f64 v[70:71], v[4:5], -v[0:1]
.LBB125_217:
	s_or_b32 exec_lo, exec_lo, s3
	ds_store_2addr_b64 v254, v[0:1], v[70:71] offset1:1
.LBB125_218:
	s_or_b32 exec_lo, exec_lo, s4
	s_waitcnt lgkmcnt(0)
	s_barrier
	buffer_gl0_inv
	ds_load_2addr_b64 v[64:67], v254 offset1:1
	s_mov_b32 s3, exec_lo
	v_cmpx_lt_u32_e32 16, v253
	s_cbranch_execz .LBB125_221
; %bb.219:
	scratch_load_b128 v[73:76], off, off offset:256
	s_mov_b32 s4, 0
	s_waitcnt vmcnt(0) lgkmcnt(0)
	v_mul_f64 v[0:1], v[66:67], v[75:76]
	s_delay_alu instid0(VALU_DEP_1) | instskip(SKIP_1) | instid1(VALU_DEP_1)
	v_fma_f64 v[68:69], v[64:65], v[73:74], -v[0:1]
	v_mul_f64 v[0:1], v[64:65], v[75:76]
	v_fma_f64 v[70:71], v[66:67], v[73:74], v[0:1]
	scratch_store_b128 off, v[68:71], off offset:256
	s_set_inst_prefetch_distance 0x1
	.p2align	6
.LBB125_220:                            ; =>This Inner Loop Header: Depth=1
	v_add_nc_u32_e32 v6, s4, v72
	v_add_nc_u32_e64 v7, s4, 0
	s_add_i32 s4, s4, 32
	s_delay_alu instid0(SALU_CYCLE_1)
	s_cmpk_lg_i32 s4, 0x2e0
	ds_load_2addr_b64 v[73:76], v6 offset1:1
	v_add_nc_u32_e32 v77, 0x110, v7
	s_waitcnt lgkmcnt(0)
	v_mul_f64 v[0:1], v[75:76], v[70:71]
	v_mul_f64 v[4:5], v[73:74], v[70:71]
	s_delay_alu instid0(VALU_DEP_2) | instskip(NEXT) | instid1(VALU_DEP_2)
	v_fma_f64 v[0:1], v[73:74], v[68:69], -v[0:1]
	v_fma_f64 v[4:5], v[75:76], v[68:69], v[4:5]
	scratch_load_b128 v[73:76], v77, off
	s_waitcnt vmcnt(0)
	v_add_f64 v[73:74], v[73:74], -v[0:1]
	v_add_f64 v[75:76], v[75:76], -v[4:5]
	scratch_store_b128 v77, v[73:76], off
	ds_load_2addr_b64 v[73:76], v6 offset0:2 offset1:3
	v_add_nc_u32_e32 v6, 0x120, v7
	s_waitcnt lgkmcnt(0)
	v_mul_f64 v[0:1], v[75:76], v[70:71]
	v_mul_f64 v[4:5], v[73:74], v[70:71]
	s_delay_alu instid0(VALU_DEP_2) | instskip(NEXT) | instid1(VALU_DEP_2)
	v_fma_f64 v[0:1], v[73:74], v[68:69], -v[0:1]
	v_fma_f64 v[4:5], v[75:76], v[68:69], v[4:5]
	scratch_load_b128 v[73:76], v6, off
	s_waitcnt vmcnt(0)
	v_add_f64 v[73:74], v[73:74], -v[0:1]
	v_add_f64 v[75:76], v[75:76], -v[4:5]
	scratch_store_b128 v6, v[73:76], off
	s_cbranch_scc1 .LBB125_220
.LBB125_221:
	s_set_inst_prefetch_distance 0x2
	s_or_b32 exec_lo, exec_lo, s3
	v_add3_u32 v76, v184, 0, 0x120
	s_mov_b32 s4, exec_lo
	s_waitcnt lgkmcnt(0)
	s_waitcnt_vscnt null, 0x0
	s_barrier
	buffer_gl0_inv
	v_cmpx_eq_u32_e32 17, v253
	s_cbranch_execz .LBB125_230
; %bb.222:
	scratch_load_b32 v0, off, off offset:1188 ; 4-byte Folded Reload
	s_movk_i32 s3, 0xfd30
	s_waitcnt vmcnt(0)
	scratch_load_b128 v[68:71], v0, off
	v_mov_b32_e32 v0, 0
	s_waitcnt vmcnt(0)
	ds_store_2addr_b64 v254, v[68:69], v[70:71] offset1:1
.LBB125_223:                            ; =>This Inner Loop Header: Depth=1
	v_readfirstlane_b32 s5, v0
	v_add_nc_u32_e32 v1, s3, v76
	s_delay_alu instid0(VALU_DEP_2)
	s_add_i32 s5, s5, s3
	s_addk_i32 s3, 0xf0
	s_add_i32 s6, s5, 0x3f0
	scratch_load_b128 v[68:71], off, s6
	s_add_i32 s6, s5, 0x400
	s_waitcnt vmcnt(0)
	ds_store_2addr_b64 v1, v[68:69], v[70:71] offset0:90 offset1:91
	scratch_load_b128 v[68:71], off, s6
	s_add_i32 s6, s5, 0x410
	s_waitcnt vmcnt(0)
	ds_store_2addr_b64 v1, v[68:69], v[70:71] offset0:92 offset1:93
	;; [unrolled: 4-line block ×12, first 2 shown]
	scratch_load_b128 v[68:71], off, s6
	s_add_i32 s6, s5, 0x4c0
	s_addk_i32 s5, 0x4d0
	s_cmp_lg_u32 s3, 0
	s_waitcnt vmcnt(0)
	ds_store_2addr_b64 v1, v[68:69], v[70:71] offset0:114 offset1:115
	scratch_load_b128 v[68:71], off, s6
	s_waitcnt vmcnt(0)
	ds_store_2addr_b64 v1, v[68:69], v[70:71] offset0:116 offset1:117
	scratch_load_b128 v[68:71], off, s5
	s_waitcnt vmcnt(0)
	ds_store_2addr_b64 v1, v[68:69], v[70:71] offset0:118 offset1:119
	s_cbranch_scc1 .LBB125_223
; %bb.224:
	ds_load_2addr_b64 v[68:71], v254 offset1:1
	s_waitcnt lgkmcnt(0)
	v_cmp_neq_f64_e32 vcc_lo, 0, v[68:69]
	v_cmp_neq_f64_e64 s3, 0, v[70:71]
	s_delay_alu instid0(VALU_DEP_1) | instskip(NEXT) | instid1(SALU_CYCLE_1)
	s_or_b32 s3, vcc_lo, s3
	s_and_b32 exec_lo, exec_lo, s3
	s_cbranch_execz .LBB125_230
; %bb.225:
	v_cmp_gt_f64_e32 vcc_lo, 0, v[68:69]
	v_xor_b32_e32 v0, 0x80000000, v69
	v_xor_b32_e32 v4, 0x80000000, v71
	s_delay_alu instid0(VALU_DEP_2) | instskip(SKIP_2) | instid1(VALU_DEP_4)
	v_cndmask_b32_e32 v1, v69, v0, vcc_lo
	v_cndmask_b32_e32 v0, v68, v68, vcc_lo
	v_cmp_gt_f64_e32 vcc_lo, 0, v[70:71]
	v_dual_cndmask_b32 v5, v71, v4 :: v_dual_cndmask_b32 v4, v70, v70
	s_delay_alu instid0(VALU_DEP_1) | instskip(SKIP_1) | instid1(SALU_CYCLE_1)
	v_cmp_ngt_f64_e32 vcc_lo, v[0:1], v[4:5]
                                        ; implicit-def: $vgpr0_vgpr1
	s_and_saveexec_b32 s3, vcc_lo
	s_xor_b32 s3, exec_lo, s3
                                        ; implicit-def: $vgpr72_vgpr73_vgpr74_vgpr75
	s_cbranch_execz .LBB125_227
; %bb.226:
	v_div_scale_f64 v[0:1], null, v[70:71], v[70:71], v[68:69]
	v_div_scale_f64 v[72:73], vcc_lo, v[68:69], v[70:71], v[68:69]
	s_delay_alu instid0(VALU_DEP_2) | instskip(SKIP_2) | instid1(VALU_DEP_1)
	v_rcp_f64_e32 v[4:5], v[0:1]
	s_waitcnt_depctr 0xfff
	v_fma_f64 v[6:7], -v[0:1], v[4:5], 1.0
	v_fma_f64 v[4:5], v[4:5], v[6:7], v[4:5]
	s_delay_alu instid0(VALU_DEP_1) | instskip(NEXT) | instid1(VALU_DEP_1)
	v_fma_f64 v[6:7], -v[0:1], v[4:5], 1.0
	v_fma_f64 v[4:5], v[4:5], v[6:7], v[4:5]
	s_delay_alu instid0(VALU_DEP_1) | instskip(NEXT) | instid1(VALU_DEP_1)
	v_mul_f64 v[6:7], v[72:73], v[4:5]
	v_fma_f64 v[0:1], -v[0:1], v[6:7], v[72:73]
	s_delay_alu instid0(VALU_DEP_1) | instskip(NEXT) | instid1(VALU_DEP_1)
	v_div_fmas_f64 v[0:1], v[0:1], v[4:5], v[6:7]
	v_div_fixup_f64 v[0:1], v[0:1], v[70:71], v[68:69]
	s_delay_alu instid0(VALU_DEP_1) | instskip(NEXT) | instid1(VALU_DEP_1)
	v_fma_f64 v[4:5], v[68:69], v[0:1], v[70:71]
	v_div_scale_f64 v[6:7], null, v[4:5], v[4:5], 1.0
	s_delay_alu instid0(VALU_DEP_1) | instskip(SKIP_2) | instid1(VALU_DEP_1)
	v_rcp_f64_e32 v[68:69], v[6:7]
	s_waitcnt_depctr 0xfff
	v_fma_f64 v[70:71], -v[6:7], v[68:69], 1.0
	v_fma_f64 v[68:69], v[68:69], v[70:71], v[68:69]
	s_delay_alu instid0(VALU_DEP_1) | instskip(NEXT) | instid1(VALU_DEP_1)
	v_fma_f64 v[70:71], -v[6:7], v[68:69], 1.0
	v_fma_f64 v[68:69], v[68:69], v[70:71], v[68:69]
	v_div_scale_f64 v[70:71], vcc_lo, 1.0, v[4:5], 1.0
	s_delay_alu instid0(VALU_DEP_1) | instskip(NEXT) | instid1(VALU_DEP_1)
	v_mul_f64 v[72:73], v[70:71], v[68:69]
	v_fma_f64 v[6:7], -v[6:7], v[72:73], v[70:71]
	s_delay_alu instid0(VALU_DEP_1) | instskip(NEXT) | instid1(VALU_DEP_1)
	v_div_fmas_f64 v[6:7], v[6:7], v[68:69], v[72:73]
                                        ; implicit-def: $vgpr68_vgpr69
	v_div_fixup_f64 v[74:75], v[6:7], v[4:5], 1.0
	s_delay_alu instid0(VALU_DEP_1)
	v_mul_f64 v[0:1], v[0:1], v[74:75]
	v_xor_b32_e32 v75, 0x80000000, v75
.LBB125_227:
	s_and_not1_saveexec_b32 s3, s3
	s_cbranch_execz .LBB125_229
; %bb.228:
	v_div_scale_f64 v[0:1], null, v[68:69], v[68:69], v[70:71]
	v_div_scale_f64 v[72:73], vcc_lo, v[70:71], v[68:69], v[70:71]
	s_delay_alu instid0(VALU_DEP_2) | instskip(SKIP_2) | instid1(VALU_DEP_1)
	v_rcp_f64_e32 v[4:5], v[0:1]
	s_waitcnt_depctr 0xfff
	v_fma_f64 v[6:7], -v[0:1], v[4:5], 1.0
	v_fma_f64 v[4:5], v[4:5], v[6:7], v[4:5]
	s_delay_alu instid0(VALU_DEP_1) | instskip(NEXT) | instid1(VALU_DEP_1)
	v_fma_f64 v[6:7], -v[0:1], v[4:5], 1.0
	v_fma_f64 v[4:5], v[4:5], v[6:7], v[4:5]
	s_delay_alu instid0(VALU_DEP_1) | instskip(NEXT) | instid1(VALU_DEP_1)
	v_mul_f64 v[6:7], v[72:73], v[4:5]
	v_fma_f64 v[0:1], -v[0:1], v[6:7], v[72:73]
	s_delay_alu instid0(VALU_DEP_1) | instskip(NEXT) | instid1(VALU_DEP_1)
	v_div_fmas_f64 v[0:1], v[0:1], v[4:5], v[6:7]
	v_div_fixup_f64 v[4:5], v[0:1], v[68:69], v[70:71]
	s_delay_alu instid0(VALU_DEP_1) | instskip(NEXT) | instid1(VALU_DEP_1)
	v_fma_f64 v[0:1], v[70:71], v[4:5], v[68:69]
	v_div_scale_f64 v[6:7], null, v[0:1], v[0:1], 1.0
	s_delay_alu instid0(VALU_DEP_1) | instskip(SKIP_2) | instid1(VALU_DEP_1)
	v_rcp_f64_e32 v[68:69], v[6:7]
	s_waitcnt_depctr 0xfff
	v_fma_f64 v[70:71], -v[6:7], v[68:69], 1.0
	v_fma_f64 v[68:69], v[68:69], v[70:71], v[68:69]
	s_delay_alu instid0(VALU_DEP_1) | instskip(NEXT) | instid1(VALU_DEP_1)
	v_fma_f64 v[70:71], -v[6:7], v[68:69], 1.0
	v_fma_f64 v[68:69], v[68:69], v[70:71], v[68:69]
	v_div_scale_f64 v[70:71], vcc_lo, 1.0, v[0:1], 1.0
	s_delay_alu instid0(VALU_DEP_1) | instskip(NEXT) | instid1(VALU_DEP_1)
	v_mul_f64 v[72:73], v[70:71], v[68:69]
	v_fma_f64 v[6:7], -v[6:7], v[72:73], v[70:71]
	s_delay_alu instid0(VALU_DEP_1) | instskip(NEXT) | instid1(VALU_DEP_1)
	v_div_fmas_f64 v[6:7], v[6:7], v[68:69], v[72:73]
	v_div_fixup_f64 v[0:1], v[6:7], v[0:1], 1.0
	s_delay_alu instid0(VALU_DEP_1)
	v_mul_f64 v[74:75], v[4:5], -v[0:1]
.LBB125_229:
	s_or_b32 exec_lo, exec_lo, s3
	ds_store_2addr_b64 v254, v[0:1], v[74:75] offset1:1
.LBB125_230:
	s_or_b32 exec_lo, exec_lo, s4
	s_waitcnt lgkmcnt(0)
	s_barrier
	buffer_gl0_inv
	ds_load_2addr_b64 v[68:71], v254 offset1:1
	s_mov_b32 s3, exec_lo
	v_cmpx_lt_u32_e32 17, v253
	s_cbranch_execz .LBB125_233
; %bb.231:
	scratch_load_b128 v[77:80], off, off offset:272
	s_mov_b32 s4, 0
	s_waitcnt vmcnt(0) lgkmcnt(0)
	v_mul_f64 v[0:1], v[70:71], v[79:80]
	s_delay_alu instid0(VALU_DEP_1) | instskip(SKIP_1) | instid1(VALU_DEP_1)
	v_fma_f64 v[72:73], v[68:69], v[77:78], -v[0:1]
	v_mul_f64 v[0:1], v[68:69], v[79:80]
	v_fma_f64 v[74:75], v[70:71], v[77:78], v[0:1]
	v_mov_b32_e32 v0, 0
	scratch_store_b128 off, v[72:75], off offset:272
.LBB125_232:                            ; =>This Inner Loop Header: Depth=1
	v_add_nc_u32_e32 v1, s4, v76
	v_readfirstlane_b32 s5, v0
	ds_load_2addr_b64 v[77:80], v1 offset1:1
	s_add_i32 s5, s5, s4
	s_addk_i32 s4, 0x50
	s_add_i32 s6, s5, 0x120
	s_waitcnt lgkmcnt(0)
	v_mul_f64 v[4:5], v[79:80], v[74:75]
	v_mul_f64 v[6:7], v[77:78], v[74:75]
	s_delay_alu instid0(VALU_DEP_2) | instskip(NEXT) | instid1(VALU_DEP_2)
	v_fma_f64 v[4:5], v[77:78], v[72:73], -v[4:5]
	v_fma_f64 v[6:7], v[79:80], v[72:73], v[6:7]
	scratch_load_b128 v[77:80], off, s6
	s_waitcnt vmcnt(0)
	v_add_f64 v[77:78], v[77:78], -v[4:5]
	v_add_f64 v[79:80], v[79:80], -v[6:7]
	scratch_store_b128 off, v[77:80], s6
	ds_load_2addr_b64 v[77:80], v1 offset0:2 offset1:3
	s_add_i32 s6, s5, 0x130
	s_waitcnt lgkmcnt(0)
	v_mul_f64 v[4:5], v[79:80], v[74:75]
	v_mul_f64 v[6:7], v[77:78], v[74:75]
	s_delay_alu instid0(VALU_DEP_2) | instskip(NEXT) | instid1(VALU_DEP_2)
	v_fma_f64 v[4:5], v[77:78], v[72:73], -v[4:5]
	v_fma_f64 v[6:7], v[79:80], v[72:73], v[6:7]
	scratch_load_b128 v[77:80], off, s6
	s_waitcnt vmcnt(0)
	v_add_f64 v[77:78], v[77:78], -v[4:5]
	v_add_f64 v[79:80], v[79:80], -v[6:7]
	scratch_store_b128 off, v[77:80], s6
	ds_load_2addr_b64 v[77:80], v1 offset0:4 offset1:5
	;; [unrolled: 13-line block ×3, first 2 shown]
	s_add_i32 s6, s5, 0x150
	s_addk_i32 s5, 0x160
	s_cmpk_lg_i32 s4, 0x2d0
	s_waitcnt lgkmcnt(0)
	v_mul_f64 v[4:5], v[79:80], v[74:75]
	v_mul_f64 v[6:7], v[77:78], v[74:75]
	s_delay_alu instid0(VALU_DEP_2) | instskip(NEXT) | instid1(VALU_DEP_2)
	v_fma_f64 v[4:5], v[77:78], v[72:73], -v[4:5]
	v_fma_f64 v[6:7], v[79:80], v[72:73], v[6:7]
	scratch_load_b128 v[77:80], off, s6
	s_waitcnt vmcnt(0)
	v_add_f64 v[77:78], v[77:78], -v[4:5]
	v_add_f64 v[79:80], v[79:80], -v[6:7]
	scratch_store_b128 off, v[77:80], s6
	ds_load_2addr_b64 v[77:80], v1 offset0:8 offset1:9
	s_waitcnt lgkmcnt(0)
	v_mul_f64 v[4:5], v[79:80], v[74:75]
	v_mul_f64 v[6:7], v[77:78], v[74:75]
	s_delay_alu instid0(VALU_DEP_2) | instskip(NEXT) | instid1(VALU_DEP_2)
	v_fma_f64 v[4:5], v[77:78], v[72:73], -v[4:5]
	v_fma_f64 v[6:7], v[79:80], v[72:73], v[6:7]
	scratch_load_b128 v[77:80], off, s5
	s_waitcnt vmcnt(0)
	v_add_f64 v[77:78], v[77:78], -v[4:5]
	v_add_f64 v[79:80], v[79:80], -v[6:7]
	scratch_store_b128 off, v[77:80], s5
	s_cbranch_scc1 .LBB125_232
.LBB125_233:
	s_or_b32 exec_lo, exec_lo, s3
	v_add3_u32 v80, v184, 0, 0x130
	s_mov_b32 s4, exec_lo
	s_waitcnt lgkmcnt(0)
	s_waitcnt_vscnt null, 0x0
	s_barrier
	buffer_gl0_inv
	v_cmpx_eq_u32_e32 18, v253
	s_cbranch_execz .LBB125_242
; %bb.234:
	scratch_load_b32 v0, off, off offset:1184 ; 4-byte Folded Reload
	s_movk_i32 s3, 0xfd40
	s_waitcnt vmcnt(0)
	scratch_load_b128 v[72:75], v0, off
	v_mov_b32_e32 v0, 0
	s_waitcnt vmcnt(0)
	ds_store_2addr_b64 v254, v[72:73], v[74:75] offset1:1
.LBB125_235:                            ; =>This Inner Loop Header: Depth=1
	v_readfirstlane_b32 s5, v0
	v_add_nc_u32_e32 v1, s3, v80
	s_delay_alu instid0(VALU_DEP_2)
	s_add_i32 s5, s5, s3
	s_addk_i32 s3, 0xb0
	s_add_i32 s6, s5, 0x3f0
	scratch_load_b128 v[72:75], off, s6
	s_add_i32 s6, s5, 0x400
	s_waitcnt vmcnt(0)
	ds_store_2addr_b64 v1, v[72:73], v[74:75] offset0:88 offset1:89
	scratch_load_b128 v[72:75], off, s6
	s_add_i32 s6, s5, 0x410
	s_waitcnt vmcnt(0)
	ds_store_2addr_b64 v1, v[72:73], v[74:75] offset0:90 offset1:91
	;; [unrolled: 4-line block ×8, first 2 shown]
	scratch_load_b128 v[72:75], off, s6
	s_add_i32 s6, s5, 0x480
	s_addk_i32 s5, 0x490
	s_cmp_lg_u32 s3, 0
	s_waitcnt vmcnt(0)
	ds_store_2addr_b64 v1, v[72:73], v[74:75] offset0:104 offset1:105
	scratch_load_b128 v[72:75], off, s6
	s_waitcnt vmcnt(0)
	ds_store_2addr_b64 v1, v[72:73], v[74:75] offset0:106 offset1:107
	scratch_load_b128 v[72:75], off, s5
	s_waitcnt vmcnt(0)
	ds_store_2addr_b64 v1, v[72:73], v[74:75] offset0:108 offset1:109
	s_cbranch_scc1 .LBB125_235
; %bb.236:
	ds_load_2addr_b64 v[72:75], v254 offset1:1
	s_waitcnt lgkmcnt(0)
	v_cmp_neq_f64_e32 vcc_lo, 0, v[72:73]
	v_cmp_neq_f64_e64 s3, 0, v[74:75]
	s_delay_alu instid0(VALU_DEP_1) | instskip(NEXT) | instid1(SALU_CYCLE_1)
	s_or_b32 s3, vcc_lo, s3
	s_and_b32 exec_lo, exec_lo, s3
	s_cbranch_execz .LBB125_242
; %bb.237:
	v_cmp_gt_f64_e32 vcc_lo, 0, v[72:73]
	v_xor_b32_e32 v0, 0x80000000, v73
	v_xor_b32_e32 v4, 0x80000000, v75
	s_delay_alu instid0(VALU_DEP_2) | instskip(SKIP_2) | instid1(VALU_DEP_4)
	v_cndmask_b32_e32 v1, v73, v0, vcc_lo
	v_cndmask_b32_e32 v0, v72, v72, vcc_lo
	v_cmp_gt_f64_e32 vcc_lo, 0, v[74:75]
	v_dual_cndmask_b32 v5, v75, v4 :: v_dual_cndmask_b32 v4, v74, v74
	s_delay_alu instid0(VALU_DEP_1) | instskip(SKIP_1) | instid1(SALU_CYCLE_1)
	v_cmp_ngt_f64_e32 vcc_lo, v[0:1], v[4:5]
                                        ; implicit-def: $vgpr0_vgpr1
	s_and_saveexec_b32 s3, vcc_lo
	s_xor_b32 s3, exec_lo, s3
                                        ; implicit-def: $vgpr76_vgpr77_vgpr78_vgpr79
	s_cbranch_execz .LBB125_239
; %bb.238:
	v_div_scale_f64 v[0:1], null, v[74:75], v[74:75], v[72:73]
	v_div_scale_f64 v[76:77], vcc_lo, v[72:73], v[74:75], v[72:73]
	s_delay_alu instid0(VALU_DEP_2) | instskip(SKIP_2) | instid1(VALU_DEP_1)
	v_rcp_f64_e32 v[4:5], v[0:1]
	s_waitcnt_depctr 0xfff
	v_fma_f64 v[6:7], -v[0:1], v[4:5], 1.0
	v_fma_f64 v[4:5], v[4:5], v[6:7], v[4:5]
	s_delay_alu instid0(VALU_DEP_1) | instskip(NEXT) | instid1(VALU_DEP_1)
	v_fma_f64 v[6:7], -v[0:1], v[4:5], 1.0
	v_fma_f64 v[4:5], v[4:5], v[6:7], v[4:5]
	s_delay_alu instid0(VALU_DEP_1) | instskip(NEXT) | instid1(VALU_DEP_1)
	v_mul_f64 v[6:7], v[76:77], v[4:5]
	v_fma_f64 v[0:1], -v[0:1], v[6:7], v[76:77]
	s_delay_alu instid0(VALU_DEP_1) | instskip(NEXT) | instid1(VALU_DEP_1)
	v_div_fmas_f64 v[0:1], v[0:1], v[4:5], v[6:7]
	v_div_fixup_f64 v[0:1], v[0:1], v[74:75], v[72:73]
	s_delay_alu instid0(VALU_DEP_1) | instskip(NEXT) | instid1(VALU_DEP_1)
	v_fma_f64 v[4:5], v[72:73], v[0:1], v[74:75]
	v_div_scale_f64 v[6:7], null, v[4:5], v[4:5], 1.0
	s_delay_alu instid0(VALU_DEP_1) | instskip(SKIP_2) | instid1(VALU_DEP_1)
	v_rcp_f64_e32 v[72:73], v[6:7]
	s_waitcnt_depctr 0xfff
	v_fma_f64 v[74:75], -v[6:7], v[72:73], 1.0
	v_fma_f64 v[72:73], v[72:73], v[74:75], v[72:73]
	s_delay_alu instid0(VALU_DEP_1) | instskip(NEXT) | instid1(VALU_DEP_1)
	v_fma_f64 v[74:75], -v[6:7], v[72:73], 1.0
	v_fma_f64 v[72:73], v[72:73], v[74:75], v[72:73]
	v_div_scale_f64 v[74:75], vcc_lo, 1.0, v[4:5], 1.0
	s_delay_alu instid0(VALU_DEP_1) | instskip(NEXT) | instid1(VALU_DEP_1)
	v_mul_f64 v[76:77], v[74:75], v[72:73]
	v_fma_f64 v[6:7], -v[6:7], v[76:77], v[74:75]
	s_delay_alu instid0(VALU_DEP_1) | instskip(NEXT) | instid1(VALU_DEP_1)
	v_div_fmas_f64 v[6:7], v[6:7], v[72:73], v[76:77]
                                        ; implicit-def: $vgpr72_vgpr73
	v_div_fixup_f64 v[78:79], v[6:7], v[4:5], 1.0
	s_delay_alu instid0(VALU_DEP_1)
	v_mul_f64 v[0:1], v[0:1], v[78:79]
	v_xor_b32_e32 v79, 0x80000000, v79
.LBB125_239:
	s_and_not1_saveexec_b32 s3, s3
	s_cbranch_execz .LBB125_241
; %bb.240:
	v_div_scale_f64 v[0:1], null, v[72:73], v[72:73], v[74:75]
	v_div_scale_f64 v[76:77], vcc_lo, v[74:75], v[72:73], v[74:75]
	s_delay_alu instid0(VALU_DEP_2) | instskip(SKIP_2) | instid1(VALU_DEP_1)
	v_rcp_f64_e32 v[4:5], v[0:1]
	s_waitcnt_depctr 0xfff
	v_fma_f64 v[6:7], -v[0:1], v[4:5], 1.0
	v_fma_f64 v[4:5], v[4:5], v[6:7], v[4:5]
	s_delay_alu instid0(VALU_DEP_1) | instskip(NEXT) | instid1(VALU_DEP_1)
	v_fma_f64 v[6:7], -v[0:1], v[4:5], 1.0
	v_fma_f64 v[4:5], v[4:5], v[6:7], v[4:5]
	s_delay_alu instid0(VALU_DEP_1) | instskip(NEXT) | instid1(VALU_DEP_1)
	v_mul_f64 v[6:7], v[76:77], v[4:5]
	v_fma_f64 v[0:1], -v[0:1], v[6:7], v[76:77]
	s_delay_alu instid0(VALU_DEP_1) | instskip(NEXT) | instid1(VALU_DEP_1)
	v_div_fmas_f64 v[0:1], v[0:1], v[4:5], v[6:7]
	v_div_fixup_f64 v[4:5], v[0:1], v[72:73], v[74:75]
	s_delay_alu instid0(VALU_DEP_1) | instskip(NEXT) | instid1(VALU_DEP_1)
	v_fma_f64 v[0:1], v[74:75], v[4:5], v[72:73]
	v_div_scale_f64 v[6:7], null, v[0:1], v[0:1], 1.0
	s_delay_alu instid0(VALU_DEP_1) | instskip(SKIP_2) | instid1(VALU_DEP_1)
	v_rcp_f64_e32 v[72:73], v[6:7]
	s_waitcnt_depctr 0xfff
	v_fma_f64 v[74:75], -v[6:7], v[72:73], 1.0
	v_fma_f64 v[72:73], v[72:73], v[74:75], v[72:73]
	s_delay_alu instid0(VALU_DEP_1) | instskip(NEXT) | instid1(VALU_DEP_1)
	v_fma_f64 v[74:75], -v[6:7], v[72:73], 1.0
	v_fma_f64 v[72:73], v[72:73], v[74:75], v[72:73]
	v_div_scale_f64 v[74:75], vcc_lo, 1.0, v[0:1], 1.0
	s_delay_alu instid0(VALU_DEP_1) | instskip(NEXT) | instid1(VALU_DEP_1)
	v_mul_f64 v[76:77], v[74:75], v[72:73]
	v_fma_f64 v[6:7], -v[6:7], v[76:77], v[74:75]
	s_delay_alu instid0(VALU_DEP_1) | instskip(NEXT) | instid1(VALU_DEP_1)
	v_div_fmas_f64 v[6:7], v[6:7], v[72:73], v[76:77]
	v_div_fixup_f64 v[0:1], v[6:7], v[0:1], 1.0
	s_delay_alu instid0(VALU_DEP_1)
	v_mul_f64 v[78:79], v[4:5], -v[0:1]
.LBB125_241:
	s_or_b32 exec_lo, exec_lo, s3
	ds_store_2addr_b64 v254, v[0:1], v[78:79] offset1:1
.LBB125_242:
	s_or_b32 exec_lo, exec_lo, s4
	s_waitcnt lgkmcnt(0)
	s_barrier
	buffer_gl0_inv
	ds_load_2addr_b64 v[72:75], v254 offset1:1
	s_mov_b32 s3, exec_lo
	v_cmpx_lt_u32_e32 18, v253
	s_cbranch_execz .LBB125_245
; %bb.243:
	scratch_load_b128 v[81:84], off, off offset:288
	s_mov_b32 s4, 0
	s_waitcnt vmcnt(0) lgkmcnt(0)
	v_mul_f64 v[0:1], v[74:75], v[83:84]
	s_delay_alu instid0(VALU_DEP_1) | instskip(SKIP_1) | instid1(VALU_DEP_1)
	v_fma_f64 v[76:77], v[72:73], v[81:82], -v[0:1]
	v_mul_f64 v[0:1], v[72:73], v[83:84]
	v_fma_f64 v[78:79], v[74:75], v[81:82], v[0:1]
	v_mov_b32_e32 v0, 0
	scratch_store_b128 off, v[76:79], off offset:288
.LBB125_244:                            ; =>This Inner Loop Header: Depth=1
	v_add_nc_u32_e32 v1, s4, v80
	v_readfirstlane_b32 s5, v0
	ds_load_2addr_b64 v[81:84], v1 offset1:1
	s_add_i32 s5, s5, s4
	s_add_i32 s4, s4, 64
	;; [unrolled: 1-line block ×3, first 2 shown]
	s_waitcnt lgkmcnt(0)
	v_mul_f64 v[4:5], v[83:84], v[78:79]
	v_mul_f64 v[6:7], v[81:82], v[78:79]
	s_delay_alu instid0(VALU_DEP_2) | instskip(NEXT) | instid1(VALU_DEP_2)
	v_fma_f64 v[4:5], v[81:82], v[76:77], -v[4:5]
	v_fma_f64 v[6:7], v[83:84], v[76:77], v[6:7]
	scratch_load_b128 v[81:84], off, s6
	s_waitcnt vmcnt(0)
	v_add_f64 v[81:82], v[81:82], -v[4:5]
	v_add_f64 v[83:84], v[83:84], -v[6:7]
	scratch_store_b128 off, v[81:84], s6
	ds_load_2addr_b64 v[81:84], v1 offset0:2 offset1:3
	s_add_i32 s6, s5, 0x140
	s_waitcnt lgkmcnt(0)
	v_mul_f64 v[4:5], v[83:84], v[78:79]
	v_mul_f64 v[6:7], v[81:82], v[78:79]
	s_delay_alu instid0(VALU_DEP_2) | instskip(NEXT) | instid1(VALU_DEP_2)
	v_fma_f64 v[4:5], v[81:82], v[76:77], -v[4:5]
	v_fma_f64 v[6:7], v[83:84], v[76:77], v[6:7]
	scratch_load_b128 v[81:84], off, s6
	s_waitcnt vmcnt(0)
	v_add_f64 v[81:82], v[81:82], -v[4:5]
	v_add_f64 v[83:84], v[83:84], -v[6:7]
	scratch_store_b128 off, v[81:84], s6
	ds_load_2addr_b64 v[81:84], v1 offset0:4 offset1:5
	s_add_i32 s6, s5, 0x150
	s_addk_i32 s5, 0x160
	s_cmpk_lg_i32 s4, 0x2c0
	s_waitcnt lgkmcnt(0)
	v_mul_f64 v[4:5], v[83:84], v[78:79]
	v_mul_f64 v[6:7], v[81:82], v[78:79]
	s_delay_alu instid0(VALU_DEP_2) | instskip(NEXT) | instid1(VALU_DEP_2)
	v_fma_f64 v[4:5], v[81:82], v[76:77], -v[4:5]
	v_fma_f64 v[6:7], v[83:84], v[76:77], v[6:7]
	scratch_load_b128 v[81:84], off, s6
	s_waitcnt vmcnt(0)
	v_add_f64 v[81:82], v[81:82], -v[4:5]
	v_add_f64 v[83:84], v[83:84], -v[6:7]
	scratch_store_b128 off, v[81:84], s6
	ds_load_2addr_b64 v[81:84], v1 offset0:6 offset1:7
	s_waitcnt lgkmcnt(0)
	v_mul_f64 v[4:5], v[83:84], v[78:79]
	v_mul_f64 v[6:7], v[81:82], v[78:79]
	s_delay_alu instid0(VALU_DEP_2) | instskip(NEXT) | instid1(VALU_DEP_2)
	v_fma_f64 v[4:5], v[81:82], v[76:77], -v[4:5]
	v_fma_f64 v[6:7], v[83:84], v[76:77], v[6:7]
	scratch_load_b128 v[81:84], off, s5
	s_waitcnt vmcnt(0)
	v_add_f64 v[81:82], v[81:82], -v[4:5]
	v_add_f64 v[83:84], v[83:84], -v[6:7]
	scratch_store_b128 off, v[81:84], s5
	s_cbranch_scc1 .LBB125_244
.LBB125_245:
	s_or_b32 exec_lo, exec_lo, s3
	v_add3_u32 v84, v184, 0, 0x140
	s_mov_b32 s4, exec_lo
	s_waitcnt lgkmcnt(0)
	s_waitcnt_vscnt null, 0x0
	s_barrier
	buffer_gl0_inv
	v_cmpx_eq_u32_e32 19, v253
	s_cbranch_execz .LBB125_256
; %bb.246:
	scratch_load_b32 v0, off, off offset:1180 ; 4-byte Folded Reload
	s_movk_i32 s3, 0xfd80
	s_waitcnt vmcnt(0)
	scratch_load_b128 v[76:79], v0, off
	v_mov_b32_e32 v0, 0
	s_waitcnt vmcnt(0)
	ds_store_2addr_b64 v254, v[76:77], v[78:79] offset1:1
	s_branch .LBB125_248
.LBB125_247:                            ;   in Loop: Header=BB125_248 Depth=1
	s_add_i32 s6, s5, 0x3f0
	s_addk_i32 s3, 0x80
	scratch_load_b128 v[76:79], off, s6
	s_add_i32 s6, s5, 0x400
	s_waitcnt vmcnt(0)
	ds_store_2addr_b64 v1, v[76:77], v[78:79] offset0:86 offset1:87
	scratch_load_b128 v[76:79], off, s6
	s_add_i32 s6, s5, 0x410
	s_waitcnt vmcnt(0)
	ds_store_2addr_b64 v1, v[76:77], v[78:79] offset0:88 offset1:89
	scratch_load_b128 v[76:79], off, s6
	s_add_i32 s6, s5, 0x420
	s_addk_i32 s5, 0x430
	s_waitcnt vmcnt(0)
	ds_store_2addr_b64 v1, v[76:77], v[78:79] offset0:90 offset1:91
	scratch_load_b128 v[76:79], off, s6
	s_waitcnt vmcnt(0)
	ds_store_2addr_b64 v1, v[76:77], v[78:79] offset0:92 offset1:93
	scratch_load_b128 v[76:79], off, s5
	s_waitcnt vmcnt(0)
	ds_store_2addr_b64 v1, v[76:77], v[78:79] offset0:94 offset1:95
	s_cbranch_execz .LBB125_250
.LBB125_248:                            ; =>This Inner Loop Header: Depth=1
	v_readfirstlane_b32 s5, v0
	v_add_nc_u32_e32 v1, s3, v84
	s_delay_alu instid0(VALU_DEP_2) | instskip(NEXT) | instid1(SALU_CYCLE_1)
	s_add_i32 s5, s5, s3
	s_add_i32 s6, s5, 0x3c0
	scratch_load_b128 v[76:79], off, s6
	s_add_i32 s6, s5, 0x3d0
	s_waitcnt vmcnt(0)
	ds_store_2addr_b64 v1, v[76:77], v[78:79] offset0:80 offset1:81
	scratch_load_b128 v[76:79], off, s6
	s_add_i32 s6, s5, 0x3e0
	s_cmp_eq_u32 s3, 0
	s_waitcnt vmcnt(0)
	ds_store_2addr_b64 v1, v[76:77], v[78:79] offset0:82 offset1:83
	scratch_load_b128 v[76:79], off, s6
	s_waitcnt vmcnt(0)
	ds_store_2addr_b64 v1, v[76:77], v[78:79] offset0:84 offset1:85
	s_cbranch_scc0 .LBB125_247
; %bb.249:
                                        ; implicit-def: $sgpr3
.LBB125_250:
	ds_load_2addr_b64 v[76:79], v254 offset1:1
	s_waitcnt lgkmcnt(0)
	v_cmp_neq_f64_e32 vcc_lo, 0, v[76:77]
	v_cmp_neq_f64_e64 s3, 0, v[78:79]
	s_delay_alu instid0(VALU_DEP_1) | instskip(NEXT) | instid1(SALU_CYCLE_1)
	s_or_b32 s3, vcc_lo, s3
	s_and_b32 exec_lo, exec_lo, s3
	s_cbranch_execz .LBB125_256
; %bb.251:
	v_cmp_gt_f64_e32 vcc_lo, 0, v[76:77]
	v_xor_b32_e32 v0, 0x80000000, v77
	v_xor_b32_e32 v4, 0x80000000, v79
	s_delay_alu instid0(VALU_DEP_2) | instskip(SKIP_2) | instid1(VALU_DEP_4)
	v_cndmask_b32_e32 v1, v77, v0, vcc_lo
	v_cndmask_b32_e32 v0, v76, v76, vcc_lo
	v_cmp_gt_f64_e32 vcc_lo, 0, v[78:79]
	v_dual_cndmask_b32 v5, v79, v4 :: v_dual_cndmask_b32 v4, v78, v78
	s_delay_alu instid0(VALU_DEP_1) | instskip(SKIP_1) | instid1(SALU_CYCLE_1)
	v_cmp_ngt_f64_e32 vcc_lo, v[0:1], v[4:5]
                                        ; implicit-def: $vgpr0_vgpr1
	s_and_saveexec_b32 s3, vcc_lo
	s_xor_b32 s3, exec_lo, s3
                                        ; implicit-def: $vgpr80_vgpr81_vgpr82_vgpr83
	s_cbranch_execz .LBB125_253
; %bb.252:
	v_div_scale_f64 v[0:1], null, v[78:79], v[78:79], v[76:77]
	v_div_scale_f64 v[80:81], vcc_lo, v[76:77], v[78:79], v[76:77]
	s_delay_alu instid0(VALU_DEP_2) | instskip(SKIP_2) | instid1(VALU_DEP_1)
	v_rcp_f64_e32 v[4:5], v[0:1]
	s_waitcnt_depctr 0xfff
	v_fma_f64 v[6:7], -v[0:1], v[4:5], 1.0
	v_fma_f64 v[4:5], v[4:5], v[6:7], v[4:5]
	s_delay_alu instid0(VALU_DEP_1) | instskip(NEXT) | instid1(VALU_DEP_1)
	v_fma_f64 v[6:7], -v[0:1], v[4:5], 1.0
	v_fma_f64 v[4:5], v[4:5], v[6:7], v[4:5]
	s_delay_alu instid0(VALU_DEP_1) | instskip(NEXT) | instid1(VALU_DEP_1)
	v_mul_f64 v[6:7], v[80:81], v[4:5]
	v_fma_f64 v[0:1], -v[0:1], v[6:7], v[80:81]
	s_delay_alu instid0(VALU_DEP_1) | instskip(NEXT) | instid1(VALU_DEP_1)
	v_div_fmas_f64 v[0:1], v[0:1], v[4:5], v[6:7]
	v_div_fixup_f64 v[0:1], v[0:1], v[78:79], v[76:77]
	s_delay_alu instid0(VALU_DEP_1) | instskip(NEXT) | instid1(VALU_DEP_1)
	v_fma_f64 v[4:5], v[76:77], v[0:1], v[78:79]
	v_div_scale_f64 v[6:7], null, v[4:5], v[4:5], 1.0
	s_delay_alu instid0(VALU_DEP_1) | instskip(SKIP_2) | instid1(VALU_DEP_1)
	v_rcp_f64_e32 v[76:77], v[6:7]
	s_waitcnt_depctr 0xfff
	v_fma_f64 v[78:79], -v[6:7], v[76:77], 1.0
	v_fma_f64 v[76:77], v[76:77], v[78:79], v[76:77]
	s_delay_alu instid0(VALU_DEP_1) | instskip(NEXT) | instid1(VALU_DEP_1)
	v_fma_f64 v[78:79], -v[6:7], v[76:77], 1.0
	v_fma_f64 v[76:77], v[76:77], v[78:79], v[76:77]
	v_div_scale_f64 v[78:79], vcc_lo, 1.0, v[4:5], 1.0
	s_delay_alu instid0(VALU_DEP_1) | instskip(NEXT) | instid1(VALU_DEP_1)
	v_mul_f64 v[80:81], v[78:79], v[76:77]
	v_fma_f64 v[6:7], -v[6:7], v[80:81], v[78:79]
	s_delay_alu instid0(VALU_DEP_1) | instskip(NEXT) | instid1(VALU_DEP_1)
	v_div_fmas_f64 v[6:7], v[6:7], v[76:77], v[80:81]
                                        ; implicit-def: $vgpr76_vgpr77
	v_div_fixup_f64 v[82:83], v[6:7], v[4:5], 1.0
	s_delay_alu instid0(VALU_DEP_1)
	v_mul_f64 v[0:1], v[0:1], v[82:83]
	v_xor_b32_e32 v83, 0x80000000, v83
.LBB125_253:
	s_and_not1_saveexec_b32 s3, s3
	s_cbranch_execz .LBB125_255
; %bb.254:
	v_div_scale_f64 v[0:1], null, v[76:77], v[76:77], v[78:79]
	v_div_scale_f64 v[80:81], vcc_lo, v[78:79], v[76:77], v[78:79]
	s_delay_alu instid0(VALU_DEP_2) | instskip(SKIP_2) | instid1(VALU_DEP_1)
	v_rcp_f64_e32 v[4:5], v[0:1]
	s_waitcnt_depctr 0xfff
	v_fma_f64 v[6:7], -v[0:1], v[4:5], 1.0
	v_fma_f64 v[4:5], v[4:5], v[6:7], v[4:5]
	s_delay_alu instid0(VALU_DEP_1) | instskip(NEXT) | instid1(VALU_DEP_1)
	v_fma_f64 v[6:7], -v[0:1], v[4:5], 1.0
	v_fma_f64 v[4:5], v[4:5], v[6:7], v[4:5]
	s_delay_alu instid0(VALU_DEP_1) | instskip(NEXT) | instid1(VALU_DEP_1)
	v_mul_f64 v[6:7], v[80:81], v[4:5]
	v_fma_f64 v[0:1], -v[0:1], v[6:7], v[80:81]
	s_delay_alu instid0(VALU_DEP_1) | instskip(NEXT) | instid1(VALU_DEP_1)
	v_div_fmas_f64 v[0:1], v[0:1], v[4:5], v[6:7]
	v_div_fixup_f64 v[4:5], v[0:1], v[76:77], v[78:79]
	s_delay_alu instid0(VALU_DEP_1) | instskip(NEXT) | instid1(VALU_DEP_1)
	v_fma_f64 v[0:1], v[78:79], v[4:5], v[76:77]
	v_div_scale_f64 v[6:7], null, v[0:1], v[0:1], 1.0
	s_delay_alu instid0(VALU_DEP_1) | instskip(SKIP_2) | instid1(VALU_DEP_1)
	v_rcp_f64_e32 v[76:77], v[6:7]
	s_waitcnt_depctr 0xfff
	v_fma_f64 v[78:79], -v[6:7], v[76:77], 1.0
	v_fma_f64 v[76:77], v[76:77], v[78:79], v[76:77]
	s_delay_alu instid0(VALU_DEP_1) | instskip(NEXT) | instid1(VALU_DEP_1)
	v_fma_f64 v[78:79], -v[6:7], v[76:77], 1.0
	v_fma_f64 v[76:77], v[76:77], v[78:79], v[76:77]
	v_div_scale_f64 v[78:79], vcc_lo, 1.0, v[0:1], 1.0
	s_delay_alu instid0(VALU_DEP_1) | instskip(NEXT) | instid1(VALU_DEP_1)
	v_mul_f64 v[80:81], v[78:79], v[76:77]
	v_fma_f64 v[6:7], -v[6:7], v[80:81], v[78:79]
	s_delay_alu instid0(VALU_DEP_1) | instskip(NEXT) | instid1(VALU_DEP_1)
	v_div_fmas_f64 v[6:7], v[6:7], v[76:77], v[80:81]
	v_div_fixup_f64 v[0:1], v[6:7], v[0:1], 1.0
	s_delay_alu instid0(VALU_DEP_1)
	v_mul_f64 v[82:83], v[4:5], -v[0:1]
.LBB125_255:
	s_or_b32 exec_lo, exec_lo, s3
	ds_store_2addr_b64 v254, v[0:1], v[82:83] offset1:1
.LBB125_256:
	s_or_b32 exec_lo, exec_lo, s4
	s_waitcnt lgkmcnt(0)
	s_barrier
	buffer_gl0_inv
	ds_load_2addr_b64 v[76:79], v254 offset1:1
	s_mov_b32 s3, exec_lo
	v_cmpx_lt_u32_e32 19, v253
	s_cbranch_execz .LBB125_261
; %bb.257:
	scratch_load_b128 v[85:88], off, off offset:304
	s_mov_b32 s4, 0
	s_waitcnt vmcnt(0) lgkmcnt(0)
	v_mul_f64 v[0:1], v[78:79], v[87:88]
	s_delay_alu instid0(VALU_DEP_1) | instskip(SKIP_1) | instid1(VALU_DEP_1)
	v_fma_f64 v[80:81], v[76:77], v[85:86], -v[0:1]
	v_mul_f64 v[0:1], v[76:77], v[87:88]
	v_fma_f64 v[82:83], v[78:79], v[85:86], v[0:1]
	v_mov_b32_e32 v0, 0
	scratch_store_b128 off, v[80:83], off offset:304
	s_branch .LBB125_259
.LBB125_258:                            ;   in Loop: Header=BB125_259 Depth=1
	s_and_not1_b32 vcc_lo, exec_lo, s6
	s_cbranch_vccz .LBB125_261
.LBB125_259:                            ; =>This Inner Loop Header: Depth=1
	v_add_nc_u32_e32 v1, s4, v84
	v_readfirstlane_b32 s5, v0
	ds_load_2addr_b64 v[85:88], v1 offset1:1
	s_add_i32 s5, s5, s4
	s_delay_alu instid0(SALU_CYCLE_1) | instskip(SKIP_3) | instid1(VALU_DEP_2)
	s_add_i32 s6, s5, 0x140
	s_waitcnt lgkmcnt(0)
	v_mul_f64 v[4:5], v[87:88], v[82:83]
	v_mul_f64 v[6:7], v[85:86], v[82:83]
	v_fma_f64 v[4:5], v[85:86], v[80:81], -v[4:5]
	s_delay_alu instid0(VALU_DEP_2)
	v_fma_f64 v[6:7], v[87:88], v[80:81], v[6:7]
	scratch_load_b128 v[85:88], off, s6
	s_waitcnt vmcnt(0)
	v_add_f64 v[85:86], v[85:86], -v[4:5]
	v_add_f64 v[87:88], v[87:88], -v[6:7]
	scratch_store_b128 off, v[85:88], s6
	ds_load_2addr_b64 v[85:88], v1 offset0:2 offset1:3
	s_add_i32 s6, s5, 0x150
	s_waitcnt lgkmcnt(0)
	v_mul_f64 v[4:5], v[87:88], v[82:83]
	v_mul_f64 v[6:7], v[85:86], v[82:83]
	s_delay_alu instid0(VALU_DEP_2) | instskip(NEXT) | instid1(VALU_DEP_2)
	v_fma_f64 v[4:5], v[85:86], v[80:81], -v[4:5]
	v_fma_f64 v[6:7], v[87:88], v[80:81], v[6:7]
	scratch_load_b128 v[85:88], off, s6
	s_waitcnt vmcnt(0)
	v_add_f64 v[85:86], v[85:86], -v[4:5]
	v_add_f64 v[87:88], v[87:88], -v[6:7]
	scratch_store_b128 off, v[85:88], s6
	ds_load_2addr_b64 v[85:88], v1 offset0:4 offset1:5
	s_add_i32 s6, s5, 0x160
	s_cmpk_eq_i32 s4, 0x280
	s_waitcnt lgkmcnt(0)
	v_mul_f64 v[4:5], v[87:88], v[82:83]
	v_mul_f64 v[6:7], v[85:86], v[82:83]
	s_delay_alu instid0(VALU_DEP_2) | instskip(NEXT) | instid1(VALU_DEP_2)
	v_fma_f64 v[4:5], v[85:86], v[80:81], -v[4:5]
	v_fma_f64 v[6:7], v[87:88], v[80:81], v[6:7]
	scratch_load_b128 v[85:88], off, s6
	s_waitcnt vmcnt(0)
	v_add_f64 v[85:86], v[85:86], -v[4:5]
	v_add_f64 v[87:88], v[87:88], -v[6:7]
	scratch_store_b128 off, v[85:88], s6
	s_mov_b32 s6, -1
	s_cbranch_scc1 .LBB125_258
; %bb.260:                              ;   in Loop: Header=BB125_259 Depth=1
	ds_load_2addr_b64 v[85:88], v1 offset0:6 offset1:7
	s_addk_i32 s5, 0x170
	s_add_i32 s4, s4, 64
	s_mov_b32 s6, 0
	s_waitcnt lgkmcnt(0)
	v_mul_f64 v[4:5], v[87:88], v[82:83]
	v_mul_f64 v[6:7], v[85:86], v[82:83]
	s_delay_alu instid0(VALU_DEP_2) | instskip(NEXT) | instid1(VALU_DEP_2)
	v_fma_f64 v[4:5], v[85:86], v[80:81], -v[4:5]
	v_fma_f64 v[6:7], v[87:88], v[80:81], v[6:7]
	scratch_load_b128 v[85:88], off, s5
	s_waitcnt vmcnt(0)
	v_add_f64 v[85:86], v[85:86], -v[4:5]
	v_add_f64 v[87:88], v[87:88], -v[6:7]
	scratch_store_b128 off, v[85:88], s5
	s_branch .LBB125_258
.LBB125_261:
	s_or_b32 exec_lo, exec_lo, s3
	v_add3_u32 v88, v184, 0, 0x150
	s_mov_b32 s4, exec_lo
	s_waitcnt lgkmcnt(0)
	s_waitcnt_vscnt null, 0x0
	s_barrier
	buffer_gl0_inv
	v_cmpx_eq_u32_e32 20, v253
	s_cbranch_execz .LBB125_270
; %bb.262:
	scratch_load_b32 v0, off, off offset:1176 ; 4-byte Folded Reload
	s_movk_i32 s3, 0xfd60
	s_waitcnt vmcnt(0)
	scratch_load_b128 v[80:83], v0, off
	v_mov_b32_e32 v0, 0
	s_waitcnt vmcnt(0)
	ds_store_2addr_b64 v254, v[80:81], v[82:83] offset1:1
.LBB125_263:                            ; =>This Inner Loop Header: Depth=1
	v_readfirstlane_b32 s5, v0
	v_add_nc_u32_e32 v1, s3, v88
	s_delay_alu instid0(VALU_DEP_2)
	s_add_i32 s5, s5, s3
	s_addk_i32 s3, 0xe0
	s_add_i32 s6, s5, 0x3f0
	scratch_load_b128 v[80:83], off, s6
	s_add_i32 s6, s5, 0x400
	s_waitcnt vmcnt(0)
	ds_store_2addr_b64 v1, v[80:81], v[82:83] offset0:84 offset1:85
	scratch_load_b128 v[80:83], off, s6
	s_add_i32 s6, s5, 0x410
	s_waitcnt vmcnt(0)
	ds_store_2addr_b64 v1, v[80:81], v[82:83] offset0:86 offset1:87
	;; [unrolled: 4-line block ×11, first 2 shown]
	scratch_load_b128 v[80:83], off, s6
	s_add_i32 s6, s5, 0x4b0
	s_addk_i32 s5, 0x4c0
	s_cmp_lg_u32 s3, 0
	s_waitcnt vmcnt(0)
	ds_store_2addr_b64 v1, v[80:81], v[82:83] offset0:106 offset1:107
	scratch_load_b128 v[80:83], off, s6
	s_waitcnt vmcnt(0)
	ds_store_2addr_b64 v1, v[80:81], v[82:83] offset0:108 offset1:109
	scratch_load_b128 v[80:83], off, s5
	s_waitcnt vmcnt(0)
	ds_store_2addr_b64 v1, v[80:81], v[82:83] offset0:110 offset1:111
	s_cbranch_scc1 .LBB125_263
; %bb.264:
	ds_load_2addr_b64 v[80:83], v254 offset1:1
	s_waitcnt lgkmcnt(0)
	v_cmp_neq_f64_e32 vcc_lo, 0, v[80:81]
	v_cmp_neq_f64_e64 s3, 0, v[82:83]
	s_delay_alu instid0(VALU_DEP_1) | instskip(NEXT) | instid1(SALU_CYCLE_1)
	s_or_b32 s3, vcc_lo, s3
	s_and_b32 exec_lo, exec_lo, s3
	s_cbranch_execz .LBB125_270
; %bb.265:
	v_cmp_gt_f64_e32 vcc_lo, 0, v[80:81]
	v_xor_b32_e32 v0, 0x80000000, v81
	v_xor_b32_e32 v4, 0x80000000, v83
	s_delay_alu instid0(VALU_DEP_2) | instskip(SKIP_2) | instid1(VALU_DEP_4)
	v_cndmask_b32_e32 v1, v81, v0, vcc_lo
	v_cndmask_b32_e32 v0, v80, v80, vcc_lo
	v_cmp_gt_f64_e32 vcc_lo, 0, v[82:83]
	v_dual_cndmask_b32 v5, v83, v4 :: v_dual_cndmask_b32 v4, v82, v82
	s_delay_alu instid0(VALU_DEP_1) | instskip(SKIP_1) | instid1(SALU_CYCLE_1)
	v_cmp_ngt_f64_e32 vcc_lo, v[0:1], v[4:5]
                                        ; implicit-def: $vgpr0_vgpr1
	s_and_saveexec_b32 s3, vcc_lo
	s_xor_b32 s3, exec_lo, s3
                                        ; implicit-def: $vgpr84_vgpr85_vgpr86_vgpr87
	s_cbranch_execz .LBB125_267
; %bb.266:
	v_div_scale_f64 v[0:1], null, v[82:83], v[82:83], v[80:81]
	v_div_scale_f64 v[84:85], vcc_lo, v[80:81], v[82:83], v[80:81]
	s_delay_alu instid0(VALU_DEP_2) | instskip(SKIP_2) | instid1(VALU_DEP_1)
	v_rcp_f64_e32 v[4:5], v[0:1]
	s_waitcnt_depctr 0xfff
	v_fma_f64 v[6:7], -v[0:1], v[4:5], 1.0
	v_fma_f64 v[4:5], v[4:5], v[6:7], v[4:5]
	s_delay_alu instid0(VALU_DEP_1) | instskip(NEXT) | instid1(VALU_DEP_1)
	v_fma_f64 v[6:7], -v[0:1], v[4:5], 1.0
	v_fma_f64 v[4:5], v[4:5], v[6:7], v[4:5]
	s_delay_alu instid0(VALU_DEP_1) | instskip(NEXT) | instid1(VALU_DEP_1)
	v_mul_f64 v[6:7], v[84:85], v[4:5]
	v_fma_f64 v[0:1], -v[0:1], v[6:7], v[84:85]
	s_delay_alu instid0(VALU_DEP_1) | instskip(NEXT) | instid1(VALU_DEP_1)
	v_div_fmas_f64 v[0:1], v[0:1], v[4:5], v[6:7]
	v_div_fixup_f64 v[0:1], v[0:1], v[82:83], v[80:81]
	s_delay_alu instid0(VALU_DEP_1) | instskip(NEXT) | instid1(VALU_DEP_1)
	v_fma_f64 v[4:5], v[80:81], v[0:1], v[82:83]
	v_div_scale_f64 v[6:7], null, v[4:5], v[4:5], 1.0
	s_delay_alu instid0(VALU_DEP_1) | instskip(SKIP_2) | instid1(VALU_DEP_1)
	v_rcp_f64_e32 v[80:81], v[6:7]
	s_waitcnt_depctr 0xfff
	v_fma_f64 v[82:83], -v[6:7], v[80:81], 1.0
	v_fma_f64 v[80:81], v[80:81], v[82:83], v[80:81]
	s_delay_alu instid0(VALU_DEP_1) | instskip(NEXT) | instid1(VALU_DEP_1)
	v_fma_f64 v[82:83], -v[6:7], v[80:81], 1.0
	v_fma_f64 v[80:81], v[80:81], v[82:83], v[80:81]
	v_div_scale_f64 v[82:83], vcc_lo, 1.0, v[4:5], 1.0
	s_delay_alu instid0(VALU_DEP_1) | instskip(NEXT) | instid1(VALU_DEP_1)
	v_mul_f64 v[84:85], v[82:83], v[80:81]
	v_fma_f64 v[6:7], -v[6:7], v[84:85], v[82:83]
	s_delay_alu instid0(VALU_DEP_1) | instskip(NEXT) | instid1(VALU_DEP_1)
	v_div_fmas_f64 v[6:7], v[6:7], v[80:81], v[84:85]
                                        ; implicit-def: $vgpr80_vgpr81
	v_div_fixup_f64 v[86:87], v[6:7], v[4:5], 1.0
	s_delay_alu instid0(VALU_DEP_1)
	v_mul_f64 v[0:1], v[0:1], v[86:87]
	v_xor_b32_e32 v87, 0x80000000, v87
.LBB125_267:
	s_and_not1_saveexec_b32 s3, s3
	s_cbranch_execz .LBB125_269
; %bb.268:
	v_div_scale_f64 v[0:1], null, v[80:81], v[80:81], v[82:83]
	v_div_scale_f64 v[84:85], vcc_lo, v[82:83], v[80:81], v[82:83]
	s_delay_alu instid0(VALU_DEP_2) | instskip(SKIP_2) | instid1(VALU_DEP_1)
	v_rcp_f64_e32 v[4:5], v[0:1]
	s_waitcnt_depctr 0xfff
	v_fma_f64 v[6:7], -v[0:1], v[4:5], 1.0
	v_fma_f64 v[4:5], v[4:5], v[6:7], v[4:5]
	s_delay_alu instid0(VALU_DEP_1) | instskip(NEXT) | instid1(VALU_DEP_1)
	v_fma_f64 v[6:7], -v[0:1], v[4:5], 1.0
	v_fma_f64 v[4:5], v[4:5], v[6:7], v[4:5]
	s_delay_alu instid0(VALU_DEP_1) | instskip(NEXT) | instid1(VALU_DEP_1)
	v_mul_f64 v[6:7], v[84:85], v[4:5]
	v_fma_f64 v[0:1], -v[0:1], v[6:7], v[84:85]
	s_delay_alu instid0(VALU_DEP_1) | instskip(NEXT) | instid1(VALU_DEP_1)
	v_div_fmas_f64 v[0:1], v[0:1], v[4:5], v[6:7]
	v_div_fixup_f64 v[4:5], v[0:1], v[80:81], v[82:83]
	s_delay_alu instid0(VALU_DEP_1) | instskip(NEXT) | instid1(VALU_DEP_1)
	v_fma_f64 v[0:1], v[82:83], v[4:5], v[80:81]
	v_div_scale_f64 v[6:7], null, v[0:1], v[0:1], 1.0
	s_delay_alu instid0(VALU_DEP_1) | instskip(SKIP_2) | instid1(VALU_DEP_1)
	v_rcp_f64_e32 v[80:81], v[6:7]
	s_waitcnt_depctr 0xfff
	v_fma_f64 v[82:83], -v[6:7], v[80:81], 1.0
	v_fma_f64 v[80:81], v[80:81], v[82:83], v[80:81]
	s_delay_alu instid0(VALU_DEP_1) | instskip(NEXT) | instid1(VALU_DEP_1)
	v_fma_f64 v[82:83], -v[6:7], v[80:81], 1.0
	v_fma_f64 v[80:81], v[80:81], v[82:83], v[80:81]
	v_div_scale_f64 v[82:83], vcc_lo, 1.0, v[0:1], 1.0
	s_delay_alu instid0(VALU_DEP_1) | instskip(NEXT) | instid1(VALU_DEP_1)
	v_mul_f64 v[84:85], v[82:83], v[80:81]
	v_fma_f64 v[6:7], -v[6:7], v[84:85], v[82:83]
	s_delay_alu instid0(VALU_DEP_1) | instskip(NEXT) | instid1(VALU_DEP_1)
	v_div_fmas_f64 v[6:7], v[6:7], v[80:81], v[84:85]
	v_div_fixup_f64 v[0:1], v[6:7], v[0:1], 1.0
	s_delay_alu instid0(VALU_DEP_1)
	v_mul_f64 v[86:87], v[4:5], -v[0:1]
.LBB125_269:
	s_or_b32 exec_lo, exec_lo, s3
	ds_store_2addr_b64 v254, v[0:1], v[86:87] offset1:1
.LBB125_270:
	s_or_b32 exec_lo, exec_lo, s4
	s_waitcnt lgkmcnt(0)
	s_barrier
	buffer_gl0_inv
	ds_load_2addr_b64 v[80:83], v254 offset1:1
	s_mov_b32 s3, exec_lo
	v_cmpx_lt_u32_e32 20, v253
	s_cbranch_execz .LBB125_273
; %bb.271:
	scratch_load_b128 v[89:92], off, off offset:320
	s_mov_b32 s4, 0
	s_waitcnt vmcnt(0) lgkmcnt(0)
	v_mul_f64 v[0:1], v[82:83], v[91:92]
	s_delay_alu instid0(VALU_DEP_1) | instskip(SKIP_1) | instid1(VALU_DEP_1)
	v_fma_f64 v[84:85], v[80:81], v[89:90], -v[0:1]
	v_mul_f64 v[0:1], v[80:81], v[91:92]
	v_fma_f64 v[86:87], v[82:83], v[89:90], v[0:1]
	v_mov_b32_e32 v0, 0
	scratch_store_b128 off, v[84:87], off offset:320
.LBB125_272:                            ; =>This Inner Loop Header: Depth=1
	v_add_nc_u32_e32 v1, s4, v88
	v_readfirstlane_b32 s5, v0
	ds_load_2addr_b64 v[89:92], v1 offset1:1
	s_add_i32 s5, s5, s4
	s_addk_i32 s4, 0x70
	s_add_i32 s6, s5, 0x150
	s_waitcnt lgkmcnt(0)
	v_mul_f64 v[4:5], v[91:92], v[86:87]
	v_mul_f64 v[6:7], v[89:90], v[86:87]
	s_delay_alu instid0(VALU_DEP_2) | instskip(NEXT) | instid1(VALU_DEP_2)
	v_fma_f64 v[4:5], v[89:90], v[84:85], -v[4:5]
	v_fma_f64 v[6:7], v[91:92], v[84:85], v[6:7]
	scratch_load_b128 v[89:92], off, s6
	s_waitcnt vmcnt(0)
	v_add_f64 v[89:90], v[89:90], -v[4:5]
	v_add_f64 v[91:92], v[91:92], -v[6:7]
	scratch_store_b128 off, v[89:92], s6
	ds_load_2addr_b64 v[89:92], v1 offset0:2 offset1:3
	s_add_i32 s6, s5, 0x160
	s_waitcnt lgkmcnt(0)
	v_mul_f64 v[4:5], v[91:92], v[86:87]
	v_mul_f64 v[6:7], v[89:90], v[86:87]
	s_delay_alu instid0(VALU_DEP_2) | instskip(NEXT) | instid1(VALU_DEP_2)
	v_fma_f64 v[4:5], v[89:90], v[84:85], -v[4:5]
	v_fma_f64 v[6:7], v[91:92], v[84:85], v[6:7]
	scratch_load_b128 v[89:92], off, s6
	s_waitcnt vmcnt(0)
	v_add_f64 v[89:90], v[89:90], -v[4:5]
	v_add_f64 v[91:92], v[91:92], -v[6:7]
	scratch_store_b128 off, v[89:92], s6
	ds_load_2addr_b64 v[89:92], v1 offset0:4 offset1:5
	;; [unrolled: 13-line block ×5, first 2 shown]
	s_add_i32 s6, s5, 0x1a0
	s_addk_i32 s5, 0x1b0
	s_cmpk_lg_i32 s4, 0x2a0
	s_waitcnt lgkmcnt(0)
	v_mul_f64 v[4:5], v[91:92], v[86:87]
	v_mul_f64 v[6:7], v[89:90], v[86:87]
	s_delay_alu instid0(VALU_DEP_2) | instskip(NEXT) | instid1(VALU_DEP_2)
	v_fma_f64 v[4:5], v[89:90], v[84:85], -v[4:5]
	v_fma_f64 v[6:7], v[91:92], v[84:85], v[6:7]
	scratch_load_b128 v[84:87], off, s6
	ds_load_2addr_b64 v[89:92], v1 offset0:12 offset1:13
	s_waitcnt vmcnt(0)
	v_add_f64 v[84:85], v[84:85], -v[4:5]
	v_add_f64 v[86:87], v[86:87], -v[6:7]
	scratch_store_b128 off, v[84:87], s6
	scratch_load_b128 v[84:87], off, off offset:320
	s_waitcnt vmcnt(0) lgkmcnt(0)
	v_mul_f64 v[4:5], v[91:92], v[86:87]
	v_mul_f64 v[6:7], v[89:90], v[86:87]
	s_delay_alu instid0(VALU_DEP_2) | instskip(NEXT) | instid1(VALU_DEP_2)
	v_fma_f64 v[4:5], v[89:90], v[84:85], -v[4:5]
	v_fma_f64 v[6:7], v[91:92], v[84:85], v[6:7]
	scratch_load_b128 v[89:92], off, s5
	s_waitcnt vmcnt(0)
	v_add_f64 v[89:90], v[89:90], -v[4:5]
	v_add_f64 v[91:92], v[91:92], -v[6:7]
	scratch_store_b128 off, v[89:92], s5
	s_cbranch_scc1 .LBB125_272
.LBB125_273:
	s_or_b32 exec_lo, exec_lo, s3
	v_add3_u32 v92, v184, 0, 0x160
	s_mov_b32 s4, exec_lo
	s_waitcnt lgkmcnt(0)
	s_waitcnt_vscnt null, 0x0
	s_barrier
	buffer_gl0_inv
	v_cmpx_eq_u32_e32 21, v253
	s_cbranch_execz .LBB125_284
; %bb.274:
	scratch_load_b32 v0, off, off offset:1172 ; 4-byte Folded Reload
	s_movk_i32 s3, 0xfd80
	s_waitcnt vmcnt(0)
	scratch_load_b128 v[84:87], v0, off
	v_mov_b32_e32 v0, 0
	s_waitcnt vmcnt(0)
	ds_store_2addr_b64 v254, v[84:85], v[86:87] offset1:1
	s_branch .LBB125_276
.LBB125_275:                            ;   in Loop: Header=BB125_276 Depth=1
	s_add_i32 s6, s5, 0x3f0
	s_addk_i32 s3, 0x80
	scratch_load_b128 v[84:87], off, s6
	s_add_i32 s6, s5, 0x400
	s_waitcnt vmcnt(0)
	ds_store_2addr_b64 v1, v[84:85], v[86:87] offset0:82 offset1:83
	scratch_load_b128 v[84:87], off, s6
	s_add_i32 s6, s5, 0x410
	s_waitcnt vmcnt(0)
	ds_store_2addr_b64 v1, v[84:85], v[86:87] offset0:84 offset1:85
	;; [unrolled: 4-line block ×4, first 2 shown]
	scratch_load_b128 v[84:87], off, s6
	s_add_i32 s6, s5, 0x440
	s_addk_i32 s5, 0x450
	s_waitcnt vmcnt(0)
	ds_store_2addr_b64 v1, v[84:85], v[86:87] offset0:90 offset1:91
	scratch_load_b128 v[84:87], off, s6
	s_waitcnt vmcnt(0)
	ds_store_2addr_b64 v1, v[84:85], v[86:87] offset0:92 offset1:93
	scratch_load_b128 v[84:87], off, s5
	s_waitcnt vmcnt(0)
	ds_store_2addr_b64 v1, v[84:85], v[86:87] offset0:94 offset1:95
	s_cbranch_execz .LBB125_278
.LBB125_276:                            ; =>This Inner Loop Header: Depth=1
	v_readfirstlane_b32 s5, v0
	v_add_nc_u32_e32 v1, s3, v92
	s_delay_alu instid0(VALU_DEP_2) | instskip(NEXT) | instid1(SALU_CYCLE_1)
	s_add_i32 s5, s5, s3
	s_add_i32 s6, s5, 0x3e0
	s_cmp_eq_u32 s3, 0
	scratch_load_b128 v[84:87], off, s6
	s_waitcnt vmcnt(0)
	ds_store_2addr_b64 v1, v[84:85], v[86:87] offset0:80 offset1:81
	s_cbranch_scc0 .LBB125_275
; %bb.277:
                                        ; implicit-def: $sgpr3
.LBB125_278:
	ds_load_2addr_b64 v[84:87], v254 offset1:1
	s_waitcnt lgkmcnt(0)
	v_cmp_neq_f64_e32 vcc_lo, 0, v[84:85]
	v_cmp_neq_f64_e64 s3, 0, v[86:87]
	s_delay_alu instid0(VALU_DEP_1) | instskip(NEXT) | instid1(SALU_CYCLE_1)
	s_or_b32 s3, vcc_lo, s3
	s_and_b32 exec_lo, exec_lo, s3
	s_cbranch_execz .LBB125_284
; %bb.279:
	v_cmp_gt_f64_e32 vcc_lo, 0, v[84:85]
	v_xor_b32_e32 v0, 0x80000000, v85
	v_xor_b32_e32 v4, 0x80000000, v87
	s_delay_alu instid0(VALU_DEP_2) | instskip(SKIP_2) | instid1(VALU_DEP_4)
	v_cndmask_b32_e32 v1, v85, v0, vcc_lo
	v_cndmask_b32_e32 v0, v84, v84, vcc_lo
	v_cmp_gt_f64_e32 vcc_lo, 0, v[86:87]
	v_dual_cndmask_b32 v5, v87, v4 :: v_dual_cndmask_b32 v4, v86, v86
	s_delay_alu instid0(VALU_DEP_1) | instskip(SKIP_1) | instid1(SALU_CYCLE_1)
	v_cmp_ngt_f64_e32 vcc_lo, v[0:1], v[4:5]
                                        ; implicit-def: $vgpr0_vgpr1
	s_and_saveexec_b32 s3, vcc_lo
	s_xor_b32 s3, exec_lo, s3
                                        ; implicit-def: $vgpr88_vgpr89_vgpr90_vgpr91
	s_cbranch_execz .LBB125_281
; %bb.280:
	v_div_scale_f64 v[0:1], null, v[86:87], v[86:87], v[84:85]
	v_div_scale_f64 v[88:89], vcc_lo, v[84:85], v[86:87], v[84:85]
	s_delay_alu instid0(VALU_DEP_2) | instskip(SKIP_2) | instid1(VALU_DEP_1)
	v_rcp_f64_e32 v[4:5], v[0:1]
	s_waitcnt_depctr 0xfff
	v_fma_f64 v[6:7], -v[0:1], v[4:5], 1.0
	v_fma_f64 v[4:5], v[4:5], v[6:7], v[4:5]
	s_delay_alu instid0(VALU_DEP_1) | instskip(NEXT) | instid1(VALU_DEP_1)
	v_fma_f64 v[6:7], -v[0:1], v[4:5], 1.0
	v_fma_f64 v[4:5], v[4:5], v[6:7], v[4:5]
	s_delay_alu instid0(VALU_DEP_1) | instskip(NEXT) | instid1(VALU_DEP_1)
	v_mul_f64 v[6:7], v[88:89], v[4:5]
	v_fma_f64 v[0:1], -v[0:1], v[6:7], v[88:89]
	s_delay_alu instid0(VALU_DEP_1) | instskip(NEXT) | instid1(VALU_DEP_1)
	v_div_fmas_f64 v[0:1], v[0:1], v[4:5], v[6:7]
	v_div_fixup_f64 v[0:1], v[0:1], v[86:87], v[84:85]
	s_delay_alu instid0(VALU_DEP_1) | instskip(NEXT) | instid1(VALU_DEP_1)
	v_fma_f64 v[4:5], v[84:85], v[0:1], v[86:87]
	v_div_scale_f64 v[6:7], null, v[4:5], v[4:5], 1.0
	s_delay_alu instid0(VALU_DEP_1) | instskip(SKIP_2) | instid1(VALU_DEP_1)
	v_rcp_f64_e32 v[84:85], v[6:7]
	s_waitcnt_depctr 0xfff
	v_fma_f64 v[86:87], -v[6:7], v[84:85], 1.0
	v_fma_f64 v[84:85], v[84:85], v[86:87], v[84:85]
	s_delay_alu instid0(VALU_DEP_1) | instskip(NEXT) | instid1(VALU_DEP_1)
	v_fma_f64 v[86:87], -v[6:7], v[84:85], 1.0
	v_fma_f64 v[84:85], v[84:85], v[86:87], v[84:85]
	v_div_scale_f64 v[86:87], vcc_lo, 1.0, v[4:5], 1.0
	s_delay_alu instid0(VALU_DEP_1) | instskip(NEXT) | instid1(VALU_DEP_1)
	v_mul_f64 v[88:89], v[86:87], v[84:85]
	v_fma_f64 v[6:7], -v[6:7], v[88:89], v[86:87]
	s_delay_alu instid0(VALU_DEP_1) | instskip(NEXT) | instid1(VALU_DEP_1)
	v_div_fmas_f64 v[6:7], v[6:7], v[84:85], v[88:89]
                                        ; implicit-def: $vgpr84_vgpr85
	v_div_fixup_f64 v[90:91], v[6:7], v[4:5], 1.0
	s_delay_alu instid0(VALU_DEP_1)
	v_mul_f64 v[0:1], v[0:1], v[90:91]
	v_xor_b32_e32 v91, 0x80000000, v91
.LBB125_281:
	s_and_not1_saveexec_b32 s3, s3
	s_cbranch_execz .LBB125_283
; %bb.282:
	v_div_scale_f64 v[0:1], null, v[84:85], v[84:85], v[86:87]
	v_div_scale_f64 v[88:89], vcc_lo, v[86:87], v[84:85], v[86:87]
	s_delay_alu instid0(VALU_DEP_2) | instskip(SKIP_2) | instid1(VALU_DEP_1)
	v_rcp_f64_e32 v[4:5], v[0:1]
	s_waitcnt_depctr 0xfff
	v_fma_f64 v[6:7], -v[0:1], v[4:5], 1.0
	v_fma_f64 v[4:5], v[4:5], v[6:7], v[4:5]
	s_delay_alu instid0(VALU_DEP_1) | instskip(NEXT) | instid1(VALU_DEP_1)
	v_fma_f64 v[6:7], -v[0:1], v[4:5], 1.0
	v_fma_f64 v[4:5], v[4:5], v[6:7], v[4:5]
	s_delay_alu instid0(VALU_DEP_1) | instskip(NEXT) | instid1(VALU_DEP_1)
	v_mul_f64 v[6:7], v[88:89], v[4:5]
	v_fma_f64 v[0:1], -v[0:1], v[6:7], v[88:89]
	s_delay_alu instid0(VALU_DEP_1) | instskip(NEXT) | instid1(VALU_DEP_1)
	v_div_fmas_f64 v[0:1], v[0:1], v[4:5], v[6:7]
	v_div_fixup_f64 v[4:5], v[0:1], v[84:85], v[86:87]
	s_delay_alu instid0(VALU_DEP_1) | instskip(NEXT) | instid1(VALU_DEP_1)
	v_fma_f64 v[0:1], v[86:87], v[4:5], v[84:85]
	v_div_scale_f64 v[6:7], null, v[0:1], v[0:1], 1.0
	s_delay_alu instid0(VALU_DEP_1) | instskip(SKIP_2) | instid1(VALU_DEP_1)
	v_rcp_f64_e32 v[84:85], v[6:7]
	s_waitcnt_depctr 0xfff
	v_fma_f64 v[86:87], -v[6:7], v[84:85], 1.0
	v_fma_f64 v[84:85], v[84:85], v[86:87], v[84:85]
	s_delay_alu instid0(VALU_DEP_1) | instskip(NEXT) | instid1(VALU_DEP_1)
	v_fma_f64 v[86:87], -v[6:7], v[84:85], 1.0
	v_fma_f64 v[84:85], v[84:85], v[86:87], v[84:85]
	v_div_scale_f64 v[86:87], vcc_lo, 1.0, v[0:1], 1.0
	s_delay_alu instid0(VALU_DEP_1) | instskip(NEXT) | instid1(VALU_DEP_1)
	v_mul_f64 v[88:89], v[86:87], v[84:85]
	v_fma_f64 v[6:7], -v[6:7], v[88:89], v[86:87]
	s_delay_alu instid0(VALU_DEP_1) | instskip(NEXT) | instid1(VALU_DEP_1)
	v_div_fmas_f64 v[6:7], v[6:7], v[84:85], v[88:89]
	v_div_fixup_f64 v[0:1], v[6:7], v[0:1], 1.0
	s_delay_alu instid0(VALU_DEP_1)
	v_mul_f64 v[90:91], v[4:5], -v[0:1]
.LBB125_283:
	s_or_b32 exec_lo, exec_lo, s3
	ds_store_2addr_b64 v254, v[0:1], v[90:91] offset1:1
.LBB125_284:
	s_or_b32 exec_lo, exec_lo, s4
	s_waitcnt lgkmcnt(0)
	s_barrier
	buffer_gl0_inv
	ds_load_2addr_b64 v[84:87], v254 offset1:1
	s_mov_b32 s3, exec_lo
	v_cmpx_lt_u32_e32 21, v253
	s_cbranch_execz .LBB125_289
; %bb.285:
	scratch_load_b128 v[93:96], off, off offset:336
	s_mov_b32 s4, 0
	s_waitcnt vmcnt(0) lgkmcnt(0)
	v_mul_f64 v[0:1], v[86:87], v[95:96]
	s_delay_alu instid0(VALU_DEP_1) | instskip(SKIP_1) | instid1(VALU_DEP_1)
	v_fma_f64 v[88:89], v[84:85], v[93:94], -v[0:1]
	v_mul_f64 v[0:1], v[84:85], v[95:96]
	v_fma_f64 v[90:91], v[86:87], v[93:94], v[0:1]
	v_mov_b32_e32 v0, 0
	scratch_store_b128 off, v[88:91], off offset:336
	s_branch .LBB125_287
.LBB125_286:                            ;   in Loop: Header=BB125_287 Depth=1
	s_and_not1_b32 vcc_lo, exec_lo, s6
	s_cbranch_vccz .LBB125_289
.LBB125_287:                            ; =>This Inner Loop Header: Depth=1
	v_add_nc_u32_e32 v1, s4, v92
	v_readfirstlane_b32 s5, v0
	ds_load_2addr_b64 v[93:96], v1 offset1:1
	s_add_i32 s5, s5, s4
	s_delay_alu instid0(SALU_CYCLE_1) | instskip(SKIP_4) | instid1(VALU_DEP_2)
	s_add_i32 s6, s5, 0x160
	s_cmpk_eq_i32 s4, 0x280
	s_waitcnt lgkmcnt(0)
	v_mul_f64 v[4:5], v[95:96], v[90:91]
	v_mul_f64 v[6:7], v[93:94], v[90:91]
	v_fma_f64 v[4:5], v[93:94], v[88:89], -v[4:5]
	s_delay_alu instid0(VALU_DEP_2)
	v_fma_f64 v[6:7], v[95:96], v[88:89], v[6:7]
	scratch_load_b128 v[93:96], off, s6
	s_waitcnt vmcnt(0)
	v_add_f64 v[93:94], v[93:94], -v[4:5]
	v_add_f64 v[95:96], v[95:96], -v[6:7]
	scratch_store_b128 off, v[93:96], s6
	s_mov_b32 s6, -1
	s_cbranch_scc1 .LBB125_286
; %bb.288:                              ;   in Loop: Header=BB125_287 Depth=1
	ds_load_2addr_b64 v[93:96], v1 offset0:2 offset1:3
	s_add_i32 s6, s5, 0x170
	s_add_i32 s4, s4, 64
	s_waitcnt lgkmcnt(0)
	v_mul_f64 v[4:5], v[95:96], v[90:91]
	v_mul_f64 v[6:7], v[93:94], v[90:91]
	s_delay_alu instid0(VALU_DEP_2) | instskip(NEXT) | instid1(VALU_DEP_2)
	v_fma_f64 v[4:5], v[93:94], v[88:89], -v[4:5]
	v_fma_f64 v[6:7], v[95:96], v[88:89], v[6:7]
	scratch_load_b128 v[93:96], off, s6
	s_waitcnt vmcnt(0)
	v_add_f64 v[93:94], v[93:94], -v[4:5]
	v_add_f64 v[95:96], v[95:96], -v[6:7]
	scratch_store_b128 off, v[93:96], s6
	ds_load_2addr_b64 v[93:96], v1 offset0:4 offset1:5
	s_add_i32 s6, s5, 0x180
	s_addk_i32 s5, 0x190
	s_waitcnt lgkmcnt(0)
	v_mul_f64 v[4:5], v[95:96], v[90:91]
	v_mul_f64 v[6:7], v[93:94], v[90:91]
	s_delay_alu instid0(VALU_DEP_2) | instskip(NEXT) | instid1(VALU_DEP_2)
	v_fma_f64 v[4:5], v[93:94], v[88:89], -v[4:5]
	v_fma_f64 v[6:7], v[95:96], v[88:89], v[6:7]
	scratch_load_b128 v[93:96], off, s6
	s_waitcnt vmcnt(0)
	v_add_f64 v[93:94], v[93:94], -v[4:5]
	v_add_f64 v[95:96], v[95:96], -v[6:7]
	scratch_store_b128 off, v[93:96], s6
	ds_load_2addr_b64 v[93:96], v1 offset0:6 offset1:7
	s_mov_b32 s6, 0
	s_waitcnt lgkmcnt(0)
	v_mul_f64 v[4:5], v[95:96], v[90:91]
	v_mul_f64 v[6:7], v[93:94], v[90:91]
	s_delay_alu instid0(VALU_DEP_2) | instskip(NEXT) | instid1(VALU_DEP_2)
	v_fma_f64 v[4:5], v[93:94], v[88:89], -v[4:5]
	v_fma_f64 v[6:7], v[95:96], v[88:89], v[6:7]
	scratch_load_b128 v[93:96], off, s5
	s_waitcnt vmcnt(0)
	v_add_f64 v[93:94], v[93:94], -v[4:5]
	v_add_f64 v[95:96], v[95:96], -v[6:7]
	scratch_store_b128 off, v[93:96], s5
	s_branch .LBB125_286
.LBB125_289:
	s_or_b32 exec_lo, exec_lo, s3
	v_add3_u32 v96, v184, 0, 0x170
	s_mov_b32 s4, exec_lo
	s_waitcnt lgkmcnt(0)
	s_waitcnt_vscnt null, 0x0
	s_barrier
	buffer_gl0_inv
	v_cmpx_eq_u32_e32 22, v253
	s_cbranch_execz .LBB125_298
; %bb.290:
	scratch_load_b32 v0, off, off offset:1168 ; 4-byte Folded Reload
	s_movk_i32 s3, 0xfd80
	s_waitcnt vmcnt(0)
	scratch_load_b128 v[88:91], v0, off
	v_mov_b32_e32 v0, 0
	s_waitcnt vmcnt(0)
	ds_store_2addr_b64 v254, v[88:89], v[90:91] offset1:1
.LBB125_291:                            ; =>This Inner Loop Header: Depth=1
	v_readfirstlane_b32 s5, v0
	v_add_nc_u32_e32 v1, s3, v96
	s_delay_alu instid0(VALU_DEP_2)
	s_add_i32 s5, s5, s3
	s_addk_i32 s3, 0xa0
	s_add_i32 s6, s5, 0x3f0
	scratch_load_b128 v[88:91], off, s6
	s_add_i32 s6, s5, 0x400
	s_waitcnt vmcnt(0)
	ds_store_2addr_b64 v1, v[88:89], v[90:91] offset0:80 offset1:81
	scratch_load_b128 v[88:91], off, s6
	s_add_i32 s6, s5, 0x410
	s_waitcnt vmcnt(0)
	ds_store_2addr_b64 v1, v[88:89], v[90:91] offset0:82 offset1:83
	;; [unrolled: 4-line block ×7, first 2 shown]
	scratch_load_b128 v[88:91], off, s6
	s_add_i32 s6, s5, 0x470
	s_addk_i32 s5, 0x480
	s_cmp_lg_u32 s3, 0
	s_waitcnt vmcnt(0)
	ds_store_2addr_b64 v1, v[88:89], v[90:91] offset0:94 offset1:95
	scratch_load_b128 v[88:91], off, s6
	s_waitcnt vmcnt(0)
	ds_store_2addr_b64 v1, v[88:89], v[90:91] offset0:96 offset1:97
	scratch_load_b128 v[88:91], off, s5
	s_waitcnt vmcnt(0)
	ds_store_2addr_b64 v1, v[88:89], v[90:91] offset0:98 offset1:99
	s_cbranch_scc1 .LBB125_291
; %bb.292:
	ds_load_2addr_b64 v[88:91], v254 offset1:1
	s_waitcnt lgkmcnt(0)
	v_cmp_neq_f64_e32 vcc_lo, 0, v[88:89]
	v_cmp_neq_f64_e64 s3, 0, v[90:91]
	s_delay_alu instid0(VALU_DEP_1) | instskip(NEXT) | instid1(SALU_CYCLE_1)
	s_or_b32 s3, vcc_lo, s3
	s_and_b32 exec_lo, exec_lo, s3
	s_cbranch_execz .LBB125_298
; %bb.293:
	v_cmp_gt_f64_e32 vcc_lo, 0, v[88:89]
	v_xor_b32_e32 v0, 0x80000000, v89
	v_xor_b32_e32 v4, 0x80000000, v91
	s_delay_alu instid0(VALU_DEP_2) | instskip(SKIP_2) | instid1(VALU_DEP_4)
	v_cndmask_b32_e32 v1, v89, v0, vcc_lo
	v_cndmask_b32_e32 v0, v88, v88, vcc_lo
	v_cmp_gt_f64_e32 vcc_lo, 0, v[90:91]
	v_dual_cndmask_b32 v5, v91, v4 :: v_dual_cndmask_b32 v4, v90, v90
	s_delay_alu instid0(VALU_DEP_1) | instskip(SKIP_1) | instid1(SALU_CYCLE_1)
	v_cmp_ngt_f64_e32 vcc_lo, v[0:1], v[4:5]
                                        ; implicit-def: $vgpr0_vgpr1
	s_and_saveexec_b32 s3, vcc_lo
	s_xor_b32 s3, exec_lo, s3
                                        ; implicit-def: $vgpr92_vgpr93_vgpr94_vgpr95
	s_cbranch_execz .LBB125_295
; %bb.294:
	v_div_scale_f64 v[0:1], null, v[90:91], v[90:91], v[88:89]
	v_div_scale_f64 v[92:93], vcc_lo, v[88:89], v[90:91], v[88:89]
	s_delay_alu instid0(VALU_DEP_2) | instskip(SKIP_2) | instid1(VALU_DEP_1)
	v_rcp_f64_e32 v[4:5], v[0:1]
	s_waitcnt_depctr 0xfff
	v_fma_f64 v[6:7], -v[0:1], v[4:5], 1.0
	v_fma_f64 v[4:5], v[4:5], v[6:7], v[4:5]
	s_delay_alu instid0(VALU_DEP_1) | instskip(NEXT) | instid1(VALU_DEP_1)
	v_fma_f64 v[6:7], -v[0:1], v[4:5], 1.0
	v_fma_f64 v[4:5], v[4:5], v[6:7], v[4:5]
	s_delay_alu instid0(VALU_DEP_1) | instskip(NEXT) | instid1(VALU_DEP_1)
	v_mul_f64 v[6:7], v[92:93], v[4:5]
	v_fma_f64 v[0:1], -v[0:1], v[6:7], v[92:93]
	s_delay_alu instid0(VALU_DEP_1) | instskip(NEXT) | instid1(VALU_DEP_1)
	v_div_fmas_f64 v[0:1], v[0:1], v[4:5], v[6:7]
	v_div_fixup_f64 v[0:1], v[0:1], v[90:91], v[88:89]
	s_delay_alu instid0(VALU_DEP_1) | instskip(NEXT) | instid1(VALU_DEP_1)
	v_fma_f64 v[4:5], v[88:89], v[0:1], v[90:91]
	v_div_scale_f64 v[6:7], null, v[4:5], v[4:5], 1.0
	s_delay_alu instid0(VALU_DEP_1) | instskip(SKIP_2) | instid1(VALU_DEP_1)
	v_rcp_f64_e32 v[88:89], v[6:7]
	s_waitcnt_depctr 0xfff
	v_fma_f64 v[90:91], -v[6:7], v[88:89], 1.0
	v_fma_f64 v[88:89], v[88:89], v[90:91], v[88:89]
	s_delay_alu instid0(VALU_DEP_1) | instskip(NEXT) | instid1(VALU_DEP_1)
	v_fma_f64 v[90:91], -v[6:7], v[88:89], 1.0
	v_fma_f64 v[88:89], v[88:89], v[90:91], v[88:89]
	v_div_scale_f64 v[90:91], vcc_lo, 1.0, v[4:5], 1.0
	s_delay_alu instid0(VALU_DEP_1) | instskip(NEXT) | instid1(VALU_DEP_1)
	v_mul_f64 v[92:93], v[90:91], v[88:89]
	v_fma_f64 v[6:7], -v[6:7], v[92:93], v[90:91]
	s_delay_alu instid0(VALU_DEP_1) | instskip(NEXT) | instid1(VALU_DEP_1)
	v_div_fmas_f64 v[6:7], v[6:7], v[88:89], v[92:93]
                                        ; implicit-def: $vgpr88_vgpr89
	v_div_fixup_f64 v[94:95], v[6:7], v[4:5], 1.0
	s_delay_alu instid0(VALU_DEP_1)
	v_mul_f64 v[0:1], v[0:1], v[94:95]
	v_xor_b32_e32 v95, 0x80000000, v95
.LBB125_295:
	s_and_not1_saveexec_b32 s3, s3
	s_cbranch_execz .LBB125_297
; %bb.296:
	v_div_scale_f64 v[0:1], null, v[88:89], v[88:89], v[90:91]
	v_div_scale_f64 v[92:93], vcc_lo, v[90:91], v[88:89], v[90:91]
	s_delay_alu instid0(VALU_DEP_2) | instskip(SKIP_2) | instid1(VALU_DEP_1)
	v_rcp_f64_e32 v[4:5], v[0:1]
	s_waitcnt_depctr 0xfff
	v_fma_f64 v[6:7], -v[0:1], v[4:5], 1.0
	v_fma_f64 v[4:5], v[4:5], v[6:7], v[4:5]
	s_delay_alu instid0(VALU_DEP_1) | instskip(NEXT) | instid1(VALU_DEP_1)
	v_fma_f64 v[6:7], -v[0:1], v[4:5], 1.0
	v_fma_f64 v[4:5], v[4:5], v[6:7], v[4:5]
	s_delay_alu instid0(VALU_DEP_1) | instskip(NEXT) | instid1(VALU_DEP_1)
	v_mul_f64 v[6:7], v[92:93], v[4:5]
	v_fma_f64 v[0:1], -v[0:1], v[6:7], v[92:93]
	s_delay_alu instid0(VALU_DEP_1) | instskip(NEXT) | instid1(VALU_DEP_1)
	v_div_fmas_f64 v[0:1], v[0:1], v[4:5], v[6:7]
	v_div_fixup_f64 v[4:5], v[0:1], v[88:89], v[90:91]
	s_delay_alu instid0(VALU_DEP_1) | instskip(NEXT) | instid1(VALU_DEP_1)
	v_fma_f64 v[0:1], v[90:91], v[4:5], v[88:89]
	v_div_scale_f64 v[6:7], null, v[0:1], v[0:1], 1.0
	s_delay_alu instid0(VALU_DEP_1) | instskip(SKIP_2) | instid1(VALU_DEP_1)
	v_rcp_f64_e32 v[88:89], v[6:7]
	s_waitcnt_depctr 0xfff
	v_fma_f64 v[90:91], -v[6:7], v[88:89], 1.0
	v_fma_f64 v[88:89], v[88:89], v[90:91], v[88:89]
	s_delay_alu instid0(VALU_DEP_1) | instskip(NEXT) | instid1(VALU_DEP_1)
	v_fma_f64 v[90:91], -v[6:7], v[88:89], 1.0
	v_fma_f64 v[88:89], v[88:89], v[90:91], v[88:89]
	v_div_scale_f64 v[90:91], vcc_lo, 1.0, v[0:1], 1.0
	s_delay_alu instid0(VALU_DEP_1) | instskip(NEXT) | instid1(VALU_DEP_1)
	v_mul_f64 v[92:93], v[90:91], v[88:89]
	v_fma_f64 v[6:7], -v[6:7], v[92:93], v[90:91]
	s_delay_alu instid0(VALU_DEP_1) | instskip(NEXT) | instid1(VALU_DEP_1)
	v_div_fmas_f64 v[6:7], v[6:7], v[88:89], v[92:93]
	v_div_fixup_f64 v[0:1], v[6:7], v[0:1], 1.0
	s_delay_alu instid0(VALU_DEP_1)
	v_mul_f64 v[94:95], v[4:5], -v[0:1]
.LBB125_297:
	s_or_b32 exec_lo, exec_lo, s3
	ds_store_2addr_b64 v254, v[0:1], v[94:95] offset1:1
.LBB125_298:
	s_or_b32 exec_lo, exec_lo, s4
	s_waitcnt lgkmcnt(0)
	s_barrier
	buffer_gl0_inv
	ds_load_2addr_b64 v[88:91], v254 offset1:1
	s_mov_b32 s3, exec_lo
	v_cmpx_lt_u32_e32 22, v253
	s_cbranch_execz .LBB125_301
; %bb.299:
	scratch_load_b128 v[97:100], off, off offset:352
	s_mov_b32 s4, 0
	s_waitcnt vmcnt(0) lgkmcnt(0)
	v_mul_f64 v[0:1], v[90:91], v[99:100]
	s_delay_alu instid0(VALU_DEP_1) | instskip(SKIP_1) | instid1(VALU_DEP_1)
	v_fma_f64 v[92:93], v[88:89], v[97:98], -v[0:1]
	v_mul_f64 v[0:1], v[88:89], v[99:100]
	v_fma_f64 v[94:95], v[90:91], v[97:98], v[0:1]
	v_mov_b32_e32 v0, 0
	scratch_store_b128 off, v[92:95], off offset:352
.LBB125_300:                            ; =>This Inner Loop Header: Depth=1
	v_add_nc_u32_e32 v1, s4, v96
	v_readfirstlane_b32 s5, v0
	ds_load_2addr_b64 v[97:100], v1 offset1:1
	s_add_i32 s5, s5, s4
	s_addk_i32 s4, 0x50
	s_add_i32 s6, s5, 0x170
	s_waitcnt lgkmcnt(0)
	v_mul_f64 v[4:5], v[99:100], v[94:95]
	v_mul_f64 v[6:7], v[97:98], v[94:95]
	s_delay_alu instid0(VALU_DEP_2) | instskip(NEXT) | instid1(VALU_DEP_2)
	v_fma_f64 v[4:5], v[97:98], v[92:93], -v[4:5]
	v_fma_f64 v[6:7], v[99:100], v[92:93], v[6:7]
	scratch_load_b128 v[97:100], off, s6
	s_waitcnt vmcnt(0)
	v_add_f64 v[97:98], v[97:98], -v[4:5]
	v_add_f64 v[99:100], v[99:100], -v[6:7]
	scratch_store_b128 off, v[97:100], s6
	ds_load_2addr_b64 v[97:100], v1 offset0:2 offset1:3
	s_add_i32 s6, s5, 0x180
	s_waitcnt lgkmcnt(0)
	v_mul_f64 v[4:5], v[99:100], v[94:95]
	v_mul_f64 v[6:7], v[97:98], v[94:95]
	s_delay_alu instid0(VALU_DEP_2) | instskip(NEXT) | instid1(VALU_DEP_2)
	v_fma_f64 v[4:5], v[97:98], v[92:93], -v[4:5]
	v_fma_f64 v[6:7], v[99:100], v[92:93], v[6:7]
	scratch_load_b128 v[97:100], off, s6
	s_waitcnt vmcnt(0)
	v_add_f64 v[97:98], v[97:98], -v[4:5]
	v_add_f64 v[99:100], v[99:100], -v[6:7]
	scratch_store_b128 off, v[97:100], s6
	ds_load_2addr_b64 v[97:100], v1 offset0:4 offset1:5
	;; [unrolled: 13-line block ×3, first 2 shown]
	s_add_i32 s6, s5, 0x1a0
	s_addk_i32 s5, 0x1b0
	s_cmpk_lg_i32 s4, 0x280
	s_waitcnt lgkmcnt(0)
	v_mul_f64 v[4:5], v[99:100], v[94:95]
	v_mul_f64 v[6:7], v[97:98], v[94:95]
	s_delay_alu instid0(VALU_DEP_2) | instskip(NEXT) | instid1(VALU_DEP_2)
	v_fma_f64 v[4:5], v[97:98], v[92:93], -v[4:5]
	v_fma_f64 v[6:7], v[99:100], v[92:93], v[6:7]
	scratch_load_b128 v[97:100], off, s6
	s_waitcnt vmcnt(0)
	v_add_f64 v[97:98], v[97:98], -v[4:5]
	v_add_f64 v[99:100], v[99:100], -v[6:7]
	scratch_store_b128 off, v[97:100], s6
	ds_load_2addr_b64 v[97:100], v1 offset0:8 offset1:9
	s_waitcnt lgkmcnt(0)
	v_mul_f64 v[4:5], v[99:100], v[94:95]
	v_mul_f64 v[6:7], v[97:98], v[94:95]
	s_delay_alu instid0(VALU_DEP_2) | instskip(NEXT) | instid1(VALU_DEP_2)
	v_fma_f64 v[4:5], v[97:98], v[92:93], -v[4:5]
	v_fma_f64 v[6:7], v[99:100], v[92:93], v[6:7]
	scratch_load_b128 v[97:100], off, s5
	s_waitcnt vmcnt(0)
	v_add_f64 v[97:98], v[97:98], -v[4:5]
	v_add_f64 v[99:100], v[99:100], -v[6:7]
	scratch_store_b128 off, v[97:100], s5
	s_cbranch_scc1 .LBB125_300
.LBB125_301:
	s_or_b32 exec_lo, exec_lo, s3
	v_add3_u32 v100, v184, 0, 0x180
	s_mov_b32 s4, exec_lo
	s_waitcnt lgkmcnt(0)
	s_waitcnt_vscnt null, 0x0
	s_barrier
	buffer_gl0_inv
	v_cmpx_eq_u32_e32 23, v253
	s_cbranch_execz .LBB125_310
; %bb.302:
	scratch_load_b32 v0, off, off offset:1164 ; 4-byte Folded Reload
	s_movk_i32 s3, 0xfd90
	s_waitcnt vmcnt(0)
	scratch_load_b128 v[92:95], v0, off
	v_mov_b32_e32 v0, 0
	s_waitcnt vmcnt(0)
	ds_store_2addr_b64 v254, v[92:93], v[94:95] offset1:1
.LBB125_303:                            ; =>This Inner Loop Header: Depth=1
	v_readfirstlane_b32 s5, v0
	v_add_nc_u32_e32 v1, s3, v100
	s_delay_alu instid0(VALU_DEP_2)
	s_add_i32 s5, s5, s3
	s_addk_i32 s3, 0xd0
	s_add_i32 s6, s5, 0x3f0
	scratch_load_b128 v[92:95], off, s6
	s_add_i32 s6, s5, 0x400
	s_waitcnt vmcnt(0)
	ds_store_2addr_b64 v1, v[92:93], v[94:95] offset0:78 offset1:79
	scratch_load_b128 v[92:95], off, s6
	s_add_i32 s6, s5, 0x410
	s_waitcnt vmcnt(0)
	ds_store_2addr_b64 v1, v[92:93], v[94:95] offset0:80 offset1:81
	;; [unrolled: 4-line block ×10, first 2 shown]
	scratch_load_b128 v[92:95], off, s6
	s_add_i32 s6, s5, 0x4a0
	s_addk_i32 s5, 0x4b0
	s_cmp_lg_u32 s3, 0
	s_waitcnt vmcnt(0)
	ds_store_2addr_b64 v1, v[92:93], v[94:95] offset0:98 offset1:99
	scratch_load_b128 v[92:95], off, s6
	s_waitcnt vmcnt(0)
	ds_store_2addr_b64 v1, v[92:93], v[94:95] offset0:100 offset1:101
	scratch_load_b128 v[92:95], off, s5
	s_waitcnt vmcnt(0)
	ds_store_2addr_b64 v1, v[92:93], v[94:95] offset0:102 offset1:103
	s_cbranch_scc1 .LBB125_303
; %bb.304:
	ds_load_2addr_b64 v[92:95], v254 offset1:1
	s_waitcnt lgkmcnt(0)
	v_cmp_neq_f64_e32 vcc_lo, 0, v[92:93]
	v_cmp_neq_f64_e64 s3, 0, v[94:95]
	s_delay_alu instid0(VALU_DEP_1) | instskip(NEXT) | instid1(SALU_CYCLE_1)
	s_or_b32 s3, vcc_lo, s3
	s_and_b32 exec_lo, exec_lo, s3
	s_cbranch_execz .LBB125_310
; %bb.305:
	v_cmp_gt_f64_e32 vcc_lo, 0, v[92:93]
	v_xor_b32_e32 v0, 0x80000000, v93
	v_xor_b32_e32 v4, 0x80000000, v95
	s_delay_alu instid0(VALU_DEP_2) | instskip(SKIP_2) | instid1(VALU_DEP_4)
	v_cndmask_b32_e32 v1, v93, v0, vcc_lo
	v_cndmask_b32_e32 v0, v92, v92, vcc_lo
	v_cmp_gt_f64_e32 vcc_lo, 0, v[94:95]
	v_dual_cndmask_b32 v5, v95, v4 :: v_dual_cndmask_b32 v4, v94, v94
	s_delay_alu instid0(VALU_DEP_1) | instskip(SKIP_1) | instid1(SALU_CYCLE_1)
	v_cmp_ngt_f64_e32 vcc_lo, v[0:1], v[4:5]
                                        ; implicit-def: $vgpr0_vgpr1
	s_and_saveexec_b32 s3, vcc_lo
	s_xor_b32 s3, exec_lo, s3
                                        ; implicit-def: $vgpr96_vgpr97_vgpr98_vgpr99
	s_cbranch_execz .LBB125_307
; %bb.306:
	v_div_scale_f64 v[0:1], null, v[94:95], v[94:95], v[92:93]
	v_div_scale_f64 v[96:97], vcc_lo, v[92:93], v[94:95], v[92:93]
	s_delay_alu instid0(VALU_DEP_2) | instskip(SKIP_2) | instid1(VALU_DEP_1)
	v_rcp_f64_e32 v[4:5], v[0:1]
	s_waitcnt_depctr 0xfff
	v_fma_f64 v[6:7], -v[0:1], v[4:5], 1.0
	v_fma_f64 v[4:5], v[4:5], v[6:7], v[4:5]
	s_delay_alu instid0(VALU_DEP_1) | instskip(NEXT) | instid1(VALU_DEP_1)
	v_fma_f64 v[6:7], -v[0:1], v[4:5], 1.0
	v_fma_f64 v[4:5], v[4:5], v[6:7], v[4:5]
	s_delay_alu instid0(VALU_DEP_1) | instskip(NEXT) | instid1(VALU_DEP_1)
	v_mul_f64 v[6:7], v[96:97], v[4:5]
	v_fma_f64 v[0:1], -v[0:1], v[6:7], v[96:97]
	s_delay_alu instid0(VALU_DEP_1) | instskip(NEXT) | instid1(VALU_DEP_1)
	v_div_fmas_f64 v[0:1], v[0:1], v[4:5], v[6:7]
	v_div_fixup_f64 v[0:1], v[0:1], v[94:95], v[92:93]
	s_delay_alu instid0(VALU_DEP_1) | instskip(NEXT) | instid1(VALU_DEP_1)
	v_fma_f64 v[4:5], v[92:93], v[0:1], v[94:95]
	v_div_scale_f64 v[6:7], null, v[4:5], v[4:5], 1.0
	s_delay_alu instid0(VALU_DEP_1) | instskip(SKIP_2) | instid1(VALU_DEP_1)
	v_rcp_f64_e32 v[92:93], v[6:7]
	s_waitcnt_depctr 0xfff
	v_fma_f64 v[94:95], -v[6:7], v[92:93], 1.0
	v_fma_f64 v[92:93], v[92:93], v[94:95], v[92:93]
	s_delay_alu instid0(VALU_DEP_1) | instskip(NEXT) | instid1(VALU_DEP_1)
	v_fma_f64 v[94:95], -v[6:7], v[92:93], 1.0
	v_fma_f64 v[92:93], v[92:93], v[94:95], v[92:93]
	v_div_scale_f64 v[94:95], vcc_lo, 1.0, v[4:5], 1.0
	s_delay_alu instid0(VALU_DEP_1) | instskip(NEXT) | instid1(VALU_DEP_1)
	v_mul_f64 v[96:97], v[94:95], v[92:93]
	v_fma_f64 v[6:7], -v[6:7], v[96:97], v[94:95]
	s_delay_alu instid0(VALU_DEP_1) | instskip(NEXT) | instid1(VALU_DEP_1)
	v_div_fmas_f64 v[6:7], v[6:7], v[92:93], v[96:97]
                                        ; implicit-def: $vgpr92_vgpr93
	v_div_fixup_f64 v[98:99], v[6:7], v[4:5], 1.0
	s_delay_alu instid0(VALU_DEP_1)
	v_mul_f64 v[0:1], v[0:1], v[98:99]
	v_xor_b32_e32 v99, 0x80000000, v99
.LBB125_307:
	s_and_not1_saveexec_b32 s3, s3
	s_cbranch_execz .LBB125_309
; %bb.308:
	v_div_scale_f64 v[0:1], null, v[92:93], v[92:93], v[94:95]
	v_div_scale_f64 v[96:97], vcc_lo, v[94:95], v[92:93], v[94:95]
	s_delay_alu instid0(VALU_DEP_2) | instskip(SKIP_2) | instid1(VALU_DEP_1)
	v_rcp_f64_e32 v[4:5], v[0:1]
	s_waitcnt_depctr 0xfff
	v_fma_f64 v[6:7], -v[0:1], v[4:5], 1.0
	v_fma_f64 v[4:5], v[4:5], v[6:7], v[4:5]
	s_delay_alu instid0(VALU_DEP_1) | instskip(NEXT) | instid1(VALU_DEP_1)
	v_fma_f64 v[6:7], -v[0:1], v[4:5], 1.0
	v_fma_f64 v[4:5], v[4:5], v[6:7], v[4:5]
	s_delay_alu instid0(VALU_DEP_1) | instskip(NEXT) | instid1(VALU_DEP_1)
	v_mul_f64 v[6:7], v[96:97], v[4:5]
	v_fma_f64 v[0:1], -v[0:1], v[6:7], v[96:97]
	s_delay_alu instid0(VALU_DEP_1) | instskip(NEXT) | instid1(VALU_DEP_1)
	v_div_fmas_f64 v[0:1], v[0:1], v[4:5], v[6:7]
	v_div_fixup_f64 v[4:5], v[0:1], v[92:93], v[94:95]
	s_delay_alu instid0(VALU_DEP_1) | instskip(NEXT) | instid1(VALU_DEP_1)
	v_fma_f64 v[0:1], v[94:95], v[4:5], v[92:93]
	v_div_scale_f64 v[6:7], null, v[0:1], v[0:1], 1.0
	s_delay_alu instid0(VALU_DEP_1) | instskip(SKIP_2) | instid1(VALU_DEP_1)
	v_rcp_f64_e32 v[92:93], v[6:7]
	s_waitcnt_depctr 0xfff
	v_fma_f64 v[94:95], -v[6:7], v[92:93], 1.0
	v_fma_f64 v[92:93], v[92:93], v[94:95], v[92:93]
	s_delay_alu instid0(VALU_DEP_1) | instskip(NEXT) | instid1(VALU_DEP_1)
	v_fma_f64 v[94:95], -v[6:7], v[92:93], 1.0
	v_fma_f64 v[92:93], v[92:93], v[94:95], v[92:93]
	v_div_scale_f64 v[94:95], vcc_lo, 1.0, v[0:1], 1.0
	s_delay_alu instid0(VALU_DEP_1) | instskip(NEXT) | instid1(VALU_DEP_1)
	v_mul_f64 v[96:97], v[94:95], v[92:93]
	v_fma_f64 v[6:7], -v[6:7], v[96:97], v[94:95]
	s_delay_alu instid0(VALU_DEP_1) | instskip(NEXT) | instid1(VALU_DEP_1)
	v_div_fmas_f64 v[6:7], v[6:7], v[92:93], v[96:97]
	v_div_fixup_f64 v[0:1], v[6:7], v[0:1], 1.0
	s_delay_alu instid0(VALU_DEP_1)
	v_mul_f64 v[98:99], v[4:5], -v[0:1]
.LBB125_309:
	s_or_b32 exec_lo, exec_lo, s3
	ds_store_2addr_b64 v254, v[0:1], v[98:99] offset1:1
.LBB125_310:
	s_or_b32 exec_lo, exec_lo, s4
	s_waitcnt lgkmcnt(0)
	s_barrier
	buffer_gl0_inv
	ds_load_2addr_b64 v[92:95], v254 offset1:1
	s_mov_b32 s3, exec_lo
	v_cmpx_lt_u32_e32 23, v253
	s_cbranch_execz .LBB125_313
; %bb.311:
	scratch_load_b128 v[101:104], off, off offset:368
	s_mov_b32 s4, 0
	s_waitcnt vmcnt(0) lgkmcnt(0)
	v_mul_f64 v[0:1], v[94:95], v[103:104]
	s_delay_alu instid0(VALU_DEP_1) | instskip(SKIP_1) | instid1(VALU_DEP_1)
	v_fma_f64 v[96:97], v[92:93], v[101:102], -v[0:1]
	v_mul_f64 v[0:1], v[92:93], v[103:104]
	v_fma_f64 v[98:99], v[94:95], v[101:102], v[0:1]
	v_mov_b32_e32 v0, 0
	scratch_store_b128 off, v[96:99], off offset:368
.LBB125_312:                            ; =>This Inner Loop Header: Depth=1
	v_add_nc_u32_e32 v1, s4, v100
	v_readfirstlane_b32 s5, v0
	ds_load_2addr_b64 v[101:104], v1 offset1:1
	s_add_i32 s5, s5, s4
	s_add_i32 s4, s4, 48
	s_add_i32 s6, s5, 0x180
	s_waitcnt lgkmcnt(0)
	v_mul_f64 v[4:5], v[103:104], v[98:99]
	v_mul_f64 v[6:7], v[101:102], v[98:99]
	s_delay_alu instid0(VALU_DEP_2) | instskip(NEXT) | instid1(VALU_DEP_2)
	v_fma_f64 v[4:5], v[101:102], v[96:97], -v[4:5]
	v_fma_f64 v[6:7], v[103:104], v[96:97], v[6:7]
	scratch_load_b128 v[101:104], off, s6
	s_waitcnt vmcnt(0)
	v_add_f64 v[101:102], v[101:102], -v[4:5]
	v_add_f64 v[103:104], v[103:104], -v[6:7]
	scratch_store_b128 off, v[101:104], s6
	ds_load_2addr_b64 v[101:104], v1 offset0:2 offset1:3
	s_add_i32 s6, s5, 0x190
	s_addk_i32 s5, 0x1a0
	s_cmpk_lg_i32 s4, 0x270
	s_waitcnt lgkmcnt(0)
	v_mul_f64 v[4:5], v[103:104], v[98:99]
	v_mul_f64 v[6:7], v[101:102], v[98:99]
	s_delay_alu instid0(VALU_DEP_2) | instskip(NEXT) | instid1(VALU_DEP_2)
	v_fma_f64 v[4:5], v[101:102], v[96:97], -v[4:5]
	v_fma_f64 v[6:7], v[103:104], v[96:97], v[6:7]
	scratch_load_b128 v[101:104], off, s6
	s_waitcnt vmcnt(0)
	v_add_f64 v[101:102], v[101:102], -v[4:5]
	v_add_f64 v[103:104], v[103:104], -v[6:7]
	scratch_store_b128 off, v[101:104], s6
	ds_load_2addr_b64 v[101:104], v1 offset0:4 offset1:5
	s_waitcnt lgkmcnt(0)
	v_mul_f64 v[4:5], v[103:104], v[98:99]
	v_mul_f64 v[6:7], v[101:102], v[98:99]
	s_delay_alu instid0(VALU_DEP_2) | instskip(NEXT) | instid1(VALU_DEP_2)
	v_fma_f64 v[4:5], v[101:102], v[96:97], -v[4:5]
	v_fma_f64 v[6:7], v[103:104], v[96:97], v[6:7]
	scratch_load_b128 v[101:104], off, s5
	s_waitcnt vmcnt(0)
	v_add_f64 v[101:102], v[101:102], -v[4:5]
	v_add_f64 v[103:104], v[103:104], -v[6:7]
	scratch_store_b128 off, v[101:104], s5
	s_cbranch_scc1 .LBB125_312
.LBB125_313:
	s_or_b32 exec_lo, exec_lo, s3
	v_add3_u32 v104, v184, 0, 0x190
	s_mov_b32 s4, exec_lo
	s_waitcnt lgkmcnt(0)
	s_waitcnt_vscnt null, 0x0
	s_barrier
	buffer_gl0_inv
	v_cmpx_eq_u32_e32 24, v253
	s_cbranch_execz .LBB125_322
; %bb.314:
	scratch_load_b32 v0, off, off offset:1160 ; 4-byte Folded Reload
	s_mov_b32 s3, 0
	s_waitcnt vmcnt(0)
	scratch_load_b128 v[96:99], v0, off
	s_waitcnt vmcnt(0)
	ds_store_2addr_b64 v254, v[96:97], v[98:99] offset1:1
	.p2align	6
.LBB125_315:                            ; =>This Inner Loop Header: Depth=1
	v_add_nc_u32_e64 v0, s3, 0
	v_add_nc_u32_e32 v4, s3, v104
	s_add_i32 s3, s3, 32
	s_delay_alu instid0(SALU_CYCLE_1) | instskip(NEXT) | instid1(VALU_DEP_2)
	s_cmpk_lg_i32 s3, 0x260
	v_add_nc_u32_e32 v1, 0x190, v0
	v_add_nc_u32_e32 v0, 0x1a0, v0
	scratch_load_b128 v[96:99], v1, off
	s_waitcnt vmcnt(0)
	ds_store_2addr_b64 v4, v[96:97], v[98:99] offset1:1
	scratch_load_b128 v[96:99], v0, off
	s_waitcnt vmcnt(0)
	ds_store_2addr_b64 v4, v[96:97], v[98:99] offset0:2 offset1:3
	s_cbranch_scc1 .LBB125_315
; %bb.316:
	ds_load_2addr_b64 v[96:99], v254 offset1:1
	s_waitcnt lgkmcnt(0)
	v_cmp_neq_f64_e32 vcc_lo, 0, v[96:97]
	v_cmp_neq_f64_e64 s3, 0, v[98:99]
	s_delay_alu instid0(VALU_DEP_1) | instskip(NEXT) | instid1(SALU_CYCLE_1)
	s_or_b32 s3, vcc_lo, s3
	s_and_b32 exec_lo, exec_lo, s3
	s_cbranch_execz .LBB125_322
; %bb.317:
	v_cmp_gt_f64_e32 vcc_lo, 0, v[96:97]
	v_xor_b32_e32 v0, 0x80000000, v97
	v_xor_b32_e32 v4, 0x80000000, v99
	s_delay_alu instid0(VALU_DEP_2) | instskip(SKIP_2) | instid1(VALU_DEP_4)
	v_cndmask_b32_e32 v1, v97, v0, vcc_lo
	v_cndmask_b32_e32 v0, v96, v96, vcc_lo
	v_cmp_gt_f64_e32 vcc_lo, 0, v[98:99]
	v_dual_cndmask_b32 v5, v99, v4 :: v_dual_cndmask_b32 v4, v98, v98
	s_delay_alu instid0(VALU_DEP_1) | instskip(SKIP_1) | instid1(SALU_CYCLE_1)
	v_cmp_ngt_f64_e32 vcc_lo, v[0:1], v[4:5]
                                        ; implicit-def: $vgpr0_vgpr1
	s_and_saveexec_b32 s3, vcc_lo
	s_xor_b32 s3, exec_lo, s3
                                        ; implicit-def: $vgpr100_vgpr101_vgpr102_vgpr103
	s_cbranch_execz .LBB125_319
; %bb.318:
	v_div_scale_f64 v[0:1], null, v[98:99], v[98:99], v[96:97]
	v_div_scale_f64 v[100:101], vcc_lo, v[96:97], v[98:99], v[96:97]
	s_delay_alu instid0(VALU_DEP_2) | instskip(SKIP_2) | instid1(VALU_DEP_1)
	v_rcp_f64_e32 v[4:5], v[0:1]
	s_waitcnt_depctr 0xfff
	v_fma_f64 v[6:7], -v[0:1], v[4:5], 1.0
	v_fma_f64 v[4:5], v[4:5], v[6:7], v[4:5]
	s_delay_alu instid0(VALU_DEP_1) | instskip(NEXT) | instid1(VALU_DEP_1)
	v_fma_f64 v[6:7], -v[0:1], v[4:5], 1.0
	v_fma_f64 v[4:5], v[4:5], v[6:7], v[4:5]
	s_delay_alu instid0(VALU_DEP_1) | instskip(NEXT) | instid1(VALU_DEP_1)
	v_mul_f64 v[6:7], v[100:101], v[4:5]
	v_fma_f64 v[0:1], -v[0:1], v[6:7], v[100:101]
	s_delay_alu instid0(VALU_DEP_1) | instskip(NEXT) | instid1(VALU_DEP_1)
	v_div_fmas_f64 v[0:1], v[0:1], v[4:5], v[6:7]
	v_div_fixup_f64 v[0:1], v[0:1], v[98:99], v[96:97]
	s_delay_alu instid0(VALU_DEP_1) | instskip(NEXT) | instid1(VALU_DEP_1)
	v_fma_f64 v[4:5], v[96:97], v[0:1], v[98:99]
	v_div_scale_f64 v[6:7], null, v[4:5], v[4:5], 1.0
	s_delay_alu instid0(VALU_DEP_1) | instskip(SKIP_2) | instid1(VALU_DEP_1)
	v_rcp_f64_e32 v[96:97], v[6:7]
	s_waitcnt_depctr 0xfff
	v_fma_f64 v[98:99], -v[6:7], v[96:97], 1.0
	v_fma_f64 v[96:97], v[96:97], v[98:99], v[96:97]
	s_delay_alu instid0(VALU_DEP_1) | instskip(NEXT) | instid1(VALU_DEP_1)
	v_fma_f64 v[98:99], -v[6:7], v[96:97], 1.0
	v_fma_f64 v[96:97], v[96:97], v[98:99], v[96:97]
	v_div_scale_f64 v[98:99], vcc_lo, 1.0, v[4:5], 1.0
	s_delay_alu instid0(VALU_DEP_1) | instskip(NEXT) | instid1(VALU_DEP_1)
	v_mul_f64 v[100:101], v[98:99], v[96:97]
	v_fma_f64 v[6:7], -v[6:7], v[100:101], v[98:99]
	s_delay_alu instid0(VALU_DEP_1) | instskip(NEXT) | instid1(VALU_DEP_1)
	v_div_fmas_f64 v[6:7], v[6:7], v[96:97], v[100:101]
                                        ; implicit-def: $vgpr96_vgpr97
	v_div_fixup_f64 v[102:103], v[6:7], v[4:5], 1.0
	s_delay_alu instid0(VALU_DEP_1)
	v_mul_f64 v[0:1], v[0:1], v[102:103]
	v_xor_b32_e32 v103, 0x80000000, v103
.LBB125_319:
	s_and_not1_saveexec_b32 s3, s3
	s_cbranch_execz .LBB125_321
; %bb.320:
	v_div_scale_f64 v[0:1], null, v[96:97], v[96:97], v[98:99]
	v_div_scale_f64 v[100:101], vcc_lo, v[98:99], v[96:97], v[98:99]
	s_delay_alu instid0(VALU_DEP_2) | instskip(SKIP_2) | instid1(VALU_DEP_1)
	v_rcp_f64_e32 v[4:5], v[0:1]
	s_waitcnt_depctr 0xfff
	v_fma_f64 v[6:7], -v[0:1], v[4:5], 1.0
	v_fma_f64 v[4:5], v[4:5], v[6:7], v[4:5]
	s_delay_alu instid0(VALU_DEP_1) | instskip(NEXT) | instid1(VALU_DEP_1)
	v_fma_f64 v[6:7], -v[0:1], v[4:5], 1.0
	v_fma_f64 v[4:5], v[4:5], v[6:7], v[4:5]
	s_delay_alu instid0(VALU_DEP_1) | instskip(NEXT) | instid1(VALU_DEP_1)
	v_mul_f64 v[6:7], v[100:101], v[4:5]
	v_fma_f64 v[0:1], -v[0:1], v[6:7], v[100:101]
	s_delay_alu instid0(VALU_DEP_1) | instskip(NEXT) | instid1(VALU_DEP_1)
	v_div_fmas_f64 v[0:1], v[0:1], v[4:5], v[6:7]
	v_div_fixup_f64 v[4:5], v[0:1], v[96:97], v[98:99]
	s_delay_alu instid0(VALU_DEP_1) | instskip(NEXT) | instid1(VALU_DEP_1)
	v_fma_f64 v[0:1], v[98:99], v[4:5], v[96:97]
	v_div_scale_f64 v[6:7], null, v[0:1], v[0:1], 1.0
	s_delay_alu instid0(VALU_DEP_1) | instskip(SKIP_2) | instid1(VALU_DEP_1)
	v_rcp_f64_e32 v[96:97], v[6:7]
	s_waitcnt_depctr 0xfff
	v_fma_f64 v[98:99], -v[6:7], v[96:97], 1.0
	v_fma_f64 v[96:97], v[96:97], v[98:99], v[96:97]
	s_delay_alu instid0(VALU_DEP_1) | instskip(NEXT) | instid1(VALU_DEP_1)
	v_fma_f64 v[98:99], -v[6:7], v[96:97], 1.0
	v_fma_f64 v[96:97], v[96:97], v[98:99], v[96:97]
	v_div_scale_f64 v[98:99], vcc_lo, 1.0, v[0:1], 1.0
	s_delay_alu instid0(VALU_DEP_1) | instskip(NEXT) | instid1(VALU_DEP_1)
	v_mul_f64 v[100:101], v[98:99], v[96:97]
	v_fma_f64 v[6:7], -v[6:7], v[100:101], v[98:99]
	s_delay_alu instid0(VALU_DEP_1) | instskip(NEXT) | instid1(VALU_DEP_1)
	v_div_fmas_f64 v[6:7], v[6:7], v[96:97], v[100:101]
	v_div_fixup_f64 v[0:1], v[6:7], v[0:1], 1.0
	s_delay_alu instid0(VALU_DEP_1)
	v_mul_f64 v[102:103], v[4:5], -v[0:1]
.LBB125_321:
	s_or_b32 exec_lo, exec_lo, s3
	ds_store_2addr_b64 v254, v[0:1], v[102:103] offset1:1
.LBB125_322:
	s_or_b32 exec_lo, exec_lo, s4
	s_waitcnt lgkmcnt(0)
	s_barrier
	buffer_gl0_inv
	ds_load_2addr_b64 v[96:99], v254 offset1:1
	s_mov_b32 s3, exec_lo
	v_cmpx_lt_u32_e32 24, v253
	s_cbranch_execz .LBB125_325
; %bb.323:
	scratch_load_b128 v[105:108], off, off offset:384
	s_mov_b32 s4, 0
	s_waitcnt vmcnt(0) lgkmcnt(0)
	v_mul_f64 v[0:1], v[98:99], v[107:108]
	s_delay_alu instid0(VALU_DEP_1) | instskip(SKIP_1) | instid1(VALU_DEP_1)
	v_fma_f64 v[100:101], v[96:97], v[105:106], -v[0:1]
	v_mul_f64 v[0:1], v[96:97], v[107:108]
	v_fma_f64 v[102:103], v[98:99], v[105:106], v[0:1]
	scratch_store_b128 off, v[100:103], off offset:384
	s_set_inst_prefetch_distance 0x1
	.p2align	6
.LBB125_324:                            ; =>This Inner Loop Header: Depth=1
	v_add_nc_u32_e32 v6, s4, v104
	v_add_nc_u32_e64 v7, s4, 0
	s_add_i32 s4, s4, 32
	s_delay_alu instid0(SALU_CYCLE_1)
	s_cmpk_lg_i32 s4, 0x260
	ds_load_2addr_b64 v[105:108], v6 offset1:1
	v_add_nc_u32_e32 v109, 0x190, v7
	s_waitcnt lgkmcnt(0)
	v_mul_f64 v[0:1], v[107:108], v[102:103]
	v_mul_f64 v[4:5], v[105:106], v[102:103]
	s_delay_alu instid0(VALU_DEP_2) | instskip(NEXT) | instid1(VALU_DEP_2)
	v_fma_f64 v[0:1], v[105:106], v[100:101], -v[0:1]
	v_fma_f64 v[4:5], v[107:108], v[100:101], v[4:5]
	scratch_load_b128 v[105:108], v109, off
	s_waitcnt vmcnt(0)
	v_add_f64 v[105:106], v[105:106], -v[0:1]
	v_add_f64 v[107:108], v[107:108], -v[4:5]
	scratch_store_b128 v109, v[105:108], off
	ds_load_2addr_b64 v[105:108], v6 offset0:2 offset1:3
	v_add_nc_u32_e32 v6, 0x1a0, v7
	s_waitcnt lgkmcnt(0)
	v_mul_f64 v[0:1], v[107:108], v[102:103]
	v_mul_f64 v[4:5], v[105:106], v[102:103]
	s_delay_alu instid0(VALU_DEP_2) | instskip(NEXT) | instid1(VALU_DEP_2)
	v_fma_f64 v[0:1], v[105:106], v[100:101], -v[0:1]
	v_fma_f64 v[4:5], v[107:108], v[100:101], v[4:5]
	scratch_load_b128 v[105:108], v6, off
	s_waitcnt vmcnt(0)
	v_add_f64 v[105:106], v[105:106], -v[0:1]
	v_add_f64 v[107:108], v[107:108], -v[4:5]
	scratch_store_b128 v6, v[105:108], off
	s_cbranch_scc1 .LBB125_324
.LBB125_325:
	s_set_inst_prefetch_distance 0x2
	s_or_b32 exec_lo, exec_lo, s3
	v_add3_u32 v108, v184, 0, 0x1a0
	s_mov_b32 s4, exec_lo
	s_waitcnt lgkmcnt(0)
	s_waitcnt_vscnt null, 0x0
	s_barrier
	buffer_gl0_inv
	v_cmpx_eq_u32_e32 25, v253
	s_cbranch_execz .LBB125_336
; %bb.326:
	scratch_load_b32 v0, off, off offset:1156 ; 4-byte Folded Reload
	s_movk_i32 s3, 0xfe00
	s_waitcnt vmcnt(0)
	scratch_load_b128 v[100:103], v0, off
	v_mov_b32_e32 v0, 0
	s_waitcnt vmcnt(0)
	ds_store_2addr_b64 v254, v[100:101], v[102:103] offset1:1
	s_branch .LBB125_328
.LBB125_327:                            ;   in Loop: Header=BB125_328 Depth=1
	s_add_i32 s6, s5, 0x3f0
	s_addk_i32 s3, 0x80
	scratch_load_b128 v[100:103], off, s6
	s_add_i32 s6, s5, 0x400
	s_addk_i32 s5, 0x410
	s_waitcnt vmcnt(0)
	ds_store_2addr_b64 v1, v[100:101], v[102:103] offset0:74 offset1:75
	scratch_load_b128 v[100:103], off, s6
	s_waitcnt vmcnt(0)
	ds_store_2addr_b64 v1, v[100:101], v[102:103] offset0:76 offset1:77
	scratch_load_b128 v[100:103], off, s5
	s_waitcnt vmcnt(0)
	ds_store_2addr_b64 v1, v[100:101], v[102:103] offset0:78 offset1:79
	s_cbranch_execz .LBB125_330
.LBB125_328:                            ; =>This Inner Loop Header: Depth=1
	v_readfirstlane_b32 s5, v0
	v_add_nc_u32_e32 v1, s3, v108
	s_delay_alu instid0(VALU_DEP_2) | instskip(NEXT) | instid1(SALU_CYCLE_1)
	s_add_i32 s5, s5, s3
	s_add_i32 s6, s5, 0x3a0
	scratch_load_b128 v[100:103], off, s6
	s_add_i32 s6, s5, 0x3b0
	s_waitcnt vmcnt(0)
	ds_store_2addr_b64 v1, v[100:101], v[102:103] offset0:64 offset1:65
	scratch_load_b128 v[100:103], off, s6
	s_add_i32 s6, s5, 0x3c0
	s_waitcnt vmcnt(0)
	ds_store_2addr_b64 v1, v[100:101], v[102:103] offset0:66 offset1:67
	;; [unrolled: 4-line block ×3, first 2 shown]
	scratch_load_b128 v[100:103], off, s6
	s_add_i32 s6, s5, 0x3e0
	s_cmp_eq_u32 s3, 0
	s_waitcnt vmcnt(0)
	ds_store_2addr_b64 v1, v[100:101], v[102:103] offset0:70 offset1:71
	scratch_load_b128 v[100:103], off, s6
	s_waitcnt vmcnt(0)
	ds_store_2addr_b64 v1, v[100:101], v[102:103] offset0:72 offset1:73
	s_cbranch_scc0 .LBB125_327
; %bb.329:
                                        ; implicit-def: $sgpr3
.LBB125_330:
	ds_load_2addr_b64 v[100:103], v254 offset1:1
	s_waitcnt lgkmcnt(0)
	v_cmp_neq_f64_e32 vcc_lo, 0, v[100:101]
	v_cmp_neq_f64_e64 s3, 0, v[102:103]
	s_delay_alu instid0(VALU_DEP_1) | instskip(NEXT) | instid1(SALU_CYCLE_1)
	s_or_b32 s3, vcc_lo, s3
	s_and_b32 exec_lo, exec_lo, s3
	s_cbranch_execz .LBB125_336
; %bb.331:
	v_cmp_gt_f64_e32 vcc_lo, 0, v[100:101]
	v_xor_b32_e32 v0, 0x80000000, v101
	v_xor_b32_e32 v4, 0x80000000, v103
	s_delay_alu instid0(VALU_DEP_2) | instskip(SKIP_2) | instid1(VALU_DEP_4)
	v_cndmask_b32_e32 v1, v101, v0, vcc_lo
	v_cndmask_b32_e32 v0, v100, v100, vcc_lo
	v_cmp_gt_f64_e32 vcc_lo, 0, v[102:103]
	v_dual_cndmask_b32 v5, v103, v4 :: v_dual_cndmask_b32 v4, v102, v102
	s_delay_alu instid0(VALU_DEP_1) | instskip(SKIP_1) | instid1(SALU_CYCLE_1)
	v_cmp_ngt_f64_e32 vcc_lo, v[0:1], v[4:5]
                                        ; implicit-def: $vgpr0_vgpr1
	s_and_saveexec_b32 s3, vcc_lo
	s_xor_b32 s3, exec_lo, s3
                                        ; implicit-def: $vgpr104_vgpr105_vgpr106_vgpr107
	s_cbranch_execz .LBB125_333
; %bb.332:
	v_div_scale_f64 v[0:1], null, v[102:103], v[102:103], v[100:101]
	v_div_scale_f64 v[104:105], vcc_lo, v[100:101], v[102:103], v[100:101]
	s_delay_alu instid0(VALU_DEP_2) | instskip(SKIP_2) | instid1(VALU_DEP_1)
	v_rcp_f64_e32 v[4:5], v[0:1]
	s_waitcnt_depctr 0xfff
	v_fma_f64 v[6:7], -v[0:1], v[4:5], 1.0
	v_fma_f64 v[4:5], v[4:5], v[6:7], v[4:5]
	s_delay_alu instid0(VALU_DEP_1) | instskip(NEXT) | instid1(VALU_DEP_1)
	v_fma_f64 v[6:7], -v[0:1], v[4:5], 1.0
	v_fma_f64 v[4:5], v[4:5], v[6:7], v[4:5]
	s_delay_alu instid0(VALU_DEP_1) | instskip(NEXT) | instid1(VALU_DEP_1)
	v_mul_f64 v[6:7], v[104:105], v[4:5]
	v_fma_f64 v[0:1], -v[0:1], v[6:7], v[104:105]
	s_delay_alu instid0(VALU_DEP_1) | instskip(NEXT) | instid1(VALU_DEP_1)
	v_div_fmas_f64 v[0:1], v[0:1], v[4:5], v[6:7]
	v_div_fixup_f64 v[0:1], v[0:1], v[102:103], v[100:101]
	s_delay_alu instid0(VALU_DEP_1) | instskip(NEXT) | instid1(VALU_DEP_1)
	v_fma_f64 v[4:5], v[100:101], v[0:1], v[102:103]
	v_div_scale_f64 v[6:7], null, v[4:5], v[4:5], 1.0
	s_delay_alu instid0(VALU_DEP_1) | instskip(SKIP_2) | instid1(VALU_DEP_1)
	v_rcp_f64_e32 v[100:101], v[6:7]
	s_waitcnt_depctr 0xfff
	v_fma_f64 v[102:103], -v[6:7], v[100:101], 1.0
	v_fma_f64 v[100:101], v[100:101], v[102:103], v[100:101]
	s_delay_alu instid0(VALU_DEP_1) | instskip(NEXT) | instid1(VALU_DEP_1)
	v_fma_f64 v[102:103], -v[6:7], v[100:101], 1.0
	v_fma_f64 v[100:101], v[100:101], v[102:103], v[100:101]
	v_div_scale_f64 v[102:103], vcc_lo, 1.0, v[4:5], 1.0
	s_delay_alu instid0(VALU_DEP_1) | instskip(NEXT) | instid1(VALU_DEP_1)
	v_mul_f64 v[104:105], v[102:103], v[100:101]
	v_fma_f64 v[6:7], -v[6:7], v[104:105], v[102:103]
	s_delay_alu instid0(VALU_DEP_1) | instskip(NEXT) | instid1(VALU_DEP_1)
	v_div_fmas_f64 v[6:7], v[6:7], v[100:101], v[104:105]
                                        ; implicit-def: $vgpr100_vgpr101
	v_div_fixup_f64 v[106:107], v[6:7], v[4:5], 1.0
	s_delay_alu instid0(VALU_DEP_1)
	v_mul_f64 v[0:1], v[0:1], v[106:107]
	v_xor_b32_e32 v107, 0x80000000, v107
.LBB125_333:
	s_and_not1_saveexec_b32 s3, s3
	s_cbranch_execz .LBB125_335
; %bb.334:
	v_div_scale_f64 v[0:1], null, v[100:101], v[100:101], v[102:103]
	v_div_scale_f64 v[104:105], vcc_lo, v[102:103], v[100:101], v[102:103]
	s_delay_alu instid0(VALU_DEP_2) | instskip(SKIP_2) | instid1(VALU_DEP_1)
	v_rcp_f64_e32 v[4:5], v[0:1]
	s_waitcnt_depctr 0xfff
	v_fma_f64 v[6:7], -v[0:1], v[4:5], 1.0
	v_fma_f64 v[4:5], v[4:5], v[6:7], v[4:5]
	s_delay_alu instid0(VALU_DEP_1) | instskip(NEXT) | instid1(VALU_DEP_1)
	v_fma_f64 v[6:7], -v[0:1], v[4:5], 1.0
	v_fma_f64 v[4:5], v[4:5], v[6:7], v[4:5]
	s_delay_alu instid0(VALU_DEP_1) | instskip(NEXT) | instid1(VALU_DEP_1)
	v_mul_f64 v[6:7], v[104:105], v[4:5]
	v_fma_f64 v[0:1], -v[0:1], v[6:7], v[104:105]
	s_delay_alu instid0(VALU_DEP_1) | instskip(NEXT) | instid1(VALU_DEP_1)
	v_div_fmas_f64 v[0:1], v[0:1], v[4:5], v[6:7]
	v_div_fixup_f64 v[4:5], v[0:1], v[100:101], v[102:103]
	s_delay_alu instid0(VALU_DEP_1) | instskip(NEXT) | instid1(VALU_DEP_1)
	v_fma_f64 v[0:1], v[102:103], v[4:5], v[100:101]
	v_div_scale_f64 v[6:7], null, v[0:1], v[0:1], 1.0
	s_delay_alu instid0(VALU_DEP_1) | instskip(SKIP_2) | instid1(VALU_DEP_1)
	v_rcp_f64_e32 v[100:101], v[6:7]
	s_waitcnt_depctr 0xfff
	v_fma_f64 v[102:103], -v[6:7], v[100:101], 1.0
	v_fma_f64 v[100:101], v[100:101], v[102:103], v[100:101]
	s_delay_alu instid0(VALU_DEP_1) | instskip(NEXT) | instid1(VALU_DEP_1)
	v_fma_f64 v[102:103], -v[6:7], v[100:101], 1.0
	v_fma_f64 v[100:101], v[100:101], v[102:103], v[100:101]
	v_div_scale_f64 v[102:103], vcc_lo, 1.0, v[0:1], 1.0
	s_delay_alu instid0(VALU_DEP_1) | instskip(NEXT) | instid1(VALU_DEP_1)
	v_mul_f64 v[104:105], v[102:103], v[100:101]
	v_fma_f64 v[6:7], -v[6:7], v[104:105], v[102:103]
	s_delay_alu instid0(VALU_DEP_1) | instskip(NEXT) | instid1(VALU_DEP_1)
	v_div_fmas_f64 v[6:7], v[6:7], v[100:101], v[104:105]
	v_div_fixup_f64 v[0:1], v[6:7], v[0:1], 1.0
	s_delay_alu instid0(VALU_DEP_1)
	v_mul_f64 v[106:107], v[4:5], -v[0:1]
.LBB125_335:
	s_or_b32 exec_lo, exec_lo, s3
	ds_store_2addr_b64 v254, v[0:1], v[106:107] offset1:1
.LBB125_336:
	s_or_b32 exec_lo, exec_lo, s4
	s_waitcnt lgkmcnt(0)
	s_barrier
	buffer_gl0_inv
	ds_load_2addr_b64 v[100:103], v254 offset1:1
	s_mov_b32 s3, exec_lo
	v_cmpx_lt_u32_e32 25, v253
	s_cbranch_execz .LBB125_341
; %bb.337:
	scratch_load_b128 v[109:112], off, off offset:400
	s_mov_b32 s4, 0
	s_waitcnt vmcnt(0) lgkmcnt(0)
	v_mul_f64 v[0:1], v[102:103], v[111:112]
	s_delay_alu instid0(VALU_DEP_1) | instskip(SKIP_1) | instid1(VALU_DEP_1)
	v_fma_f64 v[104:105], v[100:101], v[109:110], -v[0:1]
	v_mul_f64 v[0:1], v[100:101], v[111:112]
	v_fma_f64 v[106:107], v[102:103], v[109:110], v[0:1]
	v_mov_b32_e32 v0, 0
	scratch_store_b128 off, v[104:107], off offset:400
	s_branch .LBB125_339
.LBB125_338:                            ;   in Loop: Header=BB125_339 Depth=1
	s_and_not1_b32 vcc_lo, exec_lo, s6
	s_cbranch_vccz .LBB125_341
.LBB125_339:                            ; =>This Inner Loop Header: Depth=1
	v_add_nc_u32_e32 v1, s4, v108
	v_readfirstlane_b32 s5, v0
	ds_load_2addr_b64 v[109:112], v1 offset1:1
	s_add_i32 s5, s5, s4
	s_delay_alu instid0(SALU_CYCLE_1) | instskip(SKIP_4) | instid1(VALU_DEP_2)
	s_add_i32 s6, s5, 0x1a0
	s_cmpk_eq_i32 s4, 0x240
	s_waitcnt lgkmcnt(0)
	v_mul_f64 v[4:5], v[111:112], v[106:107]
	v_mul_f64 v[6:7], v[109:110], v[106:107]
	v_fma_f64 v[4:5], v[109:110], v[104:105], -v[4:5]
	s_delay_alu instid0(VALU_DEP_2)
	v_fma_f64 v[6:7], v[111:112], v[104:105], v[6:7]
	scratch_load_b128 v[109:112], off, s6
	s_waitcnt vmcnt(0)
	v_add_f64 v[109:110], v[109:110], -v[4:5]
	v_add_f64 v[111:112], v[111:112], -v[6:7]
	scratch_store_b128 off, v[109:112], s6
	s_mov_b32 s6, -1
	s_cbranch_scc1 .LBB125_338
; %bb.340:                              ;   in Loop: Header=BB125_339 Depth=1
	ds_load_2addr_b64 v[109:112], v1 offset0:2 offset1:3
	s_add_i32 s6, s5, 0x1b0
	s_add_i32 s4, s4, 64
	s_waitcnt lgkmcnt(0)
	v_mul_f64 v[4:5], v[111:112], v[106:107]
	v_mul_f64 v[6:7], v[109:110], v[106:107]
	s_delay_alu instid0(VALU_DEP_2) | instskip(NEXT) | instid1(VALU_DEP_2)
	v_fma_f64 v[4:5], v[109:110], v[104:105], -v[4:5]
	v_fma_f64 v[6:7], v[111:112], v[104:105], v[6:7]
	scratch_load_b128 v[109:112], off, s6
	s_waitcnt vmcnt(0)
	v_add_f64 v[109:110], v[109:110], -v[4:5]
	v_add_f64 v[111:112], v[111:112], -v[6:7]
	scratch_store_b128 off, v[109:112], s6
	ds_load_2addr_b64 v[109:112], v1 offset0:4 offset1:5
	s_add_i32 s6, s5, 0x1c0
	s_addk_i32 s5, 0x1d0
	s_waitcnt lgkmcnt(0)
	v_mul_f64 v[4:5], v[111:112], v[106:107]
	v_mul_f64 v[6:7], v[109:110], v[106:107]
	s_delay_alu instid0(VALU_DEP_2) | instskip(NEXT) | instid1(VALU_DEP_2)
	v_fma_f64 v[4:5], v[109:110], v[104:105], -v[4:5]
	v_fma_f64 v[6:7], v[111:112], v[104:105], v[6:7]
	scratch_load_b128 v[109:112], off, s6
	s_waitcnt vmcnt(0)
	v_add_f64 v[109:110], v[109:110], -v[4:5]
	v_add_f64 v[111:112], v[111:112], -v[6:7]
	scratch_store_b128 off, v[109:112], s6
	ds_load_2addr_b64 v[109:112], v1 offset0:6 offset1:7
	s_mov_b32 s6, 0
	s_waitcnt lgkmcnt(0)
	v_mul_f64 v[4:5], v[111:112], v[106:107]
	v_mul_f64 v[6:7], v[109:110], v[106:107]
	s_delay_alu instid0(VALU_DEP_2) | instskip(NEXT) | instid1(VALU_DEP_2)
	v_fma_f64 v[4:5], v[109:110], v[104:105], -v[4:5]
	v_fma_f64 v[6:7], v[111:112], v[104:105], v[6:7]
	scratch_load_b128 v[109:112], off, s5
	s_waitcnt vmcnt(0)
	v_add_f64 v[109:110], v[109:110], -v[4:5]
	v_add_f64 v[111:112], v[111:112], -v[6:7]
	scratch_store_b128 off, v[109:112], s5
	s_branch .LBB125_338
.LBB125_341:
	s_or_b32 exec_lo, exec_lo, s3
	s_delay_alu instid0(SALU_CYCLE_1)
	s_mov_b32 s4, exec_lo
	s_waitcnt lgkmcnt(0)
	s_waitcnt_vscnt null, 0x0
	s_barrier
	buffer_gl0_inv
	v_cmpx_eq_u32_e32 26, v253
	s_cbranch_execz .LBB125_348
; %bb.342:
	scratch_load_b32 v0, off, off offset:1152 ; 4-byte Folded Reload
	s_waitcnt vmcnt(0)
	scratch_load_b128 v[104:107], v0, off
	scratch_load_b32 v0, off, off offset:1140 ; 4-byte Folded Reload
	s_waitcnt vmcnt(1)
	ds_store_2addr_b64 v254, v[104:105], v[106:107] offset1:1
	s_waitcnt vmcnt(0)
	scratch_load_b128 v[104:107], v0, off
	scratch_load_b32 v0, off, off offset:1136 ; 4-byte Folded Reload
	s_waitcnt vmcnt(1)
	ds_store_2addr_b64 v252, v[104:105], v[106:107] offset0:54 offset1:55
	s_waitcnt vmcnt(0)
	scratch_load_b128 v[104:107], v0, off
	scratch_load_b32 v0, off, off offset:1132 ; 4-byte Folded Reload
	s_waitcnt vmcnt(1)
	ds_store_2addr_b64 v252, v[104:105], v[106:107] offset0:56 offset1:57
	;; [unrolled: 5-line block ×33, first 2 shown]
	s_waitcnt vmcnt(0)
	scratch_load_b128 v[104:107], v0, off
	s_waitcnt vmcnt(0)
	ds_store_2addr_b64 v252, v[104:105], v[106:107] offset0:120 offset1:121
	scratch_load_b128 v[104:107], v3, off
	s_waitcnt vmcnt(0)
	ds_store_2addr_b64 v252, v[104:105], v[106:107] offset0:122 offset1:123
	;; [unrolled: 3-line block ×3, first 2 shown]
	ds_load_2addr_b64 v[104:107], v254 offset1:1
	s_waitcnt lgkmcnt(0)
	v_cmp_neq_f64_e32 vcc_lo, 0, v[104:105]
	v_cmp_neq_f64_e64 s3, 0, v[106:107]
	s_delay_alu instid0(VALU_DEP_1) | instskip(NEXT) | instid1(SALU_CYCLE_1)
	s_or_b32 s3, vcc_lo, s3
	s_and_b32 exec_lo, exec_lo, s3
	s_cbranch_execz .LBB125_348
; %bb.343:
	v_cmp_gt_f64_e32 vcc_lo, 0, v[104:105]
	v_xor_b32_e32 v0, 0x80000000, v105
	v_xor_b32_e32 v4, 0x80000000, v107
	s_delay_alu instid0(VALU_DEP_2) | instskip(SKIP_2) | instid1(VALU_DEP_4)
	v_cndmask_b32_e32 v1, v105, v0, vcc_lo
	v_cndmask_b32_e32 v0, v104, v104, vcc_lo
	v_cmp_gt_f64_e32 vcc_lo, 0, v[106:107]
	v_dual_cndmask_b32 v5, v107, v4 :: v_dual_cndmask_b32 v4, v106, v106
	s_delay_alu instid0(VALU_DEP_1) | instskip(SKIP_1) | instid1(SALU_CYCLE_1)
	v_cmp_ngt_f64_e32 vcc_lo, v[0:1], v[4:5]
                                        ; implicit-def: $vgpr0_vgpr1
	s_and_saveexec_b32 s3, vcc_lo
	s_xor_b32 s3, exec_lo, s3
                                        ; implicit-def: $vgpr108_vgpr109_vgpr110_vgpr111
	s_cbranch_execz .LBB125_345
; %bb.344:
	v_div_scale_f64 v[0:1], null, v[106:107], v[106:107], v[104:105]
	v_div_scale_f64 v[108:109], vcc_lo, v[104:105], v[106:107], v[104:105]
	s_delay_alu instid0(VALU_DEP_2) | instskip(SKIP_2) | instid1(VALU_DEP_1)
	v_rcp_f64_e32 v[4:5], v[0:1]
	s_waitcnt_depctr 0xfff
	v_fma_f64 v[6:7], -v[0:1], v[4:5], 1.0
	v_fma_f64 v[4:5], v[4:5], v[6:7], v[4:5]
	s_delay_alu instid0(VALU_DEP_1) | instskip(NEXT) | instid1(VALU_DEP_1)
	v_fma_f64 v[6:7], -v[0:1], v[4:5], 1.0
	v_fma_f64 v[4:5], v[4:5], v[6:7], v[4:5]
	s_delay_alu instid0(VALU_DEP_1) | instskip(NEXT) | instid1(VALU_DEP_1)
	v_mul_f64 v[6:7], v[108:109], v[4:5]
	v_fma_f64 v[0:1], -v[0:1], v[6:7], v[108:109]
	s_delay_alu instid0(VALU_DEP_1) | instskip(NEXT) | instid1(VALU_DEP_1)
	v_div_fmas_f64 v[0:1], v[0:1], v[4:5], v[6:7]
	v_div_fixup_f64 v[0:1], v[0:1], v[106:107], v[104:105]
	s_delay_alu instid0(VALU_DEP_1) | instskip(NEXT) | instid1(VALU_DEP_1)
	v_fma_f64 v[4:5], v[104:105], v[0:1], v[106:107]
	v_div_scale_f64 v[6:7], null, v[4:5], v[4:5], 1.0
	s_delay_alu instid0(VALU_DEP_1) | instskip(SKIP_2) | instid1(VALU_DEP_1)
	v_rcp_f64_e32 v[104:105], v[6:7]
	s_waitcnt_depctr 0xfff
	v_fma_f64 v[106:107], -v[6:7], v[104:105], 1.0
	v_fma_f64 v[104:105], v[104:105], v[106:107], v[104:105]
	s_delay_alu instid0(VALU_DEP_1) | instskip(NEXT) | instid1(VALU_DEP_1)
	v_fma_f64 v[106:107], -v[6:7], v[104:105], 1.0
	v_fma_f64 v[104:105], v[104:105], v[106:107], v[104:105]
	v_div_scale_f64 v[106:107], vcc_lo, 1.0, v[4:5], 1.0
	s_delay_alu instid0(VALU_DEP_1) | instskip(NEXT) | instid1(VALU_DEP_1)
	v_mul_f64 v[108:109], v[106:107], v[104:105]
	v_fma_f64 v[6:7], -v[6:7], v[108:109], v[106:107]
	s_delay_alu instid0(VALU_DEP_1) | instskip(NEXT) | instid1(VALU_DEP_1)
	v_div_fmas_f64 v[6:7], v[6:7], v[104:105], v[108:109]
                                        ; implicit-def: $vgpr104_vgpr105
	v_div_fixup_f64 v[110:111], v[6:7], v[4:5], 1.0
	s_delay_alu instid0(VALU_DEP_1)
	v_mul_f64 v[0:1], v[0:1], v[110:111]
	v_xor_b32_e32 v111, 0x80000000, v111
.LBB125_345:
	s_and_not1_saveexec_b32 s3, s3
	s_cbranch_execz .LBB125_347
; %bb.346:
	v_div_scale_f64 v[0:1], null, v[104:105], v[104:105], v[106:107]
	v_div_scale_f64 v[108:109], vcc_lo, v[106:107], v[104:105], v[106:107]
	s_delay_alu instid0(VALU_DEP_2) | instskip(SKIP_2) | instid1(VALU_DEP_1)
	v_rcp_f64_e32 v[4:5], v[0:1]
	s_waitcnt_depctr 0xfff
	v_fma_f64 v[6:7], -v[0:1], v[4:5], 1.0
	v_fma_f64 v[4:5], v[4:5], v[6:7], v[4:5]
	s_delay_alu instid0(VALU_DEP_1) | instskip(NEXT) | instid1(VALU_DEP_1)
	v_fma_f64 v[6:7], -v[0:1], v[4:5], 1.0
	v_fma_f64 v[4:5], v[4:5], v[6:7], v[4:5]
	s_delay_alu instid0(VALU_DEP_1) | instskip(NEXT) | instid1(VALU_DEP_1)
	v_mul_f64 v[6:7], v[108:109], v[4:5]
	v_fma_f64 v[0:1], -v[0:1], v[6:7], v[108:109]
	s_delay_alu instid0(VALU_DEP_1) | instskip(NEXT) | instid1(VALU_DEP_1)
	v_div_fmas_f64 v[0:1], v[0:1], v[4:5], v[6:7]
	v_div_fixup_f64 v[4:5], v[0:1], v[104:105], v[106:107]
	s_delay_alu instid0(VALU_DEP_1) | instskip(NEXT) | instid1(VALU_DEP_1)
	v_fma_f64 v[0:1], v[106:107], v[4:5], v[104:105]
	v_div_scale_f64 v[6:7], null, v[0:1], v[0:1], 1.0
	s_delay_alu instid0(VALU_DEP_1) | instskip(SKIP_2) | instid1(VALU_DEP_1)
	v_rcp_f64_e32 v[104:105], v[6:7]
	s_waitcnt_depctr 0xfff
	v_fma_f64 v[106:107], -v[6:7], v[104:105], 1.0
	v_fma_f64 v[104:105], v[104:105], v[106:107], v[104:105]
	s_delay_alu instid0(VALU_DEP_1) | instskip(NEXT) | instid1(VALU_DEP_1)
	v_fma_f64 v[106:107], -v[6:7], v[104:105], 1.0
	v_fma_f64 v[104:105], v[104:105], v[106:107], v[104:105]
	v_div_scale_f64 v[106:107], vcc_lo, 1.0, v[0:1], 1.0
	s_delay_alu instid0(VALU_DEP_1) | instskip(NEXT) | instid1(VALU_DEP_1)
	v_mul_f64 v[108:109], v[106:107], v[104:105]
	v_fma_f64 v[6:7], -v[6:7], v[108:109], v[106:107]
	s_delay_alu instid0(VALU_DEP_1) | instskip(NEXT) | instid1(VALU_DEP_1)
	v_div_fmas_f64 v[6:7], v[6:7], v[104:105], v[108:109]
	v_div_fixup_f64 v[0:1], v[6:7], v[0:1], 1.0
	s_delay_alu instid0(VALU_DEP_1)
	v_mul_f64 v[110:111], v[4:5], -v[0:1]
.LBB125_347:
	s_or_b32 exec_lo, exec_lo, s3
	ds_store_2addr_b64 v254, v[0:1], v[110:111] offset1:1
.LBB125_348:
	s_or_b32 exec_lo, exec_lo, s4
	s_waitcnt lgkmcnt(0)
	s_barrier
	buffer_gl0_inv
	ds_load_2addr_b64 v[104:107], v254 offset1:1
	s_mov_b32 s3, exec_lo
	v_cmpx_lt_u32_e32 26, v253
	s_cbranch_execz .LBB125_351
; %bb.349:
	scratch_load_b128 v[110:113], off, off offset:416
	s_mov_b32 s4, 0
	s_waitcnt vmcnt(0) lgkmcnt(0)
	v_mul_f64 v[0:1], v[106:107], v[112:113]
	s_delay_alu instid0(VALU_DEP_1) | instskip(SKIP_1) | instid1(VALU_DEP_1)
	v_fma_f64 v[108:109], v[104:105], v[110:111], -v[0:1]
	v_mul_f64 v[0:1], v[104:105], v[112:113]
	v_fma_f64 v[110:111], v[106:107], v[110:111], v[0:1]
	v_add3_u32 v0, v184, 0, 0x1b0
	v_mov_b32_e32 v1, 0
	scratch_store_b128 off, v[108:111], off offset:416
.LBB125_350:                            ; =>This Inner Loop Header: Depth=1
	v_add_nc_u32_e32 v116, s4, v0
	v_readfirstlane_b32 s5, v1
	ds_load_2addr_b64 v[112:115], v116 offset1:1
	s_add_i32 s5, s5, s4
	s_addk_i32 s4, 0x60
	s_add_i32 s6, s5, 0x1b0
	s_waitcnt lgkmcnt(0)
	v_mul_f64 v[4:5], v[114:115], v[110:111]
	v_mul_f64 v[6:7], v[112:113], v[110:111]
	s_delay_alu instid0(VALU_DEP_2) | instskip(NEXT) | instid1(VALU_DEP_2)
	v_fma_f64 v[4:5], v[112:113], v[108:109], -v[4:5]
	v_fma_f64 v[6:7], v[114:115], v[108:109], v[6:7]
	scratch_load_b128 v[112:115], off, s6
	s_waitcnt vmcnt(0)
	v_add_f64 v[112:113], v[112:113], -v[4:5]
	v_add_f64 v[114:115], v[114:115], -v[6:7]
	scratch_store_b128 off, v[112:115], s6
	ds_load_2addr_b64 v[112:115], v116 offset0:2 offset1:3
	s_add_i32 s6, s5, 0x1c0
	s_waitcnt lgkmcnt(0)
	v_mul_f64 v[4:5], v[114:115], v[110:111]
	v_mul_f64 v[6:7], v[112:113], v[110:111]
	s_delay_alu instid0(VALU_DEP_2) | instskip(NEXT) | instid1(VALU_DEP_2)
	v_fma_f64 v[4:5], v[112:113], v[108:109], -v[4:5]
	v_fma_f64 v[6:7], v[114:115], v[108:109], v[6:7]
	scratch_load_b128 v[112:115], off, s6
	s_waitcnt vmcnt(0)
	v_add_f64 v[112:113], v[112:113], -v[4:5]
	v_add_f64 v[114:115], v[114:115], -v[6:7]
	scratch_store_b128 off, v[112:115], s6
	ds_load_2addr_b64 v[112:115], v116 offset0:4 offset1:5
	;; [unrolled: 13-line block ×4, first 2 shown]
	s_add_i32 s6, s5, 0x1f0
	s_addk_i32 s5, 0x200
	s_cmpk_lg_i32 s4, 0x240
	s_waitcnt lgkmcnt(0)
	v_mul_f64 v[4:5], v[114:115], v[110:111]
	v_mul_f64 v[6:7], v[112:113], v[110:111]
	s_delay_alu instid0(VALU_DEP_2) | instskip(NEXT) | instid1(VALU_DEP_2)
	v_fma_f64 v[4:5], v[112:113], v[108:109], -v[4:5]
	v_fma_f64 v[6:7], v[114:115], v[108:109], v[6:7]
	scratch_load_b128 v[112:115], off, s6
	s_waitcnt vmcnt(0)
	v_add_f64 v[112:113], v[112:113], -v[4:5]
	v_add_f64 v[114:115], v[114:115], -v[6:7]
	scratch_store_b128 off, v[112:115], s6
	ds_load_2addr_b64 v[112:115], v116 offset0:10 offset1:11
	s_waitcnt lgkmcnt(0)
	v_mul_f64 v[4:5], v[114:115], v[110:111]
	v_mul_f64 v[6:7], v[112:113], v[110:111]
	s_delay_alu instid0(VALU_DEP_2) | instskip(NEXT) | instid1(VALU_DEP_2)
	v_fma_f64 v[4:5], v[112:113], v[108:109], -v[4:5]
	v_fma_f64 v[6:7], v[114:115], v[108:109], v[6:7]
	scratch_load_b128 v[112:115], off, s5
	s_waitcnt vmcnt(0)
	v_add_f64 v[112:113], v[112:113], -v[4:5]
	v_add_f64 v[114:115], v[114:115], -v[6:7]
	scratch_store_b128 off, v[112:115], s5
	s_cbranch_scc1 .LBB125_350
.LBB125_351:
	s_or_b32 exec_lo, exec_lo, s3
	s_delay_alu instid0(SALU_CYCLE_1)
	s_mov_b32 s4, exec_lo
	s_waitcnt lgkmcnt(0)
	s_waitcnt_vscnt null, 0x0
	s_barrier
	buffer_gl0_inv
	v_cmpx_eq_u32_e32 27, v253
	s_cbranch_execz .LBB125_358
; %bb.352:
	scratch_load_b32 v0, off, off offset:1140 ; 4-byte Folded Reload
	s_waitcnt vmcnt(0)
	scratch_load_b128 v[108:111], v0, off
	scratch_load_b32 v0, off, off offset:1136 ; 4-byte Folded Reload
	s_waitcnt vmcnt(1)
	ds_store_2addr_b64 v254, v[108:109], v[110:111] offset1:1
	s_waitcnt vmcnt(0)
	scratch_load_b128 v[108:111], v0, off
	scratch_load_b32 v0, off, off offset:1132 ; 4-byte Folded Reload
	s_waitcnt vmcnt(1)
	ds_store_2addr_b64 v252, v[108:109], v[110:111] offset0:56 offset1:57
	s_waitcnt vmcnt(0)
	scratch_load_b128 v[108:111], v0, off
	scratch_load_b32 v0, off, off offset:1128 ; 4-byte Folded Reload
	s_waitcnt vmcnt(1)
	ds_store_2addr_b64 v252, v[108:109], v[110:111] offset0:58 offset1:59
	;; [unrolled: 5-line block ×32, first 2 shown]
	s_waitcnt vmcnt(0)
	scratch_load_b128 v[108:111], v0, off
	s_waitcnt vmcnt(0)
	ds_store_2addr_b64 v252, v[108:109], v[110:111] offset0:120 offset1:121
	scratch_load_b128 v[108:111], v3, off
	s_waitcnt vmcnt(0)
	ds_store_2addr_b64 v252, v[108:109], v[110:111] offset0:122 offset1:123
	;; [unrolled: 3-line block ×3, first 2 shown]
	ds_load_2addr_b64 v[108:111], v254 offset1:1
	s_waitcnt lgkmcnt(0)
	v_cmp_neq_f64_e32 vcc_lo, 0, v[108:109]
	v_cmp_neq_f64_e64 s3, 0, v[110:111]
	s_delay_alu instid0(VALU_DEP_1) | instskip(NEXT) | instid1(SALU_CYCLE_1)
	s_or_b32 s3, vcc_lo, s3
	s_and_b32 exec_lo, exec_lo, s3
	s_cbranch_execz .LBB125_358
; %bb.353:
	v_cmp_gt_f64_e32 vcc_lo, 0, v[108:109]
	v_xor_b32_e32 v0, 0x80000000, v109
	v_xor_b32_e32 v4, 0x80000000, v111
	s_delay_alu instid0(VALU_DEP_2) | instskip(SKIP_2) | instid1(VALU_DEP_4)
	v_cndmask_b32_e32 v1, v109, v0, vcc_lo
	v_cndmask_b32_e32 v0, v108, v108, vcc_lo
	v_cmp_gt_f64_e32 vcc_lo, 0, v[110:111]
	v_dual_cndmask_b32 v5, v111, v4 :: v_dual_cndmask_b32 v4, v110, v110
	s_delay_alu instid0(VALU_DEP_1) | instskip(SKIP_1) | instid1(SALU_CYCLE_1)
	v_cmp_ngt_f64_e32 vcc_lo, v[0:1], v[4:5]
                                        ; implicit-def: $vgpr0_vgpr1
	s_and_saveexec_b32 s3, vcc_lo
	s_xor_b32 s3, exec_lo, s3
                                        ; implicit-def: $vgpr112_vgpr113_vgpr114_vgpr115
	s_cbranch_execz .LBB125_355
; %bb.354:
	v_div_scale_f64 v[0:1], null, v[110:111], v[110:111], v[108:109]
	v_div_scale_f64 v[112:113], vcc_lo, v[108:109], v[110:111], v[108:109]
	s_delay_alu instid0(VALU_DEP_2) | instskip(SKIP_2) | instid1(VALU_DEP_1)
	v_rcp_f64_e32 v[4:5], v[0:1]
	s_waitcnt_depctr 0xfff
	v_fma_f64 v[6:7], -v[0:1], v[4:5], 1.0
	v_fma_f64 v[4:5], v[4:5], v[6:7], v[4:5]
	s_delay_alu instid0(VALU_DEP_1) | instskip(NEXT) | instid1(VALU_DEP_1)
	v_fma_f64 v[6:7], -v[0:1], v[4:5], 1.0
	v_fma_f64 v[4:5], v[4:5], v[6:7], v[4:5]
	s_delay_alu instid0(VALU_DEP_1) | instskip(NEXT) | instid1(VALU_DEP_1)
	v_mul_f64 v[6:7], v[112:113], v[4:5]
	v_fma_f64 v[0:1], -v[0:1], v[6:7], v[112:113]
	s_delay_alu instid0(VALU_DEP_1) | instskip(NEXT) | instid1(VALU_DEP_1)
	v_div_fmas_f64 v[0:1], v[0:1], v[4:5], v[6:7]
	v_div_fixup_f64 v[0:1], v[0:1], v[110:111], v[108:109]
	s_delay_alu instid0(VALU_DEP_1) | instskip(NEXT) | instid1(VALU_DEP_1)
	v_fma_f64 v[4:5], v[108:109], v[0:1], v[110:111]
	v_div_scale_f64 v[6:7], null, v[4:5], v[4:5], 1.0
	s_delay_alu instid0(VALU_DEP_1) | instskip(SKIP_2) | instid1(VALU_DEP_1)
	v_rcp_f64_e32 v[108:109], v[6:7]
	s_waitcnt_depctr 0xfff
	v_fma_f64 v[110:111], -v[6:7], v[108:109], 1.0
	v_fma_f64 v[108:109], v[108:109], v[110:111], v[108:109]
	s_delay_alu instid0(VALU_DEP_1) | instskip(NEXT) | instid1(VALU_DEP_1)
	v_fma_f64 v[110:111], -v[6:7], v[108:109], 1.0
	v_fma_f64 v[108:109], v[108:109], v[110:111], v[108:109]
	v_div_scale_f64 v[110:111], vcc_lo, 1.0, v[4:5], 1.0
	s_delay_alu instid0(VALU_DEP_1) | instskip(NEXT) | instid1(VALU_DEP_1)
	v_mul_f64 v[112:113], v[110:111], v[108:109]
	v_fma_f64 v[6:7], -v[6:7], v[112:113], v[110:111]
	s_delay_alu instid0(VALU_DEP_1) | instskip(NEXT) | instid1(VALU_DEP_1)
	v_div_fmas_f64 v[6:7], v[6:7], v[108:109], v[112:113]
                                        ; implicit-def: $vgpr108_vgpr109
	v_div_fixup_f64 v[114:115], v[6:7], v[4:5], 1.0
	s_delay_alu instid0(VALU_DEP_1)
	v_mul_f64 v[0:1], v[0:1], v[114:115]
	v_xor_b32_e32 v115, 0x80000000, v115
.LBB125_355:
	s_and_not1_saveexec_b32 s3, s3
	s_cbranch_execz .LBB125_357
; %bb.356:
	v_div_scale_f64 v[0:1], null, v[108:109], v[108:109], v[110:111]
	v_div_scale_f64 v[112:113], vcc_lo, v[110:111], v[108:109], v[110:111]
	s_delay_alu instid0(VALU_DEP_2) | instskip(SKIP_2) | instid1(VALU_DEP_1)
	v_rcp_f64_e32 v[4:5], v[0:1]
	s_waitcnt_depctr 0xfff
	v_fma_f64 v[6:7], -v[0:1], v[4:5], 1.0
	v_fma_f64 v[4:5], v[4:5], v[6:7], v[4:5]
	s_delay_alu instid0(VALU_DEP_1) | instskip(NEXT) | instid1(VALU_DEP_1)
	v_fma_f64 v[6:7], -v[0:1], v[4:5], 1.0
	v_fma_f64 v[4:5], v[4:5], v[6:7], v[4:5]
	s_delay_alu instid0(VALU_DEP_1) | instskip(NEXT) | instid1(VALU_DEP_1)
	v_mul_f64 v[6:7], v[112:113], v[4:5]
	v_fma_f64 v[0:1], -v[0:1], v[6:7], v[112:113]
	s_delay_alu instid0(VALU_DEP_1) | instskip(NEXT) | instid1(VALU_DEP_1)
	v_div_fmas_f64 v[0:1], v[0:1], v[4:5], v[6:7]
	v_div_fixup_f64 v[4:5], v[0:1], v[108:109], v[110:111]
	s_delay_alu instid0(VALU_DEP_1) | instskip(NEXT) | instid1(VALU_DEP_1)
	v_fma_f64 v[0:1], v[110:111], v[4:5], v[108:109]
	v_div_scale_f64 v[6:7], null, v[0:1], v[0:1], 1.0
	s_delay_alu instid0(VALU_DEP_1) | instskip(SKIP_2) | instid1(VALU_DEP_1)
	v_rcp_f64_e32 v[108:109], v[6:7]
	s_waitcnt_depctr 0xfff
	v_fma_f64 v[110:111], -v[6:7], v[108:109], 1.0
	v_fma_f64 v[108:109], v[108:109], v[110:111], v[108:109]
	s_delay_alu instid0(VALU_DEP_1) | instskip(NEXT) | instid1(VALU_DEP_1)
	v_fma_f64 v[110:111], -v[6:7], v[108:109], 1.0
	v_fma_f64 v[108:109], v[108:109], v[110:111], v[108:109]
	v_div_scale_f64 v[110:111], vcc_lo, 1.0, v[0:1], 1.0
	s_delay_alu instid0(VALU_DEP_1) | instskip(NEXT) | instid1(VALU_DEP_1)
	v_mul_f64 v[112:113], v[110:111], v[108:109]
	v_fma_f64 v[6:7], -v[6:7], v[112:113], v[110:111]
	s_delay_alu instid0(VALU_DEP_1) | instskip(NEXT) | instid1(VALU_DEP_1)
	v_div_fmas_f64 v[6:7], v[6:7], v[108:109], v[112:113]
	v_div_fixup_f64 v[0:1], v[6:7], v[0:1], 1.0
	s_delay_alu instid0(VALU_DEP_1)
	v_mul_f64 v[114:115], v[4:5], -v[0:1]
.LBB125_357:
	s_or_b32 exec_lo, exec_lo, s3
	ds_store_2addr_b64 v254, v[0:1], v[114:115] offset1:1
.LBB125_358:
	s_or_b32 exec_lo, exec_lo, s4
	s_waitcnt lgkmcnt(0)
	s_barrier
	buffer_gl0_inv
	ds_load_2addr_b64 v[108:111], v254 offset1:1
	s_mov_b32 s3, exec_lo
	v_cmpx_lt_u32_e32 27, v253
	s_cbranch_execz .LBB125_361
; %bb.359:
	scratch_load_b128 v[114:117], off, off offset:432
	s_mov_b32 s4, 0
	s_waitcnt vmcnt(0) lgkmcnt(0)
	v_mul_f64 v[0:1], v[110:111], v[116:117]
	s_delay_alu instid0(VALU_DEP_1) | instskip(SKIP_1) | instid1(VALU_DEP_1)
	v_fma_f64 v[112:113], v[108:109], v[114:115], -v[0:1]
	v_mul_f64 v[0:1], v[108:109], v[116:117]
	v_fma_f64 v[114:115], v[110:111], v[114:115], v[0:1]
	v_add3_u32 v0, v184, 0, 0x1c0
	v_mov_b32_e32 v1, 0
	scratch_store_b128 off, v[112:115], off offset:432
.LBB125_360:                            ; =>This Inner Loop Header: Depth=1
	v_add_nc_u32_e32 v120, s4, v0
	v_readfirstlane_b32 s5, v1
	ds_load_2addr_b64 v[116:119], v120 offset1:1
	s_add_i32 s5, s5, s4
	s_addk_i32 s4, 0x70
	s_add_i32 s6, s5, 0x1c0
	s_waitcnt lgkmcnt(0)
	v_mul_f64 v[4:5], v[118:119], v[114:115]
	v_mul_f64 v[6:7], v[116:117], v[114:115]
	s_delay_alu instid0(VALU_DEP_2) | instskip(NEXT) | instid1(VALU_DEP_2)
	v_fma_f64 v[4:5], v[116:117], v[112:113], -v[4:5]
	v_fma_f64 v[6:7], v[118:119], v[112:113], v[6:7]
	scratch_load_b128 v[116:119], off, s6
	s_waitcnt vmcnt(0)
	v_add_f64 v[116:117], v[116:117], -v[4:5]
	v_add_f64 v[118:119], v[118:119], -v[6:7]
	scratch_store_b128 off, v[116:119], s6
	ds_load_2addr_b64 v[116:119], v120 offset0:2 offset1:3
	s_add_i32 s6, s5, 0x1d0
	s_waitcnt lgkmcnt(0)
	v_mul_f64 v[4:5], v[118:119], v[114:115]
	v_mul_f64 v[6:7], v[116:117], v[114:115]
	s_delay_alu instid0(VALU_DEP_2) | instskip(NEXT) | instid1(VALU_DEP_2)
	v_fma_f64 v[4:5], v[116:117], v[112:113], -v[4:5]
	v_fma_f64 v[6:7], v[118:119], v[112:113], v[6:7]
	scratch_load_b128 v[116:119], off, s6
	s_waitcnt vmcnt(0)
	v_add_f64 v[116:117], v[116:117], -v[4:5]
	v_add_f64 v[118:119], v[118:119], -v[6:7]
	scratch_store_b128 off, v[116:119], s6
	ds_load_2addr_b64 v[116:119], v120 offset0:4 offset1:5
	;; [unrolled: 13-line block ×5, first 2 shown]
	s_add_i32 s6, s5, 0x210
	s_addk_i32 s5, 0x220
	s_cmpk_lg_i32 s4, 0x230
	s_waitcnt lgkmcnt(0)
	v_mul_f64 v[4:5], v[118:119], v[114:115]
	v_mul_f64 v[6:7], v[116:117], v[114:115]
	s_delay_alu instid0(VALU_DEP_2) | instskip(NEXT) | instid1(VALU_DEP_2)
	v_fma_f64 v[4:5], v[116:117], v[112:113], -v[4:5]
	v_fma_f64 v[6:7], v[118:119], v[112:113], v[6:7]
	scratch_load_b128 v[112:115], off, s6
	ds_load_2addr_b64 v[116:119], v120 offset0:12 offset1:13
	s_waitcnt vmcnt(0)
	v_add_f64 v[112:113], v[112:113], -v[4:5]
	v_add_f64 v[114:115], v[114:115], -v[6:7]
	scratch_store_b128 off, v[112:115], s6
	scratch_load_b128 v[112:115], off, off offset:432
	s_waitcnt vmcnt(0) lgkmcnt(0)
	v_mul_f64 v[4:5], v[118:119], v[114:115]
	v_mul_f64 v[6:7], v[116:117], v[114:115]
	s_delay_alu instid0(VALU_DEP_2) | instskip(NEXT) | instid1(VALU_DEP_2)
	v_fma_f64 v[4:5], v[116:117], v[112:113], -v[4:5]
	v_fma_f64 v[6:7], v[118:119], v[112:113], v[6:7]
	scratch_load_b128 v[116:119], off, s5
	s_waitcnt vmcnt(0)
	v_add_f64 v[116:117], v[116:117], -v[4:5]
	v_add_f64 v[118:119], v[118:119], -v[6:7]
	scratch_store_b128 off, v[116:119], s5
	s_cbranch_scc1 .LBB125_360
.LBB125_361:
	s_or_b32 exec_lo, exec_lo, s3
	s_delay_alu instid0(SALU_CYCLE_1)
	s_mov_b32 s4, exec_lo
	s_waitcnt lgkmcnt(0)
	s_waitcnt_vscnt null, 0x0
	s_barrier
	buffer_gl0_inv
	v_cmpx_eq_u32_e32 28, v253
	s_cbranch_execz .LBB125_368
; %bb.362:
	scratch_load_b32 v0, off, off offset:1136 ; 4-byte Folded Reload
	s_waitcnt vmcnt(0)
	scratch_load_b128 v[112:115], v0, off
	scratch_load_b32 v0, off, off offset:1132 ; 4-byte Folded Reload
	s_waitcnt vmcnt(1)
	ds_store_2addr_b64 v254, v[112:113], v[114:115] offset1:1
	s_waitcnt vmcnt(0)
	scratch_load_b128 v[112:115], v0, off
	scratch_load_b32 v0, off, off offset:1128 ; 4-byte Folded Reload
	s_waitcnt vmcnt(1)
	ds_store_2addr_b64 v252, v[112:113], v[114:115] offset0:58 offset1:59
	s_waitcnt vmcnt(0)
	scratch_load_b128 v[112:115], v0, off
	scratch_load_b32 v0, off, off offset:1124 ; 4-byte Folded Reload
	s_waitcnt vmcnt(1)
	ds_store_2addr_b64 v252, v[112:113], v[114:115] offset0:60 offset1:61
	;; [unrolled: 5-line block ×31, first 2 shown]
	s_waitcnt vmcnt(0)
	scratch_load_b128 v[112:115], v0, off
	s_waitcnt vmcnt(0)
	ds_store_2addr_b64 v252, v[112:113], v[114:115] offset0:120 offset1:121
	scratch_load_b128 v[112:115], v3, off
	s_waitcnt vmcnt(0)
	ds_store_2addr_b64 v252, v[112:113], v[114:115] offset0:122 offset1:123
	scratch_load_b128 v[112:115], v2, off
	s_waitcnt vmcnt(0)
	ds_store_2addr_b64 v252, v[112:113], v[114:115] offset0:124 offset1:125
	ds_load_2addr_b64 v[112:115], v254 offset1:1
	s_waitcnt lgkmcnt(0)
	v_cmp_neq_f64_e32 vcc_lo, 0, v[112:113]
	v_cmp_neq_f64_e64 s3, 0, v[114:115]
	s_delay_alu instid0(VALU_DEP_1) | instskip(NEXT) | instid1(SALU_CYCLE_1)
	s_or_b32 s3, vcc_lo, s3
	s_and_b32 exec_lo, exec_lo, s3
	s_cbranch_execz .LBB125_368
; %bb.363:
	v_cmp_gt_f64_e32 vcc_lo, 0, v[112:113]
	v_xor_b32_e32 v0, 0x80000000, v113
	v_xor_b32_e32 v4, 0x80000000, v115
	s_delay_alu instid0(VALU_DEP_2) | instskip(SKIP_2) | instid1(VALU_DEP_4)
	v_cndmask_b32_e32 v1, v113, v0, vcc_lo
	v_cndmask_b32_e32 v0, v112, v112, vcc_lo
	v_cmp_gt_f64_e32 vcc_lo, 0, v[114:115]
	v_dual_cndmask_b32 v5, v115, v4 :: v_dual_cndmask_b32 v4, v114, v114
	s_delay_alu instid0(VALU_DEP_1) | instskip(SKIP_1) | instid1(SALU_CYCLE_1)
	v_cmp_ngt_f64_e32 vcc_lo, v[0:1], v[4:5]
                                        ; implicit-def: $vgpr0_vgpr1
	s_and_saveexec_b32 s3, vcc_lo
	s_xor_b32 s3, exec_lo, s3
                                        ; implicit-def: $vgpr116_vgpr117_vgpr118_vgpr119
	s_cbranch_execz .LBB125_365
; %bb.364:
	v_div_scale_f64 v[0:1], null, v[114:115], v[114:115], v[112:113]
	v_div_scale_f64 v[116:117], vcc_lo, v[112:113], v[114:115], v[112:113]
	s_delay_alu instid0(VALU_DEP_2) | instskip(SKIP_2) | instid1(VALU_DEP_1)
	v_rcp_f64_e32 v[4:5], v[0:1]
	s_waitcnt_depctr 0xfff
	v_fma_f64 v[6:7], -v[0:1], v[4:5], 1.0
	v_fma_f64 v[4:5], v[4:5], v[6:7], v[4:5]
	s_delay_alu instid0(VALU_DEP_1) | instskip(NEXT) | instid1(VALU_DEP_1)
	v_fma_f64 v[6:7], -v[0:1], v[4:5], 1.0
	v_fma_f64 v[4:5], v[4:5], v[6:7], v[4:5]
	s_delay_alu instid0(VALU_DEP_1) | instskip(NEXT) | instid1(VALU_DEP_1)
	v_mul_f64 v[6:7], v[116:117], v[4:5]
	v_fma_f64 v[0:1], -v[0:1], v[6:7], v[116:117]
	s_delay_alu instid0(VALU_DEP_1) | instskip(NEXT) | instid1(VALU_DEP_1)
	v_div_fmas_f64 v[0:1], v[0:1], v[4:5], v[6:7]
	v_div_fixup_f64 v[0:1], v[0:1], v[114:115], v[112:113]
	s_delay_alu instid0(VALU_DEP_1) | instskip(NEXT) | instid1(VALU_DEP_1)
	v_fma_f64 v[4:5], v[112:113], v[0:1], v[114:115]
	v_div_scale_f64 v[6:7], null, v[4:5], v[4:5], 1.0
	s_delay_alu instid0(VALU_DEP_1) | instskip(SKIP_2) | instid1(VALU_DEP_1)
	v_rcp_f64_e32 v[112:113], v[6:7]
	s_waitcnt_depctr 0xfff
	v_fma_f64 v[114:115], -v[6:7], v[112:113], 1.0
	v_fma_f64 v[112:113], v[112:113], v[114:115], v[112:113]
	s_delay_alu instid0(VALU_DEP_1) | instskip(NEXT) | instid1(VALU_DEP_1)
	v_fma_f64 v[114:115], -v[6:7], v[112:113], 1.0
	v_fma_f64 v[112:113], v[112:113], v[114:115], v[112:113]
	v_div_scale_f64 v[114:115], vcc_lo, 1.0, v[4:5], 1.0
	s_delay_alu instid0(VALU_DEP_1) | instskip(NEXT) | instid1(VALU_DEP_1)
	v_mul_f64 v[116:117], v[114:115], v[112:113]
	v_fma_f64 v[6:7], -v[6:7], v[116:117], v[114:115]
	s_delay_alu instid0(VALU_DEP_1) | instskip(NEXT) | instid1(VALU_DEP_1)
	v_div_fmas_f64 v[6:7], v[6:7], v[112:113], v[116:117]
                                        ; implicit-def: $vgpr112_vgpr113
	v_div_fixup_f64 v[118:119], v[6:7], v[4:5], 1.0
	s_delay_alu instid0(VALU_DEP_1)
	v_mul_f64 v[0:1], v[0:1], v[118:119]
	v_xor_b32_e32 v119, 0x80000000, v119
.LBB125_365:
	s_and_not1_saveexec_b32 s3, s3
	s_cbranch_execz .LBB125_367
; %bb.366:
	v_div_scale_f64 v[0:1], null, v[112:113], v[112:113], v[114:115]
	v_div_scale_f64 v[116:117], vcc_lo, v[114:115], v[112:113], v[114:115]
	s_delay_alu instid0(VALU_DEP_2) | instskip(SKIP_2) | instid1(VALU_DEP_1)
	v_rcp_f64_e32 v[4:5], v[0:1]
	s_waitcnt_depctr 0xfff
	v_fma_f64 v[6:7], -v[0:1], v[4:5], 1.0
	v_fma_f64 v[4:5], v[4:5], v[6:7], v[4:5]
	s_delay_alu instid0(VALU_DEP_1) | instskip(NEXT) | instid1(VALU_DEP_1)
	v_fma_f64 v[6:7], -v[0:1], v[4:5], 1.0
	v_fma_f64 v[4:5], v[4:5], v[6:7], v[4:5]
	s_delay_alu instid0(VALU_DEP_1) | instskip(NEXT) | instid1(VALU_DEP_1)
	v_mul_f64 v[6:7], v[116:117], v[4:5]
	v_fma_f64 v[0:1], -v[0:1], v[6:7], v[116:117]
	s_delay_alu instid0(VALU_DEP_1) | instskip(NEXT) | instid1(VALU_DEP_1)
	v_div_fmas_f64 v[0:1], v[0:1], v[4:5], v[6:7]
	v_div_fixup_f64 v[4:5], v[0:1], v[112:113], v[114:115]
	s_delay_alu instid0(VALU_DEP_1) | instskip(NEXT) | instid1(VALU_DEP_1)
	v_fma_f64 v[0:1], v[114:115], v[4:5], v[112:113]
	v_div_scale_f64 v[6:7], null, v[0:1], v[0:1], 1.0
	s_delay_alu instid0(VALU_DEP_1) | instskip(SKIP_2) | instid1(VALU_DEP_1)
	v_rcp_f64_e32 v[112:113], v[6:7]
	s_waitcnt_depctr 0xfff
	v_fma_f64 v[114:115], -v[6:7], v[112:113], 1.0
	v_fma_f64 v[112:113], v[112:113], v[114:115], v[112:113]
	s_delay_alu instid0(VALU_DEP_1) | instskip(NEXT) | instid1(VALU_DEP_1)
	v_fma_f64 v[114:115], -v[6:7], v[112:113], 1.0
	v_fma_f64 v[112:113], v[112:113], v[114:115], v[112:113]
	v_div_scale_f64 v[114:115], vcc_lo, 1.0, v[0:1], 1.0
	s_delay_alu instid0(VALU_DEP_1) | instskip(NEXT) | instid1(VALU_DEP_1)
	v_mul_f64 v[116:117], v[114:115], v[112:113]
	v_fma_f64 v[6:7], -v[6:7], v[116:117], v[114:115]
	s_delay_alu instid0(VALU_DEP_1) | instskip(NEXT) | instid1(VALU_DEP_1)
	v_div_fmas_f64 v[6:7], v[6:7], v[112:113], v[116:117]
	v_div_fixup_f64 v[0:1], v[6:7], v[0:1], 1.0
	s_delay_alu instid0(VALU_DEP_1)
	v_mul_f64 v[118:119], v[4:5], -v[0:1]
.LBB125_367:
	s_or_b32 exec_lo, exec_lo, s3
	ds_store_2addr_b64 v254, v[0:1], v[118:119] offset1:1
.LBB125_368:
	s_or_b32 exec_lo, exec_lo, s4
	s_waitcnt lgkmcnt(0)
	s_barrier
	buffer_gl0_inv
	ds_load_2addr_b64 v[112:115], v254 offset1:1
	s_mov_b32 s3, exec_lo
	v_cmpx_lt_u32_e32 28, v253
	s_cbranch_execz .LBB125_371
; %bb.369:
	scratch_load_b128 v[118:121], off, off offset:448
	s_mov_b32 s4, 0
	s_waitcnt vmcnt(0) lgkmcnt(0)
	v_mul_f64 v[0:1], v[114:115], v[120:121]
	s_delay_alu instid0(VALU_DEP_1) | instskip(SKIP_1) | instid1(VALU_DEP_1)
	v_fma_f64 v[116:117], v[112:113], v[118:119], -v[0:1]
	v_mul_f64 v[0:1], v[112:113], v[120:121]
	v_fma_f64 v[118:119], v[114:115], v[118:119], v[0:1]
	v_add3_u32 v0, v184, 0, 0x1d0
	scratch_store_b128 off, v[116:119], off offset:448
	s_set_inst_prefetch_distance 0x1
	.p2align	6
.LBB125_370:                            ; =>This Inner Loop Header: Depth=1
	v_add_nc_u32_e32 v1, s4, v0
	v_add_nc_u32_e64 v124, s4, 0
	s_add_i32 s4, s4, 32
	s_delay_alu instid0(SALU_CYCLE_1)
	s_cmpk_lg_i32 s4, 0x220
	ds_load_2addr_b64 v[120:123], v1 offset1:1
	v_add_nc_u32_e32 v125, 0x1d0, v124
	s_waitcnt lgkmcnt(0)
	v_mul_f64 v[4:5], v[122:123], v[118:119]
	v_mul_f64 v[6:7], v[120:121], v[118:119]
	s_delay_alu instid0(VALU_DEP_2) | instskip(NEXT) | instid1(VALU_DEP_2)
	v_fma_f64 v[4:5], v[120:121], v[116:117], -v[4:5]
	v_fma_f64 v[6:7], v[122:123], v[116:117], v[6:7]
	scratch_load_b128 v[120:123], v125, off
	s_waitcnt vmcnt(0)
	v_add_f64 v[120:121], v[120:121], -v[4:5]
	v_add_f64 v[122:123], v[122:123], -v[6:7]
	scratch_store_b128 v125, v[120:123], off
	ds_load_2addr_b64 v[120:123], v1 offset0:2 offset1:3
	v_add_nc_u32_e32 v1, 0x1e0, v124
	s_waitcnt lgkmcnt(0)
	v_mul_f64 v[4:5], v[122:123], v[118:119]
	v_mul_f64 v[6:7], v[120:121], v[118:119]
	s_delay_alu instid0(VALU_DEP_2) | instskip(NEXT) | instid1(VALU_DEP_2)
	v_fma_f64 v[4:5], v[120:121], v[116:117], -v[4:5]
	v_fma_f64 v[6:7], v[122:123], v[116:117], v[6:7]
	scratch_load_b128 v[120:123], v1, off
	s_waitcnt vmcnt(0)
	v_add_f64 v[120:121], v[120:121], -v[4:5]
	v_add_f64 v[122:123], v[122:123], -v[6:7]
	scratch_store_b128 v1, v[120:123], off
	s_cbranch_scc1 .LBB125_370
.LBB125_371:
	s_set_inst_prefetch_distance 0x2
	s_or_b32 exec_lo, exec_lo, s3
	s_delay_alu instid0(SALU_CYCLE_1)
	s_mov_b32 s4, exec_lo
	s_waitcnt lgkmcnt(0)
	s_waitcnt_vscnt null, 0x0
	s_barrier
	buffer_gl0_inv
	v_cmpx_eq_u32_e32 29, v253
	s_cbranch_execz .LBB125_378
; %bb.372:
	scratch_load_b32 v0, off, off offset:1132 ; 4-byte Folded Reload
	s_waitcnt vmcnt(0)
	scratch_load_b128 v[116:119], v0, off
	scratch_load_b32 v0, off, off offset:1128 ; 4-byte Folded Reload
	s_waitcnt vmcnt(1)
	ds_store_2addr_b64 v254, v[116:117], v[118:119] offset1:1
	s_waitcnt vmcnt(0)
	scratch_load_b128 v[116:119], v0, off
	scratch_load_b32 v0, off, off offset:1124 ; 4-byte Folded Reload
	s_waitcnt vmcnt(1)
	ds_store_2addr_b64 v252, v[116:117], v[118:119] offset0:60 offset1:61
	s_waitcnt vmcnt(0)
	scratch_load_b128 v[116:119], v0, off
	scratch_load_b32 v0, off, off offset:1120 ; 4-byte Folded Reload
	s_waitcnt vmcnt(1)
	ds_store_2addr_b64 v252, v[116:117], v[118:119] offset0:62 offset1:63
	;; [unrolled: 5-line block ×30, first 2 shown]
	s_waitcnt vmcnt(0)
	scratch_load_b128 v[116:119], v0, off
	s_waitcnt vmcnt(0)
	ds_store_2addr_b64 v252, v[116:117], v[118:119] offset0:120 offset1:121
	scratch_load_b128 v[116:119], v3, off
	s_waitcnt vmcnt(0)
	ds_store_2addr_b64 v252, v[116:117], v[118:119] offset0:122 offset1:123
	;; [unrolled: 3-line block ×3, first 2 shown]
	ds_load_2addr_b64 v[116:119], v254 offset1:1
	s_waitcnt lgkmcnt(0)
	v_cmp_neq_f64_e32 vcc_lo, 0, v[116:117]
	v_cmp_neq_f64_e64 s3, 0, v[118:119]
	s_delay_alu instid0(VALU_DEP_1) | instskip(NEXT) | instid1(SALU_CYCLE_1)
	s_or_b32 s3, vcc_lo, s3
	s_and_b32 exec_lo, exec_lo, s3
	s_cbranch_execz .LBB125_378
; %bb.373:
	v_cmp_gt_f64_e32 vcc_lo, 0, v[116:117]
	v_xor_b32_e32 v0, 0x80000000, v117
	v_xor_b32_e32 v4, 0x80000000, v119
	s_delay_alu instid0(VALU_DEP_2) | instskip(SKIP_2) | instid1(VALU_DEP_4)
	v_cndmask_b32_e32 v1, v117, v0, vcc_lo
	v_cndmask_b32_e32 v0, v116, v116, vcc_lo
	v_cmp_gt_f64_e32 vcc_lo, 0, v[118:119]
	v_dual_cndmask_b32 v5, v119, v4 :: v_dual_cndmask_b32 v4, v118, v118
	s_delay_alu instid0(VALU_DEP_1) | instskip(SKIP_1) | instid1(SALU_CYCLE_1)
	v_cmp_ngt_f64_e32 vcc_lo, v[0:1], v[4:5]
                                        ; implicit-def: $vgpr0_vgpr1
	s_and_saveexec_b32 s3, vcc_lo
	s_xor_b32 s3, exec_lo, s3
                                        ; implicit-def: $vgpr120_vgpr121_vgpr122_vgpr123
	s_cbranch_execz .LBB125_375
; %bb.374:
	v_div_scale_f64 v[0:1], null, v[118:119], v[118:119], v[116:117]
	v_div_scale_f64 v[120:121], vcc_lo, v[116:117], v[118:119], v[116:117]
	s_delay_alu instid0(VALU_DEP_2) | instskip(SKIP_2) | instid1(VALU_DEP_1)
	v_rcp_f64_e32 v[4:5], v[0:1]
	s_waitcnt_depctr 0xfff
	v_fma_f64 v[6:7], -v[0:1], v[4:5], 1.0
	v_fma_f64 v[4:5], v[4:5], v[6:7], v[4:5]
	s_delay_alu instid0(VALU_DEP_1) | instskip(NEXT) | instid1(VALU_DEP_1)
	v_fma_f64 v[6:7], -v[0:1], v[4:5], 1.0
	v_fma_f64 v[4:5], v[4:5], v[6:7], v[4:5]
	s_delay_alu instid0(VALU_DEP_1) | instskip(NEXT) | instid1(VALU_DEP_1)
	v_mul_f64 v[6:7], v[120:121], v[4:5]
	v_fma_f64 v[0:1], -v[0:1], v[6:7], v[120:121]
	s_delay_alu instid0(VALU_DEP_1) | instskip(NEXT) | instid1(VALU_DEP_1)
	v_div_fmas_f64 v[0:1], v[0:1], v[4:5], v[6:7]
	v_div_fixup_f64 v[0:1], v[0:1], v[118:119], v[116:117]
	s_delay_alu instid0(VALU_DEP_1) | instskip(NEXT) | instid1(VALU_DEP_1)
	v_fma_f64 v[4:5], v[116:117], v[0:1], v[118:119]
	v_div_scale_f64 v[6:7], null, v[4:5], v[4:5], 1.0
	s_delay_alu instid0(VALU_DEP_1) | instskip(SKIP_2) | instid1(VALU_DEP_1)
	v_rcp_f64_e32 v[116:117], v[6:7]
	s_waitcnt_depctr 0xfff
	v_fma_f64 v[118:119], -v[6:7], v[116:117], 1.0
	v_fma_f64 v[116:117], v[116:117], v[118:119], v[116:117]
	s_delay_alu instid0(VALU_DEP_1) | instskip(NEXT) | instid1(VALU_DEP_1)
	v_fma_f64 v[118:119], -v[6:7], v[116:117], 1.0
	v_fma_f64 v[116:117], v[116:117], v[118:119], v[116:117]
	v_div_scale_f64 v[118:119], vcc_lo, 1.0, v[4:5], 1.0
	s_delay_alu instid0(VALU_DEP_1) | instskip(NEXT) | instid1(VALU_DEP_1)
	v_mul_f64 v[120:121], v[118:119], v[116:117]
	v_fma_f64 v[6:7], -v[6:7], v[120:121], v[118:119]
	s_delay_alu instid0(VALU_DEP_1) | instskip(NEXT) | instid1(VALU_DEP_1)
	v_div_fmas_f64 v[6:7], v[6:7], v[116:117], v[120:121]
                                        ; implicit-def: $vgpr116_vgpr117
	v_div_fixup_f64 v[122:123], v[6:7], v[4:5], 1.0
	s_delay_alu instid0(VALU_DEP_1)
	v_mul_f64 v[0:1], v[0:1], v[122:123]
	v_xor_b32_e32 v123, 0x80000000, v123
.LBB125_375:
	s_and_not1_saveexec_b32 s3, s3
	s_cbranch_execz .LBB125_377
; %bb.376:
	v_div_scale_f64 v[0:1], null, v[116:117], v[116:117], v[118:119]
	v_div_scale_f64 v[120:121], vcc_lo, v[118:119], v[116:117], v[118:119]
	s_delay_alu instid0(VALU_DEP_2) | instskip(SKIP_2) | instid1(VALU_DEP_1)
	v_rcp_f64_e32 v[4:5], v[0:1]
	s_waitcnt_depctr 0xfff
	v_fma_f64 v[6:7], -v[0:1], v[4:5], 1.0
	v_fma_f64 v[4:5], v[4:5], v[6:7], v[4:5]
	s_delay_alu instid0(VALU_DEP_1) | instskip(NEXT) | instid1(VALU_DEP_1)
	v_fma_f64 v[6:7], -v[0:1], v[4:5], 1.0
	v_fma_f64 v[4:5], v[4:5], v[6:7], v[4:5]
	s_delay_alu instid0(VALU_DEP_1) | instskip(NEXT) | instid1(VALU_DEP_1)
	v_mul_f64 v[6:7], v[120:121], v[4:5]
	v_fma_f64 v[0:1], -v[0:1], v[6:7], v[120:121]
	s_delay_alu instid0(VALU_DEP_1) | instskip(NEXT) | instid1(VALU_DEP_1)
	v_div_fmas_f64 v[0:1], v[0:1], v[4:5], v[6:7]
	v_div_fixup_f64 v[4:5], v[0:1], v[116:117], v[118:119]
	s_delay_alu instid0(VALU_DEP_1) | instskip(NEXT) | instid1(VALU_DEP_1)
	v_fma_f64 v[0:1], v[118:119], v[4:5], v[116:117]
	v_div_scale_f64 v[6:7], null, v[0:1], v[0:1], 1.0
	s_delay_alu instid0(VALU_DEP_1) | instskip(SKIP_2) | instid1(VALU_DEP_1)
	v_rcp_f64_e32 v[116:117], v[6:7]
	s_waitcnt_depctr 0xfff
	v_fma_f64 v[118:119], -v[6:7], v[116:117], 1.0
	v_fma_f64 v[116:117], v[116:117], v[118:119], v[116:117]
	s_delay_alu instid0(VALU_DEP_1) | instskip(NEXT) | instid1(VALU_DEP_1)
	v_fma_f64 v[118:119], -v[6:7], v[116:117], 1.0
	v_fma_f64 v[116:117], v[116:117], v[118:119], v[116:117]
	v_div_scale_f64 v[118:119], vcc_lo, 1.0, v[0:1], 1.0
	s_delay_alu instid0(VALU_DEP_1) | instskip(NEXT) | instid1(VALU_DEP_1)
	v_mul_f64 v[120:121], v[118:119], v[116:117]
	v_fma_f64 v[6:7], -v[6:7], v[120:121], v[118:119]
	s_delay_alu instid0(VALU_DEP_1) | instskip(NEXT) | instid1(VALU_DEP_1)
	v_div_fmas_f64 v[6:7], v[6:7], v[116:117], v[120:121]
	v_div_fixup_f64 v[0:1], v[6:7], v[0:1], 1.0
	s_delay_alu instid0(VALU_DEP_1)
	v_mul_f64 v[122:123], v[4:5], -v[0:1]
.LBB125_377:
	s_or_b32 exec_lo, exec_lo, s3
	ds_store_2addr_b64 v254, v[0:1], v[122:123] offset1:1
.LBB125_378:
	s_or_b32 exec_lo, exec_lo, s4
	s_waitcnt lgkmcnt(0)
	s_barrier
	buffer_gl0_inv
	ds_load_2addr_b64 v[116:119], v254 offset1:1
	s_mov_b32 s3, exec_lo
	v_cmpx_lt_u32_e32 29, v253
	s_cbranch_execz .LBB125_381
; %bb.379:
	scratch_load_b128 v[122:125], off, off offset:464
	s_mov_b32 s4, 0
	s_waitcnt vmcnt(0) lgkmcnt(0)
	v_mul_f64 v[0:1], v[118:119], v[124:125]
	s_delay_alu instid0(VALU_DEP_1) | instskip(SKIP_1) | instid1(VALU_DEP_1)
	v_fma_f64 v[120:121], v[116:117], v[122:123], -v[0:1]
	v_mul_f64 v[0:1], v[116:117], v[124:125]
	v_fma_f64 v[122:123], v[118:119], v[122:123], v[0:1]
	v_add3_u32 v0, v184, 0, 0x1e0
	v_mov_b32_e32 v1, 0
	scratch_store_b128 off, v[120:123], off offset:464
.LBB125_380:                            ; =>This Inner Loop Header: Depth=1
	v_add_nc_u32_e32 v128, s4, v0
	v_readfirstlane_b32 s5, v1
	ds_load_2addr_b64 v[124:127], v128 offset1:1
	s_add_i32 s5, s5, s4
	s_add_i32 s4, s4, 48
	;; [unrolled: 1-line block ×3, first 2 shown]
	s_waitcnt lgkmcnt(0)
	v_mul_f64 v[4:5], v[126:127], v[122:123]
	v_mul_f64 v[6:7], v[124:125], v[122:123]
	s_delay_alu instid0(VALU_DEP_2) | instskip(NEXT) | instid1(VALU_DEP_2)
	v_fma_f64 v[4:5], v[124:125], v[120:121], -v[4:5]
	v_fma_f64 v[6:7], v[126:127], v[120:121], v[6:7]
	scratch_load_b128 v[124:127], off, s6
	s_waitcnt vmcnt(0)
	v_add_f64 v[124:125], v[124:125], -v[4:5]
	v_add_f64 v[126:127], v[126:127], -v[6:7]
	scratch_store_b128 off, v[124:127], s6
	ds_load_2addr_b64 v[124:127], v128 offset0:2 offset1:3
	s_add_i32 s6, s5, 0x1f0
	s_addk_i32 s5, 0x200
	s_cmpk_lg_i32 s4, 0x210
	s_waitcnt lgkmcnt(0)
	v_mul_f64 v[4:5], v[126:127], v[122:123]
	v_mul_f64 v[6:7], v[124:125], v[122:123]
	s_delay_alu instid0(VALU_DEP_2) | instskip(NEXT) | instid1(VALU_DEP_2)
	v_fma_f64 v[4:5], v[124:125], v[120:121], -v[4:5]
	v_fma_f64 v[6:7], v[126:127], v[120:121], v[6:7]
	scratch_load_b128 v[124:127], off, s6
	s_waitcnt vmcnt(0)
	v_add_f64 v[124:125], v[124:125], -v[4:5]
	v_add_f64 v[126:127], v[126:127], -v[6:7]
	scratch_store_b128 off, v[124:127], s6
	ds_load_2addr_b64 v[124:127], v128 offset0:4 offset1:5
	s_waitcnt lgkmcnt(0)
	v_mul_f64 v[4:5], v[126:127], v[122:123]
	v_mul_f64 v[6:7], v[124:125], v[122:123]
	s_delay_alu instid0(VALU_DEP_2) | instskip(NEXT) | instid1(VALU_DEP_2)
	v_fma_f64 v[4:5], v[124:125], v[120:121], -v[4:5]
	v_fma_f64 v[6:7], v[126:127], v[120:121], v[6:7]
	scratch_load_b128 v[124:127], off, s5
	s_waitcnt vmcnt(0)
	v_add_f64 v[124:125], v[124:125], -v[4:5]
	v_add_f64 v[126:127], v[126:127], -v[6:7]
	scratch_store_b128 off, v[124:127], s5
	s_cbranch_scc1 .LBB125_380
.LBB125_381:
	s_or_b32 exec_lo, exec_lo, s3
	s_delay_alu instid0(SALU_CYCLE_1)
	s_mov_b32 s4, exec_lo
	s_waitcnt lgkmcnt(0)
	s_waitcnt_vscnt null, 0x0
	s_barrier
	buffer_gl0_inv
	v_cmpx_eq_u32_e32 30, v253
	s_cbranch_execz .LBB125_388
; %bb.382:
	scratch_load_b32 v0, off, off offset:1128 ; 4-byte Folded Reload
	s_waitcnt vmcnt(0)
	scratch_load_b128 v[120:123], v0, off
	scratch_load_b32 v0, off, off offset:1124 ; 4-byte Folded Reload
	s_waitcnt vmcnt(1)
	ds_store_2addr_b64 v254, v[120:121], v[122:123] offset1:1
	s_waitcnt vmcnt(0)
	scratch_load_b128 v[120:123], v0, off
	scratch_load_b32 v0, off, off offset:1120 ; 4-byte Folded Reload
	s_waitcnt vmcnt(1)
	ds_store_2addr_b64 v252, v[120:121], v[122:123] offset0:62 offset1:63
	s_waitcnt vmcnt(0)
	scratch_load_b128 v[120:123], v0, off
	scratch_load_b32 v0, off, off offset:1116 ; 4-byte Folded Reload
	s_waitcnt vmcnt(1)
	ds_store_2addr_b64 v252, v[120:121], v[122:123] offset0:64 offset1:65
	;; [unrolled: 5-line block ×29, first 2 shown]
	s_waitcnt vmcnt(0)
	scratch_load_b128 v[120:123], v0, off
	s_waitcnt vmcnt(0)
	ds_store_2addr_b64 v252, v[120:121], v[122:123] offset0:120 offset1:121
	scratch_load_b128 v[120:123], v3, off
	s_waitcnt vmcnt(0)
	ds_store_2addr_b64 v252, v[120:121], v[122:123] offset0:122 offset1:123
	;; [unrolled: 3-line block ×3, first 2 shown]
	ds_load_2addr_b64 v[120:123], v254 offset1:1
	s_waitcnt lgkmcnt(0)
	v_cmp_neq_f64_e32 vcc_lo, 0, v[120:121]
	v_cmp_neq_f64_e64 s3, 0, v[122:123]
	s_delay_alu instid0(VALU_DEP_1) | instskip(NEXT) | instid1(SALU_CYCLE_1)
	s_or_b32 s3, vcc_lo, s3
	s_and_b32 exec_lo, exec_lo, s3
	s_cbranch_execz .LBB125_388
; %bb.383:
	v_cmp_gt_f64_e32 vcc_lo, 0, v[120:121]
	v_xor_b32_e32 v0, 0x80000000, v121
	v_xor_b32_e32 v4, 0x80000000, v123
	s_delay_alu instid0(VALU_DEP_2) | instskip(SKIP_2) | instid1(VALU_DEP_4)
	v_cndmask_b32_e32 v1, v121, v0, vcc_lo
	v_cndmask_b32_e32 v0, v120, v120, vcc_lo
	v_cmp_gt_f64_e32 vcc_lo, 0, v[122:123]
	v_dual_cndmask_b32 v5, v123, v4 :: v_dual_cndmask_b32 v4, v122, v122
	s_delay_alu instid0(VALU_DEP_1) | instskip(SKIP_1) | instid1(SALU_CYCLE_1)
	v_cmp_ngt_f64_e32 vcc_lo, v[0:1], v[4:5]
                                        ; implicit-def: $vgpr0_vgpr1
	s_and_saveexec_b32 s3, vcc_lo
	s_xor_b32 s3, exec_lo, s3
                                        ; implicit-def: $vgpr124_vgpr125_vgpr126_vgpr127
	s_cbranch_execz .LBB125_385
; %bb.384:
	v_div_scale_f64 v[0:1], null, v[122:123], v[122:123], v[120:121]
	v_div_scale_f64 v[124:125], vcc_lo, v[120:121], v[122:123], v[120:121]
	s_delay_alu instid0(VALU_DEP_2) | instskip(SKIP_2) | instid1(VALU_DEP_1)
	v_rcp_f64_e32 v[4:5], v[0:1]
	s_waitcnt_depctr 0xfff
	v_fma_f64 v[6:7], -v[0:1], v[4:5], 1.0
	v_fma_f64 v[4:5], v[4:5], v[6:7], v[4:5]
	s_delay_alu instid0(VALU_DEP_1) | instskip(NEXT) | instid1(VALU_DEP_1)
	v_fma_f64 v[6:7], -v[0:1], v[4:5], 1.0
	v_fma_f64 v[4:5], v[4:5], v[6:7], v[4:5]
	s_delay_alu instid0(VALU_DEP_1) | instskip(NEXT) | instid1(VALU_DEP_1)
	v_mul_f64 v[6:7], v[124:125], v[4:5]
	v_fma_f64 v[0:1], -v[0:1], v[6:7], v[124:125]
	s_delay_alu instid0(VALU_DEP_1) | instskip(NEXT) | instid1(VALU_DEP_1)
	v_div_fmas_f64 v[0:1], v[0:1], v[4:5], v[6:7]
	v_div_fixup_f64 v[0:1], v[0:1], v[122:123], v[120:121]
	s_delay_alu instid0(VALU_DEP_1) | instskip(NEXT) | instid1(VALU_DEP_1)
	v_fma_f64 v[4:5], v[120:121], v[0:1], v[122:123]
	v_div_scale_f64 v[6:7], null, v[4:5], v[4:5], 1.0
	s_delay_alu instid0(VALU_DEP_1) | instskip(SKIP_2) | instid1(VALU_DEP_1)
	v_rcp_f64_e32 v[120:121], v[6:7]
	s_waitcnt_depctr 0xfff
	v_fma_f64 v[122:123], -v[6:7], v[120:121], 1.0
	v_fma_f64 v[120:121], v[120:121], v[122:123], v[120:121]
	s_delay_alu instid0(VALU_DEP_1) | instskip(NEXT) | instid1(VALU_DEP_1)
	v_fma_f64 v[122:123], -v[6:7], v[120:121], 1.0
	v_fma_f64 v[120:121], v[120:121], v[122:123], v[120:121]
	v_div_scale_f64 v[122:123], vcc_lo, 1.0, v[4:5], 1.0
	s_delay_alu instid0(VALU_DEP_1) | instskip(NEXT) | instid1(VALU_DEP_1)
	v_mul_f64 v[124:125], v[122:123], v[120:121]
	v_fma_f64 v[6:7], -v[6:7], v[124:125], v[122:123]
	s_delay_alu instid0(VALU_DEP_1) | instskip(NEXT) | instid1(VALU_DEP_1)
	v_div_fmas_f64 v[6:7], v[6:7], v[120:121], v[124:125]
                                        ; implicit-def: $vgpr120_vgpr121
	v_div_fixup_f64 v[126:127], v[6:7], v[4:5], 1.0
	s_delay_alu instid0(VALU_DEP_1)
	v_mul_f64 v[0:1], v[0:1], v[126:127]
	v_xor_b32_e32 v127, 0x80000000, v127
.LBB125_385:
	s_and_not1_saveexec_b32 s3, s3
	s_cbranch_execz .LBB125_387
; %bb.386:
	v_div_scale_f64 v[0:1], null, v[120:121], v[120:121], v[122:123]
	v_div_scale_f64 v[124:125], vcc_lo, v[122:123], v[120:121], v[122:123]
	s_delay_alu instid0(VALU_DEP_2) | instskip(SKIP_2) | instid1(VALU_DEP_1)
	v_rcp_f64_e32 v[4:5], v[0:1]
	s_waitcnt_depctr 0xfff
	v_fma_f64 v[6:7], -v[0:1], v[4:5], 1.0
	v_fma_f64 v[4:5], v[4:5], v[6:7], v[4:5]
	s_delay_alu instid0(VALU_DEP_1) | instskip(NEXT) | instid1(VALU_DEP_1)
	v_fma_f64 v[6:7], -v[0:1], v[4:5], 1.0
	v_fma_f64 v[4:5], v[4:5], v[6:7], v[4:5]
	s_delay_alu instid0(VALU_DEP_1) | instskip(NEXT) | instid1(VALU_DEP_1)
	v_mul_f64 v[6:7], v[124:125], v[4:5]
	v_fma_f64 v[0:1], -v[0:1], v[6:7], v[124:125]
	s_delay_alu instid0(VALU_DEP_1) | instskip(NEXT) | instid1(VALU_DEP_1)
	v_div_fmas_f64 v[0:1], v[0:1], v[4:5], v[6:7]
	v_div_fixup_f64 v[4:5], v[0:1], v[120:121], v[122:123]
	s_delay_alu instid0(VALU_DEP_1) | instskip(NEXT) | instid1(VALU_DEP_1)
	v_fma_f64 v[0:1], v[122:123], v[4:5], v[120:121]
	v_div_scale_f64 v[6:7], null, v[0:1], v[0:1], 1.0
	s_delay_alu instid0(VALU_DEP_1) | instskip(SKIP_2) | instid1(VALU_DEP_1)
	v_rcp_f64_e32 v[120:121], v[6:7]
	s_waitcnt_depctr 0xfff
	v_fma_f64 v[122:123], -v[6:7], v[120:121], 1.0
	v_fma_f64 v[120:121], v[120:121], v[122:123], v[120:121]
	s_delay_alu instid0(VALU_DEP_1) | instskip(NEXT) | instid1(VALU_DEP_1)
	v_fma_f64 v[122:123], -v[6:7], v[120:121], 1.0
	v_fma_f64 v[120:121], v[120:121], v[122:123], v[120:121]
	v_div_scale_f64 v[122:123], vcc_lo, 1.0, v[0:1], 1.0
	s_delay_alu instid0(VALU_DEP_1) | instskip(NEXT) | instid1(VALU_DEP_1)
	v_mul_f64 v[124:125], v[122:123], v[120:121]
	v_fma_f64 v[6:7], -v[6:7], v[124:125], v[122:123]
	s_delay_alu instid0(VALU_DEP_1) | instskip(NEXT) | instid1(VALU_DEP_1)
	v_div_fmas_f64 v[6:7], v[6:7], v[120:121], v[124:125]
	v_div_fixup_f64 v[0:1], v[6:7], v[0:1], 1.0
	s_delay_alu instid0(VALU_DEP_1)
	v_mul_f64 v[126:127], v[4:5], -v[0:1]
.LBB125_387:
	s_or_b32 exec_lo, exec_lo, s3
	ds_store_2addr_b64 v254, v[0:1], v[126:127] offset1:1
.LBB125_388:
	s_or_b32 exec_lo, exec_lo, s4
	s_waitcnt lgkmcnt(0)
	s_barrier
	buffer_gl0_inv
	ds_load_2addr_b64 v[120:123], v254 offset1:1
	s_mov_b32 s3, exec_lo
	v_cmpx_lt_u32_e32 30, v253
	s_cbranch_execz .LBB125_391
; %bb.389:
	scratch_load_b128 v[126:129], off, off offset:480
	s_mov_b32 s4, 0
	s_waitcnt vmcnt(0) lgkmcnt(0)
	v_mul_f64 v[0:1], v[122:123], v[128:129]
	s_delay_alu instid0(VALU_DEP_1) | instskip(SKIP_1) | instid1(VALU_DEP_1)
	v_fma_f64 v[124:125], v[120:121], v[126:127], -v[0:1]
	v_mul_f64 v[0:1], v[120:121], v[128:129]
	v_fma_f64 v[126:127], v[122:123], v[126:127], v[0:1]
	v_add3_u32 v0, v184, 0, 0x1f0
	v_mov_b32_e32 v1, 0
	scratch_store_b128 off, v[124:127], off offset:480
.LBB125_390:                            ; =>This Inner Loop Header: Depth=1
	v_add_nc_u32_e32 v132, s4, v0
	v_readfirstlane_b32 s5, v1
	ds_load_2addr_b64 v[128:131], v132 offset1:1
	s_add_i32 s5, s5, s4
	s_add_i32 s4, s4, 64
	;; [unrolled: 1-line block ×3, first 2 shown]
	s_waitcnt lgkmcnt(0)
	v_mul_f64 v[4:5], v[130:131], v[126:127]
	v_mul_f64 v[6:7], v[128:129], v[126:127]
	s_delay_alu instid0(VALU_DEP_2) | instskip(NEXT) | instid1(VALU_DEP_2)
	v_fma_f64 v[4:5], v[128:129], v[124:125], -v[4:5]
	v_fma_f64 v[6:7], v[130:131], v[124:125], v[6:7]
	scratch_load_b128 v[128:131], off, s6
	s_waitcnt vmcnt(0)
	v_add_f64 v[128:129], v[128:129], -v[4:5]
	v_add_f64 v[130:131], v[130:131], -v[6:7]
	scratch_store_b128 off, v[128:131], s6
	ds_load_2addr_b64 v[128:131], v132 offset0:2 offset1:3
	s_add_i32 s6, s5, 0x200
	s_waitcnt lgkmcnt(0)
	v_mul_f64 v[4:5], v[130:131], v[126:127]
	v_mul_f64 v[6:7], v[128:129], v[126:127]
	s_delay_alu instid0(VALU_DEP_2) | instskip(NEXT) | instid1(VALU_DEP_2)
	v_fma_f64 v[4:5], v[128:129], v[124:125], -v[4:5]
	v_fma_f64 v[6:7], v[130:131], v[124:125], v[6:7]
	scratch_load_b128 v[128:131], off, s6
	s_waitcnt vmcnt(0)
	v_add_f64 v[128:129], v[128:129], -v[4:5]
	v_add_f64 v[130:131], v[130:131], -v[6:7]
	scratch_store_b128 off, v[128:131], s6
	ds_load_2addr_b64 v[128:131], v132 offset0:4 offset1:5
	s_add_i32 s6, s5, 0x210
	s_addk_i32 s5, 0x220
	s_cmpk_lg_i32 s4, 0x200
	s_waitcnt lgkmcnt(0)
	v_mul_f64 v[4:5], v[130:131], v[126:127]
	v_mul_f64 v[6:7], v[128:129], v[126:127]
	s_delay_alu instid0(VALU_DEP_2) | instskip(NEXT) | instid1(VALU_DEP_2)
	v_fma_f64 v[4:5], v[128:129], v[124:125], -v[4:5]
	v_fma_f64 v[6:7], v[130:131], v[124:125], v[6:7]
	scratch_load_b128 v[128:131], off, s6
	s_waitcnt vmcnt(0)
	v_add_f64 v[128:129], v[128:129], -v[4:5]
	v_add_f64 v[130:131], v[130:131], -v[6:7]
	scratch_store_b128 off, v[128:131], s6
	ds_load_2addr_b64 v[128:131], v132 offset0:6 offset1:7
	s_waitcnt lgkmcnt(0)
	v_mul_f64 v[4:5], v[130:131], v[126:127]
	v_mul_f64 v[6:7], v[128:129], v[126:127]
	s_delay_alu instid0(VALU_DEP_2) | instskip(NEXT) | instid1(VALU_DEP_2)
	v_fma_f64 v[4:5], v[128:129], v[124:125], -v[4:5]
	v_fma_f64 v[6:7], v[130:131], v[124:125], v[6:7]
	scratch_load_b128 v[128:131], off, s5
	s_waitcnt vmcnt(0)
	v_add_f64 v[128:129], v[128:129], -v[4:5]
	v_add_f64 v[130:131], v[130:131], -v[6:7]
	scratch_store_b128 off, v[128:131], s5
	s_cbranch_scc1 .LBB125_390
.LBB125_391:
	s_or_b32 exec_lo, exec_lo, s3
	s_delay_alu instid0(SALU_CYCLE_1)
	s_mov_b32 s4, exec_lo
	s_waitcnt lgkmcnt(0)
	s_waitcnt_vscnt null, 0x0
	s_barrier
	buffer_gl0_inv
	v_cmpx_eq_u32_e32 31, v253
	s_cbranch_execz .LBB125_398
; %bb.392:
	scratch_load_b32 v0, off, off offset:1124 ; 4-byte Folded Reload
	s_waitcnt vmcnt(0)
	scratch_load_b128 v[124:127], v0, off
	scratch_load_b32 v0, off, off offset:1120 ; 4-byte Folded Reload
	s_waitcnt vmcnt(1)
	ds_store_2addr_b64 v254, v[124:125], v[126:127] offset1:1
	s_waitcnt vmcnt(0)
	scratch_load_b128 v[124:127], v0, off
	scratch_load_b32 v0, off, off offset:1116 ; 4-byte Folded Reload
	s_waitcnt vmcnt(1)
	ds_store_2addr_b64 v252, v[124:125], v[126:127] offset0:64 offset1:65
	s_waitcnt vmcnt(0)
	scratch_load_b128 v[124:127], v0, off
	scratch_load_b32 v0, off, off offset:1112 ; 4-byte Folded Reload
	s_waitcnt vmcnt(1)
	ds_store_2addr_b64 v252, v[124:125], v[126:127] offset0:66 offset1:67
	;; [unrolled: 5-line block ×28, first 2 shown]
	s_waitcnt vmcnt(0)
	scratch_load_b128 v[124:127], v0, off
	s_waitcnt vmcnt(0)
	ds_store_2addr_b64 v252, v[124:125], v[126:127] offset0:120 offset1:121
	scratch_load_b128 v[124:127], v3, off
	s_waitcnt vmcnt(0)
	ds_store_2addr_b64 v252, v[124:125], v[126:127] offset0:122 offset1:123
	;; [unrolled: 3-line block ×3, first 2 shown]
	ds_load_2addr_b64 v[124:127], v254 offset1:1
	s_waitcnt lgkmcnt(0)
	v_cmp_neq_f64_e32 vcc_lo, 0, v[124:125]
	v_cmp_neq_f64_e64 s3, 0, v[126:127]
	s_delay_alu instid0(VALU_DEP_1) | instskip(NEXT) | instid1(SALU_CYCLE_1)
	s_or_b32 s3, vcc_lo, s3
	s_and_b32 exec_lo, exec_lo, s3
	s_cbranch_execz .LBB125_398
; %bb.393:
	v_cmp_gt_f64_e32 vcc_lo, 0, v[124:125]
	v_xor_b32_e32 v0, 0x80000000, v125
	v_xor_b32_e32 v4, 0x80000000, v127
	s_delay_alu instid0(VALU_DEP_2) | instskip(SKIP_2) | instid1(VALU_DEP_4)
	v_cndmask_b32_e32 v1, v125, v0, vcc_lo
	v_cndmask_b32_e32 v0, v124, v124, vcc_lo
	v_cmp_gt_f64_e32 vcc_lo, 0, v[126:127]
	v_dual_cndmask_b32 v5, v127, v4 :: v_dual_cndmask_b32 v4, v126, v126
	s_delay_alu instid0(VALU_DEP_1) | instskip(SKIP_1) | instid1(SALU_CYCLE_1)
	v_cmp_ngt_f64_e32 vcc_lo, v[0:1], v[4:5]
                                        ; implicit-def: $vgpr0_vgpr1
	s_and_saveexec_b32 s3, vcc_lo
	s_xor_b32 s3, exec_lo, s3
                                        ; implicit-def: $vgpr128_vgpr129_vgpr130_vgpr131
	s_cbranch_execz .LBB125_395
; %bb.394:
	v_div_scale_f64 v[0:1], null, v[126:127], v[126:127], v[124:125]
	v_div_scale_f64 v[128:129], vcc_lo, v[124:125], v[126:127], v[124:125]
	s_delay_alu instid0(VALU_DEP_2) | instskip(SKIP_2) | instid1(VALU_DEP_1)
	v_rcp_f64_e32 v[4:5], v[0:1]
	s_waitcnt_depctr 0xfff
	v_fma_f64 v[6:7], -v[0:1], v[4:5], 1.0
	v_fma_f64 v[4:5], v[4:5], v[6:7], v[4:5]
	s_delay_alu instid0(VALU_DEP_1) | instskip(NEXT) | instid1(VALU_DEP_1)
	v_fma_f64 v[6:7], -v[0:1], v[4:5], 1.0
	v_fma_f64 v[4:5], v[4:5], v[6:7], v[4:5]
	s_delay_alu instid0(VALU_DEP_1) | instskip(NEXT) | instid1(VALU_DEP_1)
	v_mul_f64 v[6:7], v[128:129], v[4:5]
	v_fma_f64 v[0:1], -v[0:1], v[6:7], v[128:129]
	s_delay_alu instid0(VALU_DEP_1) | instskip(NEXT) | instid1(VALU_DEP_1)
	v_div_fmas_f64 v[0:1], v[0:1], v[4:5], v[6:7]
	v_div_fixup_f64 v[0:1], v[0:1], v[126:127], v[124:125]
	s_delay_alu instid0(VALU_DEP_1) | instskip(NEXT) | instid1(VALU_DEP_1)
	v_fma_f64 v[4:5], v[124:125], v[0:1], v[126:127]
	v_div_scale_f64 v[6:7], null, v[4:5], v[4:5], 1.0
	s_delay_alu instid0(VALU_DEP_1) | instskip(SKIP_2) | instid1(VALU_DEP_1)
	v_rcp_f64_e32 v[124:125], v[6:7]
	s_waitcnt_depctr 0xfff
	v_fma_f64 v[126:127], -v[6:7], v[124:125], 1.0
	v_fma_f64 v[124:125], v[124:125], v[126:127], v[124:125]
	s_delay_alu instid0(VALU_DEP_1) | instskip(NEXT) | instid1(VALU_DEP_1)
	v_fma_f64 v[126:127], -v[6:7], v[124:125], 1.0
	v_fma_f64 v[124:125], v[124:125], v[126:127], v[124:125]
	v_div_scale_f64 v[126:127], vcc_lo, 1.0, v[4:5], 1.0
	s_delay_alu instid0(VALU_DEP_1) | instskip(NEXT) | instid1(VALU_DEP_1)
	v_mul_f64 v[128:129], v[126:127], v[124:125]
	v_fma_f64 v[6:7], -v[6:7], v[128:129], v[126:127]
	s_delay_alu instid0(VALU_DEP_1) | instskip(NEXT) | instid1(VALU_DEP_1)
	v_div_fmas_f64 v[6:7], v[6:7], v[124:125], v[128:129]
                                        ; implicit-def: $vgpr124_vgpr125
	v_div_fixup_f64 v[130:131], v[6:7], v[4:5], 1.0
	s_delay_alu instid0(VALU_DEP_1)
	v_mul_f64 v[0:1], v[0:1], v[130:131]
	v_xor_b32_e32 v131, 0x80000000, v131
.LBB125_395:
	s_and_not1_saveexec_b32 s3, s3
	s_cbranch_execz .LBB125_397
; %bb.396:
	v_div_scale_f64 v[0:1], null, v[124:125], v[124:125], v[126:127]
	v_div_scale_f64 v[128:129], vcc_lo, v[126:127], v[124:125], v[126:127]
	s_delay_alu instid0(VALU_DEP_2) | instskip(SKIP_2) | instid1(VALU_DEP_1)
	v_rcp_f64_e32 v[4:5], v[0:1]
	s_waitcnt_depctr 0xfff
	v_fma_f64 v[6:7], -v[0:1], v[4:5], 1.0
	v_fma_f64 v[4:5], v[4:5], v[6:7], v[4:5]
	s_delay_alu instid0(VALU_DEP_1) | instskip(NEXT) | instid1(VALU_DEP_1)
	v_fma_f64 v[6:7], -v[0:1], v[4:5], 1.0
	v_fma_f64 v[4:5], v[4:5], v[6:7], v[4:5]
	s_delay_alu instid0(VALU_DEP_1) | instskip(NEXT) | instid1(VALU_DEP_1)
	v_mul_f64 v[6:7], v[128:129], v[4:5]
	v_fma_f64 v[0:1], -v[0:1], v[6:7], v[128:129]
	s_delay_alu instid0(VALU_DEP_1) | instskip(NEXT) | instid1(VALU_DEP_1)
	v_div_fmas_f64 v[0:1], v[0:1], v[4:5], v[6:7]
	v_div_fixup_f64 v[4:5], v[0:1], v[124:125], v[126:127]
	s_delay_alu instid0(VALU_DEP_1) | instskip(NEXT) | instid1(VALU_DEP_1)
	v_fma_f64 v[0:1], v[126:127], v[4:5], v[124:125]
	v_div_scale_f64 v[6:7], null, v[0:1], v[0:1], 1.0
	s_delay_alu instid0(VALU_DEP_1) | instskip(SKIP_2) | instid1(VALU_DEP_1)
	v_rcp_f64_e32 v[124:125], v[6:7]
	s_waitcnt_depctr 0xfff
	v_fma_f64 v[126:127], -v[6:7], v[124:125], 1.0
	v_fma_f64 v[124:125], v[124:125], v[126:127], v[124:125]
	s_delay_alu instid0(VALU_DEP_1) | instskip(NEXT) | instid1(VALU_DEP_1)
	v_fma_f64 v[126:127], -v[6:7], v[124:125], 1.0
	v_fma_f64 v[124:125], v[124:125], v[126:127], v[124:125]
	v_div_scale_f64 v[126:127], vcc_lo, 1.0, v[0:1], 1.0
	s_delay_alu instid0(VALU_DEP_1) | instskip(NEXT) | instid1(VALU_DEP_1)
	v_mul_f64 v[128:129], v[126:127], v[124:125]
	v_fma_f64 v[6:7], -v[6:7], v[128:129], v[126:127]
	s_delay_alu instid0(VALU_DEP_1) | instskip(NEXT) | instid1(VALU_DEP_1)
	v_div_fmas_f64 v[6:7], v[6:7], v[124:125], v[128:129]
	v_div_fixup_f64 v[0:1], v[6:7], v[0:1], 1.0
	s_delay_alu instid0(VALU_DEP_1)
	v_mul_f64 v[130:131], v[4:5], -v[0:1]
.LBB125_397:
	s_or_b32 exec_lo, exec_lo, s3
	ds_store_2addr_b64 v254, v[0:1], v[130:131] offset1:1
.LBB125_398:
	s_or_b32 exec_lo, exec_lo, s4
	s_waitcnt lgkmcnt(0)
	s_barrier
	buffer_gl0_inv
	ds_load_2addr_b64 v[124:127], v254 offset1:1
	s_mov_b32 s3, exec_lo
	v_cmpx_lt_u32_e32 31, v253
	s_cbranch_execz .LBB125_403
; %bb.399:
	scratch_load_b128 v[130:133], off, off offset:496
	s_mov_b32 s4, 0
	s_waitcnt vmcnt(0) lgkmcnt(0)
	v_mul_f64 v[0:1], v[126:127], v[132:133]
	s_delay_alu instid0(VALU_DEP_1) | instskip(SKIP_1) | instid1(VALU_DEP_1)
	v_fma_f64 v[128:129], v[124:125], v[130:131], -v[0:1]
	v_mul_f64 v[0:1], v[124:125], v[132:133]
	v_fma_f64 v[130:131], v[126:127], v[130:131], v[0:1]
	v_add3_u32 v0, v184, 0, 0x200
	v_mov_b32_e32 v1, 0
	scratch_store_b128 off, v[128:131], off offset:496
	s_branch .LBB125_401
.LBB125_400:                            ;   in Loop: Header=BB125_401 Depth=1
	s_and_not1_b32 vcc_lo, exec_lo, s6
	s_cbranch_vccz .LBB125_403
.LBB125_401:                            ; =>This Inner Loop Header: Depth=1
	v_add_nc_u32_e32 v132, s4, v0
	v_readfirstlane_b32 s5, v1
	ds_load_2addr_b64 v[133:136], v132 offset1:1
	s_add_i32 s5, s5, s4
	s_delay_alu instid0(SALU_CYCLE_1) | instskip(SKIP_3) | instid1(VALU_DEP_2)
	s_add_i32 s6, s5, 0x200
	s_waitcnt lgkmcnt(0)
	v_mul_f64 v[4:5], v[135:136], v[130:131]
	v_mul_f64 v[6:7], v[133:134], v[130:131]
	v_fma_f64 v[4:5], v[133:134], v[128:129], -v[4:5]
	s_delay_alu instid0(VALU_DEP_2)
	v_fma_f64 v[6:7], v[135:136], v[128:129], v[6:7]
	scratch_load_b128 v[133:136], off, s6
	s_waitcnt vmcnt(0)
	v_add_f64 v[133:134], v[133:134], -v[4:5]
	v_add_f64 v[135:136], v[135:136], -v[6:7]
	scratch_store_b128 off, v[133:136], s6
	ds_load_2addr_b64 v[133:136], v132 offset0:2 offset1:3
	s_add_i32 s6, s5, 0x210
	s_waitcnt lgkmcnt(0)
	v_mul_f64 v[4:5], v[135:136], v[130:131]
	v_mul_f64 v[6:7], v[133:134], v[130:131]
	s_delay_alu instid0(VALU_DEP_2) | instskip(NEXT) | instid1(VALU_DEP_2)
	v_fma_f64 v[4:5], v[133:134], v[128:129], -v[4:5]
	v_fma_f64 v[6:7], v[135:136], v[128:129], v[6:7]
	scratch_load_b128 v[133:136], off, s6
	s_waitcnt vmcnt(0)
	v_add_f64 v[133:134], v[133:134], -v[4:5]
	v_add_f64 v[135:136], v[135:136], -v[6:7]
	scratch_store_b128 off, v[133:136], s6
	ds_load_2addr_b64 v[133:136], v132 offset0:4 offset1:5
	s_add_i32 s6, s5, 0x220
	s_cmpk_eq_i32 s4, 0x1c0
	s_waitcnt lgkmcnt(0)
	v_mul_f64 v[4:5], v[135:136], v[130:131]
	v_mul_f64 v[6:7], v[133:134], v[130:131]
	s_delay_alu instid0(VALU_DEP_2) | instskip(NEXT) | instid1(VALU_DEP_2)
	v_fma_f64 v[4:5], v[133:134], v[128:129], -v[4:5]
	v_fma_f64 v[6:7], v[135:136], v[128:129], v[6:7]
	scratch_load_b128 v[133:136], off, s6
	s_waitcnt vmcnt(0)
	v_add_f64 v[133:134], v[133:134], -v[4:5]
	v_add_f64 v[135:136], v[135:136], -v[6:7]
	scratch_store_b128 off, v[133:136], s6
	s_mov_b32 s6, -1
	s_cbranch_scc1 .LBB125_400
; %bb.402:                              ;   in Loop: Header=BB125_401 Depth=1
	ds_load_2addr_b64 v[132:135], v132 offset0:6 offset1:7
	s_addk_i32 s5, 0x230
	s_add_i32 s4, s4, 64
	s_mov_b32 s6, 0
	s_waitcnt lgkmcnt(0)
	v_mul_f64 v[4:5], v[134:135], v[130:131]
	v_mul_f64 v[6:7], v[132:133], v[130:131]
	s_delay_alu instid0(VALU_DEP_2) | instskip(NEXT) | instid1(VALU_DEP_2)
	v_fma_f64 v[4:5], v[132:133], v[128:129], -v[4:5]
	v_fma_f64 v[6:7], v[134:135], v[128:129], v[6:7]
	scratch_load_b128 v[132:135], off, s5
	s_waitcnt vmcnt(0)
	v_add_f64 v[132:133], v[132:133], -v[4:5]
	v_add_f64 v[134:135], v[134:135], -v[6:7]
	scratch_store_b128 off, v[132:135], s5
	s_branch .LBB125_400
.LBB125_403:
	s_or_b32 exec_lo, exec_lo, s3
	s_delay_alu instid0(SALU_CYCLE_1)
	s_mov_b32 s4, exec_lo
	s_waitcnt lgkmcnt(0)
	s_waitcnt_vscnt null, 0x0
	s_barrier
	buffer_gl0_inv
	v_cmpx_eq_u32_e32 32, v253
	s_cbranch_execz .LBB125_410
; %bb.404:
	scratch_load_b32 v0, off, off offset:1120 ; 4-byte Folded Reload
	s_waitcnt vmcnt(0)
	scratch_load_b128 v[128:131], v0, off
	scratch_load_b32 v0, off, off offset:1116 ; 4-byte Folded Reload
	s_waitcnt vmcnt(1)
	ds_store_2addr_b64 v254, v[128:129], v[130:131] offset1:1
	s_waitcnt vmcnt(0)
	scratch_load_b128 v[128:131], v0, off
	scratch_load_b32 v0, off, off offset:1112 ; 4-byte Folded Reload
	s_waitcnt vmcnt(1)
	ds_store_2addr_b64 v252, v[128:129], v[130:131] offset0:66 offset1:67
	s_waitcnt vmcnt(0)
	scratch_load_b128 v[128:131], v0, off
	scratch_load_b32 v0, off, off offset:1108 ; 4-byte Folded Reload
	s_waitcnt vmcnt(1)
	ds_store_2addr_b64 v252, v[128:129], v[130:131] offset0:68 offset1:69
	;; [unrolled: 5-line block ×27, first 2 shown]
	s_waitcnt vmcnt(0)
	scratch_load_b128 v[128:131], v0, off
	s_waitcnt vmcnt(0)
	ds_store_2addr_b64 v252, v[128:129], v[130:131] offset0:120 offset1:121
	scratch_load_b128 v[128:131], v3, off
	s_waitcnt vmcnt(0)
	ds_store_2addr_b64 v252, v[128:129], v[130:131] offset0:122 offset1:123
	;; [unrolled: 3-line block ×3, first 2 shown]
	ds_load_2addr_b64 v[128:131], v254 offset1:1
	s_waitcnt lgkmcnt(0)
	v_cmp_neq_f64_e32 vcc_lo, 0, v[128:129]
	v_cmp_neq_f64_e64 s3, 0, v[130:131]
	s_delay_alu instid0(VALU_DEP_1) | instskip(NEXT) | instid1(SALU_CYCLE_1)
	s_or_b32 s3, vcc_lo, s3
	s_and_b32 exec_lo, exec_lo, s3
	s_cbranch_execz .LBB125_410
; %bb.405:
	v_cmp_gt_f64_e32 vcc_lo, 0, v[128:129]
	v_xor_b32_e32 v0, 0x80000000, v129
	v_xor_b32_e32 v4, 0x80000000, v131
	s_delay_alu instid0(VALU_DEP_2) | instskip(SKIP_2) | instid1(VALU_DEP_4)
	v_cndmask_b32_e32 v1, v129, v0, vcc_lo
	v_cndmask_b32_e32 v0, v128, v128, vcc_lo
	v_cmp_gt_f64_e32 vcc_lo, 0, v[130:131]
	v_dual_cndmask_b32 v5, v131, v4 :: v_dual_cndmask_b32 v4, v130, v130
	s_delay_alu instid0(VALU_DEP_1) | instskip(SKIP_1) | instid1(SALU_CYCLE_1)
	v_cmp_ngt_f64_e32 vcc_lo, v[0:1], v[4:5]
                                        ; implicit-def: $vgpr0_vgpr1
	s_and_saveexec_b32 s3, vcc_lo
	s_xor_b32 s3, exec_lo, s3
                                        ; implicit-def: $vgpr132_vgpr133_vgpr134_vgpr135
	s_cbranch_execz .LBB125_407
; %bb.406:
	v_div_scale_f64 v[0:1], null, v[130:131], v[130:131], v[128:129]
	v_div_scale_f64 v[132:133], vcc_lo, v[128:129], v[130:131], v[128:129]
	s_delay_alu instid0(VALU_DEP_2) | instskip(SKIP_2) | instid1(VALU_DEP_1)
	v_rcp_f64_e32 v[4:5], v[0:1]
	s_waitcnt_depctr 0xfff
	v_fma_f64 v[6:7], -v[0:1], v[4:5], 1.0
	v_fma_f64 v[4:5], v[4:5], v[6:7], v[4:5]
	s_delay_alu instid0(VALU_DEP_1) | instskip(NEXT) | instid1(VALU_DEP_1)
	v_fma_f64 v[6:7], -v[0:1], v[4:5], 1.0
	v_fma_f64 v[4:5], v[4:5], v[6:7], v[4:5]
	s_delay_alu instid0(VALU_DEP_1) | instskip(NEXT) | instid1(VALU_DEP_1)
	v_mul_f64 v[6:7], v[132:133], v[4:5]
	v_fma_f64 v[0:1], -v[0:1], v[6:7], v[132:133]
	s_delay_alu instid0(VALU_DEP_1) | instskip(NEXT) | instid1(VALU_DEP_1)
	v_div_fmas_f64 v[0:1], v[0:1], v[4:5], v[6:7]
	v_div_fixup_f64 v[0:1], v[0:1], v[130:131], v[128:129]
	s_delay_alu instid0(VALU_DEP_1) | instskip(NEXT) | instid1(VALU_DEP_1)
	v_fma_f64 v[4:5], v[128:129], v[0:1], v[130:131]
	v_div_scale_f64 v[6:7], null, v[4:5], v[4:5], 1.0
	s_delay_alu instid0(VALU_DEP_1) | instskip(SKIP_2) | instid1(VALU_DEP_1)
	v_rcp_f64_e32 v[128:129], v[6:7]
	s_waitcnt_depctr 0xfff
	v_fma_f64 v[130:131], -v[6:7], v[128:129], 1.0
	v_fma_f64 v[128:129], v[128:129], v[130:131], v[128:129]
	s_delay_alu instid0(VALU_DEP_1) | instskip(NEXT) | instid1(VALU_DEP_1)
	v_fma_f64 v[130:131], -v[6:7], v[128:129], 1.0
	v_fma_f64 v[128:129], v[128:129], v[130:131], v[128:129]
	v_div_scale_f64 v[130:131], vcc_lo, 1.0, v[4:5], 1.0
	s_delay_alu instid0(VALU_DEP_1) | instskip(NEXT) | instid1(VALU_DEP_1)
	v_mul_f64 v[132:133], v[130:131], v[128:129]
	v_fma_f64 v[6:7], -v[6:7], v[132:133], v[130:131]
	s_delay_alu instid0(VALU_DEP_1) | instskip(NEXT) | instid1(VALU_DEP_1)
	v_div_fmas_f64 v[6:7], v[6:7], v[128:129], v[132:133]
                                        ; implicit-def: $vgpr128_vgpr129
	v_div_fixup_f64 v[134:135], v[6:7], v[4:5], 1.0
	s_delay_alu instid0(VALU_DEP_1)
	v_mul_f64 v[0:1], v[0:1], v[134:135]
	v_xor_b32_e32 v135, 0x80000000, v135
.LBB125_407:
	s_and_not1_saveexec_b32 s3, s3
	s_cbranch_execz .LBB125_409
; %bb.408:
	v_div_scale_f64 v[0:1], null, v[128:129], v[128:129], v[130:131]
	v_div_scale_f64 v[132:133], vcc_lo, v[130:131], v[128:129], v[130:131]
	s_delay_alu instid0(VALU_DEP_2) | instskip(SKIP_2) | instid1(VALU_DEP_1)
	v_rcp_f64_e32 v[4:5], v[0:1]
	s_waitcnt_depctr 0xfff
	v_fma_f64 v[6:7], -v[0:1], v[4:5], 1.0
	v_fma_f64 v[4:5], v[4:5], v[6:7], v[4:5]
	s_delay_alu instid0(VALU_DEP_1) | instskip(NEXT) | instid1(VALU_DEP_1)
	v_fma_f64 v[6:7], -v[0:1], v[4:5], 1.0
	v_fma_f64 v[4:5], v[4:5], v[6:7], v[4:5]
	s_delay_alu instid0(VALU_DEP_1) | instskip(NEXT) | instid1(VALU_DEP_1)
	v_mul_f64 v[6:7], v[132:133], v[4:5]
	v_fma_f64 v[0:1], -v[0:1], v[6:7], v[132:133]
	s_delay_alu instid0(VALU_DEP_1) | instskip(NEXT) | instid1(VALU_DEP_1)
	v_div_fmas_f64 v[0:1], v[0:1], v[4:5], v[6:7]
	v_div_fixup_f64 v[4:5], v[0:1], v[128:129], v[130:131]
	s_delay_alu instid0(VALU_DEP_1) | instskip(NEXT) | instid1(VALU_DEP_1)
	v_fma_f64 v[0:1], v[130:131], v[4:5], v[128:129]
	v_div_scale_f64 v[6:7], null, v[0:1], v[0:1], 1.0
	s_delay_alu instid0(VALU_DEP_1) | instskip(SKIP_2) | instid1(VALU_DEP_1)
	v_rcp_f64_e32 v[128:129], v[6:7]
	s_waitcnt_depctr 0xfff
	v_fma_f64 v[130:131], -v[6:7], v[128:129], 1.0
	v_fma_f64 v[128:129], v[128:129], v[130:131], v[128:129]
	s_delay_alu instid0(VALU_DEP_1) | instskip(NEXT) | instid1(VALU_DEP_1)
	v_fma_f64 v[130:131], -v[6:7], v[128:129], 1.0
	v_fma_f64 v[128:129], v[128:129], v[130:131], v[128:129]
	v_div_scale_f64 v[130:131], vcc_lo, 1.0, v[0:1], 1.0
	s_delay_alu instid0(VALU_DEP_1) | instskip(NEXT) | instid1(VALU_DEP_1)
	v_mul_f64 v[132:133], v[130:131], v[128:129]
	v_fma_f64 v[6:7], -v[6:7], v[132:133], v[130:131]
	s_delay_alu instid0(VALU_DEP_1) | instskip(NEXT) | instid1(VALU_DEP_1)
	v_div_fmas_f64 v[6:7], v[6:7], v[128:129], v[132:133]
	v_div_fixup_f64 v[0:1], v[6:7], v[0:1], 1.0
	s_delay_alu instid0(VALU_DEP_1)
	v_mul_f64 v[134:135], v[4:5], -v[0:1]
.LBB125_409:
	s_or_b32 exec_lo, exec_lo, s3
	ds_store_2addr_b64 v254, v[0:1], v[134:135] offset1:1
.LBB125_410:
	s_or_b32 exec_lo, exec_lo, s4
	s_waitcnt lgkmcnt(0)
	s_barrier
	buffer_gl0_inv
	ds_load_2addr_b64 v[128:131], v254 offset1:1
	s_mov_b32 s3, exec_lo
	v_cmpx_lt_u32_e32 32, v253
	s_cbranch_execz .LBB125_413
; %bb.411:
	scratch_load_b128 v[134:137], off, off offset:512
	s_mov_b32 s4, 0
	s_waitcnt vmcnt(0) lgkmcnt(0)
	v_mul_f64 v[0:1], v[130:131], v[136:137]
	s_delay_alu instid0(VALU_DEP_1) | instskip(SKIP_1) | instid1(VALU_DEP_1)
	v_fma_f64 v[132:133], v[128:129], v[134:135], -v[0:1]
	v_mul_f64 v[0:1], v[128:129], v[136:137]
	v_fma_f64 v[134:135], v[130:131], v[134:135], v[0:1]
	v_add3_u32 v0, v184, 0, 0x210
	v_mov_b32_e32 v1, 0
	scratch_store_b128 off, v[132:135], off offset:512
.LBB125_412:                            ; =>This Inner Loop Header: Depth=1
	v_add_nc_u32_e32 v140, s4, v0
	v_readfirstlane_b32 s5, v1
	ds_load_2addr_b64 v[136:139], v140 offset1:1
	s_add_i32 s5, s5, s4
	s_addk_i32 s4, 0x60
	s_add_i32 s6, s5, 0x210
	s_waitcnt lgkmcnt(0)
	v_mul_f64 v[4:5], v[138:139], v[134:135]
	v_mul_f64 v[6:7], v[136:137], v[134:135]
	s_delay_alu instid0(VALU_DEP_2) | instskip(NEXT) | instid1(VALU_DEP_2)
	v_fma_f64 v[4:5], v[136:137], v[132:133], -v[4:5]
	v_fma_f64 v[6:7], v[138:139], v[132:133], v[6:7]
	scratch_load_b128 v[136:139], off, s6
	s_waitcnt vmcnt(0)
	v_add_f64 v[136:137], v[136:137], -v[4:5]
	v_add_f64 v[138:139], v[138:139], -v[6:7]
	scratch_store_b128 off, v[136:139], s6
	ds_load_2addr_b64 v[136:139], v140 offset0:2 offset1:3
	s_add_i32 s6, s5, 0x220
	s_waitcnt lgkmcnt(0)
	v_mul_f64 v[4:5], v[138:139], v[134:135]
	v_mul_f64 v[6:7], v[136:137], v[134:135]
	s_delay_alu instid0(VALU_DEP_2) | instskip(NEXT) | instid1(VALU_DEP_2)
	v_fma_f64 v[4:5], v[136:137], v[132:133], -v[4:5]
	v_fma_f64 v[6:7], v[138:139], v[132:133], v[6:7]
	scratch_load_b128 v[136:139], off, s6
	s_waitcnt vmcnt(0)
	v_add_f64 v[136:137], v[136:137], -v[4:5]
	v_add_f64 v[138:139], v[138:139], -v[6:7]
	scratch_store_b128 off, v[136:139], s6
	ds_load_2addr_b64 v[136:139], v140 offset0:4 offset1:5
	;; [unrolled: 13-line block ×4, first 2 shown]
	s_add_i32 s6, s5, 0x250
	s_addk_i32 s5, 0x260
	s_cmpk_lg_i32 s4, 0x1e0
	s_waitcnt lgkmcnt(0)
	v_mul_f64 v[4:5], v[138:139], v[134:135]
	v_mul_f64 v[6:7], v[136:137], v[134:135]
	s_delay_alu instid0(VALU_DEP_2) | instskip(NEXT) | instid1(VALU_DEP_2)
	v_fma_f64 v[4:5], v[136:137], v[132:133], -v[4:5]
	v_fma_f64 v[6:7], v[138:139], v[132:133], v[6:7]
	scratch_load_b128 v[136:139], off, s6
	s_waitcnt vmcnt(0)
	v_add_f64 v[136:137], v[136:137], -v[4:5]
	v_add_f64 v[138:139], v[138:139], -v[6:7]
	scratch_store_b128 off, v[136:139], s6
	ds_load_2addr_b64 v[136:139], v140 offset0:10 offset1:11
	s_waitcnt lgkmcnt(0)
	v_mul_f64 v[4:5], v[138:139], v[134:135]
	v_mul_f64 v[6:7], v[136:137], v[134:135]
	s_delay_alu instid0(VALU_DEP_2) | instskip(NEXT) | instid1(VALU_DEP_2)
	v_fma_f64 v[4:5], v[136:137], v[132:133], -v[4:5]
	v_fma_f64 v[6:7], v[138:139], v[132:133], v[6:7]
	scratch_load_b128 v[136:139], off, s5
	s_waitcnt vmcnt(0)
	v_add_f64 v[136:137], v[136:137], -v[4:5]
	v_add_f64 v[138:139], v[138:139], -v[6:7]
	scratch_store_b128 off, v[136:139], s5
	s_cbranch_scc1 .LBB125_412
.LBB125_413:
	s_or_b32 exec_lo, exec_lo, s3
	s_delay_alu instid0(SALU_CYCLE_1)
	s_mov_b32 s4, exec_lo
	s_waitcnt lgkmcnt(0)
	s_waitcnt_vscnt null, 0x0
	s_barrier
	buffer_gl0_inv
	v_cmpx_eq_u32_e32 33, v253
	s_cbranch_execz .LBB125_420
; %bb.414:
	scratch_load_b32 v0, off, off offset:1116 ; 4-byte Folded Reload
	s_waitcnt vmcnt(0)
	scratch_load_b128 v[132:135], v0, off
	scratch_load_b32 v0, off, off offset:1112 ; 4-byte Folded Reload
	s_waitcnt vmcnt(1)
	ds_store_2addr_b64 v254, v[132:133], v[134:135] offset1:1
	s_waitcnt vmcnt(0)
	scratch_load_b128 v[132:135], v0, off
	scratch_load_b32 v0, off, off offset:1108 ; 4-byte Folded Reload
	s_waitcnt vmcnt(1)
	ds_store_2addr_b64 v252, v[132:133], v[134:135] offset0:68 offset1:69
	s_waitcnt vmcnt(0)
	scratch_load_b128 v[132:135], v0, off
	scratch_load_b32 v0, off, off offset:1104 ; 4-byte Folded Reload
	s_waitcnt vmcnt(1)
	ds_store_2addr_b64 v252, v[132:133], v[134:135] offset0:70 offset1:71
	;; [unrolled: 5-line block ×26, first 2 shown]
	s_waitcnt vmcnt(0)
	scratch_load_b128 v[132:135], v0, off
	s_waitcnt vmcnt(0)
	ds_store_2addr_b64 v252, v[132:133], v[134:135] offset0:120 offset1:121
	scratch_load_b128 v[132:135], v3, off
	s_waitcnt vmcnt(0)
	ds_store_2addr_b64 v252, v[132:133], v[134:135] offset0:122 offset1:123
	;; [unrolled: 3-line block ×3, first 2 shown]
	ds_load_2addr_b64 v[132:135], v254 offset1:1
	s_waitcnt lgkmcnt(0)
	v_cmp_neq_f64_e32 vcc_lo, 0, v[132:133]
	v_cmp_neq_f64_e64 s3, 0, v[134:135]
	s_delay_alu instid0(VALU_DEP_1) | instskip(NEXT) | instid1(SALU_CYCLE_1)
	s_or_b32 s3, vcc_lo, s3
	s_and_b32 exec_lo, exec_lo, s3
	s_cbranch_execz .LBB125_420
; %bb.415:
	v_cmp_gt_f64_e32 vcc_lo, 0, v[132:133]
	v_xor_b32_e32 v0, 0x80000000, v133
	v_xor_b32_e32 v4, 0x80000000, v135
	s_delay_alu instid0(VALU_DEP_2) | instskip(SKIP_2) | instid1(VALU_DEP_4)
	v_cndmask_b32_e32 v1, v133, v0, vcc_lo
	v_cndmask_b32_e32 v0, v132, v132, vcc_lo
	v_cmp_gt_f64_e32 vcc_lo, 0, v[134:135]
	v_dual_cndmask_b32 v5, v135, v4 :: v_dual_cndmask_b32 v4, v134, v134
	s_delay_alu instid0(VALU_DEP_1) | instskip(SKIP_1) | instid1(SALU_CYCLE_1)
	v_cmp_ngt_f64_e32 vcc_lo, v[0:1], v[4:5]
                                        ; implicit-def: $vgpr0_vgpr1
	s_and_saveexec_b32 s3, vcc_lo
	s_xor_b32 s3, exec_lo, s3
                                        ; implicit-def: $vgpr136_vgpr137_vgpr138_vgpr139
	s_cbranch_execz .LBB125_417
; %bb.416:
	v_div_scale_f64 v[0:1], null, v[134:135], v[134:135], v[132:133]
	v_div_scale_f64 v[136:137], vcc_lo, v[132:133], v[134:135], v[132:133]
	s_delay_alu instid0(VALU_DEP_2) | instskip(SKIP_2) | instid1(VALU_DEP_1)
	v_rcp_f64_e32 v[4:5], v[0:1]
	s_waitcnt_depctr 0xfff
	v_fma_f64 v[6:7], -v[0:1], v[4:5], 1.0
	v_fma_f64 v[4:5], v[4:5], v[6:7], v[4:5]
	s_delay_alu instid0(VALU_DEP_1) | instskip(NEXT) | instid1(VALU_DEP_1)
	v_fma_f64 v[6:7], -v[0:1], v[4:5], 1.0
	v_fma_f64 v[4:5], v[4:5], v[6:7], v[4:5]
	s_delay_alu instid0(VALU_DEP_1) | instskip(NEXT) | instid1(VALU_DEP_1)
	v_mul_f64 v[6:7], v[136:137], v[4:5]
	v_fma_f64 v[0:1], -v[0:1], v[6:7], v[136:137]
	s_delay_alu instid0(VALU_DEP_1) | instskip(NEXT) | instid1(VALU_DEP_1)
	v_div_fmas_f64 v[0:1], v[0:1], v[4:5], v[6:7]
	v_div_fixup_f64 v[0:1], v[0:1], v[134:135], v[132:133]
	s_delay_alu instid0(VALU_DEP_1) | instskip(NEXT) | instid1(VALU_DEP_1)
	v_fma_f64 v[4:5], v[132:133], v[0:1], v[134:135]
	v_div_scale_f64 v[6:7], null, v[4:5], v[4:5], 1.0
	s_delay_alu instid0(VALU_DEP_1) | instskip(SKIP_2) | instid1(VALU_DEP_1)
	v_rcp_f64_e32 v[132:133], v[6:7]
	s_waitcnt_depctr 0xfff
	v_fma_f64 v[134:135], -v[6:7], v[132:133], 1.0
	v_fma_f64 v[132:133], v[132:133], v[134:135], v[132:133]
	s_delay_alu instid0(VALU_DEP_1) | instskip(NEXT) | instid1(VALU_DEP_1)
	v_fma_f64 v[134:135], -v[6:7], v[132:133], 1.0
	v_fma_f64 v[132:133], v[132:133], v[134:135], v[132:133]
	v_div_scale_f64 v[134:135], vcc_lo, 1.0, v[4:5], 1.0
	s_delay_alu instid0(VALU_DEP_1) | instskip(NEXT) | instid1(VALU_DEP_1)
	v_mul_f64 v[136:137], v[134:135], v[132:133]
	v_fma_f64 v[6:7], -v[6:7], v[136:137], v[134:135]
	s_delay_alu instid0(VALU_DEP_1) | instskip(NEXT) | instid1(VALU_DEP_1)
	v_div_fmas_f64 v[6:7], v[6:7], v[132:133], v[136:137]
                                        ; implicit-def: $vgpr132_vgpr133
	v_div_fixup_f64 v[138:139], v[6:7], v[4:5], 1.0
	s_delay_alu instid0(VALU_DEP_1)
	v_mul_f64 v[0:1], v[0:1], v[138:139]
	v_xor_b32_e32 v139, 0x80000000, v139
.LBB125_417:
	s_and_not1_saveexec_b32 s3, s3
	s_cbranch_execz .LBB125_419
; %bb.418:
	v_div_scale_f64 v[0:1], null, v[132:133], v[132:133], v[134:135]
	v_div_scale_f64 v[136:137], vcc_lo, v[134:135], v[132:133], v[134:135]
	s_delay_alu instid0(VALU_DEP_2) | instskip(SKIP_2) | instid1(VALU_DEP_1)
	v_rcp_f64_e32 v[4:5], v[0:1]
	s_waitcnt_depctr 0xfff
	v_fma_f64 v[6:7], -v[0:1], v[4:5], 1.0
	v_fma_f64 v[4:5], v[4:5], v[6:7], v[4:5]
	s_delay_alu instid0(VALU_DEP_1) | instskip(NEXT) | instid1(VALU_DEP_1)
	v_fma_f64 v[6:7], -v[0:1], v[4:5], 1.0
	v_fma_f64 v[4:5], v[4:5], v[6:7], v[4:5]
	s_delay_alu instid0(VALU_DEP_1) | instskip(NEXT) | instid1(VALU_DEP_1)
	v_mul_f64 v[6:7], v[136:137], v[4:5]
	v_fma_f64 v[0:1], -v[0:1], v[6:7], v[136:137]
	s_delay_alu instid0(VALU_DEP_1) | instskip(NEXT) | instid1(VALU_DEP_1)
	v_div_fmas_f64 v[0:1], v[0:1], v[4:5], v[6:7]
	v_div_fixup_f64 v[4:5], v[0:1], v[132:133], v[134:135]
	s_delay_alu instid0(VALU_DEP_1) | instskip(NEXT) | instid1(VALU_DEP_1)
	v_fma_f64 v[0:1], v[134:135], v[4:5], v[132:133]
	v_div_scale_f64 v[6:7], null, v[0:1], v[0:1], 1.0
	s_delay_alu instid0(VALU_DEP_1) | instskip(SKIP_2) | instid1(VALU_DEP_1)
	v_rcp_f64_e32 v[132:133], v[6:7]
	s_waitcnt_depctr 0xfff
	v_fma_f64 v[134:135], -v[6:7], v[132:133], 1.0
	v_fma_f64 v[132:133], v[132:133], v[134:135], v[132:133]
	s_delay_alu instid0(VALU_DEP_1) | instskip(NEXT) | instid1(VALU_DEP_1)
	v_fma_f64 v[134:135], -v[6:7], v[132:133], 1.0
	v_fma_f64 v[132:133], v[132:133], v[134:135], v[132:133]
	v_div_scale_f64 v[134:135], vcc_lo, 1.0, v[0:1], 1.0
	s_delay_alu instid0(VALU_DEP_1) | instskip(NEXT) | instid1(VALU_DEP_1)
	v_mul_f64 v[136:137], v[134:135], v[132:133]
	v_fma_f64 v[6:7], -v[6:7], v[136:137], v[134:135]
	s_delay_alu instid0(VALU_DEP_1) | instskip(NEXT) | instid1(VALU_DEP_1)
	v_div_fmas_f64 v[6:7], v[6:7], v[132:133], v[136:137]
	v_div_fixup_f64 v[0:1], v[6:7], v[0:1], 1.0
	s_delay_alu instid0(VALU_DEP_1)
	v_mul_f64 v[138:139], v[4:5], -v[0:1]
.LBB125_419:
	s_or_b32 exec_lo, exec_lo, s3
	ds_store_2addr_b64 v254, v[0:1], v[138:139] offset1:1
.LBB125_420:
	s_or_b32 exec_lo, exec_lo, s4
	s_waitcnt lgkmcnt(0)
	s_barrier
	buffer_gl0_inv
	ds_load_2addr_b64 v[132:135], v254 offset1:1
	s_mov_b32 s3, exec_lo
	v_cmpx_lt_u32_e32 33, v253
	s_cbranch_execz .LBB125_425
; %bb.421:
	scratch_load_b128 v[138:141], off, off offset:528
	s_mov_b32 s4, 0
	s_waitcnt vmcnt(0) lgkmcnt(0)
	v_mul_f64 v[0:1], v[134:135], v[140:141]
	s_delay_alu instid0(VALU_DEP_1) | instskip(SKIP_1) | instid1(VALU_DEP_1)
	v_fma_f64 v[136:137], v[132:133], v[138:139], -v[0:1]
	v_mul_f64 v[0:1], v[132:133], v[140:141]
	v_fma_f64 v[138:139], v[134:135], v[138:139], v[0:1]
	v_add3_u32 v0, v184, 0, 0x220
	v_mov_b32_e32 v1, 0
	scratch_store_b128 off, v[136:139], off offset:528
	s_branch .LBB125_423
.LBB125_422:                            ;   in Loop: Header=BB125_423 Depth=1
	s_and_not1_b32 vcc_lo, exec_lo, s6
	s_cbranch_vccz .LBB125_425
.LBB125_423:                            ; =>This Inner Loop Header: Depth=1
	v_add_nc_u32_e32 v140, s4, v0
	v_readfirstlane_b32 s5, v1
	ds_load_2addr_b64 v[141:144], v140 offset1:1
	s_add_i32 s5, s5, s4
	s_delay_alu instid0(SALU_CYCLE_1) | instskip(SKIP_4) | instid1(VALU_DEP_2)
	s_add_i32 s6, s5, 0x220
	s_cmpk_eq_i32 s4, 0x1c0
	s_waitcnt lgkmcnt(0)
	v_mul_f64 v[4:5], v[143:144], v[138:139]
	v_mul_f64 v[6:7], v[141:142], v[138:139]
	v_fma_f64 v[4:5], v[141:142], v[136:137], -v[4:5]
	s_delay_alu instid0(VALU_DEP_2)
	v_fma_f64 v[6:7], v[143:144], v[136:137], v[6:7]
	scratch_load_b128 v[141:144], off, s6
	s_waitcnt vmcnt(0)
	v_add_f64 v[141:142], v[141:142], -v[4:5]
	v_add_f64 v[143:144], v[143:144], -v[6:7]
	scratch_store_b128 off, v[141:144], s6
	s_mov_b32 s6, -1
	s_cbranch_scc1 .LBB125_422
; %bb.424:                              ;   in Loop: Header=BB125_423 Depth=1
	ds_load_2addr_b64 v[141:144], v140 offset0:2 offset1:3
	s_add_i32 s6, s5, 0x230
	s_add_i32 s4, s4, 64
	s_waitcnt lgkmcnt(0)
	v_mul_f64 v[4:5], v[143:144], v[138:139]
	v_mul_f64 v[6:7], v[141:142], v[138:139]
	s_delay_alu instid0(VALU_DEP_2) | instskip(NEXT) | instid1(VALU_DEP_2)
	v_fma_f64 v[4:5], v[141:142], v[136:137], -v[4:5]
	v_fma_f64 v[6:7], v[143:144], v[136:137], v[6:7]
	scratch_load_b128 v[141:144], off, s6
	s_waitcnt vmcnt(0)
	v_add_f64 v[141:142], v[141:142], -v[4:5]
	v_add_f64 v[143:144], v[143:144], -v[6:7]
	scratch_store_b128 off, v[141:144], s6
	ds_load_2addr_b64 v[141:144], v140 offset0:4 offset1:5
	s_add_i32 s6, s5, 0x240
	s_addk_i32 s5, 0x250
	s_waitcnt lgkmcnt(0)
	v_mul_f64 v[4:5], v[143:144], v[138:139]
	v_mul_f64 v[6:7], v[141:142], v[138:139]
	s_delay_alu instid0(VALU_DEP_2) | instskip(NEXT) | instid1(VALU_DEP_2)
	v_fma_f64 v[4:5], v[141:142], v[136:137], -v[4:5]
	v_fma_f64 v[6:7], v[143:144], v[136:137], v[6:7]
	scratch_load_b128 v[141:144], off, s6
	s_waitcnt vmcnt(0)
	v_add_f64 v[141:142], v[141:142], -v[4:5]
	v_add_f64 v[143:144], v[143:144], -v[6:7]
	scratch_store_b128 off, v[141:144], s6
	ds_load_2addr_b64 v[140:143], v140 offset0:6 offset1:7
	s_mov_b32 s6, 0
	s_waitcnt lgkmcnt(0)
	v_mul_f64 v[4:5], v[142:143], v[138:139]
	v_mul_f64 v[6:7], v[140:141], v[138:139]
	s_delay_alu instid0(VALU_DEP_2) | instskip(NEXT) | instid1(VALU_DEP_2)
	v_fma_f64 v[4:5], v[140:141], v[136:137], -v[4:5]
	v_fma_f64 v[6:7], v[142:143], v[136:137], v[6:7]
	scratch_load_b128 v[140:143], off, s5
	s_waitcnt vmcnt(0)
	v_add_f64 v[140:141], v[140:141], -v[4:5]
	v_add_f64 v[142:143], v[142:143], -v[6:7]
	scratch_store_b128 off, v[140:143], s5
	s_branch .LBB125_422
.LBB125_425:
	s_or_b32 exec_lo, exec_lo, s3
	s_delay_alu instid0(SALU_CYCLE_1)
	s_mov_b32 s4, exec_lo
	s_waitcnt lgkmcnt(0)
	s_waitcnt_vscnt null, 0x0
	s_barrier
	buffer_gl0_inv
	v_cmpx_eq_u32_e32 34, v253
	s_cbranch_execz .LBB125_432
; %bb.426:
	scratch_load_b32 v0, off, off offset:1112 ; 4-byte Folded Reload
	s_waitcnt vmcnt(0)
	scratch_load_b128 v[136:139], v0, off
	scratch_load_b32 v0, off, off offset:1108 ; 4-byte Folded Reload
	s_waitcnt vmcnt(1)
	ds_store_2addr_b64 v254, v[136:137], v[138:139] offset1:1
	s_waitcnt vmcnt(0)
	scratch_load_b128 v[136:139], v0, off
	scratch_load_b32 v0, off, off offset:1104 ; 4-byte Folded Reload
	s_waitcnt vmcnt(1)
	ds_store_2addr_b64 v252, v[136:137], v[138:139] offset0:70 offset1:71
	s_waitcnt vmcnt(0)
	scratch_load_b128 v[136:139], v0, off
	scratch_load_b32 v0, off, off offset:1100 ; 4-byte Folded Reload
	s_waitcnt vmcnt(1)
	ds_store_2addr_b64 v252, v[136:137], v[138:139] offset0:72 offset1:73
	;; [unrolled: 5-line block ×25, first 2 shown]
	s_waitcnt vmcnt(0)
	scratch_load_b128 v[136:139], v0, off
	s_waitcnt vmcnt(0)
	ds_store_2addr_b64 v252, v[136:137], v[138:139] offset0:120 offset1:121
	scratch_load_b128 v[136:139], v3, off
	s_waitcnt vmcnt(0)
	ds_store_2addr_b64 v252, v[136:137], v[138:139] offset0:122 offset1:123
	;; [unrolled: 3-line block ×3, first 2 shown]
	ds_load_2addr_b64 v[136:139], v254 offset1:1
	s_waitcnt lgkmcnt(0)
	v_cmp_neq_f64_e32 vcc_lo, 0, v[136:137]
	v_cmp_neq_f64_e64 s3, 0, v[138:139]
	s_delay_alu instid0(VALU_DEP_1) | instskip(NEXT) | instid1(SALU_CYCLE_1)
	s_or_b32 s3, vcc_lo, s3
	s_and_b32 exec_lo, exec_lo, s3
	s_cbranch_execz .LBB125_432
; %bb.427:
	v_cmp_gt_f64_e32 vcc_lo, 0, v[136:137]
	v_xor_b32_e32 v0, 0x80000000, v137
	v_xor_b32_e32 v4, 0x80000000, v139
	s_delay_alu instid0(VALU_DEP_2) | instskip(SKIP_2) | instid1(VALU_DEP_4)
	v_cndmask_b32_e32 v1, v137, v0, vcc_lo
	v_cndmask_b32_e32 v0, v136, v136, vcc_lo
	v_cmp_gt_f64_e32 vcc_lo, 0, v[138:139]
	v_dual_cndmask_b32 v5, v139, v4 :: v_dual_cndmask_b32 v4, v138, v138
	s_delay_alu instid0(VALU_DEP_1) | instskip(SKIP_1) | instid1(SALU_CYCLE_1)
	v_cmp_ngt_f64_e32 vcc_lo, v[0:1], v[4:5]
                                        ; implicit-def: $vgpr0_vgpr1
	s_and_saveexec_b32 s3, vcc_lo
	s_xor_b32 s3, exec_lo, s3
                                        ; implicit-def: $vgpr140_vgpr141_vgpr142_vgpr143
	s_cbranch_execz .LBB125_429
; %bb.428:
	v_div_scale_f64 v[0:1], null, v[138:139], v[138:139], v[136:137]
	v_div_scale_f64 v[140:141], vcc_lo, v[136:137], v[138:139], v[136:137]
	s_delay_alu instid0(VALU_DEP_2) | instskip(SKIP_2) | instid1(VALU_DEP_1)
	v_rcp_f64_e32 v[4:5], v[0:1]
	s_waitcnt_depctr 0xfff
	v_fma_f64 v[6:7], -v[0:1], v[4:5], 1.0
	v_fma_f64 v[4:5], v[4:5], v[6:7], v[4:5]
	s_delay_alu instid0(VALU_DEP_1) | instskip(NEXT) | instid1(VALU_DEP_1)
	v_fma_f64 v[6:7], -v[0:1], v[4:5], 1.0
	v_fma_f64 v[4:5], v[4:5], v[6:7], v[4:5]
	s_delay_alu instid0(VALU_DEP_1) | instskip(NEXT) | instid1(VALU_DEP_1)
	v_mul_f64 v[6:7], v[140:141], v[4:5]
	v_fma_f64 v[0:1], -v[0:1], v[6:7], v[140:141]
	s_delay_alu instid0(VALU_DEP_1) | instskip(NEXT) | instid1(VALU_DEP_1)
	v_div_fmas_f64 v[0:1], v[0:1], v[4:5], v[6:7]
	v_div_fixup_f64 v[0:1], v[0:1], v[138:139], v[136:137]
	s_delay_alu instid0(VALU_DEP_1) | instskip(NEXT) | instid1(VALU_DEP_1)
	v_fma_f64 v[4:5], v[136:137], v[0:1], v[138:139]
	v_div_scale_f64 v[6:7], null, v[4:5], v[4:5], 1.0
	s_delay_alu instid0(VALU_DEP_1) | instskip(SKIP_2) | instid1(VALU_DEP_1)
	v_rcp_f64_e32 v[136:137], v[6:7]
	s_waitcnt_depctr 0xfff
	v_fma_f64 v[138:139], -v[6:7], v[136:137], 1.0
	v_fma_f64 v[136:137], v[136:137], v[138:139], v[136:137]
	s_delay_alu instid0(VALU_DEP_1) | instskip(NEXT) | instid1(VALU_DEP_1)
	v_fma_f64 v[138:139], -v[6:7], v[136:137], 1.0
	v_fma_f64 v[136:137], v[136:137], v[138:139], v[136:137]
	v_div_scale_f64 v[138:139], vcc_lo, 1.0, v[4:5], 1.0
	s_delay_alu instid0(VALU_DEP_1) | instskip(NEXT) | instid1(VALU_DEP_1)
	v_mul_f64 v[140:141], v[138:139], v[136:137]
	v_fma_f64 v[6:7], -v[6:7], v[140:141], v[138:139]
	s_delay_alu instid0(VALU_DEP_1) | instskip(NEXT) | instid1(VALU_DEP_1)
	v_div_fmas_f64 v[6:7], v[6:7], v[136:137], v[140:141]
                                        ; implicit-def: $vgpr136_vgpr137
	v_div_fixup_f64 v[142:143], v[6:7], v[4:5], 1.0
	s_delay_alu instid0(VALU_DEP_1)
	v_mul_f64 v[0:1], v[0:1], v[142:143]
	v_xor_b32_e32 v143, 0x80000000, v143
.LBB125_429:
	s_and_not1_saveexec_b32 s3, s3
	s_cbranch_execz .LBB125_431
; %bb.430:
	v_div_scale_f64 v[0:1], null, v[136:137], v[136:137], v[138:139]
	v_div_scale_f64 v[140:141], vcc_lo, v[138:139], v[136:137], v[138:139]
	s_delay_alu instid0(VALU_DEP_2) | instskip(SKIP_2) | instid1(VALU_DEP_1)
	v_rcp_f64_e32 v[4:5], v[0:1]
	s_waitcnt_depctr 0xfff
	v_fma_f64 v[6:7], -v[0:1], v[4:5], 1.0
	v_fma_f64 v[4:5], v[4:5], v[6:7], v[4:5]
	s_delay_alu instid0(VALU_DEP_1) | instskip(NEXT) | instid1(VALU_DEP_1)
	v_fma_f64 v[6:7], -v[0:1], v[4:5], 1.0
	v_fma_f64 v[4:5], v[4:5], v[6:7], v[4:5]
	s_delay_alu instid0(VALU_DEP_1) | instskip(NEXT) | instid1(VALU_DEP_1)
	v_mul_f64 v[6:7], v[140:141], v[4:5]
	v_fma_f64 v[0:1], -v[0:1], v[6:7], v[140:141]
	s_delay_alu instid0(VALU_DEP_1) | instskip(NEXT) | instid1(VALU_DEP_1)
	v_div_fmas_f64 v[0:1], v[0:1], v[4:5], v[6:7]
	v_div_fixup_f64 v[4:5], v[0:1], v[136:137], v[138:139]
	s_delay_alu instid0(VALU_DEP_1) | instskip(NEXT) | instid1(VALU_DEP_1)
	v_fma_f64 v[0:1], v[138:139], v[4:5], v[136:137]
	v_div_scale_f64 v[6:7], null, v[0:1], v[0:1], 1.0
	s_delay_alu instid0(VALU_DEP_1) | instskip(SKIP_2) | instid1(VALU_DEP_1)
	v_rcp_f64_e32 v[136:137], v[6:7]
	s_waitcnt_depctr 0xfff
	v_fma_f64 v[138:139], -v[6:7], v[136:137], 1.0
	v_fma_f64 v[136:137], v[136:137], v[138:139], v[136:137]
	s_delay_alu instid0(VALU_DEP_1) | instskip(NEXT) | instid1(VALU_DEP_1)
	v_fma_f64 v[138:139], -v[6:7], v[136:137], 1.0
	v_fma_f64 v[136:137], v[136:137], v[138:139], v[136:137]
	v_div_scale_f64 v[138:139], vcc_lo, 1.0, v[0:1], 1.0
	s_delay_alu instid0(VALU_DEP_1) | instskip(NEXT) | instid1(VALU_DEP_1)
	v_mul_f64 v[140:141], v[138:139], v[136:137]
	v_fma_f64 v[6:7], -v[6:7], v[140:141], v[138:139]
	s_delay_alu instid0(VALU_DEP_1) | instskip(NEXT) | instid1(VALU_DEP_1)
	v_div_fmas_f64 v[6:7], v[6:7], v[136:137], v[140:141]
	v_div_fixup_f64 v[0:1], v[6:7], v[0:1], 1.0
	s_delay_alu instid0(VALU_DEP_1)
	v_mul_f64 v[142:143], v[4:5], -v[0:1]
.LBB125_431:
	s_or_b32 exec_lo, exec_lo, s3
	ds_store_2addr_b64 v254, v[0:1], v[142:143] offset1:1
.LBB125_432:
	s_or_b32 exec_lo, exec_lo, s4
	s_waitcnt lgkmcnt(0)
	s_barrier
	buffer_gl0_inv
	ds_load_2addr_b64 v[136:139], v254 offset1:1
	s_mov_b32 s3, exec_lo
	v_cmpx_lt_u32_e32 34, v253
	s_cbranch_execz .LBB125_435
; %bb.433:
	scratch_load_b128 v[142:145], off, off offset:544
	s_mov_b32 s4, 0
	s_waitcnt vmcnt(0) lgkmcnt(0)
	v_mul_f64 v[0:1], v[138:139], v[144:145]
	s_delay_alu instid0(VALU_DEP_1) | instskip(SKIP_1) | instid1(VALU_DEP_1)
	v_fma_f64 v[140:141], v[136:137], v[142:143], -v[0:1]
	v_mul_f64 v[0:1], v[136:137], v[144:145]
	v_fma_f64 v[142:143], v[138:139], v[142:143], v[0:1]
	v_add3_u32 v0, v184, 0, 0x230
	v_mov_b32_e32 v1, 0
	scratch_store_b128 off, v[140:143], off offset:544
.LBB125_434:                            ; =>This Inner Loop Header: Depth=1
	v_add_nc_u32_e32 v148, s4, v0
	v_readfirstlane_b32 s5, v1
	ds_load_2addr_b64 v[144:147], v148 offset1:1
	s_add_i32 s5, s5, s4
	s_addk_i32 s4, 0x70
	s_add_i32 s6, s5, 0x230
	s_waitcnt lgkmcnt(0)
	v_mul_f64 v[4:5], v[146:147], v[142:143]
	v_mul_f64 v[6:7], v[144:145], v[142:143]
	s_delay_alu instid0(VALU_DEP_2) | instskip(NEXT) | instid1(VALU_DEP_2)
	v_fma_f64 v[4:5], v[144:145], v[140:141], -v[4:5]
	v_fma_f64 v[6:7], v[146:147], v[140:141], v[6:7]
	scratch_load_b128 v[144:147], off, s6
	s_waitcnt vmcnt(0)
	v_add_f64 v[144:145], v[144:145], -v[4:5]
	v_add_f64 v[146:147], v[146:147], -v[6:7]
	scratch_store_b128 off, v[144:147], s6
	ds_load_2addr_b64 v[144:147], v148 offset0:2 offset1:3
	s_add_i32 s6, s5, 0x240
	s_waitcnt lgkmcnt(0)
	v_mul_f64 v[4:5], v[146:147], v[142:143]
	v_mul_f64 v[6:7], v[144:145], v[142:143]
	s_delay_alu instid0(VALU_DEP_2) | instskip(NEXT) | instid1(VALU_DEP_2)
	v_fma_f64 v[4:5], v[144:145], v[140:141], -v[4:5]
	v_fma_f64 v[6:7], v[146:147], v[140:141], v[6:7]
	scratch_load_b128 v[144:147], off, s6
	s_waitcnt vmcnt(0)
	v_add_f64 v[144:145], v[144:145], -v[4:5]
	v_add_f64 v[146:147], v[146:147], -v[6:7]
	scratch_store_b128 off, v[144:147], s6
	ds_load_2addr_b64 v[144:147], v148 offset0:4 offset1:5
	;; [unrolled: 13-line block ×5, first 2 shown]
	s_add_i32 s6, s5, 0x280
	s_addk_i32 s5, 0x290
	s_cmpk_lg_i32 s4, 0x1c0
	s_waitcnt lgkmcnt(0)
	v_mul_f64 v[4:5], v[146:147], v[142:143]
	v_mul_f64 v[6:7], v[144:145], v[142:143]
	s_delay_alu instid0(VALU_DEP_2) | instskip(NEXT) | instid1(VALU_DEP_2)
	v_fma_f64 v[4:5], v[144:145], v[140:141], -v[4:5]
	v_fma_f64 v[6:7], v[146:147], v[140:141], v[6:7]
	scratch_load_b128 v[140:143], off, s6
	ds_load_2addr_b64 v[144:147], v148 offset0:12 offset1:13
	s_waitcnt vmcnt(0)
	v_add_f64 v[140:141], v[140:141], -v[4:5]
	v_add_f64 v[142:143], v[142:143], -v[6:7]
	scratch_store_b128 off, v[140:143], s6
	scratch_load_b128 v[140:143], off, off offset:544
	s_waitcnt vmcnt(0) lgkmcnt(0)
	v_mul_f64 v[4:5], v[146:147], v[142:143]
	v_mul_f64 v[6:7], v[144:145], v[142:143]
	s_delay_alu instid0(VALU_DEP_2) | instskip(NEXT) | instid1(VALU_DEP_2)
	v_fma_f64 v[4:5], v[144:145], v[140:141], -v[4:5]
	v_fma_f64 v[6:7], v[146:147], v[140:141], v[6:7]
	scratch_load_b128 v[144:147], off, s5
	s_waitcnt vmcnt(0)
	v_add_f64 v[144:145], v[144:145], -v[4:5]
	v_add_f64 v[146:147], v[146:147], -v[6:7]
	scratch_store_b128 off, v[144:147], s5
	s_cbranch_scc1 .LBB125_434
.LBB125_435:
	s_or_b32 exec_lo, exec_lo, s3
	s_delay_alu instid0(SALU_CYCLE_1)
	s_mov_b32 s4, exec_lo
	s_waitcnt lgkmcnt(0)
	s_waitcnt_vscnt null, 0x0
	s_barrier
	buffer_gl0_inv
	v_cmpx_eq_u32_e32 35, v253
	s_cbranch_execz .LBB125_442
; %bb.436:
	scratch_load_b32 v0, off, off offset:1108 ; 4-byte Folded Reload
	s_waitcnt vmcnt(0)
	scratch_load_b128 v[140:143], v0, off
	scratch_load_b32 v0, off, off offset:1104 ; 4-byte Folded Reload
	s_waitcnt vmcnt(1)
	ds_store_2addr_b64 v254, v[140:141], v[142:143] offset1:1
	s_waitcnt vmcnt(0)
	scratch_load_b128 v[140:143], v0, off
	scratch_load_b32 v0, off, off offset:1100 ; 4-byte Folded Reload
	s_waitcnt vmcnt(1)
	ds_store_2addr_b64 v252, v[140:141], v[142:143] offset0:72 offset1:73
	s_waitcnt vmcnt(0)
	scratch_load_b128 v[140:143], v0, off
	scratch_load_b32 v0, off, off offset:1096 ; 4-byte Folded Reload
	s_waitcnt vmcnt(1)
	ds_store_2addr_b64 v252, v[140:141], v[142:143] offset0:74 offset1:75
	;; [unrolled: 5-line block ×24, first 2 shown]
	s_waitcnt vmcnt(0)
	scratch_load_b128 v[140:143], v0, off
	s_waitcnt vmcnt(0)
	ds_store_2addr_b64 v252, v[140:141], v[142:143] offset0:120 offset1:121
	scratch_load_b128 v[140:143], v3, off
	s_waitcnt vmcnt(0)
	ds_store_2addr_b64 v252, v[140:141], v[142:143] offset0:122 offset1:123
	;; [unrolled: 3-line block ×3, first 2 shown]
	ds_load_2addr_b64 v[140:143], v254 offset1:1
	s_waitcnt lgkmcnt(0)
	v_cmp_neq_f64_e32 vcc_lo, 0, v[140:141]
	v_cmp_neq_f64_e64 s3, 0, v[142:143]
	s_delay_alu instid0(VALU_DEP_1) | instskip(NEXT) | instid1(SALU_CYCLE_1)
	s_or_b32 s3, vcc_lo, s3
	s_and_b32 exec_lo, exec_lo, s3
	s_cbranch_execz .LBB125_442
; %bb.437:
	v_cmp_gt_f64_e32 vcc_lo, 0, v[140:141]
	v_xor_b32_e32 v0, 0x80000000, v141
	v_xor_b32_e32 v4, 0x80000000, v143
	s_delay_alu instid0(VALU_DEP_2) | instskip(SKIP_2) | instid1(VALU_DEP_4)
	v_cndmask_b32_e32 v1, v141, v0, vcc_lo
	v_cndmask_b32_e32 v0, v140, v140, vcc_lo
	v_cmp_gt_f64_e32 vcc_lo, 0, v[142:143]
	v_dual_cndmask_b32 v5, v143, v4 :: v_dual_cndmask_b32 v4, v142, v142
	s_delay_alu instid0(VALU_DEP_1) | instskip(SKIP_1) | instid1(SALU_CYCLE_1)
	v_cmp_ngt_f64_e32 vcc_lo, v[0:1], v[4:5]
                                        ; implicit-def: $vgpr0_vgpr1
	s_and_saveexec_b32 s3, vcc_lo
	s_xor_b32 s3, exec_lo, s3
                                        ; implicit-def: $vgpr144_vgpr145_vgpr146_vgpr147
	s_cbranch_execz .LBB125_439
; %bb.438:
	v_div_scale_f64 v[0:1], null, v[142:143], v[142:143], v[140:141]
	v_div_scale_f64 v[144:145], vcc_lo, v[140:141], v[142:143], v[140:141]
	s_delay_alu instid0(VALU_DEP_2) | instskip(SKIP_2) | instid1(VALU_DEP_1)
	v_rcp_f64_e32 v[4:5], v[0:1]
	s_waitcnt_depctr 0xfff
	v_fma_f64 v[6:7], -v[0:1], v[4:5], 1.0
	v_fma_f64 v[4:5], v[4:5], v[6:7], v[4:5]
	s_delay_alu instid0(VALU_DEP_1) | instskip(NEXT) | instid1(VALU_DEP_1)
	v_fma_f64 v[6:7], -v[0:1], v[4:5], 1.0
	v_fma_f64 v[4:5], v[4:5], v[6:7], v[4:5]
	s_delay_alu instid0(VALU_DEP_1) | instskip(NEXT) | instid1(VALU_DEP_1)
	v_mul_f64 v[6:7], v[144:145], v[4:5]
	v_fma_f64 v[0:1], -v[0:1], v[6:7], v[144:145]
	s_delay_alu instid0(VALU_DEP_1) | instskip(NEXT) | instid1(VALU_DEP_1)
	v_div_fmas_f64 v[0:1], v[0:1], v[4:5], v[6:7]
	v_div_fixup_f64 v[0:1], v[0:1], v[142:143], v[140:141]
	s_delay_alu instid0(VALU_DEP_1) | instskip(NEXT) | instid1(VALU_DEP_1)
	v_fma_f64 v[4:5], v[140:141], v[0:1], v[142:143]
	v_div_scale_f64 v[6:7], null, v[4:5], v[4:5], 1.0
	s_delay_alu instid0(VALU_DEP_1) | instskip(SKIP_2) | instid1(VALU_DEP_1)
	v_rcp_f64_e32 v[140:141], v[6:7]
	s_waitcnt_depctr 0xfff
	v_fma_f64 v[142:143], -v[6:7], v[140:141], 1.0
	v_fma_f64 v[140:141], v[140:141], v[142:143], v[140:141]
	s_delay_alu instid0(VALU_DEP_1) | instskip(NEXT) | instid1(VALU_DEP_1)
	v_fma_f64 v[142:143], -v[6:7], v[140:141], 1.0
	v_fma_f64 v[140:141], v[140:141], v[142:143], v[140:141]
	v_div_scale_f64 v[142:143], vcc_lo, 1.0, v[4:5], 1.0
	s_delay_alu instid0(VALU_DEP_1) | instskip(NEXT) | instid1(VALU_DEP_1)
	v_mul_f64 v[144:145], v[142:143], v[140:141]
	v_fma_f64 v[6:7], -v[6:7], v[144:145], v[142:143]
	s_delay_alu instid0(VALU_DEP_1) | instskip(NEXT) | instid1(VALU_DEP_1)
	v_div_fmas_f64 v[6:7], v[6:7], v[140:141], v[144:145]
                                        ; implicit-def: $vgpr140_vgpr141
	v_div_fixup_f64 v[146:147], v[6:7], v[4:5], 1.0
	s_delay_alu instid0(VALU_DEP_1)
	v_mul_f64 v[0:1], v[0:1], v[146:147]
	v_xor_b32_e32 v147, 0x80000000, v147
.LBB125_439:
	s_and_not1_saveexec_b32 s3, s3
	s_cbranch_execz .LBB125_441
; %bb.440:
	v_div_scale_f64 v[0:1], null, v[140:141], v[140:141], v[142:143]
	v_div_scale_f64 v[144:145], vcc_lo, v[142:143], v[140:141], v[142:143]
	s_delay_alu instid0(VALU_DEP_2) | instskip(SKIP_2) | instid1(VALU_DEP_1)
	v_rcp_f64_e32 v[4:5], v[0:1]
	s_waitcnt_depctr 0xfff
	v_fma_f64 v[6:7], -v[0:1], v[4:5], 1.0
	v_fma_f64 v[4:5], v[4:5], v[6:7], v[4:5]
	s_delay_alu instid0(VALU_DEP_1) | instskip(NEXT) | instid1(VALU_DEP_1)
	v_fma_f64 v[6:7], -v[0:1], v[4:5], 1.0
	v_fma_f64 v[4:5], v[4:5], v[6:7], v[4:5]
	s_delay_alu instid0(VALU_DEP_1) | instskip(NEXT) | instid1(VALU_DEP_1)
	v_mul_f64 v[6:7], v[144:145], v[4:5]
	v_fma_f64 v[0:1], -v[0:1], v[6:7], v[144:145]
	s_delay_alu instid0(VALU_DEP_1) | instskip(NEXT) | instid1(VALU_DEP_1)
	v_div_fmas_f64 v[0:1], v[0:1], v[4:5], v[6:7]
	v_div_fixup_f64 v[4:5], v[0:1], v[140:141], v[142:143]
	s_delay_alu instid0(VALU_DEP_1) | instskip(NEXT) | instid1(VALU_DEP_1)
	v_fma_f64 v[0:1], v[142:143], v[4:5], v[140:141]
	v_div_scale_f64 v[6:7], null, v[0:1], v[0:1], 1.0
	s_delay_alu instid0(VALU_DEP_1) | instskip(SKIP_2) | instid1(VALU_DEP_1)
	v_rcp_f64_e32 v[140:141], v[6:7]
	s_waitcnt_depctr 0xfff
	v_fma_f64 v[142:143], -v[6:7], v[140:141], 1.0
	v_fma_f64 v[140:141], v[140:141], v[142:143], v[140:141]
	s_delay_alu instid0(VALU_DEP_1) | instskip(NEXT) | instid1(VALU_DEP_1)
	v_fma_f64 v[142:143], -v[6:7], v[140:141], 1.0
	v_fma_f64 v[140:141], v[140:141], v[142:143], v[140:141]
	v_div_scale_f64 v[142:143], vcc_lo, 1.0, v[0:1], 1.0
	s_delay_alu instid0(VALU_DEP_1) | instskip(NEXT) | instid1(VALU_DEP_1)
	v_mul_f64 v[144:145], v[142:143], v[140:141]
	v_fma_f64 v[6:7], -v[6:7], v[144:145], v[142:143]
	s_delay_alu instid0(VALU_DEP_1) | instskip(NEXT) | instid1(VALU_DEP_1)
	v_div_fmas_f64 v[6:7], v[6:7], v[140:141], v[144:145]
	v_div_fixup_f64 v[0:1], v[6:7], v[0:1], 1.0
	s_delay_alu instid0(VALU_DEP_1)
	v_mul_f64 v[146:147], v[4:5], -v[0:1]
.LBB125_441:
	s_or_b32 exec_lo, exec_lo, s3
	ds_store_2addr_b64 v254, v[0:1], v[146:147] offset1:1
.LBB125_442:
	s_or_b32 exec_lo, exec_lo, s4
	s_waitcnt lgkmcnt(0)
	s_barrier
	buffer_gl0_inv
	ds_load_2addr_b64 v[140:143], v254 offset1:1
	s_mov_b32 s3, exec_lo
	v_cmpx_lt_u32_e32 35, v253
	s_cbranch_execz .LBB125_445
; %bb.443:
	scratch_load_b128 v[146:149], off, off offset:560
	s_mov_b32 s4, 0
	s_waitcnt vmcnt(0) lgkmcnt(0)
	v_mul_f64 v[0:1], v[142:143], v[148:149]
	s_delay_alu instid0(VALU_DEP_1) | instskip(SKIP_1) | instid1(VALU_DEP_1)
	v_fma_f64 v[144:145], v[140:141], v[146:147], -v[0:1]
	v_mul_f64 v[0:1], v[140:141], v[148:149]
	v_fma_f64 v[146:147], v[142:143], v[146:147], v[0:1]
	v_add3_u32 v0, v184, 0, 0x240
	v_mov_b32_e32 v1, 0
	scratch_store_b128 off, v[144:147], off offset:560
.LBB125_444:                            ; =>This Inner Loop Header: Depth=1
	v_add_nc_u32_e32 v152, s4, v0
	v_readfirstlane_b32 s5, v1
	ds_load_2addr_b64 v[148:151], v152 offset1:1
	s_add_i32 s5, s5, s4
	s_add_i32 s4, s4, 48
	;; [unrolled: 1-line block ×3, first 2 shown]
	s_waitcnt lgkmcnt(0)
	v_mul_f64 v[4:5], v[150:151], v[146:147]
	v_mul_f64 v[6:7], v[148:149], v[146:147]
	s_delay_alu instid0(VALU_DEP_2) | instskip(NEXT) | instid1(VALU_DEP_2)
	v_fma_f64 v[4:5], v[148:149], v[144:145], -v[4:5]
	v_fma_f64 v[6:7], v[150:151], v[144:145], v[6:7]
	scratch_load_b128 v[148:151], off, s6
	s_waitcnt vmcnt(0)
	v_add_f64 v[148:149], v[148:149], -v[4:5]
	v_add_f64 v[150:151], v[150:151], -v[6:7]
	scratch_store_b128 off, v[148:151], s6
	ds_load_2addr_b64 v[148:151], v152 offset0:2 offset1:3
	s_add_i32 s6, s5, 0x250
	s_addk_i32 s5, 0x260
	s_cmpk_lg_i32 s4, 0x1b0
	s_waitcnt lgkmcnt(0)
	v_mul_f64 v[4:5], v[150:151], v[146:147]
	v_mul_f64 v[6:7], v[148:149], v[146:147]
	s_delay_alu instid0(VALU_DEP_2) | instskip(NEXT) | instid1(VALU_DEP_2)
	v_fma_f64 v[4:5], v[148:149], v[144:145], -v[4:5]
	v_fma_f64 v[6:7], v[150:151], v[144:145], v[6:7]
	scratch_load_b128 v[148:151], off, s6
	s_waitcnt vmcnt(0)
	v_add_f64 v[148:149], v[148:149], -v[4:5]
	v_add_f64 v[150:151], v[150:151], -v[6:7]
	scratch_store_b128 off, v[148:151], s6
	ds_load_2addr_b64 v[148:151], v152 offset0:4 offset1:5
	s_waitcnt lgkmcnt(0)
	v_mul_f64 v[4:5], v[150:151], v[146:147]
	v_mul_f64 v[6:7], v[148:149], v[146:147]
	s_delay_alu instid0(VALU_DEP_2) | instskip(NEXT) | instid1(VALU_DEP_2)
	v_fma_f64 v[4:5], v[148:149], v[144:145], -v[4:5]
	v_fma_f64 v[6:7], v[150:151], v[144:145], v[6:7]
	scratch_load_b128 v[148:151], off, s5
	s_waitcnt vmcnt(0)
	v_add_f64 v[148:149], v[148:149], -v[4:5]
	v_add_f64 v[150:151], v[150:151], -v[6:7]
	scratch_store_b128 off, v[148:151], s5
	s_cbranch_scc1 .LBB125_444
.LBB125_445:
	s_or_b32 exec_lo, exec_lo, s3
	s_delay_alu instid0(SALU_CYCLE_1)
	s_mov_b32 s4, exec_lo
	s_waitcnt lgkmcnt(0)
	s_waitcnt_vscnt null, 0x0
	s_barrier
	buffer_gl0_inv
	v_cmpx_eq_u32_e32 36, v253
	s_cbranch_execz .LBB125_452
; %bb.446:
	scratch_load_b32 v0, off, off offset:1104 ; 4-byte Folded Reload
	s_waitcnt vmcnt(0)
	scratch_load_b128 v[144:147], v0, off
	scratch_load_b32 v0, off, off offset:1100 ; 4-byte Folded Reload
	s_waitcnt vmcnt(1)
	ds_store_2addr_b64 v254, v[144:145], v[146:147] offset1:1
	s_waitcnt vmcnt(0)
	scratch_load_b128 v[144:147], v0, off
	scratch_load_b32 v0, off, off offset:1096 ; 4-byte Folded Reload
	s_waitcnt vmcnt(1)
	ds_store_2addr_b64 v252, v[144:145], v[146:147] offset0:74 offset1:75
	s_waitcnt vmcnt(0)
	scratch_load_b128 v[144:147], v0, off
	scratch_load_b32 v0, off, off offset:1092 ; 4-byte Folded Reload
	s_waitcnt vmcnt(1)
	ds_store_2addr_b64 v252, v[144:145], v[146:147] offset0:76 offset1:77
	;; [unrolled: 5-line block ×23, first 2 shown]
	s_waitcnt vmcnt(0)
	scratch_load_b128 v[144:147], v0, off
	s_waitcnt vmcnt(0)
	ds_store_2addr_b64 v252, v[144:145], v[146:147] offset0:120 offset1:121
	scratch_load_b128 v[144:147], v3, off
	s_waitcnt vmcnt(0)
	ds_store_2addr_b64 v252, v[144:145], v[146:147] offset0:122 offset1:123
	;; [unrolled: 3-line block ×3, first 2 shown]
	ds_load_2addr_b64 v[144:147], v254 offset1:1
	s_waitcnt lgkmcnt(0)
	v_cmp_neq_f64_e32 vcc_lo, 0, v[144:145]
	v_cmp_neq_f64_e64 s3, 0, v[146:147]
	s_delay_alu instid0(VALU_DEP_1) | instskip(NEXT) | instid1(SALU_CYCLE_1)
	s_or_b32 s3, vcc_lo, s3
	s_and_b32 exec_lo, exec_lo, s3
	s_cbranch_execz .LBB125_452
; %bb.447:
	v_cmp_gt_f64_e32 vcc_lo, 0, v[144:145]
	v_xor_b32_e32 v0, 0x80000000, v145
	v_xor_b32_e32 v4, 0x80000000, v147
	s_delay_alu instid0(VALU_DEP_2) | instskip(SKIP_2) | instid1(VALU_DEP_4)
	v_cndmask_b32_e32 v1, v145, v0, vcc_lo
	v_cndmask_b32_e32 v0, v144, v144, vcc_lo
	v_cmp_gt_f64_e32 vcc_lo, 0, v[146:147]
	v_dual_cndmask_b32 v5, v147, v4 :: v_dual_cndmask_b32 v4, v146, v146
	s_delay_alu instid0(VALU_DEP_1) | instskip(SKIP_1) | instid1(SALU_CYCLE_1)
	v_cmp_ngt_f64_e32 vcc_lo, v[0:1], v[4:5]
                                        ; implicit-def: $vgpr0_vgpr1
	s_and_saveexec_b32 s3, vcc_lo
	s_xor_b32 s3, exec_lo, s3
                                        ; implicit-def: $vgpr148_vgpr149_vgpr150_vgpr151
	s_cbranch_execz .LBB125_449
; %bb.448:
	v_div_scale_f64 v[0:1], null, v[146:147], v[146:147], v[144:145]
	v_div_scale_f64 v[148:149], vcc_lo, v[144:145], v[146:147], v[144:145]
	s_delay_alu instid0(VALU_DEP_2) | instskip(SKIP_2) | instid1(VALU_DEP_1)
	v_rcp_f64_e32 v[4:5], v[0:1]
	s_waitcnt_depctr 0xfff
	v_fma_f64 v[6:7], -v[0:1], v[4:5], 1.0
	v_fma_f64 v[4:5], v[4:5], v[6:7], v[4:5]
	s_delay_alu instid0(VALU_DEP_1) | instskip(NEXT) | instid1(VALU_DEP_1)
	v_fma_f64 v[6:7], -v[0:1], v[4:5], 1.0
	v_fma_f64 v[4:5], v[4:5], v[6:7], v[4:5]
	s_delay_alu instid0(VALU_DEP_1) | instskip(NEXT) | instid1(VALU_DEP_1)
	v_mul_f64 v[6:7], v[148:149], v[4:5]
	v_fma_f64 v[0:1], -v[0:1], v[6:7], v[148:149]
	s_delay_alu instid0(VALU_DEP_1) | instskip(NEXT) | instid1(VALU_DEP_1)
	v_div_fmas_f64 v[0:1], v[0:1], v[4:5], v[6:7]
	v_div_fixup_f64 v[0:1], v[0:1], v[146:147], v[144:145]
	s_delay_alu instid0(VALU_DEP_1) | instskip(NEXT) | instid1(VALU_DEP_1)
	v_fma_f64 v[4:5], v[144:145], v[0:1], v[146:147]
	v_div_scale_f64 v[6:7], null, v[4:5], v[4:5], 1.0
	s_delay_alu instid0(VALU_DEP_1) | instskip(SKIP_2) | instid1(VALU_DEP_1)
	v_rcp_f64_e32 v[144:145], v[6:7]
	s_waitcnt_depctr 0xfff
	v_fma_f64 v[146:147], -v[6:7], v[144:145], 1.0
	v_fma_f64 v[144:145], v[144:145], v[146:147], v[144:145]
	s_delay_alu instid0(VALU_DEP_1) | instskip(NEXT) | instid1(VALU_DEP_1)
	v_fma_f64 v[146:147], -v[6:7], v[144:145], 1.0
	v_fma_f64 v[144:145], v[144:145], v[146:147], v[144:145]
	v_div_scale_f64 v[146:147], vcc_lo, 1.0, v[4:5], 1.0
	s_delay_alu instid0(VALU_DEP_1) | instskip(NEXT) | instid1(VALU_DEP_1)
	v_mul_f64 v[148:149], v[146:147], v[144:145]
	v_fma_f64 v[6:7], -v[6:7], v[148:149], v[146:147]
	s_delay_alu instid0(VALU_DEP_1) | instskip(NEXT) | instid1(VALU_DEP_1)
	v_div_fmas_f64 v[6:7], v[6:7], v[144:145], v[148:149]
                                        ; implicit-def: $vgpr144_vgpr145
	v_div_fixup_f64 v[150:151], v[6:7], v[4:5], 1.0
	s_delay_alu instid0(VALU_DEP_1)
	v_mul_f64 v[0:1], v[0:1], v[150:151]
	v_xor_b32_e32 v151, 0x80000000, v151
.LBB125_449:
	s_and_not1_saveexec_b32 s3, s3
	s_cbranch_execz .LBB125_451
; %bb.450:
	v_div_scale_f64 v[0:1], null, v[144:145], v[144:145], v[146:147]
	v_div_scale_f64 v[148:149], vcc_lo, v[146:147], v[144:145], v[146:147]
	s_delay_alu instid0(VALU_DEP_2) | instskip(SKIP_2) | instid1(VALU_DEP_1)
	v_rcp_f64_e32 v[4:5], v[0:1]
	s_waitcnt_depctr 0xfff
	v_fma_f64 v[6:7], -v[0:1], v[4:5], 1.0
	v_fma_f64 v[4:5], v[4:5], v[6:7], v[4:5]
	s_delay_alu instid0(VALU_DEP_1) | instskip(NEXT) | instid1(VALU_DEP_1)
	v_fma_f64 v[6:7], -v[0:1], v[4:5], 1.0
	v_fma_f64 v[4:5], v[4:5], v[6:7], v[4:5]
	s_delay_alu instid0(VALU_DEP_1) | instskip(NEXT) | instid1(VALU_DEP_1)
	v_mul_f64 v[6:7], v[148:149], v[4:5]
	v_fma_f64 v[0:1], -v[0:1], v[6:7], v[148:149]
	s_delay_alu instid0(VALU_DEP_1) | instskip(NEXT) | instid1(VALU_DEP_1)
	v_div_fmas_f64 v[0:1], v[0:1], v[4:5], v[6:7]
	v_div_fixup_f64 v[4:5], v[0:1], v[144:145], v[146:147]
	s_delay_alu instid0(VALU_DEP_1) | instskip(NEXT) | instid1(VALU_DEP_1)
	v_fma_f64 v[0:1], v[146:147], v[4:5], v[144:145]
	v_div_scale_f64 v[6:7], null, v[0:1], v[0:1], 1.0
	s_delay_alu instid0(VALU_DEP_1) | instskip(SKIP_2) | instid1(VALU_DEP_1)
	v_rcp_f64_e32 v[144:145], v[6:7]
	s_waitcnt_depctr 0xfff
	v_fma_f64 v[146:147], -v[6:7], v[144:145], 1.0
	v_fma_f64 v[144:145], v[144:145], v[146:147], v[144:145]
	s_delay_alu instid0(VALU_DEP_1) | instskip(NEXT) | instid1(VALU_DEP_1)
	v_fma_f64 v[146:147], -v[6:7], v[144:145], 1.0
	v_fma_f64 v[144:145], v[144:145], v[146:147], v[144:145]
	v_div_scale_f64 v[146:147], vcc_lo, 1.0, v[0:1], 1.0
	s_delay_alu instid0(VALU_DEP_1) | instskip(NEXT) | instid1(VALU_DEP_1)
	v_mul_f64 v[148:149], v[146:147], v[144:145]
	v_fma_f64 v[6:7], -v[6:7], v[148:149], v[146:147]
	s_delay_alu instid0(VALU_DEP_1) | instskip(NEXT) | instid1(VALU_DEP_1)
	v_div_fmas_f64 v[6:7], v[6:7], v[144:145], v[148:149]
	v_div_fixup_f64 v[0:1], v[6:7], v[0:1], 1.0
	s_delay_alu instid0(VALU_DEP_1)
	v_mul_f64 v[150:151], v[4:5], -v[0:1]
.LBB125_451:
	s_or_b32 exec_lo, exec_lo, s3
	ds_store_2addr_b64 v254, v[0:1], v[150:151] offset1:1
.LBB125_452:
	s_or_b32 exec_lo, exec_lo, s4
	s_waitcnt lgkmcnt(0)
	s_barrier
	buffer_gl0_inv
	ds_load_2addr_b64 v[144:147], v254 offset1:1
	s_mov_b32 s3, exec_lo
	v_cmpx_lt_u32_e32 36, v253
	s_cbranch_execz .LBB125_455
; %bb.453:
	scratch_load_b128 v[150:153], off, off offset:576
	s_mov_b32 s4, 0
	s_waitcnt vmcnt(0) lgkmcnt(0)
	v_mul_f64 v[0:1], v[146:147], v[152:153]
	s_delay_alu instid0(VALU_DEP_1) | instskip(SKIP_1) | instid1(VALU_DEP_1)
	v_fma_f64 v[148:149], v[144:145], v[150:151], -v[0:1]
	v_mul_f64 v[0:1], v[144:145], v[152:153]
	v_fma_f64 v[150:151], v[146:147], v[150:151], v[0:1]
	v_add3_u32 v0, v184, 0, 0x250
	scratch_store_b128 off, v[148:151], off offset:576
	s_set_inst_prefetch_distance 0x1
	.p2align	6
.LBB125_454:                            ; =>This Inner Loop Header: Depth=1
	v_add_nc_u32_e32 v1, s4, v0
	v_add_nc_u32_e64 v156, s4, 0
	s_add_i32 s4, s4, 32
	s_delay_alu instid0(SALU_CYCLE_1)
	s_cmpk_lg_i32 s4, 0x1a0
	ds_load_2addr_b64 v[152:155], v1 offset1:1
	v_add_nc_u32_e32 v157, 0x250, v156
	s_waitcnt lgkmcnt(0)
	v_mul_f64 v[4:5], v[154:155], v[150:151]
	v_mul_f64 v[6:7], v[152:153], v[150:151]
	s_delay_alu instid0(VALU_DEP_2) | instskip(NEXT) | instid1(VALU_DEP_2)
	v_fma_f64 v[4:5], v[152:153], v[148:149], -v[4:5]
	v_fma_f64 v[6:7], v[154:155], v[148:149], v[6:7]
	scratch_load_b128 v[152:155], v157, off
	s_waitcnt vmcnt(0)
	v_add_f64 v[152:153], v[152:153], -v[4:5]
	v_add_f64 v[154:155], v[154:155], -v[6:7]
	scratch_store_b128 v157, v[152:155], off
	ds_load_2addr_b64 v[152:155], v1 offset0:2 offset1:3
	v_add_nc_u32_e32 v1, 0x260, v156
	s_waitcnt lgkmcnt(0)
	v_mul_f64 v[4:5], v[154:155], v[150:151]
	v_mul_f64 v[6:7], v[152:153], v[150:151]
	s_delay_alu instid0(VALU_DEP_2) | instskip(NEXT) | instid1(VALU_DEP_2)
	v_fma_f64 v[4:5], v[152:153], v[148:149], -v[4:5]
	v_fma_f64 v[6:7], v[154:155], v[148:149], v[6:7]
	scratch_load_b128 v[152:155], v1, off
	s_waitcnt vmcnt(0)
	v_add_f64 v[152:153], v[152:153], -v[4:5]
	v_add_f64 v[154:155], v[154:155], -v[6:7]
	scratch_store_b128 v1, v[152:155], off
	s_cbranch_scc1 .LBB125_454
.LBB125_455:
	s_set_inst_prefetch_distance 0x2
	s_or_b32 exec_lo, exec_lo, s3
	s_delay_alu instid0(SALU_CYCLE_1)
	s_mov_b32 s4, exec_lo
	s_waitcnt lgkmcnt(0)
	s_waitcnt_vscnt null, 0x0
	s_barrier
	buffer_gl0_inv
	v_cmpx_eq_u32_e32 37, v253
	s_cbranch_execz .LBB125_462
; %bb.456:
	scratch_load_b32 v0, off, off offset:1100 ; 4-byte Folded Reload
	s_waitcnt vmcnt(0)
	scratch_load_b128 v[148:151], v0, off
	scratch_load_b32 v0, off, off offset:1096 ; 4-byte Folded Reload
	s_waitcnt vmcnt(1)
	ds_store_2addr_b64 v254, v[148:149], v[150:151] offset1:1
	s_waitcnt vmcnt(0)
	scratch_load_b128 v[148:151], v0, off
	scratch_load_b32 v0, off, off offset:1092 ; 4-byte Folded Reload
	s_waitcnt vmcnt(1)
	ds_store_2addr_b64 v252, v[148:149], v[150:151] offset0:76 offset1:77
	s_waitcnt vmcnt(0)
	scratch_load_b128 v[148:151], v0, off
	scratch_load_b32 v0, off, off offset:1088 ; 4-byte Folded Reload
	s_waitcnt vmcnt(1)
	ds_store_2addr_b64 v252, v[148:149], v[150:151] offset0:78 offset1:79
	;; [unrolled: 5-line block ×22, first 2 shown]
	s_waitcnt vmcnt(0)
	scratch_load_b128 v[148:151], v0, off
	s_waitcnt vmcnt(0)
	ds_store_2addr_b64 v252, v[148:149], v[150:151] offset0:120 offset1:121
	scratch_load_b128 v[148:151], v3, off
	s_waitcnt vmcnt(0)
	ds_store_2addr_b64 v252, v[148:149], v[150:151] offset0:122 offset1:123
	;; [unrolled: 3-line block ×3, first 2 shown]
	ds_load_2addr_b64 v[148:151], v254 offset1:1
	s_waitcnt lgkmcnt(0)
	v_cmp_neq_f64_e32 vcc_lo, 0, v[148:149]
	v_cmp_neq_f64_e64 s3, 0, v[150:151]
	s_delay_alu instid0(VALU_DEP_1) | instskip(NEXT) | instid1(SALU_CYCLE_1)
	s_or_b32 s3, vcc_lo, s3
	s_and_b32 exec_lo, exec_lo, s3
	s_cbranch_execz .LBB125_462
; %bb.457:
	v_cmp_gt_f64_e32 vcc_lo, 0, v[148:149]
	v_xor_b32_e32 v0, 0x80000000, v149
	v_xor_b32_e32 v4, 0x80000000, v151
	s_delay_alu instid0(VALU_DEP_2) | instskip(SKIP_2) | instid1(VALU_DEP_4)
	v_cndmask_b32_e32 v1, v149, v0, vcc_lo
	v_cndmask_b32_e32 v0, v148, v148, vcc_lo
	v_cmp_gt_f64_e32 vcc_lo, 0, v[150:151]
	v_dual_cndmask_b32 v5, v151, v4 :: v_dual_cndmask_b32 v4, v150, v150
	s_delay_alu instid0(VALU_DEP_1) | instskip(SKIP_1) | instid1(SALU_CYCLE_1)
	v_cmp_ngt_f64_e32 vcc_lo, v[0:1], v[4:5]
                                        ; implicit-def: $vgpr0_vgpr1
	s_and_saveexec_b32 s3, vcc_lo
	s_xor_b32 s3, exec_lo, s3
                                        ; implicit-def: $vgpr152_vgpr153_vgpr154_vgpr155
	s_cbranch_execz .LBB125_459
; %bb.458:
	v_div_scale_f64 v[0:1], null, v[150:151], v[150:151], v[148:149]
	v_div_scale_f64 v[152:153], vcc_lo, v[148:149], v[150:151], v[148:149]
	s_delay_alu instid0(VALU_DEP_2) | instskip(SKIP_2) | instid1(VALU_DEP_1)
	v_rcp_f64_e32 v[4:5], v[0:1]
	s_waitcnt_depctr 0xfff
	v_fma_f64 v[6:7], -v[0:1], v[4:5], 1.0
	v_fma_f64 v[4:5], v[4:5], v[6:7], v[4:5]
	s_delay_alu instid0(VALU_DEP_1) | instskip(NEXT) | instid1(VALU_DEP_1)
	v_fma_f64 v[6:7], -v[0:1], v[4:5], 1.0
	v_fma_f64 v[4:5], v[4:5], v[6:7], v[4:5]
	s_delay_alu instid0(VALU_DEP_1) | instskip(NEXT) | instid1(VALU_DEP_1)
	v_mul_f64 v[6:7], v[152:153], v[4:5]
	v_fma_f64 v[0:1], -v[0:1], v[6:7], v[152:153]
	s_delay_alu instid0(VALU_DEP_1) | instskip(NEXT) | instid1(VALU_DEP_1)
	v_div_fmas_f64 v[0:1], v[0:1], v[4:5], v[6:7]
	v_div_fixup_f64 v[0:1], v[0:1], v[150:151], v[148:149]
	s_delay_alu instid0(VALU_DEP_1) | instskip(NEXT) | instid1(VALU_DEP_1)
	v_fma_f64 v[4:5], v[148:149], v[0:1], v[150:151]
	v_div_scale_f64 v[6:7], null, v[4:5], v[4:5], 1.0
	s_delay_alu instid0(VALU_DEP_1) | instskip(SKIP_2) | instid1(VALU_DEP_1)
	v_rcp_f64_e32 v[148:149], v[6:7]
	s_waitcnt_depctr 0xfff
	v_fma_f64 v[150:151], -v[6:7], v[148:149], 1.0
	v_fma_f64 v[148:149], v[148:149], v[150:151], v[148:149]
	s_delay_alu instid0(VALU_DEP_1) | instskip(NEXT) | instid1(VALU_DEP_1)
	v_fma_f64 v[150:151], -v[6:7], v[148:149], 1.0
	v_fma_f64 v[148:149], v[148:149], v[150:151], v[148:149]
	v_div_scale_f64 v[150:151], vcc_lo, 1.0, v[4:5], 1.0
	s_delay_alu instid0(VALU_DEP_1) | instskip(NEXT) | instid1(VALU_DEP_1)
	v_mul_f64 v[152:153], v[150:151], v[148:149]
	v_fma_f64 v[6:7], -v[6:7], v[152:153], v[150:151]
	s_delay_alu instid0(VALU_DEP_1) | instskip(NEXT) | instid1(VALU_DEP_1)
	v_div_fmas_f64 v[6:7], v[6:7], v[148:149], v[152:153]
                                        ; implicit-def: $vgpr148_vgpr149
	v_div_fixup_f64 v[154:155], v[6:7], v[4:5], 1.0
	s_delay_alu instid0(VALU_DEP_1)
	v_mul_f64 v[0:1], v[0:1], v[154:155]
	v_xor_b32_e32 v155, 0x80000000, v155
.LBB125_459:
	s_and_not1_saveexec_b32 s3, s3
	s_cbranch_execz .LBB125_461
; %bb.460:
	v_div_scale_f64 v[0:1], null, v[148:149], v[148:149], v[150:151]
	v_div_scale_f64 v[152:153], vcc_lo, v[150:151], v[148:149], v[150:151]
	s_delay_alu instid0(VALU_DEP_2) | instskip(SKIP_2) | instid1(VALU_DEP_1)
	v_rcp_f64_e32 v[4:5], v[0:1]
	s_waitcnt_depctr 0xfff
	v_fma_f64 v[6:7], -v[0:1], v[4:5], 1.0
	v_fma_f64 v[4:5], v[4:5], v[6:7], v[4:5]
	s_delay_alu instid0(VALU_DEP_1) | instskip(NEXT) | instid1(VALU_DEP_1)
	v_fma_f64 v[6:7], -v[0:1], v[4:5], 1.0
	v_fma_f64 v[4:5], v[4:5], v[6:7], v[4:5]
	s_delay_alu instid0(VALU_DEP_1) | instskip(NEXT) | instid1(VALU_DEP_1)
	v_mul_f64 v[6:7], v[152:153], v[4:5]
	v_fma_f64 v[0:1], -v[0:1], v[6:7], v[152:153]
	s_delay_alu instid0(VALU_DEP_1) | instskip(NEXT) | instid1(VALU_DEP_1)
	v_div_fmas_f64 v[0:1], v[0:1], v[4:5], v[6:7]
	v_div_fixup_f64 v[4:5], v[0:1], v[148:149], v[150:151]
	s_delay_alu instid0(VALU_DEP_1) | instskip(NEXT) | instid1(VALU_DEP_1)
	v_fma_f64 v[0:1], v[150:151], v[4:5], v[148:149]
	v_div_scale_f64 v[6:7], null, v[0:1], v[0:1], 1.0
	s_delay_alu instid0(VALU_DEP_1) | instskip(SKIP_2) | instid1(VALU_DEP_1)
	v_rcp_f64_e32 v[148:149], v[6:7]
	s_waitcnt_depctr 0xfff
	v_fma_f64 v[150:151], -v[6:7], v[148:149], 1.0
	v_fma_f64 v[148:149], v[148:149], v[150:151], v[148:149]
	s_delay_alu instid0(VALU_DEP_1) | instskip(NEXT) | instid1(VALU_DEP_1)
	v_fma_f64 v[150:151], -v[6:7], v[148:149], 1.0
	v_fma_f64 v[148:149], v[148:149], v[150:151], v[148:149]
	v_div_scale_f64 v[150:151], vcc_lo, 1.0, v[0:1], 1.0
	s_delay_alu instid0(VALU_DEP_1) | instskip(NEXT) | instid1(VALU_DEP_1)
	v_mul_f64 v[152:153], v[150:151], v[148:149]
	v_fma_f64 v[6:7], -v[6:7], v[152:153], v[150:151]
	s_delay_alu instid0(VALU_DEP_1) | instskip(NEXT) | instid1(VALU_DEP_1)
	v_div_fmas_f64 v[6:7], v[6:7], v[148:149], v[152:153]
	v_div_fixup_f64 v[0:1], v[6:7], v[0:1], 1.0
	s_delay_alu instid0(VALU_DEP_1)
	v_mul_f64 v[154:155], v[4:5], -v[0:1]
.LBB125_461:
	s_or_b32 exec_lo, exec_lo, s3
	ds_store_2addr_b64 v254, v[0:1], v[154:155] offset1:1
.LBB125_462:
	s_or_b32 exec_lo, exec_lo, s4
	s_waitcnt lgkmcnt(0)
	s_barrier
	buffer_gl0_inv
	ds_load_2addr_b64 v[148:151], v254 offset1:1
	s_mov_b32 s3, exec_lo
	v_cmpx_lt_u32_e32 37, v253
	s_cbranch_execz .LBB125_465
; %bb.463:
	scratch_load_b128 v[154:157], off, off offset:592
	s_mov_b32 s4, 0
	s_waitcnt vmcnt(0) lgkmcnt(0)
	v_mul_f64 v[0:1], v[150:151], v[156:157]
	s_delay_alu instid0(VALU_DEP_1) | instskip(SKIP_1) | instid1(VALU_DEP_1)
	v_fma_f64 v[152:153], v[148:149], v[154:155], -v[0:1]
	v_mul_f64 v[0:1], v[148:149], v[156:157]
	v_fma_f64 v[154:155], v[150:151], v[154:155], v[0:1]
	v_add3_u32 v0, v184, 0, 0x260
	v_mov_b32_e32 v1, 0
	scratch_store_b128 off, v[152:155], off offset:592
.LBB125_464:                            ; =>This Inner Loop Header: Depth=1
	v_add_nc_u32_e32 v160, s4, v0
	v_readfirstlane_b32 s5, v1
	ds_load_2addr_b64 v[156:159], v160 offset1:1
	s_add_i32 s5, s5, s4
	s_addk_i32 s4, 0x50
	s_add_i32 s6, s5, 0x260
	s_waitcnt lgkmcnt(0)
	v_mul_f64 v[4:5], v[158:159], v[154:155]
	v_mul_f64 v[6:7], v[156:157], v[154:155]
	s_delay_alu instid0(VALU_DEP_2) | instskip(NEXT) | instid1(VALU_DEP_2)
	v_fma_f64 v[4:5], v[156:157], v[152:153], -v[4:5]
	v_fma_f64 v[6:7], v[158:159], v[152:153], v[6:7]
	scratch_load_b128 v[156:159], off, s6
	s_waitcnt vmcnt(0)
	v_add_f64 v[156:157], v[156:157], -v[4:5]
	v_add_f64 v[158:159], v[158:159], -v[6:7]
	scratch_store_b128 off, v[156:159], s6
	ds_load_2addr_b64 v[156:159], v160 offset0:2 offset1:3
	s_add_i32 s6, s5, 0x270
	s_waitcnt lgkmcnt(0)
	v_mul_f64 v[4:5], v[158:159], v[154:155]
	v_mul_f64 v[6:7], v[156:157], v[154:155]
	s_delay_alu instid0(VALU_DEP_2) | instskip(NEXT) | instid1(VALU_DEP_2)
	v_fma_f64 v[4:5], v[156:157], v[152:153], -v[4:5]
	v_fma_f64 v[6:7], v[158:159], v[152:153], v[6:7]
	scratch_load_b128 v[156:159], off, s6
	s_waitcnt vmcnt(0)
	v_add_f64 v[156:157], v[156:157], -v[4:5]
	v_add_f64 v[158:159], v[158:159], -v[6:7]
	scratch_store_b128 off, v[156:159], s6
	ds_load_2addr_b64 v[156:159], v160 offset0:4 offset1:5
	;; [unrolled: 13-line block ×3, first 2 shown]
	s_add_i32 s6, s5, 0x290
	s_addk_i32 s5, 0x2a0
	s_cmpk_lg_i32 s4, 0x190
	s_waitcnt lgkmcnt(0)
	v_mul_f64 v[4:5], v[158:159], v[154:155]
	v_mul_f64 v[6:7], v[156:157], v[154:155]
	s_delay_alu instid0(VALU_DEP_2) | instskip(NEXT) | instid1(VALU_DEP_2)
	v_fma_f64 v[4:5], v[156:157], v[152:153], -v[4:5]
	v_fma_f64 v[6:7], v[158:159], v[152:153], v[6:7]
	scratch_load_b128 v[156:159], off, s6
	s_waitcnt vmcnt(0)
	v_add_f64 v[156:157], v[156:157], -v[4:5]
	v_add_f64 v[158:159], v[158:159], -v[6:7]
	scratch_store_b128 off, v[156:159], s6
	ds_load_2addr_b64 v[156:159], v160 offset0:8 offset1:9
	s_waitcnt lgkmcnt(0)
	v_mul_f64 v[4:5], v[158:159], v[154:155]
	v_mul_f64 v[6:7], v[156:157], v[154:155]
	s_delay_alu instid0(VALU_DEP_2) | instskip(NEXT) | instid1(VALU_DEP_2)
	v_fma_f64 v[4:5], v[156:157], v[152:153], -v[4:5]
	v_fma_f64 v[6:7], v[158:159], v[152:153], v[6:7]
	scratch_load_b128 v[156:159], off, s5
	s_waitcnt vmcnt(0)
	v_add_f64 v[156:157], v[156:157], -v[4:5]
	v_add_f64 v[158:159], v[158:159], -v[6:7]
	scratch_store_b128 off, v[156:159], s5
	s_cbranch_scc1 .LBB125_464
.LBB125_465:
	s_or_b32 exec_lo, exec_lo, s3
	s_delay_alu instid0(SALU_CYCLE_1)
	s_mov_b32 s4, exec_lo
	s_waitcnt lgkmcnt(0)
	s_waitcnt_vscnt null, 0x0
	s_barrier
	buffer_gl0_inv
	v_cmpx_eq_u32_e32 38, v253
	s_cbranch_execz .LBB125_472
; %bb.466:
	scratch_load_b32 v0, off, off offset:1096 ; 4-byte Folded Reload
	s_waitcnt vmcnt(0)
	scratch_load_b128 v[152:155], v0, off
	scratch_load_b32 v0, off, off offset:1092 ; 4-byte Folded Reload
	s_waitcnt vmcnt(1)
	ds_store_2addr_b64 v254, v[152:153], v[154:155] offset1:1
	s_waitcnt vmcnt(0)
	scratch_load_b128 v[152:155], v0, off
	scratch_load_b32 v0, off, off offset:1088 ; 4-byte Folded Reload
	s_waitcnt vmcnt(1)
	ds_store_2addr_b64 v252, v[152:153], v[154:155] offset0:78 offset1:79
	s_waitcnt vmcnt(0)
	scratch_load_b128 v[152:155], v0, off
	scratch_load_b32 v0, off, off offset:1084 ; 4-byte Folded Reload
	s_waitcnt vmcnt(1)
	ds_store_2addr_b64 v252, v[152:153], v[154:155] offset0:80 offset1:81
	;; [unrolled: 5-line block ×21, first 2 shown]
	s_waitcnt vmcnt(0)
	scratch_load_b128 v[152:155], v0, off
	s_waitcnt vmcnt(0)
	ds_store_2addr_b64 v252, v[152:153], v[154:155] offset0:120 offset1:121
	scratch_load_b128 v[152:155], v3, off
	s_waitcnt vmcnt(0)
	ds_store_2addr_b64 v252, v[152:153], v[154:155] offset0:122 offset1:123
	;; [unrolled: 3-line block ×3, first 2 shown]
	ds_load_2addr_b64 v[152:155], v254 offset1:1
	s_waitcnt lgkmcnt(0)
	v_cmp_neq_f64_e32 vcc_lo, 0, v[152:153]
	v_cmp_neq_f64_e64 s3, 0, v[154:155]
	s_delay_alu instid0(VALU_DEP_1) | instskip(NEXT) | instid1(SALU_CYCLE_1)
	s_or_b32 s3, vcc_lo, s3
	s_and_b32 exec_lo, exec_lo, s3
	s_cbranch_execz .LBB125_472
; %bb.467:
	v_cmp_gt_f64_e32 vcc_lo, 0, v[152:153]
	v_xor_b32_e32 v0, 0x80000000, v153
	v_xor_b32_e32 v4, 0x80000000, v155
	s_delay_alu instid0(VALU_DEP_2) | instskip(SKIP_2) | instid1(VALU_DEP_4)
	v_cndmask_b32_e32 v1, v153, v0, vcc_lo
	v_cndmask_b32_e32 v0, v152, v152, vcc_lo
	v_cmp_gt_f64_e32 vcc_lo, 0, v[154:155]
	v_dual_cndmask_b32 v5, v155, v4 :: v_dual_cndmask_b32 v4, v154, v154
	s_delay_alu instid0(VALU_DEP_1) | instskip(SKIP_1) | instid1(SALU_CYCLE_1)
	v_cmp_ngt_f64_e32 vcc_lo, v[0:1], v[4:5]
                                        ; implicit-def: $vgpr0_vgpr1
	s_and_saveexec_b32 s3, vcc_lo
	s_xor_b32 s3, exec_lo, s3
                                        ; implicit-def: $vgpr156_vgpr157_vgpr158_vgpr159
	s_cbranch_execz .LBB125_469
; %bb.468:
	v_div_scale_f64 v[0:1], null, v[154:155], v[154:155], v[152:153]
	v_div_scale_f64 v[156:157], vcc_lo, v[152:153], v[154:155], v[152:153]
	s_delay_alu instid0(VALU_DEP_2) | instskip(SKIP_2) | instid1(VALU_DEP_1)
	v_rcp_f64_e32 v[4:5], v[0:1]
	s_waitcnt_depctr 0xfff
	v_fma_f64 v[6:7], -v[0:1], v[4:5], 1.0
	v_fma_f64 v[4:5], v[4:5], v[6:7], v[4:5]
	s_delay_alu instid0(VALU_DEP_1) | instskip(NEXT) | instid1(VALU_DEP_1)
	v_fma_f64 v[6:7], -v[0:1], v[4:5], 1.0
	v_fma_f64 v[4:5], v[4:5], v[6:7], v[4:5]
	s_delay_alu instid0(VALU_DEP_1) | instskip(NEXT) | instid1(VALU_DEP_1)
	v_mul_f64 v[6:7], v[156:157], v[4:5]
	v_fma_f64 v[0:1], -v[0:1], v[6:7], v[156:157]
	s_delay_alu instid0(VALU_DEP_1) | instskip(NEXT) | instid1(VALU_DEP_1)
	v_div_fmas_f64 v[0:1], v[0:1], v[4:5], v[6:7]
	v_div_fixup_f64 v[0:1], v[0:1], v[154:155], v[152:153]
	s_delay_alu instid0(VALU_DEP_1) | instskip(NEXT) | instid1(VALU_DEP_1)
	v_fma_f64 v[4:5], v[152:153], v[0:1], v[154:155]
	v_div_scale_f64 v[6:7], null, v[4:5], v[4:5], 1.0
	s_delay_alu instid0(VALU_DEP_1) | instskip(SKIP_2) | instid1(VALU_DEP_1)
	v_rcp_f64_e32 v[152:153], v[6:7]
	s_waitcnt_depctr 0xfff
	v_fma_f64 v[154:155], -v[6:7], v[152:153], 1.0
	v_fma_f64 v[152:153], v[152:153], v[154:155], v[152:153]
	s_delay_alu instid0(VALU_DEP_1) | instskip(NEXT) | instid1(VALU_DEP_1)
	v_fma_f64 v[154:155], -v[6:7], v[152:153], 1.0
	v_fma_f64 v[152:153], v[152:153], v[154:155], v[152:153]
	v_div_scale_f64 v[154:155], vcc_lo, 1.0, v[4:5], 1.0
	s_delay_alu instid0(VALU_DEP_1) | instskip(NEXT) | instid1(VALU_DEP_1)
	v_mul_f64 v[156:157], v[154:155], v[152:153]
	v_fma_f64 v[6:7], -v[6:7], v[156:157], v[154:155]
	s_delay_alu instid0(VALU_DEP_1) | instskip(NEXT) | instid1(VALU_DEP_1)
	v_div_fmas_f64 v[6:7], v[6:7], v[152:153], v[156:157]
                                        ; implicit-def: $vgpr152_vgpr153
	v_div_fixup_f64 v[158:159], v[6:7], v[4:5], 1.0
	s_delay_alu instid0(VALU_DEP_1)
	v_mul_f64 v[0:1], v[0:1], v[158:159]
	v_xor_b32_e32 v159, 0x80000000, v159
.LBB125_469:
	s_and_not1_saveexec_b32 s3, s3
	s_cbranch_execz .LBB125_471
; %bb.470:
	v_div_scale_f64 v[0:1], null, v[152:153], v[152:153], v[154:155]
	v_div_scale_f64 v[156:157], vcc_lo, v[154:155], v[152:153], v[154:155]
	s_delay_alu instid0(VALU_DEP_2) | instskip(SKIP_2) | instid1(VALU_DEP_1)
	v_rcp_f64_e32 v[4:5], v[0:1]
	s_waitcnt_depctr 0xfff
	v_fma_f64 v[6:7], -v[0:1], v[4:5], 1.0
	v_fma_f64 v[4:5], v[4:5], v[6:7], v[4:5]
	s_delay_alu instid0(VALU_DEP_1) | instskip(NEXT) | instid1(VALU_DEP_1)
	v_fma_f64 v[6:7], -v[0:1], v[4:5], 1.0
	v_fma_f64 v[4:5], v[4:5], v[6:7], v[4:5]
	s_delay_alu instid0(VALU_DEP_1) | instskip(NEXT) | instid1(VALU_DEP_1)
	v_mul_f64 v[6:7], v[156:157], v[4:5]
	v_fma_f64 v[0:1], -v[0:1], v[6:7], v[156:157]
	s_delay_alu instid0(VALU_DEP_1) | instskip(NEXT) | instid1(VALU_DEP_1)
	v_div_fmas_f64 v[0:1], v[0:1], v[4:5], v[6:7]
	v_div_fixup_f64 v[4:5], v[0:1], v[152:153], v[154:155]
	s_delay_alu instid0(VALU_DEP_1) | instskip(NEXT) | instid1(VALU_DEP_1)
	v_fma_f64 v[0:1], v[154:155], v[4:5], v[152:153]
	v_div_scale_f64 v[6:7], null, v[0:1], v[0:1], 1.0
	s_delay_alu instid0(VALU_DEP_1) | instskip(SKIP_2) | instid1(VALU_DEP_1)
	v_rcp_f64_e32 v[152:153], v[6:7]
	s_waitcnt_depctr 0xfff
	v_fma_f64 v[154:155], -v[6:7], v[152:153], 1.0
	v_fma_f64 v[152:153], v[152:153], v[154:155], v[152:153]
	s_delay_alu instid0(VALU_DEP_1) | instskip(NEXT) | instid1(VALU_DEP_1)
	v_fma_f64 v[154:155], -v[6:7], v[152:153], 1.0
	v_fma_f64 v[152:153], v[152:153], v[154:155], v[152:153]
	v_div_scale_f64 v[154:155], vcc_lo, 1.0, v[0:1], 1.0
	s_delay_alu instid0(VALU_DEP_1) | instskip(NEXT) | instid1(VALU_DEP_1)
	v_mul_f64 v[156:157], v[154:155], v[152:153]
	v_fma_f64 v[6:7], -v[6:7], v[156:157], v[154:155]
	s_delay_alu instid0(VALU_DEP_1) | instskip(NEXT) | instid1(VALU_DEP_1)
	v_div_fmas_f64 v[6:7], v[6:7], v[152:153], v[156:157]
	v_div_fixup_f64 v[0:1], v[6:7], v[0:1], 1.0
	s_delay_alu instid0(VALU_DEP_1)
	v_mul_f64 v[158:159], v[4:5], -v[0:1]
.LBB125_471:
	s_or_b32 exec_lo, exec_lo, s3
	ds_store_2addr_b64 v254, v[0:1], v[158:159] offset1:1
.LBB125_472:
	s_or_b32 exec_lo, exec_lo, s4
	s_waitcnt lgkmcnt(0)
	s_barrier
	buffer_gl0_inv
	ds_load_2addr_b64 v[152:155], v254 offset1:1
	s_mov_b32 s3, exec_lo
	v_cmpx_lt_u32_e32 38, v253
	s_cbranch_execz .LBB125_475
; %bb.473:
	scratch_load_b128 v[158:161], off, off offset:608
	s_mov_b32 s4, 0
	s_waitcnt vmcnt(0) lgkmcnt(0)
	v_mul_f64 v[0:1], v[154:155], v[160:161]
	s_delay_alu instid0(VALU_DEP_1) | instskip(SKIP_1) | instid1(VALU_DEP_1)
	v_fma_f64 v[156:157], v[152:153], v[158:159], -v[0:1]
	v_mul_f64 v[0:1], v[152:153], v[160:161]
	v_fma_f64 v[158:159], v[154:155], v[158:159], v[0:1]
	v_add3_u32 v0, v184, 0, 0x270
	v_mov_b32_e32 v1, 0
	scratch_store_b128 off, v[156:159], off offset:608
.LBB125_474:                            ; =>This Inner Loop Header: Depth=1
	v_add_nc_u32_e32 v164, s4, v0
	v_readfirstlane_b32 s5, v1
	ds_load_2addr_b64 v[160:163], v164 offset1:1
	s_add_i32 s5, s5, s4
	s_addk_i32 s4, 0x60
	s_add_i32 s6, s5, 0x270
	s_waitcnt lgkmcnt(0)
	v_mul_f64 v[4:5], v[162:163], v[158:159]
	v_mul_f64 v[6:7], v[160:161], v[158:159]
	s_delay_alu instid0(VALU_DEP_2) | instskip(NEXT) | instid1(VALU_DEP_2)
	v_fma_f64 v[4:5], v[160:161], v[156:157], -v[4:5]
	v_fma_f64 v[6:7], v[162:163], v[156:157], v[6:7]
	scratch_load_b128 v[160:163], off, s6
	s_waitcnt vmcnt(0)
	v_add_f64 v[160:161], v[160:161], -v[4:5]
	v_add_f64 v[162:163], v[162:163], -v[6:7]
	scratch_store_b128 off, v[160:163], s6
	ds_load_2addr_b64 v[160:163], v164 offset0:2 offset1:3
	s_add_i32 s6, s5, 0x280
	s_waitcnt lgkmcnt(0)
	v_mul_f64 v[4:5], v[162:163], v[158:159]
	v_mul_f64 v[6:7], v[160:161], v[158:159]
	s_delay_alu instid0(VALU_DEP_2) | instskip(NEXT) | instid1(VALU_DEP_2)
	v_fma_f64 v[4:5], v[160:161], v[156:157], -v[4:5]
	v_fma_f64 v[6:7], v[162:163], v[156:157], v[6:7]
	scratch_load_b128 v[160:163], off, s6
	s_waitcnt vmcnt(0)
	v_add_f64 v[160:161], v[160:161], -v[4:5]
	v_add_f64 v[162:163], v[162:163], -v[6:7]
	scratch_store_b128 off, v[160:163], s6
	ds_load_2addr_b64 v[160:163], v164 offset0:4 offset1:5
	;; [unrolled: 13-line block ×4, first 2 shown]
	s_add_i32 s6, s5, 0x2b0
	s_addk_i32 s5, 0x2c0
	s_cmpk_lg_i32 s4, 0x180
	s_waitcnt lgkmcnt(0)
	v_mul_f64 v[4:5], v[162:163], v[158:159]
	v_mul_f64 v[6:7], v[160:161], v[158:159]
	s_delay_alu instid0(VALU_DEP_2) | instskip(NEXT) | instid1(VALU_DEP_2)
	v_fma_f64 v[4:5], v[160:161], v[156:157], -v[4:5]
	v_fma_f64 v[6:7], v[162:163], v[156:157], v[6:7]
	scratch_load_b128 v[160:163], off, s6
	s_waitcnt vmcnt(0)
	v_add_f64 v[160:161], v[160:161], -v[4:5]
	v_add_f64 v[162:163], v[162:163], -v[6:7]
	scratch_store_b128 off, v[160:163], s6
	ds_load_2addr_b64 v[160:163], v164 offset0:10 offset1:11
	s_waitcnt lgkmcnt(0)
	v_mul_f64 v[4:5], v[162:163], v[158:159]
	v_mul_f64 v[6:7], v[160:161], v[158:159]
	s_delay_alu instid0(VALU_DEP_2) | instskip(NEXT) | instid1(VALU_DEP_2)
	v_fma_f64 v[4:5], v[160:161], v[156:157], -v[4:5]
	v_fma_f64 v[6:7], v[162:163], v[156:157], v[6:7]
	scratch_load_b128 v[160:163], off, s5
	s_waitcnt vmcnt(0)
	v_add_f64 v[160:161], v[160:161], -v[4:5]
	v_add_f64 v[162:163], v[162:163], -v[6:7]
	scratch_store_b128 off, v[160:163], s5
	s_cbranch_scc1 .LBB125_474
.LBB125_475:
	s_or_b32 exec_lo, exec_lo, s3
	s_delay_alu instid0(SALU_CYCLE_1)
	s_mov_b32 s4, exec_lo
	s_waitcnt lgkmcnt(0)
	s_waitcnt_vscnt null, 0x0
	s_barrier
	buffer_gl0_inv
	v_cmpx_eq_u32_e32 39, v253
	s_cbranch_execz .LBB125_482
; %bb.476:
	scratch_load_b32 v0, off, off offset:1092 ; 4-byte Folded Reload
	s_waitcnt vmcnt(0)
	scratch_load_b128 v[156:159], v0, off
	scratch_load_b32 v0, off, off offset:1088 ; 4-byte Folded Reload
	s_waitcnt vmcnt(1)
	ds_store_2addr_b64 v254, v[156:157], v[158:159] offset1:1
	s_waitcnt vmcnt(0)
	scratch_load_b128 v[156:159], v0, off
	scratch_load_b32 v0, off, off offset:1084 ; 4-byte Folded Reload
	s_waitcnt vmcnt(1)
	ds_store_2addr_b64 v252, v[156:157], v[158:159] offset0:80 offset1:81
	s_waitcnt vmcnt(0)
	scratch_load_b128 v[156:159], v0, off
	scratch_load_b32 v0, off, off offset:1080 ; 4-byte Folded Reload
	s_waitcnt vmcnt(1)
	ds_store_2addr_b64 v252, v[156:157], v[158:159] offset0:82 offset1:83
	;; [unrolled: 5-line block ×20, first 2 shown]
	s_waitcnt vmcnt(0)
	scratch_load_b128 v[156:159], v0, off
	s_waitcnt vmcnt(0)
	ds_store_2addr_b64 v252, v[156:157], v[158:159] offset0:120 offset1:121
	scratch_load_b128 v[156:159], v3, off
	s_waitcnt vmcnt(0)
	ds_store_2addr_b64 v252, v[156:157], v[158:159] offset0:122 offset1:123
	scratch_load_b128 v[156:159], v2, off
	s_waitcnt vmcnt(0)
	ds_store_2addr_b64 v252, v[156:157], v[158:159] offset0:124 offset1:125
	ds_load_2addr_b64 v[156:159], v254 offset1:1
	s_waitcnt lgkmcnt(0)
	v_cmp_neq_f64_e32 vcc_lo, 0, v[156:157]
	v_cmp_neq_f64_e64 s3, 0, v[158:159]
	s_delay_alu instid0(VALU_DEP_1) | instskip(NEXT) | instid1(SALU_CYCLE_1)
	s_or_b32 s3, vcc_lo, s3
	s_and_b32 exec_lo, exec_lo, s3
	s_cbranch_execz .LBB125_482
; %bb.477:
	v_cmp_gt_f64_e32 vcc_lo, 0, v[156:157]
	v_xor_b32_e32 v0, 0x80000000, v157
	v_xor_b32_e32 v4, 0x80000000, v159
	s_delay_alu instid0(VALU_DEP_2) | instskip(SKIP_2) | instid1(VALU_DEP_4)
	v_cndmask_b32_e32 v1, v157, v0, vcc_lo
	v_cndmask_b32_e32 v0, v156, v156, vcc_lo
	v_cmp_gt_f64_e32 vcc_lo, 0, v[158:159]
	v_dual_cndmask_b32 v5, v159, v4 :: v_dual_cndmask_b32 v4, v158, v158
	s_delay_alu instid0(VALU_DEP_1) | instskip(SKIP_1) | instid1(SALU_CYCLE_1)
	v_cmp_ngt_f64_e32 vcc_lo, v[0:1], v[4:5]
                                        ; implicit-def: $vgpr0_vgpr1
	s_and_saveexec_b32 s3, vcc_lo
	s_xor_b32 s3, exec_lo, s3
                                        ; implicit-def: $vgpr160_vgpr161_vgpr162_vgpr163
	s_cbranch_execz .LBB125_479
; %bb.478:
	v_div_scale_f64 v[0:1], null, v[158:159], v[158:159], v[156:157]
	v_div_scale_f64 v[160:161], vcc_lo, v[156:157], v[158:159], v[156:157]
	s_delay_alu instid0(VALU_DEP_2) | instskip(SKIP_2) | instid1(VALU_DEP_1)
	v_rcp_f64_e32 v[4:5], v[0:1]
	s_waitcnt_depctr 0xfff
	v_fma_f64 v[6:7], -v[0:1], v[4:5], 1.0
	v_fma_f64 v[4:5], v[4:5], v[6:7], v[4:5]
	s_delay_alu instid0(VALU_DEP_1) | instskip(NEXT) | instid1(VALU_DEP_1)
	v_fma_f64 v[6:7], -v[0:1], v[4:5], 1.0
	v_fma_f64 v[4:5], v[4:5], v[6:7], v[4:5]
	s_delay_alu instid0(VALU_DEP_1) | instskip(NEXT) | instid1(VALU_DEP_1)
	v_mul_f64 v[6:7], v[160:161], v[4:5]
	v_fma_f64 v[0:1], -v[0:1], v[6:7], v[160:161]
	s_delay_alu instid0(VALU_DEP_1) | instskip(NEXT) | instid1(VALU_DEP_1)
	v_div_fmas_f64 v[0:1], v[0:1], v[4:5], v[6:7]
	v_div_fixup_f64 v[0:1], v[0:1], v[158:159], v[156:157]
	s_delay_alu instid0(VALU_DEP_1) | instskip(NEXT) | instid1(VALU_DEP_1)
	v_fma_f64 v[4:5], v[156:157], v[0:1], v[158:159]
	v_div_scale_f64 v[6:7], null, v[4:5], v[4:5], 1.0
	s_delay_alu instid0(VALU_DEP_1) | instskip(SKIP_2) | instid1(VALU_DEP_1)
	v_rcp_f64_e32 v[156:157], v[6:7]
	s_waitcnt_depctr 0xfff
	v_fma_f64 v[158:159], -v[6:7], v[156:157], 1.0
	v_fma_f64 v[156:157], v[156:157], v[158:159], v[156:157]
	s_delay_alu instid0(VALU_DEP_1) | instskip(NEXT) | instid1(VALU_DEP_1)
	v_fma_f64 v[158:159], -v[6:7], v[156:157], 1.0
	v_fma_f64 v[156:157], v[156:157], v[158:159], v[156:157]
	v_div_scale_f64 v[158:159], vcc_lo, 1.0, v[4:5], 1.0
	s_delay_alu instid0(VALU_DEP_1) | instskip(NEXT) | instid1(VALU_DEP_1)
	v_mul_f64 v[160:161], v[158:159], v[156:157]
	v_fma_f64 v[6:7], -v[6:7], v[160:161], v[158:159]
	s_delay_alu instid0(VALU_DEP_1) | instskip(NEXT) | instid1(VALU_DEP_1)
	v_div_fmas_f64 v[6:7], v[6:7], v[156:157], v[160:161]
                                        ; implicit-def: $vgpr156_vgpr157
	v_div_fixup_f64 v[162:163], v[6:7], v[4:5], 1.0
	s_delay_alu instid0(VALU_DEP_1)
	v_mul_f64 v[0:1], v[0:1], v[162:163]
	v_xor_b32_e32 v163, 0x80000000, v163
.LBB125_479:
	s_and_not1_saveexec_b32 s3, s3
	s_cbranch_execz .LBB125_481
; %bb.480:
	v_div_scale_f64 v[0:1], null, v[156:157], v[156:157], v[158:159]
	v_div_scale_f64 v[160:161], vcc_lo, v[158:159], v[156:157], v[158:159]
	s_delay_alu instid0(VALU_DEP_2) | instskip(SKIP_2) | instid1(VALU_DEP_1)
	v_rcp_f64_e32 v[4:5], v[0:1]
	s_waitcnt_depctr 0xfff
	v_fma_f64 v[6:7], -v[0:1], v[4:5], 1.0
	v_fma_f64 v[4:5], v[4:5], v[6:7], v[4:5]
	s_delay_alu instid0(VALU_DEP_1) | instskip(NEXT) | instid1(VALU_DEP_1)
	v_fma_f64 v[6:7], -v[0:1], v[4:5], 1.0
	v_fma_f64 v[4:5], v[4:5], v[6:7], v[4:5]
	s_delay_alu instid0(VALU_DEP_1) | instskip(NEXT) | instid1(VALU_DEP_1)
	v_mul_f64 v[6:7], v[160:161], v[4:5]
	v_fma_f64 v[0:1], -v[0:1], v[6:7], v[160:161]
	s_delay_alu instid0(VALU_DEP_1) | instskip(NEXT) | instid1(VALU_DEP_1)
	v_div_fmas_f64 v[0:1], v[0:1], v[4:5], v[6:7]
	v_div_fixup_f64 v[4:5], v[0:1], v[156:157], v[158:159]
	s_delay_alu instid0(VALU_DEP_1) | instskip(NEXT) | instid1(VALU_DEP_1)
	v_fma_f64 v[0:1], v[158:159], v[4:5], v[156:157]
	v_div_scale_f64 v[6:7], null, v[0:1], v[0:1], 1.0
	s_delay_alu instid0(VALU_DEP_1) | instskip(SKIP_2) | instid1(VALU_DEP_1)
	v_rcp_f64_e32 v[156:157], v[6:7]
	s_waitcnt_depctr 0xfff
	v_fma_f64 v[158:159], -v[6:7], v[156:157], 1.0
	v_fma_f64 v[156:157], v[156:157], v[158:159], v[156:157]
	s_delay_alu instid0(VALU_DEP_1) | instskip(NEXT) | instid1(VALU_DEP_1)
	v_fma_f64 v[158:159], -v[6:7], v[156:157], 1.0
	v_fma_f64 v[156:157], v[156:157], v[158:159], v[156:157]
	v_div_scale_f64 v[158:159], vcc_lo, 1.0, v[0:1], 1.0
	s_delay_alu instid0(VALU_DEP_1) | instskip(NEXT) | instid1(VALU_DEP_1)
	v_mul_f64 v[160:161], v[158:159], v[156:157]
	v_fma_f64 v[6:7], -v[6:7], v[160:161], v[158:159]
	s_delay_alu instid0(VALU_DEP_1) | instskip(NEXT) | instid1(VALU_DEP_1)
	v_div_fmas_f64 v[6:7], v[6:7], v[156:157], v[160:161]
	v_div_fixup_f64 v[0:1], v[6:7], v[0:1], 1.0
	s_delay_alu instid0(VALU_DEP_1)
	v_mul_f64 v[162:163], v[4:5], -v[0:1]
.LBB125_481:
	s_or_b32 exec_lo, exec_lo, s3
	ds_store_2addr_b64 v254, v[0:1], v[162:163] offset1:1
.LBB125_482:
	s_or_b32 exec_lo, exec_lo, s4
	s_waitcnt lgkmcnt(0)
	s_barrier
	buffer_gl0_inv
	ds_load_2addr_b64 v[156:159], v254 offset1:1
	s_mov_b32 s3, exec_lo
	v_cmpx_lt_u32_e32 39, v253
	s_cbranch_execz .LBB125_487
; %bb.483:
	scratch_load_b128 v[162:165], off, off offset:624
	s_mov_b32 s4, 0
	s_waitcnt vmcnt(0) lgkmcnt(0)
	v_mul_f64 v[0:1], v[158:159], v[164:165]
	s_delay_alu instid0(VALU_DEP_1) | instskip(SKIP_1) | instid1(VALU_DEP_1)
	v_fma_f64 v[160:161], v[156:157], v[162:163], -v[0:1]
	v_mul_f64 v[0:1], v[156:157], v[164:165]
	v_fma_f64 v[162:163], v[158:159], v[162:163], v[0:1]
	v_add3_u32 v0, v184, 0, 0x280
	v_mov_b32_e32 v1, 0
	scratch_store_b128 off, v[160:163], off offset:624
	s_branch .LBB125_485
.LBB125_484:                            ;   in Loop: Header=BB125_485 Depth=1
	s_and_not1_b32 vcc_lo, exec_lo, s6
	s_cbranch_vccz .LBB125_487
.LBB125_485:                            ; =>This Inner Loop Header: Depth=1
	v_add_nc_u32_e32 v164, s4, v0
	v_readfirstlane_b32 s5, v1
	ds_load_2addr_b64 v[165:168], v164 offset1:1
	s_add_i32 s5, s5, s4
	s_delay_alu instid0(SALU_CYCLE_1) | instskip(SKIP_3) | instid1(VALU_DEP_2)
	s_add_i32 s6, s5, 0x280
	s_waitcnt lgkmcnt(0)
	v_mul_f64 v[4:5], v[167:168], v[162:163]
	v_mul_f64 v[6:7], v[165:166], v[162:163]
	v_fma_f64 v[4:5], v[165:166], v[160:161], -v[4:5]
	s_delay_alu instid0(VALU_DEP_2)
	v_fma_f64 v[6:7], v[167:168], v[160:161], v[6:7]
	scratch_load_b128 v[165:168], off, s6
	s_waitcnt vmcnt(0)
	v_add_f64 v[165:166], v[165:166], -v[4:5]
	v_add_f64 v[167:168], v[167:168], -v[6:7]
	scratch_store_b128 off, v[165:168], s6
	ds_load_2addr_b64 v[165:168], v164 offset0:2 offset1:3
	s_add_i32 s6, s5, 0x290
	s_waitcnt lgkmcnt(0)
	v_mul_f64 v[4:5], v[167:168], v[162:163]
	v_mul_f64 v[6:7], v[165:166], v[162:163]
	s_delay_alu instid0(VALU_DEP_2) | instskip(NEXT) | instid1(VALU_DEP_2)
	v_fma_f64 v[4:5], v[165:166], v[160:161], -v[4:5]
	v_fma_f64 v[6:7], v[167:168], v[160:161], v[6:7]
	scratch_load_b128 v[165:168], off, s6
	s_waitcnt vmcnt(0)
	v_add_f64 v[165:166], v[165:166], -v[4:5]
	v_add_f64 v[167:168], v[167:168], -v[6:7]
	scratch_store_b128 off, v[165:168], s6
	ds_load_2addr_b64 v[165:168], v164 offset0:4 offset1:5
	s_add_i32 s6, s5, 0x2a0
	s_cmpk_eq_i32 s4, 0x140
	s_waitcnt lgkmcnt(0)
	v_mul_f64 v[4:5], v[167:168], v[162:163]
	v_mul_f64 v[6:7], v[165:166], v[162:163]
	s_delay_alu instid0(VALU_DEP_2) | instskip(NEXT) | instid1(VALU_DEP_2)
	v_fma_f64 v[4:5], v[165:166], v[160:161], -v[4:5]
	v_fma_f64 v[6:7], v[167:168], v[160:161], v[6:7]
	scratch_load_b128 v[165:168], off, s6
	s_waitcnt vmcnt(0)
	v_add_f64 v[165:166], v[165:166], -v[4:5]
	v_add_f64 v[167:168], v[167:168], -v[6:7]
	scratch_store_b128 off, v[165:168], s6
	s_mov_b32 s6, -1
	s_cbranch_scc1 .LBB125_484
; %bb.486:                              ;   in Loop: Header=BB125_485 Depth=1
	ds_load_2addr_b64 v[164:167], v164 offset0:6 offset1:7
	s_addk_i32 s5, 0x2b0
	s_add_i32 s4, s4, 64
	s_mov_b32 s6, 0
	s_waitcnt lgkmcnt(0)
	v_mul_f64 v[4:5], v[166:167], v[162:163]
	v_mul_f64 v[6:7], v[164:165], v[162:163]
	s_delay_alu instid0(VALU_DEP_2) | instskip(NEXT) | instid1(VALU_DEP_2)
	v_fma_f64 v[4:5], v[164:165], v[160:161], -v[4:5]
	v_fma_f64 v[6:7], v[166:167], v[160:161], v[6:7]
	scratch_load_b128 v[164:167], off, s5
	s_waitcnt vmcnt(0)
	v_add_f64 v[164:165], v[164:165], -v[4:5]
	v_add_f64 v[166:167], v[166:167], -v[6:7]
	scratch_store_b128 off, v[164:167], s5
	s_branch .LBB125_484
.LBB125_487:
	s_or_b32 exec_lo, exec_lo, s3
	s_delay_alu instid0(SALU_CYCLE_1)
	s_mov_b32 s4, exec_lo
	s_waitcnt lgkmcnt(0)
	s_waitcnt_vscnt null, 0x0
	s_barrier
	buffer_gl0_inv
	v_cmpx_eq_u32_e32 40, v253
	s_cbranch_execz .LBB125_494
; %bb.488:
	scratch_load_b32 v0, off, off offset:1088 ; 4-byte Folded Reload
	s_waitcnt vmcnt(0)
	scratch_load_b128 v[160:163], v0, off
	scratch_load_b32 v0, off, off offset:1084 ; 4-byte Folded Reload
	s_waitcnt vmcnt(1)
	ds_store_2addr_b64 v254, v[160:161], v[162:163] offset1:1
	s_waitcnt vmcnt(0)
	scratch_load_b128 v[160:163], v0, off
	scratch_load_b32 v0, off, off offset:1080 ; 4-byte Folded Reload
	s_waitcnt vmcnt(1)
	ds_store_2addr_b64 v252, v[160:161], v[162:163] offset0:82 offset1:83
	s_waitcnt vmcnt(0)
	scratch_load_b128 v[160:163], v0, off
	scratch_load_b32 v0, off, off offset:1076 ; 4-byte Folded Reload
	s_waitcnt vmcnt(1)
	ds_store_2addr_b64 v252, v[160:161], v[162:163] offset0:84 offset1:85
	;; [unrolled: 5-line block ×19, first 2 shown]
	s_waitcnt vmcnt(0)
	scratch_load_b128 v[160:163], v0, off
	s_waitcnt vmcnt(0)
	ds_store_2addr_b64 v252, v[160:161], v[162:163] offset0:120 offset1:121
	scratch_load_b128 v[160:163], v3, off
	s_waitcnt vmcnt(0)
	ds_store_2addr_b64 v252, v[160:161], v[162:163] offset0:122 offset1:123
	;; [unrolled: 3-line block ×3, first 2 shown]
	ds_load_2addr_b64 v[160:163], v254 offset1:1
	s_waitcnt lgkmcnt(0)
	v_cmp_neq_f64_e32 vcc_lo, 0, v[160:161]
	v_cmp_neq_f64_e64 s3, 0, v[162:163]
	s_delay_alu instid0(VALU_DEP_1) | instskip(NEXT) | instid1(SALU_CYCLE_1)
	s_or_b32 s3, vcc_lo, s3
	s_and_b32 exec_lo, exec_lo, s3
	s_cbranch_execz .LBB125_494
; %bb.489:
	v_cmp_gt_f64_e32 vcc_lo, 0, v[160:161]
	v_xor_b32_e32 v0, 0x80000000, v161
	v_xor_b32_e32 v4, 0x80000000, v163
	s_delay_alu instid0(VALU_DEP_2) | instskip(SKIP_2) | instid1(VALU_DEP_4)
	v_cndmask_b32_e32 v1, v161, v0, vcc_lo
	v_cndmask_b32_e32 v0, v160, v160, vcc_lo
	v_cmp_gt_f64_e32 vcc_lo, 0, v[162:163]
	v_dual_cndmask_b32 v5, v163, v4 :: v_dual_cndmask_b32 v4, v162, v162
	s_delay_alu instid0(VALU_DEP_1) | instskip(SKIP_1) | instid1(SALU_CYCLE_1)
	v_cmp_ngt_f64_e32 vcc_lo, v[0:1], v[4:5]
                                        ; implicit-def: $vgpr0_vgpr1
	s_and_saveexec_b32 s3, vcc_lo
	s_xor_b32 s3, exec_lo, s3
                                        ; implicit-def: $vgpr164_vgpr165_vgpr166_vgpr167
	s_cbranch_execz .LBB125_491
; %bb.490:
	v_div_scale_f64 v[0:1], null, v[162:163], v[162:163], v[160:161]
	v_div_scale_f64 v[164:165], vcc_lo, v[160:161], v[162:163], v[160:161]
	s_delay_alu instid0(VALU_DEP_2) | instskip(SKIP_2) | instid1(VALU_DEP_1)
	v_rcp_f64_e32 v[4:5], v[0:1]
	s_waitcnt_depctr 0xfff
	v_fma_f64 v[6:7], -v[0:1], v[4:5], 1.0
	v_fma_f64 v[4:5], v[4:5], v[6:7], v[4:5]
	s_delay_alu instid0(VALU_DEP_1) | instskip(NEXT) | instid1(VALU_DEP_1)
	v_fma_f64 v[6:7], -v[0:1], v[4:5], 1.0
	v_fma_f64 v[4:5], v[4:5], v[6:7], v[4:5]
	s_delay_alu instid0(VALU_DEP_1) | instskip(NEXT) | instid1(VALU_DEP_1)
	v_mul_f64 v[6:7], v[164:165], v[4:5]
	v_fma_f64 v[0:1], -v[0:1], v[6:7], v[164:165]
	s_delay_alu instid0(VALU_DEP_1) | instskip(NEXT) | instid1(VALU_DEP_1)
	v_div_fmas_f64 v[0:1], v[0:1], v[4:5], v[6:7]
	v_div_fixup_f64 v[0:1], v[0:1], v[162:163], v[160:161]
	s_delay_alu instid0(VALU_DEP_1) | instskip(NEXT) | instid1(VALU_DEP_1)
	v_fma_f64 v[4:5], v[160:161], v[0:1], v[162:163]
	v_div_scale_f64 v[6:7], null, v[4:5], v[4:5], 1.0
	s_delay_alu instid0(VALU_DEP_1) | instskip(SKIP_2) | instid1(VALU_DEP_1)
	v_rcp_f64_e32 v[160:161], v[6:7]
	s_waitcnt_depctr 0xfff
	v_fma_f64 v[162:163], -v[6:7], v[160:161], 1.0
	v_fma_f64 v[160:161], v[160:161], v[162:163], v[160:161]
	s_delay_alu instid0(VALU_DEP_1) | instskip(NEXT) | instid1(VALU_DEP_1)
	v_fma_f64 v[162:163], -v[6:7], v[160:161], 1.0
	v_fma_f64 v[160:161], v[160:161], v[162:163], v[160:161]
	v_div_scale_f64 v[162:163], vcc_lo, 1.0, v[4:5], 1.0
	s_delay_alu instid0(VALU_DEP_1) | instskip(NEXT) | instid1(VALU_DEP_1)
	v_mul_f64 v[164:165], v[162:163], v[160:161]
	v_fma_f64 v[6:7], -v[6:7], v[164:165], v[162:163]
	s_delay_alu instid0(VALU_DEP_1) | instskip(NEXT) | instid1(VALU_DEP_1)
	v_div_fmas_f64 v[6:7], v[6:7], v[160:161], v[164:165]
                                        ; implicit-def: $vgpr160_vgpr161
	v_div_fixup_f64 v[166:167], v[6:7], v[4:5], 1.0
	s_delay_alu instid0(VALU_DEP_1)
	v_mul_f64 v[0:1], v[0:1], v[166:167]
	v_xor_b32_e32 v167, 0x80000000, v167
.LBB125_491:
	s_and_not1_saveexec_b32 s3, s3
	s_cbranch_execz .LBB125_493
; %bb.492:
	v_div_scale_f64 v[0:1], null, v[160:161], v[160:161], v[162:163]
	v_div_scale_f64 v[164:165], vcc_lo, v[162:163], v[160:161], v[162:163]
	s_delay_alu instid0(VALU_DEP_2) | instskip(SKIP_2) | instid1(VALU_DEP_1)
	v_rcp_f64_e32 v[4:5], v[0:1]
	s_waitcnt_depctr 0xfff
	v_fma_f64 v[6:7], -v[0:1], v[4:5], 1.0
	v_fma_f64 v[4:5], v[4:5], v[6:7], v[4:5]
	s_delay_alu instid0(VALU_DEP_1) | instskip(NEXT) | instid1(VALU_DEP_1)
	v_fma_f64 v[6:7], -v[0:1], v[4:5], 1.0
	v_fma_f64 v[4:5], v[4:5], v[6:7], v[4:5]
	s_delay_alu instid0(VALU_DEP_1) | instskip(NEXT) | instid1(VALU_DEP_1)
	v_mul_f64 v[6:7], v[164:165], v[4:5]
	v_fma_f64 v[0:1], -v[0:1], v[6:7], v[164:165]
	s_delay_alu instid0(VALU_DEP_1) | instskip(NEXT) | instid1(VALU_DEP_1)
	v_div_fmas_f64 v[0:1], v[0:1], v[4:5], v[6:7]
	v_div_fixup_f64 v[4:5], v[0:1], v[160:161], v[162:163]
	s_delay_alu instid0(VALU_DEP_1) | instskip(NEXT) | instid1(VALU_DEP_1)
	v_fma_f64 v[0:1], v[162:163], v[4:5], v[160:161]
	v_div_scale_f64 v[6:7], null, v[0:1], v[0:1], 1.0
	s_delay_alu instid0(VALU_DEP_1) | instskip(SKIP_2) | instid1(VALU_DEP_1)
	v_rcp_f64_e32 v[160:161], v[6:7]
	s_waitcnt_depctr 0xfff
	v_fma_f64 v[162:163], -v[6:7], v[160:161], 1.0
	v_fma_f64 v[160:161], v[160:161], v[162:163], v[160:161]
	s_delay_alu instid0(VALU_DEP_1) | instskip(NEXT) | instid1(VALU_DEP_1)
	v_fma_f64 v[162:163], -v[6:7], v[160:161], 1.0
	v_fma_f64 v[160:161], v[160:161], v[162:163], v[160:161]
	v_div_scale_f64 v[162:163], vcc_lo, 1.0, v[0:1], 1.0
	s_delay_alu instid0(VALU_DEP_1) | instskip(NEXT) | instid1(VALU_DEP_1)
	v_mul_f64 v[164:165], v[162:163], v[160:161]
	v_fma_f64 v[6:7], -v[6:7], v[164:165], v[162:163]
	s_delay_alu instid0(VALU_DEP_1) | instskip(NEXT) | instid1(VALU_DEP_1)
	v_div_fmas_f64 v[6:7], v[6:7], v[160:161], v[164:165]
	v_div_fixup_f64 v[0:1], v[6:7], v[0:1], 1.0
	s_delay_alu instid0(VALU_DEP_1)
	v_mul_f64 v[166:167], v[4:5], -v[0:1]
.LBB125_493:
	s_or_b32 exec_lo, exec_lo, s3
	ds_store_2addr_b64 v254, v[0:1], v[166:167] offset1:1
.LBB125_494:
	s_or_b32 exec_lo, exec_lo, s4
	s_waitcnt lgkmcnt(0)
	s_barrier
	buffer_gl0_inv
	ds_load_2addr_b64 v[160:163], v254 offset1:1
	s_mov_b32 s3, exec_lo
	v_cmpx_lt_u32_e32 40, v253
	s_cbranch_execz .LBB125_497
; %bb.495:
	scratch_load_b128 v[166:169], off, off offset:640
	s_mov_b32 s4, 0
	s_waitcnt vmcnt(0) lgkmcnt(0)
	v_mul_f64 v[0:1], v[162:163], v[168:169]
	s_delay_alu instid0(VALU_DEP_1) | instskip(SKIP_1) | instid1(VALU_DEP_1)
	v_fma_f64 v[164:165], v[160:161], v[166:167], -v[0:1]
	v_mul_f64 v[0:1], v[160:161], v[168:169]
	v_fma_f64 v[166:167], v[162:163], v[166:167], v[0:1]
	v_add3_u32 v0, v184, 0, 0x290
	scratch_store_b128 off, v[164:167], off offset:640
	s_set_inst_prefetch_distance 0x1
	.p2align	6
.LBB125_496:                            ; =>This Inner Loop Header: Depth=1
	v_add_nc_u32_e32 v1, s4, v0
	v_add_nc_u32_e64 v172, s4, 0
	s_add_i32 s4, s4, 32
	s_delay_alu instid0(SALU_CYCLE_1)
	s_cmpk_lg_i32 s4, 0x160
	ds_load_2addr_b64 v[168:171], v1 offset1:1
	v_add_nc_u32_e32 v173, 0x290, v172
	s_waitcnt lgkmcnt(0)
	v_mul_f64 v[4:5], v[170:171], v[166:167]
	v_mul_f64 v[6:7], v[168:169], v[166:167]
	s_delay_alu instid0(VALU_DEP_2) | instskip(NEXT) | instid1(VALU_DEP_2)
	v_fma_f64 v[4:5], v[168:169], v[164:165], -v[4:5]
	v_fma_f64 v[6:7], v[170:171], v[164:165], v[6:7]
	scratch_load_b128 v[168:171], v173, off
	s_waitcnt vmcnt(0)
	v_add_f64 v[168:169], v[168:169], -v[4:5]
	v_add_f64 v[170:171], v[170:171], -v[6:7]
	scratch_store_b128 v173, v[168:171], off
	ds_load_2addr_b64 v[168:171], v1 offset0:2 offset1:3
	v_add_nc_u32_e32 v1, 0x2a0, v172
	s_waitcnt lgkmcnt(0)
	v_mul_f64 v[4:5], v[170:171], v[166:167]
	v_mul_f64 v[6:7], v[168:169], v[166:167]
	s_delay_alu instid0(VALU_DEP_2) | instskip(NEXT) | instid1(VALU_DEP_2)
	v_fma_f64 v[4:5], v[168:169], v[164:165], -v[4:5]
	v_fma_f64 v[6:7], v[170:171], v[164:165], v[6:7]
	scratch_load_b128 v[168:171], v1, off
	s_waitcnt vmcnt(0)
	v_add_f64 v[168:169], v[168:169], -v[4:5]
	v_add_f64 v[170:171], v[170:171], -v[6:7]
	scratch_store_b128 v1, v[168:171], off
	s_cbranch_scc1 .LBB125_496
.LBB125_497:
	s_set_inst_prefetch_distance 0x2
	s_or_b32 exec_lo, exec_lo, s3
	s_delay_alu instid0(SALU_CYCLE_1)
	s_mov_b32 s4, exec_lo
	s_waitcnt lgkmcnt(0)
	s_waitcnt_vscnt null, 0x0
	s_barrier
	buffer_gl0_inv
	v_cmpx_eq_u32_e32 41, v253
	s_cbranch_execz .LBB125_504
; %bb.498:
	scratch_load_b32 v0, off, off offset:1084 ; 4-byte Folded Reload
	s_waitcnt vmcnt(0)
	scratch_load_b128 v[164:167], v0, off
	scratch_load_b32 v0, off, off offset:1080 ; 4-byte Folded Reload
	s_waitcnt vmcnt(1)
	ds_store_2addr_b64 v254, v[164:165], v[166:167] offset1:1
	s_waitcnt vmcnt(0)
	scratch_load_b128 v[164:167], v0, off
	scratch_load_b32 v0, off, off offset:1076 ; 4-byte Folded Reload
	s_waitcnt vmcnt(1)
	ds_store_2addr_b64 v252, v[164:165], v[166:167] offset0:84 offset1:85
	s_waitcnt vmcnt(0)
	scratch_load_b128 v[164:167], v0, off
	scratch_load_b32 v0, off, off offset:1072 ; 4-byte Folded Reload
	s_waitcnt vmcnt(1)
	ds_store_2addr_b64 v252, v[164:165], v[166:167] offset0:86 offset1:87
	;; [unrolled: 5-line block ×18, first 2 shown]
	s_waitcnt vmcnt(0)
	scratch_load_b128 v[164:167], v0, off
	s_waitcnt vmcnt(0)
	ds_store_2addr_b64 v252, v[164:165], v[166:167] offset0:120 offset1:121
	scratch_load_b128 v[164:167], v3, off
	s_waitcnt vmcnt(0)
	ds_store_2addr_b64 v252, v[164:165], v[166:167] offset0:122 offset1:123
	;; [unrolled: 3-line block ×3, first 2 shown]
	ds_load_2addr_b64 v[164:167], v254 offset1:1
	s_waitcnt lgkmcnt(0)
	v_cmp_neq_f64_e32 vcc_lo, 0, v[164:165]
	v_cmp_neq_f64_e64 s3, 0, v[166:167]
	s_delay_alu instid0(VALU_DEP_1) | instskip(NEXT) | instid1(SALU_CYCLE_1)
	s_or_b32 s3, vcc_lo, s3
	s_and_b32 exec_lo, exec_lo, s3
	s_cbranch_execz .LBB125_504
; %bb.499:
	v_cmp_gt_f64_e32 vcc_lo, 0, v[164:165]
	v_xor_b32_e32 v0, 0x80000000, v165
	v_xor_b32_e32 v4, 0x80000000, v167
	s_delay_alu instid0(VALU_DEP_2) | instskip(SKIP_2) | instid1(VALU_DEP_4)
	v_cndmask_b32_e32 v1, v165, v0, vcc_lo
	v_cndmask_b32_e32 v0, v164, v164, vcc_lo
	v_cmp_gt_f64_e32 vcc_lo, 0, v[166:167]
	v_dual_cndmask_b32 v5, v167, v4 :: v_dual_cndmask_b32 v4, v166, v166
	s_delay_alu instid0(VALU_DEP_1) | instskip(SKIP_1) | instid1(SALU_CYCLE_1)
	v_cmp_ngt_f64_e32 vcc_lo, v[0:1], v[4:5]
                                        ; implicit-def: $vgpr0_vgpr1
	s_and_saveexec_b32 s3, vcc_lo
	s_xor_b32 s3, exec_lo, s3
                                        ; implicit-def: $vgpr168_vgpr169_vgpr170_vgpr171
	s_cbranch_execz .LBB125_501
; %bb.500:
	v_div_scale_f64 v[0:1], null, v[166:167], v[166:167], v[164:165]
	v_div_scale_f64 v[168:169], vcc_lo, v[164:165], v[166:167], v[164:165]
	s_delay_alu instid0(VALU_DEP_2) | instskip(SKIP_2) | instid1(VALU_DEP_1)
	v_rcp_f64_e32 v[4:5], v[0:1]
	s_waitcnt_depctr 0xfff
	v_fma_f64 v[6:7], -v[0:1], v[4:5], 1.0
	v_fma_f64 v[4:5], v[4:5], v[6:7], v[4:5]
	s_delay_alu instid0(VALU_DEP_1) | instskip(NEXT) | instid1(VALU_DEP_1)
	v_fma_f64 v[6:7], -v[0:1], v[4:5], 1.0
	v_fma_f64 v[4:5], v[4:5], v[6:7], v[4:5]
	s_delay_alu instid0(VALU_DEP_1) | instskip(NEXT) | instid1(VALU_DEP_1)
	v_mul_f64 v[6:7], v[168:169], v[4:5]
	v_fma_f64 v[0:1], -v[0:1], v[6:7], v[168:169]
	s_delay_alu instid0(VALU_DEP_1) | instskip(NEXT) | instid1(VALU_DEP_1)
	v_div_fmas_f64 v[0:1], v[0:1], v[4:5], v[6:7]
	v_div_fixup_f64 v[0:1], v[0:1], v[166:167], v[164:165]
	s_delay_alu instid0(VALU_DEP_1) | instskip(NEXT) | instid1(VALU_DEP_1)
	v_fma_f64 v[4:5], v[164:165], v[0:1], v[166:167]
	v_div_scale_f64 v[6:7], null, v[4:5], v[4:5], 1.0
	s_delay_alu instid0(VALU_DEP_1) | instskip(SKIP_2) | instid1(VALU_DEP_1)
	v_rcp_f64_e32 v[164:165], v[6:7]
	s_waitcnt_depctr 0xfff
	v_fma_f64 v[166:167], -v[6:7], v[164:165], 1.0
	v_fma_f64 v[164:165], v[164:165], v[166:167], v[164:165]
	s_delay_alu instid0(VALU_DEP_1) | instskip(NEXT) | instid1(VALU_DEP_1)
	v_fma_f64 v[166:167], -v[6:7], v[164:165], 1.0
	v_fma_f64 v[164:165], v[164:165], v[166:167], v[164:165]
	v_div_scale_f64 v[166:167], vcc_lo, 1.0, v[4:5], 1.0
	s_delay_alu instid0(VALU_DEP_1) | instskip(NEXT) | instid1(VALU_DEP_1)
	v_mul_f64 v[168:169], v[166:167], v[164:165]
	v_fma_f64 v[6:7], -v[6:7], v[168:169], v[166:167]
	s_delay_alu instid0(VALU_DEP_1) | instskip(NEXT) | instid1(VALU_DEP_1)
	v_div_fmas_f64 v[6:7], v[6:7], v[164:165], v[168:169]
                                        ; implicit-def: $vgpr164_vgpr165
	v_div_fixup_f64 v[170:171], v[6:7], v[4:5], 1.0
	s_delay_alu instid0(VALU_DEP_1)
	v_mul_f64 v[0:1], v[0:1], v[170:171]
	v_xor_b32_e32 v171, 0x80000000, v171
.LBB125_501:
	s_and_not1_saveexec_b32 s3, s3
	s_cbranch_execz .LBB125_503
; %bb.502:
	v_div_scale_f64 v[0:1], null, v[164:165], v[164:165], v[166:167]
	v_div_scale_f64 v[168:169], vcc_lo, v[166:167], v[164:165], v[166:167]
	s_delay_alu instid0(VALU_DEP_2) | instskip(SKIP_2) | instid1(VALU_DEP_1)
	v_rcp_f64_e32 v[4:5], v[0:1]
	s_waitcnt_depctr 0xfff
	v_fma_f64 v[6:7], -v[0:1], v[4:5], 1.0
	v_fma_f64 v[4:5], v[4:5], v[6:7], v[4:5]
	s_delay_alu instid0(VALU_DEP_1) | instskip(NEXT) | instid1(VALU_DEP_1)
	v_fma_f64 v[6:7], -v[0:1], v[4:5], 1.0
	v_fma_f64 v[4:5], v[4:5], v[6:7], v[4:5]
	s_delay_alu instid0(VALU_DEP_1) | instskip(NEXT) | instid1(VALU_DEP_1)
	v_mul_f64 v[6:7], v[168:169], v[4:5]
	v_fma_f64 v[0:1], -v[0:1], v[6:7], v[168:169]
	s_delay_alu instid0(VALU_DEP_1) | instskip(NEXT) | instid1(VALU_DEP_1)
	v_div_fmas_f64 v[0:1], v[0:1], v[4:5], v[6:7]
	v_div_fixup_f64 v[4:5], v[0:1], v[164:165], v[166:167]
	s_delay_alu instid0(VALU_DEP_1) | instskip(NEXT) | instid1(VALU_DEP_1)
	v_fma_f64 v[0:1], v[166:167], v[4:5], v[164:165]
	v_div_scale_f64 v[6:7], null, v[0:1], v[0:1], 1.0
	s_delay_alu instid0(VALU_DEP_1) | instskip(SKIP_2) | instid1(VALU_DEP_1)
	v_rcp_f64_e32 v[164:165], v[6:7]
	s_waitcnt_depctr 0xfff
	v_fma_f64 v[166:167], -v[6:7], v[164:165], 1.0
	v_fma_f64 v[164:165], v[164:165], v[166:167], v[164:165]
	s_delay_alu instid0(VALU_DEP_1) | instskip(NEXT) | instid1(VALU_DEP_1)
	v_fma_f64 v[166:167], -v[6:7], v[164:165], 1.0
	v_fma_f64 v[164:165], v[164:165], v[166:167], v[164:165]
	v_div_scale_f64 v[166:167], vcc_lo, 1.0, v[0:1], 1.0
	s_delay_alu instid0(VALU_DEP_1) | instskip(NEXT) | instid1(VALU_DEP_1)
	v_mul_f64 v[168:169], v[166:167], v[164:165]
	v_fma_f64 v[6:7], -v[6:7], v[168:169], v[166:167]
	s_delay_alu instid0(VALU_DEP_1) | instskip(NEXT) | instid1(VALU_DEP_1)
	v_div_fmas_f64 v[6:7], v[6:7], v[164:165], v[168:169]
	v_div_fixup_f64 v[0:1], v[6:7], v[0:1], 1.0
	s_delay_alu instid0(VALU_DEP_1)
	v_mul_f64 v[170:171], v[4:5], -v[0:1]
.LBB125_503:
	s_or_b32 exec_lo, exec_lo, s3
	ds_store_2addr_b64 v254, v[0:1], v[170:171] offset1:1
.LBB125_504:
	s_or_b32 exec_lo, exec_lo, s4
	s_waitcnt lgkmcnt(0)
	s_barrier
	buffer_gl0_inv
	ds_load_2addr_b64 v[164:167], v254 offset1:1
	s_mov_b32 s3, exec_lo
	v_cmpx_lt_u32_e32 41, v253
	s_cbranch_execz .LBB125_507
; %bb.505:
	scratch_load_b128 v[170:173], off, off offset:656
	s_mov_b32 s4, 0
	s_waitcnt vmcnt(0) lgkmcnt(0)
	v_mul_f64 v[0:1], v[166:167], v[172:173]
	s_delay_alu instid0(VALU_DEP_1) | instskip(SKIP_1) | instid1(VALU_DEP_1)
	v_fma_f64 v[168:169], v[164:165], v[170:171], -v[0:1]
	v_mul_f64 v[0:1], v[164:165], v[172:173]
	v_fma_f64 v[170:171], v[166:167], v[170:171], v[0:1]
	v_add3_u32 v0, v184, 0, 0x2a0
	v_mov_b32_e32 v1, 0
	scratch_store_b128 off, v[168:171], off offset:656
.LBB125_506:                            ; =>This Inner Loop Header: Depth=1
	v_add_nc_u32_e32 v176, s4, v0
	v_readfirstlane_b32 s5, v1
	ds_load_2addr_b64 v[172:175], v176 offset1:1
	s_add_i32 s5, s5, s4
	s_addk_i32 s4, 0x70
	s_add_i32 s6, s5, 0x2a0
	s_waitcnt lgkmcnt(0)
	v_mul_f64 v[4:5], v[174:175], v[170:171]
	v_mul_f64 v[6:7], v[172:173], v[170:171]
	s_delay_alu instid0(VALU_DEP_2) | instskip(NEXT) | instid1(VALU_DEP_2)
	v_fma_f64 v[4:5], v[172:173], v[168:169], -v[4:5]
	v_fma_f64 v[6:7], v[174:175], v[168:169], v[6:7]
	scratch_load_b128 v[172:175], off, s6
	s_waitcnt vmcnt(0)
	v_add_f64 v[172:173], v[172:173], -v[4:5]
	v_add_f64 v[174:175], v[174:175], -v[6:7]
	scratch_store_b128 off, v[172:175], s6
	ds_load_2addr_b64 v[172:175], v176 offset0:2 offset1:3
	s_add_i32 s6, s5, 0x2b0
	s_waitcnt lgkmcnt(0)
	v_mul_f64 v[4:5], v[174:175], v[170:171]
	v_mul_f64 v[6:7], v[172:173], v[170:171]
	s_delay_alu instid0(VALU_DEP_2) | instskip(NEXT) | instid1(VALU_DEP_2)
	v_fma_f64 v[4:5], v[172:173], v[168:169], -v[4:5]
	v_fma_f64 v[6:7], v[174:175], v[168:169], v[6:7]
	scratch_load_b128 v[172:175], off, s6
	s_waitcnt vmcnt(0)
	v_add_f64 v[172:173], v[172:173], -v[4:5]
	v_add_f64 v[174:175], v[174:175], -v[6:7]
	scratch_store_b128 off, v[172:175], s6
	ds_load_2addr_b64 v[172:175], v176 offset0:4 offset1:5
	s_add_i32 s6, s5, 0x2c0
	s_waitcnt lgkmcnt(0)
	v_mul_f64 v[4:5], v[174:175], v[170:171]
	v_mul_f64 v[6:7], v[172:173], v[170:171]
	s_delay_alu instid0(VALU_DEP_2) | instskip(NEXT) | instid1(VALU_DEP_2)
	v_fma_f64 v[4:5], v[172:173], v[168:169], -v[4:5]
	v_fma_f64 v[6:7], v[174:175], v[168:169], v[6:7]
	scratch_load_b128 v[172:175], off, s6
	s_waitcnt vmcnt(0)
	v_add_f64 v[172:173], v[172:173], -v[4:5]
	v_add_f64 v[174:175], v[174:175], -v[6:7]
	scratch_store_b128 off, v[172:175], s6
	ds_load_2addr_b64 v[172:175], v176 offset0:6 offset1:7
	s_add_i32 s6, s5, 0x2d0
	s_waitcnt lgkmcnt(0)
	v_mul_f64 v[4:5], v[174:175], v[170:171]
	v_mul_f64 v[6:7], v[172:173], v[170:171]
	s_delay_alu instid0(VALU_DEP_2) | instskip(NEXT) | instid1(VALU_DEP_2)
	v_fma_f64 v[4:5], v[172:173], v[168:169], -v[4:5]
	v_fma_f64 v[6:7], v[174:175], v[168:169], v[6:7]
	scratch_load_b128 v[172:175], off, s6
	s_waitcnt vmcnt(0)
	v_add_f64 v[172:173], v[172:173], -v[4:5]
	v_add_f64 v[174:175], v[174:175], -v[6:7]
	scratch_store_b128 off, v[172:175], s6
	ds_load_2addr_b64 v[172:175], v176 offset0:8 offset1:9
	s_add_i32 s6, s5, 0x2e0
	s_waitcnt lgkmcnt(0)
	v_mul_f64 v[4:5], v[174:175], v[170:171]
	v_mul_f64 v[6:7], v[172:173], v[170:171]
	s_delay_alu instid0(VALU_DEP_2) | instskip(NEXT) | instid1(VALU_DEP_2)
	v_fma_f64 v[4:5], v[172:173], v[168:169], -v[4:5]
	v_fma_f64 v[6:7], v[174:175], v[168:169], v[6:7]
	scratch_load_b128 v[172:175], off, s6
	s_waitcnt vmcnt(0)
	v_add_f64 v[172:173], v[172:173], -v[4:5]
	v_add_f64 v[174:175], v[174:175], -v[6:7]
	scratch_store_b128 off, v[172:175], s6
	ds_load_2addr_b64 v[172:175], v176 offset0:10 offset1:11
	s_add_i32 s6, s5, 0x2f0
	s_addk_i32 s5, 0x300
	s_cmpk_lg_i32 s4, 0x150
	s_waitcnt lgkmcnt(0)
	v_mul_f64 v[4:5], v[174:175], v[170:171]
	v_mul_f64 v[6:7], v[172:173], v[170:171]
	s_delay_alu instid0(VALU_DEP_2) | instskip(NEXT) | instid1(VALU_DEP_2)
	v_fma_f64 v[4:5], v[172:173], v[168:169], -v[4:5]
	v_fma_f64 v[6:7], v[174:175], v[168:169], v[6:7]
	scratch_load_b128 v[168:171], off, s6
	ds_load_2addr_b64 v[172:175], v176 offset0:12 offset1:13
	s_waitcnt vmcnt(0)
	v_add_f64 v[168:169], v[168:169], -v[4:5]
	v_add_f64 v[170:171], v[170:171], -v[6:7]
	scratch_store_b128 off, v[168:171], s6
	scratch_load_b128 v[168:171], off, off offset:656
	s_waitcnt vmcnt(0) lgkmcnt(0)
	v_mul_f64 v[4:5], v[174:175], v[170:171]
	v_mul_f64 v[6:7], v[172:173], v[170:171]
	s_delay_alu instid0(VALU_DEP_2) | instskip(NEXT) | instid1(VALU_DEP_2)
	v_fma_f64 v[4:5], v[172:173], v[168:169], -v[4:5]
	v_fma_f64 v[6:7], v[174:175], v[168:169], v[6:7]
	scratch_load_b128 v[172:175], off, s5
	s_waitcnt vmcnt(0)
	v_add_f64 v[172:173], v[172:173], -v[4:5]
	v_add_f64 v[174:175], v[174:175], -v[6:7]
	scratch_store_b128 off, v[172:175], s5
	s_cbranch_scc1 .LBB125_506
.LBB125_507:
	s_or_b32 exec_lo, exec_lo, s3
	s_delay_alu instid0(SALU_CYCLE_1)
	s_mov_b32 s4, exec_lo
	s_waitcnt lgkmcnt(0)
	s_waitcnt_vscnt null, 0x0
	s_barrier
	buffer_gl0_inv
	v_cmpx_eq_u32_e32 42, v253
	s_cbranch_execz .LBB125_514
; %bb.508:
	scratch_load_b32 v0, off, off offset:1080 ; 4-byte Folded Reload
	s_waitcnt vmcnt(0)
	scratch_load_b128 v[168:171], v0, off
	scratch_load_b32 v0, off, off offset:1076 ; 4-byte Folded Reload
	s_waitcnt vmcnt(1)
	ds_store_2addr_b64 v254, v[168:169], v[170:171] offset1:1
	s_waitcnt vmcnt(0)
	scratch_load_b128 v[168:171], v0, off
	scratch_load_b32 v0, off, off offset:1072 ; 4-byte Folded Reload
	s_waitcnt vmcnt(1)
	ds_store_2addr_b64 v252, v[168:169], v[170:171] offset0:86 offset1:87
	s_waitcnt vmcnt(0)
	scratch_load_b128 v[168:171], v0, off
	scratch_load_b32 v0, off, off offset:1068 ; 4-byte Folded Reload
	s_waitcnt vmcnt(1)
	ds_store_2addr_b64 v252, v[168:169], v[170:171] offset0:88 offset1:89
	;; [unrolled: 5-line block ×17, first 2 shown]
	s_waitcnt vmcnt(0)
	scratch_load_b128 v[168:171], v0, off
	s_waitcnt vmcnt(0)
	ds_store_2addr_b64 v252, v[168:169], v[170:171] offset0:120 offset1:121
	scratch_load_b128 v[168:171], v3, off
	s_waitcnt vmcnt(0)
	ds_store_2addr_b64 v252, v[168:169], v[170:171] offset0:122 offset1:123
	;; [unrolled: 3-line block ×3, first 2 shown]
	ds_load_2addr_b64 v[168:171], v254 offset1:1
	s_waitcnt lgkmcnt(0)
	v_cmp_neq_f64_e32 vcc_lo, 0, v[168:169]
	v_cmp_neq_f64_e64 s3, 0, v[170:171]
	s_delay_alu instid0(VALU_DEP_1) | instskip(NEXT) | instid1(SALU_CYCLE_1)
	s_or_b32 s3, vcc_lo, s3
	s_and_b32 exec_lo, exec_lo, s3
	s_cbranch_execz .LBB125_514
; %bb.509:
	v_cmp_gt_f64_e32 vcc_lo, 0, v[168:169]
	v_xor_b32_e32 v0, 0x80000000, v169
	v_xor_b32_e32 v4, 0x80000000, v171
	s_delay_alu instid0(VALU_DEP_2) | instskip(SKIP_2) | instid1(VALU_DEP_4)
	v_cndmask_b32_e32 v1, v169, v0, vcc_lo
	v_cndmask_b32_e32 v0, v168, v168, vcc_lo
	v_cmp_gt_f64_e32 vcc_lo, 0, v[170:171]
	v_dual_cndmask_b32 v5, v171, v4 :: v_dual_cndmask_b32 v4, v170, v170
	s_delay_alu instid0(VALU_DEP_1) | instskip(SKIP_1) | instid1(SALU_CYCLE_1)
	v_cmp_ngt_f64_e32 vcc_lo, v[0:1], v[4:5]
                                        ; implicit-def: $vgpr0_vgpr1
	s_and_saveexec_b32 s3, vcc_lo
	s_xor_b32 s3, exec_lo, s3
                                        ; implicit-def: $vgpr172_vgpr173_vgpr174_vgpr175
	s_cbranch_execz .LBB125_511
; %bb.510:
	v_div_scale_f64 v[0:1], null, v[170:171], v[170:171], v[168:169]
	v_div_scale_f64 v[172:173], vcc_lo, v[168:169], v[170:171], v[168:169]
	s_delay_alu instid0(VALU_DEP_2) | instskip(SKIP_2) | instid1(VALU_DEP_1)
	v_rcp_f64_e32 v[4:5], v[0:1]
	s_waitcnt_depctr 0xfff
	v_fma_f64 v[6:7], -v[0:1], v[4:5], 1.0
	v_fma_f64 v[4:5], v[4:5], v[6:7], v[4:5]
	s_delay_alu instid0(VALU_DEP_1) | instskip(NEXT) | instid1(VALU_DEP_1)
	v_fma_f64 v[6:7], -v[0:1], v[4:5], 1.0
	v_fma_f64 v[4:5], v[4:5], v[6:7], v[4:5]
	s_delay_alu instid0(VALU_DEP_1) | instskip(NEXT) | instid1(VALU_DEP_1)
	v_mul_f64 v[6:7], v[172:173], v[4:5]
	v_fma_f64 v[0:1], -v[0:1], v[6:7], v[172:173]
	s_delay_alu instid0(VALU_DEP_1) | instskip(NEXT) | instid1(VALU_DEP_1)
	v_div_fmas_f64 v[0:1], v[0:1], v[4:5], v[6:7]
	v_div_fixup_f64 v[0:1], v[0:1], v[170:171], v[168:169]
	s_delay_alu instid0(VALU_DEP_1) | instskip(NEXT) | instid1(VALU_DEP_1)
	v_fma_f64 v[4:5], v[168:169], v[0:1], v[170:171]
	v_div_scale_f64 v[6:7], null, v[4:5], v[4:5], 1.0
	s_delay_alu instid0(VALU_DEP_1) | instskip(SKIP_2) | instid1(VALU_DEP_1)
	v_rcp_f64_e32 v[168:169], v[6:7]
	s_waitcnt_depctr 0xfff
	v_fma_f64 v[170:171], -v[6:7], v[168:169], 1.0
	v_fma_f64 v[168:169], v[168:169], v[170:171], v[168:169]
	s_delay_alu instid0(VALU_DEP_1) | instskip(NEXT) | instid1(VALU_DEP_1)
	v_fma_f64 v[170:171], -v[6:7], v[168:169], 1.0
	v_fma_f64 v[168:169], v[168:169], v[170:171], v[168:169]
	v_div_scale_f64 v[170:171], vcc_lo, 1.0, v[4:5], 1.0
	s_delay_alu instid0(VALU_DEP_1) | instskip(NEXT) | instid1(VALU_DEP_1)
	v_mul_f64 v[172:173], v[170:171], v[168:169]
	v_fma_f64 v[6:7], -v[6:7], v[172:173], v[170:171]
	s_delay_alu instid0(VALU_DEP_1) | instskip(NEXT) | instid1(VALU_DEP_1)
	v_div_fmas_f64 v[6:7], v[6:7], v[168:169], v[172:173]
                                        ; implicit-def: $vgpr168_vgpr169
	v_div_fixup_f64 v[174:175], v[6:7], v[4:5], 1.0
	s_delay_alu instid0(VALU_DEP_1)
	v_mul_f64 v[0:1], v[0:1], v[174:175]
	v_xor_b32_e32 v175, 0x80000000, v175
.LBB125_511:
	s_and_not1_saveexec_b32 s3, s3
	s_cbranch_execz .LBB125_513
; %bb.512:
	v_div_scale_f64 v[0:1], null, v[168:169], v[168:169], v[170:171]
	v_div_scale_f64 v[172:173], vcc_lo, v[170:171], v[168:169], v[170:171]
	s_delay_alu instid0(VALU_DEP_2) | instskip(SKIP_2) | instid1(VALU_DEP_1)
	v_rcp_f64_e32 v[4:5], v[0:1]
	s_waitcnt_depctr 0xfff
	v_fma_f64 v[6:7], -v[0:1], v[4:5], 1.0
	v_fma_f64 v[4:5], v[4:5], v[6:7], v[4:5]
	s_delay_alu instid0(VALU_DEP_1) | instskip(NEXT) | instid1(VALU_DEP_1)
	v_fma_f64 v[6:7], -v[0:1], v[4:5], 1.0
	v_fma_f64 v[4:5], v[4:5], v[6:7], v[4:5]
	s_delay_alu instid0(VALU_DEP_1) | instskip(NEXT) | instid1(VALU_DEP_1)
	v_mul_f64 v[6:7], v[172:173], v[4:5]
	v_fma_f64 v[0:1], -v[0:1], v[6:7], v[172:173]
	s_delay_alu instid0(VALU_DEP_1) | instskip(NEXT) | instid1(VALU_DEP_1)
	v_div_fmas_f64 v[0:1], v[0:1], v[4:5], v[6:7]
	v_div_fixup_f64 v[4:5], v[0:1], v[168:169], v[170:171]
	s_delay_alu instid0(VALU_DEP_1) | instskip(NEXT) | instid1(VALU_DEP_1)
	v_fma_f64 v[0:1], v[170:171], v[4:5], v[168:169]
	v_div_scale_f64 v[6:7], null, v[0:1], v[0:1], 1.0
	s_delay_alu instid0(VALU_DEP_1) | instskip(SKIP_2) | instid1(VALU_DEP_1)
	v_rcp_f64_e32 v[168:169], v[6:7]
	s_waitcnt_depctr 0xfff
	v_fma_f64 v[170:171], -v[6:7], v[168:169], 1.0
	v_fma_f64 v[168:169], v[168:169], v[170:171], v[168:169]
	s_delay_alu instid0(VALU_DEP_1) | instskip(NEXT) | instid1(VALU_DEP_1)
	v_fma_f64 v[170:171], -v[6:7], v[168:169], 1.0
	v_fma_f64 v[168:169], v[168:169], v[170:171], v[168:169]
	v_div_scale_f64 v[170:171], vcc_lo, 1.0, v[0:1], 1.0
	s_delay_alu instid0(VALU_DEP_1) | instskip(NEXT) | instid1(VALU_DEP_1)
	v_mul_f64 v[172:173], v[170:171], v[168:169]
	v_fma_f64 v[6:7], -v[6:7], v[172:173], v[170:171]
	s_delay_alu instid0(VALU_DEP_1) | instskip(NEXT) | instid1(VALU_DEP_1)
	v_div_fmas_f64 v[6:7], v[6:7], v[168:169], v[172:173]
	v_div_fixup_f64 v[0:1], v[6:7], v[0:1], 1.0
	s_delay_alu instid0(VALU_DEP_1)
	v_mul_f64 v[174:175], v[4:5], -v[0:1]
.LBB125_513:
	s_or_b32 exec_lo, exec_lo, s3
	ds_store_2addr_b64 v254, v[0:1], v[174:175] offset1:1
.LBB125_514:
	s_or_b32 exec_lo, exec_lo, s4
	s_waitcnt lgkmcnt(0)
	s_barrier
	buffer_gl0_inv
	ds_load_2addr_b64 v[168:171], v254 offset1:1
	s_mov_b32 s3, exec_lo
	v_cmpx_lt_u32_e32 42, v253
	s_cbranch_execz .LBB125_517
; %bb.515:
	scratch_load_b128 v[174:177], off, off offset:672
	s_mov_b32 s4, 0
	s_waitcnt vmcnt(0) lgkmcnt(0)
	v_mul_f64 v[0:1], v[170:171], v[176:177]
	s_delay_alu instid0(VALU_DEP_1) | instskip(SKIP_1) | instid1(VALU_DEP_1)
	v_fma_f64 v[172:173], v[168:169], v[174:175], -v[0:1]
	v_mul_f64 v[0:1], v[168:169], v[176:177]
	v_fma_f64 v[174:175], v[170:171], v[174:175], v[0:1]
	v_add3_u32 v0, v184, 0, 0x2b0
	v_mov_b32_e32 v1, 0
	scratch_store_b128 off, v[172:175], off offset:672
.LBB125_516:                            ; =>This Inner Loop Header: Depth=1
	v_add_nc_u32_e32 v180, s4, v0
	v_readfirstlane_b32 s5, v1
	ds_load_2addr_b64 v[176:179], v180 offset1:1
	s_add_i32 s5, s5, s4
	s_addk_i32 s4, 0x50
	s_add_i32 s6, s5, 0x2b0
	s_waitcnt lgkmcnt(0)
	v_mul_f64 v[4:5], v[178:179], v[174:175]
	v_mul_f64 v[6:7], v[176:177], v[174:175]
	s_delay_alu instid0(VALU_DEP_2) | instskip(NEXT) | instid1(VALU_DEP_2)
	v_fma_f64 v[4:5], v[176:177], v[172:173], -v[4:5]
	v_fma_f64 v[6:7], v[178:179], v[172:173], v[6:7]
	scratch_load_b128 v[176:179], off, s6
	s_waitcnt vmcnt(0)
	v_add_f64 v[176:177], v[176:177], -v[4:5]
	v_add_f64 v[178:179], v[178:179], -v[6:7]
	scratch_store_b128 off, v[176:179], s6
	ds_load_2addr_b64 v[176:179], v180 offset0:2 offset1:3
	s_add_i32 s6, s5, 0x2c0
	s_waitcnt lgkmcnt(0)
	v_mul_f64 v[4:5], v[178:179], v[174:175]
	v_mul_f64 v[6:7], v[176:177], v[174:175]
	s_delay_alu instid0(VALU_DEP_2) | instskip(NEXT) | instid1(VALU_DEP_2)
	v_fma_f64 v[4:5], v[176:177], v[172:173], -v[4:5]
	v_fma_f64 v[6:7], v[178:179], v[172:173], v[6:7]
	scratch_load_b128 v[176:179], off, s6
	s_waitcnt vmcnt(0)
	v_add_f64 v[176:177], v[176:177], -v[4:5]
	v_add_f64 v[178:179], v[178:179], -v[6:7]
	scratch_store_b128 off, v[176:179], s6
	ds_load_2addr_b64 v[176:179], v180 offset0:4 offset1:5
	;; [unrolled: 13-line block ×3, first 2 shown]
	s_add_i32 s6, s5, 0x2e0
	s_addk_i32 s5, 0x2f0
	s_cmpk_lg_i32 s4, 0x140
	s_waitcnt lgkmcnt(0)
	v_mul_f64 v[4:5], v[178:179], v[174:175]
	v_mul_f64 v[6:7], v[176:177], v[174:175]
	s_delay_alu instid0(VALU_DEP_2) | instskip(NEXT) | instid1(VALU_DEP_2)
	v_fma_f64 v[4:5], v[176:177], v[172:173], -v[4:5]
	v_fma_f64 v[6:7], v[178:179], v[172:173], v[6:7]
	scratch_load_b128 v[176:179], off, s6
	s_waitcnt vmcnt(0)
	v_add_f64 v[176:177], v[176:177], -v[4:5]
	v_add_f64 v[178:179], v[178:179], -v[6:7]
	scratch_store_b128 off, v[176:179], s6
	ds_load_2addr_b64 v[176:179], v180 offset0:8 offset1:9
	s_waitcnt lgkmcnt(0)
	v_mul_f64 v[4:5], v[178:179], v[174:175]
	v_mul_f64 v[6:7], v[176:177], v[174:175]
	s_delay_alu instid0(VALU_DEP_2) | instskip(NEXT) | instid1(VALU_DEP_2)
	v_fma_f64 v[4:5], v[176:177], v[172:173], -v[4:5]
	v_fma_f64 v[6:7], v[178:179], v[172:173], v[6:7]
	scratch_load_b128 v[176:179], off, s5
	s_waitcnt vmcnt(0)
	v_add_f64 v[176:177], v[176:177], -v[4:5]
	v_add_f64 v[178:179], v[178:179], -v[6:7]
	scratch_store_b128 off, v[176:179], s5
	s_cbranch_scc1 .LBB125_516
.LBB125_517:
	s_or_b32 exec_lo, exec_lo, s3
	s_delay_alu instid0(SALU_CYCLE_1)
	s_mov_b32 s4, exec_lo
	s_waitcnt lgkmcnt(0)
	s_waitcnt_vscnt null, 0x0
	s_barrier
	buffer_gl0_inv
	v_cmpx_eq_u32_e32 43, v253
	s_cbranch_execz .LBB125_524
; %bb.518:
	scratch_load_b32 v0, off, off offset:1076 ; 4-byte Folded Reload
	s_waitcnt vmcnt(0)
	scratch_load_b128 v[172:175], v0, off
	scratch_load_b32 v0, off, off offset:1072 ; 4-byte Folded Reload
	s_waitcnt vmcnt(1)
	ds_store_2addr_b64 v254, v[172:173], v[174:175] offset1:1
	s_waitcnt vmcnt(0)
	scratch_load_b128 v[172:175], v0, off
	scratch_load_b32 v0, off, off offset:1068 ; 4-byte Folded Reload
	s_waitcnt vmcnt(1)
	ds_store_2addr_b64 v252, v[172:173], v[174:175] offset0:88 offset1:89
	s_waitcnt vmcnt(0)
	scratch_load_b128 v[172:175], v0, off
	scratch_load_b32 v0, off, off offset:1064 ; 4-byte Folded Reload
	s_waitcnt vmcnt(1)
	ds_store_2addr_b64 v252, v[172:173], v[174:175] offset0:90 offset1:91
	;; [unrolled: 5-line block ×16, first 2 shown]
	s_waitcnt vmcnt(0)
	scratch_load_b128 v[172:175], v0, off
	s_waitcnt vmcnt(0)
	ds_store_2addr_b64 v252, v[172:173], v[174:175] offset0:120 offset1:121
	scratch_load_b128 v[172:175], v3, off
	s_waitcnt vmcnt(0)
	ds_store_2addr_b64 v252, v[172:173], v[174:175] offset0:122 offset1:123
	;; [unrolled: 3-line block ×3, first 2 shown]
	ds_load_2addr_b64 v[172:175], v254 offset1:1
	s_waitcnt lgkmcnt(0)
	v_cmp_neq_f64_e32 vcc_lo, 0, v[172:173]
	v_cmp_neq_f64_e64 s3, 0, v[174:175]
	s_delay_alu instid0(VALU_DEP_1) | instskip(NEXT) | instid1(SALU_CYCLE_1)
	s_or_b32 s3, vcc_lo, s3
	s_and_b32 exec_lo, exec_lo, s3
	s_cbranch_execz .LBB125_524
; %bb.519:
	v_cmp_gt_f64_e32 vcc_lo, 0, v[172:173]
	v_xor_b32_e32 v0, 0x80000000, v173
	v_xor_b32_e32 v4, 0x80000000, v175
	s_delay_alu instid0(VALU_DEP_2) | instskip(SKIP_2) | instid1(VALU_DEP_4)
	v_cndmask_b32_e32 v1, v173, v0, vcc_lo
	v_cndmask_b32_e32 v0, v172, v172, vcc_lo
	v_cmp_gt_f64_e32 vcc_lo, 0, v[174:175]
	v_dual_cndmask_b32 v5, v175, v4 :: v_dual_cndmask_b32 v4, v174, v174
	s_delay_alu instid0(VALU_DEP_1) | instskip(SKIP_1) | instid1(SALU_CYCLE_1)
	v_cmp_ngt_f64_e32 vcc_lo, v[0:1], v[4:5]
                                        ; implicit-def: $vgpr0_vgpr1
	s_and_saveexec_b32 s3, vcc_lo
	s_xor_b32 s3, exec_lo, s3
                                        ; implicit-def: $vgpr176_vgpr177_vgpr178_vgpr179
	s_cbranch_execz .LBB125_521
; %bb.520:
	v_div_scale_f64 v[0:1], null, v[174:175], v[174:175], v[172:173]
	v_div_scale_f64 v[176:177], vcc_lo, v[172:173], v[174:175], v[172:173]
	s_delay_alu instid0(VALU_DEP_2) | instskip(SKIP_2) | instid1(VALU_DEP_1)
	v_rcp_f64_e32 v[4:5], v[0:1]
	s_waitcnt_depctr 0xfff
	v_fma_f64 v[6:7], -v[0:1], v[4:5], 1.0
	v_fma_f64 v[4:5], v[4:5], v[6:7], v[4:5]
	s_delay_alu instid0(VALU_DEP_1) | instskip(NEXT) | instid1(VALU_DEP_1)
	v_fma_f64 v[6:7], -v[0:1], v[4:5], 1.0
	v_fma_f64 v[4:5], v[4:5], v[6:7], v[4:5]
	s_delay_alu instid0(VALU_DEP_1) | instskip(NEXT) | instid1(VALU_DEP_1)
	v_mul_f64 v[6:7], v[176:177], v[4:5]
	v_fma_f64 v[0:1], -v[0:1], v[6:7], v[176:177]
	s_delay_alu instid0(VALU_DEP_1) | instskip(NEXT) | instid1(VALU_DEP_1)
	v_div_fmas_f64 v[0:1], v[0:1], v[4:5], v[6:7]
	v_div_fixup_f64 v[0:1], v[0:1], v[174:175], v[172:173]
	s_delay_alu instid0(VALU_DEP_1) | instskip(NEXT) | instid1(VALU_DEP_1)
	v_fma_f64 v[4:5], v[172:173], v[0:1], v[174:175]
	v_div_scale_f64 v[6:7], null, v[4:5], v[4:5], 1.0
	s_delay_alu instid0(VALU_DEP_1) | instskip(SKIP_2) | instid1(VALU_DEP_1)
	v_rcp_f64_e32 v[172:173], v[6:7]
	s_waitcnt_depctr 0xfff
	v_fma_f64 v[174:175], -v[6:7], v[172:173], 1.0
	v_fma_f64 v[172:173], v[172:173], v[174:175], v[172:173]
	s_delay_alu instid0(VALU_DEP_1) | instskip(NEXT) | instid1(VALU_DEP_1)
	v_fma_f64 v[174:175], -v[6:7], v[172:173], 1.0
	v_fma_f64 v[172:173], v[172:173], v[174:175], v[172:173]
	v_div_scale_f64 v[174:175], vcc_lo, 1.0, v[4:5], 1.0
	s_delay_alu instid0(VALU_DEP_1) | instskip(NEXT) | instid1(VALU_DEP_1)
	v_mul_f64 v[176:177], v[174:175], v[172:173]
	v_fma_f64 v[6:7], -v[6:7], v[176:177], v[174:175]
	s_delay_alu instid0(VALU_DEP_1) | instskip(NEXT) | instid1(VALU_DEP_1)
	v_div_fmas_f64 v[6:7], v[6:7], v[172:173], v[176:177]
                                        ; implicit-def: $vgpr172_vgpr173
	v_div_fixup_f64 v[178:179], v[6:7], v[4:5], 1.0
	s_delay_alu instid0(VALU_DEP_1)
	v_mul_f64 v[0:1], v[0:1], v[178:179]
	v_xor_b32_e32 v179, 0x80000000, v179
.LBB125_521:
	s_and_not1_saveexec_b32 s3, s3
	s_cbranch_execz .LBB125_523
; %bb.522:
	v_div_scale_f64 v[0:1], null, v[172:173], v[172:173], v[174:175]
	v_div_scale_f64 v[176:177], vcc_lo, v[174:175], v[172:173], v[174:175]
	s_delay_alu instid0(VALU_DEP_2) | instskip(SKIP_2) | instid1(VALU_DEP_1)
	v_rcp_f64_e32 v[4:5], v[0:1]
	s_waitcnt_depctr 0xfff
	v_fma_f64 v[6:7], -v[0:1], v[4:5], 1.0
	v_fma_f64 v[4:5], v[4:5], v[6:7], v[4:5]
	s_delay_alu instid0(VALU_DEP_1) | instskip(NEXT) | instid1(VALU_DEP_1)
	v_fma_f64 v[6:7], -v[0:1], v[4:5], 1.0
	v_fma_f64 v[4:5], v[4:5], v[6:7], v[4:5]
	s_delay_alu instid0(VALU_DEP_1) | instskip(NEXT) | instid1(VALU_DEP_1)
	v_mul_f64 v[6:7], v[176:177], v[4:5]
	v_fma_f64 v[0:1], -v[0:1], v[6:7], v[176:177]
	s_delay_alu instid0(VALU_DEP_1) | instskip(NEXT) | instid1(VALU_DEP_1)
	v_div_fmas_f64 v[0:1], v[0:1], v[4:5], v[6:7]
	v_div_fixup_f64 v[4:5], v[0:1], v[172:173], v[174:175]
	s_delay_alu instid0(VALU_DEP_1) | instskip(NEXT) | instid1(VALU_DEP_1)
	v_fma_f64 v[0:1], v[174:175], v[4:5], v[172:173]
	v_div_scale_f64 v[6:7], null, v[0:1], v[0:1], 1.0
	s_delay_alu instid0(VALU_DEP_1) | instskip(SKIP_2) | instid1(VALU_DEP_1)
	v_rcp_f64_e32 v[172:173], v[6:7]
	s_waitcnt_depctr 0xfff
	v_fma_f64 v[174:175], -v[6:7], v[172:173], 1.0
	v_fma_f64 v[172:173], v[172:173], v[174:175], v[172:173]
	s_delay_alu instid0(VALU_DEP_1) | instskip(NEXT) | instid1(VALU_DEP_1)
	v_fma_f64 v[174:175], -v[6:7], v[172:173], 1.0
	v_fma_f64 v[172:173], v[172:173], v[174:175], v[172:173]
	v_div_scale_f64 v[174:175], vcc_lo, 1.0, v[0:1], 1.0
	s_delay_alu instid0(VALU_DEP_1) | instskip(NEXT) | instid1(VALU_DEP_1)
	v_mul_f64 v[176:177], v[174:175], v[172:173]
	v_fma_f64 v[6:7], -v[6:7], v[176:177], v[174:175]
	s_delay_alu instid0(VALU_DEP_1) | instskip(NEXT) | instid1(VALU_DEP_1)
	v_div_fmas_f64 v[6:7], v[6:7], v[172:173], v[176:177]
	v_div_fixup_f64 v[0:1], v[6:7], v[0:1], 1.0
	s_delay_alu instid0(VALU_DEP_1)
	v_mul_f64 v[178:179], v[4:5], -v[0:1]
.LBB125_523:
	s_or_b32 exec_lo, exec_lo, s3
	ds_store_2addr_b64 v254, v[0:1], v[178:179] offset1:1
.LBB125_524:
	s_or_b32 exec_lo, exec_lo, s4
	s_waitcnt lgkmcnt(0)
	s_barrier
	buffer_gl0_inv
	ds_load_2addr_b64 v[172:175], v254 offset1:1
	s_mov_b32 s3, exec_lo
	v_cmpx_lt_u32_e32 43, v253
	s_cbranch_execz .LBB125_529
; %bb.525:
	scratch_load_b128 v[178:181], off, off offset:688
	s_mov_b32 s4, 0
	s_waitcnt vmcnt(0) lgkmcnt(0)
	v_mul_f64 v[0:1], v[174:175], v[180:181]
	s_delay_alu instid0(VALU_DEP_1) | instskip(SKIP_1) | instid1(VALU_DEP_1)
	v_fma_f64 v[176:177], v[172:173], v[178:179], -v[0:1]
	v_mul_f64 v[0:1], v[172:173], v[180:181]
	v_fma_f64 v[178:179], v[174:175], v[178:179], v[0:1]
	v_add3_u32 v0, v184, 0, 0x2c0
	v_mov_b32_e32 v1, 0
	scratch_store_b128 off, v[176:179], off offset:688
	s_branch .LBB125_527
.LBB125_526:                            ;   in Loop: Header=BB125_527 Depth=1
	s_and_not1_b32 vcc_lo, exec_lo, s6
	s_cbranch_vccz .LBB125_529
.LBB125_527:                            ; =>This Inner Loop Header: Depth=1
	v_add_nc_u32_e32 v180, s4, v0
	v_readfirstlane_b32 s5, v1
	ds_load_2addr_b64 v[185:188], v180 offset1:1
	s_add_i32 s5, s5, s4
	s_delay_alu instid0(SALU_CYCLE_1) | instskip(SKIP_3) | instid1(VALU_DEP_2)
	s_add_i32 s6, s5, 0x2c0
	s_waitcnt lgkmcnt(0)
	v_mul_f64 v[4:5], v[187:188], v[178:179]
	v_mul_f64 v[6:7], v[185:186], v[178:179]
	v_fma_f64 v[4:5], v[185:186], v[176:177], -v[4:5]
	s_delay_alu instid0(VALU_DEP_2)
	v_fma_f64 v[6:7], v[187:188], v[176:177], v[6:7]
	scratch_load_b128 v[185:188], off, s6
	s_waitcnt vmcnt(0)
	v_add_f64 v[185:186], v[185:186], -v[4:5]
	v_add_f64 v[187:188], v[187:188], -v[6:7]
	scratch_store_b128 off, v[185:188], s6
	ds_load_2addr_b64 v[185:188], v180 offset0:2 offset1:3
	s_add_i32 s6, s5, 0x2d0
	s_waitcnt lgkmcnt(0)
	v_mul_f64 v[4:5], v[187:188], v[178:179]
	v_mul_f64 v[6:7], v[185:186], v[178:179]
	s_delay_alu instid0(VALU_DEP_2) | instskip(NEXT) | instid1(VALU_DEP_2)
	v_fma_f64 v[4:5], v[185:186], v[176:177], -v[4:5]
	v_fma_f64 v[6:7], v[187:188], v[176:177], v[6:7]
	scratch_load_b128 v[185:188], off, s6
	s_waitcnt vmcnt(0)
	v_add_f64 v[185:186], v[185:186], -v[4:5]
	v_add_f64 v[187:188], v[187:188], -v[6:7]
	scratch_store_b128 off, v[185:188], s6
	ds_load_2addr_b64 v[185:188], v180 offset0:4 offset1:5
	s_add_i32 s6, s5, 0x2e0
	s_cmpk_eq_i32 s4, 0x100
	s_waitcnt lgkmcnt(0)
	v_mul_f64 v[4:5], v[187:188], v[178:179]
	v_mul_f64 v[6:7], v[185:186], v[178:179]
	s_delay_alu instid0(VALU_DEP_2) | instskip(NEXT) | instid1(VALU_DEP_2)
	v_fma_f64 v[4:5], v[185:186], v[176:177], -v[4:5]
	v_fma_f64 v[6:7], v[187:188], v[176:177], v[6:7]
	scratch_load_b128 v[185:188], off, s6
	s_waitcnt vmcnt(0)
	v_add_f64 v[185:186], v[185:186], -v[4:5]
	v_add_f64 v[187:188], v[187:188], -v[6:7]
	scratch_store_b128 off, v[185:188], s6
	s_mov_b32 s6, -1
	s_cbranch_scc1 .LBB125_526
; %bb.528:                              ;   in Loop: Header=BB125_527 Depth=1
	ds_load_2addr_b64 v[180:183], v180 offset0:6 offset1:7
	s_addk_i32 s5, 0x2f0
	s_add_i32 s4, s4, 64
	s_mov_b32 s6, 0
	s_waitcnt lgkmcnt(0)
	v_mul_f64 v[4:5], v[182:183], v[178:179]
	v_mul_f64 v[6:7], v[180:181], v[178:179]
	s_delay_alu instid0(VALU_DEP_2) | instskip(NEXT) | instid1(VALU_DEP_2)
	v_fma_f64 v[4:5], v[180:181], v[176:177], -v[4:5]
	v_fma_f64 v[6:7], v[182:183], v[176:177], v[6:7]
	scratch_load_b128 v[180:183], off, s5
	s_waitcnt vmcnt(0)
	v_add_f64 v[180:181], v[180:181], -v[4:5]
	v_add_f64 v[182:183], v[182:183], -v[6:7]
	scratch_store_b128 off, v[180:183], s5
	s_branch .LBB125_526
.LBB125_529:
	s_or_b32 exec_lo, exec_lo, s3
	s_delay_alu instid0(SALU_CYCLE_1)
	s_mov_b32 s4, exec_lo
	s_waitcnt lgkmcnt(0)
	s_waitcnt_vscnt null, 0x0
	s_barrier
	buffer_gl0_inv
	v_cmpx_eq_u32_e32 44, v253
	s_cbranch_execz .LBB125_536
; %bb.530:
	scratch_load_b32 v0, off, off offset:1072 ; 4-byte Folded Reload
	s_waitcnt vmcnt(0)
	scratch_load_b128 v[176:179], v0, off
	scratch_load_b32 v0, off, off offset:1068 ; 4-byte Folded Reload
	s_waitcnt vmcnt(1)
	ds_store_2addr_b64 v254, v[176:177], v[178:179] offset1:1
	s_waitcnt vmcnt(0)
	scratch_load_b128 v[176:179], v0, off
	scratch_load_b32 v0, off, off offset:1064 ; 4-byte Folded Reload
	s_waitcnt vmcnt(1)
	ds_store_2addr_b64 v252, v[176:177], v[178:179] offset0:90 offset1:91
	s_waitcnt vmcnt(0)
	scratch_load_b128 v[176:179], v0, off
	scratch_load_b32 v0, off, off offset:1060 ; 4-byte Folded Reload
	s_waitcnt vmcnt(1)
	ds_store_2addr_b64 v252, v[176:177], v[178:179] offset0:92 offset1:93
	;; [unrolled: 5-line block ×15, first 2 shown]
	s_waitcnt vmcnt(0)
	scratch_load_b128 v[176:179], v0, off
	s_waitcnt vmcnt(0)
	ds_store_2addr_b64 v252, v[176:177], v[178:179] offset0:120 offset1:121
	scratch_load_b128 v[176:179], v3, off
	s_waitcnt vmcnt(0)
	ds_store_2addr_b64 v252, v[176:177], v[178:179] offset0:122 offset1:123
	;; [unrolled: 3-line block ×3, first 2 shown]
	ds_load_2addr_b64 v[176:179], v254 offset1:1
	s_waitcnt lgkmcnt(0)
	v_cmp_neq_f64_e32 vcc_lo, 0, v[176:177]
	v_cmp_neq_f64_e64 s3, 0, v[178:179]
	s_delay_alu instid0(VALU_DEP_1) | instskip(NEXT) | instid1(SALU_CYCLE_1)
	s_or_b32 s3, vcc_lo, s3
	s_and_b32 exec_lo, exec_lo, s3
	s_cbranch_execz .LBB125_536
; %bb.531:
	v_cmp_gt_f64_e32 vcc_lo, 0, v[176:177]
	v_xor_b32_e32 v0, 0x80000000, v177
	v_xor_b32_e32 v4, 0x80000000, v179
	s_delay_alu instid0(VALU_DEP_2) | instskip(SKIP_2) | instid1(VALU_DEP_4)
	v_cndmask_b32_e32 v1, v177, v0, vcc_lo
	v_cndmask_b32_e32 v0, v176, v176, vcc_lo
	v_cmp_gt_f64_e32 vcc_lo, 0, v[178:179]
	v_dual_cndmask_b32 v5, v179, v4 :: v_dual_cndmask_b32 v4, v178, v178
	s_delay_alu instid0(VALU_DEP_1) | instskip(SKIP_1) | instid1(SALU_CYCLE_1)
	v_cmp_ngt_f64_e32 vcc_lo, v[0:1], v[4:5]
                                        ; implicit-def: $vgpr0_vgpr1
	s_and_saveexec_b32 s3, vcc_lo
	s_xor_b32 s3, exec_lo, s3
                                        ; implicit-def: $vgpr180_vgpr181_vgpr182_vgpr183
	s_cbranch_execz .LBB125_533
; %bb.532:
	v_div_scale_f64 v[0:1], null, v[178:179], v[178:179], v[176:177]
	v_div_scale_f64 v[180:181], vcc_lo, v[176:177], v[178:179], v[176:177]
	s_delay_alu instid0(VALU_DEP_2) | instskip(SKIP_2) | instid1(VALU_DEP_1)
	v_rcp_f64_e32 v[4:5], v[0:1]
	s_waitcnt_depctr 0xfff
	v_fma_f64 v[6:7], -v[0:1], v[4:5], 1.0
	v_fma_f64 v[4:5], v[4:5], v[6:7], v[4:5]
	s_delay_alu instid0(VALU_DEP_1) | instskip(NEXT) | instid1(VALU_DEP_1)
	v_fma_f64 v[6:7], -v[0:1], v[4:5], 1.0
	v_fma_f64 v[4:5], v[4:5], v[6:7], v[4:5]
	s_delay_alu instid0(VALU_DEP_1) | instskip(NEXT) | instid1(VALU_DEP_1)
	v_mul_f64 v[6:7], v[180:181], v[4:5]
	v_fma_f64 v[0:1], -v[0:1], v[6:7], v[180:181]
	s_delay_alu instid0(VALU_DEP_1) | instskip(NEXT) | instid1(VALU_DEP_1)
	v_div_fmas_f64 v[0:1], v[0:1], v[4:5], v[6:7]
	v_div_fixup_f64 v[0:1], v[0:1], v[178:179], v[176:177]
	s_delay_alu instid0(VALU_DEP_1) | instskip(NEXT) | instid1(VALU_DEP_1)
	v_fma_f64 v[4:5], v[176:177], v[0:1], v[178:179]
	v_div_scale_f64 v[6:7], null, v[4:5], v[4:5], 1.0
	s_delay_alu instid0(VALU_DEP_1) | instskip(SKIP_2) | instid1(VALU_DEP_1)
	v_rcp_f64_e32 v[176:177], v[6:7]
	s_waitcnt_depctr 0xfff
	v_fma_f64 v[178:179], -v[6:7], v[176:177], 1.0
	v_fma_f64 v[176:177], v[176:177], v[178:179], v[176:177]
	s_delay_alu instid0(VALU_DEP_1) | instskip(NEXT) | instid1(VALU_DEP_1)
	v_fma_f64 v[178:179], -v[6:7], v[176:177], 1.0
	v_fma_f64 v[176:177], v[176:177], v[178:179], v[176:177]
	v_div_scale_f64 v[178:179], vcc_lo, 1.0, v[4:5], 1.0
	s_delay_alu instid0(VALU_DEP_1) | instskip(NEXT) | instid1(VALU_DEP_1)
	v_mul_f64 v[180:181], v[178:179], v[176:177]
	v_fma_f64 v[6:7], -v[6:7], v[180:181], v[178:179]
	s_delay_alu instid0(VALU_DEP_1) | instskip(NEXT) | instid1(VALU_DEP_1)
	v_div_fmas_f64 v[6:7], v[6:7], v[176:177], v[180:181]
                                        ; implicit-def: $vgpr176_vgpr177
	v_div_fixup_f64 v[182:183], v[6:7], v[4:5], 1.0
	s_delay_alu instid0(VALU_DEP_1)
	v_mul_f64 v[0:1], v[0:1], v[182:183]
	v_xor_b32_e32 v183, 0x80000000, v183
.LBB125_533:
	s_and_not1_saveexec_b32 s3, s3
	s_cbranch_execz .LBB125_535
; %bb.534:
	v_div_scale_f64 v[0:1], null, v[176:177], v[176:177], v[178:179]
	v_div_scale_f64 v[180:181], vcc_lo, v[178:179], v[176:177], v[178:179]
	s_delay_alu instid0(VALU_DEP_2) | instskip(SKIP_2) | instid1(VALU_DEP_1)
	v_rcp_f64_e32 v[4:5], v[0:1]
	s_waitcnt_depctr 0xfff
	v_fma_f64 v[6:7], -v[0:1], v[4:5], 1.0
	v_fma_f64 v[4:5], v[4:5], v[6:7], v[4:5]
	s_delay_alu instid0(VALU_DEP_1) | instskip(NEXT) | instid1(VALU_DEP_1)
	v_fma_f64 v[6:7], -v[0:1], v[4:5], 1.0
	v_fma_f64 v[4:5], v[4:5], v[6:7], v[4:5]
	s_delay_alu instid0(VALU_DEP_1) | instskip(NEXT) | instid1(VALU_DEP_1)
	v_mul_f64 v[6:7], v[180:181], v[4:5]
	v_fma_f64 v[0:1], -v[0:1], v[6:7], v[180:181]
	s_delay_alu instid0(VALU_DEP_1) | instskip(NEXT) | instid1(VALU_DEP_1)
	v_div_fmas_f64 v[0:1], v[0:1], v[4:5], v[6:7]
	v_div_fixup_f64 v[4:5], v[0:1], v[176:177], v[178:179]
	s_delay_alu instid0(VALU_DEP_1) | instskip(NEXT) | instid1(VALU_DEP_1)
	v_fma_f64 v[0:1], v[178:179], v[4:5], v[176:177]
	v_div_scale_f64 v[6:7], null, v[0:1], v[0:1], 1.0
	s_delay_alu instid0(VALU_DEP_1) | instskip(SKIP_2) | instid1(VALU_DEP_1)
	v_rcp_f64_e32 v[176:177], v[6:7]
	s_waitcnt_depctr 0xfff
	v_fma_f64 v[178:179], -v[6:7], v[176:177], 1.0
	v_fma_f64 v[176:177], v[176:177], v[178:179], v[176:177]
	s_delay_alu instid0(VALU_DEP_1) | instskip(NEXT) | instid1(VALU_DEP_1)
	v_fma_f64 v[178:179], -v[6:7], v[176:177], 1.0
	v_fma_f64 v[176:177], v[176:177], v[178:179], v[176:177]
	v_div_scale_f64 v[178:179], vcc_lo, 1.0, v[0:1], 1.0
	s_delay_alu instid0(VALU_DEP_1) | instskip(NEXT) | instid1(VALU_DEP_1)
	v_mul_f64 v[180:181], v[178:179], v[176:177]
	v_fma_f64 v[6:7], -v[6:7], v[180:181], v[178:179]
	s_delay_alu instid0(VALU_DEP_1) | instskip(NEXT) | instid1(VALU_DEP_1)
	v_div_fmas_f64 v[6:7], v[6:7], v[176:177], v[180:181]
	v_div_fixup_f64 v[0:1], v[6:7], v[0:1], 1.0
	s_delay_alu instid0(VALU_DEP_1)
	v_mul_f64 v[182:183], v[4:5], -v[0:1]
.LBB125_535:
	s_or_b32 exec_lo, exec_lo, s3
	ds_store_2addr_b64 v254, v[0:1], v[182:183] offset1:1
.LBB125_536:
	s_or_b32 exec_lo, exec_lo, s4
	s_waitcnt lgkmcnt(0)
	s_barrier
	buffer_gl0_inv
	ds_load_2addr_b64 v[176:179], v254 offset1:1
	s_mov_b32 s3, exec_lo
	v_cmpx_lt_u32_e32 44, v253
	s_cbranch_execz .LBB125_539
; %bb.537:
	scratch_load_b128 v[185:188], off, off offset:704
	s_mov_b32 s4, 0
	s_waitcnt vmcnt(0) lgkmcnt(0)
	v_mul_f64 v[0:1], v[178:179], v[187:188]
	s_delay_alu instid0(VALU_DEP_1) | instskip(SKIP_1) | instid1(VALU_DEP_1)
	v_fma_f64 v[180:181], v[176:177], v[185:186], -v[0:1]
	v_mul_f64 v[0:1], v[176:177], v[187:188]
	v_fma_f64 v[182:183], v[178:179], v[185:186], v[0:1]
	v_add3_u32 v0, v184, 0, 0x2d0
	v_mov_b32_e32 v1, 0
	scratch_store_b128 off, v[180:183], off offset:704
.LBB125_538:                            ; =>This Inner Loop Header: Depth=1
	v_add_nc_u32_e32 v188, s4, v0
	v_readfirstlane_b32 s5, v1
	ds_load_2addr_b64 v[184:187], v188 offset1:1
	s_add_i32 s5, s5, s4
	s_addk_i32 s4, 0x60
	s_add_i32 s6, s5, 0x2d0
	s_waitcnt lgkmcnt(0)
	v_mul_f64 v[4:5], v[186:187], v[182:183]
	v_mul_f64 v[6:7], v[184:185], v[182:183]
	s_delay_alu instid0(VALU_DEP_2) | instskip(NEXT) | instid1(VALU_DEP_2)
	v_fma_f64 v[4:5], v[184:185], v[180:181], -v[4:5]
	v_fma_f64 v[6:7], v[186:187], v[180:181], v[6:7]
	scratch_load_b128 v[184:187], off, s6
	s_waitcnt vmcnt(0)
	v_add_f64 v[184:185], v[184:185], -v[4:5]
	v_add_f64 v[186:187], v[186:187], -v[6:7]
	scratch_store_b128 off, v[184:187], s6
	ds_load_2addr_b64 v[184:187], v188 offset0:2 offset1:3
	s_add_i32 s6, s5, 0x2e0
	s_waitcnt lgkmcnt(0)
	v_mul_f64 v[4:5], v[186:187], v[182:183]
	v_mul_f64 v[6:7], v[184:185], v[182:183]
	s_delay_alu instid0(VALU_DEP_2) | instskip(NEXT) | instid1(VALU_DEP_2)
	v_fma_f64 v[4:5], v[184:185], v[180:181], -v[4:5]
	v_fma_f64 v[6:7], v[186:187], v[180:181], v[6:7]
	scratch_load_b128 v[184:187], off, s6
	s_waitcnt vmcnt(0)
	v_add_f64 v[184:185], v[184:185], -v[4:5]
	v_add_f64 v[186:187], v[186:187], -v[6:7]
	scratch_store_b128 off, v[184:187], s6
	ds_load_2addr_b64 v[184:187], v188 offset0:4 offset1:5
	;; [unrolled: 13-line block ×4, first 2 shown]
	s_add_i32 s6, s5, 0x310
	s_addk_i32 s5, 0x320
	s_cmpk_lg_i32 s4, 0x120
	s_waitcnt lgkmcnt(0)
	v_mul_f64 v[4:5], v[186:187], v[182:183]
	v_mul_f64 v[6:7], v[184:185], v[182:183]
	s_delay_alu instid0(VALU_DEP_2) | instskip(NEXT) | instid1(VALU_DEP_2)
	v_fma_f64 v[4:5], v[184:185], v[180:181], -v[4:5]
	v_fma_f64 v[6:7], v[186:187], v[180:181], v[6:7]
	scratch_load_b128 v[184:187], off, s6
	s_waitcnt vmcnt(0)
	v_add_f64 v[184:185], v[184:185], -v[4:5]
	v_add_f64 v[186:187], v[186:187], -v[6:7]
	scratch_store_b128 off, v[184:187], s6
	ds_load_2addr_b64 v[184:187], v188 offset0:10 offset1:11
	s_waitcnt lgkmcnt(0)
	v_mul_f64 v[4:5], v[186:187], v[182:183]
	v_mul_f64 v[6:7], v[184:185], v[182:183]
	s_delay_alu instid0(VALU_DEP_2) | instskip(NEXT) | instid1(VALU_DEP_2)
	v_fma_f64 v[4:5], v[184:185], v[180:181], -v[4:5]
	v_fma_f64 v[6:7], v[186:187], v[180:181], v[6:7]
	scratch_load_b128 v[184:187], off, s5
	s_waitcnt vmcnt(0)
	v_add_f64 v[184:185], v[184:185], -v[4:5]
	v_add_f64 v[186:187], v[186:187], -v[6:7]
	scratch_store_b128 off, v[184:187], s5
	s_cbranch_scc1 .LBB125_538
.LBB125_539:
	s_or_b32 exec_lo, exec_lo, s3
	s_delay_alu instid0(SALU_CYCLE_1)
	s_mov_b32 s4, exec_lo
	s_waitcnt lgkmcnt(0)
	s_waitcnt_vscnt null, 0x0
	s_barrier
	buffer_gl0_inv
	v_cmpx_eq_u32_e32 45, v253
	s_cbranch_execz .LBB125_546
; %bb.540:
	scratch_load_b32 v0, off, off offset:1068 ; 4-byte Folded Reload
	s_waitcnt vmcnt(0)
	scratch_load_b128 v[180:183], v0, off
	scratch_load_b32 v0, off, off offset:1064 ; 4-byte Folded Reload
	s_waitcnt vmcnt(1)
	ds_store_2addr_b64 v254, v[180:181], v[182:183] offset1:1
	s_waitcnt vmcnt(0)
	scratch_load_b128 v[180:183], v0, off
	scratch_load_b32 v0, off, off offset:1060 ; 4-byte Folded Reload
	s_waitcnt vmcnt(1)
	ds_store_2addr_b64 v252, v[180:181], v[182:183] offset0:92 offset1:93
	s_waitcnt vmcnt(0)
	scratch_load_b128 v[180:183], v0, off
	scratch_load_b32 v0, off, off offset:1056 ; 4-byte Folded Reload
	s_waitcnt vmcnt(1)
	ds_store_2addr_b64 v252, v[180:181], v[182:183] offset0:94 offset1:95
	;; [unrolled: 5-line block ×14, first 2 shown]
	s_waitcnt vmcnt(0)
	scratch_load_b128 v[180:183], v0, off
	s_waitcnt vmcnt(0)
	ds_store_2addr_b64 v252, v[180:181], v[182:183] offset0:120 offset1:121
	scratch_load_b128 v[180:183], v3, off
	s_waitcnt vmcnt(0)
	ds_store_2addr_b64 v252, v[180:181], v[182:183] offset0:122 offset1:123
	;; [unrolled: 3-line block ×3, first 2 shown]
	ds_load_2addr_b64 v[180:183], v254 offset1:1
	s_waitcnt lgkmcnt(0)
	v_cmp_neq_f64_e32 vcc_lo, 0, v[180:181]
	v_cmp_neq_f64_e64 s3, 0, v[182:183]
	s_delay_alu instid0(VALU_DEP_1) | instskip(NEXT) | instid1(SALU_CYCLE_1)
	s_or_b32 s3, vcc_lo, s3
	s_and_b32 exec_lo, exec_lo, s3
	s_cbranch_execz .LBB125_546
; %bb.541:
	v_cmp_gt_f64_e32 vcc_lo, 0, v[180:181]
	v_xor_b32_e32 v0, 0x80000000, v181
	v_xor_b32_e32 v4, 0x80000000, v183
	s_delay_alu instid0(VALU_DEP_2) | instskip(SKIP_2) | instid1(VALU_DEP_4)
	v_cndmask_b32_e32 v1, v181, v0, vcc_lo
	v_cndmask_b32_e32 v0, v180, v180, vcc_lo
	v_cmp_gt_f64_e32 vcc_lo, 0, v[182:183]
	v_dual_cndmask_b32 v5, v183, v4 :: v_dual_cndmask_b32 v4, v182, v182
	s_delay_alu instid0(VALU_DEP_1) | instskip(SKIP_1) | instid1(SALU_CYCLE_1)
	v_cmp_ngt_f64_e32 vcc_lo, v[0:1], v[4:5]
                                        ; implicit-def: $vgpr0_vgpr1
	s_and_saveexec_b32 s3, vcc_lo
	s_xor_b32 s3, exec_lo, s3
                                        ; implicit-def: $vgpr184_vgpr185_vgpr186_vgpr187
	s_cbranch_execz .LBB125_543
; %bb.542:
	v_div_scale_f64 v[0:1], null, v[182:183], v[182:183], v[180:181]
	v_div_scale_f64 v[184:185], vcc_lo, v[180:181], v[182:183], v[180:181]
	s_delay_alu instid0(VALU_DEP_2) | instskip(SKIP_2) | instid1(VALU_DEP_1)
	v_rcp_f64_e32 v[4:5], v[0:1]
	s_waitcnt_depctr 0xfff
	v_fma_f64 v[6:7], -v[0:1], v[4:5], 1.0
	v_fma_f64 v[4:5], v[4:5], v[6:7], v[4:5]
	s_delay_alu instid0(VALU_DEP_1) | instskip(NEXT) | instid1(VALU_DEP_1)
	v_fma_f64 v[6:7], -v[0:1], v[4:5], 1.0
	v_fma_f64 v[4:5], v[4:5], v[6:7], v[4:5]
	s_delay_alu instid0(VALU_DEP_1) | instskip(NEXT) | instid1(VALU_DEP_1)
	v_mul_f64 v[6:7], v[184:185], v[4:5]
	v_fma_f64 v[0:1], -v[0:1], v[6:7], v[184:185]
	s_delay_alu instid0(VALU_DEP_1) | instskip(NEXT) | instid1(VALU_DEP_1)
	v_div_fmas_f64 v[0:1], v[0:1], v[4:5], v[6:7]
	v_div_fixup_f64 v[0:1], v[0:1], v[182:183], v[180:181]
	s_delay_alu instid0(VALU_DEP_1) | instskip(NEXT) | instid1(VALU_DEP_1)
	v_fma_f64 v[4:5], v[180:181], v[0:1], v[182:183]
	v_div_scale_f64 v[6:7], null, v[4:5], v[4:5], 1.0
	s_delay_alu instid0(VALU_DEP_1) | instskip(SKIP_2) | instid1(VALU_DEP_1)
	v_rcp_f64_e32 v[180:181], v[6:7]
	s_waitcnt_depctr 0xfff
	v_fma_f64 v[182:183], -v[6:7], v[180:181], 1.0
	v_fma_f64 v[180:181], v[180:181], v[182:183], v[180:181]
	s_delay_alu instid0(VALU_DEP_1) | instskip(NEXT) | instid1(VALU_DEP_1)
	v_fma_f64 v[182:183], -v[6:7], v[180:181], 1.0
	v_fma_f64 v[180:181], v[180:181], v[182:183], v[180:181]
	v_div_scale_f64 v[182:183], vcc_lo, 1.0, v[4:5], 1.0
	s_delay_alu instid0(VALU_DEP_1) | instskip(NEXT) | instid1(VALU_DEP_1)
	v_mul_f64 v[184:185], v[182:183], v[180:181]
	v_fma_f64 v[6:7], -v[6:7], v[184:185], v[182:183]
	s_delay_alu instid0(VALU_DEP_1) | instskip(NEXT) | instid1(VALU_DEP_1)
	v_div_fmas_f64 v[6:7], v[6:7], v[180:181], v[184:185]
                                        ; implicit-def: $vgpr180_vgpr181
	v_div_fixup_f64 v[186:187], v[6:7], v[4:5], 1.0
	s_delay_alu instid0(VALU_DEP_1)
	v_mul_f64 v[0:1], v[0:1], v[186:187]
	v_xor_b32_e32 v187, 0x80000000, v187
.LBB125_543:
	s_and_not1_saveexec_b32 s3, s3
	s_cbranch_execz .LBB125_545
; %bb.544:
	v_div_scale_f64 v[0:1], null, v[180:181], v[180:181], v[182:183]
	v_div_scale_f64 v[184:185], vcc_lo, v[182:183], v[180:181], v[182:183]
	s_delay_alu instid0(VALU_DEP_2) | instskip(SKIP_2) | instid1(VALU_DEP_1)
	v_rcp_f64_e32 v[4:5], v[0:1]
	s_waitcnt_depctr 0xfff
	v_fma_f64 v[6:7], -v[0:1], v[4:5], 1.0
	v_fma_f64 v[4:5], v[4:5], v[6:7], v[4:5]
	s_delay_alu instid0(VALU_DEP_1) | instskip(NEXT) | instid1(VALU_DEP_1)
	v_fma_f64 v[6:7], -v[0:1], v[4:5], 1.0
	v_fma_f64 v[4:5], v[4:5], v[6:7], v[4:5]
	s_delay_alu instid0(VALU_DEP_1) | instskip(NEXT) | instid1(VALU_DEP_1)
	v_mul_f64 v[6:7], v[184:185], v[4:5]
	v_fma_f64 v[0:1], -v[0:1], v[6:7], v[184:185]
	s_delay_alu instid0(VALU_DEP_1) | instskip(NEXT) | instid1(VALU_DEP_1)
	v_div_fmas_f64 v[0:1], v[0:1], v[4:5], v[6:7]
	v_div_fixup_f64 v[4:5], v[0:1], v[180:181], v[182:183]
	s_delay_alu instid0(VALU_DEP_1) | instskip(NEXT) | instid1(VALU_DEP_1)
	v_fma_f64 v[0:1], v[182:183], v[4:5], v[180:181]
	v_div_scale_f64 v[6:7], null, v[0:1], v[0:1], 1.0
	s_delay_alu instid0(VALU_DEP_1) | instskip(SKIP_2) | instid1(VALU_DEP_1)
	v_rcp_f64_e32 v[180:181], v[6:7]
	s_waitcnt_depctr 0xfff
	v_fma_f64 v[182:183], -v[6:7], v[180:181], 1.0
	v_fma_f64 v[180:181], v[180:181], v[182:183], v[180:181]
	s_delay_alu instid0(VALU_DEP_1) | instskip(NEXT) | instid1(VALU_DEP_1)
	v_fma_f64 v[182:183], -v[6:7], v[180:181], 1.0
	v_fma_f64 v[180:181], v[180:181], v[182:183], v[180:181]
	v_div_scale_f64 v[182:183], vcc_lo, 1.0, v[0:1], 1.0
	s_delay_alu instid0(VALU_DEP_1) | instskip(NEXT) | instid1(VALU_DEP_1)
	v_mul_f64 v[184:185], v[182:183], v[180:181]
	v_fma_f64 v[6:7], -v[6:7], v[184:185], v[182:183]
	s_delay_alu instid0(VALU_DEP_1) | instskip(NEXT) | instid1(VALU_DEP_1)
	v_div_fmas_f64 v[6:7], v[6:7], v[180:181], v[184:185]
	v_div_fixup_f64 v[0:1], v[6:7], v[0:1], 1.0
	s_delay_alu instid0(VALU_DEP_1)
	v_mul_f64 v[186:187], v[4:5], -v[0:1]
.LBB125_545:
	s_or_b32 exec_lo, exec_lo, s3
	ds_store_2addr_b64 v254, v[0:1], v[186:187] offset1:1
.LBB125_546:
	s_or_b32 exec_lo, exec_lo, s4
	s_waitcnt lgkmcnt(0)
	s_barrier
	buffer_gl0_inv
	ds_load_2addr_b64 v[180:183], v254 offset1:1
	s_mov_b32 s3, exec_lo
	v_cmpx_lt_u32_e32 45, v253
	s_cbranch_execz .LBB125_548
; %bb.547:
	scratch_load_b128 v[184:187], off, off offset:720
	s_waitcnt vmcnt(0) lgkmcnt(0)
	v_mul_f64 v[0:1], v[182:183], v[186:187]
	s_delay_alu instid0(VALU_DEP_1) | instskip(SKIP_1) | instid1(VALU_DEP_1)
	v_fma_f64 v[188:189], v[180:181], v[184:185], -v[0:1]
	v_mul_f64 v[0:1], v[180:181], v[186:187]
	v_fma_f64 v[190:191], v[182:183], v[184:185], v[0:1]
	ds_load_2addr_b64 v[184:187], v252 offset0:92 offset1:93
	s_waitcnt lgkmcnt(0)
	v_mul_f64 v[0:1], v[186:187], v[190:191]
	v_mul_f64 v[4:5], v[184:185], v[190:191]
	s_delay_alu instid0(VALU_DEP_2) | instskip(NEXT) | instid1(VALU_DEP_2)
	v_fma_f64 v[0:1], v[184:185], v[188:189], -v[0:1]
	v_fma_f64 v[4:5], v[186:187], v[188:189], v[4:5]
	scratch_load_b128 v[184:187], off, off offset:736
	s_waitcnt vmcnt(0)
	v_add_f64 v[184:185], v[184:185], -v[0:1]
	v_add_f64 v[186:187], v[186:187], -v[4:5]
	s_clause 0x1
	scratch_store_b128 off, v[188:191], off offset:720
	scratch_store_b128 off, v[184:187], off offset:736
	ds_load_2addr_b64 v[184:187], v252 offset0:94 offset1:95
	s_waitcnt lgkmcnt(0)
	v_mul_f64 v[0:1], v[186:187], v[190:191]
	v_mul_f64 v[4:5], v[184:185], v[190:191]
	s_delay_alu instid0(VALU_DEP_2) | instskip(NEXT) | instid1(VALU_DEP_2)
	v_fma_f64 v[0:1], v[184:185], v[188:189], -v[0:1]
	v_fma_f64 v[4:5], v[186:187], v[188:189], v[4:5]
	scratch_load_b128 v[184:187], off, off offset:752
	s_waitcnt vmcnt(0)
	v_add_f64 v[184:185], v[184:185], -v[0:1]
	v_add_f64 v[186:187], v[186:187], -v[4:5]
	scratch_store_b128 off, v[184:187], off offset:752
	ds_load_2addr_b64 v[184:187], v252 offset0:96 offset1:97
	s_waitcnt lgkmcnt(0)
	v_mul_f64 v[0:1], v[186:187], v[190:191]
	v_mul_f64 v[4:5], v[184:185], v[190:191]
	s_delay_alu instid0(VALU_DEP_2) | instskip(NEXT) | instid1(VALU_DEP_2)
	v_fma_f64 v[0:1], v[184:185], v[188:189], -v[0:1]
	v_fma_f64 v[4:5], v[186:187], v[188:189], v[4:5]
	scratch_load_b128 v[184:187], off, off offset:768
	s_waitcnt vmcnt(0)
	v_add_f64 v[184:185], v[184:185], -v[0:1]
	v_add_f64 v[186:187], v[186:187], -v[4:5]
	;; [unrolled: 12-line block ×4, first 2 shown]
	scratch_store_b128 off, v[184:187], off offset:800
	ds_load_2addr_b64 v[184:187], v252 offset0:102 offset1:103
	s_waitcnt lgkmcnt(0)
	v_mul_f64 v[0:1], v[186:187], v[190:191]
	v_mul_f64 v[4:5], v[184:185], v[190:191]
	s_delay_alu instid0(VALU_DEP_2) | instskip(NEXT) | instid1(VALU_DEP_2)
	v_fma_f64 v[0:1], v[184:185], v[188:189], -v[0:1]
	v_fma_f64 v[4:5], v[186:187], v[188:189], v[4:5]
	scratch_load_b128 v[184:187], off, off offset:816
	ds_load_2addr_b64 v[188:191], v252 offset0:104 offset1:105
	s_waitcnt vmcnt(0)
	v_add_f64 v[184:185], v[184:185], -v[0:1]
	v_add_f64 v[186:187], v[186:187], -v[4:5]
	scratch_store_b128 off, v[184:187], off offset:816
	s_clause 0x1
	scratch_load_b64 v[0:1], off, off offset:720
	scratch_load_b128 v[184:187], off, off offset:720
	s_waitcnt vmcnt(0) lgkmcnt(0)
	v_mul_f64 v[4:5], v[190:191], v[186:187]
	v_mul_f64 v[6:7], v[188:189], v[186:187]
	s_delay_alu instid0(VALU_DEP_2) | instskip(NEXT) | instid1(VALU_DEP_2)
	v_fma_f64 v[4:5], v[188:189], v[0:1], -v[4:5]
	v_fma_f64 v[6:7], v[190:191], v[0:1], v[6:7]
	scratch_load_b128 v[188:191], off, off offset:832
	s_waitcnt vmcnt(0)
	v_add_f64 v[188:189], v[188:189], -v[4:5]
	v_add_f64 v[190:191], v[190:191], -v[6:7]
	scratch_store_b128 off, v[188:191], off offset:832
	ds_load_2addr_b64 v[188:191], v252 offset0:106 offset1:107
	s_waitcnt lgkmcnt(0)
	v_mul_f64 v[4:5], v[190:191], v[186:187]
	v_mul_f64 v[6:7], v[188:189], v[186:187]
	s_delay_alu instid0(VALU_DEP_2) | instskip(NEXT) | instid1(VALU_DEP_2)
	v_fma_f64 v[4:5], v[188:189], v[0:1], -v[4:5]
	v_fma_f64 v[6:7], v[190:191], v[0:1], v[6:7]
	scratch_load_b128 v[188:191], off, off offset:848
	s_waitcnt vmcnt(0)
	v_add_f64 v[188:189], v[188:189], -v[4:5]
	v_add_f64 v[190:191], v[190:191], -v[6:7]
	scratch_store_b128 off, v[188:191], off offset:848
	ds_load_2addr_b64 v[188:191], v252 offset0:108 offset1:109
	s_waitcnt lgkmcnt(0)
	;; [unrolled: 12-line block ×5, first 2 shown]
	v_mul_f64 v[4:5], v[190:191], v[186:187]
	v_mul_f64 v[6:7], v[188:189], v[186:187]
	s_delay_alu instid0(VALU_DEP_2) | instskip(SKIP_3) | instid1(VALU_DEP_1)
	v_fma_f64 v[4:5], v[188:189], v[0:1], -v[4:5]
	scratch_load_b128 v[186:189], off, off offset:912
	v_fma_f64 v[0:1], v[190:191], v[0:1], v[6:7]
	s_waitcnt vmcnt(0)
	v_add_f64 v[188:189], v[188:189], -v[0:1]
	scratch_load_b64 v[0:1], off, off offset:728
	v_add_f64 v[186:187], v[186:187], -v[4:5]
	scratch_store_b128 off, v[186:189], off offset:912
	ds_load_2addr_b64 v[186:189], v252 offset0:116 offset1:117
	s_waitcnt vmcnt(0) lgkmcnt(0)
	v_mul_f64 v[4:5], v[188:189], v[0:1]
	v_mul_f64 v[6:7], v[186:187], v[0:1]
	s_delay_alu instid0(VALU_DEP_2) | instskip(NEXT) | instid1(VALU_DEP_2)
	v_fma_f64 v[4:5], v[186:187], v[184:185], -v[4:5]
	v_fma_f64 v[6:7], v[188:189], v[184:185], v[6:7]
	scratch_load_b128 v[186:189], off, off offset:928
	s_waitcnt vmcnt(0)
	v_add_f64 v[186:187], v[186:187], -v[4:5]
	v_add_f64 v[188:189], v[188:189], -v[6:7]
	scratch_store_b128 off, v[186:189], off offset:928
	ds_load_2addr_b64 v[186:189], v252 offset0:118 offset1:119
	s_waitcnt lgkmcnt(0)
	v_mul_f64 v[4:5], v[188:189], v[0:1]
	v_mul_f64 v[6:7], v[186:187], v[0:1]
	s_delay_alu instid0(VALU_DEP_2) | instskip(NEXT) | instid1(VALU_DEP_2)
	v_fma_f64 v[4:5], v[186:187], v[184:185], -v[4:5]
	v_fma_f64 v[6:7], v[188:189], v[184:185], v[6:7]
	scratch_load_b128 v[186:189], off, off offset:944
	s_waitcnt vmcnt(0)
	v_add_f64 v[186:187], v[186:187], -v[4:5]
	v_add_f64 v[188:189], v[188:189], -v[6:7]
	scratch_store_b128 off, v[186:189], off offset:944
	ds_load_2addr_b64 v[186:189], v252 offset0:120 offset1:121
	s_waitcnt lgkmcnt(0)
	;; [unrolled: 12-line block ×4, first 2 shown]
	v_mul_f64 v[4:5], v[188:189], v[0:1]
	v_mul_f64 v[0:1], v[186:187], v[0:1]
	s_delay_alu instid0(VALU_DEP_2) | instskip(NEXT) | instid1(VALU_DEP_2)
	v_fma_f64 v[4:5], v[186:187], v[184:185], -v[4:5]
	v_fma_f64 v[0:1], v[188:189], v[184:185], v[0:1]
	scratch_load_b128 v[184:187], off, off offset:992
	s_waitcnt vmcnt(0)
	v_add_f64 v[184:185], v[184:185], -v[4:5]
	v_add_f64 v[186:187], v[186:187], -v[0:1]
	scratch_store_b128 off, v[184:187], off offset:992
.LBB125_548:
	s_or_b32 exec_lo, exec_lo, s3
	s_delay_alu instid0(SALU_CYCLE_1)
	s_mov_b32 s4, exec_lo
	s_waitcnt lgkmcnt(0)
	s_waitcnt_vscnt null, 0x0
	s_barrier
	buffer_gl0_inv
	v_cmpx_eq_u32_e32 46, v253
	s_cbranch_execz .LBB125_555
; %bb.549:
	scratch_load_b32 v0, off, off offset:1064 ; 4-byte Folded Reload
	s_waitcnt vmcnt(0)
	scratch_load_b128 v[184:187], v0, off
	scratch_load_b32 v0, off, off offset:1060 ; 4-byte Folded Reload
	s_waitcnt vmcnt(1)
	ds_store_2addr_b64 v254, v[184:185], v[186:187] offset1:1
	s_waitcnt vmcnt(0)
	scratch_load_b128 v[184:187], v0, off
	scratch_load_b32 v0, off, off offset:1056 ; 4-byte Folded Reload
	s_waitcnt vmcnt(1)
	ds_store_2addr_b64 v252, v[184:185], v[186:187] offset0:94 offset1:95
	s_waitcnt vmcnt(0)
	scratch_load_b128 v[184:187], v0, off
	scratch_load_b32 v0, off, off offset:1052 ; 4-byte Folded Reload
	s_waitcnt vmcnt(1)
	ds_store_2addr_b64 v252, v[184:185], v[186:187] offset0:96 offset1:97
	;; [unrolled: 5-line block ×13, first 2 shown]
	s_waitcnt vmcnt(0)
	scratch_load_b128 v[184:187], v0, off
	s_waitcnt vmcnt(0)
	ds_store_2addr_b64 v252, v[184:185], v[186:187] offset0:120 offset1:121
	scratch_load_b128 v[184:187], v3, off
	s_waitcnt vmcnt(0)
	ds_store_2addr_b64 v252, v[184:185], v[186:187] offset0:122 offset1:123
	;; [unrolled: 3-line block ×3, first 2 shown]
	ds_load_2addr_b64 v[184:187], v254 offset1:1
	s_waitcnt lgkmcnt(0)
	v_cmp_neq_f64_e32 vcc_lo, 0, v[184:185]
	v_cmp_neq_f64_e64 s3, 0, v[186:187]
	s_delay_alu instid0(VALU_DEP_1) | instskip(NEXT) | instid1(SALU_CYCLE_1)
	s_or_b32 s3, vcc_lo, s3
	s_and_b32 exec_lo, exec_lo, s3
	s_cbranch_execz .LBB125_555
; %bb.550:
	v_cmp_gt_f64_e32 vcc_lo, 0, v[184:185]
	v_xor_b32_e32 v0, 0x80000000, v185
	v_xor_b32_e32 v4, 0x80000000, v187
	s_delay_alu instid0(VALU_DEP_2) | instskip(SKIP_2) | instid1(VALU_DEP_4)
	v_cndmask_b32_e32 v1, v185, v0, vcc_lo
	v_cndmask_b32_e32 v0, v184, v184, vcc_lo
	v_cmp_gt_f64_e32 vcc_lo, 0, v[186:187]
	v_dual_cndmask_b32 v5, v187, v4 :: v_dual_cndmask_b32 v4, v186, v186
	s_delay_alu instid0(VALU_DEP_1) | instskip(SKIP_1) | instid1(SALU_CYCLE_1)
	v_cmp_ngt_f64_e32 vcc_lo, v[0:1], v[4:5]
                                        ; implicit-def: $vgpr0_vgpr1
	s_and_saveexec_b32 s3, vcc_lo
	s_xor_b32 s3, exec_lo, s3
                                        ; implicit-def: $vgpr188_vgpr189_vgpr190_vgpr191
	s_cbranch_execz .LBB125_552
; %bb.551:
	v_div_scale_f64 v[0:1], null, v[186:187], v[186:187], v[184:185]
	v_div_scale_f64 v[188:189], vcc_lo, v[184:185], v[186:187], v[184:185]
	s_delay_alu instid0(VALU_DEP_2) | instskip(SKIP_2) | instid1(VALU_DEP_1)
	v_rcp_f64_e32 v[4:5], v[0:1]
	s_waitcnt_depctr 0xfff
	v_fma_f64 v[6:7], -v[0:1], v[4:5], 1.0
	v_fma_f64 v[4:5], v[4:5], v[6:7], v[4:5]
	s_delay_alu instid0(VALU_DEP_1) | instskip(NEXT) | instid1(VALU_DEP_1)
	v_fma_f64 v[6:7], -v[0:1], v[4:5], 1.0
	v_fma_f64 v[4:5], v[4:5], v[6:7], v[4:5]
	s_delay_alu instid0(VALU_DEP_1) | instskip(NEXT) | instid1(VALU_DEP_1)
	v_mul_f64 v[6:7], v[188:189], v[4:5]
	v_fma_f64 v[0:1], -v[0:1], v[6:7], v[188:189]
	s_delay_alu instid0(VALU_DEP_1) | instskip(NEXT) | instid1(VALU_DEP_1)
	v_div_fmas_f64 v[0:1], v[0:1], v[4:5], v[6:7]
	v_div_fixup_f64 v[0:1], v[0:1], v[186:187], v[184:185]
	s_delay_alu instid0(VALU_DEP_1) | instskip(NEXT) | instid1(VALU_DEP_1)
	v_fma_f64 v[4:5], v[184:185], v[0:1], v[186:187]
	v_div_scale_f64 v[6:7], null, v[4:5], v[4:5], 1.0
	s_delay_alu instid0(VALU_DEP_1) | instskip(SKIP_2) | instid1(VALU_DEP_1)
	v_rcp_f64_e32 v[184:185], v[6:7]
	s_waitcnt_depctr 0xfff
	v_fma_f64 v[186:187], -v[6:7], v[184:185], 1.0
	v_fma_f64 v[184:185], v[184:185], v[186:187], v[184:185]
	s_delay_alu instid0(VALU_DEP_1) | instskip(NEXT) | instid1(VALU_DEP_1)
	v_fma_f64 v[186:187], -v[6:7], v[184:185], 1.0
	v_fma_f64 v[184:185], v[184:185], v[186:187], v[184:185]
	v_div_scale_f64 v[186:187], vcc_lo, 1.0, v[4:5], 1.0
	s_delay_alu instid0(VALU_DEP_1) | instskip(NEXT) | instid1(VALU_DEP_1)
	v_mul_f64 v[188:189], v[186:187], v[184:185]
	v_fma_f64 v[6:7], -v[6:7], v[188:189], v[186:187]
	s_delay_alu instid0(VALU_DEP_1) | instskip(NEXT) | instid1(VALU_DEP_1)
	v_div_fmas_f64 v[6:7], v[6:7], v[184:185], v[188:189]
                                        ; implicit-def: $vgpr184_vgpr185
	v_div_fixup_f64 v[190:191], v[6:7], v[4:5], 1.0
	s_delay_alu instid0(VALU_DEP_1)
	v_mul_f64 v[0:1], v[0:1], v[190:191]
	v_xor_b32_e32 v191, 0x80000000, v191
.LBB125_552:
	s_and_not1_saveexec_b32 s3, s3
	s_cbranch_execz .LBB125_554
; %bb.553:
	v_div_scale_f64 v[0:1], null, v[184:185], v[184:185], v[186:187]
	v_div_scale_f64 v[188:189], vcc_lo, v[186:187], v[184:185], v[186:187]
	s_delay_alu instid0(VALU_DEP_2) | instskip(SKIP_2) | instid1(VALU_DEP_1)
	v_rcp_f64_e32 v[4:5], v[0:1]
	s_waitcnt_depctr 0xfff
	v_fma_f64 v[6:7], -v[0:1], v[4:5], 1.0
	v_fma_f64 v[4:5], v[4:5], v[6:7], v[4:5]
	s_delay_alu instid0(VALU_DEP_1) | instskip(NEXT) | instid1(VALU_DEP_1)
	v_fma_f64 v[6:7], -v[0:1], v[4:5], 1.0
	v_fma_f64 v[4:5], v[4:5], v[6:7], v[4:5]
	s_delay_alu instid0(VALU_DEP_1) | instskip(NEXT) | instid1(VALU_DEP_1)
	v_mul_f64 v[6:7], v[188:189], v[4:5]
	v_fma_f64 v[0:1], -v[0:1], v[6:7], v[188:189]
	s_delay_alu instid0(VALU_DEP_1) | instskip(NEXT) | instid1(VALU_DEP_1)
	v_div_fmas_f64 v[0:1], v[0:1], v[4:5], v[6:7]
	v_div_fixup_f64 v[4:5], v[0:1], v[184:185], v[186:187]
	s_delay_alu instid0(VALU_DEP_1) | instskip(NEXT) | instid1(VALU_DEP_1)
	v_fma_f64 v[0:1], v[186:187], v[4:5], v[184:185]
	v_div_scale_f64 v[6:7], null, v[0:1], v[0:1], 1.0
	s_delay_alu instid0(VALU_DEP_1) | instskip(SKIP_2) | instid1(VALU_DEP_1)
	v_rcp_f64_e32 v[184:185], v[6:7]
	s_waitcnt_depctr 0xfff
	v_fma_f64 v[186:187], -v[6:7], v[184:185], 1.0
	v_fma_f64 v[184:185], v[184:185], v[186:187], v[184:185]
	s_delay_alu instid0(VALU_DEP_1) | instskip(NEXT) | instid1(VALU_DEP_1)
	v_fma_f64 v[186:187], -v[6:7], v[184:185], 1.0
	v_fma_f64 v[184:185], v[184:185], v[186:187], v[184:185]
	v_div_scale_f64 v[186:187], vcc_lo, 1.0, v[0:1], 1.0
	s_delay_alu instid0(VALU_DEP_1) | instskip(NEXT) | instid1(VALU_DEP_1)
	v_mul_f64 v[188:189], v[186:187], v[184:185]
	v_fma_f64 v[6:7], -v[6:7], v[188:189], v[186:187]
	s_delay_alu instid0(VALU_DEP_1) | instskip(NEXT) | instid1(VALU_DEP_1)
	v_div_fmas_f64 v[6:7], v[6:7], v[184:185], v[188:189]
	v_div_fixup_f64 v[0:1], v[6:7], v[0:1], 1.0
	s_delay_alu instid0(VALU_DEP_1)
	v_mul_f64 v[190:191], v[4:5], -v[0:1]
.LBB125_554:
	s_or_b32 exec_lo, exec_lo, s3
	ds_store_2addr_b64 v254, v[0:1], v[190:191] offset1:1
.LBB125_555:
	s_or_b32 exec_lo, exec_lo, s4
	s_waitcnt lgkmcnt(0)
	s_barrier
	buffer_gl0_inv
	ds_load_2addr_b64 v[184:187], v254 offset1:1
	s_mov_b32 s3, exec_lo
	v_cmpx_lt_u32_e32 46, v253
	s_cbranch_execz .LBB125_557
; %bb.556:
	scratch_load_b128 v[188:191], off, off offset:736
	s_waitcnt vmcnt(0) lgkmcnt(0)
	v_mul_f64 v[0:1], v[186:187], v[190:191]
	s_delay_alu instid0(VALU_DEP_1) | instskip(SKIP_1) | instid1(VALU_DEP_1)
	v_fma_f64 v[192:193], v[184:185], v[188:189], -v[0:1]
	v_mul_f64 v[0:1], v[184:185], v[190:191]
	v_fma_f64 v[194:195], v[186:187], v[188:189], v[0:1]
	ds_load_2addr_b64 v[188:191], v252 offset0:94 offset1:95
	s_waitcnt lgkmcnt(0)
	v_mul_f64 v[0:1], v[190:191], v[194:195]
	v_mul_f64 v[4:5], v[188:189], v[194:195]
	s_delay_alu instid0(VALU_DEP_2) | instskip(NEXT) | instid1(VALU_DEP_2)
	v_fma_f64 v[0:1], v[188:189], v[192:193], -v[0:1]
	v_fma_f64 v[4:5], v[190:191], v[192:193], v[4:5]
	scratch_load_b128 v[188:191], off, off offset:752
	s_waitcnt vmcnt(0)
	v_add_f64 v[188:189], v[188:189], -v[0:1]
	v_add_f64 v[190:191], v[190:191], -v[4:5]
	s_clause 0x1
	scratch_store_b128 off, v[192:195], off offset:736
	scratch_store_b128 off, v[188:191], off offset:752
	ds_load_2addr_b64 v[188:191], v252 offset0:96 offset1:97
	s_waitcnt lgkmcnt(0)
	v_mul_f64 v[0:1], v[190:191], v[194:195]
	v_mul_f64 v[4:5], v[188:189], v[194:195]
	s_delay_alu instid0(VALU_DEP_2) | instskip(NEXT) | instid1(VALU_DEP_2)
	v_fma_f64 v[0:1], v[188:189], v[192:193], -v[0:1]
	v_fma_f64 v[4:5], v[190:191], v[192:193], v[4:5]
	scratch_load_b128 v[188:191], off, off offset:768
	s_waitcnt vmcnt(0)
	v_add_f64 v[188:189], v[188:189], -v[0:1]
	v_add_f64 v[190:191], v[190:191], -v[4:5]
	scratch_store_b128 off, v[188:191], off offset:768
	ds_load_2addr_b64 v[188:191], v252 offset0:98 offset1:99
	s_waitcnt lgkmcnt(0)
	v_mul_f64 v[0:1], v[190:191], v[194:195]
	v_mul_f64 v[4:5], v[188:189], v[194:195]
	s_delay_alu instid0(VALU_DEP_2) | instskip(NEXT) | instid1(VALU_DEP_2)
	v_fma_f64 v[0:1], v[188:189], v[192:193], -v[0:1]
	v_fma_f64 v[4:5], v[190:191], v[192:193], v[4:5]
	scratch_load_b128 v[188:191], off, off offset:784
	s_waitcnt vmcnt(0)
	v_add_f64 v[188:189], v[188:189], -v[0:1]
	v_add_f64 v[190:191], v[190:191], -v[4:5]
	;; [unrolled: 12-line block ×4, first 2 shown]
	scratch_store_b128 off, v[188:191], off offset:816
	ds_load_2addr_b64 v[188:191], v252 offset0:104 offset1:105
	s_waitcnt lgkmcnt(0)
	v_mul_f64 v[0:1], v[190:191], v[194:195]
	v_mul_f64 v[4:5], v[188:189], v[194:195]
	s_delay_alu instid0(VALU_DEP_2) | instskip(NEXT) | instid1(VALU_DEP_2)
	v_fma_f64 v[0:1], v[188:189], v[192:193], -v[0:1]
	v_fma_f64 v[4:5], v[190:191], v[192:193], v[4:5]
	scratch_load_b128 v[188:191], off, off offset:832
	ds_load_2addr_b64 v[192:195], v252 offset0:106 offset1:107
	s_waitcnt vmcnt(0)
	v_add_f64 v[188:189], v[188:189], -v[0:1]
	v_add_f64 v[190:191], v[190:191], -v[4:5]
	scratch_store_b128 off, v[188:191], off offset:832
	s_clause 0x1
	scratch_load_b64 v[0:1], off, off offset:736
	scratch_load_b128 v[188:191], off, off offset:736
	s_waitcnt vmcnt(0) lgkmcnt(0)
	v_mul_f64 v[4:5], v[194:195], v[190:191]
	v_mul_f64 v[6:7], v[192:193], v[190:191]
	s_delay_alu instid0(VALU_DEP_2) | instskip(NEXT) | instid1(VALU_DEP_2)
	v_fma_f64 v[4:5], v[192:193], v[0:1], -v[4:5]
	v_fma_f64 v[6:7], v[194:195], v[0:1], v[6:7]
	scratch_load_b128 v[192:195], off, off offset:848
	s_waitcnt vmcnt(0)
	v_add_f64 v[192:193], v[192:193], -v[4:5]
	v_add_f64 v[194:195], v[194:195], -v[6:7]
	scratch_store_b128 off, v[192:195], off offset:848
	ds_load_2addr_b64 v[192:195], v252 offset0:108 offset1:109
	s_waitcnt lgkmcnt(0)
	v_mul_f64 v[4:5], v[194:195], v[190:191]
	v_mul_f64 v[6:7], v[192:193], v[190:191]
	s_delay_alu instid0(VALU_DEP_2) | instskip(NEXT) | instid1(VALU_DEP_2)
	v_fma_f64 v[4:5], v[192:193], v[0:1], -v[4:5]
	v_fma_f64 v[6:7], v[194:195], v[0:1], v[6:7]
	scratch_load_b128 v[192:195], off, off offset:864
	s_waitcnt vmcnt(0)
	v_add_f64 v[192:193], v[192:193], -v[4:5]
	v_add_f64 v[194:195], v[194:195], -v[6:7]
	scratch_store_b128 off, v[192:195], off offset:864
	ds_load_2addr_b64 v[192:195], v252 offset0:110 offset1:111
	s_waitcnt lgkmcnt(0)
	;; [unrolled: 12-line block ×5, first 2 shown]
	v_mul_f64 v[4:5], v[194:195], v[190:191]
	v_mul_f64 v[6:7], v[192:193], v[190:191]
	s_delay_alu instid0(VALU_DEP_2) | instskip(SKIP_3) | instid1(VALU_DEP_1)
	v_fma_f64 v[4:5], v[192:193], v[0:1], -v[4:5]
	scratch_load_b128 v[190:193], off, off offset:928
	v_fma_f64 v[0:1], v[194:195], v[0:1], v[6:7]
	s_waitcnt vmcnt(0)
	v_add_f64 v[192:193], v[192:193], -v[0:1]
	scratch_load_b64 v[0:1], off, off offset:744
	v_add_f64 v[190:191], v[190:191], -v[4:5]
	scratch_store_b128 off, v[190:193], off offset:928
	ds_load_2addr_b64 v[190:193], v252 offset0:118 offset1:119
	s_waitcnt vmcnt(0) lgkmcnt(0)
	v_mul_f64 v[4:5], v[192:193], v[0:1]
	v_mul_f64 v[6:7], v[190:191], v[0:1]
	s_delay_alu instid0(VALU_DEP_2) | instskip(NEXT) | instid1(VALU_DEP_2)
	v_fma_f64 v[4:5], v[190:191], v[188:189], -v[4:5]
	v_fma_f64 v[6:7], v[192:193], v[188:189], v[6:7]
	scratch_load_b128 v[190:193], off, off offset:944
	s_waitcnt vmcnt(0)
	v_add_f64 v[190:191], v[190:191], -v[4:5]
	v_add_f64 v[192:193], v[192:193], -v[6:7]
	scratch_store_b128 off, v[190:193], off offset:944
	ds_load_2addr_b64 v[190:193], v252 offset0:120 offset1:121
	s_waitcnt lgkmcnt(0)
	v_mul_f64 v[4:5], v[192:193], v[0:1]
	v_mul_f64 v[6:7], v[190:191], v[0:1]
	s_delay_alu instid0(VALU_DEP_2) | instskip(NEXT) | instid1(VALU_DEP_2)
	v_fma_f64 v[4:5], v[190:191], v[188:189], -v[4:5]
	v_fma_f64 v[6:7], v[192:193], v[188:189], v[6:7]
	scratch_load_b128 v[190:193], off, off offset:960
	s_waitcnt vmcnt(0)
	v_add_f64 v[190:191], v[190:191], -v[4:5]
	v_add_f64 v[192:193], v[192:193], -v[6:7]
	scratch_store_b128 off, v[190:193], off offset:960
	ds_load_2addr_b64 v[190:193], v252 offset0:122 offset1:123
	s_waitcnt lgkmcnt(0)
	;; [unrolled: 12-line block ×3, first 2 shown]
	v_mul_f64 v[4:5], v[192:193], v[0:1]
	v_mul_f64 v[0:1], v[190:191], v[0:1]
	s_delay_alu instid0(VALU_DEP_2) | instskip(NEXT) | instid1(VALU_DEP_2)
	v_fma_f64 v[4:5], v[190:191], v[188:189], -v[4:5]
	v_fma_f64 v[0:1], v[192:193], v[188:189], v[0:1]
	scratch_load_b128 v[188:191], off, off offset:992
	s_waitcnt vmcnt(0)
	v_add_f64 v[188:189], v[188:189], -v[4:5]
	v_add_f64 v[190:191], v[190:191], -v[0:1]
	scratch_store_b128 off, v[188:191], off offset:992
.LBB125_557:
	s_or_b32 exec_lo, exec_lo, s3
	s_delay_alu instid0(SALU_CYCLE_1)
	s_mov_b32 s4, exec_lo
	s_waitcnt lgkmcnt(0)
	s_waitcnt_vscnt null, 0x0
	s_barrier
	buffer_gl0_inv
	v_cmpx_eq_u32_e32 47, v253
	s_cbranch_execz .LBB125_564
; %bb.558:
	scratch_load_b32 v0, off, off offset:1060 ; 4-byte Folded Reload
	s_waitcnt vmcnt(0)
	scratch_load_b128 v[188:191], v0, off
	scratch_load_b32 v0, off, off offset:1056 ; 4-byte Folded Reload
	s_waitcnt vmcnt(1)
	ds_store_2addr_b64 v254, v[188:189], v[190:191] offset1:1
	s_waitcnt vmcnt(0)
	scratch_load_b128 v[188:191], v0, off
	scratch_load_b32 v0, off, off offset:1052 ; 4-byte Folded Reload
	s_waitcnt vmcnt(1)
	ds_store_2addr_b64 v252, v[188:189], v[190:191] offset0:96 offset1:97
	s_waitcnt vmcnt(0)
	scratch_load_b128 v[188:191], v0, off
	scratch_load_b32 v0, off, off offset:1048 ; 4-byte Folded Reload
	s_waitcnt vmcnt(1)
	ds_store_2addr_b64 v252, v[188:189], v[190:191] offset0:98 offset1:99
	;; [unrolled: 5-line block ×12, first 2 shown]
	s_waitcnt vmcnt(0)
	scratch_load_b128 v[188:191], v0, off
	s_waitcnt vmcnt(0)
	ds_store_2addr_b64 v252, v[188:189], v[190:191] offset0:120 offset1:121
	scratch_load_b128 v[188:191], v3, off
	s_waitcnt vmcnt(0)
	ds_store_2addr_b64 v252, v[188:189], v[190:191] offset0:122 offset1:123
	scratch_load_b128 v[188:191], v2, off
	s_waitcnt vmcnt(0)
	ds_store_2addr_b64 v252, v[188:189], v[190:191] offset0:124 offset1:125
	ds_load_2addr_b64 v[188:191], v254 offset1:1
	s_waitcnt lgkmcnt(0)
	v_cmp_neq_f64_e32 vcc_lo, 0, v[188:189]
	v_cmp_neq_f64_e64 s3, 0, v[190:191]
	s_delay_alu instid0(VALU_DEP_1) | instskip(NEXT) | instid1(SALU_CYCLE_1)
	s_or_b32 s3, vcc_lo, s3
	s_and_b32 exec_lo, exec_lo, s3
	s_cbranch_execz .LBB125_564
; %bb.559:
	v_cmp_gt_f64_e32 vcc_lo, 0, v[188:189]
	v_xor_b32_e32 v0, 0x80000000, v189
	v_xor_b32_e32 v4, 0x80000000, v191
	s_delay_alu instid0(VALU_DEP_2) | instskip(SKIP_2) | instid1(VALU_DEP_4)
	v_cndmask_b32_e32 v1, v189, v0, vcc_lo
	v_cndmask_b32_e32 v0, v188, v188, vcc_lo
	v_cmp_gt_f64_e32 vcc_lo, 0, v[190:191]
	v_dual_cndmask_b32 v5, v191, v4 :: v_dual_cndmask_b32 v4, v190, v190
	s_delay_alu instid0(VALU_DEP_1) | instskip(SKIP_1) | instid1(SALU_CYCLE_1)
	v_cmp_ngt_f64_e32 vcc_lo, v[0:1], v[4:5]
                                        ; implicit-def: $vgpr0_vgpr1
	s_and_saveexec_b32 s3, vcc_lo
	s_xor_b32 s3, exec_lo, s3
                                        ; implicit-def: $vgpr192_vgpr193_vgpr194_vgpr195
	s_cbranch_execz .LBB125_561
; %bb.560:
	v_div_scale_f64 v[0:1], null, v[190:191], v[190:191], v[188:189]
	v_div_scale_f64 v[192:193], vcc_lo, v[188:189], v[190:191], v[188:189]
	s_delay_alu instid0(VALU_DEP_2) | instskip(SKIP_2) | instid1(VALU_DEP_1)
	v_rcp_f64_e32 v[4:5], v[0:1]
	s_waitcnt_depctr 0xfff
	v_fma_f64 v[6:7], -v[0:1], v[4:5], 1.0
	v_fma_f64 v[4:5], v[4:5], v[6:7], v[4:5]
	s_delay_alu instid0(VALU_DEP_1) | instskip(NEXT) | instid1(VALU_DEP_1)
	v_fma_f64 v[6:7], -v[0:1], v[4:5], 1.0
	v_fma_f64 v[4:5], v[4:5], v[6:7], v[4:5]
	s_delay_alu instid0(VALU_DEP_1) | instskip(NEXT) | instid1(VALU_DEP_1)
	v_mul_f64 v[6:7], v[192:193], v[4:5]
	v_fma_f64 v[0:1], -v[0:1], v[6:7], v[192:193]
	s_delay_alu instid0(VALU_DEP_1) | instskip(NEXT) | instid1(VALU_DEP_1)
	v_div_fmas_f64 v[0:1], v[0:1], v[4:5], v[6:7]
	v_div_fixup_f64 v[0:1], v[0:1], v[190:191], v[188:189]
	s_delay_alu instid0(VALU_DEP_1) | instskip(NEXT) | instid1(VALU_DEP_1)
	v_fma_f64 v[4:5], v[188:189], v[0:1], v[190:191]
	v_div_scale_f64 v[6:7], null, v[4:5], v[4:5], 1.0
	s_delay_alu instid0(VALU_DEP_1) | instskip(SKIP_2) | instid1(VALU_DEP_1)
	v_rcp_f64_e32 v[188:189], v[6:7]
	s_waitcnt_depctr 0xfff
	v_fma_f64 v[190:191], -v[6:7], v[188:189], 1.0
	v_fma_f64 v[188:189], v[188:189], v[190:191], v[188:189]
	s_delay_alu instid0(VALU_DEP_1) | instskip(NEXT) | instid1(VALU_DEP_1)
	v_fma_f64 v[190:191], -v[6:7], v[188:189], 1.0
	v_fma_f64 v[188:189], v[188:189], v[190:191], v[188:189]
	v_div_scale_f64 v[190:191], vcc_lo, 1.0, v[4:5], 1.0
	s_delay_alu instid0(VALU_DEP_1) | instskip(NEXT) | instid1(VALU_DEP_1)
	v_mul_f64 v[192:193], v[190:191], v[188:189]
	v_fma_f64 v[6:7], -v[6:7], v[192:193], v[190:191]
	s_delay_alu instid0(VALU_DEP_1) | instskip(NEXT) | instid1(VALU_DEP_1)
	v_div_fmas_f64 v[6:7], v[6:7], v[188:189], v[192:193]
                                        ; implicit-def: $vgpr188_vgpr189
	v_div_fixup_f64 v[194:195], v[6:7], v[4:5], 1.0
	s_delay_alu instid0(VALU_DEP_1)
	v_mul_f64 v[0:1], v[0:1], v[194:195]
	v_xor_b32_e32 v195, 0x80000000, v195
.LBB125_561:
	s_and_not1_saveexec_b32 s3, s3
	s_cbranch_execz .LBB125_563
; %bb.562:
	v_div_scale_f64 v[0:1], null, v[188:189], v[188:189], v[190:191]
	v_div_scale_f64 v[192:193], vcc_lo, v[190:191], v[188:189], v[190:191]
	s_delay_alu instid0(VALU_DEP_2) | instskip(SKIP_2) | instid1(VALU_DEP_1)
	v_rcp_f64_e32 v[4:5], v[0:1]
	s_waitcnt_depctr 0xfff
	v_fma_f64 v[6:7], -v[0:1], v[4:5], 1.0
	v_fma_f64 v[4:5], v[4:5], v[6:7], v[4:5]
	s_delay_alu instid0(VALU_DEP_1) | instskip(NEXT) | instid1(VALU_DEP_1)
	v_fma_f64 v[6:7], -v[0:1], v[4:5], 1.0
	v_fma_f64 v[4:5], v[4:5], v[6:7], v[4:5]
	s_delay_alu instid0(VALU_DEP_1) | instskip(NEXT) | instid1(VALU_DEP_1)
	v_mul_f64 v[6:7], v[192:193], v[4:5]
	v_fma_f64 v[0:1], -v[0:1], v[6:7], v[192:193]
	s_delay_alu instid0(VALU_DEP_1) | instskip(NEXT) | instid1(VALU_DEP_1)
	v_div_fmas_f64 v[0:1], v[0:1], v[4:5], v[6:7]
	v_div_fixup_f64 v[4:5], v[0:1], v[188:189], v[190:191]
	s_delay_alu instid0(VALU_DEP_1) | instskip(NEXT) | instid1(VALU_DEP_1)
	v_fma_f64 v[0:1], v[190:191], v[4:5], v[188:189]
	v_div_scale_f64 v[6:7], null, v[0:1], v[0:1], 1.0
	s_delay_alu instid0(VALU_DEP_1) | instskip(SKIP_2) | instid1(VALU_DEP_1)
	v_rcp_f64_e32 v[188:189], v[6:7]
	s_waitcnt_depctr 0xfff
	v_fma_f64 v[190:191], -v[6:7], v[188:189], 1.0
	v_fma_f64 v[188:189], v[188:189], v[190:191], v[188:189]
	s_delay_alu instid0(VALU_DEP_1) | instskip(NEXT) | instid1(VALU_DEP_1)
	v_fma_f64 v[190:191], -v[6:7], v[188:189], 1.0
	v_fma_f64 v[188:189], v[188:189], v[190:191], v[188:189]
	v_div_scale_f64 v[190:191], vcc_lo, 1.0, v[0:1], 1.0
	s_delay_alu instid0(VALU_DEP_1) | instskip(NEXT) | instid1(VALU_DEP_1)
	v_mul_f64 v[192:193], v[190:191], v[188:189]
	v_fma_f64 v[6:7], -v[6:7], v[192:193], v[190:191]
	s_delay_alu instid0(VALU_DEP_1) | instskip(NEXT) | instid1(VALU_DEP_1)
	v_div_fmas_f64 v[6:7], v[6:7], v[188:189], v[192:193]
	v_div_fixup_f64 v[0:1], v[6:7], v[0:1], 1.0
	s_delay_alu instid0(VALU_DEP_1)
	v_mul_f64 v[194:195], v[4:5], -v[0:1]
.LBB125_563:
	s_or_b32 exec_lo, exec_lo, s3
	ds_store_2addr_b64 v254, v[0:1], v[194:195] offset1:1
.LBB125_564:
	s_or_b32 exec_lo, exec_lo, s4
	s_waitcnt lgkmcnt(0)
	s_barrier
	buffer_gl0_inv
	ds_load_2addr_b64 v[188:191], v254 offset1:1
	s_mov_b32 s3, exec_lo
	v_cmpx_lt_u32_e32 47, v253
	s_cbranch_execz .LBB125_566
; %bb.565:
	scratch_load_b128 v[192:195], off, off offset:752
	s_waitcnt vmcnt(0) lgkmcnt(0)
	v_mul_f64 v[0:1], v[190:191], v[194:195]
	s_delay_alu instid0(VALU_DEP_1) | instskip(SKIP_1) | instid1(VALU_DEP_1)
	v_fma_f64 v[196:197], v[188:189], v[192:193], -v[0:1]
	v_mul_f64 v[0:1], v[188:189], v[194:195]
	v_fma_f64 v[198:199], v[190:191], v[192:193], v[0:1]
	ds_load_2addr_b64 v[192:195], v252 offset0:96 offset1:97
	s_waitcnt lgkmcnt(0)
	v_mul_f64 v[0:1], v[194:195], v[198:199]
	v_mul_f64 v[4:5], v[192:193], v[198:199]
	s_delay_alu instid0(VALU_DEP_2) | instskip(NEXT) | instid1(VALU_DEP_2)
	v_fma_f64 v[0:1], v[192:193], v[196:197], -v[0:1]
	v_fma_f64 v[4:5], v[194:195], v[196:197], v[4:5]
	scratch_load_b128 v[192:195], off, off offset:768
	s_waitcnt vmcnt(0)
	v_add_f64 v[192:193], v[192:193], -v[0:1]
	v_add_f64 v[194:195], v[194:195], -v[4:5]
	s_clause 0x1
	scratch_store_b128 off, v[196:199], off offset:752
	scratch_store_b128 off, v[192:195], off offset:768
	ds_load_2addr_b64 v[192:195], v252 offset0:98 offset1:99
	s_waitcnt lgkmcnt(0)
	v_mul_f64 v[0:1], v[194:195], v[198:199]
	v_mul_f64 v[4:5], v[192:193], v[198:199]
	s_delay_alu instid0(VALU_DEP_2) | instskip(NEXT) | instid1(VALU_DEP_2)
	v_fma_f64 v[0:1], v[192:193], v[196:197], -v[0:1]
	v_fma_f64 v[4:5], v[194:195], v[196:197], v[4:5]
	scratch_load_b128 v[192:195], off, off offset:784
	s_waitcnt vmcnt(0)
	v_add_f64 v[192:193], v[192:193], -v[0:1]
	v_add_f64 v[194:195], v[194:195], -v[4:5]
	scratch_store_b128 off, v[192:195], off offset:784
	ds_load_2addr_b64 v[192:195], v252 offset0:100 offset1:101
	s_waitcnt lgkmcnt(0)
	v_mul_f64 v[0:1], v[194:195], v[198:199]
	v_mul_f64 v[4:5], v[192:193], v[198:199]
	s_delay_alu instid0(VALU_DEP_2) | instskip(NEXT) | instid1(VALU_DEP_2)
	v_fma_f64 v[0:1], v[192:193], v[196:197], -v[0:1]
	v_fma_f64 v[4:5], v[194:195], v[196:197], v[4:5]
	scratch_load_b128 v[192:195], off, off offset:800
	s_waitcnt vmcnt(0)
	v_add_f64 v[192:193], v[192:193], -v[0:1]
	v_add_f64 v[194:195], v[194:195], -v[4:5]
	;; [unrolled: 12-line block ×4, first 2 shown]
	scratch_store_b128 off, v[192:195], off offset:832
	ds_load_2addr_b64 v[192:195], v252 offset0:106 offset1:107
	s_waitcnt lgkmcnt(0)
	v_mul_f64 v[0:1], v[194:195], v[198:199]
	v_mul_f64 v[4:5], v[192:193], v[198:199]
	s_delay_alu instid0(VALU_DEP_2) | instskip(NEXT) | instid1(VALU_DEP_2)
	v_fma_f64 v[0:1], v[192:193], v[196:197], -v[0:1]
	v_fma_f64 v[4:5], v[194:195], v[196:197], v[4:5]
	scratch_load_b128 v[192:195], off, off offset:848
	ds_load_2addr_b64 v[196:199], v252 offset0:108 offset1:109
	s_waitcnt vmcnt(0)
	v_add_f64 v[192:193], v[192:193], -v[0:1]
	v_add_f64 v[194:195], v[194:195], -v[4:5]
	scratch_store_b128 off, v[192:195], off offset:848
	s_clause 0x1
	scratch_load_b64 v[0:1], off, off offset:752
	scratch_load_b128 v[192:195], off, off offset:752
	s_waitcnt vmcnt(0) lgkmcnt(0)
	v_mul_f64 v[4:5], v[198:199], v[194:195]
	v_mul_f64 v[6:7], v[196:197], v[194:195]
	s_delay_alu instid0(VALU_DEP_2) | instskip(NEXT) | instid1(VALU_DEP_2)
	v_fma_f64 v[4:5], v[196:197], v[0:1], -v[4:5]
	v_fma_f64 v[6:7], v[198:199], v[0:1], v[6:7]
	scratch_load_b128 v[196:199], off, off offset:864
	s_waitcnt vmcnt(0)
	v_add_f64 v[196:197], v[196:197], -v[4:5]
	v_add_f64 v[198:199], v[198:199], -v[6:7]
	scratch_store_b128 off, v[196:199], off offset:864
	ds_load_2addr_b64 v[196:199], v252 offset0:110 offset1:111
	s_waitcnt lgkmcnt(0)
	v_mul_f64 v[4:5], v[198:199], v[194:195]
	v_mul_f64 v[6:7], v[196:197], v[194:195]
	s_delay_alu instid0(VALU_DEP_2) | instskip(NEXT) | instid1(VALU_DEP_2)
	v_fma_f64 v[4:5], v[196:197], v[0:1], -v[4:5]
	v_fma_f64 v[6:7], v[198:199], v[0:1], v[6:7]
	scratch_load_b128 v[196:199], off, off offset:880
	s_waitcnt vmcnt(0)
	v_add_f64 v[196:197], v[196:197], -v[4:5]
	v_add_f64 v[198:199], v[198:199], -v[6:7]
	scratch_store_b128 off, v[196:199], off offset:880
	ds_load_2addr_b64 v[196:199], v252 offset0:112 offset1:113
	s_waitcnt lgkmcnt(0)
	;; [unrolled: 12-line block ×5, first 2 shown]
	v_mul_f64 v[4:5], v[198:199], v[194:195]
	v_mul_f64 v[6:7], v[196:197], v[194:195]
	s_delay_alu instid0(VALU_DEP_2) | instskip(SKIP_3) | instid1(VALU_DEP_1)
	v_fma_f64 v[4:5], v[196:197], v[0:1], -v[4:5]
	scratch_load_b128 v[194:197], off, off offset:944
	v_fma_f64 v[0:1], v[198:199], v[0:1], v[6:7]
	s_waitcnt vmcnt(0)
	v_add_f64 v[196:197], v[196:197], -v[0:1]
	scratch_load_b64 v[0:1], off, off offset:760
	v_add_f64 v[194:195], v[194:195], -v[4:5]
	scratch_store_b128 off, v[194:197], off offset:944
	ds_load_2addr_b64 v[194:197], v252 offset0:120 offset1:121
	s_waitcnt vmcnt(0) lgkmcnt(0)
	v_mul_f64 v[4:5], v[196:197], v[0:1]
	v_mul_f64 v[6:7], v[194:195], v[0:1]
	s_delay_alu instid0(VALU_DEP_2) | instskip(NEXT) | instid1(VALU_DEP_2)
	v_fma_f64 v[4:5], v[194:195], v[192:193], -v[4:5]
	v_fma_f64 v[6:7], v[196:197], v[192:193], v[6:7]
	scratch_load_b128 v[194:197], off, off offset:960
	s_waitcnt vmcnt(0)
	v_add_f64 v[194:195], v[194:195], -v[4:5]
	v_add_f64 v[196:197], v[196:197], -v[6:7]
	scratch_store_b128 off, v[194:197], off offset:960
	ds_load_2addr_b64 v[194:197], v252 offset0:122 offset1:123
	s_waitcnt lgkmcnt(0)
	v_mul_f64 v[4:5], v[196:197], v[0:1]
	v_mul_f64 v[6:7], v[194:195], v[0:1]
	s_delay_alu instid0(VALU_DEP_2) | instskip(NEXT) | instid1(VALU_DEP_2)
	v_fma_f64 v[4:5], v[194:195], v[192:193], -v[4:5]
	v_fma_f64 v[6:7], v[196:197], v[192:193], v[6:7]
	scratch_load_b128 v[194:197], off, off offset:976
	s_waitcnt vmcnt(0)
	v_add_f64 v[194:195], v[194:195], -v[4:5]
	v_add_f64 v[196:197], v[196:197], -v[6:7]
	scratch_store_b128 off, v[194:197], off offset:976
	ds_load_2addr_b64 v[194:197], v252 offset0:124 offset1:125
	s_waitcnt lgkmcnt(0)
	v_mul_f64 v[4:5], v[196:197], v[0:1]
	v_mul_f64 v[0:1], v[194:195], v[0:1]
	s_delay_alu instid0(VALU_DEP_2) | instskip(NEXT) | instid1(VALU_DEP_2)
	v_fma_f64 v[4:5], v[194:195], v[192:193], -v[4:5]
	v_fma_f64 v[0:1], v[196:197], v[192:193], v[0:1]
	scratch_load_b128 v[192:195], off, off offset:992
	s_waitcnt vmcnt(0)
	v_add_f64 v[192:193], v[192:193], -v[4:5]
	v_add_f64 v[194:195], v[194:195], -v[0:1]
	scratch_store_b128 off, v[192:195], off offset:992
.LBB125_566:
	s_or_b32 exec_lo, exec_lo, s3
	s_delay_alu instid0(SALU_CYCLE_1)
	s_mov_b32 s4, exec_lo
	s_waitcnt lgkmcnt(0)
	s_waitcnt_vscnt null, 0x0
	s_barrier
	buffer_gl0_inv
	v_cmpx_eq_u32_e32 48, v253
	s_cbranch_execz .LBB125_573
; %bb.567:
	scratch_load_b32 v0, off, off offset:1056 ; 4-byte Folded Reload
	s_waitcnt vmcnt(0)
	scratch_load_b128 v[192:195], v0, off
	scratch_load_b32 v0, off, off offset:1052 ; 4-byte Folded Reload
	s_waitcnt vmcnt(1)
	ds_store_2addr_b64 v254, v[192:193], v[194:195] offset1:1
	s_waitcnt vmcnt(0)
	scratch_load_b128 v[192:195], v0, off
	scratch_load_b32 v0, off, off offset:1048 ; 4-byte Folded Reload
	s_waitcnt vmcnt(1)
	ds_store_2addr_b64 v252, v[192:193], v[194:195] offset0:98 offset1:99
	s_waitcnt vmcnt(0)
	scratch_load_b128 v[192:195], v0, off
	scratch_load_b32 v0, off, off offset:1044 ; 4-byte Folded Reload
	s_waitcnt vmcnt(1)
	ds_store_2addr_b64 v252, v[192:193], v[194:195] offset0:100 offset1:101
	;; [unrolled: 5-line block ×11, first 2 shown]
	s_waitcnt vmcnt(0)
	scratch_load_b128 v[192:195], v0, off
	s_waitcnt vmcnt(0)
	ds_store_2addr_b64 v252, v[192:193], v[194:195] offset0:120 offset1:121
	scratch_load_b128 v[192:195], v3, off
	s_waitcnt vmcnt(0)
	ds_store_2addr_b64 v252, v[192:193], v[194:195] offset0:122 offset1:123
	;; [unrolled: 3-line block ×3, first 2 shown]
	ds_load_2addr_b64 v[192:195], v254 offset1:1
	s_waitcnt lgkmcnt(0)
	v_cmp_neq_f64_e32 vcc_lo, 0, v[192:193]
	v_cmp_neq_f64_e64 s3, 0, v[194:195]
	s_delay_alu instid0(VALU_DEP_1) | instskip(NEXT) | instid1(SALU_CYCLE_1)
	s_or_b32 s3, vcc_lo, s3
	s_and_b32 exec_lo, exec_lo, s3
	s_cbranch_execz .LBB125_573
; %bb.568:
	v_cmp_gt_f64_e32 vcc_lo, 0, v[192:193]
	v_xor_b32_e32 v0, 0x80000000, v193
	v_xor_b32_e32 v4, 0x80000000, v195
	s_delay_alu instid0(VALU_DEP_2) | instskip(SKIP_2) | instid1(VALU_DEP_4)
	v_cndmask_b32_e32 v1, v193, v0, vcc_lo
	v_cndmask_b32_e32 v0, v192, v192, vcc_lo
	v_cmp_gt_f64_e32 vcc_lo, 0, v[194:195]
	v_dual_cndmask_b32 v5, v195, v4 :: v_dual_cndmask_b32 v4, v194, v194
	s_delay_alu instid0(VALU_DEP_1) | instskip(SKIP_1) | instid1(SALU_CYCLE_1)
	v_cmp_ngt_f64_e32 vcc_lo, v[0:1], v[4:5]
                                        ; implicit-def: $vgpr0_vgpr1
	s_and_saveexec_b32 s3, vcc_lo
	s_xor_b32 s3, exec_lo, s3
                                        ; implicit-def: $vgpr196_vgpr197_vgpr198_vgpr199
	s_cbranch_execz .LBB125_570
; %bb.569:
	v_div_scale_f64 v[0:1], null, v[194:195], v[194:195], v[192:193]
	v_div_scale_f64 v[196:197], vcc_lo, v[192:193], v[194:195], v[192:193]
	s_delay_alu instid0(VALU_DEP_2) | instskip(SKIP_2) | instid1(VALU_DEP_1)
	v_rcp_f64_e32 v[4:5], v[0:1]
	s_waitcnt_depctr 0xfff
	v_fma_f64 v[6:7], -v[0:1], v[4:5], 1.0
	v_fma_f64 v[4:5], v[4:5], v[6:7], v[4:5]
	s_delay_alu instid0(VALU_DEP_1) | instskip(NEXT) | instid1(VALU_DEP_1)
	v_fma_f64 v[6:7], -v[0:1], v[4:5], 1.0
	v_fma_f64 v[4:5], v[4:5], v[6:7], v[4:5]
	s_delay_alu instid0(VALU_DEP_1) | instskip(NEXT) | instid1(VALU_DEP_1)
	v_mul_f64 v[6:7], v[196:197], v[4:5]
	v_fma_f64 v[0:1], -v[0:1], v[6:7], v[196:197]
	s_delay_alu instid0(VALU_DEP_1) | instskip(NEXT) | instid1(VALU_DEP_1)
	v_div_fmas_f64 v[0:1], v[0:1], v[4:5], v[6:7]
	v_div_fixup_f64 v[0:1], v[0:1], v[194:195], v[192:193]
	s_delay_alu instid0(VALU_DEP_1) | instskip(NEXT) | instid1(VALU_DEP_1)
	v_fma_f64 v[4:5], v[192:193], v[0:1], v[194:195]
	v_div_scale_f64 v[6:7], null, v[4:5], v[4:5], 1.0
	s_delay_alu instid0(VALU_DEP_1) | instskip(SKIP_2) | instid1(VALU_DEP_1)
	v_rcp_f64_e32 v[192:193], v[6:7]
	s_waitcnt_depctr 0xfff
	v_fma_f64 v[194:195], -v[6:7], v[192:193], 1.0
	v_fma_f64 v[192:193], v[192:193], v[194:195], v[192:193]
	s_delay_alu instid0(VALU_DEP_1) | instskip(NEXT) | instid1(VALU_DEP_1)
	v_fma_f64 v[194:195], -v[6:7], v[192:193], 1.0
	v_fma_f64 v[192:193], v[192:193], v[194:195], v[192:193]
	v_div_scale_f64 v[194:195], vcc_lo, 1.0, v[4:5], 1.0
	s_delay_alu instid0(VALU_DEP_1) | instskip(NEXT) | instid1(VALU_DEP_1)
	v_mul_f64 v[196:197], v[194:195], v[192:193]
	v_fma_f64 v[6:7], -v[6:7], v[196:197], v[194:195]
	s_delay_alu instid0(VALU_DEP_1) | instskip(NEXT) | instid1(VALU_DEP_1)
	v_div_fmas_f64 v[6:7], v[6:7], v[192:193], v[196:197]
                                        ; implicit-def: $vgpr192_vgpr193
	v_div_fixup_f64 v[198:199], v[6:7], v[4:5], 1.0
	s_delay_alu instid0(VALU_DEP_1)
	v_mul_f64 v[0:1], v[0:1], v[198:199]
	v_xor_b32_e32 v199, 0x80000000, v199
.LBB125_570:
	s_and_not1_saveexec_b32 s3, s3
	s_cbranch_execz .LBB125_572
; %bb.571:
	v_div_scale_f64 v[0:1], null, v[192:193], v[192:193], v[194:195]
	v_div_scale_f64 v[196:197], vcc_lo, v[194:195], v[192:193], v[194:195]
	s_delay_alu instid0(VALU_DEP_2) | instskip(SKIP_2) | instid1(VALU_DEP_1)
	v_rcp_f64_e32 v[4:5], v[0:1]
	s_waitcnt_depctr 0xfff
	v_fma_f64 v[6:7], -v[0:1], v[4:5], 1.0
	v_fma_f64 v[4:5], v[4:5], v[6:7], v[4:5]
	s_delay_alu instid0(VALU_DEP_1) | instskip(NEXT) | instid1(VALU_DEP_1)
	v_fma_f64 v[6:7], -v[0:1], v[4:5], 1.0
	v_fma_f64 v[4:5], v[4:5], v[6:7], v[4:5]
	s_delay_alu instid0(VALU_DEP_1) | instskip(NEXT) | instid1(VALU_DEP_1)
	v_mul_f64 v[6:7], v[196:197], v[4:5]
	v_fma_f64 v[0:1], -v[0:1], v[6:7], v[196:197]
	s_delay_alu instid0(VALU_DEP_1) | instskip(NEXT) | instid1(VALU_DEP_1)
	v_div_fmas_f64 v[0:1], v[0:1], v[4:5], v[6:7]
	v_div_fixup_f64 v[4:5], v[0:1], v[192:193], v[194:195]
	s_delay_alu instid0(VALU_DEP_1) | instskip(NEXT) | instid1(VALU_DEP_1)
	v_fma_f64 v[0:1], v[194:195], v[4:5], v[192:193]
	v_div_scale_f64 v[6:7], null, v[0:1], v[0:1], 1.0
	s_delay_alu instid0(VALU_DEP_1) | instskip(SKIP_2) | instid1(VALU_DEP_1)
	v_rcp_f64_e32 v[192:193], v[6:7]
	s_waitcnt_depctr 0xfff
	v_fma_f64 v[194:195], -v[6:7], v[192:193], 1.0
	v_fma_f64 v[192:193], v[192:193], v[194:195], v[192:193]
	s_delay_alu instid0(VALU_DEP_1) | instskip(NEXT) | instid1(VALU_DEP_1)
	v_fma_f64 v[194:195], -v[6:7], v[192:193], 1.0
	v_fma_f64 v[192:193], v[192:193], v[194:195], v[192:193]
	v_div_scale_f64 v[194:195], vcc_lo, 1.0, v[0:1], 1.0
	s_delay_alu instid0(VALU_DEP_1) | instskip(NEXT) | instid1(VALU_DEP_1)
	v_mul_f64 v[196:197], v[194:195], v[192:193]
	v_fma_f64 v[6:7], -v[6:7], v[196:197], v[194:195]
	s_delay_alu instid0(VALU_DEP_1) | instskip(NEXT) | instid1(VALU_DEP_1)
	v_div_fmas_f64 v[6:7], v[6:7], v[192:193], v[196:197]
	v_div_fixup_f64 v[0:1], v[6:7], v[0:1], 1.0
	s_delay_alu instid0(VALU_DEP_1)
	v_mul_f64 v[198:199], v[4:5], -v[0:1]
.LBB125_572:
	s_or_b32 exec_lo, exec_lo, s3
	ds_store_2addr_b64 v254, v[0:1], v[198:199] offset1:1
.LBB125_573:
	s_or_b32 exec_lo, exec_lo, s4
	s_waitcnt lgkmcnt(0)
	s_barrier
	buffer_gl0_inv
	ds_load_2addr_b64 v[192:195], v254 offset1:1
	s_mov_b32 s3, exec_lo
	v_cmpx_lt_u32_e32 48, v253
	s_cbranch_execz .LBB125_575
; %bb.574:
	scratch_load_b128 v[196:199], off, off offset:768
	s_waitcnt vmcnt(0) lgkmcnt(0)
	v_mul_f64 v[0:1], v[194:195], v[198:199]
	s_delay_alu instid0(VALU_DEP_1) | instskip(SKIP_1) | instid1(VALU_DEP_1)
	v_fma_f64 v[200:201], v[192:193], v[196:197], -v[0:1]
	v_mul_f64 v[0:1], v[192:193], v[198:199]
	v_fma_f64 v[202:203], v[194:195], v[196:197], v[0:1]
	ds_load_2addr_b64 v[196:199], v252 offset0:98 offset1:99
	s_waitcnt lgkmcnt(0)
	v_mul_f64 v[0:1], v[198:199], v[202:203]
	v_mul_f64 v[4:5], v[196:197], v[202:203]
	s_delay_alu instid0(VALU_DEP_2) | instskip(NEXT) | instid1(VALU_DEP_2)
	v_fma_f64 v[0:1], v[196:197], v[200:201], -v[0:1]
	v_fma_f64 v[4:5], v[198:199], v[200:201], v[4:5]
	scratch_load_b128 v[196:199], off, off offset:784
	s_waitcnt vmcnt(0)
	v_add_f64 v[196:197], v[196:197], -v[0:1]
	v_add_f64 v[198:199], v[198:199], -v[4:5]
	s_clause 0x1
	scratch_store_b128 off, v[200:203], off offset:768
	scratch_store_b128 off, v[196:199], off offset:784
	ds_load_2addr_b64 v[196:199], v252 offset0:100 offset1:101
	s_waitcnt lgkmcnt(0)
	v_mul_f64 v[0:1], v[198:199], v[202:203]
	v_mul_f64 v[4:5], v[196:197], v[202:203]
	s_delay_alu instid0(VALU_DEP_2) | instskip(NEXT) | instid1(VALU_DEP_2)
	v_fma_f64 v[0:1], v[196:197], v[200:201], -v[0:1]
	v_fma_f64 v[4:5], v[198:199], v[200:201], v[4:5]
	scratch_load_b128 v[196:199], off, off offset:800
	s_waitcnt vmcnt(0)
	v_add_f64 v[196:197], v[196:197], -v[0:1]
	v_add_f64 v[198:199], v[198:199], -v[4:5]
	scratch_store_b128 off, v[196:199], off offset:800
	ds_load_2addr_b64 v[196:199], v252 offset0:102 offset1:103
	s_waitcnt lgkmcnt(0)
	v_mul_f64 v[0:1], v[198:199], v[202:203]
	v_mul_f64 v[4:5], v[196:197], v[202:203]
	s_delay_alu instid0(VALU_DEP_2) | instskip(NEXT) | instid1(VALU_DEP_2)
	v_fma_f64 v[0:1], v[196:197], v[200:201], -v[0:1]
	v_fma_f64 v[4:5], v[198:199], v[200:201], v[4:5]
	scratch_load_b128 v[196:199], off, off offset:816
	s_waitcnt vmcnt(0)
	v_add_f64 v[196:197], v[196:197], -v[0:1]
	v_add_f64 v[198:199], v[198:199], -v[4:5]
	;; [unrolled: 12-line block ×4, first 2 shown]
	scratch_store_b128 off, v[196:199], off offset:848
	ds_load_2addr_b64 v[196:199], v252 offset0:108 offset1:109
	s_waitcnt lgkmcnt(0)
	v_mul_f64 v[0:1], v[198:199], v[202:203]
	v_mul_f64 v[4:5], v[196:197], v[202:203]
	s_delay_alu instid0(VALU_DEP_2) | instskip(NEXT) | instid1(VALU_DEP_2)
	v_fma_f64 v[0:1], v[196:197], v[200:201], -v[0:1]
	v_fma_f64 v[4:5], v[198:199], v[200:201], v[4:5]
	scratch_load_b128 v[196:199], off, off offset:864
	ds_load_2addr_b64 v[200:203], v252 offset0:110 offset1:111
	s_waitcnt vmcnt(0)
	v_add_f64 v[196:197], v[196:197], -v[0:1]
	v_add_f64 v[198:199], v[198:199], -v[4:5]
	scratch_store_b128 off, v[196:199], off offset:864
	s_clause 0x1
	scratch_load_b64 v[0:1], off, off offset:768
	scratch_load_b128 v[196:199], off, off offset:768
	s_waitcnt vmcnt(0) lgkmcnt(0)
	v_mul_f64 v[4:5], v[202:203], v[198:199]
	v_mul_f64 v[6:7], v[200:201], v[198:199]
	s_delay_alu instid0(VALU_DEP_2) | instskip(NEXT) | instid1(VALU_DEP_2)
	v_fma_f64 v[4:5], v[200:201], v[0:1], -v[4:5]
	v_fma_f64 v[6:7], v[202:203], v[0:1], v[6:7]
	scratch_load_b128 v[200:203], off, off offset:880
	s_waitcnt vmcnt(0)
	v_add_f64 v[200:201], v[200:201], -v[4:5]
	v_add_f64 v[202:203], v[202:203], -v[6:7]
	scratch_store_b128 off, v[200:203], off offset:880
	ds_load_2addr_b64 v[200:203], v252 offset0:112 offset1:113
	s_waitcnt lgkmcnt(0)
	v_mul_f64 v[4:5], v[202:203], v[198:199]
	v_mul_f64 v[6:7], v[200:201], v[198:199]
	s_delay_alu instid0(VALU_DEP_2) | instskip(NEXT) | instid1(VALU_DEP_2)
	v_fma_f64 v[4:5], v[200:201], v[0:1], -v[4:5]
	v_fma_f64 v[6:7], v[202:203], v[0:1], v[6:7]
	scratch_load_b128 v[200:203], off, off offset:896
	s_waitcnt vmcnt(0)
	v_add_f64 v[200:201], v[200:201], -v[4:5]
	v_add_f64 v[202:203], v[202:203], -v[6:7]
	scratch_store_b128 off, v[200:203], off offset:896
	ds_load_2addr_b64 v[200:203], v252 offset0:114 offset1:115
	s_waitcnt lgkmcnt(0)
	;; [unrolled: 12-line block ×5, first 2 shown]
	v_mul_f64 v[4:5], v[202:203], v[198:199]
	v_mul_f64 v[6:7], v[200:201], v[198:199]
	s_delay_alu instid0(VALU_DEP_2) | instskip(SKIP_3) | instid1(VALU_DEP_1)
	v_fma_f64 v[4:5], v[200:201], v[0:1], -v[4:5]
	scratch_load_b128 v[198:201], off, off offset:960
	v_fma_f64 v[0:1], v[202:203], v[0:1], v[6:7]
	s_waitcnt vmcnt(0)
	v_add_f64 v[200:201], v[200:201], -v[0:1]
	scratch_load_b64 v[0:1], off, off offset:776
	v_add_f64 v[198:199], v[198:199], -v[4:5]
	scratch_store_b128 off, v[198:201], off offset:960
	ds_load_2addr_b64 v[198:201], v252 offset0:122 offset1:123
	s_waitcnt vmcnt(0) lgkmcnt(0)
	v_mul_f64 v[4:5], v[200:201], v[0:1]
	v_mul_f64 v[6:7], v[198:199], v[0:1]
	s_delay_alu instid0(VALU_DEP_2) | instskip(NEXT) | instid1(VALU_DEP_2)
	v_fma_f64 v[4:5], v[198:199], v[196:197], -v[4:5]
	v_fma_f64 v[6:7], v[200:201], v[196:197], v[6:7]
	scratch_load_b128 v[198:201], off, off offset:976
	s_waitcnt vmcnt(0)
	v_add_f64 v[198:199], v[198:199], -v[4:5]
	v_add_f64 v[200:201], v[200:201], -v[6:7]
	scratch_store_b128 off, v[198:201], off offset:976
	ds_load_2addr_b64 v[198:201], v252 offset0:124 offset1:125
	s_waitcnt lgkmcnt(0)
	v_mul_f64 v[4:5], v[200:201], v[0:1]
	v_mul_f64 v[0:1], v[198:199], v[0:1]
	s_delay_alu instid0(VALU_DEP_2) | instskip(NEXT) | instid1(VALU_DEP_2)
	v_fma_f64 v[4:5], v[198:199], v[196:197], -v[4:5]
	v_fma_f64 v[0:1], v[200:201], v[196:197], v[0:1]
	scratch_load_b128 v[196:199], off, off offset:992
	s_waitcnt vmcnt(0)
	v_add_f64 v[196:197], v[196:197], -v[4:5]
	v_add_f64 v[198:199], v[198:199], -v[0:1]
	scratch_store_b128 off, v[196:199], off offset:992
.LBB125_575:
	s_or_b32 exec_lo, exec_lo, s3
	s_delay_alu instid0(SALU_CYCLE_1)
	s_mov_b32 s4, exec_lo
	s_waitcnt lgkmcnt(0)
	s_waitcnt_vscnt null, 0x0
	s_barrier
	buffer_gl0_inv
	v_cmpx_eq_u32_e32 49, v253
	s_cbranch_execz .LBB125_582
; %bb.576:
	scratch_load_b32 v0, off, off offset:1052 ; 4-byte Folded Reload
	s_waitcnt vmcnt(0)
	scratch_load_b128 v[196:199], v0, off
	scratch_load_b32 v0, off, off offset:1048 ; 4-byte Folded Reload
	s_waitcnt vmcnt(1)
	ds_store_2addr_b64 v254, v[196:197], v[198:199] offset1:1
	s_waitcnt vmcnt(0)
	scratch_load_b128 v[196:199], v0, off
	scratch_load_b32 v0, off, off offset:1044 ; 4-byte Folded Reload
	s_waitcnt vmcnt(1)
	ds_store_2addr_b64 v252, v[196:197], v[198:199] offset0:100 offset1:101
	s_waitcnt vmcnt(0)
	scratch_load_b128 v[196:199], v0, off
	scratch_load_b32 v0, off, off offset:1040 ; 4-byte Folded Reload
	s_waitcnt vmcnt(1)
	ds_store_2addr_b64 v252, v[196:197], v[198:199] offset0:102 offset1:103
	;; [unrolled: 5-line block ×10, first 2 shown]
	s_waitcnt vmcnt(0)
	scratch_load_b128 v[196:199], v0, off
	s_waitcnt vmcnt(0)
	ds_store_2addr_b64 v252, v[196:197], v[198:199] offset0:120 offset1:121
	scratch_load_b128 v[196:199], v3, off
	s_waitcnt vmcnt(0)
	ds_store_2addr_b64 v252, v[196:197], v[198:199] offset0:122 offset1:123
	scratch_load_b128 v[196:199], v2, off
	s_waitcnt vmcnt(0)
	ds_store_2addr_b64 v252, v[196:197], v[198:199] offset0:124 offset1:125
	ds_load_2addr_b64 v[196:199], v254 offset1:1
	s_waitcnt lgkmcnt(0)
	v_cmp_neq_f64_e32 vcc_lo, 0, v[196:197]
	v_cmp_neq_f64_e64 s3, 0, v[198:199]
	s_delay_alu instid0(VALU_DEP_1) | instskip(NEXT) | instid1(SALU_CYCLE_1)
	s_or_b32 s3, vcc_lo, s3
	s_and_b32 exec_lo, exec_lo, s3
	s_cbranch_execz .LBB125_582
; %bb.577:
	v_cmp_gt_f64_e32 vcc_lo, 0, v[196:197]
	v_xor_b32_e32 v0, 0x80000000, v197
	v_xor_b32_e32 v4, 0x80000000, v199
	s_delay_alu instid0(VALU_DEP_2) | instskip(SKIP_2) | instid1(VALU_DEP_4)
	v_cndmask_b32_e32 v1, v197, v0, vcc_lo
	v_cndmask_b32_e32 v0, v196, v196, vcc_lo
	v_cmp_gt_f64_e32 vcc_lo, 0, v[198:199]
	v_dual_cndmask_b32 v5, v199, v4 :: v_dual_cndmask_b32 v4, v198, v198
	s_delay_alu instid0(VALU_DEP_1) | instskip(SKIP_1) | instid1(SALU_CYCLE_1)
	v_cmp_ngt_f64_e32 vcc_lo, v[0:1], v[4:5]
                                        ; implicit-def: $vgpr0_vgpr1
	s_and_saveexec_b32 s3, vcc_lo
	s_xor_b32 s3, exec_lo, s3
                                        ; implicit-def: $vgpr200_vgpr201_vgpr202_vgpr203
	s_cbranch_execz .LBB125_579
; %bb.578:
	v_div_scale_f64 v[0:1], null, v[198:199], v[198:199], v[196:197]
	v_div_scale_f64 v[200:201], vcc_lo, v[196:197], v[198:199], v[196:197]
	s_delay_alu instid0(VALU_DEP_2) | instskip(SKIP_2) | instid1(VALU_DEP_1)
	v_rcp_f64_e32 v[4:5], v[0:1]
	s_waitcnt_depctr 0xfff
	v_fma_f64 v[6:7], -v[0:1], v[4:5], 1.0
	v_fma_f64 v[4:5], v[4:5], v[6:7], v[4:5]
	s_delay_alu instid0(VALU_DEP_1) | instskip(NEXT) | instid1(VALU_DEP_1)
	v_fma_f64 v[6:7], -v[0:1], v[4:5], 1.0
	v_fma_f64 v[4:5], v[4:5], v[6:7], v[4:5]
	s_delay_alu instid0(VALU_DEP_1) | instskip(NEXT) | instid1(VALU_DEP_1)
	v_mul_f64 v[6:7], v[200:201], v[4:5]
	v_fma_f64 v[0:1], -v[0:1], v[6:7], v[200:201]
	s_delay_alu instid0(VALU_DEP_1) | instskip(NEXT) | instid1(VALU_DEP_1)
	v_div_fmas_f64 v[0:1], v[0:1], v[4:5], v[6:7]
	v_div_fixup_f64 v[0:1], v[0:1], v[198:199], v[196:197]
	s_delay_alu instid0(VALU_DEP_1) | instskip(NEXT) | instid1(VALU_DEP_1)
	v_fma_f64 v[4:5], v[196:197], v[0:1], v[198:199]
	v_div_scale_f64 v[6:7], null, v[4:5], v[4:5], 1.0
	s_delay_alu instid0(VALU_DEP_1) | instskip(SKIP_2) | instid1(VALU_DEP_1)
	v_rcp_f64_e32 v[196:197], v[6:7]
	s_waitcnt_depctr 0xfff
	v_fma_f64 v[198:199], -v[6:7], v[196:197], 1.0
	v_fma_f64 v[196:197], v[196:197], v[198:199], v[196:197]
	s_delay_alu instid0(VALU_DEP_1) | instskip(NEXT) | instid1(VALU_DEP_1)
	v_fma_f64 v[198:199], -v[6:7], v[196:197], 1.0
	v_fma_f64 v[196:197], v[196:197], v[198:199], v[196:197]
	v_div_scale_f64 v[198:199], vcc_lo, 1.0, v[4:5], 1.0
	s_delay_alu instid0(VALU_DEP_1) | instskip(NEXT) | instid1(VALU_DEP_1)
	v_mul_f64 v[200:201], v[198:199], v[196:197]
	v_fma_f64 v[6:7], -v[6:7], v[200:201], v[198:199]
	s_delay_alu instid0(VALU_DEP_1) | instskip(NEXT) | instid1(VALU_DEP_1)
	v_div_fmas_f64 v[6:7], v[6:7], v[196:197], v[200:201]
                                        ; implicit-def: $vgpr196_vgpr197
	v_div_fixup_f64 v[202:203], v[6:7], v[4:5], 1.0
	s_delay_alu instid0(VALU_DEP_1)
	v_mul_f64 v[0:1], v[0:1], v[202:203]
	v_xor_b32_e32 v203, 0x80000000, v203
.LBB125_579:
	s_and_not1_saveexec_b32 s3, s3
	s_cbranch_execz .LBB125_581
; %bb.580:
	v_div_scale_f64 v[0:1], null, v[196:197], v[196:197], v[198:199]
	v_div_scale_f64 v[200:201], vcc_lo, v[198:199], v[196:197], v[198:199]
	s_delay_alu instid0(VALU_DEP_2) | instskip(SKIP_2) | instid1(VALU_DEP_1)
	v_rcp_f64_e32 v[4:5], v[0:1]
	s_waitcnt_depctr 0xfff
	v_fma_f64 v[6:7], -v[0:1], v[4:5], 1.0
	v_fma_f64 v[4:5], v[4:5], v[6:7], v[4:5]
	s_delay_alu instid0(VALU_DEP_1) | instskip(NEXT) | instid1(VALU_DEP_1)
	v_fma_f64 v[6:7], -v[0:1], v[4:5], 1.0
	v_fma_f64 v[4:5], v[4:5], v[6:7], v[4:5]
	s_delay_alu instid0(VALU_DEP_1) | instskip(NEXT) | instid1(VALU_DEP_1)
	v_mul_f64 v[6:7], v[200:201], v[4:5]
	v_fma_f64 v[0:1], -v[0:1], v[6:7], v[200:201]
	s_delay_alu instid0(VALU_DEP_1) | instskip(NEXT) | instid1(VALU_DEP_1)
	v_div_fmas_f64 v[0:1], v[0:1], v[4:5], v[6:7]
	v_div_fixup_f64 v[4:5], v[0:1], v[196:197], v[198:199]
	s_delay_alu instid0(VALU_DEP_1) | instskip(NEXT) | instid1(VALU_DEP_1)
	v_fma_f64 v[0:1], v[198:199], v[4:5], v[196:197]
	v_div_scale_f64 v[6:7], null, v[0:1], v[0:1], 1.0
	s_delay_alu instid0(VALU_DEP_1) | instskip(SKIP_2) | instid1(VALU_DEP_1)
	v_rcp_f64_e32 v[196:197], v[6:7]
	s_waitcnt_depctr 0xfff
	v_fma_f64 v[198:199], -v[6:7], v[196:197], 1.0
	v_fma_f64 v[196:197], v[196:197], v[198:199], v[196:197]
	s_delay_alu instid0(VALU_DEP_1) | instskip(NEXT) | instid1(VALU_DEP_1)
	v_fma_f64 v[198:199], -v[6:7], v[196:197], 1.0
	v_fma_f64 v[196:197], v[196:197], v[198:199], v[196:197]
	v_div_scale_f64 v[198:199], vcc_lo, 1.0, v[0:1], 1.0
	s_delay_alu instid0(VALU_DEP_1) | instskip(NEXT) | instid1(VALU_DEP_1)
	v_mul_f64 v[200:201], v[198:199], v[196:197]
	v_fma_f64 v[6:7], -v[6:7], v[200:201], v[198:199]
	s_delay_alu instid0(VALU_DEP_1) | instskip(NEXT) | instid1(VALU_DEP_1)
	v_div_fmas_f64 v[6:7], v[6:7], v[196:197], v[200:201]
	v_div_fixup_f64 v[0:1], v[6:7], v[0:1], 1.0
	s_delay_alu instid0(VALU_DEP_1)
	v_mul_f64 v[202:203], v[4:5], -v[0:1]
.LBB125_581:
	s_or_b32 exec_lo, exec_lo, s3
	ds_store_2addr_b64 v254, v[0:1], v[202:203] offset1:1
.LBB125_582:
	s_or_b32 exec_lo, exec_lo, s4
	s_waitcnt lgkmcnt(0)
	s_barrier
	buffer_gl0_inv
	ds_load_2addr_b64 v[196:199], v254 offset1:1
	s_mov_b32 s3, exec_lo
	v_cmpx_lt_u32_e32 49, v253
	s_cbranch_execz .LBB125_584
; %bb.583:
	scratch_load_b128 v[200:203], off, off offset:784
	s_waitcnt vmcnt(0) lgkmcnt(0)
	v_mul_f64 v[0:1], v[198:199], v[202:203]
	s_delay_alu instid0(VALU_DEP_1) | instskip(SKIP_1) | instid1(VALU_DEP_1)
	v_fma_f64 v[204:205], v[196:197], v[200:201], -v[0:1]
	v_mul_f64 v[0:1], v[196:197], v[202:203]
	v_fma_f64 v[206:207], v[198:199], v[200:201], v[0:1]
	ds_load_2addr_b64 v[200:203], v252 offset0:100 offset1:101
	s_waitcnt lgkmcnt(0)
	v_mul_f64 v[0:1], v[202:203], v[206:207]
	v_mul_f64 v[4:5], v[200:201], v[206:207]
	s_delay_alu instid0(VALU_DEP_2) | instskip(NEXT) | instid1(VALU_DEP_2)
	v_fma_f64 v[0:1], v[200:201], v[204:205], -v[0:1]
	v_fma_f64 v[4:5], v[202:203], v[204:205], v[4:5]
	scratch_load_b128 v[200:203], off, off offset:800
	s_waitcnt vmcnt(0)
	v_add_f64 v[200:201], v[200:201], -v[0:1]
	v_add_f64 v[202:203], v[202:203], -v[4:5]
	s_clause 0x1
	scratch_store_b128 off, v[204:207], off offset:784
	scratch_store_b128 off, v[200:203], off offset:800
	ds_load_2addr_b64 v[200:203], v252 offset0:102 offset1:103
	s_waitcnt lgkmcnt(0)
	v_mul_f64 v[0:1], v[202:203], v[206:207]
	v_mul_f64 v[4:5], v[200:201], v[206:207]
	s_delay_alu instid0(VALU_DEP_2) | instskip(NEXT) | instid1(VALU_DEP_2)
	v_fma_f64 v[0:1], v[200:201], v[204:205], -v[0:1]
	v_fma_f64 v[4:5], v[202:203], v[204:205], v[4:5]
	scratch_load_b128 v[200:203], off, off offset:816
	s_waitcnt vmcnt(0)
	v_add_f64 v[200:201], v[200:201], -v[0:1]
	v_add_f64 v[202:203], v[202:203], -v[4:5]
	scratch_store_b128 off, v[200:203], off offset:816
	ds_load_2addr_b64 v[200:203], v252 offset0:104 offset1:105
	s_waitcnt lgkmcnt(0)
	v_mul_f64 v[0:1], v[202:203], v[206:207]
	v_mul_f64 v[4:5], v[200:201], v[206:207]
	s_delay_alu instid0(VALU_DEP_2) | instskip(NEXT) | instid1(VALU_DEP_2)
	v_fma_f64 v[0:1], v[200:201], v[204:205], -v[0:1]
	v_fma_f64 v[4:5], v[202:203], v[204:205], v[4:5]
	scratch_load_b128 v[200:203], off, off offset:832
	s_waitcnt vmcnt(0)
	v_add_f64 v[200:201], v[200:201], -v[0:1]
	v_add_f64 v[202:203], v[202:203], -v[4:5]
	;; [unrolled: 12-line block ×5, first 2 shown]
	scratch_store_b128 off, v[200:203], off offset:880
	ds_load_2addr_b64 v[200:203], v252 offset0:112 offset1:113
	s_clause 0x1
	scratch_load_b64 v[0:1], off, off offset:784
	scratch_load_b128 v[204:207], off, off offset:784
	s_waitcnt vmcnt(0) lgkmcnt(0)
	v_mul_f64 v[4:5], v[202:203], v[206:207]
	v_mul_f64 v[6:7], v[200:201], v[206:207]
	s_delay_alu instid0(VALU_DEP_2) | instskip(NEXT) | instid1(VALU_DEP_2)
	v_fma_f64 v[4:5], v[200:201], v[0:1], -v[4:5]
	v_fma_f64 v[6:7], v[202:203], v[0:1], v[6:7]
	scratch_load_b128 v[200:203], off, off offset:896
	s_waitcnt vmcnt(0)
	v_add_f64 v[200:201], v[200:201], -v[4:5]
	v_add_f64 v[202:203], v[202:203], -v[6:7]
	scratch_store_b128 off, v[200:203], off offset:896
	ds_load_2addr_b64 v[200:203], v252 offset0:114 offset1:115
	s_waitcnt lgkmcnt(0)
	v_mul_f64 v[4:5], v[202:203], v[206:207]
	v_mul_f64 v[6:7], v[200:201], v[206:207]
	s_delay_alu instid0(VALU_DEP_2) | instskip(NEXT) | instid1(VALU_DEP_2)
	v_fma_f64 v[4:5], v[200:201], v[0:1], -v[4:5]
	v_fma_f64 v[6:7], v[202:203], v[0:1], v[6:7]
	scratch_load_b128 v[200:203], off, off offset:912
	s_waitcnt vmcnt(0)
	v_add_f64 v[200:201], v[200:201], -v[4:5]
	v_add_f64 v[202:203], v[202:203], -v[6:7]
	scratch_store_b128 off, v[200:203], off offset:912
	ds_load_2addr_b64 v[200:203], v252 offset0:116 offset1:117
	s_waitcnt lgkmcnt(0)
	;; [unrolled: 12-line block ×5, first 2 shown]
	v_mul_f64 v[4:5], v[202:203], v[206:207]
	v_mul_f64 v[6:7], v[200:201], v[206:207]
	s_delay_alu instid0(VALU_DEP_2) | instskip(NEXT) | instid1(VALU_DEP_2)
	v_fma_f64 v[4:5], v[200:201], v[0:1], -v[4:5]
	v_fma_f64 v[0:1], v[202:203], v[0:1], v[6:7]
	scratch_load_b128 v[200:203], off, off offset:976
	s_waitcnt vmcnt(0)
	v_add_f64 v[202:203], v[202:203], -v[0:1]
	scratch_load_b64 v[0:1], off, off offset:792
	v_add_f64 v[200:201], v[200:201], -v[4:5]
	scratch_store_b128 off, v[200:203], off offset:976
	ds_load_2addr_b64 v[200:203], v252 offset0:124 offset1:125
	s_waitcnt vmcnt(0) lgkmcnt(0)
	v_mul_f64 v[4:5], v[202:203], v[0:1]
	v_mul_f64 v[0:1], v[200:201], v[0:1]
	s_delay_alu instid0(VALU_DEP_2) | instskip(NEXT) | instid1(VALU_DEP_2)
	v_fma_f64 v[4:5], v[200:201], v[204:205], -v[4:5]
	v_fma_f64 v[0:1], v[202:203], v[204:205], v[0:1]
	scratch_load_b128 v[200:203], off, off offset:992
	s_waitcnt vmcnt(0)
	v_add_f64 v[200:201], v[200:201], -v[4:5]
	v_add_f64 v[202:203], v[202:203], -v[0:1]
	scratch_store_b128 off, v[200:203], off offset:992
.LBB125_584:
	s_or_b32 exec_lo, exec_lo, s3
	s_delay_alu instid0(SALU_CYCLE_1)
	s_mov_b32 s4, exec_lo
	s_waitcnt lgkmcnt(0)
	s_waitcnt_vscnt null, 0x0
	s_barrier
	buffer_gl0_inv
	v_cmpx_eq_u32_e32 50, v253
	s_cbranch_execz .LBB125_591
; %bb.585:
	scratch_load_b32 v0, off, off offset:1048 ; 4-byte Folded Reload
	s_waitcnt vmcnt(0)
	scratch_load_b128 v[200:203], v0, off
	scratch_load_b32 v0, off, off offset:1044 ; 4-byte Folded Reload
	s_waitcnt vmcnt(1)
	ds_store_2addr_b64 v254, v[200:201], v[202:203] offset1:1
	s_waitcnt vmcnt(0)
	scratch_load_b128 v[200:203], v0, off
	scratch_load_b32 v0, off, off offset:1040 ; 4-byte Folded Reload
	s_waitcnt vmcnt(1)
	ds_store_2addr_b64 v252, v[200:201], v[202:203] offset0:102 offset1:103
	s_waitcnt vmcnt(0)
	scratch_load_b128 v[200:203], v0, off
	scratch_load_b32 v0, off, off offset:1036 ; 4-byte Folded Reload
	s_waitcnt vmcnt(1)
	ds_store_2addr_b64 v252, v[200:201], v[202:203] offset0:104 offset1:105
	;; [unrolled: 5-line block ×9, first 2 shown]
	s_waitcnt vmcnt(0)
	scratch_load_b128 v[200:203], v0, off
	s_waitcnt vmcnt(0)
	ds_store_2addr_b64 v252, v[200:201], v[202:203] offset0:120 offset1:121
	scratch_load_b128 v[200:203], v3, off
	s_waitcnt vmcnt(0)
	ds_store_2addr_b64 v252, v[200:201], v[202:203] offset0:122 offset1:123
	;; [unrolled: 3-line block ×3, first 2 shown]
	ds_load_2addr_b64 v[200:203], v254 offset1:1
	s_waitcnt lgkmcnt(0)
	v_cmp_neq_f64_e32 vcc_lo, 0, v[200:201]
	v_cmp_neq_f64_e64 s3, 0, v[202:203]
	s_delay_alu instid0(VALU_DEP_1) | instskip(NEXT) | instid1(SALU_CYCLE_1)
	s_or_b32 s3, vcc_lo, s3
	s_and_b32 exec_lo, exec_lo, s3
	s_cbranch_execz .LBB125_591
; %bb.586:
	v_cmp_gt_f64_e32 vcc_lo, 0, v[200:201]
	v_xor_b32_e32 v0, 0x80000000, v201
	v_xor_b32_e32 v4, 0x80000000, v203
	s_delay_alu instid0(VALU_DEP_2) | instskip(SKIP_2) | instid1(VALU_DEP_4)
	v_cndmask_b32_e32 v1, v201, v0, vcc_lo
	v_cndmask_b32_e32 v0, v200, v200, vcc_lo
	v_cmp_gt_f64_e32 vcc_lo, 0, v[202:203]
	v_dual_cndmask_b32 v5, v203, v4 :: v_dual_cndmask_b32 v4, v202, v202
	s_delay_alu instid0(VALU_DEP_1) | instskip(SKIP_1) | instid1(SALU_CYCLE_1)
	v_cmp_ngt_f64_e32 vcc_lo, v[0:1], v[4:5]
                                        ; implicit-def: $vgpr0_vgpr1
	s_and_saveexec_b32 s3, vcc_lo
	s_xor_b32 s3, exec_lo, s3
                                        ; implicit-def: $vgpr204_vgpr205_vgpr206_vgpr207
	s_cbranch_execz .LBB125_588
; %bb.587:
	v_div_scale_f64 v[0:1], null, v[202:203], v[202:203], v[200:201]
	v_div_scale_f64 v[204:205], vcc_lo, v[200:201], v[202:203], v[200:201]
	s_delay_alu instid0(VALU_DEP_2) | instskip(SKIP_2) | instid1(VALU_DEP_1)
	v_rcp_f64_e32 v[4:5], v[0:1]
	s_waitcnt_depctr 0xfff
	v_fma_f64 v[6:7], -v[0:1], v[4:5], 1.0
	v_fma_f64 v[4:5], v[4:5], v[6:7], v[4:5]
	s_delay_alu instid0(VALU_DEP_1) | instskip(NEXT) | instid1(VALU_DEP_1)
	v_fma_f64 v[6:7], -v[0:1], v[4:5], 1.0
	v_fma_f64 v[4:5], v[4:5], v[6:7], v[4:5]
	s_delay_alu instid0(VALU_DEP_1) | instskip(NEXT) | instid1(VALU_DEP_1)
	v_mul_f64 v[6:7], v[204:205], v[4:5]
	v_fma_f64 v[0:1], -v[0:1], v[6:7], v[204:205]
	s_delay_alu instid0(VALU_DEP_1) | instskip(NEXT) | instid1(VALU_DEP_1)
	v_div_fmas_f64 v[0:1], v[0:1], v[4:5], v[6:7]
	v_div_fixup_f64 v[0:1], v[0:1], v[202:203], v[200:201]
	s_delay_alu instid0(VALU_DEP_1) | instskip(NEXT) | instid1(VALU_DEP_1)
	v_fma_f64 v[4:5], v[200:201], v[0:1], v[202:203]
	v_div_scale_f64 v[6:7], null, v[4:5], v[4:5], 1.0
	s_delay_alu instid0(VALU_DEP_1) | instskip(SKIP_2) | instid1(VALU_DEP_1)
	v_rcp_f64_e32 v[200:201], v[6:7]
	s_waitcnt_depctr 0xfff
	v_fma_f64 v[202:203], -v[6:7], v[200:201], 1.0
	v_fma_f64 v[200:201], v[200:201], v[202:203], v[200:201]
	s_delay_alu instid0(VALU_DEP_1) | instskip(NEXT) | instid1(VALU_DEP_1)
	v_fma_f64 v[202:203], -v[6:7], v[200:201], 1.0
	v_fma_f64 v[200:201], v[200:201], v[202:203], v[200:201]
	v_div_scale_f64 v[202:203], vcc_lo, 1.0, v[4:5], 1.0
	s_delay_alu instid0(VALU_DEP_1) | instskip(NEXT) | instid1(VALU_DEP_1)
	v_mul_f64 v[204:205], v[202:203], v[200:201]
	v_fma_f64 v[6:7], -v[6:7], v[204:205], v[202:203]
	s_delay_alu instid0(VALU_DEP_1) | instskip(NEXT) | instid1(VALU_DEP_1)
	v_div_fmas_f64 v[6:7], v[6:7], v[200:201], v[204:205]
                                        ; implicit-def: $vgpr200_vgpr201
	v_div_fixup_f64 v[206:207], v[6:7], v[4:5], 1.0
	s_delay_alu instid0(VALU_DEP_1)
	v_mul_f64 v[0:1], v[0:1], v[206:207]
	v_xor_b32_e32 v207, 0x80000000, v207
.LBB125_588:
	s_and_not1_saveexec_b32 s3, s3
	s_cbranch_execz .LBB125_590
; %bb.589:
	v_div_scale_f64 v[0:1], null, v[200:201], v[200:201], v[202:203]
	v_div_scale_f64 v[204:205], vcc_lo, v[202:203], v[200:201], v[202:203]
	s_delay_alu instid0(VALU_DEP_2) | instskip(SKIP_2) | instid1(VALU_DEP_1)
	v_rcp_f64_e32 v[4:5], v[0:1]
	s_waitcnt_depctr 0xfff
	v_fma_f64 v[6:7], -v[0:1], v[4:5], 1.0
	v_fma_f64 v[4:5], v[4:5], v[6:7], v[4:5]
	s_delay_alu instid0(VALU_DEP_1) | instskip(NEXT) | instid1(VALU_DEP_1)
	v_fma_f64 v[6:7], -v[0:1], v[4:5], 1.0
	v_fma_f64 v[4:5], v[4:5], v[6:7], v[4:5]
	s_delay_alu instid0(VALU_DEP_1) | instskip(NEXT) | instid1(VALU_DEP_1)
	v_mul_f64 v[6:7], v[204:205], v[4:5]
	v_fma_f64 v[0:1], -v[0:1], v[6:7], v[204:205]
	s_delay_alu instid0(VALU_DEP_1) | instskip(NEXT) | instid1(VALU_DEP_1)
	v_div_fmas_f64 v[0:1], v[0:1], v[4:5], v[6:7]
	v_div_fixup_f64 v[4:5], v[0:1], v[200:201], v[202:203]
	s_delay_alu instid0(VALU_DEP_1) | instskip(NEXT) | instid1(VALU_DEP_1)
	v_fma_f64 v[0:1], v[202:203], v[4:5], v[200:201]
	v_div_scale_f64 v[6:7], null, v[0:1], v[0:1], 1.0
	s_delay_alu instid0(VALU_DEP_1) | instskip(SKIP_2) | instid1(VALU_DEP_1)
	v_rcp_f64_e32 v[200:201], v[6:7]
	s_waitcnt_depctr 0xfff
	v_fma_f64 v[202:203], -v[6:7], v[200:201], 1.0
	v_fma_f64 v[200:201], v[200:201], v[202:203], v[200:201]
	s_delay_alu instid0(VALU_DEP_1) | instskip(NEXT) | instid1(VALU_DEP_1)
	v_fma_f64 v[202:203], -v[6:7], v[200:201], 1.0
	v_fma_f64 v[200:201], v[200:201], v[202:203], v[200:201]
	v_div_scale_f64 v[202:203], vcc_lo, 1.0, v[0:1], 1.0
	s_delay_alu instid0(VALU_DEP_1) | instskip(NEXT) | instid1(VALU_DEP_1)
	v_mul_f64 v[204:205], v[202:203], v[200:201]
	v_fma_f64 v[6:7], -v[6:7], v[204:205], v[202:203]
	s_delay_alu instid0(VALU_DEP_1) | instskip(NEXT) | instid1(VALU_DEP_1)
	v_div_fmas_f64 v[6:7], v[6:7], v[200:201], v[204:205]
	v_div_fixup_f64 v[0:1], v[6:7], v[0:1], 1.0
	s_delay_alu instid0(VALU_DEP_1)
	v_mul_f64 v[206:207], v[4:5], -v[0:1]
.LBB125_590:
	s_or_b32 exec_lo, exec_lo, s3
	ds_store_2addr_b64 v254, v[0:1], v[206:207] offset1:1
.LBB125_591:
	s_or_b32 exec_lo, exec_lo, s4
	s_waitcnt lgkmcnt(0)
	s_barrier
	buffer_gl0_inv
	ds_load_2addr_b64 v[200:203], v254 offset1:1
	s_mov_b32 s3, exec_lo
	v_cmpx_lt_u32_e32 50, v253
	s_cbranch_execz .LBB125_593
; %bb.592:
	scratch_load_b128 v[204:207], off, off offset:800
	s_waitcnt vmcnt(0) lgkmcnt(0)
	v_mul_f64 v[0:1], v[202:203], v[206:207]
	s_delay_alu instid0(VALU_DEP_1) | instskip(SKIP_1) | instid1(VALU_DEP_1)
	v_fma_f64 v[208:209], v[200:201], v[204:205], -v[0:1]
	v_mul_f64 v[0:1], v[200:201], v[206:207]
	v_fma_f64 v[210:211], v[202:203], v[204:205], v[0:1]
	ds_load_2addr_b64 v[204:207], v252 offset0:102 offset1:103
	s_waitcnt lgkmcnt(0)
	v_mul_f64 v[0:1], v[206:207], v[210:211]
	v_mul_f64 v[4:5], v[204:205], v[210:211]
	s_delay_alu instid0(VALU_DEP_2) | instskip(NEXT) | instid1(VALU_DEP_2)
	v_fma_f64 v[0:1], v[204:205], v[208:209], -v[0:1]
	v_fma_f64 v[4:5], v[206:207], v[208:209], v[4:5]
	scratch_load_b128 v[204:207], off, off offset:816
	s_waitcnt vmcnt(0)
	v_add_f64 v[204:205], v[204:205], -v[0:1]
	v_add_f64 v[206:207], v[206:207], -v[4:5]
	s_clause 0x1
	scratch_store_b128 off, v[208:211], off offset:800
	scratch_store_b128 off, v[204:207], off offset:816
	ds_load_2addr_b64 v[204:207], v252 offset0:104 offset1:105
	s_waitcnt lgkmcnt(0)
	v_mul_f64 v[0:1], v[206:207], v[210:211]
	v_mul_f64 v[4:5], v[204:205], v[210:211]
	s_delay_alu instid0(VALU_DEP_2) | instskip(NEXT) | instid1(VALU_DEP_2)
	v_fma_f64 v[0:1], v[204:205], v[208:209], -v[0:1]
	v_fma_f64 v[4:5], v[206:207], v[208:209], v[4:5]
	scratch_load_b128 v[204:207], off, off offset:832
	s_waitcnt vmcnt(0)
	v_add_f64 v[204:205], v[204:205], -v[0:1]
	v_add_f64 v[206:207], v[206:207], -v[4:5]
	scratch_store_b128 off, v[204:207], off offset:832
	ds_load_2addr_b64 v[204:207], v252 offset0:106 offset1:107
	s_waitcnt lgkmcnt(0)
	v_mul_f64 v[0:1], v[206:207], v[210:211]
	v_mul_f64 v[4:5], v[204:205], v[210:211]
	s_delay_alu instid0(VALU_DEP_2) | instskip(NEXT) | instid1(VALU_DEP_2)
	v_fma_f64 v[0:1], v[204:205], v[208:209], -v[0:1]
	v_fma_f64 v[4:5], v[206:207], v[208:209], v[4:5]
	scratch_load_b128 v[204:207], off, off offset:848
	s_waitcnt vmcnt(0)
	v_add_f64 v[204:205], v[204:205], -v[0:1]
	v_add_f64 v[206:207], v[206:207], -v[4:5]
	;; [unrolled: 12-line block ×4, first 2 shown]
	scratch_store_b128 off, v[204:207], off offset:880
	ds_load_2addr_b64 v[204:207], v252 offset0:112 offset1:113
	s_waitcnt lgkmcnt(0)
	v_mul_f64 v[0:1], v[206:207], v[210:211]
	v_mul_f64 v[4:5], v[204:205], v[210:211]
	s_delay_alu instid0(VALU_DEP_2) | instskip(NEXT) | instid1(VALU_DEP_2)
	v_fma_f64 v[0:1], v[204:205], v[208:209], -v[0:1]
	v_fma_f64 v[4:5], v[206:207], v[208:209], v[4:5]
	s_clause 0x1
	scratch_load_b128 v[204:207], off, off offset:896
	scratch_load_b128 v[208:211], off, off offset:800
	s_waitcnt vmcnt(1)
	v_add_f64 v[204:205], v[204:205], -v[0:1]
	v_add_f64 v[206:207], v[206:207], -v[4:5]
	scratch_store_b128 off, v[204:207], off offset:896
	ds_load_2addr_b64 v[204:207], v252 offset0:114 offset1:115
	s_waitcnt vmcnt(0) lgkmcnt(0)
	v_mul_f64 v[0:1], v[206:207], v[210:211]
	v_mul_f64 v[4:5], v[204:205], v[210:211]
	s_delay_alu instid0(VALU_DEP_2) | instskip(NEXT) | instid1(VALU_DEP_2)
	v_fma_f64 v[0:1], v[204:205], v[208:209], -v[0:1]
	v_fma_f64 v[4:5], v[206:207], v[208:209], v[4:5]
	scratch_load_b128 v[204:207], off, off offset:912
	s_waitcnt vmcnt(0)
	v_add_f64 v[204:205], v[204:205], -v[0:1]
	v_add_f64 v[206:207], v[206:207], -v[4:5]
	scratch_store_b128 off, v[204:207], off offset:912
	ds_load_2addr_b64 v[204:207], v252 offset0:116 offset1:117
	s_waitcnt lgkmcnt(0)
	v_mul_f64 v[0:1], v[206:207], v[210:211]
	v_mul_f64 v[4:5], v[204:205], v[210:211]
	s_delay_alu instid0(VALU_DEP_2) | instskip(NEXT) | instid1(VALU_DEP_2)
	v_fma_f64 v[0:1], v[204:205], v[208:209], -v[0:1]
	v_fma_f64 v[4:5], v[206:207], v[208:209], v[4:5]
	scratch_load_b128 v[204:207], off, off offset:928
	s_waitcnt vmcnt(0)
	v_add_f64 v[204:205], v[204:205], -v[0:1]
	v_add_f64 v[206:207], v[206:207], -v[4:5]
	scratch_store_b128 off, v[204:207], off offset:928
	ds_load_2addr_b64 v[204:207], v252 offset0:118 offset1:119
	s_waitcnt lgkmcnt(0)
	;; [unrolled: 12-line block ×5, first 2 shown]
	v_mul_f64 v[0:1], v[206:207], v[210:211]
	v_mul_f64 v[4:5], v[204:205], v[210:211]
	s_delay_alu instid0(VALU_DEP_2) | instskip(NEXT) | instid1(VALU_DEP_2)
	v_fma_f64 v[0:1], v[204:205], v[208:209], -v[0:1]
	v_fma_f64 v[4:5], v[206:207], v[208:209], v[4:5]
	scratch_load_b128 v[204:207], off, off offset:992
	s_waitcnt vmcnt(0)
	v_add_f64 v[204:205], v[204:205], -v[0:1]
	v_add_f64 v[206:207], v[206:207], -v[4:5]
	scratch_store_b128 off, v[204:207], off offset:992
.LBB125_593:
	s_or_b32 exec_lo, exec_lo, s3
	s_delay_alu instid0(SALU_CYCLE_1)
	s_mov_b32 s4, exec_lo
	s_waitcnt lgkmcnt(0)
	s_waitcnt_vscnt null, 0x0
	s_barrier
	buffer_gl0_inv
	v_cmpx_eq_u32_e32 51, v253
	s_cbranch_execz .LBB125_600
; %bb.594:
	scratch_load_b32 v0, off, off offset:1044 ; 4-byte Folded Reload
	s_waitcnt vmcnt(0)
	scratch_load_b128 v[204:207], v0, off
	scratch_load_b32 v0, off, off offset:1040 ; 4-byte Folded Reload
	s_waitcnt vmcnt(1)
	ds_store_2addr_b64 v254, v[204:205], v[206:207] offset1:1
	s_waitcnt vmcnt(0)
	scratch_load_b128 v[204:207], v0, off
	scratch_load_b32 v0, off, off offset:1036 ; 4-byte Folded Reload
	s_waitcnt vmcnt(1)
	ds_store_2addr_b64 v252, v[204:205], v[206:207] offset0:104 offset1:105
	s_waitcnt vmcnt(0)
	scratch_load_b128 v[204:207], v0, off
	scratch_load_b32 v0, off, off offset:1032 ; 4-byte Folded Reload
	s_waitcnt vmcnt(1)
	ds_store_2addr_b64 v252, v[204:205], v[206:207] offset0:106 offset1:107
	s_waitcnt vmcnt(0)
	scratch_load_b128 v[204:207], v0, off
	scratch_load_b32 v0, off, off offset:1028 ; 4-byte Folded Reload
	s_waitcnt vmcnt(1)
	ds_store_2addr_b64 v252, v[204:205], v[206:207] offset0:108 offset1:109
	s_waitcnt vmcnt(0)
	scratch_load_b128 v[204:207], v0, off
	scratch_load_b32 v0, off, off offset:1024 ; 4-byte Folded Reload
	s_waitcnt vmcnt(1)
	ds_store_2addr_b64 v252, v[204:205], v[206:207] offset0:110 offset1:111
	s_waitcnt vmcnt(0)
	scratch_load_b128 v[204:207], v0, off
	scratch_load_b32 v0, off, off offset:1020 ; 4-byte Folded Reload
	s_waitcnt vmcnt(1)
	ds_store_2addr_b64 v252, v[204:205], v[206:207] offset0:112 offset1:113
	s_waitcnt vmcnt(0)
	scratch_load_b128 v[204:207], v0, off
	scratch_load_b32 v0, off, off offset:1016 ; 4-byte Folded Reload
	s_waitcnt vmcnt(1)
	ds_store_2addr_b64 v252, v[204:205], v[206:207] offset0:114 offset1:115
	s_waitcnt vmcnt(0)
	scratch_load_b128 v[204:207], v0, off
	scratch_load_b32 v0, off, off offset:1012 ; 4-byte Folded Reload
	s_waitcnt vmcnt(1)
	ds_store_2addr_b64 v252, v[204:205], v[206:207] offset0:116 offset1:117
	s_waitcnt vmcnt(0)
	scratch_load_b128 v[204:207], v0, off
	scratch_load_b32 v0, off, off offset:1008 ; 4-byte Folded Reload
	s_waitcnt vmcnt(1)
	ds_store_2addr_b64 v252, v[204:205], v[206:207] offset0:118 offset1:119
	s_waitcnt vmcnt(0)
	scratch_load_b128 v[204:207], v0, off
	s_waitcnt vmcnt(0)
	ds_store_2addr_b64 v252, v[204:205], v[206:207] offset0:120 offset1:121
	scratch_load_b128 v[204:207], v3, off
	s_waitcnt vmcnt(0)
	ds_store_2addr_b64 v252, v[204:205], v[206:207] offset0:122 offset1:123
	;; [unrolled: 3-line block ×3, first 2 shown]
	ds_load_2addr_b64 v[204:207], v254 offset1:1
	s_waitcnt lgkmcnt(0)
	v_cmp_neq_f64_e32 vcc_lo, 0, v[204:205]
	v_cmp_neq_f64_e64 s3, 0, v[206:207]
	s_delay_alu instid0(VALU_DEP_1) | instskip(NEXT) | instid1(SALU_CYCLE_1)
	s_or_b32 s3, vcc_lo, s3
	s_and_b32 exec_lo, exec_lo, s3
	s_cbranch_execz .LBB125_600
; %bb.595:
	v_cmp_gt_f64_e32 vcc_lo, 0, v[204:205]
	v_xor_b32_e32 v0, 0x80000000, v205
	v_xor_b32_e32 v4, 0x80000000, v207
	s_delay_alu instid0(VALU_DEP_2) | instskip(SKIP_2) | instid1(VALU_DEP_4)
	v_cndmask_b32_e32 v1, v205, v0, vcc_lo
	v_cndmask_b32_e32 v0, v204, v204, vcc_lo
	v_cmp_gt_f64_e32 vcc_lo, 0, v[206:207]
	v_dual_cndmask_b32 v5, v207, v4 :: v_dual_cndmask_b32 v4, v206, v206
	s_delay_alu instid0(VALU_DEP_1) | instskip(SKIP_1) | instid1(SALU_CYCLE_1)
	v_cmp_ngt_f64_e32 vcc_lo, v[0:1], v[4:5]
                                        ; implicit-def: $vgpr0_vgpr1
	s_and_saveexec_b32 s3, vcc_lo
	s_xor_b32 s3, exec_lo, s3
                                        ; implicit-def: $vgpr208_vgpr209_vgpr210_vgpr211
	s_cbranch_execz .LBB125_597
; %bb.596:
	v_div_scale_f64 v[0:1], null, v[206:207], v[206:207], v[204:205]
	v_div_scale_f64 v[208:209], vcc_lo, v[204:205], v[206:207], v[204:205]
	s_delay_alu instid0(VALU_DEP_2) | instskip(SKIP_2) | instid1(VALU_DEP_1)
	v_rcp_f64_e32 v[4:5], v[0:1]
	s_waitcnt_depctr 0xfff
	v_fma_f64 v[6:7], -v[0:1], v[4:5], 1.0
	v_fma_f64 v[4:5], v[4:5], v[6:7], v[4:5]
	s_delay_alu instid0(VALU_DEP_1) | instskip(NEXT) | instid1(VALU_DEP_1)
	v_fma_f64 v[6:7], -v[0:1], v[4:5], 1.0
	v_fma_f64 v[4:5], v[4:5], v[6:7], v[4:5]
	s_delay_alu instid0(VALU_DEP_1) | instskip(NEXT) | instid1(VALU_DEP_1)
	v_mul_f64 v[6:7], v[208:209], v[4:5]
	v_fma_f64 v[0:1], -v[0:1], v[6:7], v[208:209]
	s_delay_alu instid0(VALU_DEP_1) | instskip(NEXT) | instid1(VALU_DEP_1)
	v_div_fmas_f64 v[0:1], v[0:1], v[4:5], v[6:7]
	v_div_fixup_f64 v[0:1], v[0:1], v[206:207], v[204:205]
	s_delay_alu instid0(VALU_DEP_1) | instskip(NEXT) | instid1(VALU_DEP_1)
	v_fma_f64 v[4:5], v[204:205], v[0:1], v[206:207]
	v_div_scale_f64 v[6:7], null, v[4:5], v[4:5], 1.0
	s_delay_alu instid0(VALU_DEP_1) | instskip(SKIP_2) | instid1(VALU_DEP_1)
	v_rcp_f64_e32 v[204:205], v[6:7]
	s_waitcnt_depctr 0xfff
	v_fma_f64 v[206:207], -v[6:7], v[204:205], 1.0
	v_fma_f64 v[204:205], v[204:205], v[206:207], v[204:205]
	s_delay_alu instid0(VALU_DEP_1) | instskip(NEXT) | instid1(VALU_DEP_1)
	v_fma_f64 v[206:207], -v[6:7], v[204:205], 1.0
	v_fma_f64 v[204:205], v[204:205], v[206:207], v[204:205]
	v_div_scale_f64 v[206:207], vcc_lo, 1.0, v[4:5], 1.0
	s_delay_alu instid0(VALU_DEP_1) | instskip(NEXT) | instid1(VALU_DEP_1)
	v_mul_f64 v[208:209], v[206:207], v[204:205]
	v_fma_f64 v[6:7], -v[6:7], v[208:209], v[206:207]
	s_delay_alu instid0(VALU_DEP_1) | instskip(NEXT) | instid1(VALU_DEP_1)
	v_div_fmas_f64 v[6:7], v[6:7], v[204:205], v[208:209]
                                        ; implicit-def: $vgpr204_vgpr205
	v_div_fixup_f64 v[210:211], v[6:7], v[4:5], 1.0
	s_delay_alu instid0(VALU_DEP_1)
	v_mul_f64 v[0:1], v[0:1], v[210:211]
	v_xor_b32_e32 v211, 0x80000000, v211
.LBB125_597:
	s_and_not1_saveexec_b32 s3, s3
	s_cbranch_execz .LBB125_599
; %bb.598:
	v_div_scale_f64 v[0:1], null, v[204:205], v[204:205], v[206:207]
	v_div_scale_f64 v[208:209], vcc_lo, v[206:207], v[204:205], v[206:207]
	s_delay_alu instid0(VALU_DEP_2) | instskip(SKIP_2) | instid1(VALU_DEP_1)
	v_rcp_f64_e32 v[4:5], v[0:1]
	s_waitcnt_depctr 0xfff
	v_fma_f64 v[6:7], -v[0:1], v[4:5], 1.0
	v_fma_f64 v[4:5], v[4:5], v[6:7], v[4:5]
	s_delay_alu instid0(VALU_DEP_1) | instskip(NEXT) | instid1(VALU_DEP_1)
	v_fma_f64 v[6:7], -v[0:1], v[4:5], 1.0
	v_fma_f64 v[4:5], v[4:5], v[6:7], v[4:5]
	s_delay_alu instid0(VALU_DEP_1) | instskip(NEXT) | instid1(VALU_DEP_1)
	v_mul_f64 v[6:7], v[208:209], v[4:5]
	v_fma_f64 v[0:1], -v[0:1], v[6:7], v[208:209]
	s_delay_alu instid0(VALU_DEP_1) | instskip(NEXT) | instid1(VALU_DEP_1)
	v_div_fmas_f64 v[0:1], v[0:1], v[4:5], v[6:7]
	v_div_fixup_f64 v[4:5], v[0:1], v[204:205], v[206:207]
	s_delay_alu instid0(VALU_DEP_1) | instskip(NEXT) | instid1(VALU_DEP_1)
	v_fma_f64 v[0:1], v[206:207], v[4:5], v[204:205]
	v_div_scale_f64 v[6:7], null, v[0:1], v[0:1], 1.0
	s_delay_alu instid0(VALU_DEP_1) | instskip(SKIP_2) | instid1(VALU_DEP_1)
	v_rcp_f64_e32 v[204:205], v[6:7]
	s_waitcnt_depctr 0xfff
	v_fma_f64 v[206:207], -v[6:7], v[204:205], 1.0
	v_fma_f64 v[204:205], v[204:205], v[206:207], v[204:205]
	s_delay_alu instid0(VALU_DEP_1) | instskip(NEXT) | instid1(VALU_DEP_1)
	v_fma_f64 v[206:207], -v[6:7], v[204:205], 1.0
	v_fma_f64 v[204:205], v[204:205], v[206:207], v[204:205]
	v_div_scale_f64 v[206:207], vcc_lo, 1.0, v[0:1], 1.0
	s_delay_alu instid0(VALU_DEP_1) | instskip(NEXT) | instid1(VALU_DEP_1)
	v_mul_f64 v[208:209], v[206:207], v[204:205]
	v_fma_f64 v[6:7], -v[6:7], v[208:209], v[206:207]
	s_delay_alu instid0(VALU_DEP_1) | instskip(NEXT) | instid1(VALU_DEP_1)
	v_div_fmas_f64 v[6:7], v[6:7], v[204:205], v[208:209]
	v_div_fixup_f64 v[0:1], v[6:7], v[0:1], 1.0
	s_delay_alu instid0(VALU_DEP_1)
	v_mul_f64 v[210:211], v[4:5], -v[0:1]
.LBB125_599:
	s_or_b32 exec_lo, exec_lo, s3
	ds_store_2addr_b64 v254, v[0:1], v[210:211] offset1:1
.LBB125_600:
	s_or_b32 exec_lo, exec_lo, s4
	s_waitcnt lgkmcnt(0)
	s_barrier
	buffer_gl0_inv
	ds_load_2addr_b64 v[204:207], v254 offset1:1
	s_mov_b32 s3, exec_lo
	v_cmpx_lt_u32_e32 51, v253
	s_cbranch_execz .LBB125_602
; %bb.601:
	scratch_load_b128 v[208:211], off, off offset:816
	s_waitcnt vmcnt(0) lgkmcnt(0)
	v_mul_f64 v[0:1], v[206:207], v[210:211]
	s_delay_alu instid0(VALU_DEP_1) | instskip(SKIP_1) | instid1(VALU_DEP_1)
	v_fma_f64 v[212:213], v[204:205], v[208:209], -v[0:1]
	v_mul_f64 v[0:1], v[204:205], v[210:211]
	v_fma_f64 v[214:215], v[206:207], v[208:209], v[0:1]
	ds_load_2addr_b64 v[208:211], v252 offset0:104 offset1:105
	s_waitcnt lgkmcnt(0)
	v_mul_f64 v[0:1], v[210:211], v[214:215]
	v_mul_f64 v[4:5], v[208:209], v[214:215]
	s_delay_alu instid0(VALU_DEP_2) | instskip(NEXT) | instid1(VALU_DEP_2)
	v_fma_f64 v[0:1], v[208:209], v[212:213], -v[0:1]
	v_fma_f64 v[4:5], v[210:211], v[212:213], v[4:5]
	scratch_load_b128 v[208:211], off, off offset:832
	s_waitcnt vmcnt(0)
	v_add_f64 v[208:209], v[208:209], -v[0:1]
	v_add_f64 v[210:211], v[210:211], -v[4:5]
	s_clause 0x1
	scratch_store_b128 off, v[212:215], off offset:816
	scratch_store_b128 off, v[208:211], off offset:832
	ds_load_2addr_b64 v[208:211], v252 offset0:106 offset1:107
	s_waitcnt lgkmcnt(0)
	v_mul_f64 v[0:1], v[210:211], v[214:215]
	v_mul_f64 v[4:5], v[208:209], v[214:215]
	s_delay_alu instid0(VALU_DEP_2) | instskip(NEXT) | instid1(VALU_DEP_2)
	v_fma_f64 v[0:1], v[208:209], v[212:213], -v[0:1]
	v_fma_f64 v[4:5], v[210:211], v[212:213], v[4:5]
	scratch_load_b128 v[208:211], off, off offset:848
	s_waitcnt vmcnt(0)
	v_add_f64 v[208:209], v[208:209], -v[0:1]
	v_add_f64 v[210:211], v[210:211], -v[4:5]
	scratch_store_b128 off, v[208:211], off offset:848
	ds_load_2addr_b64 v[208:211], v252 offset0:108 offset1:109
	s_waitcnt lgkmcnt(0)
	v_mul_f64 v[0:1], v[210:211], v[214:215]
	v_mul_f64 v[4:5], v[208:209], v[214:215]
	s_delay_alu instid0(VALU_DEP_2) | instskip(NEXT) | instid1(VALU_DEP_2)
	v_fma_f64 v[0:1], v[208:209], v[212:213], -v[0:1]
	v_fma_f64 v[4:5], v[210:211], v[212:213], v[4:5]
	scratch_load_b128 v[208:211], off, off offset:864
	s_waitcnt vmcnt(0)
	v_add_f64 v[208:209], v[208:209], -v[0:1]
	v_add_f64 v[210:211], v[210:211], -v[4:5]
	;; [unrolled: 12-line block ×4, first 2 shown]
	scratch_store_b128 off, v[208:211], off offset:896
	ds_load_2addr_b64 v[208:211], v252 offset0:114 offset1:115
	s_waitcnt lgkmcnt(0)
	v_mul_f64 v[0:1], v[210:211], v[214:215]
	v_mul_f64 v[4:5], v[208:209], v[214:215]
	s_delay_alu instid0(VALU_DEP_2) | instskip(NEXT) | instid1(VALU_DEP_2)
	v_fma_f64 v[0:1], v[208:209], v[212:213], -v[0:1]
	v_fma_f64 v[4:5], v[210:211], v[212:213], v[4:5]
	s_clause 0x1
	scratch_load_b128 v[208:211], off, off offset:912
	scratch_load_b128 v[212:215], off, off offset:816
	s_waitcnt vmcnt(1)
	v_add_f64 v[208:209], v[208:209], -v[0:1]
	v_add_f64 v[210:211], v[210:211], -v[4:5]
	scratch_store_b128 off, v[208:211], off offset:912
	ds_load_2addr_b64 v[208:211], v252 offset0:116 offset1:117
	s_waitcnt vmcnt(0) lgkmcnt(0)
	v_mul_f64 v[0:1], v[210:211], v[214:215]
	v_mul_f64 v[4:5], v[208:209], v[214:215]
	s_delay_alu instid0(VALU_DEP_2) | instskip(NEXT) | instid1(VALU_DEP_2)
	v_fma_f64 v[0:1], v[208:209], v[212:213], -v[0:1]
	v_fma_f64 v[4:5], v[210:211], v[212:213], v[4:5]
	scratch_load_b128 v[208:211], off, off offset:928
	s_waitcnt vmcnt(0)
	v_add_f64 v[208:209], v[208:209], -v[0:1]
	v_add_f64 v[210:211], v[210:211], -v[4:5]
	scratch_store_b128 off, v[208:211], off offset:928
	ds_load_2addr_b64 v[208:211], v252 offset0:118 offset1:119
	s_waitcnt lgkmcnt(0)
	v_mul_f64 v[0:1], v[210:211], v[214:215]
	v_mul_f64 v[4:5], v[208:209], v[214:215]
	s_delay_alu instid0(VALU_DEP_2) | instskip(NEXT) | instid1(VALU_DEP_2)
	v_fma_f64 v[0:1], v[208:209], v[212:213], -v[0:1]
	v_fma_f64 v[4:5], v[210:211], v[212:213], v[4:5]
	scratch_load_b128 v[208:211], off, off offset:944
	s_waitcnt vmcnt(0)
	v_add_f64 v[208:209], v[208:209], -v[0:1]
	v_add_f64 v[210:211], v[210:211], -v[4:5]
	scratch_store_b128 off, v[208:211], off offset:944
	ds_load_2addr_b64 v[208:211], v252 offset0:120 offset1:121
	s_waitcnt lgkmcnt(0)
	;; [unrolled: 12-line block ×4, first 2 shown]
	v_mul_f64 v[0:1], v[210:211], v[214:215]
	v_mul_f64 v[4:5], v[208:209], v[214:215]
	s_delay_alu instid0(VALU_DEP_2) | instskip(NEXT) | instid1(VALU_DEP_2)
	v_fma_f64 v[0:1], v[208:209], v[212:213], -v[0:1]
	v_fma_f64 v[4:5], v[210:211], v[212:213], v[4:5]
	scratch_load_b128 v[208:211], off, off offset:992
	s_waitcnt vmcnt(0)
	v_add_f64 v[208:209], v[208:209], -v[0:1]
	v_add_f64 v[210:211], v[210:211], -v[4:5]
	scratch_store_b128 off, v[208:211], off offset:992
.LBB125_602:
	s_or_b32 exec_lo, exec_lo, s3
	s_delay_alu instid0(SALU_CYCLE_1)
	s_mov_b32 s4, exec_lo
	s_waitcnt lgkmcnt(0)
	s_waitcnt_vscnt null, 0x0
	s_barrier
	buffer_gl0_inv
	v_cmpx_eq_u32_e32 52, v253
	s_cbranch_execz .LBB125_609
; %bb.603:
	scratch_load_b32 v0, off, off offset:1040 ; 4-byte Folded Reload
	s_waitcnt vmcnt(0)
	scratch_load_b128 v[208:211], v0, off
	scratch_load_b32 v0, off, off offset:1036 ; 4-byte Folded Reload
	s_waitcnt vmcnt(1)
	ds_store_2addr_b64 v254, v[208:209], v[210:211] offset1:1
	s_waitcnt vmcnt(0)
	scratch_load_b128 v[208:211], v0, off
	scratch_load_b32 v0, off, off offset:1032 ; 4-byte Folded Reload
	s_waitcnt vmcnt(1)
	ds_store_2addr_b64 v252, v[208:209], v[210:211] offset0:106 offset1:107
	s_waitcnt vmcnt(0)
	scratch_load_b128 v[208:211], v0, off
	scratch_load_b32 v0, off, off offset:1028 ; 4-byte Folded Reload
	s_waitcnt vmcnt(1)
	ds_store_2addr_b64 v252, v[208:209], v[210:211] offset0:108 offset1:109
	;; [unrolled: 5-line block ×7, first 2 shown]
	s_waitcnt vmcnt(0)
	scratch_load_b128 v[208:211], v0, off
	s_waitcnt vmcnt(0)
	ds_store_2addr_b64 v252, v[208:209], v[210:211] offset0:120 offset1:121
	scratch_load_b128 v[208:211], v3, off
	s_waitcnt vmcnt(0)
	ds_store_2addr_b64 v252, v[208:209], v[210:211] offset0:122 offset1:123
	;; [unrolled: 3-line block ×3, first 2 shown]
	ds_load_2addr_b64 v[208:211], v254 offset1:1
	s_waitcnt lgkmcnt(0)
	v_cmp_neq_f64_e32 vcc_lo, 0, v[208:209]
	v_cmp_neq_f64_e64 s3, 0, v[210:211]
	s_delay_alu instid0(VALU_DEP_1) | instskip(NEXT) | instid1(SALU_CYCLE_1)
	s_or_b32 s3, vcc_lo, s3
	s_and_b32 exec_lo, exec_lo, s3
	s_cbranch_execz .LBB125_609
; %bb.604:
	v_cmp_gt_f64_e32 vcc_lo, 0, v[208:209]
	v_xor_b32_e32 v0, 0x80000000, v209
	v_xor_b32_e32 v4, 0x80000000, v211
	s_delay_alu instid0(VALU_DEP_2) | instskip(SKIP_2) | instid1(VALU_DEP_4)
	v_cndmask_b32_e32 v1, v209, v0, vcc_lo
	v_cndmask_b32_e32 v0, v208, v208, vcc_lo
	v_cmp_gt_f64_e32 vcc_lo, 0, v[210:211]
	v_dual_cndmask_b32 v5, v211, v4 :: v_dual_cndmask_b32 v4, v210, v210
	s_delay_alu instid0(VALU_DEP_1) | instskip(SKIP_1) | instid1(SALU_CYCLE_1)
	v_cmp_ngt_f64_e32 vcc_lo, v[0:1], v[4:5]
                                        ; implicit-def: $vgpr0_vgpr1
	s_and_saveexec_b32 s3, vcc_lo
	s_xor_b32 s3, exec_lo, s3
                                        ; implicit-def: $vgpr212_vgpr213_vgpr214_vgpr215
	s_cbranch_execz .LBB125_606
; %bb.605:
	v_div_scale_f64 v[0:1], null, v[210:211], v[210:211], v[208:209]
	v_div_scale_f64 v[212:213], vcc_lo, v[208:209], v[210:211], v[208:209]
	s_delay_alu instid0(VALU_DEP_2) | instskip(SKIP_2) | instid1(VALU_DEP_1)
	v_rcp_f64_e32 v[4:5], v[0:1]
	s_waitcnt_depctr 0xfff
	v_fma_f64 v[6:7], -v[0:1], v[4:5], 1.0
	v_fma_f64 v[4:5], v[4:5], v[6:7], v[4:5]
	s_delay_alu instid0(VALU_DEP_1) | instskip(NEXT) | instid1(VALU_DEP_1)
	v_fma_f64 v[6:7], -v[0:1], v[4:5], 1.0
	v_fma_f64 v[4:5], v[4:5], v[6:7], v[4:5]
	s_delay_alu instid0(VALU_DEP_1) | instskip(NEXT) | instid1(VALU_DEP_1)
	v_mul_f64 v[6:7], v[212:213], v[4:5]
	v_fma_f64 v[0:1], -v[0:1], v[6:7], v[212:213]
	s_delay_alu instid0(VALU_DEP_1) | instskip(NEXT) | instid1(VALU_DEP_1)
	v_div_fmas_f64 v[0:1], v[0:1], v[4:5], v[6:7]
	v_div_fixup_f64 v[0:1], v[0:1], v[210:211], v[208:209]
	s_delay_alu instid0(VALU_DEP_1) | instskip(NEXT) | instid1(VALU_DEP_1)
	v_fma_f64 v[4:5], v[208:209], v[0:1], v[210:211]
	v_div_scale_f64 v[6:7], null, v[4:5], v[4:5], 1.0
	s_delay_alu instid0(VALU_DEP_1) | instskip(SKIP_2) | instid1(VALU_DEP_1)
	v_rcp_f64_e32 v[208:209], v[6:7]
	s_waitcnt_depctr 0xfff
	v_fma_f64 v[210:211], -v[6:7], v[208:209], 1.0
	v_fma_f64 v[208:209], v[208:209], v[210:211], v[208:209]
	s_delay_alu instid0(VALU_DEP_1) | instskip(NEXT) | instid1(VALU_DEP_1)
	v_fma_f64 v[210:211], -v[6:7], v[208:209], 1.0
	v_fma_f64 v[208:209], v[208:209], v[210:211], v[208:209]
	v_div_scale_f64 v[210:211], vcc_lo, 1.0, v[4:5], 1.0
	s_delay_alu instid0(VALU_DEP_1) | instskip(NEXT) | instid1(VALU_DEP_1)
	v_mul_f64 v[212:213], v[210:211], v[208:209]
	v_fma_f64 v[6:7], -v[6:7], v[212:213], v[210:211]
	s_delay_alu instid0(VALU_DEP_1) | instskip(NEXT) | instid1(VALU_DEP_1)
	v_div_fmas_f64 v[6:7], v[6:7], v[208:209], v[212:213]
                                        ; implicit-def: $vgpr208_vgpr209
	v_div_fixup_f64 v[214:215], v[6:7], v[4:5], 1.0
	s_delay_alu instid0(VALU_DEP_1)
	v_mul_f64 v[0:1], v[0:1], v[214:215]
	v_xor_b32_e32 v215, 0x80000000, v215
.LBB125_606:
	s_and_not1_saveexec_b32 s3, s3
	s_cbranch_execz .LBB125_608
; %bb.607:
	v_div_scale_f64 v[0:1], null, v[208:209], v[208:209], v[210:211]
	v_div_scale_f64 v[212:213], vcc_lo, v[210:211], v[208:209], v[210:211]
	s_delay_alu instid0(VALU_DEP_2) | instskip(SKIP_2) | instid1(VALU_DEP_1)
	v_rcp_f64_e32 v[4:5], v[0:1]
	s_waitcnt_depctr 0xfff
	v_fma_f64 v[6:7], -v[0:1], v[4:5], 1.0
	v_fma_f64 v[4:5], v[4:5], v[6:7], v[4:5]
	s_delay_alu instid0(VALU_DEP_1) | instskip(NEXT) | instid1(VALU_DEP_1)
	v_fma_f64 v[6:7], -v[0:1], v[4:5], 1.0
	v_fma_f64 v[4:5], v[4:5], v[6:7], v[4:5]
	s_delay_alu instid0(VALU_DEP_1) | instskip(NEXT) | instid1(VALU_DEP_1)
	v_mul_f64 v[6:7], v[212:213], v[4:5]
	v_fma_f64 v[0:1], -v[0:1], v[6:7], v[212:213]
	s_delay_alu instid0(VALU_DEP_1) | instskip(NEXT) | instid1(VALU_DEP_1)
	v_div_fmas_f64 v[0:1], v[0:1], v[4:5], v[6:7]
	v_div_fixup_f64 v[4:5], v[0:1], v[208:209], v[210:211]
	s_delay_alu instid0(VALU_DEP_1) | instskip(NEXT) | instid1(VALU_DEP_1)
	v_fma_f64 v[0:1], v[210:211], v[4:5], v[208:209]
	v_div_scale_f64 v[6:7], null, v[0:1], v[0:1], 1.0
	s_delay_alu instid0(VALU_DEP_1) | instskip(SKIP_2) | instid1(VALU_DEP_1)
	v_rcp_f64_e32 v[208:209], v[6:7]
	s_waitcnt_depctr 0xfff
	v_fma_f64 v[210:211], -v[6:7], v[208:209], 1.0
	v_fma_f64 v[208:209], v[208:209], v[210:211], v[208:209]
	s_delay_alu instid0(VALU_DEP_1) | instskip(NEXT) | instid1(VALU_DEP_1)
	v_fma_f64 v[210:211], -v[6:7], v[208:209], 1.0
	v_fma_f64 v[208:209], v[208:209], v[210:211], v[208:209]
	v_div_scale_f64 v[210:211], vcc_lo, 1.0, v[0:1], 1.0
	s_delay_alu instid0(VALU_DEP_1) | instskip(NEXT) | instid1(VALU_DEP_1)
	v_mul_f64 v[212:213], v[210:211], v[208:209]
	v_fma_f64 v[6:7], -v[6:7], v[212:213], v[210:211]
	s_delay_alu instid0(VALU_DEP_1) | instskip(NEXT) | instid1(VALU_DEP_1)
	v_div_fmas_f64 v[6:7], v[6:7], v[208:209], v[212:213]
	v_div_fixup_f64 v[0:1], v[6:7], v[0:1], 1.0
	s_delay_alu instid0(VALU_DEP_1)
	v_mul_f64 v[214:215], v[4:5], -v[0:1]
.LBB125_608:
	s_or_b32 exec_lo, exec_lo, s3
	ds_store_2addr_b64 v254, v[0:1], v[214:215] offset1:1
.LBB125_609:
	s_or_b32 exec_lo, exec_lo, s4
	s_waitcnt lgkmcnt(0)
	s_barrier
	buffer_gl0_inv
	ds_load_2addr_b64 v[208:211], v254 offset1:1
	s_mov_b32 s3, exec_lo
	v_cmpx_lt_u32_e32 52, v253
	s_cbranch_execz .LBB125_611
; %bb.610:
	scratch_load_b128 v[212:215], off, off offset:832
	s_waitcnt vmcnt(0) lgkmcnt(0)
	v_mul_f64 v[0:1], v[210:211], v[214:215]
	s_delay_alu instid0(VALU_DEP_1) | instskip(SKIP_1) | instid1(VALU_DEP_1)
	v_fma_f64 v[216:217], v[208:209], v[212:213], -v[0:1]
	v_mul_f64 v[0:1], v[208:209], v[214:215]
	v_fma_f64 v[218:219], v[210:211], v[212:213], v[0:1]
	ds_load_2addr_b64 v[212:215], v252 offset0:106 offset1:107
	s_waitcnt lgkmcnt(0)
	v_mul_f64 v[0:1], v[214:215], v[218:219]
	v_mul_f64 v[4:5], v[212:213], v[218:219]
	s_delay_alu instid0(VALU_DEP_2) | instskip(NEXT) | instid1(VALU_DEP_2)
	v_fma_f64 v[0:1], v[212:213], v[216:217], -v[0:1]
	v_fma_f64 v[4:5], v[214:215], v[216:217], v[4:5]
	scratch_load_b128 v[212:215], off, off offset:848
	s_waitcnt vmcnt(0)
	v_add_f64 v[212:213], v[212:213], -v[0:1]
	v_add_f64 v[214:215], v[214:215], -v[4:5]
	s_clause 0x1
	scratch_store_b128 off, v[216:219], off offset:832
	scratch_store_b128 off, v[212:215], off offset:848
	ds_load_2addr_b64 v[212:215], v252 offset0:108 offset1:109
	s_waitcnt lgkmcnt(0)
	v_mul_f64 v[0:1], v[214:215], v[218:219]
	v_mul_f64 v[4:5], v[212:213], v[218:219]
	s_delay_alu instid0(VALU_DEP_2) | instskip(NEXT) | instid1(VALU_DEP_2)
	v_fma_f64 v[0:1], v[212:213], v[216:217], -v[0:1]
	v_fma_f64 v[4:5], v[214:215], v[216:217], v[4:5]
	scratch_load_b128 v[212:215], off, off offset:864
	s_waitcnt vmcnt(0)
	v_add_f64 v[212:213], v[212:213], -v[0:1]
	v_add_f64 v[214:215], v[214:215], -v[4:5]
	scratch_store_b128 off, v[212:215], off offset:864
	ds_load_2addr_b64 v[212:215], v252 offset0:110 offset1:111
	s_waitcnt lgkmcnt(0)
	v_mul_f64 v[0:1], v[214:215], v[218:219]
	v_mul_f64 v[4:5], v[212:213], v[218:219]
	s_delay_alu instid0(VALU_DEP_2) | instskip(NEXT) | instid1(VALU_DEP_2)
	v_fma_f64 v[0:1], v[212:213], v[216:217], -v[0:1]
	v_fma_f64 v[4:5], v[214:215], v[216:217], v[4:5]
	scratch_load_b128 v[212:215], off, off offset:880
	s_waitcnt vmcnt(0)
	v_add_f64 v[212:213], v[212:213], -v[0:1]
	v_add_f64 v[214:215], v[214:215], -v[4:5]
	;; [unrolled: 12-line block ×4, first 2 shown]
	scratch_store_b128 off, v[212:215], off offset:912
	ds_load_2addr_b64 v[212:215], v252 offset0:116 offset1:117
	s_waitcnt lgkmcnt(0)
	v_mul_f64 v[0:1], v[214:215], v[218:219]
	v_mul_f64 v[4:5], v[212:213], v[218:219]
	s_delay_alu instid0(VALU_DEP_2) | instskip(NEXT) | instid1(VALU_DEP_2)
	v_fma_f64 v[0:1], v[212:213], v[216:217], -v[0:1]
	v_fma_f64 v[4:5], v[214:215], v[216:217], v[4:5]
	s_clause 0x1
	scratch_load_b128 v[212:215], off, off offset:928
	scratch_load_b128 v[216:219], off, off offset:832
	s_waitcnt vmcnt(1)
	v_add_f64 v[212:213], v[212:213], -v[0:1]
	v_add_f64 v[214:215], v[214:215], -v[4:5]
	scratch_store_b128 off, v[212:215], off offset:928
	ds_load_2addr_b64 v[212:215], v252 offset0:118 offset1:119
	s_waitcnt vmcnt(0) lgkmcnt(0)
	v_mul_f64 v[0:1], v[214:215], v[218:219]
	v_mul_f64 v[4:5], v[212:213], v[218:219]
	s_delay_alu instid0(VALU_DEP_2) | instskip(NEXT) | instid1(VALU_DEP_2)
	v_fma_f64 v[0:1], v[212:213], v[216:217], -v[0:1]
	v_fma_f64 v[4:5], v[214:215], v[216:217], v[4:5]
	scratch_load_b128 v[212:215], off, off offset:944
	s_waitcnt vmcnt(0)
	v_add_f64 v[212:213], v[212:213], -v[0:1]
	v_add_f64 v[214:215], v[214:215], -v[4:5]
	scratch_store_b128 off, v[212:215], off offset:944
	ds_load_2addr_b64 v[212:215], v252 offset0:120 offset1:121
	s_waitcnt lgkmcnt(0)
	v_mul_f64 v[0:1], v[214:215], v[218:219]
	v_mul_f64 v[4:5], v[212:213], v[218:219]
	s_delay_alu instid0(VALU_DEP_2) | instskip(NEXT) | instid1(VALU_DEP_2)
	v_fma_f64 v[0:1], v[212:213], v[216:217], -v[0:1]
	v_fma_f64 v[4:5], v[214:215], v[216:217], v[4:5]
	scratch_load_b128 v[212:215], off, off offset:960
	s_waitcnt vmcnt(0)
	v_add_f64 v[212:213], v[212:213], -v[0:1]
	v_add_f64 v[214:215], v[214:215], -v[4:5]
	scratch_store_b128 off, v[212:215], off offset:960
	ds_load_2addr_b64 v[212:215], v252 offset0:122 offset1:123
	s_waitcnt lgkmcnt(0)
	;; [unrolled: 12-line block ×3, first 2 shown]
	v_mul_f64 v[0:1], v[214:215], v[218:219]
	v_mul_f64 v[4:5], v[212:213], v[218:219]
	s_delay_alu instid0(VALU_DEP_2) | instskip(NEXT) | instid1(VALU_DEP_2)
	v_fma_f64 v[0:1], v[212:213], v[216:217], -v[0:1]
	v_fma_f64 v[4:5], v[214:215], v[216:217], v[4:5]
	scratch_load_b128 v[212:215], off, off offset:992
	s_waitcnt vmcnt(0)
	v_add_f64 v[212:213], v[212:213], -v[0:1]
	v_add_f64 v[214:215], v[214:215], -v[4:5]
	scratch_store_b128 off, v[212:215], off offset:992
.LBB125_611:
	s_or_b32 exec_lo, exec_lo, s3
	s_delay_alu instid0(SALU_CYCLE_1)
	s_mov_b32 s4, exec_lo
	s_waitcnt lgkmcnt(0)
	s_waitcnt_vscnt null, 0x0
	s_barrier
	buffer_gl0_inv
	v_cmpx_eq_u32_e32 53, v253
	s_cbranch_execz .LBB125_618
; %bb.612:
	scratch_load_b32 v0, off, off offset:1036 ; 4-byte Folded Reload
	s_waitcnt vmcnt(0)
	scratch_load_b128 v[212:215], v0, off
	scratch_load_b32 v0, off, off offset:1032 ; 4-byte Folded Reload
	s_waitcnt vmcnt(1)
	ds_store_2addr_b64 v254, v[212:213], v[214:215] offset1:1
	s_waitcnt vmcnt(0)
	scratch_load_b128 v[212:215], v0, off
	scratch_load_b32 v0, off, off offset:1028 ; 4-byte Folded Reload
	s_waitcnt vmcnt(1)
	ds_store_2addr_b64 v252, v[212:213], v[214:215] offset0:108 offset1:109
	s_waitcnt vmcnt(0)
	scratch_load_b128 v[212:215], v0, off
	scratch_load_b32 v0, off, off offset:1024 ; 4-byte Folded Reload
	s_waitcnt vmcnt(1)
	ds_store_2addr_b64 v252, v[212:213], v[214:215] offset0:110 offset1:111
	;; [unrolled: 5-line block ×6, first 2 shown]
	s_waitcnt vmcnt(0)
	scratch_load_b128 v[212:215], v0, off
	s_waitcnt vmcnt(0)
	ds_store_2addr_b64 v252, v[212:213], v[214:215] offset0:120 offset1:121
	scratch_load_b128 v[212:215], v3, off
	s_waitcnt vmcnt(0)
	ds_store_2addr_b64 v252, v[212:213], v[214:215] offset0:122 offset1:123
	;; [unrolled: 3-line block ×3, first 2 shown]
	ds_load_2addr_b64 v[212:215], v254 offset1:1
	s_waitcnt lgkmcnt(0)
	v_cmp_neq_f64_e32 vcc_lo, 0, v[212:213]
	v_cmp_neq_f64_e64 s3, 0, v[214:215]
	s_delay_alu instid0(VALU_DEP_1) | instskip(NEXT) | instid1(SALU_CYCLE_1)
	s_or_b32 s3, vcc_lo, s3
	s_and_b32 exec_lo, exec_lo, s3
	s_cbranch_execz .LBB125_618
; %bb.613:
	v_cmp_gt_f64_e32 vcc_lo, 0, v[212:213]
	v_xor_b32_e32 v0, 0x80000000, v213
	v_xor_b32_e32 v4, 0x80000000, v215
	s_delay_alu instid0(VALU_DEP_2) | instskip(SKIP_2) | instid1(VALU_DEP_4)
	v_cndmask_b32_e32 v1, v213, v0, vcc_lo
	v_cndmask_b32_e32 v0, v212, v212, vcc_lo
	v_cmp_gt_f64_e32 vcc_lo, 0, v[214:215]
	v_dual_cndmask_b32 v5, v215, v4 :: v_dual_cndmask_b32 v4, v214, v214
	s_delay_alu instid0(VALU_DEP_1) | instskip(SKIP_1) | instid1(SALU_CYCLE_1)
	v_cmp_ngt_f64_e32 vcc_lo, v[0:1], v[4:5]
                                        ; implicit-def: $vgpr0_vgpr1
	s_and_saveexec_b32 s3, vcc_lo
	s_xor_b32 s3, exec_lo, s3
                                        ; implicit-def: $vgpr216_vgpr217_vgpr218_vgpr219
	s_cbranch_execz .LBB125_615
; %bb.614:
	v_div_scale_f64 v[0:1], null, v[214:215], v[214:215], v[212:213]
	v_div_scale_f64 v[216:217], vcc_lo, v[212:213], v[214:215], v[212:213]
	s_delay_alu instid0(VALU_DEP_2) | instskip(SKIP_2) | instid1(VALU_DEP_1)
	v_rcp_f64_e32 v[4:5], v[0:1]
	s_waitcnt_depctr 0xfff
	v_fma_f64 v[6:7], -v[0:1], v[4:5], 1.0
	v_fma_f64 v[4:5], v[4:5], v[6:7], v[4:5]
	s_delay_alu instid0(VALU_DEP_1) | instskip(NEXT) | instid1(VALU_DEP_1)
	v_fma_f64 v[6:7], -v[0:1], v[4:5], 1.0
	v_fma_f64 v[4:5], v[4:5], v[6:7], v[4:5]
	s_delay_alu instid0(VALU_DEP_1) | instskip(NEXT) | instid1(VALU_DEP_1)
	v_mul_f64 v[6:7], v[216:217], v[4:5]
	v_fma_f64 v[0:1], -v[0:1], v[6:7], v[216:217]
	s_delay_alu instid0(VALU_DEP_1) | instskip(NEXT) | instid1(VALU_DEP_1)
	v_div_fmas_f64 v[0:1], v[0:1], v[4:5], v[6:7]
	v_div_fixup_f64 v[0:1], v[0:1], v[214:215], v[212:213]
	s_delay_alu instid0(VALU_DEP_1) | instskip(NEXT) | instid1(VALU_DEP_1)
	v_fma_f64 v[4:5], v[212:213], v[0:1], v[214:215]
	v_div_scale_f64 v[6:7], null, v[4:5], v[4:5], 1.0
	s_delay_alu instid0(VALU_DEP_1) | instskip(SKIP_2) | instid1(VALU_DEP_1)
	v_rcp_f64_e32 v[212:213], v[6:7]
	s_waitcnt_depctr 0xfff
	v_fma_f64 v[214:215], -v[6:7], v[212:213], 1.0
	v_fma_f64 v[212:213], v[212:213], v[214:215], v[212:213]
	s_delay_alu instid0(VALU_DEP_1) | instskip(NEXT) | instid1(VALU_DEP_1)
	v_fma_f64 v[214:215], -v[6:7], v[212:213], 1.0
	v_fma_f64 v[212:213], v[212:213], v[214:215], v[212:213]
	v_div_scale_f64 v[214:215], vcc_lo, 1.0, v[4:5], 1.0
	s_delay_alu instid0(VALU_DEP_1) | instskip(NEXT) | instid1(VALU_DEP_1)
	v_mul_f64 v[216:217], v[214:215], v[212:213]
	v_fma_f64 v[6:7], -v[6:7], v[216:217], v[214:215]
	s_delay_alu instid0(VALU_DEP_1) | instskip(NEXT) | instid1(VALU_DEP_1)
	v_div_fmas_f64 v[6:7], v[6:7], v[212:213], v[216:217]
                                        ; implicit-def: $vgpr212_vgpr213
	v_div_fixup_f64 v[218:219], v[6:7], v[4:5], 1.0
	s_delay_alu instid0(VALU_DEP_1)
	v_mul_f64 v[0:1], v[0:1], v[218:219]
	v_xor_b32_e32 v219, 0x80000000, v219
.LBB125_615:
	s_and_not1_saveexec_b32 s3, s3
	s_cbranch_execz .LBB125_617
; %bb.616:
	v_div_scale_f64 v[0:1], null, v[212:213], v[212:213], v[214:215]
	v_div_scale_f64 v[216:217], vcc_lo, v[214:215], v[212:213], v[214:215]
	s_delay_alu instid0(VALU_DEP_2) | instskip(SKIP_2) | instid1(VALU_DEP_1)
	v_rcp_f64_e32 v[4:5], v[0:1]
	s_waitcnt_depctr 0xfff
	v_fma_f64 v[6:7], -v[0:1], v[4:5], 1.0
	v_fma_f64 v[4:5], v[4:5], v[6:7], v[4:5]
	s_delay_alu instid0(VALU_DEP_1) | instskip(NEXT) | instid1(VALU_DEP_1)
	v_fma_f64 v[6:7], -v[0:1], v[4:5], 1.0
	v_fma_f64 v[4:5], v[4:5], v[6:7], v[4:5]
	s_delay_alu instid0(VALU_DEP_1) | instskip(NEXT) | instid1(VALU_DEP_1)
	v_mul_f64 v[6:7], v[216:217], v[4:5]
	v_fma_f64 v[0:1], -v[0:1], v[6:7], v[216:217]
	s_delay_alu instid0(VALU_DEP_1) | instskip(NEXT) | instid1(VALU_DEP_1)
	v_div_fmas_f64 v[0:1], v[0:1], v[4:5], v[6:7]
	v_div_fixup_f64 v[4:5], v[0:1], v[212:213], v[214:215]
	s_delay_alu instid0(VALU_DEP_1) | instskip(NEXT) | instid1(VALU_DEP_1)
	v_fma_f64 v[0:1], v[214:215], v[4:5], v[212:213]
	v_div_scale_f64 v[6:7], null, v[0:1], v[0:1], 1.0
	s_delay_alu instid0(VALU_DEP_1) | instskip(SKIP_2) | instid1(VALU_DEP_1)
	v_rcp_f64_e32 v[212:213], v[6:7]
	s_waitcnt_depctr 0xfff
	v_fma_f64 v[214:215], -v[6:7], v[212:213], 1.0
	v_fma_f64 v[212:213], v[212:213], v[214:215], v[212:213]
	s_delay_alu instid0(VALU_DEP_1) | instskip(NEXT) | instid1(VALU_DEP_1)
	v_fma_f64 v[214:215], -v[6:7], v[212:213], 1.0
	v_fma_f64 v[212:213], v[212:213], v[214:215], v[212:213]
	v_div_scale_f64 v[214:215], vcc_lo, 1.0, v[0:1], 1.0
	s_delay_alu instid0(VALU_DEP_1) | instskip(NEXT) | instid1(VALU_DEP_1)
	v_mul_f64 v[216:217], v[214:215], v[212:213]
	v_fma_f64 v[6:7], -v[6:7], v[216:217], v[214:215]
	s_delay_alu instid0(VALU_DEP_1) | instskip(NEXT) | instid1(VALU_DEP_1)
	v_div_fmas_f64 v[6:7], v[6:7], v[212:213], v[216:217]
	v_div_fixup_f64 v[0:1], v[6:7], v[0:1], 1.0
	s_delay_alu instid0(VALU_DEP_1)
	v_mul_f64 v[218:219], v[4:5], -v[0:1]
.LBB125_617:
	s_or_b32 exec_lo, exec_lo, s3
	ds_store_2addr_b64 v254, v[0:1], v[218:219] offset1:1
.LBB125_618:
	s_or_b32 exec_lo, exec_lo, s4
	s_waitcnt lgkmcnt(0)
	s_barrier
	buffer_gl0_inv
	ds_load_2addr_b64 v[212:215], v254 offset1:1
	s_mov_b32 s3, exec_lo
	v_cmpx_lt_u32_e32 53, v253
	s_cbranch_execz .LBB125_620
; %bb.619:
	scratch_load_b128 v[216:219], off, off offset:848
	s_waitcnt vmcnt(0) lgkmcnt(0)
	v_mul_f64 v[0:1], v[214:215], v[218:219]
	s_delay_alu instid0(VALU_DEP_1) | instskip(SKIP_1) | instid1(VALU_DEP_1)
	v_fma_f64 v[220:221], v[212:213], v[216:217], -v[0:1]
	v_mul_f64 v[0:1], v[212:213], v[218:219]
	v_fma_f64 v[222:223], v[214:215], v[216:217], v[0:1]
	ds_load_2addr_b64 v[216:219], v252 offset0:108 offset1:109
	s_waitcnt lgkmcnt(0)
	v_mul_f64 v[0:1], v[218:219], v[222:223]
	v_mul_f64 v[4:5], v[216:217], v[222:223]
	s_delay_alu instid0(VALU_DEP_2) | instskip(NEXT) | instid1(VALU_DEP_2)
	v_fma_f64 v[0:1], v[216:217], v[220:221], -v[0:1]
	v_fma_f64 v[4:5], v[218:219], v[220:221], v[4:5]
	scratch_load_b128 v[216:219], off, off offset:864
	s_waitcnt vmcnt(0)
	v_add_f64 v[216:217], v[216:217], -v[0:1]
	v_add_f64 v[218:219], v[218:219], -v[4:5]
	s_clause 0x1
	scratch_store_b128 off, v[220:223], off offset:848
	scratch_store_b128 off, v[216:219], off offset:864
	ds_load_2addr_b64 v[216:219], v252 offset0:110 offset1:111
	s_waitcnt lgkmcnt(0)
	v_mul_f64 v[0:1], v[218:219], v[222:223]
	v_mul_f64 v[4:5], v[216:217], v[222:223]
	s_delay_alu instid0(VALU_DEP_2) | instskip(NEXT) | instid1(VALU_DEP_2)
	v_fma_f64 v[0:1], v[216:217], v[220:221], -v[0:1]
	v_fma_f64 v[4:5], v[218:219], v[220:221], v[4:5]
	scratch_load_b128 v[216:219], off, off offset:880
	s_waitcnt vmcnt(0)
	v_add_f64 v[216:217], v[216:217], -v[0:1]
	v_add_f64 v[218:219], v[218:219], -v[4:5]
	scratch_store_b128 off, v[216:219], off offset:880
	ds_load_2addr_b64 v[216:219], v252 offset0:112 offset1:113
	s_waitcnt lgkmcnt(0)
	v_mul_f64 v[0:1], v[218:219], v[222:223]
	v_mul_f64 v[4:5], v[216:217], v[222:223]
	s_delay_alu instid0(VALU_DEP_2) | instskip(NEXT) | instid1(VALU_DEP_2)
	v_fma_f64 v[0:1], v[216:217], v[220:221], -v[0:1]
	v_fma_f64 v[4:5], v[218:219], v[220:221], v[4:5]
	scratch_load_b128 v[216:219], off, off offset:896
	s_waitcnt vmcnt(0)
	v_add_f64 v[216:217], v[216:217], -v[0:1]
	v_add_f64 v[218:219], v[218:219], -v[4:5]
	scratch_store_b128 off, v[216:219], off offset:896
	ds_load_2addr_b64 v[216:219], v252 offset0:114 offset1:115
	s_waitcnt lgkmcnt(0)
	v_mul_f64 v[0:1], v[218:219], v[222:223]
	v_mul_f64 v[4:5], v[216:217], v[222:223]
	s_delay_alu instid0(VALU_DEP_2) | instskip(NEXT) | instid1(VALU_DEP_2)
	v_fma_f64 v[0:1], v[216:217], v[220:221], -v[0:1]
	v_fma_f64 v[4:5], v[218:219], v[220:221], v[4:5]
	scratch_load_b128 v[216:219], off, off offset:912
	s_waitcnt vmcnt(0)
	v_add_f64 v[216:217], v[216:217], -v[0:1]
	v_add_f64 v[218:219], v[218:219], -v[4:5]
	scratch_store_b128 off, v[216:219], off offset:912
	ds_load_2addr_b64 v[216:219], v252 offset0:116 offset1:117
	s_waitcnt lgkmcnt(0)
	v_mul_f64 v[0:1], v[218:219], v[222:223]
	v_mul_f64 v[4:5], v[216:217], v[222:223]
	s_delay_alu instid0(VALU_DEP_2) | instskip(NEXT) | instid1(VALU_DEP_2)
	v_fma_f64 v[0:1], v[216:217], v[220:221], -v[0:1]
	v_fma_f64 v[4:5], v[218:219], v[220:221], v[4:5]
	scratch_load_b128 v[216:219], off, off offset:928
	s_waitcnt vmcnt(0)
	v_add_f64 v[216:217], v[216:217], -v[0:1]
	v_add_f64 v[218:219], v[218:219], -v[4:5]
	scratch_store_b128 off, v[216:219], off offset:928
	ds_load_2addr_b64 v[216:219], v252 offset0:118 offset1:119
	s_waitcnt lgkmcnt(0)
	v_mul_f64 v[0:1], v[218:219], v[222:223]
	v_mul_f64 v[4:5], v[216:217], v[222:223]
	s_delay_alu instid0(VALU_DEP_2) | instskip(NEXT) | instid1(VALU_DEP_2)
	v_fma_f64 v[0:1], v[216:217], v[220:221], -v[0:1]
	v_fma_f64 v[4:5], v[218:219], v[220:221], v[4:5]
	s_clause 0x1
	scratch_load_b128 v[216:219], off, off offset:944
	scratch_load_b128 v[220:223], off, off offset:848
	s_waitcnt vmcnt(1)
	v_add_f64 v[216:217], v[216:217], -v[0:1]
	v_add_f64 v[218:219], v[218:219], -v[4:5]
	scratch_store_b128 off, v[216:219], off offset:944
	ds_load_2addr_b64 v[216:219], v252 offset0:120 offset1:121
	s_waitcnt vmcnt(0) lgkmcnt(0)
	v_mul_f64 v[0:1], v[218:219], v[222:223]
	v_mul_f64 v[4:5], v[216:217], v[222:223]
	s_delay_alu instid0(VALU_DEP_2) | instskip(NEXT) | instid1(VALU_DEP_2)
	v_fma_f64 v[0:1], v[216:217], v[220:221], -v[0:1]
	v_fma_f64 v[4:5], v[218:219], v[220:221], v[4:5]
	scratch_load_b128 v[216:219], off, off offset:960
	s_waitcnt vmcnt(0)
	v_add_f64 v[216:217], v[216:217], -v[0:1]
	v_add_f64 v[218:219], v[218:219], -v[4:5]
	scratch_store_b128 off, v[216:219], off offset:960
	ds_load_2addr_b64 v[216:219], v252 offset0:122 offset1:123
	s_waitcnt lgkmcnt(0)
	v_mul_f64 v[0:1], v[218:219], v[222:223]
	v_mul_f64 v[4:5], v[216:217], v[222:223]
	s_delay_alu instid0(VALU_DEP_2) | instskip(NEXT) | instid1(VALU_DEP_2)
	v_fma_f64 v[0:1], v[216:217], v[220:221], -v[0:1]
	v_fma_f64 v[4:5], v[218:219], v[220:221], v[4:5]
	scratch_load_b128 v[216:219], off, off offset:976
	s_waitcnt vmcnt(0)
	v_add_f64 v[216:217], v[216:217], -v[0:1]
	v_add_f64 v[218:219], v[218:219], -v[4:5]
	scratch_store_b128 off, v[216:219], off offset:976
	ds_load_2addr_b64 v[216:219], v252 offset0:124 offset1:125
	s_waitcnt lgkmcnt(0)
	v_mul_f64 v[0:1], v[218:219], v[222:223]
	v_mul_f64 v[4:5], v[216:217], v[222:223]
	s_delay_alu instid0(VALU_DEP_2) | instskip(NEXT) | instid1(VALU_DEP_2)
	v_fma_f64 v[0:1], v[216:217], v[220:221], -v[0:1]
	v_fma_f64 v[4:5], v[218:219], v[220:221], v[4:5]
	scratch_load_b128 v[216:219], off, off offset:992
	s_waitcnt vmcnt(0)
	v_add_f64 v[216:217], v[216:217], -v[0:1]
	v_add_f64 v[218:219], v[218:219], -v[4:5]
	scratch_store_b128 off, v[216:219], off offset:992
.LBB125_620:
	s_or_b32 exec_lo, exec_lo, s3
	s_delay_alu instid0(SALU_CYCLE_1)
	s_mov_b32 s4, exec_lo
	s_waitcnt lgkmcnt(0)
	s_waitcnt_vscnt null, 0x0
	s_barrier
	buffer_gl0_inv
	v_cmpx_eq_u32_e32 54, v253
	s_cbranch_execz .LBB125_627
; %bb.621:
	scratch_load_b32 v0, off, off offset:1032 ; 4-byte Folded Reload
	s_waitcnt vmcnt(0)
	scratch_load_b128 v[216:219], v0, off
	scratch_load_b32 v0, off, off offset:1028 ; 4-byte Folded Reload
	s_waitcnt vmcnt(1)
	ds_store_2addr_b64 v254, v[216:217], v[218:219] offset1:1
	s_waitcnt vmcnt(0)
	scratch_load_b128 v[216:219], v0, off
	scratch_load_b32 v0, off, off offset:1024 ; 4-byte Folded Reload
	s_waitcnt vmcnt(1)
	ds_store_2addr_b64 v252, v[216:217], v[218:219] offset0:110 offset1:111
	s_waitcnt vmcnt(0)
	scratch_load_b128 v[216:219], v0, off
	scratch_load_b32 v0, off, off offset:1020 ; 4-byte Folded Reload
	s_waitcnt vmcnt(1)
	ds_store_2addr_b64 v252, v[216:217], v[218:219] offset0:112 offset1:113
	;; [unrolled: 5-line block ×5, first 2 shown]
	s_waitcnt vmcnt(0)
	scratch_load_b128 v[216:219], v0, off
	s_waitcnt vmcnt(0)
	ds_store_2addr_b64 v252, v[216:217], v[218:219] offset0:120 offset1:121
	scratch_load_b128 v[216:219], v3, off
	s_waitcnt vmcnt(0)
	ds_store_2addr_b64 v252, v[216:217], v[218:219] offset0:122 offset1:123
	;; [unrolled: 3-line block ×3, first 2 shown]
	ds_load_2addr_b64 v[216:219], v254 offset1:1
	s_waitcnt lgkmcnt(0)
	v_cmp_neq_f64_e32 vcc_lo, 0, v[216:217]
	v_cmp_neq_f64_e64 s3, 0, v[218:219]
	s_delay_alu instid0(VALU_DEP_1) | instskip(NEXT) | instid1(SALU_CYCLE_1)
	s_or_b32 s3, vcc_lo, s3
	s_and_b32 exec_lo, exec_lo, s3
	s_cbranch_execz .LBB125_627
; %bb.622:
	v_cmp_gt_f64_e32 vcc_lo, 0, v[216:217]
	v_xor_b32_e32 v0, 0x80000000, v217
	v_xor_b32_e32 v4, 0x80000000, v219
	s_delay_alu instid0(VALU_DEP_2) | instskip(SKIP_2) | instid1(VALU_DEP_4)
	v_cndmask_b32_e32 v1, v217, v0, vcc_lo
	v_cndmask_b32_e32 v0, v216, v216, vcc_lo
	v_cmp_gt_f64_e32 vcc_lo, 0, v[218:219]
	v_dual_cndmask_b32 v5, v219, v4 :: v_dual_cndmask_b32 v4, v218, v218
	s_delay_alu instid0(VALU_DEP_1) | instskip(SKIP_1) | instid1(SALU_CYCLE_1)
	v_cmp_ngt_f64_e32 vcc_lo, v[0:1], v[4:5]
                                        ; implicit-def: $vgpr0_vgpr1
	s_and_saveexec_b32 s3, vcc_lo
	s_xor_b32 s3, exec_lo, s3
                                        ; implicit-def: $vgpr220_vgpr221_vgpr222_vgpr223
	s_cbranch_execz .LBB125_624
; %bb.623:
	v_div_scale_f64 v[0:1], null, v[218:219], v[218:219], v[216:217]
	v_div_scale_f64 v[220:221], vcc_lo, v[216:217], v[218:219], v[216:217]
	s_delay_alu instid0(VALU_DEP_2) | instskip(SKIP_2) | instid1(VALU_DEP_1)
	v_rcp_f64_e32 v[4:5], v[0:1]
	s_waitcnt_depctr 0xfff
	v_fma_f64 v[6:7], -v[0:1], v[4:5], 1.0
	v_fma_f64 v[4:5], v[4:5], v[6:7], v[4:5]
	s_delay_alu instid0(VALU_DEP_1) | instskip(NEXT) | instid1(VALU_DEP_1)
	v_fma_f64 v[6:7], -v[0:1], v[4:5], 1.0
	v_fma_f64 v[4:5], v[4:5], v[6:7], v[4:5]
	s_delay_alu instid0(VALU_DEP_1) | instskip(NEXT) | instid1(VALU_DEP_1)
	v_mul_f64 v[6:7], v[220:221], v[4:5]
	v_fma_f64 v[0:1], -v[0:1], v[6:7], v[220:221]
	s_delay_alu instid0(VALU_DEP_1) | instskip(NEXT) | instid1(VALU_DEP_1)
	v_div_fmas_f64 v[0:1], v[0:1], v[4:5], v[6:7]
	v_div_fixup_f64 v[0:1], v[0:1], v[218:219], v[216:217]
	s_delay_alu instid0(VALU_DEP_1) | instskip(NEXT) | instid1(VALU_DEP_1)
	v_fma_f64 v[4:5], v[216:217], v[0:1], v[218:219]
	v_div_scale_f64 v[6:7], null, v[4:5], v[4:5], 1.0
	s_delay_alu instid0(VALU_DEP_1) | instskip(SKIP_2) | instid1(VALU_DEP_1)
	v_rcp_f64_e32 v[216:217], v[6:7]
	s_waitcnt_depctr 0xfff
	v_fma_f64 v[218:219], -v[6:7], v[216:217], 1.0
	v_fma_f64 v[216:217], v[216:217], v[218:219], v[216:217]
	s_delay_alu instid0(VALU_DEP_1) | instskip(NEXT) | instid1(VALU_DEP_1)
	v_fma_f64 v[218:219], -v[6:7], v[216:217], 1.0
	v_fma_f64 v[216:217], v[216:217], v[218:219], v[216:217]
	v_div_scale_f64 v[218:219], vcc_lo, 1.0, v[4:5], 1.0
	s_delay_alu instid0(VALU_DEP_1) | instskip(NEXT) | instid1(VALU_DEP_1)
	v_mul_f64 v[220:221], v[218:219], v[216:217]
	v_fma_f64 v[6:7], -v[6:7], v[220:221], v[218:219]
	s_delay_alu instid0(VALU_DEP_1) | instskip(NEXT) | instid1(VALU_DEP_1)
	v_div_fmas_f64 v[6:7], v[6:7], v[216:217], v[220:221]
                                        ; implicit-def: $vgpr216_vgpr217
	v_div_fixup_f64 v[222:223], v[6:7], v[4:5], 1.0
	s_delay_alu instid0(VALU_DEP_1)
	v_mul_f64 v[0:1], v[0:1], v[222:223]
	v_xor_b32_e32 v223, 0x80000000, v223
.LBB125_624:
	s_and_not1_saveexec_b32 s3, s3
	s_cbranch_execz .LBB125_626
; %bb.625:
	v_div_scale_f64 v[0:1], null, v[216:217], v[216:217], v[218:219]
	v_div_scale_f64 v[220:221], vcc_lo, v[218:219], v[216:217], v[218:219]
	s_delay_alu instid0(VALU_DEP_2) | instskip(SKIP_2) | instid1(VALU_DEP_1)
	v_rcp_f64_e32 v[4:5], v[0:1]
	s_waitcnt_depctr 0xfff
	v_fma_f64 v[6:7], -v[0:1], v[4:5], 1.0
	v_fma_f64 v[4:5], v[4:5], v[6:7], v[4:5]
	s_delay_alu instid0(VALU_DEP_1) | instskip(NEXT) | instid1(VALU_DEP_1)
	v_fma_f64 v[6:7], -v[0:1], v[4:5], 1.0
	v_fma_f64 v[4:5], v[4:5], v[6:7], v[4:5]
	s_delay_alu instid0(VALU_DEP_1) | instskip(NEXT) | instid1(VALU_DEP_1)
	v_mul_f64 v[6:7], v[220:221], v[4:5]
	v_fma_f64 v[0:1], -v[0:1], v[6:7], v[220:221]
	s_delay_alu instid0(VALU_DEP_1) | instskip(NEXT) | instid1(VALU_DEP_1)
	v_div_fmas_f64 v[0:1], v[0:1], v[4:5], v[6:7]
	v_div_fixup_f64 v[4:5], v[0:1], v[216:217], v[218:219]
	s_delay_alu instid0(VALU_DEP_1) | instskip(NEXT) | instid1(VALU_DEP_1)
	v_fma_f64 v[0:1], v[218:219], v[4:5], v[216:217]
	v_div_scale_f64 v[6:7], null, v[0:1], v[0:1], 1.0
	s_delay_alu instid0(VALU_DEP_1) | instskip(SKIP_2) | instid1(VALU_DEP_1)
	v_rcp_f64_e32 v[216:217], v[6:7]
	s_waitcnt_depctr 0xfff
	v_fma_f64 v[218:219], -v[6:7], v[216:217], 1.0
	v_fma_f64 v[216:217], v[216:217], v[218:219], v[216:217]
	s_delay_alu instid0(VALU_DEP_1) | instskip(NEXT) | instid1(VALU_DEP_1)
	v_fma_f64 v[218:219], -v[6:7], v[216:217], 1.0
	v_fma_f64 v[216:217], v[216:217], v[218:219], v[216:217]
	v_div_scale_f64 v[218:219], vcc_lo, 1.0, v[0:1], 1.0
	s_delay_alu instid0(VALU_DEP_1) | instskip(NEXT) | instid1(VALU_DEP_1)
	v_mul_f64 v[220:221], v[218:219], v[216:217]
	v_fma_f64 v[6:7], -v[6:7], v[220:221], v[218:219]
	s_delay_alu instid0(VALU_DEP_1) | instskip(NEXT) | instid1(VALU_DEP_1)
	v_div_fmas_f64 v[6:7], v[6:7], v[216:217], v[220:221]
	v_div_fixup_f64 v[0:1], v[6:7], v[0:1], 1.0
	s_delay_alu instid0(VALU_DEP_1)
	v_mul_f64 v[222:223], v[4:5], -v[0:1]
.LBB125_626:
	s_or_b32 exec_lo, exec_lo, s3
	ds_store_2addr_b64 v254, v[0:1], v[222:223] offset1:1
.LBB125_627:
	s_or_b32 exec_lo, exec_lo, s4
	s_waitcnt lgkmcnt(0)
	s_barrier
	buffer_gl0_inv
	ds_load_2addr_b64 v[216:219], v254 offset1:1
	s_mov_b32 s3, exec_lo
	v_cmpx_lt_u32_e32 54, v253
	s_cbranch_execz .LBB125_629
; %bb.628:
	scratch_load_b128 v[220:223], off, off offset:864
	s_waitcnt vmcnt(0) lgkmcnt(0)
	v_mul_f64 v[0:1], v[218:219], v[222:223]
	s_delay_alu instid0(VALU_DEP_1) | instskip(SKIP_1) | instid1(VALU_DEP_1)
	v_fma_f64 v[224:225], v[216:217], v[220:221], -v[0:1]
	v_mul_f64 v[0:1], v[216:217], v[222:223]
	v_fma_f64 v[226:227], v[218:219], v[220:221], v[0:1]
	ds_load_2addr_b64 v[220:223], v252 offset0:110 offset1:111
	s_waitcnt lgkmcnt(0)
	v_mul_f64 v[0:1], v[222:223], v[226:227]
	v_mul_f64 v[4:5], v[220:221], v[226:227]
	s_delay_alu instid0(VALU_DEP_2) | instskip(NEXT) | instid1(VALU_DEP_2)
	v_fma_f64 v[0:1], v[220:221], v[224:225], -v[0:1]
	v_fma_f64 v[4:5], v[222:223], v[224:225], v[4:5]
	scratch_load_b128 v[220:223], off, off offset:880
	s_waitcnt vmcnt(0)
	v_add_f64 v[220:221], v[220:221], -v[0:1]
	v_add_f64 v[222:223], v[222:223], -v[4:5]
	s_clause 0x1
	scratch_store_b128 off, v[224:227], off offset:864
	scratch_store_b128 off, v[220:223], off offset:880
	ds_load_2addr_b64 v[220:223], v252 offset0:112 offset1:113
	s_waitcnt lgkmcnt(0)
	v_mul_f64 v[0:1], v[222:223], v[226:227]
	v_mul_f64 v[4:5], v[220:221], v[226:227]
	s_delay_alu instid0(VALU_DEP_2) | instskip(NEXT) | instid1(VALU_DEP_2)
	v_fma_f64 v[0:1], v[220:221], v[224:225], -v[0:1]
	v_fma_f64 v[4:5], v[222:223], v[224:225], v[4:5]
	scratch_load_b128 v[220:223], off, off offset:896
	s_waitcnt vmcnt(0)
	v_add_f64 v[220:221], v[220:221], -v[0:1]
	v_add_f64 v[222:223], v[222:223], -v[4:5]
	scratch_store_b128 off, v[220:223], off offset:896
	ds_load_2addr_b64 v[220:223], v252 offset0:114 offset1:115
	s_waitcnt lgkmcnt(0)
	v_mul_f64 v[0:1], v[222:223], v[226:227]
	v_mul_f64 v[4:5], v[220:221], v[226:227]
	s_delay_alu instid0(VALU_DEP_2) | instskip(NEXT) | instid1(VALU_DEP_2)
	v_fma_f64 v[0:1], v[220:221], v[224:225], -v[0:1]
	v_fma_f64 v[4:5], v[222:223], v[224:225], v[4:5]
	scratch_load_b128 v[220:223], off, off offset:912
	s_waitcnt vmcnt(0)
	v_add_f64 v[220:221], v[220:221], -v[0:1]
	v_add_f64 v[222:223], v[222:223], -v[4:5]
	;; [unrolled: 12-line block ×4, first 2 shown]
	scratch_store_b128 off, v[220:223], off offset:944
	ds_load_2addr_b64 v[220:223], v252 offset0:120 offset1:121
	s_waitcnt lgkmcnt(0)
	v_mul_f64 v[0:1], v[222:223], v[226:227]
	v_mul_f64 v[4:5], v[220:221], v[226:227]
	s_delay_alu instid0(VALU_DEP_2) | instskip(NEXT) | instid1(VALU_DEP_2)
	v_fma_f64 v[0:1], v[220:221], v[224:225], -v[0:1]
	v_fma_f64 v[4:5], v[222:223], v[224:225], v[4:5]
	s_clause 0x1
	scratch_load_b128 v[220:223], off, off offset:960
	scratch_load_b128 v[224:227], off, off offset:864
	s_waitcnt vmcnt(1)
	v_add_f64 v[220:221], v[220:221], -v[0:1]
	v_add_f64 v[222:223], v[222:223], -v[4:5]
	scratch_store_b128 off, v[220:223], off offset:960
	ds_load_2addr_b64 v[220:223], v252 offset0:122 offset1:123
	s_waitcnt vmcnt(0) lgkmcnt(0)
	v_mul_f64 v[0:1], v[222:223], v[226:227]
	v_mul_f64 v[4:5], v[220:221], v[226:227]
	s_delay_alu instid0(VALU_DEP_2) | instskip(NEXT) | instid1(VALU_DEP_2)
	v_fma_f64 v[0:1], v[220:221], v[224:225], -v[0:1]
	v_fma_f64 v[4:5], v[222:223], v[224:225], v[4:5]
	scratch_load_b128 v[220:223], off, off offset:976
	s_waitcnt vmcnt(0)
	v_add_f64 v[220:221], v[220:221], -v[0:1]
	v_add_f64 v[222:223], v[222:223], -v[4:5]
	scratch_store_b128 off, v[220:223], off offset:976
	ds_load_2addr_b64 v[220:223], v252 offset0:124 offset1:125
	s_waitcnt lgkmcnt(0)
	v_mul_f64 v[0:1], v[222:223], v[226:227]
	v_mul_f64 v[4:5], v[220:221], v[226:227]
	s_delay_alu instid0(VALU_DEP_2) | instskip(NEXT) | instid1(VALU_DEP_2)
	v_fma_f64 v[0:1], v[220:221], v[224:225], -v[0:1]
	v_fma_f64 v[4:5], v[222:223], v[224:225], v[4:5]
	scratch_load_b128 v[220:223], off, off offset:992
	s_waitcnt vmcnt(0)
	v_add_f64 v[220:221], v[220:221], -v[0:1]
	v_add_f64 v[222:223], v[222:223], -v[4:5]
	scratch_store_b128 off, v[220:223], off offset:992
.LBB125_629:
	s_or_b32 exec_lo, exec_lo, s3
	s_delay_alu instid0(SALU_CYCLE_1)
	s_mov_b32 s4, exec_lo
	s_waitcnt lgkmcnt(0)
	s_waitcnt_vscnt null, 0x0
	s_barrier
	buffer_gl0_inv
	v_cmpx_eq_u32_e32 55, v253
	s_cbranch_execz .LBB125_636
; %bb.630:
	scratch_load_b32 v0, off, off offset:1028 ; 4-byte Folded Reload
	s_waitcnt vmcnt(0)
	scratch_load_b128 v[220:223], v0, off
	scratch_load_b32 v0, off, off offset:1024 ; 4-byte Folded Reload
	s_waitcnt vmcnt(1)
	ds_store_2addr_b64 v254, v[220:221], v[222:223] offset1:1
	s_waitcnt vmcnt(0)
	scratch_load_b128 v[220:223], v0, off
	scratch_load_b32 v0, off, off offset:1020 ; 4-byte Folded Reload
	s_waitcnt vmcnt(1)
	ds_store_2addr_b64 v252, v[220:221], v[222:223] offset0:112 offset1:113
	s_waitcnt vmcnt(0)
	scratch_load_b128 v[220:223], v0, off
	scratch_load_b32 v0, off, off offset:1016 ; 4-byte Folded Reload
	s_waitcnt vmcnt(1)
	ds_store_2addr_b64 v252, v[220:221], v[222:223] offset0:114 offset1:115
	;; [unrolled: 5-line block ×4, first 2 shown]
	s_waitcnt vmcnt(0)
	scratch_load_b128 v[220:223], v0, off
	s_waitcnt vmcnt(0)
	ds_store_2addr_b64 v252, v[220:221], v[222:223] offset0:120 offset1:121
	scratch_load_b128 v[220:223], v3, off
	s_waitcnt vmcnt(0)
	ds_store_2addr_b64 v252, v[220:221], v[222:223] offset0:122 offset1:123
	;; [unrolled: 3-line block ×3, first 2 shown]
	ds_load_2addr_b64 v[220:223], v254 offset1:1
	s_waitcnt lgkmcnt(0)
	v_cmp_neq_f64_e32 vcc_lo, 0, v[220:221]
	v_cmp_neq_f64_e64 s3, 0, v[222:223]
	s_delay_alu instid0(VALU_DEP_1) | instskip(NEXT) | instid1(SALU_CYCLE_1)
	s_or_b32 s3, vcc_lo, s3
	s_and_b32 exec_lo, exec_lo, s3
	s_cbranch_execz .LBB125_636
; %bb.631:
	v_cmp_gt_f64_e32 vcc_lo, 0, v[220:221]
	v_xor_b32_e32 v0, 0x80000000, v221
	v_xor_b32_e32 v4, 0x80000000, v223
	s_delay_alu instid0(VALU_DEP_2) | instskip(SKIP_2) | instid1(VALU_DEP_4)
	v_cndmask_b32_e32 v1, v221, v0, vcc_lo
	v_cndmask_b32_e32 v0, v220, v220, vcc_lo
	v_cmp_gt_f64_e32 vcc_lo, 0, v[222:223]
	v_dual_cndmask_b32 v5, v223, v4 :: v_dual_cndmask_b32 v4, v222, v222
	s_delay_alu instid0(VALU_DEP_1) | instskip(SKIP_1) | instid1(SALU_CYCLE_1)
	v_cmp_ngt_f64_e32 vcc_lo, v[0:1], v[4:5]
                                        ; implicit-def: $vgpr0_vgpr1
	s_and_saveexec_b32 s3, vcc_lo
	s_xor_b32 s3, exec_lo, s3
                                        ; implicit-def: $vgpr224_vgpr225_vgpr226_vgpr227
	s_cbranch_execz .LBB125_633
; %bb.632:
	v_div_scale_f64 v[0:1], null, v[222:223], v[222:223], v[220:221]
	v_div_scale_f64 v[224:225], vcc_lo, v[220:221], v[222:223], v[220:221]
	s_delay_alu instid0(VALU_DEP_2) | instskip(SKIP_2) | instid1(VALU_DEP_1)
	v_rcp_f64_e32 v[4:5], v[0:1]
	s_waitcnt_depctr 0xfff
	v_fma_f64 v[6:7], -v[0:1], v[4:5], 1.0
	v_fma_f64 v[4:5], v[4:5], v[6:7], v[4:5]
	s_delay_alu instid0(VALU_DEP_1) | instskip(NEXT) | instid1(VALU_DEP_1)
	v_fma_f64 v[6:7], -v[0:1], v[4:5], 1.0
	v_fma_f64 v[4:5], v[4:5], v[6:7], v[4:5]
	s_delay_alu instid0(VALU_DEP_1) | instskip(NEXT) | instid1(VALU_DEP_1)
	v_mul_f64 v[6:7], v[224:225], v[4:5]
	v_fma_f64 v[0:1], -v[0:1], v[6:7], v[224:225]
	s_delay_alu instid0(VALU_DEP_1) | instskip(NEXT) | instid1(VALU_DEP_1)
	v_div_fmas_f64 v[0:1], v[0:1], v[4:5], v[6:7]
	v_div_fixup_f64 v[0:1], v[0:1], v[222:223], v[220:221]
	s_delay_alu instid0(VALU_DEP_1) | instskip(NEXT) | instid1(VALU_DEP_1)
	v_fma_f64 v[4:5], v[220:221], v[0:1], v[222:223]
	v_div_scale_f64 v[6:7], null, v[4:5], v[4:5], 1.0
	s_delay_alu instid0(VALU_DEP_1) | instskip(SKIP_2) | instid1(VALU_DEP_1)
	v_rcp_f64_e32 v[220:221], v[6:7]
	s_waitcnt_depctr 0xfff
	v_fma_f64 v[222:223], -v[6:7], v[220:221], 1.0
	v_fma_f64 v[220:221], v[220:221], v[222:223], v[220:221]
	s_delay_alu instid0(VALU_DEP_1) | instskip(NEXT) | instid1(VALU_DEP_1)
	v_fma_f64 v[222:223], -v[6:7], v[220:221], 1.0
	v_fma_f64 v[220:221], v[220:221], v[222:223], v[220:221]
	v_div_scale_f64 v[222:223], vcc_lo, 1.0, v[4:5], 1.0
	s_delay_alu instid0(VALU_DEP_1) | instskip(NEXT) | instid1(VALU_DEP_1)
	v_mul_f64 v[224:225], v[222:223], v[220:221]
	v_fma_f64 v[6:7], -v[6:7], v[224:225], v[222:223]
	s_delay_alu instid0(VALU_DEP_1) | instskip(NEXT) | instid1(VALU_DEP_1)
	v_div_fmas_f64 v[6:7], v[6:7], v[220:221], v[224:225]
                                        ; implicit-def: $vgpr220_vgpr221
	v_div_fixup_f64 v[226:227], v[6:7], v[4:5], 1.0
	s_delay_alu instid0(VALU_DEP_1)
	v_mul_f64 v[0:1], v[0:1], v[226:227]
	v_xor_b32_e32 v227, 0x80000000, v227
.LBB125_633:
	s_and_not1_saveexec_b32 s3, s3
	s_cbranch_execz .LBB125_635
; %bb.634:
	v_div_scale_f64 v[0:1], null, v[220:221], v[220:221], v[222:223]
	v_div_scale_f64 v[224:225], vcc_lo, v[222:223], v[220:221], v[222:223]
	s_delay_alu instid0(VALU_DEP_2) | instskip(SKIP_2) | instid1(VALU_DEP_1)
	v_rcp_f64_e32 v[4:5], v[0:1]
	s_waitcnt_depctr 0xfff
	v_fma_f64 v[6:7], -v[0:1], v[4:5], 1.0
	v_fma_f64 v[4:5], v[4:5], v[6:7], v[4:5]
	s_delay_alu instid0(VALU_DEP_1) | instskip(NEXT) | instid1(VALU_DEP_1)
	v_fma_f64 v[6:7], -v[0:1], v[4:5], 1.0
	v_fma_f64 v[4:5], v[4:5], v[6:7], v[4:5]
	s_delay_alu instid0(VALU_DEP_1) | instskip(NEXT) | instid1(VALU_DEP_1)
	v_mul_f64 v[6:7], v[224:225], v[4:5]
	v_fma_f64 v[0:1], -v[0:1], v[6:7], v[224:225]
	s_delay_alu instid0(VALU_DEP_1) | instskip(NEXT) | instid1(VALU_DEP_1)
	v_div_fmas_f64 v[0:1], v[0:1], v[4:5], v[6:7]
	v_div_fixup_f64 v[4:5], v[0:1], v[220:221], v[222:223]
	s_delay_alu instid0(VALU_DEP_1) | instskip(NEXT) | instid1(VALU_DEP_1)
	v_fma_f64 v[0:1], v[222:223], v[4:5], v[220:221]
	v_div_scale_f64 v[6:7], null, v[0:1], v[0:1], 1.0
	s_delay_alu instid0(VALU_DEP_1) | instskip(SKIP_2) | instid1(VALU_DEP_1)
	v_rcp_f64_e32 v[220:221], v[6:7]
	s_waitcnt_depctr 0xfff
	v_fma_f64 v[222:223], -v[6:7], v[220:221], 1.0
	v_fma_f64 v[220:221], v[220:221], v[222:223], v[220:221]
	s_delay_alu instid0(VALU_DEP_1) | instskip(NEXT) | instid1(VALU_DEP_1)
	v_fma_f64 v[222:223], -v[6:7], v[220:221], 1.0
	v_fma_f64 v[220:221], v[220:221], v[222:223], v[220:221]
	v_div_scale_f64 v[222:223], vcc_lo, 1.0, v[0:1], 1.0
	s_delay_alu instid0(VALU_DEP_1) | instskip(NEXT) | instid1(VALU_DEP_1)
	v_mul_f64 v[224:225], v[222:223], v[220:221]
	v_fma_f64 v[6:7], -v[6:7], v[224:225], v[222:223]
	s_delay_alu instid0(VALU_DEP_1) | instskip(NEXT) | instid1(VALU_DEP_1)
	v_div_fmas_f64 v[6:7], v[6:7], v[220:221], v[224:225]
	v_div_fixup_f64 v[0:1], v[6:7], v[0:1], 1.0
	s_delay_alu instid0(VALU_DEP_1)
	v_mul_f64 v[226:227], v[4:5], -v[0:1]
.LBB125_635:
	s_or_b32 exec_lo, exec_lo, s3
	ds_store_2addr_b64 v254, v[0:1], v[226:227] offset1:1
.LBB125_636:
	s_or_b32 exec_lo, exec_lo, s4
	s_waitcnt lgkmcnt(0)
	s_barrier
	buffer_gl0_inv
	ds_load_2addr_b64 v[220:223], v254 offset1:1
	s_mov_b32 s3, exec_lo
	v_cmpx_lt_u32_e32 55, v253
	s_cbranch_execz .LBB125_638
; %bb.637:
	scratch_load_b128 v[224:227], off, off offset:880
	s_waitcnt vmcnt(0) lgkmcnt(0)
	v_mul_f64 v[0:1], v[222:223], v[226:227]
	s_delay_alu instid0(VALU_DEP_1) | instskip(SKIP_1) | instid1(VALU_DEP_1)
	v_fma_f64 v[228:229], v[220:221], v[224:225], -v[0:1]
	v_mul_f64 v[0:1], v[220:221], v[226:227]
	v_fma_f64 v[230:231], v[222:223], v[224:225], v[0:1]
	ds_load_2addr_b64 v[224:227], v252 offset0:112 offset1:113
	s_waitcnt lgkmcnt(0)
	v_mul_f64 v[0:1], v[226:227], v[230:231]
	v_mul_f64 v[4:5], v[224:225], v[230:231]
	s_delay_alu instid0(VALU_DEP_2) | instskip(NEXT) | instid1(VALU_DEP_2)
	v_fma_f64 v[0:1], v[224:225], v[228:229], -v[0:1]
	v_fma_f64 v[4:5], v[226:227], v[228:229], v[4:5]
	scratch_load_b128 v[224:227], off, off offset:896
	s_waitcnt vmcnt(0)
	v_add_f64 v[224:225], v[224:225], -v[0:1]
	v_add_f64 v[226:227], v[226:227], -v[4:5]
	s_clause 0x1
	scratch_store_b128 off, v[228:231], off offset:880
	scratch_store_b128 off, v[224:227], off offset:896
	ds_load_2addr_b64 v[224:227], v252 offset0:114 offset1:115
	s_waitcnt lgkmcnt(0)
	v_mul_f64 v[0:1], v[226:227], v[230:231]
	v_mul_f64 v[4:5], v[224:225], v[230:231]
	s_delay_alu instid0(VALU_DEP_2) | instskip(NEXT) | instid1(VALU_DEP_2)
	v_fma_f64 v[0:1], v[224:225], v[228:229], -v[0:1]
	v_fma_f64 v[4:5], v[226:227], v[228:229], v[4:5]
	scratch_load_b128 v[224:227], off, off offset:912
	s_waitcnt vmcnt(0)
	v_add_f64 v[224:225], v[224:225], -v[0:1]
	v_add_f64 v[226:227], v[226:227], -v[4:5]
	scratch_store_b128 off, v[224:227], off offset:912
	ds_load_2addr_b64 v[224:227], v252 offset0:116 offset1:117
	s_waitcnt lgkmcnt(0)
	v_mul_f64 v[0:1], v[226:227], v[230:231]
	v_mul_f64 v[4:5], v[224:225], v[230:231]
	s_delay_alu instid0(VALU_DEP_2) | instskip(NEXT) | instid1(VALU_DEP_2)
	v_fma_f64 v[0:1], v[224:225], v[228:229], -v[0:1]
	v_fma_f64 v[4:5], v[226:227], v[228:229], v[4:5]
	scratch_load_b128 v[224:227], off, off offset:928
	s_waitcnt vmcnt(0)
	v_add_f64 v[224:225], v[224:225], -v[0:1]
	v_add_f64 v[226:227], v[226:227], -v[4:5]
	;; [unrolled: 12-line block ×4, first 2 shown]
	scratch_store_b128 off, v[224:227], off offset:960
	ds_load_2addr_b64 v[224:227], v252 offset0:122 offset1:123
	s_waitcnt lgkmcnt(0)
	v_mul_f64 v[0:1], v[226:227], v[230:231]
	v_mul_f64 v[4:5], v[224:225], v[230:231]
	s_delay_alu instid0(VALU_DEP_2) | instskip(NEXT) | instid1(VALU_DEP_2)
	v_fma_f64 v[0:1], v[224:225], v[228:229], -v[0:1]
	v_fma_f64 v[4:5], v[226:227], v[228:229], v[4:5]
	s_clause 0x1
	scratch_load_b128 v[224:227], off, off offset:976
	scratch_load_b128 v[228:231], off, off offset:880
	s_waitcnt vmcnt(1)
	v_add_f64 v[224:225], v[224:225], -v[0:1]
	v_add_f64 v[226:227], v[226:227], -v[4:5]
	scratch_store_b128 off, v[224:227], off offset:976
	ds_load_2addr_b64 v[224:227], v252 offset0:124 offset1:125
	s_waitcnt vmcnt(0) lgkmcnt(0)
	v_mul_f64 v[0:1], v[226:227], v[230:231]
	v_mul_f64 v[4:5], v[224:225], v[230:231]
	s_delay_alu instid0(VALU_DEP_2) | instskip(NEXT) | instid1(VALU_DEP_2)
	v_fma_f64 v[0:1], v[224:225], v[228:229], -v[0:1]
	v_fma_f64 v[4:5], v[226:227], v[228:229], v[4:5]
	scratch_load_b128 v[224:227], off, off offset:992
	s_waitcnt vmcnt(0)
	v_add_f64 v[224:225], v[224:225], -v[0:1]
	v_add_f64 v[226:227], v[226:227], -v[4:5]
	scratch_store_b128 off, v[224:227], off offset:992
.LBB125_638:
	s_or_b32 exec_lo, exec_lo, s3
	s_delay_alu instid0(SALU_CYCLE_1)
	s_mov_b32 s4, exec_lo
	s_waitcnt lgkmcnt(0)
	s_waitcnt_vscnt null, 0x0
	s_barrier
	buffer_gl0_inv
	v_cmpx_eq_u32_e32 56, v253
	s_cbranch_execz .LBB125_645
; %bb.639:
	scratch_load_b32 v0, off, off offset:1024 ; 4-byte Folded Reload
	s_waitcnt vmcnt(0)
	scratch_load_b128 v[224:227], v0, off
	scratch_load_b32 v0, off, off offset:1020 ; 4-byte Folded Reload
	s_waitcnt vmcnt(1)
	ds_store_2addr_b64 v254, v[224:225], v[226:227] offset1:1
	s_waitcnt vmcnt(0)
	scratch_load_b128 v[224:227], v0, off
	scratch_load_b32 v0, off, off offset:1016 ; 4-byte Folded Reload
	s_waitcnt vmcnt(1)
	ds_store_2addr_b64 v252, v[224:225], v[226:227] offset0:114 offset1:115
	s_waitcnt vmcnt(0)
	scratch_load_b128 v[224:227], v0, off
	scratch_load_b32 v0, off, off offset:1012 ; 4-byte Folded Reload
	s_waitcnt vmcnt(1)
	ds_store_2addr_b64 v252, v[224:225], v[226:227] offset0:116 offset1:117
	;; [unrolled: 5-line block ×3, first 2 shown]
	s_waitcnt vmcnt(0)
	scratch_load_b128 v[224:227], v0, off
	s_waitcnt vmcnt(0)
	ds_store_2addr_b64 v252, v[224:225], v[226:227] offset0:120 offset1:121
	scratch_load_b128 v[224:227], v3, off
	s_waitcnt vmcnt(0)
	ds_store_2addr_b64 v252, v[224:225], v[226:227] offset0:122 offset1:123
	;; [unrolled: 3-line block ×3, first 2 shown]
	ds_load_2addr_b64 v[224:227], v254 offset1:1
	s_waitcnt lgkmcnt(0)
	v_cmp_neq_f64_e32 vcc_lo, 0, v[224:225]
	v_cmp_neq_f64_e64 s3, 0, v[226:227]
	s_delay_alu instid0(VALU_DEP_1) | instskip(NEXT) | instid1(SALU_CYCLE_1)
	s_or_b32 s3, vcc_lo, s3
	s_and_b32 exec_lo, exec_lo, s3
	s_cbranch_execz .LBB125_645
; %bb.640:
	v_cmp_gt_f64_e32 vcc_lo, 0, v[224:225]
	v_xor_b32_e32 v0, 0x80000000, v225
	v_xor_b32_e32 v4, 0x80000000, v227
	s_delay_alu instid0(VALU_DEP_2) | instskip(SKIP_2) | instid1(VALU_DEP_4)
	v_cndmask_b32_e32 v1, v225, v0, vcc_lo
	v_cndmask_b32_e32 v0, v224, v224, vcc_lo
	v_cmp_gt_f64_e32 vcc_lo, 0, v[226:227]
	v_dual_cndmask_b32 v5, v227, v4 :: v_dual_cndmask_b32 v4, v226, v226
	s_delay_alu instid0(VALU_DEP_1) | instskip(SKIP_1) | instid1(SALU_CYCLE_1)
	v_cmp_ngt_f64_e32 vcc_lo, v[0:1], v[4:5]
                                        ; implicit-def: $vgpr0_vgpr1
	s_and_saveexec_b32 s3, vcc_lo
	s_xor_b32 s3, exec_lo, s3
                                        ; implicit-def: $vgpr228_vgpr229_vgpr230_vgpr231
	s_cbranch_execz .LBB125_642
; %bb.641:
	v_div_scale_f64 v[0:1], null, v[226:227], v[226:227], v[224:225]
	v_div_scale_f64 v[228:229], vcc_lo, v[224:225], v[226:227], v[224:225]
	s_delay_alu instid0(VALU_DEP_2) | instskip(SKIP_2) | instid1(VALU_DEP_1)
	v_rcp_f64_e32 v[4:5], v[0:1]
	s_waitcnt_depctr 0xfff
	v_fma_f64 v[6:7], -v[0:1], v[4:5], 1.0
	v_fma_f64 v[4:5], v[4:5], v[6:7], v[4:5]
	s_delay_alu instid0(VALU_DEP_1) | instskip(NEXT) | instid1(VALU_DEP_1)
	v_fma_f64 v[6:7], -v[0:1], v[4:5], 1.0
	v_fma_f64 v[4:5], v[4:5], v[6:7], v[4:5]
	s_delay_alu instid0(VALU_DEP_1) | instskip(NEXT) | instid1(VALU_DEP_1)
	v_mul_f64 v[6:7], v[228:229], v[4:5]
	v_fma_f64 v[0:1], -v[0:1], v[6:7], v[228:229]
	s_delay_alu instid0(VALU_DEP_1) | instskip(NEXT) | instid1(VALU_DEP_1)
	v_div_fmas_f64 v[0:1], v[0:1], v[4:5], v[6:7]
	v_div_fixup_f64 v[0:1], v[0:1], v[226:227], v[224:225]
	s_delay_alu instid0(VALU_DEP_1) | instskip(NEXT) | instid1(VALU_DEP_1)
	v_fma_f64 v[4:5], v[224:225], v[0:1], v[226:227]
	v_div_scale_f64 v[6:7], null, v[4:5], v[4:5], 1.0
	s_delay_alu instid0(VALU_DEP_1) | instskip(SKIP_2) | instid1(VALU_DEP_1)
	v_rcp_f64_e32 v[224:225], v[6:7]
	s_waitcnt_depctr 0xfff
	v_fma_f64 v[226:227], -v[6:7], v[224:225], 1.0
	v_fma_f64 v[224:225], v[224:225], v[226:227], v[224:225]
	s_delay_alu instid0(VALU_DEP_1) | instskip(NEXT) | instid1(VALU_DEP_1)
	v_fma_f64 v[226:227], -v[6:7], v[224:225], 1.0
	v_fma_f64 v[224:225], v[224:225], v[226:227], v[224:225]
	v_div_scale_f64 v[226:227], vcc_lo, 1.0, v[4:5], 1.0
	s_delay_alu instid0(VALU_DEP_1) | instskip(NEXT) | instid1(VALU_DEP_1)
	v_mul_f64 v[228:229], v[226:227], v[224:225]
	v_fma_f64 v[6:7], -v[6:7], v[228:229], v[226:227]
	s_delay_alu instid0(VALU_DEP_1) | instskip(NEXT) | instid1(VALU_DEP_1)
	v_div_fmas_f64 v[6:7], v[6:7], v[224:225], v[228:229]
                                        ; implicit-def: $vgpr224_vgpr225
	v_div_fixup_f64 v[230:231], v[6:7], v[4:5], 1.0
	s_delay_alu instid0(VALU_DEP_1)
	v_mul_f64 v[0:1], v[0:1], v[230:231]
	v_xor_b32_e32 v231, 0x80000000, v231
.LBB125_642:
	s_and_not1_saveexec_b32 s3, s3
	s_cbranch_execz .LBB125_644
; %bb.643:
	v_div_scale_f64 v[0:1], null, v[224:225], v[224:225], v[226:227]
	v_div_scale_f64 v[228:229], vcc_lo, v[226:227], v[224:225], v[226:227]
	s_delay_alu instid0(VALU_DEP_2) | instskip(SKIP_2) | instid1(VALU_DEP_1)
	v_rcp_f64_e32 v[4:5], v[0:1]
	s_waitcnt_depctr 0xfff
	v_fma_f64 v[6:7], -v[0:1], v[4:5], 1.0
	v_fma_f64 v[4:5], v[4:5], v[6:7], v[4:5]
	s_delay_alu instid0(VALU_DEP_1) | instskip(NEXT) | instid1(VALU_DEP_1)
	v_fma_f64 v[6:7], -v[0:1], v[4:5], 1.0
	v_fma_f64 v[4:5], v[4:5], v[6:7], v[4:5]
	s_delay_alu instid0(VALU_DEP_1) | instskip(NEXT) | instid1(VALU_DEP_1)
	v_mul_f64 v[6:7], v[228:229], v[4:5]
	v_fma_f64 v[0:1], -v[0:1], v[6:7], v[228:229]
	s_delay_alu instid0(VALU_DEP_1) | instskip(NEXT) | instid1(VALU_DEP_1)
	v_div_fmas_f64 v[0:1], v[0:1], v[4:5], v[6:7]
	v_div_fixup_f64 v[4:5], v[0:1], v[224:225], v[226:227]
	s_delay_alu instid0(VALU_DEP_1) | instskip(NEXT) | instid1(VALU_DEP_1)
	v_fma_f64 v[0:1], v[226:227], v[4:5], v[224:225]
	v_div_scale_f64 v[6:7], null, v[0:1], v[0:1], 1.0
	s_delay_alu instid0(VALU_DEP_1) | instskip(SKIP_2) | instid1(VALU_DEP_1)
	v_rcp_f64_e32 v[224:225], v[6:7]
	s_waitcnt_depctr 0xfff
	v_fma_f64 v[226:227], -v[6:7], v[224:225], 1.0
	v_fma_f64 v[224:225], v[224:225], v[226:227], v[224:225]
	s_delay_alu instid0(VALU_DEP_1) | instskip(NEXT) | instid1(VALU_DEP_1)
	v_fma_f64 v[226:227], -v[6:7], v[224:225], 1.0
	v_fma_f64 v[224:225], v[224:225], v[226:227], v[224:225]
	v_div_scale_f64 v[226:227], vcc_lo, 1.0, v[0:1], 1.0
	s_delay_alu instid0(VALU_DEP_1) | instskip(NEXT) | instid1(VALU_DEP_1)
	v_mul_f64 v[228:229], v[226:227], v[224:225]
	v_fma_f64 v[6:7], -v[6:7], v[228:229], v[226:227]
	s_delay_alu instid0(VALU_DEP_1) | instskip(NEXT) | instid1(VALU_DEP_1)
	v_div_fmas_f64 v[6:7], v[6:7], v[224:225], v[228:229]
	v_div_fixup_f64 v[0:1], v[6:7], v[0:1], 1.0
	s_delay_alu instid0(VALU_DEP_1)
	v_mul_f64 v[230:231], v[4:5], -v[0:1]
.LBB125_644:
	s_or_b32 exec_lo, exec_lo, s3
	ds_store_2addr_b64 v254, v[0:1], v[230:231] offset1:1
.LBB125_645:
	s_or_b32 exec_lo, exec_lo, s4
	s_waitcnt lgkmcnt(0)
	s_barrier
	buffer_gl0_inv
	ds_load_2addr_b64 v[224:227], v254 offset1:1
	s_mov_b32 s3, exec_lo
	v_cmpx_lt_u32_e32 56, v253
	s_cbranch_execz .LBB125_647
; %bb.646:
	scratch_load_b128 v[228:231], off, off offset:896
	s_waitcnt vmcnt(0) lgkmcnt(0)
	v_mul_f64 v[0:1], v[226:227], v[230:231]
	s_delay_alu instid0(VALU_DEP_1) | instskip(SKIP_1) | instid1(VALU_DEP_1)
	v_fma_f64 v[232:233], v[224:225], v[228:229], -v[0:1]
	v_mul_f64 v[0:1], v[224:225], v[230:231]
	v_fma_f64 v[234:235], v[226:227], v[228:229], v[0:1]
	ds_load_2addr_b64 v[228:231], v252 offset0:114 offset1:115
	s_waitcnt lgkmcnt(0)
	v_mul_f64 v[0:1], v[230:231], v[234:235]
	v_mul_f64 v[4:5], v[228:229], v[234:235]
	s_delay_alu instid0(VALU_DEP_2) | instskip(NEXT) | instid1(VALU_DEP_2)
	v_fma_f64 v[0:1], v[228:229], v[232:233], -v[0:1]
	v_fma_f64 v[4:5], v[230:231], v[232:233], v[4:5]
	scratch_load_b128 v[228:231], off, off offset:912
	s_waitcnt vmcnt(0)
	v_add_f64 v[228:229], v[228:229], -v[0:1]
	v_add_f64 v[230:231], v[230:231], -v[4:5]
	s_clause 0x1
	scratch_store_b128 off, v[232:235], off offset:896
	scratch_store_b128 off, v[228:231], off offset:912
	ds_load_2addr_b64 v[228:231], v252 offset0:116 offset1:117
	s_waitcnt lgkmcnt(0)
	v_mul_f64 v[0:1], v[230:231], v[234:235]
	v_mul_f64 v[4:5], v[228:229], v[234:235]
	s_delay_alu instid0(VALU_DEP_2) | instskip(NEXT) | instid1(VALU_DEP_2)
	v_fma_f64 v[0:1], v[228:229], v[232:233], -v[0:1]
	v_fma_f64 v[4:5], v[230:231], v[232:233], v[4:5]
	scratch_load_b128 v[228:231], off, off offset:928
	s_waitcnt vmcnt(0)
	v_add_f64 v[228:229], v[228:229], -v[0:1]
	v_add_f64 v[230:231], v[230:231], -v[4:5]
	scratch_store_b128 off, v[228:231], off offset:928
	ds_load_2addr_b64 v[228:231], v252 offset0:118 offset1:119
	s_waitcnt lgkmcnt(0)
	v_mul_f64 v[0:1], v[230:231], v[234:235]
	v_mul_f64 v[4:5], v[228:229], v[234:235]
	s_delay_alu instid0(VALU_DEP_2) | instskip(NEXT) | instid1(VALU_DEP_2)
	v_fma_f64 v[0:1], v[228:229], v[232:233], -v[0:1]
	v_fma_f64 v[4:5], v[230:231], v[232:233], v[4:5]
	scratch_load_b128 v[228:231], off, off offset:944
	s_waitcnt vmcnt(0)
	v_add_f64 v[228:229], v[228:229], -v[0:1]
	v_add_f64 v[230:231], v[230:231], -v[4:5]
	;; [unrolled: 12-line block ×5, first 2 shown]
	scratch_store_b128 off, v[228:231], off offset:992
.LBB125_647:
	s_or_b32 exec_lo, exec_lo, s3
	s_delay_alu instid0(SALU_CYCLE_1)
	s_mov_b32 s4, exec_lo
	s_waitcnt lgkmcnt(0)
	s_waitcnt_vscnt null, 0x0
	s_barrier
	buffer_gl0_inv
	v_cmpx_eq_u32_e32 57, v253
	s_cbranch_execz .LBB125_654
; %bb.648:
	scratch_load_b32 v0, off, off offset:1020 ; 4-byte Folded Reload
	s_waitcnt vmcnt(0)
	scratch_load_b128 v[228:231], v0, off
	scratch_load_b32 v0, off, off offset:1016 ; 4-byte Folded Reload
	s_waitcnt vmcnt(1)
	ds_store_2addr_b64 v254, v[228:229], v[230:231] offset1:1
	s_waitcnt vmcnt(0)
	scratch_load_b128 v[228:231], v0, off
	scratch_load_b32 v0, off, off offset:1012 ; 4-byte Folded Reload
	s_waitcnt vmcnt(1)
	ds_store_2addr_b64 v252, v[228:229], v[230:231] offset0:116 offset1:117
	s_waitcnt vmcnt(0)
	scratch_load_b128 v[228:231], v0, off
	scratch_load_b32 v0, off, off offset:1008 ; 4-byte Folded Reload
	s_waitcnt vmcnt(1)
	ds_store_2addr_b64 v252, v[228:229], v[230:231] offset0:118 offset1:119
	s_waitcnt vmcnt(0)
	scratch_load_b128 v[228:231], v0, off
	s_waitcnt vmcnt(0)
	ds_store_2addr_b64 v252, v[228:229], v[230:231] offset0:120 offset1:121
	scratch_load_b128 v[228:231], v3, off
	s_waitcnt vmcnt(0)
	ds_store_2addr_b64 v252, v[228:229], v[230:231] offset0:122 offset1:123
	;; [unrolled: 3-line block ×3, first 2 shown]
	ds_load_2addr_b64 v[228:231], v254 offset1:1
	s_waitcnt lgkmcnt(0)
	v_cmp_neq_f64_e32 vcc_lo, 0, v[228:229]
	v_cmp_neq_f64_e64 s3, 0, v[230:231]
	s_delay_alu instid0(VALU_DEP_1) | instskip(NEXT) | instid1(SALU_CYCLE_1)
	s_or_b32 s3, vcc_lo, s3
	s_and_b32 exec_lo, exec_lo, s3
	s_cbranch_execz .LBB125_654
; %bb.649:
	v_cmp_gt_f64_e32 vcc_lo, 0, v[228:229]
	v_xor_b32_e32 v0, 0x80000000, v229
	v_xor_b32_e32 v4, 0x80000000, v231
	s_delay_alu instid0(VALU_DEP_2) | instskip(SKIP_2) | instid1(VALU_DEP_4)
	v_cndmask_b32_e32 v1, v229, v0, vcc_lo
	v_cndmask_b32_e32 v0, v228, v228, vcc_lo
	v_cmp_gt_f64_e32 vcc_lo, 0, v[230:231]
	v_dual_cndmask_b32 v5, v231, v4 :: v_dual_cndmask_b32 v4, v230, v230
	s_delay_alu instid0(VALU_DEP_1) | instskip(SKIP_1) | instid1(SALU_CYCLE_1)
	v_cmp_ngt_f64_e32 vcc_lo, v[0:1], v[4:5]
                                        ; implicit-def: $vgpr0_vgpr1
	s_and_saveexec_b32 s3, vcc_lo
	s_xor_b32 s3, exec_lo, s3
                                        ; implicit-def: $vgpr232_vgpr233_vgpr234_vgpr235
	s_cbranch_execz .LBB125_651
; %bb.650:
	v_div_scale_f64 v[0:1], null, v[230:231], v[230:231], v[228:229]
	v_div_scale_f64 v[232:233], vcc_lo, v[228:229], v[230:231], v[228:229]
	s_delay_alu instid0(VALU_DEP_2) | instskip(SKIP_2) | instid1(VALU_DEP_1)
	v_rcp_f64_e32 v[4:5], v[0:1]
	s_waitcnt_depctr 0xfff
	v_fma_f64 v[6:7], -v[0:1], v[4:5], 1.0
	v_fma_f64 v[4:5], v[4:5], v[6:7], v[4:5]
	s_delay_alu instid0(VALU_DEP_1) | instskip(NEXT) | instid1(VALU_DEP_1)
	v_fma_f64 v[6:7], -v[0:1], v[4:5], 1.0
	v_fma_f64 v[4:5], v[4:5], v[6:7], v[4:5]
	s_delay_alu instid0(VALU_DEP_1) | instskip(NEXT) | instid1(VALU_DEP_1)
	v_mul_f64 v[6:7], v[232:233], v[4:5]
	v_fma_f64 v[0:1], -v[0:1], v[6:7], v[232:233]
	s_delay_alu instid0(VALU_DEP_1) | instskip(NEXT) | instid1(VALU_DEP_1)
	v_div_fmas_f64 v[0:1], v[0:1], v[4:5], v[6:7]
	v_div_fixup_f64 v[0:1], v[0:1], v[230:231], v[228:229]
	s_delay_alu instid0(VALU_DEP_1) | instskip(NEXT) | instid1(VALU_DEP_1)
	v_fma_f64 v[4:5], v[228:229], v[0:1], v[230:231]
	v_div_scale_f64 v[6:7], null, v[4:5], v[4:5], 1.0
	s_delay_alu instid0(VALU_DEP_1) | instskip(SKIP_2) | instid1(VALU_DEP_1)
	v_rcp_f64_e32 v[228:229], v[6:7]
	s_waitcnt_depctr 0xfff
	v_fma_f64 v[230:231], -v[6:7], v[228:229], 1.0
	v_fma_f64 v[228:229], v[228:229], v[230:231], v[228:229]
	s_delay_alu instid0(VALU_DEP_1) | instskip(NEXT) | instid1(VALU_DEP_1)
	v_fma_f64 v[230:231], -v[6:7], v[228:229], 1.0
	v_fma_f64 v[228:229], v[228:229], v[230:231], v[228:229]
	v_div_scale_f64 v[230:231], vcc_lo, 1.0, v[4:5], 1.0
	s_delay_alu instid0(VALU_DEP_1) | instskip(NEXT) | instid1(VALU_DEP_1)
	v_mul_f64 v[232:233], v[230:231], v[228:229]
	v_fma_f64 v[6:7], -v[6:7], v[232:233], v[230:231]
	s_delay_alu instid0(VALU_DEP_1) | instskip(NEXT) | instid1(VALU_DEP_1)
	v_div_fmas_f64 v[6:7], v[6:7], v[228:229], v[232:233]
                                        ; implicit-def: $vgpr228_vgpr229
	v_div_fixup_f64 v[234:235], v[6:7], v[4:5], 1.0
	s_delay_alu instid0(VALU_DEP_1)
	v_mul_f64 v[0:1], v[0:1], v[234:235]
	v_xor_b32_e32 v235, 0x80000000, v235
.LBB125_651:
	s_and_not1_saveexec_b32 s3, s3
	s_cbranch_execz .LBB125_653
; %bb.652:
	v_div_scale_f64 v[0:1], null, v[228:229], v[228:229], v[230:231]
	v_div_scale_f64 v[232:233], vcc_lo, v[230:231], v[228:229], v[230:231]
	s_delay_alu instid0(VALU_DEP_2) | instskip(SKIP_2) | instid1(VALU_DEP_1)
	v_rcp_f64_e32 v[4:5], v[0:1]
	s_waitcnt_depctr 0xfff
	v_fma_f64 v[6:7], -v[0:1], v[4:5], 1.0
	v_fma_f64 v[4:5], v[4:5], v[6:7], v[4:5]
	s_delay_alu instid0(VALU_DEP_1) | instskip(NEXT) | instid1(VALU_DEP_1)
	v_fma_f64 v[6:7], -v[0:1], v[4:5], 1.0
	v_fma_f64 v[4:5], v[4:5], v[6:7], v[4:5]
	s_delay_alu instid0(VALU_DEP_1) | instskip(NEXT) | instid1(VALU_DEP_1)
	v_mul_f64 v[6:7], v[232:233], v[4:5]
	v_fma_f64 v[0:1], -v[0:1], v[6:7], v[232:233]
	s_delay_alu instid0(VALU_DEP_1) | instskip(NEXT) | instid1(VALU_DEP_1)
	v_div_fmas_f64 v[0:1], v[0:1], v[4:5], v[6:7]
	v_div_fixup_f64 v[4:5], v[0:1], v[228:229], v[230:231]
	s_delay_alu instid0(VALU_DEP_1) | instskip(NEXT) | instid1(VALU_DEP_1)
	v_fma_f64 v[0:1], v[230:231], v[4:5], v[228:229]
	v_div_scale_f64 v[6:7], null, v[0:1], v[0:1], 1.0
	s_delay_alu instid0(VALU_DEP_1) | instskip(SKIP_2) | instid1(VALU_DEP_1)
	v_rcp_f64_e32 v[228:229], v[6:7]
	s_waitcnt_depctr 0xfff
	v_fma_f64 v[230:231], -v[6:7], v[228:229], 1.0
	v_fma_f64 v[228:229], v[228:229], v[230:231], v[228:229]
	s_delay_alu instid0(VALU_DEP_1) | instskip(NEXT) | instid1(VALU_DEP_1)
	v_fma_f64 v[230:231], -v[6:7], v[228:229], 1.0
	v_fma_f64 v[228:229], v[228:229], v[230:231], v[228:229]
	v_div_scale_f64 v[230:231], vcc_lo, 1.0, v[0:1], 1.0
	s_delay_alu instid0(VALU_DEP_1) | instskip(NEXT) | instid1(VALU_DEP_1)
	v_mul_f64 v[232:233], v[230:231], v[228:229]
	v_fma_f64 v[6:7], -v[6:7], v[232:233], v[230:231]
	s_delay_alu instid0(VALU_DEP_1) | instskip(NEXT) | instid1(VALU_DEP_1)
	v_div_fmas_f64 v[6:7], v[6:7], v[228:229], v[232:233]
	v_div_fixup_f64 v[0:1], v[6:7], v[0:1], 1.0
	s_delay_alu instid0(VALU_DEP_1)
	v_mul_f64 v[234:235], v[4:5], -v[0:1]
.LBB125_653:
	s_or_b32 exec_lo, exec_lo, s3
	ds_store_2addr_b64 v254, v[0:1], v[234:235] offset1:1
.LBB125_654:
	s_or_b32 exec_lo, exec_lo, s4
	s_waitcnt lgkmcnt(0)
	s_barrier
	buffer_gl0_inv
	ds_load_2addr_b64 v[228:231], v254 offset1:1
	s_mov_b32 s3, exec_lo
	v_cmpx_lt_u32_e32 57, v253
	s_cbranch_execz .LBB125_656
; %bb.655:
	scratch_load_b128 v[232:235], off, off offset:912
	s_waitcnt vmcnt(0) lgkmcnt(0)
	v_mul_f64 v[0:1], v[230:231], v[234:235]
	s_delay_alu instid0(VALU_DEP_1) | instskip(SKIP_1) | instid1(VALU_DEP_1)
	v_fma_f64 v[236:237], v[228:229], v[232:233], -v[0:1]
	v_mul_f64 v[0:1], v[228:229], v[234:235]
	v_fma_f64 v[238:239], v[230:231], v[232:233], v[0:1]
	ds_load_2addr_b64 v[232:235], v252 offset0:116 offset1:117
	s_waitcnt lgkmcnt(0)
	v_mul_f64 v[0:1], v[234:235], v[238:239]
	v_mul_f64 v[4:5], v[232:233], v[238:239]
	s_delay_alu instid0(VALU_DEP_2) | instskip(NEXT) | instid1(VALU_DEP_2)
	v_fma_f64 v[0:1], v[232:233], v[236:237], -v[0:1]
	v_fma_f64 v[4:5], v[234:235], v[236:237], v[4:5]
	scratch_load_b128 v[232:235], off, off offset:928
	s_waitcnt vmcnt(0)
	v_add_f64 v[232:233], v[232:233], -v[0:1]
	v_add_f64 v[234:235], v[234:235], -v[4:5]
	s_clause 0x1
	scratch_store_b128 off, v[236:239], off offset:912
	scratch_store_b128 off, v[232:235], off offset:928
	ds_load_2addr_b64 v[232:235], v252 offset0:118 offset1:119
	s_waitcnt lgkmcnt(0)
	v_mul_f64 v[0:1], v[234:235], v[238:239]
	v_mul_f64 v[4:5], v[232:233], v[238:239]
	s_delay_alu instid0(VALU_DEP_2) | instskip(NEXT) | instid1(VALU_DEP_2)
	v_fma_f64 v[0:1], v[232:233], v[236:237], -v[0:1]
	v_fma_f64 v[4:5], v[234:235], v[236:237], v[4:5]
	scratch_load_b128 v[232:235], off, off offset:944
	s_waitcnt vmcnt(0)
	v_add_f64 v[232:233], v[232:233], -v[0:1]
	v_add_f64 v[234:235], v[234:235], -v[4:5]
	scratch_store_b128 off, v[232:235], off offset:944
	ds_load_2addr_b64 v[232:235], v252 offset0:120 offset1:121
	s_waitcnt lgkmcnt(0)
	v_mul_f64 v[0:1], v[234:235], v[238:239]
	v_mul_f64 v[4:5], v[232:233], v[238:239]
	s_delay_alu instid0(VALU_DEP_2) | instskip(NEXT) | instid1(VALU_DEP_2)
	v_fma_f64 v[0:1], v[232:233], v[236:237], -v[0:1]
	v_fma_f64 v[4:5], v[234:235], v[236:237], v[4:5]
	scratch_load_b128 v[232:235], off, off offset:960
	s_waitcnt vmcnt(0)
	v_add_f64 v[232:233], v[232:233], -v[0:1]
	v_add_f64 v[234:235], v[234:235], -v[4:5]
	;; [unrolled: 12-line block ×4, first 2 shown]
	scratch_store_b128 off, v[232:235], off offset:992
.LBB125_656:
	s_or_b32 exec_lo, exec_lo, s3
	s_delay_alu instid0(SALU_CYCLE_1)
	s_mov_b32 s4, exec_lo
	s_waitcnt lgkmcnt(0)
	s_waitcnt_vscnt null, 0x0
	s_barrier
	buffer_gl0_inv
	v_cmpx_eq_u32_e32 58, v253
	s_cbranch_execz .LBB125_663
; %bb.657:
	scratch_load_b32 v0, off, off offset:1016 ; 4-byte Folded Reload
	s_waitcnt vmcnt(0)
	scratch_load_b128 v[232:235], v0, off
	scratch_load_b32 v0, off, off offset:1012 ; 4-byte Folded Reload
	s_waitcnt vmcnt(1)
	ds_store_2addr_b64 v254, v[232:233], v[234:235] offset1:1
	s_waitcnt vmcnt(0)
	scratch_load_b128 v[232:235], v0, off
	scratch_load_b32 v0, off, off offset:1008 ; 4-byte Folded Reload
	s_waitcnt vmcnt(1)
	ds_store_2addr_b64 v252, v[232:233], v[234:235] offset0:118 offset1:119
	s_waitcnt vmcnt(0)
	scratch_load_b128 v[232:235], v0, off
	s_waitcnt vmcnt(0)
	ds_store_2addr_b64 v252, v[232:233], v[234:235] offset0:120 offset1:121
	scratch_load_b128 v[232:235], v3, off
	s_waitcnt vmcnt(0)
	ds_store_2addr_b64 v252, v[232:233], v[234:235] offset0:122 offset1:123
	;; [unrolled: 3-line block ×3, first 2 shown]
	ds_load_2addr_b64 v[232:235], v254 offset1:1
	s_waitcnt lgkmcnt(0)
	v_cmp_neq_f64_e32 vcc_lo, 0, v[232:233]
	v_cmp_neq_f64_e64 s3, 0, v[234:235]
	s_delay_alu instid0(VALU_DEP_1) | instskip(NEXT) | instid1(SALU_CYCLE_1)
	s_or_b32 s3, vcc_lo, s3
	s_and_b32 exec_lo, exec_lo, s3
	s_cbranch_execz .LBB125_663
; %bb.658:
	v_cmp_gt_f64_e32 vcc_lo, 0, v[232:233]
	v_xor_b32_e32 v0, 0x80000000, v233
	v_xor_b32_e32 v4, 0x80000000, v235
	s_delay_alu instid0(VALU_DEP_2) | instskip(SKIP_2) | instid1(VALU_DEP_4)
	v_cndmask_b32_e32 v1, v233, v0, vcc_lo
	v_cndmask_b32_e32 v0, v232, v232, vcc_lo
	v_cmp_gt_f64_e32 vcc_lo, 0, v[234:235]
	v_dual_cndmask_b32 v5, v235, v4 :: v_dual_cndmask_b32 v4, v234, v234
	s_delay_alu instid0(VALU_DEP_1) | instskip(SKIP_1) | instid1(SALU_CYCLE_1)
	v_cmp_ngt_f64_e32 vcc_lo, v[0:1], v[4:5]
                                        ; implicit-def: $vgpr0_vgpr1
	s_and_saveexec_b32 s3, vcc_lo
	s_xor_b32 s3, exec_lo, s3
                                        ; implicit-def: $vgpr236_vgpr237_vgpr238_vgpr239
	s_cbranch_execz .LBB125_660
; %bb.659:
	v_div_scale_f64 v[0:1], null, v[234:235], v[234:235], v[232:233]
	v_div_scale_f64 v[236:237], vcc_lo, v[232:233], v[234:235], v[232:233]
	s_delay_alu instid0(VALU_DEP_2) | instskip(SKIP_2) | instid1(VALU_DEP_1)
	v_rcp_f64_e32 v[4:5], v[0:1]
	s_waitcnt_depctr 0xfff
	v_fma_f64 v[6:7], -v[0:1], v[4:5], 1.0
	v_fma_f64 v[4:5], v[4:5], v[6:7], v[4:5]
	s_delay_alu instid0(VALU_DEP_1) | instskip(NEXT) | instid1(VALU_DEP_1)
	v_fma_f64 v[6:7], -v[0:1], v[4:5], 1.0
	v_fma_f64 v[4:5], v[4:5], v[6:7], v[4:5]
	s_delay_alu instid0(VALU_DEP_1) | instskip(NEXT) | instid1(VALU_DEP_1)
	v_mul_f64 v[6:7], v[236:237], v[4:5]
	v_fma_f64 v[0:1], -v[0:1], v[6:7], v[236:237]
	s_delay_alu instid0(VALU_DEP_1) | instskip(NEXT) | instid1(VALU_DEP_1)
	v_div_fmas_f64 v[0:1], v[0:1], v[4:5], v[6:7]
	v_div_fixup_f64 v[0:1], v[0:1], v[234:235], v[232:233]
	s_delay_alu instid0(VALU_DEP_1) | instskip(NEXT) | instid1(VALU_DEP_1)
	v_fma_f64 v[4:5], v[232:233], v[0:1], v[234:235]
	v_div_scale_f64 v[6:7], null, v[4:5], v[4:5], 1.0
	s_delay_alu instid0(VALU_DEP_1) | instskip(SKIP_2) | instid1(VALU_DEP_1)
	v_rcp_f64_e32 v[232:233], v[6:7]
	s_waitcnt_depctr 0xfff
	v_fma_f64 v[234:235], -v[6:7], v[232:233], 1.0
	v_fma_f64 v[232:233], v[232:233], v[234:235], v[232:233]
	s_delay_alu instid0(VALU_DEP_1) | instskip(NEXT) | instid1(VALU_DEP_1)
	v_fma_f64 v[234:235], -v[6:7], v[232:233], 1.0
	v_fma_f64 v[232:233], v[232:233], v[234:235], v[232:233]
	v_div_scale_f64 v[234:235], vcc_lo, 1.0, v[4:5], 1.0
	s_delay_alu instid0(VALU_DEP_1) | instskip(NEXT) | instid1(VALU_DEP_1)
	v_mul_f64 v[236:237], v[234:235], v[232:233]
	v_fma_f64 v[6:7], -v[6:7], v[236:237], v[234:235]
	s_delay_alu instid0(VALU_DEP_1) | instskip(NEXT) | instid1(VALU_DEP_1)
	v_div_fmas_f64 v[6:7], v[6:7], v[232:233], v[236:237]
                                        ; implicit-def: $vgpr232_vgpr233
	v_div_fixup_f64 v[238:239], v[6:7], v[4:5], 1.0
	s_delay_alu instid0(VALU_DEP_1)
	v_mul_f64 v[0:1], v[0:1], v[238:239]
	v_xor_b32_e32 v239, 0x80000000, v239
.LBB125_660:
	s_and_not1_saveexec_b32 s3, s3
	s_cbranch_execz .LBB125_662
; %bb.661:
	v_div_scale_f64 v[0:1], null, v[232:233], v[232:233], v[234:235]
	v_div_scale_f64 v[236:237], vcc_lo, v[234:235], v[232:233], v[234:235]
	s_delay_alu instid0(VALU_DEP_2) | instskip(SKIP_2) | instid1(VALU_DEP_1)
	v_rcp_f64_e32 v[4:5], v[0:1]
	s_waitcnt_depctr 0xfff
	v_fma_f64 v[6:7], -v[0:1], v[4:5], 1.0
	v_fma_f64 v[4:5], v[4:5], v[6:7], v[4:5]
	s_delay_alu instid0(VALU_DEP_1) | instskip(NEXT) | instid1(VALU_DEP_1)
	v_fma_f64 v[6:7], -v[0:1], v[4:5], 1.0
	v_fma_f64 v[4:5], v[4:5], v[6:7], v[4:5]
	s_delay_alu instid0(VALU_DEP_1) | instskip(NEXT) | instid1(VALU_DEP_1)
	v_mul_f64 v[6:7], v[236:237], v[4:5]
	v_fma_f64 v[0:1], -v[0:1], v[6:7], v[236:237]
	s_delay_alu instid0(VALU_DEP_1) | instskip(NEXT) | instid1(VALU_DEP_1)
	v_div_fmas_f64 v[0:1], v[0:1], v[4:5], v[6:7]
	v_div_fixup_f64 v[4:5], v[0:1], v[232:233], v[234:235]
	s_delay_alu instid0(VALU_DEP_1) | instskip(NEXT) | instid1(VALU_DEP_1)
	v_fma_f64 v[0:1], v[234:235], v[4:5], v[232:233]
	v_div_scale_f64 v[6:7], null, v[0:1], v[0:1], 1.0
	s_delay_alu instid0(VALU_DEP_1) | instskip(SKIP_2) | instid1(VALU_DEP_1)
	v_rcp_f64_e32 v[232:233], v[6:7]
	s_waitcnt_depctr 0xfff
	v_fma_f64 v[234:235], -v[6:7], v[232:233], 1.0
	v_fma_f64 v[232:233], v[232:233], v[234:235], v[232:233]
	s_delay_alu instid0(VALU_DEP_1) | instskip(NEXT) | instid1(VALU_DEP_1)
	v_fma_f64 v[234:235], -v[6:7], v[232:233], 1.0
	v_fma_f64 v[232:233], v[232:233], v[234:235], v[232:233]
	v_div_scale_f64 v[234:235], vcc_lo, 1.0, v[0:1], 1.0
	s_delay_alu instid0(VALU_DEP_1) | instskip(NEXT) | instid1(VALU_DEP_1)
	v_mul_f64 v[236:237], v[234:235], v[232:233]
	v_fma_f64 v[6:7], -v[6:7], v[236:237], v[234:235]
	s_delay_alu instid0(VALU_DEP_1) | instskip(NEXT) | instid1(VALU_DEP_1)
	v_div_fmas_f64 v[6:7], v[6:7], v[232:233], v[236:237]
	v_div_fixup_f64 v[0:1], v[6:7], v[0:1], 1.0
	s_delay_alu instid0(VALU_DEP_1)
	v_mul_f64 v[238:239], v[4:5], -v[0:1]
.LBB125_662:
	s_or_b32 exec_lo, exec_lo, s3
	ds_store_2addr_b64 v254, v[0:1], v[238:239] offset1:1
.LBB125_663:
	s_or_b32 exec_lo, exec_lo, s4
	s_waitcnt lgkmcnt(0)
	s_barrier
	buffer_gl0_inv
	ds_load_2addr_b64 v[232:235], v254 offset1:1
	s_mov_b32 s3, exec_lo
	v_cmpx_lt_u32_e32 58, v253
	s_cbranch_execz .LBB125_665
; %bb.664:
	scratch_load_b128 v[236:239], off, off offset:928
	s_waitcnt vmcnt(0) lgkmcnt(0)
	v_mul_f64 v[0:1], v[234:235], v[238:239]
	s_delay_alu instid0(VALU_DEP_1) | instskip(SKIP_1) | instid1(VALU_DEP_1)
	v_fma_f64 v[240:241], v[232:233], v[236:237], -v[0:1]
	v_mul_f64 v[0:1], v[232:233], v[238:239]
	v_fma_f64 v[242:243], v[234:235], v[236:237], v[0:1]
	ds_load_2addr_b64 v[236:239], v252 offset0:118 offset1:119
	s_waitcnt lgkmcnt(0)
	v_mul_f64 v[0:1], v[238:239], v[242:243]
	v_mul_f64 v[4:5], v[236:237], v[242:243]
	s_delay_alu instid0(VALU_DEP_2) | instskip(NEXT) | instid1(VALU_DEP_2)
	v_fma_f64 v[0:1], v[236:237], v[240:241], -v[0:1]
	v_fma_f64 v[4:5], v[238:239], v[240:241], v[4:5]
	scratch_load_b128 v[236:239], off, off offset:944
	s_waitcnt vmcnt(0)
	v_add_f64 v[236:237], v[236:237], -v[0:1]
	v_add_f64 v[238:239], v[238:239], -v[4:5]
	s_clause 0x1
	scratch_store_b128 off, v[240:243], off offset:928
	scratch_store_b128 off, v[236:239], off offset:944
	ds_load_2addr_b64 v[236:239], v252 offset0:120 offset1:121
	s_waitcnt lgkmcnt(0)
	v_mul_f64 v[0:1], v[238:239], v[242:243]
	v_mul_f64 v[4:5], v[236:237], v[242:243]
	s_delay_alu instid0(VALU_DEP_2) | instskip(NEXT) | instid1(VALU_DEP_2)
	v_fma_f64 v[0:1], v[236:237], v[240:241], -v[0:1]
	v_fma_f64 v[4:5], v[238:239], v[240:241], v[4:5]
	scratch_load_b128 v[236:239], off, off offset:960
	s_waitcnt vmcnt(0)
	v_add_f64 v[236:237], v[236:237], -v[0:1]
	v_add_f64 v[238:239], v[238:239], -v[4:5]
	scratch_store_b128 off, v[236:239], off offset:960
	ds_load_2addr_b64 v[236:239], v252 offset0:122 offset1:123
	s_waitcnt lgkmcnt(0)
	v_mul_f64 v[0:1], v[238:239], v[242:243]
	v_mul_f64 v[4:5], v[236:237], v[242:243]
	s_delay_alu instid0(VALU_DEP_2) | instskip(NEXT) | instid1(VALU_DEP_2)
	v_fma_f64 v[0:1], v[236:237], v[240:241], -v[0:1]
	v_fma_f64 v[4:5], v[238:239], v[240:241], v[4:5]
	scratch_load_b128 v[236:239], off, off offset:976
	s_waitcnt vmcnt(0)
	v_add_f64 v[236:237], v[236:237], -v[0:1]
	v_add_f64 v[238:239], v[238:239], -v[4:5]
	;; [unrolled: 12-line block ×3, first 2 shown]
	scratch_store_b128 off, v[236:239], off offset:992
.LBB125_665:
	s_or_b32 exec_lo, exec_lo, s3
	s_delay_alu instid0(SALU_CYCLE_1)
	s_mov_b32 s4, exec_lo
	s_waitcnt lgkmcnt(0)
	s_waitcnt_vscnt null, 0x0
	s_barrier
	buffer_gl0_inv
	v_cmpx_eq_u32_e32 59, v253
	s_cbranch_execz .LBB125_672
; %bb.666:
	scratch_load_b32 v0, off, off offset:1012 ; 4-byte Folded Reload
	s_waitcnt vmcnt(0)
	scratch_load_b128 v[236:239], v0, off
	scratch_load_b32 v0, off, off offset:1008 ; 4-byte Folded Reload
	s_waitcnt vmcnt(1)
	ds_store_2addr_b64 v254, v[236:237], v[238:239] offset1:1
	s_waitcnt vmcnt(0)
	scratch_load_b128 v[236:239], v0, off
	s_waitcnt vmcnt(0)
	ds_store_2addr_b64 v252, v[236:237], v[238:239] offset0:120 offset1:121
	scratch_load_b128 v[236:239], v3, off
	s_waitcnt vmcnt(0)
	ds_store_2addr_b64 v252, v[236:237], v[238:239] offset0:122 offset1:123
	;; [unrolled: 3-line block ×3, first 2 shown]
	ds_load_2addr_b64 v[236:239], v254 offset1:1
	s_waitcnt lgkmcnt(0)
	v_cmp_neq_f64_e32 vcc_lo, 0, v[236:237]
	v_cmp_neq_f64_e64 s3, 0, v[238:239]
	s_delay_alu instid0(VALU_DEP_1) | instskip(NEXT) | instid1(SALU_CYCLE_1)
	s_or_b32 s3, vcc_lo, s3
	s_and_b32 exec_lo, exec_lo, s3
	s_cbranch_execz .LBB125_672
; %bb.667:
	v_cmp_gt_f64_e32 vcc_lo, 0, v[236:237]
	v_xor_b32_e32 v0, 0x80000000, v237
	v_xor_b32_e32 v4, 0x80000000, v239
	s_delay_alu instid0(VALU_DEP_2) | instskip(SKIP_2) | instid1(VALU_DEP_4)
	v_cndmask_b32_e32 v1, v237, v0, vcc_lo
	v_cndmask_b32_e32 v0, v236, v236, vcc_lo
	v_cmp_gt_f64_e32 vcc_lo, 0, v[238:239]
	v_dual_cndmask_b32 v5, v239, v4 :: v_dual_cndmask_b32 v4, v238, v238
	s_delay_alu instid0(VALU_DEP_1) | instskip(SKIP_1) | instid1(SALU_CYCLE_1)
	v_cmp_ngt_f64_e32 vcc_lo, v[0:1], v[4:5]
                                        ; implicit-def: $vgpr0_vgpr1
	s_and_saveexec_b32 s3, vcc_lo
	s_xor_b32 s3, exec_lo, s3
                                        ; implicit-def: $vgpr240_vgpr241_vgpr242_vgpr243
	s_cbranch_execz .LBB125_669
; %bb.668:
	v_div_scale_f64 v[0:1], null, v[238:239], v[238:239], v[236:237]
	v_div_scale_f64 v[240:241], vcc_lo, v[236:237], v[238:239], v[236:237]
	s_delay_alu instid0(VALU_DEP_2) | instskip(SKIP_2) | instid1(VALU_DEP_1)
	v_rcp_f64_e32 v[4:5], v[0:1]
	s_waitcnt_depctr 0xfff
	v_fma_f64 v[6:7], -v[0:1], v[4:5], 1.0
	v_fma_f64 v[4:5], v[4:5], v[6:7], v[4:5]
	s_delay_alu instid0(VALU_DEP_1) | instskip(NEXT) | instid1(VALU_DEP_1)
	v_fma_f64 v[6:7], -v[0:1], v[4:5], 1.0
	v_fma_f64 v[4:5], v[4:5], v[6:7], v[4:5]
	s_delay_alu instid0(VALU_DEP_1) | instskip(NEXT) | instid1(VALU_DEP_1)
	v_mul_f64 v[6:7], v[240:241], v[4:5]
	v_fma_f64 v[0:1], -v[0:1], v[6:7], v[240:241]
	s_delay_alu instid0(VALU_DEP_1) | instskip(NEXT) | instid1(VALU_DEP_1)
	v_div_fmas_f64 v[0:1], v[0:1], v[4:5], v[6:7]
	v_div_fixup_f64 v[0:1], v[0:1], v[238:239], v[236:237]
	s_delay_alu instid0(VALU_DEP_1) | instskip(NEXT) | instid1(VALU_DEP_1)
	v_fma_f64 v[4:5], v[236:237], v[0:1], v[238:239]
	v_div_scale_f64 v[6:7], null, v[4:5], v[4:5], 1.0
	s_delay_alu instid0(VALU_DEP_1) | instskip(SKIP_2) | instid1(VALU_DEP_1)
	v_rcp_f64_e32 v[236:237], v[6:7]
	s_waitcnt_depctr 0xfff
	v_fma_f64 v[238:239], -v[6:7], v[236:237], 1.0
	v_fma_f64 v[236:237], v[236:237], v[238:239], v[236:237]
	s_delay_alu instid0(VALU_DEP_1) | instskip(NEXT) | instid1(VALU_DEP_1)
	v_fma_f64 v[238:239], -v[6:7], v[236:237], 1.0
	v_fma_f64 v[236:237], v[236:237], v[238:239], v[236:237]
	v_div_scale_f64 v[238:239], vcc_lo, 1.0, v[4:5], 1.0
	s_delay_alu instid0(VALU_DEP_1) | instskip(NEXT) | instid1(VALU_DEP_1)
	v_mul_f64 v[240:241], v[238:239], v[236:237]
	v_fma_f64 v[6:7], -v[6:7], v[240:241], v[238:239]
	s_delay_alu instid0(VALU_DEP_1) | instskip(NEXT) | instid1(VALU_DEP_1)
	v_div_fmas_f64 v[6:7], v[6:7], v[236:237], v[240:241]
                                        ; implicit-def: $vgpr236_vgpr237
	v_div_fixup_f64 v[242:243], v[6:7], v[4:5], 1.0
	s_delay_alu instid0(VALU_DEP_1)
	v_mul_f64 v[0:1], v[0:1], v[242:243]
	v_xor_b32_e32 v243, 0x80000000, v243
.LBB125_669:
	s_and_not1_saveexec_b32 s3, s3
	s_cbranch_execz .LBB125_671
; %bb.670:
	v_div_scale_f64 v[0:1], null, v[236:237], v[236:237], v[238:239]
	v_div_scale_f64 v[240:241], vcc_lo, v[238:239], v[236:237], v[238:239]
	s_delay_alu instid0(VALU_DEP_2) | instskip(SKIP_2) | instid1(VALU_DEP_1)
	v_rcp_f64_e32 v[4:5], v[0:1]
	s_waitcnt_depctr 0xfff
	v_fma_f64 v[6:7], -v[0:1], v[4:5], 1.0
	v_fma_f64 v[4:5], v[4:5], v[6:7], v[4:5]
	s_delay_alu instid0(VALU_DEP_1) | instskip(NEXT) | instid1(VALU_DEP_1)
	v_fma_f64 v[6:7], -v[0:1], v[4:5], 1.0
	v_fma_f64 v[4:5], v[4:5], v[6:7], v[4:5]
	s_delay_alu instid0(VALU_DEP_1) | instskip(NEXT) | instid1(VALU_DEP_1)
	v_mul_f64 v[6:7], v[240:241], v[4:5]
	v_fma_f64 v[0:1], -v[0:1], v[6:7], v[240:241]
	s_delay_alu instid0(VALU_DEP_1) | instskip(NEXT) | instid1(VALU_DEP_1)
	v_div_fmas_f64 v[0:1], v[0:1], v[4:5], v[6:7]
	v_div_fixup_f64 v[4:5], v[0:1], v[236:237], v[238:239]
	s_delay_alu instid0(VALU_DEP_1) | instskip(NEXT) | instid1(VALU_DEP_1)
	v_fma_f64 v[0:1], v[238:239], v[4:5], v[236:237]
	v_div_scale_f64 v[6:7], null, v[0:1], v[0:1], 1.0
	s_delay_alu instid0(VALU_DEP_1) | instskip(SKIP_2) | instid1(VALU_DEP_1)
	v_rcp_f64_e32 v[236:237], v[6:7]
	s_waitcnt_depctr 0xfff
	v_fma_f64 v[238:239], -v[6:7], v[236:237], 1.0
	v_fma_f64 v[236:237], v[236:237], v[238:239], v[236:237]
	s_delay_alu instid0(VALU_DEP_1) | instskip(NEXT) | instid1(VALU_DEP_1)
	v_fma_f64 v[238:239], -v[6:7], v[236:237], 1.0
	v_fma_f64 v[236:237], v[236:237], v[238:239], v[236:237]
	v_div_scale_f64 v[238:239], vcc_lo, 1.0, v[0:1], 1.0
	s_delay_alu instid0(VALU_DEP_1) | instskip(NEXT) | instid1(VALU_DEP_1)
	v_mul_f64 v[240:241], v[238:239], v[236:237]
	v_fma_f64 v[6:7], -v[6:7], v[240:241], v[238:239]
	s_delay_alu instid0(VALU_DEP_1) | instskip(NEXT) | instid1(VALU_DEP_1)
	v_div_fmas_f64 v[6:7], v[6:7], v[236:237], v[240:241]
	v_div_fixup_f64 v[0:1], v[6:7], v[0:1], 1.0
	s_delay_alu instid0(VALU_DEP_1)
	v_mul_f64 v[242:243], v[4:5], -v[0:1]
.LBB125_671:
	s_or_b32 exec_lo, exec_lo, s3
	ds_store_2addr_b64 v254, v[0:1], v[242:243] offset1:1
.LBB125_672:
	s_or_b32 exec_lo, exec_lo, s4
	s_waitcnt lgkmcnt(0)
	s_barrier
	buffer_gl0_inv
	ds_load_2addr_b64 v[236:239], v254 offset1:1
	s_mov_b32 s3, exec_lo
	v_cmpx_lt_u32_e32 59, v253
	s_cbranch_execz .LBB125_674
; %bb.673:
	scratch_load_b128 v[240:243], off, off offset:944
	s_waitcnt vmcnt(0) lgkmcnt(0)
	v_mul_f64 v[0:1], v[238:239], v[242:243]
	s_delay_alu instid0(VALU_DEP_1) | instskip(SKIP_1) | instid1(VALU_DEP_1)
	v_fma_f64 v[244:245], v[236:237], v[240:241], -v[0:1]
	v_mul_f64 v[0:1], v[236:237], v[242:243]
	v_fma_f64 v[246:247], v[238:239], v[240:241], v[0:1]
	ds_load_2addr_b64 v[240:243], v252 offset0:120 offset1:121
	s_waitcnt lgkmcnt(0)
	v_mul_f64 v[0:1], v[242:243], v[246:247]
	v_mul_f64 v[4:5], v[240:241], v[246:247]
	s_delay_alu instid0(VALU_DEP_2) | instskip(NEXT) | instid1(VALU_DEP_2)
	v_fma_f64 v[0:1], v[240:241], v[244:245], -v[0:1]
	v_fma_f64 v[4:5], v[242:243], v[244:245], v[4:5]
	scratch_load_b128 v[240:243], off, off offset:960
	s_waitcnt vmcnt(0)
	v_add_f64 v[240:241], v[240:241], -v[0:1]
	v_add_f64 v[242:243], v[242:243], -v[4:5]
	s_clause 0x1
	scratch_store_b128 off, v[244:247], off offset:944
	scratch_store_b128 off, v[240:243], off offset:960
	ds_load_2addr_b64 v[240:243], v252 offset0:122 offset1:123
	s_waitcnt lgkmcnt(0)
	v_mul_f64 v[0:1], v[242:243], v[246:247]
	v_mul_f64 v[4:5], v[240:241], v[246:247]
	s_delay_alu instid0(VALU_DEP_2) | instskip(NEXT) | instid1(VALU_DEP_2)
	v_fma_f64 v[0:1], v[240:241], v[244:245], -v[0:1]
	v_fma_f64 v[4:5], v[242:243], v[244:245], v[4:5]
	scratch_load_b128 v[240:243], off, off offset:976
	s_waitcnt vmcnt(0)
	v_add_f64 v[240:241], v[240:241], -v[0:1]
	v_add_f64 v[242:243], v[242:243], -v[4:5]
	scratch_store_b128 off, v[240:243], off offset:976
	ds_load_2addr_b64 v[240:243], v252 offset0:124 offset1:125
	s_waitcnt lgkmcnt(0)
	v_mul_f64 v[0:1], v[242:243], v[246:247]
	v_mul_f64 v[4:5], v[240:241], v[246:247]
	s_delay_alu instid0(VALU_DEP_2) | instskip(NEXT) | instid1(VALU_DEP_2)
	v_fma_f64 v[0:1], v[240:241], v[244:245], -v[0:1]
	v_fma_f64 v[4:5], v[242:243], v[244:245], v[4:5]
	scratch_load_b128 v[240:243], off, off offset:992
	s_waitcnt vmcnt(0)
	v_add_f64 v[240:241], v[240:241], -v[0:1]
	v_add_f64 v[242:243], v[242:243], -v[4:5]
	scratch_store_b128 off, v[240:243], off offset:992
.LBB125_674:
	s_or_b32 exec_lo, exec_lo, s3
	s_delay_alu instid0(SALU_CYCLE_1)
	s_mov_b32 s4, exec_lo
	s_waitcnt lgkmcnt(0)
	s_waitcnt_vscnt null, 0x0
	s_barrier
	buffer_gl0_inv
	v_cmpx_eq_u32_e32 60, v253
	s_cbranch_execz .LBB125_681
; %bb.675:
	scratch_load_b32 v0, off, off offset:1008 ; 4-byte Folded Reload
	s_waitcnt vmcnt(0)
	scratch_load_b128 v[240:243], v0, off
	s_waitcnt vmcnt(0)
	ds_store_2addr_b64 v254, v[240:241], v[242:243] offset1:1
	scratch_load_b128 v[240:243], v3, off
	s_waitcnt vmcnt(0)
	ds_store_2addr_b64 v252, v[240:241], v[242:243] offset0:122 offset1:123
	scratch_load_b128 v[240:243], v2, off
	s_waitcnt vmcnt(0)
	ds_store_2addr_b64 v252, v[240:241], v[242:243] offset0:124 offset1:125
	ds_load_2addr_b64 v[240:243], v254 offset1:1
	s_waitcnt lgkmcnt(0)
	v_cmp_neq_f64_e32 vcc_lo, 0, v[240:241]
	v_cmp_neq_f64_e64 s3, 0, v[242:243]
	s_delay_alu instid0(VALU_DEP_1) | instskip(NEXT) | instid1(SALU_CYCLE_1)
	s_or_b32 s3, vcc_lo, s3
	s_and_b32 exec_lo, exec_lo, s3
	s_cbranch_execz .LBB125_681
; %bb.676:
	v_cmp_gt_f64_e32 vcc_lo, 0, v[240:241]
	v_xor_b32_e32 v0, 0x80000000, v241
	v_xor_b32_e32 v4, 0x80000000, v243
	s_delay_alu instid0(VALU_DEP_2) | instskip(SKIP_2) | instid1(VALU_DEP_4)
	v_cndmask_b32_e32 v1, v241, v0, vcc_lo
	v_cndmask_b32_e32 v0, v240, v240, vcc_lo
	v_cmp_gt_f64_e32 vcc_lo, 0, v[242:243]
	v_dual_cndmask_b32 v5, v243, v4 :: v_dual_cndmask_b32 v4, v242, v242
	s_delay_alu instid0(VALU_DEP_1) | instskip(SKIP_1) | instid1(SALU_CYCLE_1)
	v_cmp_ngt_f64_e32 vcc_lo, v[0:1], v[4:5]
                                        ; implicit-def: $vgpr0_vgpr1
	s_and_saveexec_b32 s3, vcc_lo
	s_xor_b32 s3, exec_lo, s3
                                        ; implicit-def: $vgpr244_vgpr245_vgpr246_vgpr247
	s_cbranch_execz .LBB125_678
; %bb.677:
	v_div_scale_f64 v[0:1], null, v[242:243], v[242:243], v[240:241]
	v_div_scale_f64 v[244:245], vcc_lo, v[240:241], v[242:243], v[240:241]
	s_delay_alu instid0(VALU_DEP_2) | instskip(SKIP_2) | instid1(VALU_DEP_1)
	v_rcp_f64_e32 v[4:5], v[0:1]
	s_waitcnt_depctr 0xfff
	v_fma_f64 v[6:7], -v[0:1], v[4:5], 1.0
	v_fma_f64 v[4:5], v[4:5], v[6:7], v[4:5]
	s_delay_alu instid0(VALU_DEP_1) | instskip(NEXT) | instid1(VALU_DEP_1)
	v_fma_f64 v[6:7], -v[0:1], v[4:5], 1.0
	v_fma_f64 v[4:5], v[4:5], v[6:7], v[4:5]
	s_delay_alu instid0(VALU_DEP_1) | instskip(NEXT) | instid1(VALU_DEP_1)
	v_mul_f64 v[6:7], v[244:245], v[4:5]
	v_fma_f64 v[0:1], -v[0:1], v[6:7], v[244:245]
	s_delay_alu instid0(VALU_DEP_1) | instskip(NEXT) | instid1(VALU_DEP_1)
	v_div_fmas_f64 v[0:1], v[0:1], v[4:5], v[6:7]
	v_div_fixup_f64 v[0:1], v[0:1], v[242:243], v[240:241]
	s_delay_alu instid0(VALU_DEP_1) | instskip(NEXT) | instid1(VALU_DEP_1)
	v_fma_f64 v[4:5], v[240:241], v[0:1], v[242:243]
	v_div_scale_f64 v[6:7], null, v[4:5], v[4:5], 1.0
	s_delay_alu instid0(VALU_DEP_1) | instskip(SKIP_2) | instid1(VALU_DEP_1)
	v_rcp_f64_e32 v[240:241], v[6:7]
	s_waitcnt_depctr 0xfff
	v_fma_f64 v[242:243], -v[6:7], v[240:241], 1.0
	v_fma_f64 v[240:241], v[240:241], v[242:243], v[240:241]
	s_delay_alu instid0(VALU_DEP_1) | instskip(NEXT) | instid1(VALU_DEP_1)
	v_fma_f64 v[242:243], -v[6:7], v[240:241], 1.0
	v_fma_f64 v[240:241], v[240:241], v[242:243], v[240:241]
	v_div_scale_f64 v[242:243], vcc_lo, 1.0, v[4:5], 1.0
	s_delay_alu instid0(VALU_DEP_1) | instskip(NEXT) | instid1(VALU_DEP_1)
	v_mul_f64 v[244:245], v[242:243], v[240:241]
	v_fma_f64 v[6:7], -v[6:7], v[244:245], v[242:243]
	s_delay_alu instid0(VALU_DEP_1) | instskip(NEXT) | instid1(VALU_DEP_1)
	v_div_fmas_f64 v[6:7], v[6:7], v[240:241], v[244:245]
                                        ; implicit-def: $vgpr240_vgpr241
	v_div_fixup_f64 v[246:247], v[6:7], v[4:5], 1.0
	s_delay_alu instid0(VALU_DEP_1)
	v_mul_f64 v[0:1], v[0:1], v[246:247]
	v_xor_b32_e32 v247, 0x80000000, v247
.LBB125_678:
	s_and_not1_saveexec_b32 s3, s3
	s_cbranch_execz .LBB125_680
; %bb.679:
	v_div_scale_f64 v[0:1], null, v[240:241], v[240:241], v[242:243]
	v_div_scale_f64 v[244:245], vcc_lo, v[242:243], v[240:241], v[242:243]
	s_delay_alu instid0(VALU_DEP_2) | instskip(SKIP_2) | instid1(VALU_DEP_1)
	v_rcp_f64_e32 v[4:5], v[0:1]
	s_waitcnt_depctr 0xfff
	v_fma_f64 v[6:7], -v[0:1], v[4:5], 1.0
	v_fma_f64 v[4:5], v[4:5], v[6:7], v[4:5]
	s_delay_alu instid0(VALU_DEP_1) | instskip(NEXT) | instid1(VALU_DEP_1)
	v_fma_f64 v[6:7], -v[0:1], v[4:5], 1.0
	v_fma_f64 v[4:5], v[4:5], v[6:7], v[4:5]
	s_delay_alu instid0(VALU_DEP_1) | instskip(NEXT) | instid1(VALU_DEP_1)
	v_mul_f64 v[6:7], v[244:245], v[4:5]
	v_fma_f64 v[0:1], -v[0:1], v[6:7], v[244:245]
	s_delay_alu instid0(VALU_DEP_1) | instskip(NEXT) | instid1(VALU_DEP_1)
	v_div_fmas_f64 v[0:1], v[0:1], v[4:5], v[6:7]
	v_div_fixup_f64 v[4:5], v[0:1], v[240:241], v[242:243]
	s_delay_alu instid0(VALU_DEP_1) | instskip(NEXT) | instid1(VALU_DEP_1)
	v_fma_f64 v[0:1], v[242:243], v[4:5], v[240:241]
	v_div_scale_f64 v[6:7], null, v[0:1], v[0:1], 1.0
	s_delay_alu instid0(VALU_DEP_1) | instskip(SKIP_2) | instid1(VALU_DEP_1)
	v_rcp_f64_e32 v[240:241], v[6:7]
	s_waitcnt_depctr 0xfff
	v_fma_f64 v[242:243], -v[6:7], v[240:241], 1.0
	v_fma_f64 v[240:241], v[240:241], v[242:243], v[240:241]
	s_delay_alu instid0(VALU_DEP_1) | instskip(NEXT) | instid1(VALU_DEP_1)
	v_fma_f64 v[242:243], -v[6:7], v[240:241], 1.0
	v_fma_f64 v[240:241], v[240:241], v[242:243], v[240:241]
	v_div_scale_f64 v[242:243], vcc_lo, 1.0, v[0:1], 1.0
	s_delay_alu instid0(VALU_DEP_1) | instskip(NEXT) | instid1(VALU_DEP_1)
	v_mul_f64 v[244:245], v[242:243], v[240:241]
	v_fma_f64 v[6:7], -v[6:7], v[244:245], v[242:243]
	s_delay_alu instid0(VALU_DEP_1) | instskip(NEXT) | instid1(VALU_DEP_1)
	v_div_fmas_f64 v[6:7], v[6:7], v[240:241], v[244:245]
	v_div_fixup_f64 v[0:1], v[6:7], v[0:1], 1.0
	s_delay_alu instid0(VALU_DEP_1)
	v_mul_f64 v[246:247], v[4:5], -v[0:1]
.LBB125_680:
	s_or_b32 exec_lo, exec_lo, s3
	ds_store_2addr_b64 v254, v[0:1], v[246:247] offset1:1
.LBB125_681:
	s_or_b32 exec_lo, exec_lo, s4
	s_waitcnt lgkmcnt(0)
	s_barrier
	buffer_gl0_inv
	ds_load_2addr_b64 v[240:243], v254 offset1:1
	s_mov_b32 s3, exec_lo
	v_cmpx_lt_u32_e32 60, v253
	s_cbranch_execz .LBB125_683
; %bb.682:
	scratch_load_b128 v[244:247], off, off offset:960
	s_waitcnt vmcnt(0) lgkmcnt(0)
	v_mul_f64 v[0:1], v[242:243], v[246:247]
	s_delay_alu instid0(VALU_DEP_1) | instskip(SKIP_1) | instid1(VALU_DEP_1)
	v_fma_f64 v[248:249], v[240:241], v[244:245], -v[0:1]
	v_mul_f64 v[0:1], v[240:241], v[246:247]
	v_fma_f64 v[250:251], v[242:243], v[244:245], v[0:1]
	ds_load_2addr_b64 v[244:247], v252 offset0:122 offset1:123
	s_waitcnt lgkmcnt(0)
	v_mul_f64 v[0:1], v[246:247], v[250:251]
	v_mul_f64 v[4:5], v[244:245], v[250:251]
	s_delay_alu instid0(VALU_DEP_2) | instskip(NEXT) | instid1(VALU_DEP_2)
	v_fma_f64 v[0:1], v[244:245], v[248:249], -v[0:1]
	v_fma_f64 v[4:5], v[246:247], v[248:249], v[4:5]
	scratch_load_b128 v[244:247], off, off offset:976
	s_waitcnt vmcnt(0)
	v_add_f64 v[244:245], v[244:245], -v[0:1]
	v_add_f64 v[246:247], v[246:247], -v[4:5]
	s_clause 0x1
	scratch_store_b128 off, v[248:251], off offset:960
	scratch_store_b128 off, v[244:247], off offset:976
	ds_load_2addr_b64 v[244:247], v252 offset0:124 offset1:125
	s_waitcnt lgkmcnt(0)
	v_mul_f64 v[0:1], v[246:247], v[250:251]
	v_mul_f64 v[4:5], v[244:245], v[250:251]
	s_delay_alu instid0(VALU_DEP_2) | instskip(NEXT) | instid1(VALU_DEP_2)
	v_fma_f64 v[0:1], v[244:245], v[248:249], -v[0:1]
	v_fma_f64 v[4:5], v[246:247], v[248:249], v[4:5]
	scratch_load_b128 v[244:247], off, off offset:992
	s_waitcnt vmcnt(0)
	v_add_f64 v[244:245], v[244:245], -v[0:1]
	v_add_f64 v[246:247], v[246:247], -v[4:5]
	scratch_store_b128 off, v[244:247], off offset:992
.LBB125_683:
	s_or_b32 exec_lo, exec_lo, s3
	s_delay_alu instid0(SALU_CYCLE_1)
	s_mov_b32 s4, exec_lo
	s_waitcnt lgkmcnt(0)
	s_waitcnt_vscnt null, 0x0
	s_barrier
	buffer_gl0_inv
	v_cmpx_eq_u32_e32 61, v253
	s_cbranch_execz .LBB125_690
; %bb.684:
	scratch_load_b128 v[244:247], v3, off
	s_waitcnt vmcnt(0)
	ds_store_2addr_b64 v254, v[244:245], v[246:247] offset1:1
	scratch_load_b128 v[244:247], v2, off
	s_waitcnt vmcnt(0)
	ds_store_2addr_b64 v252, v[244:245], v[246:247] offset0:124 offset1:125
	ds_load_2addr_b64 v[244:247], v254 offset1:1
	s_waitcnt lgkmcnt(0)
	v_cmp_neq_f64_e32 vcc_lo, 0, v[244:245]
	v_cmp_neq_f64_e64 s3, 0, v[246:247]
	s_delay_alu instid0(VALU_DEP_1) | instskip(NEXT) | instid1(SALU_CYCLE_1)
	s_or_b32 s3, vcc_lo, s3
	s_and_b32 exec_lo, exec_lo, s3
	s_cbranch_execz .LBB125_690
; %bb.685:
	v_cmp_gt_f64_e32 vcc_lo, 0, v[244:245]
	v_xor_b32_e32 v0, 0x80000000, v245
	v_xor_b32_e32 v4, 0x80000000, v247
	s_delay_alu instid0(VALU_DEP_2) | instskip(SKIP_2) | instid1(VALU_DEP_4)
	v_cndmask_b32_e32 v1, v245, v0, vcc_lo
	v_cndmask_b32_e32 v0, v244, v244, vcc_lo
	v_cmp_gt_f64_e32 vcc_lo, 0, v[246:247]
	v_dual_cndmask_b32 v5, v247, v4 :: v_dual_cndmask_b32 v4, v246, v246
	s_delay_alu instid0(VALU_DEP_1) | instskip(SKIP_1) | instid1(SALU_CYCLE_1)
	v_cmp_ngt_f64_e32 vcc_lo, v[0:1], v[4:5]
                                        ; implicit-def: $vgpr0_vgpr1
	s_and_saveexec_b32 s3, vcc_lo
	s_xor_b32 s3, exec_lo, s3
                                        ; implicit-def: $vgpr248_vgpr249_vgpr250_vgpr251
	s_cbranch_execz .LBB125_687
; %bb.686:
	v_div_scale_f64 v[0:1], null, v[246:247], v[246:247], v[244:245]
	v_div_scale_f64 v[248:249], vcc_lo, v[244:245], v[246:247], v[244:245]
	s_delay_alu instid0(VALU_DEP_2) | instskip(SKIP_2) | instid1(VALU_DEP_1)
	v_rcp_f64_e32 v[4:5], v[0:1]
	s_waitcnt_depctr 0xfff
	v_fma_f64 v[6:7], -v[0:1], v[4:5], 1.0
	v_fma_f64 v[4:5], v[4:5], v[6:7], v[4:5]
	s_delay_alu instid0(VALU_DEP_1) | instskip(NEXT) | instid1(VALU_DEP_1)
	v_fma_f64 v[6:7], -v[0:1], v[4:5], 1.0
	v_fma_f64 v[4:5], v[4:5], v[6:7], v[4:5]
	s_delay_alu instid0(VALU_DEP_1) | instskip(NEXT) | instid1(VALU_DEP_1)
	v_mul_f64 v[6:7], v[248:249], v[4:5]
	v_fma_f64 v[0:1], -v[0:1], v[6:7], v[248:249]
	s_delay_alu instid0(VALU_DEP_1) | instskip(NEXT) | instid1(VALU_DEP_1)
	v_div_fmas_f64 v[0:1], v[0:1], v[4:5], v[6:7]
	v_div_fixup_f64 v[0:1], v[0:1], v[246:247], v[244:245]
	s_delay_alu instid0(VALU_DEP_1) | instskip(NEXT) | instid1(VALU_DEP_1)
	v_fma_f64 v[4:5], v[244:245], v[0:1], v[246:247]
	v_div_scale_f64 v[6:7], null, v[4:5], v[4:5], 1.0
	s_delay_alu instid0(VALU_DEP_1) | instskip(SKIP_2) | instid1(VALU_DEP_1)
	v_rcp_f64_e32 v[244:245], v[6:7]
	s_waitcnt_depctr 0xfff
	v_fma_f64 v[246:247], -v[6:7], v[244:245], 1.0
	v_fma_f64 v[244:245], v[244:245], v[246:247], v[244:245]
	s_delay_alu instid0(VALU_DEP_1) | instskip(NEXT) | instid1(VALU_DEP_1)
	v_fma_f64 v[246:247], -v[6:7], v[244:245], 1.0
	v_fma_f64 v[244:245], v[244:245], v[246:247], v[244:245]
	v_div_scale_f64 v[246:247], vcc_lo, 1.0, v[4:5], 1.0
	s_delay_alu instid0(VALU_DEP_1) | instskip(NEXT) | instid1(VALU_DEP_1)
	v_mul_f64 v[248:249], v[246:247], v[244:245]
	v_fma_f64 v[6:7], -v[6:7], v[248:249], v[246:247]
	s_delay_alu instid0(VALU_DEP_1) | instskip(NEXT) | instid1(VALU_DEP_1)
	v_div_fmas_f64 v[6:7], v[6:7], v[244:245], v[248:249]
                                        ; implicit-def: $vgpr244_vgpr245
	v_div_fixup_f64 v[250:251], v[6:7], v[4:5], 1.0
	s_delay_alu instid0(VALU_DEP_1)
	v_mul_f64 v[0:1], v[0:1], v[250:251]
	v_xor_b32_e32 v251, 0x80000000, v251
.LBB125_687:
	s_and_not1_saveexec_b32 s3, s3
	s_cbranch_execz .LBB125_689
; %bb.688:
	v_div_scale_f64 v[0:1], null, v[244:245], v[244:245], v[246:247]
	v_div_scale_f64 v[248:249], vcc_lo, v[246:247], v[244:245], v[246:247]
	s_delay_alu instid0(VALU_DEP_2) | instskip(SKIP_2) | instid1(VALU_DEP_1)
	v_rcp_f64_e32 v[4:5], v[0:1]
	s_waitcnt_depctr 0xfff
	v_fma_f64 v[6:7], -v[0:1], v[4:5], 1.0
	v_fma_f64 v[4:5], v[4:5], v[6:7], v[4:5]
	s_delay_alu instid0(VALU_DEP_1) | instskip(NEXT) | instid1(VALU_DEP_1)
	v_fma_f64 v[6:7], -v[0:1], v[4:5], 1.0
	v_fma_f64 v[4:5], v[4:5], v[6:7], v[4:5]
	s_delay_alu instid0(VALU_DEP_1) | instskip(NEXT) | instid1(VALU_DEP_1)
	v_mul_f64 v[6:7], v[248:249], v[4:5]
	v_fma_f64 v[0:1], -v[0:1], v[6:7], v[248:249]
	s_delay_alu instid0(VALU_DEP_1) | instskip(NEXT) | instid1(VALU_DEP_1)
	v_div_fmas_f64 v[0:1], v[0:1], v[4:5], v[6:7]
	v_div_fixup_f64 v[4:5], v[0:1], v[244:245], v[246:247]
	s_delay_alu instid0(VALU_DEP_1) | instskip(NEXT) | instid1(VALU_DEP_1)
	v_fma_f64 v[0:1], v[246:247], v[4:5], v[244:245]
	v_div_scale_f64 v[6:7], null, v[0:1], v[0:1], 1.0
	s_delay_alu instid0(VALU_DEP_1) | instskip(SKIP_2) | instid1(VALU_DEP_1)
	v_rcp_f64_e32 v[244:245], v[6:7]
	s_waitcnt_depctr 0xfff
	v_fma_f64 v[246:247], -v[6:7], v[244:245], 1.0
	v_fma_f64 v[244:245], v[244:245], v[246:247], v[244:245]
	s_delay_alu instid0(VALU_DEP_1) | instskip(NEXT) | instid1(VALU_DEP_1)
	v_fma_f64 v[246:247], -v[6:7], v[244:245], 1.0
	v_fma_f64 v[244:245], v[244:245], v[246:247], v[244:245]
	v_div_scale_f64 v[246:247], vcc_lo, 1.0, v[0:1], 1.0
	s_delay_alu instid0(VALU_DEP_1) | instskip(NEXT) | instid1(VALU_DEP_1)
	v_mul_f64 v[248:249], v[246:247], v[244:245]
	v_fma_f64 v[6:7], -v[6:7], v[248:249], v[246:247]
	s_delay_alu instid0(VALU_DEP_1) | instskip(NEXT) | instid1(VALU_DEP_1)
	v_div_fmas_f64 v[6:7], v[6:7], v[244:245], v[248:249]
	v_div_fixup_f64 v[0:1], v[6:7], v[0:1], 1.0
	s_delay_alu instid0(VALU_DEP_1)
	v_mul_f64 v[250:251], v[4:5], -v[0:1]
.LBB125_689:
	s_or_b32 exec_lo, exec_lo, s3
	ds_store_2addr_b64 v254, v[0:1], v[250:251] offset1:1
.LBB125_690:
	s_or_b32 exec_lo, exec_lo, s4
	s_waitcnt lgkmcnt(0)
	s_barrier
	buffer_gl0_inv
	ds_load_2addr_b64 v[244:247], v254 offset1:1
	s_mov_b32 s3, exec_lo
	v_cmpx_lt_u32_e32 61, v253
	s_cbranch_execz .LBB125_692
; %bb.691:
	scratch_load_b128 v[248:251], off, off offset:976
	s_waitcnt vmcnt(0) lgkmcnt(0)
	v_mul_f64 v[0:1], v[246:247], v[250:251]
	s_delay_alu instid0(VALU_DEP_1) | instskip(SKIP_1) | instid1(VALU_DEP_1)
	v_fma_f64 v[4:5], v[244:245], v[248:249], -v[0:1]
	v_mul_f64 v[0:1], v[244:245], v[250:251]
	v_fma_f64 v[6:7], v[246:247], v[248:249], v[0:1]
	ds_load_2addr_b64 v[248:251], v252 offset0:124 offset1:125
	scratch_store_b128 off, v[4:7], off offset:976
	s_waitcnt lgkmcnt(0)
	v_mul_f64 v[0:1], v[250:251], v[6:7]
	v_mul_f64 v[6:7], v[248:249], v[6:7]
	s_delay_alu instid0(VALU_DEP_2) | instskip(NEXT) | instid1(VALU_DEP_2)
	v_fma_f64 v[0:1], v[248:249], v[4:5], -v[0:1]
	v_fma_f64 v[248:249], v[250:251], v[4:5], v[6:7]
	scratch_load_b128 v[4:7], off, off offset:992
	s_waitcnt vmcnt(0)
	v_add_f64 v[4:5], v[4:5], -v[0:1]
	v_add_f64 v[6:7], v[6:7], -v[248:249]
	scratch_store_b128 off, v[4:7], off offset:992
.LBB125_692:
	s_or_b32 exec_lo, exec_lo, s3
	s_delay_alu instid0(SALU_CYCLE_1)
	s_mov_b32 s4, exec_lo
	s_waitcnt lgkmcnt(0)
	s_waitcnt_vscnt null, 0x0
	s_barrier
	buffer_gl0_inv
	v_cmpx_eq_u32_e32 62, v253
	s_cbranch_execz .LBB125_699
; %bb.693:
	scratch_load_b128 v[248:251], v2, off
	s_waitcnt vmcnt(0)
	v_cmp_neq_f64_e32 vcc_lo, 0, v[248:249]
	v_cmp_neq_f64_e64 s3, 0, v[250:251]
	ds_store_2addr_b64 v254, v[248:249], v[250:251] offset1:1
	s_or_b32 s3, vcc_lo, s3
	s_delay_alu instid0(SALU_CYCLE_1)
	s_and_b32 exec_lo, exec_lo, s3
	s_cbranch_execz .LBB125_699
; %bb.694:
	v_cmp_gt_f64_e32 vcc_lo, 0, v[248:249]
	v_xor_b32_e32 v0, 0x80000000, v249
	v_xor_b32_e32 v4, 0x80000000, v251
	v_dual_mov_b32 v11, v254 :: v_dual_mov_b32 v8, v253
	s_delay_alu instid0(VALU_DEP_3) | instskip(SKIP_3) | instid1(VALU_DEP_1)
	v_cndmask_b32_e32 v1, v249, v0, vcc_lo
	v_cndmask_b32_e32 v0, v248, v248, vcc_lo
	v_cmp_gt_f64_e32 vcc_lo, 0, v[250:251]
	v_dual_cndmask_b32 v5, v251, v4 :: v_dual_cndmask_b32 v4, v250, v250
	v_cmp_ngt_f64_e32 vcc_lo, v[0:1], v[4:5]
                                        ; implicit-def: $vgpr0_vgpr1
	s_and_saveexec_b32 s3, vcc_lo
	s_delay_alu instid0(SALU_CYCLE_1)
	s_xor_b32 s3, exec_lo, s3
                                        ; implicit-def: $vgpr252_vgpr253_vgpr254_vgpr255
	s_cbranch_execz .LBB125_696
; %bb.695:
	v_div_scale_f64 v[0:1], null, v[250:251], v[250:251], v[248:249]
	v_div_scale_f64 v[252:253], vcc_lo, v[248:249], v[250:251], v[248:249]
	s_delay_alu instid0(VALU_DEP_2) | instskip(SKIP_2) | instid1(VALU_DEP_1)
	v_rcp_f64_e32 v[4:5], v[0:1]
	s_waitcnt_depctr 0xfff
	v_fma_f64 v[6:7], -v[0:1], v[4:5], 1.0
	v_fma_f64 v[4:5], v[4:5], v[6:7], v[4:5]
	s_delay_alu instid0(VALU_DEP_1) | instskip(NEXT) | instid1(VALU_DEP_1)
	v_fma_f64 v[6:7], -v[0:1], v[4:5], 1.0
	v_fma_f64 v[4:5], v[4:5], v[6:7], v[4:5]
	s_delay_alu instid0(VALU_DEP_1) | instskip(NEXT) | instid1(VALU_DEP_1)
	v_mul_f64 v[6:7], v[252:253], v[4:5]
	v_fma_f64 v[0:1], -v[0:1], v[6:7], v[252:253]
	s_delay_alu instid0(VALU_DEP_1) | instskip(NEXT) | instid1(VALU_DEP_1)
	v_div_fmas_f64 v[0:1], v[0:1], v[4:5], v[6:7]
	v_div_fixup_f64 v[0:1], v[0:1], v[250:251], v[248:249]
	s_delay_alu instid0(VALU_DEP_1) | instskip(NEXT) | instid1(VALU_DEP_1)
	v_fma_f64 v[4:5], v[248:249], v[0:1], v[250:251]
	v_div_scale_f64 v[6:7], null, v[4:5], v[4:5], 1.0
	s_delay_alu instid0(VALU_DEP_1) | instskip(SKIP_2) | instid1(VALU_DEP_1)
	v_rcp_f64_e32 v[248:249], v[6:7]
	s_waitcnt_depctr 0xfff
	v_fma_f64 v[250:251], -v[6:7], v[248:249], 1.0
	v_fma_f64 v[248:249], v[248:249], v[250:251], v[248:249]
	s_delay_alu instid0(VALU_DEP_1) | instskip(NEXT) | instid1(VALU_DEP_1)
	v_fma_f64 v[250:251], -v[6:7], v[248:249], 1.0
	v_fma_f64 v[248:249], v[248:249], v[250:251], v[248:249]
	v_div_scale_f64 v[250:251], vcc_lo, 1.0, v[4:5], 1.0
	s_delay_alu instid0(VALU_DEP_1) | instskip(NEXT) | instid1(VALU_DEP_1)
	v_mul_f64 v[252:253], v[250:251], v[248:249]
	v_fma_f64 v[6:7], -v[6:7], v[252:253], v[250:251]
	s_delay_alu instid0(VALU_DEP_1) | instskip(NEXT) | instid1(VALU_DEP_1)
	v_div_fmas_f64 v[6:7], v[6:7], v[248:249], v[252:253]
                                        ; implicit-def: $vgpr248_vgpr249
	v_div_fixup_f64 v[254:255], v[6:7], v[4:5], 1.0
	s_delay_alu instid0(VALU_DEP_1)
	v_mul_f64 v[0:1], v[0:1], v[254:255]
	v_xor_b32_e32 v255, 0x80000000, v255
.LBB125_696:
	s_and_not1_saveexec_b32 s3, s3
	s_cbranch_execz .LBB125_698
; %bb.697:
	v_div_scale_f64 v[0:1], null, v[248:249], v[248:249], v[250:251]
	v_div_scale_f64 v[252:253], vcc_lo, v[250:251], v[248:249], v[250:251]
	s_delay_alu instid0(VALU_DEP_2) | instskip(SKIP_2) | instid1(VALU_DEP_1)
	v_rcp_f64_e32 v[4:5], v[0:1]
	s_waitcnt_depctr 0xfff
	v_fma_f64 v[6:7], -v[0:1], v[4:5], 1.0
	v_fma_f64 v[4:5], v[4:5], v[6:7], v[4:5]
	s_delay_alu instid0(VALU_DEP_1) | instskip(NEXT) | instid1(VALU_DEP_1)
	v_fma_f64 v[6:7], -v[0:1], v[4:5], 1.0
	v_fma_f64 v[4:5], v[4:5], v[6:7], v[4:5]
	s_delay_alu instid0(VALU_DEP_1) | instskip(NEXT) | instid1(VALU_DEP_1)
	v_mul_f64 v[6:7], v[252:253], v[4:5]
	v_fma_f64 v[0:1], -v[0:1], v[6:7], v[252:253]
	s_delay_alu instid0(VALU_DEP_1) | instskip(NEXT) | instid1(VALU_DEP_1)
	v_div_fmas_f64 v[0:1], v[0:1], v[4:5], v[6:7]
	v_div_fixup_f64 v[4:5], v[0:1], v[248:249], v[250:251]
	s_delay_alu instid0(VALU_DEP_1) | instskip(NEXT) | instid1(VALU_DEP_1)
	v_fma_f64 v[0:1], v[250:251], v[4:5], v[248:249]
	v_div_scale_f64 v[6:7], null, v[0:1], v[0:1], 1.0
	s_delay_alu instid0(VALU_DEP_1) | instskip(SKIP_2) | instid1(VALU_DEP_1)
	v_rcp_f64_e32 v[248:249], v[6:7]
	s_waitcnt_depctr 0xfff
	v_fma_f64 v[250:251], -v[6:7], v[248:249], 1.0
	v_fma_f64 v[248:249], v[248:249], v[250:251], v[248:249]
	s_delay_alu instid0(VALU_DEP_1) | instskip(NEXT) | instid1(VALU_DEP_1)
	v_fma_f64 v[250:251], -v[6:7], v[248:249], 1.0
	v_fma_f64 v[248:249], v[248:249], v[250:251], v[248:249]
	v_div_scale_f64 v[250:251], vcc_lo, 1.0, v[0:1], 1.0
	s_delay_alu instid0(VALU_DEP_1) | instskip(NEXT) | instid1(VALU_DEP_1)
	v_mul_f64 v[252:253], v[250:251], v[248:249]
	v_fma_f64 v[6:7], -v[6:7], v[252:253], v[250:251]
	s_delay_alu instid0(VALU_DEP_1) | instskip(NEXT) | instid1(VALU_DEP_1)
	v_div_fmas_f64 v[6:7], v[6:7], v[248:249], v[252:253]
	v_div_fixup_f64 v[0:1], v[6:7], v[0:1], 1.0
	s_delay_alu instid0(VALU_DEP_1)
	v_mul_f64 v[254:255], v[4:5], -v[0:1]
.LBB125_698:
	s_or_b32 exec_lo, exec_lo, s3
	ds_store_2addr_b64 v11, v[0:1], v[254:255] offset1:1
	v_dual_mov_b32 v254, v11 :: v_dual_mov_b32 v253, v8
.LBB125_699:
	s_or_b32 exec_lo, exec_lo, s4
	s_waitcnt lgkmcnt(0)
	s_barrier
	buffer_gl0_inv
	ds_load_2addr_b64 v[248:251], v254 offset1:1
	s_mov_b32 s3, exec_lo
	v_cmpx_lt_u32_e32 62, v253
	s_cbranch_execz .LBB125_701
; %bb.700:
	scratch_load_b128 v[4:7], off, off offset:992
	s_waitcnt vmcnt(0) lgkmcnt(0)
	v_mul_f64 v[0:1], v[250:251], v[6:7]
	s_delay_alu instid0(VALU_DEP_1) | instskip(SKIP_1) | instid1(VALU_DEP_1)
	v_fma_f64 v[252:253], v[248:249], v[4:5], -v[0:1]
	v_mul_f64 v[0:1], v[248:249], v[6:7]
	v_fma_f64 v[254:255], v[250:251], v[4:5], v[0:1]
	scratch_store_b128 off, v[252:255], off offset:992
.LBB125_701:
	s_or_b32 exec_lo, exec_lo, s3
	s_waitcnt lgkmcnt(0)
	s_waitcnt_vscnt null, 0x0
	s_barrier
	buffer_gl0_inv
	s_mov_b32 s12, exec_lo
	v_mov_b32_e32 v252, v9
	s_and_b32 s2, s12, s2
	s_delay_alu instid0(SALU_CYCLE_1)
	s_mov_b32 exec_lo, s2
	s_cbranch_execz .LBB125_704
; %bb.702:
	scratch_load_b128 v[4:7], off, off offset:1740 ; 16-byte Folded Reload
	v_cmp_eq_f64_e64 s7, 0, v[12:13]
	v_cmp_eq_f64_e64 s8, 0, v[14:15]
	;; [unrolled: 1-line block ×4, first 2 shown]
	s_load_b64 s[14:15], s[0:1], 0x28
	s_waitcnt vmcnt(0)
	v_cmp_eq_f64_e32 vcc_lo, 0, v[4:5]
	v_cmp_eq_f64_e64 s2, 0, v[6:7]
	scratch_load_b128 v[4:7], off, off offset:1756 ; 16-byte Folded Reload
	s_and_b32 s2, vcc_lo, s2
	s_delay_alu instid0(SALU_CYCLE_1)
	v_cndmask_b32_e64 v0, 0, 1, s2
	s_waitcnt vmcnt(0)
	v_cmp_neq_f64_e64 s3, 0, v[4:5]
	v_cmp_neq_f64_e64 s4, 0, v[6:7]
	scratch_load_b128 v[4:7], off, off offset:1772 ; 16-byte Folded Reload
	s_or_b32 s3, s3, s4
	s_delay_alu instid0(SALU_CYCLE_1) | instskip(SKIP_3) | instid1(VALU_DEP_2)
	s_or_b32 vcc_lo, s3, s2
	v_cmp_eq_f64_e64 s2, 0, v[22:23]
	v_cndmask_b32_e32 v0, 2, v0, vcc_lo
	v_cmp_eq_f64_e32 vcc_lo, 0, v[20:21]
	v_cmp_eq_u32_e64 s3, 0, v0
	s_delay_alu instid0(VALU_DEP_4) | instskip(SKIP_4) | instid1(VALU_DEP_1)
	s_and_b32 s2, vcc_lo, s2
	v_cmp_eq_f64_e32 vcc_lo, 0, v[36:37]
	s_waitcnt vmcnt(0)
	v_cmp_eq_f64_e64 s5, 0, v[4:5]
	v_cmp_eq_f64_e64 s6, 0, v[6:7]
	s_and_b32 s4, s5, s6
	s_and_b32 s6, s7, s8
	;; [unrolled: 1-line block ×3, first 2 shown]
	v_cmp_eq_f64_e64 s4, 0, v[26:27]
	v_cndmask_b32_e64 v0, v0, 3, s3
	v_cmp_eq_f64_e64 s3, 0, v[24:25]
	s_and_b32 s8, s9, s10
	v_cmp_eq_f64_e64 s10, 0, v[132:133]
	s_delay_alu instid0(VALU_DEP_3) | instskip(NEXT) | instid1(VALU_DEP_1)
	v_cmp_eq_u32_e64 s5, 0, v0
	s_and_b32 s5, s6, s5
	v_cmp_eq_f64_e64 s6, 0, v[30:31]
	v_cndmask_b32_e64 v0, v0, 4, s5
	v_cmp_eq_f64_e64 s5, 0, v[28:29]
	s_delay_alu instid0(VALU_DEP_2) | instskip(NEXT) | instid1(VALU_DEP_1)
	v_cmp_eq_u32_e64 s7, 0, v0
	s_and_b32 s7, s8, s7
	v_cmp_eq_f64_e64 s8, 0, v[34:35]
	v_cndmask_b32_e64 v0, v0, 5, s7
	v_cmp_eq_f64_e64 s7, 0, v[32:33]
	s_delay_alu instid0(VALU_DEP_2) | instskip(NEXT) | instid1(VALU_DEP_1)
	v_cmp_eq_u32_e64 s9, 0, v0
	s_and_b32 s2, s2, s9
	s_delay_alu instid0(SALU_CYCLE_1) | instskip(SKIP_3) | instid1(VALU_DEP_3)
	v_cndmask_b32_e64 v0, v0, 6, s2
	v_cmp_eq_f64_e64 s2, 0, v[38:39]
	s_and_b32 s3, s3, s4
	v_cmp_eq_f64_e64 s4, 0, v[42:43]
	v_cmp_eq_u32_e64 s9, 0, v0
	s_delay_alu instid0(VALU_DEP_1) | instskip(NEXT) | instid1(SALU_CYCLE_1)
	s_and_b32 s3, s3, s9
	v_cndmask_b32_e64 v0, v0, 7, s3
	v_cmp_eq_f64_e64 s3, 0, v[40:41]
	s_and_b32 s5, s5, s6
	v_cmp_eq_f64_e64 s6, 0, v[46:47]
	s_delay_alu instid0(VALU_DEP_3) | instskip(NEXT) | instid1(VALU_DEP_1)
	v_cmp_eq_u32_e64 s9, 0, v0
	s_and_b32 s5, s5, s9
	s_delay_alu instid0(SALU_CYCLE_1) | instskip(SKIP_3) | instid1(VALU_DEP_3)
	v_cndmask_b32_e64 v0, v0, 8, s5
	v_cmp_eq_f64_e64 s5, 0, v[44:45]
	s_and_b32 s7, s7, s8
	v_cmp_eq_f64_e64 s8, 0, v[50:51]
	v_cmp_eq_u32_e64 s9, 0, v0
	s_delay_alu instid0(VALU_DEP_1) | instskip(NEXT) | instid1(SALU_CYCLE_1)
	s_and_b32 s7, s7, s9
	v_cndmask_b32_e64 v0, v0, 9, s7
	v_cmp_eq_f64_e64 s7, 0, v[48:49]
	s_and_b32 s2, vcc_lo, s2
	v_cmp_eq_f64_e32 vcc_lo, 0, v[52:53]
	s_delay_alu instid0(VALU_DEP_3) | instskip(NEXT) | instid1(VALU_DEP_1)
	v_cmp_eq_u32_e64 s9, 0, v0
	s_and_b32 s2, s2, s9
	s_delay_alu instid0(SALU_CYCLE_1) | instskip(SKIP_3) | instid1(VALU_DEP_3)
	v_cndmask_b32_e64 v0, v0, 10, s2
	v_cmp_eq_f64_e64 s2, 0, v[54:55]
	s_and_b32 s3, s3, s4
	v_cmp_eq_f64_e64 s4, 0, v[58:59]
	v_cmp_eq_u32_e64 s9, 0, v0
	s_delay_alu instid0(VALU_DEP_1) | instskip(NEXT) | instid1(SALU_CYCLE_1)
	s_and_b32 s3, s3, s9
	v_cndmask_b32_e64 v0, v0, 11, s3
	v_cmp_eq_f64_e64 s3, 0, v[56:57]
	s_and_b32 s5, s5, s6
	v_cmp_eq_f64_e64 s6, 0, v[62:63]
	s_delay_alu instid0(VALU_DEP_3) | instskip(NEXT) | instid1(VALU_DEP_1)
	v_cmp_eq_u32_e64 s9, 0, v0
	s_and_b32 s5, s5, s9
	s_delay_alu instid0(SALU_CYCLE_1) | instskip(SKIP_3) | instid1(VALU_DEP_3)
	v_cndmask_b32_e64 v0, v0, 12, s5
	v_cmp_eq_f64_e64 s5, 0, v[60:61]
	s_and_b32 s7, s7, s8
	v_cmp_eq_f64_e64 s8, 0, v[66:67]
	v_cmp_eq_u32_e64 s9, 0, v0
	s_delay_alu instid0(VALU_DEP_1) | instskip(NEXT) | instid1(SALU_CYCLE_1)
	s_and_b32 s7, s7, s9
	v_cndmask_b32_e64 v0, v0, 13, s7
	v_cmp_eq_f64_e64 s7, 0, v[64:65]
	s_and_b32 s2, vcc_lo, s2
	v_cmp_eq_f64_e32 vcc_lo, 0, v[68:69]
	s_delay_alu instid0(VALU_DEP_3) | instskip(NEXT) | instid1(VALU_DEP_1)
	;; [unrolled: 30-line block ×5, first 2 shown]
	v_cmp_eq_u32_e64 s9, 0, v0
	s_and_b32 s2, s2, s9
	s_delay_alu instid0(SALU_CYCLE_1) | instskip(SKIP_3) | instid1(VALU_DEP_3)
	v_cndmask_b32_e64 v0, v0, 26, s2
	v_cmp_eq_f64_e64 s2, 0, v[118:119]
	s_and_b32 s3, s3, s4
	v_cmp_eq_f64_e64 s4, 0, v[122:123]
	v_cmp_eq_u32_e64 s9, 0, v0
	s_delay_alu instid0(VALU_DEP_1) | instskip(NEXT) | instid1(SALU_CYCLE_1)
	s_and_b32 s3, s3, s9
	v_cndmask_b32_e64 v0, v0, 27, s3
	v_cmp_eq_f64_e64 s3, 0, v[120:121]
	s_and_b32 s5, s5, s6
	v_cmp_eq_f64_e64 s6, 0, v[126:127]
	s_delay_alu instid0(VALU_DEP_3) | instskip(NEXT) | instid1(VALU_DEP_1)
	v_cmp_eq_u32_e64 s9, 0, v0
	s_and_b32 s5, s5, s9
	s_delay_alu instid0(SALU_CYCLE_1) | instskip(SKIP_3) | instid1(VALU_DEP_3)
	v_cndmask_b32_e64 v0, v0, 28, s5
	v_cmp_eq_f64_e64 s5, 0, v[124:125]
	s_and_b32 s7, s7, s8
	v_cmp_eq_f64_e64 s8, 0, v[130:131]
	v_cmp_eq_u32_e64 s9, 0, v0
	s_delay_alu instid0(VALU_DEP_1) | instskip(NEXT) | instid1(SALU_CYCLE_1)
	s_and_b32 s7, s7, s9
	v_cndmask_b32_e64 v0, v0, 29, s7
	v_cmp_eq_f64_e64 s7, 0, v[128:129]
	s_and_b32 s13, vcc_lo, s2
	v_cmp_eq_f64_e64 s2, 0, v[134:135]
	s_delay_alu instid0(VALU_DEP_3) | instskip(NEXT) | instid1(VALU_DEP_1)
	v_cmp_eq_u32_e64 s9, 0, v0
	s_and_b32 s9, s13, s9
	s_delay_alu instid0(SALU_CYCLE_1) | instskip(SKIP_3) | instid1(VALU_DEP_3)
	v_cndmask_b32_e64 v0, v0, 30, s9
	v_cmp_eq_f64_e64 s9, 0, v[170:171]
	s_and_b32 s3, s3, s4
	v_cmp_eq_f64_e64 s4, 0, v[138:139]
	v_cmp_eq_u32_e32 vcc_lo, 0, v0
	s_and_b32 s3, s3, vcc_lo
	s_delay_alu instid0(SALU_CYCLE_1) | instskip(SKIP_2) | instid1(VALU_DEP_2)
	v_cndmask_b32_e64 v0, v0, 31, s3
	v_cmp_eq_f64_e64 s3, 0, v[136:137]
	s_and_b32 s5, s5, s6
	v_cmp_eq_u32_e32 vcc_lo, 0, v0
	s_and_b32 s0, s5, vcc_lo
	v_cmp_eq_f64_e32 vcc_lo, 0, v[140:141]
	v_cndmask_b32_e64 v0, v0, 32, s0
	v_cmp_eq_f64_e64 s0, 0, v[142:143]
	s_and_b32 s5, s7, s8
	v_cmp_eq_f64_e64 s8, 0, v[168:169]
	s_delay_alu instid0(VALU_DEP_3) | instskip(SKIP_1) | instid1(VALU_DEP_1)
	v_cmp_eq_u32_e64 s1, 0, v0
	s_and_b32 s7, s10, s2
	s_and_b32 s1, s5, s1
	v_cmp_eq_f64_e64 s5, 0, v[146:147]
	v_cndmask_b32_e64 v4, v0, 33, s1
	scratch_load_b64 v[0:1], off, off offset:1732 ; 8-byte Folded Reload
	v_cmp_eq_f64_e64 s1, 0, v[144:145]
	v_cmp_eq_u32_e64 s2, 0, v4
	s_delay_alu instid0(VALU_DEP_1) | instskip(NEXT) | instid1(SALU_CYCLE_1)
	s_and_b32 s2, s7, s2
	v_cndmask_b32_e64 v5, v4, 34, s2
	v_cmp_eq_f64_e64 s2, 0, v[148:149]
	s_and_b32 s3, s3, s4
	v_cmp_eq_f64_e64 s4, 0, v[154:155]
	s_delay_alu instid0(VALU_DEP_3) | instskip(NEXT) | instid1(VALU_DEP_1)
	v_cmp_eq_u32_e64 s7, 0, v5
	s_and_b32 s3, s3, s7
	s_delay_alu instid0(SALU_CYCLE_1) | instskip(SKIP_3) | instid1(VALU_DEP_3)
	v_cndmask_b32_e64 v5, v5, 35, s3
	v_cmp_eq_f64_e64 s3, 0, v[152:153]
	s_and_b32 s0, vcc_lo, s0
	v_cmp_eq_f64_e32 vcc_lo, 0, v[156:157]
	v_cmp_eq_u32_e64 s7, 0, v5
	s_delay_alu instid0(VALU_DEP_1) | instskip(NEXT) | instid1(SALU_CYCLE_1)
	s_and_b32 s0, s0, s7
	v_cndmask_b32_e64 v5, v5, 36, s0
	v_cmp_eq_f64_e64 s0, 0, v[158:159]
	s_and_b32 s1, s1, s5
	s_delay_alu instid0(VALU_DEP_2) | instskip(SKIP_1) | instid1(VALU_DEP_2)
	v_cmp_eq_u32_e64 s7, 0, v5
	v_cmp_eq_f64_e64 s5, 0, v[162:163]
	s_and_b32 s1, s1, s7
	s_delay_alu instid0(SALU_CYCLE_1) | instskip(SKIP_1) | instid1(VALU_DEP_2)
	v_cndmask_b32_e64 v5, v5, 37, s1
	v_cmp_eq_f64_e64 s1, 0, v[160:161]
	v_cmp_eq_u32_e64 s7, 0, v5
	s_and_b32 s3, s3, s4
	v_cmp_eq_f64_e64 s4, 0, v[174:175]
	s_and_b32 s0, vcc_lo, s0
	s_waitcnt vmcnt(0)
	v_lshlrev_b64 v[0:1], 2, v[0:1]
	s_waitcnt lgkmcnt(0)
	s_delay_alu instid0(VALU_DEP_1) | instskip(NEXT) | instid1(VALU_DEP_1)
	v_add_co_u32 v0, s6, s14, v0
	v_add_co_ci_u32_e64 v1, s6, s15, v1, s6
	v_cmp_eq_f64_e64 s6, 0, v[150:151]
	global_load_b32 v4, v[0:1], off
	s_and_b32 s2, s2, s6
	s_delay_alu instid0(SALU_CYCLE_1) | instskip(SKIP_3) | instid1(VALU_DEP_2)
	s_and_b32 s2, s2, s7
	v_cmp_eq_f64_e64 s7, 0, v[166:167]
	v_cndmask_b32_e64 v5, v5, 38, s2
	v_cmp_eq_f64_e64 s2, 0, v[164:165]
	v_cmp_eq_u32_e64 s6, 0, v5
	s_delay_alu instid0(VALU_DEP_1) | instskip(SKIP_2) | instid1(VALU_DEP_1)
	s_and_b32 s3, s3, s6
	v_cmp_eq_f64_e64 s6, 0, v[178:179]
	v_cndmask_b32_e64 v5, v5, 39, s3
	v_cmp_eq_u32_e64 s3, 0, v5
	s_delay_alu instid0(VALU_DEP_1) | instskip(SKIP_4) | instid1(VALU_DEP_2)
	s_and_b32 s0, s0, s3
	v_cmp_eq_f64_e64 s3, 0, v[172:173]
	v_cndmask_b32_e64 v5, v5, 40, s0
	s_and_b32 s0, s1, s5
	v_cmp_eq_f64_e64 s5, 0, v[176:177]
	v_cmp_eq_u32_e32 vcc_lo, 0, v5
	s_and_b32 s0, s0, vcc_lo
	s_delay_alu instid0(SALU_CYCLE_1) | instskip(SKIP_2) | instid1(VALU_DEP_1)
	v_cndmask_b32_e64 v5, v5, 41, s0
	s_and_b32 s0, s2, s7
	s_and_b32 s2, s8, s9
	v_cmp_eq_u32_e32 vcc_lo, 0, v5
	s_and_b32 s0, s0, vcc_lo
	v_cmp_eq_f64_e32 vcc_lo, 0, v[180:181]
	v_cndmask_b32_e64 v5, v5, 42, s0
	v_cmp_eq_f64_e64 s0, 0, v[182:183]
	s_delay_alu instid0(VALU_DEP_2) | instskip(NEXT) | instid1(VALU_DEP_1)
	v_cmp_eq_u32_e64 s1, 0, v5
	s_and_b32 s1, s2, s1
	v_cmp_eq_f64_e64 s2, 0, v[186:187]
	v_cndmask_b32_e64 v5, v5, 43, s1
	v_cmp_eq_f64_e64 s1, 0, v[184:185]
	s_and_b32 s3, s3, s4
	v_cmp_eq_f64_e64 s4, 0, v[190:191]
	s_and_b32 s5, s5, s6
	v_cmp_eq_u32_e64 s7, 0, v5
	v_cmp_eq_f64_e64 s6, 0, v[194:195]
	s_delay_alu instid0(VALU_DEP_2) | instskip(NEXT) | instid1(SALU_CYCLE_1)
	s_and_b32 s3, s3, s7
	v_cndmask_b32_e64 v5, v5, 44, s3
	v_cmp_eq_f64_e64 s3, 0, v[188:189]
	s_delay_alu instid0(VALU_DEP_2) | instskip(NEXT) | instid1(VALU_DEP_1)
	v_cmp_eq_u32_e64 s7, 0, v5
	s_and_b32 s5, s5, s7
	s_delay_alu instid0(SALU_CYCLE_1) | instskip(SKIP_3) | instid1(VALU_DEP_3)
	v_cndmask_b32_e64 v5, v5, 45, s5
	v_cmp_eq_f64_e64 s5, 0, v[192:193]
	s_and_b32 s0, vcc_lo, s0
	v_cmp_eq_f64_e32 vcc_lo, 0, v[196:197]
	v_cmp_eq_u32_e64 s7, 0, v5
	s_delay_alu instid0(VALU_DEP_1) | instskip(NEXT) | instid1(SALU_CYCLE_1)
	s_and_b32 s0, s0, s7
	v_cndmask_b32_e64 v5, v5, 46, s0
	v_cmp_eq_f64_e64 s0, 0, v[198:199]
	s_and_b32 s1, s1, s2
	v_cmp_eq_f64_e64 s2, 0, v[202:203]
	s_delay_alu instid0(VALU_DEP_3) | instskip(NEXT) | instid1(VALU_DEP_1)
	v_cmp_eq_u32_e64 s7, 0, v5
	s_and_b32 s1, s1, s7
	s_delay_alu instid0(SALU_CYCLE_1) | instskip(SKIP_3) | instid1(VALU_DEP_3)
	v_cndmask_b32_e64 v5, v5, 47, s1
	v_cmp_eq_f64_e64 s1, 0, v[200:201]
	s_and_b32 s3, s3, s4
	v_cmp_eq_f64_e64 s4, 0, v[206:207]
	v_cmp_eq_u32_e64 s7, 0, v5
	s_delay_alu instid0(VALU_DEP_1) | instskip(NEXT) | instid1(SALU_CYCLE_1)
	s_and_b32 s3, s3, s7
	v_cndmask_b32_e64 v5, v5, 48, s3
	v_cmp_eq_f64_e64 s3, 0, v[204:205]
	s_and_b32 s5, s5, s6
	v_cmp_eq_f64_e64 s6, 0, v[210:211]
	s_delay_alu instid0(VALU_DEP_3) | instskip(NEXT) | instid1(VALU_DEP_1)
	v_cmp_eq_u32_e64 s7, 0, v5
	s_and_b32 s5, s5, s7
	s_delay_alu instid0(SALU_CYCLE_1) | instskip(SKIP_3) | instid1(VALU_DEP_3)
	v_cndmask_b32_e64 v5, v5, 49, s5
	v_cmp_eq_f64_e64 s5, 0, v[208:209]
	s_and_b32 s0, vcc_lo, s0
	v_cmp_eq_f64_e32 vcc_lo, 0, v[212:213]
	v_cmp_eq_u32_e64 s7, 0, v5
	s_delay_alu instid0(VALU_DEP_1) | instskip(NEXT) | instid1(SALU_CYCLE_1)
	s_and_b32 s0, s0, s7
	v_cndmask_b32_e64 v5, v5, 50, s0
	v_cmp_eq_f64_e64 s0, 0, v[214:215]
	s_and_b32 s1, s1, s2
	v_cmp_eq_f64_e64 s2, 0, v[218:219]
	s_delay_alu instid0(VALU_DEP_3) | instskip(NEXT) | instid1(VALU_DEP_1)
	v_cmp_eq_u32_e64 s7, 0, v5
	s_and_b32 s1, s1, s7
	s_delay_alu instid0(SALU_CYCLE_1) | instskip(SKIP_3) | instid1(VALU_DEP_3)
	v_cndmask_b32_e64 v5, v5, 51, s1
	v_cmp_eq_f64_e64 s1, 0, v[216:217]
	s_and_b32 s3, s3, s4
	v_cmp_eq_f64_e64 s4, 0, v[222:223]
	v_cmp_eq_u32_e64 s7, 0, v5
	s_delay_alu instid0(VALU_DEP_1) | instskip(NEXT) | instid1(SALU_CYCLE_1)
	s_and_b32 s3, s3, s7
	v_cndmask_b32_e64 v5, v5, 52, s3
	v_cmp_eq_f64_e64 s3, 0, v[220:221]
	s_and_b32 s5, s5, s6
	v_cmp_eq_f64_e64 s6, 0, v[226:227]
	s_delay_alu instid0(VALU_DEP_3) | instskip(NEXT) | instid1(VALU_DEP_1)
	v_cmp_eq_u32_e64 s7, 0, v5
	s_and_b32 s5, s5, s7
	s_delay_alu instid0(SALU_CYCLE_1) | instskip(SKIP_3) | instid1(VALU_DEP_3)
	v_cndmask_b32_e64 v5, v5, 53, s5
	v_cmp_eq_f64_e64 s5, 0, v[224:225]
	s_and_b32 s0, vcc_lo, s0
	v_cmp_eq_f64_e32 vcc_lo, 0, v[228:229]
	v_cmp_eq_u32_e64 s7, 0, v5
	s_delay_alu instid0(VALU_DEP_1) | instskip(NEXT) | instid1(SALU_CYCLE_1)
	s_and_b32 s0, s0, s7
	v_cndmask_b32_e64 v5, v5, 54, s0
	v_cmp_eq_f64_e64 s0, 0, v[230:231]
	s_and_b32 s1, s1, s2
	v_cmp_eq_f64_e64 s2, 0, v[234:235]
	s_delay_alu instid0(VALU_DEP_3) | instskip(NEXT) | instid1(VALU_DEP_1)
	v_cmp_eq_u32_e64 s7, 0, v5
	s_and_b32 s1, s1, s7
	s_delay_alu instid0(SALU_CYCLE_1) | instskip(SKIP_3) | instid1(VALU_DEP_3)
	v_cndmask_b32_e64 v5, v5, 55, s1
	v_cmp_eq_f64_e64 s1, 0, v[232:233]
	s_and_b32 s3, s3, s4
	v_cmp_eq_f64_e64 s4, 0, v[238:239]
	v_cmp_eq_u32_e64 s7, 0, v5
	s_delay_alu instid0(VALU_DEP_1) | instskip(NEXT) | instid1(SALU_CYCLE_1)
	s_and_b32 s3, s3, s7
	v_cndmask_b32_e64 v5, v5, 56, s3
	v_cmp_eq_f64_e64 s3, 0, v[236:237]
	s_and_b32 s5, s5, s6
	v_cmp_eq_f64_e64 s6, 0, v[242:243]
	s_delay_alu instid0(VALU_DEP_3) | instskip(NEXT) | instid1(VALU_DEP_1)
	v_cmp_eq_u32_e64 s7, 0, v5
	s_and_b32 s5, s5, s7
	s_delay_alu instid0(SALU_CYCLE_1) | instskip(SKIP_3) | instid1(VALU_DEP_3)
	v_cndmask_b32_e64 v5, v5, 57, s5
	v_cmp_eq_f64_e64 s5, 0, v[240:241]
	s_and_b32 s0, vcc_lo, s0
	v_cmp_eq_f64_e32 vcc_lo, 0, v[244:245]
	v_cmp_eq_u32_e64 s7, 0, v5
	s_delay_alu instid0(VALU_DEP_1) | instskip(NEXT) | instid1(SALU_CYCLE_1)
	s_and_b32 s0, s0, s7
	v_cndmask_b32_e64 v5, v5, 58, s0
	v_cmp_eq_f64_e64 s0, 0, v[246:247]
	s_and_b32 s1, s1, s2
	v_cmp_eq_f64_e64 s2, 0, v[250:251]
	s_delay_alu instid0(VALU_DEP_3) | instskip(NEXT) | instid1(VALU_DEP_1)
	v_cmp_eq_u32_e64 s7, 0, v5
	s_and_b32 s1, s1, s7
	s_delay_alu instid0(SALU_CYCLE_1) | instskip(SKIP_2) | instid1(VALU_DEP_2)
	v_cndmask_b32_e64 v5, v5, 59, s1
	v_cmp_eq_f64_e64 s1, 0, v[248:249]
	s_and_b32 s3, s3, s4
	v_cmp_eq_u32_e64 s7, 0, v5
	s_delay_alu instid0(VALU_DEP_1) | instskip(NEXT) | instid1(SALU_CYCLE_1)
	s_and_b32 s3, s3, s7
	v_cndmask_b32_e64 v5, v5, 60, s3
	s_and_b32 s4, s5, s6
	s_delay_alu instid0(VALU_DEP_1) | instskip(NEXT) | instid1(VALU_DEP_1)
	v_cmp_eq_u32_e64 s3, 0, v5
	s_and_b32 s3, s4, s3
	s_delay_alu instid0(SALU_CYCLE_1) | instskip(SKIP_1) | instid1(VALU_DEP_1)
	v_cndmask_b32_e64 v5, v5, 61, s3
	s_and_b32 s0, vcc_lo, s0
	v_cmp_eq_u32_e64 s3, 0, v5
	s_delay_alu instid0(VALU_DEP_1) | instskip(NEXT) | instid1(SALU_CYCLE_1)
	s_and_b32 s0, s0, s3
	v_cndmask_b32_e64 v5, v5, 62, s0
	s_and_b32 s0, s1, s2
	s_delay_alu instid0(VALU_DEP_1) | instskip(SKIP_4) | instid1(VALU_DEP_1)
	v_cmp_eq_u32_e32 vcc_lo, 0, v5
	s_and_b32 s0, s0, vcc_lo
	s_waitcnt vmcnt(0)
	v_cmp_eq_u32_e32 vcc_lo, 0, v4
	v_cndmask_b32_e64 v5, v5, 63, s0
	v_cmp_lt_i32_e64 s0, 0, v5
	s_delay_alu instid0(VALU_DEP_1) | instskip(NEXT) | instid1(SALU_CYCLE_1)
	s_and_b32 s0, vcc_lo, s0
	s_and_b32 exec_lo, exec_lo, s0
	s_cbranch_execz .LBB125_704
; %bb.703:
	v_add_nc_u32_e32 v4, s11, v5
	global_store_b32 v[0:1], v4, off
.LBB125_704:
	s_or_b32 exec_lo, exec_lo, s12
	v_add_nc_u32_e64 v0, 0, 32
	scratch_load_b128 v[4:7], off, off
	s_clause 0x1
	scratch_load_b128 v[8:11], v10, off
	scratch_load_b128 v[12:15], v0, off
	v_add_nc_u32_e64 v0, 0, 48
	scratch_load_b128 v[16:19], v0, off
	v_add_nc_u32_e64 v0, 0, 64
	scratch_load_b128 v[20:23], v0, off
	scratch_load_b32 v0, off, off offset:1728 ; 4-byte Folded Reload
	s_waitcnt vmcnt(0)
	scratch_load_b128 v[24:27], v0, off
	scratch_load_b32 v0, off, off offset:1724 ; 4-byte Folded Reload
	s_waitcnt vmcnt(0)
	;; [unrolled: 3-line block ×9, first 2 shown]
	s_clause 0x1
	scratch_load_b128 v[56:59], v0, off
	scratch_load_b128 v[60:63], v252, off
	scratch_load_b32 v0, off, off offset:1196 ; 4-byte Folded Reload
	s_waitcnt vmcnt(0)
	scratch_load_b128 v[64:67], v0, off
	scratch_load_b32 v0, off, off offset:1192 ; 4-byte Folded Reload
	s_waitcnt vmcnt(0)
	;; [unrolled: 3-line block ×6, first 2 shown]
	scratch_load_b128 v[84:87], v0, off
	scratch_load_b64 v[0:1], off, off offset:1144 ; 8-byte Folded Reload
	s_waitcnt vmcnt(0)
	global_store_b128 v[0:1], v[4:7], off
	scratch_load_b32 v0, off, off offset:1172 ; 4-byte Folded Reload
	s_waitcnt vmcnt(0)
	scratch_load_b128 v[4:7], v0, off
	scratch_load_b32 v0, off, off offset:1168 ; 4-byte Folded Reload
	s_waitcnt vmcnt(0)
	scratch_load_b128 v[88:91], v0, off
	scratch_load_b64 v[0:1], off, off offset:1688 ; 8-byte Folded Reload
	s_waitcnt vmcnt(0)
	global_store_b128 v[0:1], v[8:11], off
	scratch_load_b32 v0, off, off offset:1164 ; 4-byte Folded Reload
	s_waitcnt vmcnt(0)
	scratch_load_b128 v[8:11], v0, off
	scratch_load_b32 v0, off, off offset:1160 ; 4-byte Folded Reload
	s_waitcnt vmcnt(0)
	;; [unrolled: 9-line block ×20, first 2 shown]
	scratch_load_b128 v[164:167], v0, off
	scratch_load_b64 v[0:1], off, off offset:1240 ; 8-byte Folded Reload
	s_waitcnt vmcnt(0)
	global_store_b128 v[0:1], v[84:87], off
	s_clause 0x1
	scratch_load_b128 v[84:87], v3, off
	scratch_load_b128 v[0:3], v2, off
	scratch_load_b64 v[168:169], off, off offset:1208 ; 8-byte Folded Reload
	s_waitcnt vmcnt(0)
	global_store_b128 v[168:169], v[4:7], off
	scratch_load_b64 v[4:5], off, off offset:1216 ; 8-byte Folded Reload
	s_waitcnt vmcnt(0)
	global_store_b128 v[4:5], v[88:91], off
	;; [unrolled: 3-line block ×42, first 2 shown]
.LBB125_705:
	s_nop 0
	s_sendmsg sendmsg(MSG_DEALLOC_VGPRS)
	s_endpgm
	.section	.rodata,"a",@progbits
	.p2align	6, 0x0
	.amdhsa_kernel _ZN9rocsolver6v33100L23getf2_npvt_small_kernelILi63E19rocblas_complex_numIdEiiPKPS3_EEvT1_T3_lS7_lPT2_S7_S7_
		.amdhsa_group_segment_fixed_size 0
		.amdhsa_private_segment_fixed_size 1792
		.amdhsa_kernarg_size 312
		.amdhsa_user_sgpr_count 14
		.amdhsa_user_sgpr_dispatch_ptr 0
		.amdhsa_user_sgpr_queue_ptr 0
		.amdhsa_user_sgpr_kernarg_segment_ptr 1
		.amdhsa_user_sgpr_dispatch_id 0
		.amdhsa_user_sgpr_private_segment_size 0
		.amdhsa_wavefront_size32 1
		.amdhsa_uses_dynamic_stack 0
		.amdhsa_enable_private_segment 1
		.amdhsa_system_sgpr_workgroup_id_x 1
		.amdhsa_system_sgpr_workgroup_id_y 1
		.amdhsa_system_sgpr_workgroup_id_z 0
		.amdhsa_system_sgpr_workgroup_info 0
		.amdhsa_system_vgpr_workitem_id 1
		.amdhsa_next_free_vgpr 256
		.amdhsa_next_free_sgpr 66
		.amdhsa_reserve_vcc 1
		.amdhsa_float_round_mode_32 0
		.amdhsa_float_round_mode_16_64 0
		.amdhsa_float_denorm_mode_32 3
		.amdhsa_float_denorm_mode_16_64 3
		.amdhsa_dx10_clamp 1
		.amdhsa_ieee_mode 1
		.amdhsa_fp16_overflow 0
		.amdhsa_workgroup_processor_mode 1
		.amdhsa_memory_ordered 1
		.amdhsa_forward_progress 0
		.amdhsa_shared_vgpr_count 0
		.amdhsa_exception_fp_ieee_invalid_op 0
		.amdhsa_exception_fp_denorm_src 0
		.amdhsa_exception_fp_ieee_div_zero 0
		.amdhsa_exception_fp_ieee_overflow 0
		.amdhsa_exception_fp_ieee_underflow 0
		.amdhsa_exception_fp_ieee_inexact 0
		.amdhsa_exception_int_div_zero 0
	.end_amdhsa_kernel
	.section	.text._ZN9rocsolver6v33100L23getf2_npvt_small_kernelILi63E19rocblas_complex_numIdEiiPKPS3_EEvT1_T3_lS7_lPT2_S7_S7_,"axG",@progbits,_ZN9rocsolver6v33100L23getf2_npvt_small_kernelILi63E19rocblas_complex_numIdEiiPKPS3_EEvT1_T3_lS7_lPT2_S7_S7_,comdat
.Lfunc_end125:
	.size	_ZN9rocsolver6v33100L23getf2_npvt_small_kernelILi63E19rocblas_complex_numIdEiiPKPS3_EEvT1_T3_lS7_lPT2_S7_S7_, .Lfunc_end125-_ZN9rocsolver6v33100L23getf2_npvt_small_kernelILi63E19rocblas_complex_numIdEiiPKPS3_EEvT1_T3_lS7_lPT2_S7_S7_
                                        ; -- End function
	.section	.AMDGPU.csdata,"",@progbits
; Kernel info:
; codeLenInByte = 120720
; NumSgprs: 68
; NumVgprs: 256
; ScratchSize: 1792
; MemoryBound: 0
; FloatMode: 240
; IeeeMode: 1
; LDSByteSize: 0 bytes/workgroup (compile time only)
; SGPRBlocks: 8
; VGPRBlocks: 31
; NumSGPRsForWavesPerEU: 68
; NumVGPRsForWavesPerEU: 256
; Occupancy: 5
; WaveLimiterHint : 1
; COMPUTE_PGM_RSRC2:SCRATCH_EN: 1
; COMPUTE_PGM_RSRC2:USER_SGPR: 14
; COMPUTE_PGM_RSRC2:TRAP_HANDLER: 0
; COMPUTE_PGM_RSRC2:TGID_X_EN: 1
; COMPUTE_PGM_RSRC2:TGID_Y_EN: 1
; COMPUTE_PGM_RSRC2:TGID_Z_EN: 0
; COMPUTE_PGM_RSRC2:TIDIG_COMP_CNT: 1
	.section	.text._ZN9rocsolver6v33100L18getf2_small_kernelILi64E19rocblas_complex_numIdEiiPKPS3_EEvT1_T3_lS7_lPS7_llPT2_S7_S7_S9_l,"axG",@progbits,_ZN9rocsolver6v33100L18getf2_small_kernelILi64E19rocblas_complex_numIdEiiPKPS3_EEvT1_T3_lS7_lPS7_llPT2_S7_S7_S9_l,comdat
	.globl	_ZN9rocsolver6v33100L18getf2_small_kernelILi64E19rocblas_complex_numIdEiiPKPS3_EEvT1_T3_lS7_lPS7_llPT2_S7_S7_S9_l ; -- Begin function _ZN9rocsolver6v33100L18getf2_small_kernelILi64E19rocblas_complex_numIdEiiPKPS3_EEvT1_T3_lS7_lPS7_llPT2_S7_S7_S9_l
	.p2align	8
	.type	_ZN9rocsolver6v33100L18getf2_small_kernelILi64E19rocblas_complex_numIdEiiPKPS3_EEvT1_T3_lS7_lPS7_llPT2_S7_S7_S9_l,@function
_ZN9rocsolver6v33100L18getf2_small_kernelILi64E19rocblas_complex_numIdEiiPKPS3_EEvT1_T3_lS7_lPS7_llPT2_S7_S7_S9_l: ; @_ZN9rocsolver6v33100L18getf2_small_kernelILi64E19rocblas_complex_numIdEiiPKPS3_EEvT1_T3_lS7_lPS7_llPT2_S7_S7_S9_l
; %bb.0:
	s_clause 0x1
	s_load_b32 s2, s[0:1], 0x6c
	s_load_b64 s[12:13], s[0:1], 0x48
	v_bfe_u32 v1, v0, 10, 10
	s_waitcnt lgkmcnt(0)
	s_lshr_b32 s2, s2, 16
	s_delay_alu instid0(VALU_DEP_1) | instid1(SALU_CYCLE_1)
	v_mad_u64_u32 v[8:9], null, s15, s2, v[1:2]
	s_mov_b32 s2, exec_lo
	s_delay_alu instid0(VALU_DEP_1)
	v_cmpx_gt_i32_e64 s12, v8
	s_cbranch_execnz .LBB126_1
; %bb.1484:
	s_getpc_b64 s[72:73]
.Lpost_getpc31:
	s_add_u32 s72, s72, (.LBB126_1483-.Lpost_getpc31)&4294967295
	s_addc_u32 s73, s73, (.LBB126_1483-.Lpost_getpc31)>>32
	s_setpc_b64 s[72:73]
.LBB126_1:
	s_clause 0x1
	s_load_b128 s[4:7], s[0:1], 0x8
	s_load_b128 s[8:11], s[0:1], 0x50
	v_ashrrev_i32_e32 v9, 31, v8
	v_mov_b32_e32 v4, 0
	v_mov_b32_e32 v5, 0
	s_delay_alu instid0(VALU_DEP_3) | instskip(SKIP_1) | instid1(VALU_DEP_1)
	v_lshlrev_b64 v[2:3], 3, v[8:9]
	s_waitcnt lgkmcnt(0)
	v_add_co_u32 v2, vcc_lo, s4, v2
	s_delay_alu instid0(VALU_DEP_2)
	v_add_co_ci_u32_e32 v3, vcc_lo, s5, v3, vcc_lo
	s_cmp_eq_u64 s[8:9], 0
	s_cselect_b32 s4, -1, 0
	global_load_b64 v[2:3], v[2:3], off
	s_and_b32 vcc_lo, exec_lo, s4
	s_cbranch_vccnz .LBB126_3
; %bb.2:
	v_mul_lo_u32 v6, v9, s10
	v_mul_lo_u32 v7, v8, s11
	v_mad_u64_u32 v[4:5], null, v8, s10, 0
	s_delay_alu instid0(VALU_DEP_1) | instskip(NEXT) | instid1(VALU_DEP_1)
	v_add3_u32 v5, v5, v7, v6
	v_lshlrev_b64 v[4:5], 2, v[4:5]
	s_delay_alu instid0(VALU_DEP_1) | instskip(NEXT) | instid1(VALU_DEP_2)
	v_add_co_u32 v4, vcc_lo, s8, v4
	v_add_co_ci_u32_e32 v5, vcc_lo, s9, v5, vcc_lo
.LBB126_3:
	s_clause 0x1
	s_load_b32 s8, s[0:1], 0x18
	s_load_b32 s5, s[0:1], 0x0
	s_clause 0x1
	scratch_store_b64 off, v[4:5], off offset:1024
	scratch_store_b64 off, v[8:9], off offset:1032
	v_and_b32_e32 v5, 0x3ff, v0
	s_lshl_b64 s[2:3], s[6:7], 4
	s_movk_i32 s6, 0x50
	s_waitcnt vmcnt(0)
	v_add_co_u32 v160, vcc_lo, v2, s2
	v_lshlrev_b32_e32 v4, 4, v5
	v_add_co_ci_u32_e32 v161, vcc_lo, s3, v3, vcc_lo
	s_movk_i32 s7, 0x60
	s_movk_i32 s12, 0x80
	s_delay_alu instid0(VALU_DEP_2) | instskip(NEXT) | instid1(VALU_DEP_2)
	v_add_co_u32 v10, vcc_lo, v160, v4
	v_add_co_ci_u32_e32 v11, vcc_lo, 0, v161, vcc_lo
	s_movk_i32 s14, 0x90
	s_movk_i32 s15, 0xa0
	;; [unrolled: 1-line block ×3, first 2 shown]
	s_waitcnt lgkmcnt(0)
	s_ashr_i32 s9, s8, 31
	v_add3_u32 v2, s8, s8, v5
	s_lshl_b64 s[10:11], s[8:9], 4
	s_max_i32 s2, s5, 64
	v_add_co_u32 v15, vcc_lo, v10, s10
	v_add_co_ci_u32_e32 v16, vcc_lo, s11, v11, vcc_lo
	s_clause 0x1
	global_load_b128 v[6:9], v[10:11], off
	global_load_b128 v[10:13], v[10:11], off
	v_ashrrev_i32_e32 v3, 31, v2
	v_add_nc_u32_e32 v14, s8, v2
	global_load_b128 v[20:23], v[15:16], off
	v_mul_lo_u32 v159, s2, v1
	s_movk_i32 s9, 0x70
	v_lshlrev_b64 v[2:3], 4, v[2:3]
	v_add_nc_u32_e32 v24, s8, v14
	v_ashrrev_i32_e32 v15, 31, v14
	s_movk_i32 s17, 0xc0
	s_movk_i32 s18, 0xd0
	;; [unrolled: 1-line block ×3, first 2 shown]
	v_add_nc_u32_e32 v16, s8, v24
	v_ashrrev_i32_e32 v25, 31, v24
	v_add_co_u32 v2, vcc_lo, v160, v2
	v_lshlrev_b64 v[14:15], 4, v[14:15]
	v_add_co_ci_u32_e32 v3, vcc_lo, v161, v3, vcc_lo
	v_ashrrev_i32_e32 v17, 31, v16
	v_add_nc_u32_e32 v30, s8, v16
	v_lshlrev_b64 v[28:29], 4, v[24:25]
	global_load_b128 v[24:27], v[2:3], off
	v_add_co_u32 v2, vcc_lo, v160, v14
	v_add_co_ci_u32_e32 v3, vcc_lo, v161, v15, vcc_lo
	v_lshlrev_b64 v[14:15], 4, v[16:17]
	v_add_nc_u32_e32 v16, s8, v30
	v_ashrrev_i32_e32 v31, 31, v30
	v_add_co_u32 v32, vcc_lo, v160, v28
	v_add_co_ci_u32_e32 v33, vcc_lo, v161, v29, vcc_lo
	s_delay_alu instid0(VALU_DEP_4)
	v_ashrrev_i32_e32 v17, 31, v16
	v_add_nc_u32_e32 v38, s8, v16
	v_lshlrev_b64 v[36:37], 4, v[30:31]
	s_clause 0x1
	global_load_b128 v[28:31], v[2:3], off
	global_load_b128 v[32:35], v[32:33], off
	v_add_co_u32 v2, vcc_lo, v160, v14
	v_add_co_ci_u32_e32 v3, vcc_lo, v161, v15, vcc_lo
	v_lshlrev_b64 v[14:15], 4, v[16:17]
	v_add_nc_u32_e32 v16, s8, v38
	v_ashrrev_i32_e32 v39, 31, v38
	v_add_co_u32 v41, vcc_lo, v160, v36
	v_add_co_ci_u32_e32 v42, vcc_lo, v161, v37, vcc_lo
	s_delay_alu instid0(VALU_DEP_4)
	v_ashrrev_i32_e32 v17, 31, v16
	v_add_nc_u32_e32 v47, s8, v16
	v_lshlrev_b64 v[45:46], 4, v[38:39]
	s_clause 0x1
	global_load_b128 v[37:40], v[2:3], off
	global_load_b128 v[41:44], v[41:42], off
	v_add_co_u32 v2, vcc_lo, v160, v14
	v_add_co_ci_u32_e32 v3, vcc_lo, v161, v15, vcc_lo
	v_lshlrev_b64 v[14:15], 4, v[16:17]
	v_add_nc_u32_e32 v16, s8, v47
	v_ashrrev_i32_e32 v48, 31, v47
	v_add_co_u32 v49, vcc_lo, v160, v45
	v_add_co_ci_u32_e32 v50, vcc_lo, v161, v46, vcc_lo
	s_delay_alu instid0(VALU_DEP_4)
	v_ashrrev_i32_e32 v17, 31, v16
	v_add_nc_u32_e32 v55, s8, v16
	v_lshlrev_b64 v[53:54], 4, v[47:48]
	s_clause 0x1
	global_load_b128 v[45:48], v[2:3], off
	global_load_b128 v[49:52], v[49:50], off
	v_add_co_u32 v2, vcc_lo, v160, v14
	v_add_co_ci_u32_e32 v3, vcc_lo, v161, v15, vcc_lo
	v_lshlrev_b64 v[14:15], 4, v[16:17]
	v_add_nc_u32_e32 v16, s8, v55
	v_ashrrev_i32_e32 v56, 31, v55
	v_add_co_u32 v57, vcc_lo, v160, v53
	v_add_co_ci_u32_e32 v58, vcc_lo, v161, v54, vcc_lo
	s_delay_alu instid0(VALU_DEP_4)
	v_ashrrev_i32_e32 v17, 31, v16
	v_add_nc_u32_e32 v63, s8, v16
	v_lshlrev_b64 v[61:62], 4, v[55:56]
	s_clause 0x1
	global_load_b128 v[53:56], v[2:3], off
	global_load_b128 v[57:60], v[57:58], off
	v_add_co_u32 v2, vcc_lo, v160, v14
	v_add_co_ci_u32_e32 v3, vcc_lo, v161, v15, vcc_lo
	v_lshlrev_b64 v[14:15], 4, v[16:17]
	v_add_nc_u32_e32 v16, s8, v63
	v_ashrrev_i32_e32 v64, 31, v63
	v_add_co_u32 v65, vcc_lo, v160, v61
	v_add_co_ci_u32_e32 v66, vcc_lo, v161, v62, vcc_lo
	s_delay_alu instid0(VALU_DEP_4)
	v_ashrrev_i32_e32 v17, 31, v16
	v_add_nc_u32_e32 v71, s8, v16
	v_lshlrev_b64 v[69:70], 4, v[63:64]
	s_clause 0x1
	global_load_b128 v[61:64], v[2:3], off
	global_load_b128 v[65:68], v[65:66], off
	v_add_co_u32 v2, vcc_lo, v160, v14
	v_add_co_ci_u32_e32 v3, vcc_lo, v161, v15, vcc_lo
	v_lshlrev_b64 v[14:15], 4, v[16:17]
	v_add_nc_u32_e32 v16, s8, v71
	v_ashrrev_i32_e32 v72, 31, v71
	v_add_co_u32 v73, vcc_lo, v160, v69
	v_add_co_ci_u32_e32 v74, vcc_lo, v161, v70, vcc_lo
	s_delay_alu instid0(VALU_DEP_4)
	v_ashrrev_i32_e32 v17, 31, v16
	v_add_nc_u32_e32 v79, s8, v16
	v_lshlrev_b64 v[77:78], 4, v[71:72]
	s_clause 0x1
	global_load_b128 v[69:72], v[2:3], off
	global_load_b128 v[73:76], v[73:74], off
	v_add_co_u32 v2, vcc_lo, v160, v14
	v_add_co_ci_u32_e32 v3, vcc_lo, v161, v15, vcc_lo
	v_lshlrev_b64 v[14:15], 4, v[16:17]
	v_add_nc_u32_e32 v16, s8, v79
	v_ashrrev_i32_e32 v80, 31, v79
	v_add_co_u32 v81, vcc_lo, v160, v77
	v_add_co_ci_u32_e32 v82, vcc_lo, v161, v78, vcc_lo
	s_delay_alu instid0(VALU_DEP_4)
	v_ashrrev_i32_e32 v17, 31, v16
	v_add_nc_u32_e32 v87, s8, v16
	v_lshlrev_b64 v[85:86], 4, v[79:80]
	s_clause 0x1
	global_load_b128 v[77:80], v[2:3], off
	global_load_b128 v[81:84], v[81:82], off
	v_add_co_u32 v2, vcc_lo, v160, v14
	v_add_co_ci_u32_e32 v3, vcc_lo, v161, v15, vcc_lo
	v_lshlrev_b64 v[14:15], 4, v[16:17]
	v_add_nc_u32_e32 v16, s8, v87
	v_add_co_u32 v89, vcc_lo, v160, v85
	v_ashrrev_i32_e32 v88, 31, v87
	v_add_co_ci_u32_e32 v90, vcc_lo, v161, v86, vcc_lo
	s_delay_alu instid0(VALU_DEP_4) | instskip(SKIP_1) | instid1(VALU_DEP_4)
	v_ashrrev_i32_e32 v17, 31, v16
	v_add_nc_u32_e32 v95, s8, v16
	v_lshlrev_b64 v[93:94], 4, v[87:88]
	s_clause 0x1
	global_load_b128 v[85:88], v[2:3], off
	global_load_b128 v[89:92], v[89:90], off
	v_add_co_u32 v2, vcc_lo, v160, v14
	v_add_co_ci_u32_e32 v3, vcc_lo, v161, v15, vcc_lo
	v_lshlrev_b64 v[14:15], 4, v[16:17]
	v_add_nc_u32_e32 v16, s8, v95
	v_ashrrev_i32_e32 v96, 31, v95
	v_add_co_u32 v97, vcc_lo, v160, v93
	v_add_co_ci_u32_e32 v98, vcc_lo, v161, v94, vcc_lo
	s_delay_alu instid0(VALU_DEP_4) | instskip(NEXT) | instid1(VALU_DEP_4)
	v_add_nc_u32_e32 v103, s8, v16
	v_lshlrev_b64 v[101:102], 4, v[95:96]
	v_ashrrev_i32_e32 v17, 31, v16
	s_clause 0x1
	global_load_b128 v[93:96], v[2:3], off
	global_load_b128 v[97:100], v[97:98], off
	v_add_co_u32 v2, vcc_lo, v160, v14
	v_add_nc_u32_e32 v14, s8, v103
	v_ashrrev_i32_e32 v104, 31, v103
	v_add_co_ci_u32_e32 v3, vcc_lo, v161, v15, vcc_lo
	v_lshlrev_b64 v[16:17], 4, v[16:17]
	v_add_co_u32 v105, vcc_lo, v160, v101
	v_add_co_ci_u32_e32 v106, vcc_lo, v161, v102, vcc_lo
	v_add_nc_u32_e32 v109, s8, v14
	v_lshlrev_b64 v[111:112], 4, v[103:104]
	v_ashrrev_i32_e32 v15, 31, v14
	s_clause 0x1
	global_load_b128 v[101:104], v[2:3], off
	global_load_b128 v[105:108], v[105:106], off
	v_add_co_u32 v2, vcc_lo, v160, v16
	v_add_nc_u32_e32 v16, s8, v109
	v_add_co_ci_u32_e32 v3, vcc_lo, v161, v17, vcc_lo
	v_ashrrev_i32_e32 v110, 31, v109
	v_lshlrev_b64 v[14:15], 4, v[14:15]
	v_add_co_u32 v113, vcc_lo, v160, v111
	v_add_co_ci_u32_e32 v114, vcc_lo, v161, v112, vcc_lo
	v_ashrrev_i32_e32 v17, 31, v16
	v_add_nc_u32_e32 v117, s8, v16
	v_lshlrev_b64 v[119:120], 4, v[109:110]
	s_clause 0x1
	global_load_b128 v[109:112], v[2:3], off
	global_load_b128 v[113:116], v[113:114], off
	v_add_co_u32 v2, vcc_lo, v160, v14
	v_add_co_ci_u32_e32 v3, vcc_lo, v161, v15, vcc_lo
	v_lshlrev_b64 v[14:15], 4, v[16:17]
	v_add_nc_u32_e32 v16, s8, v117
	v_add_co_u32 v121, vcc_lo, v160, v119
	v_ashrrev_i32_e32 v118, 31, v117
	v_add_co_ci_u32_e32 v122, vcc_lo, v161, v120, vcc_lo
	s_delay_alu instid0(VALU_DEP_4) | instskip(SKIP_1) | instid1(VALU_DEP_4)
	v_ashrrev_i32_e32 v17, 31, v16
	v_add_nc_u32_e32 v125, s8, v16
	v_lshlrev_b64 v[127:128], 4, v[117:118]
	s_clause 0x1
	global_load_b128 v[117:120], v[2:3], off
	global_load_b128 v[121:124], v[121:122], off
	v_add_co_u32 v2, vcc_lo, v160, v14
	v_add_co_ci_u32_e32 v3, vcc_lo, v161, v15, vcc_lo
	v_lshlrev_b64 v[14:15], 4, v[16:17]
	v_add_nc_u32_e32 v16, s8, v125
	v_ashrrev_i32_e32 v126, 31, v125
	v_add_co_u32 v129, vcc_lo, v160, v127
	v_add_co_ci_u32_e32 v130, vcc_lo, v161, v128, vcc_lo
	s_delay_alu instid0(VALU_DEP_4)
	v_ashrrev_i32_e32 v17, 31, v16
	v_add_nc_u32_e32 v135, s8, v16
	v_lshlrev_b64 v[133:134], 4, v[125:126]
	s_clause 0x1
	global_load_b128 v[125:128], v[2:3], off
	global_load_b128 v[129:132], v[129:130], off
	v_add_co_u32 v14, vcc_lo, v160, v14
	v_lshlrev_b64 v[2:3], 4, v[16:17]
	v_add_nc_u32_e32 v16, s8, v135
	v_add_co_ci_u32_e32 v15, vcc_lo, v161, v15, vcc_lo
	v_ashrrev_i32_e32 v136, 31, v135
	v_add_co_u32 v137, vcc_lo, v160, v133
	s_delay_alu instid0(VALU_DEP_4) | instskip(SKIP_1) | instid1(VALU_DEP_4)
	v_add_nc_u32_e32 v143, s8, v16
	v_add_co_ci_u32_e32 v138, vcc_lo, v161, v134, vcc_lo
	v_lshlrev_b64 v[141:142], 4, v[135:136]
	v_ashrrev_i32_e32 v17, 31, v16
	s_clause 0x1
	global_load_b128 v[133:136], v[14:15], off
	global_load_b128 v[137:140], v[137:138], off
	v_add_nc_u32_e32 v14, s8, v143
	v_add_co_u32 v2, vcc_lo, v160, v2
	v_add_co_ci_u32_e32 v3, vcc_lo, v161, v3, vcc_lo
	v_lshlrev_b64 v[16:17], 4, v[16:17]
	v_add_co_u32 v145, vcc_lo, v160, v141
	v_ashrrev_i32_e32 v144, 31, v143
	v_add_nc_u32_e32 v151, s8, v14
	v_add_co_ci_u32_e32 v146, vcc_lo, v161, v142, vcc_lo
	v_ashrrev_i32_e32 v15, 31, v14
	s_delay_alu instid0(VALU_DEP_4)
	v_lshlrev_b64 v[149:150], 4, v[143:144]
	s_clause 0x1
	global_load_b128 v[141:144], v[2:3], off
	global_load_b128 v[145:148], v[145:146], off
	v_add_co_u32 v2, vcc_lo, v160, v16
	v_add_nc_u32_e32 v16, s8, v151
	v_ashrrev_i32_e32 v152, 31, v151
	v_lshlrev_b64 v[14:15], 4, v[14:15]
	v_add_co_ci_u32_e32 v3, vcc_lo, v161, v17, vcc_lo
	s_delay_alu instid0(VALU_DEP_4)
	v_add_nc_u32_e32 v153, s8, v16
	v_add_co_u32 v149, vcc_lo, v160, v149
	v_lshlrev_b64 v[151:152], 4, v[151:152]
	v_add_co_ci_u32_e32 v150, vcc_lo, v161, v150, vcc_lo
	v_ashrrev_i32_e32 v17, 31, v16
	v_add_co_u32 v14, vcc_lo, v160, v14
	v_ashrrev_i32_e32 v154, 31, v153
	v_add_nc_u32_e32 v155, s8, v153
	v_add_co_ci_u32_e32 v15, vcc_lo, v161, v15, vcc_lo
	v_add_co_u32 v162, vcc_lo, v160, v151
	v_lshlrev_b64 v[16:17], 4, v[16:17]
	v_add_co_ci_u32_e32 v163, vcc_lo, v161, v152, vcc_lo
	v_lshlrev_b64 v[151:152], 4, v[153:154]
	v_add_nc_u32_e32 v153, s8, v155
	v_ashrrev_i32_e32 v156, 31, v155
	v_add_co_u32 v16, vcc_lo, v160, v16
	v_add_co_ci_u32_e32 v17, vcc_lo, v161, v17, vcc_lo
	s_delay_alu instid0(VALU_DEP_4)
	v_ashrrev_i32_e32 v154, 31, v153
	v_add_nc_u32_e32 v164, s8, v153
	v_add_co_u32 v166, vcc_lo, v160, v151
	v_lshlrev_b64 v[155:156], 4, v[155:156]
	v_add_co_ci_u32_e32 v167, vcc_lo, v161, v152, vcc_lo
	v_lshlrev_b64 v[151:152], 4, v[153:154]
	v_add_nc_u32_e32 v153, s8, v164
	v_ashrrev_i32_e32 v165, 31, v164
	v_add_co_u32 v170, vcc_lo, v160, v155
	v_add_co_ci_u32_e32 v171, vcc_lo, v161, v156, vcc_lo
	s_delay_alu instid0(VALU_DEP_4)
	v_ashrrev_i32_e32 v154, 31, v153
	v_add_nc_u32_e32 v155, s8, v153
	v_add_co_u32 v174, vcc_lo, v160, v151
	v_lshlrev_b64 v[164:165], 4, v[164:165]
	v_add_co_ci_u32_e32 v175, vcc_lo, v161, v152, vcc_lo
	v_lshlrev_b64 v[151:152], 4, v[153:154]
	v_add_nc_u32_e32 v153, s8, v155
	v_ashrrev_i32_e32 v156, 31, v155
	v_add_co_u32 v178, vcc_lo, v160, v164
	v_add_co_ci_u32_e32 v179, vcc_lo, v161, v165, vcc_lo
	s_delay_alu instid0(VALU_DEP_4) | instskip(SKIP_3) | instid1(VALU_DEP_4)
	v_add_nc_u32_e32 v164, s8, v153
	v_ashrrev_i32_e32 v154, 31, v153
	v_lshlrev_b64 v[155:156], 4, v[155:156]
	v_add_co_u32 v180, vcc_lo, v160, v151
	v_ashrrev_i32_e32 v165, 31, v164
	v_add_co_ci_u32_e32 v181, vcc_lo, v161, v152, vcc_lo
	v_lshlrev_b64 v[151:152], 4, v[153:154]
	v_add_co_u32 v182, vcc_lo, v160, v155
	v_add_co_ci_u32_e32 v183, vcc_lo, v161, v156, vcc_lo
	v_lshl_add_u32 v36, v159, 4, 0
	s_waitcnt vmcnt(33)
	scratch_store_b128 off, v[6:9], off
	s_waitcnt vmcnt(31)
	scratch_store_b128 off, v[20:23], off offset:16
	v_add_nc_u32_e32 v6, s8, v164
	v_lshlrev_b64 v[20:21], 4, v[164:165]
	v_add_co_u32 v186, vcc_lo, v160, v151
	v_add_co_ci_u32_e32 v187, vcc_lo, v161, v152, vcc_lo
	s_delay_alu instid0(VALU_DEP_4) | instskip(SKIP_3) | instid1(VALU_DEP_4)
	v_add_nc_u32_e32 v8, s8, v6
	v_ashrrev_i32_e32 v7, 31, v6
	v_add_co_u32 v190, vcc_lo, v160, v20
	v_add_co_ci_u32_e32 v191, vcc_lo, v161, v21, vcc_lo
	v_add_nc_u32_e32 v22, s8, v8
	s_delay_alu instid0(VALU_DEP_4)
	v_lshlrev_b64 v[6:7], 4, v[6:7]
	v_ashrrev_i32_e32 v9, 31, v8
	v_add_nc_u32_e32 v4, v36, v4
	s_movk_i32 s20, 0xf0
	v_ashrrev_i32_e32 v23, 31, v22
	v_add_nc_u32_e32 v20, s8, v22
	v_add_co_u32 v194, vcc_lo, v160, v6
	v_lshlrev_b64 v[8:9], 4, v[8:9]
	v_add_co_ci_u32_e32 v195, vcc_lo, v161, v7, vcc_lo
	v_lshlrev_b64 v[6:7], 4, v[22:23]
	v_add_nc_u32_e32 v22, s8, v20
	v_ashrrev_i32_e32 v21, 31, v20
	v_add_co_u32 v198, vcc_lo, v160, v8
	v_add_co_ci_u32_e32 v199, vcc_lo, v161, v9, vcc_lo
	s_delay_alu instid0(VALU_DEP_4)
	v_ashrrev_i32_e32 v23, 31, v22
	v_add_nc_u32_e32 v8, s8, v22
	v_add_co_u32 v202, vcc_lo, v160, v6
	v_lshlrev_b64 v[20:21], 4, v[20:21]
	v_add_co_ci_u32_e32 v203, vcc_lo, v161, v7, vcc_lo
	v_lshlrev_b64 v[6:7], 4, v[22:23]
	v_add_nc_u32_e32 v22, s8, v8
	v_ashrrev_i32_e32 v9, 31, v8
	v_add_co_u32 v206, vcc_lo, v160, v20
	v_add_co_ci_u32_e32 v207, vcc_lo, v161, v21, vcc_lo
	s_delay_alu instid0(VALU_DEP_4) | instskip(SKIP_3) | instid1(VALU_DEP_4)
	v_add_nc_u32_e32 v20, s8, v22
	v_ashrrev_i32_e32 v23, 31, v22
	v_lshlrev_b64 v[8:9], 4, v[8:9]
	v_add_co_u32 v210, vcc_lo, v160, v6
	v_add_nc_u32_e32 v151, s8, v20
	v_add_co_ci_u32_e32 v211, vcc_lo, v161, v7, vcc_lo
	v_lshlrev_b64 v[6:7], 4, v[22:23]
	v_ashrrev_i32_e32 v21, 31, v20
	v_add_co_u32 v214, vcc_lo, v160, v8
	v_ashrrev_i32_e32 v152, 31, v151
	v_add_nc_u32_e32 v153, s8, v151
	v_add_co_ci_u32_e32 v215, vcc_lo, v161, v9, vcc_lo
	v_lshlrev_b64 v[155:156], 4, v[20:21]
	v_add_co_u32 v218, vcc_lo, v160, v6
	v_add_co_ci_u32_e32 v219, vcc_lo, v161, v7, vcc_lo
	s_clause 0x1
	global_load_b128 v[6:9], v[2:3], off
	global_load_b128 v[20:23], v[149:150], off
	v_lshlrev_b64 v[2:3], 4, v[151:152]
	v_add_nc_u32_e32 v164, s8, v153
	v_add_co_u32 v222, vcc_lo, v160, v155
	v_add_co_ci_u32_e32 v223, vcc_lo, v161, v156, vcc_lo
	s_delay_alu instid0(VALU_DEP_4) | instskip(NEXT) | instid1(VALU_DEP_4)
	v_add_co_u32 v226, vcc_lo, v160, v2
	v_add_nc_u32_e32 v2, s8, v164
	v_ashrrev_i32_e32 v154, 31, v153
	v_ashrrev_i32_e32 v165, 31, v164
	v_add_co_ci_u32_e32 v227, vcc_lo, v161, v3, vcc_lo
	s_delay_alu instid0(VALU_DEP_4) | instskip(NEXT) | instid1(VALU_DEP_4)
	v_add_nc_u32_e32 v172, s8, v2
	v_lshlrev_b64 v[168:169], 4, v[153:154]
	v_ashrrev_i32_e32 v3, 31, v2
	s_clause 0x1
	global_load_b128 v[149:152], v[14:15], off
	global_load_b128 v[153:156], v[162:163], off
	v_lshlrev_b64 v[14:15], 4, v[164:165]
	v_add_nc_u32_e32 v176, s8, v172
	v_ashrrev_i32_e32 v173, 31, v172
	v_add_co_u32 v230, vcc_lo, v160, v168
	v_lshlrev_b64 v[2:3], 4, v[2:3]
	s_delay_alu instid0(VALU_DEP_4)
	v_add_nc_u32_e32 v184, s8, v176
	v_add_co_ci_u32_e32 v231, vcc_lo, v161, v169, vcc_lo
	v_add_co_u32 v14, vcc_lo, v160, v14
	v_add_co_ci_u32_e32 v15, vcc_lo, v161, v15, vcc_lo
	v_add_co_u32 v238, vcc_lo, v160, v2
	v_add_nc_u32_e32 v2, s8, v184
	v_ashrrev_i32_e32 v177, 31, v176
	s_clause 0x1
	global_load_b128 v[162:165], v[16:17], off
	global_load_b128 v[166:169], v[166:167], off
	v_lshlrev_b64 v[16:17], 4, v[172:173]
	v_ashrrev_i32_e32 v185, 31, v184
	v_add_nc_u32_e32 v200, s8, v2
	v_lshlrev_b64 v[188:189], 4, v[176:177]
	v_add_co_ci_u32_e32 v239, vcc_lo, v161, v3, vcc_lo
	v_ashrrev_i32_e32 v3, 31, v2
	s_delay_alu instid0(VALU_DEP_4)
	v_add_nc_u32_e32 v232, s8, v200
	v_add_co_u32 v16, vcc_lo, v160, v16
	v_lshlrev_b64 v[184:185], 4, v[184:185]
	v_ashrrev_i32_e32 v201, 31, v200
	v_add_co_ci_u32_e32 v17, vcc_lo, v161, v17, vcc_lo
	v_add_co_u32 v246, vcc_lo, v160, v188
	v_lshlrev_b64 v[2:3], 4, v[2:3]
	v_ashrrev_i32_e32 v233, 31, v232
	v_add_co_ci_u32_e32 v247, vcc_lo, v161, v189, vcc_lo
	v_add_co_u32 v250, vcc_lo, v160, v184
	v_lshlrev_b64 v[0:1], 4, v[200:201]
	v_add_co_ci_u32_e32 v251, vcc_lo, v161, v185, vcc_lo
	v_add_co_u32 v254, vcc_lo, v160, v2
	v_lshlrev_b64 v[248:249], 4, v[232:233]
	v_add_co_ci_u32_e32 v255, vcc_lo, v161, v3, vcc_lo
	v_add_co_u32 v157, vcc_lo, v160, v0
	v_add_co_ci_u32_e32 v158, vcc_lo, v161, v1, vcc_lo
	s_delay_alu instid0(VALU_DEP_4)
	v_add_co_u32 v18, vcc_lo, v160, v248
	s_clause 0x13
	global_load_b128 v[170:173], v[170:171], off
	global_load_b128 v[174:177], v[174:175], off
	global_load_b128 v[0:3], v[178:179], off
	global_load_b128 v[178:181], v[180:181], off
	global_load_b128 v[182:185], v[182:183], off
	global_load_b128 v[186:189], v[186:187], off
	global_load_b128 v[190:193], v[190:191], off
	global_load_b128 v[194:197], v[194:195], off
	global_load_b128 v[198:201], v[198:199], off
	global_load_b128 v[202:205], v[202:203], off
	global_load_b128 v[206:209], v[206:207], off
	global_load_b128 v[210:213], v[210:211], off
	global_load_b128 v[214:217], v[214:215], off
	global_load_b128 v[218:221], v[218:219], off
	global_load_b128 v[222:225], v[222:223], off
	global_load_b128 v[226:229], v[226:227], off
	global_load_b128 v[230:233], v[230:231], off
	global_load_b128 v[234:237], v[14:15], off
	global_load_b128 v[238:241], v[238:239], off
	global_load_b128 v[242:245], v[16:17], off
	v_add_co_ci_u32_e32 v19, vcc_lo, v161, v249, vcc_lo
	s_clause 0x1
	global_load_b128 v[246:249], v[246:247], off
	global_load_b128 v[250:253], v[250:251], off
	ds_store_2addr_b64 v4, v[10:11], v[12:13] offset1:1
	v_mov_b32_e32 v4, 0
	s_clause 0x1
	global_load_b128 v[10:13], v[254:255], off
	global_load_b128 v[14:17], v[157:158], off
	s_waitcnt vmcnt(60)
	scratch_store_b128 off, v[24:27], off offset:32
	global_load_b128 v[24:27], v[18:19], off
	s_movk_i32 s21, 0x100
	s_movk_i32 s22, 0x110
	;; [unrolled: 1-line block ×47, first 2 shown]
	s_cmp_lt_i32 s5, 2
	s_movk_i32 s69, 0x3f0
	s_waitcnt vmcnt(60)
	scratch_store_b128 off, v[28:31], off offset:48
	s_waitcnt vmcnt(59)
	scratch_store_b128 off, v[32:35], off offset:64
	;; [unrolled: 2-line block ×61, first 2 shown]
	s_waitcnt lgkmcnt(0)
	s_waitcnt_vscnt null, 0x0
	s_barrier
	buffer_gl0_inv
	ds_load_2addr_b64 v[0:3], v36 offset1:1
	v_lshlrev_b32_e32 v38, 4, v159
	s_cbranch_scc1 .LBB126_6
; %bb.4:
	s_delay_alu instid0(VALU_DEP_1)
	v_add3_u32 v6, v38, 0, 16
	v_mov_b32_e32 v4, 0
	s_mov_b32 s70, 1
	s_set_inst_prefetch_distance 0x1
	.p2align	6
.LBB126_5:                              ; =>This Inner Loop Header: Depth=1
	ds_load_2addr_b64 v[7:10], v6 offset1:1
	s_waitcnt lgkmcnt(1)
	v_cmp_gt_f64_e32 vcc_lo, 0, v[0:1]
	v_xor_b32_e32 v11, 0x80000000, v1
	v_cmp_gt_f64_e64 s2, 0, v[2:3]
	v_xor_b32_e32 v13, 0x80000000, v3
	v_add_nc_u32_e32 v6, 16, v6
	s_waitcnt lgkmcnt(0)
	v_cmp_gt_f64_e64 s3, 0, v[7:8]
	v_mov_b32_e32 v15, v7
	v_mov_b32_e32 v17, v9
	v_cndmask_b32_e32 v12, v1, v11, vcc_lo
	v_xor_b32_e32 v11, 0x80000000, v8
	v_cndmask_b32_e64 v14, v3, v13, s2
	v_xor_b32_e32 v13, 0x80000000, v10
	s_delay_alu instid0(VALU_DEP_3) | instskip(SKIP_2) | instid1(VALU_DEP_2)
	v_cndmask_b32_e64 v16, v8, v11, s3
	v_cmp_gt_f64_e64 s3, 0, v[9:10]
	v_cndmask_b32_e32 v11, v0, v0, vcc_lo
	v_cndmask_b32_e64 v18, v10, v13, s3
	v_cndmask_b32_e64 v13, v2, v2, s2
	s_delay_alu instid0(VALU_DEP_2) | instskip(NEXT) | instid1(VALU_DEP_2)
	v_add_f64 v[15:16], v[15:16], v[17:18]
	v_add_f64 v[11:12], v[11:12], v[13:14]
	s_delay_alu instid0(VALU_DEP_1) | instskip(SKIP_4) | instid1(SALU_CYCLE_1)
	v_cmp_lt_f64_e32 vcc_lo, v[11:12], v[15:16]
	v_dual_cndmask_b32 v2, v2, v9 :: v_dual_cndmask_b32 v1, v1, v8
	v_dual_cndmask_b32 v0, v0, v7 :: v_dual_cndmask_b32 v3, v3, v10
	v_cndmask_b32_e64 v4, v4, s70, vcc_lo
	s_add_i32 s70, s70, 1
	s_cmp_eq_u32 s5, s70
	s_cbranch_scc0 .LBB126_5
.LBB126_6:
	s_set_inst_prefetch_distance 0x2
	scratch_load_b64 v[250:251], off, off offset:1024 ; 8-byte Folded Reload
	s_waitcnt lgkmcnt(0)
	v_cmp_neq_f64_e32 vcc_lo, 0, v[0:1]
	v_cmp_neq_f64_e64 s2, 0, v[2:3]
	v_add_nc_u32_e64 v35, 0, 16
	v_add_nc_u32_e64 v31, 0, 32
	;; [unrolled: 1-line block ×63, first 2 shown]
	v_dual_mov_b32 v37, 1 :: v_dual_mov_b32 v6, 1
	s_or_b32 s2, vcc_lo, s2
	s_delay_alu instid0(SALU_CYCLE_1)
	s_and_saveexec_b32 s3, s2
	s_cbranch_execz .LBB126_12
; %bb.7:
	v_cmp_gt_f64_e32 vcc_lo, 0, v[0:1]
	v_cmp_gt_f64_e64 s2, 0, v[2:3]
	v_xor_b32_e32 v6, 0x80000000, v1
	v_xor_b32_e32 v8, 0x80000000, v3
                                        ; implicit-def: $sgpr6
                                        ; implicit-def: $sgpr7
	s_delay_alu instid0(VALU_DEP_2) | instskip(NEXT) | instid1(VALU_DEP_2)
	v_dual_cndmask_b32 v7, v1, v6 :: v_dual_cndmask_b32 v6, v0, v0
	v_cndmask_b32_e64 v9, v3, v8, s2
	v_cndmask_b32_e64 v8, v2, v2, s2
	s_mov_b32 s2, exec_lo
	s_delay_alu instid0(VALU_DEP_1)
	v_cmpx_ngt_f64_e32 v[6:7], v[8:9]
	s_xor_b32 s2, exec_lo, s2
	s_cbranch_execz .LBB126_9
; %bb.8:
	v_div_scale_f64 v[6:7], null, v[2:3], v[2:3], v[0:1]
	v_div_scale_f64 v[12:13], vcc_lo, v[0:1], v[2:3], v[0:1]
	s_mov_b32 s7, 2
	s_mov_b32 s6, 0
	s_delay_alu instid0(VALU_DEP_2) | instskip(SKIP_2) | instid1(VALU_DEP_1)
	v_rcp_f64_e32 v[8:9], v[6:7]
	s_waitcnt_depctr 0xfff
	v_fma_f64 v[10:11], -v[6:7], v[8:9], 1.0
	v_fma_f64 v[8:9], v[8:9], v[10:11], v[8:9]
	s_delay_alu instid0(VALU_DEP_1) | instskip(NEXT) | instid1(VALU_DEP_1)
	v_fma_f64 v[10:11], -v[6:7], v[8:9], 1.0
	v_fma_f64 v[8:9], v[8:9], v[10:11], v[8:9]
	s_delay_alu instid0(VALU_DEP_1) | instskip(NEXT) | instid1(VALU_DEP_1)
	v_mul_f64 v[10:11], v[12:13], v[8:9]
	v_fma_f64 v[6:7], -v[6:7], v[10:11], v[12:13]
	s_delay_alu instid0(VALU_DEP_1) | instskip(NEXT) | instid1(VALU_DEP_1)
	v_div_fmas_f64 v[6:7], v[6:7], v[8:9], v[10:11]
	v_div_fixup_f64 v[6:7], v[6:7], v[2:3], v[0:1]
	s_delay_alu instid0(VALU_DEP_1) | instskip(NEXT) | instid1(VALU_DEP_1)
	v_fma_f64 v[0:1], v[0:1], v[6:7], v[2:3]
	v_div_scale_f64 v[2:3], null, v[0:1], v[0:1], 1.0
	s_delay_alu instid0(VALU_DEP_1) | instskip(SKIP_2) | instid1(VALU_DEP_1)
	v_rcp_f64_e32 v[8:9], v[2:3]
	s_waitcnt_depctr 0xfff
	v_fma_f64 v[10:11], -v[2:3], v[8:9], 1.0
	v_fma_f64 v[8:9], v[8:9], v[10:11], v[8:9]
	s_delay_alu instid0(VALU_DEP_1) | instskip(NEXT) | instid1(VALU_DEP_1)
	v_fma_f64 v[10:11], -v[2:3], v[8:9], 1.0
	v_fma_f64 v[8:9], v[8:9], v[10:11], v[8:9]
	v_div_scale_f64 v[10:11], vcc_lo, 1.0, v[0:1], 1.0
	s_delay_alu instid0(VALU_DEP_1) | instskip(NEXT) | instid1(VALU_DEP_1)
	v_mul_f64 v[12:13], v[10:11], v[8:9]
	v_fma_f64 v[2:3], -v[2:3], v[12:13], v[10:11]
	s_delay_alu instid0(VALU_DEP_1) | instskip(NEXT) | instid1(VALU_DEP_1)
	v_div_fmas_f64 v[2:3], v[2:3], v[8:9], v[12:13]
	v_div_fixup_f64 v[2:3], v[2:3], v[0:1], 1.0
	s_delay_alu instid0(VALU_DEP_1)
	v_mul_f64 v[0:1], v[6:7], v[2:3]
	v_xor_b32_e32 v3, 0x80000000, v3
.LBB126_9:
	s_or_saveexec_b32 s2, s2
	v_dual_mov_b32 v6, s6 :: v_dual_mov_b32 v37, s7
	s_xor_b32 exec_lo, exec_lo, s2
	s_cbranch_execz .LBB126_11
; %bb.10:
	s_delay_alu instid0(VALU_DEP_3) | instskip(SKIP_2) | instid1(VALU_DEP_3)
	v_div_scale_f64 v[6:7], null, v[0:1], v[0:1], v[2:3]
	v_div_scale_f64 v[12:13], vcc_lo, v[2:3], v[0:1], v[2:3]
	v_mov_b32_e32 v37, 2
	v_rcp_f64_e32 v[8:9], v[6:7]
	s_waitcnt_depctr 0xfff
	v_fma_f64 v[10:11], -v[6:7], v[8:9], 1.0
	s_delay_alu instid0(VALU_DEP_1) | instskip(NEXT) | instid1(VALU_DEP_1)
	v_fma_f64 v[8:9], v[8:9], v[10:11], v[8:9]
	v_fma_f64 v[10:11], -v[6:7], v[8:9], 1.0
	s_delay_alu instid0(VALU_DEP_1) | instskip(NEXT) | instid1(VALU_DEP_1)
	v_fma_f64 v[8:9], v[8:9], v[10:11], v[8:9]
	v_mul_f64 v[10:11], v[12:13], v[8:9]
	s_delay_alu instid0(VALU_DEP_1) | instskip(NEXT) | instid1(VALU_DEP_1)
	v_fma_f64 v[6:7], -v[6:7], v[10:11], v[12:13]
	v_div_fmas_f64 v[6:7], v[6:7], v[8:9], v[10:11]
	s_delay_alu instid0(VALU_DEP_1) | instskip(NEXT) | instid1(VALU_DEP_1)
	v_div_fixup_f64 v[6:7], v[6:7], v[0:1], v[2:3]
	v_fma_f64 v[0:1], v[2:3], v[6:7], v[0:1]
	s_delay_alu instid0(VALU_DEP_1) | instskip(NEXT) | instid1(VALU_DEP_1)
	v_div_scale_f64 v[2:3], null, v[0:1], v[0:1], 1.0
	v_rcp_f64_e32 v[8:9], v[2:3]
	s_waitcnt_depctr 0xfff
	v_fma_f64 v[10:11], -v[2:3], v[8:9], 1.0
	s_delay_alu instid0(VALU_DEP_1) | instskip(NEXT) | instid1(VALU_DEP_1)
	v_fma_f64 v[8:9], v[8:9], v[10:11], v[8:9]
	v_fma_f64 v[10:11], -v[2:3], v[8:9], 1.0
	s_delay_alu instid0(VALU_DEP_1) | instskip(SKIP_1) | instid1(VALU_DEP_1)
	v_fma_f64 v[8:9], v[8:9], v[10:11], v[8:9]
	v_div_scale_f64 v[10:11], vcc_lo, 1.0, v[0:1], 1.0
	v_mul_f64 v[12:13], v[10:11], v[8:9]
	s_delay_alu instid0(VALU_DEP_1) | instskip(NEXT) | instid1(VALU_DEP_1)
	v_fma_f64 v[2:3], -v[2:3], v[12:13], v[10:11]
	v_div_fmas_f64 v[2:3], v[2:3], v[8:9], v[12:13]
	s_delay_alu instid0(VALU_DEP_1) | instskip(NEXT) | instid1(VALU_DEP_1)
	v_div_fixup_f64 v[0:1], v[2:3], v[0:1], 1.0
	v_mul_f64 v[2:3], v[6:7], -v[0:1]
	v_mov_b32_e32 v6, 0
.LBB126_11:
	s_or_b32 exec_lo, exec_lo, s2
.LBB126_12:
	s_delay_alu instid0(SALU_CYCLE_1) | instskip(NEXT) | instid1(SALU_CYCLE_1)
	s_or_b32 exec_lo, exec_lo, s3
	s_mov_b32 s2, exec_lo
                                        ; implicit-def: $vgpr41
	v_cmpx_ne_u32_e64 v5, v4
	s_xor_b32 s2, exec_lo, s2
	s_cbranch_execz .LBB126_18
; %bb.13:
	s_mov_b32 s3, exec_lo
	v_cmpx_eq_u32_e32 0, v5
	s_cbranch_execz .LBB126_17
; %bb.14:
	v_cmp_ne_u32_e32 vcc_lo, 0, v4
	s_xor_b32 s6, s4, -1
	s_delay_alu instid0(SALU_CYCLE_1) | instskip(NEXT) | instid1(SALU_CYCLE_1)
	s_and_b32 s7, s6, vcc_lo
	s_and_saveexec_b32 s6, s7
	s_cbranch_execz .LBB126_16
; %bb.15:
	v_ashrrev_i32_e32 v5, 31, v4
	s_delay_alu instid0(VALU_DEP_1) | instskip(SKIP_1) | instid1(VALU_DEP_1)
	v_lshlrev_b64 v[7:8], 2, v[4:5]
	s_waitcnt vmcnt(0)
	v_add_co_u32 v7, vcc_lo, v250, v7
	s_delay_alu instid0(VALU_DEP_2)
	v_add_co_ci_u32_e32 v8, vcc_lo, v251, v8, vcc_lo
	s_clause 0x1
	flat_load_b32 v5, v[7:8]
	flat_load_b32 v9, v[250:251]
	s_waitcnt vmcnt(1) lgkmcnt(1)
	flat_store_b32 v[250:251], v5
	s_waitcnt vmcnt(0) lgkmcnt(1)
	flat_store_b32 v[7:8], v9
.LBB126_16:
	s_or_b32 exec_lo, exec_lo, s6
	v_mov_b32_e32 v5, v4
.LBB126_17:
	s_or_b32 exec_lo, exec_lo, s3
	s_delay_alu instid0(VALU_DEP_1)
	v_mov_b32_e32 v41, v5
                                        ; implicit-def: $vgpr5
.LBB126_18:
	s_or_saveexec_b32 s2, s2
	s_delay_alu instid0(VALU_DEP_1)
	v_mov_b32_e32 v39, v41
	s_xor_b32 exec_lo, exec_lo, s2
	s_cbranch_execz .LBB126_22
; %bb.19:
	v_add3_u32 v4, v38, 0, 16
	v_mov_b32_e32 v7, 0
	s_mov_b32 s3, 0
.LBB126_20:                             ; =>This Inner Loop Header: Depth=1
	s_delay_alu instid0(VALU_DEP_1) | instskip(NEXT) | instid1(VALU_DEP_3)
	v_readfirstlane_b32 s6, v7
	v_add_nc_u32_e32 v16, s3, v4
	s_delay_alu instid0(VALU_DEP_2)
	s_add_i32 s6, s6, s3
	s_addk_i32 s3, 0x90
	s_add_i32 s7, s6, 16
	s_add_i32 s9, s6, 32
	;; [unrolled: 1-line block ×8, first 2 shown]
	s_addk_i32 s6, 0x90
	s_clause 0x8
	scratch_load_b128 v[8:11], off, s7
	scratch_load_b128 v[12:15], off, s9
	;; [unrolled: 1-line block ×9, first 2 shown]
	s_cmpk_eq_i32 s3, 0x3f0
	s_waitcnt vmcnt(8)
	ds_store_2addr_b64 v16, v[8:9], v[10:11] offset1:1
	s_waitcnt vmcnt(7)
	ds_store_2addr_b64 v16, v[12:13], v[14:15] offset0:2 offset1:3
	s_waitcnt vmcnt(6)
	ds_store_2addr_b64 v16, v[41:42], v[43:44] offset0:4 offset1:5
	;; [unrolled: 2-line block ×8, first 2 shown]
	s_cbranch_scc0 .LBB126_20
; %bb.21:
	v_mov_b32_e32 v41, 0
	v_mov_b32_e32 v39, v5
.LBB126_22:
	s_or_b32 exec_lo, exec_lo, s2
	s_mov_b32 s2, 0
	s_mov_b32 s3, exec_lo
	s_waitcnt vmcnt(0) lgkmcnt(0)
	s_waitcnt_vscnt null, 0x0
	s_barrier
	buffer_gl0_inv
	v_cmpx_lt_i32_e32 0, v41
	s_cbranch_execz .LBB126_25
; %bb.23:
	scratch_load_b128 v[7:10], off, off
	s_waitcnt vmcnt(0)
	v_mul_f64 v[4:5], v[2:3], v[9:10]
	v_mul_f64 v[9:10], v[0:1], v[9:10]
	s_delay_alu instid0(VALU_DEP_2) | instskip(NEXT) | instid1(VALU_DEP_2)
	v_fma_f64 v[0:1], v[0:1], v[7:8], -v[4:5]
	v_fma_f64 v[2:3], v[2:3], v[7:8], v[9:10]
	v_add3_u32 v4, v38, 0, 16
	v_mov_b32_e32 v5, 0
	scratch_store_b128 off, v[0:3], off
.LBB126_24:                             ; =>This Inner Loop Header: Depth=1
	v_readfirstlane_b32 s6, v5
	v_add_nc_u32_e32 v15, s2, v4
	s_delay_alu instid0(VALU_DEP_2)
	s_add_i32 s12, s6, s2
	s_addk_i32 s2, 0x70
	s_add_i32 s6, s12, 16
	s_add_i32 s7, s12, 32
	;; [unrolled: 1-line block ×6, first 2 shown]
	s_addk_i32 s12, 0x70
	s_clause 0x6
	scratch_load_b128 v[7:10], off, s6
	scratch_load_b128 v[11:14], off, s7
	;; [unrolled: 1-line block ×7, first 2 shown]
	ds_load_2addr_b64 v[81:84], v15 offset1:1
	ds_load_2addr_b64 v[85:88], v15 offset0:2 offset1:3
	ds_load_2addr_b64 v[129:132], v15 offset0:4 offset1:5
	;; [unrolled: 1-line block ×6, first 2 shown]
	s_cmpk_lg_i32 s2, 0x3f0
	s_waitcnt lgkmcnt(6)
	v_mul_f64 v[15:16], v[83:84], v[2:3]
	v_mul_f64 v[17:18], v[81:82], v[2:3]
	s_waitcnt lgkmcnt(5)
	v_mul_f64 v[46:47], v[87:88], v[2:3]
	v_mul_f64 v[57:58], v[85:86], v[2:3]
	;; [unrolled: 3-line block ×7, first 2 shown]
	v_fma_f64 v[15:16], v[81:82], v[0:1], -v[15:16]
	v_fma_f64 v[17:18], v[83:84], v[0:1], v[17:18]
	v_fma_f64 v[46:47], v[85:86], v[0:1], -v[46:47]
	v_fma_f64 v[57:58], v[87:88], v[0:1], v[57:58]
	;; [unrolled: 2-line block ×7, first 2 shown]
	s_waitcnt vmcnt(6)
	v_add_f64 v[7:8], v[7:8], -v[15:16]
	v_add_f64 v[9:10], v[9:10], -v[17:18]
	s_waitcnt vmcnt(5)
	v_add_f64 v[11:12], v[11:12], -v[46:47]
	v_add_f64 v[13:14], v[13:14], -v[57:58]
	;; [unrolled: 3-line block ×7, first 2 shown]
	s_clause 0x6
	scratch_store_b128 off, v[7:10], s6
	scratch_store_b128 off, v[11:14], s7
	;; [unrolled: 1-line block ×7, first 2 shown]
	s_cbranch_scc1 .LBB126_24
.LBB126_25:
	s_or_b32 exec_lo, exec_lo, s3
	s_waitcnt_vscnt null, 0x0
	s_barrier
	buffer_gl0_inv
	scratch_load_b128 v[0:3], v35, off
	v_lshl_add_u32 v4, v41, 4, v36
	s_cmp_lt_i32 s5, 3
	s_waitcnt vmcnt(0)
	ds_store_2addr_b64 v4, v[0:1], v[2:3] offset1:1
	s_waitcnt lgkmcnt(0)
	s_barrier
	buffer_gl0_inv
	ds_load_2addr_b64 v[0:3], v36 offset0:2 offset1:3
	v_mov_b32_e32 v4, 1
	s_cbranch_scc1 .LBB126_28
; %bb.26:
	v_add3_u32 v5, v38, 0, 32
	v_mov_b32_e32 v4, 1
	s_mov_b32 s6, 2
	s_set_inst_prefetch_distance 0x1
	.p2align	6
.LBB126_27:                             ; =>This Inner Loop Header: Depth=1
	ds_load_2addr_b64 v[7:10], v5 offset1:1
	s_waitcnt lgkmcnt(1)
	v_cmp_gt_f64_e32 vcc_lo, 0, v[0:1]
	v_xor_b32_e32 v11, 0x80000000, v1
	v_cmp_gt_f64_e64 s2, 0, v[2:3]
	v_xor_b32_e32 v13, 0x80000000, v3
	v_add_nc_u32_e32 v5, 16, v5
	s_waitcnt lgkmcnt(0)
	v_cmp_gt_f64_e64 s3, 0, v[7:8]
	v_mov_b32_e32 v17, v9
	v_dual_mov_b32 v15, v7 :: v_dual_cndmask_b32 v12, v1, v11
	v_xor_b32_e32 v11, 0x80000000, v8
	v_cndmask_b32_e64 v14, v3, v13, s2
	v_xor_b32_e32 v13, 0x80000000, v10
	s_delay_alu instid0(VALU_DEP_3) | instskip(SKIP_2) | instid1(VALU_DEP_2)
	v_cndmask_b32_e64 v16, v8, v11, s3
	v_cmp_gt_f64_e64 s3, 0, v[9:10]
	v_cndmask_b32_e32 v11, v0, v0, vcc_lo
	v_cndmask_b32_e64 v18, v10, v13, s3
	v_cndmask_b32_e64 v13, v2, v2, s2
	s_delay_alu instid0(VALU_DEP_2) | instskip(NEXT) | instid1(VALU_DEP_2)
	v_add_f64 v[15:16], v[15:16], v[17:18]
	v_add_f64 v[11:12], v[11:12], v[13:14]
	s_delay_alu instid0(VALU_DEP_1) | instskip(SKIP_4) | instid1(SALU_CYCLE_1)
	v_cmp_lt_f64_e32 vcc_lo, v[11:12], v[15:16]
	v_dual_cndmask_b32 v2, v2, v9 :: v_dual_cndmask_b32 v1, v1, v8
	v_dual_cndmask_b32 v0, v0, v7 :: v_dual_cndmask_b32 v3, v3, v10
	v_cndmask_b32_e64 v4, v4, s6, vcc_lo
	s_add_i32 s6, s6, 1
	s_cmp_lg_u32 s5, s6
	s_cbranch_scc1 .LBB126_27
.LBB126_28:
	s_set_inst_prefetch_distance 0x2
	s_waitcnt lgkmcnt(0)
	v_cmp_neq_f64_e32 vcc_lo, 0, v[0:1]
	v_cmp_neq_f64_e64 s2, 0, v[2:3]
	s_delay_alu instid0(VALU_DEP_1) | instskip(NEXT) | instid1(SALU_CYCLE_1)
	s_or_b32 s2, vcc_lo, s2
	s_and_saveexec_b32 s3, s2
	s_cbranch_execz .LBB126_34
; %bb.29:
	v_cmp_gt_f64_e32 vcc_lo, 0, v[0:1]
	v_cmp_gt_f64_e64 s2, 0, v[2:3]
	v_xor_b32_e32 v5, 0x80000000, v1
	v_xor_b32_e32 v7, 0x80000000, v3
	s_delay_alu instid0(VALU_DEP_2) | instskip(NEXT) | instid1(VALU_DEP_2)
	v_cndmask_b32_e32 v8, v1, v5, vcc_lo
	v_cndmask_b32_e64 v10, v3, v7, s2
	v_cndmask_b32_e32 v7, v0, v0, vcc_lo
	v_cndmask_b32_e64 v9, v2, v2, s2
	s_mov_b32 s2, exec_lo
	s_delay_alu instid0(VALU_DEP_1)
	v_cmpx_ngt_f64_e32 v[7:8], v[9:10]
	s_xor_b32 s2, exec_lo, s2
	s_cbranch_execz .LBB126_31
; %bb.30:
	v_div_scale_f64 v[7:8], null, v[2:3], v[2:3], v[0:1]
	v_div_scale_f64 v[13:14], vcc_lo, v[0:1], v[2:3], v[0:1]
	s_delay_alu instid0(VALU_DEP_2) | instskip(SKIP_2) | instid1(VALU_DEP_1)
	v_rcp_f64_e32 v[9:10], v[7:8]
	s_waitcnt_depctr 0xfff
	v_fma_f64 v[11:12], -v[7:8], v[9:10], 1.0
	v_fma_f64 v[9:10], v[9:10], v[11:12], v[9:10]
	s_delay_alu instid0(VALU_DEP_1) | instskip(NEXT) | instid1(VALU_DEP_1)
	v_fma_f64 v[11:12], -v[7:8], v[9:10], 1.0
	v_fma_f64 v[9:10], v[9:10], v[11:12], v[9:10]
	s_delay_alu instid0(VALU_DEP_1) | instskip(NEXT) | instid1(VALU_DEP_1)
	v_mul_f64 v[11:12], v[13:14], v[9:10]
	v_fma_f64 v[7:8], -v[7:8], v[11:12], v[13:14]
	s_delay_alu instid0(VALU_DEP_1) | instskip(NEXT) | instid1(VALU_DEP_1)
	v_div_fmas_f64 v[7:8], v[7:8], v[9:10], v[11:12]
	v_div_fixup_f64 v[7:8], v[7:8], v[2:3], v[0:1]
	s_delay_alu instid0(VALU_DEP_1) | instskip(NEXT) | instid1(VALU_DEP_1)
	v_fma_f64 v[0:1], v[0:1], v[7:8], v[2:3]
	v_div_scale_f64 v[2:3], null, v[0:1], v[0:1], 1.0
	s_delay_alu instid0(VALU_DEP_1) | instskip(SKIP_2) | instid1(VALU_DEP_1)
	v_rcp_f64_e32 v[9:10], v[2:3]
	s_waitcnt_depctr 0xfff
	v_fma_f64 v[11:12], -v[2:3], v[9:10], 1.0
	v_fma_f64 v[9:10], v[9:10], v[11:12], v[9:10]
	s_delay_alu instid0(VALU_DEP_1) | instskip(NEXT) | instid1(VALU_DEP_1)
	v_fma_f64 v[11:12], -v[2:3], v[9:10], 1.0
	v_fma_f64 v[9:10], v[9:10], v[11:12], v[9:10]
	v_div_scale_f64 v[11:12], vcc_lo, 1.0, v[0:1], 1.0
	s_delay_alu instid0(VALU_DEP_1) | instskip(NEXT) | instid1(VALU_DEP_1)
	v_mul_f64 v[13:14], v[11:12], v[9:10]
	v_fma_f64 v[2:3], -v[2:3], v[13:14], v[11:12]
	s_delay_alu instid0(VALU_DEP_1) | instskip(NEXT) | instid1(VALU_DEP_1)
	v_div_fmas_f64 v[2:3], v[2:3], v[9:10], v[13:14]
	v_div_fixup_f64 v[2:3], v[2:3], v[0:1], 1.0
	s_delay_alu instid0(VALU_DEP_1)
	v_mul_f64 v[0:1], v[7:8], v[2:3]
	v_xor_b32_e32 v3, 0x80000000, v3
.LBB126_31:
	s_and_not1_saveexec_b32 s2, s2
	s_cbranch_execz .LBB126_33
; %bb.32:
	s_delay_alu instid0(VALU_DEP_1) | instskip(SKIP_1) | instid1(VALU_DEP_2)
	v_div_scale_f64 v[7:8], null, v[0:1], v[0:1], v[2:3]
	v_div_scale_f64 v[13:14], vcc_lo, v[2:3], v[0:1], v[2:3]
	v_rcp_f64_e32 v[9:10], v[7:8]
	s_waitcnt_depctr 0xfff
	v_fma_f64 v[11:12], -v[7:8], v[9:10], 1.0
	s_delay_alu instid0(VALU_DEP_1) | instskip(NEXT) | instid1(VALU_DEP_1)
	v_fma_f64 v[9:10], v[9:10], v[11:12], v[9:10]
	v_fma_f64 v[11:12], -v[7:8], v[9:10], 1.0
	s_delay_alu instid0(VALU_DEP_1) | instskip(NEXT) | instid1(VALU_DEP_1)
	v_fma_f64 v[9:10], v[9:10], v[11:12], v[9:10]
	v_mul_f64 v[11:12], v[13:14], v[9:10]
	s_delay_alu instid0(VALU_DEP_1) | instskip(NEXT) | instid1(VALU_DEP_1)
	v_fma_f64 v[7:8], -v[7:8], v[11:12], v[13:14]
	v_div_fmas_f64 v[7:8], v[7:8], v[9:10], v[11:12]
	s_delay_alu instid0(VALU_DEP_1) | instskip(NEXT) | instid1(VALU_DEP_1)
	v_div_fixup_f64 v[7:8], v[7:8], v[0:1], v[2:3]
	v_fma_f64 v[0:1], v[2:3], v[7:8], v[0:1]
	s_delay_alu instid0(VALU_DEP_1) | instskip(NEXT) | instid1(VALU_DEP_1)
	v_div_scale_f64 v[2:3], null, v[0:1], v[0:1], 1.0
	v_rcp_f64_e32 v[9:10], v[2:3]
	s_waitcnt_depctr 0xfff
	v_fma_f64 v[11:12], -v[2:3], v[9:10], 1.0
	s_delay_alu instid0(VALU_DEP_1) | instskip(NEXT) | instid1(VALU_DEP_1)
	v_fma_f64 v[9:10], v[9:10], v[11:12], v[9:10]
	v_fma_f64 v[11:12], -v[2:3], v[9:10], 1.0
	s_delay_alu instid0(VALU_DEP_1) | instskip(SKIP_1) | instid1(VALU_DEP_1)
	v_fma_f64 v[9:10], v[9:10], v[11:12], v[9:10]
	v_div_scale_f64 v[11:12], vcc_lo, 1.0, v[0:1], 1.0
	v_mul_f64 v[13:14], v[11:12], v[9:10]
	s_delay_alu instid0(VALU_DEP_1) | instskip(NEXT) | instid1(VALU_DEP_1)
	v_fma_f64 v[2:3], -v[2:3], v[13:14], v[11:12]
	v_div_fmas_f64 v[2:3], v[2:3], v[9:10], v[13:14]
	s_delay_alu instid0(VALU_DEP_1) | instskip(NEXT) | instid1(VALU_DEP_1)
	v_div_fixup_f64 v[0:1], v[2:3], v[0:1], 1.0
	v_mul_f64 v[2:3], v[7:8], -v[0:1]
.LBB126_33:
	s_or_b32 exec_lo, exec_lo, s2
	v_mov_b32_e32 v37, v6
.LBB126_34:
	s_or_b32 exec_lo, exec_lo, s3
	s_delay_alu instid0(SALU_CYCLE_1)
	s_mov_b32 s2, exec_lo
	v_cmpx_ne_u32_e64 v41, v4
	s_xor_b32 s2, exec_lo, s2
	s_cbranch_execz .LBB126_40
; %bb.35:
	s_mov_b32 s3, exec_lo
	v_cmpx_eq_u32_e32 1, v41
	s_cbranch_execz .LBB126_39
; %bb.36:
	v_cmp_ne_u32_e32 vcc_lo, 1, v4
	s_xor_b32 s6, s4, -1
	s_delay_alu instid0(SALU_CYCLE_1) | instskip(NEXT) | instid1(SALU_CYCLE_1)
	s_and_b32 s7, s6, vcc_lo
	s_and_saveexec_b32 s6, s7
	s_cbranch_execz .LBB126_38
; %bb.37:
	v_ashrrev_i32_e32 v5, 31, v4
	s_delay_alu instid0(VALU_DEP_1) | instskip(NEXT) | instid1(VALU_DEP_1)
	v_lshlrev_b64 v[5:6], 2, v[4:5]
	v_add_co_u32 v5, vcc_lo, v250, v5
	s_delay_alu instid0(VALU_DEP_2)
	v_add_co_ci_u32_e32 v6, vcc_lo, v251, v6, vcc_lo
	s_clause 0x1
	flat_load_b32 v7, v[5:6]
	flat_load_b32 v8, v[250:251] offset:4
	s_waitcnt vmcnt(1) lgkmcnt(1)
	flat_store_b32 v[250:251], v7 offset:4
	s_waitcnt vmcnt(0) lgkmcnt(1)
	flat_store_b32 v[5:6], v8
.LBB126_38:
	s_or_b32 exec_lo, exec_lo, s6
	v_mov_b32_e32 v41, v4
	v_mov_b32_e32 v39, v4
.LBB126_39:
	s_or_b32 exec_lo, exec_lo, s3
.LBB126_40:
	s_and_not1_saveexec_b32 s2, s2
	s_cbranch_execz .LBB126_44
; %bb.41:
	v_add3_u32 v4, v38, 0, 32
	s_mov_b32 s3, 0
.LBB126_42:                             ; =>This Inner Loop Header: Depth=1
	s_delay_alu instid0(SALU_CYCLE_1) | instskip(NEXT) | instid1(VALU_DEP_2)
	v_add_nc_u32_e64 v5, s3, 0
	v_add_nc_u32_e32 v13, s3, v4
	s_add_i32 s3, s3, 32
	s_delay_alu instid0(SALU_CYCLE_1) | instskip(NEXT) | instid1(VALU_DEP_2)
	s_cmpk_eq_i32 s3, 0x3e0
	v_add_nc_u32_e32 v6, 32, v5
	v_add_nc_u32_e32 v9, 48, v5
	s_clause 0x1
	scratch_load_b128 v[5:8], v6, off
	scratch_load_b128 v[9:12], v9, off
	s_waitcnt vmcnt(1)
	ds_store_2addr_b64 v13, v[5:6], v[7:8] offset1:1
	s_waitcnt vmcnt(0)
	ds_store_2addr_b64 v13, v[9:10], v[11:12] offset0:2 offset1:3
	s_cbranch_scc0 .LBB126_42
; %bb.43:
	v_mov_b32_e32 v41, 1
.LBB126_44:
	s_or_b32 exec_lo, exec_lo, s2
	s_delay_alu instid0(SALU_CYCLE_1)
	s_mov_b32 s2, exec_lo
	s_waitcnt lgkmcnt(0)
	s_waitcnt_vscnt null, 0x0
	s_barrier
	buffer_gl0_inv
	v_cmpx_lt_i32_e32 1, v41
	s_cbranch_execz .LBB126_47
; %bb.45:
	scratch_load_b128 v[4:7], off, off offset:16
	s_mov_b32 s3, 0
	s_waitcnt vmcnt(0)
	v_mul_f64 v[8:9], v[2:3], v[6:7]
	v_mul_f64 v[6:7], v[0:1], v[6:7]
	s_delay_alu instid0(VALU_DEP_2) | instskip(NEXT) | instid1(VALU_DEP_2)
	v_fma_f64 v[0:1], v[0:1], v[4:5], -v[8:9]
	v_fma_f64 v[2:3], v[2:3], v[4:5], v[6:7]
	v_add3_u32 v4, v38, 0, 32
	scratch_store_b128 off, v[0:3], off offset:16
	s_set_inst_prefetch_distance 0x1
	.p2align	6
.LBB126_46:                             ; =>This Inner Loop Header: Depth=1
	v_add_nc_u32_e64 v5, s3, 0
	v_add_nc_u32_e32 v17, s3, v4
	s_add_i32 s3, s3, 32
	s_delay_alu instid0(SALU_CYCLE_1) | instskip(NEXT) | instid1(VALU_DEP_2)
	s_cmpk_lg_i32 s3, 0x3e0
	v_add_nc_u32_e32 v19, 32, v5
	v_add_nc_u32_e32 v53, 48, v5
	s_clause 0x1
	scratch_load_b128 v[5:8], v19, off
	scratch_load_b128 v[9:12], v53, off
	ds_load_2addr_b64 v[13:16], v17 offset1:1
	ds_load_2addr_b64 v[42:45], v17 offset0:2 offset1:3
	s_waitcnt lgkmcnt(1)
	v_mul_f64 v[17:18], v[15:16], v[2:3]
	v_mul_f64 v[46:47], v[13:14], v[2:3]
	s_waitcnt lgkmcnt(0)
	v_mul_f64 v[49:50], v[44:45], v[2:3]
	v_mul_f64 v[51:52], v[42:43], v[2:3]
	s_delay_alu instid0(VALU_DEP_4) | instskip(NEXT) | instid1(VALU_DEP_4)
	v_fma_f64 v[13:14], v[13:14], v[0:1], -v[17:18]
	v_fma_f64 v[15:16], v[15:16], v[0:1], v[46:47]
	s_delay_alu instid0(VALU_DEP_4) | instskip(NEXT) | instid1(VALU_DEP_4)
	v_fma_f64 v[17:18], v[42:43], v[0:1], -v[49:50]
	v_fma_f64 v[42:43], v[44:45], v[0:1], v[51:52]
	s_waitcnt vmcnt(1)
	s_delay_alu instid0(VALU_DEP_4) | instskip(NEXT) | instid1(VALU_DEP_4)
	v_add_f64 v[5:6], v[5:6], -v[13:14]
	v_add_f64 v[7:8], v[7:8], -v[15:16]
	s_waitcnt vmcnt(0)
	s_delay_alu instid0(VALU_DEP_4) | instskip(NEXT) | instid1(VALU_DEP_4)
	v_add_f64 v[9:10], v[9:10], -v[17:18]
	v_add_f64 v[11:12], v[11:12], -v[42:43]
	s_clause 0x1
	scratch_store_b128 v19, v[5:8], off
	scratch_store_b128 v53, v[9:12], off
	s_cbranch_scc1 .LBB126_46
.LBB126_47:
	s_set_inst_prefetch_distance 0x2
	s_or_b32 exec_lo, exec_lo, s2
	s_waitcnt_vscnt null, 0x0
	s_barrier
	buffer_gl0_inv
	scratch_load_b128 v[0:3], v31, off
	v_lshl_add_u32 v4, v41, 4, v36
	s_cmp_lt_i32 s5, 4
	s_waitcnt vmcnt(0)
	ds_store_2addr_b64 v4, v[0:1], v[2:3] offset1:1
	s_waitcnt lgkmcnt(0)
	s_barrier
	buffer_gl0_inv
	ds_load_2addr_b64 v[0:3], v36 offset0:4 offset1:5
	v_mov_b32_e32 v4, 2
	s_cbranch_scc1 .LBB126_50
; %bb.48:
	v_add3_u32 v5, v38, 0, 48
	v_mov_b32_e32 v4, 2
	s_mov_b32 s6, 3
	s_set_inst_prefetch_distance 0x1
	.p2align	6
.LBB126_49:                             ; =>This Inner Loop Header: Depth=1
	ds_load_2addr_b64 v[6:9], v5 offset1:1
	s_waitcnt lgkmcnt(1)
	v_cmp_gt_f64_e32 vcc_lo, 0, v[0:1]
	v_xor_b32_e32 v10, 0x80000000, v1
	v_cmp_gt_f64_e64 s2, 0, v[2:3]
	v_xor_b32_e32 v12, 0x80000000, v3
	v_add_nc_u32_e32 v5, 16, v5
	s_waitcnt lgkmcnt(0)
	v_cmp_gt_f64_e64 s3, 0, v[6:7]
	v_mov_b32_e32 v14, v6
	v_dual_mov_b32 v16, v8 :: v_dual_cndmask_b32 v11, v1, v10
	v_xor_b32_e32 v10, 0x80000000, v7
	v_cndmask_b32_e64 v13, v3, v12, s2
	v_xor_b32_e32 v12, 0x80000000, v9
	s_delay_alu instid0(VALU_DEP_3) | instskip(SKIP_2) | instid1(VALU_DEP_2)
	v_cndmask_b32_e64 v15, v7, v10, s3
	v_cmp_gt_f64_e64 s3, 0, v[8:9]
	v_cndmask_b32_e32 v10, v0, v0, vcc_lo
	v_cndmask_b32_e64 v17, v9, v12, s3
	v_cndmask_b32_e64 v12, v2, v2, s2
	s_delay_alu instid0(VALU_DEP_2) | instskip(NEXT) | instid1(VALU_DEP_2)
	v_add_f64 v[14:15], v[14:15], v[16:17]
	v_add_f64 v[10:11], v[10:11], v[12:13]
	s_delay_alu instid0(VALU_DEP_1)
	v_cmp_lt_f64_e32 vcc_lo, v[10:11], v[14:15]
	v_cndmask_b32_e32 v3, v3, v9, vcc_lo
	v_dual_cndmask_b32 v1, v1, v7 :: v_dual_cndmask_b32 v0, v0, v6
	v_cndmask_b32_e32 v2, v2, v8, vcc_lo
	v_cndmask_b32_e64 v4, v4, s6, vcc_lo
	s_add_i32 s6, s6, 1
	s_delay_alu instid0(SALU_CYCLE_1)
	s_cmp_lg_u32 s5, s6
	s_cbranch_scc1 .LBB126_49
.LBB126_50:
	s_set_inst_prefetch_distance 0x2
	s_waitcnt lgkmcnt(0)
	v_cmp_eq_f64_e32 vcc_lo, 0, v[0:1]
	v_cmp_eq_f64_e64 s2, 0, v[2:3]
	s_delay_alu instid0(VALU_DEP_1) | instskip(NEXT) | instid1(SALU_CYCLE_1)
	s_and_b32 s2, vcc_lo, s2
	s_and_saveexec_b32 s3, s2
	s_delay_alu instid0(SALU_CYCLE_1)
	s_xor_b32 s2, exec_lo, s3
; %bb.51:
	v_cmp_ne_u32_e32 vcc_lo, 0, v37
	v_cndmask_b32_e32 v37, 3, v37, vcc_lo
; %bb.52:
	s_and_not1_saveexec_b32 s3, s2
	s_cbranch_execz .LBB126_58
; %bb.53:
	v_cmp_gt_f64_e32 vcc_lo, 0, v[0:1]
	v_cmp_gt_f64_e64 s2, 0, v[2:3]
	v_xor_b32_e32 v5, 0x80000000, v1
	v_xor_b32_e32 v7, 0x80000000, v3
	s_delay_alu instid0(VALU_DEP_2) | instskip(NEXT) | instid1(VALU_DEP_2)
	v_dual_cndmask_b32 v6, v1, v5 :: v_dual_cndmask_b32 v5, v0, v0
	v_cndmask_b32_e64 v8, v3, v7, s2
	v_cndmask_b32_e64 v7, v2, v2, s2
	s_mov_b32 s2, exec_lo
	s_delay_alu instid0(VALU_DEP_1)
	v_cmpx_ngt_f64_e32 v[5:6], v[7:8]
	s_xor_b32 s2, exec_lo, s2
	s_cbranch_execz .LBB126_55
; %bb.54:
	v_div_scale_f64 v[5:6], null, v[2:3], v[2:3], v[0:1]
	v_div_scale_f64 v[11:12], vcc_lo, v[0:1], v[2:3], v[0:1]
	s_delay_alu instid0(VALU_DEP_2) | instskip(SKIP_2) | instid1(VALU_DEP_1)
	v_rcp_f64_e32 v[7:8], v[5:6]
	s_waitcnt_depctr 0xfff
	v_fma_f64 v[9:10], -v[5:6], v[7:8], 1.0
	v_fma_f64 v[7:8], v[7:8], v[9:10], v[7:8]
	s_delay_alu instid0(VALU_DEP_1) | instskip(NEXT) | instid1(VALU_DEP_1)
	v_fma_f64 v[9:10], -v[5:6], v[7:8], 1.0
	v_fma_f64 v[7:8], v[7:8], v[9:10], v[7:8]
	s_delay_alu instid0(VALU_DEP_1) | instskip(NEXT) | instid1(VALU_DEP_1)
	v_mul_f64 v[9:10], v[11:12], v[7:8]
	v_fma_f64 v[5:6], -v[5:6], v[9:10], v[11:12]
	s_delay_alu instid0(VALU_DEP_1) | instskip(NEXT) | instid1(VALU_DEP_1)
	v_div_fmas_f64 v[5:6], v[5:6], v[7:8], v[9:10]
	v_div_fixup_f64 v[5:6], v[5:6], v[2:3], v[0:1]
	s_delay_alu instid0(VALU_DEP_1) | instskip(NEXT) | instid1(VALU_DEP_1)
	v_fma_f64 v[0:1], v[0:1], v[5:6], v[2:3]
	v_div_scale_f64 v[2:3], null, v[0:1], v[0:1], 1.0
	s_delay_alu instid0(VALU_DEP_1) | instskip(SKIP_2) | instid1(VALU_DEP_1)
	v_rcp_f64_e32 v[7:8], v[2:3]
	s_waitcnt_depctr 0xfff
	v_fma_f64 v[9:10], -v[2:3], v[7:8], 1.0
	v_fma_f64 v[7:8], v[7:8], v[9:10], v[7:8]
	s_delay_alu instid0(VALU_DEP_1) | instskip(NEXT) | instid1(VALU_DEP_1)
	v_fma_f64 v[9:10], -v[2:3], v[7:8], 1.0
	v_fma_f64 v[7:8], v[7:8], v[9:10], v[7:8]
	v_div_scale_f64 v[9:10], vcc_lo, 1.0, v[0:1], 1.0
	s_delay_alu instid0(VALU_DEP_1) | instskip(NEXT) | instid1(VALU_DEP_1)
	v_mul_f64 v[11:12], v[9:10], v[7:8]
	v_fma_f64 v[2:3], -v[2:3], v[11:12], v[9:10]
	s_delay_alu instid0(VALU_DEP_1) | instskip(NEXT) | instid1(VALU_DEP_1)
	v_div_fmas_f64 v[2:3], v[2:3], v[7:8], v[11:12]
	v_div_fixup_f64 v[2:3], v[2:3], v[0:1], 1.0
	s_delay_alu instid0(VALU_DEP_1)
	v_mul_f64 v[0:1], v[5:6], v[2:3]
	v_xor_b32_e32 v3, 0x80000000, v3
.LBB126_55:
	s_and_not1_saveexec_b32 s2, s2
	s_cbranch_execz .LBB126_57
; %bb.56:
	s_delay_alu instid0(VALU_DEP_1) | instskip(SKIP_1) | instid1(VALU_DEP_2)
	v_div_scale_f64 v[5:6], null, v[0:1], v[0:1], v[2:3]
	v_div_scale_f64 v[11:12], vcc_lo, v[2:3], v[0:1], v[2:3]
	v_rcp_f64_e32 v[7:8], v[5:6]
	s_waitcnt_depctr 0xfff
	v_fma_f64 v[9:10], -v[5:6], v[7:8], 1.0
	s_delay_alu instid0(VALU_DEP_1) | instskip(NEXT) | instid1(VALU_DEP_1)
	v_fma_f64 v[7:8], v[7:8], v[9:10], v[7:8]
	v_fma_f64 v[9:10], -v[5:6], v[7:8], 1.0
	s_delay_alu instid0(VALU_DEP_1) | instskip(NEXT) | instid1(VALU_DEP_1)
	v_fma_f64 v[7:8], v[7:8], v[9:10], v[7:8]
	v_mul_f64 v[9:10], v[11:12], v[7:8]
	s_delay_alu instid0(VALU_DEP_1) | instskip(NEXT) | instid1(VALU_DEP_1)
	v_fma_f64 v[5:6], -v[5:6], v[9:10], v[11:12]
	v_div_fmas_f64 v[5:6], v[5:6], v[7:8], v[9:10]
	s_delay_alu instid0(VALU_DEP_1) | instskip(NEXT) | instid1(VALU_DEP_1)
	v_div_fixup_f64 v[5:6], v[5:6], v[0:1], v[2:3]
	v_fma_f64 v[0:1], v[2:3], v[5:6], v[0:1]
	s_delay_alu instid0(VALU_DEP_1) | instskip(NEXT) | instid1(VALU_DEP_1)
	v_div_scale_f64 v[2:3], null, v[0:1], v[0:1], 1.0
	v_rcp_f64_e32 v[7:8], v[2:3]
	s_waitcnt_depctr 0xfff
	v_fma_f64 v[9:10], -v[2:3], v[7:8], 1.0
	s_delay_alu instid0(VALU_DEP_1) | instskip(NEXT) | instid1(VALU_DEP_1)
	v_fma_f64 v[7:8], v[7:8], v[9:10], v[7:8]
	v_fma_f64 v[9:10], -v[2:3], v[7:8], 1.0
	s_delay_alu instid0(VALU_DEP_1) | instskip(SKIP_1) | instid1(VALU_DEP_1)
	v_fma_f64 v[7:8], v[7:8], v[9:10], v[7:8]
	v_div_scale_f64 v[9:10], vcc_lo, 1.0, v[0:1], 1.0
	v_mul_f64 v[11:12], v[9:10], v[7:8]
	s_delay_alu instid0(VALU_DEP_1) | instskip(NEXT) | instid1(VALU_DEP_1)
	v_fma_f64 v[2:3], -v[2:3], v[11:12], v[9:10]
	v_div_fmas_f64 v[2:3], v[2:3], v[7:8], v[11:12]
	s_delay_alu instid0(VALU_DEP_1) | instskip(NEXT) | instid1(VALU_DEP_1)
	v_div_fixup_f64 v[0:1], v[2:3], v[0:1], 1.0
	v_mul_f64 v[2:3], v[5:6], -v[0:1]
.LBB126_57:
	s_or_b32 exec_lo, exec_lo, s2
.LBB126_58:
	s_delay_alu instid0(SALU_CYCLE_1) | instskip(NEXT) | instid1(SALU_CYCLE_1)
	s_or_b32 exec_lo, exec_lo, s3
	s_mov_b32 s2, exec_lo
	v_cmpx_ne_u32_e64 v41, v4
	s_xor_b32 s2, exec_lo, s2
	s_cbranch_execz .LBB126_64
; %bb.59:
	s_mov_b32 s3, exec_lo
	v_cmpx_eq_u32_e32 2, v41
	s_cbranch_execz .LBB126_63
; %bb.60:
	v_cmp_ne_u32_e32 vcc_lo, 2, v4
	s_xor_b32 s6, s4, -1
	s_delay_alu instid0(SALU_CYCLE_1) | instskip(NEXT) | instid1(SALU_CYCLE_1)
	s_and_b32 s7, s6, vcc_lo
	s_and_saveexec_b32 s6, s7
	s_cbranch_execz .LBB126_62
; %bb.61:
	v_ashrrev_i32_e32 v5, 31, v4
	s_delay_alu instid0(VALU_DEP_1) | instskip(NEXT) | instid1(VALU_DEP_1)
	v_lshlrev_b64 v[5:6], 2, v[4:5]
	v_add_co_u32 v5, vcc_lo, v250, v5
	s_delay_alu instid0(VALU_DEP_2)
	v_add_co_ci_u32_e32 v6, vcc_lo, v251, v6, vcc_lo
	s_clause 0x1
	flat_load_b32 v7, v[5:6]
	flat_load_b32 v8, v[250:251] offset:8
	s_waitcnt vmcnt(1) lgkmcnt(1)
	flat_store_b32 v[250:251], v7 offset:8
	s_waitcnt vmcnt(0) lgkmcnt(1)
	flat_store_b32 v[5:6], v8
.LBB126_62:
	s_or_b32 exec_lo, exec_lo, s6
	v_mov_b32_e32 v41, v4
	v_mov_b32_e32 v39, v4
.LBB126_63:
	s_or_b32 exec_lo, exec_lo, s3
.LBB126_64:
	s_and_not1_saveexec_b32 s2, s2
	s_cbranch_execz .LBB126_70
; %bb.65:
	v_add3_u32 v4, v38, 0, 48
	v_mov_b32_e32 v5, 0
	s_mov_b32 s3, 0
	s_branch .LBB126_67
.LBB126_66:                             ;   in Loop: Header=BB126_67 Depth=1
	s_and_not1_b32 vcc_lo, exec_lo, s7
	s_cbranch_vccz .LBB126_69
.LBB126_67:                             ; =>This Inner Loop Header: Depth=1
	s_delay_alu instid0(VALU_DEP_1) | instskip(SKIP_1) | instid1(VALU_DEP_2)
	v_readfirstlane_b32 s6, v5
	v_add_nc_u32_e32 v6, s3, v4
	s_add_i32 s6, s6, s3
	s_delay_alu instid0(SALU_CYCLE_1)
	s_add_i32 s7, s6, 48
	s_add_i32 s9, s6, 64
	;; [unrolled: 1-line block ×5, first 2 shown]
	s_clause 0x4
	scratch_load_b128 v[7:10], off, s7
	scratch_load_b128 v[11:14], off, s9
	;; [unrolled: 1-line block ×5, first 2 shown]
	s_mov_b32 s7, -1
	s_cmpk_eq_i32 s3, 0x380
	s_waitcnt vmcnt(4)
	ds_store_2addr_b64 v6, v[7:8], v[9:10] offset1:1
	s_waitcnt vmcnt(3)
	ds_store_2addr_b64 v6, v[11:12], v[13:14] offset0:2 offset1:3
	s_waitcnt vmcnt(2)
	ds_store_2addr_b64 v6, v[41:42], v[43:44] offset0:4 offset1:5
	;; [unrolled: 2-line block ×4, first 2 shown]
	s_cbranch_scc1 .LBB126_66
; %bb.68:                               ;   in Loop: Header=BB126_67 Depth=1
	s_add_i32 s7, s6, 0x80
	s_add_i32 s9, s6, 0x90
	s_addk_i32 s6, 0xa0
	s_clause 0x2
	scratch_load_b128 v[7:10], off, s7
	scratch_load_b128 v[11:14], off, s9
	;; [unrolled: 1-line block ×3, first 2 shown]
	s_addk_i32 s3, 0x80
	s_mov_b32 s7, 0
	s_waitcnt vmcnt(2)
	ds_store_2addr_b64 v6, v[7:8], v[9:10] offset0:10 offset1:11
	s_waitcnt vmcnt(1)
	ds_store_2addr_b64 v6, v[11:12], v[13:14] offset0:12 offset1:13
	;; [unrolled: 2-line block ×3, first 2 shown]
	s_branch .LBB126_66
.LBB126_69:
	v_mov_b32_e32 v41, 2
.LBB126_70:
	s_or_b32 exec_lo, exec_lo, s2
	s_delay_alu instid0(SALU_CYCLE_1)
	s_mov_b32 s2, exec_lo
	s_waitcnt lgkmcnt(0)
	s_waitcnt_vscnt null, 0x0
	s_barrier
	buffer_gl0_inv
	v_cmpx_lt_i32_e32 2, v41
	s_cbranch_execz .LBB126_75
; %bb.71:
	scratch_load_b128 v[4:7], off, off offset:32
	s_mov_b32 s3, 0
	s_waitcnt vmcnt(0)
	v_mul_f64 v[8:9], v[2:3], v[6:7]
	v_mul_f64 v[6:7], v[0:1], v[6:7]
	s_delay_alu instid0(VALU_DEP_2) | instskip(NEXT) | instid1(VALU_DEP_2)
	v_fma_f64 v[0:1], v[0:1], v[4:5], -v[8:9]
	v_fma_f64 v[2:3], v[2:3], v[4:5], v[6:7]
	v_add3_u32 v4, v38, 0, 48
	v_mov_b32_e32 v5, 0
	scratch_store_b128 off, v[0:3], off offset:32
	s_branch .LBB126_73
.LBB126_72:                             ;   in Loop: Header=BB126_73 Depth=1
	s_and_not1_b32 vcc_lo, exec_lo, s7
	s_cbranch_vccz .LBB126_75
.LBB126_73:                             ; =>This Inner Loop Header: Depth=1
	v_readfirstlane_b32 s6, v5
	v_add_nc_u32_e32 v6, s3, v4
	s_mov_b32 s7, -1
	s_delay_alu instid0(VALU_DEP_2)
	s_add_i32 s6, s6, s3
	ds_load_2addr_b64 v[11:14], v6 offset1:1
	s_add_i32 s9, s6, 48
	s_cmpk_eq_i32 s3, 0x3c0
	scratch_load_b128 v[7:10], off, s9
	s_waitcnt lgkmcnt(0)
	v_mul_f64 v[15:16], v[13:14], v[2:3]
	v_mul_f64 v[17:18], v[11:12], v[2:3]
	s_delay_alu instid0(VALU_DEP_2) | instskip(NEXT) | instid1(VALU_DEP_2)
	v_fma_f64 v[11:12], v[11:12], v[0:1], -v[15:16]
	v_fma_f64 v[13:14], v[13:14], v[0:1], v[17:18]
	s_waitcnt vmcnt(0)
	s_delay_alu instid0(VALU_DEP_2) | instskip(NEXT) | instid1(VALU_DEP_2)
	v_add_f64 v[7:8], v[7:8], -v[11:12]
	v_add_f64 v[9:10], v[9:10], -v[13:14]
	scratch_store_b128 off, v[7:10], s9
	s_cbranch_scc1 .LBB126_72
; %bb.74:                               ;   in Loop: Header=BB126_73 Depth=1
	s_add_i32 s9, s6, 64
	s_add_i32 s12, s6, 0x50
	scratch_load_b128 v[7:10], off, s9
	s_addk_i32 s6, 0x60
	s_clause 0x1
	scratch_load_b128 v[11:14], off, s12
	scratch_load_b128 v[42:45], off, s6
	ds_load_2addr_b64 v[49:52], v6 offset0:2 offset1:3
	ds_load_2addr_b64 v[53:56], v6 offset0:4 offset1:5
	;; [unrolled: 1-line block ×3, first 2 shown]
	s_add_i32 s3, s3, 64
	s_mov_b32 s7, 0
	s_waitcnt lgkmcnt(2)
	v_mul_f64 v[15:16], v[51:52], v[2:3]
	v_mul_f64 v[17:18], v[49:50], v[2:3]
	s_waitcnt lgkmcnt(1)
	v_mul_f64 v[46:47], v[55:56], v[2:3]
	v_mul_f64 v[57:58], v[53:54], v[2:3]
	;; [unrolled: 3-line block ×3, first 2 shown]
	v_fma_f64 v[15:16], v[49:50], v[0:1], -v[15:16]
	v_fma_f64 v[17:18], v[51:52], v[0:1], v[17:18]
	v_fma_f64 v[46:47], v[53:54], v[0:1], -v[46:47]
	v_fma_f64 v[49:50], v[55:56], v[0:1], v[57:58]
	;; [unrolled: 2-line block ×3, first 2 shown]
	s_waitcnt vmcnt(2)
	v_add_f64 v[6:7], v[7:8], -v[15:16]
	v_add_f64 v[8:9], v[9:10], -v[17:18]
	s_waitcnt vmcnt(1)
	v_add_f64 v[10:11], v[11:12], -v[46:47]
	v_add_f64 v[12:13], v[13:14], -v[49:50]
	s_waitcnt vmcnt(0)
	v_add_f64 v[14:15], v[42:43], -v[51:52]
	v_add_f64 v[16:17], v[44:45], -v[53:54]
	s_clause 0x2
	scratch_store_b128 off, v[6:9], s9
	scratch_store_b128 off, v[10:13], s12
	;; [unrolled: 1-line block ×3, first 2 shown]
	s_branch .LBB126_72
.LBB126_75:
	s_or_b32 exec_lo, exec_lo, s2
	s_waitcnt_vscnt null, 0x0
	s_barrier
	buffer_gl0_inv
	scratch_load_b128 v[0:3], v30, off
	v_lshl_add_u32 v4, v41, 4, v36
	s_cmp_lt_i32 s5, 5
	s_mov_b32 s6, 4
	s_waitcnt vmcnt(0)
	ds_store_2addr_b64 v4, v[0:1], v[2:3] offset1:1
	s_waitcnt lgkmcnt(0)
	s_barrier
	buffer_gl0_inv
	ds_load_2addr_b64 v[0:3], v36 offset0:6 offset1:7
	v_mov_b32_e32 v4, 3
	s_cbranch_scc1 .LBB126_78
; %bb.76:
	v_add3_u32 v5, v38, 0, 64
	v_mov_b32_e32 v4, 3
	s_set_inst_prefetch_distance 0x1
	.p2align	6
.LBB126_77:                             ; =>This Inner Loop Header: Depth=1
	ds_load_2addr_b64 v[6:9], v5 offset1:1
	s_waitcnt lgkmcnt(1)
	v_cmp_gt_f64_e32 vcc_lo, 0, v[0:1]
	v_xor_b32_e32 v10, 0x80000000, v1
	v_cmp_gt_f64_e64 s2, 0, v[2:3]
	v_xor_b32_e32 v12, 0x80000000, v3
	v_add_nc_u32_e32 v5, 16, v5
	s_waitcnt lgkmcnt(0)
	v_cmp_gt_f64_e64 s3, 0, v[6:7]
	v_mov_b32_e32 v14, v6
	v_dual_mov_b32 v16, v8 :: v_dual_cndmask_b32 v11, v1, v10
	v_xor_b32_e32 v10, 0x80000000, v7
	v_cndmask_b32_e64 v13, v3, v12, s2
	v_xor_b32_e32 v12, 0x80000000, v9
	s_delay_alu instid0(VALU_DEP_3) | instskip(SKIP_2) | instid1(VALU_DEP_2)
	v_cndmask_b32_e64 v15, v7, v10, s3
	v_cmp_gt_f64_e64 s3, 0, v[8:9]
	v_cndmask_b32_e32 v10, v0, v0, vcc_lo
	v_cndmask_b32_e64 v17, v9, v12, s3
	v_cndmask_b32_e64 v12, v2, v2, s2
	s_delay_alu instid0(VALU_DEP_2) | instskip(NEXT) | instid1(VALU_DEP_2)
	v_add_f64 v[14:15], v[14:15], v[16:17]
	v_add_f64 v[10:11], v[10:11], v[12:13]
	s_delay_alu instid0(VALU_DEP_1)
	v_cmp_lt_f64_e32 vcc_lo, v[10:11], v[14:15]
	v_cndmask_b32_e32 v3, v3, v9, vcc_lo
	v_dual_cndmask_b32 v1, v1, v7 :: v_dual_cndmask_b32 v0, v0, v6
	v_cndmask_b32_e32 v2, v2, v8, vcc_lo
	v_cndmask_b32_e64 v4, v4, s6, vcc_lo
	s_add_i32 s6, s6, 1
	s_delay_alu instid0(SALU_CYCLE_1)
	s_cmp_lg_u32 s5, s6
	s_cbranch_scc1 .LBB126_77
.LBB126_78:
	s_set_inst_prefetch_distance 0x2
	s_waitcnt lgkmcnt(0)
	v_cmp_eq_f64_e32 vcc_lo, 0, v[0:1]
	v_cmp_eq_f64_e64 s2, 0, v[2:3]
	s_delay_alu instid0(VALU_DEP_1) | instskip(NEXT) | instid1(SALU_CYCLE_1)
	s_and_b32 s2, vcc_lo, s2
	s_and_saveexec_b32 s3, s2
	s_delay_alu instid0(SALU_CYCLE_1)
	s_xor_b32 s2, exec_lo, s3
; %bb.79:
	v_cmp_ne_u32_e32 vcc_lo, 0, v37
	v_cndmask_b32_e32 v37, 4, v37, vcc_lo
; %bb.80:
	s_and_not1_saveexec_b32 s3, s2
	s_cbranch_execz .LBB126_86
; %bb.81:
	v_cmp_gt_f64_e32 vcc_lo, 0, v[0:1]
	v_cmp_gt_f64_e64 s2, 0, v[2:3]
	v_xor_b32_e32 v5, 0x80000000, v1
	v_xor_b32_e32 v7, 0x80000000, v3
	s_delay_alu instid0(VALU_DEP_2) | instskip(NEXT) | instid1(VALU_DEP_2)
	v_dual_cndmask_b32 v6, v1, v5 :: v_dual_cndmask_b32 v5, v0, v0
	v_cndmask_b32_e64 v8, v3, v7, s2
	v_cndmask_b32_e64 v7, v2, v2, s2
	s_mov_b32 s2, exec_lo
	s_delay_alu instid0(VALU_DEP_1)
	v_cmpx_ngt_f64_e32 v[5:6], v[7:8]
	s_xor_b32 s2, exec_lo, s2
	s_cbranch_execz .LBB126_83
; %bb.82:
	v_div_scale_f64 v[5:6], null, v[2:3], v[2:3], v[0:1]
	v_div_scale_f64 v[11:12], vcc_lo, v[0:1], v[2:3], v[0:1]
	s_delay_alu instid0(VALU_DEP_2) | instskip(SKIP_2) | instid1(VALU_DEP_1)
	v_rcp_f64_e32 v[7:8], v[5:6]
	s_waitcnt_depctr 0xfff
	v_fma_f64 v[9:10], -v[5:6], v[7:8], 1.0
	v_fma_f64 v[7:8], v[7:8], v[9:10], v[7:8]
	s_delay_alu instid0(VALU_DEP_1) | instskip(NEXT) | instid1(VALU_DEP_1)
	v_fma_f64 v[9:10], -v[5:6], v[7:8], 1.0
	v_fma_f64 v[7:8], v[7:8], v[9:10], v[7:8]
	s_delay_alu instid0(VALU_DEP_1) | instskip(NEXT) | instid1(VALU_DEP_1)
	v_mul_f64 v[9:10], v[11:12], v[7:8]
	v_fma_f64 v[5:6], -v[5:6], v[9:10], v[11:12]
	s_delay_alu instid0(VALU_DEP_1) | instskip(NEXT) | instid1(VALU_DEP_1)
	v_div_fmas_f64 v[5:6], v[5:6], v[7:8], v[9:10]
	v_div_fixup_f64 v[5:6], v[5:6], v[2:3], v[0:1]
	s_delay_alu instid0(VALU_DEP_1) | instskip(NEXT) | instid1(VALU_DEP_1)
	v_fma_f64 v[0:1], v[0:1], v[5:6], v[2:3]
	v_div_scale_f64 v[2:3], null, v[0:1], v[0:1], 1.0
	s_delay_alu instid0(VALU_DEP_1) | instskip(SKIP_2) | instid1(VALU_DEP_1)
	v_rcp_f64_e32 v[7:8], v[2:3]
	s_waitcnt_depctr 0xfff
	v_fma_f64 v[9:10], -v[2:3], v[7:8], 1.0
	v_fma_f64 v[7:8], v[7:8], v[9:10], v[7:8]
	s_delay_alu instid0(VALU_DEP_1) | instskip(NEXT) | instid1(VALU_DEP_1)
	v_fma_f64 v[9:10], -v[2:3], v[7:8], 1.0
	v_fma_f64 v[7:8], v[7:8], v[9:10], v[7:8]
	v_div_scale_f64 v[9:10], vcc_lo, 1.0, v[0:1], 1.0
	s_delay_alu instid0(VALU_DEP_1) | instskip(NEXT) | instid1(VALU_DEP_1)
	v_mul_f64 v[11:12], v[9:10], v[7:8]
	v_fma_f64 v[2:3], -v[2:3], v[11:12], v[9:10]
	s_delay_alu instid0(VALU_DEP_1) | instskip(NEXT) | instid1(VALU_DEP_1)
	v_div_fmas_f64 v[2:3], v[2:3], v[7:8], v[11:12]
	v_div_fixup_f64 v[2:3], v[2:3], v[0:1], 1.0
	s_delay_alu instid0(VALU_DEP_1)
	v_mul_f64 v[0:1], v[5:6], v[2:3]
	v_xor_b32_e32 v3, 0x80000000, v3
.LBB126_83:
	s_and_not1_saveexec_b32 s2, s2
	s_cbranch_execz .LBB126_85
; %bb.84:
	s_delay_alu instid0(VALU_DEP_1) | instskip(SKIP_1) | instid1(VALU_DEP_2)
	v_div_scale_f64 v[5:6], null, v[0:1], v[0:1], v[2:3]
	v_div_scale_f64 v[11:12], vcc_lo, v[2:3], v[0:1], v[2:3]
	v_rcp_f64_e32 v[7:8], v[5:6]
	s_waitcnt_depctr 0xfff
	v_fma_f64 v[9:10], -v[5:6], v[7:8], 1.0
	s_delay_alu instid0(VALU_DEP_1) | instskip(NEXT) | instid1(VALU_DEP_1)
	v_fma_f64 v[7:8], v[7:8], v[9:10], v[7:8]
	v_fma_f64 v[9:10], -v[5:6], v[7:8], 1.0
	s_delay_alu instid0(VALU_DEP_1) | instskip(NEXT) | instid1(VALU_DEP_1)
	v_fma_f64 v[7:8], v[7:8], v[9:10], v[7:8]
	v_mul_f64 v[9:10], v[11:12], v[7:8]
	s_delay_alu instid0(VALU_DEP_1) | instskip(NEXT) | instid1(VALU_DEP_1)
	v_fma_f64 v[5:6], -v[5:6], v[9:10], v[11:12]
	v_div_fmas_f64 v[5:6], v[5:6], v[7:8], v[9:10]
	s_delay_alu instid0(VALU_DEP_1) | instskip(NEXT) | instid1(VALU_DEP_1)
	v_div_fixup_f64 v[5:6], v[5:6], v[0:1], v[2:3]
	v_fma_f64 v[0:1], v[2:3], v[5:6], v[0:1]
	s_delay_alu instid0(VALU_DEP_1) | instskip(NEXT) | instid1(VALU_DEP_1)
	v_div_scale_f64 v[2:3], null, v[0:1], v[0:1], 1.0
	v_rcp_f64_e32 v[7:8], v[2:3]
	s_waitcnt_depctr 0xfff
	v_fma_f64 v[9:10], -v[2:3], v[7:8], 1.0
	s_delay_alu instid0(VALU_DEP_1) | instskip(NEXT) | instid1(VALU_DEP_1)
	v_fma_f64 v[7:8], v[7:8], v[9:10], v[7:8]
	v_fma_f64 v[9:10], -v[2:3], v[7:8], 1.0
	s_delay_alu instid0(VALU_DEP_1) | instskip(SKIP_1) | instid1(VALU_DEP_1)
	v_fma_f64 v[7:8], v[7:8], v[9:10], v[7:8]
	v_div_scale_f64 v[9:10], vcc_lo, 1.0, v[0:1], 1.0
	v_mul_f64 v[11:12], v[9:10], v[7:8]
	s_delay_alu instid0(VALU_DEP_1) | instskip(NEXT) | instid1(VALU_DEP_1)
	v_fma_f64 v[2:3], -v[2:3], v[11:12], v[9:10]
	v_div_fmas_f64 v[2:3], v[2:3], v[7:8], v[11:12]
	s_delay_alu instid0(VALU_DEP_1) | instskip(NEXT) | instid1(VALU_DEP_1)
	v_div_fixup_f64 v[0:1], v[2:3], v[0:1], 1.0
	v_mul_f64 v[2:3], v[5:6], -v[0:1]
.LBB126_85:
	s_or_b32 exec_lo, exec_lo, s2
.LBB126_86:
	s_delay_alu instid0(SALU_CYCLE_1) | instskip(NEXT) | instid1(SALU_CYCLE_1)
	s_or_b32 exec_lo, exec_lo, s3
	s_mov_b32 s2, exec_lo
	v_cmpx_ne_u32_e64 v41, v4
	s_xor_b32 s2, exec_lo, s2
	s_cbranch_execz .LBB126_92
; %bb.87:
	s_mov_b32 s3, exec_lo
	v_cmpx_eq_u32_e32 3, v41
	s_cbranch_execz .LBB126_91
; %bb.88:
	v_cmp_ne_u32_e32 vcc_lo, 3, v4
	s_xor_b32 s6, s4, -1
	s_delay_alu instid0(SALU_CYCLE_1) | instskip(NEXT) | instid1(SALU_CYCLE_1)
	s_and_b32 s7, s6, vcc_lo
	s_and_saveexec_b32 s6, s7
	s_cbranch_execz .LBB126_90
; %bb.89:
	v_ashrrev_i32_e32 v5, 31, v4
	s_delay_alu instid0(VALU_DEP_1) | instskip(NEXT) | instid1(VALU_DEP_1)
	v_lshlrev_b64 v[5:6], 2, v[4:5]
	v_add_co_u32 v5, vcc_lo, v250, v5
	s_delay_alu instid0(VALU_DEP_2)
	v_add_co_ci_u32_e32 v6, vcc_lo, v251, v6, vcc_lo
	s_clause 0x1
	flat_load_b32 v7, v[5:6]
	flat_load_b32 v8, v[250:251] offset:12
	s_waitcnt vmcnt(1) lgkmcnt(1)
	flat_store_b32 v[250:251], v7 offset:12
	s_waitcnt vmcnt(0) lgkmcnt(1)
	flat_store_b32 v[5:6], v8
.LBB126_90:
	s_or_b32 exec_lo, exec_lo, s6
	v_mov_b32_e32 v41, v4
	v_mov_b32_e32 v39, v4
.LBB126_91:
	s_or_b32 exec_lo, exec_lo, s3
.LBB126_92:
	s_and_not1_saveexec_b32 s2, s2
	s_cbranch_execz .LBB126_96
; %bb.93:
	v_add3_u32 v4, v38, 0, 64
	v_mov_b32_e32 v5, 0
	s_mov_b32 s3, 0
.LBB126_94:                             ; =>This Inner Loop Header: Depth=1
	s_delay_alu instid0(VALU_DEP_1) | instskip(NEXT) | instid1(VALU_DEP_3)
	v_readfirstlane_b32 s6, v5
	v_add_nc_u32_e32 v18, s3, v4
	s_delay_alu instid0(VALU_DEP_2)
	s_add_i32 s6, s6, s3
	s_addk_i32 s3, 0xf0
	s_add_i32 s7, s6, 64
	s_add_i32 s9, s6, 0x50
	;; [unrolled: 1-line block ×14, first 2 shown]
	s_addk_i32 s6, 0x120
	s_clause 0xe
	scratch_load_b128 v[6:9], off, s7
	scratch_load_b128 v[10:13], off, s9
	;; [unrolled: 1-line block ×15, first 2 shown]
	s_cmpk_eq_i32 s3, 0x3c0
	s_waitcnt vmcnt(14)
	ds_store_2addr_b64 v18, v[6:7], v[8:9] offset1:1
	s_waitcnt vmcnt(13)
	ds_store_2addr_b64 v18, v[10:11], v[12:13] offset0:2 offset1:3
	s_waitcnt vmcnt(12)
	ds_store_2addr_b64 v18, v[14:15], v[16:17] offset0:4 offset1:5
	;; [unrolled: 2-line block ×14, first 2 shown]
	s_cbranch_scc0 .LBB126_94
; %bb.95:
	v_mov_b32_e32 v41, 3
.LBB126_96:
	s_or_b32 exec_lo, exec_lo, s2
	s_delay_alu instid0(SALU_CYCLE_1)
	s_mov_b32 s2, exec_lo
	s_waitcnt lgkmcnt(0)
	s_waitcnt_vscnt null, 0x0
	s_barrier
	buffer_gl0_inv
	v_cmpx_lt_i32_e32 3, v41
	s_cbranch_execz .LBB126_99
; %bb.97:
	scratch_load_b128 v[4:7], off, off offset:48
	s_mov_b32 s3, 0
	s_waitcnt vmcnt(0)
	v_mul_f64 v[8:9], v[2:3], v[6:7]
	v_mul_f64 v[6:7], v[0:1], v[6:7]
	s_delay_alu instid0(VALU_DEP_2) | instskip(NEXT) | instid1(VALU_DEP_2)
	v_fma_f64 v[0:1], v[0:1], v[4:5], -v[8:9]
	v_fma_f64 v[2:3], v[2:3], v[4:5], v[6:7]
	v_add3_u32 v4, v38, 0, 64
	v_mov_b32_e32 v5, 0
	scratch_store_b128 off, v[0:3], off offset:48
.LBB126_98:                             ; =>This Inner Loop Header: Depth=1
	v_readfirstlane_b32 s6, v5
	v_add_nc_u32_e32 v18, s3, v4
	s_delay_alu instid0(VALU_DEP_2)
	s_add_i32 s7, s6, s3
	s_addk_i32 s3, 0x60
	s_add_i32 s6, s7, 64
	s_add_i32 s9, s7, 0x50
	;; [unrolled: 1-line block ×5, first 2 shown]
	s_addk_i32 s7, 0x90
	s_clause 0x5
	scratch_load_b128 v[6:9], off, s6
	scratch_load_b128 v[10:13], off, s9
	;; [unrolled: 1-line block ×6, first 2 shown]
	ds_load_2addr_b64 v[65:68], v18 offset1:1
	ds_load_2addr_b64 v[69:72], v18 offset0:2 offset1:3
	ds_load_2addr_b64 v[81:84], v18 offset0:4 offset1:5
	;; [unrolled: 1-line block ×5, first 2 shown]
	s_cmpk_lg_i32 s3, 0x3c0
	s_waitcnt lgkmcnt(5)
	v_mul_f64 v[18:19], v[67:68], v[2:3]
	v_mul_f64 v[46:47], v[65:66], v[2:3]
	s_waitcnt lgkmcnt(4)
	v_mul_f64 v[57:58], v[71:72], v[2:3]
	v_mul_f64 v[61:62], v[69:70], v[2:3]
	;; [unrolled: 3-line block ×6, first 2 shown]
	v_fma_f64 v[18:19], v[65:66], v[0:1], -v[18:19]
	v_fma_f64 v[46:47], v[67:68], v[0:1], v[46:47]
	v_fma_f64 v[57:58], v[69:70], v[0:1], -v[57:58]
	v_fma_f64 v[61:62], v[71:72], v[0:1], v[61:62]
	;; [unrolled: 2-line block ×6, first 2 shown]
	s_waitcnt vmcnt(5)
	v_add_f64 v[6:7], v[6:7], -v[18:19]
	v_add_f64 v[8:9], v[8:9], -v[46:47]
	s_waitcnt vmcnt(4)
	v_add_f64 v[10:11], v[10:11], -v[57:58]
	v_add_f64 v[12:13], v[12:13], -v[61:62]
	;; [unrolled: 3-line block ×6, first 2 shown]
	s_clause 0x5
	scratch_store_b128 off, v[6:9], s6
	scratch_store_b128 off, v[10:13], s9
	scratch_store_b128 off, v[14:17], s12
	scratch_store_b128 off, v[42:45], s14
	scratch_store_b128 off, v[49:52], s15
	scratch_store_b128 off, v[53:56], s7
	s_cbranch_scc1 .LBB126_98
.LBB126_99:
	s_or_b32 exec_lo, exec_lo, s2
	s_waitcnt_vscnt null, 0x0
	s_barrier
	buffer_gl0_inv
	scratch_load_b128 v[0:3], v29, off
	v_lshl_add_u32 v4, v41, 4, v36
	s_cmp_lt_i32 s5, 6
	s_waitcnt vmcnt(0)
	ds_store_2addr_b64 v4, v[0:1], v[2:3] offset1:1
	s_waitcnt lgkmcnt(0)
	s_barrier
	buffer_gl0_inv
	ds_load_2addr_b64 v[0:3], v36 offset0:8 offset1:9
	v_mov_b32_e32 v4, 4
	s_cbranch_scc1 .LBB126_102
; %bb.100:
	v_add3_u32 v5, v38, 0, 0x50
	v_mov_b32_e32 v4, 4
	s_mov_b32 s6, 5
	s_set_inst_prefetch_distance 0x1
	.p2align	6
.LBB126_101:                            ; =>This Inner Loop Header: Depth=1
	ds_load_2addr_b64 v[6:9], v5 offset1:1
	s_waitcnt lgkmcnt(1)
	v_cmp_gt_f64_e32 vcc_lo, 0, v[0:1]
	v_xor_b32_e32 v10, 0x80000000, v1
	v_cmp_gt_f64_e64 s2, 0, v[2:3]
	v_xor_b32_e32 v12, 0x80000000, v3
	v_add_nc_u32_e32 v5, 16, v5
	s_waitcnt lgkmcnt(0)
	v_cmp_gt_f64_e64 s3, 0, v[6:7]
	v_mov_b32_e32 v14, v6
	v_dual_mov_b32 v16, v8 :: v_dual_cndmask_b32 v11, v1, v10
	v_xor_b32_e32 v10, 0x80000000, v7
	v_cndmask_b32_e64 v13, v3, v12, s2
	v_xor_b32_e32 v12, 0x80000000, v9
	s_delay_alu instid0(VALU_DEP_3) | instskip(SKIP_2) | instid1(VALU_DEP_2)
	v_cndmask_b32_e64 v15, v7, v10, s3
	v_cmp_gt_f64_e64 s3, 0, v[8:9]
	v_cndmask_b32_e32 v10, v0, v0, vcc_lo
	v_cndmask_b32_e64 v17, v9, v12, s3
	v_cndmask_b32_e64 v12, v2, v2, s2
	s_delay_alu instid0(VALU_DEP_2) | instskip(NEXT) | instid1(VALU_DEP_2)
	v_add_f64 v[14:15], v[14:15], v[16:17]
	v_add_f64 v[10:11], v[10:11], v[12:13]
	s_delay_alu instid0(VALU_DEP_1)
	v_cmp_lt_f64_e32 vcc_lo, v[10:11], v[14:15]
	v_cndmask_b32_e32 v3, v3, v9, vcc_lo
	v_dual_cndmask_b32 v1, v1, v7 :: v_dual_cndmask_b32 v0, v0, v6
	v_cndmask_b32_e32 v2, v2, v8, vcc_lo
	v_cndmask_b32_e64 v4, v4, s6, vcc_lo
	s_add_i32 s6, s6, 1
	s_delay_alu instid0(SALU_CYCLE_1)
	s_cmp_lg_u32 s5, s6
	s_cbranch_scc1 .LBB126_101
.LBB126_102:
	s_set_inst_prefetch_distance 0x2
	s_waitcnt lgkmcnt(0)
	v_cmp_eq_f64_e32 vcc_lo, 0, v[0:1]
	v_cmp_eq_f64_e64 s2, 0, v[2:3]
	s_delay_alu instid0(VALU_DEP_1) | instskip(NEXT) | instid1(SALU_CYCLE_1)
	s_and_b32 s2, vcc_lo, s2
	s_and_saveexec_b32 s3, s2
	s_delay_alu instid0(SALU_CYCLE_1)
	s_xor_b32 s2, exec_lo, s3
; %bb.103:
	v_cmp_ne_u32_e32 vcc_lo, 0, v37
	v_cndmask_b32_e32 v37, 5, v37, vcc_lo
; %bb.104:
	s_and_not1_saveexec_b32 s3, s2
	s_cbranch_execz .LBB126_110
; %bb.105:
	v_cmp_gt_f64_e32 vcc_lo, 0, v[0:1]
	v_cmp_gt_f64_e64 s2, 0, v[2:3]
	v_xor_b32_e32 v5, 0x80000000, v1
	v_xor_b32_e32 v7, 0x80000000, v3
	s_delay_alu instid0(VALU_DEP_2) | instskip(NEXT) | instid1(VALU_DEP_2)
	v_dual_cndmask_b32 v6, v1, v5 :: v_dual_cndmask_b32 v5, v0, v0
	v_cndmask_b32_e64 v8, v3, v7, s2
	v_cndmask_b32_e64 v7, v2, v2, s2
	s_mov_b32 s2, exec_lo
	s_delay_alu instid0(VALU_DEP_1)
	v_cmpx_ngt_f64_e32 v[5:6], v[7:8]
	s_xor_b32 s2, exec_lo, s2
	s_cbranch_execz .LBB126_107
; %bb.106:
	v_div_scale_f64 v[5:6], null, v[2:3], v[2:3], v[0:1]
	v_div_scale_f64 v[11:12], vcc_lo, v[0:1], v[2:3], v[0:1]
	s_delay_alu instid0(VALU_DEP_2) | instskip(SKIP_2) | instid1(VALU_DEP_1)
	v_rcp_f64_e32 v[7:8], v[5:6]
	s_waitcnt_depctr 0xfff
	v_fma_f64 v[9:10], -v[5:6], v[7:8], 1.0
	v_fma_f64 v[7:8], v[7:8], v[9:10], v[7:8]
	s_delay_alu instid0(VALU_DEP_1) | instskip(NEXT) | instid1(VALU_DEP_1)
	v_fma_f64 v[9:10], -v[5:6], v[7:8], 1.0
	v_fma_f64 v[7:8], v[7:8], v[9:10], v[7:8]
	s_delay_alu instid0(VALU_DEP_1) | instskip(NEXT) | instid1(VALU_DEP_1)
	v_mul_f64 v[9:10], v[11:12], v[7:8]
	v_fma_f64 v[5:6], -v[5:6], v[9:10], v[11:12]
	s_delay_alu instid0(VALU_DEP_1) | instskip(NEXT) | instid1(VALU_DEP_1)
	v_div_fmas_f64 v[5:6], v[5:6], v[7:8], v[9:10]
	v_div_fixup_f64 v[5:6], v[5:6], v[2:3], v[0:1]
	s_delay_alu instid0(VALU_DEP_1) | instskip(NEXT) | instid1(VALU_DEP_1)
	v_fma_f64 v[0:1], v[0:1], v[5:6], v[2:3]
	v_div_scale_f64 v[2:3], null, v[0:1], v[0:1], 1.0
	s_delay_alu instid0(VALU_DEP_1) | instskip(SKIP_2) | instid1(VALU_DEP_1)
	v_rcp_f64_e32 v[7:8], v[2:3]
	s_waitcnt_depctr 0xfff
	v_fma_f64 v[9:10], -v[2:3], v[7:8], 1.0
	v_fma_f64 v[7:8], v[7:8], v[9:10], v[7:8]
	s_delay_alu instid0(VALU_DEP_1) | instskip(NEXT) | instid1(VALU_DEP_1)
	v_fma_f64 v[9:10], -v[2:3], v[7:8], 1.0
	v_fma_f64 v[7:8], v[7:8], v[9:10], v[7:8]
	v_div_scale_f64 v[9:10], vcc_lo, 1.0, v[0:1], 1.0
	s_delay_alu instid0(VALU_DEP_1) | instskip(NEXT) | instid1(VALU_DEP_1)
	v_mul_f64 v[11:12], v[9:10], v[7:8]
	v_fma_f64 v[2:3], -v[2:3], v[11:12], v[9:10]
	s_delay_alu instid0(VALU_DEP_1) | instskip(NEXT) | instid1(VALU_DEP_1)
	v_div_fmas_f64 v[2:3], v[2:3], v[7:8], v[11:12]
	v_div_fixup_f64 v[2:3], v[2:3], v[0:1], 1.0
	s_delay_alu instid0(VALU_DEP_1)
	v_mul_f64 v[0:1], v[5:6], v[2:3]
	v_xor_b32_e32 v3, 0x80000000, v3
.LBB126_107:
	s_and_not1_saveexec_b32 s2, s2
	s_cbranch_execz .LBB126_109
; %bb.108:
	s_delay_alu instid0(VALU_DEP_1) | instskip(SKIP_1) | instid1(VALU_DEP_2)
	v_div_scale_f64 v[5:6], null, v[0:1], v[0:1], v[2:3]
	v_div_scale_f64 v[11:12], vcc_lo, v[2:3], v[0:1], v[2:3]
	v_rcp_f64_e32 v[7:8], v[5:6]
	s_waitcnt_depctr 0xfff
	v_fma_f64 v[9:10], -v[5:6], v[7:8], 1.0
	s_delay_alu instid0(VALU_DEP_1) | instskip(NEXT) | instid1(VALU_DEP_1)
	v_fma_f64 v[7:8], v[7:8], v[9:10], v[7:8]
	v_fma_f64 v[9:10], -v[5:6], v[7:8], 1.0
	s_delay_alu instid0(VALU_DEP_1) | instskip(NEXT) | instid1(VALU_DEP_1)
	v_fma_f64 v[7:8], v[7:8], v[9:10], v[7:8]
	v_mul_f64 v[9:10], v[11:12], v[7:8]
	s_delay_alu instid0(VALU_DEP_1) | instskip(NEXT) | instid1(VALU_DEP_1)
	v_fma_f64 v[5:6], -v[5:6], v[9:10], v[11:12]
	v_div_fmas_f64 v[5:6], v[5:6], v[7:8], v[9:10]
	s_delay_alu instid0(VALU_DEP_1) | instskip(NEXT) | instid1(VALU_DEP_1)
	v_div_fixup_f64 v[5:6], v[5:6], v[0:1], v[2:3]
	v_fma_f64 v[0:1], v[2:3], v[5:6], v[0:1]
	s_delay_alu instid0(VALU_DEP_1) | instskip(NEXT) | instid1(VALU_DEP_1)
	v_div_scale_f64 v[2:3], null, v[0:1], v[0:1], 1.0
	v_rcp_f64_e32 v[7:8], v[2:3]
	s_waitcnt_depctr 0xfff
	v_fma_f64 v[9:10], -v[2:3], v[7:8], 1.0
	s_delay_alu instid0(VALU_DEP_1) | instskip(NEXT) | instid1(VALU_DEP_1)
	v_fma_f64 v[7:8], v[7:8], v[9:10], v[7:8]
	v_fma_f64 v[9:10], -v[2:3], v[7:8], 1.0
	s_delay_alu instid0(VALU_DEP_1) | instskip(SKIP_1) | instid1(VALU_DEP_1)
	v_fma_f64 v[7:8], v[7:8], v[9:10], v[7:8]
	v_div_scale_f64 v[9:10], vcc_lo, 1.0, v[0:1], 1.0
	v_mul_f64 v[11:12], v[9:10], v[7:8]
	s_delay_alu instid0(VALU_DEP_1) | instskip(NEXT) | instid1(VALU_DEP_1)
	v_fma_f64 v[2:3], -v[2:3], v[11:12], v[9:10]
	v_div_fmas_f64 v[2:3], v[2:3], v[7:8], v[11:12]
	s_delay_alu instid0(VALU_DEP_1) | instskip(NEXT) | instid1(VALU_DEP_1)
	v_div_fixup_f64 v[0:1], v[2:3], v[0:1], 1.0
	v_mul_f64 v[2:3], v[5:6], -v[0:1]
.LBB126_109:
	s_or_b32 exec_lo, exec_lo, s2
.LBB126_110:
	s_delay_alu instid0(SALU_CYCLE_1) | instskip(NEXT) | instid1(SALU_CYCLE_1)
	s_or_b32 exec_lo, exec_lo, s3
	s_mov_b32 s2, exec_lo
	v_cmpx_ne_u32_e64 v41, v4
	s_xor_b32 s2, exec_lo, s2
	s_cbranch_execz .LBB126_116
; %bb.111:
	s_mov_b32 s3, exec_lo
	v_cmpx_eq_u32_e32 4, v41
	s_cbranch_execz .LBB126_115
; %bb.112:
	v_cmp_ne_u32_e32 vcc_lo, 4, v4
	s_xor_b32 s6, s4, -1
	s_delay_alu instid0(SALU_CYCLE_1) | instskip(NEXT) | instid1(SALU_CYCLE_1)
	s_and_b32 s7, s6, vcc_lo
	s_and_saveexec_b32 s6, s7
	s_cbranch_execz .LBB126_114
; %bb.113:
	v_ashrrev_i32_e32 v5, 31, v4
	s_delay_alu instid0(VALU_DEP_1) | instskip(NEXT) | instid1(VALU_DEP_1)
	v_lshlrev_b64 v[5:6], 2, v[4:5]
	v_add_co_u32 v5, vcc_lo, v250, v5
	s_delay_alu instid0(VALU_DEP_2)
	v_add_co_ci_u32_e32 v6, vcc_lo, v251, v6, vcc_lo
	s_clause 0x1
	flat_load_b32 v7, v[5:6]
	flat_load_b32 v8, v[250:251] offset:16
	s_waitcnt vmcnt(1) lgkmcnt(1)
	flat_store_b32 v[250:251], v7 offset:16
	s_waitcnt vmcnt(0) lgkmcnt(1)
	flat_store_b32 v[5:6], v8
.LBB126_114:
	s_or_b32 exec_lo, exec_lo, s6
	v_mov_b32_e32 v41, v4
	v_mov_b32_e32 v39, v4
.LBB126_115:
	s_or_b32 exec_lo, exec_lo, s3
.LBB126_116:
	s_and_not1_saveexec_b32 s2, s2
	s_cbranch_execz .LBB126_122
; %bb.117:
	v_add3_u32 v4, v38, 0, 0x50
	v_mov_b32_e32 v5, 0
	s_mov_b32 s3, 0
	s_branch .LBB126_119
.LBB126_118:                            ;   in Loop: Header=BB126_119 Depth=1
	s_and_not1_b32 vcc_lo, exec_lo, s7
	s_cbranch_vccz .LBB126_121
.LBB126_119:                            ; =>This Inner Loop Header: Depth=1
	s_delay_alu instid0(VALU_DEP_1) | instskip(SKIP_1) | instid1(VALU_DEP_2)
	v_readfirstlane_b32 s6, v5
	v_add_nc_u32_e32 v6, s3, v4
	s_add_i32 s6, s6, s3
	s_delay_alu instid0(SALU_CYCLE_1)
	s_add_i32 s7, s6, 0x50
	s_add_i32 s9, s6, 0x60
	;; [unrolled: 1-line block ×3, first 2 shown]
	s_clause 0x2
	scratch_load_b128 v[7:10], off, s7
	scratch_load_b128 v[11:14], off, s9
	;; [unrolled: 1-line block ×3, first 2 shown]
	s_mov_b32 s7, -1
	s_cmpk_eq_i32 s3, 0x380
	s_waitcnt vmcnt(2)
	ds_store_2addr_b64 v6, v[7:8], v[9:10] offset1:1
	s_waitcnt vmcnt(1)
	ds_store_2addr_b64 v6, v[11:12], v[13:14] offset0:2 offset1:3
	s_waitcnt vmcnt(0)
	ds_store_2addr_b64 v6, v[41:42], v[43:44] offset0:4 offset1:5
	s_cbranch_scc1 .LBB126_118
; %bb.120:                              ;   in Loop: Header=BB126_119 Depth=1
	s_add_i32 s7, s6, 0x80
	s_add_i32 s9, s6, 0x90
	s_clause 0x1
	scratch_load_b128 v[7:10], off, s7
	scratch_load_b128 v[11:14], off, s9
	s_add_i32 s7, s6, 0xa0
	s_add_i32 s9, s6, 0xb0
	s_addk_i32 s6, 0xc0
	s_clause 0x2
	scratch_load_b128 v[41:44], off, s7
	scratch_load_b128 v[49:52], off, s9
	;; [unrolled: 1-line block ×3, first 2 shown]
	s_addk_i32 s3, 0x80
	s_mov_b32 s7, 0
	s_waitcnt vmcnt(4)
	ds_store_2addr_b64 v6, v[7:8], v[9:10] offset0:6 offset1:7
	s_waitcnt vmcnt(3)
	ds_store_2addr_b64 v6, v[11:12], v[13:14] offset0:8 offset1:9
	;; [unrolled: 2-line block ×5, first 2 shown]
	s_branch .LBB126_118
.LBB126_121:
	v_mov_b32_e32 v41, 4
.LBB126_122:
	s_or_b32 exec_lo, exec_lo, s2
	s_delay_alu instid0(SALU_CYCLE_1)
	s_mov_b32 s2, exec_lo
	s_waitcnt lgkmcnt(0)
	s_waitcnt_vscnt null, 0x0
	s_barrier
	buffer_gl0_inv
	v_cmpx_lt_i32_e32 4, v41
	s_cbranch_execz .LBB126_127
; %bb.123:
	scratch_load_b128 v[4:7], off, off offset:64
	s_mov_b32 s3, 0
	s_waitcnt vmcnt(0)
	v_mul_f64 v[8:9], v[2:3], v[6:7]
	v_mul_f64 v[6:7], v[0:1], v[6:7]
	s_delay_alu instid0(VALU_DEP_2) | instskip(NEXT) | instid1(VALU_DEP_2)
	v_fma_f64 v[0:1], v[0:1], v[4:5], -v[8:9]
	v_fma_f64 v[2:3], v[2:3], v[4:5], v[6:7]
	v_add3_u32 v4, v38, 0, 0x50
	v_mov_b32_e32 v5, 0
	scratch_store_b128 off, v[0:3], off offset:64
	s_branch .LBB126_125
.LBB126_124:                            ;   in Loop: Header=BB126_125 Depth=1
	s_and_not1_b32 vcc_lo, exec_lo, s7
	s_cbranch_vccz .LBB126_127
.LBB126_125:                            ; =>This Inner Loop Header: Depth=1
	v_readfirstlane_b32 s6, v5
	v_add_nc_u32_e32 v6, s3, v4
	s_mov_b32 s7, -1
	s_delay_alu instid0(VALU_DEP_2) | instskip(NEXT) | instid1(SALU_CYCLE_1)
	s_add_i32 s6, s6, s3
	s_add_i32 s9, s6, 0x50
	;; [unrolled: 1-line block ×3, first 2 shown]
	scratch_load_b128 v[7:10], off, s9
	s_add_i32 s14, s6, 0x70
	s_clause 0x1
	scratch_load_b128 v[11:14], off, s12
	scratch_load_b128 v[42:45], off, s14
	ds_load_2addr_b64 v[49:52], v6 offset1:1
	ds_load_2addr_b64 v[53:56], v6 offset0:2 offset1:3
	ds_load_2addr_b64 v[65:68], v6 offset0:4 offset1:5
	s_cmpk_eq_i32 s3, 0x380
	s_waitcnt lgkmcnt(2)
	v_mul_f64 v[15:16], v[51:52], v[2:3]
	v_mul_f64 v[17:18], v[49:50], v[2:3]
	s_waitcnt lgkmcnt(1)
	v_mul_f64 v[46:47], v[55:56], v[2:3]
	v_mul_f64 v[57:58], v[53:54], v[2:3]
	;; [unrolled: 3-line block ×3, first 2 shown]
	v_fma_f64 v[15:16], v[49:50], v[0:1], -v[15:16]
	v_fma_f64 v[17:18], v[51:52], v[0:1], v[17:18]
	v_fma_f64 v[46:47], v[53:54], v[0:1], -v[46:47]
	v_fma_f64 v[49:50], v[55:56], v[0:1], v[57:58]
	;; [unrolled: 2-line block ×3, first 2 shown]
	s_waitcnt vmcnt(2)
	v_add_f64 v[7:8], v[7:8], -v[15:16]
	v_add_f64 v[9:10], v[9:10], -v[17:18]
	s_waitcnt vmcnt(1)
	v_add_f64 v[11:12], v[11:12], -v[46:47]
	v_add_f64 v[13:14], v[13:14], -v[49:50]
	;; [unrolled: 3-line block ×3, first 2 shown]
	s_clause 0x2
	scratch_store_b128 off, v[7:10], s9
	scratch_store_b128 off, v[11:14], s12
	;; [unrolled: 1-line block ×3, first 2 shown]
	s_cbranch_scc1 .LBB126_124
; %bb.126:                              ;   in Loop: Header=BB126_125 Depth=1
	s_addk_i32 s6, 0x80
	ds_load_2addr_b64 v[11:14], v6 offset0:6 offset1:7
	scratch_load_b128 v[7:10], off, s6
	s_add_i32 s3, s3, 64
	s_mov_b32 s7, 0
	s_waitcnt lgkmcnt(0)
	v_mul_f64 v[15:16], v[13:14], v[2:3]
	v_mul_f64 v[17:18], v[11:12], v[2:3]
	s_delay_alu instid0(VALU_DEP_2) | instskip(NEXT) | instid1(VALU_DEP_2)
	v_fma_f64 v[11:12], v[11:12], v[0:1], -v[15:16]
	v_fma_f64 v[13:14], v[13:14], v[0:1], v[17:18]
	s_waitcnt vmcnt(0)
	s_delay_alu instid0(VALU_DEP_2) | instskip(NEXT) | instid1(VALU_DEP_2)
	v_add_f64 v[6:7], v[7:8], -v[11:12]
	v_add_f64 v[8:9], v[9:10], -v[13:14]
	scratch_store_b128 off, v[6:9], s6
	s_branch .LBB126_124
.LBB126_127:
	s_or_b32 exec_lo, exec_lo, s2
	s_waitcnt_vscnt null, 0x0
	s_barrier
	buffer_gl0_inv
	scratch_load_b128 v[0:3], v28, off
	v_lshl_add_u32 v4, v41, 4, v36
	s_cmp_lt_i32 s5, 7
	s_waitcnt vmcnt(0)
	ds_store_2addr_b64 v4, v[0:1], v[2:3] offset1:1
	s_waitcnt lgkmcnt(0)
	s_barrier
	buffer_gl0_inv
	ds_load_2addr_b64 v[0:3], v36 offset0:10 offset1:11
	v_mov_b32_e32 v4, 5
	s_cbranch_scc1 .LBB126_130
; %bb.128:
	v_add3_u32 v5, v38, 0, 0x60
	v_mov_b32_e32 v4, 5
	s_mov_b32 s6, 6
	s_set_inst_prefetch_distance 0x1
	.p2align	6
.LBB126_129:                            ; =>This Inner Loop Header: Depth=1
	ds_load_2addr_b64 v[6:9], v5 offset1:1
	s_waitcnt lgkmcnt(1)
	v_cmp_gt_f64_e32 vcc_lo, 0, v[0:1]
	v_xor_b32_e32 v10, 0x80000000, v1
	v_cmp_gt_f64_e64 s2, 0, v[2:3]
	v_xor_b32_e32 v12, 0x80000000, v3
	v_add_nc_u32_e32 v5, 16, v5
	s_waitcnt lgkmcnt(0)
	v_cmp_gt_f64_e64 s3, 0, v[6:7]
	v_mov_b32_e32 v14, v6
	v_dual_mov_b32 v16, v8 :: v_dual_cndmask_b32 v11, v1, v10
	v_xor_b32_e32 v10, 0x80000000, v7
	v_cndmask_b32_e64 v13, v3, v12, s2
	v_xor_b32_e32 v12, 0x80000000, v9
	s_delay_alu instid0(VALU_DEP_3) | instskip(SKIP_2) | instid1(VALU_DEP_2)
	v_cndmask_b32_e64 v15, v7, v10, s3
	v_cmp_gt_f64_e64 s3, 0, v[8:9]
	v_cndmask_b32_e32 v10, v0, v0, vcc_lo
	v_cndmask_b32_e64 v17, v9, v12, s3
	v_cndmask_b32_e64 v12, v2, v2, s2
	s_delay_alu instid0(VALU_DEP_2) | instskip(NEXT) | instid1(VALU_DEP_2)
	v_add_f64 v[14:15], v[14:15], v[16:17]
	v_add_f64 v[10:11], v[10:11], v[12:13]
	s_delay_alu instid0(VALU_DEP_1)
	v_cmp_lt_f64_e32 vcc_lo, v[10:11], v[14:15]
	v_cndmask_b32_e32 v3, v3, v9, vcc_lo
	v_dual_cndmask_b32 v1, v1, v7 :: v_dual_cndmask_b32 v0, v0, v6
	v_cndmask_b32_e32 v2, v2, v8, vcc_lo
	v_cndmask_b32_e64 v4, v4, s6, vcc_lo
	s_add_i32 s6, s6, 1
	s_delay_alu instid0(SALU_CYCLE_1)
	s_cmp_lg_u32 s5, s6
	s_cbranch_scc1 .LBB126_129
.LBB126_130:
	s_set_inst_prefetch_distance 0x2
	s_waitcnt lgkmcnt(0)
	v_cmp_eq_f64_e32 vcc_lo, 0, v[0:1]
	v_cmp_eq_f64_e64 s2, 0, v[2:3]
	s_delay_alu instid0(VALU_DEP_1) | instskip(NEXT) | instid1(SALU_CYCLE_1)
	s_and_b32 s2, vcc_lo, s2
	s_and_saveexec_b32 s3, s2
	s_delay_alu instid0(SALU_CYCLE_1)
	s_xor_b32 s2, exec_lo, s3
; %bb.131:
	v_cmp_ne_u32_e32 vcc_lo, 0, v37
	v_cndmask_b32_e32 v37, 6, v37, vcc_lo
; %bb.132:
	s_and_not1_saveexec_b32 s3, s2
	s_cbranch_execz .LBB126_138
; %bb.133:
	v_cmp_gt_f64_e32 vcc_lo, 0, v[0:1]
	v_cmp_gt_f64_e64 s2, 0, v[2:3]
	v_xor_b32_e32 v5, 0x80000000, v1
	v_xor_b32_e32 v7, 0x80000000, v3
	s_delay_alu instid0(VALU_DEP_2) | instskip(NEXT) | instid1(VALU_DEP_2)
	v_dual_cndmask_b32 v6, v1, v5 :: v_dual_cndmask_b32 v5, v0, v0
	v_cndmask_b32_e64 v8, v3, v7, s2
	v_cndmask_b32_e64 v7, v2, v2, s2
	s_mov_b32 s2, exec_lo
	s_delay_alu instid0(VALU_DEP_1)
	v_cmpx_ngt_f64_e32 v[5:6], v[7:8]
	s_xor_b32 s2, exec_lo, s2
	s_cbranch_execz .LBB126_135
; %bb.134:
	v_div_scale_f64 v[5:6], null, v[2:3], v[2:3], v[0:1]
	v_div_scale_f64 v[11:12], vcc_lo, v[0:1], v[2:3], v[0:1]
	s_delay_alu instid0(VALU_DEP_2) | instskip(SKIP_2) | instid1(VALU_DEP_1)
	v_rcp_f64_e32 v[7:8], v[5:6]
	s_waitcnt_depctr 0xfff
	v_fma_f64 v[9:10], -v[5:6], v[7:8], 1.0
	v_fma_f64 v[7:8], v[7:8], v[9:10], v[7:8]
	s_delay_alu instid0(VALU_DEP_1) | instskip(NEXT) | instid1(VALU_DEP_1)
	v_fma_f64 v[9:10], -v[5:6], v[7:8], 1.0
	v_fma_f64 v[7:8], v[7:8], v[9:10], v[7:8]
	s_delay_alu instid0(VALU_DEP_1) | instskip(NEXT) | instid1(VALU_DEP_1)
	v_mul_f64 v[9:10], v[11:12], v[7:8]
	v_fma_f64 v[5:6], -v[5:6], v[9:10], v[11:12]
	s_delay_alu instid0(VALU_DEP_1) | instskip(NEXT) | instid1(VALU_DEP_1)
	v_div_fmas_f64 v[5:6], v[5:6], v[7:8], v[9:10]
	v_div_fixup_f64 v[5:6], v[5:6], v[2:3], v[0:1]
	s_delay_alu instid0(VALU_DEP_1) | instskip(NEXT) | instid1(VALU_DEP_1)
	v_fma_f64 v[0:1], v[0:1], v[5:6], v[2:3]
	v_div_scale_f64 v[2:3], null, v[0:1], v[0:1], 1.0
	s_delay_alu instid0(VALU_DEP_1) | instskip(SKIP_2) | instid1(VALU_DEP_1)
	v_rcp_f64_e32 v[7:8], v[2:3]
	s_waitcnt_depctr 0xfff
	v_fma_f64 v[9:10], -v[2:3], v[7:8], 1.0
	v_fma_f64 v[7:8], v[7:8], v[9:10], v[7:8]
	s_delay_alu instid0(VALU_DEP_1) | instskip(NEXT) | instid1(VALU_DEP_1)
	v_fma_f64 v[9:10], -v[2:3], v[7:8], 1.0
	v_fma_f64 v[7:8], v[7:8], v[9:10], v[7:8]
	v_div_scale_f64 v[9:10], vcc_lo, 1.0, v[0:1], 1.0
	s_delay_alu instid0(VALU_DEP_1) | instskip(NEXT) | instid1(VALU_DEP_1)
	v_mul_f64 v[11:12], v[9:10], v[7:8]
	v_fma_f64 v[2:3], -v[2:3], v[11:12], v[9:10]
	s_delay_alu instid0(VALU_DEP_1) | instskip(NEXT) | instid1(VALU_DEP_1)
	v_div_fmas_f64 v[2:3], v[2:3], v[7:8], v[11:12]
	v_div_fixup_f64 v[2:3], v[2:3], v[0:1], 1.0
	s_delay_alu instid0(VALU_DEP_1)
	v_mul_f64 v[0:1], v[5:6], v[2:3]
	v_xor_b32_e32 v3, 0x80000000, v3
.LBB126_135:
	s_and_not1_saveexec_b32 s2, s2
	s_cbranch_execz .LBB126_137
; %bb.136:
	s_delay_alu instid0(VALU_DEP_1) | instskip(SKIP_1) | instid1(VALU_DEP_2)
	v_div_scale_f64 v[5:6], null, v[0:1], v[0:1], v[2:3]
	v_div_scale_f64 v[11:12], vcc_lo, v[2:3], v[0:1], v[2:3]
	v_rcp_f64_e32 v[7:8], v[5:6]
	s_waitcnt_depctr 0xfff
	v_fma_f64 v[9:10], -v[5:6], v[7:8], 1.0
	s_delay_alu instid0(VALU_DEP_1) | instskip(NEXT) | instid1(VALU_DEP_1)
	v_fma_f64 v[7:8], v[7:8], v[9:10], v[7:8]
	v_fma_f64 v[9:10], -v[5:6], v[7:8], 1.0
	s_delay_alu instid0(VALU_DEP_1) | instskip(NEXT) | instid1(VALU_DEP_1)
	v_fma_f64 v[7:8], v[7:8], v[9:10], v[7:8]
	v_mul_f64 v[9:10], v[11:12], v[7:8]
	s_delay_alu instid0(VALU_DEP_1) | instskip(NEXT) | instid1(VALU_DEP_1)
	v_fma_f64 v[5:6], -v[5:6], v[9:10], v[11:12]
	v_div_fmas_f64 v[5:6], v[5:6], v[7:8], v[9:10]
	s_delay_alu instid0(VALU_DEP_1) | instskip(NEXT) | instid1(VALU_DEP_1)
	v_div_fixup_f64 v[5:6], v[5:6], v[0:1], v[2:3]
	v_fma_f64 v[0:1], v[2:3], v[5:6], v[0:1]
	s_delay_alu instid0(VALU_DEP_1) | instskip(NEXT) | instid1(VALU_DEP_1)
	v_div_scale_f64 v[2:3], null, v[0:1], v[0:1], 1.0
	v_rcp_f64_e32 v[7:8], v[2:3]
	s_waitcnt_depctr 0xfff
	v_fma_f64 v[9:10], -v[2:3], v[7:8], 1.0
	s_delay_alu instid0(VALU_DEP_1) | instskip(NEXT) | instid1(VALU_DEP_1)
	v_fma_f64 v[7:8], v[7:8], v[9:10], v[7:8]
	v_fma_f64 v[9:10], -v[2:3], v[7:8], 1.0
	s_delay_alu instid0(VALU_DEP_1) | instskip(SKIP_1) | instid1(VALU_DEP_1)
	v_fma_f64 v[7:8], v[7:8], v[9:10], v[7:8]
	v_div_scale_f64 v[9:10], vcc_lo, 1.0, v[0:1], 1.0
	v_mul_f64 v[11:12], v[9:10], v[7:8]
	s_delay_alu instid0(VALU_DEP_1) | instskip(NEXT) | instid1(VALU_DEP_1)
	v_fma_f64 v[2:3], -v[2:3], v[11:12], v[9:10]
	v_div_fmas_f64 v[2:3], v[2:3], v[7:8], v[11:12]
	s_delay_alu instid0(VALU_DEP_1) | instskip(NEXT) | instid1(VALU_DEP_1)
	v_div_fixup_f64 v[0:1], v[2:3], v[0:1], 1.0
	v_mul_f64 v[2:3], v[5:6], -v[0:1]
.LBB126_137:
	s_or_b32 exec_lo, exec_lo, s2
.LBB126_138:
	s_delay_alu instid0(SALU_CYCLE_1) | instskip(NEXT) | instid1(SALU_CYCLE_1)
	s_or_b32 exec_lo, exec_lo, s3
	s_mov_b32 s2, exec_lo
	v_cmpx_ne_u32_e64 v41, v4
	s_xor_b32 s2, exec_lo, s2
	s_cbranch_execz .LBB126_144
; %bb.139:
	s_mov_b32 s3, exec_lo
	v_cmpx_eq_u32_e32 5, v41
	s_cbranch_execz .LBB126_143
; %bb.140:
	v_cmp_ne_u32_e32 vcc_lo, 5, v4
	s_xor_b32 s6, s4, -1
	s_delay_alu instid0(SALU_CYCLE_1) | instskip(NEXT) | instid1(SALU_CYCLE_1)
	s_and_b32 s7, s6, vcc_lo
	s_and_saveexec_b32 s6, s7
	s_cbranch_execz .LBB126_142
; %bb.141:
	v_ashrrev_i32_e32 v5, 31, v4
	s_delay_alu instid0(VALU_DEP_1) | instskip(NEXT) | instid1(VALU_DEP_1)
	v_lshlrev_b64 v[5:6], 2, v[4:5]
	v_add_co_u32 v5, vcc_lo, v250, v5
	s_delay_alu instid0(VALU_DEP_2)
	v_add_co_ci_u32_e32 v6, vcc_lo, v251, v6, vcc_lo
	s_clause 0x1
	flat_load_b32 v7, v[5:6]
	flat_load_b32 v8, v[250:251] offset:20
	s_waitcnt vmcnt(1) lgkmcnt(1)
	flat_store_b32 v[250:251], v7 offset:20
	s_waitcnt vmcnt(0) lgkmcnt(1)
	flat_store_b32 v[5:6], v8
.LBB126_142:
	s_or_b32 exec_lo, exec_lo, s6
	v_mov_b32_e32 v41, v4
	v_mov_b32_e32 v39, v4
.LBB126_143:
	s_or_b32 exec_lo, exec_lo, s3
.LBB126_144:
	s_and_not1_saveexec_b32 s2, s2
	s_cbranch_execz .LBB126_148
; %bb.145:
	v_add3_u32 v4, v38, 0, 0x60
	s_mov_b32 s3, 0
	.p2align	6
.LBB126_146:                            ; =>This Inner Loop Header: Depth=1
	s_delay_alu instid0(SALU_CYCLE_1) | instskip(NEXT) | instid1(VALU_DEP_2)
	v_add_nc_u32_e64 v5, s3, 0
	v_add_nc_u32_e32 v13, s3, v4
	s_add_i32 s3, s3, 32
	s_delay_alu instid0(SALU_CYCLE_1) | instskip(NEXT) | instid1(VALU_DEP_2)
	s_cmpk_eq_i32 s3, 0x3a0
	v_add_nc_u32_e32 v6, 0x60, v5
	v_add_nc_u32_e32 v9, 0x70, v5
	s_clause 0x1
	scratch_load_b128 v[5:8], v6, off
	scratch_load_b128 v[9:12], v9, off
	s_waitcnt vmcnt(1)
	ds_store_2addr_b64 v13, v[5:6], v[7:8] offset1:1
	s_waitcnt vmcnt(0)
	ds_store_2addr_b64 v13, v[9:10], v[11:12] offset0:2 offset1:3
	s_cbranch_scc0 .LBB126_146
; %bb.147:
	v_mov_b32_e32 v41, 5
.LBB126_148:
	s_or_b32 exec_lo, exec_lo, s2
	s_delay_alu instid0(SALU_CYCLE_1)
	s_mov_b32 s2, exec_lo
	s_waitcnt lgkmcnt(0)
	s_waitcnt_vscnt null, 0x0
	s_barrier
	buffer_gl0_inv
	v_cmpx_lt_i32_e32 5, v41
	s_cbranch_execz .LBB126_151
; %bb.149:
	scratch_load_b128 v[4:7], off, off offset:80
	s_mov_b32 s3, 0
	s_waitcnt vmcnt(0)
	v_mul_f64 v[8:9], v[2:3], v[6:7]
	v_mul_f64 v[6:7], v[0:1], v[6:7]
	s_delay_alu instid0(VALU_DEP_2) | instskip(NEXT) | instid1(VALU_DEP_2)
	v_fma_f64 v[0:1], v[0:1], v[4:5], -v[8:9]
	v_fma_f64 v[2:3], v[2:3], v[4:5], v[6:7]
	v_add3_u32 v4, v38, 0, 0x60
	scratch_store_b128 off, v[0:3], off offset:80
	s_set_inst_prefetch_distance 0x1
	.p2align	6
.LBB126_150:                            ; =>This Inner Loop Header: Depth=1
	v_add_nc_u32_e64 v5, s3, 0
	v_add_nc_u32_e32 v17, s3, v4
	s_add_i32 s3, s3, 32
	s_delay_alu instid0(SALU_CYCLE_1) | instskip(NEXT) | instid1(VALU_DEP_2)
	s_cmpk_lg_i32 s3, 0x3a0
	v_add_nc_u32_e32 v19, 0x60, v5
	v_add_nc_u32_e32 v53, 0x70, v5
	s_clause 0x1
	scratch_load_b128 v[5:8], v19, off
	scratch_load_b128 v[9:12], v53, off
	ds_load_2addr_b64 v[13:16], v17 offset1:1
	ds_load_2addr_b64 v[42:45], v17 offset0:2 offset1:3
	s_waitcnt lgkmcnt(1)
	v_mul_f64 v[17:18], v[15:16], v[2:3]
	v_mul_f64 v[46:47], v[13:14], v[2:3]
	s_waitcnt lgkmcnt(0)
	v_mul_f64 v[49:50], v[44:45], v[2:3]
	v_mul_f64 v[51:52], v[42:43], v[2:3]
	s_delay_alu instid0(VALU_DEP_4) | instskip(NEXT) | instid1(VALU_DEP_4)
	v_fma_f64 v[13:14], v[13:14], v[0:1], -v[17:18]
	v_fma_f64 v[15:16], v[15:16], v[0:1], v[46:47]
	s_delay_alu instid0(VALU_DEP_4) | instskip(NEXT) | instid1(VALU_DEP_4)
	v_fma_f64 v[17:18], v[42:43], v[0:1], -v[49:50]
	v_fma_f64 v[42:43], v[44:45], v[0:1], v[51:52]
	s_waitcnt vmcnt(1)
	s_delay_alu instid0(VALU_DEP_4) | instskip(NEXT) | instid1(VALU_DEP_4)
	v_add_f64 v[5:6], v[5:6], -v[13:14]
	v_add_f64 v[7:8], v[7:8], -v[15:16]
	s_waitcnt vmcnt(0)
	s_delay_alu instid0(VALU_DEP_4) | instskip(NEXT) | instid1(VALU_DEP_4)
	v_add_f64 v[9:10], v[9:10], -v[17:18]
	v_add_f64 v[11:12], v[11:12], -v[42:43]
	s_clause 0x1
	scratch_store_b128 v19, v[5:8], off
	scratch_store_b128 v53, v[9:12], off
	s_cbranch_scc1 .LBB126_150
.LBB126_151:
	s_set_inst_prefetch_distance 0x2
	s_or_b32 exec_lo, exec_lo, s2
	s_waitcnt_vscnt null, 0x0
	s_barrier
	buffer_gl0_inv
	scratch_load_b128 v[0:3], v27, off
	v_lshl_add_u32 v4, v41, 4, v36
	s_cmp_lt_i32 s5, 8
	s_waitcnt vmcnt(0)
	ds_store_2addr_b64 v4, v[0:1], v[2:3] offset1:1
	s_waitcnt lgkmcnt(0)
	s_barrier
	buffer_gl0_inv
	ds_load_2addr_b64 v[0:3], v36 offset0:12 offset1:13
	v_mov_b32_e32 v4, 6
	s_cbranch_scc1 .LBB126_154
; %bb.152:
	v_add3_u32 v5, v38, 0, 0x70
	v_mov_b32_e32 v4, 6
	s_mov_b32 s6, 7
	s_set_inst_prefetch_distance 0x1
	.p2align	6
.LBB126_153:                            ; =>This Inner Loop Header: Depth=1
	ds_load_2addr_b64 v[6:9], v5 offset1:1
	s_waitcnt lgkmcnt(1)
	v_cmp_gt_f64_e32 vcc_lo, 0, v[0:1]
	v_xor_b32_e32 v10, 0x80000000, v1
	v_cmp_gt_f64_e64 s2, 0, v[2:3]
	v_xor_b32_e32 v12, 0x80000000, v3
	v_add_nc_u32_e32 v5, 16, v5
	s_waitcnt lgkmcnt(0)
	v_cmp_gt_f64_e64 s3, 0, v[6:7]
	v_mov_b32_e32 v14, v6
	v_dual_mov_b32 v16, v8 :: v_dual_cndmask_b32 v11, v1, v10
	v_xor_b32_e32 v10, 0x80000000, v7
	v_cndmask_b32_e64 v13, v3, v12, s2
	v_xor_b32_e32 v12, 0x80000000, v9
	s_delay_alu instid0(VALU_DEP_3) | instskip(SKIP_2) | instid1(VALU_DEP_2)
	v_cndmask_b32_e64 v15, v7, v10, s3
	v_cmp_gt_f64_e64 s3, 0, v[8:9]
	v_cndmask_b32_e32 v10, v0, v0, vcc_lo
	v_cndmask_b32_e64 v17, v9, v12, s3
	v_cndmask_b32_e64 v12, v2, v2, s2
	s_delay_alu instid0(VALU_DEP_2) | instskip(NEXT) | instid1(VALU_DEP_2)
	v_add_f64 v[14:15], v[14:15], v[16:17]
	v_add_f64 v[10:11], v[10:11], v[12:13]
	s_delay_alu instid0(VALU_DEP_1)
	v_cmp_lt_f64_e32 vcc_lo, v[10:11], v[14:15]
	v_cndmask_b32_e32 v3, v3, v9, vcc_lo
	v_dual_cndmask_b32 v1, v1, v7 :: v_dual_cndmask_b32 v0, v0, v6
	v_cndmask_b32_e32 v2, v2, v8, vcc_lo
	v_cndmask_b32_e64 v4, v4, s6, vcc_lo
	s_add_i32 s6, s6, 1
	s_delay_alu instid0(SALU_CYCLE_1)
	s_cmp_lg_u32 s5, s6
	s_cbranch_scc1 .LBB126_153
.LBB126_154:
	s_set_inst_prefetch_distance 0x2
	s_waitcnt lgkmcnt(0)
	v_cmp_eq_f64_e32 vcc_lo, 0, v[0:1]
	v_cmp_eq_f64_e64 s2, 0, v[2:3]
	s_delay_alu instid0(VALU_DEP_1) | instskip(NEXT) | instid1(SALU_CYCLE_1)
	s_and_b32 s2, vcc_lo, s2
	s_and_saveexec_b32 s3, s2
	s_delay_alu instid0(SALU_CYCLE_1)
	s_xor_b32 s2, exec_lo, s3
; %bb.155:
	v_cmp_ne_u32_e32 vcc_lo, 0, v37
	v_cndmask_b32_e32 v37, 7, v37, vcc_lo
; %bb.156:
	s_and_not1_saveexec_b32 s3, s2
	s_cbranch_execz .LBB126_162
; %bb.157:
	v_cmp_gt_f64_e32 vcc_lo, 0, v[0:1]
	v_cmp_gt_f64_e64 s2, 0, v[2:3]
	v_xor_b32_e32 v5, 0x80000000, v1
	v_xor_b32_e32 v7, 0x80000000, v3
	s_delay_alu instid0(VALU_DEP_2) | instskip(NEXT) | instid1(VALU_DEP_2)
	v_dual_cndmask_b32 v6, v1, v5 :: v_dual_cndmask_b32 v5, v0, v0
	v_cndmask_b32_e64 v8, v3, v7, s2
	v_cndmask_b32_e64 v7, v2, v2, s2
	s_mov_b32 s2, exec_lo
	s_delay_alu instid0(VALU_DEP_1)
	v_cmpx_ngt_f64_e32 v[5:6], v[7:8]
	s_xor_b32 s2, exec_lo, s2
	s_cbranch_execz .LBB126_159
; %bb.158:
	v_div_scale_f64 v[5:6], null, v[2:3], v[2:3], v[0:1]
	v_div_scale_f64 v[11:12], vcc_lo, v[0:1], v[2:3], v[0:1]
	s_delay_alu instid0(VALU_DEP_2) | instskip(SKIP_2) | instid1(VALU_DEP_1)
	v_rcp_f64_e32 v[7:8], v[5:6]
	s_waitcnt_depctr 0xfff
	v_fma_f64 v[9:10], -v[5:6], v[7:8], 1.0
	v_fma_f64 v[7:8], v[7:8], v[9:10], v[7:8]
	s_delay_alu instid0(VALU_DEP_1) | instskip(NEXT) | instid1(VALU_DEP_1)
	v_fma_f64 v[9:10], -v[5:6], v[7:8], 1.0
	v_fma_f64 v[7:8], v[7:8], v[9:10], v[7:8]
	s_delay_alu instid0(VALU_DEP_1) | instskip(NEXT) | instid1(VALU_DEP_1)
	v_mul_f64 v[9:10], v[11:12], v[7:8]
	v_fma_f64 v[5:6], -v[5:6], v[9:10], v[11:12]
	s_delay_alu instid0(VALU_DEP_1) | instskip(NEXT) | instid1(VALU_DEP_1)
	v_div_fmas_f64 v[5:6], v[5:6], v[7:8], v[9:10]
	v_div_fixup_f64 v[5:6], v[5:6], v[2:3], v[0:1]
	s_delay_alu instid0(VALU_DEP_1) | instskip(NEXT) | instid1(VALU_DEP_1)
	v_fma_f64 v[0:1], v[0:1], v[5:6], v[2:3]
	v_div_scale_f64 v[2:3], null, v[0:1], v[0:1], 1.0
	s_delay_alu instid0(VALU_DEP_1) | instskip(SKIP_2) | instid1(VALU_DEP_1)
	v_rcp_f64_e32 v[7:8], v[2:3]
	s_waitcnt_depctr 0xfff
	v_fma_f64 v[9:10], -v[2:3], v[7:8], 1.0
	v_fma_f64 v[7:8], v[7:8], v[9:10], v[7:8]
	s_delay_alu instid0(VALU_DEP_1) | instskip(NEXT) | instid1(VALU_DEP_1)
	v_fma_f64 v[9:10], -v[2:3], v[7:8], 1.0
	v_fma_f64 v[7:8], v[7:8], v[9:10], v[7:8]
	v_div_scale_f64 v[9:10], vcc_lo, 1.0, v[0:1], 1.0
	s_delay_alu instid0(VALU_DEP_1) | instskip(NEXT) | instid1(VALU_DEP_1)
	v_mul_f64 v[11:12], v[9:10], v[7:8]
	v_fma_f64 v[2:3], -v[2:3], v[11:12], v[9:10]
	s_delay_alu instid0(VALU_DEP_1) | instskip(NEXT) | instid1(VALU_DEP_1)
	v_div_fmas_f64 v[2:3], v[2:3], v[7:8], v[11:12]
	v_div_fixup_f64 v[2:3], v[2:3], v[0:1], 1.0
	s_delay_alu instid0(VALU_DEP_1)
	v_mul_f64 v[0:1], v[5:6], v[2:3]
	v_xor_b32_e32 v3, 0x80000000, v3
.LBB126_159:
	s_and_not1_saveexec_b32 s2, s2
	s_cbranch_execz .LBB126_161
; %bb.160:
	s_delay_alu instid0(VALU_DEP_1) | instskip(SKIP_1) | instid1(VALU_DEP_2)
	v_div_scale_f64 v[5:6], null, v[0:1], v[0:1], v[2:3]
	v_div_scale_f64 v[11:12], vcc_lo, v[2:3], v[0:1], v[2:3]
	v_rcp_f64_e32 v[7:8], v[5:6]
	s_waitcnt_depctr 0xfff
	v_fma_f64 v[9:10], -v[5:6], v[7:8], 1.0
	s_delay_alu instid0(VALU_DEP_1) | instskip(NEXT) | instid1(VALU_DEP_1)
	v_fma_f64 v[7:8], v[7:8], v[9:10], v[7:8]
	v_fma_f64 v[9:10], -v[5:6], v[7:8], 1.0
	s_delay_alu instid0(VALU_DEP_1) | instskip(NEXT) | instid1(VALU_DEP_1)
	v_fma_f64 v[7:8], v[7:8], v[9:10], v[7:8]
	v_mul_f64 v[9:10], v[11:12], v[7:8]
	s_delay_alu instid0(VALU_DEP_1) | instskip(NEXT) | instid1(VALU_DEP_1)
	v_fma_f64 v[5:6], -v[5:6], v[9:10], v[11:12]
	v_div_fmas_f64 v[5:6], v[5:6], v[7:8], v[9:10]
	s_delay_alu instid0(VALU_DEP_1) | instskip(NEXT) | instid1(VALU_DEP_1)
	v_div_fixup_f64 v[5:6], v[5:6], v[0:1], v[2:3]
	v_fma_f64 v[0:1], v[2:3], v[5:6], v[0:1]
	s_delay_alu instid0(VALU_DEP_1) | instskip(NEXT) | instid1(VALU_DEP_1)
	v_div_scale_f64 v[2:3], null, v[0:1], v[0:1], 1.0
	v_rcp_f64_e32 v[7:8], v[2:3]
	s_waitcnt_depctr 0xfff
	v_fma_f64 v[9:10], -v[2:3], v[7:8], 1.0
	s_delay_alu instid0(VALU_DEP_1) | instskip(NEXT) | instid1(VALU_DEP_1)
	v_fma_f64 v[7:8], v[7:8], v[9:10], v[7:8]
	v_fma_f64 v[9:10], -v[2:3], v[7:8], 1.0
	s_delay_alu instid0(VALU_DEP_1) | instskip(SKIP_1) | instid1(VALU_DEP_1)
	v_fma_f64 v[7:8], v[7:8], v[9:10], v[7:8]
	v_div_scale_f64 v[9:10], vcc_lo, 1.0, v[0:1], 1.0
	v_mul_f64 v[11:12], v[9:10], v[7:8]
	s_delay_alu instid0(VALU_DEP_1) | instskip(NEXT) | instid1(VALU_DEP_1)
	v_fma_f64 v[2:3], -v[2:3], v[11:12], v[9:10]
	v_div_fmas_f64 v[2:3], v[2:3], v[7:8], v[11:12]
	s_delay_alu instid0(VALU_DEP_1) | instskip(NEXT) | instid1(VALU_DEP_1)
	v_div_fixup_f64 v[0:1], v[2:3], v[0:1], 1.0
	v_mul_f64 v[2:3], v[5:6], -v[0:1]
.LBB126_161:
	s_or_b32 exec_lo, exec_lo, s2
.LBB126_162:
	s_delay_alu instid0(SALU_CYCLE_1) | instskip(NEXT) | instid1(SALU_CYCLE_1)
	s_or_b32 exec_lo, exec_lo, s3
	s_mov_b32 s2, exec_lo
	v_cmpx_ne_u32_e64 v41, v4
	s_xor_b32 s2, exec_lo, s2
	s_cbranch_execz .LBB126_168
; %bb.163:
	s_mov_b32 s3, exec_lo
	v_cmpx_eq_u32_e32 6, v41
	s_cbranch_execz .LBB126_167
; %bb.164:
	v_cmp_ne_u32_e32 vcc_lo, 6, v4
	s_xor_b32 s6, s4, -1
	s_delay_alu instid0(SALU_CYCLE_1) | instskip(NEXT) | instid1(SALU_CYCLE_1)
	s_and_b32 s7, s6, vcc_lo
	s_and_saveexec_b32 s6, s7
	s_cbranch_execz .LBB126_166
; %bb.165:
	v_ashrrev_i32_e32 v5, 31, v4
	s_delay_alu instid0(VALU_DEP_1) | instskip(NEXT) | instid1(VALU_DEP_1)
	v_lshlrev_b64 v[5:6], 2, v[4:5]
	v_add_co_u32 v5, vcc_lo, v250, v5
	s_delay_alu instid0(VALU_DEP_2)
	v_add_co_ci_u32_e32 v6, vcc_lo, v251, v6, vcc_lo
	s_clause 0x1
	flat_load_b32 v7, v[5:6]
	flat_load_b32 v8, v[250:251] offset:24
	s_waitcnt vmcnt(1) lgkmcnt(1)
	flat_store_b32 v[250:251], v7 offset:24
	s_waitcnt vmcnt(0) lgkmcnt(1)
	flat_store_b32 v[5:6], v8
.LBB126_166:
	s_or_b32 exec_lo, exec_lo, s6
	v_mov_b32_e32 v41, v4
	v_mov_b32_e32 v39, v4
.LBB126_167:
	s_or_b32 exec_lo, exec_lo, s3
.LBB126_168:
	s_and_not1_saveexec_b32 s2, s2
	s_cbranch_execz .LBB126_172
; %bb.169:
	v_add3_u32 v4, v38, 0, 0x70
	v_mov_b32_e32 v5, 0
	s_mov_b32 s3, 0
	.p2align	6
.LBB126_170:                            ; =>This Inner Loop Header: Depth=1
	s_delay_alu instid0(VALU_DEP_1) | instskip(NEXT) | instid1(VALU_DEP_3)
	v_readfirstlane_b32 s6, v5
	v_add_nc_u32_e32 v18, s3, v4
	s_delay_alu instid0(VALU_DEP_2)
	s_add_i32 s6, s6, s3
	s_add_i32 s3, s3, 48
	;; [unrolled: 1-line block ×4, first 2 shown]
	s_addk_i32 s6, 0x90
	s_clause 0x2
	scratch_load_b128 v[6:9], off, s7
	scratch_load_b128 v[10:13], off, s9
	;; [unrolled: 1-line block ×3, first 2 shown]
	s_cmpk_eq_i32 s3, 0x390
	s_waitcnt vmcnt(2)
	ds_store_2addr_b64 v18, v[6:7], v[8:9] offset1:1
	s_waitcnt vmcnt(1)
	ds_store_2addr_b64 v18, v[10:11], v[12:13] offset0:2 offset1:3
	s_waitcnt vmcnt(0)
	ds_store_2addr_b64 v18, v[14:15], v[16:17] offset0:4 offset1:5
	s_cbranch_scc0 .LBB126_170
; %bb.171:
	v_mov_b32_e32 v41, 6
.LBB126_172:
	s_or_b32 exec_lo, exec_lo, s2
	s_delay_alu instid0(SALU_CYCLE_1)
	s_mov_b32 s2, exec_lo
	s_waitcnt lgkmcnt(0)
	s_waitcnt_vscnt null, 0x0
	s_barrier
	buffer_gl0_inv
	v_cmpx_lt_i32_e32 6, v41
	s_cbranch_execz .LBB126_175
; %bb.173:
	scratch_load_b128 v[4:7], off, off offset:96
	s_mov_b32 s3, 0
	s_waitcnt vmcnt(0)
	v_mul_f64 v[8:9], v[2:3], v[6:7]
	v_mul_f64 v[6:7], v[0:1], v[6:7]
	s_delay_alu instid0(VALU_DEP_2) | instskip(NEXT) | instid1(VALU_DEP_2)
	v_fma_f64 v[0:1], v[0:1], v[4:5], -v[8:9]
	v_fma_f64 v[2:3], v[2:3], v[4:5], v[6:7]
	v_add3_u32 v4, v38, 0, 0x70
	v_mov_b32_e32 v5, 0
	scratch_store_b128 off, v[0:3], off offset:96
.LBB126_174:                            ; =>This Inner Loop Header: Depth=1
	v_readfirstlane_b32 s6, v5
	v_add_nc_u32_e32 v18, s3, v4
	s_delay_alu instid0(VALU_DEP_2)
	s_add_i32 s6, s6, s3
	s_add_i32 s3, s3, 48
	;; [unrolled: 1-line block ×4, first 2 shown]
	s_addk_i32 s6, 0x90
	s_clause 0x2
	scratch_load_b128 v[6:9], off, s7
	scratch_load_b128 v[10:13], off, s9
	;; [unrolled: 1-line block ×3, first 2 shown]
	ds_load_2addr_b64 v[42:45], v18 offset1:1
	ds_load_2addr_b64 v[49:52], v18 offset0:2 offset1:3
	ds_load_2addr_b64 v[53:56], v18 offset0:4 offset1:5
	s_cmpk_lg_i32 s3, 0x390
	s_waitcnt lgkmcnt(2)
	v_mul_f64 v[18:19], v[44:45], v[2:3]
	v_mul_f64 v[46:47], v[42:43], v[2:3]
	s_waitcnt lgkmcnt(1)
	v_mul_f64 v[57:58], v[51:52], v[2:3]
	v_mul_f64 v[61:62], v[49:50], v[2:3]
	s_waitcnt lgkmcnt(0)
	v_mul_f64 v[65:66], v[55:56], v[2:3]
	v_mul_f64 v[67:68], v[53:54], v[2:3]
	v_fma_f64 v[18:19], v[42:43], v[0:1], -v[18:19]
	v_fma_f64 v[42:43], v[44:45], v[0:1], v[46:47]
	v_fma_f64 v[44:45], v[49:50], v[0:1], -v[57:58]
	v_fma_f64 v[46:47], v[51:52], v[0:1], v[61:62]
	;; [unrolled: 2-line block ×3, first 2 shown]
	s_waitcnt vmcnt(2)
	v_add_f64 v[6:7], v[6:7], -v[18:19]
	v_add_f64 v[8:9], v[8:9], -v[42:43]
	s_waitcnt vmcnt(1)
	v_add_f64 v[10:11], v[10:11], -v[44:45]
	v_add_f64 v[12:13], v[12:13], -v[46:47]
	;; [unrolled: 3-line block ×3, first 2 shown]
	s_clause 0x2
	scratch_store_b128 off, v[6:9], s7
	scratch_store_b128 off, v[10:13], s9
	;; [unrolled: 1-line block ×3, first 2 shown]
	s_cbranch_scc1 .LBB126_174
.LBB126_175:
	s_or_b32 exec_lo, exec_lo, s2
	s_waitcnt_vscnt null, 0x0
	s_barrier
	buffer_gl0_inv
	scratch_load_b128 v[0:3], v26, off
	v_lshl_add_u32 v4, v41, 4, v36
	s_cmp_lt_i32 s5, 9
	s_waitcnt vmcnt(0)
	ds_store_2addr_b64 v4, v[0:1], v[2:3] offset1:1
	s_waitcnt lgkmcnt(0)
	s_barrier
	buffer_gl0_inv
	ds_load_2addr_b64 v[0:3], v36 offset0:14 offset1:15
	v_mov_b32_e32 v4, 7
	s_cbranch_scc1 .LBB126_178
; %bb.176:
	v_add3_u32 v5, v38, 0, 0x80
	v_mov_b32_e32 v4, 7
	s_mov_b32 s6, 8
	s_set_inst_prefetch_distance 0x1
	.p2align	6
.LBB126_177:                            ; =>This Inner Loop Header: Depth=1
	ds_load_2addr_b64 v[6:9], v5 offset1:1
	s_waitcnt lgkmcnt(1)
	v_cmp_gt_f64_e32 vcc_lo, 0, v[0:1]
	v_xor_b32_e32 v10, 0x80000000, v1
	v_cmp_gt_f64_e64 s2, 0, v[2:3]
	v_xor_b32_e32 v12, 0x80000000, v3
	v_add_nc_u32_e32 v5, 16, v5
	s_waitcnt lgkmcnt(0)
	v_cmp_gt_f64_e64 s3, 0, v[6:7]
	v_mov_b32_e32 v14, v6
	v_dual_mov_b32 v16, v8 :: v_dual_cndmask_b32 v11, v1, v10
	v_xor_b32_e32 v10, 0x80000000, v7
	v_cndmask_b32_e64 v13, v3, v12, s2
	v_xor_b32_e32 v12, 0x80000000, v9
	s_delay_alu instid0(VALU_DEP_3) | instskip(SKIP_2) | instid1(VALU_DEP_2)
	v_cndmask_b32_e64 v15, v7, v10, s3
	v_cmp_gt_f64_e64 s3, 0, v[8:9]
	v_cndmask_b32_e32 v10, v0, v0, vcc_lo
	v_cndmask_b32_e64 v17, v9, v12, s3
	v_cndmask_b32_e64 v12, v2, v2, s2
	s_delay_alu instid0(VALU_DEP_2) | instskip(NEXT) | instid1(VALU_DEP_2)
	v_add_f64 v[14:15], v[14:15], v[16:17]
	v_add_f64 v[10:11], v[10:11], v[12:13]
	s_delay_alu instid0(VALU_DEP_1)
	v_cmp_lt_f64_e32 vcc_lo, v[10:11], v[14:15]
	v_cndmask_b32_e32 v3, v3, v9, vcc_lo
	v_dual_cndmask_b32 v1, v1, v7 :: v_dual_cndmask_b32 v0, v0, v6
	v_cndmask_b32_e32 v2, v2, v8, vcc_lo
	v_cndmask_b32_e64 v4, v4, s6, vcc_lo
	s_add_i32 s6, s6, 1
	s_delay_alu instid0(SALU_CYCLE_1)
	s_cmp_lg_u32 s5, s6
	s_cbranch_scc1 .LBB126_177
.LBB126_178:
	s_set_inst_prefetch_distance 0x2
	s_waitcnt lgkmcnt(0)
	v_cmp_eq_f64_e32 vcc_lo, 0, v[0:1]
	v_cmp_eq_f64_e64 s2, 0, v[2:3]
	s_delay_alu instid0(VALU_DEP_1) | instskip(NEXT) | instid1(SALU_CYCLE_1)
	s_and_b32 s2, vcc_lo, s2
	s_and_saveexec_b32 s3, s2
	s_delay_alu instid0(SALU_CYCLE_1)
	s_xor_b32 s2, exec_lo, s3
; %bb.179:
	v_cmp_ne_u32_e32 vcc_lo, 0, v37
	v_cndmask_b32_e32 v37, 8, v37, vcc_lo
; %bb.180:
	s_and_not1_saveexec_b32 s3, s2
	s_cbranch_execz .LBB126_186
; %bb.181:
	v_cmp_gt_f64_e32 vcc_lo, 0, v[0:1]
	v_cmp_gt_f64_e64 s2, 0, v[2:3]
	v_xor_b32_e32 v5, 0x80000000, v1
	v_xor_b32_e32 v7, 0x80000000, v3
	s_delay_alu instid0(VALU_DEP_2) | instskip(NEXT) | instid1(VALU_DEP_2)
	v_dual_cndmask_b32 v6, v1, v5 :: v_dual_cndmask_b32 v5, v0, v0
	v_cndmask_b32_e64 v8, v3, v7, s2
	v_cndmask_b32_e64 v7, v2, v2, s2
	s_mov_b32 s2, exec_lo
	s_delay_alu instid0(VALU_DEP_1)
	v_cmpx_ngt_f64_e32 v[5:6], v[7:8]
	s_xor_b32 s2, exec_lo, s2
	s_cbranch_execz .LBB126_183
; %bb.182:
	v_div_scale_f64 v[5:6], null, v[2:3], v[2:3], v[0:1]
	v_div_scale_f64 v[11:12], vcc_lo, v[0:1], v[2:3], v[0:1]
	s_delay_alu instid0(VALU_DEP_2) | instskip(SKIP_2) | instid1(VALU_DEP_1)
	v_rcp_f64_e32 v[7:8], v[5:6]
	s_waitcnt_depctr 0xfff
	v_fma_f64 v[9:10], -v[5:6], v[7:8], 1.0
	v_fma_f64 v[7:8], v[7:8], v[9:10], v[7:8]
	s_delay_alu instid0(VALU_DEP_1) | instskip(NEXT) | instid1(VALU_DEP_1)
	v_fma_f64 v[9:10], -v[5:6], v[7:8], 1.0
	v_fma_f64 v[7:8], v[7:8], v[9:10], v[7:8]
	s_delay_alu instid0(VALU_DEP_1) | instskip(NEXT) | instid1(VALU_DEP_1)
	v_mul_f64 v[9:10], v[11:12], v[7:8]
	v_fma_f64 v[5:6], -v[5:6], v[9:10], v[11:12]
	s_delay_alu instid0(VALU_DEP_1) | instskip(NEXT) | instid1(VALU_DEP_1)
	v_div_fmas_f64 v[5:6], v[5:6], v[7:8], v[9:10]
	v_div_fixup_f64 v[5:6], v[5:6], v[2:3], v[0:1]
	s_delay_alu instid0(VALU_DEP_1) | instskip(NEXT) | instid1(VALU_DEP_1)
	v_fma_f64 v[0:1], v[0:1], v[5:6], v[2:3]
	v_div_scale_f64 v[2:3], null, v[0:1], v[0:1], 1.0
	s_delay_alu instid0(VALU_DEP_1) | instskip(SKIP_2) | instid1(VALU_DEP_1)
	v_rcp_f64_e32 v[7:8], v[2:3]
	s_waitcnt_depctr 0xfff
	v_fma_f64 v[9:10], -v[2:3], v[7:8], 1.0
	v_fma_f64 v[7:8], v[7:8], v[9:10], v[7:8]
	s_delay_alu instid0(VALU_DEP_1) | instskip(NEXT) | instid1(VALU_DEP_1)
	v_fma_f64 v[9:10], -v[2:3], v[7:8], 1.0
	v_fma_f64 v[7:8], v[7:8], v[9:10], v[7:8]
	v_div_scale_f64 v[9:10], vcc_lo, 1.0, v[0:1], 1.0
	s_delay_alu instid0(VALU_DEP_1) | instskip(NEXT) | instid1(VALU_DEP_1)
	v_mul_f64 v[11:12], v[9:10], v[7:8]
	v_fma_f64 v[2:3], -v[2:3], v[11:12], v[9:10]
	s_delay_alu instid0(VALU_DEP_1) | instskip(NEXT) | instid1(VALU_DEP_1)
	v_div_fmas_f64 v[2:3], v[2:3], v[7:8], v[11:12]
	v_div_fixup_f64 v[2:3], v[2:3], v[0:1], 1.0
	s_delay_alu instid0(VALU_DEP_1)
	v_mul_f64 v[0:1], v[5:6], v[2:3]
	v_xor_b32_e32 v3, 0x80000000, v3
.LBB126_183:
	s_and_not1_saveexec_b32 s2, s2
	s_cbranch_execz .LBB126_185
; %bb.184:
	s_delay_alu instid0(VALU_DEP_1) | instskip(SKIP_1) | instid1(VALU_DEP_2)
	v_div_scale_f64 v[5:6], null, v[0:1], v[0:1], v[2:3]
	v_div_scale_f64 v[11:12], vcc_lo, v[2:3], v[0:1], v[2:3]
	v_rcp_f64_e32 v[7:8], v[5:6]
	s_waitcnt_depctr 0xfff
	v_fma_f64 v[9:10], -v[5:6], v[7:8], 1.0
	s_delay_alu instid0(VALU_DEP_1) | instskip(NEXT) | instid1(VALU_DEP_1)
	v_fma_f64 v[7:8], v[7:8], v[9:10], v[7:8]
	v_fma_f64 v[9:10], -v[5:6], v[7:8], 1.0
	s_delay_alu instid0(VALU_DEP_1) | instskip(NEXT) | instid1(VALU_DEP_1)
	v_fma_f64 v[7:8], v[7:8], v[9:10], v[7:8]
	v_mul_f64 v[9:10], v[11:12], v[7:8]
	s_delay_alu instid0(VALU_DEP_1) | instskip(NEXT) | instid1(VALU_DEP_1)
	v_fma_f64 v[5:6], -v[5:6], v[9:10], v[11:12]
	v_div_fmas_f64 v[5:6], v[5:6], v[7:8], v[9:10]
	s_delay_alu instid0(VALU_DEP_1) | instskip(NEXT) | instid1(VALU_DEP_1)
	v_div_fixup_f64 v[5:6], v[5:6], v[0:1], v[2:3]
	v_fma_f64 v[0:1], v[2:3], v[5:6], v[0:1]
	s_delay_alu instid0(VALU_DEP_1) | instskip(NEXT) | instid1(VALU_DEP_1)
	v_div_scale_f64 v[2:3], null, v[0:1], v[0:1], 1.0
	v_rcp_f64_e32 v[7:8], v[2:3]
	s_waitcnt_depctr 0xfff
	v_fma_f64 v[9:10], -v[2:3], v[7:8], 1.0
	s_delay_alu instid0(VALU_DEP_1) | instskip(NEXT) | instid1(VALU_DEP_1)
	v_fma_f64 v[7:8], v[7:8], v[9:10], v[7:8]
	v_fma_f64 v[9:10], -v[2:3], v[7:8], 1.0
	s_delay_alu instid0(VALU_DEP_1) | instskip(SKIP_1) | instid1(VALU_DEP_1)
	v_fma_f64 v[7:8], v[7:8], v[9:10], v[7:8]
	v_div_scale_f64 v[9:10], vcc_lo, 1.0, v[0:1], 1.0
	v_mul_f64 v[11:12], v[9:10], v[7:8]
	s_delay_alu instid0(VALU_DEP_1) | instskip(NEXT) | instid1(VALU_DEP_1)
	v_fma_f64 v[2:3], -v[2:3], v[11:12], v[9:10]
	v_div_fmas_f64 v[2:3], v[2:3], v[7:8], v[11:12]
	s_delay_alu instid0(VALU_DEP_1) | instskip(NEXT) | instid1(VALU_DEP_1)
	v_div_fixup_f64 v[0:1], v[2:3], v[0:1], 1.0
	v_mul_f64 v[2:3], v[5:6], -v[0:1]
.LBB126_185:
	s_or_b32 exec_lo, exec_lo, s2
.LBB126_186:
	s_delay_alu instid0(SALU_CYCLE_1) | instskip(NEXT) | instid1(SALU_CYCLE_1)
	s_or_b32 exec_lo, exec_lo, s3
	s_mov_b32 s2, exec_lo
	v_cmpx_ne_u32_e64 v41, v4
	s_xor_b32 s2, exec_lo, s2
	s_cbranch_execz .LBB126_192
; %bb.187:
	s_mov_b32 s3, exec_lo
	v_cmpx_eq_u32_e32 7, v41
	s_cbranch_execz .LBB126_191
; %bb.188:
	v_cmp_ne_u32_e32 vcc_lo, 7, v4
	s_xor_b32 s6, s4, -1
	s_delay_alu instid0(SALU_CYCLE_1) | instskip(NEXT) | instid1(SALU_CYCLE_1)
	s_and_b32 s7, s6, vcc_lo
	s_and_saveexec_b32 s6, s7
	s_cbranch_execz .LBB126_190
; %bb.189:
	v_ashrrev_i32_e32 v5, 31, v4
	s_delay_alu instid0(VALU_DEP_1) | instskip(NEXT) | instid1(VALU_DEP_1)
	v_lshlrev_b64 v[5:6], 2, v[4:5]
	v_add_co_u32 v5, vcc_lo, v250, v5
	s_delay_alu instid0(VALU_DEP_2)
	v_add_co_ci_u32_e32 v6, vcc_lo, v251, v6, vcc_lo
	s_clause 0x1
	flat_load_b32 v7, v[5:6]
	flat_load_b32 v8, v[250:251] offset:28
	s_waitcnt vmcnt(1) lgkmcnt(1)
	flat_store_b32 v[250:251], v7 offset:28
	s_waitcnt vmcnt(0) lgkmcnt(1)
	flat_store_b32 v[5:6], v8
.LBB126_190:
	s_or_b32 exec_lo, exec_lo, s6
	v_mov_b32_e32 v41, v4
	v_mov_b32_e32 v39, v4
.LBB126_191:
	s_or_b32 exec_lo, exec_lo, s3
.LBB126_192:
	s_and_not1_saveexec_b32 s2, s2
	s_cbranch_execz .LBB126_196
; %bb.193:
	v_add3_u32 v4, v38, 0, 0x80
	v_mov_b32_e32 v5, 0
	s_mov_b32 s3, 0
.LBB126_194:                            ; =>This Inner Loop Header: Depth=1
	s_delay_alu instid0(VALU_DEP_1) | instskip(NEXT) | instid1(VALU_DEP_3)
	v_readfirstlane_b32 s6, v5
	v_add_nc_u32_e32 v18, s3, v4
	s_delay_alu instid0(VALU_DEP_2)
	s_add_i32 s6, s6, s3
	s_addk_i32 s3, 0xe0
	s_add_i32 s7, s6, 0x80
	s_add_i32 s9, s6, 0x90
	;; [unrolled: 1-line block ×13, first 2 shown]
	s_addk_i32 s6, 0x150
	s_clause 0xd
	scratch_load_b128 v[6:9], off, s7
	scratch_load_b128 v[10:13], off, s9
	;; [unrolled: 1-line block ×14, first 2 shown]
	s_cmpk_eq_i32 s3, 0x380
	s_waitcnt vmcnt(13)
	ds_store_2addr_b64 v18, v[6:7], v[8:9] offset1:1
	s_waitcnt vmcnt(12)
	ds_store_2addr_b64 v18, v[10:11], v[12:13] offset0:2 offset1:3
	s_waitcnt vmcnt(11)
	ds_store_2addr_b64 v18, v[14:15], v[16:17] offset0:4 offset1:5
	s_waitcnt vmcnt(10)
	ds_store_2addr_b64 v18, v[41:42], v[43:44] offset0:6 offset1:7
	s_waitcnt vmcnt(9)
	ds_store_2addr_b64 v18, v[49:50], v[51:52] offset0:8 offset1:9
	s_waitcnt vmcnt(8)
	ds_store_2addr_b64 v18, v[53:54], v[55:56] offset0:10 offset1:11
	s_waitcnt vmcnt(7)
	ds_store_2addr_b64 v18, v[65:66], v[67:68] offset0:12 offset1:13
	s_waitcnt vmcnt(6)
	ds_store_2addr_b64 v18, v[69:70], v[71:72] offset0:14 offset1:15
	s_waitcnt vmcnt(5)
	ds_store_2addr_b64 v18, v[81:82], v[83:84] offset0:16 offset1:17
	s_waitcnt vmcnt(4)
	ds_store_2addr_b64 v18, v[85:86], v[87:88] offset0:18 offset1:19
	s_waitcnt vmcnt(3)
	ds_store_2addr_b64 v18, v[129:130], v[131:132] offset0:20 offset1:21
	s_waitcnt vmcnt(2)
	ds_store_2addr_b64 v18, v[136:137], v[138:139] offset0:22 offset1:23
	s_waitcnt vmcnt(1)
	ds_store_2addr_b64 v18, v[146:147], v[148:149] offset0:24 offset1:25
	s_waitcnt vmcnt(0)
	ds_store_2addr_b64 v18, v[186:187], v[188:189] offset0:26 offset1:27
	s_cbranch_scc0 .LBB126_194
; %bb.195:
	v_mov_b32_e32 v41, 7
.LBB126_196:
	s_or_b32 exec_lo, exec_lo, s2
	s_delay_alu instid0(SALU_CYCLE_1)
	s_mov_b32 s2, exec_lo
	s_waitcnt lgkmcnt(0)
	s_waitcnt_vscnt null, 0x0
	s_barrier
	buffer_gl0_inv
	v_cmpx_lt_i32_e32 7, v41
	s_cbranch_execz .LBB126_199
; %bb.197:
	scratch_load_b128 v[4:7], off, off offset:112
	s_mov_b32 s3, 0
	s_waitcnt vmcnt(0)
	v_mul_f64 v[8:9], v[2:3], v[6:7]
	v_mul_f64 v[6:7], v[0:1], v[6:7]
	s_delay_alu instid0(VALU_DEP_2) | instskip(NEXT) | instid1(VALU_DEP_2)
	v_fma_f64 v[0:1], v[0:1], v[4:5], -v[8:9]
	v_fma_f64 v[2:3], v[2:3], v[4:5], v[6:7]
	v_add3_u32 v4, v38, 0, 0x80
	v_mov_b32_e32 v5, 0
	scratch_store_b128 off, v[0:3], off offset:112
.LBB126_198:                            ; =>This Inner Loop Header: Depth=1
	v_add_nc_u32_e32 v59, s3, v4
	v_readfirstlane_b32 s6, v5
	ds_load_2addr_b64 v[6:9], v59 offset1:1
	ds_load_2addr_b64 v[10:13], v59 offset0:2 offset1:3
	ds_load_2addr_b64 v[14:17], v59 offset0:4 offset1:5
	;; [unrolled: 1-line block ×5, first 2 shown]
	s_add_i32 s6, s6, s3
	s_addk_i32 s3, 0x70
	s_add_i32 s7, s6, 0x80
	s_add_i32 s9, s6, 0x90
	;; [unrolled: 1-line block ×6, first 2 shown]
	s_addk_i32 s6, 0xe0
	s_cmpk_lg_i32 s3, 0x380
	s_waitcnt lgkmcnt(5)
	v_mul_f64 v[18:19], v[8:9], v[2:3]
	v_mul_f64 v[46:47], v[6:7], v[2:3]
	s_waitcnt lgkmcnt(4)
	v_mul_f64 v[57:58], v[12:13], v[2:3]
	v_mul_f64 v[61:62], v[10:11], v[2:3]
	;; [unrolled: 3-line block ×6, first 2 shown]
	v_fma_f64 v[18:19], v[6:7], v[0:1], -v[18:19]
	v_fma_f64 v[46:47], v[8:9], v[0:1], v[46:47]
	v_fma_f64 v[57:58], v[10:11], v[0:1], -v[57:58]
	v_fma_f64 v[61:62], v[12:13], v[0:1], v[61:62]
	;; [unrolled: 2-line block ×6, first 2 shown]
	scratch_load_b128 v[0:3], off, off offset:112
	s_clause 0x6
	scratch_load_b128 v[6:9], off, s7
	scratch_load_b128 v[10:13], off, s9
	;; [unrolled: 1-line block ×7, first 2 shown]
	ds_load_2addr_b64 v[69:72], v59 offset0:12 offset1:13
	s_waitcnt vmcnt(6)
	v_add_f64 v[6:7], v[6:7], -v[18:19]
	v_add_f64 v[8:9], v[8:9], -v[46:47]
	s_waitcnt vmcnt(5)
	v_add_f64 v[10:11], v[10:11], -v[57:58]
	v_add_f64 v[12:13], v[12:13], -v[61:62]
	s_waitcnt vmcnt(4)
	v_add_f64 v[14:15], v[14:15], -v[81:82]
	s_waitcnt lgkmcnt(0)
	v_mul_f64 v[91:92], v[71:72], v[2:3]
	v_mul_f64 v[93:94], v[69:70], v[2:3]
	v_add_f64 v[16:17], v[16:17], -v[83:84]
	s_waitcnt vmcnt(3)
	v_add_f64 v[42:43], v[42:43], -v[85:86]
	v_add_f64 v[44:45], v[44:45], -v[87:88]
	s_waitcnt vmcnt(2)
	v_add_f64 v[49:50], v[49:50], -v[73:74]
	;; [unrolled: 3-line block ×3, first 2 shown]
	v_add_f64 v[55:56], v[55:56], -v[89:90]
	v_fma_f64 v[69:70], v[69:70], v[0:1], -v[91:92]
	v_fma_f64 v[71:72], v[71:72], v[0:1], v[93:94]
	s_waitcnt vmcnt(0)
	s_delay_alu instid0(VALU_DEP_2) | instskip(NEXT) | instid1(VALU_DEP_2)
	v_add_f64 v[65:66], v[65:66], -v[69:70]
	v_add_f64 v[67:68], v[67:68], -v[71:72]
	s_clause 0x6
	scratch_store_b128 off, v[6:9], s7
	scratch_store_b128 off, v[10:13], s9
	;; [unrolled: 1-line block ×7, first 2 shown]
	s_cbranch_scc1 .LBB126_198
.LBB126_199:
	s_or_b32 exec_lo, exec_lo, s2
	s_waitcnt_vscnt null, 0x0
	s_barrier
	buffer_gl0_inv
	scratch_load_b128 v[0:3], v25, off
	v_lshl_add_u32 v4, v41, 4, v36
	s_cmp_lt_i32 s5, 10
	s_waitcnt vmcnt(0)
	ds_store_2addr_b64 v4, v[0:1], v[2:3] offset1:1
	s_waitcnt lgkmcnt(0)
	s_barrier
	buffer_gl0_inv
	ds_load_2addr_b64 v[0:3], v36 offset0:16 offset1:17
	v_mov_b32_e32 v4, 8
	s_cbranch_scc1 .LBB126_202
; %bb.200:
	v_add3_u32 v5, v38, 0, 0x90
	v_mov_b32_e32 v4, 8
	s_mov_b32 s6, 9
	s_set_inst_prefetch_distance 0x1
	.p2align	6
.LBB126_201:                            ; =>This Inner Loop Header: Depth=1
	ds_load_2addr_b64 v[6:9], v5 offset1:1
	s_waitcnt lgkmcnt(1)
	v_cmp_gt_f64_e32 vcc_lo, 0, v[0:1]
	v_xor_b32_e32 v10, 0x80000000, v1
	v_cmp_gt_f64_e64 s2, 0, v[2:3]
	v_xor_b32_e32 v12, 0x80000000, v3
	v_add_nc_u32_e32 v5, 16, v5
	s_waitcnt lgkmcnt(0)
	v_cmp_gt_f64_e64 s3, 0, v[6:7]
	v_mov_b32_e32 v14, v6
	v_dual_mov_b32 v16, v8 :: v_dual_cndmask_b32 v11, v1, v10
	v_xor_b32_e32 v10, 0x80000000, v7
	v_cndmask_b32_e64 v13, v3, v12, s2
	v_xor_b32_e32 v12, 0x80000000, v9
	s_delay_alu instid0(VALU_DEP_3) | instskip(SKIP_2) | instid1(VALU_DEP_2)
	v_cndmask_b32_e64 v15, v7, v10, s3
	v_cmp_gt_f64_e64 s3, 0, v[8:9]
	v_cndmask_b32_e32 v10, v0, v0, vcc_lo
	v_cndmask_b32_e64 v17, v9, v12, s3
	v_cndmask_b32_e64 v12, v2, v2, s2
	s_delay_alu instid0(VALU_DEP_2) | instskip(NEXT) | instid1(VALU_DEP_2)
	v_add_f64 v[14:15], v[14:15], v[16:17]
	v_add_f64 v[10:11], v[10:11], v[12:13]
	s_delay_alu instid0(VALU_DEP_1)
	v_cmp_lt_f64_e32 vcc_lo, v[10:11], v[14:15]
	v_cndmask_b32_e32 v3, v3, v9, vcc_lo
	v_dual_cndmask_b32 v1, v1, v7 :: v_dual_cndmask_b32 v0, v0, v6
	v_cndmask_b32_e32 v2, v2, v8, vcc_lo
	v_cndmask_b32_e64 v4, v4, s6, vcc_lo
	s_add_i32 s6, s6, 1
	s_delay_alu instid0(SALU_CYCLE_1)
	s_cmp_lg_u32 s5, s6
	s_cbranch_scc1 .LBB126_201
.LBB126_202:
	s_set_inst_prefetch_distance 0x2
	s_waitcnt lgkmcnt(0)
	v_cmp_eq_f64_e32 vcc_lo, 0, v[0:1]
	v_cmp_eq_f64_e64 s2, 0, v[2:3]
	s_delay_alu instid0(VALU_DEP_1) | instskip(NEXT) | instid1(SALU_CYCLE_1)
	s_and_b32 s2, vcc_lo, s2
	s_and_saveexec_b32 s3, s2
	s_delay_alu instid0(SALU_CYCLE_1)
	s_xor_b32 s2, exec_lo, s3
; %bb.203:
	v_cmp_ne_u32_e32 vcc_lo, 0, v37
	v_cndmask_b32_e32 v37, 9, v37, vcc_lo
; %bb.204:
	s_and_not1_saveexec_b32 s3, s2
	s_cbranch_execz .LBB126_210
; %bb.205:
	v_cmp_gt_f64_e32 vcc_lo, 0, v[0:1]
	v_cmp_gt_f64_e64 s2, 0, v[2:3]
	v_xor_b32_e32 v5, 0x80000000, v1
	v_xor_b32_e32 v7, 0x80000000, v3
	s_delay_alu instid0(VALU_DEP_2) | instskip(NEXT) | instid1(VALU_DEP_2)
	v_dual_cndmask_b32 v6, v1, v5 :: v_dual_cndmask_b32 v5, v0, v0
	v_cndmask_b32_e64 v8, v3, v7, s2
	v_cndmask_b32_e64 v7, v2, v2, s2
	s_mov_b32 s2, exec_lo
	s_delay_alu instid0(VALU_DEP_1)
	v_cmpx_ngt_f64_e32 v[5:6], v[7:8]
	s_xor_b32 s2, exec_lo, s2
	s_cbranch_execz .LBB126_207
; %bb.206:
	v_div_scale_f64 v[5:6], null, v[2:3], v[2:3], v[0:1]
	v_div_scale_f64 v[11:12], vcc_lo, v[0:1], v[2:3], v[0:1]
	s_delay_alu instid0(VALU_DEP_2) | instskip(SKIP_2) | instid1(VALU_DEP_1)
	v_rcp_f64_e32 v[7:8], v[5:6]
	s_waitcnt_depctr 0xfff
	v_fma_f64 v[9:10], -v[5:6], v[7:8], 1.0
	v_fma_f64 v[7:8], v[7:8], v[9:10], v[7:8]
	s_delay_alu instid0(VALU_DEP_1) | instskip(NEXT) | instid1(VALU_DEP_1)
	v_fma_f64 v[9:10], -v[5:6], v[7:8], 1.0
	v_fma_f64 v[7:8], v[7:8], v[9:10], v[7:8]
	s_delay_alu instid0(VALU_DEP_1) | instskip(NEXT) | instid1(VALU_DEP_1)
	v_mul_f64 v[9:10], v[11:12], v[7:8]
	v_fma_f64 v[5:6], -v[5:6], v[9:10], v[11:12]
	s_delay_alu instid0(VALU_DEP_1) | instskip(NEXT) | instid1(VALU_DEP_1)
	v_div_fmas_f64 v[5:6], v[5:6], v[7:8], v[9:10]
	v_div_fixup_f64 v[5:6], v[5:6], v[2:3], v[0:1]
	s_delay_alu instid0(VALU_DEP_1) | instskip(NEXT) | instid1(VALU_DEP_1)
	v_fma_f64 v[0:1], v[0:1], v[5:6], v[2:3]
	v_div_scale_f64 v[2:3], null, v[0:1], v[0:1], 1.0
	s_delay_alu instid0(VALU_DEP_1) | instskip(SKIP_2) | instid1(VALU_DEP_1)
	v_rcp_f64_e32 v[7:8], v[2:3]
	s_waitcnt_depctr 0xfff
	v_fma_f64 v[9:10], -v[2:3], v[7:8], 1.0
	v_fma_f64 v[7:8], v[7:8], v[9:10], v[7:8]
	s_delay_alu instid0(VALU_DEP_1) | instskip(NEXT) | instid1(VALU_DEP_1)
	v_fma_f64 v[9:10], -v[2:3], v[7:8], 1.0
	v_fma_f64 v[7:8], v[7:8], v[9:10], v[7:8]
	v_div_scale_f64 v[9:10], vcc_lo, 1.0, v[0:1], 1.0
	s_delay_alu instid0(VALU_DEP_1) | instskip(NEXT) | instid1(VALU_DEP_1)
	v_mul_f64 v[11:12], v[9:10], v[7:8]
	v_fma_f64 v[2:3], -v[2:3], v[11:12], v[9:10]
	s_delay_alu instid0(VALU_DEP_1) | instskip(NEXT) | instid1(VALU_DEP_1)
	v_div_fmas_f64 v[2:3], v[2:3], v[7:8], v[11:12]
	v_div_fixup_f64 v[2:3], v[2:3], v[0:1], 1.0
	s_delay_alu instid0(VALU_DEP_1)
	v_mul_f64 v[0:1], v[5:6], v[2:3]
	v_xor_b32_e32 v3, 0x80000000, v3
.LBB126_207:
	s_and_not1_saveexec_b32 s2, s2
	s_cbranch_execz .LBB126_209
; %bb.208:
	s_delay_alu instid0(VALU_DEP_1) | instskip(SKIP_1) | instid1(VALU_DEP_2)
	v_div_scale_f64 v[5:6], null, v[0:1], v[0:1], v[2:3]
	v_div_scale_f64 v[11:12], vcc_lo, v[2:3], v[0:1], v[2:3]
	v_rcp_f64_e32 v[7:8], v[5:6]
	s_waitcnt_depctr 0xfff
	v_fma_f64 v[9:10], -v[5:6], v[7:8], 1.0
	s_delay_alu instid0(VALU_DEP_1) | instskip(NEXT) | instid1(VALU_DEP_1)
	v_fma_f64 v[7:8], v[7:8], v[9:10], v[7:8]
	v_fma_f64 v[9:10], -v[5:6], v[7:8], 1.0
	s_delay_alu instid0(VALU_DEP_1) | instskip(NEXT) | instid1(VALU_DEP_1)
	v_fma_f64 v[7:8], v[7:8], v[9:10], v[7:8]
	v_mul_f64 v[9:10], v[11:12], v[7:8]
	s_delay_alu instid0(VALU_DEP_1) | instskip(NEXT) | instid1(VALU_DEP_1)
	v_fma_f64 v[5:6], -v[5:6], v[9:10], v[11:12]
	v_div_fmas_f64 v[5:6], v[5:6], v[7:8], v[9:10]
	s_delay_alu instid0(VALU_DEP_1) | instskip(NEXT) | instid1(VALU_DEP_1)
	v_div_fixup_f64 v[5:6], v[5:6], v[0:1], v[2:3]
	v_fma_f64 v[0:1], v[2:3], v[5:6], v[0:1]
	s_delay_alu instid0(VALU_DEP_1) | instskip(NEXT) | instid1(VALU_DEP_1)
	v_div_scale_f64 v[2:3], null, v[0:1], v[0:1], 1.0
	v_rcp_f64_e32 v[7:8], v[2:3]
	s_waitcnt_depctr 0xfff
	v_fma_f64 v[9:10], -v[2:3], v[7:8], 1.0
	s_delay_alu instid0(VALU_DEP_1) | instskip(NEXT) | instid1(VALU_DEP_1)
	v_fma_f64 v[7:8], v[7:8], v[9:10], v[7:8]
	v_fma_f64 v[9:10], -v[2:3], v[7:8], 1.0
	s_delay_alu instid0(VALU_DEP_1) | instskip(SKIP_1) | instid1(VALU_DEP_1)
	v_fma_f64 v[7:8], v[7:8], v[9:10], v[7:8]
	v_div_scale_f64 v[9:10], vcc_lo, 1.0, v[0:1], 1.0
	v_mul_f64 v[11:12], v[9:10], v[7:8]
	s_delay_alu instid0(VALU_DEP_1) | instskip(NEXT) | instid1(VALU_DEP_1)
	v_fma_f64 v[2:3], -v[2:3], v[11:12], v[9:10]
	v_div_fmas_f64 v[2:3], v[2:3], v[7:8], v[11:12]
	s_delay_alu instid0(VALU_DEP_1) | instskip(NEXT) | instid1(VALU_DEP_1)
	v_div_fixup_f64 v[0:1], v[2:3], v[0:1], 1.0
	v_mul_f64 v[2:3], v[5:6], -v[0:1]
.LBB126_209:
	s_or_b32 exec_lo, exec_lo, s2
.LBB126_210:
	s_delay_alu instid0(SALU_CYCLE_1) | instskip(NEXT) | instid1(SALU_CYCLE_1)
	s_or_b32 exec_lo, exec_lo, s3
	s_mov_b32 s2, exec_lo
	v_cmpx_ne_u32_e64 v41, v4
	s_xor_b32 s2, exec_lo, s2
	s_cbranch_execz .LBB126_216
; %bb.211:
	s_mov_b32 s3, exec_lo
	v_cmpx_eq_u32_e32 8, v41
	s_cbranch_execz .LBB126_215
; %bb.212:
	v_cmp_ne_u32_e32 vcc_lo, 8, v4
	s_xor_b32 s6, s4, -1
	s_delay_alu instid0(SALU_CYCLE_1) | instskip(NEXT) | instid1(SALU_CYCLE_1)
	s_and_b32 s7, s6, vcc_lo
	s_and_saveexec_b32 s6, s7
	s_cbranch_execz .LBB126_214
; %bb.213:
	v_ashrrev_i32_e32 v5, 31, v4
	s_delay_alu instid0(VALU_DEP_1) | instskip(NEXT) | instid1(VALU_DEP_1)
	v_lshlrev_b64 v[5:6], 2, v[4:5]
	v_add_co_u32 v5, vcc_lo, v250, v5
	s_delay_alu instid0(VALU_DEP_2)
	v_add_co_ci_u32_e32 v6, vcc_lo, v251, v6, vcc_lo
	s_clause 0x1
	flat_load_b32 v7, v[5:6]
	flat_load_b32 v8, v[250:251] offset:32
	s_waitcnt vmcnt(1) lgkmcnt(1)
	flat_store_b32 v[250:251], v7 offset:32
	s_waitcnt vmcnt(0) lgkmcnt(1)
	flat_store_b32 v[5:6], v8
.LBB126_214:
	s_or_b32 exec_lo, exec_lo, s6
	v_mov_b32_e32 v41, v4
	v_mov_b32_e32 v39, v4
.LBB126_215:
	s_or_b32 exec_lo, exec_lo, s3
.LBB126_216:
	s_and_not1_saveexec_b32 s2, s2
	s_cbranch_execz .LBB126_220
; %bb.217:
	v_add3_u32 v4, v38, 0, 0x90
	v_mov_b32_e32 v5, 0
	s_mov_b32 s3, 0
.LBB126_218:                            ; =>This Inner Loop Header: Depth=1
	s_delay_alu instid0(VALU_DEP_1) | instskip(NEXT) | instid1(VALU_DEP_3)
	v_readfirstlane_b32 s6, v5
	v_add_nc_u32_e32 v18, s3, v4
	s_delay_alu instid0(VALU_DEP_2)
	s_add_i32 s6, s6, s3
	s_addk_i32 s3, 0xb0
	s_add_i32 s7, s6, 0x90
	s_add_i32 s9, s6, 0xa0
	;; [unrolled: 1-line block ×10, first 2 shown]
	s_addk_i32 s6, 0x130
	s_clause 0xa
	scratch_load_b128 v[6:9], off, s7
	scratch_load_b128 v[10:13], off, s9
	;; [unrolled: 1-line block ×11, first 2 shown]
	s_cmpk_eq_i32 s3, 0x370
	s_waitcnt vmcnt(10)
	ds_store_2addr_b64 v18, v[6:7], v[8:9] offset1:1
	s_waitcnt vmcnt(9)
	ds_store_2addr_b64 v18, v[10:11], v[12:13] offset0:2 offset1:3
	s_waitcnt vmcnt(8)
	ds_store_2addr_b64 v18, v[14:15], v[16:17] offset0:4 offset1:5
	;; [unrolled: 2-line block ×10, first 2 shown]
	s_cbranch_scc0 .LBB126_218
; %bb.219:
	v_mov_b32_e32 v41, 8
.LBB126_220:
	s_or_b32 exec_lo, exec_lo, s2
	s_delay_alu instid0(SALU_CYCLE_1)
	s_mov_b32 s2, exec_lo
	s_waitcnt lgkmcnt(0)
	s_waitcnt_vscnt null, 0x0
	s_barrier
	buffer_gl0_inv
	v_cmpx_lt_i32_e32 8, v41
	s_cbranch_execz .LBB126_223
; %bb.221:
	scratch_load_b128 v[4:7], off, off offset:128
	s_mov_b32 s3, 0
	s_waitcnt vmcnt(0)
	v_mul_f64 v[8:9], v[2:3], v[6:7]
	v_mul_f64 v[6:7], v[0:1], v[6:7]
	s_delay_alu instid0(VALU_DEP_2) | instskip(NEXT) | instid1(VALU_DEP_2)
	v_fma_f64 v[0:1], v[0:1], v[4:5], -v[8:9]
	v_fma_f64 v[2:3], v[2:3], v[4:5], v[6:7]
	v_add3_u32 v4, v38, 0, 0x90
	v_mov_b32_e32 v5, 0
	scratch_store_b128 off, v[0:3], off offset:128
.LBB126_222:                            ; =>This Inner Loop Header: Depth=1
	v_readfirstlane_b32 s6, v5
	v_add_nc_u32_e32 v18, s3, v4
	s_delay_alu instid0(VALU_DEP_2)
	s_add_i32 s6, s6, s3
	s_addk_i32 s3, 0x50
	s_add_i32 s7, s6, 0x90
	s_add_i32 s9, s6, 0xa0
	;; [unrolled: 1-line block ×4, first 2 shown]
	s_addk_i32 s6, 0xd0
	s_clause 0x4
	scratch_load_b128 v[6:9], off, s7
	scratch_load_b128 v[10:13], off, s9
	;; [unrolled: 1-line block ×5, first 2 shown]
	ds_load_2addr_b64 v[53:56], v18 offset1:1
	ds_load_2addr_b64 v[65:68], v18 offset0:2 offset1:3
	ds_load_2addr_b64 v[69:72], v18 offset0:4 offset1:5
	;; [unrolled: 1-line block ×4, first 2 shown]
	s_cmpk_lg_i32 s3, 0x370
	s_waitcnt lgkmcnt(4)
	v_mul_f64 v[18:19], v[55:56], v[2:3]
	v_mul_f64 v[46:47], v[53:54], v[2:3]
	s_waitcnt lgkmcnt(3)
	v_mul_f64 v[57:58], v[67:68], v[2:3]
	v_mul_f64 v[61:62], v[65:66], v[2:3]
	;; [unrolled: 3-line block ×5, first 2 shown]
	v_fma_f64 v[18:19], v[53:54], v[0:1], -v[18:19]
	v_fma_f64 v[46:47], v[55:56], v[0:1], v[46:47]
	v_fma_f64 v[53:54], v[65:66], v[0:1], -v[57:58]
	v_fma_f64 v[55:56], v[67:68], v[0:1], v[61:62]
	;; [unrolled: 2-line block ×5, first 2 shown]
	s_waitcnt vmcnt(4)
	v_add_f64 v[6:7], v[6:7], -v[18:19]
	v_add_f64 v[8:9], v[8:9], -v[46:47]
	s_waitcnt vmcnt(3)
	v_add_f64 v[10:11], v[10:11], -v[53:54]
	v_add_f64 v[12:13], v[12:13], -v[55:56]
	;; [unrolled: 3-line block ×5, first 2 shown]
	s_clause 0x4
	scratch_store_b128 off, v[6:9], s7
	scratch_store_b128 off, v[10:13], s9
	;; [unrolled: 1-line block ×5, first 2 shown]
	s_cbranch_scc1 .LBB126_222
.LBB126_223:
	s_or_b32 exec_lo, exec_lo, s2
	s_waitcnt_vscnt null, 0x0
	s_barrier
	buffer_gl0_inv
	scratch_load_b128 v[0:3], v24, off
	v_lshl_add_u32 v4, v41, 4, v36
	s_cmp_lt_i32 s5, 11
	s_waitcnt vmcnt(0)
	ds_store_2addr_b64 v4, v[0:1], v[2:3] offset1:1
	s_waitcnt lgkmcnt(0)
	s_barrier
	buffer_gl0_inv
	ds_load_2addr_b64 v[0:3], v36 offset0:18 offset1:19
	v_mov_b32_e32 v4, 9
	s_cbranch_scc1 .LBB126_226
; %bb.224:
	v_add3_u32 v5, v38, 0, 0xa0
	v_mov_b32_e32 v4, 9
	s_mov_b32 s6, 10
	s_set_inst_prefetch_distance 0x1
	.p2align	6
.LBB126_225:                            ; =>This Inner Loop Header: Depth=1
	ds_load_2addr_b64 v[6:9], v5 offset1:1
	s_waitcnt lgkmcnt(1)
	v_cmp_gt_f64_e32 vcc_lo, 0, v[0:1]
	v_xor_b32_e32 v10, 0x80000000, v1
	v_cmp_gt_f64_e64 s2, 0, v[2:3]
	v_xor_b32_e32 v12, 0x80000000, v3
	v_add_nc_u32_e32 v5, 16, v5
	s_waitcnt lgkmcnt(0)
	v_cmp_gt_f64_e64 s3, 0, v[6:7]
	v_mov_b32_e32 v14, v6
	v_dual_mov_b32 v16, v8 :: v_dual_cndmask_b32 v11, v1, v10
	v_xor_b32_e32 v10, 0x80000000, v7
	v_cndmask_b32_e64 v13, v3, v12, s2
	v_xor_b32_e32 v12, 0x80000000, v9
	s_delay_alu instid0(VALU_DEP_3) | instskip(SKIP_2) | instid1(VALU_DEP_2)
	v_cndmask_b32_e64 v15, v7, v10, s3
	v_cmp_gt_f64_e64 s3, 0, v[8:9]
	v_cndmask_b32_e32 v10, v0, v0, vcc_lo
	v_cndmask_b32_e64 v17, v9, v12, s3
	v_cndmask_b32_e64 v12, v2, v2, s2
	s_delay_alu instid0(VALU_DEP_2) | instskip(NEXT) | instid1(VALU_DEP_2)
	v_add_f64 v[14:15], v[14:15], v[16:17]
	v_add_f64 v[10:11], v[10:11], v[12:13]
	s_delay_alu instid0(VALU_DEP_1)
	v_cmp_lt_f64_e32 vcc_lo, v[10:11], v[14:15]
	v_cndmask_b32_e32 v3, v3, v9, vcc_lo
	v_dual_cndmask_b32 v1, v1, v7 :: v_dual_cndmask_b32 v0, v0, v6
	v_cndmask_b32_e32 v2, v2, v8, vcc_lo
	v_cndmask_b32_e64 v4, v4, s6, vcc_lo
	s_add_i32 s6, s6, 1
	s_delay_alu instid0(SALU_CYCLE_1)
	s_cmp_lg_u32 s5, s6
	s_cbranch_scc1 .LBB126_225
.LBB126_226:
	s_set_inst_prefetch_distance 0x2
	s_waitcnt lgkmcnt(0)
	v_cmp_eq_f64_e32 vcc_lo, 0, v[0:1]
	v_cmp_eq_f64_e64 s2, 0, v[2:3]
	s_delay_alu instid0(VALU_DEP_1) | instskip(NEXT) | instid1(SALU_CYCLE_1)
	s_and_b32 s2, vcc_lo, s2
	s_and_saveexec_b32 s3, s2
	s_delay_alu instid0(SALU_CYCLE_1)
	s_xor_b32 s2, exec_lo, s3
; %bb.227:
	v_cmp_ne_u32_e32 vcc_lo, 0, v37
	v_cndmask_b32_e32 v37, 10, v37, vcc_lo
; %bb.228:
	s_and_not1_saveexec_b32 s3, s2
	s_cbranch_execz .LBB126_234
; %bb.229:
	v_cmp_gt_f64_e32 vcc_lo, 0, v[0:1]
	v_cmp_gt_f64_e64 s2, 0, v[2:3]
	v_xor_b32_e32 v5, 0x80000000, v1
	v_xor_b32_e32 v7, 0x80000000, v3
	s_delay_alu instid0(VALU_DEP_2) | instskip(NEXT) | instid1(VALU_DEP_2)
	v_dual_cndmask_b32 v6, v1, v5 :: v_dual_cndmask_b32 v5, v0, v0
	v_cndmask_b32_e64 v8, v3, v7, s2
	v_cndmask_b32_e64 v7, v2, v2, s2
	s_mov_b32 s2, exec_lo
	s_delay_alu instid0(VALU_DEP_1)
	v_cmpx_ngt_f64_e32 v[5:6], v[7:8]
	s_xor_b32 s2, exec_lo, s2
	s_cbranch_execz .LBB126_231
; %bb.230:
	v_div_scale_f64 v[5:6], null, v[2:3], v[2:3], v[0:1]
	v_div_scale_f64 v[11:12], vcc_lo, v[0:1], v[2:3], v[0:1]
	s_delay_alu instid0(VALU_DEP_2) | instskip(SKIP_2) | instid1(VALU_DEP_1)
	v_rcp_f64_e32 v[7:8], v[5:6]
	s_waitcnt_depctr 0xfff
	v_fma_f64 v[9:10], -v[5:6], v[7:8], 1.0
	v_fma_f64 v[7:8], v[7:8], v[9:10], v[7:8]
	s_delay_alu instid0(VALU_DEP_1) | instskip(NEXT) | instid1(VALU_DEP_1)
	v_fma_f64 v[9:10], -v[5:6], v[7:8], 1.0
	v_fma_f64 v[7:8], v[7:8], v[9:10], v[7:8]
	s_delay_alu instid0(VALU_DEP_1) | instskip(NEXT) | instid1(VALU_DEP_1)
	v_mul_f64 v[9:10], v[11:12], v[7:8]
	v_fma_f64 v[5:6], -v[5:6], v[9:10], v[11:12]
	s_delay_alu instid0(VALU_DEP_1) | instskip(NEXT) | instid1(VALU_DEP_1)
	v_div_fmas_f64 v[5:6], v[5:6], v[7:8], v[9:10]
	v_div_fixup_f64 v[5:6], v[5:6], v[2:3], v[0:1]
	s_delay_alu instid0(VALU_DEP_1) | instskip(NEXT) | instid1(VALU_DEP_1)
	v_fma_f64 v[0:1], v[0:1], v[5:6], v[2:3]
	v_div_scale_f64 v[2:3], null, v[0:1], v[0:1], 1.0
	s_delay_alu instid0(VALU_DEP_1) | instskip(SKIP_2) | instid1(VALU_DEP_1)
	v_rcp_f64_e32 v[7:8], v[2:3]
	s_waitcnt_depctr 0xfff
	v_fma_f64 v[9:10], -v[2:3], v[7:8], 1.0
	v_fma_f64 v[7:8], v[7:8], v[9:10], v[7:8]
	s_delay_alu instid0(VALU_DEP_1) | instskip(NEXT) | instid1(VALU_DEP_1)
	v_fma_f64 v[9:10], -v[2:3], v[7:8], 1.0
	v_fma_f64 v[7:8], v[7:8], v[9:10], v[7:8]
	v_div_scale_f64 v[9:10], vcc_lo, 1.0, v[0:1], 1.0
	s_delay_alu instid0(VALU_DEP_1) | instskip(NEXT) | instid1(VALU_DEP_1)
	v_mul_f64 v[11:12], v[9:10], v[7:8]
	v_fma_f64 v[2:3], -v[2:3], v[11:12], v[9:10]
	s_delay_alu instid0(VALU_DEP_1) | instskip(NEXT) | instid1(VALU_DEP_1)
	v_div_fmas_f64 v[2:3], v[2:3], v[7:8], v[11:12]
	v_div_fixup_f64 v[2:3], v[2:3], v[0:1], 1.0
	s_delay_alu instid0(VALU_DEP_1)
	v_mul_f64 v[0:1], v[5:6], v[2:3]
	v_xor_b32_e32 v3, 0x80000000, v3
.LBB126_231:
	s_and_not1_saveexec_b32 s2, s2
	s_cbranch_execz .LBB126_233
; %bb.232:
	s_delay_alu instid0(VALU_DEP_1) | instskip(SKIP_1) | instid1(VALU_DEP_2)
	v_div_scale_f64 v[5:6], null, v[0:1], v[0:1], v[2:3]
	v_div_scale_f64 v[11:12], vcc_lo, v[2:3], v[0:1], v[2:3]
	v_rcp_f64_e32 v[7:8], v[5:6]
	s_waitcnt_depctr 0xfff
	v_fma_f64 v[9:10], -v[5:6], v[7:8], 1.0
	s_delay_alu instid0(VALU_DEP_1) | instskip(NEXT) | instid1(VALU_DEP_1)
	v_fma_f64 v[7:8], v[7:8], v[9:10], v[7:8]
	v_fma_f64 v[9:10], -v[5:6], v[7:8], 1.0
	s_delay_alu instid0(VALU_DEP_1) | instskip(NEXT) | instid1(VALU_DEP_1)
	v_fma_f64 v[7:8], v[7:8], v[9:10], v[7:8]
	v_mul_f64 v[9:10], v[11:12], v[7:8]
	s_delay_alu instid0(VALU_DEP_1) | instskip(NEXT) | instid1(VALU_DEP_1)
	v_fma_f64 v[5:6], -v[5:6], v[9:10], v[11:12]
	v_div_fmas_f64 v[5:6], v[5:6], v[7:8], v[9:10]
	s_delay_alu instid0(VALU_DEP_1) | instskip(NEXT) | instid1(VALU_DEP_1)
	v_div_fixup_f64 v[5:6], v[5:6], v[0:1], v[2:3]
	v_fma_f64 v[0:1], v[2:3], v[5:6], v[0:1]
	s_delay_alu instid0(VALU_DEP_1) | instskip(NEXT) | instid1(VALU_DEP_1)
	v_div_scale_f64 v[2:3], null, v[0:1], v[0:1], 1.0
	v_rcp_f64_e32 v[7:8], v[2:3]
	s_waitcnt_depctr 0xfff
	v_fma_f64 v[9:10], -v[2:3], v[7:8], 1.0
	s_delay_alu instid0(VALU_DEP_1) | instskip(NEXT) | instid1(VALU_DEP_1)
	v_fma_f64 v[7:8], v[7:8], v[9:10], v[7:8]
	v_fma_f64 v[9:10], -v[2:3], v[7:8], 1.0
	s_delay_alu instid0(VALU_DEP_1) | instskip(SKIP_1) | instid1(VALU_DEP_1)
	v_fma_f64 v[7:8], v[7:8], v[9:10], v[7:8]
	v_div_scale_f64 v[9:10], vcc_lo, 1.0, v[0:1], 1.0
	v_mul_f64 v[11:12], v[9:10], v[7:8]
	s_delay_alu instid0(VALU_DEP_1) | instskip(NEXT) | instid1(VALU_DEP_1)
	v_fma_f64 v[2:3], -v[2:3], v[11:12], v[9:10]
	v_div_fmas_f64 v[2:3], v[2:3], v[7:8], v[11:12]
	s_delay_alu instid0(VALU_DEP_1) | instskip(NEXT) | instid1(VALU_DEP_1)
	v_div_fixup_f64 v[0:1], v[2:3], v[0:1], 1.0
	v_mul_f64 v[2:3], v[5:6], -v[0:1]
.LBB126_233:
	s_or_b32 exec_lo, exec_lo, s2
.LBB126_234:
	s_delay_alu instid0(SALU_CYCLE_1) | instskip(NEXT) | instid1(SALU_CYCLE_1)
	s_or_b32 exec_lo, exec_lo, s3
	s_mov_b32 s2, exec_lo
	v_cmpx_ne_u32_e64 v41, v4
	s_xor_b32 s2, exec_lo, s2
	s_cbranch_execz .LBB126_240
; %bb.235:
	s_mov_b32 s3, exec_lo
	v_cmpx_eq_u32_e32 9, v41
	s_cbranch_execz .LBB126_239
; %bb.236:
	v_cmp_ne_u32_e32 vcc_lo, 9, v4
	s_xor_b32 s6, s4, -1
	s_delay_alu instid0(SALU_CYCLE_1) | instskip(NEXT) | instid1(SALU_CYCLE_1)
	s_and_b32 s7, s6, vcc_lo
	s_and_saveexec_b32 s6, s7
	s_cbranch_execz .LBB126_238
; %bb.237:
	v_ashrrev_i32_e32 v5, 31, v4
	s_delay_alu instid0(VALU_DEP_1) | instskip(NEXT) | instid1(VALU_DEP_1)
	v_lshlrev_b64 v[5:6], 2, v[4:5]
	v_add_co_u32 v5, vcc_lo, v250, v5
	s_delay_alu instid0(VALU_DEP_2)
	v_add_co_ci_u32_e32 v6, vcc_lo, v251, v6, vcc_lo
	s_clause 0x1
	flat_load_b32 v7, v[5:6]
	flat_load_b32 v8, v[250:251] offset:36
	s_waitcnt vmcnt(1) lgkmcnt(1)
	flat_store_b32 v[250:251], v7 offset:36
	s_waitcnt vmcnt(0) lgkmcnt(1)
	flat_store_b32 v[5:6], v8
.LBB126_238:
	s_or_b32 exec_lo, exec_lo, s6
	v_mov_b32_e32 v41, v4
	v_mov_b32_e32 v39, v4
.LBB126_239:
	s_or_b32 exec_lo, exec_lo, s3
.LBB126_240:
	s_and_not1_saveexec_b32 s2, s2
	s_cbranch_execz .LBB126_244
; %bb.241:
	v_add3_u32 v4, v38, 0, 0xa0
	v_mov_b32_e32 v5, 0
	s_mov_b32 s3, 0
.LBB126_242:                            ; =>This Inner Loop Header: Depth=1
	s_delay_alu instid0(VALU_DEP_1) | instskip(NEXT) | instid1(VALU_DEP_3)
	v_readfirstlane_b32 s6, v5
	v_add_nc_u32_e32 v18, s3, v4
	s_delay_alu instid0(VALU_DEP_2)
	s_add_i32 s6, s6, s3
	s_addk_i32 s3, 0x120
	s_add_i32 s7, s6, 0xa0
	s_add_i32 s9, s6, 0xb0
	;; [unrolled: 1-line block ×17, first 2 shown]
	s_addk_i32 s6, 0x1b0
	s_clause 0x11
	scratch_load_b128 v[6:9], off, s7
	scratch_load_b128 v[10:13], off, s9
	;; [unrolled: 1-line block ×18, first 2 shown]
	s_cmpk_eq_i32 s3, 0x360
	s_waitcnt vmcnt(17)
	ds_store_2addr_b64 v18, v[6:7], v[8:9] offset1:1
	s_waitcnt vmcnt(16)
	ds_store_2addr_b64 v18, v[10:11], v[12:13] offset0:2 offset1:3
	s_waitcnt vmcnt(15)
	ds_store_2addr_b64 v18, v[14:15], v[16:17] offset0:4 offset1:5
	;; [unrolled: 2-line block ×17, first 2 shown]
	s_cbranch_scc0 .LBB126_242
; %bb.243:
	v_mov_b32_e32 v41, 9
.LBB126_244:
	s_or_b32 exec_lo, exec_lo, s2
	s_delay_alu instid0(SALU_CYCLE_1)
	s_mov_b32 s2, exec_lo
	s_waitcnt lgkmcnt(0)
	s_waitcnt_vscnt null, 0x0
	s_barrier
	buffer_gl0_inv
	v_cmpx_lt_i32_e32 9, v41
	s_cbranch_execz .LBB126_247
; %bb.245:
	scratch_load_b128 v[4:7], off, off offset:144
	s_mov_b32 s3, 0
	s_waitcnt vmcnt(0)
	v_mul_f64 v[8:9], v[2:3], v[6:7]
	v_mul_f64 v[6:7], v[0:1], v[6:7]
	s_delay_alu instid0(VALU_DEP_2) | instskip(NEXT) | instid1(VALU_DEP_2)
	v_fma_f64 v[0:1], v[0:1], v[4:5], -v[8:9]
	v_fma_f64 v[2:3], v[2:3], v[4:5], v[6:7]
	v_add3_u32 v4, v38, 0, 0xa0
	v_mov_b32_e32 v5, 0
	scratch_store_b128 off, v[0:3], off offset:144
.LBB126_246:                            ; =>This Inner Loop Header: Depth=1
	v_readfirstlane_b32 s6, v5
	v_add_nc_u32_e32 v18, s3, v4
	s_delay_alu instid0(VALU_DEP_2)
	s_add_i32 s7, s6, s3
	s_addk_i32 s3, 0x60
	s_add_i32 s6, s7, 0xa0
	s_add_i32 s9, s7, 0xb0
	;; [unrolled: 1-line block ×5, first 2 shown]
	s_addk_i32 s7, 0xf0
	s_clause 0x5
	scratch_load_b128 v[6:9], off, s6
	scratch_load_b128 v[10:13], off, s9
	;; [unrolled: 1-line block ×6, first 2 shown]
	ds_load_2addr_b64 v[65:68], v18 offset1:1
	ds_load_2addr_b64 v[69:72], v18 offset0:2 offset1:3
	ds_load_2addr_b64 v[81:84], v18 offset0:4 offset1:5
	;; [unrolled: 1-line block ×5, first 2 shown]
	s_cmpk_lg_i32 s3, 0x360
	s_waitcnt lgkmcnt(5)
	v_mul_f64 v[18:19], v[67:68], v[2:3]
	v_mul_f64 v[46:47], v[65:66], v[2:3]
	s_waitcnt lgkmcnt(4)
	v_mul_f64 v[57:58], v[71:72], v[2:3]
	v_mul_f64 v[61:62], v[69:70], v[2:3]
	;; [unrolled: 3-line block ×6, first 2 shown]
	v_fma_f64 v[18:19], v[65:66], v[0:1], -v[18:19]
	v_fma_f64 v[46:47], v[67:68], v[0:1], v[46:47]
	v_fma_f64 v[57:58], v[69:70], v[0:1], -v[57:58]
	v_fma_f64 v[61:62], v[71:72], v[0:1], v[61:62]
	;; [unrolled: 2-line block ×6, first 2 shown]
	s_waitcnt vmcnt(5)
	v_add_f64 v[6:7], v[6:7], -v[18:19]
	v_add_f64 v[8:9], v[8:9], -v[46:47]
	s_waitcnt vmcnt(4)
	v_add_f64 v[10:11], v[10:11], -v[57:58]
	v_add_f64 v[12:13], v[12:13], -v[61:62]
	;; [unrolled: 3-line block ×6, first 2 shown]
	s_clause 0x5
	scratch_store_b128 off, v[6:9], s6
	scratch_store_b128 off, v[10:13], s9
	;; [unrolled: 1-line block ×6, first 2 shown]
	s_cbranch_scc1 .LBB126_246
.LBB126_247:
	s_or_b32 exec_lo, exec_lo, s2
	s_waitcnt_vscnt null, 0x0
	s_barrier
	buffer_gl0_inv
	scratch_load_b128 v[0:3], v34, off
	v_lshl_add_u32 v4, v41, 4, v36
	s_cmp_lt_i32 s5, 12
	s_waitcnt vmcnt(0)
	ds_store_2addr_b64 v4, v[0:1], v[2:3] offset1:1
	s_waitcnt lgkmcnt(0)
	s_barrier
	buffer_gl0_inv
	ds_load_2addr_b64 v[0:3], v36 offset0:20 offset1:21
	v_mov_b32_e32 v4, 10
	s_cbranch_scc1 .LBB126_250
; %bb.248:
	v_add3_u32 v5, v38, 0, 0xb0
	v_mov_b32_e32 v4, 10
	s_mov_b32 s6, 11
	s_set_inst_prefetch_distance 0x1
	.p2align	6
.LBB126_249:                            ; =>This Inner Loop Header: Depth=1
	ds_load_2addr_b64 v[6:9], v5 offset1:1
	s_waitcnt lgkmcnt(1)
	v_cmp_gt_f64_e32 vcc_lo, 0, v[0:1]
	v_xor_b32_e32 v10, 0x80000000, v1
	v_cmp_gt_f64_e64 s2, 0, v[2:3]
	v_xor_b32_e32 v12, 0x80000000, v3
	v_add_nc_u32_e32 v5, 16, v5
	s_waitcnt lgkmcnt(0)
	v_cmp_gt_f64_e64 s3, 0, v[6:7]
	v_mov_b32_e32 v14, v6
	v_dual_mov_b32 v16, v8 :: v_dual_cndmask_b32 v11, v1, v10
	v_xor_b32_e32 v10, 0x80000000, v7
	v_cndmask_b32_e64 v13, v3, v12, s2
	v_xor_b32_e32 v12, 0x80000000, v9
	s_delay_alu instid0(VALU_DEP_3) | instskip(SKIP_2) | instid1(VALU_DEP_2)
	v_cndmask_b32_e64 v15, v7, v10, s3
	v_cmp_gt_f64_e64 s3, 0, v[8:9]
	v_cndmask_b32_e32 v10, v0, v0, vcc_lo
	v_cndmask_b32_e64 v17, v9, v12, s3
	v_cndmask_b32_e64 v12, v2, v2, s2
	s_delay_alu instid0(VALU_DEP_2) | instskip(NEXT) | instid1(VALU_DEP_2)
	v_add_f64 v[14:15], v[14:15], v[16:17]
	v_add_f64 v[10:11], v[10:11], v[12:13]
	s_delay_alu instid0(VALU_DEP_1)
	v_cmp_lt_f64_e32 vcc_lo, v[10:11], v[14:15]
	v_cndmask_b32_e32 v3, v3, v9, vcc_lo
	v_dual_cndmask_b32 v1, v1, v7 :: v_dual_cndmask_b32 v0, v0, v6
	v_cndmask_b32_e32 v2, v2, v8, vcc_lo
	v_cndmask_b32_e64 v4, v4, s6, vcc_lo
	s_add_i32 s6, s6, 1
	s_delay_alu instid0(SALU_CYCLE_1)
	s_cmp_lg_u32 s5, s6
	s_cbranch_scc1 .LBB126_249
.LBB126_250:
	s_set_inst_prefetch_distance 0x2
	s_waitcnt lgkmcnt(0)
	v_cmp_eq_f64_e32 vcc_lo, 0, v[0:1]
	v_cmp_eq_f64_e64 s2, 0, v[2:3]
	s_delay_alu instid0(VALU_DEP_1) | instskip(NEXT) | instid1(SALU_CYCLE_1)
	s_and_b32 s2, vcc_lo, s2
	s_and_saveexec_b32 s3, s2
	s_delay_alu instid0(SALU_CYCLE_1)
	s_xor_b32 s2, exec_lo, s3
; %bb.251:
	v_cmp_ne_u32_e32 vcc_lo, 0, v37
	v_cndmask_b32_e32 v37, 11, v37, vcc_lo
; %bb.252:
	s_and_not1_saveexec_b32 s3, s2
	s_cbranch_execz .LBB126_258
; %bb.253:
	v_cmp_gt_f64_e32 vcc_lo, 0, v[0:1]
	v_cmp_gt_f64_e64 s2, 0, v[2:3]
	v_xor_b32_e32 v5, 0x80000000, v1
	v_xor_b32_e32 v7, 0x80000000, v3
	s_delay_alu instid0(VALU_DEP_2) | instskip(NEXT) | instid1(VALU_DEP_2)
	v_dual_cndmask_b32 v6, v1, v5 :: v_dual_cndmask_b32 v5, v0, v0
	v_cndmask_b32_e64 v8, v3, v7, s2
	v_cndmask_b32_e64 v7, v2, v2, s2
	s_mov_b32 s2, exec_lo
	s_delay_alu instid0(VALU_DEP_1)
	v_cmpx_ngt_f64_e32 v[5:6], v[7:8]
	s_xor_b32 s2, exec_lo, s2
	s_cbranch_execz .LBB126_255
; %bb.254:
	v_div_scale_f64 v[5:6], null, v[2:3], v[2:3], v[0:1]
	v_div_scale_f64 v[11:12], vcc_lo, v[0:1], v[2:3], v[0:1]
	s_delay_alu instid0(VALU_DEP_2) | instskip(SKIP_2) | instid1(VALU_DEP_1)
	v_rcp_f64_e32 v[7:8], v[5:6]
	s_waitcnt_depctr 0xfff
	v_fma_f64 v[9:10], -v[5:6], v[7:8], 1.0
	v_fma_f64 v[7:8], v[7:8], v[9:10], v[7:8]
	s_delay_alu instid0(VALU_DEP_1) | instskip(NEXT) | instid1(VALU_DEP_1)
	v_fma_f64 v[9:10], -v[5:6], v[7:8], 1.0
	v_fma_f64 v[7:8], v[7:8], v[9:10], v[7:8]
	s_delay_alu instid0(VALU_DEP_1) | instskip(NEXT) | instid1(VALU_DEP_1)
	v_mul_f64 v[9:10], v[11:12], v[7:8]
	v_fma_f64 v[5:6], -v[5:6], v[9:10], v[11:12]
	s_delay_alu instid0(VALU_DEP_1) | instskip(NEXT) | instid1(VALU_DEP_1)
	v_div_fmas_f64 v[5:6], v[5:6], v[7:8], v[9:10]
	v_div_fixup_f64 v[5:6], v[5:6], v[2:3], v[0:1]
	s_delay_alu instid0(VALU_DEP_1) | instskip(NEXT) | instid1(VALU_DEP_1)
	v_fma_f64 v[0:1], v[0:1], v[5:6], v[2:3]
	v_div_scale_f64 v[2:3], null, v[0:1], v[0:1], 1.0
	s_delay_alu instid0(VALU_DEP_1) | instskip(SKIP_2) | instid1(VALU_DEP_1)
	v_rcp_f64_e32 v[7:8], v[2:3]
	s_waitcnt_depctr 0xfff
	v_fma_f64 v[9:10], -v[2:3], v[7:8], 1.0
	v_fma_f64 v[7:8], v[7:8], v[9:10], v[7:8]
	s_delay_alu instid0(VALU_DEP_1) | instskip(NEXT) | instid1(VALU_DEP_1)
	v_fma_f64 v[9:10], -v[2:3], v[7:8], 1.0
	v_fma_f64 v[7:8], v[7:8], v[9:10], v[7:8]
	v_div_scale_f64 v[9:10], vcc_lo, 1.0, v[0:1], 1.0
	s_delay_alu instid0(VALU_DEP_1) | instskip(NEXT) | instid1(VALU_DEP_1)
	v_mul_f64 v[11:12], v[9:10], v[7:8]
	v_fma_f64 v[2:3], -v[2:3], v[11:12], v[9:10]
	s_delay_alu instid0(VALU_DEP_1) | instskip(NEXT) | instid1(VALU_DEP_1)
	v_div_fmas_f64 v[2:3], v[2:3], v[7:8], v[11:12]
	v_div_fixup_f64 v[2:3], v[2:3], v[0:1], 1.0
	s_delay_alu instid0(VALU_DEP_1)
	v_mul_f64 v[0:1], v[5:6], v[2:3]
	v_xor_b32_e32 v3, 0x80000000, v3
.LBB126_255:
	s_and_not1_saveexec_b32 s2, s2
	s_cbranch_execz .LBB126_257
; %bb.256:
	s_delay_alu instid0(VALU_DEP_1) | instskip(SKIP_1) | instid1(VALU_DEP_2)
	v_div_scale_f64 v[5:6], null, v[0:1], v[0:1], v[2:3]
	v_div_scale_f64 v[11:12], vcc_lo, v[2:3], v[0:1], v[2:3]
	v_rcp_f64_e32 v[7:8], v[5:6]
	s_waitcnt_depctr 0xfff
	v_fma_f64 v[9:10], -v[5:6], v[7:8], 1.0
	s_delay_alu instid0(VALU_DEP_1) | instskip(NEXT) | instid1(VALU_DEP_1)
	v_fma_f64 v[7:8], v[7:8], v[9:10], v[7:8]
	v_fma_f64 v[9:10], -v[5:6], v[7:8], 1.0
	s_delay_alu instid0(VALU_DEP_1) | instskip(NEXT) | instid1(VALU_DEP_1)
	v_fma_f64 v[7:8], v[7:8], v[9:10], v[7:8]
	v_mul_f64 v[9:10], v[11:12], v[7:8]
	s_delay_alu instid0(VALU_DEP_1) | instskip(NEXT) | instid1(VALU_DEP_1)
	v_fma_f64 v[5:6], -v[5:6], v[9:10], v[11:12]
	v_div_fmas_f64 v[5:6], v[5:6], v[7:8], v[9:10]
	s_delay_alu instid0(VALU_DEP_1) | instskip(NEXT) | instid1(VALU_DEP_1)
	v_div_fixup_f64 v[5:6], v[5:6], v[0:1], v[2:3]
	v_fma_f64 v[0:1], v[2:3], v[5:6], v[0:1]
	s_delay_alu instid0(VALU_DEP_1) | instskip(NEXT) | instid1(VALU_DEP_1)
	v_div_scale_f64 v[2:3], null, v[0:1], v[0:1], 1.0
	v_rcp_f64_e32 v[7:8], v[2:3]
	s_waitcnt_depctr 0xfff
	v_fma_f64 v[9:10], -v[2:3], v[7:8], 1.0
	s_delay_alu instid0(VALU_DEP_1) | instskip(NEXT) | instid1(VALU_DEP_1)
	v_fma_f64 v[7:8], v[7:8], v[9:10], v[7:8]
	v_fma_f64 v[9:10], -v[2:3], v[7:8], 1.0
	s_delay_alu instid0(VALU_DEP_1) | instskip(SKIP_1) | instid1(VALU_DEP_1)
	v_fma_f64 v[7:8], v[7:8], v[9:10], v[7:8]
	v_div_scale_f64 v[9:10], vcc_lo, 1.0, v[0:1], 1.0
	v_mul_f64 v[11:12], v[9:10], v[7:8]
	s_delay_alu instid0(VALU_DEP_1) | instskip(NEXT) | instid1(VALU_DEP_1)
	v_fma_f64 v[2:3], -v[2:3], v[11:12], v[9:10]
	v_div_fmas_f64 v[2:3], v[2:3], v[7:8], v[11:12]
	s_delay_alu instid0(VALU_DEP_1) | instskip(NEXT) | instid1(VALU_DEP_1)
	v_div_fixup_f64 v[0:1], v[2:3], v[0:1], 1.0
	v_mul_f64 v[2:3], v[5:6], -v[0:1]
.LBB126_257:
	s_or_b32 exec_lo, exec_lo, s2
.LBB126_258:
	s_delay_alu instid0(SALU_CYCLE_1) | instskip(NEXT) | instid1(SALU_CYCLE_1)
	s_or_b32 exec_lo, exec_lo, s3
	s_mov_b32 s2, exec_lo
	v_cmpx_ne_u32_e64 v41, v4
	s_xor_b32 s2, exec_lo, s2
	s_cbranch_execz .LBB126_264
; %bb.259:
	s_mov_b32 s3, exec_lo
	v_cmpx_eq_u32_e32 10, v41
	s_cbranch_execz .LBB126_263
; %bb.260:
	v_cmp_ne_u32_e32 vcc_lo, 10, v4
	s_xor_b32 s6, s4, -1
	s_delay_alu instid0(SALU_CYCLE_1) | instskip(NEXT) | instid1(SALU_CYCLE_1)
	s_and_b32 s7, s6, vcc_lo
	s_and_saveexec_b32 s6, s7
	s_cbranch_execz .LBB126_262
; %bb.261:
	v_ashrrev_i32_e32 v5, 31, v4
	s_delay_alu instid0(VALU_DEP_1) | instskip(NEXT) | instid1(VALU_DEP_1)
	v_lshlrev_b64 v[5:6], 2, v[4:5]
	v_add_co_u32 v5, vcc_lo, v250, v5
	s_delay_alu instid0(VALU_DEP_2)
	v_add_co_ci_u32_e32 v6, vcc_lo, v251, v6, vcc_lo
	s_clause 0x1
	flat_load_b32 v7, v[5:6]
	flat_load_b32 v8, v[250:251] offset:40
	s_waitcnt vmcnt(1) lgkmcnt(1)
	flat_store_b32 v[250:251], v7 offset:40
	s_waitcnt vmcnt(0) lgkmcnt(1)
	flat_store_b32 v[5:6], v8
.LBB126_262:
	s_or_b32 exec_lo, exec_lo, s6
	v_mov_b32_e32 v41, v4
	v_mov_b32_e32 v39, v4
.LBB126_263:
	s_or_b32 exec_lo, exec_lo, s3
.LBB126_264:
	s_and_not1_saveexec_b32 s2, s2
	s_cbranch_execz .LBB126_270
; %bb.265:
	v_add3_u32 v4, v38, 0, 0xb0
	v_mov_b32_e32 v5, 0
	s_mov_b32 s3, 0
	s_branch .LBB126_267
.LBB126_266:                            ;   in Loop: Header=BB126_267 Depth=1
	s_and_not1_b32 vcc_lo, exec_lo, s7
	s_cbranch_vccz .LBB126_269
.LBB126_267:                            ; =>This Inner Loop Header: Depth=1
	s_delay_alu instid0(VALU_DEP_1) | instskip(SKIP_1) | instid1(VALU_DEP_2)
	v_readfirstlane_b32 s6, v5
	v_add_nc_u32_e32 v6, s3, v4
	s_add_i32 s6, s6, s3
	s_delay_alu instid0(SALU_CYCLE_1)
	s_add_i32 s7, s6, 0xb0
	s_add_i32 s9, s6, 0xc0
	;; [unrolled: 1-line block ×5, first 2 shown]
	s_clause 0x4
	scratch_load_b128 v[7:10], off, s7
	scratch_load_b128 v[11:14], off, s9
	;; [unrolled: 1-line block ×5, first 2 shown]
	s_mov_b32 s7, -1
	s_cmpk_eq_i32 s3, 0x300
	s_waitcnt vmcnt(4)
	ds_store_2addr_b64 v6, v[7:8], v[9:10] offset1:1
	s_waitcnt vmcnt(3)
	ds_store_2addr_b64 v6, v[11:12], v[13:14] offset0:2 offset1:3
	s_waitcnt vmcnt(2)
	ds_store_2addr_b64 v6, v[41:42], v[43:44] offset0:4 offset1:5
	;; [unrolled: 2-line block ×4, first 2 shown]
	s_cbranch_scc1 .LBB126_266
; %bb.268:                              ;   in Loop: Header=BB126_267 Depth=1
	s_add_i32 s7, s6, 0x100
	s_add_i32 s9, s6, 0x110
	s_addk_i32 s6, 0x120
	s_clause 0x2
	scratch_load_b128 v[7:10], off, s7
	scratch_load_b128 v[11:14], off, s9
	;; [unrolled: 1-line block ×3, first 2 shown]
	s_addk_i32 s3, 0x80
	s_mov_b32 s7, 0
	s_waitcnt vmcnt(2)
	ds_store_2addr_b64 v6, v[7:8], v[9:10] offset0:10 offset1:11
	s_waitcnt vmcnt(1)
	ds_store_2addr_b64 v6, v[11:12], v[13:14] offset0:12 offset1:13
	;; [unrolled: 2-line block ×3, first 2 shown]
	s_branch .LBB126_266
.LBB126_269:
	v_mov_b32_e32 v41, 10
.LBB126_270:
	s_or_b32 exec_lo, exec_lo, s2
	s_delay_alu instid0(SALU_CYCLE_1)
	s_mov_b32 s2, exec_lo
	s_waitcnt lgkmcnt(0)
	s_waitcnt_vscnt null, 0x0
	s_barrier
	buffer_gl0_inv
	v_cmpx_lt_i32_e32 10, v41
	s_cbranch_execz .LBB126_275
; %bb.271:
	scratch_load_b128 v[4:7], off, off offset:160
	s_mov_b32 s3, 0
	s_waitcnt vmcnt(0)
	v_mul_f64 v[8:9], v[2:3], v[6:7]
	v_mul_f64 v[6:7], v[0:1], v[6:7]
	s_delay_alu instid0(VALU_DEP_2) | instskip(NEXT) | instid1(VALU_DEP_2)
	v_fma_f64 v[0:1], v[0:1], v[4:5], -v[8:9]
	v_fma_f64 v[2:3], v[2:3], v[4:5], v[6:7]
	v_add3_u32 v4, v38, 0, 0xb0
	v_mov_b32_e32 v5, 0
	scratch_store_b128 off, v[0:3], off offset:160
	s_branch .LBB126_273
.LBB126_272:                            ;   in Loop: Header=BB126_273 Depth=1
	s_and_not1_b32 vcc_lo, exec_lo, s7
	s_cbranch_vccz .LBB126_275
.LBB126_273:                            ; =>This Inner Loop Header: Depth=1
	v_readfirstlane_b32 s6, v5
	v_add_nc_u32_e32 v6, s3, v4
	s_mov_b32 s7, -1
	s_delay_alu instid0(VALU_DEP_2)
	s_add_i32 s6, s6, s3
	ds_load_2addr_b64 v[11:14], v6 offset1:1
	s_add_i32 s9, s6, 0xb0
	s_cmpk_eq_i32 s3, 0x340
	scratch_load_b128 v[7:10], off, s9
	s_waitcnt lgkmcnt(0)
	v_mul_f64 v[15:16], v[13:14], v[2:3]
	v_mul_f64 v[17:18], v[11:12], v[2:3]
	s_delay_alu instid0(VALU_DEP_2) | instskip(NEXT) | instid1(VALU_DEP_2)
	v_fma_f64 v[11:12], v[11:12], v[0:1], -v[15:16]
	v_fma_f64 v[13:14], v[13:14], v[0:1], v[17:18]
	s_waitcnt vmcnt(0)
	s_delay_alu instid0(VALU_DEP_2) | instskip(NEXT) | instid1(VALU_DEP_2)
	v_add_f64 v[7:8], v[7:8], -v[11:12]
	v_add_f64 v[9:10], v[9:10], -v[13:14]
	scratch_store_b128 off, v[7:10], s9
	s_cbranch_scc1 .LBB126_272
; %bb.274:                              ;   in Loop: Header=BB126_273 Depth=1
	s_add_i32 s9, s6, 0xc0
	s_add_i32 s12, s6, 0xd0
	scratch_load_b128 v[7:10], off, s9
	s_addk_i32 s6, 0xe0
	s_clause 0x1
	scratch_load_b128 v[11:14], off, s12
	scratch_load_b128 v[42:45], off, s6
	ds_load_2addr_b64 v[49:52], v6 offset0:2 offset1:3
	ds_load_2addr_b64 v[53:56], v6 offset0:4 offset1:5
	ds_load_2addr_b64 v[65:68], v6 offset0:6 offset1:7
	s_add_i32 s3, s3, 64
	s_mov_b32 s7, 0
	s_waitcnt lgkmcnt(2)
	v_mul_f64 v[15:16], v[51:52], v[2:3]
	v_mul_f64 v[17:18], v[49:50], v[2:3]
	s_waitcnt lgkmcnt(1)
	v_mul_f64 v[46:47], v[55:56], v[2:3]
	v_mul_f64 v[57:58], v[53:54], v[2:3]
	s_waitcnt lgkmcnt(0)
	v_mul_f64 v[61:62], v[67:68], v[2:3]
	v_mul_f64 v[69:70], v[65:66], v[2:3]
	v_fma_f64 v[15:16], v[49:50], v[0:1], -v[15:16]
	v_fma_f64 v[17:18], v[51:52], v[0:1], v[17:18]
	v_fma_f64 v[46:47], v[53:54], v[0:1], -v[46:47]
	v_fma_f64 v[49:50], v[55:56], v[0:1], v[57:58]
	;; [unrolled: 2-line block ×3, first 2 shown]
	s_waitcnt vmcnt(2)
	v_add_f64 v[6:7], v[7:8], -v[15:16]
	v_add_f64 v[8:9], v[9:10], -v[17:18]
	s_waitcnt vmcnt(1)
	v_add_f64 v[10:11], v[11:12], -v[46:47]
	v_add_f64 v[12:13], v[13:14], -v[49:50]
	s_waitcnt vmcnt(0)
	v_add_f64 v[14:15], v[42:43], -v[51:52]
	v_add_f64 v[16:17], v[44:45], -v[53:54]
	s_clause 0x2
	scratch_store_b128 off, v[6:9], s9
	scratch_store_b128 off, v[10:13], s12
	;; [unrolled: 1-line block ×3, first 2 shown]
	s_branch .LBB126_272
.LBB126_275:
	s_or_b32 exec_lo, exec_lo, s2
	s_waitcnt_vscnt null, 0x0
	s_barrier
	buffer_gl0_inv
	scratch_load_b128 v[0:3], v33, off
	v_lshl_add_u32 v4, v41, 4, v36
	s_cmp_lt_i32 s5, 13
	s_waitcnt vmcnt(0)
	ds_store_2addr_b64 v4, v[0:1], v[2:3] offset1:1
	s_waitcnt lgkmcnt(0)
	s_barrier
	buffer_gl0_inv
	ds_load_2addr_b64 v[0:3], v36 offset0:22 offset1:23
	v_mov_b32_e32 v4, 11
	s_cbranch_scc1 .LBB126_278
; %bb.276:
	v_add3_u32 v5, v38, 0, 0xc0
	v_mov_b32_e32 v4, 11
	s_mov_b32 s6, 12
	s_set_inst_prefetch_distance 0x1
	.p2align	6
.LBB126_277:                            ; =>This Inner Loop Header: Depth=1
	ds_load_2addr_b64 v[6:9], v5 offset1:1
	s_waitcnt lgkmcnt(1)
	v_cmp_gt_f64_e32 vcc_lo, 0, v[0:1]
	v_xor_b32_e32 v10, 0x80000000, v1
	v_cmp_gt_f64_e64 s2, 0, v[2:3]
	v_xor_b32_e32 v12, 0x80000000, v3
	v_add_nc_u32_e32 v5, 16, v5
	s_waitcnt lgkmcnt(0)
	v_cmp_gt_f64_e64 s3, 0, v[6:7]
	v_mov_b32_e32 v14, v6
	v_dual_mov_b32 v16, v8 :: v_dual_cndmask_b32 v11, v1, v10
	v_xor_b32_e32 v10, 0x80000000, v7
	v_cndmask_b32_e64 v13, v3, v12, s2
	v_xor_b32_e32 v12, 0x80000000, v9
	s_delay_alu instid0(VALU_DEP_3) | instskip(SKIP_2) | instid1(VALU_DEP_2)
	v_cndmask_b32_e64 v15, v7, v10, s3
	v_cmp_gt_f64_e64 s3, 0, v[8:9]
	v_cndmask_b32_e32 v10, v0, v0, vcc_lo
	v_cndmask_b32_e64 v17, v9, v12, s3
	v_cndmask_b32_e64 v12, v2, v2, s2
	s_delay_alu instid0(VALU_DEP_2) | instskip(NEXT) | instid1(VALU_DEP_2)
	v_add_f64 v[14:15], v[14:15], v[16:17]
	v_add_f64 v[10:11], v[10:11], v[12:13]
	s_delay_alu instid0(VALU_DEP_1)
	v_cmp_lt_f64_e32 vcc_lo, v[10:11], v[14:15]
	v_cndmask_b32_e32 v3, v3, v9, vcc_lo
	v_dual_cndmask_b32 v1, v1, v7 :: v_dual_cndmask_b32 v0, v0, v6
	v_cndmask_b32_e32 v2, v2, v8, vcc_lo
	v_cndmask_b32_e64 v4, v4, s6, vcc_lo
	s_add_i32 s6, s6, 1
	s_delay_alu instid0(SALU_CYCLE_1)
	s_cmp_lg_u32 s5, s6
	s_cbranch_scc1 .LBB126_277
.LBB126_278:
	s_set_inst_prefetch_distance 0x2
	s_waitcnt lgkmcnt(0)
	v_cmp_eq_f64_e32 vcc_lo, 0, v[0:1]
	v_cmp_eq_f64_e64 s2, 0, v[2:3]
	s_delay_alu instid0(VALU_DEP_1) | instskip(NEXT) | instid1(SALU_CYCLE_1)
	s_and_b32 s2, vcc_lo, s2
	s_and_saveexec_b32 s3, s2
	s_delay_alu instid0(SALU_CYCLE_1)
	s_xor_b32 s2, exec_lo, s3
; %bb.279:
	v_cmp_ne_u32_e32 vcc_lo, 0, v37
	v_cndmask_b32_e32 v37, 12, v37, vcc_lo
; %bb.280:
	s_and_not1_saveexec_b32 s3, s2
	s_cbranch_execz .LBB126_286
; %bb.281:
	v_cmp_gt_f64_e32 vcc_lo, 0, v[0:1]
	v_cmp_gt_f64_e64 s2, 0, v[2:3]
	v_xor_b32_e32 v5, 0x80000000, v1
	v_xor_b32_e32 v7, 0x80000000, v3
	s_delay_alu instid0(VALU_DEP_2) | instskip(NEXT) | instid1(VALU_DEP_2)
	v_dual_cndmask_b32 v6, v1, v5 :: v_dual_cndmask_b32 v5, v0, v0
	v_cndmask_b32_e64 v8, v3, v7, s2
	v_cndmask_b32_e64 v7, v2, v2, s2
	s_mov_b32 s2, exec_lo
	s_delay_alu instid0(VALU_DEP_1)
	v_cmpx_ngt_f64_e32 v[5:6], v[7:8]
	s_xor_b32 s2, exec_lo, s2
	s_cbranch_execz .LBB126_283
; %bb.282:
	v_div_scale_f64 v[5:6], null, v[2:3], v[2:3], v[0:1]
	v_div_scale_f64 v[11:12], vcc_lo, v[0:1], v[2:3], v[0:1]
	s_delay_alu instid0(VALU_DEP_2) | instskip(SKIP_2) | instid1(VALU_DEP_1)
	v_rcp_f64_e32 v[7:8], v[5:6]
	s_waitcnt_depctr 0xfff
	v_fma_f64 v[9:10], -v[5:6], v[7:8], 1.0
	v_fma_f64 v[7:8], v[7:8], v[9:10], v[7:8]
	s_delay_alu instid0(VALU_DEP_1) | instskip(NEXT) | instid1(VALU_DEP_1)
	v_fma_f64 v[9:10], -v[5:6], v[7:8], 1.0
	v_fma_f64 v[7:8], v[7:8], v[9:10], v[7:8]
	s_delay_alu instid0(VALU_DEP_1) | instskip(NEXT) | instid1(VALU_DEP_1)
	v_mul_f64 v[9:10], v[11:12], v[7:8]
	v_fma_f64 v[5:6], -v[5:6], v[9:10], v[11:12]
	s_delay_alu instid0(VALU_DEP_1) | instskip(NEXT) | instid1(VALU_DEP_1)
	v_div_fmas_f64 v[5:6], v[5:6], v[7:8], v[9:10]
	v_div_fixup_f64 v[5:6], v[5:6], v[2:3], v[0:1]
	s_delay_alu instid0(VALU_DEP_1) | instskip(NEXT) | instid1(VALU_DEP_1)
	v_fma_f64 v[0:1], v[0:1], v[5:6], v[2:3]
	v_div_scale_f64 v[2:3], null, v[0:1], v[0:1], 1.0
	s_delay_alu instid0(VALU_DEP_1) | instskip(SKIP_2) | instid1(VALU_DEP_1)
	v_rcp_f64_e32 v[7:8], v[2:3]
	s_waitcnt_depctr 0xfff
	v_fma_f64 v[9:10], -v[2:3], v[7:8], 1.0
	v_fma_f64 v[7:8], v[7:8], v[9:10], v[7:8]
	s_delay_alu instid0(VALU_DEP_1) | instskip(NEXT) | instid1(VALU_DEP_1)
	v_fma_f64 v[9:10], -v[2:3], v[7:8], 1.0
	v_fma_f64 v[7:8], v[7:8], v[9:10], v[7:8]
	v_div_scale_f64 v[9:10], vcc_lo, 1.0, v[0:1], 1.0
	s_delay_alu instid0(VALU_DEP_1) | instskip(NEXT) | instid1(VALU_DEP_1)
	v_mul_f64 v[11:12], v[9:10], v[7:8]
	v_fma_f64 v[2:3], -v[2:3], v[11:12], v[9:10]
	s_delay_alu instid0(VALU_DEP_1) | instskip(NEXT) | instid1(VALU_DEP_1)
	v_div_fmas_f64 v[2:3], v[2:3], v[7:8], v[11:12]
	v_div_fixup_f64 v[2:3], v[2:3], v[0:1], 1.0
	s_delay_alu instid0(VALU_DEP_1)
	v_mul_f64 v[0:1], v[5:6], v[2:3]
	v_xor_b32_e32 v3, 0x80000000, v3
.LBB126_283:
	s_and_not1_saveexec_b32 s2, s2
	s_cbranch_execz .LBB126_285
; %bb.284:
	s_delay_alu instid0(VALU_DEP_1) | instskip(SKIP_1) | instid1(VALU_DEP_2)
	v_div_scale_f64 v[5:6], null, v[0:1], v[0:1], v[2:3]
	v_div_scale_f64 v[11:12], vcc_lo, v[2:3], v[0:1], v[2:3]
	v_rcp_f64_e32 v[7:8], v[5:6]
	s_waitcnt_depctr 0xfff
	v_fma_f64 v[9:10], -v[5:6], v[7:8], 1.0
	s_delay_alu instid0(VALU_DEP_1) | instskip(NEXT) | instid1(VALU_DEP_1)
	v_fma_f64 v[7:8], v[7:8], v[9:10], v[7:8]
	v_fma_f64 v[9:10], -v[5:6], v[7:8], 1.0
	s_delay_alu instid0(VALU_DEP_1) | instskip(NEXT) | instid1(VALU_DEP_1)
	v_fma_f64 v[7:8], v[7:8], v[9:10], v[7:8]
	v_mul_f64 v[9:10], v[11:12], v[7:8]
	s_delay_alu instid0(VALU_DEP_1) | instskip(NEXT) | instid1(VALU_DEP_1)
	v_fma_f64 v[5:6], -v[5:6], v[9:10], v[11:12]
	v_div_fmas_f64 v[5:6], v[5:6], v[7:8], v[9:10]
	s_delay_alu instid0(VALU_DEP_1) | instskip(NEXT) | instid1(VALU_DEP_1)
	v_div_fixup_f64 v[5:6], v[5:6], v[0:1], v[2:3]
	v_fma_f64 v[0:1], v[2:3], v[5:6], v[0:1]
	s_delay_alu instid0(VALU_DEP_1) | instskip(NEXT) | instid1(VALU_DEP_1)
	v_div_scale_f64 v[2:3], null, v[0:1], v[0:1], 1.0
	v_rcp_f64_e32 v[7:8], v[2:3]
	s_waitcnt_depctr 0xfff
	v_fma_f64 v[9:10], -v[2:3], v[7:8], 1.0
	s_delay_alu instid0(VALU_DEP_1) | instskip(NEXT) | instid1(VALU_DEP_1)
	v_fma_f64 v[7:8], v[7:8], v[9:10], v[7:8]
	v_fma_f64 v[9:10], -v[2:3], v[7:8], 1.0
	s_delay_alu instid0(VALU_DEP_1) | instskip(SKIP_1) | instid1(VALU_DEP_1)
	v_fma_f64 v[7:8], v[7:8], v[9:10], v[7:8]
	v_div_scale_f64 v[9:10], vcc_lo, 1.0, v[0:1], 1.0
	v_mul_f64 v[11:12], v[9:10], v[7:8]
	s_delay_alu instid0(VALU_DEP_1) | instskip(NEXT) | instid1(VALU_DEP_1)
	v_fma_f64 v[2:3], -v[2:3], v[11:12], v[9:10]
	v_div_fmas_f64 v[2:3], v[2:3], v[7:8], v[11:12]
	s_delay_alu instid0(VALU_DEP_1) | instskip(NEXT) | instid1(VALU_DEP_1)
	v_div_fixup_f64 v[0:1], v[2:3], v[0:1], 1.0
	v_mul_f64 v[2:3], v[5:6], -v[0:1]
.LBB126_285:
	s_or_b32 exec_lo, exec_lo, s2
.LBB126_286:
	s_delay_alu instid0(SALU_CYCLE_1) | instskip(NEXT) | instid1(SALU_CYCLE_1)
	s_or_b32 exec_lo, exec_lo, s3
	s_mov_b32 s2, exec_lo
	v_cmpx_ne_u32_e64 v41, v4
	s_xor_b32 s2, exec_lo, s2
	s_cbranch_execz .LBB126_292
; %bb.287:
	s_mov_b32 s3, exec_lo
	v_cmpx_eq_u32_e32 11, v41
	s_cbranch_execz .LBB126_291
; %bb.288:
	v_cmp_ne_u32_e32 vcc_lo, 11, v4
	s_xor_b32 s6, s4, -1
	s_delay_alu instid0(SALU_CYCLE_1) | instskip(NEXT) | instid1(SALU_CYCLE_1)
	s_and_b32 s7, s6, vcc_lo
	s_and_saveexec_b32 s6, s7
	s_cbranch_execz .LBB126_290
; %bb.289:
	v_ashrrev_i32_e32 v5, 31, v4
	s_delay_alu instid0(VALU_DEP_1) | instskip(NEXT) | instid1(VALU_DEP_1)
	v_lshlrev_b64 v[5:6], 2, v[4:5]
	v_add_co_u32 v5, vcc_lo, v250, v5
	s_delay_alu instid0(VALU_DEP_2)
	v_add_co_ci_u32_e32 v6, vcc_lo, v251, v6, vcc_lo
	s_clause 0x1
	flat_load_b32 v7, v[5:6]
	flat_load_b32 v8, v[250:251] offset:44
	s_waitcnt vmcnt(1) lgkmcnt(1)
	flat_store_b32 v[250:251], v7 offset:44
	s_waitcnt vmcnt(0) lgkmcnt(1)
	flat_store_b32 v[5:6], v8
.LBB126_290:
	s_or_b32 exec_lo, exec_lo, s6
	v_mov_b32_e32 v41, v4
	v_mov_b32_e32 v39, v4
.LBB126_291:
	s_or_b32 exec_lo, exec_lo, s3
.LBB126_292:
	s_and_not1_saveexec_b32 s2, s2
	s_cbranch_execz .LBB126_296
; %bb.293:
	v_add3_u32 v4, v38, 0, 0xc0
	v_mov_b32_e32 v5, 0
	s_mov_b32 s3, 0
.LBB126_294:                            ; =>This Inner Loop Header: Depth=1
	s_delay_alu instid0(VALU_DEP_1) | instskip(NEXT) | instid1(VALU_DEP_3)
	v_readfirstlane_b32 s6, v5
	v_add_nc_u32_e32 v18, s3, v4
	s_delay_alu instid0(VALU_DEP_2)
	s_add_i32 s6, s6, s3
	s_addk_i32 s3, 0xd0
	s_add_i32 s7, s6, 0xc0
	s_add_i32 s9, s6, 0xd0
	;; [unrolled: 1-line block ×12, first 2 shown]
	s_addk_i32 s6, 0x180
	s_clause 0xc
	scratch_load_b128 v[6:9], off, s7
	scratch_load_b128 v[10:13], off, s9
	;; [unrolled: 1-line block ×13, first 2 shown]
	s_cmpk_eq_i32 s3, 0x340
	s_waitcnt vmcnt(12)
	ds_store_2addr_b64 v18, v[6:7], v[8:9] offset1:1
	s_waitcnt vmcnt(11)
	ds_store_2addr_b64 v18, v[10:11], v[12:13] offset0:2 offset1:3
	s_waitcnt vmcnt(10)
	ds_store_2addr_b64 v18, v[14:15], v[16:17] offset0:4 offset1:5
	;; [unrolled: 2-line block ×12, first 2 shown]
	s_cbranch_scc0 .LBB126_294
; %bb.295:
	v_mov_b32_e32 v41, 11
.LBB126_296:
	s_or_b32 exec_lo, exec_lo, s2
	s_delay_alu instid0(SALU_CYCLE_1)
	s_mov_b32 s2, exec_lo
	s_waitcnt lgkmcnt(0)
	s_waitcnt_vscnt null, 0x0
	s_barrier
	buffer_gl0_inv
	v_cmpx_lt_i32_e32 11, v41
	s_cbranch_execz .LBB126_299
; %bb.297:
	scratch_load_b128 v[4:7], off, off offset:176
	s_mov_b32 s3, 0
	s_waitcnt vmcnt(0)
	v_mul_f64 v[8:9], v[2:3], v[6:7]
	v_mul_f64 v[6:7], v[0:1], v[6:7]
	s_delay_alu instid0(VALU_DEP_2) | instskip(NEXT) | instid1(VALU_DEP_2)
	v_fma_f64 v[0:1], v[0:1], v[4:5], -v[8:9]
	v_fma_f64 v[2:3], v[2:3], v[4:5], v[6:7]
	v_add3_u32 v4, v38, 0, 0xc0
	v_mov_b32_e32 v5, 0
	scratch_store_b128 off, v[0:3], off offset:176
.LBB126_298:                            ; =>This Inner Loop Header: Depth=1
	v_readfirstlane_b32 s6, v5
	v_add_nc_u32_e32 v18, s3, v4
	s_delay_alu instid0(VALU_DEP_2)
	s_add_i32 s6, s6, s3
	s_add_i32 s3, s3, 64
	s_add_i32 s7, s6, 0xc0
	s_add_i32 s9, s6, 0xd0
	s_add_i32 s12, s6, 0xe0
	s_addk_i32 s6, 0xf0
	s_clause 0x3
	scratch_load_b128 v[6:9], off, s7
	scratch_load_b128 v[10:13], off, s9
	;; [unrolled: 1-line block ×4, first 2 shown]
	ds_load_2addr_b64 v[49:52], v18 offset1:1
	ds_load_2addr_b64 v[53:56], v18 offset0:2 offset1:3
	ds_load_2addr_b64 v[65:68], v18 offset0:4 offset1:5
	;; [unrolled: 1-line block ×3, first 2 shown]
	s_cmpk_lg_i32 s3, 0x340
	s_waitcnt lgkmcnt(3)
	v_mul_f64 v[18:19], v[51:52], v[2:3]
	v_mul_f64 v[46:47], v[49:50], v[2:3]
	s_waitcnt lgkmcnt(2)
	v_mul_f64 v[57:58], v[55:56], v[2:3]
	v_mul_f64 v[61:62], v[53:54], v[2:3]
	;; [unrolled: 3-line block ×4, first 2 shown]
	v_fma_f64 v[18:19], v[49:50], v[0:1], -v[18:19]
	v_fma_f64 v[46:47], v[51:52], v[0:1], v[46:47]
	v_fma_f64 v[49:50], v[53:54], v[0:1], -v[57:58]
	v_fma_f64 v[51:52], v[55:56], v[0:1], v[61:62]
	;; [unrolled: 2-line block ×4, first 2 shown]
	s_waitcnt vmcnt(3)
	v_add_f64 v[6:7], v[6:7], -v[18:19]
	v_add_f64 v[8:9], v[8:9], -v[46:47]
	s_waitcnt vmcnt(2)
	v_add_f64 v[10:11], v[10:11], -v[49:50]
	v_add_f64 v[12:13], v[12:13], -v[51:52]
	;; [unrolled: 3-line block ×4, first 2 shown]
	s_clause 0x3
	scratch_store_b128 off, v[6:9], s7
	scratch_store_b128 off, v[10:13], s9
	;; [unrolled: 1-line block ×4, first 2 shown]
	s_cbranch_scc1 .LBB126_298
.LBB126_299:
	s_or_b32 exec_lo, exec_lo, s2
	s_waitcnt_vscnt null, 0x0
	s_barrier
	buffer_gl0_inv
	scratch_load_b128 v[0:3], v23, off
	v_lshl_add_u32 v4, v41, 4, v36
	s_cmp_lt_i32 s5, 14
	s_waitcnt vmcnt(0)
	ds_store_2addr_b64 v4, v[0:1], v[2:3] offset1:1
	s_waitcnt lgkmcnt(0)
	s_barrier
	buffer_gl0_inv
	ds_load_2addr_b64 v[0:3], v36 offset0:24 offset1:25
	v_mov_b32_e32 v4, 12
	s_cbranch_scc1 .LBB126_302
; %bb.300:
	v_add3_u32 v5, v38, 0, 0xd0
	v_mov_b32_e32 v4, 12
	s_mov_b32 s6, 13
	s_set_inst_prefetch_distance 0x1
	.p2align	6
.LBB126_301:                            ; =>This Inner Loop Header: Depth=1
	ds_load_2addr_b64 v[6:9], v5 offset1:1
	s_waitcnt lgkmcnt(1)
	v_cmp_gt_f64_e32 vcc_lo, 0, v[0:1]
	v_xor_b32_e32 v10, 0x80000000, v1
	v_cmp_gt_f64_e64 s2, 0, v[2:3]
	v_xor_b32_e32 v12, 0x80000000, v3
	v_add_nc_u32_e32 v5, 16, v5
	s_waitcnt lgkmcnt(0)
	v_cmp_gt_f64_e64 s3, 0, v[6:7]
	v_mov_b32_e32 v14, v6
	v_dual_mov_b32 v16, v8 :: v_dual_cndmask_b32 v11, v1, v10
	v_xor_b32_e32 v10, 0x80000000, v7
	v_cndmask_b32_e64 v13, v3, v12, s2
	v_xor_b32_e32 v12, 0x80000000, v9
	s_delay_alu instid0(VALU_DEP_3) | instskip(SKIP_2) | instid1(VALU_DEP_2)
	v_cndmask_b32_e64 v15, v7, v10, s3
	v_cmp_gt_f64_e64 s3, 0, v[8:9]
	v_cndmask_b32_e32 v10, v0, v0, vcc_lo
	v_cndmask_b32_e64 v17, v9, v12, s3
	v_cndmask_b32_e64 v12, v2, v2, s2
	s_delay_alu instid0(VALU_DEP_2) | instskip(NEXT) | instid1(VALU_DEP_2)
	v_add_f64 v[14:15], v[14:15], v[16:17]
	v_add_f64 v[10:11], v[10:11], v[12:13]
	s_delay_alu instid0(VALU_DEP_1)
	v_cmp_lt_f64_e32 vcc_lo, v[10:11], v[14:15]
	v_cndmask_b32_e32 v3, v3, v9, vcc_lo
	v_dual_cndmask_b32 v1, v1, v7 :: v_dual_cndmask_b32 v0, v0, v6
	v_cndmask_b32_e32 v2, v2, v8, vcc_lo
	v_cndmask_b32_e64 v4, v4, s6, vcc_lo
	s_add_i32 s6, s6, 1
	s_delay_alu instid0(SALU_CYCLE_1)
	s_cmp_lg_u32 s5, s6
	s_cbranch_scc1 .LBB126_301
.LBB126_302:
	s_set_inst_prefetch_distance 0x2
	s_waitcnt lgkmcnt(0)
	v_cmp_eq_f64_e32 vcc_lo, 0, v[0:1]
	v_cmp_eq_f64_e64 s2, 0, v[2:3]
	s_delay_alu instid0(VALU_DEP_1) | instskip(NEXT) | instid1(SALU_CYCLE_1)
	s_and_b32 s2, vcc_lo, s2
	s_and_saveexec_b32 s3, s2
	s_delay_alu instid0(SALU_CYCLE_1)
	s_xor_b32 s2, exec_lo, s3
; %bb.303:
	v_cmp_ne_u32_e32 vcc_lo, 0, v37
	v_cndmask_b32_e32 v37, 13, v37, vcc_lo
; %bb.304:
	s_and_not1_saveexec_b32 s3, s2
	s_cbranch_execz .LBB126_310
; %bb.305:
	v_cmp_gt_f64_e32 vcc_lo, 0, v[0:1]
	v_cmp_gt_f64_e64 s2, 0, v[2:3]
	v_xor_b32_e32 v5, 0x80000000, v1
	v_xor_b32_e32 v7, 0x80000000, v3
	s_delay_alu instid0(VALU_DEP_2) | instskip(NEXT) | instid1(VALU_DEP_2)
	v_dual_cndmask_b32 v6, v1, v5 :: v_dual_cndmask_b32 v5, v0, v0
	v_cndmask_b32_e64 v8, v3, v7, s2
	v_cndmask_b32_e64 v7, v2, v2, s2
	s_mov_b32 s2, exec_lo
	s_delay_alu instid0(VALU_DEP_1)
	v_cmpx_ngt_f64_e32 v[5:6], v[7:8]
	s_xor_b32 s2, exec_lo, s2
	s_cbranch_execz .LBB126_307
; %bb.306:
	v_div_scale_f64 v[5:6], null, v[2:3], v[2:3], v[0:1]
	v_div_scale_f64 v[11:12], vcc_lo, v[0:1], v[2:3], v[0:1]
	s_delay_alu instid0(VALU_DEP_2) | instskip(SKIP_2) | instid1(VALU_DEP_1)
	v_rcp_f64_e32 v[7:8], v[5:6]
	s_waitcnt_depctr 0xfff
	v_fma_f64 v[9:10], -v[5:6], v[7:8], 1.0
	v_fma_f64 v[7:8], v[7:8], v[9:10], v[7:8]
	s_delay_alu instid0(VALU_DEP_1) | instskip(NEXT) | instid1(VALU_DEP_1)
	v_fma_f64 v[9:10], -v[5:6], v[7:8], 1.0
	v_fma_f64 v[7:8], v[7:8], v[9:10], v[7:8]
	s_delay_alu instid0(VALU_DEP_1) | instskip(NEXT) | instid1(VALU_DEP_1)
	v_mul_f64 v[9:10], v[11:12], v[7:8]
	v_fma_f64 v[5:6], -v[5:6], v[9:10], v[11:12]
	s_delay_alu instid0(VALU_DEP_1) | instskip(NEXT) | instid1(VALU_DEP_1)
	v_div_fmas_f64 v[5:6], v[5:6], v[7:8], v[9:10]
	v_div_fixup_f64 v[5:6], v[5:6], v[2:3], v[0:1]
	s_delay_alu instid0(VALU_DEP_1) | instskip(NEXT) | instid1(VALU_DEP_1)
	v_fma_f64 v[0:1], v[0:1], v[5:6], v[2:3]
	v_div_scale_f64 v[2:3], null, v[0:1], v[0:1], 1.0
	s_delay_alu instid0(VALU_DEP_1) | instskip(SKIP_2) | instid1(VALU_DEP_1)
	v_rcp_f64_e32 v[7:8], v[2:3]
	s_waitcnt_depctr 0xfff
	v_fma_f64 v[9:10], -v[2:3], v[7:8], 1.0
	v_fma_f64 v[7:8], v[7:8], v[9:10], v[7:8]
	s_delay_alu instid0(VALU_DEP_1) | instskip(NEXT) | instid1(VALU_DEP_1)
	v_fma_f64 v[9:10], -v[2:3], v[7:8], 1.0
	v_fma_f64 v[7:8], v[7:8], v[9:10], v[7:8]
	v_div_scale_f64 v[9:10], vcc_lo, 1.0, v[0:1], 1.0
	s_delay_alu instid0(VALU_DEP_1) | instskip(NEXT) | instid1(VALU_DEP_1)
	v_mul_f64 v[11:12], v[9:10], v[7:8]
	v_fma_f64 v[2:3], -v[2:3], v[11:12], v[9:10]
	s_delay_alu instid0(VALU_DEP_1) | instskip(NEXT) | instid1(VALU_DEP_1)
	v_div_fmas_f64 v[2:3], v[2:3], v[7:8], v[11:12]
	v_div_fixup_f64 v[2:3], v[2:3], v[0:1], 1.0
	s_delay_alu instid0(VALU_DEP_1)
	v_mul_f64 v[0:1], v[5:6], v[2:3]
	v_xor_b32_e32 v3, 0x80000000, v3
.LBB126_307:
	s_and_not1_saveexec_b32 s2, s2
	s_cbranch_execz .LBB126_309
; %bb.308:
	s_delay_alu instid0(VALU_DEP_1) | instskip(SKIP_1) | instid1(VALU_DEP_2)
	v_div_scale_f64 v[5:6], null, v[0:1], v[0:1], v[2:3]
	v_div_scale_f64 v[11:12], vcc_lo, v[2:3], v[0:1], v[2:3]
	v_rcp_f64_e32 v[7:8], v[5:6]
	s_waitcnt_depctr 0xfff
	v_fma_f64 v[9:10], -v[5:6], v[7:8], 1.0
	s_delay_alu instid0(VALU_DEP_1) | instskip(NEXT) | instid1(VALU_DEP_1)
	v_fma_f64 v[7:8], v[7:8], v[9:10], v[7:8]
	v_fma_f64 v[9:10], -v[5:6], v[7:8], 1.0
	s_delay_alu instid0(VALU_DEP_1) | instskip(NEXT) | instid1(VALU_DEP_1)
	v_fma_f64 v[7:8], v[7:8], v[9:10], v[7:8]
	v_mul_f64 v[9:10], v[11:12], v[7:8]
	s_delay_alu instid0(VALU_DEP_1) | instskip(NEXT) | instid1(VALU_DEP_1)
	v_fma_f64 v[5:6], -v[5:6], v[9:10], v[11:12]
	v_div_fmas_f64 v[5:6], v[5:6], v[7:8], v[9:10]
	s_delay_alu instid0(VALU_DEP_1) | instskip(NEXT) | instid1(VALU_DEP_1)
	v_div_fixup_f64 v[5:6], v[5:6], v[0:1], v[2:3]
	v_fma_f64 v[0:1], v[2:3], v[5:6], v[0:1]
	s_delay_alu instid0(VALU_DEP_1) | instskip(NEXT) | instid1(VALU_DEP_1)
	v_div_scale_f64 v[2:3], null, v[0:1], v[0:1], 1.0
	v_rcp_f64_e32 v[7:8], v[2:3]
	s_waitcnt_depctr 0xfff
	v_fma_f64 v[9:10], -v[2:3], v[7:8], 1.0
	s_delay_alu instid0(VALU_DEP_1) | instskip(NEXT) | instid1(VALU_DEP_1)
	v_fma_f64 v[7:8], v[7:8], v[9:10], v[7:8]
	v_fma_f64 v[9:10], -v[2:3], v[7:8], 1.0
	s_delay_alu instid0(VALU_DEP_1) | instskip(SKIP_1) | instid1(VALU_DEP_1)
	v_fma_f64 v[7:8], v[7:8], v[9:10], v[7:8]
	v_div_scale_f64 v[9:10], vcc_lo, 1.0, v[0:1], 1.0
	v_mul_f64 v[11:12], v[9:10], v[7:8]
	s_delay_alu instid0(VALU_DEP_1) | instskip(NEXT) | instid1(VALU_DEP_1)
	v_fma_f64 v[2:3], -v[2:3], v[11:12], v[9:10]
	v_div_fmas_f64 v[2:3], v[2:3], v[7:8], v[11:12]
	s_delay_alu instid0(VALU_DEP_1) | instskip(NEXT) | instid1(VALU_DEP_1)
	v_div_fixup_f64 v[0:1], v[2:3], v[0:1], 1.0
	v_mul_f64 v[2:3], v[5:6], -v[0:1]
.LBB126_309:
	s_or_b32 exec_lo, exec_lo, s2
.LBB126_310:
	s_delay_alu instid0(SALU_CYCLE_1) | instskip(NEXT) | instid1(SALU_CYCLE_1)
	s_or_b32 exec_lo, exec_lo, s3
	s_mov_b32 s2, exec_lo
	v_cmpx_ne_u32_e64 v41, v4
	s_xor_b32 s2, exec_lo, s2
	s_cbranch_execz .LBB126_316
; %bb.311:
	s_mov_b32 s3, exec_lo
	v_cmpx_eq_u32_e32 12, v41
	s_cbranch_execz .LBB126_315
; %bb.312:
	v_cmp_ne_u32_e32 vcc_lo, 12, v4
	s_xor_b32 s6, s4, -1
	s_delay_alu instid0(SALU_CYCLE_1) | instskip(NEXT) | instid1(SALU_CYCLE_1)
	s_and_b32 s7, s6, vcc_lo
	s_and_saveexec_b32 s6, s7
	s_cbranch_execz .LBB126_314
; %bb.313:
	v_ashrrev_i32_e32 v5, 31, v4
	s_delay_alu instid0(VALU_DEP_1) | instskip(NEXT) | instid1(VALU_DEP_1)
	v_lshlrev_b64 v[5:6], 2, v[4:5]
	v_add_co_u32 v5, vcc_lo, v250, v5
	s_delay_alu instid0(VALU_DEP_2)
	v_add_co_ci_u32_e32 v6, vcc_lo, v251, v6, vcc_lo
	s_clause 0x1
	flat_load_b32 v7, v[5:6]
	flat_load_b32 v8, v[250:251] offset:48
	s_waitcnt vmcnt(1) lgkmcnt(1)
	flat_store_b32 v[250:251], v7 offset:48
	s_waitcnt vmcnt(0) lgkmcnt(1)
	flat_store_b32 v[5:6], v8
.LBB126_314:
	s_or_b32 exec_lo, exec_lo, s6
	v_mov_b32_e32 v41, v4
	v_mov_b32_e32 v39, v4
.LBB126_315:
	s_or_b32 exec_lo, exec_lo, s3
.LBB126_316:
	s_and_not1_saveexec_b32 s2, s2
	s_cbranch_execz .LBB126_320
; %bb.317:
	v_add3_u32 v4, v38, 0, 0xd0
	v_mov_b32_e32 v5, 0
	s_mov_b32 s3, 0
.LBB126_318:                            ; =>This Inner Loop Header: Depth=1
	s_delay_alu instid0(VALU_DEP_1) | instskip(NEXT) | instid1(VALU_DEP_3)
	v_readfirstlane_b32 s6, v5
	v_add_nc_u32_e32 v18, s3, v4
	s_delay_alu instid0(VALU_DEP_2)
	s_add_i32 s6, s6, s3
	s_addk_i32 s3, 0x110
	s_add_i32 s7, s6, 0xd0
	s_add_i32 s9, s6, 0xe0
	;; [unrolled: 1-line block ×16, first 2 shown]
	s_addk_i32 s6, 0x1d0
	s_clause 0x10
	scratch_load_b128 v[6:9], off, s7
	scratch_load_b128 v[10:13], off, s9
	;; [unrolled: 1-line block ×17, first 2 shown]
	s_cmpk_eq_i32 s3, 0x330
	s_waitcnt vmcnt(16)
	ds_store_2addr_b64 v18, v[6:7], v[8:9] offset1:1
	s_waitcnt vmcnt(15)
	ds_store_2addr_b64 v18, v[10:11], v[12:13] offset0:2 offset1:3
	s_waitcnt vmcnt(14)
	ds_store_2addr_b64 v18, v[14:15], v[16:17] offset0:4 offset1:5
	;; [unrolled: 2-line block ×16, first 2 shown]
	s_cbranch_scc0 .LBB126_318
; %bb.319:
	v_mov_b32_e32 v41, 12
.LBB126_320:
	s_or_b32 exec_lo, exec_lo, s2
	s_delay_alu instid0(SALU_CYCLE_1)
	s_mov_b32 s2, exec_lo
	s_waitcnt lgkmcnt(0)
	s_waitcnt_vscnt null, 0x0
	s_barrier
	buffer_gl0_inv
	v_cmpx_lt_i32_e32 12, v41
	s_cbranch_execz .LBB126_323
; %bb.321:
	scratch_load_b128 v[4:7], off, off offset:192
	s_mov_b32 s3, 0
	s_waitcnt vmcnt(0)
	v_mul_f64 v[8:9], v[2:3], v[6:7]
	v_mul_f64 v[6:7], v[0:1], v[6:7]
	s_delay_alu instid0(VALU_DEP_2) | instskip(NEXT) | instid1(VALU_DEP_2)
	v_fma_f64 v[0:1], v[0:1], v[4:5], -v[8:9]
	v_fma_f64 v[2:3], v[2:3], v[4:5], v[6:7]
	v_add3_u32 v4, v38, 0, 0xd0
	v_mov_b32_e32 v5, 0
	scratch_store_b128 off, v[0:3], off offset:192
.LBB126_322:                            ; =>This Inner Loop Header: Depth=1
	v_readfirstlane_b32 s6, v5
	v_add_nc_u32_e32 v18, s3, v4
	s_delay_alu instid0(VALU_DEP_2)
	s_add_i32 s6, s6, s3
	s_add_i32 s3, s3, 48
	;; [unrolled: 1-line block ×4, first 2 shown]
	s_addk_i32 s6, 0xf0
	s_clause 0x2
	scratch_load_b128 v[6:9], off, s7
	scratch_load_b128 v[10:13], off, s9
	;; [unrolled: 1-line block ×3, first 2 shown]
	ds_load_2addr_b64 v[42:45], v18 offset1:1
	ds_load_2addr_b64 v[49:52], v18 offset0:2 offset1:3
	ds_load_2addr_b64 v[53:56], v18 offset0:4 offset1:5
	s_cmpk_lg_i32 s3, 0x330
	s_waitcnt lgkmcnt(2)
	v_mul_f64 v[18:19], v[44:45], v[2:3]
	v_mul_f64 v[46:47], v[42:43], v[2:3]
	s_waitcnt lgkmcnt(1)
	v_mul_f64 v[57:58], v[51:52], v[2:3]
	v_mul_f64 v[61:62], v[49:50], v[2:3]
	;; [unrolled: 3-line block ×3, first 2 shown]
	v_fma_f64 v[18:19], v[42:43], v[0:1], -v[18:19]
	v_fma_f64 v[42:43], v[44:45], v[0:1], v[46:47]
	v_fma_f64 v[44:45], v[49:50], v[0:1], -v[57:58]
	v_fma_f64 v[46:47], v[51:52], v[0:1], v[61:62]
	;; [unrolled: 2-line block ×3, first 2 shown]
	s_waitcnt vmcnt(2)
	v_add_f64 v[6:7], v[6:7], -v[18:19]
	v_add_f64 v[8:9], v[8:9], -v[42:43]
	s_waitcnt vmcnt(1)
	v_add_f64 v[10:11], v[10:11], -v[44:45]
	v_add_f64 v[12:13], v[12:13], -v[46:47]
	;; [unrolled: 3-line block ×3, first 2 shown]
	s_clause 0x2
	scratch_store_b128 off, v[6:9], s7
	scratch_store_b128 off, v[10:13], s9
	;; [unrolled: 1-line block ×3, first 2 shown]
	s_cbranch_scc1 .LBB126_322
.LBB126_323:
	s_or_b32 exec_lo, exec_lo, s2
	s_waitcnt_vscnt null, 0x0
	s_barrier
	buffer_gl0_inv
	scratch_load_b128 v[0:3], v22, off
	v_lshl_add_u32 v4, v41, 4, v36
	s_cmp_lt_i32 s5, 15
	s_waitcnt vmcnt(0)
	ds_store_2addr_b64 v4, v[0:1], v[2:3] offset1:1
	s_waitcnt lgkmcnt(0)
	s_barrier
	buffer_gl0_inv
	ds_load_2addr_b64 v[0:3], v36 offset0:26 offset1:27
	v_mov_b32_e32 v4, 13
	s_cbranch_scc1 .LBB126_326
; %bb.324:
	v_add3_u32 v5, v38, 0, 0xe0
	v_mov_b32_e32 v4, 13
	s_mov_b32 s6, 14
	s_set_inst_prefetch_distance 0x1
	.p2align	6
.LBB126_325:                            ; =>This Inner Loop Header: Depth=1
	ds_load_2addr_b64 v[6:9], v5 offset1:1
	s_waitcnt lgkmcnt(1)
	v_cmp_gt_f64_e32 vcc_lo, 0, v[0:1]
	v_xor_b32_e32 v10, 0x80000000, v1
	v_cmp_gt_f64_e64 s2, 0, v[2:3]
	v_xor_b32_e32 v12, 0x80000000, v3
	v_add_nc_u32_e32 v5, 16, v5
	s_waitcnt lgkmcnt(0)
	v_cmp_gt_f64_e64 s3, 0, v[6:7]
	v_mov_b32_e32 v14, v6
	v_dual_mov_b32 v16, v8 :: v_dual_cndmask_b32 v11, v1, v10
	v_xor_b32_e32 v10, 0x80000000, v7
	v_cndmask_b32_e64 v13, v3, v12, s2
	v_xor_b32_e32 v12, 0x80000000, v9
	s_delay_alu instid0(VALU_DEP_3) | instskip(SKIP_2) | instid1(VALU_DEP_2)
	v_cndmask_b32_e64 v15, v7, v10, s3
	v_cmp_gt_f64_e64 s3, 0, v[8:9]
	v_cndmask_b32_e32 v10, v0, v0, vcc_lo
	v_cndmask_b32_e64 v17, v9, v12, s3
	v_cndmask_b32_e64 v12, v2, v2, s2
	s_delay_alu instid0(VALU_DEP_2) | instskip(NEXT) | instid1(VALU_DEP_2)
	v_add_f64 v[14:15], v[14:15], v[16:17]
	v_add_f64 v[10:11], v[10:11], v[12:13]
	s_delay_alu instid0(VALU_DEP_1)
	v_cmp_lt_f64_e32 vcc_lo, v[10:11], v[14:15]
	v_cndmask_b32_e32 v3, v3, v9, vcc_lo
	v_dual_cndmask_b32 v1, v1, v7 :: v_dual_cndmask_b32 v0, v0, v6
	v_cndmask_b32_e32 v2, v2, v8, vcc_lo
	v_cndmask_b32_e64 v4, v4, s6, vcc_lo
	s_add_i32 s6, s6, 1
	s_delay_alu instid0(SALU_CYCLE_1)
	s_cmp_lg_u32 s5, s6
	s_cbranch_scc1 .LBB126_325
.LBB126_326:
	s_set_inst_prefetch_distance 0x2
	s_waitcnt lgkmcnt(0)
	v_cmp_eq_f64_e32 vcc_lo, 0, v[0:1]
	v_cmp_eq_f64_e64 s2, 0, v[2:3]
	s_delay_alu instid0(VALU_DEP_1) | instskip(NEXT) | instid1(SALU_CYCLE_1)
	s_and_b32 s2, vcc_lo, s2
	s_and_saveexec_b32 s3, s2
	s_delay_alu instid0(SALU_CYCLE_1)
	s_xor_b32 s2, exec_lo, s3
; %bb.327:
	v_cmp_ne_u32_e32 vcc_lo, 0, v37
	v_cndmask_b32_e32 v37, 14, v37, vcc_lo
; %bb.328:
	s_and_not1_saveexec_b32 s3, s2
	s_cbranch_execz .LBB126_334
; %bb.329:
	v_cmp_gt_f64_e32 vcc_lo, 0, v[0:1]
	v_cmp_gt_f64_e64 s2, 0, v[2:3]
	v_xor_b32_e32 v5, 0x80000000, v1
	v_xor_b32_e32 v7, 0x80000000, v3
	s_delay_alu instid0(VALU_DEP_2) | instskip(NEXT) | instid1(VALU_DEP_2)
	v_dual_cndmask_b32 v6, v1, v5 :: v_dual_cndmask_b32 v5, v0, v0
	v_cndmask_b32_e64 v8, v3, v7, s2
	v_cndmask_b32_e64 v7, v2, v2, s2
	s_mov_b32 s2, exec_lo
	s_delay_alu instid0(VALU_DEP_1)
	v_cmpx_ngt_f64_e32 v[5:6], v[7:8]
	s_xor_b32 s2, exec_lo, s2
	s_cbranch_execz .LBB126_331
; %bb.330:
	v_div_scale_f64 v[5:6], null, v[2:3], v[2:3], v[0:1]
	v_div_scale_f64 v[11:12], vcc_lo, v[0:1], v[2:3], v[0:1]
	s_delay_alu instid0(VALU_DEP_2) | instskip(SKIP_2) | instid1(VALU_DEP_1)
	v_rcp_f64_e32 v[7:8], v[5:6]
	s_waitcnt_depctr 0xfff
	v_fma_f64 v[9:10], -v[5:6], v[7:8], 1.0
	v_fma_f64 v[7:8], v[7:8], v[9:10], v[7:8]
	s_delay_alu instid0(VALU_DEP_1) | instskip(NEXT) | instid1(VALU_DEP_1)
	v_fma_f64 v[9:10], -v[5:6], v[7:8], 1.0
	v_fma_f64 v[7:8], v[7:8], v[9:10], v[7:8]
	s_delay_alu instid0(VALU_DEP_1) | instskip(NEXT) | instid1(VALU_DEP_1)
	v_mul_f64 v[9:10], v[11:12], v[7:8]
	v_fma_f64 v[5:6], -v[5:6], v[9:10], v[11:12]
	s_delay_alu instid0(VALU_DEP_1) | instskip(NEXT) | instid1(VALU_DEP_1)
	v_div_fmas_f64 v[5:6], v[5:6], v[7:8], v[9:10]
	v_div_fixup_f64 v[5:6], v[5:6], v[2:3], v[0:1]
	s_delay_alu instid0(VALU_DEP_1) | instskip(NEXT) | instid1(VALU_DEP_1)
	v_fma_f64 v[0:1], v[0:1], v[5:6], v[2:3]
	v_div_scale_f64 v[2:3], null, v[0:1], v[0:1], 1.0
	s_delay_alu instid0(VALU_DEP_1) | instskip(SKIP_2) | instid1(VALU_DEP_1)
	v_rcp_f64_e32 v[7:8], v[2:3]
	s_waitcnt_depctr 0xfff
	v_fma_f64 v[9:10], -v[2:3], v[7:8], 1.0
	v_fma_f64 v[7:8], v[7:8], v[9:10], v[7:8]
	s_delay_alu instid0(VALU_DEP_1) | instskip(NEXT) | instid1(VALU_DEP_1)
	v_fma_f64 v[9:10], -v[2:3], v[7:8], 1.0
	v_fma_f64 v[7:8], v[7:8], v[9:10], v[7:8]
	v_div_scale_f64 v[9:10], vcc_lo, 1.0, v[0:1], 1.0
	s_delay_alu instid0(VALU_DEP_1) | instskip(NEXT) | instid1(VALU_DEP_1)
	v_mul_f64 v[11:12], v[9:10], v[7:8]
	v_fma_f64 v[2:3], -v[2:3], v[11:12], v[9:10]
	s_delay_alu instid0(VALU_DEP_1) | instskip(NEXT) | instid1(VALU_DEP_1)
	v_div_fmas_f64 v[2:3], v[2:3], v[7:8], v[11:12]
	v_div_fixup_f64 v[2:3], v[2:3], v[0:1], 1.0
	s_delay_alu instid0(VALU_DEP_1)
	v_mul_f64 v[0:1], v[5:6], v[2:3]
	v_xor_b32_e32 v3, 0x80000000, v3
.LBB126_331:
	s_and_not1_saveexec_b32 s2, s2
	s_cbranch_execz .LBB126_333
; %bb.332:
	s_delay_alu instid0(VALU_DEP_1) | instskip(SKIP_1) | instid1(VALU_DEP_2)
	v_div_scale_f64 v[5:6], null, v[0:1], v[0:1], v[2:3]
	v_div_scale_f64 v[11:12], vcc_lo, v[2:3], v[0:1], v[2:3]
	v_rcp_f64_e32 v[7:8], v[5:6]
	s_waitcnt_depctr 0xfff
	v_fma_f64 v[9:10], -v[5:6], v[7:8], 1.0
	s_delay_alu instid0(VALU_DEP_1) | instskip(NEXT) | instid1(VALU_DEP_1)
	v_fma_f64 v[7:8], v[7:8], v[9:10], v[7:8]
	v_fma_f64 v[9:10], -v[5:6], v[7:8], 1.0
	s_delay_alu instid0(VALU_DEP_1) | instskip(NEXT) | instid1(VALU_DEP_1)
	v_fma_f64 v[7:8], v[7:8], v[9:10], v[7:8]
	v_mul_f64 v[9:10], v[11:12], v[7:8]
	s_delay_alu instid0(VALU_DEP_1) | instskip(NEXT) | instid1(VALU_DEP_1)
	v_fma_f64 v[5:6], -v[5:6], v[9:10], v[11:12]
	v_div_fmas_f64 v[5:6], v[5:6], v[7:8], v[9:10]
	s_delay_alu instid0(VALU_DEP_1) | instskip(NEXT) | instid1(VALU_DEP_1)
	v_div_fixup_f64 v[5:6], v[5:6], v[0:1], v[2:3]
	v_fma_f64 v[0:1], v[2:3], v[5:6], v[0:1]
	s_delay_alu instid0(VALU_DEP_1) | instskip(NEXT) | instid1(VALU_DEP_1)
	v_div_scale_f64 v[2:3], null, v[0:1], v[0:1], 1.0
	v_rcp_f64_e32 v[7:8], v[2:3]
	s_waitcnt_depctr 0xfff
	v_fma_f64 v[9:10], -v[2:3], v[7:8], 1.0
	s_delay_alu instid0(VALU_DEP_1) | instskip(NEXT) | instid1(VALU_DEP_1)
	v_fma_f64 v[7:8], v[7:8], v[9:10], v[7:8]
	v_fma_f64 v[9:10], -v[2:3], v[7:8], 1.0
	s_delay_alu instid0(VALU_DEP_1) | instskip(SKIP_1) | instid1(VALU_DEP_1)
	v_fma_f64 v[7:8], v[7:8], v[9:10], v[7:8]
	v_div_scale_f64 v[9:10], vcc_lo, 1.0, v[0:1], 1.0
	v_mul_f64 v[11:12], v[9:10], v[7:8]
	s_delay_alu instid0(VALU_DEP_1) | instskip(NEXT) | instid1(VALU_DEP_1)
	v_fma_f64 v[2:3], -v[2:3], v[11:12], v[9:10]
	v_div_fmas_f64 v[2:3], v[2:3], v[7:8], v[11:12]
	s_delay_alu instid0(VALU_DEP_1) | instskip(NEXT) | instid1(VALU_DEP_1)
	v_div_fixup_f64 v[0:1], v[2:3], v[0:1], 1.0
	v_mul_f64 v[2:3], v[5:6], -v[0:1]
.LBB126_333:
	s_or_b32 exec_lo, exec_lo, s2
.LBB126_334:
	s_delay_alu instid0(SALU_CYCLE_1) | instskip(NEXT) | instid1(SALU_CYCLE_1)
	s_or_b32 exec_lo, exec_lo, s3
	s_mov_b32 s2, exec_lo
	v_cmpx_ne_u32_e64 v41, v4
	s_xor_b32 s2, exec_lo, s2
	s_cbranch_execz .LBB126_340
; %bb.335:
	s_mov_b32 s3, exec_lo
	v_cmpx_eq_u32_e32 13, v41
	s_cbranch_execz .LBB126_339
; %bb.336:
	v_cmp_ne_u32_e32 vcc_lo, 13, v4
	s_xor_b32 s6, s4, -1
	s_delay_alu instid0(SALU_CYCLE_1) | instskip(NEXT) | instid1(SALU_CYCLE_1)
	s_and_b32 s7, s6, vcc_lo
	s_and_saveexec_b32 s6, s7
	s_cbranch_execz .LBB126_338
; %bb.337:
	v_ashrrev_i32_e32 v5, 31, v4
	s_delay_alu instid0(VALU_DEP_1) | instskip(NEXT) | instid1(VALU_DEP_1)
	v_lshlrev_b64 v[5:6], 2, v[4:5]
	v_add_co_u32 v5, vcc_lo, v250, v5
	s_delay_alu instid0(VALU_DEP_2)
	v_add_co_ci_u32_e32 v6, vcc_lo, v251, v6, vcc_lo
	s_clause 0x1
	flat_load_b32 v7, v[5:6]
	flat_load_b32 v8, v[250:251] offset:52
	s_waitcnt vmcnt(1) lgkmcnt(1)
	flat_store_b32 v[250:251], v7 offset:52
	s_waitcnt vmcnt(0) lgkmcnt(1)
	flat_store_b32 v[5:6], v8
.LBB126_338:
	s_or_b32 exec_lo, exec_lo, s6
	v_mov_b32_e32 v41, v4
	v_mov_b32_e32 v39, v4
.LBB126_339:
	s_or_b32 exec_lo, exec_lo, s3
.LBB126_340:
	s_and_not1_saveexec_b32 s2, s2
	s_cbranch_execz .LBB126_344
; %bb.341:
	v_add3_u32 v4, v38, 0, 0xe0
	v_mov_b32_e32 v5, 0
	s_mov_b32 s3, 0
.LBB126_342:                            ; =>This Inner Loop Header: Depth=1
	s_delay_alu instid0(VALU_DEP_1) | instskip(NEXT) | instid1(VALU_DEP_3)
	v_readfirstlane_b32 s6, v5
	v_add_nc_u32_e32 v18, s3, v4
	s_delay_alu instid0(VALU_DEP_2)
	s_add_i32 s6, s6, s3
	s_addk_i32 s3, 0xa0
	s_add_i32 s7, s6, 0xe0
	s_add_i32 s9, s6, 0xf0
	;; [unrolled: 1-line block ×9, first 2 shown]
	s_addk_i32 s6, 0x170
	s_clause 0x9
	scratch_load_b128 v[6:9], off, s7
	scratch_load_b128 v[10:13], off, s9
	;; [unrolled: 1-line block ×10, first 2 shown]
	s_cmpk_eq_i32 s3, 0x320
	s_waitcnt vmcnt(9)
	ds_store_2addr_b64 v18, v[6:7], v[8:9] offset1:1
	s_waitcnt vmcnt(8)
	ds_store_2addr_b64 v18, v[10:11], v[12:13] offset0:2 offset1:3
	s_waitcnt vmcnt(7)
	ds_store_2addr_b64 v18, v[14:15], v[16:17] offset0:4 offset1:5
	s_waitcnt vmcnt(6)
	ds_store_2addr_b64 v18, v[41:42], v[43:44] offset0:6 offset1:7
	s_waitcnt vmcnt(5)
	ds_store_2addr_b64 v18, v[49:50], v[51:52] offset0:8 offset1:9
	s_waitcnt vmcnt(4)
	ds_store_2addr_b64 v18, v[53:54], v[55:56] offset0:10 offset1:11
	s_waitcnt vmcnt(3)
	ds_store_2addr_b64 v18, v[65:66], v[67:68] offset0:12 offset1:13
	s_waitcnt vmcnt(2)
	ds_store_2addr_b64 v18, v[69:70], v[71:72] offset0:14 offset1:15
	s_waitcnt vmcnt(1)
	ds_store_2addr_b64 v18, v[81:82], v[83:84] offset0:16 offset1:17
	s_waitcnt vmcnt(0)
	ds_store_2addr_b64 v18, v[85:86], v[87:88] offset0:18 offset1:19
	s_cbranch_scc0 .LBB126_342
; %bb.343:
	v_mov_b32_e32 v41, 13
.LBB126_344:
	s_or_b32 exec_lo, exec_lo, s2
	s_delay_alu instid0(SALU_CYCLE_1)
	s_mov_b32 s2, exec_lo
	s_waitcnt lgkmcnt(0)
	s_waitcnt_vscnt null, 0x0
	s_barrier
	buffer_gl0_inv
	v_cmpx_lt_i32_e32 13, v41
	s_cbranch_execz .LBB126_347
; %bb.345:
	scratch_load_b128 v[4:7], off, off offset:208
	s_mov_b32 s3, 0
	s_waitcnt vmcnt(0)
	v_mul_f64 v[8:9], v[2:3], v[6:7]
	v_mul_f64 v[6:7], v[0:1], v[6:7]
	s_delay_alu instid0(VALU_DEP_2) | instskip(NEXT) | instid1(VALU_DEP_2)
	v_fma_f64 v[0:1], v[0:1], v[4:5], -v[8:9]
	v_fma_f64 v[2:3], v[2:3], v[4:5], v[6:7]
	v_add3_u32 v4, v38, 0, 0xe0
	v_mov_b32_e32 v5, 0
	scratch_store_b128 off, v[0:3], off offset:208
.LBB126_346:                            ; =>This Inner Loop Header: Depth=1
	v_readfirstlane_b32 s6, v5
	v_add_nc_u32_e32 v18, s3, v4
	s_delay_alu instid0(VALU_DEP_2)
	s_add_i32 s6, s6, s3
	s_addk_i32 s3, 0x50
	s_add_i32 s7, s6, 0xe0
	s_add_i32 s9, s6, 0xf0
	;; [unrolled: 1-line block ×4, first 2 shown]
	s_addk_i32 s6, 0x120
	s_clause 0x4
	scratch_load_b128 v[6:9], off, s7
	scratch_load_b128 v[10:13], off, s9
	;; [unrolled: 1-line block ×5, first 2 shown]
	ds_load_2addr_b64 v[53:56], v18 offset1:1
	ds_load_2addr_b64 v[65:68], v18 offset0:2 offset1:3
	ds_load_2addr_b64 v[69:72], v18 offset0:4 offset1:5
	;; [unrolled: 1-line block ×4, first 2 shown]
	s_cmpk_lg_i32 s3, 0x320
	s_waitcnt lgkmcnt(4)
	v_mul_f64 v[18:19], v[55:56], v[2:3]
	v_mul_f64 v[46:47], v[53:54], v[2:3]
	s_waitcnt lgkmcnt(3)
	v_mul_f64 v[57:58], v[67:68], v[2:3]
	v_mul_f64 v[61:62], v[65:66], v[2:3]
	s_waitcnt lgkmcnt(2)
	v_mul_f64 v[73:74], v[71:72], v[2:3]
	v_mul_f64 v[77:78], v[69:70], v[2:3]
	s_waitcnt lgkmcnt(1)
	v_mul_f64 v[79:80], v[83:84], v[2:3]
	v_mul_f64 v[89:90], v[81:82], v[2:3]
	s_waitcnt lgkmcnt(0)
	v_mul_f64 v[91:92], v[87:88], v[2:3]
	v_mul_f64 v[93:94], v[85:86], v[2:3]
	v_fma_f64 v[18:19], v[53:54], v[0:1], -v[18:19]
	v_fma_f64 v[46:47], v[55:56], v[0:1], v[46:47]
	v_fma_f64 v[53:54], v[65:66], v[0:1], -v[57:58]
	v_fma_f64 v[55:56], v[67:68], v[0:1], v[61:62]
	;; [unrolled: 2-line block ×5, first 2 shown]
	s_waitcnt vmcnt(4)
	v_add_f64 v[6:7], v[6:7], -v[18:19]
	v_add_f64 v[8:9], v[8:9], -v[46:47]
	s_waitcnt vmcnt(3)
	v_add_f64 v[10:11], v[10:11], -v[53:54]
	v_add_f64 v[12:13], v[12:13], -v[55:56]
	;; [unrolled: 3-line block ×5, first 2 shown]
	s_clause 0x4
	scratch_store_b128 off, v[6:9], s7
	scratch_store_b128 off, v[10:13], s9
	;; [unrolled: 1-line block ×5, first 2 shown]
	s_cbranch_scc1 .LBB126_346
.LBB126_347:
	s_or_b32 exec_lo, exec_lo, s2
	s_waitcnt_vscnt null, 0x0
	s_barrier
	buffer_gl0_inv
	scratch_load_b128 v[0:3], v21, off
	v_lshl_add_u32 v4, v41, 4, v36
	s_cmp_lt_i32 s5, 16
	s_waitcnt vmcnt(0)
	ds_store_2addr_b64 v4, v[0:1], v[2:3] offset1:1
	s_waitcnt lgkmcnt(0)
	s_barrier
	buffer_gl0_inv
	ds_load_2addr_b64 v[0:3], v36 offset0:28 offset1:29
	v_mov_b32_e32 v4, 14
	s_cbranch_scc1 .LBB126_350
; %bb.348:
	v_add3_u32 v5, v38, 0, 0xf0
	v_mov_b32_e32 v4, 14
	s_mov_b32 s6, 15
	s_set_inst_prefetch_distance 0x1
	.p2align	6
.LBB126_349:                            ; =>This Inner Loop Header: Depth=1
	ds_load_2addr_b64 v[6:9], v5 offset1:1
	s_waitcnt lgkmcnt(1)
	v_cmp_gt_f64_e32 vcc_lo, 0, v[0:1]
	v_xor_b32_e32 v10, 0x80000000, v1
	v_cmp_gt_f64_e64 s2, 0, v[2:3]
	v_xor_b32_e32 v12, 0x80000000, v3
	v_add_nc_u32_e32 v5, 16, v5
	s_waitcnt lgkmcnt(0)
	v_cmp_gt_f64_e64 s3, 0, v[6:7]
	v_mov_b32_e32 v14, v6
	v_dual_mov_b32 v16, v8 :: v_dual_cndmask_b32 v11, v1, v10
	v_xor_b32_e32 v10, 0x80000000, v7
	v_cndmask_b32_e64 v13, v3, v12, s2
	v_xor_b32_e32 v12, 0x80000000, v9
	s_delay_alu instid0(VALU_DEP_3) | instskip(SKIP_2) | instid1(VALU_DEP_2)
	v_cndmask_b32_e64 v15, v7, v10, s3
	v_cmp_gt_f64_e64 s3, 0, v[8:9]
	v_cndmask_b32_e32 v10, v0, v0, vcc_lo
	v_cndmask_b32_e64 v17, v9, v12, s3
	v_cndmask_b32_e64 v12, v2, v2, s2
	s_delay_alu instid0(VALU_DEP_2) | instskip(NEXT) | instid1(VALU_DEP_2)
	v_add_f64 v[14:15], v[14:15], v[16:17]
	v_add_f64 v[10:11], v[10:11], v[12:13]
	s_delay_alu instid0(VALU_DEP_1)
	v_cmp_lt_f64_e32 vcc_lo, v[10:11], v[14:15]
	v_cndmask_b32_e32 v3, v3, v9, vcc_lo
	v_dual_cndmask_b32 v1, v1, v7 :: v_dual_cndmask_b32 v0, v0, v6
	v_cndmask_b32_e32 v2, v2, v8, vcc_lo
	v_cndmask_b32_e64 v4, v4, s6, vcc_lo
	s_add_i32 s6, s6, 1
	s_delay_alu instid0(SALU_CYCLE_1)
	s_cmp_lg_u32 s5, s6
	s_cbranch_scc1 .LBB126_349
.LBB126_350:
	s_set_inst_prefetch_distance 0x2
	s_waitcnt lgkmcnt(0)
	v_cmp_eq_f64_e32 vcc_lo, 0, v[0:1]
	v_cmp_eq_f64_e64 s2, 0, v[2:3]
	s_delay_alu instid0(VALU_DEP_1) | instskip(NEXT) | instid1(SALU_CYCLE_1)
	s_and_b32 s2, vcc_lo, s2
	s_and_saveexec_b32 s3, s2
	s_delay_alu instid0(SALU_CYCLE_1)
	s_xor_b32 s2, exec_lo, s3
; %bb.351:
	v_cmp_ne_u32_e32 vcc_lo, 0, v37
	v_cndmask_b32_e32 v37, 15, v37, vcc_lo
; %bb.352:
	s_and_not1_saveexec_b32 s3, s2
	s_cbranch_execz .LBB126_358
; %bb.353:
	v_cmp_gt_f64_e32 vcc_lo, 0, v[0:1]
	v_cmp_gt_f64_e64 s2, 0, v[2:3]
	v_xor_b32_e32 v5, 0x80000000, v1
	v_xor_b32_e32 v7, 0x80000000, v3
	s_delay_alu instid0(VALU_DEP_2) | instskip(NEXT) | instid1(VALU_DEP_2)
	v_dual_cndmask_b32 v6, v1, v5 :: v_dual_cndmask_b32 v5, v0, v0
	v_cndmask_b32_e64 v8, v3, v7, s2
	v_cndmask_b32_e64 v7, v2, v2, s2
	s_mov_b32 s2, exec_lo
	s_delay_alu instid0(VALU_DEP_1)
	v_cmpx_ngt_f64_e32 v[5:6], v[7:8]
	s_xor_b32 s2, exec_lo, s2
	s_cbranch_execz .LBB126_355
; %bb.354:
	v_div_scale_f64 v[5:6], null, v[2:3], v[2:3], v[0:1]
	v_div_scale_f64 v[11:12], vcc_lo, v[0:1], v[2:3], v[0:1]
	s_delay_alu instid0(VALU_DEP_2) | instskip(SKIP_2) | instid1(VALU_DEP_1)
	v_rcp_f64_e32 v[7:8], v[5:6]
	s_waitcnt_depctr 0xfff
	v_fma_f64 v[9:10], -v[5:6], v[7:8], 1.0
	v_fma_f64 v[7:8], v[7:8], v[9:10], v[7:8]
	s_delay_alu instid0(VALU_DEP_1) | instskip(NEXT) | instid1(VALU_DEP_1)
	v_fma_f64 v[9:10], -v[5:6], v[7:8], 1.0
	v_fma_f64 v[7:8], v[7:8], v[9:10], v[7:8]
	s_delay_alu instid0(VALU_DEP_1) | instskip(NEXT) | instid1(VALU_DEP_1)
	v_mul_f64 v[9:10], v[11:12], v[7:8]
	v_fma_f64 v[5:6], -v[5:6], v[9:10], v[11:12]
	s_delay_alu instid0(VALU_DEP_1) | instskip(NEXT) | instid1(VALU_DEP_1)
	v_div_fmas_f64 v[5:6], v[5:6], v[7:8], v[9:10]
	v_div_fixup_f64 v[5:6], v[5:6], v[2:3], v[0:1]
	s_delay_alu instid0(VALU_DEP_1) | instskip(NEXT) | instid1(VALU_DEP_1)
	v_fma_f64 v[0:1], v[0:1], v[5:6], v[2:3]
	v_div_scale_f64 v[2:3], null, v[0:1], v[0:1], 1.0
	s_delay_alu instid0(VALU_DEP_1) | instskip(SKIP_2) | instid1(VALU_DEP_1)
	v_rcp_f64_e32 v[7:8], v[2:3]
	s_waitcnt_depctr 0xfff
	v_fma_f64 v[9:10], -v[2:3], v[7:8], 1.0
	v_fma_f64 v[7:8], v[7:8], v[9:10], v[7:8]
	s_delay_alu instid0(VALU_DEP_1) | instskip(NEXT) | instid1(VALU_DEP_1)
	v_fma_f64 v[9:10], -v[2:3], v[7:8], 1.0
	v_fma_f64 v[7:8], v[7:8], v[9:10], v[7:8]
	v_div_scale_f64 v[9:10], vcc_lo, 1.0, v[0:1], 1.0
	s_delay_alu instid0(VALU_DEP_1) | instskip(NEXT) | instid1(VALU_DEP_1)
	v_mul_f64 v[11:12], v[9:10], v[7:8]
	v_fma_f64 v[2:3], -v[2:3], v[11:12], v[9:10]
	s_delay_alu instid0(VALU_DEP_1) | instskip(NEXT) | instid1(VALU_DEP_1)
	v_div_fmas_f64 v[2:3], v[2:3], v[7:8], v[11:12]
	v_div_fixup_f64 v[2:3], v[2:3], v[0:1], 1.0
	s_delay_alu instid0(VALU_DEP_1)
	v_mul_f64 v[0:1], v[5:6], v[2:3]
	v_xor_b32_e32 v3, 0x80000000, v3
.LBB126_355:
	s_and_not1_saveexec_b32 s2, s2
	s_cbranch_execz .LBB126_357
; %bb.356:
	s_delay_alu instid0(VALU_DEP_1) | instskip(SKIP_1) | instid1(VALU_DEP_2)
	v_div_scale_f64 v[5:6], null, v[0:1], v[0:1], v[2:3]
	v_div_scale_f64 v[11:12], vcc_lo, v[2:3], v[0:1], v[2:3]
	v_rcp_f64_e32 v[7:8], v[5:6]
	s_waitcnt_depctr 0xfff
	v_fma_f64 v[9:10], -v[5:6], v[7:8], 1.0
	s_delay_alu instid0(VALU_DEP_1) | instskip(NEXT) | instid1(VALU_DEP_1)
	v_fma_f64 v[7:8], v[7:8], v[9:10], v[7:8]
	v_fma_f64 v[9:10], -v[5:6], v[7:8], 1.0
	s_delay_alu instid0(VALU_DEP_1) | instskip(NEXT) | instid1(VALU_DEP_1)
	v_fma_f64 v[7:8], v[7:8], v[9:10], v[7:8]
	v_mul_f64 v[9:10], v[11:12], v[7:8]
	s_delay_alu instid0(VALU_DEP_1) | instskip(NEXT) | instid1(VALU_DEP_1)
	v_fma_f64 v[5:6], -v[5:6], v[9:10], v[11:12]
	v_div_fmas_f64 v[5:6], v[5:6], v[7:8], v[9:10]
	s_delay_alu instid0(VALU_DEP_1) | instskip(NEXT) | instid1(VALU_DEP_1)
	v_div_fixup_f64 v[5:6], v[5:6], v[0:1], v[2:3]
	v_fma_f64 v[0:1], v[2:3], v[5:6], v[0:1]
	s_delay_alu instid0(VALU_DEP_1) | instskip(NEXT) | instid1(VALU_DEP_1)
	v_div_scale_f64 v[2:3], null, v[0:1], v[0:1], 1.0
	v_rcp_f64_e32 v[7:8], v[2:3]
	s_waitcnt_depctr 0xfff
	v_fma_f64 v[9:10], -v[2:3], v[7:8], 1.0
	s_delay_alu instid0(VALU_DEP_1) | instskip(NEXT) | instid1(VALU_DEP_1)
	v_fma_f64 v[7:8], v[7:8], v[9:10], v[7:8]
	v_fma_f64 v[9:10], -v[2:3], v[7:8], 1.0
	s_delay_alu instid0(VALU_DEP_1) | instskip(SKIP_1) | instid1(VALU_DEP_1)
	v_fma_f64 v[7:8], v[7:8], v[9:10], v[7:8]
	v_div_scale_f64 v[9:10], vcc_lo, 1.0, v[0:1], 1.0
	v_mul_f64 v[11:12], v[9:10], v[7:8]
	s_delay_alu instid0(VALU_DEP_1) | instskip(NEXT) | instid1(VALU_DEP_1)
	v_fma_f64 v[2:3], -v[2:3], v[11:12], v[9:10]
	v_div_fmas_f64 v[2:3], v[2:3], v[7:8], v[11:12]
	s_delay_alu instid0(VALU_DEP_1) | instskip(NEXT) | instid1(VALU_DEP_1)
	v_div_fixup_f64 v[0:1], v[2:3], v[0:1], 1.0
	v_mul_f64 v[2:3], v[5:6], -v[0:1]
.LBB126_357:
	s_or_b32 exec_lo, exec_lo, s2
.LBB126_358:
	s_delay_alu instid0(SALU_CYCLE_1) | instskip(NEXT) | instid1(SALU_CYCLE_1)
	s_or_b32 exec_lo, exec_lo, s3
	s_mov_b32 s2, exec_lo
	v_cmpx_ne_u32_e64 v41, v4
	s_xor_b32 s2, exec_lo, s2
	s_cbranch_execz .LBB126_364
; %bb.359:
	s_mov_b32 s3, exec_lo
	v_cmpx_eq_u32_e32 14, v41
	s_cbranch_execz .LBB126_363
; %bb.360:
	v_cmp_ne_u32_e32 vcc_lo, 14, v4
	s_xor_b32 s6, s4, -1
	s_delay_alu instid0(SALU_CYCLE_1) | instskip(NEXT) | instid1(SALU_CYCLE_1)
	s_and_b32 s7, s6, vcc_lo
	s_and_saveexec_b32 s6, s7
	s_cbranch_execz .LBB126_362
; %bb.361:
	v_ashrrev_i32_e32 v5, 31, v4
	s_delay_alu instid0(VALU_DEP_1) | instskip(NEXT) | instid1(VALU_DEP_1)
	v_lshlrev_b64 v[5:6], 2, v[4:5]
	v_add_co_u32 v5, vcc_lo, v250, v5
	s_delay_alu instid0(VALU_DEP_2)
	v_add_co_ci_u32_e32 v6, vcc_lo, v251, v6, vcc_lo
	s_clause 0x1
	flat_load_b32 v7, v[5:6]
	flat_load_b32 v8, v[250:251] offset:56
	s_waitcnt vmcnt(1) lgkmcnt(1)
	flat_store_b32 v[250:251], v7 offset:56
	s_waitcnt vmcnt(0) lgkmcnt(1)
	flat_store_b32 v[5:6], v8
.LBB126_362:
	s_or_b32 exec_lo, exec_lo, s6
	v_mov_b32_e32 v41, v4
	v_mov_b32_e32 v39, v4
.LBB126_363:
	s_or_b32 exec_lo, exec_lo, s3
.LBB126_364:
	s_and_not1_saveexec_b32 s2, s2
	s_cbranch_execz .LBB126_368
; %bb.365:
	v_add3_u32 v4, v38, 0, 0xf0
	v_mov_b32_e32 v5, 0
	s_mov_b32 s3, 0
	s_set_inst_prefetch_distance 0x1
	.p2align	6
.LBB126_366:                            ; =>This Inner Loop Header: Depth=1
	s_delay_alu instid0(VALU_DEP_1) | instskip(SKIP_1) | instid1(VALU_DEP_2)
	v_readfirstlane_b32 s6, v5
	v_add_nc_u32_e32 v18, s3, v4
	s_add_i32 s6, s6, s3
	s_addk_i32 s3, 0x70
	s_add_i32 s7, s6, 0xf0
	s_add_i32 s9, s6, 0x100
	;; [unrolled: 1-line block ×6, first 2 shown]
	s_addk_i32 s6, 0x150
	s_clause 0x6
	scratch_load_b128 v[6:9], off, s7
	scratch_load_b128 v[10:13], off, s9
	;; [unrolled: 1-line block ×7, first 2 shown]
	s_cmpk_eq_i32 s3, 0x310
	s_waitcnt vmcnt(6)
	ds_store_2addr_b64 v18, v[6:7], v[8:9] offset1:1
	s_waitcnt vmcnt(5)
	ds_store_2addr_b64 v18, v[10:11], v[12:13] offset0:2 offset1:3
	s_waitcnt vmcnt(4)
	ds_store_2addr_b64 v18, v[14:15], v[16:17] offset0:4 offset1:5
	;; [unrolled: 2-line block ×6, first 2 shown]
	s_cbranch_scc0 .LBB126_366
; %bb.367:
	s_set_inst_prefetch_distance 0x2
	v_mov_b32_e32 v41, 14
.LBB126_368:
	s_or_b32 exec_lo, exec_lo, s2
	s_delay_alu instid0(SALU_CYCLE_1)
	s_mov_b32 s2, exec_lo
	s_waitcnt lgkmcnt(0)
	s_waitcnt_vscnt null, 0x0
	s_barrier
	buffer_gl0_inv
	v_cmpx_lt_i32_e32 14, v41
	s_cbranch_execz .LBB126_371
; %bb.369:
	scratch_load_b128 v[4:7], off, off offset:224
	s_mov_b32 s3, 0
	s_waitcnt vmcnt(0)
	v_mul_f64 v[8:9], v[2:3], v[6:7]
	v_mul_f64 v[6:7], v[0:1], v[6:7]
	s_delay_alu instid0(VALU_DEP_2) | instskip(NEXT) | instid1(VALU_DEP_2)
	v_fma_f64 v[0:1], v[0:1], v[4:5], -v[8:9]
	v_fma_f64 v[2:3], v[2:3], v[4:5], v[6:7]
	v_add3_u32 v4, v38, 0, 0xf0
	v_mov_b32_e32 v5, 0
	scratch_store_b128 off, v[0:3], off offset:224
.LBB126_370:                            ; =>This Inner Loop Header: Depth=1
	v_add_nc_u32_e32 v59, s3, v4
	v_readfirstlane_b32 s6, v5
	ds_load_2addr_b64 v[6:9], v59 offset1:1
	ds_load_2addr_b64 v[10:13], v59 offset0:2 offset1:3
	ds_load_2addr_b64 v[14:17], v59 offset0:4 offset1:5
	;; [unrolled: 1-line block ×5, first 2 shown]
	s_add_i32 s6, s6, s3
	s_addk_i32 s3, 0x70
	s_add_i32 s7, s6, 0xf0
	s_add_i32 s9, s6, 0x100
	;; [unrolled: 1-line block ×6, first 2 shown]
	s_addk_i32 s6, 0x150
	s_cmpk_lg_i32 s3, 0x310
	s_waitcnt lgkmcnt(5)
	v_mul_f64 v[18:19], v[8:9], v[2:3]
	v_mul_f64 v[46:47], v[6:7], v[2:3]
	s_waitcnt lgkmcnt(4)
	v_mul_f64 v[57:58], v[12:13], v[2:3]
	v_mul_f64 v[61:62], v[10:11], v[2:3]
	;; [unrolled: 3-line block ×6, first 2 shown]
	v_fma_f64 v[18:19], v[6:7], v[0:1], -v[18:19]
	v_fma_f64 v[46:47], v[8:9], v[0:1], v[46:47]
	v_fma_f64 v[57:58], v[10:11], v[0:1], -v[57:58]
	v_fma_f64 v[61:62], v[12:13], v[0:1], v[61:62]
	;; [unrolled: 2-line block ×6, first 2 shown]
	scratch_load_b128 v[0:3], off, off offset:224
	s_clause 0x6
	scratch_load_b128 v[6:9], off, s7
	scratch_load_b128 v[10:13], off, s9
	;; [unrolled: 1-line block ×7, first 2 shown]
	ds_load_2addr_b64 v[69:72], v59 offset0:12 offset1:13
	s_waitcnt vmcnt(6)
	v_add_f64 v[6:7], v[6:7], -v[18:19]
	v_add_f64 v[8:9], v[8:9], -v[46:47]
	s_waitcnt vmcnt(5)
	v_add_f64 v[10:11], v[10:11], -v[57:58]
	v_add_f64 v[12:13], v[12:13], -v[61:62]
	s_waitcnt vmcnt(4)
	v_add_f64 v[14:15], v[14:15], -v[81:82]
	s_waitcnt lgkmcnt(0)
	v_mul_f64 v[91:92], v[71:72], v[2:3]
	v_mul_f64 v[93:94], v[69:70], v[2:3]
	v_add_f64 v[16:17], v[16:17], -v[83:84]
	s_waitcnt vmcnt(3)
	v_add_f64 v[42:43], v[42:43], -v[85:86]
	v_add_f64 v[44:45], v[44:45], -v[87:88]
	s_waitcnt vmcnt(2)
	v_add_f64 v[49:50], v[49:50], -v[73:74]
	;; [unrolled: 3-line block ×3, first 2 shown]
	v_add_f64 v[55:56], v[55:56], -v[89:90]
	v_fma_f64 v[69:70], v[69:70], v[0:1], -v[91:92]
	v_fma_f64 v[71:72], v[71:72], v[0:1], v[93:94]
	s_waitcnt vmcnt(0)
	s_delay_alu instid0(VALU_DEP_2) | instskip(NEXT) | instid1(VALU_DEP_2)
	v_add_f64 v[65:66], v[65:66], -v[69:70]
	v_add_f64 v[67:68], v[67:68], -v[71:72]
	s_clause 0x6
	scratch_store_b128 off, v[6:9], s7
	scratch_store_b128 off, v[10:13], s9
	;; [unrolled: 1-line block ×7, first 2 shown]
	s_cbranch_scc1 .LBB126_370
.LBB126_371:
	s_or_b32 exec_lo, exec_lo, s2
	s_waitcnt_vscnt null, 0x0
	s_barrier
	buffer_gl0_inv
	scratch_load_b128 v[0:3], v20, off
	v_lshl_add_u32 v4, v41, 4, v36
	s_cmp_lt_i32 s5, 17
	s_waitcnt vmcnt(0)
	ds_store_2addr_b64 v4, v[0:1], v[2:3] offset1:1
	s_waitcnt lgkmcnt(0)
	s_barrier
	buffer_gl0_inv
	ds_load_2addr_b64 v[0:3], v36 offset0:30 offset1:31
	v_mov_b32_e32 v4, 15
	s_cbranch_scc1 .LBB126_374
; %bb.372:
	v_add3_u32 v5, v38, 0, 0x100
	v_mov_b32_e32 v4, 15
	s_mov_b32 s6, 16
	s_set_inst_prefetch_distance 0x1
	.p2align	6
.LBB126_373:                            ; =>This Inner Loop Header: Depth=1
	ds_load_2addr_b64 v[6:9], v5 offset1:1
	s_waitcnt lgkmcnt(1)
	v_cmp_gt_f64_e32 vcc_lo, 0, v[0:1]
	v_xor_b32_e32 v10, 0x80000000, v1
	v_cmp_gt_f64_e64 s2, 0, v[2:3]
	v_xor_b32_e32 v12, 0x80000000, v3
	v_add_nc_u32_e32 v5, 16, v5
	s_waitcnt lgkmcnt(0)
	v_cmp_gt_f64_e64 s3, 0, v[6:7]
	v_mov_b32_e32 v14, v6
	v_dual_mov_b32 v16, v8 :: v_dual_cndmask_b32 v11, v1, v10
	v_xor_b32_e32 v10, 0x80000000, v7
	v_cndmask_b32_e64 v13, v3, v12, s2
	v_xor_b32_e32 v12, 0x80000000, v9
	s_delay_alu instid0(VALU_DEP_3) | instskip(SKIP_2) | instid1(VALU_DEP_2)
	v_cndmask_b32_e64 v15, v7, v10, s3
	v_cmp_gt_f64_e64 s3, 0, v[8:9]
	v_cndmask_b32_e32 v10, v0, v0, vcc_lo
	v_cndmask_b32_e64 v17, v9, v12, s3
	v_cndmask_b32_e64 v12, v2, v2, s2
	s_delay_alu instid0(VALU_DEP_2) | instskip(NEXT) | instid1(VALU_DEP_2)
	v_add_f64 v[14:15], v[14:15], v[16:17]
	v_add_f64 v[10:11], v[10:11], v[12:13]
	s_delay_alu instid0(VALU_DEP_1)
	v_cmp_lt_f64_e32 vcc_lo, v[10:11], v[14:15]
	v_cndmask_b32_e32 v3, v3, v9, vcc_lo
	v_dual_cndmask_b32 v1, v1, v7 :: v_dual_cndmask_b32 v0, v0, v6
	v_cndmask_b32_e32 v2, v2, v8, vcc_lo
	v_cndmask_b32_e64 v4, v4, s6, vcc_lo
	s_add_i32 s6, s6, 1
	s_delay_alu instid0(SALU_CYCLE_1)
	s_cmp_lg_u32 s5, s6
	s_cbranch_scc1 .LBB126_373
.LBB126_374:
	s_set_inst_prefetch_distance 0x2
	s_waitcnt lgkmcnt(0)
	v_cmp_eq_f64_e32 vcc_lo, 0, v[0:1]
	v_cmp_eq_f64_e64 s2, 0, v[2:3]
	s_delay_alu instid0(VALU_DEP_1) | instskip(NEXT) | instid1(SALU_CYCLE_1)
	s_and_b32 s2, vcc_lo, s2
	s_and_saveexec_b32 s3, s2
	s_delay_alu instid0(SALU_CYCLE_1)
	s_xor_b32 s2, exec_lo, s3
; %bb.375:
	v_cmp_ne_u32_e32 vcc_lo, 0, v37
	v_cndmask_b32_e32 v37, 16, v37, vcc_lo
; %bb.376:
	s_and_not1_saveexec_b32 s3, s2
	s_cbranch_execz .LBB126_382
; %bb.377:
	v_cmp_gt_f64_e32 vcc_lo, 0, v[0:1]
	v_cmp_gt_f64_e64 s2, 0, v[2:3]
	v_xor_b32_e32 v5, 0x80000000, v1
	v_xor_b32_e32 v7, 0x80000000, v3
	s_delay_alu instid0(VALU_DEP_2) | instskip(NEXT) | instid1(VALU_DEP_2)
	v_dual_cndmask_b32 v6, v1, v5 :: v_dual_cndmask_b32 v5, v0, v0
	v_cndmask_b32_e64 v8, v3, v7, s2
	v_cndmask_b32_e64 v7, v2, v2, s2
	s_mov_b32 s2, exec_lo
	s_delay_alu instid0(VALU_DEP_1)
	v_cmpx_ngt_f64_e32 v[5:6], v[7:8]
	s_xor_b32 s2, exec_lo, s2
	s_cbranch_execz .LBB126_379
; %bb.378:
	v_div_scale_f64 v[5:6], null, v[2:3], v[2:3], v[0:1]
	v_div_scale_f64 v[11:12], vcc_lo, v[0:1], v[2:3], v[0:1]
	s_delay_alu instid0(VALU_DEP_2) | instskip(SKIP_2) | instid1(VALU_DEP_1)
	v_rcp_f64_e32 v[7:8], v[5:6]
	s_waitcnt_depctr 0xfff
	v_fma_f64 v[9:10], -v[5:6], v[7:8], 1.0
	v_fma_f64 v[7:8], v[7:8], v[9:10], v[7:8]
	s_delay_alu instid0(VALU_DEP_1) | instskip(NEXT) | instid1(VALU_DEP_1)
	v_fma_f64 v[9:10], -v[5:6], v[7:8], 1.0
	v_fma_f64 v[7:8], v[7:8], v[9:10], v[7:8]
	s_delay_alu instid0(VALU_DEP_1) | instskip(NEXT) | instid1(VALU_DEP_1)
	v_mul_f64 v[9:10], v[11:12], v[7:8]
	v_fma_f64 v[5:6], -v[5:6], v[9:10], v[11:12]
	s_delay_alu instid0(VALU_DEP_1) | instskip(NEXT) | instid1(VALU_DEP_1)
	v_div_fmas_f64 v[5:6], v[5:6], v[7:8], v[9:10]
	v_div_fixup_f64 v[5:6], v[5:6], v[2:3], v[0:1]
	s_delay_alu instid0(VALU_DEP_1) | instskip(NEXT) | instid1(VALU_DEP_1)
	v_fma_f64 v[0:1], v[0:1], v[5:6], v[2:3]
	v_div_scale_f64 v[2:3], null, v[0:1], v[0:1], 1.0
	s_delay_alu instid0(VALU_DEP_1) | instskip(SKIP_2) | instid1(VALU_DEP_1)
	v_rcp_f64_e32 v[7:8], v[2:3]
	s_waitcnt_depctr 0xfff
	v_fma_f64 v[9:10], -v[2:3], v[7:8], 1.0
	v_fma_f64 v[7:8], v[7:8], v[9:10], v[7:8]
	s_delay_alu instid0(VALU_DEP_1) | instskip(NEXT) | instid1(VALU_DEP_1)
	v_fma_f64 v[9:10], -v[2:3], v[7:8], 1.0
	v_fma_f64 v[7:8], v[7:8], v[9:10], v[7:8]
	v_div_scale_f64 v[9:10], vcc_lo, 1.0, v[0:1], 1.0
	s_delay_alu instid0(VALU_DEP_1) | instskip(NEXT) | instid1(VALU_DEP_1)
	v_mul_f64 v[11:12], v[9:10], v[7:8]
	v_fma_f64 v[2:3], -v[2:3], v[11:12], v[9:10]
	s_delay_alu instid0(VALU_DEP_1) | instskip(NEXT) | instid1(VALU_DEP_1)
	v_div_fmas_f64 v[2:3], v[2:3], v[7:8], v[11:12]
	v_div_fixup_f64 v[2:3], v[2:3], v[0:1], 1.0
	s_delay_alu instid0(VALU_DEP_1)
	v_mul_f64 v[0:1], v[5:6], v[2:3]
	v_xor_b32_e32 v3, 0x80000000, v3
.LBB126_379:
	s_and_not1_saveexec_b32 s2, s2
	s_cbranch_execz .LBB126_381
; %bb.380:
	s_delay_alu instid0(VALU_DEP_1) | instskip(SKIP_1) | instid1(VALU_DEP_2)
	v_div_scale_f64 v[5:6], null, v[0:1], v[0:1], v[2:3]
	v_div_scale_f64 v[11:12], vcc_lo, v[2:3], v[0:1], v[2:3]
	v_rcp_f64_e32 v[7:8], v[5:6]
	s_waitcnt_depctr 0xfff
	v_fma_f64 v[9:10], -v[5:6], v[7:8], 1.0
	s_delay_alu instid0(VALU_DEP_1) | instskip(NEXT) | instid1(VALU_DEP_1)
	v_fma_f64 v[7:8], v[7:8], v[9:10], v[7:8]
	v_fma_f64 v[9:10], -v[5:6], v[7:8], 1.0
	s_delay_alu instid0(VALU_DEP_1) | instskip(NEXT) | instid1(VALU_DEP_1)
	v_fma_f64 v[7:8], v[7:8], v[9:10], v[7:8]
	v_mul_f64 v[9:10], v[11:12], v[7:8]
	s_delay_alu instid0(VALU_DEP_1) | instskip(NEXT) | instid1(VALU_DEP_1)
	v_fma_f64 v[5:6], -v[5:6], v[9:10], v[11:12]
	v_div_fmas_f64 v[5:6], v[5:6], v[7:8], v[9:10]
	s_delay_alu instid0(VALU_DEP_1) | instskip(NEXT) | instid1(VALU_DEP_1)
	v_div_fixup_f64 v[5:6], v[5:6], v[0:1], v[2:3]
	v_fma_f64 v[0:1], v[2:3], v[5:6], v[0:1]
	s_delay_alu instid0(VALU_DEP_1) | instskip(NEXT) | instid1(VALU_DEP_1)
	v_div_scale_f64 v[2:3], null, v[0:1], v[0:1], 1.0
	v_rcp_f64_e32 v[7:8], v[2:3]
	s_waitcnt_depctr 0xfff
	v_fma_f64 v[9:10], -v[2:3], v[7:8], 1.0
	s_delay_alu instid0(VALU_DEP_1) | instskip(NEXT) | instid1(VALU_DEP_1)
	v_fma_f64 v[7:8], v[7:8], v[9:10], v[7:8]
	v_fma_f64 v[9:10], -v[2:3], v[7:8], 1.0
	s_delay_alu instid0(VALU_DEP_1) | instskip(SKIP_1) | instid1(VALU_DEP_1)
	v_fma_f64 v[7:8], v[7:8], v[9:10], v[7:8]
	v_div_scale_f64 v[9:10], vcc_lo, 1.0, v[0:1], 1.0
	v_mul_f64 v[11:12], v[9:10], v[7:8]
	s_delay_alu instid0(VALU_DEP_1) | instskip(NEXT) | instid1(VALU_DEP_1)
	v_fma_f64 v[2:3], -v[2:3], v[11:12], v[9:10]
	v_div_fmas_f64 v[2:3], v[2:3], v[7:8], v[11:12]
	s_delay_alu instid0(VALU_DEP_1) | instskip(NEXT) | instid1(VALU_DEP_1)
	v_div_fixup_f64 v[0:1], v[2:3], v[0:1], 1.0
	v_mul_f64 v[2:3], v[5:6], -v[0:1]
.LBB126_381:
	s_or_b32 exec_lo, exec_lo, s2
.LBB126_382:
	s_delay_alu instid0(SALU_CYCLE_1) | instskip(NEXT) | instid1(SALU_CYCLE_1)
	s_or_b32 exec_lo, exec_lo, s3
	s_mov_b32 s2, exec_lo
	v_cmpx_ne_u32_e64 v41, v4
	s_xor_b32 s2, exec_lo, s2
	s_cbranch_execz .LBB126_388
; %bb.383:
	s_mov_b32 s3, exec_lo
	v_cmpx_eq_u32_e32 15, v41
	s_cbranch_execz .LBB126_387
; %bb.384:
	v_cmp_ne_u32_e32 vcc_lo, 15, v4
	s_xor_b32 s6, s4, -1
	s_delay_alu instid0(SALU_CYCLE_1) | instskip(NEXT) | instid1(SALU_CYCLE_1)
	s_and_b32 s7, s6, vcc_lo
	s_and_saveexec_b32 s6, s7
	s_cbranch_execz .LBB126_386
; %bb.385:
	v_ashrrev_i32_e32 v5, 31, v4
	s_delay_alu instid0(VALU_DEP_1) | instskip(NEXT) | instid1(VALU_DEP_1)
	v_lshlrev_b64 v[5:6], 2, v[4:5]
	v_add_co_u32 v5, vcc_lo, v250, v5
	s_delay_alu instid0(VALU_DEP_2)
	v_add_co_ci_u32_e32 v6, vcc_lo, v251, v6, vcc_lo
	s_clause 0x1
	flat_load_b32 v7, v[5:6]
	flat_load_b32 v8, v[250:251] offset:60
	s_waitcnt vmcnt(1) lgkmcnt(1)
	flat_store_b32 v[250:251], v7 offset:60
	s_waitcnt vmcnt(0) lgkmcnt(1)
	flat_store_b32 v[5:6], v8
.LBB126_386:
	s_or_b32 exec_lo, exec_lo, s6
	v_mov_b32_e32 v41, v4
	v_mov_b32_e32 v39, v4
.LBB126_387:
	s_or_b32 exec_lo, exec_lo, s3
.LBB126_388:
	s_and_not1_saveexec_b32 s2, s2
	s_cbranch_execz .LBB126_392
; %bb.389:
	v_add3_u32 v4, v38, 0, 0x100
	v_mov_b32_e32 v5, 0
	s_mov_b32 s3, 0
.LBB126_390:                            ; =>This Inner Loop Header: Depth=1
	s_delay_alu instid0(VALU_DEP_1) | instskip(NEXT) | instid1(VALU_DEP_3)
	v_readfirstlane_b32 s6, v5
	v_add_nc_u32_e32 v18, s3, v4
	s_delay_alu instid0(VALU_DEP_2)
	s_add_i32 s6, s6, s3
	s_addk_i32 s3, 0x100
	s_add_i32 s7, s6, 0x100
	s_add_i32 s9, s6, 0x110
	;; [unrolled: 1-line block ×15, first 2 shown]
	s_addk_i32 s6, 0x1f0
	s_clause 0xf
	scratch_load_b128 v[6:9], off, s7
	scratch_load_b128 v[10:13], off, s9
	scratch_load_b128 v[14:17], off, s12
	scratch_load_b128 v[41:44], off, s14
	scratch_load_b128 v[49:52], off, s15
	scratch_load_b128 v[53:56], off, s16
	scratch_load_b128 v[65:68], off, s17
	scratch_load_b128 v[69:72], off, s18
	scratch_load_b128 v[81:84], off, s19
	scratch_load_b128 v[85:88], off, s20
	scratch_load_b128 v[129:132], off, s21
	scratch_load_b128 v[136:139], off, s22
	scratch_load_b128 v[146:149], off, s23
	scratch_load_b128 v[186:189], off, s24
	scratch_load_b128 v[190:193], off, s25
	scratch_load_b128 v[194:197], off, s6
	s_cmpk_eq_i32 s3, 0x300
	s_waitcnt vmcnt(15)
	ds_store_2addr_b64 v18, v[6:7], v[8:9] offset1:1
	s_waitcnt vmcnt(14)
	ds_store_2addr_b64 v18, v[10:11], v[12:13] offset0:2 offset1:3
	s_waitcnt vmcnt(13)
	ds_store_2addr_b64 v18, v[14:15], v[16:17] offset0:4 offset1:5
	;; [unrolled: 2-line block ×15, first 2 shown]
	s_cbranch_scc0 .LBB126_390
; %bb.391:
	v_mov_b32_e32 v41, 15
.LBB126_392:
	s_or_b32 exec_lo, exec_lo, s2
	s_delay_alu instid0(SALU_CYCLE_1)
	s_mov_b32 s2, exec_lo
	s_waitcnt lgkmcnt(0)
	s_waitcnt_vscnt null, 0x0
	s_barrier
	buffer_gl0_inv
	v_cmpx_lt_i32_e32 15, v41
	s_cbranch_execz .LBB126_395
; %bb.393:
	scratch_load_b128 v[4:7], off, off offset:240
	s_mov_b32 s3, 0
	s_waitcnt vmcnt(0)
	v_mul_f64 v[8:9], v[2:3], v[6:7]
	v_mul_f64 v[6:7], v[0:1], v[6:7]
	s_delay_alu instid0(VALU_DEP_2) | instskip(NEXT) | instid1(VALU_DEP_2)
	v_fma_f64 v[0:1], v[0:1], v[4:5], -v[8:9]
	v_fma_f64 v[2:3], v[2:3], v[4:5], v[6:7]
	v_add3_u32 v4, v38, 0, 0x100
	v_mov_b32_e32 v5, 0
	scratch_store_b128 off, v[0:3], off offset:240
.LBB126_394:                            ; =>This Inner Loop Header: Depth=1
	v_readfirstlane_b32 s6, v5
	v_add_nc_u32_e32 v18, s3, v4
	s_delay_alu instid0(VALU_DEP_2)
	s_add_i32 s7, s6, s3
	s_addk_i32 s3, 0x60
	s_add_i32 s6, s7, 0x100
	s_add_i32 s9, s7, 0x110
	;; [unrolled: 1-line block ×5, first 2 shown]
	s_addk_i32 s7, 0x150
	s_clause 0x5
	scratch_load_b128 v[6:9], off, s6
	scratch_load_b128 v[10:13], off, s9
	;; [unrolled: 1-line block ×6, first 2 shown]
	ds_load_2addr_b64 v[65:68], v18 offset1:1
	ds_load_2addr_b64 v[69:72], v18 offset0:2 offset1:3
	ds_load_2addr_b64 v[81:84], v18 offset0:4 offset1:5
	;; [unrolled: 1-line block ×5, first 2 shown]
	s_cmpk_lg_i32 s3, 0x300
	s_waitcnt lgkmcnt(5)
	v_mul_f64 v[18:19], v[67:68], v[2:3]
	v_mul_f64 v[46:47], v[65:66], v[2:3]
	s_waitcnt lgkmcnt(4)
	v_mul_f64 v[57:58], v[71:72], v[2:3]
	v_mul_f64 v[61:62], v[69:70], v[2:3]
	;; [unrolled: 3-line block ×6, first 2 shown]
	v_fma_f64 v[18:19], v[65:66], v[0:1], -v[18:19]
	v_fma_f64 v[46:47], v[67:68], v[0:1], v[46:47]
	v_fma_f64 v[57:58], v[69:70], v[0:1], -v[57:58]
	v_fma_f64 v[61:62], v[71:72], v[0:1], v[61:62]
	v_fma_f64 v[65:66], v[81:82], v[0:1], -v[73:74]
	v_fma_f64 v[67:68], v[83:84], v[0:1], v[77:78]
	v_fma_f64 v[69:70], v[85:86], v[0:1], -v[79:80]
	v_fma_f64 v[71:72], v[87:88], v[0:1], v[89:90]
	v_fma_f64 v[73:74], v[129:130], v[0:1], -v[91:92]
	v_fma_f64 v[77:78], v[131:132], v[0:1], v[93:94]
	v_fma_f64 v[79:80], v[136:137], v[0:1], -v[95:96]
	v_fma_f64 v[81:82], v[138:139], v[0:1], v[97:98]
	s_waitcnt vmcnt(5)
	v_add_f64 v[6:7], v[6:7], -v[18:19]
	v_add_f64 v[8:9], v[8:9], -v[46:47]
	s_waitcnt vmcnt(4)
	v_add_f64 v[10:11], v[10:11], -v[57:58]
	v_add_f64 v[12:13], v[12:13], -v[61:62]
	;; [unrolled: 3-line block ×6, first 2 shown]
	s_clause 0x5
	scratch_store_b128 off, v[6:9], s6
	scratch_store_b128 off, v[10:13], s9
	;; [unrolled: 1-line block ×6, first 2 shown]
	s_cbranch_scc1 .LBB126_394
.LBB126_395:
	s_or_b32 exec_lo, exec_lo, s2
	s_waitcnt_vscnt null, 0x0
	s_barrier
	buffer_gl0_inv
	scratch_load_b128 v[0:3], v32, off
	v_lshl_add_u32 v4, v41, 4, v36
	s_cmp_lt_i32 s5, 18
	s_waitcnt vmcnt(0)
	ds_store_2addr_b64 v4, v[0:1], v[2:3] offset1:1
	s_waitcnt lgkmcnt(0)
	s_barrier
	buffer_gl0_inv
	ds_load_2addr_b64 v[0:3], v36 offset0:32 offset1:33
	v_mov_b32_e32 v4, 16
	s_cbranch_scc1 .LBB126_398
; %bb.396:
	v_add3_u32 v5, v38, 0, 0x110
	v_mov_b32_e32 v4, 16
	s_mov_b32 s6, 17
	s_set_inst_prefetch_distance 0x1
	.p2align	6
.LBB126_397:                            ; =>This Inner Loop Header: Depth=1
	ds_load_2addr_b64 v[6:9], v5 offset1:1
	s_waitcnt lgkmcnt(1)
	v_cmp_gt_f64_e32 vcc_lo, 0, v[0:1]
	v_xor_b32_e32 v10, 0x80000000, v1
	v_cmp_gt_f64_e64 s2, 0, v[2:3]
	v_xor_b32_e32 v12, 0x80000000, v3
	v_add_nc_u32_e32 v5, 16, v5
	s_waitcnt lgkmcnt(0)
	v_cmp_gt_f64_e64 s3, 0, v[6:7]
	v_mov_b32_e32 v14, v6
	v_dual_mov_b32 v16, v8 :: v_dual_cndmask_b32 v11, v1, v10
	v_xor_b32_e32 v10, 0x80000000, v7
	v_cndmask_b32_e64 v13, v3, v12, s2
	v_xor_b32_e32 v12, 0x80000000, v9
	s_delay_alu instid0(VALU_DEP_3) | instskip(SKIP_2) | instid1(VALU_DEP_2)
	v_cndmask_b32_e64 v15, v7, v10, s3
	v_cmp_gt_f64_e64 s3, 0, v[8:9]
	v_cndmask_b32_e32 v10, v0, v0, vcc_lo
	v_cndmask_b32_e64 v17, v9, v12, s3
	v_cndmask_b32_e64 v12, v2, v2, s2
	s_delay_alu instid0(VALU_DEP_2) | instskip(NEXT) | instid1(VALU_DEP_2)
	v_add_f64 v[14:15], v[14:15], v[16:17]
	v_add_f64 v[10:11], v[10:11], v[12:13]
	s_delay_alu instid0(VALU_DEP_1)
	v_cmp_lt_f64_e32 vcc_lo, v[10:11], v[14:15]
	v_cndmask_b32_e32 v3, v3, v9, vcc_lo
	v_dual_cndmask_b32 v1, v1, v7 :: v_dual_cndmask_b32 v0, v0, v6
	v_cndmask_b32_e32 v2, v2, v8, vcc_lo
	v_cndmask_b32_e64 v4, v4, s6, vcc_lo
	s_add_i32 s6, s6, 1
	s_delay_alu instid0(SALU_CYCLE_1)
	s_cmp_lg_u32 s5, s6
	s_cbranch_scc1 .LBB126_397
.LBB126_398:
	s_set_inst_prefetch_distance 0x2
	s_waitcnt lgkmcnt(0)
	v_cmp_eq_f64_e32 vcc_lo, 0, v[0:1]
	v_cmp_eq_f64_e64 s2, 0, v[2:3]
	s_delay_alu instid0(VALU_DEP_1) | instskip(NEXT) | instid1(SALU_CYCLE_1)
	s_and_b32 s2, vcc_lo, s2
	s_and_saveexec_b32 s3, s2
	s_delay_alu instid0(SALU_CYCLE_1)
	s_xor_b32 s2, exec_lo, s3
; %bb.399:
	v_cmp_ne_u32_e32 vcc_lo, 0, v37
	v_cndmask_b32_e32 v37, 17, v37, vcc_lo
; %bb.400:
	s_and_not1_saveexec_b32 s3, s2
	s_cbranch_execz .LBB126_406
; %bb.401:
	v_cmp_gt_f64_e32 vcc_lo, 0, v[0:1]
	v_cmp_gt_f64_e64 s2, 0, v[2:3]
	v_xor_b32_e32 v5, 0x80000000, v1
	v_xor_b32_e32 v7, 0x80000000, v3
	s_delay_alu instid0(VALU_DEP_2) | instskip(NEXT) | instid1(VALU_DEP_2)
	v_dual_cndmask_b32 v6, v1, v5 :: v_dual_cndmask_b32 v5, v0, v0
	v_cndmask_b32_e64 v8, v3, v7, s2
	v_cndmask_b32_e64 v7, v2, v2, s2
	s_mov_b32 s2, exec_lo
	s_delay_alu instid0(VALU_DEP_1)
	v_cmpx_ngt_f64_e32 v[5:6], v[7:8]
	s_xor_b32 s2, exec_lo, s2
	s_cbranch_execz .LBB126_403
; %bb.402:
	v_div_scale_f64 v[5:6], null, v[2:3], v[2:3], v[0:1]
	v_div_scale_f64 v[11:12], vcc_lo, v[0:1], v[2:3], v[0:1]
	s_delay_alu instid0(VALU_DEP_2) | instskip(SKIP_2) | instid1(VALU_DEP_1)
	v_rcp_f64_e32 v[7:8], v[5:6]
	s_waitcnt_depctr 0xfff
	v_fma_f64 v[9:10], -v[5:6], v[7:8], 1.0
	v_fma_f64 v[7:8], v[7:8], v[9:10], v[7:8]
	s_delay_alu instid0(VALU_DEP_1) | instskip(NEXT) | instid1(VALU_DEP_1)
	v_fma_f64 v[9:10], -v[5:6], v[7:8], 1.0
	v_fma_f64 v[7:8], v[7:8], v[9:10], v[7:8]
	s_delay_alu instid0(VALU_DEP_1) | instskip(NEXT) | instid1(VALU_DEP_1)
	v_mul_f64 v[9:10], v[11:12], v[7:8]
	v_fma_f64 v[5:6], -v[5:6], v[9:10], v[11:12]
	s_delay_alu instid0(VALU_DEP_1) | instskip(NEXT) | instid1(VALU_DEP_1)
	v_div_fmas_f64 v[5:6], v[5:6], v[7:8], v[9:10]
	v_div_fixup_f64 v[5:6], v[5:6], v[2:3], v[0:1]
	s_delay_alu instid0(VALU_DEP_1) | instskip(NEXT) | instid1(VALU_DEP_1)
	v_fma_f64 v[0:1], v[0:1], v[5:6], v[2:3]
	v_div_scale_f64 v[2:3], null, v[0:1], v[0:1], 1.0
	s_delay_alu instid0(VALU_DEP_1) | instskip(SKIP_2) | instid1(VALU_DEP_1)
	v_rcp_f64_e32 v[7:8], v[2:3]
	s_waitcnt_depctr 0xfff
	v_fma_f64 v[9:10], -v[2:3], v[7:8], 1.0
	v_fma_f64 v[7:8], v[7:8], v[9:10], v[7:8]
	s_delay_alu instid0(VALU_DEP_1) | instskip(NEXT) | instid1(VALU_DEP_1)
	v_fma_f64 v[9:10], -v[2:3], v[7:8], 1.0
	v_fma_f64 v[7:8], v[7:8], v[9:10], v[7:8]
	v_div_scale_f64 v[9:10], vcc_lo, 1.0, v[0:1], 1.0
	s_delay_alu instid0(VALU_DEP_1) | instskip(NEXT) | instid1(VALU_DEP_1)
	v_mul_f64 v[11:12], v[9:10], v[7:8]
	v_fma_f64 v[2:3], -v[2:3], v[11:12], v[9:10]
	s_delay_alu instid0(VALU_DEP_1) | instskip(NEXT) | instid1(VALU_DEP_1)
	v_div_fmas_f64 v[2:3], v[2:3], v[7:8], v[11:12]
	v_div_fixup_f64 v[2:3], v[2:3], v[0:1], 1.0
	s_delay_alu instid0(VALU_DEP_1)
	v_mul_f64 v[0:1], v[5:6], v[2:3]
	v_xor_b32_e32 v3, 0x80000000, v3
.LBB126_403:
	s_and_not1_saveexec_b32 s2, s2
	s_cbranch_execz .LBB126_405
; %bb.404:
	s_delay_alu instid0(VALU_DEP_1) | instskip(SKIP_1) | instid1(VALU_DEP_2)
	v_div_scale_f64 v[5:6], null, v[0:1], v[0:1], v[2:3]
	v_div_scale_f64 v[11:12], vcc_lo, v[2:3], v[0:1], v[2:3]
	v_rcp_f64_e32 v[7:8], v[5:6]
	s_waitcnt_depctr 0xfff
	v_fma_f64 v[9:10], -v[5:6], v[7:8], 1.0
	s_delay_alu instid0(VALU_DEP_1) | instskip(NEXT) | instid1(VALU_DEP_1)
	v_fma_f64 v[7:8], v[7:8], v[9:10], v[7:8]
	v_fma_f64 v[9:10], -v[5:6], v[7:8], 1.0
	s_delay_alu instid0(VALU_DEP_1) | instskip(NEXT) | instid1(VALU_DEP_1)
	v_fma_f64 v[7:8], v[7:8], v[9:10], v[7:8]
	v_mul_f64 v[9:10], v[11:12], v[7:8]
	s_delay_alu instid0(VALU_DEP_1) | instskip(NEXT) | instid1(VALU_DEP_1)
	v_fma_f64 v[5:6], -v[5:6], v[9:10], v[11:12]
	v_div_fmas_f64 v[5:6], v[5:6], v[7:8], v[9:10]
	s_delay_alu instid0(VALU_DEP_1) | instskip(NEXT) | instid1(VALU_DEP_1)
	v_div_fixup_f64 v[5:6], v[5:6], v[0:1], v[2:3]
	v_fma_f64 v[0:1], v[2:3], v[5:6], v[0:1]
	s_delay_alu instid0(VALU_DEP_1) | instskip(NEXT) | instid1(VALU_DEP_1)
	v_div_scale_f64 v[2:3], null, v[0:1], v[0:1], 1.0
	v_rcp_f64_e32 v[7:8], v[2:3]
	s_waitcnt_depctr 0xfff
	v_fma_f64 v[9:10], -v[2:3], v[7:8], 1.0
	s_delay_alu instid0(VALU_DEP_1) | instskip(NEXT) | instid1(VALU_DEP_1)
	v_fma_f64 v[7:8], v[7:8], v[9:10], v[7:8]
	v_fma_f64 v[9:10], -v[2:3], v[7:8], 1.0
	s_delay_alu instid0(VALU_DEP_1) | instskip(SKIP_1) | instid1(VALU_DEP_1)
	v_fma_f64 v[7:8], v[7:8], v[9:10], v[7:8]
	v_div_scale_f64 v[9:10], vcc_lo, 1.0, v[0:1], 1.0
	v_mul_f64 v[11:12], v[9:10], v[7:8]
	s_delay_alu instid0(VALU_DEP_1) | instskip(NEXT) | instid1(VALU_DEP_1)
	v_fma_f64 v[2:3], -v[2:3], v[11:12], v[9:10]
	v_div_fmas_f64 v[2:3], v[2:3], v[7:8], v[11:12]
	s_delay_alu instid0(VALU_DEP_1) | instskip(NEXT) | instid1(VALU_DEP_1)
	v_div_fixup_f64 v[0:1], v[2:3], v[0:1], 1.0
	v_mul_f64 v[2:3], v[5:6], -v[0:1]
.LBB126_405:
	s_or_b32 exec_lo, exec_lo, s2
.LBB126_406:
	s_delay_alu instid0(SALU_CYCLE_1) | instskip(NEXT) | instid1(SALU_CYCLE_1)
	s_or_b32 exec_lo, exec_lo, s3
	s_mov_b32 s2, exec_lo
	v_cmpx_ne_u32_e64 v41, v4
	s_xor_b32 s2, exec_lo, s2
	s_cbranch_execz .LBB126_412
; %bb.407:
	s_mov_b32 s3, exec_lo
	v_cmpx_eq_u32_e32 16, v41
	s_cbranch_execz .LBB126_411
; %bb.408:
	v_cmp_ne_u32_e32 vcc_lo, 16, v4
	s_xor_b32 s6, s4, -1
	s_delay_alu instid0(SALU_CYCLE_1) | instskip(NEXT) | instid1(SALU_CYCLE_1)
	s_and_b32 s7, s6, vcc_lo
	s_and_saveexec_b32 s6, s7
	s_cbranch_execz .LBB126_410
; %bb.409:
	v_ashrrev_i32_e32 v5, 31, v4
	s_delay_alu instid0(VALU_DEP_1) | instskip(NEXT) | instid1(VALU_DEP_1)
	v_lshlrev_b64 v[5:6], 2, v[4:5]
	v_add_co_u32 v5, vcc_lo, v250, v5
	s_delay_alu instid0(VALU_DEP_2)
	v_add_co_ci_u32_e32 v6, vcc_lo, v251, v6, vcc_lo
	s_clause 0x1
	flat_load_b32 v7, v[5:6]
	flat_load_b32 v8, v[250:251] offset:64
	s_waitcnt vmcnt(1) lgkmcnt(1)
	flat_store_b32 v[250:251], v7 offset:64
	s_waitcnt vmcnt(0) lgkmcnt(1)
	flat_store_b32 v[5:6], v8
.LBB126_410:
	s_or_b32 exec_lo, exec_lo, s6
	v_mov_b32_e32 v41, v4
	v_mov_b32_e32 v39, v4
.LBB126_411:
	s_or_b32 exec_lo, exec_lo, s3
.LBB126_412:
	s_and_not1_saveexec_b32 s2, s2
	s_cbranch_execz .LBB126_418
; %bb.413:
	v_add3_u32 v4, v38, 0, 0x110
	v_mov_b32_e32 v5, 0
	s_mov_b32 s3, 0
	s_branch .LBB126_415
.LBB126_414:                            ;   in Loop: Header=BB126_415 Depth=1
	s_and_not1_b32 vcc_lo, exec_lo, s7
	s_cbranch_vccz .LBB126_417
.LBB126_415:                            ; =>This Inner Loop Header: Depth=1
	s_delay_alu instid0(VALU_DEP_1) | instskip(SKIP_1) | instid1(VALU_DEP_2)
	v_readfirstlane_b32 s6, v5
	v_add_nc_u32_e32 v6, s3, v4
	s_add_i32 s6, s6, s3
	s_delay_alu instid0(SALU_CYCLE_1)
	s_add_i32 s7, s6, 0x110
	s_add_i32 s9, s6, 0x120
	;; [unrolled: 1-line block ×7, first 2 shown]
	s_clause 0x6
	scratch_load_b128 v[7:10], off, s7
	scratch_load_b128 v[11:14], off, s9
	;; [unrolled: 1-line block ×7, first 2 shown]
	s_mov_b32 s7, -1
	s_cmpk_eq_i32 s3, 0x280
	s_waitcnt vmcnt(6)
	ds_store_2addr_b64 v6, v[7:8], v[9:10] offset1:1
	s_waitcnt vmcnt(5)
	ds_store_2addr_b64 v6, v[11:12], v[13:14] offset0:2 offset1:3
	s_waitcnt vmcnt(4)
	ds_store_2addr_b64 v6, v[41:42], v[43:44] offset0:4 offset1:5
	;; [unrolled: 2-line block ×6, first 2 shown]
	s_cbranch_scc1 .LBB126_414
; %bb.416:                              ;   in Loop: Header=BB126_415 Depth=1
	s_addk_i32 s6, 0x180
	s_addk_i32 s3, 0x80
	scratch_load_b128 v[7:10], off, s6
	s_mov_b32 s7, 0
	s_waitcnt vmcnt(0)
	ds_store_2addr_b64 v6, v[7:8], v[9:10] offset0:14 offset1:15
	s_branch .LBB126_414
.LBB126_417:
	v_mov_b32_e32 v41, 16
.LBB126_418:
	s_or_b32 exec_lo, exec_lo, s2
	s_delay_alu instid0(SALU_CYCLE_1)
	s_mov_b32 s2, exec_lo
	s_waitcnt lgkmcnt(0)
	s_waitcnt_vscnt null, 0x0
	s_barrier
	buffer_gl0_inv
	v_cmpx_lt_i32_e32 16, v41
	s_cbranch_execz .LBB126_423
; %bb.419:
	scratch_load_b128 v[4:7], off, off offset:256
	s_mov_b32 s3, 0
	s_waitcnt vmcnt(0)
	v_mul_f64 v[8:9], v[2:3], v[6:7]
	v_mul_f64 v[6:7], v[0:1], v[6:7]
	s_delay_alu instid0(VALU_DEP_2) | instskip(NEXT) | instid1(VALU_DEP_2)
	v_fma_f64 v[0:1], v[0:1], v[4:5], -v[8:9]
	v_fma_f64 v[2:3], v[2:3], v[4:5], v[6:7]
	v_add3_u32 v4, v38, 0, 0x110
	v_mov_b32_e32 v5, 0
	scratch_store_b128 off, v[0:3], off offset:256
	s_branch .LBB126_421
.LBB126_420:                            ;   in Loop: Header=BB126_421 Depth=1
	s_and_not1_b32 vcc_lo, exec_lo, s7
	s_cbranch_vccz .LBB126_423
.LBB126_421:                            ; =>This Inner Loop Header: Depth=1
	v_readfirstlane_b32 s6, v5
	v_add_nc_u32_e32 v6, s3, v4
	s_mov_b32 s7, -1
	s_delay_alu instid0(VALU_DEP_2) | instskip(NEXT) | instid1(SALU_CYCLE_1)
	s_add_i32 s6, s6, s3
	s_add_i32 s9, s6, 0x110
	;; [unrolled: 1-line block ×3, first 2 shown]
	scratch_load_b128 v[7:10], off, s9
	s_add_i32 s14, s6, 0x130
	s_clause 0x1
	scratch_load_b128 v[11:14], off, s12
	scratch_load_b128 v[42:45], off, s14
	ds_load_2addr_b64 v[49:52], v6 offset1:1
	ds_load_2addr_b64 v[53:56], v6 offset0:2 offset1:3
	ds_load_2addr_b64 v[65:68], v6 offset0:4 offset1:5
	s_cmpk_eq_i32 s3, 0x2c0
	s_waitcnt lgkmcnt(2)
	v_mul_f64 v[15:16], v[51:52], v[2:3]
	v_mul_f64 v[17:18], v[49:50], v[2:3]
	s_waitcnt lgkmcnt(1)
	v_mul_f64 v[46:47], v[55:56], v[2:3]
	v_mul_f64 v[57:58], v[53:54], v[2:3]
	;; [unrolled: 3-line block ×3, first 2 shown]
	v_fma_f64 v[15:16], v[49:50], v[0:1], -v[15:16]
	v_fma_f64 v[17:18], v[51:52], v[0:1], v[17:18]
	v_fma_f64 v[46:47], v[53:54], v[0:1], -v[46:47]
	v_fma_f64 v[49:50], v[55:56], v[0:1], v[57:58]
	;; [unrolled: 2-line block ×3, first 2 shown]
	s_waitcnt vmcnt(2)
	v_add_f64 v[7:8], v[7:8], -v[15:16]
	v_add_f64 v[9:10], v[9:10], -v[17:18]
	s_waitcnt vmcnt(1)
	v_add_f64 v[11:12], v[11:12], -v[46:47]
	v_add_f64 v[13:14], v[13:14], -v[49:50]
	;; [unrolled: 3-line block ×3, first 2 shown]
	s_clause 0x2
	scratch_store_b128 off, v[7:10], s9
	scratch_store_b128 off, v[11:14], s12
	;; [unrolled: 1-line block ×3, first 2 shown]
	s_cbranch_scc1 .LBB126_420
; %bb.422:                              ;   in Loop: Header=BB126_421 Depth=1
	s_addk_i32 s6, 0x140
	ds_load_2addr_b64 v[11:14], v6 offset0:6 offset1:7
	scratch_load_b128 v[7:10], off, s6
	s_add_i32 s3, s3, 64
	s_mov_b32 s7, 0
	s_waitcnt lgkmcnt(0)
	v_mul_f64 v[15:16], v[13:14], v[2:3]
	v_mul_f64 v[17:18], v[11:12], v[2:3]
	s_delay_alu instid0(VALU_DEP_2) | instskip(NEXT) | instid1(VALU_DEP_2)
	v_fma_f64 v[11:12], v[11:12], v[0:1], -v[15:16]
	v_fma_f64 v[13:14], v[13:14], v[0:1], v[17:18]
	s_waitcnt vmcnt(0)
	s_delay_alu instid0(VALU_DEP_2) | instskip(NEXT) | instid1(VALU_DEP_2)
	v_add_f64 v[6:7], v[7:8], -v[11:12]
	v_add_f64 v[8:9], v[9:10], -v[13:14]
	scratch_store_b128 off, v[6:9], s6
	s_branch .LBB126_420
.LBB126_423:
	s_or_b32 exec_lo, exec_lo, s2
	s_waitcnt_vscnt null, 0x0
	s_barrier
	buffer_gl0_inv
	scratch_load_b128 v[0:3], v40, off
	v_lshl_add_u32 v4, v41, 4, v36
	s_cmp_lt_i32 s5, 19
	s_waitcnt vmcnt(0)
	ds_store_2addr_b64 v4, v[0:1], v[2:3] offset1:1
	s_waitcnt lgkmcnt(0)
	s_barrier
	buffer_gl0_inv
	ds_load_2addr_b64 v[0:3], v36 offset0:34 offset1:35
	v_mov_b32_e32 v4, 17
	s_cbranch_scc1 .LBB126_426
; %bb.424:
	v_add3_u32 v5, v38, 0, 0x120
	v_mov_b32_e32 v4, 17
	s_mov_b32 s6, 18
	s_set_inst_prefetch_distance 0x1
	.p2align	6
.LBB126_425:                            ; =>This Inner Loop Header: Depth=1
	ds_load_2addr_b64 v[6:9], v5 offset1:1
	s_waitcnt lgkmcnt(1)
	v_cmp_gt_f64_e32 vcc_lo, 0, v[0:1]
	v_xor_b32_e32 v10, 0x80000000, v1
	v_cmp_gt_f64_e64 s2, 0, v[2:3]
	v_xor_b32_e32 v12, 0x80000000, v3
	v_add_nc_u32_e32 v5, 16, v5
	s_waitcnt lgkmcnt(0)
	v_cmp_gt_f64_e64 s3, 0, v[6:7]
	v_mov_b32_e32 v14, v6
	v_dual_mov_b32 v16, v8 :: v_dual_cndmask_b32 v11, v1, v10
	v_xor_b32_e32 v10, 0x80000000, v7
	v_cndmask_b32_e64 v13, v3, v12, s2
	v_xor_b32_e32 v12, 0x80000000, v9
	s_delay_alu instid0(VALU_DEP_3) | instskip(SKIP_2) | instid1(VALU_DEP_2)
	v_cndmask_b32_e64 v15, v7, v10, s3
	v_cmp_gt_f64_e64 s3, 0, v[8:9]
	v_cndmask_b32_e32 v10, v0, v0, vcc_lo
	v_cndmask_b32_e64 v17, v9, v12, s3
	v_cndmask_b32_e64 v12, v2, v2, s2
	s_delay_alu instid0(VALU_DEP_2) | instskip(NEXT) | instid1(VALU_DEP_2)
	v_add_f64 v[14:15], v[14:15], v[16:17]
	v_add_f64 v[10:11], v[10:11], v[12:13]
	s_delay_alu instid0(VALU_DEP_1)
	v_cmp_lt_f64_e32 vcc_lo, v[10:11], v[14:15]
	v_cndmask_b32_e32 v3, v3, v9, vcc_lo
	v_dual_cndmask_b32 v1, v1, v7 :: v_dual_cndmask_b32 v0, v0, v6
	v_cndmask_b32_e32 v2, v2, v8, vcc_lo
	v_cndmask_b32_e64 v4, v4, s6, vcc_lo
	s_add_i32 s6, s6, 1
	s_delay_alu instid0(SALU_CYCLE_1)
	s_cmp_lg_u32 s5, s6
	s_cbranch_scc1 .LBB126_425
.LBB126_426:
	s_set_inst_prefetch_distance 0x2
	s_waitcnt lgkmcnt(0)
	v_cmp_eq_f64_e32 vcc_lo, 0, v[0:1]
	v_cmp_eq_f64_e64 s2, 0, v[2:3]
	s_delay_alu instid0(VALU_DEP_1) | instskip(NEXT) | instid1(SALU_CYCLE_1)
	s_and_b32 s2, vcc_lo, s2
	s_and_saveexec_b32 s3, s2
	s_delay_alu instid0(SALU_CYCLE_1)
	s_xor_b32 s2, exec_lo, s3
; %bb.427:
	v_cmp_ne_u32_e32 vcc_lo, 0, v37
	v_cndmask_b32_e32 v37, 18, v37, vcc_lo
; %bb.428:
	s_and_not1_saveexec_b32 s3, s2
	s_cbranch_execz .LBB126_434
; %bb.429:
	v_cmp_gt_f64_e32 vcc_lo, 0, v[0:1]
	v_cmp_gt_f64_e64 s2, 0, v[2:3]
	v_xor_b32_e32 v5, 0x80000000, v1
	v_xor_b32_e32 v7, 0x80000000, v3
	s_delay_alu instid0(VALU_DEP_2) | instskip(NEXT) | instid1(VALU_DEP_2)
	v_dual_cndmask_b32 v6, v1, v5 :: v_dual_cndmask_b32 v5, v0, v0
	v_cndmask_b32_e64 v8, v3, v7, s2
	v_cndmask_b32_e64 v7, v2, v2, s2
	s_mov_b32 s2, exec_lo
	s_delay_alu instid0(VALU_DEP_1)
	v_cmpx_ngt_f64_e32 v[5:6], v[7:8]
	s_xor_b32 s2, exec_lo, s2
	s_cbranch_execz .LBB126_431
; %bb.430:
	v_div_scale_f64 v[5:6], null, v[2:3], v[2:3], v[0:1]
	v_div_scale_f64 v[11:12], vcc_lo, v[0:1], v[2:3], v[0:1]
	s_delay_alu instid0(VALU_DEP_2) | instskip(SKIP_2) | instid1(VALU_DEP_1)
	v_rcp_f64_e32 v[7:8], v[5:6]
	s_waitcnt_depctr 0xfff
	v_fma_f64 v[9:10], -v[5:6], v[7:8], 1.0
	v_fma_f64 v[7:8], v[7:8], v[9:10], v[7:8]
	s_delay_alu instid0(VALU_DEP_1) | instskip(NEXT) | instid1(VALU_DEP_1)
	v_fma_f64 v[9:10], -v[5:6], v[7:8], 1.0
	v_fma_f64 v[7:8], v[7:8], v[9:10], v[7:8]
	s_delay_alu instid0(VALU_DEP_1) | instskip(NEXT) | instid1(VALU_DEP_1)
	v_mul_f64 v[9:10], v[11:12], v[7:8]
	v_fma_f64 v[5:6], -v[5:6], v[9:10], v[11:12]
	s_delay_alu instid0(VALU_DEP_1) | instskip(NEXT) | instid1(VALU_DEP_1)
	v_div_fmas_f64 v[5:6], v[5:6], v[7:8], v[9:10]
	v_div_fixup_f64 v[5:6], v[5:6], v[2:3], v[0:1]
	s_delay_alu instid0(VALU_DEP_1) | instskip(NEXT) | instid1(VALU_DEP_1)
	v_fma_f64 v[0:1], v[0:1], v[5:6], v[2:3]
	v_div_scale_f64 v[2:3], null, v[0:1], v[0:1], 1.0
	s_delay_alu instid0(VALU_DEP_1) | instskip(SKIP_2) | instid1(VALU_DEP_1)
	v_rcp_f64_e32 v[7:8], v[2:3]
	s_waitcnt_depctr 0xfff
	v_fma_f64 v[9:10], -v[2:3], v[7:8], 1.0
	v_fma_f64 v[7:8], v[7:8], v[9:10], v[7:8]
	s_delay_alu instid0(VALU_DEP_1) | instskip(NEXT) | instid1(VALU_DEP_1)
	v_fma_f64 v[9:10], -v[2:3], v[7:8], 1.0
	v_fma_f64 v[7:8], v[7:8], v[9:10], v[7:8]
	v_div_scale_f64 v[9:10], vcc_lo, 1.0, v[0:1], 1.0
	s_delay_alu instid0(VALU_DEP_1) | instskip(NEXT) | instid1(VALU_DEP_1)
	v_mul_f64 v[11:12], v[9:10], v[7:8]
	v_fma_f64 v[2:3], -v[2:3], v[11:12], v[9:10]
	s_delay_alu instid0(VALU_DEP_1) | instskip(NEXT) | instid1(VALU_DEP_1)
	v_div_fmas_f64 v[2:3], v[2:3], v[7:8], v[11:12]
	v_div_fixup_f64 v[2:3], v[2:3], v[0:1], 1.0
	s_delay_alu instid0(VALU_DEP_1)
	v_mul_f64 v[0:1], v[5:6], v[2:3]
	v_xor_b32_e32 v3, 0x80000000, v3
.LBB126_431:
	s_and_not1_saveexec_b32 s2, s2
	s_cbranch_execz .LBB126_433
; %bb.432:
	s_delay_alu instid0(VALU_DEP_1) | instskip(SKIP_1) | instid1(VALU_DEP_2)
	v_div_scale_f64 v[5:6], null, v[0:1], v[0:1], v[2:3]
	v_div_scale_f64 v[11:12], vcc_lo, v[2:3], v[0:1], v[2:3]
	v_rcp_f64_e32 v[7:8], v[5:6]
	s_waitcnt_depctr 0xfff
	v_fma_f64 v[9:10], -v[5:6], v[7:8], 1.0
	s_delay_alu instid0(VALU_DEP_1) | instskip(NEXT) | instid1(VALU_DEP_1)
	v_fma_f64 v[7:8], v[7:8], v[9:10], v[7:8]
	v_fma_f64 v[9:10], -v[5:6], v[7:8], 1.0
	s_delay_alu instid0(VALU_DEP_1) | instskip(NEXT) | instid1(VALU_DEP_1)
	v_fma_f64 v[7:8], v[7:8], v[9:10], v[7:8]
	v_mul_f64 v[9:10], v[11:12], v[7:8]
	s_delay_alu instid0(VALU_DEP_1) | instskip(NEXT) | instid1(VALU_DEP_1)
	v_fma_f64 v[5:6], -v[5:6], v[9:10], v[11:12]
	v_div_fmas_f64 v[5:6], v[5:6], v[7:8], v[9:10]
	s_delay_alu instid0(VALU_DEP_1) | instskip(NEXT) | instid1(VALU_DEP_1)
	v_div_fixup_f64 v[5:6], v[5:6], v[0:1], v[2:3]
	v_fma_f64 v[0:1], v[2:3], v[5:6], v[0:1]
	s_delay_alu instid0(VALU_DEP_1) | instskip(NEXT) | instid1(VALU_DEP_1)
	v_div_scale_f64 v[2:3], null, v[0:1], v[0:1], 1.0
	v_rcp_f64_e32 v[7:8], v[2:3]
	s_waitcnt_depctr 0xfff
	v_fma_f64 v[9:10], -v[2:3], v[7:8], 1.0
	s_delay_alu instid0(VALU_DEP_1) | instskip(NEXT) | instid1(VALU_DEP_1)
	v_fma_f64 v[7:8], v[7:8], v[9:10], v[7:8]
	v_fma_f64 v[9:10], -v[2:3], v[7:8], 1.0
	s_delay_alu instid0(VALU_DEP_1) | instskip(SKIP_1) | instid1(VALU_DEP_1)
	v_fma_f64 v[7:8], v[7:8], v[9:10], v[7:8]
	v_div_scale_f64 v[9:10], vcc_lo, 1.0, v[0:1], 1.0
	v_mul_f64 v[11:12], v[9:10], v[7:8]
	s_delay_alu instid0(VALU_DEP_1) | instskip(NEXT) | instid1(VALU_DEP_1)
	v_fma_f64 v[2:3], -v[2:3], v[11:12], v[9:10]
	v_div_fmas_f64 v[2:3], v[2:3], v[7:8], v[11:12]
	s_delay_alu instid0(VALU_DEP_1) | instskip(NEXT) | instid1(VALU_DEP_1)
	v_div_fixup_f64 v[0:1], v[2:3], v[0:1], 1.0
	v_mul_f64 v[2:3], v[5:6], -v[0:1]
.LBB126_433:
	s_or_b32 exec_lo, exec_lo, s2
.LBB126_434:
	s_delay_alu instid0(SALU_CYCLE_1) | instskip(NEXT) | instid1(SALU_CYCLE_1)
	s_or_b32 exec_lo, exec_lo, s3
	s_mov_b32 s2, exec_lo
	v_cmpx_ne_u32_e64 v41, v4
	s_xor_b32 s2, exec_lo, s2
	s_cbranch_execz .LBB126_440
; %bb.435:
	s_mov_b32 s3, exec_lo
	v_cmpx_eq_u32_e32 17, v41
	s_cbranch_execz .LBB126_439
; %bb.436:
	v_cmp_ne_u32_e32 vcc_lo, 17, v4
	s_xor_b32 s6, s4, -1
	s_delay_alu instid0(SALU_CYCLE_1) | instskip(NEXT) | instid1(SALU_CYCLE_1)
	s_and_b32 s7, s6, vcc_lo
	s_and_saveexec_b32 s6, s7
	s_cbranch_execz .LBB126_438
; %bb.437:
	v_ashrrev_i32_e32 v5, 31, v4
	s_delay_alu instid0(VALU_DEP_1) | instskip(NEXT) | instid1(VALU_DEP_1)
	v_lshlrev_b64 v[5:6], 2, v[4:5]
	v_add_co_u32 v5, vcc_lo, v250, v5
	s_delay_alu instid0(VALU_DEP_2)
	v_add_co_ci_u32_e32 v6, vcc_lo, v251, v6, vcc_lo
	s_clause 0x1
	flat_load_b32 v7, v[5:6]
	flat_load_b32 v8, v[250:251] offset:68
	s_waitcnt vmcnt(1) lgkmcnt(1)
	flat_store_b32 v[250:251], v7 offset:68
	s_waitcnt vmcnt(0) lgkmcnt(1)
	flat_store_b32 v[5:6], v8
.LBB126_438:
	s_or_b32 exec_lo, exec_lo, s6
	v_mov_b32_e32 v41, v4
	v_mov_b32_e32 v39, v4
.LBB126_439:
	s_or_b32 exec_lo, exec_lo, s3
.LBB126_440:
	s_and_not1_saveexec_b32 s2, s2
	s_cbranch_execz .LBB126_444
; %bb.441:
	v_add3_u32 v4, v38, 0, 0x120
	s_mov_b32 s3, 0
	.p2align	6
.LBB126_442:                            ; =>This Inner Loop Header: Depth=1
	s_delay_alu instid0(SALU_CYCLE_1) | instskip(NEXT) | instid1(VALU_DEP_2)
	v_add_nc_u32_e64 v5, s3, 0
	v_add_nc_u32_e32 v13, s3, v4
	s_add_i32 s3, s3, 32
	s_delay_alu instid0(SALU_CYCLE_1) | instskip(NEXT) | instid1(VALU_DEP_2)
	s_cmpk_eq_i32 s3, 0x2e0
	v_add_nc_u32_e32 v6, 0x120, v5
	v_add_nc_u32_e32 v9, 0x130, v5
	s_clause 0x1
	scratch_load_b128 v[5:8], v6, off
	scratch_load_b128 v[9:12], v9, off
	s_waitcnt vmcnt(1)
	ds_store_2addr_b64 v13, v[5:6], v[7:8] offset1:1
	s_waitcnt vmcnt(0)
	ds_store_2addr_b64 v13, v[9:10], v[11:12] offset0:2 offset1:3
	s_cbranch_scc0 .LBB126_442
; %bb.443:
	v_mov_b32_e32 v41, 17
.LBB126_444:
	s_or_b32 exec_lo, exec_lo, s2
	s_delay_alu instid0(SALU_CYCLE_1)
	s_mov_b32 s2, exec_lo
	s_waitcnt lgkmcnt(0)
	s_waitcnt_vscnt null, 0x0
	s_barrier
	buffer_gl0_inv
	v_cmpx_lt_i32_e32 17, v41
	s_cbranch_execz .LBB126_447
; %bb.445:
	scratch_load_b128 v[4:7], off, off offset:272
	s_mov_b32 s3, 0
	s_waitcnt vmcnt(0)
	v_mul_f64 v[8:9], v[2:3], v[6:7]
	v_mul_f64 v[6:7], v[0:1], v[6:7]
	s_delay_alu instid0(VALU_DEP_2) | instskip(NEXT) | instid1(VALU_DEP_2)
	v_fma_f64 v[0:1], v[0:1], v[4:5], -v[8:9]
	v_fma_f64 v[2:3], v[2:3], v[4:5], v[6:7]
	v_add3_u32 v4, v38, 0, 0x120
	scratch_store_b128 off, v[0:3], off offset:272
	s_set_inst_prefetch_distance 0x1
	.p2align	6
.LBB126_446:                            ; =>This Inner Loop Header: Depth=1
	v_add_nc_u32_e64 v5, s3, 0
	v_add_nc_u32_e32 v17, s3, v4
	s_add_i32 s3, s3, 32
	s_delay_alu instid0(SALU_CYCLE_1) | instskip(NEXT) | instid1(VALU_DEP_2)
	s_cmpk_lg_i32 s3, 0x2e0
	v_add_nc_u32_e32 v19, 0x120, v5
	v_add_nc_u32_e32 v53, 0x130, v5
	s_clause 0x1
	scratch_load_b128 v[5:8], v19, off
	scratch_load_b128 v[9:12], v53, off
	ds_load_2addr_b64 v[13:16], v17 offset1:1
	ds_load_2addr_b64 v[42:45], v17 offset0:2 offset1:3
	s_waitcnt lgkmcnt(1)
	v_mul_f64 v[17:18], v[15:16], v[2:3]
	v_mul_f64 v[46:47], v[13:14], v[2:3]
	s_waitcnt lgkmcnt(0)
	v_mul_f64 v[49:50], v[44:45], v[2:3]
	v_mul_f64 v[51:52], v[42:43], v[2:3]
	s_delay_alu instid0(VALU_DEP_4) | instskip(NEXT) | instid1(VALU_DEP_4)
	v_fma_f64 v[13:14], v[13:14], v[0:1], -v[17:18]
	v_fma_f64 v[15:16], v[15:16], v[0:1], v[46:47]
	s_delay_alu instid0(VALU_DEP_4) | instskip(NEXT) | instid1(VALU_DEP_4)
	v_fma_f64 v[17:18], v[42:43], v[0:1], -v[49:50]
	v_fma_f64 v[42:43], v[44:45], v[0:1], v[51:52]
	s_waitcnt vmcnt(1)
	s_delay_alu instid0(VALU_DEP_4) | instskip(NEXT) | instid1(VALU_DEP_4)
	v_add_f64 v[5:6], v[5:6], -v[13:14]
	v_add_f64 v[7:8], v[7:8], -v[15:16]
	s_waitcnt vmcnt(0)
	s_delay_alu instid0(VALU_DEP_4) | instskip(NEXT) | instid1(VALU_DEP_4)
	v_add_f64 v[9:10], v[9:10], -v[17:18]
	v_add_f64 v[11:12], v[11:12], -v[42:43]
	s_clause 0x1
	scratch_store_b128 v19, v[5:8], off
	scratch_store_b128 v53, v[9:12], off
	s_cbranch_scc1 .LBB126_446
.LBB126_447:
	s_set_inst_prefetch_distance 0x2
	s_or_b32 exec_lo, exec_lo, s2
	s_waitcnt_vscnt null, 0x0
	s_barrier
	buffer_gl0_inv
	scratch_load_b128 v[0:3], v48, off
	v_lshl_add_u32 v4, v41, 4, v36
	s_cmp_lt_i32 s5, 20
	s_waitcnt vmcnt(0)
	ds_store_2addr_b64 v4, v[0:1], v[2:3] offset1:1
	s_waitcnt lgkmcnt(0)
	s_barrier
	buffer_gl0_inv
	ds_load_2addr_b64 v[0:3], v36 offset0:36 offset1:37
	v_mov_b32_e32 v4, 18
	s_cbranch_scc1 .LBB126_450
; %bb.448:
	v_add3_u32 v5, v38, 0, 0x130
	v_mov_b32_e32 v4, 18
	s_mov_b32 s6, 19
	s_set_inst_prefetch_distance 0x1
	.p2align	6
.LBB126_449:                            ; =>This Inner Loop Header: Depth=1
	ds_load_2addr_b64 v[6:9], v5 offset1:1
	s_waitcnt lgkmcnt(1)
	v_cmp_gt_f64_e32 vcc_lo, 0, v[0:1]
	v_xor_b32_e32 v10, 0x80000000, v1
	v_cmp_gt_f64_e64 s2, 0, v[2:3]
	v_xor_b32_e32 v12, 0x80000000, v3
	v_add_nc_u32_e32 v5, 16, v5
	s_waitcnt lgkmcnt(0)
	v_cmp_gt_f64_e64 s3, 0, v[6:7]
	v_mov_b32_e32 v14, v6
	v_dual_mov_b32 v16, v8 :: v_dual_cndmask_b32 v11, v1, v10
	v_xor_b32_e32 v10, 0x80000000, v7
	v_cndmask_b32_e64 v13, v3, v12, s2
	v_xor_b32_e32 v12, 0x80000000, v9
	s_delay_alu instid0(VALU_DEP_3) | instskip(SKIP_2) | instid1(VALU_DEP_2)
	v_cndmask_b32_e64 v15, v7, v10, s3
	v_cmp_gt_f64_e64 s3, 0, v[8:9]
	v_cndmask_b32_e32 v10, v0, v0, vcc_lo
	v_cndmask_b32_e64 v17, v9, v12, s3
	v_cndmask_b32_e64 v12, v2, v2, s2
	s_delay_alu instid0(VALU_DEP_2) | instskip(NEXT) | instid1(VALU_DEP_2)
	v_add_f64 v[14:15], v[14:15], v[16:17]
	v_add_f64 v[10:11], v[10:11], v[12:13]
	s_delay_alu instid0(VALU_DEP_1)
	v_cmp_lt_f64_e32 vcc_lo, v[10:11], v[14:15]
	v_cndmask_b32_e32 v3, v3, v9, vcc_lo
	v_dual_cndmask_b32 v1, v1, v7 :: v_dual_cndmask_b32 v0, v0, v6
	v_cndmask_b32_e32 v2, v2, v8, vcc_lo
	v_cndmask_b32_e64 v4, v4, s6, vcc_lo
	s_add_i32 s6, s6, 1
	s_delay_alu instid0(SALU_CYCLE_1)
	s_cmp_lg_u32 s5, s6
	s_cbranch_scc1 .LBB126_449
.LBB126_450:
	s_set_inst_prefetch_distance 0x2
	s_waitcnt lgkmcnt(0)
	v_cmp_eq_f64_e32 vcc_lo, 0, v[0:1]
	v_cmp_eq_f64_e64 s2, 0, v[2:3]
	s_delay_alu instid0(VALU_DEP_1) | instskip(NEXT) | instid1(SALU_CYCLE_1)
	s_and_b32 s2, vcc_lo, s2
	s_and_saveexec_b32 s3, s2
	s_delay_alu instid0(SALU_CYCLE_1)
	s_xor_b32 s2, exec_lo, s3
; %bb.451:
	v_cmp_ne_u32_e32 vcc_lo, 0, v37
	v_cndmask_b32_e32 v37, 19, v37, vcc_lo
; %bb.452:
	s_and_not1_saveexec_b32 s3, s2
	s_cbranch_execz .LBB126_458
; %bb.453:
	v_cmp_gt_f64_e32 vcc_lo, 0, v[0:1]
	v_cmp_gt_f64_e64 s2, 0, v[2:3]
	v_xor_b32_e32 v5, 0x80000000, v1
	v_xor_b32_e32 v7, 0x80000000, v3
	s_delay_alu instid0(VALU_DEP_2) | instskip(NEXT) | instid1(VALU_DEP_2)
	v_dual_cndmask_b32 v6, v1, v5 :: v_dual_cndmask_b32 v5, v0, v0
	v_cndmask_b32_e64 v8, v3, v7, s2
	v_cndmask_b32_e64 v7, v2, v2, s2
	s_mov_b32 s2, exec_lo
	s_delay_alu instid0(VALU_DEP_1)
	v_cmpx_ngt_f64_e32 v[5:6], v[7:8]
	s_xor_b32 s2, exec_lo, s2
	s_cbranch_execz .LBB126_455
; %bb.454:
	v_div_scale_f64 v[5:6], null, v[2:3], v[2:3], v[0:1]
	v_div_scale_f64 v[11:12], vcc_lo, v[0:1], v[2:3], v[0:1]
	s_delay_alu instid0(VALU_DEP_2) | instskip(SKIP_2) | instid1(VALU_DEP_1)
	v_rcp_f64_e32 v[7:8], v[5:6]
	s_waitcnt_depctr 0xfff
	v_fma_f64 v[9:10], -v[5:6], v[7:8], 1.0
	v_fma_f64 v[7:8], v[7:8], v[9:10], v[7:8]
	s_delay_alu instid0(VALU_DEP_1) | instskip(NEXT) | instid1(VALU_DEP_1)
	v_fma_f64 v[9:10], -v[5:6], v[7:8], 1.0
	v_fma_f64 v[7:8], v[7:8], v[9:10], v[7:8]
	s_delay_alu instid0(VALU_DEP_1) | instskip(NEXT) | instid1(VALU_DEP_1)
	v_mul_f64 v[9:10], v[11:12], v[7:8]
	v_fma_f64 v[5:6], -v[5:6], v[9:10], v[11:12]
	s_delay_alu instid0(VALU_DEP_1) | instskip(NEXT) | instid1(VALU_DEP_1)
	v_div_fmas_f64 v[5:6], v[5:6], v[7:8], v[9:10]
	v_div_fixup_f64 v[5:6], v[5:6], v[2:3], v[0:1]
	s_delay_alu instid0(VALU_DEP_1) | instskip(NEXT) | instid1(VALU_DEP_1)
	v_fma_f64 v[0:1], v[0:1], v[5:6], v[2:3]
	v_div_scale_f64 v[2:3], null, v[0:1], v[0:1], 1.0
	s_delay_alu instid0(VALU_DEP_1) | instskip(SKIP_2) | instid1(VALU_DEP_1)
	v_rcp_f64_e32 v[7:8], v[2:3]
	s_waitcnt_depctr 0xfff
	v_fma_f64 v[9:10], -v[2:3], v[7:8], 1.0
	v_fma_f64 v[7:8], v[7:8], v[9:10], v[7:8]
	s_delay_alu instid0(VALU_DEP_1) | instskip(NEXT) | instid1(VALU_DEP_1)
	v_fma_f64 v[9:10], -v[2:3], v[7:8], 1.0
	v_fma_f64 v[7:8], v[7:8], v[9:10], v[7:8]
	v_div_scale_f64 v[9:10], vcc_lo, 1.0, v[0:1], 1.0
	s_delay_alu instid0(VALU_DEP_1) | instskip(NEXT) | instid1(VALU_DEP_1)
	v_mul_f64 v[11:12], v[9:10], v[7:8]
	v_fma_f64 v[2:3], -v[2:3], v[11:12], v[9:10]
	s_delay_alu instid0(VALU_DEP_1) | instskip(NEXT) | instid1(VALU_DEP_1)
	v_div_fmas_f64 v[2:3], v[2:3], v[7:8], v[11:12]
	v_div_fixup_f64 v[2:3], v[2:3], v[0:1], 1.0
	s_delay_alu instid0(VALU_DEP_1)
	v_mul_f64 v[0:1], v[5:6], v[2:3]
	v_xor_b32_e32 v3, 0x80000000, v3
.LBB126_455:
	s_and_not1_saveexec_b32 s2, s2
	s_cbranch_execz .LBB126_457
; %bb.456:
	s_delay_alu instid0(VALU_DEP_1) | instskip(SKIP_1) | instid1(VALU_DEP_2)
	v_div_scale_f64 v[5:6], null, v[0:1], v[0:1], v[2:3]
	v_div_scale_f64 v[11:12], vcc_lo, v[2:3], v[0:1], v[2:3]
	v_rcp_f64_e32 v[7:8], v[5:6]
	s_waitcnt_depctr 0xfff
	v_fma_f64 v[9:10], -v[5:6], v[7:8], 1.0
	s_delay_alu instid0(VALU_DEP_1) | instskip(NEXT) | instid1(VALU_DEP_1)
	v_fma_f64 v[7:8], v[7:8], v[9:10], v[7:8]
	v_fma_f64 v[9:10], -v[5:6], v[7:8], 1.0
	s_delay_alu instid0(VALU_DEP_1) | instskip(NEXT) | instid1(VALU_DEP_1)
	v_fma_f64 v[7:8], v[7:8], v[9:10], v[7:8]
	v_mul_f64 v[9:10], v[11:12], v[7:8]
	s_delay_alu instid0(VALU_DEP_1) | instskip(NEXT) | instid1(VALU_DEP_1)
	v_fma_f64 v[5:6], -v[5:6], v[9:10], v[11:12]
	v_div_fmas_f64 v[5:6], v[5:6], v[7:8], v[9:10]
	s_delay_alu instid0(VALU_DEP_1) | instskip(NEXT) | instid1(VALU_DEP_1)
	v_div_fixup_f64 v[5:6], v[5:6], v[0:1], v[2:3]
	v_fma_f64 v[0:1], v[2:3], v[5:6], v[0:1]
	s_delay_alu instid0(VALU_DEP_1) | instskip(NEXT) | instid1(VALU_DEP_1)
	v_div_scale_f64 v[2:3], null, v[0:1], v[0:1], 1.0
	v_rcp_f64_e32 v[7:8], v[2:3]
	s_waitcnt_depctr 0xfff
	v_fma_f64 v[9:10], -v[2:3], v[7:8], 1.0
	s_delay_alu instid0(VALU_DEP_1) | instskip(NEXT) | instid1(VALU_DEP_1)
	v_fma_f64 v[7:8], v[7:8], v[9:10], v[7:8]
	v_fma_f64 v[9:10], -v[2:3], v[7:8], 1.0
	s_delay_alu instid0(VALU_DEP_1) | instskip(SKIP_1) | instid1(VALU_DEP_1)
	v_fma_f64 v[7:8], v[7:8], v[9:10], v[7:8]
	v_div_scale_f64 v[9:10], vcc_lo, 1.0, v[0:1], 1.0
	v_mul_f64 v[11:12], v[9:10], v[7:8]
	s_delay_alu instid0(VALU_DEP_1) | instskip(NEXT) | instid1(VALU_DEP_1)
	v_fma_f64 v[2:3], -v[2:3], v[11:12], v[9:10]
	v_div_fmas_f64 v[2:3], v[2:3], v[7:8], v[11:12]
	s_delay_alu instid0(VALU_DEP_1) | instskip(NEXT) | instid1(VALU_DEP_1)
	v_div_fixup_f64 v[0:1], v[2:3], v[0:1], 1.0
	v_mul_f64 v[2:3], v[5:6], -v[0:1]
.LBB126_457:
	s_or_b32 exec_lo, exec_lo, s2
.LBB126_458:
	s_delay_alu instid0(SALU_CYCLE_1) | instskip(NEXT) | instid1(SALU_CYCLE_1)
	s_or_b32 exec_lo, exec_lo, s3
	s_mov_b32 s2, exec_lo
	v_cmpx_ne_u32_e64 v41, v4
	s_xor_b32 s2, exec_lo, s2
	s_cbranch_execz .LBB126_464
; %bb.459:
	s_mov_b32 s3, exec_lo
	v_cmpx_eq_u32_e32 18, v41
	s_cbranch_execz .LBB126_463
; %bb.460:
	v_cmp_ne_u32_e32 vcc_lo, 18, v4
	s_xor_b32 s6, s4, -1
	s_delay_alu instid0(SALU_CYCLE_1) | instskip(NEXT) | instid1(SALU_CYCLE_1)
	s_and_b32 s7, s6, vcc_lo
	s_and_saveexec_b32 s6, s7
	s_cbranch_execz .LBB126_462
; %bb.461:
	v_ashrrev_i32_e32 v5, 31, v4
	s_delay_alu instid0(VALU_DEP_1) | instskip(NEXT) | instid1(VALU_DEP_1)
	v_lshlrev_b64 v[5:6], 2, v[4:5]
	v_add_co_u32 v5, vcc_lo, v250, v5
	s_delay_alu instid0(VALU_DEP_2)
	v_add_co_ci_u32_e32 v6, vcc_lo, v251, v6, vcc_lo
	s_clause 0x1
	flat_load_b32 v7, v[5:6]
	flat_load_b32 v8, v[250:251] offset:72
	s_waitcnt vmcnt(1) lgkmcnt(1)
	flat_store_b32 v[250:251], v7 offset:72
	s_waitcnt vmcnt(0) lgkmcnt(1)
	flat_store_b32 v[5:6], v8
.LBB126_462:
	s_or_b32 exec_lo, exec_lo, s6
	v_mov_b32_e32 v41, v4
	v_mov_b32_e32 v39, v4
.LBB126_463:
	s_or_b32 exec_lo, exec_lo, s3
.LBB126_464:
	s_and_not1_saveexec_b32 s2, s2
	s_cbranch_execz .LBB126_468
; %bb.465:
	v_add3_u32 v4, v38, 0, 0x130
	v_mov_b32_e32 v5, 0
	s_mov_b32 s3, 0
.LBB126_466:                            ; =>This Inner Loop Header: Depth=1
	s_delay_alu instid0(VALU_DEP_1) | instskip(NEXT) | instid1(VALU_DEP_3)
	v_readfirstlane_b32 s6, v5
	v_add_nc_u32_e32 v18, s3, v4
	s_delay_alu instid0(VALU_DEP_2)
	s_add_i32 s6, s6, s3
	s_addk_i32 s3, 0xf0
	s_add_i32 s7, s6, 0x130
	s_add_i32 s9, s6, 0x140
	;; [unrolled: 1-line block ×14, first 2 shown]
	s_addk_i32 s6, 0x210
	s_clause 0xe
	scratch_load_b128 v[6:9], off, s7
	scratch_load_b128 v[10:13], off, s9
	;; [unrolled: 1-line block ×15, first 2 shown]
	s_cmpk_eq_i32 s3, 0x2d0
	s_waitcnt vmcnt(14)
	ds_store_2addr_b64 v18, v[6:7], v[8:9] offset1:1
	s_waitcnt vmcnt(13)
	ds_store_2addr_b64 v18, v[10:11], v[12:13] offset0:2 offset1:3
	s_waitcnt vmcnt(12)
	ds_store_2addr_b64 v18, v[14:15], v[16:17] offset0:4 offset1:5
	;; [unrolled: 2-line block ×14, first 2 shown]
	s_cbranch_scc0 .LBB126_466
; %bb.467:
	v_mov_b32_e32 v41, 18
.LBB126_468:
	s_or_b32 exec_lo, exec_lo, s2
	s_delay_alu instid0(SALU_CYCLE_1)
	s_mov_b32 s2, exec_lo
	s_waitcnt lgkmcnt(0)
	s_waitcnt_vscnt null, 0x0
	s_barrier
	buffer_gl0_inv
	v_cmpx_lt_i32_e32 18, v41
	s_cbranch_execz .LBB126_471
; %bb.469:
	scratch_load_b128 v[4:7], off, off offset:288
	s_mov_b32 s3, 0
	s_waitcnt vmcnt(0)
	v_mul_f64 v[8:9], v[2:3], v[6:7]
	v_mul_f64 v[6:7], v[0:1], v[6:7]
	s_delay_alu instid0(VALU_DEP_2) | instskip(NEXT) | instid1(VALU_DEP_2)
	v_fma_f64 v[0:1], v[0:1], v[4:5], -v[8:9]
	v_fma_f64 v[2:3], v[2:3], v[4:5], v[6:7]
	v_add3_u32 v4, v38, 0, 0x130
	v_mov_b32_e32 v5, 0
	scratch_store_b128 off, v[0:3], off offset:288
.LBB126_470:                            ; =>This Inner Loop Header: Depth=1
	v_readfirstlane_b32 s6, v5
	v_add_nc_u32_e32 v18, s3, v4
	s_delay_alu instid0(VALU_DEP_2)
	s_add_i32 s6, s6, s3
	s_addk_i32 s3, 0x50
	s_add_i32 s7, s6, 0x130
	s_add_i32 s9, s6, 0x140
	;; [unrolled: 1-line block ×4, first 2 shown]
	s_addk_i32 s6, 0x170
	s_clause 0x4
	scratch_load_b128 v[6:9], off, s7
	scratch_load_b128 v[10:13], off, s9
	;; [unrolled: 1-line block ×5, first 2 shown]
	ds_load_2addr_b64 v[53:56], v18 offset1:1
	ds_load_2addr_b64 v[65:68], v18 offset0:2 offset1:3
	ds_load_2addr_b64 v[69:72], v18 offset0:4 offset1:5
	;; [unrolled: 1-line block ×4, first 2 shown]
	s_cmpk_lg_i32 s3, 0x2d0
	s_waitcnt lgkmcnt(4)
	v_mul_f64 v[18:19], v[55:56], v[2:3]
	v_mul_f64 v[46:47], v[53:54], v[2:3]
	s_waitcnt lgkmcnt(3)
	v_mul_f64 v[57:58], v[67:68], v[2:3]
	v_mul_f64 v[61:62], v[65:66], v[2:3]
	;; [unrolled: 3-line block ×5, first 2 shown]
	v_fma_f64 v[18:19], v[53:54], v[0:1], -v[18:19]
	v_fma_f64 v[46:47], v[55:56], v[0:1], v[46:47]
	v_fma_f64 v[53:54], v[65:66], v[0:1], -v[57:58]
	v_fma_f64 v[55:56], v[67:68], v[0:1], v[61:62]
	;; [unrolled: 2-line block ×5, first 2 shown]
	s_waitcnt vmcnt(4)
	v_add_f64 v[6:7], v[6:7], -v[18:19]
	v_add_f64 v[8:9], v[8:9], -v[46:47]
	s_waitcnt vmcnt(3)
	v_add_f64 v[10:11], v[10:11], -v[53:54]
	v_add_f64 v[12:13], v[12:13], -v[55:56]
	;; [unrolled: 3-line block ×5, first 2 shown]
	s_clause 0x4
	scratch_store_b128 off, v[6:9], s7
	scratch_store_b128 off, v[10:13], s9
	scratch_store_b128 off, v[14:17], s12
	scratch_store_b128 off, v[42:45], s14
	scratch_store_b128 off, v[49:52], s6
	s_cbranch_scc1 .LBB126_470
.LBB126_471:
	s_or_b32 exec_lo, exec_lo, s2
	s_waitcnt_vscnt null, 0x0
	s_barrier
	buffer_gl0_inv
	scratch_load_b128 v[0:3], v60, off
	v_lshl_add_u32 v4, v41, 4, v36
	s_cmp_lt_i32 s5, 21
	s_waitcnt vmcnt(0)
	ds_store_2addr_b64 v4, v[0:1], v[2:3] offset1:1
	s_waitcnt lgkmcnt(0)
	s_barrier
	buffer_gl0_inv
	ds_load_2addr_b64 v[0:3], v36 offset0:38 offset1:39
	v_mov_b32_e32 v4, 19
	s_cbranch_scc1 .LBB126_474
; %bb.472:
	v_add3_u32 v5, v38, 0, 0x140
	v_mov_b32_e32 v4, 19
	s_mov_b32 s6, 20
	s_set_inst_prefetch_distance 0x1
	.p2align	6
.LBB126_473:                            ; =>This Inner Loop Header: Depth=1
	ds_load_2addr_b64 v[6:9], v5 offset1:1
	s_waitcnt lgkmcnt(1)
	v_cmp_gt_f64_e32 vcc_lo, 0, v[0:1]
	v_xor_b32_e32 v10, 0x80000000, v1
	v_cmp_gt_f64_e64 s2, 0, v[2:3]
	v_xor_b32_e32 v12, 0x80000000, v3
	v_add_nc_u32_e32 v5, 16, v5
	s_waitcnt lgkmcnt(0)
	v_cmp_gt_f64_e64 s3, 0, v[6:7]
	v_mov_b32_e32 v14, v6
	v_dual_mov_b32 v16, v8 :: v_dual_cndmask_b32 v11, v1, v10
	v_xor_b32_e32 v10, 0x80000000, v7
	v_cndmask_b32_e64 v13, v3, v12, s2
	v_xor_b32_e32 v12, 0x80000000, v9
	s_delay_alu instid0(VALU_DEP_3) | instskip(SKIP_2) | instid1(VALU_DEP_2)
	v_cndmask_b32_e64 v15, v7, v10, s3
	v_cmp_gt_f64_e64 s3, 0, v[8:9]
	v_cndmask_b32_e32 v10, v0, v0, vcc_lo
	v_cndmask_b32_e64 v17, v9, v12, s3
	v_cndmask_b32_e64 v12, v2, v2, s2
	s_delay_alu instid0(VALU_DEP_2) | instskip(NEXT) | instid1(VALU_DEP_2)
	v_add_f64 v[14:15], v[14:15], v[16:17]
	v_add_f64 v[10:11], v[10:11], v[12:13]
	s_delay_alu instid0(VALU_DEP_1)
	v_cmp_lt_f64_e32 vcc_lo, v[10:11], v[14:15]
	v_cndmask_b32_e32 v3, v3, v9, vcc_lo
	v_dual_cndmask_b32 v1, v1, v7 :: v_dual_cndmask_b32 v0, v0, v6
	v_cndmask_b32_e32 v2, v2, v8, vcc_lo
	v_cndmask_b32_e64 v4, v4, s6, vcc_lo
	s_add_i32 s6, s6, 1
	s_delay_alu instid0(SALU_CYCLE_1)
	s_cmp_lg_u32 s5, s6
	s_cbranch_scc1 .LBB126_473
.LBB126_474:
	s_set_inst_prefetch_distance 0x2
	s_waitcnt lgkmcnt(0)
	v_cmp_eq_f64_e32 vcc_lo, 0, v[0:1]
	v_cmp_eq_f64_e64 s2, 0, v[2:3]
	s_delay_alu instid0(VALU_DEP_1) | instskip(NEXT) | instid1(SALU_CYCLE_1)
	s_and_b32 s2, vcc_lo, s2
	s_and_saveexec_b32 s3, s2
	s_delay_alu instid0(SALU_CYCLE_1)
	s_xor_b32 s2, exec_lo, s3
; %bb.475:
	v_cmp_ne_u32_e32 vcc_lo, 0, v37
	v_cndmask_b32_e32 v37, 20, v37, vcc_lo
; %bb.476:
	s_and_not1_saveexec_b32 s3, s2
	s_cbranch_execz .LBB126_482
; %bb.477:
	v_cmp_gt_f64_e32 vcc_lo, 0, v[0:1]
	v_cmp_gt_f64_e64 s2, 0, v[2:3]
	v_xor_b32_e32 v5, 0x80000000, v1
	v_xor_b32_e32 v7, 0x80000000, v3
	s_delay_alu instid0(VALU_DEP_2) | instskip(NEXT) | instid1(VALU_DEP_2)
	v_dual_cndmask_b32 v6, v1, v5 :: v_dual_cndmask_b32 v5, v0, v0
	v_cndmask_b32_e64 v8, v3, v7, s2
	v_cndmask_b32_e64 v7, v2, v2, s2
	s_mov_b32 s2, exec_lo
	s_delay_alu instid0(VALU_DEP_1)
	v_cmpx_ngt_f64_e32 v[5:6], v[7:8]
	s_xor_b32 s2, exec_lo, s2
	s_cbranch_execz .LBB126_479
; %bb.478:
	v_div_scale_f64 v[5:6], null, v[2:3], v[2:3], v[0:1]
	v_div_scale_f64 v[11:12], vcc_lo, v[0:1], v[2:3], v[0:1]
	s_delay_alu instid0(VALU_DEP_2) | instskip(SKIP_2) | instid1(VALU_DEP_1)
	v_rcp_f64_e32 v[7:8], v[5:6]
	s_waitcnt_depctr 0xfff
	v_fma_f64 v[9:10], -v[5:6], v[7:8], 1.0
	v_fma_f64 v[7:8], v[7:8], v[9:10], v[7:8]
	s_delay_alu instid0(VALU_DEP_1) | instskip(NEXT) | instid1(VALU_DEP_1)
	v_fma_f64 v[9:10], -v[5:6], v[7:8], 1.0
	v_fma_f64 v[7:8], v[7:8], v[9:10], v[7:8]
	s_delay_alu instid0(VALU_DEP_1) | instskip(NEXT) | instid1(VALU_DEP_1)
	v_mul_f64 v[9:10], v[11:12], v[7:8]
	v_fma_f64 v[5:6], -v[5:6], v[9:10], v[11:12]
	s_delay_alu instid0(VALU_DEP_1) | instskip(NEXT) | instid1(VALU_DEP_1)
	v_div_fmas_f64 v[5:6], v[5:6], v[7:8], v[9:10]
	v_div_fixup_f64 v[5:6], v[5:6], v[2:3], v[0:1]
	s_delay_alu instid0(VALU_DEP_1) | instskip(NEXT) | instid1(VALU_DEP_1)
	v_fma_f64 v[0:1], v[0:1], v[5:6], v[2:3]
	v_div_scale_f64 v[2:3], null, v[0:1], v[0:1], 1.0
	s_delay_alu instid0(VALU_DEP_1) | instskip(SKIP_2) | instid1(VALU_DEP_1)
	v_rcp_f64_e32 v[7:8], v[2:3]
	s_waitcnt_depctr 0xfff
	v_fma_f64 v[9:10], -v[2:3], v[7:8], 1.0
	v_fma_f64 v[7:8], v[7:8], v[9:10], v[7:8]
	s_delay_alu instid0(VALU_DEP_1) | instskip(NEXT) | instid1(VALU_DEP_1)
	v_fma_f64 v[9:10], -v[2:3], v[7:8], 1.0
	v_fma_f64 v[7:8], v[7:8], v[9:10], v[7:8]
	v_div_scale_f64 v[9:10], vcc_lo, 1.0, v[0:1], 1.0
	s_delay_alu instid0(VALU_DEP_1) | instskip(NEXT) | instid1(VALU_DEP_1)
	v_mul_f64 v[11:12], v[9:10], v[7:8]
	v_fma_f64 v[2:3], -v[2:3], v[11:12], v[9:10]
	s_delay_alu instid0(VALU_DEP_1) | instskip(NEXT) | instid1(VALU_DEP_1)
	v_div_fmas_f64 v[2:3], v[2:3], v[7:8], v[11:12]
	v_div_fixup_f64 v[2:3], v[2:3], v[0:1], 1.0
	s_delay_alu instid0(VALU_DEP_1)
	v_mul_f64 v[0:1], v[5:6], v[2:3]
	v_xor_b32_e32 v3, 0x80000000, v3
.LBB126_479:
	s_and_not1_saveexec_b32 s2, s2
	s_cbranch_execz .LBB126_481
; %bb.480:
	s_delay_alu instid0(VALU_DEP_1) | instskip(SKIP_1) | instid1(VALU_DEP_2)
	v_div_scale_f64 v[5:6], null, v[0:1], v[0:1], v[2:3]
	v_div_scale_f64 v[11:12], vcc_lo, v[2:3], v[0:1], v[2:3]
	v_rcp_f64_e32 v[7:8], v[5:6]
	s_waitcnt_depctr 0xfff
	v_fma_f64 v[9:10], -v[5:6], v[7:8], 1.0
	s_delay_alu instid0(VALU_DEP_1) | instskip(NEXT) | instid1(VALU_DEP_1)
	v_fma_f64 v[7:8], v[7:8], v[9:10], v[7:8]
	v_fma_f64 v[9:10], -v[5:6], v[7:8], 1.0
	s_delay_alu instid0(VALU_DEP_1) | instskip(NEXT) | instid1(VALU_DEP_1)
	v_fma_f64 v[7:8], v[7:8], v[9:10], v[7:8]
	v_mul_f64 v[9:10], v[11:12], v[7:8]
	s_delay_alu instid0(VALU_DEP_1) | instskip(NEXT) | instid1(VALU_DEP_1)
	v_fma_f64 v[5:6], -v[5:6], v[9:10], v[11:12]
	v_div_fmas_f64 v[5:6], v[5:6], v[7:8], v[9:10]
	s_delay_alu instid0(VALU_DEP_1) | instskip(NEXT) | instid1(VALU_DEP_1)
	v_div_fixup_f64 v[5:6], v[5:6], v[0:1], v[2:3]
	v_fma_f64 v[0:1], v[2:3], v[5:6], v[0:1]
	s_delay_alu instid0(VALU_DEP_1) | instskip(NEXT) | instid1(VALU_DEP_1)
	v_div_scale_f64 v[2:3], null, v[0:1], v[0:1], 1.0
	v_rcp_f64_e32 v[7:8], v[2:3]
	s_waitcnt_depctr 0xfff
	v_fma_f64 v[9:10], -v[2:3], v[7:8], 1.0
	s_delay_alu instid0(VALU_DEP_1) | instskip(NEXT) | instid1(VALU_DEP_1)
	v_fma_f64 v[7:8], v[7:8], v[9:10], v[7:8]
	v_fma_f64 v[9:10], -v[2:3], v[7:8], 1.0
	s_delay_alu instid0(VALU_DEP_1) | instskip(SKIP_1) | instid1(VALU_DEP_1)
	v_fma_f64 v[7:8], v[7:8], v[9:10], v[7:8]
	v_div_scale_f64 v[9:10], vcc_lo, 1.0, v[0:1], 1.0
	v_mul_f64 v[11:12], v[9:10], v[7:8]
	s_delay_alu instid0(VALU_DEP_1) | instskip(NEXT) | instid1(VALU_DEP_1)
	v_fma_f64 v[2:3], -v[2:3], v[11:12], v[9:10]
	v_div_fmas_f64 v[2:3], v[2:3], v[7:8], v[11:12]
	s_delay_alu instid0(VALU_DEP_1) | instskip(NEXT) | instid1(VALU_DEP_1)
	v_div_fixup_f64 v[0:1], v[2:3], v[0:1], 1.0
	v_mul_f64 v[2:3], v[5:6], -v[0:1]
.LBB126_481:
	s_or_b32 exec_lo, exec_lo, s2
.LBB126_482:
	s_delay_alu instid0(SALU_CYCLE_1) | instskip(NEXT) | instid1(SALU_CYCLE_1)
	s_or_b32 exec_lo, exec_lo, s3
	s_mov_b32 s2, exec_lo
	v_cmpx_ne_u32_e64 v41, v4
	s_xor_b32 s2, exec_lo, s2
	s_cbranch_execz .LBB126_488
; %bb.483:
	s_mov_b32 s3, exec_lo
	v_cmpx_eq_u32_e32 19, v41
	s_cbranch_execz .LBB126_487
; %bb.484:
	v_cmp_ne_u32_e32 vcc_lo, 19, v4
	s_xor_b32 s6, s4, -1
	s_delay_alu instid0(SALU_CYCLE_1) | instskip(NEXT) | instid1(SALU_CYCLE_1)
	s_and_b32 s7, s6, vcc_lo
	s_and_saveexec_b32 s6, s7
	s_cbranch_execz .LBB126_486
; %bb.485:
	v_ashrrev_i32_e32 v5, 31, v4
	s_delay_alu instid0(VALU_DEP_1) | instskip(NEXT) | instid1(VALU_DEP_1)
	v_lshlrev_b64 v[5:6], 2, v[4:5]
	v_add_co_u32 v5, vcc_lo, v250, v5
	s_delay_alu instid0(VALU_DEP_2)
	v_add_co_ci_u32_e32 v6, vcc_lo, v251, v6, vcc_lo
	s_clause 0x1
	flat_load_b32 v7, v[5:6]
	flat_load_b32 v8, v[250:251] offset:76
	s_waitcnt vmcnt(1) lgkmcnt(1)
	flat_store_b32 v[250:251], v7 offset:76
	s_waitcnt vmcnt(0) lgkmcnt(1)
	flat_store_b32 v[5:6], v8
.LBB126_486:
	s_or_b32 exec_lo, exec_lo, s6
	v_mov_b32_e32 v41, v4
	v_mov_b32_e32 v39, v4
.LBB126_487:
	s_or_b32 exec_lo, exec_lo, s3
.LBB126_488:
	s_and_not1_saveexec_b32 s2, s2
	s_cbranch_execz .LBB126_492
; %bb.489:
	v_add3_u32 v4, v38, 0, 0x140
	v_mov_b32_e32 v5, 0
	s_mov_b32 s3, 0
.LBB126_490:                            ; =>This Inner Loop Header: Depth=1
	s_delay_alu instid0(VALU_DEP_1) | instskip(NEXT) | instid1(VALU_DEP_3)
	v_readfirstlane_b32 s6, v5
	v_add_nc_u32_e32 v18, s3, v4
	s_delay_alu instid0(VALU_DEP_2)
	s_add_i32 s6, s6, s3
	s_addk_i32 s3, 0xb0
	s_add_i32 s7, s6, 0x140
	s_add_i32 s9, s6, 0x150
	;; [unrolled: 1-line block ×10, first 2 shown]
	s_addk_i32 s6, 0x1e0
	s_clause 0xa
	scratch_load_b128 v[6:9], off, s7
	scratch_load_b128 v[10:13], off, s9
	;; [unrolled: 1-line block ×11, first 2 shown]
	s_cmpk_eq_i32 s3, 0x2c0
	s_waitcnt vmcnt(10)
	ds_store_2addr_b64 v18, v[6:7], v[8:9] offset1:1
	s_waitcnt vmcnt(9)
	ds_store_2addr_b64 v18, v[10:11], v[12:13] offset0:2 offset1:3
	s_waitcnt vmcnt(8)
	ds_store_2addr_b64 v18, v[14:15], v[16:17] offset0:4 offset1:5
	;; [unrolled: 2-line block ×10, first 2 shown]
	s_cbranch_scc0 .LBB126_490
; %bb.491:
	v_mov_b32_e32 v41, 19
.LBB126_492:
	s_or_b32 exec_lo, exec_lo, s2
	s_delay_alu instid0(SALU_CYCLE_1)
	s_mov_b32 s2, exec_lo
	s_waitcnt lgkmcnt(0)
	s_waitcnt_vscnt null, 0x0
	s_barrier
	buffer_gl0_inv
	v_cmpx_lt_i32_e32 19, v41
	s_cbranch_execz .LBB126_495
; %bb.493:
	scratch_load_b128 v[4:7], off, off offset:304
	s_mov_b32 s3, 0
	s_waitcnt vmcnt(0)
	v_mul_f64 v[8:9], v[2:3], v[6:7]
	v_mul_f64 v[6:7], v[0:1], v[6:7]
	s_delay_alu instid0(VALU_DEP_2) | instskip(NEXT) | instid1(VALU_DEP_2)
	v_fma_f64 v[0:1], v[0:1], v[4:5], -v[8:9]
	v_fma_f64 v[2:3], v[2:3], v[4:5], v[6:7]
	v_add3_u32 v4, v38, 0, 0x140
	v_mov_b32_e32 v5, 0
	scratch_store_b128 off, v[0:3], off offset:304
.LBB126_494:                            ; =>This Inner Loop Header: Depth=1
	v_readfirstlane_b32 s6, v5
	v_add_nc_u32_e32 v18, s3, v4
	s_delay_alu instid0(VALU_DEP_2)
	s_add_i32 s6, s6, s3
	s_add_i32 s3, s3, 64
	;; [unrolled: 1-line block ×5, first 2 shown]
	s_addk_i32 s6, 0x170
	s_clause 0x3
	scratch_load_b128 v[6:9], off, s7
	scratch_load_b128 v[10:13], off, s9
	;; [unrolled: 1-line block ×4, first 2 shown]
	ds_load_2addr_b64 v[49:52], v18 offset1:1
	ds_load_2addr_b64 v[53:56], v18 offset0:2 offset1:3
	ds_load_2addr_b64 v[65:68], v18 offset0:4 offset1:5
	;; [unrolled: 1-line block ×3, first 2 shown]
	s_cmpk_lg_i32 s3, 0x2c0
	s_waitcnt lgkmcnt(3)
	v_mul_f64 v[18:19], v[51:52], v[2:3]
	v_mul_f64 v[46:47], v[49:50], v[2:3]
	s_waitcnt lgkmcnt(2)
	v_mul_f64 v[57:58], v[55:56], v[2:3]
	v_mul_f64 v[61:62], v[53:54], v[2:3]
	;; [unrolled: 3-line block ×4, first 2 shown]
	v_fma_f64 v[18:19], v[49:50], v[0:1], -v[18:19]
	v_fma_f64 v[46:47], v[51:52], v[0:1], v[46:47]
	v_fma_f64 v[49:50], v[53:54], v[0:1], -v[57:58]
	v_fma_f64 v[51:52], v[55:56], v[0:1], v[61:62]
	;; [unrolled: 2-line block ×4, first 2 shown]
	s_waitcnt vmcnt(3)
	v_add_f64 v[6:7], v[6:7], -v[18:19]
	v_add_f64 v[8:9], v[8:9], -v[46:47]
	s_waitcnt vmcnt(2)
	v_add_f64 v[10:11], v[10:11], -v[49:50]
	v_add_f64 v[12:13], v[12:13], -v[51:52]
	;; [unrolled: 3-line block ×4, first 2 shown]
	s_clause 0x3
	scratch_store_b128 off, v[6:9], s7
	scratch_store_b128 off, v[10:13], s9
	;; [unrolled: 1-line block ×4, first 2 shown]
	s_cbranch_scc1 .LBB126_494
.LBB126_495:
	s_or_b32 exec_lo, exec_lo, s2
	s_waitcnt_vscnt null, 0x0
	s_barrier
	buffer_gl0_inv
	scratch_load_b128 v[0:3], v64, off
	v_lshl_add_u32 v4, v41, 4, v36
	s_cmp_lt_i32 s5, 22
	s_waitcnt vmcnt(0)
	ds_store_2addr_b64 v4, v[0:1], v[2:3] offset1:1
	s_waitcnt lgkmcnt(0)
	s_barrier
	buffer_gl0_inv
	ds_load_2addr_b64 v[0:3], v36 offset0:40 offset1:41
	v_mov_b32_e32 v4, 20
	s_cbranch_scc1 .LBB126_498
; %bb.496:
	v_add3_u32 v5, v38, 0, 0x150
	v_mov_b32_e32 v4, 20
	s_mov_b32 s6, 21
	s_set_inst_prefetch_distance 0x1
	.p2align	6
.LBB126_497:                            ; =>This Inner Loop Header: Depth=1
	ds_load_2addr_b64 v[6:9], v5 offset1:1
	s_waitcnt lgkmcnt(1)
	v_cmp_gt_f64_e32 vcc_lo, 0, v[0:1]
	v_xor_b32_e32 v10, 0x80000000, v1
	v_cmp_gt_f64_e64 s2, 0, v[2:3]
	v_xor_b32_e32 v12, 0x80000000, v3
	v_add_nc_u32_e32 v5, 16, v5
	s_waitcnt lgkmcnt(0)
	v_cmp_gt_f64_e64 s3, 0, v[6:7]
	v_mov_b32_e32 v14, v6
	v_dual_mov_b32 v16, v8 :: v_dual_cndmask_b32 v11, v1, v10
	v_xor_b32_e32 v10, 0x80000000, v7
	v_cndmask_b32_e64 v13, v3, v12, s2
	v_xor_b32_e32 v12, 0x80000000, v9
	s_delay_alu instid0(VALU_DEP_3) | instskip(SKIP_2) | instid1(VALU_DEP_2)
	v_cndmask_b32_e64 v15, v7, v10, s3
	v_cmp_gt_f64_e64 s3, 0, v[8:9]
	v_cndmask_b32_e32 v10, v0, v0, vcc_lo
	v_cndmask_b32_e64 v17, v9, v12, s3
	v_cndmask_b32_e64 v12, v2, v2, s2
	s_delay_alu instid0(VALU_DEP_2) | instskip(NEXT) | instid1(VALU_DEP_2)
	v_add_f64 v[14:15], v[14:15], v[16:17]
	v_add_f64 v[10:11], v[10:11], v[12:13]
	s_delay_alu instid0(VALU_DEP_1)
	v_cmp_lt_f64_e32 vcc_lo, v[10:11], v[14:15]
	v_cndmask_b32_e32 v3, v3, v9, vcc_lo
	v_dual_cndmask_b32 v1, v1, v7 :: v_dual_cndmask_b32 v0, v0, v6
	v_cndmask_b32_e32 v2, v2, v8, vcc_lo
	v_cndmask_b32_e64 v4, v4, s6, vcc_lo
	s_add_i32 s6, s6, 1
	s_delay_alu instid0(SALU_CYCLE_1)
	s_cmp_lg_u32 s5, s6
	s_cbranch_scc1 .LBB126_497
.LBB126_498:
	s_set_inst_prefetch_distance 0x2
	s_waitcnt lgkmcnt(0)
	v_cmp_eq_f64_e32 vcc_lo, 0, v[0:1]
	v_cmp_eq_f64_e64 s2, 0, v[2:3]
	s_delay_alu instid0(VALU_DEP_1) | instskip(NEXT) | instid1(SALU_CYCLE_1)
	s_and_b32 s2, vcc_lo, s2
	s_and_saveexec_b32 s3, s2
	s_delay_alu instid0(SALU_CYCLE_1)
	s_xor_b32 s2, exec_lo, s3
; %bb.499:
	v_cmp_ne_u32_e32 vcc_lo, 0, v37
	v_cndmask_b32_e32 v37, 21, v37, vcc_lo
; %bb.500:
	s_and_not1_saveexec_b32 s3, s2
	s_cbranch_execz .LBB126_506
; %bb.501:
	v_cmp_gt_f64_e32 vcc_lo, 0, v[0:1]
	v_cmp_gt_f64_e64 s2, 0, v[2:3]
	v_xor_b32_e32 v5, 0x80000000, v1
	v_xor_b32_e32 v7, 0x80000000, v3
	s_delay_alu instid0(VALU_DEP_2) | instskip(NEXT) | instid1(VALU_DEP_2)
	v_dual_cndmask_b32 v6, v1, v5 :: v_dual_cndmask_b32 v5, v0, v0
	v_cndmask_b32_e64 v8, v3, v7, s2
	v_cndmask_b32_e64 v7, v2, v2, s2
	s_mov_b32 s2, exec_lo
	s_delay_alu instid0(VALU_DEP_1)
	v_cmpx_ngt_f64_e32 v[5:6], v[7:8]
	s_xor_b32 s2, exec_lo, s2
	s_cbranch_execz .LBB126_503
; %bb.502:
	v_div_scale_f64 v[5:6], null, v[2:3], v[2:3], v[0:1]
	v_div_scale_f64 v[11:12], vcc_lo, v[0:1], v[2:3], v[0:1]
	s_delay_alu instid0(VALU_DEP_2) | instskip(SKIP_2) | instid1(VALU_DEP_1)
	v_rcp_f64_e32 v[7:8], v[5:6]
	s_waitcnt_depctr 0xfff
	v_fma_f64 v[9:10], -v[5:6], v[7:8], 1.0
	v_fma_f64 v[7:8], v[7:8], v[9:10], v[7:8]
	s_delay_alu instid0(VALU_DEP_1) | instskip(NEXT) | instid1(VALU_DEP_1)
	v_fma_f64 v[9:10], -v[5:6], v[7:8], 1.0
	v_fma_f64 v[7:8], v[7:8], v[9:10], v[7:8]
	s_delay_alu instid0(VALU_DEP_1) | instskip(NEXT) | instid1(VALU_DEP_1)
	v_mul_f64 v[9:10], v[11:12], v[7:8]
	v_fma_f64 v[5:6], -v[5:6], v[9:10], v[11:12]
	s_delay_alu instid0(VALU_DEP_1) | instskip(NEXT) | instid1(VALU_DEP_1)
	v_div_fmas_f64 v[5:6], v[5:6], v[7:8], v[9:10]
	v_div_fixup_f64 v[5:6], v[5:6], v[2:3], v[0:1]
	s_delay_alu instid0(VALU_DEP_1) | instskip(NEXT) | instid1(VALU_DEP_1)
	v_fma_f64 v[0:1], v[0:1], v[5:6], v[2:3]
	v_div_scale_f64 v[2:3], null, v[0:1], v[0:1], 1.0
	s_delay_alu instid0(VALU_DEP_1) | instskip(SKIP_2) | instid1(VALU_DEP_1)
	v_rcp_f64_e32 v[7:8], v[2:3]
	s_waitcnt_depctr 0xfff
	v_fma_f64 v[9:10], -v[2:3], v[7:8], 1.0
	v_fma_f64 v[7:8], v[7:8], v[9:10], v[7:8]
	s_delay_alu instid0(VALU_DEP_1) | instskip(NEXT) | instid1(VALU_DEP_1)
	v_fma_f64 v[9:10], -v[2:3], v[7:8], 1.0
	v_fma_f64 v[7:8], v[7:8], v[9:10], v[7:8]
	v_div_scale_f64 v[9:10], vcc_lo, 1.0, v[0:1], 1.0
	s_delay_alu instid0(VALU_DEP_1) | instskip(NEXT) | instid1(VALU_DEP_1)
	v_mul_f64 v[11:12], v[9:10], v[7:8]
	v_fma_f64 v[2:3], -v[2:3], v[11:12], v[9:10]
	s_delay_alu instid0(VALU_DEP_1) | instskip(NEXT) | instid1(VALU_DEP_1)
	v_div_fmas_f64 v[2:3], v[2:3], v[7:8], v[11:12]
	v_div_fixup_f64 v[2:3], v[2:3], v[0:1], 1.0
	s_delay_alu instid0(VALU_DEP_1)
	v_mul_f64 v[0:1], v[5:6], v[2:3]
	v_xor_b32_e32 v3, 0x80000000, v3
.LBB126_503:
	s_and_not1_saveexec_b32 s2, s2
	s_cbranch_execz .LBB126_505
; %bb.504:
	s_delay_alu instid0(VALU_DEP_1) | instskip(SKIP_1) | instid1(VALU_DEP_2)
	v_div_scale_f64 v[5:6], null, v[0:1], v[0:1], v[2:3]
	v_div_scale_f64 v[11:12], vcc_lo, v[2:3], v[0:1], v[2:3]
	v_rcp_f64_e32 v[7:8], v[5:6]
	s_waitcnt_depctr 0xfff
	v_fma_f64 v[9:10], -v[5:6], v[7:8], 1.0
	s_delay_alu instid0(VALU_DEP_1) | instskip(NEXT) | instid1(VALU_DEP_1)
	v_fma_f64 v[7:8], v[7:8], v[9:10], v[7:8]
	v_fma_f64 v[9:10], -v[5:6], v[7:8], 1.0
	s_delay_alu instid0(VALU_DEP_1) | instskip(NEXT) | instid1(VALU_DEP_1)
	v_fma_f64 v[7:8], v[7:8], v[9:10], v[7:8]
	v_mul_f64 v[9:10], v[11:12], v[7:8]
	s_delay_alu instid0(VALU_DEP_1) | instskip(NEXT) | instid1(VALU_DEP_1)
	v_fma_f64 v[5:6], -v[5:6], v[9:10], v[11:12]
	v_div_fmas_f64 v[5:6], v[5:6], v[7:8], v[9:10]
	s_delay_alu instid0(VALU_DEP_1) | instskip(NEXT) | instid1(VALU_DEP_1)
	v_div_fixup_f64 v[5:6], v[5:6], v[0:1], v[2:3]
	v_fma_f64 v[0:1], v[2:3], v[5:6], v[0:1]
	s_delay_alu instid0(VALU_DEP_1) | instskip(NEXT) | instid1(VALU_DEP_1)
	v_div_scale_f64 v[2:3], null, v[0:1], v[0:1], 1.0
	v_rcp_f64_e32 v[7:8], v[2:3]
	s_waitcnt_depctr 0xfff
	v_fma_f64 v[9:10], -v[2:3], v[7:8], 1.0
	s_delay_alu instid0(VALU_DEP_1) | instskip(NEXT) | instid1(VALU_DEP_1)
	v_fma_f64 v[7:8], v[7:8], v[9:10], v[7:8]
	v_fma_f64 v[9:10], -v[2:3], v[7:8], 1.0
	s_delay_alu instid0(VALU_DEP_1) | instskip(SKIP_1) | instid1(VALU_DEP_1)
	v_fma_f64 v[7:8], v[7:8], v[9:10], v[7:8]
	v_div_scale_f64 v[9:10], vcc_lo, 1.0, v[0:1], 1.0
	v_mul_f64 v[11:12], v[9:10], v[7:8]
	s_delay_alu instid0(VALU_DEP_1) | instskip(NEXT) | instid1(VALU_DEP_1)
	v_fma_f64 v[2:3], -v[2:3], v[11:12], v[9:10]
	v_div_fmas_f64 v[2:3], v[2:3], v[7:8], v[11:12]
	s_delay_alu instid0(VALU_DEP_1) | instskip(NEXT) | instid1(VALU_DEP_1)
	v_div_fixup_f64 v[0:1], v[2:3], v[0:1], 1.0
	v_mul_f64 v[2:3], v[5:6], -v[0:1]
.LBB126_505:
	s_or_b32 exec_lo, exec_lo, s2
.LBB126_506:
	s_delay_alu instid0(SALU_CYCLE_1) | instskip(NEXT) | instid1(SALU_CYCLE_1)
	s_or_b32 exec_lo, exec_lo, s3
	s_mov_b32 s2, exec_lo
	v_cmpx_ne_u32_e64 v41, v4
	s_xor_b32 s2, exec_lo, s2
	s_cbranch_execz .LBB126_512
; %bb.507:
	s_mov_b32 s3, exec_lo
	v_cmpx_eq_u32_e32 20, v41
	s_cbranch_execz .LBB126_511
; %bb.508:
	v_cmp_ne_u32_e32 vcc_lo, 20, v4
	s_xor_b32 s6, s4, -1
	s_delay_alu instid0(SALU_CYCLE_1) | instskip(NEXT) | instid1(SALU_CYCLE_1)
	s_and_b32 s7, s6, vcc_lo
	s_and_saveexec_b32 s6, s7
	s_cbranch_execz .LBB126_510
; %bb.509:
	v_ashrrev_i32_e32 v5, 31, v4
	s_delay_alu instid0(VALU_DEP_1) | instskip(NEXT) | instid1(VALU_DEP_1)
	v_lshlrev_b64 v[5:6], 2, v[4:5]
	v_add_co_u32 v5, vcc_lo, v250, v5
	s_delay_alu instid0(VALU_DEP_2)
	v_add_co_ci_u32_e32 v6, vcc_lo, v251, v6, vcc_lo
	s_clause 0x1
	flat_load_b32 v7, v[5:6]
	flat_load_b32 v8, v[250:251] offset:80
	s_waitcnt vmcnt(1) lgkmcnt(1)
	flat_store_b32 v[250:251], v7 offset:80
	s_waitcnt vmcnt(0) lgkmcnt(1)
	flat_store_b32 v[5:6], v8
.LBB126_510:
	s_or_b32 exec_lo, exec_lo, s6
	v_mov_b32_e32 v41, v4
	v_mov_b32_e32 v39, v4
.LBB126_511:
	s_or_b32 exec_lo, exec_lo, s3
.LBB126_512:
	s_and_not1_saveexec_b32 s2, s2
	s_cbranch_execz .LBB126_518
; %bb.513:
	v_add3_u32 v4, v38, 0, 0x150
	v_mov_b32_e32 v5, 0
	s_mov_b32 s3, 0
	s_branch .LBB126_515
.LBB126_514:                            ;   in Loop: Header=BB126_515 Depth=1
	s_and_not1_b32 vcc_lo, exec_lo, s7
	s_cbranch_vccz .LBB126_517
.LBB126_515:                            ; =>This Inner Loop Header: Depth=1
	s_delay_alu instid0(VALU_DEP_1) | instskip(SKIP_1) | instid1(VALU_DEP_2)
	v_readfirstlane_b32 s6, v5
	v_add_nc_u32_e32 v6, s3, v4
	s_add_i32 s6, s6, s3
	s_delay_alu instid0(SALU_CYCLE_1)
	s_add_i32 s7, s6, 0x150
	s_add_i32 s9, s6, 0x160
	s_add_i32 s12, s6, 0x170
	s_clause 0x2
	scratch_load_b128 v[7:10], off, s7
	scratch_load_b128 v[11:14], off, s9
	;; [unrolled: 1-line block ×3, first 2 shown]
	s_mov_b32 s7, -1
	s_cmpk_eq_i32 s3, 0x280
	s_waitcnt vmcnt(2)
	ds_store_2addr_b64 v6, v[7:8], v[9:10] offset1:1
	s_waitcnt vmcnt(1)
	ds_store_2addr_b64 v6, v[11:12], v[13:14] offset0:2 offset1:3
	s_waitcnt vmcnt(0)
	ds_store_2addr_b64 v6, v[41:42], v[43:44] offset0:4 offset1:5
	s_cbranch_scc1 .LBB126_514
; %bb.516:                              ;   in Loop: Header=BB126_515 Depth=1
	s_add_i32 s7, s6, 0x180
	s_add_i32 s9, s6, 0x190
	s_clause 0x1
	scratch_load_b128 v[7:10], off, s7
	scratch_load_b128 v[11:14], off, s9
	s_add_i32 s7, s6, 0x1a0
	s_add_i32 s9, s6, 0x1b0
	s_addk_i32 s6, 0x1c0
	s_clause 0x2
	scratch_load_b128 v[41:44], off, s7
	scratch_load_b128 v[49:52], off, s9
	;; [unrolled: 1-line block ×3, first 2 shown]
	s_addk_i32 s3, 0x80
	s_mov_b32 s7, 0
	s_waitcnt vmcnt(4)
	ds_store_2addr_b64 v6, v[7:8], v[9:10] offset0:6 offset1:7
	s_waitcnt vmcnt(3)
	ds_store_2addr_b64 v6, v[11:12], v[13:14] offset0:8 offset1:9
	;; [unrolled: 2-line block ×5, first 2 shown]
	s_branch .LBB126_514
.LBB126_517:
	v_mov_b32_e32 v41, 20
.LBB126_518:
	s_or_b32 exec_lo, exec_lo, s2
	s_delay_alu instid0(SALU_CYCLE_1)
	s_mov_b32 s2, exec_lo
	s_waitcnt lgkmcnt(0)
	s_waitcnt_vscnt null, 0x0
	s_barrier
	buffer_gl0_inv
	v_cmpx_lt_i32_e32 20, v41
	s_cbranch_execz .LBB126_523
; %bb.519:
	scratch_load_b128 v[4:7], off, off offset:320
	s_mov_b32 s3, 0
	s_waitcnt vmcnt(0)
	v_mul_f64 v[8:9], v[2:3], v[6:7]
	v_mul_f64 v[6:7], v[0:1], v[6:7]
	s_delay_alu instid0(VALU_DEP_2) | instskip(NEXT) | instid1(VALU_DEP_2)
	v_fma_f64 v[0:1], v[0:1], v[4:5], -v[8:9]
	v_fma_f64 v[2:3], v[2:3], v[4:5], v[6:7]
	v_add3_u32 v4, v38, 0, 0x150
	v_mov_b32_e32 v5, 0
	scratch_store_b128 off, v[0:3], off offset:320
	s_branch .LBB126_521
.LBB126_520:                            ;   in Loop: Header=BB126_521 Depth=1
	s_and_not1_b32 vcc_lo, exec_lo, s7
	s_cbranch_vccz .LBB126_523
.LBB126_521:                            ; =>This Inner Loop Header: Depth=1
	v_readfirstlane_b32 s6, v5
	v_add_nc_u32_e32 v6, s3, v4
	s_mov_b32 s7, -1
	s_delay_alu instid0(VALU_DEP_2) | instskip(NEXT) | instid1(SALU_CYCLE_1)
	s_add_i32 s6, s6, s3
	s_add_i32 s9, s6, 0x150
	;; [unrolled: 1-line block ×3, first 2 shown]
	scratch_load_b128 v[7:10], off, s9
	s_add_i32 s14, s6, 0x170
	s_clause 0x1
	scratch_load_b128 v[11:14], off, s12
	scratch_load_b128 v[42:45], off, s14
	ds_load_2addr_b64 v[49:52], v6 offset1:1
	ds_load_2addr_b64 v[53:56], v6 offset0:2 offset1:3
	ds_load_2addr_b64 v[65:68], v6 offset0:4 offset1:5
	s_cmpk_eq_i32 s3, 0x280
	s_waitcnt lgkmcnt(2)
	v_mul_f64 v[15:16], v[51:52], v[2:3]
	v_mul_f64 v[17:18], v[49:50], v[2:3]
	s_waitcnt lgkmcnt(1)
	v_mul_f64 v[46:47], v[55:56], v[2:3]
	v_mul_f64 v[57:58], v[53:54], v[2:3]
	;; [unrolled: 3-line block ×3, first 2 shown]
	v_fma_f64 v[15:16], v[49:50], v[0:1], -v[15:16]
	v_fma_f64 v[17:18], v[51:52], v[0:1], v[17:18]
	v_fma_f64 v[46:47], v[53:54], v[0:1], -v[46:47]
	v_fma_f64 v[49:50], v[55:56], v[0:1], v[57:58]
	;; [unrolled: 2-line block ×3, first 2 shown]
	s_waitcnt vmcnt(2)
	v_add_f64 v[7:8], v[7:8], -v[15:16]
	v_add_f64 v[9:10], v[9:10], -v[17:18]
	s_waitcnt vmcnt(1)
	v_add_f64 v[11:12], v[11:12], -v[46:47]
	v_add_f64 v[13:14], v[13:14], -v[49:50]
	;; [unrolled: 3-line block ×3, first 2 shown]
	s_clause 0x2
	scratch_store_b128 off, v[7:10], s9
	scratch_store_b128 off, v[11:14], s12
	;; [unrolled: 1-line block ×3, first 2 shown]
	s_cbranch_scc1 .LBB126_520
; %bb.522:                              ;   in Loop: Header=BB126_521 Depth=1
	s_addk_i32 s6, 0x180
	ds_load_2addr_b64 v[11:14], v6 offset0:6 offset1:7
	scratch_load_b128 v[7:10], off, s6
	s_add_i32 s3, s3, 64
	s_mov_b32 s7, 0
	s_waitcnt lgkmcnt(0)
	v_mul_f64 v[15:16], v[13:14], v[2:3]
	v_mul_f64 v[17:18], v[11:12], v[2:3]
	s_delay_alu instid0(VALU_DEP_2) | instskip(NEXT) | instid1(VALU_DEP_2)
	v_fma_f64 v[11:12], v[11:12], v[0:1], -v[15:16]
	v_fma_f64 v[13:14], v[13:14], v[0:1], v[17:18]
	s_waitcnt vmcnt(0)
	s_delay_alu instid0(VALU_DEP_2) | instskip(NEXT) | instid1(VALU_DEP_2)
	v_add_f64 v[6:7], v[7:8], -v[11:12]
	v_add_f64 v[8:9], v[9:10], -v[13:14]
	scratch_store_b128 off, v[6:9], s6
	s_branch .LBB126_520
.LBB126_523:
	s_or_b32 exec_lo, exec_lo, s2
	s_waitcnt_vscnt null, 0x0
	s_barrier
	buffer_gl0_inv
	scratch_load_b128 v[0:3], v76, off
	v_lshl_add_u32 v4, v41, 4, v36
	s_cmp_lt_i32 s5, 23
	s_waitcnt vmcnt(0)
	ds_store_2addr_b64 v4, v[0:1], v[2:3] offset1:1
	s_waitcnt lgkmcnt(0)
	s_barrier
	buffer_gl0_inv
	ds_load_2addr_b64 v[0:3], v36 offset0:42 offset1:43
	v_mov_b32_e32 v4, 21
	s_cbranch_scc1 .LBB126_526
; %bb.524:
	v_add3_u32 v5, v38, 0, 0x160
	v_mov_b32_e32 v4, 21
	s_mov_b32 s6, 22
	s_set_inst_prefetch_distance 0x1
	.p2align	6
.LBB126_525:                            ; =>This Inner Loop Header: Depth=1
	ds_load_2addr_b64 v[6:9], v5 offset1:1
	s_waitcnt lgkmcnt(1)
	v_cmp_gt_f64_e32 vcc_lo, 0, v[0:1]
	v_xor_b32_e32 v10, 0x80000000, v1
	v_cmp_gt_f64_e64 s2, 0, v[2:3]
	v_xor_b32_e32 v12, 0x80000000, v3
	v_add_nc_u32_e32 v5, 16, v5
	s_waitcnt lgkmcnt(0)
	v_cmp_gt_f64_e64 s3, 0, v[6:7]
	v_mov_b32_e32 v14, v6
	v_dual_mov_b32 v16, v8 :: v_dual_cndmask_b32 v11, v1, v10
	v_xor_b32_e32 v10, 0x80000000, v7
	v_cndmask_b32_e64 v13, v3, v12, s2
	v_xor_b32_e32 v12, 0x80000000, v9
	s_delay_alu instid0(VALU_DEP_3) | instskip(SKIP_2) | instid1(VALU_DEP_2)
	v_cndmask_b32_e64 v15, v7, v10, s3
	v_cmp_gt_f64_e64 s3, 0, v[8:9]
	v_cndmask_b32_e32 v10, v0, v0, vcc_lo
	v_cndmask_b32_e64 v17, v9, v12, s3
	v_cndmask_b32_e64 v12, v2, v2, s2
	s_delay_alu instid0(VALU_DEP_2) | instskip(NEXT) | instid1(VALU_DEP_2)
	v_add_f64 v[14:15], v[14:15], v[16:17]
	v_add_f64 v[10:11], v[10:11], v[12:13]
	s_delay_alu instid0(VALU_DEP_1)
	v_cmp_lt_f64_e32 vcc_lo, v[10:11], v[14:15]
	v_cndmask_b32_e32 v3, v3, v9, vcc_lo
	v_dual_cndmask_b32 v1, v1, v7 :: v_dual_cndmask_b32 v0, v0, v6
	v_cndmask_b32_e32 v2, v2, v8, vcc_lo
	v_cndmask_b32_e64 v4, v4, s6, vcc_lo
	s_add_i32 s6, s6, 1
	s_delay_alu instid0(SALU_CYCLE_1)
	s_cmp_lg_u32 s5, s6
	s_cbranch_scc1 .LBB126_525
.LBB126_526:
	s_set_inst_prefetch_distance 0x2
	s_waitcnt lgkmcnt(0)
	v_cmp_eq_f64_e32 vcc_lo, 0, v[0:1]
	v_cmp_eq_f64_e64 s2, 0, v[2:3]
	s_delay_alu instid0(VALU_DEP_1) | instskip(NEXT) | instid1(SALU_CYCLE_1)
	s_and_b32 s2, vcc_lo, s2
	s_and_saveexec_b32 s3, s2
	s_delay_alu instid0(SALU_CYCLE_1)
	s_xor_b32 s2, exec_lo, s3
; %bb.527:
	v_cmp_ne_u32_e32 vcc_lo, 0, v37
	v_cndmask_b32_e32 v37, 22, v37, vcc_lo
; %bb.528:
	s_and_not1_saveexec_b32 s3, s2
	s_cbranch_execz .LBB126_534
; %bb.529:
	v_cmp_gt_f64_e32 vcc_lo, 0, v[0:1]
	v_cmp_gt_f64_e64 s2, 0, v[2:3]
	v_xor_b32_e32 v5, 0x80000000, v1
	v_xor_b32_e32 v7, 0x80000000, v3
	s_delay_alu instid0(VALU_DEP_2) | instskip(NEXT) | instid1(VALU_DEP_2)
	v_dual_cndmask_b32 v6, v1, v5 :: v_dual_cndmask_b32 v5, v0, v0
	v_cndmask_b32_e64 v8, v3, v7, s2
	v_cndmask_b32_e64 v7, v2, v2, s2
	s_mov_b32 s2, exec_lo
	s_delay_alu instid0(VALU_DEP_1)
	v_cmpx_ngt_f64_e32 v[5:6], v[7:8]
	s_xor_b32 s2, exec_lo, s2
	s_cbranch_execz .LBB126_531
; %bb.530:
	v_div_scale_f64 v[5:6], null, v[2:3], v[2:3], v[0:1]
	v_div_scale_f64 v[11:12], vcc_lo, v[0:1], v[2:3], v[0:1]
	s_delay_alu instid0(VALU_DEP_2) | instskip(SKIP_2) | instid1(VALU_DEP_1)
	v_rcp_f64_e32 v[7:8], v[5:6]
	s_waitcnt_depctr 0xfff
	v_fma_f64 v[9:10], -v[5:6], v[7:8], 1.0
	v_fma_f64 v[7:8], v[7:8], v[9:10], v[7:8]
	s_delay_alu instid0(VALU_DEP_1) | instskip(NEXT) | instid1(VALU_DEP_1)
	v_fma_f64 v[9:10], -v[5:6], v[7:8], 1.0
	v_fma_f64 v[7:8], v[7:8], v[9:10], v[7:8]
	s_delay_alu instid0(VALU_DEP_1) | instskip(NEXT) | instid1(VALU_DEP_1)
	v_mul_f64 v[9:10], v[11:12], v[7:8]
	v_fma_f64 v[5:6], -v[5:6], v[9:10], v[11:12]
	s_delay_alu instid0(VALU_DEP_1) | instskip(NEXT) | instid1(VALU_DEP_1)
	v_div_fmas_f64 v[5:6], v[5:6], v[7:8], v[9:10]
	v_div_fixup_f64 v[5:6], v[5:6], v[2:3], v[0:1]
	s_delay_alu instid0(VALU_DEP_1) | instskip(NEXT) | instid1(VALU_DEP_1)
	v_fma_f64 v[0:1], v[0:1], v[5:6], v[2:3]
	v_div_scale_f64 v[2:3], null, v[0:1], v[0:1], 1.0
	s_delay_alu instid0(VALU_DEP_1) | instskip(SKIP_2) | instid1(VALU_DEP_1)
	v_rcp_f64_e32 v[7:8], v[2:3]
	s_waitcnt_depctr 0xfff
	v_fma_f64 v[9:10], -v[2:3], v[7:8], 1.0
	v_fma_f64 v[7:8], v[7:8], v[9:10], v[7:8]
	s_delay_alu instid0(VALU_DEP_1) | instskip(NEXT) | instid1(VALU_DEP_1)
	v_fma_f64 v[9:10], -v[2:3], v[7:8], 1.0
	v_fma_f64 v[7:8], v[7:8], v[9:10], v[7:8]
	v_div_scale_f64 v[9:10], vcc_lo, 1.0, v[0:1], 1.0
	s_delay_alu instid0(VALU_DEP_1) | instskip(NEXT) | instid1(VALU_DEP_1)
	v_mul_f64 v[11:12], v[9:10], v[7:8]
	v_fma_f64 v[2:3], -v[2:3], v[11:12], v[9:10]
	s_delay_alu instid0(VALU_DEP_1) | instskip(NEXT) | instid1(VALU_DEP_1)
	v_div_fmas_f64 v[2:3], v[2:3], v[7:8], v[11:12]
	v_div_fixup_f64 v[2:3], v[2:3], v[0:1], 1.0
	s_delay_alu instid0(VALU_DEP_1)
	v_mul_f64 v[0:1], v[5:6], v[2:3]
	v_xor_b32_e32 v3, 0x80000000, v3
.LBB126_531:
	s_and_not1_saveexec_b32 s2, s2
	s_cbranch_execz .LBB126_533
; %bb.532:
	s_delay_alu instid0(VALU_DEP_1) | instskip(SKIP_1) | instid1(VALU_DEP_2)
	v_div_scale_f64 v[5:6], null, v[0:1], v[0:1], v[2:3]
	v_div_scale_f64 v[11:12], vcc_lo, v[2:3], v[0:1], v[2:3]
	v_rcp_f64_e32 v[7:8], v[5:6]
	s_waitcnt_depctr 0xfff
	v_fma_f64 v[9:10], -v[5:6], v[7:8], 1.0
	s_delay_alu instid0(VALU_DEP_1) | instskip(NEXT) | instid1(VALU_DEP_1)
	v_fma_f64 v[7:8], v[7:8], v[9:10], v[7:8]
	v_fma_f64 v[9:10], -v[5:6], v[7:8], 1.0
	s_delay_alu instid0(VALU_DEP_1) | instskip(NEXT) | instid1(VALU_DEP_1)
	v_fma_f64 v[7:8], v[7:8], v[9:10], v[7:8]
	v_mul_f64 v[9:10], v[11:12], v[7:8]
	s_delay_alu instid0(VALU_DEP_1) | instskip(NEXT) | instid1(VALU_DEP_1)
	v_fma_f64 v[5:6], -v[5:6], v[9:10], v[11:12]
	v_div_fmas_f64 v[5:6], v[5:6], v[7:8], v[9:10]
	s_delay_alu instid0(VALU_DEP_1) | instskip(NEXT) | instid1(VALU_DEP_1)
	v_div_fixup_f64 v[5:6], v[5:6], v[0:1], v[2:3]
	v_fma_f64 v[0:1], v[2:3], v[5:6], v[0:1]
	s_delay_alu instid0(VALU_DEP_1) | instskip(NEXT) | instid1(VALU_DEP_1)
	v_div_scale_f64 v[2:3], null, v[0:1], v[0:1], 1.0
	v_rcp_f64_e32 v[7:8], v[2:3]
	s_waitcnt_depctr 0xfff
	v_fma_f64 v[9:10], -v[2:3], v[7:8], 1.0
	s_delay_alu instid0(VALU_DEP_1) | instskip(NEXT) | instid1(VALU_DEP_1)
	v_fma_f64 v[7:8], v[7:8], v[9:10], v[7:8]
	v_fma_f64 v[9:10], -v[2:3], v[7:8], 1.0
	s_delay_alu instid0(VALU_DEP_1) | instskip(SKIP_1) | instid1(VALU_DEP_1)
	v_fma_f64 v[7:8], v[7:8], v[9:10], v[7:8]
	v_div_scale_f64 v[9:10], vcc_lo, 1.0, v[0:1], 1.0
	v_mul_f64 v[11:12], v[9:10], v[7:8]
	s_delay_alu instid0(VALU_DEP_1) | instskip(NEXT) | instid1(VALU_DEP_1)
	v_fma_f64 v[2:3], -v[2:3], v[11:12], v[9:10]
	v_div_fmas_f64 v[2:3], v[2:3], v[7:8], v[11:12]
	s_delay_alu instid0(VALU_DEP_1) | instskip(NEXT) | instid1(VALU_DEP_1)
	v_div_fixup_f64 v[0:1], v[2:3], v[0:1], 1.0
	v_mul_f64 v[2:3], v[5:6], -v[0:1]
.LBB126_533:
	s_or_b32 exec_lo, exec_lo, s2
.LBB126_534:
	s_delay_alu instid0(SALU_CYCLE_1) | instskip(NEXT) | instid1(SALU_CYCLE_1)
	s_or_b32 exec_lo, exec_lo, s3
	s_mov_b32 s2, exec_lo
	v_cmpx_ne_u32_e64 v41, v4
	s_xor_b32 s2, exec_lo, s2
	s_cbranch_execz .LBB126_540
; %bb.535:
	s_mov_b32 s3, exec_lo
	v_cmpx_eq_u32_e32 21, v41
	s_cbranch_execz .LBB126_539
; %bb.536:
	v_cmp_ne_u32_e32 vcc_lo, 21, v4
	s_xor_b32 s6, s4, -1
	s_delay_alu instid0(SALU_CYCLE_1) | instskip(NEXT) | instid1(SALU_CYCLE_1)
	s_and_b32 s7, s6, vcc_lo
	s_and_saveexec_b32 s6, s7
	s_cbranch_execz .LBB126_538
; %bb.537:
	v_ashrrev_i32_e32 v5, 31, v4
	s_delay_alu instid0(VALU_DEP_1) | instskip(NEXT) | instid1(VALU_DEP_1)
	v_lshlrev_b64 v[5:6], 2, v[4:5]
	v_add_co_u32 v5, vcc_lo, v250, v5
	s_delay_alu instid0(VALU_DEP_2)
	v_add_co_ci_u32_e32 v6, vcc_lo, v251, v6, vcc_lo
	s_clause 0x1
	flat_load_b32 v7, v[5:6]
	flat_load_b32 v8, v[250:251] offset:84
	s_waitcnt vmcnt(1) lgkmcnt(1)
	flat_store_b32 v[250:251], v7 offset:84
	s_waitcnt vmcnt(0) lgkmcnt(1)
	flat_store_b32 v[5:6], v8
.LBB126_538:
	s_or_b32 exec_lo, exec_lo, s6
	v_mov_b32_e32 v41, v4
	v_mov_b32_e32 v39, v4
.LBB126_539:
	s_or_b32 exec_lo, exec_lo, s3
.LBB126_540:
	s_and_not1_saveexec_b32 s2, s2
	s_cbranch_execz .LBB126_544
; %bb.541:
	v_add3_u32 v4, v38, 0, 0x160
	v_mov_b32_e32 v5, 0
	s_mov_b32 s3, 0
.LBB126_542:                            ; =>This Inner Loop Header: Depth=1
	s_delay_alu instid0(VALU_DEP_1) | instskip(NEXT) | instid1(VALU_DEP_3)
	v_readfirstlane_b32 s6, v5
	v_add_nc_u32_e32 v18, s3, v4
	s_delay_alu instid0(VALU_DEP_2)
	s_add_i32 s6, s6, s3
	s_addk_i32 s3, 0xe0
	s_add_i32 s7, s6, 0x160
	s_add_i32 s9, s6, 0x170
	;; [unrolled: 1-line block ×13, first 2 shown]
	s_addk_i32 s6, 0x230
	s_clause 0xd
	scratch_load_b128 v[6:9], off, s7
	scratch_load_b128 v[10:13], off, s9
	;; [unrolled: 1-line block ×14, first 2 shown]
	s_cmpk_eq_i32 s3, 0x2a0
	s_waitcnt vmcnt(13)
	ds_store_2addr_b64 v18, v[6:7], v[8:9] offset1:1
	s_waitcnt vmcnt(12)
	ds_store_2addr_b64 v18, v[10:11], v[12:13] offset0:2 offset1:3
	s_waitcnt vmcnt(11)
	ds_store_2addr_b64 v18, v[14:15], v[16:17] offset0:4 offset1:5
	;; [unrolled: 2-line block ×13, first 2 shown]
	s_cbranch_scc0 .LBB126_542
; %bb.543:
	v_mov_b32_e32 v41, 21
.LBB126_544:
	s_or_b32 exec_lo, exec_lo, s2
	s_delay_alu instid0(SALU_CYCLE_1)
	s_mov_b32 s2, exec_lo
	s_waitcnt lgkmcnt(0)
	s_waitcnt_vscnt null, 0x0
	s_barrier
	buffer_gl0_inv
	v_cmpx_lt_i32_e32 21, v41
	s_cbranch_execz .LBB126_547
; %bb.545:
	scratch_load_b128 v[4:7], off, off offset:336
	s_mov_b32 s3, 0
	s_waitcnt vmcnt(0)
	v_mul_f64 v[8:9], v[2:3], v[6:7]
	v_mul_f64 v[6:7], v[0:1], v[6:7]
	s_delay_alu instid0(VALU_DEP_2) | instskip(NEXT) | instid1(VALU_DEP_2)
	v_fma_f64 v[0:1], v[0:1], v[4:5], -v[8:9]
	v_fma_f64 v[2:3], v[2:3], v[4:5], v[6:7]
	v_add3_u32 v4, v38, 0, 0x160
	v_mov_b32_e32 v5, 0
	scratch_store_b128 off, v[0:3], off offset:336
.LBB126_546:                            ; =>This Inner Loop Header: Depth=1
	v_add_nc_u32_e32 v59, s3, v4
	v_readfirstlane_b32 s6, v5
	ds_load_2addr_b64 v[6:9], v59 offset1:1
	ds_load_2addr_b64 v[10:13], v59 offset0:2 offset1:3
	ds_load_2addr_b64 v[14:17], v59 offset0:4 offset1:5
	;; [unrolled: 1-line block ×5, first 2 shown]
	s_add_i32 s6, s6, s3
	s_addk_i32 s3, 0x70
	s_add_i32 s7, s6, 0x160
	s_add_i32 s9, s6, 0x170
	;; [unrolled: 1-line block ×6, first 2 shown]
	s_addk_i32 s6, 0x1c0
	s_cmpk_lg_i32 s3, 0x2a0
	s_waitcnt lgkmcnt(5)
	v_mul_f64 v[18:19], v[8:9], v[2:3]
	v_mul_f64 v[46:47], v[6:7], v[2:3]
	s_waitcnt lgkmcnt(4)
	v_mul_f64 v[57:58], v[12:13], v[2:3]
	v_mul_f64 v[61:62], v[10:11], v[2:3]
	;; [unrolled: 3-line block ×6, first 2 shown]
	v_fma_f64 v[18:19], v[6:7], v[0:1], -v[18:19]
	v_fma_f64 v[46:47], v[8:9], v[0:1], v[46:47]
	v_fma_f64 v[57:58], v[10:11], v[0:1], -v[57:58]
	v_fma_f64 v[61:62], v[12:13], v[0:1], v[61:62]
	;; [unrolled: 2-line block ×6, first 2 shown]
	scratch_load_b128 v[0:3], off, off offset:336
	s_clause 0x6
	scratch_load_b128 v[6:9], off, s7
	scratch_load_b128 v[10:13], off, s9
	;; [unrolled: 1-line block ×7, first 2 shown]
	ds_load_2addr_b64 v[69:72], v59 offset0:12 offset1:13
	s_waitcnt vmcnt(6)
	v_add_f64 v[6:7], v[6:7], -v[18:19]
	v_add_f64 v[8:9], v[8:9], -v[46:47]
	s_waitcnt vmcnt(5)
	v_add_f64 v[10:11], v[10:11], -v[57:58]
	v_add_f64 v[12:13], v[12:13], -v[61:62]
	s_waitcnt vmcnt(4)
	v_add_f64 v[14:15], v[14:15], -v[81:82]
	s_waitcnt lgkmcnt(0)
	v_mul_f64 v[91:92], v[71:72], v[2:3]
	v_mul_f64 v[93:94], v[69:70], v[2:3]
	v_add_f64 v[16:17], v[16:17], -v[83:84]
	s_waitcnt vmcnt(3)
	v_add_f64 v[42:43], v[42:43], -v[85:86]
	v_add_f64 v[44:45], v[44:45], -v[87:88]
	s_waitcnt vmcnt(2)
	v_add_f64 v[49:50], v[49:50], -v[73:74]
	;; [unrolled: 3-line block ×3, first 2 shown]
	v_add_f64 v[55:56], v[55:56], -v[89:90]
	v_fma_f64 v[69:70], v[69:70], v[0:1], -v[91:92]
	v_fma_f64 v[71:72], v[71:72], v[0:1], v[93:94]
	s_waitcnt vmcnt(0)
	s_delay_alu instid0(VALU_DEP_2) | instskip(NEXT) | instid1(VALU_DEP_2)
	v_add_f64 v[65:66], v[65:66], -v[69:70]
	v_add_f64 v[67:68], v[67:68], -v[71:72]
	s_clause 0x6
	scratch_store_b128 off, v[6:9], s7
	scratch_store_b128 off, v[10:13], s9
	;; [unrolled: 1-line block ×7, first 2 shown]
	s_cbranch_scc1 .LBB126_546
.LBB126_547:
	s_or_b32 exec_lo, exec_lo, s2
	s_waitcnt_vscnt null, 0x0
	s_barrier
	buffer_gl0_inv
	scratch_load_b128 v[0:3], v115, off
	v_lshl_add_u32 v4, v41, 4, v36
	s_cmp_lt_i32 s5, 24
	s_waitcnt vmcnt(0)
	ds_store_2addr_b64 v4, v[0:1], v[2:3] offset1:1
	s_waitcnt lgkmcnt(0)
	s_barrier
	buffer_gl0_inv
	ds_load_2addr_b64 v[0:3], v36 offset0:44 offset1:45
	v_mov_b32_e32 v4, 22
	s_cbranch_scc1 .LBB126_550
; %bb.548:
	v_add3_u32 v5, v38, 0, 0x170
	v_mov_b32_e32 v4, 22
	s_mov_b32 s6, 23
	s_set_inst_prefetch_distance 0x1
	.p2align	6
.LBB126_549:                            ; =>This Inner Loop Header: Depth=1
	ds_load_2addr_b64 v[6:9], v5 offset1:1
	s_waitcnt lgkmcnt(1)
	v_cmp_gt_f64_e32 vcc_lo, 0, v[0:1]
	v_xor_b32_e32 v10, 0x80000000, v1
	v_cmp_gt_f64_e64 s2, 0, v[2:3]
	v_xor_b32_e32 v12, 0x80000000, v3
	v_add_nc_u32_e32 v5, 16, v5
	s_waitcnt lgkmcnt(0)
	v_cmp_gt_f64_e64 s3, 0, v[6:7]
	v_mov_b32_e32 v14, v6
	v_dual_mov_b32 v16, v8 :: v_dual_cndmask_b32 v11, v1, v10
	v_xor_b32_e32 v10, 0x80000000, v7
	v_cndmask_b32_e64 v13, v3, v12, s2
	v_xor_b32_e32 v12, 0x80000000, v9
	s_delay_alu instid0(VALU_DEP_3) | instskip(SKIP_2) | instid1(VALU_DEP_2)
	v_cndmask_b32_e64 v15, v7, v10, s3
	v_cmp_gt_f64_e64 s3, 0, v[8:9]
	v_cndmask_b32_e32 v10, v0, v0, vcc_lo
	v_cndmask_b32_e64 v17, v9, v12, s3
	v_cndmask_b32_e64 v12, v2, v2, s2
	s_delay_alu instid0(VALU_DEP_2) | instskip(NEXT) | instid1(VALU_DEP_2)
	v_add_f64 v[14:15], v[14:15], v[16:17]
	v_add_f64 v[10:11], v[10:11], v[12:13]
	s_delay_alu instid0(VALU_DEP_1)
	v_cmp_lt_f64_e32 vcc_lo, v[10:11], v[14:15]
	v_cndmask_b32_e32 v3, v3, v9, vcc_lo
	v_dual_cndmask_b32 v1, v1, v7 :: v_dual_cndmask_b32 v0, v0, v6
	v_cndmask_b32_e32 v2, v2, v8, vcc_lo
	v_cndmask_b32_e64 v4, v4, s6, vcc_lo
	s_add_i32 s6, s6, 1
	s_delay_alu instid0(SALU_CYCLE_1)
	s_cmp_lg_u32 s5, s6
	s_cbranch_scc1 .LBB126_549
.LBB126_550:
	s_set_inst_prefetch_distance 0x2
	s_waitcnt lgkmcnt(0)
	v_cmp_eq_f64_e32 vcc_lo, 0, v[0:1]
	v_cmp_eq_f64_e64 s2, 0, v[2:3]
	s_delay_alu instid0(VALU_DEP_1) | instskip(NEXT) | instid1(SALU_CYCLE_1)
	s_and_b32 s2, vcc_lo, s2
	s_and_saveexec_b32 s3, s2
	s_delay_alu instid0(SALU_CYCLE_1)
	s_xor_b32 s2, exec_lo, s3
; %bb.551:
	v_cmp_ne_u32_e32 vcc_lo, 0, v37
	v_cndmask_b32_e32 v37, 23, v37, vcc_lo
; %bb.552:
	s_and_not1_saveexec_b32 s3, s2
	s_cbranch_execz .LBB126_558
; %bb.553:
	v_cmp_gt_f64_e32 vcc_lo, 0, v[0:1]
	v_cmp_gt_f64_e64 s2, 0, v[2:3]
	v_xor_b32_e32 v5, 0x80000000, v1
	v_xor_b32_e32 v7, 0x80000000, v3
	s_delay_alu instid0(VALU_DEP_2) | instskip(NEXT) | instid1(VALU_DEP_2)
	v_dual_cndmask_b32 v6, v1, v5 :: v_dual_cndmask_b32 v5, v0, v0
	v_cndmask_b32_e64 v8, v3, v7, s2
	v_cndmask_b32_e64 v7, v2, v2, s2
	s_mov_b32 s2, exec_lo
	s_delay_alu instid0(VALU_DEP_1)
	v_cmpx_ngt_f64_e32 v[5:6], v[7:8]
	s_xor_b32 s2, exec_lo, s2
	s_cbranch_execz .LBB126_555
; %bb.554:
	v_div_scale_f64 v[5:6], null, v[2:3], v[2:3], v[0:1]
	v_div_scale_f64 v[11:12], vcc_lo, v[0:1], v[2:3], v[0:1]
	s_delay_alu instid0(VALU_DEP_2) | instskip(SKIP_2) | instid1(VALU_DEP_1)
	v_rcp_f64_e32 v[7:8], v[5:6]
	s_waitcnt_depctr 0xfff
	v_fma_f64 v[9:10], -v[5:6], v[7:8], 1.0
	v_fma_f64 v[7:8], v[7:8], v[9:10], v[7:8]
	s_delay_alu instid0(VALU_DEP_1) | instskip(NEXT) | instid1(VALU_DEP_1)
	v_fma_f64 v[9:10], -v[5:6], v[7:8], 1.0
	v_fma_f64 v[7:8], v[7:8], v[9:10], v[7:8]
	s_delay_alu instid0(VALU_DEP_1) | instskip(NEXT) | instid1(VALU_DEP_1)
	v_mul_f64 v[9:10], v[11:12], v[7:8]
	v_fma_f64 v[5:6], -v[5:6], v[9:10], v[11:12]
	s_delay_alu instid0(VALU_DEP_1) | instskip(NEXT) | instid1(VALU_DEP_1)
	v_div_fmas_f64 v[5:6], v[5:6], v[7:8], v[9:10]
	v_div_fixup_f64 v[5:6], v[5:6], v[2:3], v[0:1]
	s_delay_alu instid0(VALU_DEP_1) | instskip(NEXT) | instid1(VALU_DEP_1)
	v_fma_f64 v[0:1], v[0:1], v[5:6], v[2:3]
	v_div_scale_f64 v[2:3], null, v[0:1], v[0:1], 1.0
	s_delay_alu instid0(VALU_DEP_1) | instskip(SKIP_2) | instid1(VALU_DEP_1)
	v_rcp_f64_e32 v[7:8], v[2:3]
	s_waitcnt_depctr 0xfff
	v_fma_f64 v[9:10], -v[2:3], v[7:8], 1.0
	v_fma_f64 v[7:8], v[7:8], v[9:10], v[7:8]
	s_delay_alu instid0(VALU_DEP_1) | instskip(NEXT) | instid1(VALU_DEP_1)
	v_fma_f64 v[9:10], -v[2:3], v[7:8], 1.0
	v_fma_f64 v[7:8], v[7:8], v[9:10], v[7:8]
	v_div_scale_f64 v[9:10], vcc_lo, 1.0, v[0:1], 1.0
	s_delay_alu instid0(VALU_DEP_1) | instskip(NEXT) | instid1(VALU_DEP_1)
	v_mul_f64 v[11:12], v[9:10], v[7:8]
	v_fma_f64 v[2:3], -v[2:3], v[11:12], v[9:10]
	s_delay_alu instid0(VALU_DEP_1) | instskip(NEXT) | instid1(VALU_DEP_1)
	v_div_fmas_f64 v[2:3], v[2:3], v[7:8], v[11:12]
	v_div_fixup_f64 v[2:3], v[2:3], v[0:1], 1.0
	s_delay_alu instid0(VALU_DEP_1)
	v_mul_f64 v[0:1], v[5:6], v[2:3]
	v_xor_b32_e32 v3, 0x80000000, v3
.LBB126_555:
	s_and_not1_saveexec_b32 s2, s2
	s_cbranch_execz .LBB126_557
; %bb.556:
	s_delay_alu instid0(VALU_DEP_1) | instskip(SKIP_1) | instid1(VALU_DEP_2)
	v_div_scale_f64 v[5:6], null, v[0:1], v[0:1], v[2:3]
	v_div_scale_f64 v[11:12], vcc_lo, v[2:3], v[0:1], v[2:3]
	v_rcp_f64_e32 v[7:8], v[5:6]
	s_waitcnt_depctr 0xfff
	v_fma_f64 v[9:10], -v[5:6], v[7:8], 1.0
	s_delay_alu instid0(VALU_DEP_1) | instskip(NEXT) | instid1(VALU_DEP_1)
	v_fma_f64 v[7:8], v[7:8], v[9:10], v[7:8]
	v_fma_f64 v[9:10], -v[5:6], v[7:8], 1.0
	s_delay_alu instid0(VALU_DEP_1) | instskip(NEXT) | instid1(VALU_DEP_1)
	v_fma_f64 v[7:8], v[7:8], v[9:10], v[7:8]
	v_mul_f64 v[9:10], v[11:12], v[7:8]
	s_delay_alu instid0(VALU_DEP_1) | instskip(NEXT) | instid1(VALU_DEP_1)
	v_fma_f64 v[5:6], -v[5:6], v[9:10], v[11:12]
	v_div_fmas_f64 v[5:6], v[5:6], v[7:8], v[9:10]
	s_delay_alu instid0(VALU_DEP_1) | instskip(NEXT) | instid1(VALU_DEP_1)
	v_div_fixup_f64 v[5:6], v[5:6], v[0:1], v[2:3]
	v_fma_f64 v[0:1], v[2:3], v[5:6], v[0:1]
	s_delay_alu instid0(VALU_DEP_1) | instskip(NEXT) | instid1(VALU_DEP_1)
	v_div_scale_f64 v[2:3], null, v[0:1], v[0:1], 1.0
	v_rcp_f64_e32 v[7:8], v[2:3]
	s_waitcnt_depctr 0xfff
	v_fma_f64 v[9:10], -v[2:3], v[7:8], 1.0
	s_delay_alu instid0(VALU_DEP_1) | instskip(NEXT) | instid1(VALU_DEP_1)
	v_fma_f64 v[7:8], v[7:8], v[9:10], v[7:8]
	v_fma_f64 v[9:10], -v[2:3], v[7:8], 1.0
	s_delay_alu instid0(VALU_DEP_1) | instskip(SKIP_1) | instid1(VALU_DEP_1)
	v_fma_f64 v[7:8], v[7:8], v[9:10], v[7:8]
	v_div_scale_f64 v[9:10], vcc_lo, 1.0, v[0:1], 1.0
	v_mul_f64 v[11:12], v[9:10], v[7:8]
	s_delay_alu instid0(VALU_DEP_1) | instskip(NEXT) | instid1(VALU_DEP_1)
	v_fma_f64 v[2:3], -v[2:3], v[11:12], v[9:10]
	v_div_fmas_f64 v[2:3], v[2:3], v[7:8], v[11:12]
	s_delay_alu instid0(VALU_DEP_1) | instskip(NEXT) | instid1(VALU_DEP_1)
	v_div_fixup_f64 v[0:1], v[2:3], v[0:1], 1.0
	v_mul_f64 v[2:3], v[5:6], -v[0:1]
.LBB126_557:
	s_or_b32 exec_lo, exec_lo, s2
.LBB126_558:
	s_delay_alu instid0(SALU_CYCLE_1) | instskip(NEXT) | instid1(SALU_CYCLE_1)
	s_or_b32 exec_lo, exec_lo, s3
	s_mov_b32 s2, exec_lo
	v_cmpx_ne_u32_e64 v41, v4
	s_xor_b32 s2, exec_lo, s2
	s_cbranch_execz .LBB126_564
; %bb.559:
	s_mov_b32 s3, exec_lo
	v_cmpx_eq_u32_e32 22, v41
	s_cbranch_execz .LBB126_563
; %bb.560:
	v_cmp_ne_u32_e32 vcc_lo, 22, v4
	s_xor_b32 s6, s4, -1
	s_delay_alu instid0(SALU_CYCLE_1) | instskip(NEXT) | instid1(SALU_CYCLE_1)
	s_and_b32 s7, s6, vcc_lo
	s_and_saveexec_b32 s6, s7
	s_cbranch_execz .LBB126_562
; %bb.561:
	v_ashrrev_i32_e32 v5, 31, v4
	s_delay_alu instid0(VALU_DEP_1) | instskip(NEXT) | instid1(VALU_DEP_1)
	v_lshlrev_b64 v[5:6], 2, v[4:5]
	v_add_co_u32 v5, vcc_lo, v250, v5
	s_delay_alu instid0(VALU_DEP_2)
	v_add_co_ci_u32_e32 v6, vcc_lo, v251, v6, vcc_lo
	s_clause 0x1
	flat_load_b32 v7, v[5:6]
	flat_load_b32 v8, v[250:251] offset:88
	s_waitcnt vmcnt(1) lgkmcnt(1)
	flat_store_b32 v[250:251], v7 offset:88
	s_waitcnt vmcnt(0) lgkmcnt(1)
	flat_store_b32 v[5:6], v8
.LBB126_562:
	s_or_b32 exec_lo, exec_lo, s6
	v_mov_b32_e32 v41, v4
	v_mov_b32_e32 v39, v4
.LBB126_563:
	s_or_b32 exec_lo, exec_lo, s3
.LBB126_564:
	s_and_not1_saveexec_b32 s2, s2
	s_cbranch_execz .LBB126_570
; %bb.565:
	v_add3_u32 v4, v38, 0, 0x170
	v_mov_b32_e32 v5, 0
	s_mov_b32 s3, 0
	s_branch .LBB126_567
.LBB126_566:                            ;   in Loop: Header=BB126_567 Depth=1
	s_and_not1_b32 vcc_lo, exec_lo, s7
	s_cbranch_vccz .LBB126_569
.LBB126_567:                            ; =>This Inner Loop Header: Depth=1
	s_delay_alu instid0(VALU_DEP_1) | instskip(SKIP_1) | instid1(VALU_DEP_2)
	v_readfirstlane_b32 s6, v5
	v_add_nc_u32_e32 v6, s3, v4
	s_add_i32 s6, s6, s3
	s_delay_alu instid0(SALU_CYCLE_1)
	s_add_i32 s7, s6, 0x170
	s_cmpk_eq_i32 s3, 0x280
	scratch_load_b128 v[7:10], off, s7
	s_mov_b32 s7, -1
	s_waitcnt vmcnt(0)
	ds_store_2addr_b64 v6, v[7:8], v[9:10] offset1:1
	s_cbranch_scc1 .LBB126_566
; %bb.568:                              ;   in Loop: Header=BB126_567 Depth=1
	s_add_i32 s7, s6, 0x180
	s_add_i32 s9, s6, 0x190
	s_clause 0x1
	scratch_load_b128 v[7:10], off, s7
	scratch_load_b128 v[11:14], off, s9
	s_add_i32 s7, s6, 0x1a0
	s_add_i32 s9, s6, 0x1b0
	s_clause 0x1
	scratch_load_b128 v[41:44], off, s7
	scratch_load_b128 v[49:52], off, s9
	s_add_i32 s7, s6, 0x1c0
	s_add_i32 s9, s6, 0x1d0
	s_addk_i32 s6, 0x1e0
	s_clause 0x2
	scratch_load_b128 v[53:56], off, s7
	scratch_load_b128 v[65:68], off, s9
	;; [unrolled: 1-line block ×3, first 2 shown]
	s_addk_i32 s3, 0x80
	s_mov_b32 s7, 0
	s_waitcnt vmcnt(6)
	ds_store_2addr_b64 v6, v[7:8], v[9:10] offset0:2 offset1:3
	s_waitcnt vmcnt(5)
	ds_store_2addr_b64 v6, v[11:12], v[13:14] offset0:4 offset1:5
	;; [unrolled: 2-line block ×7, first 2 shown]
	s_branch .LBB126_566
.LBB126_569:
	v_mov_b32_e32 v41, 22
.LBB126_570:
	s_or_b32 exec_lo, exec_lo, s2
	s_delay_alu instid0(SALU_CYCLE_1)
	s_mov_b32 s2, exec_lo
	s_waitcnt lgkmcnt(0)
	s_waitcnt_vscnt null, 0x0
	s_barrier
	buffer_gl0_inv
	v_cmpx_lt_i32_e32 22, v41
	s_cbranch_execz .LBB126_575
; %bb.571:
	scratch_load_b128 v[4:7], off, off offset:352
	s_mov_b32 s3, 0
	s_waitcnt vmcnt(0)
	v_mul_f64 v[8:9], v[2:3], v[6:7]
	v_mul_f64 v[6:7], v[0:1], v[6:7]
	s_delay_alu instid0(VALU_DEP_2) | instskip(NEXT) | instid1(VALU_DEP_2)
	v_fma_f64 v[0:1], v[0:1], v[4:5], -v[8:9]
	v_fma_f64 v[2:3], v[2:3], v[4:5], v[6:7]
	v_add3_u32 v4, v38, 0, 0x170
	v_mov_b32_e32 v5, 0
	scratch_store_b128 off, v[0:3], off offset:352
	s_branch .LBB126_573
.LBB126_572:                            ;   in Loop: Header=BB126_573 Depth=1
	s_and_not1_b32 vcc_lo, exec_lo, s7
	s_cbranch_vccz .LBB126_575
.LBB126_573:                            ; =>This Inner Loop Header: Depth=1
	v_readfirstlane_b32 s6, v5
	v_add_nc_u32_e32 v6, s3, v4
	s_mov_b32 s7, -1
	s_delay_alu instid0(VALU_DEP_2)
	s_add_i32 s6, s6, s3
	ds_load_2addr_b64 v[11:14], v6 offset1:1
	s_add_i32 s9, s6, 0x170
	s_cmpk_eq_i32 s3, 0x280
	scratch_load_b128 v[7:10], off, s9
	s_waitcnt lgkmcnt(0)
	v_mul_f64 v[15:16], v[13:14], v[2:3]
	v_mul_f64 v[17:18], v[11:12], v[2:3]
	s_delay_alu instid0(VALU_DEP_2) | instskip(NEXT) | instid1(VALU_DEP_2)
	v_fma_f64 v[11:12], v[11:12], v[0:1], -v[15:16]
	v_fma_f64 v[13:14], v[13:14], v[0:1], v[17:18]
	s_waitcnt vmcnt(0)
	s_delay_alu instid0(VALU_DEP_2) | instskip(NEXT) | instid1(VALU_DEP_2)
	v_add_f64 v[7:8], v[7:8], -v[11:12]
	v_add_f64 v[9:10], v[9:10], -v[13:14]
	scratch_store_b128 off, v[7:10], s9
	s_cbranch_scc1 .LBB126_572
; %bb.574:                              ;   in Loop: Header=BB126_573 Depth=1
	s_add_i32 s9, s6, 0x180
	s_add_i32 s12, s6, 0x190
	scratch_load_b128 v[7:10], off, s9
	s_addk_i32 s6, 0x1a0
	s_clause 0x1
	scratch_load_b128 v[11:14], off, s12
	scratch_load_b128 v[42:45], off, s6
	ds_load_2addr_b64 v[49:52], v6 offset0:2 offset1:3
	ds_load_2addr_b64 v[53:56], v6 offset0:4 offset1:5
	;; [unrolled: 1-line block ×3, first 2 shown]
	s_add_i32 s3, s3, 64
	s_mov_b32 s7, 0
	s_waitcnt lgkmcnt(2)
	v_mul_f64 v[15:16], v[51:52], v[2:3]
	v_mul_f64 v[17:18], v[49:50], v[2:3]
	s_waitcnt lgkmcnt(1)
	v_mul_f64 v[46:47], v[55:56], v[2:3]
	v_mul_f64 v[57:58], v[53:54], v[2:3]
	;; [unrolled: 3-line block ×3, first 2 shown]
	v_fma_f64 v[15:16], v[49:50], v[0:1], -v[15:16]
	v_fma_f64 v[17:18], v[51:52], v[0:1], v[17:18]
	v_fma_f64 v[46:47], v[53:54], v[0:1], -v[46:47]
	v_fma_f64 v[49:50], v[55:56], v[0:1], v[57:58]
	;; [unrolled: 2-line block ×3, first 2 shown]
	s_waitcnt vmcnt(2)
	v_add_f64 v[6:7], v[7:8], -v[15:16]
	v_add_f64 v[8:9], v[9:10], -v[17:18]
	s_waitcnt vmcnt(1)
	v_add_f64 v[10:11], v[11:12], -v[46:47]
	v_add_f64 v[12:13], v[13:14], -v[49:50]
	;; [unrolled: 3-line block ×3, first 2 shown]
	s_clause 0x2
	scratch_store_b128 off, v[6:9], s9
	scratch_store_b128 off, v[10:13], s12
	;; [unrolled: 1-line block ×3, first 2 shown]
	s_branch .LBB126_572
.LBB126_575:
	s_or_b32 exec_lo, exec_lo, s2
	s_waitcnt_vscnt null, 0x0
	s_barrier
	buffer_gl0_inv
	scratch_load_b128 v[0:3], v114, off
	v_lshl_add_u32 v4, v41, 4, v36
	s_cmp_lt_i32 s5, 25
	s_waitcnt vmcnt(0)
	ds_store_2addr_b64 v4, v[0:1], v[2:3] offset1:1
	s_waitcnt lgkmcnt(0)
	s_barrier
	buffer_gl0_inv
	ds_load_2addr_b64 v[0:3], v36 offset0:46 offset1:47
	v_mov_b32_e32 v4, 23
	s_cbranch_scc1 .LBB126_578
; %bb.576:
	v_add3_u32 v5, v38, 0, 0x180
	v_mov_b32_e32 v4, 23
	s_mov_b32 s6, 24
	s_set_inst_prefetch_distance 0x1
	.p2align	6
.LBB126_577:                            ; =>This Inner Loop Header: Depth=1
	ds_load_2addr_b64 v[6:9], v5 offset1:1
	s_waitcnt lgkmcnt(1)
	v_cmp_gt_f64_e32 vcc_lo, 0, v[0:1]
	v_xor_b32_e32 v10, 0x80000000, v1
	v_cmp_gt_f64_e64 s2, 0, v[2:3]
	v_xor_b32_e32 v12, 0x80000000, v3
	v_add_nc_u32_e32 v5, 16, v5
	s_waitcnt lgkmcnt(0)
	v_cmp_gt_f64_e64 s3, 0, v[6:7]
	v_mov_b32_e32 v14, v6
	v_dual_mov_b32 v16, v8 :: v_dual_cndmask_b32 v11, v1, v10
	v_xor_b32_e32 v10, 0x80000000, v7
	v_cndmask_b32_e64 v13, v3, v12, s2
	v_xor_b32_e32 v12, 0x80000000, v9
	s_delay_alu instid0(VALU_DEP_3) | instskip(SKIP_2) | instid1(VALU_DEP_2)
	v_cndmask_b32_e64 v15, v7, v10, s3
	v_cmp_gt_f64_e64 s3, 0, v[8:9]
	v_cndmask_b32_e32 v10, v0, v0, vcc_lo
	v_cndmask_b32_e64 v17, v9, v12, s3
	v_cndmask_b32_e64 v12, v2, v2, s2
	s_delay_alu instid0(VALU_DEP_2) | instskip(NEXT) | instid1(VALU_DEP_2)
	v_add_f64 v[14:15], v[14:15], v[16:17]
	v_add_f64 v[10:11], v[10:11], v[12:13]
	s_delay_alu instid0(VALU_DEP_1)
	v_cmp_lt_f64_e32 vcc_lo, v[10:11], v[14:15]
	v_cndmask_b32_e32 v3, v3, v9, vcc_lo
	v_dual_cndmask_b32 v1, v1, v7 :: v_dual_cndmask_b32 v0, v0, v6
	v_cndmask_b32_e32 v2, v2, v8, vcc_lo
	v_cndmask_b32_e64 v4, v4, s6, vcc_lo
	s_add_i32 s6, s6, 1
	s_delay_alu instid0(SALU_CYCLE_1)
	s_cmp_lg_u32 s5, s6
	s_cbranch_scc1 .LBB126_577
.LBB126_578:
	s_set_inst_prefetch_distance 0x2
	s_waitcnt lgkmcnt(0)
	v_cmp_eq_f64_e32 vcc_lo, 0, v[0:1]
	v_cmp_eq_f64_e64 s2, 0, v[2:3]
	s_delay_alu instid0(VALU_DEP_1) | instskip(NEXT) | instid1(SALU_CYCLE_1)
	s_and_b32 s2, vcc_lo, s2
	s_and_saveexec_b32 s3, s2
	s_delay_alu instid0(SALU_CYCLE_1)
	s_xor_b32 s2, exec_lo, s3
; %bb.579:
	v_cmp_ne_u32_e32 vcc_lo, 0, v37
	v_cndmask_b32_e32 v37, 24, v37, vcc_lo
; %bb.580:
	s_and_not1_saveexec_b32 s3, s2
	s_cbranch_execz .LBB126_586
; %bb.581:
	v_cmp_gt_f64_e32 vcc_lo, 0, v[0:1]
	v_cmp_gt_f64_e64 s2, 0, v[2:3]
	v_xor_b32_e32 v5, 0x80000000, v1
	v_xor_b32_e32 v7, 0x80000000, v3
	s_delay_alu instid0(VALU_DEP_2) | instskip(NEXT) | instid1(VALU_DEP_2)
	v_dual_cndmask_b32 v6, v1, v5 :: v_dual_cndmask_b32 v5, v0, v0
	v_cndmask_b32_e64 v8, v3, v7, s2
	v_cndmask_b32_e64 v7, v2, v2, s2
	s_mov_b32 s2, exec_lo
	s_delay_alu instid0(VALU_DEP_1)
	v_cmpx_ngt_f64_e32 v[5:6], v[7:8]
	s_xor_b32 s2, exec_lo, s2
	s_cbranch_execz .LBB126_583
; %bb.582:
	v_div_scale_f64 v[5:6], null, v[2:3], v[2:3], v[0:1]
	v_div_scale_f64 v[11:12], vcc_lo, v[0:1], v[2:3], v[0:1]
	s_delay_alu instid0(VALU_DEP_2) | instskip(SKIP_2) | instid1(VALU_DEP_1)
	v_rcp_f64_e32 v[7:8], v[5:6]
	s_waitcnt_depctr 0xfff
	v_fma_f64 v[9:10], -v[5:6], v[7:8], 1.0
	v_fma_f64 v[7:8], v[7:8], v[9:10], v[7:8]
	s_delay_alu instid0(VALU_DEP_1) | instskip(NEXT) | instid1(VALU_DEP_1)
	v_fma_f64 v[9:10], -v[5:6], v[7:8], 1.0
	v_fma_f64 v[7:8], v[7:8], v[9:10], v[7:8]
	s_delay_alu instid0(VALU_DEP_1) | instskip(NEXT) | instid1(VALU_DEP_1)
	v_mul_f64 v[9:10], v[11:12], v[7:8]
	v_fma_f64 v[5:6], -v[5:6], v[9:10], v[11:12]
	s_delay_alu instid0(VALU_DEP_1) | instskip(NEXT) | instid1(VALU_DEP_1)
	v_div_fmas_f64 v[5:6], v[5:6], v[7:8], v[9:10]
	v_div_fixup_f64 v[5:6], v[5:6], v[2:3], v[0:1]
	s_delay_alu instid0(VALU_DEP_1) | instskip(NEXT) | instid1(VALU_DEP_1)
	v_fma_f64 v[0:1], v[0:1], v[5:6], v[2:3]
	v_div_scale_f64 v[2:3], null, v[0:1], v[0:1], 1.0
	s_delay_alu instid0(VALU_DEP_1) | instskip(SKIP_2) | instid1(VALU_DEP_1)
	v_rcp_f64_e32 v[7:8], v[2:3]
	s_waitcnt_depctr 0xfff
	v_fma_f64 v[9:10], -v[2:3], v[7:8], 1.0
	v_fma_f64 v[7:8], v[7:8], v[9:10], v[7:8]
	s_delay_alu instid0(VALU_DEP_1) | instskip(NEXT) | instid1(VALU_DEP_1)
	v_fma_f64 v[9:10], -v[2:3], v[7:8], 1.0
	v_fma_f64 v[7:8], v[7:8], v[9:10], v[7:8]
	v_div_scale_f64 v[9:10], vcc_lo, 1.0, v[0:1], 1.0
	s_delay_alu instid0(VALU_DEP_1) | instskip(NEXT) | instid1(VALU_DEP_1)
	v_mul_f64 v[11:12], v[9:10], v[7:8]
	v_fma_f64 v[2:3], -v[2:3], v[11:12], v[9:10]
	s_delay_alu instid0(VALU_DEP_1) | instskip(NEXT) | instid1(VALU_DEP_1)
	v_div_fmas_f64 v[2:3], v[2:3], v[7:8], v[11:12]
	v_div_fixup_f64 v[2:3], v[2:3], v[0:1], 1.0
	s_delay_alu instid0(VALU_DEP_1)
	v_mul_f64 v[0:1], v[5:6], v[2:3]
	v_xor_b32_e32 v3, 0x80000000, v3
.LBB126_583:
	s_and_not1_saveexec_b32 s2, s2
	s_cbranch_execz .LBB126_585
; %bb.584:
	s_delay_alu instid0(VALU_DEP_1) | instskip(SKIP_1) | instid1(VALU_DEP_2)
	v_div_scale_f64 v[5:6], null, v[0:1], v[0:1], v[2:3]
	v_div_scale_f64 v[11:12], vcc_lo, v[2:3], v[0:1], v[2:3]
	v_rcp_f64_e32 v[7:8], v[5:6]
	s_waitcnt_depctr 0xfff
	v_fma_f64 v[9:10], -v[5:6], v[7:8], 1.0
	s_delay_alu instid0(VALU_DEP_1) | instskip(NEXT) | instid1(VALU_DEP_1)
	v_fma_f64 v[7:8], v[7:8], v[9:10], v[7:8]
	v_fma_f64 v[9:10], -v[5:6], v[7:8], 1.0
	s_delay_alu instid0(VALU_DEP_1) | instskip(NEXT) | instid1(VALU_DEP_1)
	v_fma_f64 v[7:8], v[7:8], v[9:10], v[7:8]
	v_mul_f64 v[9:10], v[11:12], v[7:8]
	s_delay_alu instid0(VALU_DEP_1) | instskip(NEXT) | instid1(VALU_DEP_1)
	v_fma_f64 v[5:6], -v[5:6], v[9:10], v[11:12]
	v_div_fmas_f64 v[5:6], v[5:6], v[7:8], v[9:10]
	s_delay_alu instid0(VALU_DEP_1) | instskip(NEXT) | instid1(VALU_DEP_1)
	v_div_fixup_f64 v[5:6], v[5:6], v[0:1], v[2:3]
	v_fma_f64 v[0:1], v[2:3], v[5:6], v[0:1]
	s_delay_alu instid0(VALU_DEP_1) | instskip(NEXT) | instid1(VALU_DEP_1)
	v_div_scale_f64 v[2:3], null, v[0:1], v[0:1], 1.0
	v_rcp_f64_e32 v[7:8], v[2:3]
	s_waitcnt_depctr 0xfff
	v_fma_f64 v[9:10], -v[2:3], v[7:8], 1.0
	s_delay_alu instid0(VALU_DEP_1) | instskip(NEXT) | instid1(VALU_DEP_1)
	v_fma_f64 v[7:8], v[7:8], v[9:10], v[7:8]
	v_fma_f64 v[9:10], -v[2:3], v[7:8], 1.0
	s_delay_alu instid0(VALU_DEP_1) | instskip(SKIP_1) | instid1(VALU_DEP_1)
	v_fma_f64 v[7:8], v[7:8], v[9:10], v[7:8]
	v_div_scale_f64 v[9:10], vcc_lo, 1.0, v[0:1], 1.0
	v_mul_f64 v[11:12], v[9:10], v[7:8]
	s_delay_alu instid0(VALU_DEP_1) | instskip(NEXT) | instid1(VALU_DEP_1)
	v_fma_f64 v[2:3], -v[2:3], v[11:12], v[9:10]
	v_div_fmas_f64 v[2:3], v[2:3], v[7:8], v[11:12]
	s_delay_alu instid0(VALU_DEP_1) | instskip(NEXT) | instid1(VALU_DEP_1)
	v_div_fixup_f64 v[0:1], v[2:3], v[0:1], 1.0
	v_mul_f64 v[2:3], v[5:6], -v[0:1]
.LBB126_585:
	s_or_b32 exec_lo, exec_lo, s2
.LBB126_586:
	s_delay_alu instid0(SALU_CYCLE_1) | instskip(NEXT) | instid1(SALU_CYCLE_1)
	s_or_b32 exec_lo, exec_lo, s3
	s_mov_b32 s2, exec_lo
	v_cmpx_ne_u32_e64 v41, v4
	s_xor_b32 s2, exec_lo, s2
	s_cbranch_execz .LBB126_592
; %bb.587:
	s_mov_b32 s3, exec_lo
	v_cmpx_eq_u32_e32 23, v41
	s_cbranch_execz .LBB126_591
; %bb.588:
	v_cmp_ne_u32_e32 vcc_lo, 23, v4
	s_xor_b32 s6, s4, -1
	s_delay_alu instid0(SALU_CYCLE_1) | instskip(NEXT) | instid1(SALU_CYCLE_1)
	s_and_b32 s7, s6, vcc_lo
	s_and_saveexec_b32 s6, s7
	s_cbranch_execz .LBB126_590
; %bb.589:
	v_ashrrev_i32_e32 v5, 31, v4
	s_delay_alu instid0(VALU_DEP_1) | instskip(NEXT) | instid1(VALU_DEP_1)
	v_lshlrev_b64 v[5:6], 2, v[4:5]
	v_add_co_u32 v5, vcc_lo, v250, v5
	s_delay_alu instid0(VALU_DEP_2)
	v_add_co_ci_u32_e32 v6, vcc_lo, v251, v6, vcc_lo
	s_clause 0x1
	flat_load_b32 v7, v[5:6]
	flat_load_b32 v8, v[250:251] offset:92
	s_waitcnt vmcnt(1) lgkmcnt(1)
	flat_store_b32 v[250:251], v7 offset:92
	s_waitcnt vmcnt(0) lgkmcnt(1)
	flat_store_b32 v[5:6], v8
.LBB126_590:
	s_or_b32 exec_lo, exec_lo, s6
	v_mov_b32_e32 v41, v4
	v_mov_b32_e32 v39, v4
.LBB126_591:
	s_or_b32 exec_lo, exec_lo, s3
.LBB126_592:
	s_and_not1_saveexec_b32 s2, s2
	s_cbranch_execz .LBB126_596
; %bb.593:
	v_add3_u32 v4, v38, 0, 0x180
	v_mov_b32_e32 v5, 0
	s_mov_b32 s3, 0
.LBB126_594:                            ; =>This Inner Loop Header: Depth=1
	s_delay_alu instid0(VALU_DEP_1) | instskip(NEXT) | instid1(VALU_DEP_3)
	v_readfirstlane_b32 s6, v5
	v_add_nc_u32_e32 v18, s3, v4
	s_delay_alu instid0(VALU_DEP_2)
	s_add_i32 s6, s6, s3
	s_addk_i32 s3, 0xa0
	s_add_i32 s7, s6, 0x180
	s_add_i32 s9, s6, 0x190
	;; [unrolled: 1-line block ×9, first 2 shown]
	s_addk_i32 s6, 0x210
	s_clause 0x9
	scratch_load_b128 v[6:9], off, s7
	scratch_load_b128 v[10:13], off, s9
	scratch_load_b128 v[14:17], off, s12
	scratch_load_b128 v[41:44], off, s14
	scratch_load_b128 v[49:52], off, s15
	scratch_load_b128 v[53:56], off, s16
	scratch_load_b128 v[65:68], off, s17
	scratch_load_b128 v[69:72], off, s18
	scratch_load_b128 v[81:84], off, s19
	scratch_load_b128 v[85:88], off, s6
	s_cmpk_eq_i32 s3, 0x280
	s_waitcnt vmcnt(9)
	ds_store_2addr_b64 v18, v[6:7], v[8:9] offset1:1
	s_waitcnt vmcnt(8)
	ds_store_2addr_b64 v18, v[10:11], v[12:13] offset0:2 offset1:3
	s_waitcnt vmcnt(7)
	ds_store_2addr_b64 v18, v[14:15], v[16:17] offset0:4 offset1:5
	;; [unrolled: 2-line block ×9, first 2 shown]
	s_cbranch_scc0 .LBB126_594
; %bb.595:
	v_mov_b32_e32 v41, 23
.LBB126_596:
	s_or_b32 exec_lo, exec_lo, s2
	s_delay_alu instid0(SALU_CYCLE_1)
	s_mov_b32 s2, exec_lo
	s_waitcnt lgkmcnt(0)
	s_waitcnt_vscnt null, 0x0
	s_barrier
	buffer_gl0_inv
	v_cmpx_lt_i32_e32 23, v41
	s_cbranch_execz .LBB126_599
; %bb.597:
	scratch_load_b128 v[4:7], off, off offset:368
	s_mov_b32 s3, 0
	s_waitcnt vmcnt(0)
	v_mul_f64 v[8:9], v[2:3], v[6:7]
	v_mul_f64 v[6:7], v[0:1], v[6:7]
	s_delay_alu instid0(VALU_DEP_2) | instskip(NEXT) | instid1(VALU_DEP_2)
	v_fma_f64 v[0:1], v[0:1], v[4:5], -v[8:9]
	v_fma_f64 v[2:3], v[2:3], v[4:5], v[6:7]
	v_add3_u32 v4, v38, 0, 0x180
	v_mov_b32_e32 v5, 0
	scratch_store_b128 off, v[0:3], off offset:368
.LBB126_598:                            ; =>This Inner Loop Header: Depth=1
	v_readfirstlane_b32 s6, v5
	v_add_nc_u32_e32 v18, s3, v4
	s_delay_alu instid0(VALU_DEP_2)
	s_add_i32 s6, s6, s3
	s_addk_i32 s3, 0x50
	s_add_i32 s7, s6, 0x180
	s_add_i32 s9, s6, 0x190
	;; [unrolled: 1-line block ×4, first 2 shown]
	s_addk_i32 s6, 0x1c0
	s_clause 0x4
	scratch_load_b128 v[6:9], off, s7
	scratch_load_b128 v[10:13], off, s9
	;; [unrolled: 1-line block ×5, first 2 shown]
	ds_load_2addr_b64 v[53:56], v18 offset1:1
	ds_load_2addr_b64 v[65:68], v18 offset0:2 offset1:3
	ds_load_2addr_b64 v[69:72], v18 offset0:4 offset1:5
	;; [unrolled: 1-line block ×4, first 2 shown]
	s_cmpk_lg_i32 s3, 0x280
	s_waitcnt lgkmcnt(4)
	v_mul_f64 v[18:19], v[55:56], v[2:3]
	v_mul_f64 v[46:47], v[53:54], v[2:3]
	s_waitcnt lgkmcnt(3)
	v_mul_f64 v[57:58], v[67:68], v[2:3]
	v_mul_f64 v[61:62], v[65:66], v[2:3]
	;; [unrolled: 3-line block ×5, first 2 shown]
	v_fma_f64 v[18:19], v[53:54], v[0:1], -v[18:19]
	v_fma_f64 v[46:47], v[55:56], v[0:1], v[46:47]
	v_fma_f64 v[53:54], v[65:66], v[0:1], -v[57:58]
	v_fma_f64 v[55:56], v[67:68], v[0:1], v[61:62]
	;; [unrolled: 2-line block ×5, first 2 shown]
	s_waitcnt vmcnt(4)
	v_add_f64 v[6:7], v[6:7], -v[18:19]
	v_add_f64 v[8:9], v[8:9], -v[46:47]
	s_waitcnt vmcnt(3)
	v_add_f64 v[10:11], v[10:11], -v[53:54]
	v_add_f64 v[12:13], v[12:13], -v[55:56]
	;; [unrolled: 3-line block ×5, first 2 shown]
	s_clause 0x4
	scratch_store_b128 off, v[6:9], s7
	scratch_store_b128 off, v[10:13], s9
	;; [unrolled: 1-line block ×5, first 2 shown]
	s_cbranch_scc1 .LBB126_598
.LBB126_599:
	s_or_b32 exec_lo, exec_lo, s2
	s_waitcnt_vscnt null, 0x0
	s_barrier
	buffer_gl0_inv
	scratch_load_b128 v[0:3], v113, off
	v_lshl_add_u32 v4, v41, 4, v36
	s_cmp_lt_i32 s5, 26
	s_waitcnt vmcnt(0)
	ds_store_2addr_b64 v4, v[0:1], v[2:3] offset1:1
	s_waitcnt lgkmcnt(0)
	s_barrier
	buffer_gl0_inv
	ds_load_2addr_b64 v[0:3], v36 offset0:48 offset1:49
	v_mov_b32_e32 v4, 24
	s_cbranch_scc1 .LBB126_602
; %bb.600:
	v_add3_u32 v5, v38, 0, 0x190
	v_mov_b32_e32 v4, 24
	s_mov_b32 s6, 25
	s_set_inst_prefetch_distance 0x1
	.p2align	6
.LBB126_601:                            ; =>This Inner Loop Header: Depth=1
	ds_load_2addr_b64 v[6:9], v5 offset1:1
	s_waitcnt lgkmcnt(1)
	v_cmp_gt_f64_e32 vcc_lo, 0, v[0:1]
	v_xor_b32_e32 v10, 0x80000000, v1
	v_cmp_gt_f64_e64 s2, 0, v[2:3]
	v_xor_b32_e32 v12, 0x80000000, v3
	v_add_nc_u32_e32 v5, 16, v5
	s_waitcnt lgkmcnt(0)
	v_cmp_gt_f64_e64 s3, 0, v[6:7]
	v_mov_b32_e32 v14, v6
	v_dual_mov_b32 v16, v8 :: v_dual_cndmask_b32 v11, v1, v10
	v_xor_b32_e32 v10, 0x80000000, v7
	v_cndmask_b32_e64 v13, v3, v12, s2
	v_xor_b32_e32 v12, 0x80000000, v9
	s_delay_alu instid0(VALU_DEP_3) | instskip(SKIP_2) | instid1(VALU_DEP_2)
	v_cndmask_b32_e64 v15, v7, v10, s3
	v_cmp_gt_f64_e64 s3, 0, v[8:9]
	v_cndmask_b32_e32 v10, v0, v0, vcc_lo
	v_cndmask_b32_e64 v17, v9, v12, s3
	v_cndmask_b32_e64 v12, v2, v2, s2
	s_delay_alu instid0(VALU_DEP_2) | instskip(NEXT) | instid1(VALU_DEP_2)
	v_add_f64 v[14:15], v[14:15], v[16:17]
	v_add_f64 v[10:11], v[10:11], v[12:13]
	s_delay_alu instid0(VALU_DEP_1)
	v_cmp_lt_f64_e32 vcc_lo, v[10:11], v[14:15]
	v_cndmask_b32_e32 v3, v3, v9, vcc_lo
	v_dual_cndmask_b32 v1, v1, v7 :: v_dual_cndmask_b32 v0, v0, v6
	v_cndmask_b32_e32 v2, v2, v8, vcc_lo
	v_cndmask_b32_e64 v4, v4, s6, vcc_lo
	s_add_i32 s6, s6, 1
	s_delay_alu instid0(SALU_CYCLE_1)
	s_cmp_lg_u32 s5, s6
	s_cbranch_scc1 .LBB126_601
.LBB126_602:
	s_set_inst_prefetch_distance 0x2
	s_waitcnt lgkmcnt(0)
	v_cmp_eq_f64_e32 vcc_lo, 0, v[0:1]
	v_cmp_eq_f64_e64 s2, 0, v[2:3]
	s_delay_alu instid0(VALU_DEP_1) | instskip(NEXT) | instid1(SALU_CYCLE_1)
	s_and_b32 s2, vcc_lo, s2
	s_and_saveexec_b32 s3, s2
	s_delay_alu instid0(SALU_CYCLE_1)
	s_xor_b32 s2, exec_lo, s3
; %bb.603:
	v_cmp_ne_u32_e32 vcc_lo, 0, v37
	v_cndmask_b32_e32 v37, 25, v37, vcc_lo
; %bb.604:
	s_and_not1_saveexec_b32 s3, s2
	s_cbranch_execz .LBB126_610
; %bb.605:
	v_cmp_gt_f64_e32 vcc_lo, 0, v[0:1]
	v_cmp_gt_f64_e64 s2, 0, v[2:3]
	v_xor_b32_e32 v5, 0x80000000, v1
	v_xor_b32_e32 v7, 0x80000000, v3
	s_delay_alu instid0(VALU_DEP_2) | instskip(NEXT) | instid1(VALU_DEP_2)
	v_dual_cndmask_b32 v6, v1, v5 :: v_dual_cndmask_b32 v5, v0, v0
	v_cndmask_b32_e64 v8, v3, v7, s2
	v_cndmask_b32_e64 v7, v2, v2, s2
	s_mov_b32 s2, exec_lo
	s_delay_alu instid0(VALU_DEP_1)
	v_cmpx_ngt_f64_e32 v[5:6], v[7:8]
	s_xor_b32 s2, exec_lo, s2
	s_cbranch_execz .LBB126_607
; %bb.606:
	v_div_scale_f64 v[5:6], null, v[2:3], v[2:3], v[0:1]
	v_div_scale_f64 v[11:12], vcc_lo, v[0:1], v[2:3], v[0:1]
	s_delay_alu instid0(VALU_DEP_2) | instskip(SKIP_2) | instid1(VALU_DEP_1)
	v_rcp_f64_e32 v[7:8], v[5:6]
	s_waitcnt_depctr 0xfff
	v_fma_f64 v[9:10], -v[5:6], v[7:8], 1.0
	v_fma_f64 v[7:8], v[7:8], v[9:10], v[7:8]
	s_delay_alu instid0(VALU_DEP_1) | instskip(NEXT) | instid1(VALU_DEP_1)
	v_fma_f64 v[9:10], -v[5:6], v[7:8], 1.0
	v_fma_f64 v[7:8], v[7:8], v[9:10], v[7:8]
	s_delay_alu instid0(VALU_DEP_1) | instskip(NEXT) | instid1(VALU_DEP_1)
	v_mul_f64 v[9:10], v[11:12], v[7:8]
	v_fma_f64 v[5:6], -v[5:6], v[9:10], v[11:12]
	s_delay_alu instid0(VALU_DEP_1) | instskip(NEXT) | instid1(VALU_DEP_1)
	v_div_fmas_f64 v[5:6], v[5:6], v[7:8], v[9:10]
	v_div_fixup_f64 v[5:6], v[5:6], v[2:3], v[0:1]
	s_delay_alu instid0(VALU_DEP_1) | instskip(NEXT) | instid1(VALU_DEP_1)
	v_fma_f64 v[0:1], v[0:1], v[5:6], v[2:3]
	v_div_scale_f64 v[2:3], null, v[0:1], v[0:1], 1.0
	s_delay_alu instid0(VALU_DEP_1) | instskip(SKIP_2) | instid1(VALU_DEP_1)
	v_rcp_f64_e32 v[7:8], v[2:3]
	s_waitcnt_depctr 0xfff
	v_fma_f64 v[9:10], -v[2:3], v[7:8], 1.0
	v_fma_f64 v[7:8], v[7:8], v[9:10], v[7:8]
	s_delay_alu instid0(VALU_DEP_1) | instskip(NEXT) | instid1(VALU_DEP_1)
	v_fma_f64 v[9:10], -v[2:3], v[7:8], 1.0
	v_fma_f64 v[7:8], v[7:8], v[9:10], v[7:8]
	v_div_scale_f64 v[9:10], vcc_lo, 1.0, v[0:1], 1.0
	s_delay_alu instid0(VALU_DEP_1) | instskip(NEXT) | instid1(VALU_DEP_1)
	v_mul_f64 v[11:12], v[9:10], v[7:8]
	v_fma_f64 v[2:3], -v[2:3], v[11:12], v[9:10]
	s_delay_alu instid0(VALU_DEP_1) | instskip(NEXT) | instid1(VALU_DEP_1)
	v_div_fmas_f64 v[2:3], v[2:3], v[7:8], v[11:12]
	v_div_fixup_f64 v[2:3], v[2:3], v[0:1], 1.0
	s_delay_alu instid0(VALU_DEP_1)
	v_mul_f64 v[0:1], v[5:6], v[2:3]
	v_xor_b32_e32 v3, 0x80000000, v3
.LBB126_607:
	s_and_not1_saveexec_b32 s2, s2
	s_cbranch_execz .LBB126_609
; %bb.608:
	s_delay_alu instid0(VALU_DEP_1) | instskip(SKIP_1) | instid1(VALU_DEP_2)
	v_div_scale_f64 v[5:6], null, v[0:1], v[0:1], v[2:3]
	v_div_scale_f64 v[11:12], vcc_lo, v[2:3], v[0:1], v[2:3]
	v_rcp_f64_e32 v[7:8], v[5:6]
	s_waitcnt_depctr 0xfff
	v_fma_f64 v[9:10], -v[5:6], v[7:8], 1.0
	s_delay_alu instid0(VALU_DEP_1) | instskip(NEXT) | instid1(VALU_DEP_1)
	v_fma_f64 v[7:8], v[7:8], v[9:10], v[7:8]
	v_fma_f64 v[9:10], -v[5:6], v[7:8], 1.0
	s_delay_alu instid0(VALU_DEP_1) | instskip(NEXT) | instid1(VALU_DEP_1)
	v_fma_f64 v[7:8], v[7:8], v[9:10], v[7:8]
	v_mul_f64 v[9:10], v[11:12], v[7:8]
	s_delay_alu instid0(VALU_DEP_1) | instskip(NEXT) | instid1(VALU_DEP_1)
	v_fma_f64 v[5:6], -v[5:6], v[9:10], v[11:12]
	v_div_fmas_f64 v[5:6], v[5:6], v[7:8], v[9:10]
	s_delay_alu instid0(VALU_DEP_1) | instskip(NEXT) | instid1(VALU_DEP_1)
	v_div_fixup_f64 v[5:6], v[5:6], v[0:1], v[2:3]
	v_fma_f64 v[0:1], v[2:3], v[5:6], v[0:1]
	s_delay_alu instid0(VALU_DEP_1) | instskip(NEXT) | instid1(VALU_DEP_1)
	v_div_scale_f64 v[2:3], null, v[0:1], v[0:1], 1.0
	v_rcp_f64_e32 v[7:8], v[2:3]
	s_waitcnt_depctr 0xfff
	v_fma_f64 v[9:10], -v[2:3], v[7:8], 1.0
	s_delay_alu instid0(VALU_DEP_1) | instskip(NEXT) | instid1(VALU_DEP_1)
	v_fma_f64 v[7:8], v[7:8], v[9:10], v[7:8]
	v_fma_f64 v[9:10], -v[2:3], v[7:8], 1.0
	s_delay_alu instid0(VALU_DEP_1) | instskip(SKIP_1) | instid1(VALU_DEP_1)
	v_fma_f64 v[7:8], v[7:8], v[9:10], v[7:8]
	v_div_scale_f64 v[9:10], vcc_lo, 1.0, v[0:1], 1.0
	v_mul_f64 v[11:12], v[9:10], v[7:8]
	s_delay_alu instid0(VALU_DEP_1) | instskip(NEXT) | instid1(VALU_DEP_1)
	v_fma_f64 v[2:3], -v[2:3], v[11:12], v[9:10]
	v_div_fmas_f64 v[2:3], v[2:3], v[7:8], v[11:12]
	s_delay_alu instid0(VALU_DEP_1) | instskip(NEXT) | instid1(VALU_DEP_1)
	v_div_fixup_f64 v[0:1], v[2:3], v[0:1], 1.0
	v_mul_f64 v[2:3], v[5:6], -v[0:1]
.LBB126_609:
	s_or_b32 exec_lo, exec_lo, s2
.LBB126_610:
	s_delay_alu instid0(SALU_CYCLE_1) | instskip(NEXT) | instid1(SALU_CYCLE_1)
	s_or_b32 exec_lo, exec_lo, s3
	s_mov_b32 s2, exec_lo
	v_cmpx_ne_u32_e64 v41, v4
	s_xor_b32 s2, exec_lo, s2
	s_cbranch_execz .LBB126_616
; %bb.611:
	s_mov_b32 s3, exec_lo
	v_cmpx_eq_u32_e32 24, v41
	s_cbranch_execz .LBB126_615
; %bb.612:
	v_cmp_ne_u32_e32 vcc_lo, 24, v4
	s_xor_b32 s6, s4, -1
	s_delay_alu instid0(SALU_CYCLE_1) | instskip(NEXT) | instid1(SALU_CYCLE_1)
	s_and_b32 s7, s6, vcc_lo
	s_and_saveexec_b32 s6, s7
	s_cbranch_execz .LBB126_614
; %bb.613:
	v_ashrrev_i32_e32 v5, 31, v4
	s_delay_alu instid0(VALU_DEP_1) | instskip(NEXT) | instid1(VALU_DEP_1)
	v_lshlrev_b64 v[5:6], 2, v[4:5]
	v_add_co_u32 v5, vcc_lo, v250, v5
	s_delay_alu instid0(VALU_DEP_2)
	v_add_co_ci_u32_e32 v6, vcc_lo, v251, v6, vcc_lo
	s_clause 0x1
	flat_load_b32 v7, v[5:6]
	flat_load_b32 v8, v[250:251] offset:96
	s_waitcnt vmcnt(1) lgkmcnt(1)
	flat_store_b32 v[250:251], v7 offset:96
	s_waitcnt vmcnt(0) lgkmcnt(1)
	flat_store_b32 v[5:6], v8
.LBB126_614:
	s_or_b32 exec_lo, exec_lo, s6
	v_mov_b32_e32 v41, v4
	v_mov_b32_e32 v39, v4
.LBB126_615:
	s_or_b32 exec_lo, exec_lo, s3
.LBB126_616:
	s_and_not1_saveexec_b32 s2, s2
	s_cbranch_execz .LBB126_620
; %bb.617:
	v_add3_u32 v4, v38, 0, 0x190
	v_mov_b32_e32 v5, 0
	s_mov_b32 s3, 0
.LBB126_618:                            ; =>This Inner Loop Header: Depth=1
	s_delay_alu instid0(VALU_DEP_1) | instskip(NEXT) | instid1(VALU_DEP_3)
	v_readfirstlane_b32 s6, v5
	v_add_nc_u32_e32 v18, s3, v4
	s_delay_alu instid0(VALU_DEP_2)
	s_add_i32 s6, s6, s3
	s_addk_i32 s3, 0xd0
	s_add_i32 s7, s6, 0x190
	s_add_i32 s9, s6, 0x1a0
	;; [unrolled: 1-line block ×12, first 2 shown]
	s_addk_i32 s6, 0x250
	s_clause 0xc
	scratch_load_b128 v[6:9], off, s7
	scratch_load_b128 v[10:13], off, s9
	;; [unrolled: 1-line block ×13, first 2 shown]
	s_cmpk_eq_i32 s3, 0x270
	s_waitcnt vmcnt(12)
	ds_store_2addr_b64 v18, v[6:7], v[8:9] offset1:1
	s_waitcnt vmcnt(11)
	ds_store_2addr_b64 v18, v[10:11], v[12:13] offset0:2 offset1:3
	s_waitcnt vmcnt(10)
	ds_store_2addr_b64 v18, v[14:15], v[16:17] offset0:4 offset1:5
	s_waitcnt vmcnt(9)
	ds_store_2addr_b64 v18, v[41:42], v[43:44] offset0:6 offset1:7
	s_waitcnt vmcnt(8)
	ds_store_2addr_b64 v18, v[49:50], v[51:52] offset0:8 offset1:9
	s_waitcnt vmcnt(7)
	ds_store_2addr_b64 v18, v[53:54], v[55:56] offset0:10 offset1:11
	s_waitcnt vmcnt(6)
	ds_store_2addr_b64 v18, v[65:66], v[67:68] offset0:12 offset1:13
	s_waitcnt vmcnt(5)
	ds_store_2addr_b64 v18, v[69:70], v[71:72] offset0:14 offset1:15
	s_waitcnt vmcnt(4)
	ds_store_2addr_b64 v18, v[81:82], v[83:84] offset0:16 offset1:17
	s_waitcnt vmcnt(3)
	ds_store_2addr_b64 v18, v[85:86], v[87:88] offset0:18 offset1:19
	s_waitcnt vmcnt(2)
	ds_store_2addr_b64 v18, v[129:130], v[131:132] offset0:20 offset1:21
	s_waitcnt vmcnt(1)
	ds_store_2addr_b64 v18, v[136:137], v[138:139] offset0:22 offset1:23
	s_waitcnt vmcnt(0)
	ds_store_2addr_b64 v18, v[146:147], v[148:149] offset0:24 offset1:25
	s_cbranch_scc0 .LBB126_618
; %bb.619:
	v_mov_b32_e32 v41, 24
.LBB126_620:
	s_or_b32 exec_lo, exec_lo, s2
	s_delay_alu instid0(SALU_CYCLE_1)
	s_mov_b32 s2, exec_lo
	s_waitcnt lgkmcnt(0)
	s_waitcnt_vscnt null, 0x0
	s_barrier
	buffer_gl0_inv
	v_cmpx_lt_i32_e32 24, v41
	s_cbranch_execz .LBB126_623
; %bb.621:
	scratch_load_b128 v[4:7], off, off offset:384
	s_mov_b32 s3, 0
	s_waitcnt vmcnt(0)
	v_mul_f64 v[8:9], v[2:3], v[6:7]
	v_mul_f64 v[6:7], v[0:1], v[6:7]
	s_delay_alu instid0(VALU_DEP_2) | instskip(NEXT) | instid1(VALU_DEP_2)
	v_fma_f64 v[0:1], v[0:1], v[4:5], -v[8:9]
	v_fma_f64 v[2:3], v[2:3], v[4:5], v[6:7]
	v_add3_u32 v4, v38, 0, 0x190
	v_mov_b32_e32 v5, 0
	scratch_store_b128 off, v[0:3], off offset:384
.LBB126_622:                            ; =>This Inner Loop Header: Depth=1
	v_readfirstlane_b32 s6, v5
	v_add_nc_u32_e32 v18, s3, v4
	s_delay_alu instid0(VALU_DEP_2)
	s_add_i32 s6, s6, s3
	s_add_i32 s3, s3, 48
	;; [unrolled: 1-line block ×4, first 2 shown]
	s_addk_i32 s6, 0x1b0
	s_clause 0x2
	scratch_load_b128 v[6:9], off, s7
	scratch_load_b128 v[10:13], off, s9
	;; [unrolled: 1-line block ×3, first 2 shown]
	ds_load_2addr_b64 v[42:45], v18 offset1:1
	ds_load_2addr_b64 v[49:52], v18 offset0:2 offset1:3
	ds_load_2addr_b64 v[53:56], v18 offset0:4 offset1:5
	s_cmpk_lg_i32 s3, 0x270
	s_waitcnt lgkmcnt(2)
	v_mul_f64 v[18:19], v[44:45], v[2:3]
	v_mul_f64 v[46:47], v[42:43], v[2:3]
	s_waitcnt lgkmcnt(1)
	v_mul_f64 v[57:58], v[51:52], v[2:3]
	v_mul_f64 v[61:62], v[49:50], v[2:3]
	;; [unrolled: 3-line block ×3, first 2 shown]
	v_fma_f64 v[18:19], v[42:43], v[0:1], -v[18:19]
	v_fma_f64 v[42:43], v[44:45], v[0:1], v[46:47]
	v_fma_f64 v[44:45], v[49:50], v[0:1], -v[57:58]
	v_fma_f64 v[46:47], v[51:52], v[0:1], v[61:62]
	;; [unrolled: 2-line block ×3, first 2 shown]
	s_waitcnt vmcnt(2)
	v_add_f64 v[6:7], v[6:7], -v[18:19]
	v_add_f64 v[8:9], v[8:9], -v[42:43]
	s_waitcnt vmcnt(1)
	v_add_f64 v[10:11], v[10:11], -v[44:45]
	v_add_f64 v[12:13], v[12:13], -v[46:47]
	;; [unrolled: 3-line block ×3, first 2 shown]
	s_clause 0x2
	scratch_store_b128 off, v[6:9], s7
	scratch_store_b128 off, v[10:13], s9
	scratch_store_b128 off, v[14:17], s6
	s_cbranch_scc1 .LBB126_622
.LBB126_623:
	s_or_b32 exec_lo, exec_lo, s2
	s_waitcnt_vscnt null, 0x0
	s_barrier
	buffer_gl0_inv
	scratch_load_b128 v[0:3], v111, off
	v_lshl_add_u32 v4, v41, 4, v36
	s_cmp_lt_i32 s5, 27
	s_waitcnt vmcnt(0)
	ds_store_2addr_b64 v4, v[0:1], v[2:3] offset1:1
	s_waitcnt lgkmcnt(0)
	s_barrier
	buffer_gl0_inv
	ds_load_2addr_b64 v[0:3], v36 offset0:50 offset1:51
	v_mov_b32_e32 v4, 25
	s_cbranch_scc1 .LBB126_626
; %bb.624:
	v_add3_u32 v5, v38, 0, 0x1a0
	v_mov_b32_e32 v4, 25
	s_mov_b32 s6, 26
	s_set_inst_prefetch_distance 0x1
	.p2align	6
.LBB126_625:                            ; =>This Inner Loop Header: Depth=1
	ds_load_2addr_b64 v[6:9], v5 offset1:1
	s_waitcnt lgkmcnt(1)
	v_cmp_gt_f64_e32 vcc_lo, 0, v[0:1]
	v_xor_b32_e32 v10, 0x80000000, v1
	v_cmp_gt_f64_e64 s2, 0, v[2:3]
	v_xor_b32_e32 v12, 0x80000000, v3
	v_add_nc_u32_e32 v5, 16, v5
	s_waitcnt lgkmcnt(0)
	v_cmp_gt_f64_e64 s3, 0, v[6:7]
	v_mov_b32_e32 v14, v6
	v_dual_mov_b32 v16, v8 :: v_dual_cndmask_b32 v11, v1, v10
	v_xor_b32_e32 v10, 0x80000000, v7
	v_cndmask_b32_e64 v13, v3, v12, s2
	v_xor_b32_e32 v12, 0x80000000, v9
	s_delay_alu instid0(VALU_DEP_3) | instskip(SKIP_2) | instid1(VALU_DEP_2)
	v_cndmask_b32_e64 v15, v7, v10, s3
	v_cmp_gt_f64_e64 s3, 0, v[8:9]
	v_cndmask_b32_e32 v10, v0, v0, vcc_lo
	v_cndmask_b32_e64 v17, v9, v12, s3
	v_cndmask_b32_e64 v12, v2, v2, s2
	s_delay_alu instid0(VALU_DEP_2) | instskip(NEXT) | instid1(VALU_DEP_2)
	v_add_f64 v[14:15], v[14:15], v[16:17]
	v_add_f64 v[10:11], v[10:11], v[12:13]
	s_delay_alu instid0(VALU_DEP_1)
	v_cmp_lt_f64_e32 vcc_lo, v[10:11], v[14:15]
	v_cndmask_b32_e32 v3, v3, v9, vcc_lo
	v_dual_cndmask_b32 v1, v1, v7 :: v_dual_cndmask_b32 v0, v0, v6
	v_cndmask_b32_e32 v2, v2, v8, vcc_lo
	v_cndmask_b32_e64 v4, v4, s6, vcc_lo
	s_add_i32 s6, s6, 1
	s_delay_alu instid0(SALU_CYCLE_1)
	s_cmp_lg_u32 s5, s6
	s_cbranch_scc1 .LBB126_625
.LBB126_626:
	s_set_inst_prefetch_distance 0x2
	s_waitcnt lgkmcnt(0)
	v_cmp_eq_f64_e32 vcc_lo, 0, v[0:1]
	v_cmp_eq_f64_e64 s2, 0, v[2:3]
	s_delay_alu instid0(VALU_DEP_1) | instskip(NEXT) | instid1(SALU_CYCLE_1)
	s_and_b32 s2, vcc_lo, s2
	s_and_saveexec_b32 s3, s2
	s_delay_alu instid0(SALU_CYCLE_1)
	s_xor_b32 s2, exec_lo, s3
; %bb.627:
	v_cmp_ne_u32_e32 vcc_lo, 0, v37
	v_cndmask_b32_e32 v37, 26, v37, vcc_lo
; %bb.628:
	s_and_not1_saveexec_b32 s3, s2
	s_cbranch_execz .LBB126_634
; %bb.629:
	v_cmp_gt_f64_e32 vcc_lo, 0, v[0:1]
	v_cmp_gt_f64_e64 s2, 0, v[2:3]
	v_xor_b32_e32 v5, 0x80000000, v1
	v_xor_b32_e32 v7, 0x80000000, v3
	s_delay_alu instid0(VALU_DEP_2) | instskip(NEXT) | instid1(VALU_DEP_2)
	v_dual_cndmask_b32 v6, v1, v5 :: v_dual_cndmask_b32 v5, v0, v0
	v_cndmask_b32_e64 v8, v3, v7, s2
	v_cndmask_b32_e64 v7, v2, v2, s2
	s_mov_b32 s2, exec_lo
	s_delay_alu instid0(VALU_DEP_1)
	v_cmpx_ngt_f64_e32 v[5:6], v[7:8]
	s_xor_b32 s2, exec_lo, s2
	s_cbranch_execz .LBB126_631
; %bb.630:
	v_div_scale_f64 v[5:6], null, v[2:3], v[2:3], v[0:1]
	v_div_scale_f64 v[11:12], vcc_lo, v[0:1], v[2:3], v[0:1]
	s_delay_alu instid0(VALU_DEP_2) | instskip(SKIP_2) | instid1(VALU_DEP_1)
	v_rcp_f64_e32 v[7:8], v[5:6]
	s_waitcnt_depctr 0xfff
	v_fma_f64 v[9:10], -v[5:6], v[7:8], 1.0
	v_fma_f64 v[7:8], v[7:8], v[9:10], v[7:8]
	s_delay_alu instid0(VALU_DEP_1) | instskip(NEXT) | instid1(VALU_DEP_1)
	v_fma_f64 v[9:10], -v[5:6], v[7:8], 1.0
	v_fma_f64 v[7:8], v[7:8], v[9:10], v[7:8]
	s_delay_alu instid0(VALU_DEP_1) | instskip(NEXT) | instid1(VALU_DEP_1)
	v_mul_f64 v[9:10], v[11:12], v[7:8]
	v_fma_f64 v[5:6], -v[5:6], v[9:10], v[11:12]
	s_delay_alu instid0(VALU_DEP_1) | instskip(NEXT) | instid1(VALU_DEP_1)
	v_div_fmas_f64 v[5:6], v[5:6], v[7:8], v[9:10]
	v_div_fixup_f64 v[5:6], v[5:6], v[2:3], v[0:1]
	s_delay_alu instid0(VALU_DEP_1) | instskip(NEXT) | instid1(VALU_DEP_1)
	v_fma_f64 v[0:1], v[0:1], v[5:6], v[2:3]
	v_div_scale_f64 v[2:3], null, v[0:1], v[0:1], 1.0
	s_delay_alu instid0(VALU_DEP_1) | instskip(SKIP_2) | instid1(VALU_DEP_1)
	v_rcp_f64_e32 v[7:8], v[2:3]
	s_waitcnt_depctr 0xfff
	v_fma_f64 v[9:10], -v[2:3], v[7:8], 1.0
	v_fma_f64 v[7:8], v[7:8], v[9:10], v[7:8]
	s_delay_alu instid0(VALU_DEP_1) | instskip(NEXT) | instid1(VALU_DEP_1)
	v_fma_f64 v[9:10], -v[2:3], v[7:8], 1.0
	v_fma_f64 v[7:8], v[7:8], v[9:10], v[7:8]
	v_div_scale_f64 v[9:10], vcc_lo, 1.0, v[0:1], 1.0
	s_delay_alu instid0(VALU_DEP_1) | instskip(NEXT) | instid1(VALU_DEP_1)
	v_mul_f64 v[11:12], v[9:10], v[7:8]
	v_fma_f64 v[2:3], -v[2:3], v[11:12], v[9:10]
	s_delay_alu instid0(VALU_DEP_1) | instskip(NEXT) | instid1(VALU_DEP_1)
	v_div_fmas_f64 v[2:3], v[2:3], v[7:8], v[11:12]
	v_div_fixup_f64 v[2:3], v[2:3], v[0:1], 1.0
	s_delay_alu instid0(VALU_DEP_1)
	v_mul_f64 v[0:1], v[5:6], v[2:3]
	v_xor_b32_e32 v3, 0x80000000, v3
.LBB126_631:
	s_and_not1_saveexec_b32 s2, s2
	s_cbranch_execz .LBB126_633
; %bb.632:
	s_delay_alu instid0(VALU_DEP_1) | instskip(SKIP_1) | instid1(VALU_DEP_2)
	v_div_scale_f64 v[5:6], null, v[0:1], v[0:1], v[2:3]
	v_div_scale_f64 v[11:12], vcc_lo, v[2:3], v[0:1], v[2:3]
	v_rcp_f64_e32 v[7:8], v[5:6]
	s_waitcnt_depctr 0xfff
	v_fma_f64 v[9:10], -v[5:6], v[7:8], 1.0
	s_delay_alu instid0(VALU_DEP_1) | instskip(NEXT) | instid1(VALU_DEP_1)
	v_fma_f64 v[7:8], v[7:8], v[9:10], v[7:8]
	v_fma_f64 v[9:10], -v[5:6], v[7:8], 1.0
	s_delay_alu instid0(VALU_DEP_1) | instskip(NEXT) | instid1(VALU_DEP_1)
	v_fma_f64 v[7:8], v[7:8], v[9:10], v[7:8]
	v_mul_f64 v[9:10], v[11:12], v[7:8]
	s_delay_alu instid0(VALU_DEP_1) | instskip(NEXT) | instid1(VALU_DEP_1)
	v_fma_f64 v[5:6], -v[5:6], v[9:10], v[11:12]
	v_div_fmas_f64 v[5:6], v[5:6], v[7:8], v[9:10]
	s_delay_alu instid0(VALU_DEP_1) | instskip(NEXT) | instid1(VALU_DEP_1)
	v_div_fixup_f64 v[5:6], v[5:6], v[0:1], v[2:3]
	v_fma_f64 v[0:1], v[2:3], v[5:6], v[0:1]
	s_delay_alu instid0(VALU_DEP_1) | instskip(NEXT) | instid1(VALU_DEP_1)
	v_div_scale_f64 v[2:3], null, v[0:1], v[0:1], 1.0
	v_rcp_f64_e32 v[7:8], v[2:3]
	s_waitcnt_depctr 0xfff
	v_fma_f64 v[9:10], -v[2:3], v[7:8], 1.0
	s_delay_alu instid0(VALU_DEP_1) | instskip(NEXT) | instid1(VALU_DEP_1)
	v_fma_f64 v[7:8], v[7:8], v[9:10], v[7:8]
	v_fma_f64 v[9:10], -v[2:3], v[7:8], 1.0
	s_delay_alu instid0(VALU_DEP_1) | instskip(SKIP_1) | instid1(VALU_DEP_1)
	v_fma_f64 v[7:8], v[7:8], v[9:10], v[7:8]
	v_div_scale_f64 v[9:10], vcc_lo, 1.0, v[0:1], 1.0
	v_mul_f64 v[11:12], v[9:10], v[7:8]
	s_delay_alu instid0(VALU_DEP_1) | instskip(NEXT) | instid1(VALU_DEP_1)
	v_fma_f64 v[2:3], -v[2:3], v[11:12], v[9:10]
	v_div_fmas_f64 v[2:3], v[2:3], v[7:8], v[11:12]
	s_delay_alu instid0(VALU_DEP_1) | instskip(NEXT) | instid1(VALU_DEP_1)
	v_div_fixup_f64 v[0:1], v[2:3], v[0:1], 1.0
	v_mul_f64 v[2:3], v[5:6], -v[0:1]
.LBB126_633:
	s_or_b32 exec_lo, exec_lo, s2
.LBB126_634:
	s_delay_alu instid0(SALU_CYCLE_1) | instskip(NEXT) | instid1(SALU_CYCLE_1)
	s_or_b32 exec_lo, exec_lo, s3
	s_mov_b32 s2, exec_lo
	v_cmpx_ne_u32_e64 v41, v4
	s_xor_b32 s2, exec_lo, s2
	s_cbranch_execz .LBB126_640
; %bb.635:
	s_mov_b32 s3, exec_lo
	v_cmpx_eq_u32_e32 25, v41
	s_cbranch_execz .LBB126_639
; %bb.636:
	v_cmp_ne_u32_e32 vcc_lo, 25, v4
	s_xor_b32 s6, s4, -1
	s_delay_alu instid0(SALU_CYCLE_1) | instskip(NEXT) | instid1(SALU_CYCLE_1)
	s_and_b32 s7, s6, vcc_lo
	s_and_saveexec_b32 s6, s7
	s_cbranch_execz .LBB126_638
; %bb.637:
	v_ashrrev_i32_e32 v5, 31, v4
	s_delay_alu instid0(VALU_DEP_1) | instskip(NEXT) | instid1(VALU_DEP_1)
	v_lshlrev_b64 v[5:6], 2, v[4:5]
	v_add_co_u32 v5, vcc_lo, v250, v5
	s_delay_alu instid0(VALU_DEP_2)
	v_add_co_ci_u32_e32 v6, vcc_lo, v251, v6, vcc_lo
	s_clause 0x1
	flat_load_b32 v7, v[5:6]
	flat_load_b32 v8, v[250:251] offset:100
	s_waitcnt vmcnt(1) lgkmcnt(1)
	flat_store_b32 v[250:251], v7 offset:100
	s_waitcnt vmcnt(0) lgkmcnt(1)
	flat_store_b32 v[5:6], v8
.LBB126_638:
	s_or_b32 exec_lo, exec_lo, s6
	v_mov_b32_e32 v41, v4
	v_mov_b32_e32 v39, v4
.LBB126_639:
	s_or_b32 exec_lo, exec_lo, s3
.LBB126_640:
	s_and_not1_saveexec_b32 s2, s2
	s_cbranch_execz .LBB126_644
; %bb.641:
	v_add3_u32 v4, v38, 0, 0x1a0
	s_mov_b32 s3, 0
	.p2align	6
.LBB126_642:                            ; =>This Inner Loop Header: Depth=1
	s_delay_alu instid0(SALU_CYCLE_1) | instskip(NEXT) | instid1(VALU_DEP_2)
	v_add_nc_u32_e64 v5, s3, 0
	v_add_nc_u32_e32 v13, s3, v4
	s_add_i32 s3, s3, 32
	s_delay_alu instid0(SALU_CYCLE_1) | instskip(NEXT) | instid1(VALU_DEP_2)
	s_cmpk_eq_i32 s3, 0x260
	v_add_nc_u32_e32 v6, 0x1a0, v5
	v_add_nc_u32_e32 v9, 0x1b0, v5
	s_clause 0x1
	scratch_load_b128 v[5:8], v6, off
	scratch_load_b128 v[9:12], v9, off
	s_waitcnt vmcnt(1)
	ds_store_2addr_b64 v13, v[5:6], v[7:8] offset1:1
	s_waitcnt vmcnt(0)
	ds_store_2addr_b64 v13, v[9:10], v[11:12] offset0:2 offset1:3
	s_cbranch_scc0 .LBB126_642
; %bb.643:
	v_mov_b32_e32 v41, 25
.LBB126_644:
	s_or_b32 exec_lo, exec_lo, s2
	s_delay_alu instid0(SALU_CYCLE_1)
	s_mov_b32 s2, exec_lo
	s_waitcnt lgkmcnt(0)
	s_waitcnt_vscnt null, 0x0
	s_barrier
	buffer_gl0_inv
	v_cmpx_lt_i32_e32 25, v41
	s_cbranch_execz .LBB126_647
; %bb.645:
	scratch_load_b128 v[4:7], off, off offset:400
	s_mov_b32 s3, 0
	s_waitcnt vmcnt(0)
	v_mul_f64 v[8:9], v[2:3], v[6:7]
	v_mul_f64 v[6:7], v[0:1], v[6:7]
	s_delay_alu instid0(VALU_DEP_2) | instskip(NEXT) | instid1(VALU_DEP_2)
	v_fma_f64 v[0:1], v[0:1], v[4:5], -v[8:9]
	v_fma_f64 v[2:3], v[2:3], v[4:5], v[6:7]
	v_add3_u32 v4, v38, 0, 0x1a0
	scratch_store_b128 off, v[0:3], off offset:400
	s_set_inst_prefetch_distance 0x1
	.p2align	6
.LBB126_646:                            ; =>This Inner Loop Header: Depth=1
	v_add_nc_u32_e64 v5, s3, 0
	v_add_nc_u32_e32 v17, s3, v4
	s_add_i32 s3, s3, 32
	s_delay_alu instid0(SALU_CYCLE_1) | instskip(NEXT) | instid1(VALU_DEP_2)
	s_cmpk_lg_i32 s3, 0x260
	v_add_nc_u32_e32 v19, 0x1a0, v5
	v_add_nc_u32_e32 v53, 0x1b0, v5
	s_clause 0x1
	scratch_load_b128 v[5:8], v19, off
	scratch_load_b128 v[9:12], v53, off
	ds_load_2addr_b64 v[13:16], v17 offset1:1
	ds_load_2addr_b64 v[42:45], v17 offset0:2 offset1:3
	s_waitcnt lgkmcnt(1)
	v_mul_f64 v[17:18], v[15:16], v[2:3]
	v_mul_f64 v[46:47], v[13:14], v[2:3]
	s_waitcnt lgkmcnt(0)
	v_mul_f64 v[49:50], v[44:45], v[2:3]
	v_mul_f64 v[51:52], v[42:43], v[2:3]
	s_delay_alu instid0(VALU_DEP_4) | instskip(NEXT) | instid1(VALU_DEP_4)
	v_fma_f64 v[13:14], v[13:14], v[0:1], -v[17:18]
	v_fma_f64 v[15:16], v[15:16], v[0:1], v[46:47]
	s_delay_alu instid0(VALU_DEP_4) | instskip(NEXT) | instid1(VALU_DEP_4)
	v_fma_f64 v[17:18], v[42:43], v[0:1], -v[49:50]
	v_fma_f64 v[42:43], v[44:45], v[0:1], v[51:52]
	s_waitcnt vmcnt(1)
	s_delay_alu instid0(VALU_DEP_4) | instskip(NEXT) | instid1(VALU_DEP_4)
	v_add_f64 v[5:6], v[5:6], -v[13:14]
	v_add_f64 v[7:8], v[7:8], -v[15:16]
	s_waitcnt vmcnt(0)
	s_delay_alu instid0(VALU_DEP_4) | instskip(NEXT) | instid1(VALU_DEP_4)
	v_add_f64 v[9:10], v[9:10], -v[17:18]
	v_add_f64 v[11:12], v[11:12], -v[42:43]
	s_clause 0x1
	scratch_store_b128 v19, v[5:8], off
	scratch_store_b128 v53, v[9:12], off
	s_cbranch_scc1 .LBB126_646
.LBB126_647:
	s_set_inst_prefetch_distance 0x2
	s_or_b32 exec_lo, exec_lo, s2
	s_waitcnt_vscnt null, 0x0
	s_barrier
	buffer_gl0_inv
	scratch_load_b128 v[0:3], v110, off
	v_lshl_add_u32 v4, v41, 4, v36
	s_cmp_lt_i32 s5, 28
	s_waitcnt vmcnt(0)
	ds_store_2addr_b64 v4, v[0:1], v[2:3] offset1:1
	s_waitcnt lgkmcnt(0)
	s_barrier
	buffer_gl0_inv
	ds_load_2addr_b64 v[0:3], v36 offset0:52 offset1:53
	v_mov_b32_e32 v4, 26
	s_cbranch_scc1 .LBB126_650
; %bb.648:
	v_add3_u32 v5, v38, 0, 0x1b0
	v_mov_b32_e32 v4, 26
	s_mov_b32 s6, 27
	s_set_inst_prefetch_distance 0x1
	.p2align	6
.LBB126_649:                            ; =>This Inner Loop Header: Depth=1
	ds_load_2addr_b64 v[6:9], v5 offset1:1
	s_waitcnt lgkmcnt(1)
	v_cmp_gt_f64_e32 vcc_lo, 0, v[0:1]
	v_xor_b32_e32 v10, 0x80000000, v1
	v_cmp_gt_f64_e64 s2, 0, v[2:3]
	v_xor_b32_e32 v12, 0x80000000, v3
	v_add_nc_u32_e32 v5, 16, v5
	s_waitcnt lgkmcnt(0)
	v_cmp_gt_f64_e64 s3, 0, v[6:7]
	v_mov_b32_e32 v14, v6
	v_dual_mov_b32 v16, v8 :: v_dual_cndmask_b32 v11, v1, v10
	v_xor_b32_e32 v10, 0x80000000, v7
	v_cndmask_b32_e64 v13, v3, v12, s2
	v_xor_b32_e32 v12, 0x80000000, v9
	s_delay_alu instid0(VALU_DEP_3) | instskip(SKIP_2) | instid1(VALU_DEP_2)
	v_cndmask_b32_e64 v15, v7, v10, s3
	v_cmp_gt_f64_e64 s3, 0, v[8:9]
	v_cndmask_b32_e32 v10, v0, v0, vcc_lo
	v_cndmask_b32_e64 v17, v9, v12, s3
	v_cndmask_b32_e64 v12, v2, v2, s2
	s_delay_alu instid0(VALU_DEP_2) | instskip(NEXT) | instid1(VALU_DEP_2)
	v_add_f64 v[14:15], v[14:15], v[16:17]
	v_add_f64 v[10:11], v[10:11], v[12:13]
	s_delay_alu instid0(VALU_DEP_1)
	v_cmp_lt_f64_e32 vcc_lo, v[10:11], v[14:15]
	v_cndmask_b32_e32 v3, v3, v9, vcc_lo
	v_dual_cndmask_b32 v1, v1, v7 :: v_dual_cndmask_b32 v0, v0, v6
	v_cndmask_b32_e32 v2, v2, v8, vcc_lo
	v_cndmask_b32_e64 v4, v4, s6, vcc_lo
	s_add_i32 s6, s6, 1
	s_delay_alu instid0(SALU_CYCLE_1)
	s_cmp_lg_u32 s5, s6
	s_cbranch_scc1 .LBB126_649
.LBB126_650:
	s_set_inst_prefetch_distance 0x2
	s_waitcnt lgkmcnt(0)
	v_cmp_eq_f64_e32 vcc_lo, 0, v[0:1]
	v_cmp_eq_f64_e64 s2, 0, v[2:3]
	s_delay_alu instid0(VALU_DEP_1) | instskip(NEXT) | instid1(SALU_CYCLE_1)
	s_and_b32 s2, vcc_lo, s2
	s_and_saveexec_b32 s3, s2
	s_delay_alu instid0(SALU_CYCLE_1)
	s_xor_b32 s2, exec_lo, s3
; %bb.651:
	v_cmp_ne_u32_e32 vcc_lo, 0, v37
	v_cndmask_b32_e32 v37, 27, v37, vcc_lo
; %bb.652:
	s_and_not1_saveexec_b32 s3, s2
	s_cbranch_execz .LBB126_658
; %bb.653:
	v_cmp_gt_f64_e32 vcc_lo, 0, v[0:1]
	v_cmp_gt_f64_e64 s2, 0, v[2:3]
	v_xor_b32_e32 v5, 0x80000000, v1
	v_xor_b32_e32 v7, 0x80000000, v3
	s_delay_alu instid0(VALU_DEP_2) | instskip(NEXT) | instid1(VALU_DEP_2)
	v_dual_cndmask_b32 v6, v1, v5 :: v_dual_cndmask_b32 v5, v0, v0
	v_cndmask_b32_e64 v8, v3, v7, s2
	v_cndmask_b32_e64 v7, v2, v2, s2
	s_mov_b32 s2, exec_lo
	s_delay_alu instid0(VALU_DEP_1)
	v_cmpx_ngt_f64_e32 v[5:6], v[7:8]
	s_xor_b32 s2, exec_lo, s2
	s_cbranch_execz .LBB126_655
; %bb.654:
	v_div_scale_f64 v[5:6], null, v[2:3], v[2:3], v[0:1]
	v_div_scale_f64 v[11:12], vcc_lo, v[0:1], v[2:3], v[0:1]
	s_delay_alu instid0(VALU_DEP_2) | instskip(SKIP_2) | instid1(VALU_DEP_1)
	v_rcp_f64_e32 v[7:8], v[5:6]
	s_waitcnt_depctr 0xfff
	v_fma_f64 v[9:10], -v[5:6], v[7:8], 1.0
	v_fma_f64 v[7:8], v[7:8], v[9:10], v[7:8]
	s_delay_alu instid0(VALU_DEP_1) | instskip(NEXT) | instid1(VALU_DEP_1)
	v_fma_f64 v[9:10], -v[5:6], v[7:8], 1.0
	v_fma_f64 v[7:8], v[7:8], v[9:10], v[7:8]
	s_delay_alu instid0(VALU_DEP_1) | instskip(NEXT) | instid1(VALU_DEP_1)
	v_mul_f64 v[9:10], v[11:12], v[7:8]
	v_fma_f64 v[5:6], -v[5:6], v[9:10], v[11:12]
	s_delay_alu instid0(VALU_DEP_1) | instskip(NEXT) | instid1(VALU_DEP_1)
	v_div_fmas_f64 v[5:6], v[5:6], v[7:8], v[9:10]
	v_div_fixup_f64 v[5:6], v[5:6], v[2:3], v[0:1]
	s_delay_alu instid0(VALU_DEP_1) | instskip(NEXT) | instid1(VALU_DEP_1)
	v_fma_f64 v[0:1], v[0:1], v[5:6], v[2:3]
	v_div_scale_f64 v[2:3], null, v[0:1], v[0:1], 1.0
	s_delay_alu instid0(VALU_DEP_1) | instskip(SKIP_2) | instid1(VALU_DEP_1)
	v_rcp_f64_e32 v[7:8], v[2:3]
	s_waitcnt_depctr 0xfff
	v_fma_f64 v[9:10], -v[2:3], v[7:8], 1.0
	v_fma_f64 v[7:8], v[7:8], v[9:10], v[7:8]
	s_delay_alu instid0(VALU_DEP_1) | instskip(NEXT) | instid1(VALU_DEP_1)
	v_fma_f64 v[9:10], -v[2:3], v[7:8], 1.0
	v_fma_f64 v[7:8], v[7:8], v[9:10], v[7:8]
	v_div_scale_f64 v[9:10], vcc_lo, 1.0, v[0:1], 1.0
	s_delay_alu instid0(VALU_DEP_1) | instskip(NEXT) | instid1(VALU_DEP_1)
	v_mul_f64 v[11:12], v[9:10], v[7:8]
	v_fma_f64 v[2:3], -v[2:3], v[11:12], v[9:10]
	s_delay_alu instid0(VALU_DEP_1) | instskip(NEXT) | instid1(VALU_DEP_1)
	v_div_fmas_f64 v[2:3], v[2:3], v[7:8], v[11:12]
	v_div_fixup_f64 v[2:3], v[2:3], v[0:1], 1.0
	s_delay_alu instid0(VALU_DEP_1)
	v_mul_f64 v[0:1], v[5:6], v[2:3]
	v_xor_b32_e32 v3, 0x80000000, v3
.LBB126_655:
	s_and_not1_saveexec_b32 s2, s2
	s_cbranch_execz .LBB126_657
; %bb.656:
	s_delay_alu instid0(VALU_DEP_1) | instskip(SKIP_1) | instid1(VALU_DEP_2)
	v_div_scale_f64 v[5:6], null, v[0:1], v[0:1], v[2:3]
	v_div_scale_f64 v[11:12], vcc_lo, v[2:3], v[0:1], v[2:3]
	v_rcp_f64_e32 v[7:8], v[5:6]
	s_waitcnt_depctr 0xfff
	v_fma_f64 v[9:10], -v[5:6], v[7:8], 1.0
	s_delay_alu instid0(VALU_DEP_1) | instskip(NEXT) | instid1(VALU_DEP_1)
	v_fma_f64 v[7:8], v[7:8], v[9:10], v[7:8]
	v_fma_f64 v[9:10], -v[5:6], v[7:8], 1.0
	s_delay_alu instid0(VALU_DEP_1) | instskip(NEXT) | instid1(VALU_DEP_1)
	v_fma_f64 v[7:8], v[7:8], v[9:10], v[7:8]
	v_mul_f64 v[9:10], v[11:12], v[7:8]
	s_delay_alu instid0(VALU_DEP_1) | instskip(NEXT) | instid1(VALU_DEP_1)
	v_fma_f64 v[5:6], -v[5:6], v[9:10], v[11:12]
	v_div_fmas_f64 v[5:6], v[5:6], v[7:8], v[9:10]
	s_delay_alu instid0(VALU_DEP_1) | instskip(NEXT) | instid1(VALU_DEP_1)
	v_div_fixup_f64 v[5:6], v[5:6], v[0:1], v[2:3]
	v_fma_f64 v[0:1], v[2:3], v[5:6], v[0:1]
	s_delay_alu instid0(VALU_DEP_1) | instskip(NEXT) | instid1(VALU_DEP_1)
	v_div_scale_f64 v[2:3], null, v[0:1], v[0:1], 1.0
	v_rcp_f64_e32 v[7:8], v[2:3]
	s_waitcnt_depctr 0xfff
	v_fma_f64 v[9:10], -v[2:3], v[7:8], 1.0
	s_delay_alu instid0(VALU_DEP_1) | instskip(NEXT) | instid1(VALU_DEP_1)
	v_fma_f64 v[7:8], v[7:8], v[9:10], v[7:8]
	v_fma_f64 v[9:10], -v[2:3], v[7:8], 1.0
	s_delay_alu instid0(VALU_DEP_1) | instskip(SKIP_1) | instid1(VALU_DEP_1)
	v_fma_f64 v[7:8], v[7:8], v[9:10], v[7:8]
	v_div_scale_f64 v[9:10], vcc_lo, 1.0, v[0:1], 1.0
	v_mul_f64 v[11:12], v[9:10], v[7:8]
	s_delay_alu instid0(VALU_DEP_1) | instskip(NEXT) | instid1(VALU_DEP_1)
	v_fma_f64 v[2:3], -v[2:3], v[11:12], v[9:10]
	v_div_fmas_f64 v[2:3], v[2:3], v[7:8], v[11:12]
	s_delay_alu instid0(VALU_DEP_1) | instskip(NEXT) | instid1(VALU_DEP_1)
	v_div_fixup_f64 v[0:1], v[2:3], v[0:1], 1.0
	v_mul_f64 v[2:3], v[5:6], -v[0:1]
.LBB126_657:
	s_or_b32 exec_lo, exec_lo, s2
.LBB126_658:
	s_delay_alu instid0(SALU_CYCLE_1) | instskip(NEXT) | instid1(SALU_CYCLE_1)
	s_or_b32 exec_lo, exec_lo, s3
	s_mov_b32 s2, exec_lo
	v_cmpx_ne_u32_e64 v41, v4
	s_xor_b32 s2, exec_lo, s2
	s_cbranch_execz .LBB126_664
; %bb.659:
	s_mov_b32 s3, exec_lo
	v_cmpx_eq_u32_e32 26, v41
	s_cbranch_execz .LBB126_663
; %bb.660:
	v_cmp_ne_u32_e32 vcc_lo, 26, v4
	s_xor_b32 s6, s4, -1
	s_delay_alu instid0(SALU_CYCLE_1) | instskip(NEXT) | instid1(SALU_CYCLE_1)
	s_and_b32 s7, s6, vcc_lo
	s_and_saveexec_b32 s6, s7
	s_cbranch_execz .LBB126_662
; %bb.661:
	v_ashrrev_i32_e32 v5, 31, v4
	s_delay_alu instid0(VALU_DEP_1) | instskip(NEXT) | instid1(VALU_DEP_1)
	v_lshlrev_b64 v[5:6], 2, v[4:5]
	v_add_co_u32 v5, vcc_lo, v250, v5
	s_delay_alu instid0(VALU_DEP_2)
	v_add_co_ci_u32_e32 v6, vcc_lo, v251, v6, vcc_lo
	s_clause 0x1
	flat_load_b32 v7, v[5:6]
	flat_load_b32 v8, v[250:251] offset:104
	s_waitcnt vmcnt(1) lgkmcnt(1)
	flat_store_b32 v[250:251], v7 offset:104
	s_waitcnt vmcnt(0) lgkmcnt(1)
	flat_store_b32 v[5:6], v8
.LBB126_662:
	s_or_b32 exec_lo, exec_lo, s6
	v_mov_b32_e32 v41, v4
	v_mov_b32_e32 v39, v4
.LBB126_663:
	s_or_b32 exec_lo, exec_lo, s3
.LBB126_664:
	s_and_not1_saveexec_b32 s2, s2
	s_cbranch_execz .LBB126_670
; %bb.665:
	v_add3_u32 v4, v38, 0, 0x1b0
	v_mov_b32_e32 v5, 0
	s_mov_b32 s3, 0
	s_branch .LBB126_667
.LBB126_666:                            ;   in Loop: Header=BB126_667 Depth=1
	s_and_not1_b32 vcc_lo, exec_lo, s7
	s_cbranch_vccz .LBB126_669
.LBB126_667:                            ; =>This Inner Loop Header: Depth=1
	s_delay_alu instid0(VALU_DEP_1) | instskip(SKIP_1) | instid1(VALU_DEP_2)
	v_readfirstlane_b32 s6, v5
	v_add_nc_u32_e32 v6, s3, v4
	s_add_i32 s6, s6, s3
	s_delay_alu instid0(SALU_CYCLE_1)
	s_add_i32 s7, s6, 0x1b0
	s_add_i32 s9, s6, 0x1c0
	;; [unrolled: 1-line block ×5, first 2 shown]
	s_clause 0x4
	scratch_load_b128 v[7:10], off, s7
	scratch_load_b128 v[11:14], off, s9
	;; [unrolled: 1-line block ×5, first 2 shown]
	s_mov_b32 s7, -1
	s_cmpk_eq_i32 s3, 0x200
	s_waitcnt vmcnt(4)
	ds_store_2addr_b64 v6, v[7:8], v[9:10] offset1:1
	s_waitcnt vmcnt(3)
	ds_store_2addr_b64 v6, v[11:12], v[13:14] offset0:2 offset1:3
	s_waitcnt vmcnt(2)
	ds_store_2addr_b64 v6, v[41:42], v[43:44] offset0:4 offset1:5
	s_waitcnt vmcnt(1)
	ds_store_2addr_b64 v6, v[49:50], v[51:52] offset0:6 offset1:7
	s_waitcnt vmcnt(0)
	ds_store_2addr_b64 v6, v[53:54], v[55:56] offset0:8 offset1:9
	s_cbranch_scc1 .LBB126_666
; %bb.668:                              ;   in Loop: Header=BB126_667 Depth=1
	s_add_i32 s7, s6, 0x200
	s_add_i32 s9, s6, 0x210
	s_addk_i32 s6, 0x220
	s_clause 0x2
	scratch_load_b128 v[7:10], off, s7
	scratch_load_b128 v[11:14], off, s9
	;; [unrolled: 1-line block ×3, first 2 shown]
	s_addk_i32 s3, 0x80
	s_mov_b32 s7, 0
	s_waitcnt vmcnt(2)
	ds_store_2addr_b64 v6, v[7:8], v[9:10] offset0:10 offset1:11
	s_waitcnt vmcnt(1)
	ds_store_2addr_b64 v6, v[11:12], v[13:14] offset0:12 offset1:13
	;; [unrolled: 2-line block ×3, first 2 shown]
	s_branch .LBB126_666
.LBB126_669:
	v_mov_b32_e32 v41, 26
.LBB126_670:
	s_or_b32 exec_lo, exec_lo, s2
	s_delay_alu instid0(SALU_CYCLE_1)
	s_mov_b32 s2, exec_lo
	s_waitcnt lgkmcnt(0)
	s_waitcnt_vscnt null, 0x0
	s_barrier
	buffer_gl0_inv
	v_cmpx_lt_i32_e32 26, v41
	s_cbranch_execz .LBB126_675
; %bb.671:
	scratch_load_b128 v[4:7], off, off offset:416
	s_mov_b32 s3, 0
	s_waitcnt vmcnt(0)
	v_mul_f64 v[8:9], v[2:3], v[6:7]
	v_mul_f64 v[6:7], v[0:1], v[6:7]
	s_delay_alu instid0(VALU_DEP_2) | instskip(NEXT) | instid1(VALU_DEP_2)
	v_fma_f64 v[0:1], v[0:1], v[4:5], -v[8:9]
	v_fma_f64 v[2:3], v[2:3], v[4:5], v[6:7]
	v_add3_u32 v4, v38, 0, 0x1b0
	v_mov_b32_e32 v5, 0
	scratch_store_b128 off, v[0:3], off offset:416
	s_branch .LBB126_673
.LBB126_672:                            ;   in Loop: Header=BB126_673 Depth=1
	s_and_not1_b32 vcc_lo, exec_lo, s7
	s_cbranch_vccz .LBB126_675
.LBB126_673:                            ; =>This Inner Loop Header: Depth=1
	v_readfirstlane_b32 s6, v5
	v_add_nc_u32_e32 v6, s3, v4
	s_mov_b32 s7, -1
	s_delay_alu instid0(VALU_DEP_2)
	s_add_i32 s6, s6, s3
	ds_load_2addr_b64 v[11:14], v6 offset1:1
	s_add_i32 s9, s6, 0x1b0
	s_cmpk_eq_i32 s3, 0x240
	scratch_load_b128 v[7:10], off, s9
	s_waitcnt lgkmcnt(0)
	v_mul_f64 v[15:16], v[13:14], v[2:3]
	v_mul_f64 v[17:18], v[11:12], v[2:3]
	s_delay_alu instid0(VALU_DEP_2) | instskip(NEXT) | instid1(VALU_DEP_2)
	v_fma_f64 v[11:12], v[11:12], v[0:1], -v[15:16]
	v_fma_f64 v[13:14], v[13:14], v[0:1], v[17:18]
	s_waitcnt vmcnt(0)
	s_delay_alu instid0(VALU_DEP_2) | instskip(NEXT) | instid1(VALU_DEP_2)
	v_add_f64 v[7:8], v[7:8], -v[11:12]
	v_add_f64 v[9:10], v[9:10], -v[13:14]
	scratch_store_b128 off, v[7:10], s9
	s_cbranch_scc1 .LBB126_672
; %bb.674:                              ;   in Loop: Header=BB126_673 Depth=1
	s_add_i32 s9, s6, 0x1c0
	s_add_i32 s12, s6, 0x1d0
	scratch_load_b128 v[7:10], off, s9
	s_addk_i32 s6, 0x1e0
	s_clause 0x1
	scratch_load_b128 v[11:14], off, s12
	scratch_load_b128 v[42:45], off, s6
	ds_load_2addr_b64 v[49:52], v6 offset0:2 offset1:3
	ds_load_2addr_b64 v[53:56], v6 offset0:4 offset1:5
	;; [unrolled: 1-line block ×3, first 2 shown]
	s_add_i32 s3, s3, 64
	s_mov_b32 s7, 0
	s_waitcnt lgkmcnt(2)
	v_mul_f64 v[15:16], v[51:52], v[2:3]
	v_mul_f64 v[17:18], v[49:50], v[2:3]
	s_waitcnt lgkmcnt(1)
	v_mul_f64 v[46:47], v[55:56], v[2:3]
	v_mul_f64 v[57:58], v[53:54], v[2:3]
	;; [unrolled: 3-line block ×3, first 2 shown]
	v_fma_f64 v[15:16], v[49:50], v[0:1], -v[15:16]
	v_fma_f64 v[17:18], v[51:52], v[0:1], v[17:18]
	v_fma_f64 v[46:47], v[53:54], v[0:1], -v[46:47]
	v_fma_f64 v[49:50], v[55:56], v[0:1], v[57:58]
	;; [unrolled: 2-line block ×3, first 2 shown]
	s_waitcnt vmcnt(2)
	v_add_f64 v[6:7], v[7:8], -v[15:16]
	v_add_f64 v[8:9], v[9:10], -v[17:18]
	s_waitcnt vmcnt(1)
	v_add_f64 v[10:11], v[11:12], -v[46:47]
	v_add_f64 v[12:13], v[13:14], -v[49:50]
	;; [unrolled: 3-line block ×3, first 2 shown]
	s_clause 0x2
	scratch_store_b128 off, v[6:9], s9
	scratch_store_b128 off, v[10:13], s12
	;; [unrolled: 1-line block ×3, first 2 shown]
	s_branch .LBB126_672
.LBB126_675:
	s_or_b32 exec_lo, exec_lo, s2
	s_waitcnt_vscnt null, 0x0
	s_barrier
	buffer_gl0_inv
	scratch_load_b128 v[0:3], v109, off
	v_lshl_add_u32 v4, v41, 4, v36
	s_cmp_lt_i32 s5, 29
	s_waitcnt vmcnt(0)
	ds_store_2addr_b64 v4, v[0:1], v[2:3] offset1:1
	s_waitcnt lgkmcnt(0)
	s_barrier
	buffer_gl0_inv
	ds_load_2addr_b64 v[0:3], v36 offset0:54 offset1:55
	v_mov_b32_e32 v4, 27
	s_cbranch_scc1 .LBB126_678
; %bb.676:
	v_add3_u32 v5, v38, 0, 0x1c0
	v_mov_b32_e32 v4, 27
	s_mov_b32 s6, 28
	s_set_inst_prefetch_distance 0x1
	.p2align	6
.LBB126_677:                            ; =>This Inner Loop Header: Depth=1
	ds_load_2addr_b64 v[6:9], v5 offset1:1
	s_waitcnt lgkmcnt(1)
	v_cmp_gt_f64_e32 vcc_lo, 0, v[0:1]
	v_xor_b32_e32 v10, 0x80000000, v1
	v_cmp_gt_f64_e64 s2, 0, v[2:3]
	v_xor_b32_e32 v12, 0x80000000, v3
	v_add_nc_u32_e32 v5, 16, v5
	s_waitcnt lgkmcnt(0)
	v_cmp_gt_f64_e64 s3, 0, v[6:7]
	v_mov_b32_e32 v14, v6
	v_dual_mov_b32 v16, v8 :: v_dual_cndmask_b32 v11, v1, v10
	v_xor_b32_e32 v10, 0x80000000, v7
	v_cndmask_b32_e64 v13, v3, v12, s2
	v_xor_b32_e32 v12, 0x80000000, v9
	s_delay_alu instid0(VALU_DEP_3) | instskip(SKIP_2) | instid1(VALU_DEP_2)
	v_cndmask_b32_e64 v15, v7, v10, s3
	v_cmp_gt_f64_e64 s3, 0, v[8:9]
	v_cndmask_b32_e32 v10, v0, v0, vcc_lo
	v_cndmask_b32_e64 v17, v9, v12, s3
	v_cndmask_b32_e64 v12, v2, v2, s2
	s_delay_alu instid0(VALU_DEP_2) | instskip(NEXT) | instid1(VALU_DEP_2)
	v_add_f64 v[14:15], v[14:15], v[16:17]
	v_add_f64 v[10:11], v[10:11], v[12:13]
	s_delay_alu instid0(VALU_DEP_1)
	v_cmp_lt_f64_e32 vcc_lo, v[10:11], v[14:15]
	v_cndmask_b32_e32 v3, v3, v9, vcc_lo
	v_dual_cndmask_b32 v1, v1, v7 :: v_dual_cndmask_b32 v0, v0, v6
	v_cndmask_b32_e32 v2, v2, v8, vcc_lo
	v_cndmask_b32_e64 v4, v4, s6, vcc_lo
	s_add_i32 s6, s6, 1
	s_delay_alu instid0(SALU_CYCLE_1)
	s_cmp_lg_u32 s5, s6
	s_cbranch_scc1 .LBB126_677
.LBB126_678:
	s_set_inst_prefetch_distance 0x2
	s_waitcnt lgkmcnt(0)
	v_cmp_eq_f64_e32 vcc_lo, 0, v[0:1]
	v_cmp_eq_f64_e64 s2, 0, v[2:3]
	s_delay_alu instid0(VALU_DEP_1) | instskip(NEXT) | instid1(SALU_CYCLE_1)
	s_and_b32 s2, vcc_lo, s2
	s_and_saveexec_b32 s3, s2
	s_delay_alu instid0(SALU_CYCLE_1)
	s_xor_b32 s2, exec_lo, s3
; %bb.679:
	v_cmp_ne_u32_e32 vcc_lo, 0, v37
	v_cndmask_b32_e32 v37, 28, v37, vcc_lo
; %bb.680:
	s_and_not1_saveexec_b32 s3, s2
	s_cbranch_execz .LBB126_686
; %bb.681:
	v_cmp_gt_f64_e32 vcc_lo, 0, v[0:1]
	v_cmp_gt_f64_e64 s2, 0, v[2:3]
	v_xor_b32_e32 v5, 0x80000000, v1
	v_xor_b32_e32 v7, 0x80000000, v3
	s_delay_alu instid0(VALU_DEP_2) | instskip(NEXT) | instid1(VALU_DEP_2)
	v_dual_cndmask_b32 v6, v1, v5 :: v_dual_cndmask_b32 v5, v0, v0
	v_cndmask_b32_e64 v8, v3, v7, s2
	v_cndmask_b32_e64 v7, v2, v2, s2
	s_mov_b32 s2, exec_lo
	s_delay_alu instid0(VALU_DEP_1)
	v_cmpx_ngt_f64_e32 v[5:6], v[7:8]
	s_xor_b32 s2, exec_lo, s2
	s_cbranch_execz .LBB126_683
; %bb.682:
	v_div_scale_f64 v[5:6], null, v[2:3], v[2:3], v[0:1]
	v_div_scale_f64 v[11:12], vcc_lo, v[0:1], v[2:3], v[0:1]
	s_delay_alu instid0(VALU_DEP_2) | instskip(SKIP_2) | instid1(VALU_DEP_1)
	v_rcp_f64_e32 v[7:8], v[5:6]
	s_waitcnt_depctr 0xfff
	v_fma_f64 v[9:10], -v[5:6], v[7:8], 1.0
	v_fma_f64 v[7:8], v[7:8], v[9:10], v[7:8]
	s_delay_alu instid0(VALU_DEP_1) | instskip(NEXT) | instid1(VALU_DEP_1)
	v_fma_f64 v[9:10], -v[5:6], v[7:8], 1.0
	v_fma_f64 v[7:8], v[7:8], v[9:10], v[7:8]
	s_delay_alu instid0(VALU_DEP_1) | instskip(NEXT) | instid1(VALU_DEP_1)
	v_mul_f64 v[9:10], v[11:12], v[7:8]
	v_fma_f64 v[5:6], -v[5:6], v[9:10], v[11:12]
	s_delay_alu instid0(VALU_DEP_1) | instskip(NEXT) | instid1(VALU_DEP_1)
	v_div_fmas_f64 v[5:6], v[5:6], v[7:8], v[9:10]
	v_div_fixup_f64 v[5:6], v[5:6], v[2:3], v[0:1]
	s_delay_alu instid0(VALU_DEP_1) | instskip(NEXT) | instid1(VALU_DEP_1)
	v_fma_f64 v[0:1], v[0:1], v[5:6], v[2:3]
	v_div_scale_f64 v[2:3], null, v[0:1], v[0:1], 1.0
	s_delay_alu instid0(VALU_DEP_1) | instskip(SKIP_2) | instid1(VALU_DEP_1)
	v_rcp_f64_e32 v[7:8], v[2:3]
	s_waitcnt_depctr 0xfff
	v_fma_f64 v[9:10], -v[2:3], v[7:8], 1.0
	v_fma_f64 v[7:8], v[7:8], v[9:10], v[7:8]
	s_delay_alu instid0(VALU_DEP_1) | instskip(NEXT) | instid1(VALU_DEP_1)
	v_fma_f64 v[9:10], -v[2:3], v[7:8], 1.0
	v_fma_f64 v[7:8], v[7:8], v[9:10], v[7:8]
	v_div_scale_f64 v[9:10], vcc_lo, 1.0, v[0:1], 1.0
	s_delay_alu instid0(VALU_DEP_1) | instskip(NEXT) | instid1(VALU_DEP_1)
	v_mul_f64 v[11:12], v[9:10], v[7:8]
	v_fma_f64 v[2:3], -v[2:3], v[11:12], v[9:10]
	s_delay_alu instid0(VALU_DEP_1) | instskip(NEXT) | instid1(VALU_DEP_1)
	v_div_fmas_f64 v[2:3], v[2:3], v[7:8], v[11:12]
	v_div_fixup_f64 v[2:3], v[2:3], v[0:1], 1.0
	s_delay_alu instid0(VALU_DEP_1)
	v_mul_f64 v[0:1], v[5:6], v[2:3]
	v_xor_b32_e32 v3, 0x80000000, v3
.LBB126_683:
	s_and_not1_saveexec_b32 s2, s2
	s_cbranch_execz .LBB126_685
; %bb.684:
	s_delay_alu instid0(VALU_DEP_1) | instskip(SKIP_1) | instid1(VALU_DEP_2)
	v_div_scale_f64 v[5:6], null, v[0:1], v[0:1], v[2:3]
	v_div_scale_f64 v[11:12], vcc_lo, v[2:3], v[0:1], v[2:3]
	v_rcp_f64_e32 v[7:8], v[5:6]
	s_waitcnt_depctr 0xfff
	v_fma_f64 v[9:10], -v[5:6], v[7:8], 1.0
	s_delay_alu instid0(VALU_DEP_1) | instskip(NEXT) | instid1(VALU_DEP_1)
	v_fma_f64 v[7:8], v[7:8], v[9:10], v[7:8]
	v_fma_f64 v[9:10], -v[5:6], v[7:8], 1.0
	s_delay_alu instid0(VALU_DEP_1) | instskip(NEXT) | instid1(VALU_DEP_1)
	v_fma_f64 v[7:8], v[7:8], v[9:10], v[7:8]
	v_mul_f64 v[9:10], v[11:12], v[7:8]
	s_delay_alu instid0(VALU_DEP_1) | instskip(NEXT) | instid1(VALU_DEP_1)
	v_fma_f64 v[5:6], -v[5:6], v[9:10], v[11:12]
	v_div_fmas_f64 v[5:6], v[5:6], v[7:8], v[9:10]
	s_delay_alu instid0(VALU_DEP_1) | instskip(NEXT) | instid1(VALU_DEP_1)
	v_div_fixup_f64 v[5:6], v[5:6], v[0:1], v[2:3]
	v_fma_f64 v[0:1], v[2:3], v[5:6], v[0:1]
	s_delay_alu instid0(VALU_DEP_1) | instskip(NEXT) | instid1(VALU_DEP_1)
	v_div_scale_f64 v[2:3], null, v[0:1], v[0:1], 1.0
	v_rcp_f64_e32 v[7:8], v[2:3]
	s_waitcnt_depctr 0xfff
	v_fma_f64 v[9:10], -v[2:3], v[7:8], 1.0
	s_delay_alu instid0(VALU_DEP_1) | instskip(NEXT) | instid1(VALU_DEP_1)
	v_fma_f64 v[7:8], v[7:8], v[9:10], v[7:8]
	v_fma_f64 v[9:10], -v[2:3], v[7:8], 1.0
	s_delay_alu instid0(VALU_DEP_1) | instskip(SKIP_1) | instid1(VALU_DEP_1)
	v_fma_f64 v[7:8], v[7:8], v[9:10], v[7:8]
	v_div_scale_f64 v[9:10], vcc_lo, 1.0, v[0:1], 1.0
	v_mul_f64 v[11:12], v[9:10], v[7:8]
	s_delay_alu instid0(VALU_DEP_1) | instskip(NEXT) | instid1(VALU_DEP_1)
	v_fma_f64 v[2:3], -v[2:3], v[11:12], v[9:10]
	v_div_fmas_f64 v[2:3], v[2:3], v[7:8], v[11:12]
	s_delay_alu instid0(VALU_DEP_1) | instskip(NEXT) | instid1(VALU_DEP_1)
	v_div_fixup_f64 v[0:1], v[2:3], v[0:1], 1.0
	v_mul_f64 v[2:3], v[5:6], -v[0:1]
.LBB126_685:
	s_or_b32 exec_lo, exec_lo, s2
.LBB126_686:
	s_delay_alu instid0(SALU_CYCLE_1) | instskip(NEXT) | instid1(SALU_CYCLE_1)
	s_or_b32 exec_lo, exec_lo, s3
	s_mov_b32 s2, exec_lo
	v_cmpx_ne_u32_e64 v41, v4
	s_xor_b32 s2, exec_lo, s2
	s_cbranch_execz .LBB126_692
; %bb.687:
	s_mov_b32 s3, exec_lo
	v_cmpx_eq_u32_e32 27, v41
	s_cbranch_execz .LBB126_691
; %bb.688:
	v_cmp_ne_u32_e32 vcc_lo, 27, v4
	s_xor_b32 s6, s4, -1
	s_delay_alu instid0(SALU_CYCLE_1) | instskip(NEXT) | instid1(SALU_CYCLE_1)
	s_and_b32 s7, s6, vcc_lo
	s_and_saveexec_b32 s6, s7
	s_cbranch_execz .LBB126_690
; %bb.689:
	v_ashrrev_i32_e32 v5, 31, v4
	s_delay_alu instid0(VALU_DEP_1) | instskip(NEXT) | instid1(VALU_DEP_1)
	v_lshlrev_b64 v[5:6], 2, v[4:5]
	v_add_co_u32 v5, vcc_lo, v250, v5
	s_delay_alu instid0(VALU_DEP_2)
	v_add_co_ci_u32_e32 v6, vcc_lo, v251, v6, vcc_lo
	s_clause 0x1
	flat_load_b32 v7, v[5:6]
	flat_load_b32 v8, v[250:251] offset:108
	s_waitcnt vmcnt(1) lgkmcnt(1)
	flat_store_b32 v[250:251], v7 offset:108
	s_waitcnt vmcnt(0) lgkmcnt(1)
	flat_store_b32 v[5:6], v8
.LBB126_690:
	s_or_b32 exec_lo, exec_lo, s6
	v_mov_b32_e32 v41, v4
	v_mov_b32_e32 v39, v4
.LBB126_691:
	s_or_b32 exec_lo, exec_lo, s3
.LBB126_692:
	s_and_not1_saveexec_b32 s2, s2
	s_cbranch_execz .LBB126_694
; %bb.693:
	s_clause 0x1f
	scratch_load_b128 v[4:7], v112, off
	scratch_load_b128 v[8:11], v116, off
	;; [unrolled: 1-line block ×32, first 2 shown]
	s_clause 0x3
	scratch_load_b128 v[97:100], v162, off
	scratch_load_b128 v[93:96], v165, off
	;; [unrolled: 1-line block ×4, first 2 shown]
	v_mov_b32_e32 v41, 27
	s_waitcnt vmcnt(35)
	ds_store_2addr_b64 v36, v[4:5], v[6:7] offset0:56 offset1:57
	s_waitcnt vmcnt(34)
	ds_store_2addr_b64 v36, v[8:9], v[10:11] offset0:58 offset1:59
	;; [unrolled: 2-line block ×30, first 2 shown]
	scratch_load_b64 v[250:251], off, off offset:1024 ; 8-byte Folded Reload
	s_waitcnt vmcnt(6)
	ds_store_2addr_b64 v36, v[105:106], v[107:108] offset0:116 offset1:117
	s_waitcnt vmcnt(5)
	ds_store_2addr_b64 v36, v[101:102], v[103:104] offset0:118 offset1:119
	;; [unrolled: 2-line block ×6, first 2 shown]
.LBB126_694:
	s_or_b32 exec_lo, exec_lo, s2
	s_delay_alu instid0(SALU_CYCLE_1)
	s_mov_b32 s2, exec_lo
	s_waitcnt vmcnt(0) lgkmcnt(0)
	s_waitcnt_vscnt null, 0x0
	s_barrier
	buffer_gl0_inv
	v_cmpx_lt_i32_e32 27, v41
	s_cbranch_execz .LBB126_697
; %bb.695:
	scratch_load_b128 v[4:7], off, off offset:432
	s_mov_b32 s3, 0
	s_waitcnt vmcnt(0)
	v_mul_f64 v[8:9], v[2:3], v[6:7]
	v_mul_f64 v[6:7], v[0:1], v[6:7]
	s_delay_alu instid0(VALU_DEP_2) | instskip(NEXT) | instid1(VALU_DEP_2)
	v_fma_f64 v[0:1], v[0:1], v[4:5], -v[8:9]
	v_fma_f64 v[2:3], v[2:3], v[4:5], v[6:7]
	v_add3_u32 v4, v38, 0, 0x1c0
	v_mov_b32_e32 v5, 0
	scratch_store_b128 off, v[0:3], off offset:432
.LBB126_696:                            ; =>This Inner Loop Header: Depth=1
	v_readfirstlane_b32 s6, v5
	v_add_nc_u32_e32 v18, s3, v4
	s_delay_alu instid0(VALU_DEP_2)
	s_add_i32 s7, s6, s3
	s_addk_i32 s3, 0x60
	s_add_i32 s6, s7, 0x1c0
	s_add_i32 s9, s7, 0x1d0
	;; [unrolled: 1-line block ×5, first 2 shown]
	s_addk_i32 s7, 0x210
	s_clause 0x5
	scratch_load_b128 v[6:9], off, s6
	scratch_load_b128 v[10:13], off, s9
	scratch_load_b128 v[14:17], off, s12
	scratch_load_b128 v[42:45], off, s14
	scratch_load_b128 v[49:52], off, s15
	scratch_load_b128 v[53:56], off, s7
	ds_load_2addr_b64 v[65:68], v18 offset1:1
	ds_load_2addr_b64 v[69:72], v18 offset0:2 offset1:3
	ds_load_2addr_b64 v[77:80], v18 offset0:4 offset1:5
	;; [unrolled: 1-line block ×5, first 2 shown]
	s_cmpk_lg_i32 s3, 0x240
	s_waitcnt lgkmcnt(5)
	v_mul_f64 v[18:19], v[67:68], v[2:3]
	v_mul_f64 v[46:47], v[65:66], v[2:3]
	s_waitcnt lgkmcnt(4)
	v_mul_f64 v[57:58], v[71:72], v[2:3]
	v_mul_f64 v[61:62], v[69:70], v[2:3]
	;; [unrolled: 3-line block ×6, first 2 shown]
	v_fma_f64 v[18:19], v[65:66], v[0:1], -v[18:19]
	v_fma_f64 v[46:47], v[67:68], v[0:1], v[46:47]
	v_fma_f64 v[57:58], v[69:70], v[0:1], -v[57:58]
	v_fma_f64 v[61:62], v[71:72], v[0:1], v[61:62]
	;; [unrolled: 2-line block ×6, first 2 shown]
	s_waitcnt vmcnt(5)
	v_add_f64 v[6:7], v[6:7], -v[18:19]
	v_add_f64 v[8:9], v[8:9], -v[46:47]
	s_waitcnt vmcnt(4)
	v_add_f64 v[10:11], v[10:11], -v[57:58]
	v_add_f64 v[12:13], v[12:13], -v[61:62]
	;; [unrolled: 3-line block ×6, first 2 shown]
	s_clause 0x5
	scratch_store_b128 off, v[6:9], s6
	scratch_store_b128 off, v[10:13], s9
	;; [unrolled: 1-line block ×6, first 2 shown]
	s_cbranch_scc1 .LBB126_696
.LBB126_697:
	s_or_b32 exec_lo, exec_lo, s2
	s_waitcnt_vscnt null, 0x0
	s_barrier
	buffer_gl0_inv
	scratch_load_b128 v[0:3], v112, off
	v_lshl_add_u32 v4, v41, 4, v36
	s_cmp_lt_i32 s5, 30
	s_waitcnt vmcnt(0)
	ds_store_2addr_b64 v4, v[0:1], v[2:3] offset1:1
	s_waitcnt lgkmcnt(0)
	s_barrier
	buffer_gl0_inv
	ds_load_2addr_b64 v[0:3], v36 offset0:56 offset1:57
	v_mov_b32_e32 v4, 28
	s_cbranch_scc1 .LBB126_700
; %bb.698:
	v_add3_u32 v5, v38, 0, 0x1d0
	v_mov_b32_e32 v4, 28
	s_mov_b32 s6, 29
	s_set_inst_prefetch_distance 0x1
	.p2align	6
.LBB126_699:                            ; =>This Inner Loop Header: Depth=1
	ds_load_2addr_b64 v[6:9], v5 offset1:1
	s_waitcnt lgkmcnt(1)
	v_cmp_gt_f64_e32 vcc_lo, 0, v[0:1]
	v_xor_b32_e32 v10, 0x80000000, v1
	v_cmp_gt_f64_e64 s2, 0, v[2:3]
	v_xor_b32_e32 v12, 0x80000000, v3
	v_add_nc_u32_e32 v5, 16, v5
	s_waitcnt lgkmcnt(0)
	v_cmp_gt_f64_e64 s3, 0, v[6:7]
	v_mov_b32_e32 v14, v6
	v_dual_mov_b32 v16, v8 :: v_dual_cndmask_b32 v11, v1, v10
	v_xor_b32_e32 v10, 0x80000000, v7
	v_cndmask_b32_e64 v13, v3, v12, s2
	v_xor_b32_e32 v12, 0x80000000, v9
	s_delay_alu instid0(VALU_DEP_3) | instskip(SKIP_2) | instid1(VALU_DEP_2)
	v_cndmask_b32_e64 v15, v7, v10, s3
	v_cmp_gt_f64_e64 s3, 0, v[8:9]
	v_cndmask_b32_e32 v10, v0, v0, vcc_lo
	v_cndmask_b32_e64 v17, v9, v12, s3
	v_cndmask_b32_e64 v12, v2, v2, s2
	s_delay_alu instid0(VALU_DEP_2) | instskip(NEXT) | instid1(VALU_DEP_2)
	v_add_f64 v[14:15], v[14:15], v[16:17]
	v_add_f64 v[10:11], v[10:11], v[12:13]
	s_delay_alu instid0(VALU_DEP_1)
	v_cmp_lt_f64_e32 vcc_lo, v[10:11], v[14:15]
	v_cndmask_b32_e32 v3, v3, v9, vcc_lo
	v_dual_cndmask_b32 v1, v1, v7 :: v_dual_cndmask_b32 v0, v0, v6
	v_cndmask_b32_e32 v2, v2, v8, vcc_lo
	v_cndmask_b32_e64 v4, v4, s6, vcc_lo
	s_add_i32 s6, s6, 1
	s_delay_alu instid0(SALU_CYCLE_1)
	s_cmp_lg_u32 s5, s6
	s_cbranch_scc1 .LBB126_699
.LBB126_700:
	s_set_inst_prefetch_distance 0x2
	s_waitcnt lgkmcnt(0)
	v_cmp_eq_f64_e32 vcc_lo, 0, v[0:1]
	v_cmp_eq_f64_e64 s2, 0, v[2:3]
	s_delay_alu instid0(VALU_DEP_1) | instskip(NEXT) | instid1(SALU_CYCLE_1)
	s_and_b32 s2, vcc_lo, s2
	s_and_saveexec_b32 s3, s2
	s_delay_alu instid0(SALU_CYCLE_1)
	s_xor_b32 s2, exec_lo, s3
; %bb.701:
	v_cmp_ne_u32_e32 vcc_lo, 0, v37
	v_cndmask_b32_e32 v37, 29, v37, vcc_lo
; %bb.702:
	s_and_not1_saveexec_b32 s3, s2
	s_cbranch_execz .LBB126_708
; %bb.703:
	v_cmp_gt_f64_e32 vcc_lo, 0, v[0:1]
	v_cmp_gt_f64_e64 s2, 0, v[2:3]
	v_xor_b32_e32 v5, 0x80000000, v1
	v_xor_b32_e32 v7, 0x80000000, v3
	s_delay_alu instid0(VALU_DEP_2) | instskip(NEXT) | instid1(VALU_DEP_2)
	v_dual_cndmask_b32 v6, v1, v5 :: v_dual_cndmask_b32 v5, v0, v0
	v_cndmask_b32_e64 v8, v3, v7, s2
	v_cndmask_b32_e64 v7, v2, v2, s2
	s_mov_b32 s2, exec_lo
	s_delay_alu instid0(VALU_DEP_1)
	v_cmpx_ngt_f64_e32 v[5:6], v[7:8]
	s_xor_b32 s2, exec_lo, s2
	s_cbranch_execz .LBB126_705
; %bb.704:
	v_div_scale_f64 v[5:6], null, v[2:3], v[2:3], v[0:1]
	v_div_scale_f64 v[11:12], vcc_lo, v[0:1], v[2:3], v[0:1]
	s_delay_alu instid0(VALU_DEP_2) | instskip(SKIP_2) | instid1(VALU_DEP_1)
	v_rcp_f64_e32 v[7:8], v[5:6]
	s_waitcnt_depctr 0xfff
	v_fma_f64 v[9:10], -v[5:6], v[7:8], 1.0
	v_fma_f64 v[7:8], v[7:8], v[9:10], v[7:8]
	s_delay_alu instid0(VALU_DEP_1) | instskip(NEXT) | instid1(VALU_DEP_1)
	v_fma_f64 v[9:10], -v[5:6], v[7:8], 1.0
	v_fma_f64 v[7:8], v[7:8], v[9:10], v[7:8]
	s_delay_alu instid0(VALU_DEP_1) | instskip(NEXT) | instid1(VALU_DEP_1)
	v_mul_f64 v[9:10], v[11:12], v[7:8]
	v_fma_f64 v[5:6], -v[5:6], v[9:10], v[11:12]
	s_delay_alu instid0(VALU_DEP_1) | instskip(NEXT) | instid1(VALU_DEP_1)
	v_div_fmas_f64 v[5:6], v[5:6], v[7:8], v[9:10]
	v_div_fixup_f64 v[5:6], v[5:6], v[2:3], v[0:1]
	s_delay_alu instid0(VALU_DEP_1) | instskip(NEXT) | instid1(VALU_DEP_1)
	v_fma_f64 v[0:1], v[0:1], v[5:6], v[2:3]
	v_div_scale_f64 v[2:3], null, v[0:1], v[0:1], 1.0
	s_delay_alu instid0(VALU_DEP_1) | instskip(SKIP_2) | instid1(VALU_DEP_1)
	v_rcp_f64_e32 v[7:8], v[2:3]
	s_waitcnt_depctr 0xfff
	v_fma_f64 v[9:10], -v[2:3], v[7:8], 1.0
	v_fma_f64 v[7:8], v[7:8], v[9:10], v[7:8]
	s_delay_alu instid0(VALU_DEP_1) | instskip(NEXT) | instid1(VALU_DEP_1)
	v_fma_f64 v[9:10], -v[2:3], v[7:8], 1.0
	v_fma_f64 v[7:8], v[7:8], v[9:10], v[7:8]
	v_div_scale_f64 v[9:10], vcc_lo, 1.0, v[0:1], 1.0
	s_delay_alu instid0(VALU_DEP_1) | instskip(NEXT) | instid1(VALU_DEP_1)
	v_mul_f64 v[11:12], v[9:10], v[7:8]
	v_fma_f64 v[2:3], -v[2:3], v[11:12], v[9:10]
	s_delay_alu instid0(VALU_DEP_1) | instskip(NEXT) | instid1(VALU_DEP_1)
	v_div_fmas_f64 v[2:3], v[2:3], v[7:8], v[11:12]
	v_div_fixup_f64 v[2:3], v[2:3], v[0:1], 1.0
	s_delay_alu instid0(VALU_DEP_1)
	v_mul_f64 v[0:1], v[5:6], v[2:3]
	v_xor_b32_e32 v3, 0x80000000, v3
.LBB126_705:
	s_and_not1_saveexec_b32 s2, s2
	s_cbranch_execz .LBB126_707
; %bb.706:
	s_delay_alu instid0(VALU_DEP_1) | instskip(SKIP_1) | instid1(VALU_DEP_2)
	v_div_scale_f64 v[5:6], null, v[0:1], v[0:1], v[2:3]
	v_div_scale_f64 v[11:12], vcc_lo, v[2:3], v[0:1], v[2:3]
	v_rcp_f64_e32 v[7:8], v[5:6]
	s_waitcnt_depctr 0xfff
	v_fma_f64 v[9:10], -v[5:6], v[7:8], 1.0
	s_delay_alu instid0(VALU_DEP_1) | instskip(NEXT) | instid1(VALU_DEP_1)
	v_fma_f64 v[7:8], v[7:8], v[9:10], v[7:8]
	v_fma_f64 v[9:10], -v[5:6], v[7:8], 1.0
	s_delay_alu instid0(VALU_DEP_1) | instskip(NEXT) | instid1(VALU_DEP_1)
	v_fma_f64 v[7:8], v[7:8], v[9:10], v[7:8]
	v_mul_f64 v[9:10], v[11:12], v[7:8]
	s_delay_alu instid0(VALU_DEP_1) | instskip(NEXT) | instid1(VALU_DEP_1)
	v_fma_f64 v[5:6], -v[5:6], v[9:10], v[11:12]
	v_div_fmas_f64 v[5:6], v[5:6], v[7:8], v[9:10]
	s_delay_alu instid0(VALU_DEP_1) | instskip(NEXT) | instid1(VALU_DEP_1)
	v_div_fixup_f64 v[5:6], v[5:6], v[0:1], v[2:3]
	v_fma_f64 v[0:1], v[2:3], v[5:6], v[0:1]
	s_delay_alu instid0(VALU_DEP_1) | instskip(NEXT) | instid1(VALU_DEP_1)
	v_div_scale_f64 v[2:3], null, v[0:1], v[0:1], 1.0
	v_rcp_f64_e32 v[7:8], v[2:3]
	s_waitcnt_depctr 0xfff
	v_fma_f64 v[9:10], -v[2:3], v[7:8], 1.0
	s_delay_alu instid0(VALU_DEP_1) | instskip(NEXT) | instid1(VALU_DEP_1)
	v_fma_f64 v[7:8], v[7:8], v[9:10], v[7:8]
	v_fma_f64 v[9:10], -v[2:3], v[7:8], 1.0
	s_delay_alu instid0(VALU_DEP_1) | instskip(SKIP_1) | instid1(VALU_DEP_1)
	v_fma_f64 v[7:8], v[7:8], v[9:10], v[7:8]
	v_div_scale_f64 v[9:10], vcc_lo, 1.0, v[0:1], 1.0
	v_mul_f64 v[11:12], v[9:10], v[7:8]
	s_delay_alu instid0(VALU_DEP_1) | instskip(NEXT) | instid1(VALU_DEP_1)
	v_fma_f64 v[2:3], -v[2:3], v[11:12], v[9:10]
	v_div_fmas_f64 v[2:3], v[2:3], v[7:8], v[11:12]
	s_delay_alu instid0(VALU_DEP_1) | instskip(NEXT) | instid1(VALU_DEP_1)
	v_div_fixup_f64 v[0:1], v[2:3], v[0:1], 1.0
	v_mul_f64 v[2:3], v[5:6], -v[0:1]
.LBB126_707:
	s_or_b32 exec_lo, exec_lo, s2
.LBB126_708:
	s_delay_alu instid0(SALU_CYCLE_1) | instskip(NEXT) | instid1(SALU_CYCLE_1)
	s_or_b32 exec_lo, exec_lo, s3
	s_mov_b32 s2, exec_lo
	v_cmpx_ne_u32_e64 v41, v4
	s_xor_b32 s2, exec_lo, s2
	s_cbranch_execz .LBB126_714
; %bb.709:
	s_mov_b32 s3, exec_lo
	v_cmpx_eq_u32_e32 28, v41
	s_cbranch_execz .LBB126_713
; %bb.710:
	v_cmp_ne_u32_e32 vcc_lo, 28, v4
	s_xor_b32 s6, s4, -1
	s_delay_alu instid0(SALU_CYCLE_1) | instskip(NEXT) | instid1(SALU_CYCLE_1)
	s_and_b32 s7, s6, vcc_lo
	s_and_saveexec_b32 s6, s7
	s_cbranch_execz .LBB126_712
; %bb.711:
	v_ashrrev_i32_e32 v5, 31, v4
	s_delay_alu instid0(VALU_DEP_1) | instskip(NEXT) | instid1(VALU_DEP_1)
	v_lshlrev_b64 v[5:6], 2, v[4:5]
	v_add_co_u32 v5, vcc_lo, v250, v5
	s_delay_alu instid0(VALU_DEP_2)
	v_add_co_ci_u32_e32 v6, vcc_lo, v251, v6, vcc_lo
	s_clause 0x1
	flat_load_b32 v7, v[5:6]
	flat_load_b32 v8, v[250:251] offset:112
	s_waitcnt vmcnt(1) lgkmcnt(1)
	flat_store_b32 v[250:251], v7 offset:112
	s_waitcnt vmcnt(0) lgkmcnt(1)
	flat_store_b32 v[5:6], v8
.LBB126_712:
	s_or_b32 exec_lo, exec_lo, s6
	v_mov_b32_e32 v41, v4
	v_mov_b32_e32 v39, v4
.LBB126_713:
	s_or_b32 exec_lo, exec_lo, s3
.LBB126_714:
	s_and_not1_saveexec_b32 s2, s2
	s_cbranch_execz .LBB126_716
; %bb.715:
	s_clause 0x1f
	scratch_load_b128 v[4:7], v116, off
	scratch_load_b128 v[8:11], v120, off
	;; [unrolled: 1-line block ×32, first 2 shown]
	s_clause 0x2
	scratch_load_b128 v[238:241], v165, off
	scratch_load_b128 v[242:245], v255, off
	;; [unrolled: 1-line block ×3, first 2 shown]
	v_mov_b32_e32 v41, 28
	s_waitcnt vmcnt(34)
	ds_store_2addr_b64 v36, v[4:5], v[6:7] offset0:58 offset1:59
	s_waitcnt vmcnt(33)
	ds_store_2addr_b64 v36, v[8:9], v[10:11] offset0:60 offset1:61
	;; [unrolled: 2-line block ×35, first 2 shown]
.LBB126_716:
	s_or_b32 exec_lo, exec_lo, s2
	s_delay_alu instid0(SALU_CYCLE_1)
	s_mov_b32 s2, exec_lo
	s_waitcnt lgkmcnt(0)
	s_waitcnt_vscnt null, 0x0
	s_barrier
	buffer_gl0_inv
	v_cmpx_lt_i32_e32 28, v41
	s_cbranch_execz .LBB126_719
; %bb.717:
	scratch_load_b128 v[4:7], off, off offset:448
	s_mov_b32 s3, 0
	s_waitcnt vmcnt(0)
	v_mul_f64 v[8:9], v[2:3], v[6:7]
	v_mul_f64 v[6:7], v[0:1], v[6:7]
	s_delay_alu instid0(VALU_DEP_2) | instskip(NEXT) | instid1(VALU_DEP_2)
	v_fma_f64 v[0:1], v[0:1], v[4:5], -v[8:9]
	v_fma_f64 v[2:3], v[2:3], v[4:5], v[6:7]
	v_add3_u32 v4, v38, 0, 0x1d0
	v_mov_b32_e32 v5, 0
	scratch_store_b128 off, v[0:3], off offset:448
.LBB126_718:                            ; =>This Inner Loop Header: Depth=1
	v_add_nc_u32_e32 v59, s3, v4
	v_readfirstlane_b32 s6, v5
	ds_load_2addr_b64 v[6:9], v59 offset1:1
	ds_load_2addr_b64 v[10:13], v59 offset0:2 offset1:3
	ds_load_2addr_b64 v[14:17], v59 offset0:4 offset1:5
	;; [unrolled: 1-line block ×5, first 2 shown]
	s_add_i32 s6, s6, s3
	s_addk_i32 s3, 0x70
	s_add_i32 s7, s6, 0x1d0
	s_add_i32 s9, s6, 0x1e0
	;; [unrolled: 1-line block ×6, first 2 shown]
	s_addk_i32 s6, 0x230
	s_cmpk_lg_i32 s3, 0x230
	s_waitcnt lgkmcnt(5)
	v_mul_f64 v[18:19], v[8:9], v[2:3]
	v_mul_f64 v[46:47], v[6:7], v[2:3]
	s_waitcnt lgkmcnt(4)
	v_mul_f64 v[57:58], v[12:13], v[2:3]
	v_mul_f64 v[61:62], v[10:11], v[2:3]
	;; [unrolled: 3-line block ×6, first 2 shown]
	v_fma_f64 v[18:19], v[6:7], v[0:1], -v[18:19]
	v_fma_f64 v[46:47], v[8:9], v[0:1], v[46:47]
	v_fma_f64 v[57:58], v[10:11], v[0:1], -v[57:58]
	v_fma_f64 v[61:62], v[12:13], v[0:1], v[61:62]
	;; [unrolled: 2-line block ×6, first 2 shown]
	scratch_load_b128 v[0:3], off, off offset:448
	s_clause 0x6
	scratch_load_b128 v[6:9], off, s7
	scratch_load_b128 v[10:13], off, s9
	;; [unrolled: 1-line block ×7, first 2 shown]
	ds_load_2addr_b64 v[69:72], v59 offset0:12 offset1:13
	s_waitcnt vmcnt(6)
	v_add_f64 v[6:7], v[6:7], -v[18:19]
	v_add_f64 v[8:9], v[8:9], -v[46:47]
	s_waitcnt vmcnt(5)
	v_add_f64 v[10:11], v[10:11], -v[57:58]
	v_add_f64 v[12:13], v[12:13], -v[61:62]
	s_waitcnt vmcnt(4)
	v_add_f64 v[14:15], v[14:15], -v[81:82]
	s_waitcnt lgkmcnt(0)
	v_mul_f64 v[91:92], v[71:72], v[2:3]
	v_mul_f64 v[93:94], v[69:70], v[2:3]
	v_add_f64 v[16:17], v[16:17], -v[83:84]
	s_waitcnt vmcnt(3)
	v_add_f64 v[42:43], v[42:43], -v[85:86]
	v_add_f64 v[44:45], v[44:45], -v[87:88]
	s_waitcnt vmcnt(2)
	v_add_f64 v[49:50], v[49:50], -v[73:74]
	;; [unrolled: 3-line block ×3, first 2 shown]
	v_add_f64 v[55:56], v[55:56], -v[89:90]
	v_fma_f64 v[69:70], v[69:70], v[0:1], -v[91:92]
	v_fma_f64 v[71:72], v[71:72], v[0:1], v[93:94]
	s_waitcnt vmcnt(0)
	s_delay_alu instid0(VALU_DEP_2) | instskip(NEXT) | instid1(VALU_DEP_2)
	v_add_f64 v[65:66], v[65:66], -v[69:70]
	v_add_f64 v[67:68], v[67:68], -v[71:72]
	s_clause 0x6
	scratch_store_b128 off, v[6:9], s7
	scratch_store_b128 off, v[10:13], s9
	;; [unrolled: 1-line block ×7, first 2 shown]
	s_cbranch_scc1 .LBB126_718
.LBB126_719:
	s_or_b32 exec_lo, exec_lo, s2
	s_waitcnt_vscnt null, 0x0
	s_barrier
	buffer_gl0_inv
	scratch_load_b128 v[0:3], v116, off
	v_lshl_add_u32 v4, v41, 4, v36
	s_cmp_lt_i32 s5, 31
	s_waitcnt vmcnt(0)
	ds_store_2addr_b64 v4, v[0:1], v[2:3] offset1:1
	s_waitcnt lgkmcnt(0)
	s_barrier
	buffer_gl0_inv
	ds_load_2addr_b64 v[0:3], v36 offset0:58 offset1:59
	v_mov_b32_e32 v4, 29
	s_cbranch_scc1 .LBB126_722
; %bb.720:
	v_add3_u32 v5, v38, 0, 0x1e0
	v_mov_b32_e32 v4, 29
	s_mov_b32 s6, 30
	s_set_inst_prefetch_distance 0x1
	.p2align	6
.LBB126_721:                            ; =>This Inner Loop Header: Depth=1
	ds_load_2addr_b64 v[6:9], v5 offset1:1
	s_waitcnt lgkmcnt(1)
	v_cmp_gt_f64_e32 vcc_lo, 0, v[0:1]
	v_xor_b32_e32 v10, 0x80000000, v1
	v_cmp_gt_f64_e64 s2, 0, v[2:3]
	v_xor_b32_e32 v12, 0x80000000, v3
	v_add_nc_u32_e32 v5, 16, v5
	s_waitcnt lgkmcnt(0)
	v_cmp_gt_f64_e64 s3, 0, v[6:7]
	v_mov_b32_e32 v14, v6
	v_dual_mov_b32 v16, v8 :: v_dual_cndmask_b32 v11, v1, v10
	v_xor_b32_e32 v10, 0x80000000, v7
	v_cndmask_b32_e64 v13, v3, v12, s2
	v_xor_b32_e32 v12, 0x80000000, v9
	s_delay_alu instid0(VALU_DEP_3) | instskip(SKIP_2) | instid1(VALU_DEP_2)
	v_cndmask_b32_e64 v15, v7, v10, s3
	v_cmp_gt_f64_e64 s3, 0, v[8:9]
	v_cndmask_b32_e32 v10, v0, v0, vcc_lo
	v_cndmask_b32_e64 v17, v9, v12, s3
	v_cndmask_b32_e64 v12, v2, v2, s2
	s_delay_alu instid0(VALU_DEP_2) | instskip(NEXT) | instid1(VALU_DEP_2)
	v_add_f64 v[14:15], v[14:15], v[16:17]
	v_add_f64 v[10:11], v[10:11], v[12:13]
	s_delay_alu instid0(VALU_DEP_1)
	v_cmp_lt_f64_e32 vcc_lo, v[10:11], v[14:15]
	v_cndmask_b32_e32 v3, v3, v9, vcc_lo
	v_dual_cndmask_b32 v1, v1, v7 :: v_dual_cndmask_b32 v0, v0, v6
	v_cndmask_b32_e32 v2, v2, v8, vcc_lo
	v_cndmask_b32_e64 v4, v4, s6, vcc_lo
	s_add_i32 s6, s6, 1
	s_delay_alu instid0(SALU_CYCLE_1)
	s_cmp_lg_u32 s5, s6
	s_cbranch_scc1 .LBB126_721
.LBB126_722:
	s_set_inst_prefetch_distance 0x2
	s_waitcnt lgkmcnt(0)
	v_cmp_eq_f64_e32 vcc_lo, 0, v[0:1]
	v_cmp_eq_f64_e64 s2, 0, v[2:3]
	s_delay_alu instid0(VALU_DEP_1) | instskip(NEXT) | instid1(SALU_CYCLE_1)
	s_and_b32 s2, vcc_lo, s2
	s_and_saveexec_b32 s3, s2
	s_delay_alu instid0(SALU_CYCLE_1)
	s_xor_b32 s2, exec_lo, s3
; %bb.723:
	v_cmp_ne_u32_e32 vcc_lo, 0, v37
	v_cndmask_b32_e32 v37, 30, v37, vcc_lo
; %bb.724:
	s_and_not1_saveexec_b32 s3, s2
	s_cbranch_execz .LBB126_730
; %bb.725:
	v_cmp_gt_f64_e32 vcc_lo, 0, v[0:1]
	v_cmp_gt_f64_e64 s2, 0, v[2:3]
	v_xor_b32_e32 v5, 0x80000000, v1
	v_xor_b32_e32 v7, 0x80000000, v3
	s_delay_alu instid0(VALU_DEP_2) | instskip(NEXT) | instid1(VALU_DEP_2)
	v_dual_cndmask_b32 v6, v1, v5 :: v_dual_cndmask_b32 v5, v0, v0
	v_cndmask_b32_e64 v8, v3, v7, s2
	v_cndmask_b32_e64 v7, v2, v2, s2
	s_mov_b32 s2, exec_lo
	s_delay_alu instid0(VALU_DEP_1)
	v_cmpx_ngt_f64_e32 v[5:6], v[7:8]
	s_xor_b32 s2, exec_lo, s2
	s_cbranch_execz .LBB126_727
; %bb.726:
	v_div_scale_f64 v[5:6], null, v[2:3], v[2:3], v[0:1]
	v_div_scale_f64 v[11:12], vcc_lo, v[0:1], v[2:3], v[0:1]
	s_delay_alu instid0(VALU_DEP_2) | instskip(SKIP_2) | instid1(VALU_DEP_1)
	v_rcp_f64_e32 v[7:8], v[5:6]
	s_waitcnt_depctr 0xfff
	v_fma_f64 v[9:10], -v[5:6], v[7:8], 1.0
	v_fma_f64 v[7:8], v[7:8], v[9:10], v[7:8]
	s_delay_alu instid0(VALU_DEP_1) | instskip(NEXT) | instid1(VALU_DEP_1)
	v_fma_f64 v[9:10], -v[5:6], v[7:8], 1.0
	v_fma_f64 v[7:8], v[7:8], v[9:10], v[7:8]
	s_delay_alu instid0(VALU_DEP_1) | instskip(NEXT) | instid1(VALU_DEP_1)
	v_mul_f64 v[9:10], v[11:12], v[7:8]
	v_fma_f64 v[5:6], -v[5:6], v[9:10], v[11:12]
	s_delay_alu instid0(VALU_DEP_1) | instskip(NEXT) | instid1(VALU_DEP_1)
	v_div_fmas_f64 v[5:6], v[5:6], v[7:8], v[9:10]
	v_div_fixup_f64 v[5:6], v[5:6], v[2:3], v[0:1]
	s_delay_alu instid0(VALU_DEP_1) | instskip(NEXT) | instid1(VALU_DEP_1)
	v_fma_f64 v[0:1], v[0:1], v[5:6], v[2:3]
	v_div_scale_f64 v[2:3], null, v[0:1], v[0:1], 1.0
	s_delay_alu instid0(VALU_DEP_1) | instskip(SKIP_2) | instid1(VALU_DEP_1)
	v_rcp_f64_e32 v[7:8], v[2:3]
	s_waitcnt_depctr 0xfff
	v_fma_f64 v[9:10], -v[2:3], v[7:8], 1.0
	v_fma_f64 v[7:8], v[7:8], v[9:10], v[7:8]
	s_delay_alu instid0(VALU_DEP_1) | instskip(NEXT) | instid1(VALU_DEP_1)
	v_fma_f64 v[9:10], -v[2:3], v[7:8], 1.0
	v_fma_f64 v[7:8], v[7:8], v[9:10], v[7:8]
	v_div_scale_f64 v[9:10], vcc_lo, 1.0, v[0:1], 1.0
	s_delay_alu instid0(VALU_DEP_1) | instskip(NEXT) | instid1(VALU_DEP_1)
	v_mul_f64 v[11:12], v[9:10], v[7:8]
	v_fma_f64 v[2:3], -v[2:3], v[11:12], v[9:10]
	s_delay_alu instid0(VALU_DEP_1) | instskip(NEXT) | instid1(VALU_DEP_1)
	v_div_fmas_f64 v[2:3], v[2:3], v[7:8], v[11:12]
	v_div_fixup_f64 v[2:3], v[2:3], v[0:1], 1.0
	s_delay_alu instid0(VALU_DEP_1)
	v_mul_f64 v[0:1], v[5:6], v[2:3]
	v_xor_b32_e32 v3, 0x80000000, v3
.LBB126_727:
	s_and_not1_saveexec_b32 s2, s2
	s_cbranch_execz .LBB126_729
; %bb.728:
	s_delay_alu instid0(VALU_DEP_1) | instskip(SKIP_1) | instid1(VALU_DEP_2)
	v_div_scale_f64 v[5:6], null, v[0:1], v[0:1], v[2:3]
	v_div_scale_f64 v[11:12], vcc_lo, v[2:3], v[0:1], v[2:3]
	v_rcp_f64_e32 v[7:8], v[5:6]
	s_waitcnt_depctr 0xfff
	v_fma_f64 v[9:10], -v[5:6], v[7:8], 1.0
	s_delay_alu instid0(VALU_DEP_1) | instskip(NEXT) | instid1(VALU_DEP_1)
	v_fma_f64 v[7:8], v[7:8], v[9:10], v[7:8]
	v_fma_f64 v[9:10], -v[5:6], v[7:8], 1.0
	s_delay_alu instid0(VALU_DEP_1) | instskip(NEXT) | instid1(VALU_DEP_1)
	v_fma_f64 v[7:8], v[7:8], v[9:10], v[7:8]
	v_mul_f64 v[9:10], v[11:12], v[7:8]
	s_delay_alu instid0(VALU_DEP_1) | instskip(NEXT) | instid1(VALU_DEP_1)
	v_fma_f64 v[5:6], -v[5:6], v[9:10], v[11:12]
	v_div_fmas_f64 v[5:6], v[5:6], v[7:8], v[9:10]
	s_delay_alu instid0(VALU_DEP_1) | instskip(NEXT) | instid1(VALU_DEP_1)
	v_div_fixup_f64 v[5:6], v[5:6], v[0:1], v[2:3]
	v_fma_f64 v[0:1], v[2:3], v[5:6], v[0:1]
	s_delay_alu instid0(VALU_DEP_1) | instskip(NEXT) | instid1(VALU_DEP_1)
	v_div_scale_f64 v[2:3], null, v[0:1], v[0:1], 1.0
	v_rcp_f64_e32 v[7:8], v[2:3]
	s_waitcnt_depctr 0xfff
	v_fma_f64 v[9:10], -v[2:3], v[7:8], 1.0
	s_delay_alu instid0(VALU_DEP_1) | instskip(NEXT) | instid1(VALU_DEP_1)
	v_fma_f64 v[7:8], v[7:8], v[9:10], v[7:8]
	v_fma_f64 v[9:10], -v[2:3], v[7:8], 1.0
	s_delay_alu instid0(VALU_DEP_1) | instskip(SKIP_1) | instid1(VALU_DEP_1)
	v_fma_f64 v[7:8], v[7:8], v[9:10], v[7:8]
	v_div_scale_f64 v[9:10], vcc_lo, 1.0, v[0:1], 1.0
	v_mul_f64 v[11:12], v[9:10], v[7:8]
	s_delay_alu instid0(VALU_DEP_1) | instskip(NEXT) | instid1(VALU_DEP_1)
	v_fma_f64 v[2:3], -v[2:3], v[11:12], v[9:10]
	v_div_fmas_f64 v[2:3], v[2:3], v[7:8], v[11:12]
	s_delay_alu instid0(VALU_DEP_1) | instskip(NEXT) | instid1(VALU_DEP_1)
	v_div_fixup_f64 v[0:1], v[2:3], v[0:1], 1.0
	v_mul_f64 v[2:3], v[5:6], -v[0:1]
.LBB126_729:
	s_or_b32 exec_lo, exec_lo, s2
.LBB126_730:
	s_delay_alu instid0(SALU_CYCLE_1) | instskip(NEXT) | instid1(SALU_CYCLE_1)
	s_or_b32 exec_lo, exec_lo, s3
	s_mov_b32 s2, exec_lo
	v_cmpx_ne_u32_e64 v41, v4
	s_xor_b32 s2, exec_lo, s2
	s_cbranch_execz .LBB126_736
; %bb.731:
	s_mov_b32 s3, exec_lo
	v_cmpx_eq_u32_e32 29, v41
	s_cbranch_execz .LBB126_735
; %bb.732:
	v_cmp_ne_u32_e32 vcc_lo, 29, v4
	s_xor_b32 s6, s4, -1
	s_delay_alu instid0(SALU_CYCLE_1) | instskip(NEXT) | instid1(SALU_CYCLE_1)
	s_and_b32 s7, s6, vcc_lo
	s_and_saveexec_b32 s6, s7
	s_cbranch_execz .LBB126_734
; %bb.733:
	v_ashrrev_i32_e32 v5, 31, v4
	s_delay_alu instid0(VALU_DEP_1) | instskip(NEXT) | instid1(VALU_DEP_1)
	v_lshlrev_b64 v[5:6], 2, v[4:5]
	v_add_co_u32 v5, vcc_lo, v250, v5
	s_delay_alu instid0(VALU_DEP_2)
	v_add_co_ci_u32_e32 v6, vcc_lo, v251, v6, vcc_lo
	s_clause 0x1
	flat_load_b32 v7, v[5:6]
	flat_load_b32 v8, v[250:251] offset:116
	s_waitcnt vmcnt(1) lgkmcnt(1)
	flat_store_b32 v[250:251], v7 offset:116
	s_waitcnt vmcnt(0) lgkmcnt(1)
	flat_store_b32 v[5:6], v8
.LBB126_734:
	s_or_b32 exec_lo, exec_lo, s6
	v_mov_b32_e32 v41, v4
	v_mov_b32_e32 v39, v4
.LBB126_735:
	s_or_b32 exec_lo, exec_lo, s3
.LBB126_736:
	s_and_not1_saveexec_b32 s2, s2
	s_cbranch_execz .LBB126_738
; %bb.737:
	s_clause 0x1f
	scratch_load_b128 v[4:7], v120, off
	scratch_load_b128 v[8:11], v124, off
	;; [unrolled: 1-line block ×32, first 2 shown]
	s_clause 0x1
	scratch_load_b128 v[238:241], v255, off
	scratch_load_b128 v[242:245], v163, off
	v_mov_b32_e32 v41, 29
	s_waitcnt vmcnt(33)
	ds_store_2addr_b64 v36, v[4:5], v[6:7] offset0:60 offset1:61
	s_waitcnt vmcnt(32)
	ds_store_2addr_b64 v36, v[8:9], v[10:11] offset0:62 offset1:63
	;; [unrolled: 2-line block ×34, first 2 shown]
.LBB126_738:
	s_or_b32 exec_lo, exec_lo, s2
	s_delay_alu instid0(SALU_CYCLE_1)
	s_mov_b32 s2, exec_lo
	s_waitcnt lgkmcnt(0)
	s_waitcnt_vscnt null, 0x0
	s_barrier
	buffer_gl0_inv
	v_cmpx_lt_i32_e32 29, v41
	s_cbranch_execz .LBB126_741
; %bb.739:
	scratch_load_b128 v[4:7], off, off offset:464
	s_mov_b32 s3, 0
	s_waitcnt vmcnt(0)
	v_mul_f64 v[8:9], v[2:3], v[6:7]
	v_mul_f64 v[6:7], v[0:1], v[6:7]
	s_delay_alu instid0(VALU_DEP_2) | instskip(NEXT) | instid1(VALU_DEP_2)
	v_fma_f64 v[0:1], v[0:1], v[4:5], -v[8:9]
	v_fma_f64 v[2:3], v[2:3], v[4:5], v[6:7]
	v_add3_u32 v4, v38, 0, 0x1e0
	scratch_store_b128 off, v[0:3], off offset:464
	s_set_inst_prefetch_distance 0x1
	.p2align	6
.LBB126_740:                            ; =>This Inner Loop Header: Depth=1
	v_add_nc_u32_e64 v5, s3, 0
	v_add_nc_u32_e32 v17, s3, v4
	s_add_i32 s3, s3, 32
	s_delay_alu instid0(SALU_CYCLE_1) | instskip(NEXT) | instid1(VALU_DEP_2)
	s_cmpk_lg_i32 s3, 0x220
	v_add_nc_u32_e32 v19, 0x1e0, v5
	v_add_nc_u32_e32 v53, 0x1f0, v5
	s_clause 0x1
	scratch_load_b128 v[5:8], v19, off
	scratch_load_b128 v[9:12], v53, off
	ds_load_2addr_b64 v[13:16], v17 offset1:1
	ds_load_2addr_b64 v[42:45], v17 offset0:2 offset1:3
	s_waitcnt lgkmcnt(1)
	v_mul_f64 v[17:18], v[15:16], v[2:3]
	v_mul_f64 v[46:47], v[13:14], v[2:3]
	s_waitcnt lgkmcnt(0)
	v_mul_f64 v[49:50], v[44:45], v[2:3]
	v_mul_f64 v[51:52], v[42:43], v[2:3]
	s_delay_alu instid0(VALU_DEP_4) | instskip(NEXT) | instid1(VALU_DEP_4)
	v_fma_f64 v[13:14], v[13:14], v[0:1], -v[17:18]
	v_fma_f64 v[15:16], v[15:16], v[0:1], v[46:47]
	s_delay_alu instid0(VALU_DEP_4) | instskip(NEXT) | instid1(VALU_DEP_4)
	v_fma_f64 v[17:18], v[42:43], v[0:1], -v[49:50]
	v_fma_f64 v[42:43], v[44:45], v[0:1], v[51:52]
	s_waitcnt vmcnt(1)
	s_delay_alu instid0(VALU_DEP_4) | instskip(NEXT) | instid1(VALU_DEP_4)
	v_add_f64 v[5:6], v[5:6], -v[13:14]
	v_add_f64 v[7:8], v[7:8], -v[15:16]
	s_waitcnt vmcnt(0)
	s_delay_alu instid0(VALU_DEP_4) | instskip(NEXT) | instid1(VALU_DEP_4)
	v_add_f64 v[9:10], v[9:10], -v[17:18]
	v_add_f64 v[11:12], v[11:12], -v[42:43]
	s_clause 0x1
	scratch_store_b128 v19, v[5:8], off
	scratch_store_b128 v53, v[9:12], off
	s_cbranch_scc1 .LBB126_740
.LBB126_741:
	s_set_inst_prefetch_distance 0x2
	s_or_b32 exec_lo, exec_lo, s2
	s_waitcnt_vscnt null, 0x0
	s_barrier
	buffer_gl0_inv
	scratch_load_b128 v[0:3], v120, off
	v_lshl_add_u32 v4, v41, 4, v36
	s_cmp_lt_i32 s5, 32
	s_waitcnt vmcnt(0)
	ds_store_2addr_b64 v4, v[0:1], v[2:3] offset1:1
	s_waitcnt lgkmcnt(0)
	s_barrier
	buffer_gl0_inv
	ds_load_2addr_b64 v[0:3], v36 offset0:60 offset1:61
	v_mov_b32_e32 v4, 30
	s_cbranch_scc1 .LBB126_744
; %bb.742:
	v_add3_u32 v5, v38, 0, 0x1f0
	v_mov_b32_e32 v4, 30
	s_mov_b32 s6, 31
	s_set_inst_prefetch_distance 0x1
	.p2align	6
.LBB126_743:                            ; =>This Inner Loop Header: Depth=1
	ds_load_2addr_b64 v[6:9], v5 offset1:1
	s_waitcnt lgkmcnt(1)
	v_cmp_gt_f64_e32 vcc_lo, 0, v[0:1]
	v_xor_b32_e32 v10, 0x80000000, v1
	v_cmp_gt_f64_e64 s2, 0, v[2:3]
	v_xor_b32_e32 v12, 0x80000000, v3
	v_add_nc_u32_e32 v5, 16, v5
	s_waitcnt lgkmcnt(0)
	v_cmp_gt_f64_e64 s3, 0, v[6:7]
	v_mov_b32_e32 v14, v6
	v_dual_mov_b32 v16, v8 :: v_dual_cndmask_b32 v11, v1, v10
	v_xor_b32_e32 v10, 0x80000000, v7
	v_cndmask_b32_e64 v13, v3, v12, s2
	v_xor_b32_e32 v12, 0x80000000, v9
	s_delay_alu instid0(VALU_DEP_3) | instskip(SKIP_2) | instid1(VALU_DEP_2)
	v_cndmask_b32_e64 v15, v7, v10, s3
	v_cmp_gt_f64_e64 s3, 0, v[8:9]
	v_cndmask_b32_e32 v10, v0, v0, vcc_lo
	v_cndmask_b32_e64 v17, v9, v12, s3
	v_cndmask_b32_e64 v12, v2, v2, s2
	s_delay_alu instid0(VALU_DEP_2) | instskip(NEXT) | instid1(VALU_DEP_2)
	v_add_f64 v[14:15], v[14:15], v[16:17]
	v_add_f64 v[10:11], v[10:11], v[12:13]
	s_delay_alu instid0(VALU_DEP_1)
	v_cmp_lt_f64_e32 vcc_lo, v[10:11], v[14:15]
	v_cndmask_b32_e32 v3, v3, v9, vcc_lo
	v_dual_cndmask_b32 v1, v1, v7 :: v_dual_cndmask_b32 v0, v0, v6
	v_cndmask_b32_e32 v2, v2, v8, vcc_lo
	v_cndmask_b32_e64 v4, v4, s6, vcc_lo
	s_add_i32 s6, s6, 1
	s_delay_alu instid0(SALU_CYCLE_1)
	s_cmp_lg_u32 s5, s6
	s_cbranch_scc1 .LBB126_743
.LBB126_744:
	s_set_inst_prefetch_distance 0x2
	s_waitcnt lgkmcnt(0)
	v_cmp_eq_f64_e32 vcc_lo, 0, v[0:1]
	v_cmp_eq_f64_e64 s2, 0, v[2:3]
	s_delay_alu instid0(VALU_DEP_1) | instskip(NEXT) | instid1(SALU_CYCLE_1)
	s_and_b32 s2, vcc_lo, s2
	s_and_saveexec_b32 s3, s2
	s_delay_alu instid0(SALU_CYCLE_1)
	s_xor_b32 s2, exec_lo, s3
; %bb.745:
	v_cmp_ne_u32_e32 vcc_lo, 0, v37
	v_cndmask_b32_e32 v37, 31, v37, vcc_lo
; %bb.746:
	s_and_not1_saveexec_b32 s3, s2
	s_cbranch_execz .LBB126_752
; %bb.747:
	v_cmp_gt_f64_e32 vcc_lo, 0, v[0:1]
	v_cmp_gt_f64_e64 s2, 0, v[2:3]
	v_xor_b32_e32 v5, 0x80000000, v1
	v_xor_b32_e32 v7, 0x80000000, v3
	s_delay_alu instid0(VALU_DEP_2) | instskip(NEXT) | instid1(VALU_DEP_2)
	v_dual_cndmask_b32 v6, v1, v5 :: v_dual_cndmask_b32 v5, v0, v0
	v_cndmask_b32_e64 v8, v3, v7, s2
	v_cndmask_b32_e64 v7, v2, v2, s2
	s_mov_b32 s2, exec_lo
	s_delay_alu instid0(VALU_DEP_1)
	v_cmpx_ngt_f64_e32 v[5:6], v[7:8]
	s_xor_b32 s2, exec_lo, s2
	s_cbranch_execz .LBB126_749
; %bb.748:
	v_div_scale_f64 v[5:6], null, v[2:3], v[2:3], v[0:1]
	v_div_scale_f64 v[11:12], vcc_lo, v[0:1], v[2:3], v[0:1]
	s_delay_alu instid0(VALU_DEP_2) | instskip(SKIP_2) | instid1(VALU_DEP_1)
	v_rcp_f64_e32 v[7:8], v[5:6]
	s_waitcnt_depctr 0xfff
	v_fma_f64 v[9:10], -v[5:6], v[7:8], 1.0
	v_fma_f64 v[7:8], v[7:8], v[9:10], v[7:8]
	s_delay_alu instid0(VALU_DEP_1) | instskip(NEXT) | instid1(VALU_DEP_1)
	v_fma_f64 v[9:10], -v[5:6], v[7:8], 1.0
	v_fma_f64 v[7:8], v[7:8], v[9:10], v[7:8]
	s_delay_alu instid0(VALU_DEP_1) | instskip(NEXT) | instid1(VALU_DEP_1)
	v_mul_f64 v[9:10], v[11:12], v[7:8]
	v_fma_f64 v[5:6], -v[5:6], v[9:10], v[11:12]
	s_delay_alu instid0(VALU_DEP_1) | instskip(NEXT) | instid1(VALU_DEP_1)
	v_div_fmas_f64 v[5:6], v[5:6], v[7:8], v[9:10]
	v_div_fixup_f64 v[5:6], v[5:6], v[2:3], v[0:1]
	s_delay_alu instid0(VALU_DEP_1) | instskip(NEXT) | instid1(VALU_DEP_1)
	v_fma_f64 v[0:1], v[0:1], v[5:6], v[2:3]
	v_div_scale_f64 v[2:3], null, v[0:1], v[0:1], 1.0
	s_delay_alu instid0(VALU_DEP_1) | instskip(SKIP_2) | instid1(VALU_DEP_1)
	v_rcp_f64_e32 v[7:8], v[2:3]
	s_waitcnt_depctr 0xfff
	v_fma_f64 v[9:10], -v[2:3], v[7:8], 1.0
	v_fma_f64 v[7:8], v[7:8], v[9:10], v[7:8]
	s_delay_alu instid0(VALU_DEP_1) | instskip(NEXT) | instid1(VALU_DEP_1)
	v_fma_f64 v[9:10], -v[2:3], v[7:8], 1.0
	v_fma_f64 v[7:8], v[7:8], v[9:10], v[7:8]
	v_div_scale_f64 v[9:10], vcc_lo, 1.0, v[0:1], 1.0
	s_delay_alu instid0(VALU_DEP_1) | instskip(NEXT) | instid1(VALU_DEP_1)
	v_mul_f64 v[11:12], v[9:10], v[7:8]
	v_fma_f64 v[2:3], -v[2:3], v[11:12], v[9:10]
	s_delay_alu instid0(VALU_DEP_1) | instskip(NEXT) | instid1(VALU_DEP_1)
	v_div_fmas_f64 v[2:3], v[2:3], v[7:8], v[11:12]
	v_div_fixup_f64 v[2:3], v[2:3], v[0:1], 1.0
	s_delay_alu instid0(VALU_DEP_1)
	v_mul_f64 v[0:1], v[5:6], v[2:3]
	v_xor_b32_e32 v3, 0x80000000, v3
.LBB126_749:
	s_and_not1_saveexec_b32 s2, s2
	s_cbranch_execz .LBB126_751
; %bb.750:
	s_delay_alu instid0(VALU_DEP_1) | instskip(SKIP_1) | instid1(VALU_DEP_2)
	v_div_scale_f64 v[5:6], null, v[0:1], v[0:1], v[2:3]
	v_div_scale_f64 v[11:12], vcc_lo, v[2:3], v[0:1], v[2:3]
	v_rcp_f64_e32 v[7:8], v[5:6]
	s_waitcnt_depctr 0xfff
	v_fma_f64 v[9:10], -v[5:6], v[7:8], 1.0
	s_delay_alu instid0(VALU_DEP_1) | instskip(NEXT) | instid1(VALU_DEP_1)
	v_fma_f64 v[7:8], v[7:8], v[9:10], v[7:8]
	v_fma_f64 v[9:10], -v[5:6], v[7:8], 1.0
	s_delay_alu instid0(VALU_DEP_1) | instskip(NEXT) | instid1(VALU_DEP_1)
	v_fma_f64 v[7:8], v[7:8], v[9:10], v[7:8]
	v_mul_f64 v[9:10], v[11:12], v[7:8]
	s_delay_alu instid0(VALU_DEP_1) | instskip(NEXT) | instid1(VALU_DEP_1)
	v_fma_f64 v[5:6], -v[5:6], v[9:10], v[11:12]
	v_div_fmas_f64 v[5:6], v[5:6], v[7:8], v[9:10]
	s_delay_alu instid0(VALU_DEP_1) | instskip(NEXT) | instid1(VALU_DEP_1)
	v_div_fixup_f64 v[5:6], v[5:6], v[0:1], v[2:3]
	v_fma_f64 v[0:1], v[2:3], v[5:6], v[0:1]
	s_delay_alu instid0(VALU_DEP_1) | instskip(NEXT) | instid1(VALU_DEP_1)
	v_div_scale_f64 v[2:3], null, v[0:1], v[0:1], 1.0
	v_rcp_f64_e32 v[7:8], v[2:3]
	s_waitcnt_depctr 0xfff
	v_fma_f64 v[9:10], -v[2:3], v[7:8], 1.0
	s_delay_alu instid0(VALU_DEP_1) | instskip(NEXT) | instid1(VALU_DEP_1)
	v_fma_f64 v[7:8], v[7:8], v[9:10], v[7:8]
	v_fma_f64 v[9:10], -v[2:3], v[7:8], 1.0
	s_delay_alu instid0(VALU_DEP_1) | instskip(SKIP_1) | instid1(VALU_DEP_1)
	v_fma_f64 v[7:8], v[7:8], v[9:10], v[7:8]
	v_div_scale_f64 v[9:10], vcc_lo, 1.0, v[0:1], 1.0
	v_mul_f64 v[11:12], v[9:10], v[7:8]
	s_delay_alu instid0(VALU_DEP_1) | instskip(NEXT) | instid1(VALU_DEP_1)
	v_fma_f64 v[2:3], -v[2:3], v[11:12], v[9:10]
	v_div_fmas_f64 v[2:3], v[2:3], v[7:8], v[11:12]
	s_delay_alu instid0(VALU_DEP_1) | instskip(NEXT) | instid1(VALU_DEP_1)
	v_div_fixup_f64 v[0:1], v[2:3], v[0:1], 1.0
	v_mul_f64 v[2:3], v[5:6], -v[0:1]
.LBB126_751:
	s_or_b32 exec_lo, exec_lo, s2
.LBB126_752:
	s_delay_alu instid0(SALU_CYCLE_1) | instskip(NEXT) | instid1(SALU_CYCLE_1)
	s_or_b32 exec_lo, exec_lo, s3
	s_mov_b32 s2, exec_lo
	v_cmpx_ne_u32_e64 v41, v4
	s_xor_b32 s2, exec_lo, s2
	s_cbranch_execz .LBB126_758
; %bb.753:
	s_mov_b32 s3, exec_lo
	v_cmpx_eq_u32_e32 30, v41
	s_cbranch_execz .LBB126_757
; %bb.754:
	v_cmp_ne_u32_e32 vcc_lo, 30, v4
	s_xor_b32 s6, s4, -1
	s_delay_alu instid0(SALU_CYCLE_1) | instskip(NEXT) | instid1(SALU_CYCLE_1)
	s_and_b32 s7, s6, vcc_lo
	s_and_saveexec_b32 s6, s7
	s_cbranch_execz .LBB126_756
; %bb.755:
	v_ashrrev_i32_e32 v5, 31, v4
	s_delay_alu instid0(VALU_DEP_1) | instskip(NEXT) | instid1(VALU_DEP_1)
	v_lshlrev_b64 v[5:6], 2, v[4:5]
	v_add_co_u32 v5, vcc_lo, v250, v5
	s_delay_alu instid0(VALU_DEP_2)
	v_add_co_ci_u32_e32 v6, vcc_lo, v251, v6, vcc_lo
	s_clause 0x1
	flat_load_b32 v7, v[5:6]
	flat_load_b32 v8, v[250:251] offset:120
	s_waitcnt vmcnt(1) lgkmcnt(1)
	flat_store_b32 v[250:251], v7 offset:120
	s_waitcnt vmcnt(0) lgkmcnt(1)
	flat_store_b32 v[5:6], v8
.LBB126_756:
	s_or_b32 exec_lo, exec_lo, s6
	v_mov_b32_e32 v41, v4
	v_mov_b32_e32 v39, v4
.LBB126_757:
	s_or_b32 exec_lo, exec_lo, s3
.LBB126_758:
	s_and_not1_saveexec_b32 s2, s2
	s_cbranch_execz .LBB126_760
; %bb.759:
	s_clause 0x1f
	scratch_load_b128 v[4:7], v124, off
	scratch_load_b128 v[8:11], v128, off
	;; [unrolled: 1-line block ×33, first 2 shown]
	v_mov_b32_e32 v41, 30
	s_waitcnt vmcnt(32)
	ds_store_2addr_b64 v36, v[4:5], v[6:7] offset0:62 offset1:63
	s_waitcnt vmcnt(31)
	ds_store_2addr_b64 v36, v[8:9], v[10:11] offset0:64 offset1:65
	;; [unrolled: 2-line block ×33, first 2 shown]
.LBB126_760:
	s_or_b32 exec_lo, exec_lo, s2
	s_delay_alu instid0(SALU_CYCLE_1)
	s_mov_b32 s2, exec_lo
	s_waitcnt lgkmcnt(0)
	s_waitcnt_vscnt null, 0x0
	s_barrier
	buffer_gl0_inv
	v_cmpx_lt_i32_e32 30, v41
	s_cbranch_execz .LBB126_763
; %bb.761:
	scratch_load_b128 v[4:7], off, off offset:480
	s_mov_b32 s3, 0
	s_waitcnt vmcnt(0)
	v_mul_f64 v[8:9], v[2:3], v[6:7]
	v_mul_f64 v[6:7], v[0:1], v[6:7]
	s_delay_alu instid0(VALU_DEP_2) | instskip(NEXT) | instid1(VALU_DEP_2)
	v_fma_f64 v[0:1], v[0:1], v[4:5], -v[8:9]
	v_fma_f64 v[2:3], v[2:3], v[4:5], v[6:7]
	v_add3_u32 v4, v38, 0, 0x1f0
	v_mov_b32_e32 v5, 0
	scratch_store_b128 off, v[0:3], off offset:480
.LBB126_762:                            ; =>This Inner Loop Header: Depth=1
	v_readfirstlane_b32 s6, v5
	v_add_nc_u32_e32 v18, s3, v4
	s_delay_alu instid0(VALU_DEP_2)
	s_add_i32 s6, s6, s3
	s_add_i32 s3, s3, 48
	;; [unrolled: 1-line block ×4, first 2 shown]
	s_addk_i32 s6, 0x210
	s_clause 0x2
	scratch_load_b128 v[6:9], off, s7
	scratch_load_b128 v[10:13], off, s9
	;; [unrolled: 1-line block ×3, first 2 shown]
	ds_load_2addr_b64 v[42:45], v18 offset1:1
	ds_load_2addr_b64 v[49:52], v18 offset0:2 offset1:3
	ds_load_2addr_b64 v[53:56], v18 offset0:4 offset1:5
	s_cmpk_lg_i32 s3, 0x210
	s_waitcnt lgkmcnt(2)
	v_mul_f64 v[18:19], v[44:45], v[2:3]
	v_mul_f64 v[46:47], v[42:43], v[2:3]
	s_waitcnt lgkmcnt(1)
	v_mul_f64 v[57:58], v[51:52], v[2:3]
	v_mul_f64 v[61:62], v[49:50], v[2:3]
	;; [unrolled: 3-line block ×3, first 2 shown]
	v_fma_f64 v[18:19], v[42:43], v[0:1], -v[18:19]
	v_fma_f64 v[42:43], v[44:45], v[0:1], v[46:47]
	v_fma_f64 v[44:45], v[49:50], v[0:1], -v[57:58]
	v_fma_f64 v[46:47], v[51:52], v[0:1], v[61:62]
	;; [unrolled: 2-line block ×3, first 2 shown]
	s_waitcnt vmcnt(2)
	v_add_f64 v[6:7], v[6:7], -v[18:19]
	v_add_f64 v[8:9], v[8:9], -v[42:43]
	s_waitcnt vmcnt(1)
	v_add_f64 v[10:11], v[10:11], -v[44:45]
	v_add_f64 v[12:13], v[12:13], -v[46:47]
	;; [unrolled: 3-line block ×3, first 2 shown]
	s_clause 0x2
	scratch_store_b128 off, v[6:9], s7
	scratch_store_b128 off, v[10:13], s9
	;; [unrolled: 1-line block ×3, first 2 shown]
	s_cbranch_scc1 .LBB126_762
.LBB126_763:
	s_or_b32 exec_lo, exec_lo, s2
	s_waitcnt_vscnt null, 0x0
	s_barrier
	buffer_gl0_inv
	scratch_load_b128 v[0:3], v124, off
	v_lshl_add_u32 v4, v41, 4, v36
	s_cmp_lt_i32 s5, 33
	s_waitcnt vmcnt(0)
	ds_store_2addr_b64 v4, v[0:1], v[2:3] offset1:1
	s_waitcnt lgkmcnt(0)
	s_barrier
	buffer_gl0_inv
	ds_load_2addr_b64 v[0:3], v36 offset0:62 offset1:63
	v_mov_b32_e32 v4, 31
	s_cbranch_scc1 .LBB126_766
; %bb.764:
	v_add3_u32 v5, v38, 0, 0x200
	v_mov_b32_e32 v4, 31
	s_mov_b32 s6, 32
	s_set_inst_prefetch_distance 0x1
	.p2align	6
.LBB126_765:                            ; =>This Inner Loop Header: Depth=1
	ds_load_2addr_b64 v[6:9], v5 offset1:1
	s_waitcnt lgkmcnt(1)
	v_cmp_gt_f64_e32 vcc_lo, 0, v[0:1]
	v_xor_b32_e32 v10, 0x80000000, v1
	v_cmp_gt_f64_e64 s2, 0, v[2:3]
	v_xor_b32_e32 v12, 0x80000000, v3
	v_add_nc_u32_e32 v5, 16, v5
	s_waitcnt lgkmcnt(0)
	v_cmp_gt_f64_e64 s3, 0, v[6:7]
	v_mov_b32_e32 v14, v6
	v_dual_mov_b32 v16, v8 :: v_dual_cndmask_b32 v11, v1, v10
	v_xor_b32_e32 v10, 0x80000000, v7
	v_cndmask_b32_e64 v13, v3, v12, s2
	v_xor_b32_e32 v12, 0x80000000, v9
	s_delay_alu instid0(VALU_DEP_3) | instskip(SKIP_2) | instid1(VALU_DEP_2)
	v_cndmask_b32_e64 v15, v7, v10, s3
	v_cmp_gt_f64_e64 s3, 0, v[8:9]
	v_cndmask_b32_e32 v10, v0, v0, vcc_lo
	v_cndmask_b32_e64 v17, v9, v12, s3
	v_cndmask_b32_e64 v12, v2, v2, s2
	s_delay_alu instid0(VALU_DEP_2) | instskip(NEXT) | instid1(VALU_DEP_2)
	v_add_f64 v[14:15], v[14:15], v[16:17]
	v_add_f64 v[10:11], v[10:11], v[12:13]
	s_delay_alu instid0(VALU_DEP_1)
	v_cmp_lt_f64_e32 vcc_lo, v[10:11], v[14:15]
	v_cndmask_b32_e32 v3, v3, v9, vcc_lo
	v_dual_cndmask_b32 v1, v1, v7 :: v_dual_cndmask_b32 v0, v0, v6
	v_cndmask_b32_e32 v2, v2, v8, vcc_lo
	v_cndmask_b32_e64 v4, v4, s6, vcc_lo
	s_add_i32 s6, s6, 1
	s_delay_alu instid0(SALU_CYCLE_1)
	s_cmp_lg_u32 s5, s6
	s_cbranch_scc1 .LBB126_765
.LBB126_766:
	s_set_inst_prefetch_distance 0x2
	s_waitcnt lgkmcnt(0)
	v_cmp_eq_f64_e32 vcc_lo, 0, v[0:1]
	v_cmp_eq_f64_e64 s2, 0, v[2:3]
	s_delay_alu instid0(VALU_DEP_1) | instskip(NEXT) | instid1(SALU_CYCLE_1)
	s_and_b32 s2, vcc_lo, s2
	s_and_saveexec_b32 s3, s2
	s_delay_alu instid0(SALU_CYCLE_1)
	s_xor_b32 s2, exec_lo, s3
; %bb.767:
	v_cmp_ne_u32_e32 vcc_lo, 0, v37
	v_cndmask_b32_e32 v37, 32, v37, vcc_lo
; %bb.768:
	s_and_not1_saveexec_b32 s3, s2
	s_cbranch_execz .LBB126_774
; %bb.769:
	v_cmp_gt_f64_e32 vcc_lo, 0, v[0:1]
	v_cmp_gt_f64_e64 s2, 0, v[2:3]
	v_xor_b32_e32 v5, 0x80000000, v1
	v_xor_b32_e32 v7, 0x80000000, v3
	s_delay_alu instid0(VALU_DEP_2) | instskip(NEXT) | instid1(VALU_DEP_2)
	v_dual_cndmask_b32 v6, v1, v5 :: v_dual_cndmask_b32 v5, v0, v0
	v_cndmask_b32_e64 v8, v3, v7, s2
	v_cndmask_b32_e64 v7, v2, v2, s2
	s_mov_b32 s2, exec_lo
	s_delay_alu instid0(VALU_DEP_1)
	v_cmpx_ngt_f64_e32 v[5:6], v[7:8]
	s_xor_b32 s2, exec_lo, s2
	s_cbranch_execz .LBB126_771
; %bb.770:
	v_div_scale_f64 v[5:6], null, v[2:3], v[2:3], v[0:1]
	v_div_scale_f64 v[11:12], vcc_lo, v[0:1], v[2:3], v[0:1]
	s_delay_alu instid0(VALU_DEP_2) | instskip(SKIP_2) | instid1(VALU_DEP_1)
	v_rcp_f64_e32 v[7:8], v[5:6]
	s_waitcnt_depctr 0xfff
	v_fma_f64 v[9:10], -v[5:6], v[7:8], 1.0
	v_fma_f64 v[7:8], v[7:8], v[9:10], v[7:8]
	s_delay_alu instid0(VALU_DEP_1) | instskip(NEXT) | instid1(VALU_DEP_1)
	v_fma_f64 v[9:10], -v[5:6], v[7:8], 1.0
	v_fma_f64 v[7:8], v[7:8], v[9:10], v[7:8]
	s_delay_alu instid0(VALU_DEP_1) | instskip(NEXT) | instid1(VALU_DEP_1)
	v_mul_f64 v[9:10], v[11:12], v[7:8]
	v_fma_f64 v[5:6], -v[5:6], v[9:10], v[11:12]
	s_delay_alu instid0(VALU_DEP_1) | instskip(NEXT) | instid1(VALU_DEP_1)
	v_div_fmas_f64 v[5:6], v[5:6], v[7:8], v[9:10]
	v_div_fixup_f64 v[5:6], v[5:6], v[2:3], v[0:1]
	s_delay_alu instid0(VALU_DEP_1) | instskip(NEXT) | instid1(VALU_DEP_1)
	v_fma_f64 v[0:1], v[0:1], v[5:6], v[2:3]
	v_div_scale_f64 v[2:3], null, v[0:1], v[0:1], 1.0
	s_delay_alu instid0(VALU_DEP_1) | instskip(SKIP_2) | instid1(VALU_DEP_1)
	v_rcp_f64_e32 v[7:8], v[2:3]
	s_waitcnt_depctr 0xfff
	v_fma_f64 v[9:10], -v[2:3], v[7:8], 1.0
	v_fma_f64 v[7:8], v[7:8], v[9:10], v[7:8]
	s_delay_alu instid0(VALU_DEP_1) | instskip(NEXT) | instid1(VALU_DEP_1)
	v_fma_f64 v[9:10], -v[2:3], v[7:8], 1.0
	v_fma_f64 v[7:8], v[7:8], v[9:10], v[7:8]
	v_div_scale_f64 v[9:10], vcc_lo, 1.0, v[0:1], 1.0
	s_delay_alu instid0(VALU_DEP_1) | instskip(NEXT) | instid1(VALU_DEP_1)
	v_mul_f64 v[11:12], v[9:10], v[7:8]
	v_fma_f64 v[2:3], -v[2:3], v[11:12], v[9:10]
	s_delay_alu instid0(VALU_DEP_1) | instskip(NEXT) | instid1(VALU_DEP_1)
	v_div_fmas_f64 v[2:3], v[2:3], v[7:8], v[11:12]
	v_div_fixup_f64 v[2:3], v[2:3], v[0:1], 1.0
	s_delay_alu instid0(VALU_DEP_1)
	v_mul_f64 v[0:1], v[5:6], v[2:3]
	v_xor_b32_e32 v3, 0x80000000, v3
.LBB126_771:
	s_and_not1_saveexec_b32 s2, s2
	s_cbranch_execz .LBB126_773
; %bb.772:
	s_delay_alu instid0(VALU_DEP_1) | instskip(SKIP_1) | instid1(VALU_DEP_2)
	v_div_scale_f64 v[5:6], null, v[0:1], v[0:1], v[2:3]
	v_div_scale_f64 v[11:12], vcc_lo, v[2:3], v[0:1], v[2:3]
	v_rcp_f64_e32 v[7:8], v[5:6]
	s_waitcnt_depctr 0xfff
	v_fma_f64 v[9:10], -v[5:6], v[7:8], 1.0
	s_delay_alu instid0(VALU_DEP_1) | instskip(NEXT) | instid1(VALU_DEP_1)
	v_fma_f64 v[7:8], v[7:8], v[9:10], v[7:8]
	v_fma_f64 v[9:10], -v[5:6], v[7:8], 1.0
	s_delay_alu instid0(VALU_DEP_1) | instskip(NEXT) | instid1(VALU_DEP_1)
	v_fma_f64 v[7:8], v[7:8], v[9:10], v[7:8]
	v_mul_f64 v[9:10], v[11:12], v[7:8]
	s_delay_alu instid0(VALU_DEP_1) | instskip(NEXT) | instid1(VALU_DEP_1)
	v_fma_f64 v[5:6], -v[5:6], v[9:10], v[11:12]
	v_div_fmas_f64 v[5:6], v[5:6], v[7:8], v[9:10]
	s_delay_alu instid0(VALU_DEP_1) | instskip(NEXT) | instid1(VALU_DEP_1)
	v_div_fixup_f64 v[5:6], v[5:6], v[0:1], v[2:3]
	v_fma_f64 v[0:1], v[2:3], v[5:6], v[0:1]
	s_delay_alu instid0(VALU_DEP_1) | instskip(NEXT) | instid1(VALU_DEP_1)
	v_div_scale_f64 v[2:3], null, v[0:1], v[0:1], 1.0
	v_rcp_f64_e32 v[7:8], v[2:3]
	s_waitcnt_depctr 0xfff
	v_fma_f64 v[9:10], -v[2:3], v[7:8], 1.0
	s_delay_alu instid0(VALU_DEP_1) | instskip(NEXT) | instid1(VALU_DEP_1)
	v_fma_f64 v[7:8], v[7:8], v[9:10], v[7:8]
	v_fma_f64 v[9:10], -v[2:3], v[7:8], 1.0
	s_delay_alu instid0(VALU_DEP_1) | instskip(SKIP_1) | instid1(VALU_DEP_1)
	v_fma_f64 v[7:8], v[7:8], v[9:10], v[7:8]
	v_div_scale_f64 v[9:10], vcc_lo, 1.0, v[0:1], 1.0
	v_mul_f64 v[11:12], v[9:10], v[7:8]
	s_delay_alu instid0(VALU_DEP_1) | instskip(NEXT) | instid1(VALU_DEP_1)
	v_fma_f64 v[2:3], -v[2:3], v[11:12], v[9:10]
	v_div_fmas_f64 v[2:3], v[2:3], v[7:8], v[11:12]
	s_delay_alu instid0(VALU_DEP_1) | instskip(NEXT) | instid1(VALU_DEP_1)
	v_div_fixup_f64 v[0:1], v[2:3], v[0:1], 1.0
	v_mul_f64 v[2:3], v[5:6], -v[0:1]
.LBB126_773:
	s_or_b32 exec_lo, exec_lo, s2
.LBB126_774:
	s_delay_alu instid0(SALU_CYCLE_1) | instskip(NEXT) | instid1(SALU_CYCLE_1)
	s_or_b32 exec_lo, exec_lo, s3
	s_mov_b32 s2, exec_lo
	v_cmpx_ne_u32_e64 v41, v4
	s_xor_b32 s2, exec_lo, s2
	s_cbranch_execz .LBB126_780
; %bb.775:
	s_mov_b32 s3, exec_lo
	v_cmpx_eq_u32_e32 31, v41
	s_cbranch_execz .LBB126_779
; %bb.776:
	v_cmp_ne_u32_e32 vcc_lo, 31, v4
	s_xor_b32 s6, s4, -1
	s_delay_alu instid0(SALU_CYCLE_1) | instskip(NEXT) | instid1(SALU_CYCLE_1)
	s_and_b32 s7, s6, vcc_lo
	s_and_saveexec_b32 s6, s7
	s_cbranch_execz .LBB126_778
; %bb.777:
	v_ashrrev_i32_e32 v5, 31, v4
	s_delay_alu instid0(VALU_DEP_1) | instskip(NEXT) | instid1(VALU_DEP_1)
	v_lshlrev_b64 v[5:6], 2, v[4:5]
	v_add_co_u32 v5, vcc_lo, v250, v5
	s_delay_alu instid0(VALU_DEP_2)
	v_add_co_ci_u32_e32 v6, vcc_lo, v251, v6, vcc_lo
	s_clause 0x1
	flat_load_b32 v7, v[5:6]
	flat_load_b32 v8, v[250:251] offset:124
	s_waitcnt vmcnt(1) lgkmcnt(1)
	flat_store_b32 v[250:251], v7 offset:124
	s_waitcnt vmcnt(0) lgkmcnt(1)
	flat_store_b32 v[5:6], v8
.LBB126_778:
	s_or_b32 exec_lo, exec_lo, s6
	v_mov_b32_e32 v41, v4
	v_mov_b32_e32 v39, v4
.LBB126_779:
	s_or_b32 exec_lo, exec_lo, s3
.LBB126_780:
	s_and_not1_saveexec_b32 s2, s2
	s_cbranch_execz .LBB126_782
; %bb.781:
	s_clause 0x1f
	scratch_load_b128 v[4:7], v128, off
	scratch_load_b128 v[8:11], v135, off
	;; [unrolled: 1-line block ×32, first 2 shown]
	v_mov_b32_e32 v41, 31
	s_waitcnt vmcnt(31)
	ds_store_2addr_b64 v36, v[4:5], v[6:7] offset0:64 offset1:65
	s_waitcnt vmcnt(30)
	ds_store_2addr_b64 v36, v[8:9], v[10:11] offset0:66 offset1:67
	s_waitcnt vmcnt(29)
	ds_store_2addr_b64 v36, v[12:13], v[14:15] offset0:68 offset1:69
	s_waitcnt vmcnt(28)
	ds_store_2addr_b64 v36, v[42:43], v[44:45] offset0:70 offset1:71
	s_waitcnt vmcnt(27)
	ds_store_2addr_b64 v36, v[49:50], v[51:52] offset0:72 offset1:73
	s_waitcnt vmcnt(26)
	ds_store_2addr_b64 v36, v[53:54], v[55:56] offset0:74 offset1:75
	s_waitcnt vmcnt(25)
	ds_store_2addr_b64 v36, v[65:66], v[67:68] offset0:76 offset1:77
	s_waitcnt vmcnt(24)
	ds_store_2addr_b64 v36, v[69:70], v[71:72] offset0:78 offset1:79
	s_waitcnt vmcnt(23)
	ds_store_2addr_b64 v36, v[77:78], v[79:80] offset0:80 offset1:81
	s_waitcnt vmcnt(22)
	ds_store_2addr_b64 v36, v[81:82], v[83:84] offset0:82 offset1:83
	s_waitcnt vmcnt(21)
	ds_store_2addr_b64 v36, v[85:86], v[87:88] offset0:84 offset1:85
	s_waitcnt vmcnt(20)
	ds_store_2addr_b64 v36, v[89:90], v[91:92] offset0:86 offset1:87
	s_waitcnt vmcnt(19)
	ds_store_2addr_b64 v36, v[93:94], v[95:96] offset0:88 offset1:89
	s_waitcnt vmcnt(18)
	ds_store_2addr_b64 v36, v[97:98], v[99:100] offset0:90 offset1:91
	s_waitcnt vmcnt(17)
	ds_store_2addr_b64 v36, v[101:102], v[103:104] offset0:92 offset1:93
	s_waitcnt vmcnt(16)
	ds_store_2addr_b64 v36, v[105:106], v[107:108] offset0:94 offset1:95
	s_waitcnt vmcnt(15)
	ds_store_2addr_b64 v36, v[129:130], v[131:132] offset0:96 offset1:97
	s_waitcnt vmcnt(14)
	ds_store_2addr_b64 v36, v[136:137], v[138:139] offset0:98 offset1:99
	s_waitcnt vmcnt(13)
	ds_store_2addr_b64 v36, v[146:147], v[148:149] offset0:100 offset1:101
	s_waitcnt vmcnt(12)
	ds_store_2addr_b64 v36, v[186:187], v[188:189] offset0:102 offset1:103
	s_waitcnt vmcnt(11)
	ds_store_2addr_b64 v36, v[190:191], v[192:193] offset0:104 offset1:105
	s_waitcnt vmcnt(10)
	ds_store_2addr_b64 v36, v[194:195], v[196:197] offset0:106 offset1:107
	s_waitcnt vmcnt(9)
	ds_store_2addr_b64 v36, v[198:199], v[200:201] offset0:108 offset1:109
	s_waitcnt vmcnt(8)
	ds_store_2addr_b64 v36, v[202:203], v[204:205] offset0:110 offset1:111
	s_waitcnt vmcnt(7)
	ds_store_2addr_b64 v36, v[206:207], v[208:209] offset0:112 offset1:113
	s_waitcnt vmcnt(6)
	ds_store_2addr_b64 v36, v[210:211], v[212:213] offset0:114 offset1:115
	s_waitcnt vmcnt(5)
	ds_store_2addr_b64 v36, v[214:215], v[216:217] offset0:116 offset1:117
	s_waitcnt vmcnt(4)
	ds_store_2addr_b64 v36, v[218:219], v[220:221] offset0:118 offset1:119
	s_waitcnt vmcnt(3)
	ds_store_2addr_b64 v36, v[222:223], v[224:225] offset0:120 offset1:121
	s_waitcnt vmcnt(2)
	ds_store_2addr_b64 v36, v[226:227], v[228:229] offset0:122 offset1:123
	s_waitcnt vmcnt(1)
	ds_store_2addr_b64 v36, v[230:231], v[232:233] offset0:124 offset1:125
	s_waitcnt vmcnt(0)
	ds_store_2addr_b64 v36, v[234:235], v[236:237] offset0:126 offset1:127
.LBB126_782:
	s_or_b32 exec_lo, exec_lo, s2
	s_delay_alu instid0(SALU_CYCLE_1)
	s_mov_b32 s2, exec_lo
	s_waitcnt lgkmcnt(0)
	s_waitcnt_vscnt null, 0x0
	s_barrier
	buffer_gl0_inv
	v_cmpx_lt_i32_e32 31, v41
	s_cbranch_execz .LBB126_785
; %bb.783:
	scratch_load_b128 v[4:7], off, off offset:496
	s_mov_b32 s3, 0
	s_waitcnt vmcnt(0)
	v_mul_f64 v[8:9], v[2:3], v[6:7]
	v_mul_f64 v[6:7], v[0:1], v[6:7]
	s_delay_alu instid0(VALU_DEP_2) | instskip(NEXT) | instid1(VALU_DEP_2)
	v_fma_f64 v[0:1], v[0:1], v[4:5], -v[8:9]
	v_fma_f64 v[2:3], v[2:3], v[4:5], v[6:7]
	v_add3_u32 v4, v38, 0, 0x200
	v_mov_b32_e32 v5, 0
	scratch_store_b128 off, v[0:3], off offset:496
.LBB126_784:                            ; =>This Inner Loop Header: Depth=1
	v_readfirstlane_b32 s6, v5
	v_add_nc_u32_e32 v18, s3, v4
	s_delay_alu instid0(VALU_DEP_2)
	s_add_i32 s6, s6, s3
	s_add_i32 s3, s3, 64
	;; [unrolled: 1-line block ×5, first 2 shown]
	s_addk_i32 s6, 0x230
	s_clause 0x3
	scratch_load_b128 v[6:9], off, s7
	scratch_load_b128 v[10:13], off, s9
	;; [unrolled: 1-line block ×4, first 2 shown]
	ds_load_2addr_b64 v[49:52], v18 offset1:1
	ds_load_2addr_b64 v[53:56], v18 offset0:2 offset1:3
	ds_load_2addr_b64 v[65:68], v18 offset0:4 offset1:5
	;; [unrolled: 1-line block ×3, first 2 shown]
	s_cmpk_lg_i32 s3, 0x200
	s_waitcnt lgkmcnt(3)
	v_mul_f64 v[18:19], v[51:52], v[2:3]
	v_mul_f64 v[46:47], v[49:50], v[2:3]
	s_waitcnt lgkmcnt(2)
	v_mul_f64 v[57:58], v[55:56], v[2:3]
	v_mul_f64 v[61:62], v[53:54], v[2:3]
	;; [unrolled: 3-line block ×4, first 2 shown]
	v_fma_f64 v[18:19], v[49:50], v[0:1], -v[18:19]
	v_fma_f64 v[46:47], v[51:52], v[0:1], v[46:47]
	v_fma_f64 v[49:50], v[53:54], v[0:1], -v[57:58]
	v_fma_f64 v[51:52], v[55:56], v[0:1], v[61:62]
	;; [unrolled: 2-line block ×4, first 2 shown]
	s_waitcnt vmcnt(3)
	v_add_f64 v[6:7], v[6:7], -v[18:19]
	v_add_f64 v[8:9], v[8:9], -v[46:47]
	s_waitcnt vmcnt(2)
	v_add_f64 v[10:11], v[10:11], -v[49:50]
	v_add_f64 v[12:13], v[12:13], -v[51:52]
	;; [unrolled: 3-line block ×4, first 2 shown]
	s_clause 0x3
	scratch_store_b128 off, v[6:9], s7
	scratch_store_b128 off, v[10:13], s9
	;; [unrolled: 1-line block ×4, first 2 shown]
	s_cbranch_scc1 .LBB126_784
.LBB126_785:
	s_or_b32 exec_lo, exec_lo, s2
	s_waitcnt_vscnt null, 0x0
	s_barrier
	buffer_gl0_inv
	scratch_load_b128 v[0:3], v128, off
	v_lshl_add_u32 v4, v41, 4, v36
	s_cmp_lt_i32 s5, 34
	s_waitcnt vmcnt(0)
	ds_store_2addr_b64 v4, v[0:1], v[2:3] offset1:1
	s_waitcnt lgkmcnt(0)
	s_barrier
	buffer_gl0_inv
	ds_load_2addr_b64 v[0:3], v36 offset0:64 offset1:65
	v_mov_b32_e32 v4, 32
	s_cbranch_scc1 .LBB126_788
; %bb.786:
	v_add3_u32 v5, v38, 0, 0x210
	v_mov_b32_e32 v4, 32
	s_mov_b32 s6, 33
	s_set_inst_prefetch_distance 0x1
	.p2align	6
.LBB126_787:                            ; =>This Inner Loop Header: Depth=1
	ds_load_2addr_b64 v[6:9], v5 offset1:1
	s_waitcnt lgkmcnt(1)
	v_cmp_gt_f64_e32 vcc_lo, 0, v[0:1]
	v_xor_b32_e32 v10, 0x80000000, v1
	v_cmp_gt_f64_e64 s2, 0, v[2:3]
	v_xor_b32_e32 v12, 0x80000000, v3
	v_add_nc_u32_e32 v5, 16, v5
	s_waitcnt lgkmcnt(0)
	v_cmp_gt_f64_e64 s3, 0, v[6:7]
	v_mov_b32_e32 v14, v6
	v_dual_mov_b32 v16, v8 :: v_dual_cndmask_b32 v11, v1, v10
	v_xor_b32_e32 v10, 0x80000000, v7
	v_cndmask_b32_e64 v13, v3, v12, s2
	v_xor_b32_e32 v12, 0x80000000, v9
	s_delay_alu instid0(VALU_DEP_3) | instskip(SKIP_2) | instid1(VALU_DEP_2)
	v_cndmask_b32_e64 v15, v7, v10, s3
	v_cmp_gt_f64_e64 s3, 0, v[8:9]
	v_cndmask_b32_e32 v10, v0, v0, vcc_lo
	v_cndmask_b32_e64 v17, v9, v12, s3
	v_cndmask_b32_e64 v12, v2, v2, s2
	s_delay_alu instid0(VALU_DEP_2) | instskip(NEXT) | instid1(VALU_DEP_2)
	v_add_f64 v[14:15], v[14:15], v[16:17]
	v_add_f64 v[10:11], v[10:11], v[12:13]
	s_delay_alu instid0(VALU_DEP_1)
	v_cmp_lt_f64_e32 vcc_lo, v[10:11], v[14:15]
	v_cndmask_b32_e32 v3, v3, v9, vcc_lo
	v_dual_cndmask_b32 v1, v1, v7 :: v_dual_cndmask_b32 v0, v0, v6
	v_cndmask_b32_e32 v2, v2, v8, vcc_lo
	v_cndmask_b32_e64 v4, v4, s6, vcc_lo
	s_add_i32 s6, s6, 1
	s_delay_alu instid0(SALU_CYCLE_1)
	s_cmp_lg_u32 s5, s6
	s_cbranch_scc1 .LBB126_787
.LBB126_788:
	s_set_inst_prefetch_distance 0x2
	s_waitcnt lgkmcnt(0)
	v_cmp_eq_f64_e32 vcc_lo, 0, v[0:1]
	v_cmp_eq_f64_e64 s2, 0, v[2:3]
	s_delay_alu instid0(VALU_DEP_1) | instskip(NEXT) | instid1(SALU_CYCLE_1)
	s_and_b32 s2, vcc_lo, s2
	s_and_saveexec_b32 s3, s2
	s_delay_alu instid0(SALU_CYCLE_1)
	s_xor_b32 s2, exec_lo, s3
; %bb.789:
	v_cmp_ne_u32_e32 vcc_lo, 0, v37
	v_cndmask_b32_e32 v37, 33, v37, vcc_lo
; %bb.790:
	s_and_not1_saveexec_b32 s3, s2
	s_cbranch_execz .LBB126_796
; %bb.791:
	v_cmp_gt_f64_e32 vcc_lo, 0, v[0:1]
	v_cmp_gt_f64_e64 s2, 0, v[2:3]
	v_xor_b32_e32 v5, 0x80000000, v1
	v_xor_b32_e32 v7, 0x80000000, v3
	s_delay_alu instid0(VALU_DEP_2) | instskip(NEXT) | instid1(VALU_DEP_2)
	v_dual_cndmask_b32 v6, v1, v5 :: v_dual_cndmask_b32 v5, v0, v0
	v_cndmask_b32_e64 v8, v3, v7, s2
	v_cndmask_b32_e64 v7, v2, v2, s2
	s_mov_b32 s2, exec_lo
	s_delay_alu instid0(VALU_DEP_1)
	v_cmpx_ngt_f64_e32 v[5:6], v[7:8]
	s_xor_b32 s2, exec_lo, s2
	s_cbranch_execz .LBB126_793
; %bb.792:
	v_div_scale_f64 v[5:6], null, v[2:3], v[2:3], v[0:1]
	v_div_scale_f64 v[11:12], vcc_lo, v[0:1], v[2:3], v[0:1]
	s_delay_alu instid0(VALU_DEP_2) | instskip(SKIP_2) | instid1(VALU_DEP_1)
	v_rcp_f64_e32 v[7:8], v[5:6]
	s_waitcnt_depctr 0xfff
	v_fma_f64 v[9:10], -v[5:6], v[7:8], 1.0
	v_fma_f64 v[7:8], v[7:8], v[9:10], v[7:8]
	s_delay_alu instid0(VALU_DEP_1) | instskip(NEXT) | instid1(VALU_DEP_1)
	v_fma_f64 v[9:10], -v[5:6], v[7:8], 1.0
	v_fma_f64 v[7:8], v[7:8], v[9:10], v[7:8]
	s_delay_alu instid0(VALU_DEP_1) | instskip(NEXT) | instid1(VALU_DEP_1)
	v_mul_f64 v[9:10], v[11:12], v[7:8]
	v_fma_f64 v[5:6], -v[5:6], v[9:10], v[11:12]
	s_delay_alu instid0(VALU_DEP_1) | instskip(NEXT) | instid1(VALU_DEP_1)
	v_div_fmas_f64 v[5:6], v[5:6], v[7:8], v[9:10]
	v_div_fixup_f64 v[5:6], v[5:6], v[2:3], v[0:1]
	s_delay_alu instid0(VALU_DEP_1) | instskip(NEXT) | instid1(VALU_DEP_1)
	v_fma_f64 v[0:1], v[0:1], v[5:6], v[2:3]
	v_div_scale_f64 v[2:3], null, v[0:1], v[0:1], 1.0
	s_delay_alu instid0(VALU_DEP_1) | instskip(SKIP_2) | instid1(VALU_DEP_1)
	v_rcp_f64_e32 v[7:8], v[2:3]
	s_waitcnt_depctr 0xfff
	v_fma_f64 v[9:10], -v[2:3], v[7:8], 1.0
	v_fma_f64 v[7:8], v[7:8], v[9:10], v[7:8]
	s_delay_alu instid0(VALU_DEP_1) | instskip(NEXT) | instid1(VALU_DEP_1)
	v_fma_f64 v[9:10], -v[2:3], v[7:8], 1.0
	v_fma_f64 v[7:8], v[7:8], v[9:10], v[7:8]
	v_div_scale_f64 v[9:10], vcc_lo, 1.0, v[0:1], 1.0
	s_delay_alu instid0(VALU_DEP_1) | instskip(NEXT) | instid1(VALU_DEP_1)
	v_mul_f64 v[11:12], v[9:10], v[7:8]
	v_fma_f64 v[2:3], -v[2:3], v[11:12], v[9:10]
	s_delay_alu instid0(VALU_DEP_1) | instskip(NEXT) | instid1(VALU_DEP_1)
	v_div_fmas_f64 v[2:3], v[2:3], v[7:8], v[11:12]
	v_div_fixup_f64 v[2:3], v[2:3], v[0:1], 1.0
	s_delay_alu instid0(VALU_DEP_1)
	v_mul_f64 v[0:1], v[5:6], v[2:3]
	v_xor_b32_e32 v3, 0x80000000, v3
.LBB126_793:
	s_and_not1_saveexec_b32 s2, s2
	s_cbranch_execz .LBB126_795
; %bb.794:
	s_delay_alu instid0(VALU_DEP_1) | instskip(SKIP_1) | instid1(VALU_DEP_2)
	v_div_scale_f64 v[5:6], null, v[0:1], v[0:1], v[2:3]
	v_div_scale_f64 v[11:12], vcc_lo, v[2:3], v[0:1], v[2:3]
	v_rcp_f64_e32 v[7:8], v[5:6]
	s_waitcnt_depctr 0xfff
	v_fma_f64 v[9:10], -v[5:6], v[7:8], 1.0
	s_delay_alu instid0(VALU_DEP_1) | instskip(NEXT) | instid1(VALU_DEP_1)
	v_fma_f64 v[7:8], v[7:8], v[9:10], v[7:8]
	v_fma_f64 v[9:10], -v[5:6], v[7:8], 1.0
	s_delay_alu instid0(VALU_DEP_1) | instskip(NEXT) | instid1(VALU_DEP_1)
	v_fma_f64 v[7:8], v[7:8], v[9:10], v[7:8]
	v_mul_f64 v[9:10], v[11:12], v[7:8]
	s_delay_alu instid0(VALU_DEP_1) | instskip(NEXT) | instid1(VALU_DEP_1)
	v_fma_f64 v[5:6], -v[5:6], v[9:10], v[11:12]
	v_div_fmas_f64 v[5:6], v[5:6], v[7:8], v[9:10]
	s_delay_alu instid0(VALU_DEP_1) | instskip(NEXT) | instid1(VALU_DEP_1)
	v_div_fixup_f64 v[5:6], v[5:6], v[0:1], v[2:3]
	v_fma_f64 v[0:1], v[2:3], v[5:6], v[0:1]
	s_delay_alu instid0(VALU_DEP_1) | instskip(NEXT) | instid1(VALU_DEP_1)
	v_div_scale_f64 v[2:3], null, v[0:1], v[0:1], 1.0
	v_rcp_f64_e32 v[7:8], v[2:3]
	s_waitcnt_depctr 0xfff
	v_fma_f64 v[9:10], -v[2:3], v[7:8], 1.0
	s_delay_alu instid0(VALU_DEP_1) | instskip(NEXT) | instid1(VALU_DEP_1)
	v_fma_f64 v[7:8], v[7:8], v[9:10], v[7:8]
	v_fma_f64 v[9:10], -v[2:3], v[7:8], 1.0
	s_delay_alu instid0(VALU_DEP_1) | instskip(SKIP_1) | instid1(VALU_DEP_1)
	v_fma_f64 v[7:8], v[7:8], v[9:10], v[7:8]
	v_div_scale_f64 v[9:10], vcc_lo, 1.0, v[0:1], 1.0
	v_mul_f64 v[11:12], v[9:10], v[7:8]
	s_delay_alu instid0(VALU_DEP_1) | instskip(NEXT) | instid1(VALU_DEP_1)
	v_fma_f64 v[2:3], -v[2:3], v[11:12], v[9:10]
	v_div_fmas_f64 v[2:3], v[2:3], v[7:8], v[11:12]
	s_delay_alu instid0(VALU_DEP_1) | instskip(NEXT) | instid1(VALU_DEP_1)
	v_div_fixup_f64 v[0:1], v[2:3], v[0:1], 1.0
	v_mul_f64 v[2:3], v[5:6], -v[0:1]
.LBB126_795:
	s_or_b32 exec_lo, exec_lo, s2
.LBB126_796:
	s_delay_alu instid0(SALU_CYCLE_1) | instskip(NEXT) | instid1(SALU_CYCLE_1)
	s_or_b32 exec_lo, exec_lo, s3
	s_mov_b32 s2, exec_lo
	v_cmpx_ne_u32_e64 v41, v4
	s_xor_b32 s2, exec_lo, s2
	s_cbranch_execz .LBB126_802
; %bb.797:
	s_mov_b32 s3, exec_lo
	v_cmpx_eq_u32_e32 32, v41
	s_cbranch_execz .LBB126_801
; %bb.798:
	v_cmp_ne_u32_e32 vcc_lo, 32, v4
	s_xor_b32 s6, s4, -1
	s_delay_alu instid0(SALU_CYCLE_1) | instskip(NEXT) | instid1(SALU_CYCLE_1)
	s_and_b32 s7, s6, vcc_lo
	s_and_saveexec_b32 s6, s7
	s_cbranch_execz .LBB126_800
; %bb.799:
	v_ashrrev_i32_e32 v5, 31, v4
	s_delay_alu instid0(VALU_DEP_1) | instskip(NEXT) | instid1(VALU_DEP_1)
	v_lshlrev_b64 v[5:6], 2, v[4:5]
	v_add_co_u32 v5, vcc_lo, v250, v5
	s_delay_alu instid0(VALU_DEP_2)
	v_add_co_ci_u32_e32 v6, vcc_lo, v251, v6, vcc_lo
	s_clause 0x1
	flat_load_b32 v7, v[5:6]
	flat_load_b32 v8, v[250:251] offset:128
	s_waitcnt vmcnt(1) lgkmcnt(1)
	flat_store_b32 v[250:251], v7 offset:128
	s_waitcnt vmcnt(0) lgkmcnt(1)
	flat_store_b32 v[5:6], v8
.LBB126_800:
	s_or_b32 exec_lo, exec_lo, s6
	v_mov_b32_e32 v41, v4
	v_mov_b32_e32 v39, v4
.LBB126_801:
	s_or_b32 exec_lo, exec_lo, s3
.LBB126_802:
	s_and_not1_saveexec_b32 s2, s2
	s_cbranch_execz .LBB126_804
; %bb.803:
	s_clause 0x1e
	scratch_load_b128 v[4:7], v135, off
	scratch_load_b128 v[8:11], v134, off
	;; [unrolled: 1-line block ×31, first 2 shown]
	v_mov_b32_e32 v41, 32
	s_waitcnt vmcnt(30)
	ds_store_2addr_b64 v36, v[4:5], v[6:7] offset0:66 offset1:67
	s_waitcnt vmcnt(29)
	ds_store_2addr_b64 v36, v[8:9], v[10:11] offset0:68 offset1:69
	;; [unrolled: 2-line block ×31, first 2 shown]
.LBB126_804:
	s_or_b32 exec_lo, exec_lo, s2
	s_delay_alu instid0(SALU_CYCLE_1)
	s_mov_b32 s2, exec_lo
	s_waitcnt lgkmcnt(0)
	s_waitcnt_vscnt null, 0x0
	s_barrier
	buffer_gl0_inv
	v_cmpx_lt_i32_e32 32, v41
	s_cbranch_execz .LBB126_809
; %bb.805:
	scratch_load_b128 v[4:7], off, off offset:512
	s_mov_b32 s3, 0
	s_waitcnt vmcnt(0)
	v_mul_f64 v[8:9], v[2:3], v[6:7]
	v_mul_f64 v[6:7], v[0:1], v[6:7]
	s_delay_alu instid0(VALU_DEP_2) | instskip(NEXT) | instid1(VALU_DEP_2)
	v_fma_f64 v[0:1], v[0:1], v[4:5], -v[8:9]
	v_fma_f64 v[2:3], v[2:3], v[4:5], v[6:7]
	v_add3_u32 v4, v38, 0, 0x210
	v_mov_b32_e32 v5, 0
	scratch_store_b128 off, v[0:3], off offset:512
	s_branch .LBB126_807
.LBB126_806:                            ;   in Loop: Header=BB126_807 Depth=1
	s_and_not1_b32 vcc_lo, exec_lo, s7
	s_cbranch_vccz .LBB126_809
.LBB126_807:                            ; =>This Inner Loop Header: Depth=1
	v_readfirstlane_b32 s6, v5
	v_add_nc_u32_e32 v6, s3, v4
	s_mov_b32 s7, -1
	s_delay_alu instid0(VALU_DEP_2) | instskip(NEXT) | instid1(SALU_CYCLE_1)
	s_add_i32 s6, s6, s3
	s_add_i32 s9, s6, 0x210
	;; [unrolled: 1-line block ×3, first 2 shown]
	scratch_load_b128 v[7:10], off, s9
	s_add_i32 s14, s6, 0x230
	s_clause 0x1
	scratch_load_b128 v[11:14], off, s12
	scratch_load_b128 v[42:45], off, s14
	ds_load_2addr_b64 v[49:52], v6 offset1:1
	ds_load_2addr_b64 v[53:56], v6 offset0:2 offset1:3
	ds_load_2addr_b64 v[65:68], v6 offset0:4 offset1:5
	s_cmpk_eq_i32 s3, 0x1c0
	s_waitcnt lgkmcnt(2)
	v_mul_f64 v[15:16], v[51:52], v[2:3]
	v_mul_f64 v[17:18], v[49:50], v[2:3]
	s_waitcnt lgkmcnt(1)
	v_mul_f64 v[46:47], v[55:56], v[2:3]
	v_mul_f64 v[57:58], v[53:54], v[2:3]
	;; [unrolled: 3-line block ×3, first 2 shown]
	v_fma_f64 v[15:16], v[49:50], v[0:1], -v[15:16]
	v_fma_f64 v[17:18], v[51:52], v[0:1], v[17:18]
	v_fma_f64 v[46:47], v[53:54], v[0:1], -v[46:47]
	v_fma_f64 v[49:50], v[55:56], v[0:1], v[57:58]
	;; [unrolled: 2-line block ×3, first 2 shown]
	s_waitcnt vmcnt(2)
	v_add_f64 v[7:8], v[7:8], -v[15:16]
	v_add_f64 v[9:10], v[9:10], -v[17:18]
	s_waitcnt vmcnt(1)
	v_add_f64 v[11:12], v[11:12], -v[46:47]
	v_add_f64 v[13:14], v[13:14], -v[49:50]
	;; [unrolled: 3-line block ×3, first 2 shown]
	s_clause 0x2
	scratch_store_b128 off, v[7:10], s9
	scratch_store_b128 off, v[11:14], s12
	;; [unrolled: 1-line block ×3, first 2 shown]
	s_cbranch_scc1 .LBB126_806
; %bb.808:                              ;   in Loop: Header=BB126_807 Depth=1
	s_addk_i32 s6, 0x240
	ds_load_2addr_b64 v[11:14], v6 offset0:6 offset1:7
	scratch_load_b128 v[7:10], off, s6
	s_add_i32 s3, s3, 64
	s_mov_b32 s7, 0
	s_waitcnt lgkmcnt(0)
	v_mul_f64 v[15:16], v[13:14], v[2:3]
	v_mul_f64 v[17:18], v[11:12], v[2:3]
	s_delay_alu instid0(VALU_DEP_2) | instskip(NEXT) | instid1(VALU_DEP_2)
	v_fma_f64 v[11:12], v[11:12], v[0:1], -v[15:16]
	v_fma_f64 v[13:14], v[13:14], v[0:1], v[17:18]
	s_waitcnt vmcnt(0)
	s_delay_alu instid0(VALU_DEP_2) | instskip(NEXT) | instid1(VALU_DEP_2)
	v_add_f64 v[6:7], v[7:8], -v[11:12]
	v_add_f64 v[8:9], v[9:10], -v[13:14]
	scratch_store_b128 off, v[6:9], s6
	s_branch .LBB126_806
.LBB126_809:
	s_or_b32 exec_lo, exec_lo, s2
	s_waitcnt_vscnt null, 0x0
	s_barrier
	buffer_gl0_inv
	scratch_load_b128 v[0:3], v135, off
	v_lshl_add_u32 v4, v41, 4, v36
	s_cmp_lt_i32 s5, 35
	s_waitcnt vmcnt(0)
	ds_store_2addr_b64 v4, v[0:1], v[2:3] offset1:1
	s_waitcnt lgkmcnt(0)
	s_barrier
	buffer_gl0_inv
	ds_load_2addr_b64 v[0:3], v36 offset0:66 offset1:67
	v_mov_b32_e32 v4, 33
	s_cbranch_scc1 .LBB126_812
; %bb.810:
	v_add3_u32 v5, v38, 0, 0x220
	v_mov_b32_e32 v4, 33
	s_mov_b32 s6, 34
	s_set_inst_prefetch_distance 0x1
	.p2align	6
.LBB126_811:                            ; =>This Inner Loop Header: Depth=1
	ds_load_2addr_b64 v[6:9], v5 offset1:1
	s_waitcnt lgkmcnt(1)
	v_cmp_gt_f64_e32 vcc_lo, 0, v[0:1]
	v_xor_b32_e32 v10, 0x80000000, v1
	v_cmp_gt_f64_e64 s2, 0, v[2:3]
	v_xor_b32_e32 v12, 0x80000000, v3
	v_add_nc_u32_e32 v5, 16, v5
	s_waitcnt lgkmcnt(0)
	v_cmp_gt_f64_e64 s3, 0, v[6:7]
	v_mov_b32_e32 v14, v6
	v_dual_mov_b32 v16, v8 :: v_dual_cndmask_b32 v11, v1, v10
	v_xor_b32_e32 v10, 0x80000000, v7
	v_cndmask_b32_e64 v13, v3, v12, s2
	v_xor_b32_e32 v12, 0x80000000, v9
	s_delay_alu instid0(VALU_DEP_3) | instskip(SKIP_2) | instid1(VALU_DEP_2)
	v_cndmask_b32_e64 v15, v7, v10, s3
	v_cmp_gt_f64_e64 s3, 0, v[8:9]
	v_cndmask_b32_e32 v10, v0, v0, vcc_lo
	v_cndmask_b32_e64 v17, v9, v12, s3
	v_cndmask_b32_e64 v12, v2, v2, s2
	s_delay_alu instid0(VALU_DEP_2) | instskip(NEXT) | instid1(VALU_DEP_2)
	v_add_f64 v[14:15], v[14:15], v[16:17]
	v_add_f64 v[10:11], v[10:11], v[12:13]
	s_delay_alu instid0(VALU_DEP_1)
	v_cmp_lt_f64_e32 vcc_lo, v[10:11], v[14:15]
	v_cndmask_b32_e32 v3, v3, v9, vcc_lo
	v_dual_cndmask_b32 v1, v1, v7 :: v_dual_cndmask_b32 v0, v0, v6
	v_cndmask_b32_e32 v2, v2, v8, vcc_lo
	v_cndmask_b32_e64 v4, v4, s6, vcc_lo
	s_add_i32 s6, s6, 1
	s_delay_alu instid0(SALU_CYCLE_1)
	s_cmp_lg_u32 s5, s6
	s_cbranch_scc1 .LBB126_811
.LBB126_812:
	s_set_inst_prefetch_distance 0x2
	s_waitcnt lgkmcnt(0)
	v_cmp_eq_f64_e32 vcc_lo, 0, v[0:1]
	v_cmp_eq_f64_e64 s2, 0, v[2:3]
	s_delay_alu instid0(VALU_DEP_1) | instskip(NEXT) | instid1(SALU_CYCLE_1)
	s_and_b32 s2, vcc_lo, s2
	s_and_saveexec_b32 s3, s2
	s_delay_alu instid0(SALU_CYCLE_1)
	s_xor_b32 s2, exec_lo, s3
; %bb.813:
	v_cmp_ne_u32_e32 vcc_lo, 0, v37
	v_cndmask_b32_e32 v37, 34, v37, vcc_lo
; %bb.814:
	s_and_not1_saveexec_b32 s3, s2
	s_cbranch_execz .LBB126_820
; %bb.815:
	v_cmp_gt_f64_e32 vcc_lo, 0, v[0:1]
	v_cmp_gt_f64_e64 s2, 0, v[2:3]
	v_xor_b32_e32 v5, 0x80000000, v1
	v_xor_b32_e32 v7, 0x80000000, v3
	s_delay_alu instid0(VALU_DEP_2) | instskip(NEXT) | instid1(VALU_DEP_2)
	v_dual_cndmask_b32 v6, v1, v5 :: v_dual_cndmask_b32 v5, v0, v0
	v_cndmask_b32_e64 v8, v3, v7, s2
	v_cndmask_b32_e64 v7, v2, v2, s2
	s_mov_b32 s2, exec_lo
	s_delay_alu instid0(VALU_DEP_1)
	v_cmpx_ngt_f64_e32 v[5:6], v[7:8]
	s_xor_b32 s2, exec_lo, s2
	s_cbranch_execz .LBB126_817
; %bb.816:
	v_div_scale_f64 v[5:6], null, v[2:3], v[2:3], v[0:1]
	v_div_scale_f64 v[11:12], vcc_lo, v[0:1], v[2:3], v[0:1]
	s_delay_alu instid0(VALU_DEP_2) | instskip(SKIP_2) | instid1(VALU_DEP_1)
	v_rcp_f64_e32 v[7:8], v[5:6]
	s_waitcnt_depctr 0xfff
	v_fma_f64 v[9:10], -v[5:6], v[7:8], 1.0
	v_fma_f64 v[7:8], v[7:8], v[9:10], v[7:8]
	s_delay_alu instid0(VALU_DEP_1) | instskip(NEXT) | instid1(VALU_DEP_1)
	v_fma_f64 v[9:10], -v[5:6], v[7:8], 1.0
	v_fma_f64 v[7:8], v[7:8], v[9:10], v[7:8]
	s_delay_alu instid0(VALU_DEP_1) | instskip(NEXT) | instid1(VALU_DEP_1)
	v_mul_f64 v[9:10], v[11:12], v[7:8]
	v_fma_f64 v[5:6], -v[5:6], v[9:10], v[11:12]
	s_delay_alu instid0(VALU_DEP_1) | instskip(NEXT) | instid1(VALU_DEP_1)
	v_div_fmas_f64 v[5:6], v[5:6], v[7:8], v[9:10]
	v_div_fixup_f64 v[5:6], v[5:6], v[2:3], v[0:1]
	s_delay_alu instid0(VALU_DEP_1) | instskip(NEXT) | instid1(VALU_DEP_1)
	v_fma_f64 v[0:1], v[0:1], v[5:6], v[2:3]
	v_div_scale_f64 v[2:3], null, v[0:1], v[0:1], 1.0
	s_delay_alu instid0(VALU_DEP_1) | instskip(SKIP_2) | instid1(VALU_DEP_1)
	v_rcp_f64_e32 v[7:8], v[2:3]
	s_waitcnt_depctr 0xfff
	v_fma_f64 v[9:10], -v[2:3], v[7:8], 1.0
	v_fma_f64 v[7:8], v[7:8], v[9:10], v[7:8]
	s_delay_alu instid0(VALU_DEP_1) | instskip(NEXT) | instid1(VALU_DEP_1)
	v_fma_f64 v[9:10], -v[2:3], v[7:8], 1.0
	v_fma_f64 v[7:8], v[7:8], v[9:10], v[7:8]
	v_div_scale_f64 v[9:10], vcc_lo, 1.0, v[0:1], 1.0
	s_delay_alu instid0(VALU_DEP_1) | instskip(NEXT) | instid1(VALU_DEP_1)
	v_mul_f64 v[11:12], v[9:10], v[7:8]
	v_fma_f64 v[2:3], -v[2:3], v[11:12], v[9:10]
	s_delay_alu instid0(VALU_DEP_1) | instskip(NEXT) | instid1(VALU_DEP_1)
	v_div_fmas_f64 v[2:3], v[2:3], v[7:8], v[11:12]
	v_div_fixup_f64 v[2:3], v[2:3], v[0:1], 1.0
	s_delay_alu instid0(VALU_DEP_1)
	v_mul_f64 v[0:1], v[5:6], v[2:3]
	v_xor_b32_e32 v3, 0x80000000, v3
.LBB126_817:
	s_and_not1_saveexec_b32 s2, s2
	s_cbranch_execz .LBB126_819
; %bb.818:
	s_delay_alu instid0(VALU_DEP_1) | instskip(SKIP_1) | instid1(VALU_DEP_2)
	v_div_scale_f64 v[5:6], null, v[0:1], v[0:1], v[2:3]
	v_div_scale_f64 v[11:12], vcc_lo, v[2:3], v[0:1], v[2:3]
	v_rcp_f64_e32 v[7:8], v[5:6]
	s_waitcnt_depctr 0xfff
	v_fma_f64 v[9:10], -v[5:6], v[7:8], 1.0
	s_delay_alu instid0(VALU_DEP_1) | instskip(NEXT) | instid1(VALU_DEP_1)
	v_fma_f64 v[7:8], v[7:8], v[9:10], v[7:8]
	v_fma_f64 v[9:10], -v[5:6], v[7:8], 1.0
	s_delay_alu instid0(VALU_DEP_1) | instskip(NEXT) | instid1(VALU_DEP_1)
	v_fma_f64 v[7:8], v[7:8], v[9:10], v[7:8]
	v_mul_f64 v[9:10], v[11:12], v[7:8]
	s_delay_alu instid0(VALU_DEP_1) | instskip(NEXT) | instid1(VALU_DEP_1)
	v_fma_f64 v[5:6], -v[5:6], v[9:10], v[11:12]
	v_div_fmas_f64 v[5:6], v[5:6], v[7:8], v[9:10]
	s_delay_alu instid0(VALU_DEP_1) | instskip(NEXT) | instid1(VALU_DEP_1)
	v_div_fixup_f64 v[5:6], v[5:6], v[0:1], v[2:3]
	v_fma_f64 v[0:1], v[2:3], v[5:6], v[0:1]
	s_delay_alu instid0(VALU_DEP_1) | instskip(NEXT) | instid1(VALU_DEP_1)
	v_div_scale_f64 v[2:3], null, v[0:1], v[0:1], 1.0
	v_rcp_f64_e32 v[7:8], v[2:3]
	s_waitcnt_depctr 0xfff
	v_fma_f64 v[9:10], -v[2:3], v[7:8], 1.0
	s_delay_alu instid0(VALU_DEP_1) | instskip(NEXT) | instid1(VALU_DEP_1)
	v_fma_f64 v[7:8], v[7:8], v[9:10], v[7:8]
	v_fma_f64 v[9:10], -v[2:3], v[7:8], 1.0
	s_delay_alu instid0(VALU_DEP_1) | instskip(SKIP_1) | instid1(VALU_DEP_1)
	v_fma_f64 v[7:8], v[7:8], v[9:10], v[7:8]
	v_div_scale_f64 v[9:10], vcc_lo, 1.0, v[0:1], 1.0
	v_mul_f64 v[11:12], v[9:10], v[7:8]
	s_delay_alu instid0(VALU_DEP_1) | instskip(NEXT) | instid1(VALU_DEP_1)
	v_fma_f64 v[2:3], -v[2:3], v[11:12], v[9:10]
	v_div_fmas_f64 v[2:3], v[2:3], v[7:8], v[11:12]
	s_delay_alu instid0(VALU_DEP_1) | instskip(NEXT) | instid1(VALU_DEP_1)
	v_div_fixup_f64 v[0:1], v[2:3], v[0:1], 1.0
	v_mul_f64 v[2:3], v[5:6], -v[0:1]
.LBB126_819:
	s_or_b32 exec_lo, exec_lo, s2
.LBB126_820:
	s_delay_alu instid0(SALU_CYCLE_1) | instskip(NEXT) | instid1(SALU_CYCLE_1)
	s_or_b32 exec_lo, exec_lo, s3
	s_mov_b32 s2, exec_lo
	v_cmpx_ne_u32_e64 v41, v4
	s_xor_b32 s2, exec_lo, s2
	s_cbranch_execz .LBB126_826
; %bb.821:
	s_mov_b32 s3, exec_lo
	v_cmpx_eq_u32_e32 33, v41
	s_cbranch_execz .LBB126_825
; %bb.822:
	v_cmp_ne_u32_e32 vcc_lo, 33, v4
	s_xor_b32 s6, s4, -1
	s_delay_alu instid0(SALU_CYCLE_1) | instskip(NEXT) | instid1(SALU_CYCLE_1)
	s_and_b32 s7, s6, vcc_lo
	s_and_saveexec_b32 s6, s7
	s_cbranch_execz .LBB126_824
; %bb.823:
	v_ashrrev_i32_e32 v5, 31, v4
	s_delay_alu instid0(VALU_DEP_1) | instskip(NEXT) | instid1(VALU_DEP_1)
	v_lshlrev_b64 v[5:6], 2, v[4:5]
	v_add_co_u32 v5, vcc_lo, v250, v5
	s_delay_alu instid0(VALU_DEP_2)
	v_add_co_ci_u32_e32 v6, vcc_lo, v251, v6, vcc_lo
	s_clause 0x1
	flat_load_b32 v7, v[5:6]
	flat_load_b32 v8, v[250:251] offset:132
	s_waitcnt vmcnt(1) lgkmcnt(1)
	flat_store_b32 v[250:251], v7 offset:132
	s_waitcnt vmcnt(0) lgkmcnt(1)
	flat_store_b32 v[5:6], v8
.LBB126_824:
	s_or_b32 exec_lo, exec_lo, s6
	v_mov_b32_e32 v41, v4
	v_mov_b32_e32 v39, v4
.LBB126_825:
	s_or_b32 exec_lo, exec_lo, s3
.LBB126_826:
	s_and_not1_saveexec_b32 s2, s2
	s_cbranch_execz .LBB126_828
; %bb.827:
	s_clause 0x1d
	scratch_load_b128 v[4:7], v134, off
	scratch_load_b128 v[8:11], v140, off
	;; [unrolled: 1-line block ×30, first 2 shown]
	v_mov_b32_e32 v41, 33
	s_waitcnt vmcnt(29)
	ds_store_2addr_b64 v36, v[4:5], v[6:7] offset0:68 offset1:69
	s_waitcnt vmcnt(28)
	ds_store_2addr_b64 v36, v[8:9], v[10:11] offset0:70 offset1:71
	;; [unrolled: 2-line block ×30, first 2 shown]
.LBB126_828:
	s_or_b32 exec_lo, exec_lo, s2
	s_delay_alu instid0(SALU_CYCLE_1)
	s_mov_b32 s2, exec_lo
	s_waitcnt lgkmcnt(0)
	s_waitcnt_vscnt null, 0x0
	s_barrier
	buffer_gl0_inv
	v_cmpx_lt_i32_e32 33, v41
	s_cbranch_execz .LBB126_831
; %bb.829:
	scratch_load_b128 v[4:7], off, off offset:528
	s_mov_b32 s3, 0
	s_waitcnt vmcnt(0)
	v_mul_f64 v[8:9], v[2:3], v[6:7]
	v_mul_f64 v[6:7], v[0:1], v[6:7]
	s_delay_alu instid0(VALU_DEP_2) | instskip(NEXT) | instid1(VALU_DEP_2)
	v_fma_f64 v[0:1], v[0:1], v[4:5], -v[8:9]
	v_fma_f64 v[2:3], v[2:3], v[4:5], v[6:7]
	v_add3_u32 v4, v38, 0, 0x220
	v_mov_b32_e32 v5, 0
	scratch_store_b128 off, v[0:3], off offset:528
.LBB126_830:                            ; =>This Inner Loop Header: Depth=1
	v_readfirstlane_b32 s6, v5
	v_add_nc_u32_e32 v18, s3, v4
	s_delay_alu instid0(VALU_DEP_2)
	s_add_i32 s7, s6, s3
	s_addk_i32 s3, 0x60
	s_add_i32 s6, s7, 0x220
	s_add_i32 s9, s7, 0x230
	;; [unrolled: 1-line block ×5, first 2 shown]
	s_addk_i32 s7, 0x270
	s_clause 0x5
	scratch_load_b128 v[6:9], off, s6
	scratch_load_b128 v[10:13], off, s9
	;; [unrolled: 1-line block ×6, first 2 shown]
	ds_load_2addr_b64 v[65:68], v18 offset1:1
	ds_load_2addr_b64 v[69:72], v18 offset0:2 offset1:3
	ds_load_2addr_b64 v[77:80], v18 offset0:4 offset1:5
	;; [unrolled: 1-line block ×5, first 2 shown]
	s_cmpk_lg_i32 s3, 0x1e0
	s_waitcnt lgkmcnt(5)
	v_mul_f64 v[18:19], v[67:68], v[2:3]
	v_mul_f64 v[46:47], v[65:66], v[2:3]
	s_waitcnt lgkmcnt(4)
	v_mul_f64 v[57:58], v[71:72], v[2:3]
	v_mul_f64 v[61:62], v[69:70], v[2:3]
	;; [unrolled: 3-line block ×6, first 2 shown]
	v_fma_f64 v[18:19], v[65:66], v[0:1], -v[18:19]
	v_fma_f64 v[46:47], v[67:68], v[0:1], v[46:47]
	v_fma_f64 v[57:58], v[69:70], v[0:1], -v[57:58]
	v_fma_f64 v[61:62], v[71:72], v[0:1], v[61:62]
	;; [unrolled: 2-line block ×6, first 2 shown]
	s_waitcnt vmcnt(5)
	v_add_f64 v[6:7], v[6:7], -v[18:19]
	v_add_f64 v[8:9], v[8:9], -v[46:47]
	s_waitcnt vmcnt(4)
	v_add_f64 v[10:11], v[10:11], -v[57:58]
	v_add_f64 v[12:13], v[12:13], -v[61:62]
	;; [unrolled: 3-line block ×6, first 2 shown]
	s_clause 0x5
	scratch_store_b128 off, v[6:9], s6
	scratch_store_b128 off, v[10:13], s9
	;; [unrolled: 1-line block ×6, first 2 shown]
	s_cbranch_scc1 .LBB126_830
.LBB126_831:
	s_or_b32 exec_lo, exec_lo, s2
	s_waitcnt_vscnt null, 0x0
	s_barrier
	buffer_gl0_inv
	scratch_load_b128 v[0:3], v134, off
	v_lshl_add_u32 v4, v41, 4, v36
	s_cmp_lt_i32 s5, 36
	s_waitcnt vmcnt(0)
	ds_store_2addr_b64 v4, v[0:1], v[2:3] offset1:1
	s_waitcnt lgkmcnt(0)
	s_barrier
	buffer_gl0_inv
	ds_load_2addr_b64 v[0:3], v36 offset0:68 offset1:69
	v_mov_b32_e32 v4, 34
	s_cbranch_scc1 .LBB126_834
; %bb.832:
	v_add3_u32 v5, v38, 0, 0x230
	v_mov_b32_e32 v4, 34
	s_mov_b32 s6, 35
	s_set_inst_prefetch_distance 0x1
	.p2align	6
.LBB126_833:                            ; =>This Inner Loop Header: Depth=1
	ds_load_2addr_b64 v[6:9], v5 offset1:1
	s_waitcnt lgkmcnt(1)
	v_cmp_gt_f64_e32 vcc_lo, 0, v[0:1]
	v_xor_b32_e32 v10, 0x80000000, v1
	v_cmp_gt_f64_e64 s2, 0, v[2:3]
	v_xor_b32_e32 v12, 0x80000000, v3
	v_add_nc_u32_e32 v5, 16, v5
	s_waitcnt lgkmcnt(0)
	v_cmp_gt_f64_e64 s3, 0, v[6:7]
	v_mov_b32_e32 v14, v6
	v_dual_mov_b32 v16, v8 :: v_dual_cndmask_b32 v11, v1, v10
	v_xor_b32_e32 v10, 0x80000000, v7
	v_cndmask_b32_e64 v13, v3, v12, s2
	v_xor_b32_e32 v12, 0x80000000, v9
	s_delay_alu instid0(VALU_DEP_3) | instskip(SKIP_2) | instid1(VALU_DEP_2)
	v_cndmask_b32_e64 v15, v7, v10, s3
	v_cmp_gt_f64_e64 s3, 0, v[8:9]
	v_cndmask_b32_e32 v10, v0, v0, vcc_lo
	v_cndmask_b32_e64 v17, v9, v12, s3
	v_cndmask_b32_e64 v12, v2, v2, s2
	s_delay_alu instid0(VALU_DEP_2) | instskip(NEXT) | instid1(VALU_DEP_2)
	v_add_f64 v[14:15], v[14:15], v[16:17]
	v_add_f64 v[10:11], v[10:11], v[12:13]
	s_delay_alu instid0(VALU_DEP_1)
	v_cmp_lt_f64_e32 vcc_lo, v[10:11], v[14:15]
	v_cndmask_b32_e32 v3, v3, v9, vcc_lo
	v_dual_cndmask_b32 v1, v1, v7 :: v_dual_cndmask_b32 v0, v0, v6
	v_cndmask_b32_e32 v2, v2, v8, vcc_lo
	v_cndmask_b32_e64 v4, v4, s6, vcc_lo
	s_add_i32 s6, s6, 1
	s_delay_alu instid0(SALU_CYCLE_1)
	s_cmp_lg_u32 s5, s6
	s_cbranch_scc1 .LBB126_833
.LBB126_834:
	s_set_inst_prefetch_distance 0x2
	s_waitcnt lgkmcnt(0)
	v_cmp_eq_f64_e32 vcc_lo, 0, v[0:1]
	v_cmp_eq_f64_e64 s2, 0, v[2:3]
	s_delay_alu instid0(VALU_DEP_1) | instskip(NEXT) | instid1(SALU_CYCLE_1)
	s_and_b32 s2, vcc_lo, s2
	s_and_saveexec_b32 s3, s2
	s_delay_alu instid0(SALU_CYCLE_1)
	s_xor_b32 s2, exec_lo, s3
; %bb.835:
	v_cmp_ne_u32_e32 vcc_lo, 0, v37
	v_cndmask_b32_e32 v37, 35, v37, vcc_lo
; %bb.836:
	s_and_not1_saveexec_b32 s3, s2
	s_cbranch_execz .LBB126_842
; %bb.837:
	v_cmp_gt_f64_e32 vcc_lo, 0, v[0:1]
	v_cmp_gt_f64_e64 s2, 0, v[2:3]
	v_xor_b32_e32 v5, 0x80000000, v1
	v_xor_b32_e32 v7, 0x80000000, v3
	s_delay_alu instid0(VALU_DEP_2) | instskip(NEXT) | instid1(VALU_DEP_2)
	v_dual_cndmask_b32 v6, v1, v5 :: v_dual_cndmask_b32 v5, v0, v0
	v_cndmask_b32_e64 v8, v3, v7, s2
	v_cndmask_b32_e64 v7, v2, v2, s2
	s_mov_b32 s2, exec_lo
	s_delay_alu instid0(VALU_DEP_1)
	v_cmpx_ngt_f64_e32 v[5:6], v[7:8]
	s_xor_b32 s2, exec_lo, s2
	s_cbranch_execz .LBB126_839
; %bb.838:
	v_div_scale_f64 v[5:6], null, v[2:3], v[2:3], v[0:1]
	v_div_scale_f64 v[11:12], vcc_lo, v[0:1], v[2:3], v[0:1]
	s_delay_alu instid0(VALU_DEP_2) | instskip(SKIP_2) | instid1(VALU_DEP_1)
	v_rcp_f64_e32 v[7:8], v[5:6]
	s_waitcnt_depctr 0xfff
	v_fma_f64 v[9:10], -v[5:6], v[7:8], 1.0
	v_fma_f64 v[7:8], v[7:8], v[9:10], v[7:8]
	s_delay_alu instid0(VALU_DEP_1) | instskip(NEXT) | instid1(VALU_DEP_1)
	v_fma_f64 v[9:10], -v[5:6], v[7:8], 1.0
	v_fma_f64 v[7:8], v[7:8], v[9:10], v[7:8]
	s_delay_alu instid0(VALU_DEP_1) | instskip(NEXT) | instid1(VALU_DEP_1)
	v_mul_f64 v[9:10], v[11:12], v[7:8]
	v_fma_f64 v[5:6], -v[5:6], v[9:10], v[11:12]
	s_delay_alu instid0(VALU_DEP_1) | instskip(NEXT) | instid1(VALU_DEP_1)
	v_div_fmas_f64 v[5:6], v[5:6], v[7:8], v[9:10]
	v_div_fixup_f64 v[5:6], v[5:6], v[2:3], v[0:1]
	s_delay_alu instid0(VALU_DEP_1) | instskip(NEXT) | instid1(VALU_DEP_1)
	v_fma_f64 v[0:1], v[0:1], v[5:6], v[2:3]
	v_div_scale_f64 v[2:3], null, v[0:1], v[0:1], 1.0
	s_delay_alu instid0(VALU_DEP_1) | instskip(SKIP_2) | instid1(VALU_DEP_1)
	v_rcp_f64_e32 v[7:8], v[2:3]
	s_waitcnt_depctr 0xfff
	v_fma_f64 v[9:10], -v[2:3], v[7:8], 1.0
	v_fma_f64 v[7:8], v[7:8], v[9:10], v[7:8]
	s_delay_alu instid0(VALU_DEP_1) | instskip(NEXT) | instid1(VALU_DEP_1)
	v_fma_f64 v[9:10], -v[2:3], v[7:8], 1.0
	v_fma_f64 v[7:8], v[7:8], v[9:10], v[7:8]
	v_div_scale_f64 v[9:10], vcc_lo, 1.0, v[0:1], 1.0
	s_delay_alu instid0(VALU_DEP_1) | instskip(NEXT) | instid1(VALU_DEP_1)
	v_mul_f64 v[11:12], v[9:10], v[7:8]
	v_fma_f64 v[2:3], -v[2:3], v[11:12], v[9:10]
	s_delay_alu instid0(VALU_DEP_1) | instskip(NEXT) | instid1(VALU_DEP_1)
	v_div_fmas_f64 v[2:3], v[2:3], v[7:8], v[11:12]
	v_div_fixup_f64 v[2:3], v[2:3], v[0:1], 1.0
	s_delay_alu instid0(VALU_DEP_1)
	v_mul_f64 v[0:1], v[5:6], v[2:3]
	v_xor_b32_e32 v3, 0x80000000, v3
.LBB126_839:
	s_and_not1_saveexec_b32 s2, s2
	s_cbranch_execz .LBB126_841
; %bb.840:
	s_delay_alu instid0(VALU_DEP_1) | instskip(SKIP_1) | instid1(VALU_DEP_2)
	v_div_scale_f64 v[5:6], null, v[0:1], v[0:1], v[2:3]
	v_div_scale_f64 v[11:12], vcc_lo, v[2:3], v[0:1], v[2:3]
	v_rcp_f64_e32 v[7:8], v[5:6]
	s_waitcnt_depctr 0xfff
	v_fma_f64 v[9:10], -v[5:6], v[7:8], 1.0
	s_delay_alu instid0(VALU_DEP_1) | instskip(NEXT) | instid1(VALU_DEP_1)
	v_fma_f64 v[7:8], v[7:8], v[9:10], v[7:8]
	v_fma_f64 v[9:10], -v[5:6], v[7:8], 1.0
	s_delay_alu instid0(VALU_DEP_1) | instskip(NEXT) | instid1(VALU_DEP_1)
	v_fma_f64 v[7:8], v[7:8], v[9:10], v[7:8]
	v_mul_f64 v[9:10], v[11:12], v[7:8]
	s_delay_alu instid0(VALU_DEP_1) | instskip(NEXT) | instid1(VALU_DEP_1)
	v_fma_f64 v[5:6], -v[5:6], v[9:10], v[11:12]
	v_div_fmas_f64 v[5:6], v[5:6], v[7:8], v[9:10]
	s_delay_alu instid0(VALU_DEP_1) | instskip(NEXT) | instid1(VALU_DEP_1)
	v_div_fixup_f64 v[5:6], v[5:6], v[0:1], v[2:3]
	v_fma_f64 v[0:1], v[2:3], v[5:6], v[0:1]
	s_delay_alu instid0(VALU_DEP_1) | instskip(NEXT) | instid1(VALU_DEP_1)
	v_div_scale_f64 v[2:3], null, v[0:1], v[0:1], 1.0
	v_rcp_f64_e32 v[7:8], v[2:3]
	s_waitcnt_depctr 0xfff
	v_fma_f64 v[9:10], -v[2:3], v[7:8], 1.0
	s_delay_alu instid0(VALU_DEP_1) | instskip(NEXT) | instid1(VALU_DEP_1)
	v_fma_f64 v[7:8], v[7:8], v[9:10], v[7:8]
	v_fma_f64 v[9:10], -v[2:3], v[7:8], 1.0
	s_delay_alu instid0(VALU_DEP_1) | instskip(SKIP_1) | instid1(VALU_DEP_1)
	v_fma_f64 v[7:8], v[7:8], v[9:10], v[7:8]
	v_div_scale_f64 v[9:10], vcc_lo, 1.0, v[0:1], 1.0
	v_mul_f64 v[11:12], v[9:10], v[7:8]
	s_delay_alu instid0(VALU_DEP_1) | instskip(NEXT) | instid1(VALU_DEP_1)
	v_fma_f64 v[2:3], -v[2:3], v[11:12], v[9:10]
	v_div_fmas_f64 v[2:3], v[2:3], v[7:8], v[11:12]
	s_delay_alu instid0(VALU_DEP_1) | instskip(NEXT) | instid1(VALU_DEP_1)
	v_div_fixup_f64 v[0:1], v[2:3], v[0:1], 1.0
	v_mul_f64 v[2:3], v[5:6], -v[0:1]
.LBB126_841:
	s_or_b32 exec_lo, exec_lo, s2
.LBB126_842:
	s_delay_alu instid0(SALU_CYCLE_1) | instskip(NEXT) | instid1(SALU_CYCLE_1)
	s_or_b32 exec_lo, exec_lo, s3
	s_mov_b32 s2, exec_lo
	v_cmpx_ne_u32_e64 v41, v4
	s_xor_b32 s2, exec_lo, s2
	s_cbranch_execz .LBB126_848
; %bb.843:
	s_mov_b32 s3, exec_lo
	v_cmpx_eq_u32_e32 34, v41
	s_cbranch_execz .LBB126_847
; %bb.844:
	v_cmp_ne_u32_e32 vcc_lo, 34, v4
	s_xor_b32 s6, s4, -1
	s_delay_alu instid0(SALU_CYCLE_1) | instskip(NEXT) | instid1(SALU_CYCLE_1)
	s_and_b32 s7, s6, vcc_lo
	s_and_saveexec_b32 s6, s7
	s_cbranch_execz .LBB126_846
; %bb.845:
	v_ashrrev_i32_e32 v5, 31, v4
	s_delay_alu instid0(VALU_DEP_1) | instskip(NEXT) | instid1(VALU_DEP_1)
	v_lshlrev_b64 v[5:6], 2, v[4:5]
	v_add_co_u32 v5, vcc_lo, v250, v5
	s_delay_alu instid0(VALU_DEP_2)
	v_add_co_ci_u32_e32 v6, vcc_lo, v251, v6, vcc_lo
	s_clause 0x1
	flat_load_b32 v7, v[5:6]
	flat_load_b32 v8, v[250:251] offset:136
	s_waitcnt vmcnt(1) lgkmcnt(1)
	flat_store_b32 v[250:251], v7 offset:136
	s_waitcnt vmcnt(0) lgkmcnt(1)
	flat_store_b32 v[5:6], v8
.LBB126_846:
	s_or_b32 exec_lo, exec_lo, s6
	v_mov_b32_e32 v41, v4
	v_mov_b32_e32 v39, v4
.LBB126_847:
	s_or_b32 exec_lo, exec_lo, s3
.LBB126_848:
	s_and_not1_saveexec_b32 s2, s2
	s_cbranch_execz .LBB126_850
; %bb.849:
	s_clause 0x1c
	scratch_load_b128 v[4:7], v140, off
	scratch_load_b128 v[8:11], v145, off
	scratch_load_b128 v[12:15], v144, off
	scratch_load_b128 v[42:45], v153, off
	scratch_load_b128 v[49:52], v152, off
	scratch_load_b128 v[53:56], v185, off
	scratch_load_b128 v[65:68], v184, off
	scratch_load_b128 v[69:72], v183, off
	scratch_load_b128 v[77:80], v182, off
	scratch_load_b128 v[81:84], v181, off
	scratch_load_b128 v[85:88], v180, off
	scratch_load_b128 v[89:92], v179, off
	scratch_load_b128 v[93:96], v178, off
	scratch_load_b128 v[97:100], v177, off
	scratch_load_b128 v[101:104], v176, off
	scratch_load_b128 v[105:108], v175, off
	scratch_load_b128 v[129:132], v174, off
	scratch_load_b128 v[136:139], v173, off
	scratch_load_b128 v[146:149], v172, off
	scratch_load_b128 v[186:189], v168, off
	scratch_load_b128 v[190:193], v170, off
	scratch_load_b128 v[194:197], v166, off
	scratch_load_b128 v[198:201], v169, off
	scratch_load_b128 v[202:205], v164, off
	scratch_load_b128 v[206:209], v167, off
	scratch_load_b128 v[210:213], v162, off
	scratch_load_b128 v[214:217], v165, off
	scratch_load_b128 v[218:221], v255, off
	scratch_load_b128 v[222:225], v163, off
	v_mov_b32_e32 v41, 34
	s_waitcnt vmcnt(28)
	ds_store_2addr_b64 v36, v[4:5], v[6:7] offset0:70 offset1:71
	s_waitcnt vmcnt(27)
	ds_store_2addr_b64 v36, v[8:9], v[10:11] offset0:72 offset1:73
	;; [unrolled: 2-line block ×29, first 2 shown]
.LBB126_850:
	s_or_b32 exec_lo, exec_lo, s2
	s_delay_alu instid0(SALU_CYCLE_1)
	s_mov_b32 s2, exec_lo
	s_waitcnt lgkmcnt(0)
	s_waitcnt_vscnt null, 0x0
	s_barrier
	buffer_gl0_inv
	v_cmpx_lt_i32_e32 34, v41
	s_cbranch_execz .LBB126_855
; %bb.851:
	scratch_load_b128 v[4:7], off, off offset:544
	s_mov_b32 s3, 0
	s_waitcnt vmcnt(0)
	v_mul_f64 v[8:9], v[2:3], v[6:7]
	v_mul_f64 v[6:7], v[0:1], v[6:7]
	s_delay_alu instid0(VALU_DEP_2) | instskip(NEXT) | instid1(VALU_DEP_2)
	v_fma_f64 v[0:1], v[0:1], v[4:5], -v[8:9]
	v_fma_f64 v[2:3], v[2:3], v[4:5], v[6:7]
	v_add3_u32 v4, v38, 0, 0x230
	v_mov_b32_e32 v5, 0
	scratch_store_b128 off, v[0:3], off offset:544
	s_branch .LBB126_853
.LBB126_852:                            ;   in Loop: Header=BB126_853 Depth=1
	s_and_not1_b32 vcc_lo, exec_lo, s7
	s_cbranch_vccz .LBB126_855
.LBB126_853:                            ; =>This Inner Loop Header: Depth=1
	v_readfirstlane_b32 s6, v5
	v_add_nc_u32_e32 v6, s3, v4
	s_mov_b32 s7, -1
	s_delay_alu instid0(VALU_DEP_2)
	s_add_i32 s6, s6, s3
	ds_load_2addr_b64 v[11:14], v6 offset1:1
	s_add_i32 s9, s6, 0x230
	s_cmpk_eq_i32 s3, 0x1c0
	scratch_load_b128 v[7:10], off, s9
	s_waitcnt lgkmcnt(0)
	v_mul_f64 v[15:16], v[13:14], v[2:3]
	v_mul_f64 v[17:18], v[11:12], v[2:3]
	s_delay_alu instid0(VALU_DEP_2) | instskip(NEXT) | instid1(VALU_DEP_2)
	v_fma_f64 v[11:12], v[11:12], v[0:1], -v[15:16]
	v_fma_f64 v[13:14], v[13:14], v[0:1], v[17:18]
	s_waitcnt vmcnt(0)
	s_delay_alu instid0(VALU_DEP_2) | instskip(NEXT) | instid1(VALU_DEP_2)
	v_add_f64 v[7:8], v[7:8], -v[11:12]
	v_add_f64 v[9:10], v[9:10], -v[13:14]
	scratch_store_b128 off, v[7:10], s9
	s_cbranch_scc1 .LBB126_852
; %bb.854:                              ;   in Loop: Header=BB126_853 Depth=1
	s_add_i32 s9, s6, 0x240
	s_add_i32 s12, s6, 0x250
	scratch_load_b128 v[7:10], off, s9
	s_addk_i32 s6, 0x260
	s_clause 0x1
	scratch_load_b128 v[11:14], off, s12
	scratch_load_b128 v[42:45], off, s6
	ds_load_2addr_b64 v[49:52], v6 offset0:2 offset1:3
	ds_load_2addr_b64 v[53:56], v6 offset0:4 offset1:5
	;; [unrolled: 1-line block ×3, first 2 shown]
	s_add_i32 s3, s3, 64
	s_mov_b32 s7, 0
	s_waitcnt lgkmcnt(2)
	v_mul_f64 v[15:16], v[51:52], v[2:3]
	v_mul_f64 v[17:18], v[49:50], v[2:3]
	s_waitcnt lgkmcnt(1)
	v_mul_f64 v[46:47], v[55:56], v[2:3]
	v_mul_f64 v[57:58], v[53:54], v[2:3]
	;; [unrolled: 3-line block ×3, first 2 shown]
	v_fma_f64 v[15:16], v[49:50], v[0:1], -v[15:16]
	v_fma_f64 v[17:18], v[51:52], v[0:1], v[17:18]
	v_fma_f64 v[46:47], v[53:54], v[0:1], -v[46:47]
	v_fma_f64 v[49:50], v[55:56], v[0:1], v[57:58]
	;; [unrolled: 2-line block ×3, first 2 shown]
	s_waitcnt vmcnt(2)
	v_add_f64 v[6:7], v[7:8], -v[15:16]
	v_add_f64 v[8:9], v[9:10], -v[17:18]
	s_waitcnt vmcnt(1)
	v_add_f64 v[10:11], v[11:12], -v[46:47]
	v_add_f64 v[12:13], v[13:14], -v[49:50]
	s_waitcnt vmcnt(0)
	v_add_f64 v[14:15], v[42:43], -v[51:52]
	v_add_f64 v[16:17], v[44:45], -v[53:54]
	s_clause 0x2
	scratch_store_b128 off, v[6:9], s9
	scratch_store_b128 off, v[10:13], s12
	;; [unrolled: 1-line block ×3, first 2 shown]
	s_branch .LBB126_852
.LBB126_855:
	s_or_b32 exec_lo, exec_lo, s2
	s_waitcnt_vscnt null, 0x0
	s_barrier
	buffer_gl0_inv
	scratch_load_b128 v[0:3], v140, off
	v_lshl_add_u32 v4, v41, 4, v36
	s_cmp_lt_i32 s5, 37
	s_waitcnt vmcnt(0)
	ds_store_2addr_b64 v4, v[0:1], v[2:3] offset1:1
	s_waitcnt lgkmcnt(0)
	s_barrier
	buffer_gl0_inv
	ds_load_2addr_b64 v[0:3], v36 offset0:70 offset1:71
	v_mov_b32_e32 v4, 35
	s_cbranch_scc1 .LBB126_858
; %bb.856:
	v_add3_u32 v5, v38, 0, 0x240
	v_mov_b32_e32 v4, 35
	s_mov_b32 s6, 36
	s_set_inst_prefetch_distance 0x1
	.p2align	6
.LBB126_857:                            ; =>This Inner Loop Header: Depth=1
	ds_load_2addr_b64 v[6:9], v5 offset1:1
	s_waitcnt lgkmcnt(1)
	v_cmp_gt_f64_e32 vcc_lo, 0, v[0:1]
	v_xor_b32_e32 v10, 0x80000000, v1
	v_cmp_gt_f64_e64 s2, 0, v[2:3]
	v_xor_b32_e32 v12, 0x80000000, v3
	v_add_nc_u32_e32 v5, 16, v5
	s_waitcnt lgkmcnt(0)
	v_cmp_gt_f64_e64 s3, 0, v[6:7]
	v_mov_b32_e32 v14, v6
	v_dual_mov_b32 v16, v8 :: v_dual_cndmask_b32 v11, v1, v10
	v_xor_b32_e32 v10, 0x80000000, v7
	v_cndmask_b32_e64 v13, v3, v12, s2
	v_xor_b32_e32 v12, 0x80000000, v9
	s_delay_alu instid0(VALU_DEP_3) | instskip(SKIP_2) | instid1(VALU_DEP_2)
	v_cndmask_b32_e64 v15, v7, v10, s3
	v_cmp_gt_f64_e64 s3, 0, v[8:9]
	v_cndmask_b32_e32 v10, v0, v0, vcc_lo
	v_cndmask_b32_e64 v17, v9, v12, s3
	v_cndmask_b32_e64 v12, v2, v2, s2
	s_delay_alu instid0(VALU_DEP_2) | instskip(NEXT) | instid1(VALU_DEP_2)
	v_add_f64 v[14:15], v[14:15], v[16:17]
	v_add_f64 v[10:11], v[10:11], v[12:13]
	s_delay_alu instid0(VALU_DEP_1)
	v_cmp_lt_f64_e32 vcc_lo, v[10:11], v[14:15]
	v_cndmask_b32_e32 v3, v3, v9, vcc_lo
	v_dual_cndmask_b32 v1, v1, v7 :: v_dual_cndmask_b32 v0, v0, v6
	v_cndmask_b32_e32 v2, v2, v8, vcc_lo
	v_cndmask_b32_e64 v4, v4, s6, vcc_lo
	s_add_i32 s6, s6, 1
	s_delay_alu instid0(SALU_CYCLE_1)
	s_cmp_lg_u32 s5, s6
	s_cbranch_scc1 .LBB126_857
.LBB126_858:
	s_set_inst_prefetch_distance 0x2
	s_waitcnt lgkmcnt(0)
	v_cmp_eq_f64_e32 vcc_lo, 0, v[0:1]
	v_cmp_eq_f64_e64 s2, 0, v[2:3]
	s_delay_alu instid0(VALU_DEP_1) | instskip(NEXT) | instid1(SALU_CYCLE_1)
	s_and_b32 s2, vcc_lo, s2
	s_and_saveexec_b32 s3, s2
	s_delay_alu instid0(SALU_CYCLE_1)
	s_xor_b32 s2, exec_lo, s3
; %bb.859:
	v_cmp_ne_u32_e32 vcc_lo, 0, v37
	v_cndmask_b32_e32 v37, 36, v37, vcc_lo
; %bb.860:
	s_and_not1_saveexec_b32 s3, s2
	s_cbranch_execz .LBB126_866
; %bb.861:
	v_cmp_gt_f64_e32 vcc_lo, 0, v[0:1]
	v_cmp_gt_f64_e64 s2, 0, v[2:3]
	v_xor_b32_e32 v5, 0x80000000, v1
	v_xor_b32_e32 v7, 0x80000000, v3
	s_delay_alu instid0(VALU_DEP_2) | instskip(NEXT) | instid1(VALU_DEP_2)
	v_dual_cndmask_b32 v6, v1, v5 :: v_dual_cndmask_b32 v5, v0, v0
	v_cndmask_b32_e64 v8, v3, v7, s2
	v_cndmask_b32_e64 v7, v2, v2, s2
	s_mov_b32 s2, exec_lo
	s_delay_alu instid0(VALU_DEP_1)
	v_cmpx_ngt_f64_e32 v[5:6], v[7:8]
	s_xor_b32 s2, exec_lo, s2
	s_cbranch_execz .LBB126_863
; %bb.862:
	v_div_scale_f64 v[5:6], null, v[2:3], v[2:3], v[0:1]
	v_div_scale_f64 v[11:12], vcc_lo, v[0:1], v[2:3], v[0:1]
	s_delay_alu instid0(VALU_DEP_2) | instskip(SKIP_2) | instid1(VALU_DEP_1)
	v_rcp_f64_e32 v[7:8], v[5:6]
	s_waitcnt_depctr 0xfff
	v_fma_f64 v[9:10], -v[5:6], v[7:8], 1.0
	v_fma_f64 v[7:8], v[7:8], v[9:10], v[7:8]
	s_delay_alu instid0(VALU_DEP_1) | instskip(NEXT) | instid1(VALU_DEP_1)
	v_fma_f64 v[9:10], -v[5:6], v[7:8], 1.0
	v_fma_f64 v[7:8], v[7:8], v[9:10], v[7:8]
	s_delay_alu instid0(VALU_DEP_1) | instskip(NEXT) | instid1(VALU_DEP_1)
	v_mul_f64 v[9:10], v[11:12], v[7:8]
	v_fma_f64 v[5:6], -v[5:6], v[9:10], v[11:12]
	s_delay_alu instid0(VALU_DEP_1) | instskip(NEXT) | instid1(VALU_DEP_1)
	v_div_fmas_f64 v[5:6], v[5:6], v[7:8], v[9:10]
	v_div_fixup_f64 v[5:6], v[5:6], v[2:3], v[0:1]
	s_delay_alu instid0(VALU_DEP_1) | instskip(NEXT) | instid1(VALU_DEP_1)
	v_fma_f64 v[0:1], v[0:1], v[5:6], v[2:3]
	v_div_scale_f64 v[2:3], null, v[0:1], v[0:1], 1.0
	s_delay_alu instid0(VALU_DEP_1) | instskip(SKIP_2) | instid1(VALU_DEP_1)
	v_rcp_f64_e32 v[7:8], v[2:3]
	s_waitcnt_depctr 0xfff
	v_fma_f64 v[9:10], -v[2:3], v[7:8], 1.0
	v_fma_f64 v[7:8], v[7:8], v[9:10], v[7:8]
	s_delay_alu instid0(VALU_DEP_1) | instskip(NEXT) | instid1(VALU_DEP_1)
	v_fma_f64 v[9:10], -v[2:3], v[7:8], 1.0
	v_fma_f64 v[7:8], v[7:8], v[9:10], v[7:8]
	v_div_scale_f64 v[9:10], vcc_lo, 1.0, v[0:1], 1.0
	s_delay_alu instid0(VALU_DEP_1) | instskip(NEXT) | instid1(VALU_DEP_1)
	v_mul_f64 v[11:12], v[9:10], v[7:8]
	v_fma_f64 v[2:3], -v[2:3], v[11:12], v[9:10]
	s_delay_alu instid0(VALU_DEP_1) | instskip(NEXT) | instid1(VALU_DEP_1)
	v_div_fmas_f64 v[2:3], v[2:3], v[7:8], v[11:12]
	v_div_fixup_f64 v[2:3], v[2:3], v[0:1], 1.0
	s_delay_alu instid0(VALU_DEP_1)
	v_mul_f64 v[0:1], v[5:6], v[2:3]
	v_xor_b32_e32 v3, 0x80000000, v3
.LBB126_863:
	s_and_not1_saveexec_b32 s2, s2
	s_cbranch_execz .LBB126_865
; %bb.864:
	s_delay_alu instid0(VALU_DEP_1) | instskip(SKIP_1) | instid1(VALU_DEP_2)
	v_div_scale_f64 v[5:6], null, v[0:1], v[0:1], v[2:3]
	v_div_scale_f64 v[11:12], vcc_lo, v[2:3], v[0:1], v[2:3]
	v_rcp_f64_e32 v[7:8], v[5:6]
	s_waitcnt_depctr 0xfff
	v_fma_f64 v[9:10], -v[5:6], v[7:8], 1.0
	s_delay_alu instid0(VALU_DEP_1) | instskip(NEXT) | instid1(VALU_DEP_1)
	v_fma_f64 v[7:8], v[7:8], v[9:10], v[7:8]
	v_fma_f64 v[9:10], -v[5:6], v[7:8], 1.0
	s_delay_alu instid0(VALU_DEP_1) | instskip(NEXT) | instid1(VALU_DEP_1)
	v_fma_f64 v[7:8], v[7:8], v[9:10], v[7:8]
	v_mul_f64 v[9:10], v[11:12], v[7:8]
	s_delay_alu instid0(VALU_DEP_1) | instskip(NEXT) | instid1(VALU_DEP_1)
	v_fma_f64 v[5:6], -v[5:6], v[9:10], v[11:12]
	v_div_fmas_f64 v[5:6], v[5:6], v[7:8], v[9:10]
	s_delay_alu instid0(VALU_DEP_1) | instskip(NEXT) | instid1(VALU_DEP_1)
	v_div_fixup_f64 v[5:6], v[5:6], v[0:1], v[2:3]
	v_fma_f64 v[0:1], v[2:3], v[5:6], v[0:1]
	s_delay_alu instid0(VALU_DEP_1) | instskip(NEXT) | instid1(VALU_DEP_1)
	v_div_scale_f64 v[2:3], null, v[0:1], v[0:1], 1.0
	v_rcp_f64_e32 v[7:8], v[2:3]
	s_waitcnt_depctr 0xfff
	v_fma_f64 v[9:10], -v[2:3], v[7:8], 1.0
	s_delay_alu instid0(VALU_DEP_1) | instskip(NEXT) | instid1(VALU_DEP_1)
	v_fma_f64 v[7:8], v[7:8], v[9:10], v[7:8]
	v_fma_f64 v[9:10], -v[2:3], v[7:8], 1.0
	s_delay_alu instid0(VALU_DEP_1) | instskip(SKIP_1) | instid1(VALU_DEP_1)
	v_fma_f64 v[7:8], v[7:8], v[9:10], v[7:8]
	v_div_scale_f64 v[9:10], vcc_lo, 1.0, v[0:1], 1.0
	v_mul_f64 v[11:12], v[9:10], v[7:8]
	s_delay_alu instid0(VALU_DEP_1) | instskip(NEXT) | instid1(VALU_DEP_1)
	v_fma_f64 v[2:3], -v[2:3], v[11:12], v[9:10]
	v_div_fmas_f64 v[2:3], v[2:3], v[7:8], v[11:12]
	s_delay_alu instid0(VALU_DEP_1) | instskip(NEXT) | instid1(VALU_DEP_1)
	v_div_fixup_f64 v[0:1], v[2:3], v[0:1], 1.0
	v_mul_f64 v[2:3], v[5:6], -v[0:1]
.LBB126_865:
	s_or_b32 exec_lo, exec_lo, s2
.LBB126_866:
	s_delay_alu instid0(SALU_CYCLE_1) | instskip(NEXT) | instid1(SALU_CYCLE_1)
	s_or_b32 exec_lo, exec_lo, s3
	s_mov_b32 s2, exec_lo
	v_cmpx_ne_u32_e64 v41, v4
	s_xor_b32 s2, exec_lo, s2
	s_cbranch_execz .LBB126_872
; %bb.867:
	s_mov_b32 s3, exec_lo
	v_cmpx_eq_u32_e32 35, v41
	s_cbranch_execz .LBB126_871
; %bb.868:
	v_cmp_ne_u32_e32 vcc_lo, 35, v4
	s_xor_b32 s6, s4, -1
	s_delay_alu instid0(SALU_CYCLE_1) | instskip(NEXT) | instid1(SALU_CYCLE_1)
	s_and_b32 s7, s6, vcc_lo
	s_and_saveexec_b32 s6, s7
	s_cbranch_execz .LBB126_870
; %bb.869:
	v_ashrrev_i32_e32 v5, 31, v4
	s_delay_alu instid0(VALU_DEP_1) | instskip(NEXT) | instid1(VALU_DEP_1)
	v_lshlrev_b64 v[5:6], 2, v[4:5]
	v_add_co_u32 v5, vcc_lo, v250, v5
	s_delay_alu instid0(VALU_DEP_2)
	v_add_co_ci_u32_e32 v6, vcc_lo, v251, v6, vcc_lo
	s_clause 0x1
	flat_load_b32 v7, v[5:6]
	flat_load_b32 v8, v[250:251] offset:140
	s_waitcnt vmcnt(1) lgkmcnt(1)
	flat_store_b32 v[250:251], v7 offset:140
	s_waitcnt vmcnt(0) lgkmcnt(1)
	flat_store_b32 v[5:6], v8
.LBB126_870:
	s_or_b32 exec_lo, exec_lo, s6
	v_mov_b32_e32 v41, v4
	v_mov_b32_e32 v39, v4
.LBB126_871:
	s_or_b32 exec_lo, exec_lo, s3
.LBB126_872:
	s_and_not1_saveexec_b32 s2, s2
	s_cbranch_execz .LBB126_874
; %bb.873:
	s_clause 0x1b
	scratch_load_b128 v[4:7], v145, off
	scratch_load_b128 v[8:11], v144, off
	;; [unrolled: 1-line block ×28, first 2 shown]
	v_mov_b32_e32 v41, 35
	s_waitcnt vmcnt(27)
	ds_store_2addr_b64 v36, v[4:5], v[6:7] offset0:72 offset1:73
	s_waitcnt vmcnt(26)
	ds_store_2addr_b64 v36, v[8:9], v[10:11] offset0:74 offset1:75
	;; [unrolled: 2-line block ×28, first 2 shown]
.LBB126_874:
	s_or_b32 exec_lo, exec_lo, s2
	s_delay_alu instid0(SALU_CYCLE_1)
	s_mov_b32 s2, exec_lo
	s_waitcnt lgkmcnt(0)
	s_waitcnt_vscnt null, 0x0
	s_barrier
	buffer_gl0_inv
	v_cmpx_lt_i32_e32 35, v41
	s_cbranch_execz .LBB126_877
; %bb.875:
	scratch_load_b128 v[4:7], off, off offset:560
	s_mov_b32 s3, 0
	s_waitcnt vmcnt(0)
	v_mul_f64 v[8:9], v[2:3], v[6:7]
	v_mul_f64 v[6:7], v[0:1], v[6:7]
	s_delay_alu instid0(VALU_DEP_2) | instskip(NEXT) | instid1(VALU_DEP_2)
	v_fma_f64 v[0:1], v[0:1], v[4:5], -v[8:9]
	v_fma_f64 v[2:3], v[2:3], v[4:5], v[6:7]
	v_add3_u32 v4, v38, 0, 0x240
	v_mov_b32_e32 v5, 0
	scratch_store_b128 off, v[0:3], off offset:560
.LBB126_876:                            ; =>This Inner Loop Header: Depth=1
	v_add_nc_u32_e32 v59, s3, v4
	v_readfirstlane_b32 s6, v5
	ds_load_2addr_b64 v[6:9], v59 offset1:1
	ds_load_2addr_b64 v[10:13], v59 offset0:2 offset1:3
	ds_load_2addr_b64 v[14:17], v59 offset0:4 offset1:5
	;; [unrolled: 1-line block ×5, first 2 shown]
	s_add_i32 s6, s6, s3
	s_addk_i32 s3, 0x70
	s_add_i32 s7, s6, 0x240
	s_add_i32 s9, s6, 0x250
	s_add_i32 s12, s6, 0x260
	s_add_i32 s14, s6, 0x270
	s_add_i32 s15, s6, 0x280
	s_add_i32 s16, s6, 0x290
	s_addk_i32 s6, 0x2a0
	s_cmpk_lg_i32 s3, 0x1c0
	s_waitcnt lgkmcnt(5)
	v_mul_f64 v[18:19], v[8:9], v[2:3]
	v_mul_f64 v[46:47], v[6:7], v[2:3]
	s_waitcnt lgkmcnt(4)
	v_mul_f64 v[57:58], v[12:13], v[2:3]
	v_mul_f64 v[61:62], v[10:11], v[2:3]
	;; [unrolled: 3-line block ×6, first 2 shown]
	v_fma_f64 v[18:19], v[6:7], v[0:1], -v[18:19]
	v_fma_f64 v[46:47], v[8:9], v[0:1], v[46:47]
	v_fma_f64 v[57:58], v[10:11], v[0:1], -v[57:58]
	v_fma_f64 v[61:62], v[12:13], v[0:1], v[61:62]
	;; [unrolled: 2-line block ×6, first 2 shown]
	scratch_load_b128 v[0:3], off, off offset:560
	s_clause 0x6
	scratch_load_b128 v[6:9], off, s7
	scratch_load_b128 v[10:13], off, s9
	;; [unrolled: 1-line block ×7, first 2 shown]
	ds_load_2addr_b64 v[69:72], v59 offset0:12 offset1:13
	s_waitcnt vmcnt(6)
	v_add_f64 v[6:7], v[6:7], -v[18:19]
	v_add_f64 v[8:9], v[8:9], -v[46:47]
	s_waitcnt vmcnt(5)
	v_add_f64 v[10:11], v[10:11], -v[57:58]
	v_add_f64 v[12:13], v[12:13], -v[61:62]
	s_waitcnt vmcnt(4)
	v_add_f64 v[14:15], v[14:15], -v[81:82]
	s_waitcnt lgkmcnt(0)
	v_mul_f64 v[91:92], v[71:72], v[2:3]
	v_mul_f64 v[93:94], v[69:70], v[2:3]
	v_add_f64 v[16:17], v[16:17], -v[83:84]
	s_waitcnt vmcnt(3)
	v_add_f64 v[42:43], v[42:43], -v[85:86]
	v_add_f64 v[44:45], v[44:45], -v[87:88]
	s_waitcnt vmcnt(2)
	v_add_f64 v[49:50], v[49:50], -v[73:74]
	v_add_f64 v[51:52], v[51:52], -v[77:78]
	s_waitcnt vmcnt(1)
	v_add_f64 v[53:54], v[53:54], -v[79:80]
	v_add_f64 v[55:56], v[55:56], -v[89:90]
	v_fma_f64 v[69:70], v[69:70], v[0:1], -v[91:92]
	v_fma_f64 v[71:72], v[71:72], v[0:1], v[93:94]
	s_waitcnt vmcnt(0)
	s_delay_alu instid0(VALU_DEP_2) | instskip(NEXT) | instid1(VALU_DEP_2)
	v_add_f64 v[65:66], v[65:66], -v[69:70]
	v_add_f64 v[67:68], v[67:68], -v[71:72]
	s_clause 0x6
	scratch_store_b128 off, v[6:9], s7
	scratch_store_b128 off, v[10:13], s9
	;; [unrolled: 1-line block ×7, first 2 shown]
	s_cbranch_scc1 .LBB126_876
.LBB126_877:
	s_or_b32 exec_lo, exec_lo, s2
	s_waitcnt_vscnt null, 0x0
	s_barrier
	buffer_gl0_inv
	scratch_load_b128 v[0:3], v145, off
	v_lshl_add_u32 v4, v41, 4, v36
	s_cmp_lt_i32 s5, 38
	s_waitcnt vmcnt(0)
	ds_store_2addr_b64 v4, v[0:1], v[2:3] offset1:1
	s_waitcnt lgkmcnt(0)
	s_barrier
	buffer_gl0_inv
	ds_load_2addr_b64 v[0:3], v36 offset0:72 offset1:73
	v_mov_b32_e32 v4, 36
	s_cbranch_scc1 .LBB126_880
; %bb.878:
	v_add3_u32 v5, v38, 0, 0x250
	v_mov_b32_e32 v4, 36
	s_mov_b32 s6, 37
	s_set_inst_prefetch_distance 0x1
	.p2align	6
.LBB126_879:                            ; =>This Inner Loop Header: Depth=1
	ds_load_2addr_b64 v[6:9], v5 offset1:1
	s_waitcnt lgkmcnt(1)
	v_cmp_gt_f64_e32 vcc_lo, 0, v[0:1]
	v_xor_b32_e32 v10, 0x80000000, v1
	v_cmp_gt_f64_e64 s2, 0, v[2:3]
	v_xor_b32_e32 v12, 0x80000000, v3
	v_add_nc_u32_e32 v5, 16, v5
	s_waitcnt lgkmcnt(0)
	v_cmp_gt_f64_e64 s3, 0, v[6:7]
	v_mov_b32_e32 v14, v6
	v_dual_mov_b32 v16, v8 :: v_dual_cndmask_b32 v11, v1, v10
	v_xor_b32_e32 v10, 0x80000000, v7
	v_cndmask_b32_e64 v13, v3, v12, s2
	v_xor_b32_e32 v12, 0x80000000, v9
	s_delay_alu instid0(VALU_DEP_3) | instskip(SKIP_2) | instid1(VALU_DEP_2)
	v_cndmask_b32_e64 v15, v7, v10, s3
	v_cmp_gt_f64_e64 s3, 0, v[8:9]
	v_cndmask_b32_e32 v10, v0, v0, vcc_lo
	v_cndmask_b32_e64 v17, v9, v12, s3
	v_cndmask_b32_e64 v12, v2, v2, s2
	s_delay_alu instid0(VALU_DEP_2) | instskip(NEXT) | instid1(VALU_DEP_2)
	v_add_f64 v[14:15], v[14:15], v[16:17]
	v_add_f64 v[10:11], v[10:11], v[12:13]
	s_delay_alu instid0(VALU_DEP_1)
	v_cmp_lt_f64_e32 vcc_lo, v[10:11], v[14:15]
	v_cndmask_b32_e32 v3, v3, v9, vcc_lo
	v_dual_cndmask_b32 v1, v1, v7 :: v_dual_cndmask_b32 v0, v0, v6
	v_cndmask_b32_e32 v2, v2, v8, vcc_lo
	v_cndmask_b32_e64 v4, v4, s6, vcc_lo
	s_add_i32 s6, s6, 1
	s_delay_alu instid0(SALU_CYCLE_1)
	s_cmp_lg_u32 s5, s6
	s_cbranch_scc1 .LBB126_879
.LBB126_880:
	s_set_inst_prefetch_distance 0x2
	s_waitcnt lgkmcnt(0)
	v_cmp_eq_f64_e32 vcc_lo, 0, v[0:1]
	v_cmp_eq_f64_e64 s2, 0, v[2:3]
	s_delay_alu instid0(VALU_DEP_1) | instskip(NEXT) | instid1(SALU_CYCLE_1)
	s_and_b32 s2, vcc_lo, s2
	s_and_saveexec_b32 s3, s2
	s_delay_alu instid0(SALU_CYCLE_1)
	s_xor_b32 s2, exec_lo, s3
; %bb.881:
	v_cmp_ne_u32_e32 vcc_lo, 0, v37
	v_cndmask_b32_e32 v37, 37, v37, vcc_lo
; %bb.882:
	s_and_not1_saveexec_b32 s3, s2
	s_cbranch_execz .LBB126_888
; %bb.883:
	v_cmp_gt_f64_e32 vcc_lo, 0, v[0:1]
	v_cmp_gt_f64_e64 s2, 0, v[2:3]
	v_xor_b32_e32 v5, 0x80000000, v1
	v_xor_b32_e32 v7, 0x80000000, v3
	s_delay_alu instid0(VALU_DEP_2) | instskip(NEXT) | instid1(VALU_DEP_2)
	v_dual_cndmask_b32 v6, v1, v5 :: v_dual_cndmask_b32 v5, v0, v0
	v_cndmask_b32_e64 v8, v3, v7, s2
	v_cndmask_b32_e64 v7, v2, v2, s2
	s_mov_b32 s2, exec_lo
	s_delay_alu instid0(VALU_DEP_1)
	v_cmpx_ngt_f64_e32 v[5:6], v[7:8]
	s_xor_b32 s2, exec_lo, s2
	s_cbranch_execz .LBB126_885
; %bb.884:
	v_div_scale_f64 v[5:6], null, v[2:3], v[2:3], v[0:1]
	v_div_scale_f64 v[11:12], vcc_lo, v[0:1], v[2:3], v[0:1]
	s_delay_alu instid0(VALU_DEP_2) | instskip(SKIP_2) | instid1(VALU_DEP_1)
	v_rcp_f64_e32 v[7:8], v[5:6]
	s_waitcnt_depctr 0xfff
	v_fma_f64 v[9:10], -v[5:6], v[7:8], 1.0
	v_fma_f64 v[7:8], v[7:8], v[9:10], v[7:8]
	s_delay_alu instid0(VALU_DEP_1) | instskip(NEXT) | instid1(VALU_DEP_1)
	v_fma_f64 v[9:10], -v[5:6], v[7:8], 1.0
	v_fma_f64 v[7:8], v[7:8], v[9:10], v[7:8]
	s_delay_alu instid0(VALU_DEP_1) | instskip(NEXT) | instid1(VALU_DEP_1)
	v_mul_f64 v[9:10], v[11:12], v[7:8]
	v_fma_f64 v[5:6], -v[5:6], v[9:10], v[11:12]
	s_delay_alu instid0(VALU_DEP_1) | instskip(NEXT) | instid1(VALU_DEP_1)
	v_div_fmas_f64 v[5:6], v[5:6], v[7:8], v[9:10]
	v_div_fixup_f64 v[5:6], v[5:6], v[2:3], v[0:1]
	s_delay_alu instid0(VALU_DEP_1) | instskip(NEXT) | instid1(VALU_DEP_1)
	v_fma_f64 v[0:1], v[0:1], v[5:6], v[2:3]
	v_div_scale_f64 v[2:3], null, v[0:1], v[0:1], 1.0
	s_delay_alu instid0(VALU_DEP_1) | instskip(SKIP_2) | instid1(VALU_DEP_1)
	v_rcp_f64_e32 v[7:8], v[2:3]
	s_waitcnt_depctr 0xfff
	v_fma_f64 v[9:10], -v[2:3], v[7:8], 1.0
	v_fma_f64 v[7:8], v[7:8], v[9:10], v[7:8]
	s_delay_alu instid0(VALU_DEP_1) | instskip(NEXT) | instid1(VALU_DEP_1)
	v_fma_f64 v[9:10], -v[2:3], v[7:8], 1.0
	v_fma_f64 v[7:8], v[7:8], v[9:10], v[7:8]
	v_div_scale_f64 v[9:10], vcc_lo, 1.0, v[0:1], 1.0
	s_delay_alu instid0(VALU_DEP_1) | instskip(NEXT) | instid1(VALU_DEP_1)
	v_mul_f64 v[11:12], v[9:10], v[7:8]
	v_fma_f64 v[2:3], -v[2:3], v[11:12], v[9:10]
	s_delay_alu instid0(VALU_DEP_1) | instskip(NEXT) | instid1(VALU_DEP_1)
	v_div_fmas_f64 v[2:3], v[2:3], v[7:8], v[11:12]
	v_div_fixup_f64 v[2:3], v[2:3], v[0:1], 1.0
	s_delay_alu instid0(VALU_DEP_1)
	v_mul_f64 v[0:1], v[5:6], v[2:3]
	v_xor_b32_e32 v3, 0x80000000, v3
.LBB126_885:
	s_and_not1_saveexec_b32 s2, s2
	s_cbranch_execz .LBB126_887
; %bb.886:
	s_delay_alu instid0(VALU_DEP_1) | instskip(SKIP_1) | instid1(VALU_DEP_2)
	v_div_scale_f64 v[5:6], null, v[0:1], v[0:1], v[2:3]
	v_div_scale_f64 v[11:12], vcc_lo, v[2:3], v[0:1], v[2:3]
	v_rcp_f64_e32 v[7:8], v[5:6]
	s_waitcnt_depctr 0xfff
	v_fma_f64 v[9:10], -v[5:6], v[7:8], 1.0
	s_delay_alu instid0(VALU_DEP_1) | instskip(NEXT) | instid1(VALU_DEP_1)
	v_fma_f64 v[7:8], v[7:8], v[9:10], v[7:8]
	v_fma_f64 v[9:10], -v[5:6], v[7:8], 1.0
	s_delay_alu instid0(VALU_DEP_1) | instskip(NEXT) | instid1(VALU_DEP_1)
	v_fma_f64 v[7:8], v[7:8], v[9:10], v[7:8]
	v_mul_f64 v[9:10], v[11:12], v[7:8]
	s_delay_alu instid0(VALU_DEP_1) | instskip(NEXT) | instid1(VALU_DEP_1)
	v_fma_f64 v[5:6], -v[5:6], v[9:10], v[11:12]
	v_div_fmas_f64 v[5:6], v[5:6], v[7:8], v[9:10]
	s_delay_alu instid0(VALU_DEP_1) | instskip(NEXT) | instid1(VALU_DEP_1)
	v_div_fixup_f64 v[5:6], v[5:6], v[0:1], v[2:3]
	v_fma_f64 v[0:1], v[2:3], v[5:6], v[0:1]
	s_delay_alu instid0(VALU_DEP_1) | instskip(NEXT) | instid1(VALU_DEP_1)
	v_div_scale_f64 v[2:3], null, v[0:1], v[0:1], 1.0
	v_rcp_f64_e32 v[7:8], v[2:3]
	s_waitcnt_depctr 0xfff
	v_fma_f64 v[9:10], -v[2:3], v[7:8], 1.0
	s_delay_alu instid0(VALU_DEP_1) | instskip(NEXT) | instid1(VALU_DEP_1)
	v_fma_f64 v[7:8], v[7:8], v[9:10], v[7:8]
	v_fma_f64 v[9:10], -v[2:3], v[7:8], 1.0
	s_delay_alu instid0(VALU_DEP_1) | instskip(SKIP_1) | instid1(VALU_DEP_1)
	v_fma_f64 v[7:8], v[7:8], v[9:10], v[7:8]
	v_div_scale_f64 v[9:10], vcc_lo, 1.0, v[0:1], 1.0
	v_mul_f64 v[11:12], v[9:10], v[7:8]
	s_delay_alu instid0(VALU_DEP_1) | instskip(NEXT) | instid1(VALU_DEP_1)
	v_fma_f64 v[2:3], -v[2:3], v[11:12], v[9:10]
	v_div_fmas_f64 v[2:3], v[2:3], v[7:8], v[11:12]
	s_delay_alu instid0(VALU_DEP_1) | instskip(NEXT) | instid1(VALU_DEP_1)
	v_div_fixup_f64 v[0:1], v[2:3], v[0:1], 1.0
	v_mul_f64 v[2:3], v[5:6], -v[0:1]
.LBB126_887:
	s_or_b32 exec_lo, exec_lo, s2
.LBB126_888:
	s_delay_alu instid0(SALU_CYCLE_1) | instskip(NEXT) | instid1(SALU_CYCLE_1)
	s_or_b32 exec_lo, exec_lo, s3
	s_mov_b32 s2, exec_lo
	v_cmpx_ne_u32_e64 v41, v4
	s_xor_b32 s2, exec_lo, s2
	s_cbranch_execz .LBB126_894
; %bb.889:
	s_mov_b32 s3, exec_lo
	v_cmpx_eq_u32_e32 36, v41
	s_cbranch_execz .LBB126_893
; %bb.890:
	v_cmp_ne_u32_e32 vcc_lo, 36, v4
	s_xor_b32 s6, s4, -1
	s_delay_alu instid0(SALU_CYCLE_1) | instskip(NEXT) | instid1(SALU_CYCLE_1)
	s_and_b32 s7, s6, vcc_lo
	s_and_saveexec_b32 s6, s7
	s_cbranch_execz .LBB126_892
; %bb.891:
	v_ashrrev_i32_e32 v5, 31, v4
	s_delay_alu instid0(VALU_DEP_1) | instskip(NEXT) | instid1(VALU_DEP_1)
	v_lshlrev_b64 v[5:6], 2, v[4:5]
	v_add_co_u32 v5, vcc_lo, v250, v5
	s_delay_alu instid0(VALU_DEP_2)
	v_add_co_ci_u32_e32 v6, vcc_lo, v251, v6, vcc_lo
	s_clause 0x1
	flat_load_b32 v7, v[5:6]
	flat_load_b32 v8, v[250:251] offset:144
	s_waitcnt vmcnt(1) lgkmcnt(1)
	flat_store_b32 v[250:251], v7 offset:144
	s_waitcnt vmcnt(0) lgkmcnt(1)
	flat_store_b32 v[5:6], v8
.LBB126_892:
	s_or_b32 exec_lo, exec_lo, s6
	v_mov_b32_e32 v41, v4
	v_mov_b32_e32 v39, v4
.LBB126_893:
	s_or_b32 exec_lo, exec_lo, s3
.LBB126_894:
	s_and_not1_saveexec_b32 s2, s2
	s_cbranch_execz .LBB126_896
; %bb.895:
	s_clause 0x1a
	scratch_load_b128 v[4:7], v144, off
	scratch_load_b128 v[8:11], v153, off
	;; [unrolled: 1-line block ×27, first 2 shown]
	v_mov_b32_e32 v41, 36
	s_waitcnt vmcnt(26)
	ds_store_2addr_b64 v36, v[4:5], v[6:7] offset0:74 offset1:75
	s_waitcnt vmcnt(25)
	ds_store_2addr_b64 v36, v[8:9], v[10:11] offset0:76 offset1:77
	;; [unrolled: 2-line block ×27, first 2 shown]
.LBB126_896:
	s_or_b32 exec_lo, exec_lo, s2
	s_delay_alu instid0(SALU_CYCLE_1)
	s_mov_b32 s2, exec_lo
	s_waitcnt lgkmcnt(0)
	s_waitcnt_vscnt null, 0x0
	s_barrier
	buffer_gl0_inv
	v_cmpx_lt_i32_e32 36, v41
	s_cbranch_execz .LBB126_899
; %bb.897:
	scratch_load_b128 v[4:7], off, off offset:576
	s_mov_b32 s3, 0
	s_waitcnt vmcnt(0)
	v_mul_f64 v[8:9], v[2:3], v[6:7]
	v_mul_f64 v[6:7], v[0:1], v[6:7]
	s_delay_alu instid0(VALU_DEP_2) | instskip(NEXT) | instid1(VALU_DEP_2)
	v_fma_f64 v[0:1], v[0:1], v[4:5], -v[8:9]
	v_fma_f64 v[2:3], v[2:3], v[4:5], v[6:7]
	v_add3_u32 v4, v38, 0, 0x250
	v_mov_b32_e32 v5, 0
	scratch_store_b128 off, v[0:3], off offset:576
.LBB126_898:                            ; =>This Inner Loop Header: Depth=1
	v_readfirstlane_b32 s6, v5
	v_add_nc_u32_e32 v18, s3, v4
	s_delay_alu instid0(VALU_DEP_2)
	s_add_i32 s6, s6, s3
	s_add_i32 s3, s3, 48
	;; [unrolled: 1-line block ×4, first 2 shown]
	s_addk_i32 s6, 0x270
	s_clause 0x2
	scratch_load_b128 v[6:9], off, s7
	scratch_load_b128 v[10:13], off, s9
	;; [unrolled: 1-line block ×3, first 2 shown]
	ds_load_2addr_b64 v[42:45], v18 offset1:1
	ds_load_2addr_b64 v[49:52], v18 offset0:2 offset1:3
	ds_load_2addr_b64 v[53:56], v18 offset0:4 offset1:5
	s_cmpk_lg_i32 s3, 0x1b0
	s_waitcnt lgkmcnt(2)
	v_mul_f64 v[18:19], v[44:45], v[2:3]
	v_mul_f64 v[46:47], v[42:43], v[2:3]
	s_waitcnt lgkmcnt(1)
	v_mul_f64 v[57:58], v[51:52], v[2:3]
	v_mul_f64 v[61:62], v[49:50], v[2:3]
	;; [unrolled: 3-line block ×3, first 2 shown]
	v_fma_f64 v[18:19], v[42:43], v[0:1], -v[18:19]
	v_fma_f64 v[42:43], v[44:45], v[0:1], v[46:47]
	v_fma_f64 v[44:45], v[49:50], v[0:1], -v[57:58]
	v_fma_f64 v[46:47], v[51:52], v[0:1], v[61:62]
	v_fma_f64 v[49:50], v[53:54], v[0:1], -v[65:66]
	v_fma_f64 v[51:52], v[55:56], v[0:1], v[67:68]
	s_waitcnt vmcnt(2)
	v_add_f64 v[6:7], v[6:7], -v[18:19]
	v_add_f64 v[8:9], v[8:9], -v[42:43]
	s_waitcnt vmcnt(1)
	v_add_f64 v[10:11], v[10:11], -v[44:45]
	v_add_f64 v[12:13], v[12:13], -v[46:47]
	;; [unrolled: 3-line block ×3, first 2 shown]
	s_clause 0x2
	scratch_store_b128 off, v[6:9], s7
	scratch_store_b128 off, v[10:13], s9
	;; [unrolled: 1-line block ×3, first 2 shown]
	s_cbranch_scc1 .LBB126_898
.LBB126_899:
	s_or_b32 exec_lo, exec_lo, s2
	s_waitcnt_vscnt null, 0x0
	s_barrier
	buffer_gl0_inv
	scratch_load_b128 v[0:3], v144, off
	v_lshl_add_u32 v4, v41, 4, v36
	s_cmp_lt_i32 s5, 39
	s_waitcnt vmcnt(0)
	ds_store_2addr_b64 v4, v[0:1], v[2:3] offset1:1
	s_waitcnt lgkmcnt(0)
	s_barrier
	buffer_gl0_inv
	ds_load_2addr_b64 v[0:3], v36 offset0:74 offset1:75
	v_mov_b32_e32 v4, 37
	s_cbranch_scc1 .LBB126_902
; %bb.900:
	v_add3_u32 v5, v38, 0, 0x260
	v_mov_b32_e32 v4, 37
	s_mov_b32 s6, 38
	s_set_inst_prefetch_distance 0x1
	.p2align	6
.LBB126_901:                            ; =>This Inner Loop Header: Depth=1
	ds_load_2addr_b64 v[6:9], v5 offset1:1
	s_waitcnt lgkmcnt(1)
	v_cmp_gt_f64_e32 vcc_lo, 0, v[0:1]
	v_xor_b32_e32 v10, 0x80000000, v1
	v_cmp_gt_f64_e64 s2, 0, v[2:3]
	v_xor_b32_e32 v12, 0x80000000, v3
	v_add_nc_u32_e32 v5, 16, v5
	s_waitcnt lgkmcnt(0)
	v_cmp_gt_f64_e64 s3, 0, v[6:7]
	v_mov_b32_e32 v14, v6
	v_dual_mov_b32 v16, v8 :: v_dual_cndmask_b32 v11, v1, v10
	v_xor_b32_e32 v10, 0x80000000, v7
	v_cndmask_b32_e64 v13, v3, v12, s2
	v_xor_b32_e32 v12, 0x80000000, v9
	s_delay_alu instid0(VALU_DEP_3) | instskip(SKIP_2) | instid1(VALU_DEP_2)
	v_cndmask_b32_e64 v15, v7, v10, s3
	v_cmp_gt_f64_e64 s3, 0, v[8:9]
	v_cndmask_b32_e32 v10, v0, v0, vcc_lo
	v_cndmask_b32_e64 v17, v9, v12, s3
	v_cndmask_b32_e64 v12, v2, v2, s2
	s_delay_alu instid0(VALU_DEP_2) | instskip(NEXT) | instid1(VALU_DEP_2)
	v_add_f64 v[14:15], v[14:15], v[16:17]
	v_add_f64 v[10:11], v[10:11], v[12:13]
	s_delay_alu instid0(VALU_DEP_1)
	v_cmp_lt_f64_e32 vcc_lo, v[10:11], v[14:15]
	v_cndmask_b32_e32 v3, v3, v9, vcc_lo
	v_dual_cndmask_b32 v1, v1, v7 :: v_dual_cndmask_b32 v0, v0, v6
	v_cndmask_b32_e32 v2, v2, v8, vcc_lo
	v_cndmask_b32_e64 v4, v4, s6, vcc_lo
	s_add_i32 s6, s6, 1
	s_delay_alu instid0(SALU_CYCLE_1)
	s_cmp_lg_u32 s5, s6
	s_cbranch_scc1 .LBB126_901
.LBB126_902:
	s_set_inst_prefetch_distance 0x2
	s_waitcnt lgkmcnt(0)
	v_cmp_eq_f64_e32 vcc_lo, 0, v[0:1]
	v_cmp_eq_f64_e64 s2, 0, v[2:3]
	s_delay_alu instid0(VALU_DEP_1) | instskip(NEXT) | instid1(SALU_CYCLE_1)
	s_and_b32 s2, vcc_lo, s2
	s_and_saveexec_b32 s3, s2
	s_delay_alu instid0(SALU_CYCLE_1)
	s_xor_b32 s2, exec_lo, s3
; %bb.903:
	v_cmp_ne_u32_e32 vcc_lo, 0, v37
	v_cndmask_b32_e32 v37, 38, v37, vcc_lo
; %bb.904:
	s_and_not1_saveexec_b32 s3, s2
	s_cbranch_execz .LBB126_910
; %bb.905:
	v_cmp_gt_f64_e32 vcc_lo, 0, v[0:1]
	v_cmp_gt_f64_e64 s2, 0, v[2:3]
	v_xor_b32_e32 v5, 0x80000000, v1
	v_xor_b32_e32 v7, 0x80000000, v3
	s_delay_alu instid0(VALU_DEP_2) | instskip(NEXT) | instid1(VALU_DEP_2)
	v_dual_cndmask_b32 v6, v1, v5 :: v_dual_cndmask_b32 v5, v0, v0
	v_cndmask_b32_e64 v8, v3, v7, s2
	v_cndmask_b32_e64 v7, v2, v2, s2
	s_mov_b32 s2, exec_lo
	s_delay_alu instid0(VALU_DEP_1)
	v_cmpx_ngt_f64_e32 v[5:6], v[7:8]
	s_xor_b32 s2, exec_lo, s2
	s_cbranch_execz .LBB126_907
; %bb.906:
	v_div_scale_f64 v[5:6], null, v[2:3], v[2:3], v[0:1]
	v_div_scale_f64 v[11:12], vcc_lo, v[0:1], v[2:3], v[0:1]
	s_delay_alu instid0(VALU_DEP_2) | instskip(SKIP_2) | instid1(VALU_DEP_1)
	v_rcp_f64_e32 v[7:8], v[5:6]
	s_waitcnt_depctr 0xfff
	v_fma_f64 v[9:10], -v[5:6], v[7:8], 1.0
	v_fma_f64 v[7:8], v[7:8], v[9:10], v[7:8]
	s_delay_alu instid0(VALU_DEP_1) | instskip(NEXT) | instid1(VALU_DEP_1)
	v_fma_f64 v[9:10], -v[5:6], v[7:8], 1.0
	v_fma_f64 v[7:8], v[7:8], v[9:10], v[7:8]
	s_delay_alu instid0(VALU_DEP_1) | instskip(NEXT) | instid1(VALU_DEP_1)
	v_mul_f64 v[9:10], v[11:12], v[7:8]
	v_fma_f64 v[5:6], -v[5:6], v[9:10], v[11:12]
	s_delay_alu instid0(VALU_DEP_1) | instskip(NEXT) | instid1(VALU_DEP_1)
	v_div_fmas_f64 v[5:6], v[5:6], v[7:8], v[9:10]
	v_div_fixup_f64 v[5:6], v[5:6], v[2:3], v[0:1]
	s_delay_alu instid0(VALU_DEP_1) | instskip(NEXT) | instid1(VALU_DEP_1)
	v_fma_f64 v[0:1], v[0:1], v[5:6], v[2:3]
	v_div_scale_f64 v[2:3], null, v[0:1], v[0:1], 1.0
	s_delay_alu instid0(VALU_DEP_1) | instskip(SKIP_2) | instid1(VALU_DEP_1)
	v_rcp_f64_e32 v[7:8], v[2:3]
	s_waitcnt_depctr 0xfff
	v_fma_f64 v[9:10], -v[2:3], v[7:8], 1.0
	v_fma_f64 v[7:8], v[7:8], v[9:10], v[7:8]
	s_delay_alu instid0(VALU_DEP_1) | instskip(NEXT) | instid1(VALU_DEP_1)
	v_fma_f64 v[9:10], -v[2:3], v[7:8], 1.0
	v_fma_f64 v[7:8], v[7:8], v[9:10], v[7:8]
	v_div_scale_f64 v[9:10], vcc_lo, 1.0, v[0:1], 1.0
	s_delay_alu instid0(VALU_DEP_1) | instskip(NEXT) | instid1(VALU_DEP_1)
	v_mul_f64 v[11:12], v[9:10], v[7:8]
	v_fma_f64 v[2:3], -v[2:3], v[11:12], v[9:10]
	s_delay_alu instid0(VALU_DEP_1) | instskip(NEXT) | instid1(VALU_DEP_1)
	v_div_fmas_f64 v[2:3], v[2:3], v[7:8], v[11:12]
	v_div_fixup_f64 v[2:3], v[2:3], v[0:1], 1.0
	s_delay_alu instid0(VALU_DEP_1)
	v_mul_f64 v[0:1], v[5:6], v[2:3]
	v_xor_b32_e32 v3, 0x80000000, v3
.LBB126_907:
	s_and_not1_saveexec_b32 s2, s2
	s_cbranch_execz .LBB126_909
; %bb.908:
	s_delay_alu instid0(VALU_DEP_1) | instskip(SKIP_1) | instid1(VALU_DEP_2)
	v_div_scale_f64 v[5:6], null, v[0:1], v[0:1], v[2:3]
	v_div_scale_f64 v[11:12], vcc_lo, v[2:3], v[0:1], v[2:3]
	v_rcp_f64_e32 v[7:8], v[5:6]
	s_waitcnt_depctr 0xfff
	v_fma_f64 v[9:10], -v[5:6], v[7:8], 1.0
	s_delay_alu instid0(VALU_DEP_1) | instskip(NEXT) | instid1(VALU_DEP_1)
	v_fma_f64 v[7:8], v[7:8], v[9:10], v[7:8]
	v_fma_f64 v[9:10], -v[5:6], v[7:8], 1.0
	s_delay_alu instid0(VALU_DEP_1) | instskip(NEXT) | instid1(VALU_DEP_1)
	v_fma_f64 v[7:8], v[7:8], v[9:10], v[7:8]
	v_mul_f64 v[9:10], v[11:12], v[7:8]
	s_delay_alu instid0(VALU_DEP_1) | instskip(NEXT) | instid1(VALU_DEP_1)
	v_fma_f64 v[5:6], -v[5:6], v[9:10], v[11:12]
	v_div_fmas_f64 v[5:6], v[5:6], v[7:8], v[9:10]
	s_delay_alu instid0(VALU_DEP_1) | instskip(NEXT) | instid1(VALU_DEP_1)
	v_div_fixup_f64 v[5:6], v[5:6], v[0:1], v[2:3]
	v_fma_f64 v[0:1], v[2:3], v[5:6], v[0:1]
	s_delay_alu instid0(VALU_DEP_1) | instskip(NEXT) | instid1(VALU_DEP_1)
	v_div_scale_f64 v[2:3], null, v[0:1], v[0:1], 1.0
	v_rcp_f64_e32 v[7:8], v[2:3]
	s_waitcnt_depctr 0xfff
	v_fma_f64 v[9:10], -v[2:3], v[7:8], 1.0
	s_delay_alu instid0(VALU_DEP_1) | instskip(NEXT) | instid1(VALU_DEP_1)
	v_fma_f64 v[7:8], v[7:8], v[9:10], v[7:8]
	v_fma_f64 v[9:10], -v[2:3], v[7:8], 1.0
	s_delay_alu instid0(VALU_DEP_1) | instskip(SKIP_1) | instid1(VALU_DEP_1)
	v_fma_f64 v[7:8], v[7:8], v[9:10], v[7:8]
	v_div_scale_f64 v[9:10], vcc_lo, 1.0, v[0:1], 1.0
	v_mul_f64 v[11:12], v[9:10], v[7:8]
	s_delay_alu instid0(VALU_DEP_1) | instskip(NEXT) | instid1(VALU_DEP_1)
	v_fma_f64 v[2:3], -v[2:3], v[11:12], v[9:10]
	v_div_fmas_f64 v[2:3], v[2:3], v[7:8], v[11:12]
	s_delay_alu instid0(VALU_DEP_1) | instskip(NEXT) | instid1(VALU_DEP_1)
	v_div_fixup_f64 v[0:1], v[2:3], v[0:1], 1.0
	v_mul_f64 v[2:3], v[5:6], -v[0:1]
.LBB126_909:
	s_or_b32 exec_lo, exec_lo, s2
.LBB126_910:
	s_delay_alu instid0(SALU_CYCLE_1) | instskip(NEXT) | instid1(SALU_CYCLE_1)
	s_or_b32 exec_lo, exec_lo, s3
	s_mov_b32 s2, exec_lo
	v_cmpx_ne_u32_e64 v41, v4
	s_xor_b32 s2, exec_lo, s2
	s_cbranch_execz .LBB126_916
; %bb.911:
	s_mov_b32 s3, exec_lo
	v_cmpx_eq_u32_e32 37, v41
	s_cbranch_execz .LBB126_915
; %bb.912:
	v_cmp_ne_u32_e32 vcc_lo, 37, v4
	s_xor_b32 s6, s4, -1
	s_delay_alu instid0(SALU_CYCLE_1) | instskip(NEXT) | instid1(SALU_CYCLE_1)
	s_and_b32 s7, s6, vcc_lo
	s_and_saveexec_b32 s6, s7
	s_cbranch_execz .LBB126_914
; %bb.913:
	v_ashrrev_i32_e32 v5, 31, v4
	s_delay_alu instid0(VALU_DEP_1) | instskip(NEXT) | instid1(VALU_DEP_1)
	v_lshlrev_b64 v[5:6], 2, v[4:5]
	v_add_co_u32 v5, vcc_lo, v250, v5
	s_delay_alu instid0(VALU_DEP_2)
	v_add_co_ci_u32_e32 v6, vcc_lo, v251, v6, vcc_lo
	s_clause 0x1
	flat_load_b32 v7, v[5:6]
	flat_load_b32 v8, v[250:251] offset:148
	s_waitcnt vmcnt(1) lgkmcnt(1)
	flat_store_b32 v[250:251], v7 offset:148
	s_waitcnt vmcnt(0) lgkmcnt(1)
	flat_store_b32 v[5:6], v8
.LBB126_914:
	s_or_b32 exec_lo, exec_lo, s6
	v_mov_b32_e32 v41, v4
	v_mov_b32_e32 v39, v4
.LBB126_915:
	s_or_b32 exec_lo, exec_lo, s3
.LBB126_916:
	s_and_not1_saveexec_b32 s2, s2
	s_cbranch_execz .LBB126_918
; %bb.917:
	s_clause 0x19
	scratch_load_b128 v[4:7], v153, off
	scratch_load_b128 v[8:11], v152, off
	;; [unrolled: 1-line block ×26, first 2 shown]
	v_mov_b32_e32 v41, 37
	s_waitcnt vmcnt(25)
	ds_store_2addr_b64 v36, v[4:5], v[6:7] offset0:76 offset1:77
	s_waitcnt vmcnt(24)
	ds_store_2addr_b64 v36, v[8:9], v[10:11] offset0:78 offset1:79
	;; [unrolled: 2-line block ×26, first 2 shown]
.LBB126_918:
	s_or_b32 exec_lo, exec_lo, s2
	s_delay_alu instid0(SALU_CYCLE_1)
	s_mov_b32 s2, exec_lo
	s_waitcnt lgkmcnt(0)
	s_waitcnt_vscnt null, 0x0
	s_barrier
	buffer_gl0_inv
	v_cmpx_lt_i32_e32 37, v41
	s_cbranch_execz .LBB126_921
; %bb.919:
	scratch_load_b128 v[4:7], off, off offset:592
	s_mov_b32 s3, 0
	s_waitcnt vmcnt(0)
	v_mul_f64 v[8:9], v[2:3], v[6:7]
	v_mul_f64 v[6:7], v[0:1], v[6:7]
	s_delay_alu instid0(VALU_DEP_2) | instskip(NEXT) | instid1(VALU_DEP_2)
	v_fma_f64 v[0:1], v[0:1], v[4:5], -v[8:9]
	v_fma_f64 v[2:3], v[2:3], v[4:5], v[6:7]
	v_add3_u32 v4, v38, 0, 0x260
	scratch_store_b128 off, v[0:3], off offset:592
	s_set_inst_prefetch_distance 0x1
	.p2align	6
.LBB126_920:                            ; =>This Inner Loop Header: Depth=1
	v_add_nc_u32_e64 v5, s3, 0
	v_add_nc_u32_e32 v17, s3, v4
	s_add_i32 s3, s3, 32
	s_delay_alu instid0(SALU_CYCLE_1) | instskip(NEXT) | instid1(VALU_DEP_2)
	s_cmpk_lg_i32 s3, 0x1a0
	v_add_nc_u32_e32 v19, 0x260, v5
	v_add_nc_u32_e32 v53, 0x270, v5
	s_clause 0x1
	scratch_load_b128 v[5:8], v19, off
	scratch_load_b128 v[9:12], v53, off
	ds_load_2addr_b64 v[13:16], v17 offset1:1
	ds_load_2addr_b64 v[42:45], v17 offset0:2 offset1:3
	s_waitcnt lgkmcnt(1)
	v_mul_f64 v[17:18], v[15:16], v[2:3]
	v_mul_f64 v[46:47], v[13:14], v[2:3]
	s_waitcnt lgkmcnt(0)
	v_mul_f64 v[49:50], v[44:45], v[2:3]
	v_mul_f64 v[51:52], v[42:43], v[2:3]
	s_delay_alu instid0(VALU_DEP_4) | instskip(NEXT) | instid1(VALU_DEP_4)
	v_fma_f64 v[13:14], v[13:14], v[0:1], -v[17:18]
	v_fma_f64 v[15:16], v[15:16], v[0:1], v[46:47]
	s_delay_alu instid0(VALU_DEP_4) | instskip(NEXT) | instid1(VALU_DEP_4)
	v_fma_f64 v[17:18], v[42:43], v[0:1], -v[49:50]
	v_fma_f64 v[42:43], v[44:45], v[0:1], v[51:52]
	s_waitcnt vmcnt(1)
	s_delay_alu instid0(VALU_DEP_4) | instskip(NEXT) | instid1(VALU_DEP_4)
	v_add_f64 v[5:6], v[5:6], -v[13:14]
	v_add_f64 v[7:8], v[7:8], -v[15:16]
	s_waitcnt vmcnt(0)
	s_delay_alu instid0(VALU_DEP_4) | instskip(NEXT) | instid1(VALU_DEP_4)
	v_add_f64 v[9:10], v[9:10], -v[17:18]
	v_add_f64 v[11:12], v[11:12], -v[42:43]
	s_clause 0x1
	scratch_store_b128 v19, v[5:8], off
	scratch_store_b128 v53, v[9:12], off
	s_cbranch_scc1 .LBB126_920
.LBB126_921:
	s_set_inst_prefetch_distance 0x2
	s_or_b32 exec_lo, exec_lo, s2
	s_waitcnt_vscnt null, 0x0
	s_barrier
	buffer_gl0_inv
	scratch_load_b128 v[0:3], v153, off
	v_lshl_add_u32 v4, v41, 4, v36
	s_cmp_lt_i32 s5, 40
	s_waitcnt vmcnt(0)
	ds_store_2addr_b64 v4, v[0:1], v[2:3] offset1:1
	s_waitcnt lgkmcnt(0)
	s_barrier
	buffer_gl0_inv
	ds_load_2addr_b64 v[0:3], v36 offset0:76 offset1:77
	v_mov_b32_e32 v4, 38
	s_cbranch_scc1 .LBB126_924
; %bb.922:
	v_add3_u32 v5, v38, 0, 0x270
	v_mov_b32_e32 v4, 38
	s_mov_b32 s6, 39
	s_set_inst_prefetch_distance 0x1
	.p2align	6
.LBB126_923:                            ; =>This Inner Loop Header: Depth=1
	ds_load_2addr_b64 v[6:9], v5 offset1:1
	s_waitcnt lgkmcnt(1)
	v_cmp_gt_f64_e32 vcc_lo, 0, v[0:1]
	v_xor_b32_e32 v10, 0x80000000, v1
	v_cmp_gt_f64_e64 s2, 0, v[2:3]
	v_xor_b32_e32 v12, 0x80000000, v3
	v_add_nc_u32_e32 v5, 16, v5
	s_waitcnt lgkmcnt(0)
	v_cmp_gt_f64_e64 s3, 0, v[6:7]
	v_mov_b32_e32 v14, v6
	v_dual_mov_b32 v16, v8 :: v_dual_cndmask_b32 v11, v1, v10
	v_xor_b32_e32 v10, 0x80000000, v7
	v_cndmask_b32_e64 v13, v3, v12, s2
	v_xor_b32_e32 v12, 0x80000000, v9
	s_delay_alu instid0(VALU_DEP_3) | instskip(SKIP_2) | instid1(VALU_DEP_2)
	v_cndmask_b32_e64 v15, v7, v10, s3
	v_cmp_gt_f64_e64 s3, 0, v[8:9]
	v_cndmask_b32_e32 v10, v0, v0, vcc_lo
	v_cndmask_b32_e64 v17, v9, v12, s3
	v_cndmask_b32_e64 v12, v2, v2, s2
	s_delay_alu instid0(VALU_DEP_2) | instskip(NEXT) | instid1(VALU_DEP_2)
	v_add_f64 v[14:15], v[14:15], v[16:17]
	v_add_f64 v[10:11], v[10:11], v[12:13]
	s_delay_alu instid0(VALU_DEP_1)
	v_cmp_lt_f64_e32 vcc_lo, v[10:11], v[14:15]
	v_cndmask_b32_e32 v3, v3, v9, vcc_lo
	v_dual_cndmask_b32 v1, v1, v7 :: v_dual_cndmask_b32 v0, v0, v6
	v_cndmask_b32_e32 v2, v2, v8, vcc_lo
	v_cndmask_b32_e64 v4, v4, s6, vcc_lo
	s_add_i32 s6, s6, 1
	s_delay_alu instid0(SALU_CYCLE_1)
	s_cmp_lg_u32 s5, s6
	s_cbranch_scc1 .LBB126_923
.LBB126_924:
	s_set_inst_prefetch_distance 0x2
	s_waitcnt lgkmcnt(0)
	v_cmp_eq_f64_e32 vcc_lo, 0, v[0:1]
	v_cmp_eq_f64_e64 s2, 0, v[2:3]
	s_delay_alu instid0(VALU_DEP_1) | instskip(NEXT) | instid1(SALU_CYCLE_1)
	s_and_b32 s2, vcc_lo, s2
	s_and_saveexec_b32 s3, s2
	s_delay_alu instid0(SALU_CYCLE_1)
	s_xor_b32 s2, exec_lo, s3
; %bb.925:
	v_cmp_ne_u32_e32 vcc_lo, 0, v37
	v_cndmask_b32_e32 v37, 39, v37, vcc_lo
; %bb.926:
	s_and_not1_saveexec_b32 s3, s2
	s_cbranch_execz .LBB126_932
; %bb.927:
	v_cmp_gt_f64_e32 vcc_lo, 0, v[0:1]
	v_cmp_gt_f64_e64 s2, 0, v[2:3]
	v_xor_b32_e32 v5, 0x80000000, v1
	v_xor_b32_e32 v7, 0x80000000, v3
	s_delay_alu instid0(VALU_DEP_2) | instskip(NEXT) | instid1(VALU_DEP_2)
	v_dual_cndmask_b32 v6, v1, v5 :: v_dual_cndmask_b32 v5, v0, v0
	v_cndmask_b32_e64 v8, v3, v7, s2
	v_cndmask_b32_e64 v7, v2, v2, s2
	s_mov_b32 s2, exec_lo
	s_delay_alu instid0(VALU_DEP_1)
	v_cmpx_ngt_f64_e32 v[5:6], v[7:8]
	s_xor_b32 s2, exec_lo, s2
	s_cbranch_execz .LBB126_929
; %bb.928:
	v_div_scale_f64 v[5:6], null, v[2:3], v[2:3], v[0:1]
	v_div_scale_f64 v[11:12], vcc_lo, v[0:1], v[2:3], v[0:1]
	s_delay_alu instid0(VALU_DEP_2) | instskip(SKIP_2) | instid1(VALU_DEP_1)
	v_rcp_f64_e32 v[7:8], v[5:6]
	s_waitcnt_depctr 0xfff
	v_fma_f64 v[9:10], -v[5:6], v[7:8], 1.0
	v_fma_f64 v[7:8], v[7:8], v[9:10], v[7:8]
	s_delay_alu instid0(VALU_DEP_1) | instskip(NEXT) | instid1(VALU_DEP_1)
	v_fma_f64 v[9:10], -v[5:6], v[7:8], 1.0
	v_fma_f64 v[7:8], v[7:8], v[9:10], v[7:8]
	s_delay_alu instid0(VALU_DEP_1) | instskip(NEXT) | instid1(VALU_DEP_1)
	v_mul_f64 v[9:10], v[11:12], v[7:8]
	v_fma_f64 v[5:6], -v[5:6], v[9:10], v[11:12]
	s_delay_alu instid0(VALU_DEP_1) | instskip(NEXT) | instid1(VALU_DEP_1)
	v_div_fmas_f64 v[5:6], v[5:6], v[7:8], v[9:10]
	v_div_fixup_f64 v[5:6], v[5:6], v[2:3], v[0:1]
	s_delay_alu instid0(VALU_DEP_1) | instskip(NEXT) | instid1(VALU_DEP_1)
	v_fma_f64 v[0:1], v[0:1], v[5:6], v[2:3]
	v_div_scale_f64 v[2:3], null, v[0:1], v[0:1], 1.0
	s_delay_alu instid0(VALU_DEP_1) | instskip(SKIP_2) | instid1(VALU_DEP_1)
	v_rcp_f64_e32 v[7:8], v[2:3]
	s_waitcnt_depctr 0xfff
	v_fma_f64 v[9:10], -v[2:3], v[7:8], 1.0
	v_fma_f64 v[7:8], v[7:8], v[9:10], v[7:8]
	s_delay_alu instid0(VALU_DEP_1) | instskip(NEXT) | instid1(VALU_DEP_1)
	v_fma_f64 v[9:10], -v[2:3], v[7:8], 1.0
	v_fma_f64 v[7:8], v[7:8], v[9:10], v[7:8]
	v_div_scale_f64 v[9:10], vcc_lo, 1.0, v[0:1], 1.0
	s_delay_alu instid0(VALU_DEP_1) | instskip(NEXT) | instid1(VALU_DEP_1)
	v_mul_f64 v[11:12], v[9:10], v[7:8]
	v_fma_f64 v[2:3], -v[2:3], v[11:12], v[9:10]
	s_delay_alu instid0(VALU_DEP_1) | instskip(NEXT) | instid1(VALU_DEP_1)
	v_div_fmas_f64 v[2:3], v[2:3], v[7:8], v[11:12]
	v_div_fixup_f64 v[2:3], v[2:3], v[0:1], 1.0
	s_delay_alu instid0(VALU_DEP_1)
	v_mul_f64 v[0:1], v[5:6], v[2:3]
	v_xor_b32_e32 v3, 0x80000000, v3
.LBB126_929:
	s_and_not1_saveexec_b32 s2, s2
	s_cbranch_execz .LBB126_931
; %bb.930:
	s_delay_alu instid0(VALU_DEP_1) | instskip(SKIP_1) | instid1(VALU_DEP_2)
	v_div_scale_f64 v[5:6], null, v[0:1], v[0:1], v[2:3]
	v_div_scale_f64 v[11:12], vcc_lo, v[2:3], v[0:1], v[2:3]
	v_rcp_f64_e32 v[7:8], v[5:6]
	s_waitcnt_depctr 0xfff
	v_fma_f64 v[9:10], -v[5:6], v[7:8], 1.0
	s_delay_alu instid0(VALU_DEP_1) | instskip(NEXT) | instid1(VALU_DEP_1)
	v_fma_f64 v[7:8], v[7:8], v[9:10], v[7:8]
	v_fma_f64 v[9:10], -v[5:6], v[7:8], 1.0
	s_delay_alu instid0(VALU_DEP_1) | instskip(NEXT) | instid1(VALU_DEP_1)
	v_fma_f64 v[7:8], v[7:8], v[9:10], v[7:8]
	v_mul_f64 v[9:10], v[11:12], v[7:8]
	s_delay_alu instid0(VALU_DEP_1) | instskip(NEXT) | instid1(VALU_DEP_1)
	v_fma_f64 v[5:6], -v[5:6], v[9:10], v[11:12]
	v_div_fmas_f64 v[5:6], v[5:6], v[7:8], v[9:10]
	s_delay_alu instid0(VALU_DEP_1) | instskip(NEXT) | instid1(VALU_DEP_1)
	v_div_fixup_f64 v[5:6], v[5:6], v[0:1], v[2:3]
	v_fma_f64 v[0:1], v[2:3], v[5:6], v[0:1]
	s_delay_alu instid0(VALU_DEP_1) | instskip(NEXT) | instid1(VALU_DEP_1)
	v_div_scale_f64 v[2:3], null, v[0:1], v[0:1], 1.0
	v_rcp_f64_e32 v[7:8], v[2:3]
	s_waitcnt_depctr 0xfff
	v_fma_f64 v[9:10], -v[2:3], v[7:8], 1.0
	s_delay_alu instid0(VALU_DEP_1) | instskip(NEXT) | instid1(VALU_DEP_1)
	v_fma_f64 v[7:8], v[7:8], v[9:10], v[7:8]
	v_fma_f64 v[9:10], -v[2:3], v[7:8], 1.0
	s_delay_alu instid0(VALU_DEP_1) | instskip(SKIP_1) | instid1(VALU_DEP_1)
	v_fma_f64 v[7:8], v[7:8], v[9:10], v[7:8]
	v_div_scale_f64 v[9:10], vcc_lo, 1.0, v[0:1], 1.0
	v_mul_f64 v[11:12], v[9:10], v[7:8]
	s_delay_alu instid0(VALU_DEP_1) | instskip(NEXT) | instid1(VALU_DEP_1)
	v_fma_f64 v[2:3], -v[2:3], v[11:12], v[9:10]
	v_div_fmas_f64 v[2:3], v[2:3], v[7:8], v[11:12]
	s_delay_alu instid0(VALU_DEP_1) | instskip(NEXT) | instid1(VALU_DEP_1)
	v_div_fixup_f64 v[0:1], v[2:3], v[0:1], 1.0
	v_mul_f64 v[2:3], v[5:6], -v[0:1]
.LBB126_931:
	s_or_b32 exec_lo, exec_lo, s2
.LBB126_932:
	s_delay_alu instid0(SALU_CYCLE_1) | instskip(NEXT) | instid1(SALU_CYCLE_1)
	s_or_b32 exec_lo, exec_lo, s3
	s_mov_b32 s2, exec_lo
	v_cmpx_ne_u32_e64 v41, v4
	s_xor_b32 s2, exec_lo, s2
	s_cbranch_execz .LBB126_938
; %bb.933:
	s_mov_b32 s3, exec_lo
	v_cmpx_eq_u32_e32 38, v41
	s_cbranch_execz .LBB126_937
; %bb.934:
	v_cmp_ne_u32_e32 vcc_lo, 38, v4
	s_xor_b32 s6, s4, -1
	s_delay_alu instid0(SALU_CYCLE_1) | instskip(NEXT) | instid1(SALU_CYCLE_1)
	s_and_b32 s7, s6, vcc_lo
	s_and_saveexec_b32 s6, s7
	s_cbranch_execz .LBB126_936
; %bb.935:
	v_ashrrev_i32_e32 v5, 31, v4
	s_delay_alu instid0(VALU_DEP_1) | instskip(NEXT) | instid1(VALU_DEP_1)
	v_lshlrev_b64 v[5:6], 2, v[4:5]
	v_add_co_u32 v5, vcc_lo, v250, v5
	s_delay_alu instid0(VALU_DEP_2)
	v_add_co_ci_u32_e32 v6, vcc_lo, v251, v6, vcc_lo
	s_clause 0x1
	flat_load_b32 v7, v[5:6]
	flat_load_b32 v8, v[250:251] offset:152
	s_waitcnt vmcnt(1) lgkmcnt(1)
	flat_store_b32 v[250:251], v7 offset:152
	s_waitcnt vmcnt(0) lgkmcnt(1)
	flat_store_b32 v[5:6], v8
.LBB126_936:
	s_or_b32 exec_lo, exec_lo, s6
	v_mov_b32_e32 v41, v4
	v_mov_b32_e32 v39, v4
.LBB126_937:
	s_or_b32 exec_lo, exec_lo, s3
.LBB126_938:
	s_and_not1_saveexec_b32 s2, s2
	s_cbranch_execz .LBB126_940
; %bb.939:
	s_clause 0x18
	scratch_load_b128 v[4:7], v152, off
	scratch_load_b128 v[8:11], v185, off
	;; [unrolled: 1-line block ×25, first 2 shown]
	v_mov_b32_e32 v41, 38
	s_waitcnt vmcnt(24)
	ds_store_2addr_b64 v36, v[4:5], v[6:7] offset0:78 offset1:79
	s_waitcnt vmcnt(23)
	ds_store_2addr_b64 v36, v[8:9], v[10:11] offset0:80 offset1:81
	;; [unrolled: 2-line block ×25, first 2 shown]
.LBB126_940:
	s_or_b32 exec_lo, exec_lo, s2
	s_delay_alu instid0(SALU_CYCLE_1)
	s_mov_b32 s2, exec_lo
	s_waitcnt lgkmcnt(0)
	s_waitcnt_vscnt null, 0x0
	s_barrier
	buffer_gl0_inv
	v_cmpx_lt_i32_e32 38, v41
	s_cbranch_execz .LBB126_943
; %bb.941:
	scratch_load_b128 v[4:7], off, off offset:608
	s_mov_b32 s3, 0
	s_waitcnt vmcnt(0)
	v_mul_f64 v[8:9], v[2:3], v[6:7]
	v_mul_f64 v[6:7], v[0:1], v[6:7]
	s_delay_alu instid0(VALU_DEP_2) | instskip(NEXT) | instid1(VALU_DEP_2)
	v_fma_f64 v[0:1], v[0:1], v[4:5], -v[8:9]
	v_fma_f64 v[2:3], v[2:3], v[4:5], v[6:7]
	v_add3_u32 v4, v38, 0, 0x270
	v_mov_b32_e32 v5, 0
	scratch_store_b128 off, v[0:3], off offset:608
.LBB126_942:                            ; =>This Inner Loop Header: Depth=1
	v_readfirstlane_b32 s6, v5
	v_add_nc_u32_e32 v18, s3, v4
	s_delay_alu instid0(VALU_DEP_2)
	s_add_i32 s6, s6, s3
	s_addk_i32 s3, 0x50
	s_add_i32 s7, s6, 0x270
	s_add_i32 s9, s6, 0x280
	;; [unrolled: 1-line block ×4, first 2 shown]
	s_addk_i32 s6, 0x2b0
	s_clause 0x4
	scratch_load_b128 v[6:9], off, s7
	scratch_load_b128 v[10:13], off, s9
	;; [unrolled: 1-line block ×5, first 2 shown]
	ds_load_2addr_b64 v[53:56], v18 offset1:1
	ds_load_2addr_b64 v[65:68], v18 offset0:2 offset1:3
	ds_load_2addr_b64 v[69:72], v18 offset0:4 offset1:5
	;; [unrolled: 1-line block ×4, first 2 shown]
	s_cmpk_lg_i32 s3, 0x190
	s_waitcnt lgkmcnt(4)
	v_mul_f64 v[18:19], v[55:56], v[2:3]
	v_mul_f64 v[46:47], v[53:54], v[2:3]
	s_waitcnt lgkmcnt(3)
	v_mul_f64 v[57:58], v[67:68], v[2:3]
	v_mul_f64 v[61:62], v[65:66], v[2:3]
	;; [unrolled: 3-line block ×5, first 2 shown]
	v_fma_f64 v[18:19], v[53:54], v[0:1], -v[18:19]
	v_fma_f64 v[46:47], v[55:56], v[0:1], v[46:47]
	v_fma_f64 v[53:54], v[65:66], v[0:1], -v[57:58]
	v_fma_f64 v[55:56], v[67:68], v[0:1], v[61:62]
	;; [unrolled: 2-line block ×5, first 2 shown]
	s_waitcnt vmcnt(4)
	v_add_f64 v[6:7], v[6:7], -v[18:19]
	v_add_f64 v[8:9], v[8:9], -v[46:47]
	s_waitcnt vmcnt(3)
	v_add_f64 v[10:11], v[10:11], -v[53:54]
	v_add_f64 v[12:13], v[12:13], -v[55:56]
	;; [unrolled: 3-line block ×5, first 2 shown]
	s_clause 0x4
	scratch_store_b128 off, v[6:9], s7
	scratch_store_b128 off, v[10:13], s9
	;; [unrolled: 1-line block ×5, first 2 shown]
	s_cbranch_scc1 .LBB126_942
.LBB126_943:
	s_or_b32 exec_lo, exec_lo, s2
	s_waitcnt_vscnt null, 0x0
	s_barrier
	buffer_gl0_inv
	scratch_load_b128 v[0:3], v152, off
	v_lshl_add_u32 v4, v41, 4, v36
	s_cmp_lt_i32 s5, 41
	s_waitcnt vmcnt(0)
	ds_store_2addr_b64 v4, v[0:1], v[2:3] offset1:1
	s_waitcnt lgkmcnt(0)
	s_barrier
	buffer_gl0_inv
	ds_load_2addr_b64 v[0:3], v36 offset0:78 offset1:79
	v_mov_b32_e32 v4, 39
	s_cbranch_scc1 .LBB126_946
; %bb.944:
	v_add3_u32 v5, v38, 0, 0x280
	v_mov_b32_e32 v4, 39
	s_mov_b32 s6, 40
	s_set_inst_prefetch_distance 0x1
	.p2align	6
.LBB126_945:                            ; =>This Inner Loop Header: Depth=1
	ds_load_2addr_b64 v[6:9], v5 offset1:1
	s_waitcnt lgkmcnt(1)
	v_cmp_gt_f64_e32 vcc_lo, 0, v[0:1]
	v_xor_b32_e32 v10, 0x80000000, v1
	v_cmp_gt_f64_e64 s2, 0, v[2:3]
	v_xor_b32_e32 v12, 0x80000000, v3
	v_add_nc_u32_e32 v5, 16, v5
	s_waitcnt lgkmcnt(0)
	v_cmp_gt_f64_e64 s3, 0, v[6:7]
	v_mov_b32_e32 v14, v6
	v_dual_mov_b32 v16, v8 :: v_dual_cndmask_b32 v11, v1, v10
	v_xor_b32_e32 v10, 0x80000000, v7
	v_cndmask_b32_e64 v13, v3, v12, s2
	v_xor_b32_e32 v12, 0x80000000, v9
	s_delay_alu instid0(VALU_DEP_3) | instskip(SKIP_2) | instid1(VALU_DEP_2)
	v_cndmask_b32_e64 v15, v7, v10, s3
	v_cmp_gt_f64_e64 s3, 0, v[8:9]
	v_cndmask_b32_e32 v10, v0, v0, vcc_lo
	v_cndmask_b32_e64 v17, v9, v12, s3
	v_cndmask_b32_e64 v12, v2, v2, s2
	s_delay_alu instid0(VALU_DEP_2) | instskip(NEXT) | instid1(VALU_DEP_2)
	v_add_f64 v[14:15], v[14:15], v[16:17]
	v_add_f64 v[10:11], v[10:11], v[12:13]
	s_delay_alu instid0(VALU_DEP_1)
	v_cmp_lt_f64_e32 vcc_lo, v[10:11], v[14:15]
	v_cndmask_b32_e32 v3, v3, v9, vcc_lo
	v_dual_cndmask_b32 v1, v1, v7 :: v_dual_cndmask_b32 v0, v0, v6
	v_cndmask_b32_e32 v2, v2, v8, vcc_lo
	v_cndmask_b32_e64 v4, v4, s6, vcc_lo
	s_add_i32 s6, s6, 1
	s_delay_alu instid0(SALU_CYCLE_1)
	s_cmp_lg_u32 s5, s6
	s_cbranch_scc1 .LBB126_945
.LBB126_946:
	s_set_inst_prefetch_distance 0x2
	s_waitcnt lgkmcnt(0)
	v_cmp_eq_f64_e32 vcc_lo, 0, v[0:1]
	v_cmp_eq_f64_e64 s2, 0, v[2:3]
	s_delay_alu instid0(VALU_DEP_1) | instskip(NEXT) | instid1(SALU_CYCLE_1)
	s_and_b32 s2, vcc_lo, s2
	s_and_saveexec_b32 s3, s2
	s_delay_alu instid0(SALU_CYCLE_1)
	s_xor_b32 s2, exec_lo, s3
; %bb.947:
	v_cmp_ne_u32_e32 vcc_lo, 0, v37
	v_cndmask_b32_e32 v37, 40, v37, vcc_lo
; %bb.948:
	s_and_not1_saveexec_b32 s3, s2
	s_cbranch_execz .LBB126_954
; %bb.949:
	v_cmp_gt_f64_e32 vcc_lo, 0, v[0:1]
	v_cmp_gt_f64_e64 s2, 0, v[2:3]
	v_xor_b32_e32 v5, 0x80000000, v1
	v_xor_b32_e32 v7, 0x80000000, v3
	s_delay_alu instid0(VALU_DEP_2) | instskip(NEXT) | instid1(VALU_DEP_2)
	v_dual_cndmask_b32 v6, v1, v5 :: v_dual_cndmask_b32 v5, v0, v0
	v_cndmask_b32_e64 v8, v3, v7, s2
	v_cndmask_b32_e64 v7, v2, v2, s2
	s_mov_b32 s2, exec_lo
	s_delay_alu instid0(VALU_DEP_1)
	v_cmpx_ngt_f64_e32 v[5:6], v[7:8]
	s_xor_b32 s2, exec_lo, s2
	s_cbranch_execz .LBB126_951
; %bb.950:
	v_div_scale_f64 v[5:6], null, v[2:3], v[2:3], v[0:1]
	v_div_scale_f64 v[11:12], vcc_lo, v[0:1], v[2:3], v[0:1]
	s_delay_alu instid0(VALU_DEP_2) | instskip(SKIP_2) | instid1(VALU_DEP_1)
	v_rcp_f64_e32 v[7:8], v[5:6]
	s_waitcnt_depctr 0xfff
	v_fma_f64 v[9:10], -v[5:6], v[7:8], 1.0
	v_fma_f64 v[7:8], v[7:8], v[9:10], v[7:8]
	s_delay_alu instid0(VALU_DEP_1) | instskip(NEXT) | instid1(VALU_DEP_1)
	v_fma_f64 v[9:10], -v[5:6], v[7:8], 1.0
	v_fma_f64 v[7:8], v[7:8], v[9:10], v[7:8]
	s_delay_alu instid0(VALU_DEP_1) | instskip(NEXT) | instid1(VALU_DEP_1)
	v_mul_f64 v[9:10], v[11:12], v[7:8]
	v_fma_f64 v[5:6], -v[5:6], v[9:10], v[11:12]
	s_delay_alu instid0(VALU_DEP_1) | instskip(NEXT) | instid1(VALU_DEP_1)
	v_div_fmas_f64 v[5:6], v[5:6], v[7:8], v[9:10]
	v_div_fixup_f64 v[5:6], v[5:6], v[2:3], v[0:1]
	s_delay_alu instid0(VALU_DEP_1) | instskip(NEXT) | instid1(VALU_DEP_1)
	v_fma_f64 v[0:1], v[0:1], v[5:6], v[2:3]
	v_div_scale_f64 v[2:3], null, v[0:1], v[0:1], 1.0
	s_delay_alu instid0(VALU_DEP_1) | instskip(SKIP_2) | instid1(VALU_DEP_1)
	v_rcp_f64_e32 v[7:8], v[2:3]
	s_waitcnt_depctr 0xfff
	v_fma_f64 v[9:10], -v[2:3], v[7:8], 1.0
	v_fma_f64 v[7:8], v[7:8], v[9:10], v[7:8]
	s_delay_alu instid0(VALU_DEP_1) | instskip(NEXT) | instid1(VALU_DEP_1)
	v_fma_f64 v[9:10], -v[2:3], v[7:8], 1.0
	v_fma_f64 v[7:8], v[7:8], v[9:10], v[7:8]
	v_div_scale_f64 v[9:10], vcc_lo, 1.0, v[0:1], 1.0
	s_delay_alu instid0(VALU_DEP_1) | instskip(NEXT) | instid1(VALU_DEP_1)
	v_mul_f64 v[11:12], v[9:10], v[7:8]
	v_fma_f64 v[2:3], -v[2:3], v[11:12], v[9:10]
	s_delay_alu instid0(VALU_DEP_1) | instskip(NEXT) | instid1(VALU_DEP_1)
	v_div_fmas_f64 v[2:3], v[2:3], v[7:8], v[11:12]
	v_div_fixup_f64 v[2:3], v[2:3], v[0:1], 1.0
	s_delay_alu instid0(VALU_DEP_1)
	v_mul_f64 v[0:1], v[5:6], v[2:3]
	v_xor_b32_e32 v3, 0x80000000, v3
.LBB126_951:
	s_and_not1_saveexec_b32 s2, s2
	s_cbranch_execz .LBB126_953
; %bb.952:
	s_delay_alu instid0(VALU_DEP_1) | instskip(SKIP_1) | instid1(VALU_DEP_2)
	v_div_scale_f64 v[5:6], null, v[0:1], v[0:1], v[2:3]
	v_div_scale_f64 v[11:12], vcc_lo, v[2:3], v[0:1], v[2:3]
	v_rcp_f64_e32 v[7:8], v[5:6]
	s_waitcnt_depctr 0xfff
	v_fma_f64 v[9:10], -v[5:6], v[7:8], 1.0
	s_delay_alu instid0(VALU_DEP_1) | instskip(NEXT) | instid1(VALU_DEP_1)
	v_fma_f64 v[7:8], v[7:8], v[9:10], v[7:8]
	v_fma_f64 v[9:10], -v[5:6], v[7:8], 1.0
	s_delay_alu instid0(VALU_DEP_1) | instskip(NEXT) | instid1(VALU_DEP_1)
	v_fma_f64 v[7:8], v[7:8], v[9:10], v[7:8]
	v_mul_f64 v[9:10], v[11:12], v[7:8]
	s_delay_alu instid0(VALU_DEP_1) | instskip(NEXT) | instid1(VALU_DEP_1)
	v_fma_f64 v[5:6], -v[5:6], v[9:10], v[11:12]
	v_div_fmas_f64 v[5:6], v[5:6], v[7:8], v[9:10]
	s_delay_alu instid0(VALU_DEP_1) | instskip(NEXT) | instid1(VALU_DEP_1)
	v_div_fixup_f64 v[5:6], v[5:6], v[0:1], v[2:3]
	v_fma_f64 v[0:1], v[2:3], v[5:6], v[0:1]
	s_delay_alu instid0(VALU_DEP_1) | instskip(NEXT) | instid1(VALU_DEP_1)
	v_div_scale_f64 v[2:3], null, v[0:1], v[0:1], 1.0
	v_rcp_f64_e32 v[7:8], v[2:3]
	s_waitcnt_depctr 0xfff
	v_fma_f64 v[9:10], -v[2:3], v[7:8], 1.0
	s_delay_alu instid0(VALU_DEP_1) | instskip(NEXT) | instid1(VALU_DEP_1)
	v_fma_f64 v[7:8], v[7:8], v[9:10], v[7:8]
	v_fma_f64 v[9:10], -v[2:3], v[7:8], 1.0
	s_delay_alu instid0(VALU_DEP_1) | instskip(SKIP_1) | instid1(VALU_DEP_1)
	v_fma_f64 v[7:8], v[7:8], v[9:10], v[7:8]
	v_div_scale_f64 v[9:10], vcc_lo, 1.0, v[0:1], 1.0
	v_mul_f64 v[11:12], v[9:10], v[7:8]
	s_delay_alu instid0(VALU_DEP_1) | instskip(NEXT) | instid1(VALU_DEP_1)
	v_fma_f64 v[2:3], -v[2:3], v[11:12], v[9:10]
	v_div_fmas_f64 v[2:3], v[2:3], v[7:8], v[11:12]
	s_delay_alu instid0(VALU_DEP_1) | instskip(NEXT) | instid1(VALU_DEP_1)
	v_div_fixup_f64 v[0:1], v[2:3], v[0:1], 1.0
	v_mul_f64 v[2:3], v[5:6], -v[0:1]
.LBB126_953:
	s_or_b32 exec_lo, exec_lo, s2
.LBB126_954:
	s_delay_alu instid0(SALU_CYCLE_1) | instskip(NEXT) | instid1(SALU_CYCLE_1)
	s_or_b32 exec_lo, exec_lo, s3
	s_mov_b32 s2, exec_lo
	v_cmpx_ne_u32_e64 v41, v4
	s_xor_b32 s2, exec_lo, s2
	s_cbranch_execz .LBB126_960
; %bb.955:
	s_mov_b32 s3, exec_lo
	v_cmpx_eq_u32_e32 39, v41
	s_cbranch_execz .LBB126_959
; %bb.956:
	v_cmp_ne_u32_e32 vcc_lo, 39, v4
	s_xor_b32 s6, s4, -1
	s_delay_alu instid0(SALU_CYCLE_1) | instskip(NEXT) | instid1(SALU_CYCLE_1)
	s_and_b32 s7, s6, vcc_lo
	s_and_saveexec_b32 s6, s7
	s_cbranch_execz .LBB126_958
; %bb.957:
	v_ashrrev_i32_e32 v5, 31, v4
	s_delay_alu instid0(VALU_DEP_1) | instskip(NEXT) | instid1(VALU_DEP_1)
	v_lshlrev_b64 v[5:6], 2, v[4:5]
	v_add_co_u32 v5, vcc_lo, v250, v5
	s_delay_alu instid0(VALU_DEP_2)
	v_add_co_ci_u32_e32 v6, vcc_lo, v251, v6, vcc_lo
	s_clause 0x1
	flat_load_b32 v7, v[5:6]
	flat_load_b32 v8, v[250:251] offset:156
	s_waitcnt vmcnt(1) lgkmcnt(1)
	flat_store_b32 v[250:251], v7 offset:156
	s_waitcnt vmcnt(0) lgkmcnt(1)
	flat_store_b32 v[5:6], v8
.LBB126_958:
	s_or_b32 exec_lo, exec_lo, s6
	v_mov_b32_e32 v41, v4
	v_mov_b32_e32 v39, v4
.LBB126_959:
	s_or_b32 exec_lo, exec_lo, s3
.LBB126_960:
	s_and_not1_saveexec_b32 s2, s2
	s_cbranch_execz .LBB126_962
; %bb.961:
	s_clause 0x17
	scratch_load_b128 v[4:7], v185, off
	scratch_load_b128 v[8:11], v184, off
	;; [unrolled: 1-line block ×24, first 2 shown]
	v_mov_b32_e32 v41, 39
	s_waitcnt vmcnt(23)
	ds_store_2addr_b64 v36, v[4:5], v[6:7] offset0:80 offset1:81
	s_waitcnt vmcnt(22)
	ds_store_2addr_b64 v36, v[8:9], v[10:11] offset0:82 offset1:83
	;; [unrolled: 2-line block ×24, first 2 shown]
.LBB126_962:
	s_or_b32 exec_lo, exec_lo, s2
	s_delay_alu instid0(SALU_CYCLE_1)
	s_mov_b32 s2, exec_lo
	s_waitcnt lgkmcnt(0)
	s_waitcnt_vscnt null, 0x0
	s_barrier
	buffer_gl0_inv
	v_cmpx_lt_i32_e32 39, v41
	s_cbranch_execz .LBB126_965
; %bb.963:
	scratch_load_b128 v[4:7], off, off offset:624
	s_mov_b32 s3, 0
	s_waitcnt vmcnt(0)
	v_mul_f64 v[8:9], v[2:3], v[6:7]
	v_mul_f64 v[6:7], v[0:1], v[6:7]
	s_delay_alu instid0(VALU_DEP_2) | instskip(NEXT) | instid1(VALU_DEP_2)
	v_fma_f64 v[0:1], v[0:1], v[4:5], -v[8:9]
	v_fma_f64 v[2:3], v[2:3], v[4:5], v[6:7]
	v_add3_u32 v4, v38, 0, 0x280
	v_mov_b32_e32 v5, 0
	scratch_store_b128 off, v[0:3], off offset:624
.LBB126_964:                            ; =>This Inner Loop Header: Depth=1
	v_readfirstlane_b32 s6, v5
	v_add_nc_u32_e32 v18, s3, v4
	s_delay_alu instid0(VALU_DEP_2)
	s_add_i32 s7, s6, s3
	s_addk_i32 s3, 0x60
	s_add_i32 s6, s7, 0x280
	s_add_i32 s9, s7, 0x290
	s_add_i32 s12, s7, 0x2a0
	s_add_i32 s14, s7, 0x2b0
	s_add_i32 s15, s7, 0x2c0
	s_addk_i32 s7, 0x2d0
	s_clause 0x5
	scratch_load_b128 v[6:9], off, s6
	scratch_load_b128 v[10:13], off, s9
	;; [unrolled: 1-line block ×6, first 2 shown]
	ds_load_2addr_b64 v[65:68], v18 offset1:1
	ds_load_2addr_b64 v[69:72], v18 offset0:2 offset1:3
	ds_load_2addr_b64 v[77:80], v18 offset0:4 offset1:5
	;; [unrolled: 1-line block ×5, first 2 shown]
	s_cmpk_lg_i32 s3, 0x180
	s_waitcnt lgkmcnt(5)
	v_mul_f64 v[18:19], v[67:68], v[2:3]
	v_mul_f64 v[46:47], v[65:66], v[2:3]
	s_waitcnt lgkmcnt(4)
	v_mul_f64 v[57:58], v[71:72], v[2:3]
	v_mul_f64 v[61:62], v[69:70], v[2:3]
	;; [unrolled: 3-line block ×6, first 2 shown]
	v_fma_f64 v[18:19], v[65:66], v[0:1], -v[18:19]
	v_fma_f64 v[46:47], v[67:68], v[0:1], v[46:47]
	v_fma_f64 v[57:58], v[69:70], v[0:1], -v[57:58]
	v_fma_f64 v[61:62], v[71:72], v[0:1], v[61:62]
	;; [unrolled: 2-line block ×6, first 2 shown]
	s_waitcnt vmcnt(5)
	v_add_f64 v[6:7], v[6:7], -v[18:19]
	v_add_f64 v[8:9], v[8:9], -v[46:47]
	s_waitcnt vmcnt(4)
	v_add_f64 v[10:11], v[10:11], -v[57:58]
	v_add_f64 v[12:13], v[12:13], -v[61:62]
	;; [unrolled: 3-line block ×6, first 2 shown]
	s_clause 0x5
	scratch_store_b128 off, v[6:9], s6
	scratch_store_b128 off, v[10:13], s9
	;; [unrolled: 1-line block ×6, first 2 shown]
	s_cbranch_scc1 .LBB126_964
.LBB126_965:
	s_or_b32 exec_lo, exec_lo, s2
	s_waitcnt_vscnt null, 0x0
	s_barrier
	buffer_gl0_inv
	scratch_load_b128 v[0:3], v185, off
	v_lshl_add_u32 v4, v41, 4, v36
	s_cmp_lt_i32 s5, 42
	s_waitcnt vmcnt(0)
	ds_store_2addr_b64 v4, v[0:1], v[2:3] offset1:1
	s_waitcnt lgkmcnt(0)
	s_barrier
	buffer_gl0_inv
	ds_load_2addr_b64 v[0:3], v36 offset0:80 offset1:81
	v_mov_b32_e32 v4, 40
	s_cbranch_scc1 .LBB126_968
; %bb.966:
	v_add3_u32 v5, v38, 0, 0x290
	v_mov_b32_e32 v4, 40
	s_mov_b32 s6, 41
	s_set_inst_prefetch_distance 0x1
	.p2align	6
.LBB126_967:                            ; =>This Inner Loop Header: Depth=1
	ds_load_2addr_b64 v[6:9], v5 offset1:1
	s_waitcnt lgkmcnt(1)
	v_cmp_gt_f64_e32 vcc_lo, 0, v[0:1]
	v_xor_b32_e32 v10, 0x80000000, v1
	v_cmp_gt_f64_e64 s2, 0, v[2:3]
	v_xor_b32_e32 v12, 0x80000000, v3
	v_add_nc_u32_e32 v5, 16, v5
	s_waitcnt lgkmcnt(0)
	v_cmp_gt_f64_e64 s3, 0, v[6:7]
	v_mov_b32_e32 v14, v6
	v_dual_mov_b32 v16, v8 :: v_dual_cndmask_b32 v11, v1, v10
	v_xor_b32_e32 v10, 0x80000000, v7
	v_cndmask_b32_e64 v13, v3, v12, s2
	v_xor_b32_e32 v12, 0x80000000, v9
	s_delay_alu instid0(VALU_DEP_3) | instskip(SKIP_2) | instid1(VALU_DEP_2)
	v_cndmask_b32_e64 v15, v7, v10, s3
	v_cmp_gt_f64_e64 s3, 0, v[8:9]
	v_cndmask_b32_e32 v10, v0, v0, vcc_lo
	v_cndmask_b32_e64 v17, v9, v12, s3
	v_cndmask_b32_e64 v12, v2, v2, s2
	s_delay_alu instid0(VALU_DEP_2) | instskip(NEXT) | instid1(VALU_DEP_2)
	v_add_f64 v[14:15], v[14:15], v[16:17]
	v_add_f64 v[10:11], v[10:11], v[12:13]
	s_delay_alu instid0(VALU_DEP_1)
	v_cmp_lt_f64_e32 vcc_lo, v[10:11], v[14:15]
	v_cndmask_b32_e32 v3, v3, v9, vcc_lo
	v_dual_cndmask_b32 v1, v1, v7 :: v_dual_cndmask_b32 v0, v0, v6
	v_cndmask_b32_e32 v2, v2, v8, vcc_lo
	v_cndmask_b32_e64 v4, v4, s6, vcc_lo
	s_add_i32 s6, s6, 1
	s_delay_alu instid0(SALU_CYCLE_1)
	s_cmp_lg_u32 s5, s6
	s_cbranch_scc1 .LBB126_967
.LBB126_968:
	s_set_inst_prefetch_distance 0x2
	s_waitcnt lgkmcnt(0)
	v_cmp_eq_f64_e32 vcc_lo, 0, v[0:1]
	v_cmp_eq_f64_e64 s2, 0, v[2:3]
	s_delay_alu instid0(VALU_DEP_1) | instskip(NEXT) | instid1(SALU_CYCLE_1)
	s_and_b32 s2, vcc_lo, s2
	s_and_saveexec_b32 s3, s2
	s_delay_alu instid0(SALU_CYCLE_1)
	s_xor_b32 s2, exec_lo, s3
; %bb.969:
	v_cmp_ne_u32_e32 vcc_lo, 0, v37
	v_cndmask_b32_e32 v37, 41, v37, vcc_lo
; %bb.970:
	s_and_not1_saveexec_b32 s3, s2
	s_cbranch_execz .LBB126_976
; %bb.971:
	v_cmp_gt_f64_e32 vcc_lo, 0, v[0:1]
	v_cmp_gt_f64_e64 s2, 0, v[2:3]
	v_xor_b32_e32 v5, 0x80000000, v1
	v_xor_b32_e32 v7, 0x80000000, v3
	s_delay_alu instid0(VALU_DEP_2) | instskip(NEXT) | instid1(VALU_DEP_2)
	v_dual_cndmask_b32 v6, v1, v5 :: v_dual_cndmask_b32 v5, v0, v0
	v_cndmask_b32_e64 v8, v3, v7, s2
	v_cndmask_b32_e64 v7, v2, v2, s2
	s_mov_b32 s2, exec_lo
	s_delay_alu instid0(VALU_DEP_1)
	v_cmpx_ngt_f64_e32 v[5:6], v[7:8]
	s_xor_b32 s2, exec_lo, s2
	s_cbranch_execz .LBB126_973
; %bb.972:
	v_div_scale_f64 v[5:6], null, v[2:3], v[2:3], v[0:1]
	v_div_scale_f64 v[11:12], vcc_lo, v[0:1], v[2:3], v[0:1]
	s_delay_alu instid0(VALU_DEP_2) | instskip(SKIP_2) | instid1(VALU_DEP_1)
	v_rcp_f64_e32 v[7:8], v[5:6]
	s_waitcnt_depctr 0xfff
	v_fma_f64 v[9:10], -v[5:6], v[7:8], 1.0
	v_fma_f64 v[7:8], v[7:8], v[9:10], v[7:8]
	s_delay_alu instid0(VALU_DEP_1) | instskip(NEXT) | instid1(VALU_DEP_1)
	v_fma_f64 v[9:10], -v[5:6], v[7:8], 1.0
	v_fma_f64 v[7:8], v[7:8], v[9:10], v[7:8]
	s_delay_alu instid0(VALU_DEP_1) | instskip(NEXT) | instid1(VALU_DEP_1)
	v_mul_f64 v[9:10], v[11:12], v[7:8]
	v_fma_f64 v[5:6], -v[5:6], v[9:10], v[11:12]
	s_delay_alu instid0(VALU_DEP_1) | instskip(NEXT) | instid1(VALU_DEP_1)
	v_div_fmas_f64 v[5:6], v[5:6], v[7:8], v[9:10]
	v_div_fixup_f64 v[5:6], v[5:6], v[2:3], v[0:1]
	s_delay_alu instid0(VALU_DEP_1) | instskip(NEXT) | instid1(VALU_DEP_1)
	v_fma_f64 v[0:1], v[0:1], v[5:6], v[2:3]
	v_div_scale_f64 v[2:3], null, v[0:1], v[0:1], 1.0
	s_delay_alu instid0(VALU_DEP_1) | instskip(SKIP_2) | instid1(VALU_DEP_1)
	v_rcp_f64_e32 v[7:8], v[2:3]
	s_waitcnt_depctr 0xfff
	v_fma_f64 v[9:10], -v[2:3], v[7:8], 1.0
	v_fma_f64 v[7:8], v[7:8], v[9:10], v[7:8]
	s_delay_alu instid0(VALU_DEP_1) | instskip(NEXT) | instid1(VALU_DEP_1)
	v_fma_f64 v[9:10], -v[2:3], v[7:8], 1.0
	v_fma_f64 v[7:8], v[7:8], v[9:10], v[7:8]
	v_div_scale_f64 v[9:10], vcc_lo, 1.0, v[0:1], 1.0
	s_delay_alu instid0(VALU_DEP_1) | instskip(NEXT) | instid1(VALU_DEP_1)
	v_mul_f64 v[11:12], v[9:10], v[7:8]
	v_fma_f64 v[2:3], -v[2:3], v[11:12], v[9:10]
	s_delay_alu instid0(VALU_DEP_1) | instskip(NEXT) | instid1(VALU_DEP_1)
	v_div_fmas_f64 v[2:3], v[2:3], v[7:8], v[11:12]
	v_div_fixup_f64 v[2:3], v[2:3], v[0:1], 1.0
	s_delay_alu instid0(VALU_DEP_1)
	v_mul_f64 v[0:1], v[5:6], v[2:3]
	v_xor_b32_e32 v3, 0x80000000, v3
.LBB126_973:
	s_and_not1_saveexec_b32 s2, s2
	s_cbranch_execz .LBB126_975
; %bb.974:
	s_delay_alu instid0(VALU_DEP_1) | instskip(SKIP_1) | instid1(VALU_DEP_2)
	v_div_scale_f64 v[5:6], null, v[0:1], v[0:1], v[2:3]
	v_div_scale_f64 v[11:12], vcc_lo, v[2:3], v[0:1], v[2:3]
	v_rcp_f64_e32 v[7:8], v[5:6]
	s_waitcnt_depctr 0xfff
	v_fma_f64 v[9:10], -v[5:6], v[7:8], 1.0
	s_delay_alu instid0(VALU_DEP_1) | instskip(NEXT) | instid1(VALU_DEP_1)
	v_fma_f64 v[7:8], v[7:8], v[9:10], v[7:8]
	v_fma_f64 v[9:10], -v[5:6], v[7:8], 1.0
	s_delay_alu instid0(VALU_DEP_1) | instskip(NEXT) | instid1(VALU_DEP_1)
	v_fma_f64 v[7:8], v[7:8], v[9:10], v[7:8]
	v_mul_f64 v[9:10], v[11:12], v[7:8]
	s_delay_alu instid0(VALU_DEP_1) | instskip(NEXT) | instid1(VALU_DEP_1)
	v_fma_f64 v[5:6], -v[5:6], v[9:10], v[11:12]
	v_div_fmas_f64 v[5:6], v[5:6], v[7:8], v[9:10]
	s_delay_alu instid0(VALU_DEP_1) | instskip(NEXT) | instid1(VALU_DEP_1)
	v_div_fixup_f64 v[5:6], v[5:6], v[0:1], v[2:3]
	v_fma_f64 v[0:1], v[2:3], v[5:6], v[0:1]
	s_delay_alu instid0(VALU_DEP_1) | instskip(NEXT) | instid1(VALU_DEP_1)
	v_div_scale_f64 v[2:3], null, v[0:1], v[0:1], 1.0
	v_rcp_f64_e32 v[7:8], v[2:3]
	s_waitcnt_depctr 0xfff
	v_fma_f64 v[9:10], -v[2:3], v[7:8], 1.0
	s_delay_alu instid0(VALU_DEP_1) | instskip(NEXT) | instid1(VALU_DEP_1)
	v_fma_f64 v[7:8], v[7:8], v[9:10], v[7:8]
	v_fma_f64 v[9:10], -v[2:3], v[7:8], 1.0
	s_delay_alu instid0(VALU_DEP_1) | instskip(SKIP_1) | instid1(VALU_DEP_1)
	v_fma_f64 v[7:8], v[7:8], v[9:10], v[7:8]
	v_div_scale_f64 v[9:10], vcc_lo, 1.0, v[0:1], 1.0
	v_mul_f64 v[11:12], v[9:10], v[7:8]
	s_delay_alu instid0(VALU_DEP_1) | instskip(NEXT) | instid1(VALU_DEP_1)
	v_fma_f64 v[2:3], -v[2:3], v[11:12], v[9:10]
	v_div_fmas_f64 v[2:3], v[2:3], v[7:8], v[11:12]
	s_delay_alu instid0(VALU_DEP_1) | instskip(NEXT) | instid1(VALU_DEP_1)
	v_div_fixup_f64 v[0:1], v[2:3], v[0:1], 1.0
	v_mul_f64 v[2:3], v[5:6], -v[0:1]
.LBB126_975:
	s_or_b32 exec_lo, exec_lo, s2
.LBB126_976:
	s_delay_alu instid0(SALU_CYCLE_1) | instskip(NEXT) | instid1(SALU_CYCLE_1)
	s_or_b32 exec_lo, exec_lo, s3
	s_mov_b32 s2, exec_lo
	v_cmpx_ne_u32_e64 v41, v4
	s_xor_b32 s2, exec_lo, s2
	s_cbranch_execz .LBB126_982
; %bb.977:
	s_mov_b32 s3, exec_lo
	v_cmpx_eq_u32_e32 40, v41
	s_cbranch_execz .LBB126_981
; %bb.978:
	v_cmp_ne_u32_e32 vcc_lo, 40, v4
	s_xor_b32 s6, s4, -1
	s_delay_alu instid0(SALU_CYCLE_1) | instskip(NEXT) | instid1(SALU_CYCLE_1)
	s_and_b32 s7, s6, vcc_lo
	s_and_saveexec_b32 s6, s7
	s_cbranch_execz .LBB126_980
; %bb.979:
	v_ashrrev_i32_e32 v5, 31, v4
	s_delay_alu instid0(VALU_DEP_1) | instskip(NEXT) | instid1(VALU_DEP_1)
	v_lshlrev_b64 v[5:6], 2, v[4:5]
	v_add_co_u32 v5, vcc_lo, v250, v5
	s_delay_alu instid0(VALU_DEP_2)
	v_add_co_ci_u32_e32 v6, vcc_lo, v251, v6, vcc_lo
	s_clause 0x1
	flat_load_b32 v7, v[5:6]
	flat_load_b32 v8, v[250:251] offset:160
	s_waitcnt vmcnt(1) lgkmcnt(1)
	flat_store_b32 v[250:251], v7 offset:160
	s_waitcnt vmcnt(0) lgkmcnt(1)
	flat_store_b32 v[5:6], v8
.LBB126_980:
	s_or_b32 exec_lo, exec_lo, s6
	v_mov_b32_e32 v41, v4
	v_mov_b32_e32 v39, v4
.LBB126_981:
	s_or_b32 exec_lo, exec_lo, s3
.LBB126_982:
	s_and_not1_saveexec_b32 s2, s2
	s_cbranch_execz .LBB126_984
; %bb.983:
	s_clause 0x16
	scratch_load_b128 v[4:7], v184, off
	scratch_load_b128 v[8:11], v183, off
	;; [unrolled: 1-line block ×23, first 2 shown]
	v_mov_b32_e32 v41, 40
	s_waitcnt vmcnt(22)
	ds_store_2addr_b64 v36, v[4:5], v[6:7] offset0:82 offset1:83
	s_waitcnt vmcnt(21)
	ds_store_2addr_b64 v36, v[8:9], v[10:11] offset0:84 offset1:85
	;; [unrolled: 2-line block ×23, first 2 shown]
.LBB126_984:
	s_or_b32 exec_lo, exec_lo, s2
	s_delay_alu instid0(SALU_CYCLE_1)
	s_mov_b32 s2, exec_lo
	s_waitcnt lgkmcnt(0)
	s_waitcnt_vscnt null, 0x0
	s_barrier
	buffer_gl0_inv
	v_cmpx_lt_i32_e32 40, v41
	s_cbranch_execz .LBB126_989
; %bb.985:
	scratch_load_b128 v[4:7], off, off offset:640
	s_mov_b32 s3, 0
	s_waitcnt vmcnt(0)
	v_mul_f64 v[8:9], v[2:3], v[6:7]
	v_mul_f64 v[6:7], v[0:1], v[6:7]
	s_delay_alu instid0(VALU_DEP_2) | instskip(NEXT) | instid1(VALU_DEP_2)
	v_fma_f64 v[0:1], v[0:1], v[4:5], -v[8:9]
	v_fma_f64 v[2:3], v[2:3], v[4:5], v[6:7]
	v_add3_u32 v4, v38, 0, 0x290
	v_mov_b32_e32 v5, 0
	scratch_store_b128 off, v[0:3], off offset:640
	s_branch .LBB126_987
.LBB126_986:                            ;   in Loop: Header=BB126_987 Depth=1
	s_and_not1_b32 vcc_lo, exec_lo, s7
	s_cbranch_vccz .LBB126_989
.LBB126_987:                            ; =>This Inner Loop Header: Depth=1
	v_readfirstlane_b32 s6, v5
	v_add_nc_u32_e32 v6, s3, v4
	s_mov_b32 s7, -1
	s_delay_alu instid0(VALU_DEP_2) | instskip(NEXT) | instid1(SALU_CYCLE_1)
	s_add_i32 s6, s6, s3
	s_add_i32 s9, s6, 0x290
	;; [unrolled: 1-line block ×3, first 2 shown]
	scratch_load_b128 v[7:10], off, s9
	s_add_i32 s14, s6, 0x2b0
	s_clause 0x1
	scratch_load_b128 v[11:14], off, s12
	scratch_load_b128 v[42:45], off, s14
	ds_load_2addr_b64 v[49:52], v6 offset1:1
	ds_load_2addr_b64 v[53:56], v6 offset0:2 offset1:3
	ds_load_2addr_b64 v[65:68], v6 offset0:4 offset1:5
	s_cmpk_eq_i32 s3, 0x140
	s_waitcnt lgkmcnt(2)
	v_mul_f64 v[15:16], v[51:52], v[2:3]
	v_mul_f64 v[17:18], v[49:50], v[2:3]
	s_waitcnt lgkmcnt(1)
	v_mul_f64 v[46:47], v[55:56], v[2:3]
	v_mul_f64 v[57:58], v[53:54], v[2:3]
	;; [unrolled: 3-line block ×3, first 2 shown]
	v_fma_f64 v[15:16], v[49:50], v[0:1], -v[15:16]
	v_fma_f64 v[17:18], v[51:52], v[0:1], v[17:18]
	v_fma_f64 v[46:47], v[53:54], v[0:1], -v[46:47]
	v_fma_f64 v[49:50], v[55:56], v[0:1], v[57:58]
	;; [unrolled: 2-line block ×3, first 2 shown]
	s_waitcnt vmcnt(2)
	v_add_f64 v[7:8], v[7:8], -v[15:16]
	v_add_f64 v[9:10], v[9:10], -v[17:18]
	s_waitcnt vmcnt(1)
	v_add_f64 v[11:12], v[11:12], -v[46:47]
	v_add_f64 v[13:14], v[13:14], -v[49:50]
	;; [unrolled: 3-line block ×3, first 2 shown]
	s_clause 0x2
	scratch_store_b128 off, v[7:10], s9
	scratch_store_b128 off, v[11:14], s12
	;; [unrolled: 1-line block ×3, first 2 shown]
	s_cbranch_scc1 .LBB126_986
; %bb.988:                              ;   in Loop: Header=BB126_987 Depth=1
	s_addk_i32 s6, 0x2c0
	ds_load_2addr_b64 v[11:14], v6 offset0:6 offset1:7
	scratch_load_b128 v[7:10], off, s6
	s_add_i32 s3, s3, 64
	s_mov_b32 s7, 0
	s_waitcnt lgkmcnt(0)
	v_mul_f64 v[15:16], v[13:14], v[2:3]
	v_mul_f64 v[17:18], v[11:12], v[2:3]
	s_delay_alu instid0(VALU_DEP_2) | instskip(NEXT) | instid1(VALU_DEP_2)
	v_fma_f64 v[11:12], v[11:12], v[0:1], -v[15:16]
	v_fma_f64 v[13:14], v[13:14], v[0:1], v[17:18]
	s_waitcnt vmcnt(0)
	s_delay_alu instid0(VALU_DEP_2) | instskip(NEXT) | instid1(VALU_DEP_2)
	v_add_f64 v[6:7], v[7:8], -v[11:12]
	v_add_f64 v[8:9], v[9:10], -v[13:14]
	scratch_store_b128 off, v[6:9], s6
	s_branch .LBB126_986
.LBB126_989:
	s_or_b32 exec_lo, exec_lo, s2
	s_waitcnt_vscnt null, 0x0
	s_barrier
	buffer_gl0_inv
	scratch_load_b128 v[0:3], v184, off
	v_lshl_add_u32 v4, v41, 4, v36
	s_cmp_lt_i32 s5, 43
	s_waitcnt vmcnt(0)
	ds_store_2addr_b64 v4, v[0:1], v[2:3] offset1:1
	s_waitcnt lgkmcnt(0)
	s_barrier
	buffer_gl0_inv
	ds_load_2addr_b64 v[0:3], v36 offset0:82 offset1:83
	v_mov_b32_e32 v4, 41
	s_cbranch_scc1 .LBB126_992
; %bb.990:
	v_add3_u32 v5, v38, 0, 0x2a0
	v_mov_b32_e32 v4, 41
	s_mov_b32 s6, 42
	s_set_inst_prefetch_distance 0x1
	.p2align	6
.LBB126_991:                            ; =>This Inner Loop Header: Depth=1
	ds_load_2addr_b64 v[6:9], v5 offset1:1
	s_waitcnt lgkmcnt(1)
	v_cmp_gt_f64_e32 vcc_lo, 0, v[0:1]
	v_xor_b32_e32 v10, 0x80000000, v1
	v_cmp_gt_f64_e64 s2, 0, v[2:3]
	v_xor_b32_e32 v12, 0x80000000, v3
	v_add_nc_u32_e32 v5, 16, v5
	s_waitcnt lgkmcnt(0)
	v_cmp_gt_f64_e64 s3, 0, v[6:7]
	v_mov_b32_e32 v14, v6
	v_dual_mov_b32 v16, v8 :: v_dual_cndmask_b32 v11, v1, v10
	v_xor_b32_e32 v10, 0x80000000, v7
	v_cndmask_b32_e64 v13, v3, v12, s2
	v_xor_b32_e32 v12, 0x80000000, v9
	s_delay_alu instid0(VALU_DEP_3) | instskip(SKIP_2) | instid1(VALU_DEP_2)
	v_cndmask_b32_e64 v15, v7, v10, s3
	v_cmp_gt_f64_e64 s3, 0, v[8:9]
	v_cndmask_b32_e32 v10, v0, v0, vcc_lo
	v_cndmask_b32_e64 v17, v9, v12, s3
	v_cndmask_b32_e64 v12, v2, v2, s2
	s_delay_alu instid0(VALU_DEP_2) | instskip(NEXT) | instid1(VALU_DEP_2)
	v_add_f64 v[14:15], v[14:15], v[16:17]
	v_add_f64 v[10:11], v[10:11], v[12:13]
	s_delay_alu instid0(VALU_DEP_1)
	v_cmp_lt_f64_e32 vcc_lo, v[10:11], v[14:15]
	v_cndmask_b32_e32 v3, v3, v9, vcc_lo
	v_dual_cndmask_b32 v1, v1, v7 :: v_dual_cndmask_b32 v0, v0, v6
	v_cndmask_b32_e32 v2, v2, v8, vcc_lo
	v_cndmask_b32_e64 v4, v4, s6, vcc_lo
	s_add_i32 s6, s6, 1
	s_delay_alu instid0(SALU_CYCLE_1)
	s_cmp_lg_u32 s5, s6
	s_cbranch_scc1 .LBB126_991
.LBB126_992:
	s_set_inst_prefetch_distance 0x2
	s_waitcnt lgkmcnt(0)
	v_cmp_eq_f64_e32 vcc_lo, 0, v[0:1]
	v_cmp_eq_f64_e64 s2, 0, v[2:3]
	s_delay_alu instid0(VALU_DEP_1) | instskip(NEXT) | instid1(SALU_CYCLE_1)
	s_and_b32 s2, vcc_lo, s2
	s_and_saveexec_b32 s3, s2
	s_delay_alu instid0(SALU_CYCLE_1)
	s_xor_b32 s2, exec_lo, s3
; %bb.993:
	v_cmp_ne_u32_e32 vcc_lo, 0, v37
	v_cndmask_b32_e32 v37, 42, v37, vcc_lo
; %bb.994:
	s_and_not1_saveexec_b32 s3, s2
	s_cbranch_execz .LBB126_1000
; %bb.995:
	v_cmp_gt_f64_e32 vcc_lo, 0, v[0:1]
	v_cmp_gt_f64_e64 s2, 0, v[2:3]
	v_xor_b32_e32 v5, 0x80000000, v1
	v_xor_b32_e32 v7, 0x80000000, v3
	s_delay_alu instid0(VALU_DEP_2) | instskip(NEXT) | instid1(VALU_DEP_2)
	v_dual_cndmask_b32 v6, v1, v5 :: v_dual_cndmask_b32 v5, v0, v0
	v_cndmask_b32_e64 v8, v3, v7, s2
	v_cndmask_b32_e64 v7, v2, v2, s2
	s_mov_b32 s2, exec_lo
	s_delay_alu instid0(VALU_DEP_1)
	v_cmpx_ngt_f64_e32 v[5:6], v[7:8]
	s_xor_b32 s2, exec_lo, s2
	s_cbranch_execz .LBB126_997
; %bb.996:
	v_div_scale_f64 v[5:6], null, v[2:3], v[2:3], v[0:1]
	v_div_scale_f64 v[11:12], vcc_lo, v[0:1], v[2:3], v[0:1]
	s_delay_alu instid0(VALU_DEP_2) | instskip(SKIP_2) | instid1(VALU_DEP_1)
	v_rcp_f64_e32 v[7:8], v[5:6]
	s_waitcnt_depctr 0xfff
	v_fma_f64 v[9:10], -v[5:6], v[7:8], 1.0
	v_fma_f64 v[7:8], v[7:8], v[9:10], v[7:8]
	s_delay_alu instid0(VALU_DEP_1) | instskip(NEXT) | instid1(VALU_DEP_1)
	v_fma_f64 v[9:10], -v[5:6], v[7:8], 1.0
	v_fma_f64 v[7:8], v[7:8], v[9:10], v[7:8]
	s_delay_alu instid0(VALU_DEP_1) | instskip(NEXT) | instid1(VALU_DEP_1)
	v_mul_f64 v[9:10], v[11:12], v[7:8]
	v_fma_f64 v[5:6], -v[5:6], v[9:10], v[11:12]
	s_delay_alu instid0(VALU_DEP_1) | instskip(NEXT) | instid1(VALU_DEP_1)
	v_div_fmas_f64 v[5:6], v[5:6], v[7:8], v[9:10]
	v_div_fixup_f64 v[5:6], v[5:6], v[2:3], v[0:1]
	s_delay_alu instid0(VALU_DEP_1) | instskip(NEXT) | instid1(VALU_DEP_1)
	v_fma_f64 v[0:1], v[0:1], v[5:6], v[2:3]
	v_div_scale_f64 v[2:3], null, v[0:1], v[0:1], 1.0
	s_delay_alu instid0(VALU_DEP_1) | instskip(SKIP_2) | instid1(VALU_DEP_1)
	v_rcp_f64_e32 v[7:8], v[2:3]
	s_waitcnt_depctr 0xfff
	v_fma_f64 v[9:10], -v[2:3], v[7:8], 1.0
	v_fma_f64 v[7:8], v[7:8], v[9:10], v[7:8]
	s_delay_alu instid0(VALU_DEP_1) | instskip(NEXT) | instid1(VALU_DEP_1)
	v_fma_f64 v[9:10], -v[2:3], v[7:8], 1.0
	v_fma_f64 v[7:8], v[7:8], v[9:10], v[7:8]
	v_div_scale_f64 v[9:10], vcc_lo, 1.0, v[0:1], 1.0
	s_delay_alu instid0(VALU_DEP_1) | instskip(NEXT) | instid1(VALU_DEP_1)
	v_mul_f64 v[11:12], v[9:10], v[7:8]
	v_fma_f64 v[2:3], -v[2:3], v[11:12], v[9:10]
	s_delay_alu instid0(VALU_DEP_1) | instskip(NEXT) | instid1(VALU_DEP_1)
	v_div_fmas_f64 v[2:3], v[2:3], v[7:8], v[11:12]
	v_div_fixup_f64 v[2:3], v[2:3], v[0:1], 1.0
	s_delay_alu instid0(VALU_DEP_1)
	v_mul_f64 v[0:1], v[5:6], v[2:3]
	v_xor_b32_e32 v3, 0x80000000, v3
.LBB126_997:
	s_and_not1_saveexec_b32 s2, s2
	s_cbranch_execz .LBB126_999
; %bb.998:
	s_delay_alu instid0(VALU_DEP_1) | instskip(SKIP_1) | instid1(VALU_DEP_2)
	v_div_scale_f64 v[5:6], null, v[0:1], v[0:1], v[2:3]
	v_div_scale_f64 v[11:12], vcc_lo, v[2:3], v[0:1], v[2:3]
	v_rcp_f64_e32 v[7:8], v[5:6]
	s_waitcnt_depctr 0xfff
	v_fma_f64 v[9:10], -v[5:6], v[7:8], 1.0
	s_delay_alu instid0(VALU_DEP_1) | instskip(NEXT) | instid1(VALU_DEP_1)
	v_fma_f64 v[7:8], v[7:8], v[9:10], v[7:8]
	v_fma_f64 v[9:10], -v[5:6], v[7:8], 1.0
	s_delay_alu instid0(VALU_DEP_1) | instskip(NEXT) | instid1(VALU_DEP_1)
	v_fma_f64 v[7:8], v[7:8], v[9:10], v[7:8]
	v_mul_f64 v[9:10], v[11:12], v[7:8]
	s_delay_alu instid0(VALU_DEP_1) | instskip(NEXT) | instid1(VALU_DEP_1)
	v_fma_f64 v[5:6], -v[5:6], v[9:10], v[11:12]
	v_div_fmas_f64 v[5:6], v[5:6], v[7:8], v[9:10]
	s_delay_alu instid0(VALU_DEP_1) | instskip(NEXT) | instid1(VALU_DEP_1)
	v_div_fixup_f64 v[5:6], v[5:6], v[0:1], v[2:3]
	v_fma_f64 v[0:1], v[2:3], v[5:6], v[0:1]
	s_delay_alu instid0(VALU_DEP_1) | instskip(NEXT) | instid1(VALU_DEP_1)
	v_div_scale_f64 v[2:3], null, v[0:1], v[0:1], 1.0
	v_rcp_f64_e32 v[7:8], v[2:3]
	s_waitcnt_depctr 0xfff
	v_fma_f64 v[9:10], -v[2:3], v[7:8], 1.0
	s_delay_alu instid0(VALU_DEP_1) | instskip(NEXT) | instid1(VALU_DEP_1)
	v_fma_f64 v[7:8], v[7:8], v[9:10], v[7:8]
	v_fma_f64 v[9:10], -v[2:3], v[7:8], 1.0
	s_delay_alu instid0(VALU_DEP_1) | instskip(SKIP_1) | instid1(VALU_DEP_1)
	v_fma_f64 v[7:8], v[7:8], v[9:10], v[7:8]
	v_div_scale_f64 v[9:10], vcc_lo, 1.0, v[0:1], 1.0
	v_mul_f64 v[11:12], v[9:10], v[7:8]
	s_delay_alu instid0(VALU_DEP_1) | instskip(NEXT) | instid1(VALU_DEP_1)
	v_fma_f64 v[2:3], -v[2:3], v[11:12], v[9:10]
	v_div_fmas_f64 v[2:3], v[2:3], v[7:8], v[11:12]
	s_delay_alu instid0(VALU_DEP_1) | instskip(NEXT) | instid1(VALU_DEP_1)
	v_div_fixup_f64 v[0:1], v[2:3], v[0:1], 1.0
	v_mul_f64 v[2:3], v[5:6], -v[0:1]
.LBB126_999:
	s_or_b32 exec_lo, exec_lo, s2
.LBB126_1000:
	s_delay_alu instid0(SALU_CYCLE_1) | instskip(NEXT) | instid1(SALU_CYCLE_1)
	s_or_b32 exec_lo, exec_lo, s3
	s_mov_b32 s2, exec_lo
	v_cmpx_ne_u32_e64 v41, v4
	s_xor_b32 s2, exec_lo, s2
	s_cbranch_execz .LBB126_1006
; %bb.1001:
	s_mov_b32 s3, exec_lo
	v_cmpx_eq_u32_e32 41, v41
	s_cbranch_execz .LBB126_1005
; %bb.1002:
	v_cmp_ne_u32_e32 vcc_lo, 41, v4
	s_xor_b32 s6, s4, -1
	s_delay_alu instid0(SALU_CYCLE_1) | instskip(NEXT) | instid1(SALU_CYCLE_1)
	s_and_b32 s7, s6, vcc_lo
	s_and_saveexec_b32 s6, s7
	s_cbranch_execz .LBB126_1004
; %bb.1003:
	v_ashrrev_i32_e32 v5, 31, v4
	s_delay_alu instid0(VALU_DEP_1) | instskip(NEXT) | instid1(VALU_DEP_1)
	v_lshlrev_b64 v[5:6], 2, v[4:5]
	v_add_co_u32 v5, vcc_lo, v250, v5
	s_delay_alu instid0(VALU_DEP_2)
	v_add_co_ci_u32_e32 v6, vcc_lo, v251, v6, vcc_lo
	s_clause 0x1
	flat_load_b32 v7, v[5:6]
	flat_load_b32 v8, v[250:251] offset:164
	s_waitcnt vmcnt(1) lgkmcnt(1)
	flat_store_b32 v[250:251], v7 offset:164
	s_waitcnt vmcnt(0) lgkmcnt(1)
	flat_store_b32 v[5:6], v8
.LBB126_1004:
	s_or_b32 exec_lo, exec_lo, s6
	v_mov_b32_e32 v41, v4
	v_mov_b32_e32 v39, v4
.LBB126_1005:
	s_or_b32 exec_lo, exec_lo, s3
.LBB126_1006:
	s_and_not1_saveexec_b32 s2, s2
	s_cbranch_execz .LBB126_1008
; %bb.1007:
	s_clause 0x15
	scratch_load_b128 v[4:7], v183, off
	scratch_load_b128 v[8:11], v182, off
	;; [unrolled: 1-line block ×22, first 2 shown]
	v_mov_b32_e32 v41, 41
	s_waitcnt vmcnt(21)
	ds_store_2addr_b64 v36, v[4:5], v[6:7] offset0:84 offset1:85
	s_waitcnt vmcnt(20)
	ds_store_2addr_b64 v36, v[8:9], v[10:11] offset0:86 offset1:87
	;; [unrolled: 2-line block ×22, first 2 shown]
.LBB126_1008:
	s_or_b32 exec_lo, exec_lo, s2
	s_delay_alu instid0(SALU_CYCLE_1)
	s_mov_b32 s2, exec_lo
	s_waitcnt lgkmcnt(0)
	s_waitcnt_vscnt null, 0x0
	s_barrier
	buffer_gl0_inv
	v_cmpx_lt_i32_e32 41, v41
	s_cbranch_execz .LBB126_1011
; %bb.1009:
	scratch_load_b128 v[4:7], off, off offset:656
	s_mov_b32 s3, 0
	s_waitcnt vmcnt(0)
	v_mul_f64 v[8:9], v[2:3], v[6:7]
	v_mul_f64 v[6:7], v[0:1], v[6:7]
	s_delay_alu instid0(VALU_DEP_2) | instskip(NEXT) | instid1(VALU_DEP_2)
	v_fma_f64 v[0:1], v[0:1], v[4:5], -v[8:9]
	v_fma_f64 v[2:3], v[2:3], v[4:5], v[6:7]
	v_add3_u32 v4, v38, 0, 0x2a0
	scratch_store_b128 off, v[0:3], off offset:656
	s_set_inst_prefetch_distance 0x1
	.p2align	6
.LBB126_1010:                           ; =>This Inner Loop Header: Depth=1
	v_add_nc_u32_e64 v5, s3, 0
	v_add_nc_u32_e32 v17, s3, v4
	s_add_i32 s3, s3, 32
	s_delay_alu instid0(SALU_CYCLE_1) | instskip(NEXT) | instid1(VALU_DEP_2)
	s_cmpk_lg_i32 s3, 0x160
	v_add_nc_u32_e32 v19, 0x2a0, v5
	v_add_nc_u32_e32 v53, 0x2b0, v5
	s_clause 0x1
	scratch_load_b128 v[5:8], v19, off
	scratch_load_b128 v[9:12], v53, off
	ds_load_2addr_b64 v[13:16], v17 offset1:1
	ds_load_2addr_b64 v[42:45], v17 offset0:2 offset1:3
	s_waitcnt lgkmcnt(1)
	v_mul_f64 v[17:18], v[15:16], v[2:3]
	v_mul_f64 v[46:47], v[13:14], v[2:3]
	s_waitcnt lgkmcnt(0)
	v_mul_f64 v[49:50], v[44:45], v[2:3]
	v_mul_f64 v[51:52], v[42:43], v[2:3]
	s_delay_alu instid0(VALU_DEP_4) | instskip(NEXT) | instid1(VALU_DEP_4)
	v_fma_f64 v[13:14], v[13:14], v[0:1], -v[17:18]
	v_fma_f64 v[15:16], v[15:16], v[0:1], v[46:47]
	s_delay_alu instid0(VALU_DEP_4) | instskip(NEXT) | instid1(VALU_DEP_4)
	v_fma_f64 v[17:18], v[42:43], v[0:1], -v[49:50]
	v_fma_f64 v[42:43], v[44:45], v[0:1], v[51:52]
	s_waitcnt vmcnt(1)
	s_delay_alu instid0(VALU_DEP_4) | instskip(NEXT) | instid1(VALU_DEP_4)
	v_add_f64 v[5:6], v[5:6], -v[13:14]
	v_add_f64 v[7:8], v[7:8], -v[15:16]
	s_waitcnt vmcnt(0)
	s_delay_alu instid0(VALU_DEP_4) | instskip(NEXT) | instid1(VALU_DEP_4)
	v_add_f64 v[9:10], v[9:10], -v[17:18]
	v_add_f64 v[11:12], v[11:12], -v[42:43]
	s_clause 0x1
	scratch_store_b128 v19, v[5:8], off
	scratch_store_b128 v53, v[9:12], off
	s_cbranch_scc1 .LBB126_1010
.LBB126_1011:
	s_set_inst_prefetch_distance 0x2
	s_or_b32 exec_lo, exec_lo, s2
	s_waitcnt_vscnt null, 0x0
	s_barrier
	buffer_gl0_inv
	scratch_load_b128 v[0:3], v183, off
	v_lshl_add_u32 v4, v41, 4, v36
	s_cmp_lt_i32 s5, 44
	s_waitcnt vmcnt(0)
	ds_store_2addr_b64 v4, v[0:1], v[2:3] offset1:1
	s_waitcnt lgkmcnt(0)
	s_barrier
	buffer_gl0_inv
	ds_load_2addr_b64 v[0:3], v36 offset0:84 offset1:85
	v_mov_b32_e32 v4, 42
	s_cbranch_scc1 .LBB126_1014
; %bb.1012:
	v_add3_u32 v5, v38, 0, 0x2b0
	v_mov_b32_e32 v4, 42
	s_mov_b32 s6, 43
	s_set_inst_prefetch_distance 0x1
	.p2align	6
.LBB126_1013:                           ; =>This Inner Loop Header: Depth=1
	ds_load_2addr_b64 v[6:9], v5 offset1:1
	s_waitcnt lgkmcnt(1)
	v_cmp_gt_f64_e32 vcc_lo, 0, v[0:1]
	v_xor_b32_e32 v10, 0x80000000, v1
	v_cmp_gt_f64_e64 s2, 0, v[2:3]
	v_xor_b32_e32 v12, 0x80000000, v3
	v_add_nc_u32_e32 v5, 16, v5
	s_waitcnt lgkmcnt(0)
	v_cmp_gt_f64_e64 s3, 0, v[6:7]
	v_mov_b32_e32 v14, v6
	v_dual_mov_b32 v16, v8 :: v_dual_cndmask_b32 v11, v1, v10
	v_xor_b32_e32 v10, 0x80000000, v7
	v_cndmask_b32_e64 v13, v3, v12, s2
	v_xor_b32_e32 v12, 0x80000000, v9
	s_delay_alu instid0(VALU_DEP_3) | instskip(SKIP_2) | instid1(VALU_DEP_2)
	v_cndmask_b32_e64 v15, v7, v10, s3
	v_cmp_gt_f64_e64 s3, 0, v[8:9]
	v_cndmask_b32_e32 v10, v0, v0, vcc_lo
	v_cndmask_b32_e64 v17, v9, v12, s3
	v_cndmask_b32_e64 v12, v2, v2, s2
	s_delay_alu instid0(VALU_DEP_2) | instskip(NEXT) | instid1(VALU_DEP_2)
	v_add_f64 v[14:15], v[14:15], v[16:17]
	v_add_f64 v[10:11], v[10:11], v[12:13]
	s_delay_alu instid0(VALU_DEP_1)
	v_cmp_lt_f64_e32 vcc_lo, v[10:11], v[14:15]
	v_cndmask_b32_e32 v3, v3, v9, vcc_lo
	v_dual_cndmask_b32 v1, v1, v7 :: v_dual_cndmask_b32 v0, v0, v6
	v_cndmask_b32_e32 v2, v2, v8, vcc_lo
	v_cndmask_b32_e64 v4, v4, s6, vcc_lo
	s_add_i32 s6, s6, 1
	s_delay_alu instid0(SALU_CYCLE_1)
	s_cmp_lg_u32 s5, s6
	s_cbranch_scc1 .LBB126_1013
.LBB126_1014:
	s_set_inst_prefetch_distance 0x2
	s_waitcnt lgkmcnt(0)
	v_cmp_eq_f64_e32 vcc_lo, 0, v[0:1]
	v_cmp_eq_f64_e64 s2, 0, v[2:3]
	s_delay_alu instid0(VALU_DEP_1) | instskip(NEXT) | instid1(SALU_CYCLE_1)
	s_and_b32 s2, vcc_lo, s2
	s_and_saveexec_b32 s3, s2
	s_delay_alu instid0(SALU_CYCLE_1)
	s_xor_b32 s2, exec_lo, s3
; %bb.1015:
	v_cmp_ne_u32_e32 vcc_lo, 0, v37
	v_cndmask_b32_e32 v37, 43, v37, vcc_lo
; %bb.1016:
	s_and_not1_saveexec_b32 s3, s2
	s_cbranch_execz .LBB126_1022
; %bb.1017:
	v_cmp_gt_f64_e32 vcc_lo, 0, v[0:1]
	v_cmp_gt_f64_e64 s2, 0, v[2:3]
	v_xor_b32_e32 v5, 0x80000000, v1
	v_xor_b32_e32 v7, 0x80000000, v3
	s_delay_alu instid0(VALU_DEP_2) | instskip(NEXT) | instid1(VALU_DEP_2)
	v_dual_cndmask_b32 v6, v1, v5 :: v_dual_cndmask_b32 v5, v0, v0
	v_cndmask_b32_e64 v8, v3, v7, s2
	v_cndmask_b32_e64 v7, v2, v2, s2
	s_mov_b32 s2, exec_lo
	s_delay_alu instid0(VALU_DEP_1)
	v_cmpx_ngt_f64_e32 v[5:6], v[7:8]
	s_xor_b32 s2, exec_lo, s2
	s_cbranch_execz .LBB126_1019
; %bb.1018:
	v_div_scale_f64 v[5:6], null, v[2:3], v[2:3], v[0:1]
	v_div_scale_f64 v[11:12], vcc_lo, v[0:1], v[2:3], v[0:1]
	s_delay_alu instid0(VALU_DEP_2) | instskip(SKIP_2) | instid1(VALU_DEP_1)
	v_rcp_f64_e32 v[7:8], v[5:6]
	s_waitcnt_depctr 0xfff
	v_fma_f64 v[9:10], -v[5:6], v[7:8], 1.0
	v_fma_f64 v[7:8], v[7:8], v[9:10], v[7:8]
	s_delay_alu instid0(VALU_DEP_1) | instskip(NEXT) | instid1(VALU_DEP_1)
	v_fma_f64 v[9:10], -v[5:6], v[7:8], 1.0
	v_fma_f64 v[7:8], v[7:8], v[9:10], v[7:8]
	s_delay_alu instid0(VALU_DEP_1) | instskip(NEXT) | instid1(VALU_DEP_1)
	v_mul_f64 v[9:10], v[11:12], v[7:8]
	v_fma_f64 v[5:6], -v[5:6], v[9:10], v[11:12]
	s_delay_alu instid0(VALU_DEP_1) | instskip(NEXT) | instid1(VALU_DEP_1)
	v_div_fmas_f64 v[5:6], v[5:6], v[7:8], v[9:10]
	v_div_fixup_f64 v[5:6], v[5:6], v[2:3], v[0:1]
	s_delay_alu instid0(VALU_DEP_1) | instskip(NEXT) | instid1(VALU_DEP_1)
	v_fma_f64 v[0:1], v[0:1], v[5:6], v[2:3]
	v_div_scale_f64 v[2:3], null, v[0:1], v[0:1], 1.0
	s_delay_alu instid0(VALU_DEP_1) | instskip(SKIP_2) | instid1(VALU_DEP_1)
	v_rcp_f64_e32 v[7:8], v[2:3]
	s_waitcnt_depctr 0xfff
	v_fma_f64 v[9:10], -v[2:3], v[7:8], 1.0
	v_fma_f64 v[7:8], v[7:8], v[9:10], v[7:8]
	s_delay_alu instid0(VALU_DEP_1) | instskip(NEXT) | instid1(VALU_DEP_1)
	v_fma_f64 v[9:10], -v[2:3], v[7:8], 1.0
	v_fma_f64 v[7:8], v[7:8], v[9:10], v[7:8]
	v_div_scale_f64 v[9:10], vcc_lo, 1.0, v[0:1], 1.0
	s_delay_alu instid0(VALU_DEP_1) | instskip(NEXT) | instid1(VALU_DEP_1)
	v_mul_f64 v[11:12], v[9:10], v[7:8]
	v_fma_f64 v[2:3], -v[2:3], v[11:12], v[9:10]
	s_delay_alu instid0(VALU_DEP_1) | instskip(NEXT) | instid1(VALU_DEP_1)
	v_div_fmas_f64 v[2:3], v[2:3], v[7:8], v[11:12]
	v_div_fixup_f64 v[2:3], v[2:3], v[0:1], 1.0
	s_delay_alu instid0(VALU_DEP_1)
	v_mul_f64 v[0:1], v[5:6], v[2:3]
	v_xor_b32_e32 v3, 0x80000000, v3
.LBB126_1019:
	s_and_not1_saveexec_b32 s2, s2
	s_cbranch_execz .LBB126_1021
; %bb.1020:
	s_delay_alu instid0(VALU_DEP_1) | instskip(SKIP_1) | instid1(VALU_DEP_2)
	v_div_scale_f64 v[5:6], null, v[0:1], v[0:1], v[2:3]
	v_div_scale_f64 v[11:12], vcc_lo, v[2:3], v[0:1], v[2:3]
	v_rcp_f64_e32 v[7:8], v[5:6]
	s_waitcnt_depctr 0xfff
	v_fma_f64 v[9:10], -v[5:6], v[7:8], 1.0
	s_delay_alu instid0(VALU_DEP_1) | instskip(NEXT) | instid1(VALU_DEP_1)
	v_fma_f64 v[7:8], v[7:8], v[9:10], v[7:8]
	v_fma_f64 v[9:10], -v[5:6], v[7:8], 1.0
	s_delay_alu instid0(VALU_DEP_1) | instskip(NEXT) | instid1(VALU_DEP_1)
	v_fma_f64 v[7:8], v[7:8], v[9:10], v[7:8]
	v_mul_f64 v[9:10], v[11:12], v[7:8]
	s_delay_alu instid0(VALU_DEP_1) | instskip(NEXT) | instid1(VALU_DEP_1)
	v_fma_f64 v[5:6], -v[5:6], v[9:10], v[11:12]
	v_div_fmas_f64 v[5:6], v[5:6], v[7:8], v[9:10]
	s_delay_alu instid0(VALU_DEP_1) | instskip(NEXT) | instid1(VALU_DEP_1)
	v_div_fixup_f64 v[5:6], v[5:6], v[0:1], v[2:3]
	v_fma_f64 v[0:1], v[2:3], v[5:6], v[0:1]
	s_delay_alu instid0(VALU_DEP_1) | instskip(NEXT) | instid1(VALU_DEP_1)
	v_div_scale_f64 v[2:3], null, v[0:1], v[0:1], 1.0
	v_rcp_f64_e32 v[7:8], v[2:3]
	s_waitcnt_depctr 0xfff
	v_fma_f64 v[9:10], -v[2:3], v[7:8], 1.0
	s_delay_alu instid0(VALU_DEP_1) | instskip(NEXT) | instid1(VALU_DEP_1)
	v_fma_f64 v[7:8], v[7:8], v[9:10], v[7:8]
	v_fma_f64 v[9:10], -v[2:3], v[7:8], 1.0
	s_delay_alu instid0(VALU_DEP_1) | instskip(SKIP_1) | instid1(VALU_DEP_1)
	v_fma_f64 v[7:8], v[7:8], v[9:10], v[7:8]
	v_div_scale_f64 v[9:10], vcc_lo, 1.0, v[0:1], 1.0
	v_mul_f64 v[11:12], v[9:10], v[7:8]
	s_delay_alu instid0(VALU_DEP_1) | instskip(NEXT) | instid1(VALU_DEP_1)
	v_fma_f64 v[2:3], -v[2:3], v[11:12], v[9:10]
	v_div_fmas_f64 v[2:3], v[2:3], v[7:8], v[11:12]
	s_delay_alu instid0(VALU_DEP_1) | instskip(NEXT) | instid1(VALU_DEP_1)
	v_div_fixup_f64 v[0:1], v[2:3], v[0:1], 1.0
	v_mul_f64 v[2:3], v[5:6], -v[0:1]
.LBB126_1021:
	s_or_b32 exec_lo, exec_lo, s2
.LBB126_1022:
	s_delay_alu instid0(SALU_CYCLE_1) | instskip(NEXT) | instid1(SALU_CYCLE_1)
	s_or_b32 exec_lo, exec_lo, s3
	s_mov_b32 s2, exec_lo
	v_cmpx_ne_u32_e64 v41, v4
	s_xor_b32 s2, exec_lo, s2
	s_cbranch_execz .LBB126_1028
; %bb.1023:
	s_mov_b32 s3, exec_lo
	v_cmpx_eq_u32_e32 42, v41
	s_cbranch_execz .LBB126_1027
; %bb.1024:
	v_cmp_ne_u32_e32 vcc_lo, 42, v4
	s_xor_b32 s6, s4, -1
	s_delay_alu instid0(SALU_CYCLE_1) | instskip(NEXT) | instid1(SALU_CYCLE_1)
	s_and_b32 s7, s6, vcc_lo
	s_and_saveexec_b32 s6, s7
	s_cbranch_execz .LBB126_1026
; %bb.1025:
	v_ashrrev_i32_e32 v5, 31, v4
	s_delay_alu instid0(VALU_DEP_1) | instskip(NEXT) | instid1(VALU_DEP_1)
	v_lshlrev_b64 v[5:6], 2, v[4:5]
	v_add_co_u32 v5, vcc_lo, v250, v5
	s_delay_alu instid0(VALU_DEP_2)
	v_add_co_ci_u32_e32 v6, vcc_lo, v251, v6, vcc_lo
	s_clause 0x1
	flat_load_b32 v7, v[5:6]
	flat_load_b32 v8, v[250:251] offset:168
	s_waitcnt vmcnt(1) lgkmcnt(1)
	flat_store_b32 v[250:251], v7 offset:168
	s_waitcnt vmcnt(0) lgkmcnt(1)
	flat_store_b32 v[5:6], v8
.LBB126_1026:
	s_or_b32 exec_lo, exec_lo, s6
	v_mov_b32_e32 v41, v4
	v_mov_b32_e32 v39, v4
.LBB126_1027:
	s_or_b32 exec_lo, exec_lo, s3
.LBB126_1028:
	s_and_not1_saveexec_b32 s2, s2
	s_cbranch_execz .LBB126_1030
; %bb.1029:
	s_clause 0x14
	scratch_load_b128 v[4:7], v182, off
	scratch_load_b128 v[8:11], v181, off
	;; [unrolled: 1-line block ×21, first 2 shown]
	v_mov_b32_e32 v41, 42
	s_waitcnt vmcnt(20)
	ds_store_2addr_b64 v36, v[4:5], v[6:7] offset0:86 offset1:87
	s_waitcnt vmcnt(19)
	ds_store_2addr_b64 v36, v[8:9], v[10:11] offset0:88 offset1:89
	;; [unrolled: 2-line block ×21, first 2 shown]
.LBB126_1030:
	s_or_b32 exec_lo, exec_lo, s2
	s_delay_alu instid0(SALU_CYCLE_1)
	s_mov_b32 s2, exec_lo
	s_waitcnt lgkmcnt(0)
	s_waitcnt_vscnt null, 0x0
	s_barrier
	buffer_gl0_inv
	v_cmpx_lt_i32_e32 42, v41
	s_cbranch_execz .LBB126_1033
; %bb.1031:
	scratch_load_b128 v[4:7], off, off offset:672
	s_mov_b32 s3, 0
	s_waitcnt vmcnt(0)
	v_mul_f64 v[8:9], v[2:3], v[6:7]
	v_mul_f64 v[6:7], v[0:1], v[6:7]
	s_delay_alu instid0(VALU_DEP_2) | instskip(NEXT) | instid1(VALU_DEP_2)
	v_fma_f64 v[0:1], v[0:1], v[4:5], -v[8:9]
	v_fma_f64 v[2:3], v[2:3], v[4:5], v[6:7]
	v_add3_u32 v4, v38, 0, 0x2b0
	v_mov_b32_e32 v5, 0
	scratch_store_b128 off, v[0:3], off offset:672
.LBB126_1032:                           ; =>This Inner Loop Header: Depth=1
	v_add_nc_u32_e32 v59, s3, v4
	v_readfirstlane_b32 s6, v5
	ds_load_2addr_b64 v[6:9], v59 offset1:1
	ds_load_2addr_b64 v[10:13], v59 offset0:2 offset1:3
	ds_load_2addr_b64 v[14:17], v59 offset0:4 offset1:5
	;; [unrolled: 1-line block ×5, first 2 shown]
	s_add_i32 s6, s6, s3
	s_addk_i32 s3, 0x70
	s_add_i32 s7, s6, 0x2b0
	s_add_i32 s9, s6, 0x2c0
	;; [unrolled: 1-line block ×6, first 2 shown]
	s_addk_i32 s6, 0x310
	s_cmpk_lg_i32 s3, 0x150
	s_waitcnt lgkmcnt(5)
	v_mul_f64 v[18:19], v[8:9], v[2:3]
	v_mul_f64 v[46:47], v[6:7], v[2:3]
	s_waitcnt lgkmcnt(4)
	v_mul_f64 v[57:58], v[12:13], v[2:3]
	v_mul_f64 v[61:62], v[10:11], v[2:3]
	;; [unrolled: 3-line block ×6, first 2 shown]
	v_fma_f64 v[18:19], v[6:7], v[0:1], -v[18:19]
	v_fma_f64 v[46:47], v[8:9], v[0:1], v[46:47]
	v_fma_f64 v[57:58], v[10:11], v[0:1], -v[57:58]
	v_fma_f64 v[61:62], v[12:13], v[0:1], v[61:62]
	v_fma_f64 v[81:82], v[14:15], v[0:1], -v[65:66]
	v_fma_f64 v[83:84], v[16:17], v[0:1], v[67:68]
	v_fma_f64 v[85:86], v[42:43], v[0:1], -v[69:70]
	v_fma_f64 v[87:88], v[44:45], v[0:1], v[71:72]
	v_fma_f64 v[73:74], v[49:50], v[0:1], -v[73:74]
	v_fma_f64 v[77:78], v[51:52], v[0:1], v[77:78]
	v_fma_f64 v[79:80], v[53:54], v[0:1], -v[79:80]
	v_fma_f64 v[89:90], v[55:56], v[0:1], v[2:3]
	scratch_load_b128 v[0:3], off, off offset:672
	s_clause 0x6
	scratch_load_b128 v[6:9], off, s7
	scratch_load_b128 v[10:13], off, s9
	;; [unrolled: 1-line block ×7, first 2 shown]
	ds_load_2addr_b64 v[69:72], v59 offset0:12 offset1:13
	s_waitcnt vmcnt(6)
	v_add_f64 v[6:7], v[6:7], -v[18:19]
	v_add_f64 v[8:9], v[8:9], -v[46:47]
	s_waitcnt vmcnt(5)
	v_add_f64 v[10:11], v[10:11], -v[57:58]
	v_add_f64 v[12:13], v[12:13], -v[61:62]
	s_waitcnt vmcnt(4)
	v_add_f64 v[14:15], v[14:15], -v[81:82]
	s_waitcnt lgkmcnt(0)
	v_mul_f64 v[91:92], v[71:72], v[2:3]
	v_mul_f64 v[93:94], v[69:70], v[2:3]
	v_add_f64 v[16:17], v[16:17], -v[83:84]
	s_waitcnt vmcnt(3)
	v_add_f64 v[42:43], v[42:43], -v[85:86]
	v_add_f64 v[44:45], v[44:45], -v[87:88]
	s_waitcnt vmcnt(2)
	v_add_f64 v[49:50], v[49:50], -v[73:74]
	;; [unrolled: 3-line block ×3, first 2 shown]
	v_add_f64 v[55:56], v[55:56], -v[89:90]
	v_fma_f64 v[69:70], v[69:70], v[0:1], -v[91:92]
	v_fma_f64 v[71:72], v[71:72], v[0:1], v[93:94]
	s_waitcnt vmcnt(0)
	s_delay_alu instid0(VALU_DEP_2) | instskip(NEXT) | instid1(VALU_DEP_2)
	v_add_f64 v[65:66], v[65:66], -v[69:70]
	v_add_f64 v[67:68], v[67:68], -v[71:72]
	s_clause 0x6
	scratch_store_b128 off, v[6:9], s7
	scratch_store_b128 off, v[10:13], s9
	;; [unrolled: 1-line block ×7, first 2 shown]
	s_cbranch_scc1 .LBB126_1032
.LBB126_1033:
	s_or_b32 exec_lo, exec_lo, s2
	s_waitcnt_vscnt null, 0x0
	s_barrier
	buffer_gl0_inv
	scratch_load_b128 v[0:3], v182, off
	v_lshl_add_u32 v4, v41, 4, v36
	s_cmp_lt_i32 s5, 45
	s_waitcnt vmcnt(0)
	ds_store_2addr_b64 v4, v[0:1], v[2:3] offset1:1
	s_waitcnt lgkmcnt(0)
	s_barrier
	buffer_gl0_inv
	ds_load_2addr_b64 v[0:3], v36 offset0:86 offset1:87
	v_mov_b32_e32 v4, 43
	s_cbranch_scc1 .LBB126_1036
; %bb.1034:
	v_add3_u32 v5, v38, 0, 0x2c0
	v_mov_b32_e32 v4, 43
	s_mov_b32 s6, 44
	s_set_inst_prefetch_distance 0x1
	.p2align	6
.LBB126_1035:                           ; =>This Inner Loop Header: Depth=1
	ds_load_2addr_b64 v[6:9], v5 offset1:1
	s_waitcnt lgkmcnt(1)
	v_cmp_gt_f64_e32 vcc_lo, 0, v[0:1]
	v_xor_b32_e32 v10, 0x80000000, v1
	v_cmp_gt_f64_e64 s2, 0, v[2:3]
	v_xor_b32_e32 v12, 0x80000000, v3
	v_add_nc_u32_e32 v5, 16, v5
	s_waitcnt lgkmcnt(0)
	v_cmp_gt_f64_e64 s3, 0, v[6:7]
	v_mov_b32_e32 v14, v6
	v_dual_mov_b32 v16, v8 :: v_dual_cndmask_b32 v11, v1, v10
	v_xor_b32_e32 v10, 0x80000000, v7
	v_cndmask_b32_e64 v13, v3, v12, s2
	v_xor_b32_e32 v12, 0x80000000, v9
	s_delay_alu instid0(VALU_DEP_3) | instskip(SKIP_2) | instid1(VALU_DEP_2)
	v_cndmask_b32_e64 v15, v7, v10, s3
	v_cmp_gt_f64_e64 s3, 0, v[8:9]
	v_cndmask_b32_e32 v10, v0, v0, vcc_lo
	v_cndmask_b32_e64 v17, v9, v12, s3
	v_cndmask_b32_e64 v12, v2, v2, s2
	s_delay_alu instid0(VALU_DEP_2) | instskip(NEXT) | instid1(VALU_DEP_2)
	v_add_f64 v[14:15], v[14:15], v[16:17]
	v_add_f64 v[10:11], v[10:11], v[12:13]
	s_delay_alu instid0(VALU_DEP_1)
	v_cmp_lt_f64_e32 vcc_lo, v[10:11], v[14:15]
	v_cndmask_b32_e32 v3, v3, v9, vcc_lo
	v_dual_cndmask_b32 v1, v1, v7 :: v_dual_cndmask_b32 v0, v0, v6
	v_cndmask_b32_e32 v2, v2, v8, vcc_lo
	v_cndmask_b32_e64 v4, v4, s6, vcc_lo
	s_add_i32 s6, s6, 1
	s_delay_alu instid0(SALU_CYCLE_1)
	s_cmp_lg_u32 s5, s6
	s_cbranch_scc1 .LBB126_1035
.LBB126_1036:
	s_set_inst_prefetch_distance 0x2
	s_waitcnt lgkmcnt(0)
	v_cmp_eq_f64_e32 vcc_lo, 0, v[0:1]
	v_cmp_eq_f64_e64 s2, 0, v[2:3]
	s_delay_alu instid0(VALU_DEP_1) | instskip(NEXT) | instid1(SALU_CYCLE_1)
	s_and_b32 s2, vcc_lo, s2
	s_and_saveexec_b32 s3, s2
	s_delay_alu instid0(SALU_CYCLE_1)
	s_xor_b32 s2, exec_lo, s3
; %bb.1037:
	v_cmp_ne_u32_e32 vcc_lo, 0, v37
	v_cndmask_b32_e32 v37, 44, v37, vcc_lo
; %bb.1038:
	s_and_not1_saveexec_b32 s3, s2
	s_cbranch_execz .LBB126_1044
; %bb.1039:
	v_cmp_gt_f64_e32 vcc_lo, 0, v[0:1]
	v_cmp_gt_f64_e64 s2, 0, v[2:3]
	v_xor_b32_e32 v5, 0x80000000, v1
	v_xor_b32_e32 v7, 0x80000000, v3
	s_delay_alu instid0(VALU_DEP_2) | instskip(NEXT) | instid1(VALU_DEP_2)
	v_dual_cndmask_b32 v6, v1, v5 :: v_dual_cndmask_b32 v5, v0, v0
	v_cndmask_b32_e64 v8, v3, v7, s2
	v_cndmask_b32_e64 v7, v2, v2, s2
	s_mov_b32 s2, exec_lo
	s_delay_alu instid0(VALU_DEP_1)
	v_cmpx_ngt_f64_e32 v[5:6], v[7:8]
	s_xor_b32 s2, exec_lo, s2
	s_cbranch_execz .LBB126_1041
; %bb.1040:
	v_div_scale_f64 v[5:6], null, v[2:3], v[2:3], v[0:1]
	v_div_scale_f64 v[11:12], vcc_lo, v[0:1], v[2:3], v[0:1]
	s_delay_alu instid0(VALU_DEP_2) | instskip(SKIP_2) | instid1(VALU_DEP_1)
	v_rcp_f64_e32 v[7:8], v[5:6]
	s_waitcnt_depctr 0xfff
	v_fma_f64 v[9:10], -v[5:6], v[7:8], 1.0
	v_fma_f64 v[7:8], v[7:8], v[9:10], v[7:8]
	s_delay_alu instid0(VALU_DEP_1) | instskip(NEXT) | instid1(VALU_DEP_1)
	v_fma_f64 v[9:10], -v[5:6], v[7:8], 1.0
	v_fma_f64 v[7:8], v[7:8], v[9:10], v[7:8]
	s_delay_alu instid0(VALU_DEP_1) | instskip(NEXT) | instid1(VALU_DEP_1)
	v_mul_f64 v[9:10], v[11:12], v[7:8]
	v_fma_f64 v[5:6], -v[5:6], v[9:10], v[11:12]
	s_delay_alu instid0(VALU_DEP_1) | instskip(NEXT) | instid1(VALU_DEP_1)
	v_div_fmas_f64 v[5:6], v[5:6], v[7:8], v[9:10]
	v_div_fixup_f64 v[5:6], v[5:6], v[2:3], v[0:1]
	s_delay_alu instid0(VALU_DEP_1) | instskip(NEXT) | instid1(VALU_DEP_1)
	v_fma_f64 v[0:1], v[0:1], v[5:6], v[2:3]
	v_div_scale_f64 v[2:3], null, v[0:1], v[0:1], 1.0
	s_delay_alu instid0(VALU_DEP_1) | instskip(SKIP_2) | instid1(VALU_DEP_1)
	v_rcp_f64_e32 v[7:8], v[2:3]
	s_waitcnt_depctr 0xfff
	v_fma_f64 v[9:10], -v[2:3], v[7:8], 1.0
	v_fma_f64 v[7:8], v[7:8], v[9:10], v[7:8]
	s_delay_alu instid0(VALU_DEP_1) | instskip(NEXT) | instid1(VALU_DEP_1)
	v_fma_f64 v[9:10], -v[2:3], v[7:8], 1.0
	v_fma_f64 v[7:8], v[7:8], v[9:10], v[7:8]
	v_div_scale_f64 v[9:10], vcc_lo, 1.0, v[0:1], 1.0
	s_delay_alu instid0(VALU_DEP_1) | instskip(NEXT) | instid1(VALU_DEP_1)
	v_mul_f64 v[11:12], v[9:10], v[7:8]
	v_fma_f64 v[2:3], -v[2:3], v[11:12], v[9:10]
	s_delay_alu instid0(VALU_DEP_1) | instskip(NEXT) | instid1(VALU_DEP_1)
	v_div_fmas_f64 v[2:3], v[2:3], v[7:8], v[11:12]
	v_div_fixup_f64 v[2:3], v[2:3], v[0:1], 1.0
	s_delay_alu instid0(VALU_DEP_1)
	v_mul_f64 v[0:1], v[5:6], v[2:3]
	v_xor_b32_e32 v3, 0x80000000, v3
.LBB126_1041:
	s_and_not1_saveexec_b32 s2, s2
	s_cbranch_execz .LBB126_1043
; %bb.1042:
	s_delay_alu instid0(VALU_DEP_1) | instskip(SKIP_1) | instid1(VALU_DEP_2)
	v_div_scale_f64 v[5:6], null, v[0:1], v[0:1], v[2:3]
	v_div_scale_f64 v[11:12], vcc_lo, v[2:3], v[0:1], v[2:3]
	v_rcp_f64_e32 v[7:8], v[5:6]
	s_waitcnt_depctr 0xfff
	v_fma_f64 v[9:10], -v[5:6], v[7:8], 1.0
	s_delay_alu instid0(VALU_DEP_1) | instskip(NEXT) | instid1(VALU_DEP_1)
	v_fma_f64 v[7:8], v[7:8], v[9:10], v[7:8]
	v_fma_f64 v[9:10], -v[5:6], v[7:8], 1.0
	s_delay_alu instid0(VALU_DEP_1) | instskip(NEXT) | instid1(VALU_DEP_1)
	v_fma_f64 v[7:8], v[7:8], v[9:10], v[7:8]
	v_mul_f64 v[9:10], v[11:12], v[7:8]
	s_delay_alu instid0(VALU_DEP_1) | instskip(NEXT) | instid1(VALU_DEP_1)
	v_fma_f64 v[5:6], -v[5:6], v[9:10], v[11:12]
	v_div_fmas_f64 v[5:6], v[5:6], v[7:8], v[9:10]
	s_delay_alu instid0(VALU_DEP_1) | instskip(NEXT) | instid1(VALU_DEP_1)
	v_div_fixup_f64 v[5:6], v[5:6], v[0:1], v[2:3]
	v_fma_f64 v[0:1], v[2:3], v[5:6], v[0:1]
	s_delay_alu instid0(VALU_DEP_1) | instskip(NEXT) | instid1(VALU_DEP_1)
	v_div_scale_f64 v[2:3], null, v[0:1], v[0:1], 1.0
	v_rcp_f64_e32 v[7:8], v[2:3]
	s_waitcnt_depctr 0xfff
	v_fma_f64 v[9:10], -v[2:3], v[7:8], 1.0
	s_delay_alu instid0(VALU_DEP_1) | instskip(NEXT) | instid1(VALU_DEP_1)
	v_fma_f64 v[7:8], v[7:8], v[9:10], v[7:8]
	v_fma_f64 v[9:10], -v[2:3], v[7:8], 1.0
	s_delay_alu instid0(VALU_DEP_1) | instskip(SKIP_1) | instid1(VALU_DEP_1)
	v_fma_f64 v[7:8], v[7:8], v[9:10], v[7:8]
	v_div_scale_f64 v[9:10], vcc_lo, 1.0, v[0:1], 1.0
	v_mul_f64 v[11:12], v[9:10], v[7:8]
	s_delay_alu instid0(VALU_DEP_1) | instskip(NEXT) | instid1(VALU_DEP_1)
	v_fma_f64 v[2:3], -v[2:3], v[11:12], v[9:10]
	v_div_fmas_f64 v[2:3], v[2:3], v[7:8], v[11:12]
	s_delay_alu instid0(VALU_DEP_1) | instskip(NEXT) | instid1(VALU_DEP_1)
	v_div_fixup_f64 v[0:1], v[2:3], v[0:1], 1.0
	v_mul_f64 v[2:3], v[5:6], -v[0:1]
.LBB126_1043:
	s_or_b32 exec_lo, exec_lo, s2
.LBB126_1044:
	s_delay_alu instid0(SALU_CYCLE_1) | instskip(NEXT) | instid1(SALU_CYCLE_1)
	s_or_b32 exec_lo, exec_lo, s3
	s_mov_b32 s2, exec_lo
	v_cmpx_ne_u32_e64 v41, v4
	s_xor_b32 s2, exec_lo, s2
	s_cbranch_execz .LBB126_1050
; %bb.1045:
	s_mov_b32 s3, exec_lo
	v_cmpx_eq_u32_e32 43, v41
	s_cbranch_execz .LBB126_1049
; %bb.1046:
	v_cmp_ne_u32_e32 vcc_lo, 43, v4
	s_xor_b32 s6, s4, -1
	s_delay_alu instid0(SALU_CYCLE_1) | instskip(NEXT) | instid1(SALU_CYCLE_1)
	s_and_b32 s7, s6, vcc_lo
	s_and_saveexec_b32 s6, s7
	s_cbranch_execz .LBB126_1048
; %bb.1047:
	v_ashrrev_i32_e32 v5, 31, v4
	s_delay_alu instid0(VALU_DEP_1) | instskip(NEXT) | instid1(VALU_DEP_1)
	v_lshlrev_b64 v[5:6], 2, v[4:5]
	v_add_co_u32 v5, vcc_lo, v250, v5
	s_delay_alu instid0(VALU_DEP_2)
	v_add_co_ci_u32_e32 v6, vcc_lo, v251, v6, vcc_lo
	s_clause 0x1
	flat_load_b32 v7, v[5:6]
	flat_load_b32 v8, v[250:251] offset:172
	s_waitcnt vmcnt(1) lgkmcnt(1)
	flat_store_b32 v[250:251], v7 offset:172
	s_waitcnt vmcnt(0) lgkmcnt(1)
	flat_store_b32 v[5:6], v8
.LBB126_1048:
	s_or_b32 exec_lo, exec_lo, s6
	v_mov_b32_e32 v41, v4
	v_mov_b32_e32 v39, v4
.LBB126_1049:
	s_or_b32 exec_lo, exec_lo, s3
.LBB126_1050:
	s_and_not1_saveexec_b32 s2, s2
	s_cbranch_execz .LBB126_1052
; %bb.1051:
	s_clause 0x13
	scratch_load_b128 v[4:7], v181, off
	scratch_load_b128 v[8:11], v180, off
	;; [unrolled: 1-line block ×20, first 2 shown]
	v_mov_b32_e32 v41, 43
	s_waitcnt vmcnt(19)
	ds_store_2addr_b64 v36, v[4:5], v[6:7] offset0:88 offset1:89
	s_waitcnt vmcnt(18)
	ds_store_2addr_b64 v36, v[8:9], v[10:11] offset0:90 offset1:91
	s_waitcnt vmcnt(17)
	ds_store_2addr_b64 v36, v[12:13], v[14:15] offset0:92 offset1:93
	s_waitcnt vmcnt(16)
	ds_store_2addr_b64 v36, v[42:43], v[44:45] offset0:94 offset1:95
	s_waitcnt vmcnt(15)
	ds_store_2addr_b64 v36, v[49:50], v[51:52] offset0:96 offset1:97
	s_waitcnt vmcnt(14)
	ds_store_2addr_b64 v36, v[53:54], v[55:56] offset0:98 offset1:99
	s_waitcnt vmcnt(13)
	ds_store_2addr_b64 v36, v[65:66], v[67:68] offset0:100 offset1:101
	s_waitcnt vmcnt(12)
	ds_store_2addr_b64 v36, v[69:70], v[71:72] offset0:102 offset1:103
	s_waitcnt vmcnt(11)
	ds_store_2addr_b64 v36, v[77:78], v[79:80] offset0:104 offset1:105
	s_waitcnt vmcnt(10)
	ds_store_2addr_b64 v36, v[81:82], v[83:84] offset0:106 offset1:107
	s_waitcnt vmcnt(9)
	ds_store_2addr_b64 v36, v[85:86], v[87:88] offset0:108 offset1:109
	s_waitcnt vmcnt(8)
	ds_store_2addr_b64 v36, v[89:90], v[91:92] offset0:110 offset1:111
	s_waitcnt vmcnt(7)
	ds_store_2addr_b64 v36, v[93:94], v[95:96] offset0:112 offset1:113
	s_waitcnt vmcnt(6)
	ds_store_2addr_b64 v36, v[97:98], v[99:100] offset0:114 offset1:115
	s_waitcnt vmcnt(5)
	ds_store_2addr_b64 v36, v[101:102], v[103:104] offset0:116 offset1:117
	s_waitcnt vmcnt(4)
	ds_store_2addr_b64 v36, v[105:106], v[107:108] offset0:118 offset1:119
	s_waitcnt vmcnt(3)
	ds_store_2addr_b64 v36, v[129:130], v[131:132] offset0:120 offset1:121
	s_waitcnt vmcnt(2)
	ds_store_2addr_b64 v36, v[136:137], v[138:139] offset0:122 offset1:123
	s_waitcnt vmcnt(1)
	ds_store_2addr_b64 v36, v[146:147], v[148:149] offset0:124 offset1:125
	s_waitcnt vmcnt(0)
	ds_store_2addr_b64 v36, v[186:187], v[188:189] offset0:126 offset1:127
.LBB126_1052:
	s_or_b32 exec_lo, exec_lo, s2
	s_delay_alu instid0(SALU_CYCLE_1)
	s_mov_b32 s2, exec_lo
	s_waitcnt lgkmcnt(0)
	s_waitcnt_vscnt null, 0x0
	s_barrier
	buffer_gl0_inv
	v_cmpx_lt_i32_e32 43, v41
	s_cbranch_execz .LBB126_1055
; %bb.1053:
	scratch_load_b128 v[4:7], off, off offset:688
	s_mov_b32 s3, 0
	s_waitcnt vmcnt(0)
	v_mul_f64 v[8:9], v[2:3], v[6:7]
	v_mul_f64 v[6:7], v[0:1], v[6:7]
	s_delay_alu instid0(VALU_DEP_2) | instskip(NEXT) | instid1(VALU_DEP_2)
	v_fma_f64 v[0:1], v[0:1], v[4:5], -v[8:9]
	v_fma_f64 v[2:3], v[2:3], v[4:5], v[6:7]
	v_add3_u32 v4, v38, 0, 0x2c0
	v_mov_b32_e32 v5, 0
	scratch_store_b128 off, v[0:3], off offset:688
.LBB126_1054:                           ; =>This Inner Loop Header: Depth=1
	v_readfirstlane_b32 s6, v5
	v_add_nc_u32_e32 v18, s3, v4
	s_delay_alu instid0(VALU_DEP_2)
	s_add_i32 s6, s6, s3
	s_addk_i32 s3, 0x50
	s_add_i32 s7, s6, 0x2c0
	s_add_i32 s9, s6, 0x2d0
	;; [unrolled: 1-line block ×4, first 2 shown]
	s_addk_i32 s6, 0x300
	s_clause 0x4
	scratch_load_b128 v[6:9], off, s7
	scratch_load_b128 v[10:13], off, s9
	;; [unrolled: 1-line block ×5, first 2 shown]
	ds_load_2addr_b64 v[53:56], v18 offset1:1
	ds_load_2addr_b64 v[65:68], v18 offset0:2 offset1:3
	ds_load_2addr_b64 v[69:72], v18 offset0:4 offset1:5
	;; [unrolled: 1-line block ×4, first 2 shown]
	s_cmpk_lg_i32 s3, 0x140
	s_waitcnt lgkmcnt(4)
	v_mul_f64 v[18:19], v[55:56], v[2:3]
	v_mul_f64 v[46:47], v[53:54], v[2:3]
	s_waitcnt lgkmcnt(3)
	v_mul_f64 v[57:58], v[67:68], v[2:3]
	v_mul_f64 v[61:62], v[65:66], v[2:3]
	;; [unrolled: 3-line block ×5, first 2 shown]
	v_fma_f64 v[18:19], v[53:54], v[0:1], -v[18:19]
	v_fma_f64 v[46:47], v[55:56], v[0:1], v[46:47]
	v_fma_f64 v[53:54], v[65:66], v[0:1], -v[57:58]
	v_fma_f64 v[55:56], v[67:68], v[0:1], v[61:62]
	;; [unrolled: 2-line block ×5, first 2 shown]
	s_waitcnt vmcnt(4)
	v_add_f64 v[6:7], v[6:7], -v[18:19]
	v_add_f64 v[8:9], v[8:9], -v[46:47]
	s_waitcnt vmcnt(3)
	v_add_f64 v[10:11], v[10:11], -v[53:54]
	v_add_f64 v[12:13], v[12:13], -v[55:56]
	;; [unrolled: 3-line block ×5, first 2 shown]
	s_clause 0x4
	scratch_store_b128 off, v[6:9], s7
	scratch_store_b128 off, v[10:13], s9
	scratch_store_b128 off, v[14:17], s12
	scratch_store_b128 off, v[42:45], s14
	scratch_store_b128 off, v[49:52], s6
	s_cbranch_scc1 .LBB126_1054
.LBB126_1055:
	s_or_b32 exec_lo, exec_lo, s2
	s_waitcnt_vscnt null, 0x0
	s_barrier
	buffer_gl0_inv
	scratch_load_b128 v[0:3], v181, off
	v_lshl_add_u32 v4, v41, 4, v36
	s_cmp_lt_i32 s5, 46
	s_waitcnt vmcnt(0)
	ds_store_2addr_b64 v4, v[0:1], v[2:3] offset1:1
	s_waitcnt lgkmcnt(0)
	s_barrier
	buffer_gl0_inv
	ds_load_2addr_b64 v[0:3], v36 offset0:88 offset1:89
	v_mov_b32_e32 v4, 44
	s_cbranch_scc1 .LBB126_1058
; %bb.1056:
	v_add3_u32 v5, v38, 0, 0x2d0
	v_mov_b32_e32 v4, 44
	s_mov_b32 s6, 45
	s_set_inst_prefetch_distance 0x1
	.p2align	6
.LBB126_1057:                           ; =>This Inner Loop Header: Depth=1
	ds_load_2addr_b64 v[6:9], v5 offset1:1
	s_waitcnt lgkmcnt(1)
	v_cmp_gt_f64_e32 vcc_lo, 0, v[0:1]
	v_xor_b32_e32 v10, 0x80000000, v1
	v_cmp_gt_f64_e64 s2, 0, v[2:3]
	v_xor_b32_e32 v12, 0x80000000, v3
	v_add_nc_u32_e32 v5, 16, v5
	s_waitcnt lgkmcnt(0)
	v_cmp_gt_f64_e64 s3, 0, v[6:7]
	v_mov_b32_e32 v14, v6
	v_dual_mov_b32 v16, v8 :: v_dual_cndmask_b32 v11, v1, v10
	v_xor_b32_e32 v10, 0x80000000, v7
	v_cndmask_b32_e64 v13, v3, v12, s2
	v_xor_b32_e32 v12, 0x80000000, v9
	s_delay_alu instid0(VALU_DEP_3) | instskip(SKIP_2) | instid1(VALU_DEP_2)
	v_cndmask_b32_e64 v15, v7, v10, s3
	v_cmp_gt_f64_e64 s3, 0, v[8:9]
	v_cndmask_b32_e32 v10, v0, v0, vcc_lo
	v_cndmask_b32_e64 v17, v9, v12, s3
	v_cndmask_b32_e64 v12, v2, v2, s2
	s_delay_alu instid0(VALU_DEP_2) | instskip(NEXT) | instid1(VALU_DEP_2)
	v_add_f64 v[14:15], v[14:15], v[16:17]
	v_add_f64 v[10:11], v[10:11], v[12:13]
	s_delay_alu instid0(VALU_DEP_1)
	v_cmp_lt_f64_e32 vcc_lo, v[10:11], v[14:15]
	v_cndmask_b32_e32 v3, v3, v9, vcc_lo
	v_dual_cndmask_b32 v1, v1, v7 :: v_dual_cndmask_b32 v0, v0, v6
	v_cndmask_b32_e32 v2, v2, v8, vcc_lo
	v_cndmask_b32_e64 v4, v4, s6, vcc_lo
	s_add_i32 s6, s6, 1
	s_delay_alu instid0(SALU_CYCLE_1)
	s_cmp_lg_u32 s5, s6
	s_cbranch_scc1 .LBB126_1057
.LBB126_1058:
	s_set_inst_prefetch_distance 0x2
	s_waitcnt lgkmcnt(0)
	v_cmp_eq_f64_e32 vcc_lo, 0, v[0:1]
	v_cmp_eq_f64_e64 s2, 0, v[2:3]
	s_delay_alu instid0(VALU_DEP_1) | instskip(NEXT) | instid1(SALU_CYCLE_1)
	s_and_b32 s2, vcc_lo, s2
	s_and_saveexec_b32 s3, s2
	s_delay_alu instid0(SALU_CYCLE_1)
	s_xor_b32 s2, exec_lo, s3
; %bb.1059:
	v_cmp_ne_u32_e32 vcc_lo, 0, v37
	v_cndmask_b32_e32 v37, 45, v37, vcc_lo
; %bb.1060:
	s_and_not1_saveexec_b32 s3, s2
	s_cbranch_execz .LBB126_1066
; %bb.1061:
	v_cmp_gt_f64_e32 vcc_lo, 0, v[0:1]
	v_cmp_gt_f64_e64 s2, 0, v[2:3]
	v_xor_b32_e32 v5, 0x80000000, v1
	v_xor_b32_e32 v7, 0x80000000, v3
	s_delay_alu instid0(VALU_DEP_2) | instskip(NEXT) | instid1(VALU_DEP_2)
	v_dual_cndmask_b32 v6, v1, v5 :: v_dual_cndmask_b32 v5, v0, v0
	v_cndmask_b32_e64 v8, v3, v7, s2
	v_cndmask_b32_e64 v7, v2, v2, s2
	s_mov_b32 s2, exec_lo
	s_delay_alu instid0(VALU_DEP_1)
	v_cmpx_ngt_f64_e32 v[5:6], v[7:8]
	s_xor_b32 s2, exec_lo, s2
	s_cbranch_execz .LBB126_1063
; %bb.1062:
	v_div_scale_f64 v[5:6], null, v[2:3], v[2:3], v[0:1]
	v_div_scale_f64 v[11:12], vcc_lo, v[0:1], v[2:3], v[0:1]
	s_delay_alu instid0(VALU_DEP_2) | instskip(SKIP_2) | instid1(VALU_DEP_1)
	v_rcp_f64_e32 v[7:8], v[5:6]
	s_waitcnt_depctr 0xfff
	v_fma_f64 v[9:10], -v[5:6], v[7:8], 1.0
	v_fma_f64 v[7:8], v[7:8], v[9:10], v[7:8]
	s_delay_alu instid0(VALU_DEP_1) | instskip(NEXT) | instid1(VALU_DEP_1)
	v_fma_f64 v[9:10], -v[5:6], v[7:8], 1.0
	v_fma_f64 v[7:8], v[7:8], v[9:10], v[7:8]
	s_delay_alu instid0(VALU_DEP_1) | instskip(NEXT) | instid1(VALU_DEP_1)
	v_mul_f64 v[9:10], v[11:12], v[7:8]
	v_fma_f64 v[5:6], -v[5:6], v[9:10], v[11:12]
	s_delay_alu instid0(VALU_DEP_1) | instskip(NEXT) | instid1(VALU_DEP_1)
	v_div_fmas_f64 v[5:6], v[5:6], v[7:8], v[9:10]
	v_div_fixup_f64 v[5:6], v[5:6], v[2:3], v[0:1]
	s_delay_alu instid0(VALU_DEP_1) | instskip(NEXT) | instid1(VALU_DEP_1)
	v_fma_f64 v[0:1], v[0:1], v[5:6], v[2:3]
	v_div_scale_f64 v[2:3], null, v[0:1], v[0:1], 1.0
	s_delay_alu instid0(VALU_DEP_1) | instskip(SKIP_2) | instid1(VALU_DEP_1)
	v_rcp_f64_e32 v[7:8], v[2:3]
	s_waitcnt_depctr 0xfff
	v_fma_f64 v[9:10], -v[2:3], v[7:8], 1.0
	v_fma_f64 v[7:8], v[7:8], v[9:10], v[7:8]
	s_delay_alu instid0(VALU_DEP_1) | instskip(NEXT) | instid1(VALU_DEP_1)
	v_fma_f64 v[9:10], -v[2:3], v[7:8], 1.0
	v_fma_f64 v[7:8], v[7:8], v[9:10], v[7:8]
	v_div_scale_f64 v[9:10], vcc_lo, 1.0, v[0:1], 1.0
	s_delay_alu instid0(VALU_DEP_1) | instskip(NEXT) | instid1(VALU_DEP_1)
	v_mul_f64 v[11:12], v[9:10], v[7:8]
	v_fma_f64 v[2:3], -v[2:3], v[11:12], v[9:10]
	s_delay_alu instid0(VALU_DEP_1) | instskip(NEXT) | instid1(VALU_DEP_1)
	v_div_fmas_f64 v[2:3], v[2:3], v[7:8], v[11:12]
	v_div_fixup_f64 v[2:3], v[2:3], v[0:1], 1.0
	s_delay_alu instid0(VALU_DEP_1)
	v_mul_f64 v[0:1], v[5:6], v[2:3]
	v_xor_b32_e32 v3, 0x80000000, v3
.LBB126_1063:
	s_and_not1_saveexec_b32 s2, s2
	s_cbranch_execz .LBB126_1065
; %bb.1064:
	s_delay_alu instid0(VALU_DEP_1) | instskip(SKIP_1) | instid1(VALU_DEP_2)
	v_div_scale_f64 v[5:6], null, v[0:1], v[0:1], v[2:3]
	v_div_scale_f64 v[11:12], vcc_lo, v[2:3], v[0:1], v[2:3]
	v_rcp_f64_e32 v[7:8], v[5:6]
	s_waitcnt_depctr 0xfff
	v_fma_f64 v[9:10], -v[5:6], v[7:8], 1.0
	s_delay_alu instid0(VALU_DEP_1) | instskip(NEXT) | instid1(VALU_DEP_1)
	v_fma_f64 v[7:8], v[7:8], v[9:10], v[7:8]
	v_fma_f64 v[9:10], -v[5:6], v[7:8], 1.0
	s_delay_alu instid0(VALU_DEP_1) | instskip(NEXT) | instid1(VALU_DEP_1)
	v_fma_f64 v[7:8], v[7:8], v[9:10], v[7:8]
	v_mul_f64 v[9:10], v[11:12], v[7:8]
	s_delay_alu instid0(VALU_DEP_1) | instskip(NEXT) | instid1(VALU_DEP_1)
	v_fma_f64 v[5:6], -v[5:6], v[9:10], v[11:12]
	v_div_fmas_f64 v[5:6], v[5:6], v[7:8], v[9:10]
	s_delay_alu instid0(VALU_DEP_1) | instskip(NEXT) | instid1(VALU_DEP_1)
	v_div_fixup_f64 v[5:6], v[5:6], v[0:1], v[2:3]
	v_fma_f64 v[0:1], v[2:3], v[5:6], v[0:1]
	s_delay_alu instid0(VALU_DEP_1) | instskip(NEXT) | instid1(VALU_DEP_1)
	v_div_scale_f64 v[2:3], null, v[0:1], v[0:1], 1.0
	v_rcp_f64_e32 v[7:8], v[2:3]
	s_waitcnt_depctr 0xfff
	v_fma_f64 v[9:10], -v[2:3], v[7:8], 1.0
	s_delay_alu instid0(VALU_DEP_1) | instskip(NEXT) | instid1(VALU_DEP_1)
	v_fma_f64 v[7:8], v[7:8], v[9:10], v[7:8]
	v_fma_f64 v[9:10], -v[2:3], v[7:8], 1.0
	s_delay_alu instid0(VALU_DEP_1) | instskip(SKIP_1) | instid1(VALU_DEP_1)
	v_fma_f64 v[7:8], v[7:8], v[9:10], v[7:8]
	v_div_scale_f64 v[9:10], vcc_lo, 1.0, v[0:1], 1.0
	v_mul_f64 v[11:12], v[9:10], v[7:8]
	s_delay_alu instid0(VALU_DEP_1) | instskip(NEXT) | instid1(VALU_DEP_1)
	v_fma_f64 v[2:3], -v[2:3], v[11:12], v[9:10]
	v_div_fmas_f64 v[2:3], v[2:3], v[7:8], v[11:12]
	s_delay_alu instid0(VALU_DEP_1) | instskip(NEXT) | instid1(VALU_DEP_1)
	v_div_fixup_f64 v[0:1], v[2:3], v[0:1], 1.0
	v_mul_f64 v[2:3], v[5:6], -v[0:1]
.LBB126_1065:
	s_or_b32 exec_lo, exec_lo, s2
.LBB126_1066:
	s_delay_alu instid0(SALU_CYCLE_1) | instskip(NEXT) | instid1(SALU_CYCLE_1)
	s_or_b32 exec_lo, exec_lo, s3
	s_mov_b32 s2, exec_lo
	v_cmpx_ne_u32_e64 v41, v4
	s_xor_b32 s2, exec_lo, s2
	s_cbranch_execz .LBB126_1072
; %bb.1067:
	s_mov_b32 s3, exec_lo
	v_cmpx_eq_u32_e32 44, v41
	s_cbranch_execz .LBB126_1071
; %bb.1068:
	v_cmp_ne_u32_e32 vcc_lo, 44, v4
	s_xor_b32 s6, s4, -1
	s_delay_alu instid0(SALU_CYCLE_1) | instskip(NEXT) | instid1(SALU_CYCLE_1)
	s_and_b32 s7, s6, vcc_lo
	s_and_saveexec_b32 s6, s7
	s_cbranch_execz .LBB126_1070
; %bb.1069:
	v_ashrrev_i32_e32 v5, 31, v4
	s_delay_alu instid0(VALU_DEP_1) | instskip(NEXT) | instid1(VALU_DEP_1)
	v_lshlrev_b64 v[5:6], 2, v[4:5]
	v_add_co_u32 v5, vcc_lo, v250, v5
	s_delay_alu instid0(VALU_DEP_2)
	v_add_co_ci_u32_e32 v6, vcc_lo, v251, v6, vcc_lo
	s_clause 0x1
	flat_load_b32 v7, v[5:6]
	flat_load_b32 v8, v[250:251] offset:176
	s_waitcnt vmcnt(1) lgkmcnt(1)
	flat_store_b32 v[250:251], v7 offset:176
	s_waitcnt vmcnt(0) lgkmcnt(1)
	flat_store_b32 v[5:6], v8
.LBB126_1070:
	s_or_b32 exec_lo, exec_lo, s6
	v_mov_b32_e32 v41, v4
	v_mov_b32_e32 v39, v4
.LBB126_1071:
	s_or_b32 exec_lo, exec_lo, s3
.LBB126_1072:
	s_and_not1_saveexec_b32 s2, s2
	s_cbranch_execz .LBB126_1074
; %bb.1073:
	s_clause 0x12
	scratch_load_b128 v[4:7], v180, off
	scratch_load_b128 v[8:11], v179, off
	;; [unrolled: 1-line block ×19, first 2 shown]
	v_mov_b32_e32 v41, 44
	s_waitcnt vmcnt(18)
	ds_store_2addr_b64 v36, v[4:5], v[6:7] offset0:90 offset1:91
	s_waitcnt vmcnt(17)
	ds_store_2addr_b64 v36, v[8:9], v[10:11] offset0:92 offset1:93
	;; [unrolled: 2-line block ×19, first 2 shown]
.LBB126_1074:
	s_or_b32 exec_lo, exec_lo, s2
	s_delay_alu instid0(SALU_CYCLE_1)
	s_mov_b32 s2, exec_lo
	s_waitcnt lgkmcnt(0)
	s_waitcnt_vscnt null, 0x0
	s_barrier
	buffer_gl0_inv
	v_cmpx_lt_i32_e32 44, v41
	s_cbranch_execz .LBB126_1079
; %bb.1075:
	scratch_load_b128 v[4:7], off, off offset:704
	s_mov_b32 s3, 0
	s_waitcnt vmcnt(0)
	v_mul_f64 v[8:9], v[2:3], v[6:7]
	v_mul_f64 v[6:7], v[0:1], v[6:7]
	s_delay_alu instid0(VALU_DEP_2) | instskip(NEXT) | instid1(VALU_DEP_2)
	v_fma_f64 v[0:1], v[0:1], v[4:5], -v[8:9]
	v_fma_f64 v[2:3], v[2:3], v[4:5], v[6:7]
	v_add3_u32 v4, v38, 0, 0x2d0
	v_mov_b32_e32 v5, 0
	scratch_store_b128 off, v[0:3], off offset:704
	s_branch .LBB126_1077
.LBB126_1076:                           ;   in Loop: Header=BB126_1077 Depth=1
	s_and_not1_b32 vcc_lo, exec_lo, s7
	s_cbranch_vccz .LBB126_1079
.LBB126_1077:                           ; =>This Inner Loop Header: Depth=1
	v_readfirstlane_b32 s6, v5
	v_add_nc_u32_e32 v6, s3, v4
	s_mov_b32 s7, -1
	s_delay_alu instid0(VALU_DEP_2) | instskip(NEXT) | instid1(SALU_CYCLE_1)
	s_add_i32 s6, s6, s3
	s_add_i32 s9, s6, 0x2d0
	s_add_i32 s12, s6, 0x2e0
	scratch_load_b128 v[7:10], off, s9
	s_add_i32 s14, s6, 0x2f0
	s_clause 0x1
	scratch_load_b128 v[11:14], off, s12
	scratch_load_b128 v[42:45], off, s14
	ds_load_2addr_b64 v[49:52], v6 offset1:1
	ds_load_2addr_b64 v[53:56], v6 offset0:2 offset1:3
	ds_load_2addr_b64 v[65:68], v6 offset0:4 offset1:5
	s_cmpk_eq_i32 s3, 0x100
	s_waitcnt lgkmcnt(2)
	v_mul_f64 v[15:16], v[51:52], v[2:3]
	v_mul_f64 v[17:18], v[49:50], v[2:3]
	s_waitcnt lgkmcnt(1)
	v_mul_f64 v[46:47], v[55:56], v[2:3]
	v_mul_f64 v[57:58], v[53:54], v[2:3]
	;; [unrolled: 3-line block ×3, first 2 shown]
	v_fma_f64 v[15:16], v[49:50], v[0:1], -v[15:16]
	v_fma_f64 v[17:18], v[51:52], v[0:1], v[17:18]
	v_fma_f64 v[46:47], v[53:54], v[0:1], -v[46:47]
	v_fma_f64 v[49:50], v[55:56], v[0:1], v[57:58]
	;; [unrolled: 2-line block ×3, first 2 shown]
	s_waitcnt vmcnt(2)
	v_add_f64 v[7:8], v[7:8], -v[15:16]
	v_add_f64 v[9:10], v[9:10], -v[17:18]
	s_waitcnt vmcnt(1)
	v_add_f64 v[11:12], v[11:12], -v[46:47]
	v_add_f64 v[13:14], v[13:14], -v[49:50]
	;; [unrolled: 3-line block ×3, first 2 shown]
	s_clause 0x2
	scratch_store_b128 off, v[7:10], s9
	scratch_store_b128 off, v[11:14], s12
	;; [unrolled: 1-line block ×3, first 2 shown]
	s_cbranch_scc1 .LBB126_1076
; %bb.1078:                             ;   in Loop: Header=BB126_1077 Depth=1
	s_addk_i32 s6, 0x300
	ds_load_2addr_b64 v[11:14], v6 offset0:6 offset1:7
	scratch_load_b128 v[7:10], off, s6
	s_add_i32 s3, s3, 64
	s_mov_b32 s7, 0
	s_waitcnt lgkmcnt(0)
	v_mul_f64 v[15:16], v[13:14], v[2:3]
	v_mul_f64 v[17:18], v[11:12], v[2:3]
	s_delay_alu instid0(VALU_DEP_2) | instskip(NEXT) | instid1(VALU_DEP_2)
	v_fma_f64 v[11:12], v[11:12], v[0:1], -v[15:16]
	v_fma_f64 v[13:14], v[13:14], v[0:1], v[17:18]
	s_waitcnt vmcnt(0)
	s_delay_alu instid0(VALU_DEP_2) | instskip(NEXT) | instid1(VALU_DEP_2)
	v_add_f64 v[6:7], v[7:8], -v[11:12]
	v_add_f64 v[8:9], v[9:10], -v[13:14]
	scratch_store_b128 off, v[6:9], s6
	s_branch .LBB126_1076
.LBB126_1079:
	s_or_b32 exec_lo, exec_lo, s2
	s_waitcnt_vscnt null, 0x0
	s_barrier
	buffer_gl0_inv
	scratch_load_b128 v[0:3], v180, off
	v_lshl_add_u32 v4, v41, 4, v36
	s_cmp_lt_i32 s5, 47
	s_waitcnt vmcnt(0)
	ds_store_2addr_b64 v4, v[0:1], v[2:3] offset1:1
	s_waitcnt lgkmcnt(0)
	s_barrier
	buffer_gl0_inv
	ds_load_2addr_b64 v[0:3], v36 offset0:90 offset1:91
	v_mov_b32_e32 v4, 45
	s_cbranch_scc1 .LBB126_1082
; %bb.1080:
	v_add3_u32 v5, v38, 0, 0x2e0
	v_mov_b32_e32 v4, 45
	s_mov_b32 s6, 46
	s_set_inst_prefetch_distance 0x1
	.p2align	6
.LBB126_1081:                           ; =>This Inner Loop Header: Depth=1
	ds_load_2addr_b64 v[6:9], v5 offset1:1
	s_waitcnt lgkmcnt(1)
	v_cmp_gt_f64_e32 vcc_lo, 0, v[0:1]
	v_xor_b32_e32 v10, 0x80000000, v1
	v_cmp_gt_f64_e64 s2, 0, v[2:3]
	v_xor_b32_e32 v12, 0x80000000, v3
	v_add_nc_u32_e32 v5, 16, v5
	s_waitcnt lgkmcnt(0)
	v_cmp_gt_f64_e64 s3, 0, v[6:7]
	v_mov_b32_e32 v14, v6
	v_dual_mov_b32 v16, v8 :: v_dual_cndmask_b32 v11, v1, v10
	v_xor_b32_e32 v10, 0x80000000, v7
	v_cndmask_b32_e64 v13, v3, v12, s2
	v_xor_b32_e32 v12, 0x80000000, v9
	s_delay_alu instid0(VALU_DEP_3) | instskip(SKIP_2) | instid1(VALU_DEP_2)
	v_cndmask_b32_e64 v15, v7, v10, s3
	v_cmp_gt_f64_e64 s3, 0, v[8:9]
	v_cndmask_b32_e32 v10, v0, v0, vcc_lo
	v_cndmask_b32_e64 v17, v9, v12, s3
	v_cndmask_b32_e64 v12, v2, v2, s2
	s_delay_alu instid0(VALU_DEP_2) | instskip(NEXT) | instid1(VALU_DEP_2)
	v_add_f64 v[14:15], v[14:15], v[16:17]
	v_add_f64 v[10:11], v[10:11], v[12:13]
	s_delay_alu instid0(VALU_DEP_1)
	v_cmp_lt_f64_e32 vcc_lo, v[10:11], v[14:15]
	v_cndmask_b32_e32 v3, v3, v9, vcc_lo
	v_dual_cndmask_b32 v1, v1, v7 :: v_dual_cndmask_b32 v0, v0, v6
	v_cndmask_b32_e32 v2, v2, v8, vcc_lo
	v_cndmask_b32_e64 v4, v4, s6, vcc_lo
	s_add_i32 s6, s6, 1
	s_delay_alu instid0(SALU_CYCLE_1)
	s_cmp_lg_u32 s5, s6
	s_cbranch_scc1 .LBB126_1081
.LBB126_1082:
	s_set_inst_prefetch_distance 0x2
	s_waitcnt lgkmcnt(0)
	v_cmp_eq_f64_e32 vcc_lo, 0, v[0:1]
	v_cmp_eq_f64_e64 s2, 0, v[2:3]
	s_delay_alu instid0(VALU_DEP_1) | instskip(NEXT) | instid1(SALU_CYCLE_1)
	s_and_b32 s2, vcc_lo, s2
	s_and_saveexec_b32 s3, s2
	s_delay_alu instid0(SALU_CYCLE_1)
	s_xor_b32 s2, exec_lo, s3
; %bb.1083:
	v_cmp_ne_u32_e32 vcc_lo, 0, v37
	v_cndmask_b32_e32 v37, 46, v37, vcc_lo
; %bb.1084:
	s_and_not1_saveexec_b32 s3, s2
	s_cbranch_execz .LBB126_1090
; %bb.1085:
	v_cmp_gt_f64_e32 vcc_lo, 0, v[0:1]
	v_cmp_gt_f64_e64 s2, 0, v[2:3]
	v_xor_b32_e32 v5, 0x80000000, v1
	v_xor_b32_e32 v7, 0x80000000, v3
	s_delay_alu instid0(VALU_DEP_2) | instskip(NEXT) | instid1(VALU_DEP_2)
	v_dual_cndmask_b32 v6, v1, v5 :: v_dual_cndmask_b32 v5, v0, v0
	v_cndmask_b32_e64 v8, v3, v7, s2
	v_cndmask_b32_e64 v7, v2, v2, s2
	s_mov_b32 s2, exec_lo
	s_delay_alu instid0(VALU_DEP_1)
	v_cmpx_ngt_f64_e32 v[5:6], v[7:8]
	s_xor_b32 s2, exec_lo, s2
	s_cbranch_execz .LBB126_1087
; %bb.1086:
	v_div_scale_f64 v[5:6], null, v[2:3], v[2:3], v[0:1]
	v_div_scale_f64 v[11:12], vcc_lo, v[0:1], v[2:3], v[0:1]
	s_delay_alu instid0(VALU_DEP_2) | instskip(SKIP_2) | instid1(VALU_DEP_1)
	v_rcp_f64_e32 v[7:8], v[5:6]
	s_waitcnt_depctr 0xfff
	v_fma_f64 v[9:10], -v[5:6], v[7:8], 1.0
	v_fma_f64 v[7:8], v[7:8], v[9:10], v[7:8]
	s_delay_alu instid0(VALU_DEP_1) | instskip(NEXT) | instid1(VALU_DEP_1)
	v_fma_f64 v[9:10], -v[5:6], v[7:8], 1.0
	v_fma_f64 v[7:8], v[7:8], v[9:10], v[7:8]
	s_delay_alu instid0(VALU_DEP_1) | instskip(NEXT) | instid1(VALU_DEP_1)
	v_mul_f64 v[9:10], v[11:12], v[7:8]
	v_fma_f64 v[5:6], -v[5:6], v[9:10], v[11:12]
	s_delay_alu instid0(VALU_DEP_1) | instskip(NEXT) | instid1(VALU_DEP_1)
	v_div_fmas_f64 v[5:6], v[5:6], v[7:8], v[9:10]
	v_div_fixup_f64 v[5:6], v[5:6], v[2:3], v[0:1]
	s_delay_alu instid0(VALU_DEP_1) | instskip(NEXT) | instid1(VALU_DEP_1)
	v_fma_f64 v[0:1], v[0:1], v[5:6], v[2:3]
	v_div_scale_f64 v[2:3], null, v[0:1], v[0:1], 1.0
	s_delay_alu instid0(VALU_DEP_1) | instskip(SKIP_2) | instid1(VALU_DEP_1)
	v_rcp_f64_e32 v[7:8], v[2:3]
	s_waitcnt_depctr 0xfff
	v_fma_f64 v[9:10], -v[2:3], v[7:8], 1.0
	v_fma_f64 v[7:8], v[7:8], v[9:10], v[7:8]
	s_delay_alu instid0(VALU_DEP_1) | instskip(NEXT) | instid1(VALU_DEP_1)
	v_fma_f64 v[9:10], -v[2:3], v[7:8], 1.0
	v_fma_f64 v[7:8], v[7:8], v[9:10], v[7:8]
	v_div_scale_f64 v[9:10], vcc_lo, 1.0, v[0:1], 1.0
	s_delay_alu instid0(VALU_DEP_1) | instskip(NEXT) | instid1(VALU_DEP_1)
	v_mul_f64 v[11:12], v[9:10], v[7:8]
	v_fma_f64 v[2:3], -v[2:3], v[11:12], v[9:10]
	s_delay_alu instid0(VALU_DEP_1) | instskip(NEXT) | instid1(VALU_DEP_1)
	v_div_fmas_f64 v[2:3], v[2:3], v[7:8], v[11:12]
	v_div_fixup_f64 v[2:3], v[2:3], v[0:1], 1.0
	s_delay_alu instid0(VALU_DEP_1)
	v_mul_f64 v[0:1], v[5:6], v[2:3]
	v_xor_b32_e32 v3, 0x80000000, v3
.LBB126_1087:
	s_and_not1_saveexec_b32 s2, s2
	s_cbranch_execz .LBB126_1089
; %bb.1088:
	s_delay_alu instid0(VALU_DEP_1) | instskip(SKIP_1) | instid1(VALU_DEP_2)
	v_div_scale_f64 v[5:6], null, v[0:1], v[0:1], v[2:3]
	v_div_scale_f64 v[11:12], vcc_lo, v[2:3], v[0:1], v[2:3]
	v_rcp_f64_e32 v[7:8], v[5:6]
	s_waitcnt_depctr 0xfff
	v_fma_f64 v[9:10], -v[5:6], v[7:8], 1.0
	s_delay_alu instid0(VALU_DEP_1) | instskip(NEXT) | instid1(VALU_DEP_1)
	v_fma_f64 v[7:8], v[7:8], v[9:10], v[7:8]
	v_fma_f64 v[9:10], -v[5:6], v[7:8], 1.0
	s_delay_alu instid0(VALU_DEP_1) | instskip(NEXT) | instid1(VALU_DEP_1)
	v_fma_f64 v[7:8], v[7:8], v[9:10], v[7:8]
	v_mul_f64 v[9:10], v[11:12], v[7:8]
	s_delay_alu instid0(VALU_DEP_1) | instskip(NEXT) | instid1(VALU_DEP_1)
	v_fma_f64 v[5:6], -v[5:6], v[9:10], v[11:12]
	v_div_fmas_f64 v[5:6], v[5:6], v[7:8], v[9:10]
	s_delay_alu instid0(VALU_DEP_1) | instskip(NEXT) | instid1(VALU_DEP_1)
	v_div_fixup_f64 v[5:6], v[5:6], v[0:1], v[2:3]
	v_fma_f64 v[0:1], v[2:3], v[5:6], v[0:1]
	s_delay_alu instid0(VALU_DEP_1) | instskip(NEXT) | instid1(VALU_DEP_1)
	v_div_scale_f64 v[2:3], null, v[0:1], v[0:1], 1.0
	v_rcp_f64_e32 v[7:8], v[2:3]
	s_waitcnt_depctr 0xfff
	v_fma_f64 v[9:10], -v[2:3], v[7:8], 1.0
	s_delay_alu instid0(VALU_DEP_1) | instskip(NEXT) | instid1(VALU_DEP_1)
	v_fma_f64 v[7:8], v[7:8], v[9:10], v[7:8]
	v_fma_f64 v[9:10], -v[2:3], v[7:8], 1.0
	s_delay_alu instid0(VALU_DEP_1) | instskip(SKIP_1) | instid1(VALU_DEP_1)
	v_fma_f64 v[7:8], v[7:8], v[9:10], v[7:8]
	v_div_scale_f64 v[9:10], vcc_lo, 1.0, v[0:1], 1.0
	v_mul_f64 v[11:12], v[9:10], v[7:8]
	s_delay_alu instid0(VALU_DEP_1) | instskip(NEXT) | instid1(VALU_DEP_1)
	v_fma_f64 v[2:3], -v[2:3], v[11:12], v[9:10]
	v_div_fmas_f64 v[2:3], v[2:3], v[7:8], v[11:12]
	s_delay_alu instid0(VALU_DEP_1) | instskip(NEXT) | instid1(VALU_DEP_1)
	v_div_fixup_f64 v[0:1], v[2:3], v[0:1], 1.0
	v_mul_f64 v[2:3], v[5:6], -v[0:1]
.LBB126_1089:
	s_or_b32 exec_lo, exec_lo, s2
.LBB126_1090:
	s_delay_alu instid0(SALU_CYCLE_1) | instskip(NEXT) | instid1(SALU_CYCLE_1)
	s_or_b32 exec_lo, exec_lo, s3
	s_mov_b32 s2, exec_lo
	v_cmpx_ne_u32_e64 v41, v4
	s_xor_b32 s2, exec_lo, s2
	s_cbranch_execz .LBB126_1096
; %bb.1091:
	s_mov_b32 s3, exec_lo
	v_cmpx_eq_u32_e32 45, v41
	s_cbranch_execz .LBB126_1095
; %bb.1092:
	v_cmp_ne_u32_e32 vcc_lo, 45, v4
	s_xor_b32 s6, s4, -1
	s_delay_alu instid0(SALU_CYCLE_1) | instskip(NEXT) | instid1(SALU_CYCLE_1)
	s_and_b32 s7, s6, vcc_lo
	s_and_saveexec_b32 s6, s7
	s_cbranch_execz .LBB126_1094
; %bb.1093:
	v_ashrrev_i32_e32 v5, 31, v4
	s_delay_alu instid0(VALU_DEP_1) | instskip(NEXT) | instid1(VALU_DEP_1)
	v_lshlrev_b64 v[5:6], 2, v[4:5]
	v_add_co_u32 v5, vcc_lo, v250, v5
	s_delay_alu instid0(VALU_DEP_2)
	v_add_co_ci_u32_e32 v6, vcc_lo, v251, v6, vcc_lo
	s_clause 0x1
	flat_load_b32 v7, v[5:6]
	flat_load_b32 v8, v[250:251] offset:180
	s_waitcnt vmcnt(1) lgkmcnt(1)
	flat_store_b32 v[250:251], v7 offset:180
	s_waitcnt vmcnt(0) lgkmcnt(1)
	flat_store_b32 v[5:6], v8
.LBB126_1094:
	s_or_b32 exec_lo, exec_lo, s6
	v_mov_b32_e32 v41, v4
	v_mov_b32_e32 v39, v4
.LBB126_1095:
	s_or_b32 exec_lo, exec_lo, s3
.LBB126_1096:
	s_and_not1_saveexec_b32 s2, s2
	s_cbranch_execz .LBB126_1098
; %bb.1097:
	s_clause 0x11
	scratch_load_b128 v[4:7], v179, off
	scratch_load_b128 v[8:11], v178, off
	;; [unrolled: 1-line block ×18, first 2 shown]
	v_mov_b32_e32 v41, 45
	s_waitcnt vmcnt(17)
	ds_store_2addr_b64 v36, v[4:5], v[6:7] offset0:92 offset1:93
	s_waitcnt vmcnt(16)
	ds_store_2addr_b64 v36, v[8:9], v[10:11] offset0:94 offset1:95
	;; [unrolled: 2-line block ×18, first 2 shown]
.LBB126_1098:
	s_or_b32 exec_lo, exec_lo, s2
	s_delay_alu instid0(SALU_CYCLE_1)
	s_mov_b32 s2, exec_lo
	s_waitcnt lgkmcnt(0)
	s_waitcnt_vscnt null, 0x0
	s_barrier
	buffer_gl0_inv
	v_cmpx_lt_i32_e32 45, v41
	s_cbranch_execz .LBB126_1101
; %bb.1099:
	scratch_load_b128 v[4:7], off, off offset:720
	s_mov_b32 s3, 0
	s_waitcnt vmcnt(0)
	v_mul_f64 v[8:9], v[2:3], v[6:7]
	v_mul_f64 v[6:7], v[0:1], v[6:7]
	s_delay_alu instid0(VALU_DEP_2) | instskip(NEXT) | instid1(VALU_DEP_2)
	v_fma_f64 v[0:1], v[0:1], v[4:5], -v[8:9]
	v_fma_f64 v[2:3], v[2:3], v[4:5], v[6:7]
	v_add3_u32 v4, v38, 0, 0x2e0
	v_mov_b32_e32 v5, 0
	scratch_store_b128 off, v[0:3], off offset:720
.LBB126_1100:                           ; =>This Inner Loop Header: Depth=1
	v_readfirstlane_b32 s6, v5
	v_add_nc_u32_e32 v18, s3, v4
	s_delay_alu instid0(VALU_DEP_2)
	s_add_i32 s7, s6, s3
	s_addk_i32 s3, 0x60
	s_add_i32 s6, s7, 0x2e0
	s_add_i32 s9, s7, 0x2f0
	;; [unrolled: 1-line block ×5, first 2 shown]
	s_addk_i32 s7, 0x330
	s_clause 0x5
	scratch_load_b128 v[6:9], off, s6
	scratch_load_b128 v[10:13], off, s9
	;; [unrolled: 1-line block ×6, first 2 shown]
	ds_load_2addr_b64 v[65:68], v18 offset1:1
	ds_load_2addr_b64 v[69:72], v18 offset0:2 offset1:3
	ds_load_2addr_b64 v[77:80], v18 offset0:4 offset1:5
	;; [unrolled: 1-line block ×5, first 2 shown]
	s_cmpk_lg_i32 s3, 0x120
	s_waitcnt lgkmcnt(5)
	v_mul_f64 v[18:19], v[67:68], v[2:3]
	v_mul_f64 v[46:47], v[65:66], v[2:3]
	s_waitcnt lgkmcnt(4)
	v_mul_f64 v[57:58], v[71:72], v[2:3]
	v_mul_f64 v[61:62], v[69:70], v[2:3]
	;; [unrolled: 3-line block ×6, first 2 shown]
	v_fma_f64 v[18:19], v[65:66], v[0:1], -v[18:19]
	v_fma_f64 v[46:47], v[67:68], v[0:1], v[46:47]
	v_fma_f64 v[57:58], v[69:70], v[0:1], -v[57:58]
	v_fma_f64 v[61:62], v[71:72], v[0:1], v[61:62]
	;; [unrolled: 2-line block ×6, first 2 shown]
	s_waitcnt vmcnt(5)
	v_add_f64 v[6:7], v[6:7], -v[18:19]
	v_add_f64 v[8:9], v[8:9], -v[46:47]
	s_waitcnt vmcnt(4)
	v_add_f64 v[10:11], v[10:11], -v[57:58]
	v_add_f64 v[12:13], v[12:13], -v[61:62]
	;; [unrolled: 3-line block ×6, first 2 shown]
	s_clause 0x5
	scratch_store_b128 off, v[6:9], s6
	scratch_store_b128 off, v[10:13], s9
	;; [unrolled: 1-line block ×6, first 2 shown]
	s_cbranch_scc1 .LBB126_1100
.LBB126_1101:
	s_or_b32 exec_lo, exec_lo, s2
	s_waitcnt_vscnt null, 0x0
	s_barrier
	buffer_gl0_inv
	scratch_load_b128 v[0:3], v179, off
	v_lshl_add_u32 v4, v41, 4, v36
	s_cmp_lt_i32 s5, 48
	s_waitcnt vmcnt(0)
	ds_store_2addr_b64 v4, v[0:1], v[2:3] offset1:1
	s_waitcnt lgkmcnt(0)
	s_barrier
	buffer_gl0_inv
	ds_load_2addr_b64 v[0:3], v36 offset0:92 offset1:93
	v_mov_b32_e32 v4, 46
	s_cbranch_scc1 .LBB126_1104
; %bb.1102:
	v_add3_u32 v5, v38, 0, 0x2f0
	v_mov_b32_e32 v4, 46
	s_mov_b32 s6, 47
	s_set_inst_prefetch_distance 0x1
	.p2align	6
.LBB126_1103:                           ; =>This Inner Loop Header: Depth=1
	ds_load_2addr_b64 v[6:9], v5 offset1:1
	s_waitcnt lgkmcnt(1)
	v_cmp_gt_f64_e32 vcc_lo, 0, v[0:1]
	v_xor_b32_e32 v10, 0x80000000, v1
	v_cmp_gt_f64_e64 s2, 0, v[2:3]
	v_xor_b32_e32 v12, 0x80000000, v3
	v_add_nc_u32_e32 v5, 16, v5
	s_waitcnt lgkmcnt(0)
	v_cmp_gt_f64_e64 s3, 0, v[6:7]
	v_mov_b32_e32 v14, v6
	v_dual_mov_b32 v16, v8 :: v_dual_cndmask_b32 v11, v1, v10
	v_xor_b32_e32 v10, 0x80000000, v7
	v_cndmask_b32_e64 v13, v3, v12, s2
	v_xor_b32_e32 v12, 0x80000000, v9
	s_delay_alu instid0(VALU_DEP_3) | instskip(SKIP_2) | instid1(VALU_DEP_2)
	v_cndmask_b32_e64 v15, v7, v10, s3
	v_cmp_gt_f64_e64 s3, 0, v[8:9]
	v_cndmask_b32_e32 v10, v0, v0, vcc_lo
	v_cndmask_b32_e64 v17, v9, v12, s3
	v_cndmask_b32_e64 v12, v2, v2, s2
	s_delay_alu instid0(VALU_DEP_2) | instskip(NEXT) | instid1(VALU_DEP_2)
	v_add_f64 v[14:15], v[14:15], v[16:17]
	v_add_f64 v[10:11], v[10:11], v[12:13]
	s_delay_alu instid0(VALU_DEP_1)
	v_cmp_lt_f64_e32 vcc_lo, v[10:11], v[14:15]
	v_cndmask_b32_e32 v3, v3, v9, vcc_lo
	v_dual_cndmask_b32 v1, v1, v7 :: v_dual_cndmask_b32 v0, v0, v6
	v_cndmask_b32_e32 v2, v2, v8, vcc_lo
	v_cndmask_b32_e64 v4, v4, s6, vcc_lo
	s_add_i32 s6, s6, 1
	s_delay_alu instid0(SALU_CYCLE_1)
	s_cmp_lg_u32 s5, s6
	s_cbranch_scc1 .LBB126_1103
.LBB126_1104:
	s_set_inst_prefetch_distance 0x2
	s_waitcnt lgkmcnt(0)
	v_cmp_eq_f64_e32 vcc_lo, 0, v[0:1]
	v_cmp_eq_f64_e64 s2, 0, v[2:3]
	s_delay_alu instid0(VALU_DEP_1) | instskip(NEXT) | instid1(SALU_CYCLE_1)
	s_and_b32 s2, vcc_lo, s2
	s_and_saveexec_b32 s3, s2
	s_delay_alu instid0(SALU_CYCLE_1)
	s_xor_b32 s2, exec_lo, s3
; %bb.1105:
	v_cmp_ne_u32_e32 vcc_lo, 0, v37
	v_cndmask_b32_e32 v37, 47, v37, vcc_lo
; %bb.1106:
	s_and_not1_saveexec_b32 s3, s2
	s_cbranch_execz .LBB126_1112
; %bb.1107:
	v_cmp_gt_f64_e32 vcc_lo, 0, v[0:1]
	v_cmp_gt_f64_e64 s2, 0, v[2:3]
	v_xor_b32_e32 v5, 0x80000000, v1
	v_xor_b32_e32 v7, 0x80000000, v3
	s_delay_alu instid0(VALU_DEP_2) | instskip(NEXT) | instid1(VALU_DEP_2)
	v_dual_cndmask_b32 v6, v1, v5 :: v_dual_cndmask_b32 v5, v0, v0
	v_cndmask_b32_e64 v8, v3, v7, s2
	v_cndmask_b32_e64 v7, v2, v2, s2
	s_mov_b32 s2, exec_lo
	s_delay_alu instid0(VALU_DEP_1)
	v_cmpx_ngt_f64_e32 v[5:6], v[7:8]
	s_xor_b32 s2, exec_lo, s2
	s_cbranch_execz .LBB126_1109
; %bb.1108:
	v_div_scale_f64 v[5:6], null, v[2:3], v[2:3], v[0:1]
	v_div_scale_f64 v[11:12], vcc_lo, v[0:1], v[2:3], v[0:1]
	s_delay_alu instid0(VALU_DEP_2) | instskip(SKIP_2) | instid1(VALU_DEP_1)
	v_rcp_f64_e32 v[7:8], v[5:6]
	s_waitcnt_depctr 0xfff
	v_fma_f64 v[9:10], -v[5:6], v[7:8], 1.0
	v_fma_f64 v[7:8], v[7:8], v[9:10], v[7:8]
	s_delay_alu instid0(VALU_DEP_1) | instskip(NEXT) | instid1(VALU_DEP_1)
	v_fma_f64 v[9:10], -v[5:6], v[7:8], 1.0
	v_fma_f64 v[7:8], v[7:8], v[9:10], v[7:8]
	s_delay_alu instid0(VALU_DEP_1) | instskip(NEXT) | instid1(VALU_DEP_1)
	v_mul_f64 v[9:10], v[11:12], v[7:8]
	v_fma_f64 v[5:6], -v[5:6], v[9:10], v[11:12]
	s_delay_alu instid0(VALU_DEP_1) | instskip(NEXT) | instid1(VALU_DEP_1)
	v_div_fmas_f64 v[5:6], v[5:6], v[7:8], v[9:10]
	v_div_fixup_f64 v[5:6], v[5:6], v[2:3], v[0:1]
	s_delay_alu instid0(VALU_DEP_1) | instskip(NEXT) | instid1(VALU_DEP_1)
	v_fma_f64 v[0:1], v[0:1], v[5:6], v[2:3]
	v_div_scale_f64 v[2:3], null, v[0:1], v[0:1], 1.0
	s_delay_alu instid0(VALU_DEP_1) | instskip(SKIP_2) | instid1(VALU_DEP_1)
	v_rcp_f64_e32 v[7:8], v[2:3]
	s_waitcnt_depctr 0xfff
	v_fma_f64 v[9:10], -v[2:3], v[7:8], 1.0
	v_fma_f64 v[7:8], v[7:8], v[9:10], v[7:8]
	s_delay_alu instid0(VALU_DEP_1) | instskip(NEXT) | instid1(VALU_DEP_1)
	v_fma_f64 v[9:10], -v[2:3], v[7:8], 1.0
	v_fma_f64 v[7:8], v[7:8], v[9:10], v[7:8]
	v_div_scale_f64 v[9:10], vcc_lo, 1.0, v[0:1], 1.0
	s_delay_alu instid0(VALU_DEP_1) | instskip(NEXT) | instid1(VALU_DEP_1)
	v_mul_f64 v[11:12], v[9:10], v[7:8]
	v_fma_f64 v[2:3], -v[2:3], v[11:12], v[9:10]
	s_delay_alu instid0(VALU_DEP_1) | instskip(NEXT) | instid1(VALU_DEP_1)
	v_div_fmas_f64 v[2:3], v[2:3], v[7:8], v[11:12]
	v_div_fixup_f64 v[2:3], v[2:3], v[0:1], 1.0
	s_delay_alu instid0(VALU_DEP_1)
	v_mul_f64 v[0:1], v[5:6], v[2:3]
	v_xor_b32_e32 v3, 0x80000000, v3
.LBB126_1109:
	s_and_not1_saveexec_b32 s2, s2
	s_cbranch_execz .LBB126_1111
; %bb.1110:
	s_delay_alu instid0(VALU_DEP_1) | instskip(SKIP_1) | instid1(VALU_DEP_2)
	v_div_scale_f64 v[5:6], null, v[0:1], v[0:1], v[2:3]
	v_div_scale_f64 v[11:12], vcc_lo, v[2:3], v[0:1], v[2:3]
	v_rcp_f64_e32 v[7:8], v[5:6]
	s_waitcnt_depctr 0xfff
	v_fma_f64 v[9:10], -v[5:6], v[7:8], 1.0
	s_delay_alu instid0(VALU_DEP_1) | instskip(NEXT) | instid1(VALU_DEP_1)
	v_fma_f64 v[7:8], v[7:8], v[9:10], v[7:8]
	v_fma_f64 v[9:10], -v[5:6], v[7:8], 1.0
	s_delay_alu instid0(VALU_DEP_1) | instskip(NEXT) | instid1(VALU_DEP_1)
	v_fma_f64 v[7:8], v[7:8], v[9:10], v[7:8]
	v_mul_f64 v[9:10], v[11:12], v[7:8]
	s_delay_alu instid0(VALU_DEP_1) | instskip(NEXT) | instid1(VALU_DEP_1)
	v_fma_f64 v[5:6], -v[5:6], v[9:10], v[11:12]
	v_div_fmas_f64 v[5:6], v[5:6], v[7:8], v[9:10]
	s_delay_alu instid0(VALU_DEP_1) | instskip(NEXT) | instid1(VALU_DEP_1)
	v_div_fixup_f64 v[5:6], v[5:6], v[0:1], v[2:3]
	v_fma_f64 v[0:1], v[2:3], v[5:6], v[0:1]
	s_delay_alu instid0(VALU_DEP_1) | instskip(NEXT) | instid1(VALU_DEP_1)
	v_div_scale_f64 v[2:3], null, v[0:1], v[0:1], 1.0
	v_rcp_f64_e32 v[7:8], v[2:3]
	s_waitcnt_depctr 0xfff
	v_fma_f64 v[9:10], -v[2:3], v[7:8], 1.0
	s_delay_alu instid0(VALU_DEP_1) | instskip(NEXT) | instid1(VALU_DEP_1)
	v_fma_f64 v[7:8], v[7:8], v[9:10], v[7:8]
	v_fma_f64 v[9:10], -v[2:3], v[7:8], 1.0
	s_delay_alu instid0(VALU_DEP_1) | instskip(SKIP_1) | instid1(VALU_DEP_1)
	v_fma_f64 v[7:8], v[7:8], v[9:10], v[7:8]
	v_div_scale_f64 v[9:10], vcc_lo, 1.0, v[0:1], 1.0
	v_mul_f64 v[11:12], v[9:10], v[7:8]
	s_delay_alu instid0(VALU_DEP_1) | instskip(NEXT) | instid1(VALU_DEP_1)
	v_fma_f64 v[2:3], -v[2:3], v[11:12], v[9:10]
	v_div_fmas_f64 v[2:3], v[2:3], v[7:8], v[11:12]
	s_delay_alu instid0(VALU_DEP_1) | instskip(NEXT) | instid1(VALU_DEP_1)
	v_div_fixup_f64 v[0:1], v[2:3], v[0:1], 1.0
	v_mul_f64 v[2:3], v[5:6], -v[0:1]
.LBB126_1111:
	s_or_b32 exec_lo, exec_lo, s2
.LBB126_1112:
	s_delay_alu instid0(SALU_CYCLE_1) | instskip(NEXT) | instid1(SALU_CYCLE_1)
	s_or_b32 exec_lo, exec_lo, s3
	s_mov_b32 s2, exec_lo
	v_cmpx_ne_u32_e64 v41, v4
	s_xor_b32 s2, exec_lo, s2
	s_cbranch_execz .LBB126_1118
; %bb.1113:
	s_mov_b32 s3, exec_lo
	v_cmpx_eq_u32_e32 46, v41
	s_cbranch_execz .LBB126_1117
; %bb.1114:
	v_cmp_ne_u32_e32 vcc_lo, 46, v4
	s_xor_b32 s6, s4, -1
	s_delay_alu instid0(SALU_CYCLE_1) | instskip(NEXT) | instid1(SALU_CYCLE_1)
	s_and_b32 s7, s6, vcc_lo
	s_and_saveexec_b32 s6, s7
	s_cbranch_execz .LBB126_1116
; %bb.1115:
	v_ashrrev_i32_e32 v5, 31, v4
	s_delay_alu instid0(VALU_DEP_1) | instskip(NEXT) | instid1(VALU_DEP_1)
	v_lshlrev_b64 v[5:6], 2, v[4:5]
	v_add_co_u32 v5, vcc_lo, v250, v5
	s_delay_alu instid0(VALU_DEP_2)
	v_add_co_ci_u32_e32 v6, vcc_lo, v251, v6, vcc_lo
	s_clause 0x1
	flat_load_b32 v7, v[5:6]
	flat_load_b32 v8, v[250:251] offset:184
	s_waitcnt vmcnt(1) lgkmcnt(1)
	flat_store_b32 v[250:251], v7 offset:184
	s_waitcnt vmcnt(0) lgkmcnt(1)
	flat_store_b32 v[5:6], v8
.LBB126_1116:
	s_or_b32 exec_lo, exec_lo, s6
	v_mov_b32_e32 v41, v4
	v_mov_b32_e32 v39, v4
.LBB126_1117:
	s_or_b32 exec_lo, exec_lo, s3
.LBB126_1118:
	s_and_not1_saveexec_b32 s2, s2
	s_cbranch_execz .LBB126_1120
; %bb.1119:
	s_clause 0x10
	scratch_load_b128 v[4:7], v178, off
	scratch_load_b128 v[8:11], v177, off
	;; [unrolled: 1-line block ×17, first 2 shown]
	v_mov_b32_e32 v41, 46
	s_waitcnt vmcnt(16)
	ds_store_2addr_b64 v36, v[4:5], v[6:7] offset0:94 offset1:95
	s_waitcnt vmcnt(15)
	ds_store_2addr_b64 v36, v[8:9], v[10:11] offset0:96 offset1:97
	;; [unrolled: 2-line block ×17, first 2 shown]
.LBB126_1120:
	s_or_b32 exec_lo, exec_lo, s2
	s_delay_alu instid0(SALU_CYCLE_1)
	s_mov_b32 s2, exec_lo
	s_waitcnt lgkmcnt(0)
	s_waitcnt_vscnt null, 0x0
	s_barrier
	buffer_gl0_inv
	v_cmpx_lt_i32_e32 46, v41
	s_cbranch_execz .LBB126_1122
; %bb.1121:
	s_clause 0x1
	scratch_load_b128 v[4:7], off, off offset:736
	scratch_load_b128 v[8:11], off, off offset:752
	s_waitcnt vmcnt(1)
	v_mul_f64 v[12:13], v[0:1], v[6:7]
	v_mul_f64 v[6:7], v[2:3], v[6:7]
	s_delay_alu instid0(VALU_DEP_2)
	v_fma_f64 v[2:3], v[2:3], v[4:5], v[12:13]
	ds_load_2addr_b64 v[12:15], v36 offset0:94 offset1:95
	ds_load_2addr_b64 v[42:45], v36 offset0:98 offset1:99
	ds_load_2addr_b64 v[49:52], v36 offset0:96 offset1:97
	v_fma_f64 v[0:1], v[0:1], v[4:5], -v[6:7]
	ds_load_2addr_b64 v[4:7], v36 offset0:100 offset1:101
	ds_load_2addr_b64 v[53:56], v36 offset0:102 offset1:103
	s_waitcnt lgkmcnt(3)
	v_mul_f64 v[46:47], v[44:45], v[2:3]
	v_mul_f64 v[16:17], v[14:15], v[2:3]
	;; [unrolled: 1-line block ×4, first 2 shown]
	s_waitcnt lgkmcnt(1)
	v_mul_f64 v[61:62], v[6:7], v[2:3]
	v_mul_f64 v[65:66], v[4:5], v[2:3]
	s_waitcnt lgkmcnt(0)
	v_mul_f64 v[67:68], v[55:56], v[2:3]
	v_mul_f64 v[69:70], v[51:52], v[2:3]
	scratch_store_b128 off, v[0:3], off offset:736
	v_fma_f64 v[46:47], v[42:43], v[0:1], -v[46:47]
	v_mul_f64 v[42:43], v[53:54], v[2:3]
	v_fma_f64 v[16:17], v[12:13], v[0:1], -v[16:17]
	v_fma_f64 v[18:19], v[14:15], v[0:1], v[18:19]
	ds_load_2addr_b64 v[12:15], v36 offset0:104 offset1:105
	v_fma_f64 v[57:58], v[44:45], v[0:1], v[57:58]
	v_fma_f64 v[61:62], v[4:5], v[0:1], -v[61:62]
	v_fma_f64 v[65:66], v[6:7], v[0:1], v[65:66]
	v_fma_f64 v[67:68], v[53:54], v[0:1], -v[67:68]
	v_fma_f64 v[69:70], v[49:50], v[0:1], -v[69:70]
	s_waitcnt lgkmcnt(0)
	v_mul_f64 v[44:45], v[14:15], v[2:3]
	v_mul_f64 v[4:5], v[12:13], v[2:3]
	v_fma_f64 v[71:72], v[55:56], v[0:1], v[42:43]
	v_mul_f64 v[42:43], v[49:50], v[2:3]
	scratch_load_b128 v[53:56], off, off offset:768
	s_waitcnt vmcnt(1)
	v_add_f64 v[8:9], v[8:9], -v[16:17]
	v_add_f64 v[10:11], v[10:11], -v[18:19]
	s_clause 0x1
	scratch_load_b64 v[18:19], off, off offset:744
	scratch_load_b64 v[16:17], off, off offset:736
	v_fma_f64 v[73:74], v[12:13], v[0:1], -v[44:45]
	v_fma_f64 v[77:78], v[14:15], v[0:1], v[4:5]
	s_clause 0x1
	scratch_load_b128 v[4:7], off, off offset:784
	scratch_load_b128 v[12:15], off, off offset:800
	v_fma_f64 v[79:80], v[51:52], v[0:1], v[42:43]
	s_clause 0x2
	scratch_load_b128 v[42:45], off, off offset:816
	scratch_load_b128 v[49:52], off, off offset:832
	;; [unrolled: 1-line block ×3, first 2 shown]
	s_waitcnt vmcnt(7)
	v_add_f64 v[53:54], v[53:54], -v[69:70]
	v_add_f64 v[55:56], v[55:56], -v[79:80]
	s_waitcnt vmcnt(4)
	v_add_f64 v[4:5], v[4:5], -v[46:47]
	s_waitcnt vmcnt(3)
	v_add_f64 v[14:15], v[14:15], -v[65:66]
	v_add_f64 v[6:7], v[6:7], -v[57:58]
	;; [unrolled: 1-line block ×3, first 2 shown]
	s_waitcnt vmcnt(2)
	v_add_f64 v[42:43], v[42:43], -v[67:68]
	ds_load_2addr_b64 v[65:68], v36 offset0:106 offset1:107
	v_add_f64 v[44:45], v[44:45], -v[71:72]
	ds_load_2addr_b64 v[69:72], v36 offset0:108 offset1:109
	s_waitcnt vmcnt(1)
	v_add_f64 v[49:50], v[49:50], -v[73:74]
	v_add_f64 v[51:52], v[51:52], -v[77:78]
	s_waitcnt vmcnt(0) lgkmcnt(1)
	v_mul_f64 v[46:47], v[67:68], v[2:3]
	v_mul_f64 v[57:58], v[65:66], v[2:3]
	s_waitcnt lgkmcnt(0)
	v_mul_f64 v[61:62], v[71:72], v[2:3]
	s_delay_alu instid0(VALU_DEP_3) | instskip(SKIP_1) | instid1(VALU_DEP_4)
	v_fma_f64 v[46:47], v[65:66], v[16:17], -v[46:47]
	v_mul_f64 v[65:66], v[69:70], v[2:3]
	v_fma_f64 v[57:58], v[67:68], v[16:17], v[57:58]
	s_delay_alu instid0(VALU_DEP_4) | instskip(NEXT) | instid1(VALU_DEP_3)
	v_fma_f64 v[61:62], v[69:70], v[16:17], -v[61:62]
	v_fma_f64 v[73:74], v[71:72], v[16:17], v[65:66]
	ds_load_2addr_b64 v[65:68], v36 offset0:110 offset1:111
	ds_load_2addr_b64 v[69:72], v36 offset0:112 offset1:113
	s_waitcnt lgkmcnt(1)
	v_mul_f64 v[77:78], v[67:68], v[2:3]
	s_delay_alu instid0(VALU_DEP_1) | instskip(SKIP_1) | instid1(VALU_DEP_1)
	v_fma_f64 v[81:82], v[65:66], v[16:17], -v[77:78]
	v_mul_f64 v[65:66], v[65:66], v[2:3]
	v_fma_f64 v[83:84], v[67:68], v[16:17], v[65:66]
	s_waitcnt lgkmcnt(0)
	v_mul_f64 v[65:66], v[71:72], v[2:3]
	s_delay_alu instid0(VALU_DEP_1) | instskip(SKIP_1) | instid1(VALU_DEP_1)
	v_fma_f64 v[85:86], v[69:70], v[16:17], -v[65:66]
	v_mul_f64 v[65:66], v[69:70], v[2:3]
	v_fma_f64 v[87:88], v[71:72], v[16:17], v[65:66]
	ds_load_2addr_b64 v[65:68], v36 offset0:114 offset1:115
	ds_load_2addr_b64 v[69:72], v36 offset0:116 offset1:117
	s_waitcnt lgkmcnt(1)
	v_mul_f64 v[77:78], v[67:68], v[2:3]
	s_delay_alu instid0(VALU_DEP_1) | instskip(SKIP_1) | instid1(VALU_DEP_1)
	v_fma_f64 v[89:90], v[65:66], v[16:17], -v[77:78]
	v_mul_f64 v[65:66], v[65:66], v[2:3]
	v_fma_f64 v[91:92], v[67:68], v[16:17], v[65:66]
	ds_load_2addr_b64 v[65:68], v36 offset0:118 offset1:119
	ds_load_2addr_b64 v[77:80], v36 offset0:120 offset1:121
	s_waitcnt lgkmcnt(1)
	v_mul_f64 v[93:94], v[67:68], v[18:19]
	s_delay_alu instid0(VALU_DEP_1) | instskip(SKIP_1) | instid1(VALU_DEP_1)
	v_fma_f64 v[97:98], v[65:66], v[0:1], -v[93:94]
	v_mul_f64 v[65:66], v[65:66], v[18:19]
	v_fma_f64 v[99:100], v[67:68], v[0:1], v[65:66]
	s_waitcnt lgkmcnt(0)
	v_mul_f64 v[65:66], v[79:80], v[18:19]
	s_delay_alu instid0(VALU_DEP_1) | instskip(SKIP_1) | instid1(VALU_DEP_1)
	v_fma_f64 v[101:102], v[77:78], v[0:1], -v[65:66]
	v_mul_f64 v[65:66], v[77:78], v[18:19]
	v_fma_f64 v[103:104], v[79:80], v[0:1], v[65:66]
	ds_load_2addr_b64 v[65:68], v36 offset0:122 offset1:123
	ds_load_2addr_b64 v[77:80], v36 offset0:124 offset1:125
	s_waitcnt lgkmcnt(1)
	v_mul_f64 v[93:94], v[67:68], v[18:19]
	s_delay_alu instid0(VALU_DEP_1) | instskip(SKIP_1) | instid1(VALU_DEP_1)
	v_fma_f64 v[105:106], v[65:66], v[0:1], -v[93:94]
	v_mul_f64 v[65:66], v[65:66], v[18:19]
	v_fma_f64 v[107:108], v[67:68], v[0:1], v[65:66]
	s_waitcnt lgkmcnt(0)
	v_mul_f64 v[65:66], v[79:80], v[18:19]
	s_delay_alu instid0(VALU_DEP_1) | instskip(SKIP_1) | instid1(VALU_DEP_1)
	v_fma_f64 v[117:118], v[77:78], v[0:1], -v[65:66]
	v_mul_f64 v[65:66], v[77:78], v[18:19]
	v_fma_f64 v[121:122], v[79:80], v[0:1], v[65:66]
	ds_load_2addr_b64 v[65:68], v36 offset0:126 offset1:127
	s_waitcnt lgkmcnt(0)
	v_mul_f64 v[77:78], v[67:68], v[18:19]
	v_mul_f64 v[18:19], v[65:66], v[18:19]
	s_delay_alu instid0(VALU_DEP_2) | instskip(NEXT) | instid1(VALU_DEP_2)
	v_fma_f64 v[125:126], v[65:66], v[0:1], -v[77:78]
	v_fma_f64 v[18:19], v[67:68], v[0:1], v[18:19]
	v_mul_f64 v[0:1], v[71:72], v[2:3]
	v_mul_f64 v[2:3], v[69:70], v[2:3]
	s_delay_alu instid0(VALU_DEP_2) | instskip(NEXT) | instid1(VALU_DEP_2)
	v_fma_f64 v[93:94], v[69:70], v[16:17], -v[0:1]
	v_fma_f64 v[16:17], v[71:72], v[16:17], v[2:3]
	s_clause 0x3
	scratch_load_b128 v[0:3], off, off offset:848
	scratch_load_b128 v[65:68], off, off offset:864
	;; [unrolled: 1-line block ×4, first 2 shown]
	s_waitcnt vmcnt(3)
	v_add_f64 v[0:1], v[0:1], -v[46:47]
	s_waitcnt vmcnt(1)
	v_add_f64 v[69:70], v[69:70], -v[81:82]
	v_add_f64 v[71:72], v[71:72], -v[83:84]
	s_waitcnt vmcnt(0)
	v_add_f64 v[77:78], v[77:78], -v[85:86]
	v_add_f64 v[79:80], v[79:80], -v[87:88]
	s_clause 0x1
	scratch_load_b128 v[81:84], off, off offset:912
	scratch_load_b128 v[85:88], off, off offset:928
	v_add_f64 v[2:3], v[2:3], -v[57:58]
	v_add_f64 v[65:66], v[65:66], -v[61:62]
	;; [unrolled: 1-line block ×3, first 2 shown]
	s_waitcnt vmcnt(1)
	v_add_f64 v[81:82], v[81:82], -v[89:90]
	v_add_f64 v[83:84], v[83:84], -v[91:92]
	s_waitcnt vmcnt(0)
	v_add_f64 v[85:86], v[85:86], -v[93:94]
	s_clause 0x1
	scratch_load_b128 v[89:92], off, off offset:944
	scratch_load_b128 v[93:96], off, off offset:960
	v_add_f64 v[87:88], v[87:88], -v[16:17]
	s_waitcnt vmcnt(1)
	v_add_f64 v[89:90], v[89:90], -v[97:98]
	v_add_f64 v[91:92], v[91:92], -v[99:100]
	s_waitcnt vmcnt(0)
	v_add_f64 v[93:94], v[93:94], -v[101:102]
	v_add_f64 v[95:96], v[95:96], -v[103:104]
	s_clause 0x1
	scratch_load_b128 v[97:100], off, off offset:976
	scratch_load_b128 v[101:104], off, off offset:992
	s_waitcnt vmcnt(1)
	v_add_f64 v[97:98], v[97:98], -v[105:106]
	v_add_f64 v[99:100], v[99:100], -v[107:108]
	scratch_load_b128 v[105:108], off, off offset:1008
	s_waitcnt vmcnt(1)
	v_add_f64 v[101:102], v[101:102], -v[117:118]
	v_add_f64 v[103:104], v[103:104], -v[121:122]
	s_waitcnt vmcnt(0)
	v_add_f64 v[105:106], v[105:106], -v[125:126]
	v_add_f64 v[107:108], v[107:108], -v[18:19]
	s_clause 0x10
	scratch_store_b128 off, v[8:11], off offset:752
	scratch_store_b128 off, v[12:15], off offset:800
	;; [unrolled: 1-line block ×17, first 2 shown]
.LBB126_1122:
	s_or_b32 exec_lo, exec_lo, s2
	s_waitcnt_vscnt null, 0x0
	s_barrier
	buffer_gl0_inv
	scratch_load_b128 v[0:3], v178, off
	v_lshl_add_u32 v4, v41, 4, v36
	s_cmp_lt_i32 s5, 49
	s_waitcnt vmcnt(0)
	ds_store_2addr_b64 v4, v[0:1], v[2:3] offset1:1
	s_waitcnt lgkmcnt(0)
	s_barrier
	buffer_gl0_inv
	ds_load_2addr_b64 v[0:3], v36 offset0:94 offset1:95
	v_mov_b32_e32 v4, 47
	s_cbranch_scc1 .LBB126_1125
; %bb.1123:
	v_add3_u32 v5, v38, 0, 0x300
	v_mov_b32_e32 v4, 47
	s_mov_b32 s6, 48
	s_set_inst_prefetch_distance 0x1
	.p2align	6
.LBB126_1124:                           ; =>This Inner Loop Header: Depth=1
	ds_load_2addr_b64 v[6:9], v5 offset1:1
	s_waitcnt lgkmcnt(1)
	v_cmp_gt_f64_e32 vcc_lo, 0, v[0:1]
	v_xor_b32_e32 v10, 0x80000000, v1
	v_cmp_gt_f64_e64 s2, 0, v[2:3]
	v_xor_b32_e32 v12, 0x80000000, v3
	v_add_nc_u32_e32 v5, 16, v5
	s_waitcnt lgkmcnt(0)
	v_cmp_gt_f64_e64 s3, 0, v[6:7]
	v_mov_b32_e32 v14, v6
	v_dual_mov_b32 v16, v8 :: v_dual_cndmask_b32 v11, v1, v10
	v_xor_b32_e32 v10, 0x80000000, v7
	v_cndmask_b32_e64 v13, v3, v12, s2
	v_xor_b32_e32 v12, 0x80000000, v9
	s_delay_alu instid0(VALU_DEP_3) | instskip(SKIP_2) | instid1(VALU_DEP_2)
	v_cndmask_b32_e64 v15, v7, v10, s3
	v_cmp_gt_f64_e64 s3, 0, v[8:9]
	v_cndmask_b32_e32 v10, v0, v0, vcc_lo
	v_cndmask_b32_e64 v17, v9, v12, s3
	v_cndmask_b32_e64 v12, v2, v2, s2
	s_delay_alu instid0(VALU_DEP_2) | instskip(NEXT) | instid1(VALU_DEP_2)
	v_add_f64 v[14:15], v[14:15], v[16:17]
	v_add_f64 v[10:11], v[10:11], v[12:13]
	s_delay_alu instid0(VALU_DEP_1)
	v_cmp_lt_f64_e32 vcc_lo, v[10:11], v[14:15]
	v_cndmask_b32_e32 v3, v3, v9, vcc_lo
	v_dual_cndmask_b32 v1, v1, v7 :: v_dual_cndmask_b32 v0, v0, v6
	v_cndmask_b32_e32 v2, v2, v8, vcc_lo
	v_cndmask_b32_e64 v4, v4, s6, vcc_lo
	s_add_i32 s6, s6, 1
	s_delay_alu instid0(SALU_CYCLE_1)
	s_cmp_lg_u32 s5, s6
	s_cbranch_scc1 .LBB126_1124
.LBB126_1125:
	s_set_inst_prefetch_distance 0x2
	s_waitcnt lgkmcnt(0)
	v_cmp_eq_f64_e32 vcc_lo, 0, v[0:1]
	v_cmp_eq_f64_e64 s2, 0, v[2:3]
	s_delay_alu instid0(VALU_DEP_1) | instskip(NEXT) | instid1(SALU_CYCLE_1)
	s_and_b32 s2, vcc_lo, s2
	s_and_saveexec_b32 s3, s2
	s_delay_alu instid0(SALU_CYCLE_1)
	s_xor_b32 s2, exec_lo, s3
; %bb.1126:
	v_cmp_ne_u32_e32 vcc_lo, 0, v37
	v_cndmask_b32_e32 v37, 48, v37, vcc_lo
; %bb.1127:
	s_and_not1_saveexec_b32 s3, s2
	s_cbranch_execz .LBB126_1133
; %bb.1128:
	v_cmp_gt_f64_e32 vcc_lo, 0, v[0:1]
	v_cmp_gt_f64_e64 s2, 0, v[2:3]
	v_xor_b32_e32 v5, 0x80000000, v1
	v_xor_b32_e32 v7, 0x80000000, v3
	s_delay_alu instid0(VALU_DEP_2) | instskip(NEXT) | instid1(VALU_DEP_2)
	v_dual_cndmask_b32 v6, v1, v5 :: v_dual_cndmask_b32 v5, v0, v0
	v_cndmask_b32_e64 v8, v3, v7, s2
	v_cndmask_b32_e64 v7, v2, v2, s2
	s_mov_b32 s2, exec_lo
	s_delay_alu instid0(VALU_DEP_1)
	v_cmpx_ngt_f64_e32 v[5:6], v[7:8]
	s_xor_b32 s2, exec_lo, s2
	s_cbranch_execz .LBB126_1130
; %bb.1129:
	v_div_scale_f64 v[5:6], null, v[2:3], v[2:3], v[0:1]
	v_div_scale_f64 v[11:12], vcc_lo, v[0:1], v[2:3], v[0:1]
	s_delay_alu instid0(VALU_DEP_2) | instskip(SKIP_2) | instid1(VALU_DEP_1)
	v_rcp_f64_e32 v[7:8], v[5:6]
	s_waitcnt_depctr 0xfff
	v_fma_f64 v[9:10], -v[5:6], v[7:8], 1.0
	v_fma_f64 v[7:8], v[7:8], v[9:10], v[7:8]
	s_delay_alu instid0(VALU_DEP_1) | instskip(NEXT) | instid1(VALU_DEP_1)
	v_fma_f64 v[9:10], -v[5:6], v[7:8], 1.0
	v_fma_f64 v[7:8], v[7:8], v[9:10], v[7:8]
	s_delay_alu instid0(VALU_DEP_1) | instskip(NEXT) | instid1(VALU_DEP_1)
	v_mul_f64 v[9:10], v[11:12], v[7:8]
	v_fma_f64 v[5:6], -v[5:6], v[9:10], v[11:12]
	s_delay_alu instid0(VALU_DEP_1) | instskip(NEXT) | instid1(VALU_DEP_1)
	v_div_fmas_f64 v[5:6], v[5:6], v[7:8], v[9:10]
	v_div_fixup_f64 v[5:6], v[5:6], v[2:3], v[0:1]
	s_delay_alu instid0(VALU_DEP_1) | instskip(NEXT) | instid1(VALU_DEP_1)
	v_fma_f64 v[0:1], v[0:1], v[5:6], v[2:3]
	v_div_scale_f64 v[2:3], null, v[0:1], v[0:1], 1.0
	s_delay_alu instid0(VALU_DEP_1) | instskip(SKIP_2) | instid1(VALU_DEP_1)
	v_rcp_f64_e32 v[7:8], v[2:3]
	s_waitcnt_depctr 0xfff
	v_fma_f64 v[9:10], -v[2:3], v[7:8], 1.0
	v_fma_f64 v[7:8], v[7:8], v[9:10], v[7:8]
	s_delay_alu instid0(VALU_DEP_1) | instskip(NEXT) | instid1(VALU_DEP_1)
	v_fma_f64 v[9:10], -v[2:3], v[7:8], 1.0
	v_fma_f64 v[7:8], v[7:8], v[9:10], v[7:8]
	v_div_scale_f64 v[9:10], vcc_lo, 1.0, v[0:1], 1.0
	s_delay_alu instid0(VALU_DEP_1) | instskip(NEXT) | instid1(VALU_DEP_1)
	v_mul_f64 v[11:12], v[9:10], v[7:8]
	v_fma_f64 v[2:3], -v[2:3], v[11:12], v[9:10]
	s_delay_alu instid0(VALU_DEP_1) | instskip(NEXT) | instid1(VALU_DEP_1)
	v_div_fmas_f64 v[2:3], v[2:3], v[7:8], v[11:12]
	v_div_fixup_f64 v[2:3], v[2:3], v[0:1], 1.0
	s_delay_alu instid0(VALU_DEP_1)
	v_mul_f64 v[0:1], v[5:6], v[2:3]
	v_xor_b32_e32 v3, 0x80000000, v3
.LBB126_1130:
	s_and_not1_saveexec_b32 s2, s2
	s_cbranch_execz .LBB126_1132
; %bb.1131:
	s_delay_alu instid0(VALU_DEP_1) | instskip(SKIP_1) | instid1(VALU_DEP_2)
	v_div_scale_f64 v[5:6], null, v[0:1], v[0:1], v[2:3]
	v_div_scale_f64 v[11:12], vcc_lo, v[2:3], v[0:1], v[2:3]
	v_rcp_f64_e32 v[7:8], v[5:6]
	s_waitcnt_depctr 0xfff
	v_fma_f64 v[9:10], -v[5:6], v[7:8], 1.0
	s_delay_alu instid0(VALU_DEP_1) | instskip(NEXT) | instid1(VALU_DEP_1)
	v_fma_f64 v[7:8], v[7:8], v[9:10], v[7:8]
	v_fma_f64 v[9:10], -v[5:6], v[7:8], 1.0
	s_delay_alu instid0(VALU_DEP_1) | instskip(NEXT) | instid1(VALU_DEP_1)
	v_fma_f64 v[7:8], v[7:8], v[9:10], v[7:8]
	v_mul_f64 v[9:10], v[11:12], v[7:8]
	s_delay_alu instid0(VALU_DEP_1) | instskip(NEXT) | instid1(VALU_DEP_1)
	v_fma_f64 v[5:6], -v[5:6], v[9:10], v[11:12]
	v_div_fmas_f64 v[5:6], v[5:6], v[7:8], v[9:10]
	s_delay_alu instid0(VALU_DEP_1) | instskip(NEXT) | instid1(VALU_DEP_1)
	v_div_fixup_f64 v[5:6], v[5:6], v[0:1], v[2:3]
	v_fma_f64 v[0:1], v[2:3], v[5:6], v[0:1]
	s_delay_alu instid0(VALU_DEP_1) | instskip(NEXT) | instid1(VALU_DEP_1)
	v_div_scale_f64 v[2:3], null, v[0:1], v[0:1], 1.0
	v_rcp_f64_e32 v[7:8], v[2:3]
	s_waitcnt_depctr 0xfff
	v_fma_f64 v[9:10], -v[2:3], v[7:8], 1.0
	s_delay_alu instid0(VALU_DEP_1) | instskip(NEXT) | instid1(VALU_DEP_1)
	v_fma_f64 v[7:8], v[7:8], v[9:10], v[7:8]
	v_fma_f64 v[9:10], -v[2:3], v[7:8], 1.0
	s_delay_alu instid0(VALU_DEP_1) | instskip(SKIP_1) | instid1(VALU_DEP_1)
	v_fma_f64 v[7:8], v[7:8], v[9:10], v[7:8]
	v_div_scale_f64 v[9:10], vcc_lo, 1.0, v[0:1], 1.0
	v_mul_f64 v[11:12], v[9:10], v[7:8]
	s_delay_alu instid0(VALU_DEP_1) | instskip(NEXT) | instid1(VALU_DEP_1)
	v_fma_f64 v[2:3], -v[2:3], v[11:12], v[9:10]
	v_div_fmas_f64 v[2:3], v[2:3], v[7:8], v[11:12]
	s_delay_alu instid0(VALU_DEP_1) | instskip(NEXT) | instid1(VALU_DEP_1)
	v_div_fixup_f64 v[0:1], v[2:3], v[0:1], 1.0
	v_mul_f64 v[2:3], v[5:6], -v[0:1]
.LBB126_1132:
	s_or_b32 exec_lo, exec_lo, s2
.LBB126_1133:
	s_delay_alu instid0(SALU_CYCLE_1) | instskip(NEXT) | instid1(SALU_CYCLE_1)
	s_or_b32 exec_lo, exec_lo, s3
	s_mov_b32 s2, exec_lo
	v_cmpx_ne_u32_e64 v41, v4
	s_xor_b32 s2, exec_lo, s2
	s_cbranch_execz .LBB126_1139
; %bb.1134:
	s_mov_b32 s3, exec_lo
	v_cmpx_eq_u32_e32 47, v41
	s_cbranch_execz .LBB126_1138
; %bb.1135:
	v_cmp_ne_u32_e32 vcc_lo, 47, v4
	s_xor_b32 s6, s4, -1
	s_delay_alu instid0(SALU_CYCLE_1) | instskip(NEXT) | instid1(SALU_CYCLE_1)
	s_and_b32 s7, s6, vcc_lo
	s_and_saveexec_b32 s6, s7
	s_cbranch_execz .LBB126_1137
; %bb.1136:
	v_ashrrev_i32_e32 v5, 31, v4
	s_delay_alu instid0(VALU_DEP_1) | instskip(NEXT) | instid1(VALU_DEP_1)
	v_lshlrev_b64 v[5:6], 2, v[4:5]
	v_add_co_u32 v5, vcc_lo, v250, v5
	s_delay_alu instid0(VALU_DEP_2)
	v_add_co_ci_u32_e32 v6, vcc_lo, v251, v6, vcc_lo
	s_clause 0x1
	flat_load_b32 v7, v[5:6]
	flat_load_b32 v8, v[250:251] offset:188
	s_waitcnt vmcnt(1) lgkmcnt(1)
	flat_store_b32 v[250:251], v7 offset:188
	s_waitcnt vmcnt(0) lgkmcnt(1)
	flat_store_b32 v[5:6], v8
.LBB126_1137:
	s_or_b32 exec_lo, exec_lo, s6
	v_mov_b32_e32 v41, v4
	v_mov_b32_e32 v39, v4
.LBB126_1138:
	s_or_b32 exec_lo, exec_lo, s3
.LBB126_1139:
	s_and_not1_saveexec_b32 s2, s2
	s_cbranch_execz .LBB126_1141
; %bb.1140:
	s_clause 0xf
	scratch_load_b128 v[4:7], v177, off
	scratch_load_b128 v[8:11], v176, off
	;; [unrolled: 1-line block ×16, first 2 shown]
	v_mov_b32_e32 v41, 47
	s_waitcnt vmcnt(15)
	ds_store_2addr_b64 v36, v[4:5], v[6:7] offset0:96 offset1:97
	s_waitcnt vmcnt(14)
	ds_store_2addr_b64 v36, v[8:9], v[10:11] offset0:98 offset1:99
	;; [unrolled: 2-line block ×16, first 2 shown]
.LBB126_1141:
	s_or_b32 exec_lo, exec_lo, s2
	s_delay_alu instid0(SALU_CYCLE_1)
	s_mov_b32 s2, exec_lo
	s_waitcnt lgkmcnt(0)
	s_waitcnt_vscnt null, 0x0
	s_barrier
	buffer_gl0_inv
	v_cmpx_lt_i32_e32 47, v41
	s_cbranch_execz .LBB126_1143
; %bb.1142:
	s_clause 0x1
	scratch_load_b128 v[4:7], off, off offset:752
	scratch_load_b128 v[8:11], off, off offset:768
	s_waitcnt vmcnt(1)
	v_mul_f64 v[12:13], v[0:1], v[6:7]
	v_mul_f64 v[6:7], v[2:3], v[6:7]
	s_delay_alu instid0(VALU_DEP_2)
	v_fma_f64 v[2:3], v[2:3], v[4:5], v[12:13]
	ds_load_2addr_b64 v[12:15], v36 offset0:96 offset1:97
	ds_load_2addr_b64 v[42:45], v36 offset0:100 offset1:101
	;; [unrolled: 1-line block ×3, first 2 shown]
	v_fma_f64 v[0:1], v[0:1], v[4:5], -v[6:7]
	ds_load_2addr_b64 v[4:7], v36 offset0:102 offset1:103
	ds_load_2addr_b64 v[53:56], v36 offset0:104 offset1:105
	s_waitcnt lgkmcnt(3)
	v_mul_f64 v[46:47], v[44:45], v[2:3]
	v_mul_f64 v[16:17], v[14:15], v[2:3]
	;; [unrolled: 1-line block ×4, first 2 shown]
	s_waitcnt lgkmcnt(1)
	v_mul_f64 v[61:62], v[6:7], v[2:3]
	v_mul_f64 v[65:66], v[4:5], v[2:3]
	s_waitcnt lgkmcnt(0)
	v_mul_f64 v[67:68], v[55:56], v[2:3]
	v_mul_f64 v[69:70], v[51:52], v[2:3]
	scratch_store_b128 off, v[0:3], off offset:752
	v_fma_f64 v[46:47], v[42:43], v[0:1], -v[46:47]
	v_mul_f64 v[42:43], v[53:54], v[2:3]
	v_fma_f64 v[16:17], v[12:13], v[0:1], -v[16:17]
	v_fma_f64 v[18:19], v[14:15], v[0:1], v[18:19]
	ds_load_2addr_b64 v[12:15], v36 offset0:106 offset1:107
	v_fma_f64 v[57:58], v[44:45], v[0:1], v[57:58]
	v_fma_f64 v[61:62], v[4:5], v[0:1], -v[61:62]
	v_fma_f64 v[65:66], v[6:7], v[0:1], v[65:66]
	v_fma_f64 v[67:68], v[53:54], v[0:1], -v[67:68]
	v_fma_f64 v[69:70], v[49:50], v[0:1], -v[69:70]
	s_waitcnt lgkmcnt(0)
	v_mul_f64 v[44:45], v[14:15], v[2:3]
	v_mul_f64 v[4:5], v[12:13], v[2:3]
	v_fma_f64 v[71:72], v[55:56], v[0:1], v[42:43]
	v_mul_f64 v[42:43], v[49:50], v[2:3]
	scratch_load_b128 v[53:56], off, off offset:784
	s_waitcnt vmcnt(1)
	v_add_f64 v[8:9], v[8:9], -v[16:17]
	v_add_f64 v[10:11], v[10:11], -v[18:19]
	s_clause 0x1
	scratch_load_b64 v[18:19], off, off offset:760
	scratch_load_b64 v[16:17], off, off offset:752
	v_fma_f64 v[73:74], v[12:13], v[0:1], -v[44:45]
	v_fma_f64 v[77:78], v[14:15], v[0:1], v[4:5]
	s_clause 0x1
	scratch_load_b128 v[4:7], off, off offset:800
	scratch_load_b128 v[12:15], off, off offset:816
	v_fma_f64 v[79:80], v[51:52], v[0:1], v[42:43]
	s_clause 0x2
	scratch_load_b128 v[42:45], off, off offset:832
	scratch_load_b128 v[49:52], off, off offset:848
	;; [unrolled: 1-line block ×3, first 2 shown]
	s_waitcnt vmcnt(7)
	v_add_f64 v[53:54], v[53:54], -v[69:70]
	v_add_f64 v[55:56], v[55:56], -v[79:80]
	s_waitcnt vmcnt(4)
	v_add_f64 v[4:5], v[4:5], -v[46:47]
	s_waitcnt vmcnt(3)
	v_add_f64 v[14:15], v[14:15], -v[65:66]
	v_add_f64 v[6:7], v[6:7], -v[57:58]
	v_add_f64 v[12:13], v[12:13], -v[61:62]
	s_waitcnt vmcnt(2)
	v_add_f64 v[42:43], v[42:43], -v[67:68]
	ds_load_2addr_b64 v[65:68], v36 offset0:108 offset1:109
	v_add_f64 v[44:45], v[44:45], -v[71:72]
	ds_load_2addr_b64 v[69:72], v36 offset0:110 offset1:111
	s_waitcnt vmcnt(1)
	v_add_f64 v[49:50], v[49:50], -v[73:74]
	v_add_f64 v[51:52], v[51:52], -v[77:78]
	s_waitcnt vmcnt(0) lgkmcnt(1)
	v_mul_f64 v[46:47], v[67:68], v[2:3]
	v_mul_f64 v[57:58], v[65:66], v[2:3]
	s_waitcnt lgkmcnt(0)
	v_mul_f64 v[61:62], v[71:72], v[2:3]
	s_delay_alu instid0(VALU_DEP_3) | instskip(SKIP_1) | instid1(VALU_DEP_4)
	v_fma_f64 v[46:47], v[65:66], v[16:17], -v[46:47]
	v_mul_f64 v[65:66], v[69:70], v[2:3]
	v_fma_f64 v[57:58], v[67:68], v[16:17], v[57:58]
	s_delay_alu instid0(VALU_DEP_4) | instskip(NEXT) | instid1(VALU_DEP_3)
	v_fma_f64 v[61:62], v[69:70], v[16:17], -v[61:62]
	v_fma_f64 v[73:74], v[71:72], v[16:17], v[65:66]
	ds_load_2addr_b64 v[65:68], v36 offset0:112 offset1:113
	ds_load_2addr_b64 v[69:72], v36 offset0:114 offset1:115
	s_waitcnt lgkmcnt(1)
	v_mul_f64 v[77:78], v[67:68], v[2:3]
	s_delay_alu instid0(VALU_DEP_1) | instskip(SKIP_1) | instid1(VALU_DEP_1)
	v_fma_f64 v[81:82], v[65:66], v[16:17], -v[77:78]
	v_mul_f64 v[65:66], v[65:66], v[2:3]
	v_fma_f64 v[83:84], v[67:68], v[16:17], v[65:66]
	s_waitcnt lgkmcnt(0)
	v_mul_f64 v[65:66], v[71:72], v[2:3]
	s_delay_alu instid0(VALU_DEP_1) | instskip(SKIP_1) | instid1(VALU_DEP_1)
	v_fma_f64 v[85:86], v[69:70], v[16:17], -v[65:66]
	v_mul_f64 v[65:66], v[69:70], v[2:3]
	v_fma_f64 v[87:88], v[71:72], v[16:17], v[65:66]
	ds_load_2addr_b64 v[65:68], v36 offset0:116 offset1:117
	ds_load_2addr_b64 v[69:72], v36 offset0:118 offset1:119
	s_waitcnt lgkmcnt(1)
	v_mul_f64 v[77:78], v[67:68], v[2:3]
	s_delay_alu instid0(VALU_DEP_1) | instskip(SKIP_1) | instid1(VALU_DEP_1)
	v_fma_f64 v[89:90], v[65:66], v[16:17], -v[77:78]
	v_mul_f64 v[65:66], v[65:66], v[2:3]
	v_fma_f64 v[91:92], v[67:68], v[16:17], v[65:66]
	ds_load_2addr_b64 v[65:68], v36 offset0:120 offset1:121
	ds_load_2addr_b64 v[77:80], v36 offset0:122 offset1:123
	s_waitcnt lgkmcnt(1)
	v_mul_f64 v[93:94], v[67:68], v[18:19]
	s_delay_alu instid0(VALU_DEP_1) | instskip(SKIP_1) | instid1(VALU_DEP_1)
	v_fma_f64 v[97:98], v[65:66], v[0:1], -v[93:94]
	v_mul_f64 v[65:66], v[65:66], v[18:19]
	v_fma_f64 v[99:100], v[67:68], v[0:1], v[65:66]
	s_waitcnt lgkmcnt(0)
	v_mul_f64 v[65:66], v[79:80], v[18:19]
	s_delay_alu instid0(VALU_DEP_1) | instskip(SKIP_1) | instid1(VALU_DEP_1)
	v_fma_f64 v[101:102], v[77:78], v[0:1], -v[65:66]
	v_mul_f64 v[65:66], v[77:78], v[18:19]
	v_fma_f64 v[103:104], v[79:80], v[0:1], v[65:66]
	ds_load_2addr_b64 v[65:68], v36 offset0:124 offset1:125
	ds_load_2addr_b64 v[77:80], v36 offset0:126 offset1:127
	s_waitcnt lgkmcnt(1)
	v_mul_f64 v[93:94], v[67:68], v[18:19]
	s_delay_alu instid0(VALU_DEP_1) | instskip(SKIP_1) | instid1(VALU_DEP_1)
	v_fma_f64 v[105:106], v[65:66], v[0:1], -v[93:94]
	v_mul_f64 v[65:66], v[65:66], v[18:19]
	v_fma_f64 v[107:108], v[67:68], v[0:1], v[65:66]
	s_waitcnt lgkmcnt(0)
	v_mul_f64 v[65:66], v[79:80], v[18:19]
	v_mul_f64 v[18:19], v[77:78], v[18:19]
	s_delay_alu instid0(VALU_DEP_2) | instskip(NEXT) | instid1(VALU_DEP_2)
	v_fma_f64 v[117:118], v[77:78], v[0:1], -v[65:66]
	v_fma_f64 v[18:19], v[79:80], v[0:1], v[18:19]
	v_mul_f64 v[0:1], v[71:72], v[2:3]
	v_mul_f64 v[2:3], v[69:70], v[2:3]
	s_delay_alu instid0(VALU_DEP_2) | instskip(NEXT) | instid1(VALU_DEP_2)
	v_fma_f64 v[93:94], v[69:70], v[16:17], -v[0:1]
	v_fma_f64 v[16:17], v[71:72], v[16:17], v[2:3]
	s_clause 0x3
	scratch_load_b128 v[0:3], off, off offset:864
	scratch_load_b128 v[65:68], off, off offset:880
	;; [unrolled: 1-line block ×4, first 2 shown]
	s_waitcnt vmcnt(3)
	v_add_f64 v[0:1], v[0:1], -v[46:47]
	s_waitcnt vmcnt(1)
	v_add_f64 v[69:70], v[69:70], -v[81:82]
	v_add_f64 v[71:72], v[71:72], -v[83:84]
	s_waitcnt vmcnt(0)
	v_add_f64 v[77:78], v[77:78], -v[85:86]
	v_add_f64 v[79:80], v[79:80], -v[87:88]
	s_clause 0x1
	scratch_load_b128 v[81:84], off, off offset:928
	scratch_load_b128 v[85:88], off, off offset:944
	v_add_f64 v[2:3], v[2:3], -v[57:58]
	v_add_f64 v[65:66], v[65:66], -v[61:62]
	;; [unrolled: 1-line block ×3, first 2 shown]
	s_waitcnt vmcnt(1)
	v_add_f64 v[81:82], v[81:82], -v[89:90]
	v_add_f64 v[83:84], v[83:84], -v[91:92]
	s_waitcnt vmcnt(0)
	v_add_f64 v[85:86], v[85:86], -v[93:94]
	s_clause 0x1
	scratch_load_b128 v[89:92], off, off offset:960
	scratch_load_b128 v[93:96], off, off offset:976
	v_add_f64 v[87:88], v[87:88], -v[16:17]
	s_waitcnt vmcnt(1)
	v_add_f64 v[89:90], v[89:90], -v[97:98]
	v_add_f64 v[91:92], v[91:92], -v[99:100]
	s_waitcnt vmcnt(0)
	v_add_f64 v[93:94], v[93:94], -v[101:102]
	v_add_f64 v[95:96], v[95:96], -v[103:104]
	s_clause 0x1
	scratch_load_b128 v[97:100], off, off offset:992
	scratch_load_b128 v[101:104], off, off offset:1008
	s_waitcnt vmcnt(1)
	v_add_f64 v[97:98], v[97:98], -v[105:106]
	v_add_f64 v[99:100], v[99:100], -v[107:108]
	s_waitcnt vmcnt(0)
	v_add_f64 v[101:102], v[101:102], -v[117:118]
	v_add_f64 v[103:104], v[103:104], -v[18:19]
	s_clause 0xf
	scratch_store_b128 off, v[8:11], off offset:768
	scratch_store_b128 off, v[12:15], off offset:816
	;; [unrolled: 1-line block ×16, first 2 shown]
.LBB126_1143:
	s_or_b32 exec_lo, exec_lo, s2
	s_waitcnt_vscnt null, 0x0
	s_barrier
	buffer_gl0_inv
	scratch_load_b128 v[0:3], v177, off
	v_lshl_add_u32 v4, v41, 4, v36
	s_cmp_lt_i32 s5, 50
	s_waitcnt vmcnt(0)
	ds_store_2addr_b64 v4, v[0:1], v[2:3] offset1:1
	s_waitcnt lgkmcnt(0)
	s_barrier
	buffer_gl0_inv
	ds_load_2addr_b64 v[0:3], v36 offset0:96 offset1:97
	v_mov_b32_e32 v4, 48
	s_cbranch_scc1 .LBB126_1146
; %bb.1144:
	v_add3_u32 v5, v38, 0, 0x310
	v_mov_b32_e32 v4, 48
	s_mov_b32 s6, 49
	s_set_inst_prefetch_distance 0x1
	.p2align	6
.LBB126_1145:                           ; =>This Inner Loop Header: Depth=1
	ds_load_2addr_b64 v[6:9], v5 offset1:1
	s_waitcnt lgkmcnt(1)
	v_cmp_gt_f64_e32 vcc_lo, 0, v[0:1]
	v_xor_b32_e32 v10, 0x80000000, v1
	v_cmp_gt_f64_e64 s2, 0, v[2:3]
	v_xor_b32_e32 v12, 0x80000000, v3
	v_add_nc_u32_e32 v5, 16, v5
	s_waitcnt lgkmcnt(0)
	v_cmp_gt_f64_e64 s3, 0, v[6:7]
	v_mov_b32_e32 v14, v6
	v_dual_mov_b32 v16, v8 :: v_dual_cndmask_b32 v11, v1, v10
	v_xor_b32_e32 v10, 0x80000000, v7
	v_cndmask_b32_e64 v13, v3, v12, s2
	v_xor_b32_e32 v12, 0x80000000, v9
	s_delay_alu instid0(VALU_DEP_3) | instskip(SKIP_2) | instid1(VALU_DEP_2)
	v_cndmask_b32_e64 v15, v7, v10, s3
	v_cmp_gt_f64_e64 s3, 0, v[8:9]
	v_cndmask_b32_e32 v10, v0, v0, vcc_lo
	v_cndmask_b32_e64 v17, v9, v12, s3
	v_cndmask_b32_e64 v12, v2, v2, s2
	s_delay_alu instid0(VALU_DEP_2) | instskip(NEXT) | instid1(VALU_DEP_2)
	v_add_f64 v[14:15], v[14:15], v[16:17]
	v_add_f64 v[10:11], v[10:11], v[12:13]
	s_delay_alu instid0(VALU_DEP_1)
	v_cmp_lt_f64_e32 vcc_lo, v[10:11], v[14:15]
	v_cndmask_b32_e32 v3, v3, v9, vcc_lo
	v_dual_cndmask_b32 v1, v1, v7 :: v_dual_cndmask_b32 v0, v0, v6
	v_cndmask_b32_e32 v2, v2, v8, vcc_lo
	v_cndmask_b32_e64 v4, v4, s6, vcc_lo
	s_add_i32 s6, s6, 1
	s_delay_alu instid0(SALU_CYCLE_1)
	s_cmp_lg_u32 s5, s6
	s_cbranch_scc1 .LBB126_1145
.LBB126_1146:
	s_set_inst_prefetch_distance 0x2
	s_waitcnt lgkmcnt(0)
	v_cmp_eq_f64_e32 vcc_lo, 0, v[0:1]
	v_cmp_eq_f64_e64 s2, 0, v[2:3]
	s_delay_alu instid0(VALU_DEP_1) | instskip(NEXT) | instid1(SALU_CYCLE_1)
	s_and_b32 s2, vcc_lo, s2
	s_and_saveexec_b32 s3, s2
	s_delay_alu instid0(SALU_CYCLE_1)
	s_xor_b32 s2, exec_lo, s3
; %bb.1147:
	v_cmp_ne_u32_e32 vcc_lo, 0, v37
	v_cndmask_b32_e32 v37, 49, v37, vcc_lo
; %bb.1148:
	s_and_not1_saveexec_b32 s3, s2
	s_cbranch_execz .LBB126_1154
; %bb.1149:
	v_cmp_gt_f64_e32 vcc_lo, 0, v[0:1]
	v_cmp_gt_f64_e64 s2, 0, v[2:3]
	v_xor_b32_e32 v5, 0x80000000, v1
	v_xor_b32_e32 v7, 0x80000000, v3
	s_delay_alu instid0(VALU_DEP_2) | instskip(NEXT) | instid1(VALU_DEP_2)
	v_dual_cndmask_b32 v6, v1, v5 :: v_dual_cndmask_b32 v5, v0, v0
	v_cndmask_b32_e64 v8, v3, v7, s2
	v_cndmask_b32_e64 v7, v2, v2, s2
	s_mov_b32 s2, exec_lo
	s_delay_alu instid0(VALU_DEP_1)
	v_cmpx_ngt_f64_e32 v[5:6], v[7:8]
	s_xor_b32 s2, exec_lo, s2
	s_cbranch_execz .LBB126_1151
; %bb.1150:
	v_div_scale_f64 v[5:6], null, v[2:3], v[2:3], v[0:1]
	v_div_scale_f64 v[11:12], vcc_lo, v[0:1], v[2:3], v[0:1]
	s_delay_alu instid0(VALU_DEP_2) | instskip(SKIP_2) | instid1(VALU_DEP_1)
	v_rcp_f64_e32 v[7:8], v[5:6]
	s_waitcnt_depctr 0xfff
	v_fma_f64 v[9:10], -v[5:6], v[7:8], 1.0
	v_fma_f64 v[7:8], v[7:8], v[9:10], v[7:8]
	s_delay_alu instid0(VALU_DEP_1) | instskip(NEXT) | instid1(VALU_DEP_1)
	v_fma_f64 v[9:10], -v[5:6], v[7:8], 1.0
	v_fma_f64 v[7:8], v[7:8], v[9:10], v[7:8]
	s_delay_alu instid0(VALU_DEP_1) | instskip(NEXT) | instid1(VALU_DEP_1)
	v_mul_f64 v[9:10], v[11:12], v[7:8]
	v_fma_f64 v[5:6], -v[5:6], v[9:10], v[11:12]
	s_delay_alu instid0(VALU_DEP_1) | instskip(NEXT) | instid1(VALU_DEP_1)
	v_div_fmas_f64 v[5:6], v[5:6], v[7:8], v[9:10]
	v_div_fixup_f64 v[5:6], v[5:6], v[2:3], v[0:1]
	s_delay_alu instid0(VALU_DEP_1) | instskip(NEXT) | instid1(VALU_DEP_1)
	v_fma_f64 v[0:1], v[0:1], v[5:6], v[2:3]
	v_div_scale_f64 v[2:3], null, v[0:1], v[0:1], 1.0
	s_delay_alu instid0(VALU_DEP_1) | instskip(SKIP_2) | instid1(VALU_DEP_1)
	v_rcp_f64_e32 v[7:8], v[2:3]
	s_waitcnt_depctr 0xfff
	v_fma_f64 v[9:10], -v[2:3], v[7:8], 1.0
	v_fma_f64 v[7:8], v[7:8], v[9:10], v[7:8]
	s_delay_alu instid0(VALU_DEP_1) | instskip(NEXT) | instid1(VALU_DEP_1)
	v_fma_f64 v[9:10], -v[2:3], v[7:8], 1.0
	v_fma_f64 v[7:8], v[7:8], v[9:10], v[7:8]
	v_div_scale_f64 v[9:10], vcc_lo, 1.0, v[0:1], 1.0
	s_delay_alu instid0(VALU_DEP_1) | instskip(NEXT) | instid1(VALU_DEP_1)
	v_mul_f64 v[11:12], v[9:10], v[7:8]
	v_fma_f64 v[2:3], -v[2:3], v[11:12], v[9:10]
	s_delay_alu instid0(VALU_DEP_1) | instskip(NEXT) | instid1(VALU_DEP_1)
	v_div_fmas_f64 v[2:3], v[2:3], v[7:8], v[11:12]
	v_div_fixup_f64 v[2:3], v[2:3], v[0:1], 1.0
	s_delay_alu instid0(VALU_DEP_1)
	v_mul_f64 v[0:1], v[5:6], v[2:3]
	v_xor_b32_e32 v3, 0x80000000, v3
.LBB126_1151:
	s_and_not1_saveexec_b32 s2, s2
	s_cbranch_execz .LBB126_1153
; %bb.1152:
	s_delay_alu instid0(VALU_DEP_1) | instskip(SKIP_1) | instid1(VALU_DEP_2)
	v_div_scale_f64 v[5:6], null, v[0:1], v[0:1], v[2:3]
	v_div_scale_f64 v[11:12], vcc_lo, v[2:3], v[0:1], v[2:3]
	v_rcp_f64_e32 v[7:8], v[5:6]
	s_waitcnt_depctr 0xfff
	v_fma_f64 v[9:10], -v[5:6], v[7:8], 1.0
	s_delay_alu instid0(VALU_DEP_1) | instskip(NEXT) | instid1(VALU_DEP_1)
	v_fma_f64 v[7:8], v[7:8], v[9:10], v[7:8]
	v_fma_f64 v[9:10], -v[5:6], v[7:8], 1.0
	s_delay_alu instid0(VALU_DEP_1) | instskip(NEXT) | instid1(VALU_DEP_1)
	v_fma_f64 v[7:8], v[7:8], v[9:10], v[7:8]
	v_mul_f64 v[9:10], v[11:12], v[7:8]
	s_delay_alu instid0(VALU_DEP_1) | instskip(NEXT) | instid1(VALU_DEP_1)
	v_fma_f64 v[5:6], -v[5:6], v[9:10], v[11:12]
	v_div_fmas_f64 v[5:6], v[5:6], v[7:8], v[9:10]
	s_delay_alu instid0(VALU_DEP_1) | instskip(NEXT) | instid1(VALU_DEP_1)
	v_div_fixup_f64 v[5:6], v[5:6], v[0:1], v[2:3]
	v_fma_f64 v[0:1], v[2:3], v[5:6], v[0:1]
	s_delay_alu instid0(VALU_DEP_1) | instskip(NEXT) | instid1(VALU_DEP_1)
	v_div_scale_f64 v[2:3], null, v[0:1], v[0:1], 1.0
	v_rcp_f64_e32 v[7:8], v[2:3]
	s_waitcnt_depctr 0xfff
	v_fma_f64 v[9:10], -v[2:3], v[7:8], 1.0
	s_delay_alu instid0(VALU_DEP_1) | instskip(NEXT) | instid1(VALU_DEP_1)
	v_fma_f64 v[7:8], v[7:8], v[9:10], v[7:8]
	v_fma_f64 v[9:10], -v[2:3], v[7:8], 1.0
	s_delay_alu instid0(VALU_DEP_1) | instskip(SKIP_1) | instid1(VALU_DEP_1)
	v_fma_f64 v[7:8], v[7:8], v[9:10], v[7:8]
	v_div_scale_f64 v[9:10], vcc_lo, 1.0, v[0:1], 1.0
	v_mul_f64 v[11:12], v[9:10], v[7:8]
	s_delay_alu instid0(VALU_DEP_1) | instskip(NEXT) | instid1(VALU_DEP_1)
	v_fma_f64 v[2:3], -v[2:3], v[11:12], v[9:10]
	v_div_fmas_f64 v[2:3], v[2:3], v[7:8], v[11:12]
	s_delay_alu instid0(VALU_DEP_1) | instskip(NEXT) | instid1(VALU_DEP_1)
	v_div_fixup_f64 v[0:1], v[2:3], v[0:1], 1.0
	v_mul_f64 v[2:3], v[5:6], -v[0:1]
.LBB126_1153:
	s_or_b32 exec_lo, exec_lo, s2
.LBB126_1154:
	s_delay_alu instid0(SALU_CYCLE_1) | instskip(NEXT) | instid1(SALU_CYCLE_1)
	s_or_b32 exec_lo, exec_lo, s3
	s_mov_b32 s2, exec_lo
	v_cmpx_ne_u32_e64 v41, v4
	s_xor_b32 s2, exec_lo, s2
	s_cbranch_execz .LBB126_1160
; %bb.1155:
	s_mov_b32 s3, exec_lo
	v_cmpx_eq_u32_e32 48, v41
	s_cbranch_execz .LBB126_1159
; %bb.1156:
	v_cmp_ne_u32_e32 vcc_lo, 48, v4
	s_xor_b32 s6, s4, -1
	s_delay_alu instid0(SALU_CYCLE_1) | instskip(NEXT) | instid1(SALU_CYCLE_1)
	s_and_b32 s7, s6, vcc_lo
	s_and_saveexec_b32 s6, s7
	s_cbranch_execz .LBB126_1158
; %bb.1157:
	v_ashrrev_i32_e32 v5, 31, v4
	s_delay_alu instid0(VALU_DEP_1) | instskip(NEXT) | instid1(VALU_DEP_1)
	v_lshlrev_b64 v[5:6], 2, v[4:5]
	v_add_co_u32 v5, vcc_lo, v250, v5
	s_delay_alu instid0(VALU_DEP_2)
	v_add_co_ci_u32_e32 v6, vcc_lo, v251, v6, vcc_lo
	s_clause 0x1
	flat_load_b32 v7, v[5:6]
	flat_load_b32 v8, v[250:251] offset:192
	s_waitcnt vmcnt(1) lgkmcnt(1)
	flat_store_b32 v[250:251], v7 offset:192
	s_waitcnt vmcnt(0) lgkmcnt(1)
	flat_store_b32 v[5:6], v8
.LBB126_1158:
	s_or_b32 exec_lo, exec_lo, s6
	v_mov_b32_e32 v41, v4
	v_mov_b32_e32 v39, v4
.LBB126_1159:
	s_or_b32 exec_lo, exec_lo, s3
.LBB126_1160:
	s_and_not1_saveexec_b32 s2, s2
	s_cbranch_execz .LBB126_1162
; %bb.1161:
	s_clause 0xe
	scratch_load_b128 v[4:7], v176, off
	scratch_load_b128 v[8:11], v175, off
	;; [unrolled: 1-line block ×15, first 2 shown]
	v_mov_b32_e32 v41, 48
	s_waitcnt vmcnt(14)
	ds_store_2addr_b64 v36, v[4:5], v[6:7] offset0:98 offset1:99
	s_waitcnt vmcnt(13)
	ds_store_2addr_b64 v36, v[8:9], v[10:11] offset0:100 offset1:101
	;; [unrolled: 2-line block ×15, first 2 shown]
.LBB126_1162:
	s_or_b32 exec_lo, exec_lo, s2
	s_delay_alu instid0(SALU_CYCLE_1)
	s_mov_b32 s2, exec_lo
	s_waitcnt lgkmcnt(0)
	s_waitcnt_vscnt null, 0x0
	s_barrier
	buffer_gl0_inv
	v_cmpx_lt_i32_e32 48, v41
	s_cbranch_execz .LBB126_1164
; %bb.1163:
	s_clause 0x1
	scratch_load_b128 v[4:7], off, off offset:768
	scratch_load_b128 v[8:11], off, off offset:784
	s_waitcnt vmcnt(1)
	v_mul_f64 v[12:13], v[0:1], v[6:7]
	v_mul_f64 v[6:7], v[2:3], v[6:7]
	s_delay_alu instid0(VALU_DEP_2)
	v_fma_f64 v[2:3], v[2:3], v[4:5], v[12:13]
	ds_load_2addr_b64 v[12:15], v36 offset0:98 offset1:99
	ds_load_2addr_b64 v[42:45], v36 offset0:102 offset1:103
	;; [unrolled: 1-line block ×3, first 2 shown]
	v_fma_f64 v[0:1], v[0:1], v[4:5], -v[6:7]
	ds_load_2addr_b64 v[4:7], v36 offset0:104 offset1:105
	ds_load_2addr_b64 v[53:56], v36 offset0:106 offset1:107
	;; [unrolled: 1-line block ×3, first 2 shown]
	s_waitcnt lgkmcnt(5)
	v_mul_f64 v[16:17], v[14:15], v[2:3]
	v_mul_f64 v[18:19], v[12:13], v[2:3]
	s_waitcnt lgkmcnt(4)
	v_mul_f64 v[46:47], v[44:45], v[2:3]
	v_mul_f64 v[57:58], v[42:43], v[2:3]
	s_waitcnt lgkmcnt(2)
	v_mul_f64 v[61:62], v[6:7], v[2:3]
	scratch_store_b128 off, v[0:3], off offset:768
	v_fma_f64 v[16:17], v[12:13], v[0:1], -v[16:17]
	v_fma_f64 v[18:19], v[14:15], v[0:1], v[18:19]
	v_mul_f64 v[12:13], v[4:5], v[2:3]
	s_waitcnt lgkmcnt(1)
	v_mul_f64 v[14:15], v[55:56], v[2:3]
	v_fma_f64 v[46:47], v[42:43], v[0:1], -v[46:47]
	v_fma_f64 v[57:58], v[44:45], v[0:1], v[57:58]
	v_mul_f64 v[42:43], v[53:54], v[2:3]
	s_waitcnt lgkmcnt(0)
	v_mul_f64 v[44:45], v[67:68], v[2:3]
	v_fma_f64 v[61:62], v[4:5], v[0:1], -v[61:62]
	v_mul_f64 v[4:5], v[65:66], v[2:3]
	s_waitcnt vmcnt(0)
	v_add_f64 v[8:9], v[8:9], -v[16:17]
	scratch_load_b64 v[16:17], off, off offset:768
	v_fma_f64 v[69:70], v[6:7], v[0:1], v[12:13]
	v_mul_f64 v[12:13], v[51:52], v[2:3]
	v_fma_f64 v[71:72], v[53:54], v[0:1], -v[14:15]
	v_mul_f64 v[14:15], v[49:50], v[2:3]
	v_fma_f64 v[73:74], v[55:56], v[0:1], v[42:43]
	v_fma_f64 v[65:66], v[65:66], v[0:1], -v[44:45]
	scratch_load_b128 v[53:56], off, off offset:768
	v_fma_f64 v[67:68], v[67:68], v[0:1], v[4:5]
	scratch_load_b128 v[4:7], off, off offset:816
	v_add_f64 v[10:11], v[10:11], -v[18:19]
	scratch_load_b128 v[42:45], off, off offset:848
	v_fma_f64 v[77:78], v[49:50], v[0:1], -v[12:13]
	v_fma_f64 v[79:80], v[51:52], v[0:1], v[14:15]
	s_clause 0x2
	scratch_load_b128 v[49:52], off, off offset:800
	scratch_load_b128 v[12:15], off, off offset:832
	scratch_load_b128 v[0:3], off, off offset:864
	s_waitcnt vmcnt(4)
	v_add_f64 v[4:5], v[4:5], -v[46:47]
	v_add_f64 v[6:7], v[6:7], -v[57:58]
	s_waitcnt vmcnt(3)
	v_add_f64 v[42:43], v[42:43], -v[71:72]
	v_add_f64 v[44:45], v[44:45], -v[73:74]
	s_waitcnt vmcnt(2)
	v_add_f64 v[49:50], v[49:50], -v[77:78]
	s_waitcnt vmcnt(1)
	;; [unrolled: 2-line block ×3, first 2 shown]
	v_add_f64 v[0:1], v[0:1], -v[65:66]
	v_add_f64 v[2:3], v[2:3], -v[67:68]
	ds_load_2addr_b64 v[65:68], v36 offset0:110 offset1:111
	ds_load_2addr_b64 v[69:72], v36 offset0:112 offset1:113
	v_add_f64 v[12:13], v[12:13], -v[61:62]
	v_add_f64 v[51:52], v[51:52], -v[79:80]
	s_waitcnt lgkmcnt(1)
	v_mul_f64 v[18:19], v[67:68], v[55:56]
	v_mul_f64 v[46:47], v[65:66], v[55:56]
	s_waitcnt lgkmcnt(0)
	v_mul_f64 v[57:58], v[71:72], v[55:56]
	v_mul_f64 v[61:62], v[69:70], v[55:56]
	s_delay_alu instid0(VALU_DEP_4) | instskip(NEXT) | instid1(VALU_DEP_4)
	v_fma_f64 v[18:19], v[65:66], v[16:17], -v[18:19]
	v_fma_f64 v[46:47], v[67:68], v[16:17], v[46:47]
	s_delay_alu instid0(VALU_DEP_4) | instskip(NEXT) | instid1(VALU_DEP_4)
	v_fma_f64 v[57:58], v[69:70], v[16:17], -v[57:58]
	v_fma_f64 v[61:62], v[71:72], v[16:17], v[61:62]
	ds_load_2addr_b64 v[65:68], v36 offset0:114 offset1:115
	ds_load_2addr_b64 v[69:72], v36 offset0:116 offset1:117
	s_waitcnt lgkmcnt(1)
	v_mul_f64 v[73:74], v[67:68], v[55:56]
	s_delay_alu instid0(VALU_DEP_1) | instskip(SKIP_1) | instid1(VALU_DEP_1)
	v_fma_f64 v[73:74], v[65:66], v[16:17], -v[73:74]
	v_mul_f64 v[65:66], v[65:66], v[55:56]
	v_fma_f64 v[81:82], v[67:68], v[16:17], v[65:66]
	s_waitcnt lgkmcnt(0)
	v_mul_f64 v[65:66], v[71:72], v[55:56]
	s_delay_alu instid0(VALU_DEP_1) | instskip(SKIP_1) | instid1(VALU_DEP_1)
	v_fma_f64 v[83:84], v[69:70], v[16:17], -v[65:66]
	v_mul_f64 v[65:66], v[69:70], v[55:56]
	v_fma_f64 v[85:86], v[71:72], v[16:17], v[65:66]
	ds_load_2addr_b64 v[65:68], v36 offset0:118 offset1:119
	ds_load_2addr_b64 v[69:72], v36 offset0:120 offset1:121
	scratch_load_b64 v[87:88], off, off offset:776
	s_waitcnt lgkmcnt(1)
	v_mul_f64 v[77:78], v[67:68], v[55:56]
	s_delay_alu instid0(VALU_DEP_1) | instskip(SKIP_1) | instid1(VALU_DEP_1)
	v_fma_f64 v[89:90], v[65:66], v[16:17], -v[77:78]
	v_mul_f64 v[65:66], v[65:66], v[55:56]
	v_fma_f64 v[91:92], v[67:68], v[16:17], v[65:66]
	ds_load_2addr_b64 v[65:68], v36 offset0:122 offset1:123
	ds_load_2addr_b64 v[77:80], v36 offset0:124 offset1:125
	s_waitcnt vmcnt(0) lgkmcnt(1)
	v_mul_f64 v[93:94], v[67:68], v[87:88]
	s_delay_alu instid0(VALU_DEP_1) | instskip(SKIP_1) | instid1(VALU_DEP_1)
	v_fma_f64 v[97:98], v[65:66], v[53:54], -v[93:94]
	v_mul_f64 v[65:66], v[65:66], v[87:88]
	v_fma_f64 v[99:100], v[67:68], v[53:54], v[65:66]
	s_waitcnt lgkmcnt(0)
	v_mul_f64 v[65:66], v[79:80], v[87:88]
	s_delay_alu instid0(VALU_DEP_1) | instskip(SKIP_1) | instid1(VALU_DEP_1)
	v_fma_f64 v[101:102], v[77:78], v[53:54], -v[65:66]
	v_mul_f64 v[65:66], v[77:78], v[87:88]
	v_fma_f64 v[103:104], v[79:80], v[53:54], v[65:66]
	ds_load_2addr_b64 v[65:68], v36 offset0:126 offset1:127
	s_waitcnt lgkmcnt(0)
	v_mul_f64 v[77:78], v[67:68], v[87:88]
	v_mul_f64 v[79:80], v[65:66], v[87:88]
	s_delay_alu instid0(VALU_DEP_2) | instskip(NEXT) | instid1(VALU_DEP_2)
	v_fma_f64 v[105:106], v[65:66], v[53:54], -v[77:78]
	v_fma_f64 v[107:108], v[67:68], v[53:54], v[79:80]
	v_mul_f64 v[53:54], v[71:72], v[55:56]
	v_mul_f64 v[55:56], v[69:70], v[55:56]
	s_delay_alu instid0(VALU_DEP_2) | instskip(NEXT) | instid1(VALU_DEP_2)
	v_fma_f64 v[93:94], v[69:70], v[16:17], -v[53:54]
	v_fma_f64 v[16:17], v[71:72], v[16:17], v[55:56]
	s_clause 0x3
	scratch_load_b128 v[53:56], off, off offset:880
	scratch_load_b128 v[65:68], off, off offset:896
	scratch_load_b128 v[69:72], off, off offset:912
	scratch_load_b128 v[77:80], off, off offset:928
	s_waitcnt vmcnt(3)
	v_add_f64 v[53:54], v[53:54], -v[18:19]
	s_waitcnt vmcnt(1)
	v_add_f64 v[71:72], v[71:72], -v[81:82]
	;; [unrolled: 2-line block ×3, first 2 shown]
	v_add_f64 v[79:80], v[79:80], -v[85:86]
	s_clause 0x1
	scratch_load_b128 v[81:84], off, off offset:944
	scratch_load_b128 v[85:88], off, off offset:960
	v_add_f64 v[55:56], v[55:56], -v[46:47]
	v_add_f64 v[65:66], v[65:66], -v[57:58]
	;; [unrolled: 1-line block ×4, first 2 shown]
	s_waitcnt vmcnt(1)
	v_add_f64 v[81:82], v[81:82], -v[89:90]
	v_add_f64 v[83:84], v[83:84], -v[91:92]
	s_waitcnt vmcnt(0)
	v_add_f64 v[85:86], v[85:86], -v[93:94]
	s_clause 0x1
	scratch_load_b128 v[89:92], off, off offset:976
	scratch_load_b128 v[93:96], off, off offset:992
	v_add_f64 v[87:88], v[87:88], -v[16:17]
	s_waitcnt vmcnt(1)
	v_add_f64 v[89:90], v[89:90], -v[97:98]
	v_add_f64 v[91:92], v[91:92], -v[99:100]
	scratch_load_b128 v[97:100], off, off offset:1008
	s_waitcnt vmcnt(1)
	v_add_f64 v[93:94], v[93:94], -v[101:102]
	v_add_f64 v[95:96], v[95:96], -v[103:104]
	s_waitcnt vmcnt(0)
	v_add_f64 v[97:98], v[97:98], -v[105:106]
	v_add_f64 v[99:100], v[99:100], -v[107:108]
	s_clause 0xe
	scratch_store_b128 off, v[8:11], off offset:784
	scratch_store_b128 off, v[12:15], off offset:832
	;; [unrolled: 1-line block ×15, first 2 shown]
.LBB126_1164:
	s_or_b32 exec_lo, exec_lo, s2
	s_waitcnt_vscnt null, 0x0
	s_barrier
	buffer_gl0_inv
	scratch_load_b128 v[0:3], v176, off
	v_lshl_add_u32 v4, v41, 4, v36
	s_cmp_lt_i32 s5, 51
	s_waitcnt vmcnt(0)
	ds_store_2addr_b64 v4, v[0:1], v[2:3] offset1:1
	s_waitcnt lgkmcnt(0)
	s_barrier
	buffer_gl0_inv
	ds_load_2addr_b64 v[0:3], v36 offset0:98 offset1:99
	v_mov_b32_e32 v4, 49
	s_cbranch_scc1 .LBB126_1167
; %bb.1165:
	v_add3_u32 v5, v38, 0, 0x320
	v_mov_b32_e32 v4, 49
	s_mov_b32 s6, 50
	s_set_inst_prefetch_distance 0x1
	.p2align	6
.LBB126_1166:                           ; =>This Inner Loop Header: Depth=1
	ds_load_2addr_b64 v[6:9], v5 offset1:1
	s_waitcnt lgkmcnt(1)
	v_cmp_gt_f64_e32 vcc_lo, 0, v[0:1]
	v_xor_b32_e32 v10, 0x80000000, v1
	v_cmp_gt_f64_e64 s2, 0, v[2:3]
	v_xor_b32_e32 v12, 0x80000000, v3
	v_add_nc_u32_e32 v5, 16, v5
	s_waitcnt lgkmcnt(0)
	v_cmp_gt_f64_e64 s3, 0, v[6:7]
	v_mov_b32_e32 v14, v6
	v_dual_mov_b32 v16, v8 :: v_dual_cndmask_b32 v11, v1, v10
	v_xor_b32_e32 v10, 0x80000000, v7
	v_cndmask_b32_e64 v13, v3, v12, s2
	v_xor_b32_e32 v12, 0x80000000, v9
	s_delay_alu instid0(VALU_DEP_3) | instskip(SKIP_2) | instid1(VALU_DEP_2)
	v_cndmask_b32_e64 v15, v7, v10, s3
	v_cmp_gt_f64_e64 s3, 0, v[8:9]
	v_cndmask_b32_e32 v10, v0, v0, vcc_lo
	v_cndmask_b32_e64 v17, v9, v12, s3
	v_cndmask_b32_e64 v12, v2, v2, s2
	s_delay_alu instid0(VALU_DEP_2) | instskip(NEXT) | instid1(VALU_DEP_2)
	v_add_f64 v[14:15], v[14:15], v[16:17]
	v_add_f64 v[10:11], v[10:11], v[12:13]
	s_delay_alu instid0(VALU_DEP_1)
	v_cmp_lt_f64_e32 vcc_lo, v[10:11], v[14:15]
	v_cndmask_b32_e32 v3, v3, v9, vcc_lo
	v_dual_cndmask_b32 v1, v1, v7 :: v_dual_cndmask_b32 v0, v0, v6
	v_cndmask_b32_e32 v2, v2, v8, vcc_lo
	v_cndmask_b32_e64 v4, v4, s6, vcc_lo
	s_add_i32 s6, s6, 1
	s_delay_alu instid0(SALU_CYCLE_1)
	s_cmp_lg_u32 s5, s6
	s_cbranch_scc1 .LBB126_1166
.LBB126_1167:
	s_set_inst_prefetch_distance 0x2
	s_waitcnt lgkmcnt(0)
	v_cmp_eq_f64_e32 vcc_lo, 0, v[0:1]
	v_cmp_eq_f64_e64 s2, 0, v[2:3]
	s_delay_alu instid0(VALU_DEP_1) | instskip(NEXT) | instid1(SALU_CYCLE_1)
	s_and_b32 s2, vcc_lo, s2
	s_and_saveexec_b32 s3, s2
	s_delay_alu instid0(SALU_CYCLE_1)
	s_xor_b32 s2, exec_lo, s3
; %bb.1168:
	v_cmp_ne_u32_e32 vcc_lo, 0, v37
	v_cndmask_b32_e32 v37, 50, v37, vcc_lo
; %bb.1169:
	s_and_not1_saveexec_b32 s3, s2
	s_cbranch_execz .LBB126_1175
; %bb.1170:
	v_cmp_gt_f64_e32 vcc_lo, 0, v[0:1]
	v_cmp_gt_f64_e64 s2, 0, v[2:3]
	v_xor_b32_e32 v5, 0x80000000, v1
	v_xor_b32_e32 v7, 0x80000000, v3
	s_delay_alu instid0(VALU_DEP_2) | instskip(NEXT) | instid1(VALU_DEP_2)
	v_dual_cndmask_b32 v6, v1, v5 :: v_dual_cndmask_b32 v5, v0, v0
	v_cndmask_b32_e64 v8, v3, v7, s2
	v_cndmask_b32_e64 v7, v2, v2, s2
	s_mov_b32 s2, exec_lo
	s_delay_alu instid0(VALU_DEP_1)
	v_cmpx_ngt_f64_e32 v[5:6], v[7:8]
	s_xor_b32 s2, exec_lo, s2
	s_cbranch_execz .LBB126_1172
; %bb.1171:
	v_div_scale_f64 v[5:6], null, v[2:3], v[2:3], v[0:1]
	v_div_scale_f64 v[11:12], vcc_lo, v[0:1], v[2:3], v[0:1]
	s_delay_alu instid0(VALU_DEP_2) | instskip(SKIP_2) | instid1(VALU_DEP_1)
	v_rcp_f64_e32 v[7:8], v[5:6]
	s_waitcnt_depctr 0xfff
	v_fma_f64 v[9:10], -v[5:6], v[7:8], 1.0
	v_fma_f64 v[7:8], v[7:8], v[9:10], v[7:8]
	s_delay_alu instid0(VALU_DEP_1) | instskip(NEXT) | instid1(VALU_DEP_1)
	v_fma_f64 v[9:10], -v[5:6], v[7:8], 1.0
	v_fma_f64 v[7:8], v[7:8], v[9:10], v[7:8]
	s_delay_alu instid0(VALU_DEP_1) | instskip(NEXT) | instid1(VALU_DEP_1)
	v_mul_f64 v[9:10], v[11:12], v[7:8]
	v_fma_f64 v[5:6], -v[5:6], v[9:10], v[11:12]
	s_delay_alu instid0(VALU_DEP_1) | instskip(NEXT) | instid1(VALU_DEP_1)
	v_div_fmas_f64 v[5:6], v[5:6], v[7:8], v[9:10]
	v_div_fixup_f64 v[5:6], v[5:6], v[2:3], v[0:1]
	s_delay_alu instid0(VALU_DEP_1) | instskip(NEXT) | instid1(VALU_DEP_1)
	v_fma_f64 v[0:1], v[0:1], v[5:6], v[2:3]
	v_div_scale_f64 v[2:3], null, v[0:1], v[0:1], 1.0
	s_delay_alu instid0(VALU_DEP_1) | instskip(SKIP_2) | instid1(VALU_DEP_1)
	v_rcp_f64_e32 v[7:8], v[2:3]
	s_waitcnt_depctr 0xfff
	v_fma_f64 v[9:10], -v[2:3], v[7:8], 1.0
	v_fma_f64 v[7:8], v[7:8], v[9:10], v[7:8]
	s_delay_alu instid0(VALU_DEP_1) | instskip(NEXT) | instid1(VALU_DEP_1)
	v_fma_f64 v[9:10], -v[2:3], v[7:8], 1.0
	v_fma_f64 v[7:8], v[7:8], v[9:10], v[7:8]
	v_div_scale_f64 v[9:10], vcc_lo, 1.0, v[0:1], 1.0
	s_delay_alu instid0(VALU_DEP_1) | instskip(NEXT) | instid1(VALU_DEP_1)
	v_mul_f64 v[11:12], v[9:10], v[7:8]
	v_fma_f64 v[2:3], -v[2:3], v[11:12], v[9:10]
	s_delay_alu instid0(VALU_DEP_1) | instskip(NEXT) | instid1(VALU_DEP_1)
	v_div_fmas_f64 v[2:3], v[2:3], v[7:8], v[11:12]
	v_div_fixup_f64 v[2:3], v[2:3], v[0:1], 1.0
	s_delay_alu instid0(VALU_DEP_1)
	v_mul_f64 v[0:1], v[5:6], v[2:3]
	v_xor_b32_e32 v3, 0x80000000, v3
.LBB126_1172:
	s_and_not1_saveexec_b32 s2, s2
	s_cbranch_execz .LBB126_1174
; %bb.1173:
	s_delay_alu instid0(VALU_DEP_1) | instskip(SKIP_1) | instid1(VALU_DEP_2)
	v_div_scale_f64 v[5:6], null, v[0:1], v[0:1], v[2:3]
	v_div_scale_f64 v[11:12], vcc_lo, v[2:3], v[0:1], v[2:3]
	v_rcp_f64_e32 v[7:8], v[5:6]
	s_waitcnt_depctr 0xfff
	v_fma_f64 v[9:10], -v[5:6], v[7:8], 1.0
	s_delay_alu instid0(VALU_DEP_1) | instskip(NEXT) | instid1(VALU_DEP_1)
	v_fma_f64 v[7:8], v[7:8], v[9:10], v[7:8]
	v_fma_f64 v[9:10], -v[5:6], v[7:8], 1.0
	s_delay_alu instid0(VALU_DEP_1) | instskip(NEXT) | instid1(VALU_DEP_1)
	v_fma_f64 v[7:8], v[7:8], v[9:10], v[7:8]
	v_mul_f64 v[9:10], v[11:12], v[7:8]
	s_delay_alu instid0(VALU_DEP_1) | instskip(NEXT) | instid1(VALU_DEP_1)
	v_fma_f64 v[5:6], -v[5:6], v[9:10], v[11:12]
	v_div_fmas_f64 v[5:6], v[5:6], v[7:8], v[9:10]
	s_delay_alu instid0(VALU_DEP_1) | instskip(NEXT) | instid1(VALU_DEP_1)
	v_div_fixup_f64 v[5:6], v[5:6], v[0:1], v[2:3]
	v_fma_f64 v[0:1], v[2:3], v[5:6], v[0:1]
	s_delay_alu instid0(VALU_DEP_1) | instskip(NEXT) | instid1(VALU_DEP_1)
	v_div_scale_f64 v[2:3], null, v[0:1], v[0:1], 1.0
	v_rcp_f64_e32 v[7:8], v[2:3]
	s_waitcnt_depctr 0xfff
	v_fma_f64 v[9:10], -v[2:3], v[7:8], 1.0
	s_delay_alu instid0(VALU_DEP_1) | instskip(NEXT) | instid1(VALU_DEP_1)
	v_fma_f64 v[7:8], v[7:8], v[9:10], v[7:8]
	v_fma_f64 v[9:10], -v[2:3], v[7:8], 1.0
	s_delay_alu instid0(VALU_DEP_1) | instskip(SKIP_1) | instid1(VALU_DEP_1)
	v_fma_f64 v[7:8], v[7:8], v[9:10], v[7:8]
	v_div_scale_f64 v[9:10], vcc_lo, 1.0, v[0:1], 1.0
	v_mul_f64 v[11:12], v[9:10], v[7:8]
	s_delay_alu instid0(VALU_DEP_1) | instskip(NEXT) | instid1(VALU_DEP_1)
	v_fma_f64 v[2:3], -v[2:3], v[11:12], v[9:10]
	v_div_fmas_f64 v[2:3], v[2:3], v[7:8], v[11:12]
	s_delay_alu instid0(VALU_DEP_1) | instskip(NEXT) | instid1(VALU_DEP_1)
	v_div_fixup_f64 v[0:1], v[2:3], v[0:1], 1.0
	v_mul_f64 v[2:3], v[5:6], -v[0:1]
.LBB126_1174:
	s_or_b32 exec_lo, exec_lo, s2
.LBB126_1175:
	s_delay_alu instid0(SALU_CYCLE_1) | instskip(NEXT) | instid1(SALU_CYCLE_1)
	s_or_b32 exec_lo, exec_lo, s3
	s_mov_b32 s2, exec_lo
	v_cmpx_ne_u32_e64 v41, v4
	s_xor_b32 s2, exec_lo, s2
	s_cbranch_execz .LBB126_1181
; %bb.1176:
	s_mov_b32 s3, exec_lo
	v_cmpx_eq_u32_e32 49, v41
	s_cbranch_execz .LBB126_1180
; %bb.1177:
	v_cmp_ne_u32_e32 vcc_lo, 49, v4
	s_xor_b32 s6, s4, -1
	s_delay_alu instid0(SALU_CYCLE_1) | instskip(NEXT) | instid1(SALU_CYCLE_1)
	s_and_b32 s7, s6, vcc_lo
	s_and_saveexec_b32 s6, s7
	s_cbranch_execz .LBB126_1179
; %bb.1178:
	v_ashrrev_i32_e32 v5, 31, v4
	s_delay_alu instid0(VALU_DEP_1) | instskip(NEXT) | instid1(VALU_DEP_1)
	v_lshlrev_b64 v[5:6], 2, v[4:5]
	v_add_co_u32 v5, vcc_lo, v250, v5
	s_delay_alu instid0(VALU_DEP_2)
	v_add_co_ci_u32_e32 v6, vcc_lo, v251, v6, vcc_lo
	s_clause 0x1
	flat_load_b32 v7, v[5:6]
	flat_load_b32 v8, v[250:251] offset:196
	s_waitcnt vmcnt(1) lgkmcnt(1)
	flat_store_b32 v[250:251], v7 offset:196
	s_waitcnt vmcnt(0) lgkmcnt(1)
	flat_store_b32 v[5:6], v8
.LBB126_1179:
	s_or_b32 exec_lo, exec_lo, s6
	v_mov_b32_e32 v41, v4
	v_mov_b32_e32 v39, v4
.LBB126_1180:
	s_or_b32 exec_lo, exec_lo, s3
.LBB126_1181:
	s_and_not1_saveexec_b32 s2, s2
	s_cbranch_execz .LBB126_1183
; %bb.1182:
	s_clause 0xd
	scratch_load_b128 v[4:7], v175, off
	scratch_load_b128 v[8:11], v174, off
	;; [unrolled: 1-line block ×14, first 2 shown]
	v_mov_b32_e32 v41, 49
	s_waitcnt vmcnt(13)
	ds_store_2addr_b64 v36, v[4:5], v[6:7] offset0:100 offset1:101
	s_waitcnt vmcnt(12)
	ds_store_2addr_b64 v36, v[8:9], v[10:11] offset0:102 offset1:103
	;; [unrolled: 2-line block ×14, first 2 shown]
.LBB126_1183:
	s_or_b32 exec_lo, exec_lo, s2
	s_delay_alu instid0(SALU_CYCLE_1)
	s_mov_b32 s2, exec_lo
	s_waitcnt lgkmcnt(0)
	s_waitcnt_vscnt null, 0x0
	s_barrier
	buffer_gl0_inv
	v_cmpx_lt_i32_e32 49, v41
	s_cbranch_execz .LBB126_1185
; %bb.1184:
	s_clause 0x1
	scratch_load_b128 v[4:7], off, off offset:784
	scratch_load_b128 v[8:11], off, off offset:800
	s_waitcnt vmcnt(1)
	v_mul_f64 v[12:13], v[0:1], v[6:7]
	v_mul_f64 v[16:17], v[2:3], v[6:7]
	s_delay_alu instid0(VALU_DEP_2)
	v_fma_f64 v[6:7], v[2:3], v[4:5], v[12:13]
	ds_load_2addr_b64 v[12:15], v36 offset0:100 offset1:101
	ds_load_2addr_b64 v[42:45], v36 offset0:102 offset1:103
	v_fma_f64 v[4:5], v[0:1], v[4:5], -v[16:17]
	s_waitcnt lgkmcnt(1)
	v_mul_f64 v[0:1], v[14:15], v[6:7]
	v_mul_f64 v[2:3], v[12:13], v[6:7]
	scratch_store_b128 off, v[4:7], off offset:784
	s_waitcnt lgkmcnt(0)
	v_mul_f64 v[150:151], v[44:45], v[6:7]
	v_fma_f64 v[0:1], v[12:13], v[4:5], -v[0:1]
	v_fma_f64 v[2:3], v[14:15], v[4:5], v[2:3]
	s_waitcnt vmcnt(0)
	s_delay_alu instid0(VALU_DEP_2) | instskip(NEXT) | instid1(VALU_DEP_2)
	v_add_f64 v[0:1], v[8:9], -v[0:1]
	v_add_f64 v[2:3], v[10:11], -v[2:3]
	s_clause 0xf
	scratch_load_b128 v[8:11], off, off offset:784
	scratch_load_b64 v[16:17], off, off offset:792
	scratch_load_b64 v[18:19], off, off offset:784
	scratch_load_b128 v[12:15], off, off offset:832
	scratch_load_b128 v[49:52], off, off offset:848
	;; [unrolled: 1-line block ×13, first 2 shown]
	ds_load_2addr_b64 v[129:132], v36 offset0:104 offset1:105
	ds_load_2addr_b64 v[136:139], v36 offset0:106 offset1:107
	ds_load_2addr_b64 v[146:149], v36 offset0:108 offset1:109
	ds_load_2addr_b64 v[186:189], v36 offset0:110 offset1:111
	ds_load_2addr_b64 v[190:193], v36 offset0:112 offset1:113
	ds_load_2addr_b64 v[194:197], v36 offset0:114 offset1:115
	ds_load_2addr_b64 v[198:201], v36 offset0:116 offset1:117
	ds_load_2addr_b64 v[202:205], v36 offset0:118 offset1:119
	ds_load_2addr_b64 v[206:209], v36 offset0:120 offset1:121
	ds_load_2addr_b64 v[210:213], v36 offset0:122 offset1:123
	ds_load_2addr_b64 v[214:217], v36 offset0:124 offset1:125
	ds_load_2addr_b64 v[218:221], v36 offset0:126 offset1:127
	s_waitcnt lgkmcnt(11)
	v_mul_f64 v[46:47], v[131:132], v[6:7]
	s_waitcnt lgkmcnt(10)
	v_mul_f64 v[61:62], v[138:139], v[6:7]
	v_mul_f64 v[73:74], v[136:137], v[6:7]
	;; [unrolled: 1-line block ×3, first 2 shown]
	s_waitcnt lgkmcnt(9)
	v_mul_f64 v[117:118], v[148:149], v[6:7]
	v_mul_f64 v[121:122], v[146:147], v[6:7]
	s_waitcnt lgkmcnt(8)
	v_mul_f64 v[125:126], v[188:189], v[6:7]
	v_mul_f64 v[141:142], v[186:187], v[6:7]
	;; [unrolled: 1-line block ×3, first 2 shown]
	v_fma_f64 v[46:47], v[129:130], v[4:5], -v[46:47]
	v_fma_f64 v[61:62], v[136:137], v[4:5], -v[61:62]
	v_fma_f64 v[73:74], v[138:139], v[4:5], v[73:74]
	v_fma_f64 v[57:58], v[131:132], v[4:5], v[57:58]
	v_fma_f64 v[117:118], v[146:147], v[4:5], -v[117:118]
	v_fma_f64 v[121:122], v[148:149], v[4:5], v[121:122]
	v_fma_f64 v[131:132], v[42:43], v[4:5], -v[150:151]
	v_fma_f64 v[125:126], v[186:187], v[4:5], -v[125:126]
	v_fma_f64 v[136:137], v[44:45], v[4:5], v[6:7]
	v_fma_f64 v[129:130], v[188:189], v[4:5], v[141:142]
	s_waitcnt vmcnt(15) lgkmcnt(7)
	v_mul_f64 v[154:155], v[192:193], v[10:11]
	v_mul_f64 v[156:157], v[190:191], v[10:11]
	s_waitcnt lgkmcnt(6)
	v_mul_f64 v[158:159], v[196:197], v[10:11]
	v_mul_f64 v[222:223], v[194:195], v[10:11]
	s_waitcnt lgkmcnt(5)
	;; [unrolled: 3-line block ×5, first 2 shown]
	v_mul_f64 v[236:237], v[212:213], v[10:11]
	v_mul_f64 v[10:11], v[210:211], v[10:11]
	s_waitcnt vmcnt(14) lgkmcnt(1)
	v_mul_f64 v[238:239], v[216:217], v[16:17]
	v_mul_f64 v[240:241], v[214:215], v[16:17]
	s_waitcnt lgkmcnt(0)
	v_mul_f64 v[242:243], v[220:221], v[16:17]
	v_mul_f64 v[16:17], v[218:219], v[16:17]
	s_waitcnt vmcnt(12)
	v_add_f64 v[4:5], v[12:13], -v[46:47]
	v_add_f64 v[6:7], v[14:15], -v[57:58]
	s_waitcnt vmcnt(10)
	v_add_f64 v[12:13], v[53:54], -v[117:118]
	v_add_f64 v[14:15], v[55:56], -v[121:122]
	;; [unrolled: 3-line block ×3, first 2 shown]
	v_fma_f64 v[138:139], v[190:191], v[18:19], -v[154:155]
	v_fma_f64 v[141:142], v[192:193], v[18:19], v[156:157]
	v_fma_f64 v[146:147], v[194:195], v[18:19], -v[158:159]
	v_fma_f64 v[148:149], v[196:197], v[18:19], v[222:223]
	;; [unrolled: 2-line block ×8, first 2 shown]
	v_add_f64 v[8:9], v[49:50], -v[61:62]
	v_add_f64 v[10:11], v[51:52], -v[73:74]
	s_waitcnt vmcnt(8)
	v_add_f64 v[49:50], v[69:70], -v[131:132]
	v_add_f64 v[51:52], v[71:72], -v[136:137]
	s_waitcnt vmcnt(7)
	;; [unrolled: 3-line block ×9, first 2 shown]
	v_add_f64 v[93:94], v[105:106], -v[196:197]
	v_add_f64 v[95:96], v[107:108], -v[16:17]
	s_clause 0xd
	scratch_store_b128 off, v[0:3], off offset:800
	scratch_store_b128 off, v[8:11], off offset:848
	;; [unrolled: 1-line block ×14, first 2 shown]
.LBB126_1185:
	s_or_b32 exec_lo, exec_lo, s2
	s_waitcnt_vscnt null, 0x0
	s_barrier
	buffer_gl0_inv
	scratch_load_b128 v[0:3], v175, off
	v_lshl_add_u32 v4, v41, 4, v36
	s_cmp_lt_i32 s5, 52
	s_waitcnt vmcnt(0)
	ds_store_2addr_b64 v4, v[0:1], v[2:3] offset1:1
	s_waitcnt lgkmcnt(0)
	s_barrier
	buffer_gl0_inv
	ds_load_2addr_b64 v[0:3], v36 offset0:100 offset1:101
	v_mov_b32_e32 v4, 50
	s_cbranch_scc1 .LBB126_1188
; %bb.1186:
	v_add3_u32 v5, v38, 0, 0x330
	v_mov_b32_e32 v4, 50
	s_mov_b32 s6, 51
	s_set_inst_prefetch_distance 0x1
	.p2align	6
.LBB126_1187:                           ; =>This Inner Loop Header: Depth=1
	ds_load_2addr_b64 v[6:9], v5 offset1:1
	s_waitcnt lgkmcnt(1)
	v_cmp_gt_f64_e32 vcc_lo, 0, v[0:1]
	v_xor_b32_e32 v10, 0x80000000, v1
	v_cmp_gt_f64_e64 s2, 0, v[2:3]
	v_xor_b32_e32 v12, 0x80000000, v3
	v_add_nc_u32_e32 v5, 16, v5
	s_waitcnt lgkmcnt(0)
	v_cmp_gt_f64_e64 s3, 0, v[6:7]
	v_mov_b32_e32 v14, v6
	v_dual_mov_b32 v16, v8 :: v_dual_cndmask_b32 v11, v1, v10
	v_xor_b32_e32 v10, 0x80000000, v7
	v_cndmask_b32_e64 v13, v3, v12, s2
	v_xor_b32_e32 v12, 0x80000000, v9
	s_delay_alu instid0(VALU_DEP_3) | instskip(SKIP_2) | instid1(VALU_DEP_2)
	v_cndmask_b32_e64 v15, v7, v10, s3
	v_cmp_gt_f64_e64 s3, 0, v[8:9]
	v_cndmask_b32_e32 v10, v0, v0, vcc_lo
	v_cndmask_b32_e64 v17, v9, v12, s3
	v_cndmask_b32_e64 v12, v2, v2, s2
	s_delay_alu instid0(VALU_DEP_2) | instskip(NEXT) | instid1(VALU_DEP_2)
	v_add_f64 v[14:15], v[14:15], v[16:17]
	v_add_f64 v[10:11], v[10:11], v[12:13]
	s_delay_alu instid0(VALU_DEP_1)
	v_cmp_lt_f64_e32 vcc_lo, v[10:11], v[14:15]
	v_cndmask_b32_e32 v3, v3, v9, vcc_lo
	v_dual_cndmask_b32 v1, v1, v7 :: v_dual_cndmask_b32 v0, v0, v6
	v_cndmask_b32_e32 v2, v2, v8, vcc_lo
	v_cndmask_b32_e64 v4, v4, s6, vcc_lo
	s_add_i32 s6, s6, 1
	s_delay_alu instid0(SALU_CYCLE_1)
	s_cmp_lg_u32 s5, s6
	s_cbranch_scc1 .LBB126_1187
.LBB126_1188:
	s_set_inst_prefetch_distance 0x2
	s_waitcnt lgkmcnt(0)
	v_cmp_eq_f64_e32 vcc_lo, 0, v[0:1]
	v_cmp_eq_f64_e64 s2, 0, v[2:3]
	s_delay_alu instid0(VALU_DEP_1) | instskip(NEXT) | instid1(SALU_CYCLE_1)
	s_and_b32 s2, vcc_lo, s2
	s_and_saveexec_b32 s3, s2
	s_delay_alu instid0(SALU_CYCLE_1)
	s_xor_b32 s2, exec_lo, s3
; %bb.1189:
	v_cmp_ne_u32_e32 vcc_lo, 0, v37
	v_cndmask_b32_e32 v37, 51, v37, vcc_lo
; %bb.1190:
	s_and_not1_saveexec_b32 s3, s2
	s_cbranch_execz .LBB126_1196
; %bb.1191:
	v_cmp_gt_f64_e32 vcc_lo, 0, v[0:1]
	v_cmp_gt_f64_e64 s2, 0, v[2:3]
	v_xor_b32_e32 v5, 0x80000000, v1
	v_xor_b32_e32 v7, 0x80000000, v3
	s_delay_alu instid0(VALU_DEP_2) | instskip(NEXT) | instid1(VALU_DEP_2)
	v_dual_cndmask_b32 v6, v1, v5 :: v_dual_cndmask_b32 v5, v0, v0
	v_cndmask_b32_e64 v8, v3, v7, s2
	v_cndmask_b32_e64 v7, v2, v2, s2
	s_mov_b32 s2, exec_lo
	s_delay_alu instid0(VALU_DEP_1)
	v_cmpx_ngt_f64_e32 v[5:6], v[7:8]
	s_xor_b32 s2, exec_lo, s2
	s_cbranch_execz .LBB126_1193
; %bb.1192:
	v_div_scale_f64 v[5:6], null, v[2:3], v[2:3], v[0:1]
	v_div_scale_f64 v[11:12], vcc_lo, v[0:1], v[2:3], v[0:1]
	s_delay_alu instid0(VALU_DEP_2) | instskip(SKIP_2) | instid1(VALU_DEP_1)
	v_rcp_f64_e32 v[7:8], v[5:6]
	s_waitcnt_depctr 0xfff
	v_fma_f64 v[9:10], -v[5:6], v[7:8], 1.0
	v_fma_f64 v[7:8], v[7:8], v[9:10], v[7:8]
	s_delay_alu instid0(VALU_DEP_1) | instskip(NEXT) | instid1(VALU_DEP_1)
	v_fma_f64 v[9:10], -v[5:6], v[7:8], 1.0
	v_fma_f64 v[7:8], v[7:8], v[9:10], v[7:8]
	s_delay_alu instid0(VALU_DEP_1) | instskip(NEXT) | instid1(VALU_DEP_1)
	v_mul_f64 v[9:10], v[11:12], v[7:8]
	v_fma_f64 v[5:6], -v[5:6], v[9:10], v[11:12]
	s_delay_alu instid0(VALU_DEP_1) | instskip(NEXT) | instid1(VALU_DEP_1)
	v_div_fmas_f64 v[5:6], v[5:6], v[7:8], v[9:10]
	v_div_fixup_f64 v[5:6], v[5:6], v[2:3], v[0:1]
	s_delay_alu instid0(VALU_DEP_1) | instskip(NEXT) | instid1(VALU_DEP_1)
	v_fma_f64 v[0:1], v[0:1], v[5:6], v[2:3]
	v_div_scale_f64 v[2:3], null, v[0:1], v[0:1], 1.0
	s_delay_alu instid0(VALU_DEP_1) | instskip(SKIP_2) | instid1(VALU_DEP_1)
	v_rcp_f64_e32 v[7:8], v[2:3]
	s_waitcnt_depctr 0xfff
	v_fma_f64 v[9:10], -v[2:3], v[7:8], 1.0
	v_fma_f64 v[7:8], v[7:8], v[9:10], v[7:8]
	s_delay_alu instid0(VALU_DEP_1) | instskip(NEXT) | instid1(VALU_DEP_1)
	v_fma_f64 v[9:10], -v[2:3], v[7:8], 1.0
	v_fma_f64 v[7:8], v[7:8], v[9:10], v[7:8]
	v_div_scale_f64 v[9:10], vcc_lo, 1.0, v[0:1], 1.0
	s_delay_alu instid0(VALU_DEP_1) | instskip(NEXT) | instid1(VALU_DEP_1)
	v_mul_f64 v[11:12], v[9:10], v[7:8]
	v_fma_f64 v[2:3], -v[2:3], v[11:12], v[9:10]
	s_delay_alu instid0(VALU_DEP_1) | instskip(NEXT) | instid1(VALU_DEP_1)
	v_div_fmas_f64 v[2:3], v[2:3], v[7:8], v[11:12]
	v_div_fixup_f64 v[2:3], v[2:3], v[0:1], 1.0
	s_delay_alu instid0(VALU_DEP_1)
	v_mul_f64 v[0:1], v[5:6], v[2:3]
	v_xor_b32_e32 v3, 0x80000000, v3
.LBB126_1193:
	s_and_not1_saveexec_b32 s2, s2
	s_cbranch_execz .LBB126_1195
; %bb.1194:
	s_delay_alu instid0(VALU_DEP_1) | instskip(SKIP_1) | instid1(VALU_DEP_2)
	v_div_scale_f64 v[5:6], null, v[0:1], v[0:1], v[2:3]
	v_div_scale_f64 v[11:12], vcc_lo, v[2:3], v[0:1], v[2:3]
	v_rcp_f64_e32 v[7:8], v[5:6]
	s_waitcnt_depctr 0xfff
	v_fma_f64 v[9:10], -v[5:6], v[7:8], 1.0
	s_delay_alu instid0(VALU_DEP_1) | instskip(NEXT) | instid1(VALU_DEP_1)
	v_fma_f64 v[7:8], v[7:8], v[9:10], v[7:8]
	v_fma_f64 v[9:10], -v[5:6], v[7:8], 1.0
	s_delay_alu instid0(VALU_DEP_1) | instskip(NEXT) | instid1(VALU_DEP_1)
	v_fma_f64 v[7:8], v[7:8], v[9:10], v[7:8]
	v_mul_f64 v[9:10], v[11:12], v[7:8]
	s_delay_alu instid0(VALU_DEP_1) | instskip(NEXT) | instid1(VALU_DEP_1)
	v_fma_f64 v[5:6], -v[5:6], v[9:10], v[11:12]
	v_div_fmas_f64 v[5:6], v[5:6], v[7:8], v[9:10]
	s_delay_alu instid0(VALU_DEP_1) | instskip(NEXT) | instid1(VALU_DEP_1)
	v_div_fixup_f64 v[5:6], v[5:6], v[0:1], v[2:3]
	v_fma_f64 v[0:1], v[2:3], v[5:6], v[0:1]
	s_delay_alu instid0(VALU_DEP_1) | instskip(NEXT) | instid1(VALU_DEP_1)
	v_div_scale_f64 v[2:3], null, v[0:1], v[0:1], 1.0
	v_rcp_f64_e32 v[7:8], v[2:3]
	s_waitcnt_depctr 0xfff
	v_fma_f64 v[9:10], -v[2:3], v[7:8], 1.0
	s_delay_alu instid0(VALU_DEP_1) | instskip(NEXT) | instid1(VALU_DEP_1)
	v_fma_f64 v[7:8], v[7:8], v[9:10], v[7:8]
	v_fma_f64 v[9:10], -v[2:3], v[7:8], 1.0
	s_delay_alu instid0(VALU_DEP_1) | instskip(SKIP_1) | instid1(VALU_DEP_1)
	v_fma_f64 v[7:8], v[7:8], v[9:10], v[7:8]
	v_div_scale_f64 v[9:10], vcc_lo, 1.0, v[0:1], 1.0
	v_mul_f64 v[11:12], v[9:10], v[7:8]
	s_delay_alu instid0(VALU_DEP_1) | instskip(NEXT) | instid1(VALU_DEP_1)
	v_fma_f64 v[2:3], -v[2:3], v[11:12], v[9:10]
	v_div_fmas_f64 v[2:3], v[2:3], v[7:8], v[11:12]
	s_delay_alu instid0(VALU_DEP_1) | instskip(NEXT) | instid1(VALU_DEP_1)
	v_div_fixup_f64 v[0:1], v[2:3], v[0:1], 1.0
	v_mul_f64 v[2:3], v[5:6], -v[0:1]
.LBB126_1195:
	s_or_b32 exec_lo, exec_lo, s2
.LBB126_1196:
	s_delay_alu instid0(SALU_CYCLE_1) | instskip(NEXT) | instid1(SALU_CYCLE_1)
	s_or_b32 exec_lo, exec_lo, s3
	s_mov_b32 s2, exec_lo
	v_cmpx_ne_u32_e64 v41, v4
	s_xor_b32 s2, exec_lo, s2
	s_cbranch_execz .LBB126_1202
; %bb.1197:
	s_mov_b32 s3, exec_lo
	v_cmpx_eq_u32_e32 50, v41
	s_cbranch_execz .LBB126_1201
; %bb.1198:
	v_cmp_ne_u32_e32 vcc_lo, 50, v4
	s_xor_b32 s6, s4, -1
	s_delay_alu instid0(SALU_CYCLE_1) | instskip(NEXT) | instid1(SALU_CYCLE_1)
	s_and_b32 s7, s6, vcc_lo
	s_and_saveexec_b32 s6, s7
	s_cbranch_execz .LBB126_1200
; %bb.1199:
	v_ashrrev_i32_e32 v5, 31, v4
	s_delay_alu instid0(VALU_DEP_1) | instskip(NEXT) | instid1(VALU_DEP_1)
	v_lshlrev_b64 v[5:6], 2, v[4:5]
	v_add_co_u32 v5, vcc_lo, v250, v5
	s_delay_alu instid0(VALU_DEP_2)
	v_add_co_ci_u32_e32 v6, vcc_lo, v251, v6, vcc_lo
	s_clause 0x1
	flat_load_b32 v7, v[5:6]
	flat_load_b32 v8, v[250:251] offset:200
	s_waitcnt vmcnt(1) lgkmcnt(1)
	flat_store_b32 v[250:251], v7 offset:200
	s_waitcnt vmcnt(0) lgkmcnt(1)
	flat_store_b32 v[5:6], v8
.LBB126_1200:
	s_or_b32 exec_lo, exec_lo, s6
	v_mov_b32_e32 v41, v4
	v_mov_b32_e32 v39, v4
.LBB126_1201:
	s_or_b32 exec_lo, exec_lo, s3
.LBB126_1202:
	s_and_not1_saveexec_b32 s2, s2
	s_cbranch_execz .LBB126_1204
; %bb.1203:
	s_clause 0xc
	scratch_load_b128 v[4:7], v174, off
	scratch_load_b128 v[8:11], v173, off
	scratch_load_b128 v[12:15], v172, off
	scratch_load_b128 v[42:45], v168, off
	scratch_load_b128 v[49:52], v170, off
	scratch_load_b128 v[53:56], v166, off
	scratch_load_b128 v[65:68], v169, off
	scratch_load_b128 v[69:72], v164, off
	scratch_load_b128 v[77:80], v167, off
	scratch_load_b128 v[81:84], v162, off
	scratch_load_b128 v[85:88], v165, off
	scratch_load_b128 v[89:92], v255, off
	scratch_load_b128 v[93:96], v163, off
	v_mov_b32_e32 v41, 50
	s_waitcnt vmcnt(12)
	ds_store_2addr_b64 v36, v[4:5], v[6:7] offset0:102 offset1:103
	s_waitcnt vmcnt(11)
	ds_store_2addr_b64 v36, v[8:9], v[10:11] offset0:104 offset1:105
	;; [unrolled: 2-line block ×13, first 2 shown]
.LBB126_1204:
	s_or_b32 exec_lo, exec_lo, s2
	s_delay_alu instid0(SALU_CYCLE_1)
	s_mov_b32 s2, exec_lo
	s_waitcnt lgkmcnt(0)
	s_waitcnt_vscnt null, 0x0
	s_barrier
	buffer_gl0_inv
	v_cmpx_lt_i32_e32 50, v41
	s_cbranch_execz .LBB126_1206
; %bb.1205:
	s_clause 0x1
	scratch_load_b128 v[4:7], off, off offset:800
	scratch_load_b128 v[8:11], off, off offset:816
	s_waitcnt vmcnt(1)
	v_mul_f64 v[12:13], v[0:1], v[6:7]
	v_mul_f64 v[6:7], v[2:3], v[6:7]
	s_delay_alu instid0(VALU_DEP_2)
	v_fma_f64 v[2:3], v[2:3], v[4:5], v[12:13]
	ds_load_2addr_b64 v[12:15], v36 offset0:102 offset1:103
	ds_load_2addr_b64 v[42:45], v36 offset0:104 offset1:105
	v_fma_f64 v[0:1], v[0:1], v[4:5], -v[6:7]
	s_waitcnt lgkmcnt(1)
	v_mul_f64 v[4:5], v[14:15], v[2:3]
	v_mul_f64 v[6:7], v[12:13], v[2:3]
	scratch_store_b128 off, v[0:3], off offset:800
	s_waitcnt lgkmcnt(0)
	v_mul_f64 v[150:151], v[44:45], v[2:3]
	v_fma_f64 v[4:5], v[12:13], v[0:1], -v[4:5]
	v_fma_f64 v[6:7], v[14:15], v[0:1], v[6:7]
	s_waitcnt vmcnt(0)
	s_delay_alu instid0(VALU_DEP_2) | instskip(NEXT) | instid1(VALU_DEP_2)
	v_add_f64 v[4:5], v[8:9], -v[4:5]
	v_add_f64 v[6:7], v[10:11], -v[6:7]
	s_clause 0xe
	scratch_load_b128 v[8:11], off, off offset:800
	scratch_load_b64 v[16:17], off, off offset:808
	scratch_load_b64 v[18:19], off, off offset:800
	scratch_load_b128 v[12:15], off, off offset:848
	scratch_load_b128 v[49:52], off, off offset:864
	;; [unrolled: 1-line block ×12, first 2 shown]
	ds_load_2addr_b64 v[105:108], v36 offset0:106 offset1:107
	ds_load_2addr_b64 v[129:132], v36 offset0:108 offset1:109
	;; [unrolled: 1-line block ×11, first 2 shown]
	s_waitcnt lgkmcnt(10)
	v_mul_f64 v[46:47], v[107:108], v[2:3]
	s_waitcnt lgkmcnt(9)
	v_mul_f64 v[61:62], v[131:132], v[2:3]
	v_mul_f64 v[73:74], v[129:130], v[2:3]
	v_mul_f64 v[57:58], v[105:106], v[2:3]
	s_waitcnt lgkmcnt(8)
	v_mul_f64 v[117:118], v[138:139], v[2:3]
	v_mul_f64 v[121:122], v[136:137], v[2:3]
	s_waitcnt lgkmcnt(7)
	v_mul_f64 v[125:126], v[148:149], v[2:3]
	v_mul_f64 v[141:142], v[146:147], v[2:3]
	v_mul_f64 v[2:3], v[42:43], v[2:3]
	v_fma_f64 v[46:47], v[105:106], v[0:1], -v[46:47]
	v_fma_f64 v[61:62], v[129:130], v[0:1], -v[61:62]
	v_fma_f64 v[73:74], v[131:132], v[0:1], v[73:74]
	v_fma_f64 v[57:58], v[107:108], v[0:1], v[57:58]
	v_fma_f64 v[105:106], v[136:137], v[0:1], -v[117:118]
	v_fma_f64 v[107:108], v[138:139], v[0:1], v[121:122]
	v_fma_f64 v[117:118], v[146:147], v[0:1], -v[125:126]
	v_fma_f64 v[125:126], v[42:43], v[0:1], -v[150:151]
	v_fma_f64 v[129:130], v[44:45], v[0:1], v[2:3]
	v_fma_f64 v[121:122], v[148:149], v[0:1], v[141:142]
	s_waitcnt vmcnt(14) lgkmcnt(6)
	v_mul_f64 v[154:155], v[188:189], v[10:11]
	v_mul_f64 v[156:157], v[186:187], v[10:11]
	s_waitcnt lgkmcnt(5)
	v_mul_f64 v[158:159], v[192:193], v[10:11]
	v_mul_f64 v[214:215], v[190:191], v[10:11]
	s_waitcnt lgkmcnt(4)
	;; [unrolled: 3-line block ×5, first 2 shown]
	v_mul_f64 v[228:229], v[208:209], v[10:11]
	v_mul_f64 v[10:11], v[206:207], v[10:11]
	s_waitcnt vmcnt(13) lgkmcnt(0)
	v_mul_f64 v[230:231], v[212:213], v[16:17]
	v_mul_f64 v[16:17], v[210:211], v[16:17]
	s_waitcnt vmcnt(11)
	v_add_f64 v[0:1], v[12:13], -v[46:47]
	v_add_f64 v[2:3], v[14:15], -v[57:58]
	s_waitcnt vmcnt(9)
	v_add_f64 v[12:13], v[53:54], -v[105:106]
	v_add_f64 v[14:15], v[55:56], -v[107:108]
	;; [unrolled: 3-line block ×3, first 2 shown]
	v_fma_f64 v[131:132], v[186:187], v[18:19], -v[154:155]
	v_fma_f64 v[136:137], v[188:189], v[18:19], v[156:157]
	v_fma_f64 v[138:139], v[190:191], v[18:19], -v[158:159]
	v_fma_f64 v[141:142], v[192:193], v[18:19], v[214:215]
	;; [unrolled: 2-line block ×7, first 2 shown]
	v_add_f64 v[8:9], v[49:50], -v[61:62]
	v_add_f64 v[10:11], v[51:52], -v[73:74]
	s_waitcnt vmcnt(7)
	v_add_f64 v[49:50], v[69:70], -v[125:126]
	v_add_f64 v[51:52], v[71:72], -v[129:130]
	s_waitcnt vmcnt(6)
	;; [unrolled: 3-line block ×8, first 2 shown]
	v_add_f64 v[89:90], v[101:102], -v[188:189]
	v_add_f64 v[91:92], v[103:104], -v[16:17]
	s_clause 0xc
	scratch_store_b128 off, v[4:7], off offset:816
	scratch_store_b128 off, v[8:11], off offset:864
	scratch_store_b128 off, v[12:15], off offset:880
	scratch_store_b128 off, v[49:52], off offset:832
	scratch_store_b128 off, v[0:3], off offset:848
	scratch_store_b128 off, v[42:45], off offset:896
	scratch_store_b128 off, v[53:56], off offset:912
	scratch_store_b128 off, v[65:68], off offset:928
	scratch_store_b128 off, v[69:72], off offset:944
	scratch_store_b128 off, v[77:80], off offset:960
	scratch_store_b128 off, v[81:84], off offset:976
	scratch_store_b128 off, v[85:88], off offset:992
	scratch_store_b128 off, v[89:92], off offset:1008
.LBB126_1206:
	s_or_b32 exec_lo, exec_lo, s2
	s_waitcnt_vscnt null, 0x0
	s_barrier
	buffer_gl0_inv
	scratch_load_b128 v[0:3], v174, off
	v_lshl_add_u32 v4, v41, 4, v36
	s_cmp_lt_i32 s5, 53
	s_waitcnt vmcnt(0)
	ds_store_2addr_b64 v4, v[0:1], v[2:3] offset1:1
	s_waitcnt lgkmcnt(0)
	s_barrier
	buffer_gl0_inv
	ds_load_2addr_b64 v[0:3], v36 offset0:102 offset1:103
	v_mov_b32_e32 v4, 51
	s_cbranch_scc1 .LBB126_1209
; %bb.1207:
	v_add3_u32 v5, v38, 0, 0x340
	v_mov_b32_e32 v4, 51
	s_mov_b32 s6, 52
	s_set_inst_prefetch_distance 0x1
	.p2align	6
.LBB126_1208:                           ; =>This Inner Loop Header: Depth=1
	ds_load_2addr_b64 v[6:9], v5 offset1:1
	s_waitcnt lgkmcnt(1)
	v_cmp_gt_f64_e32 vcc_lo, 0, v[0:1]
	v_xor_b32_e32 v10, 0x80000000, v1
	v_cmp_gt_f64_e64 s2, 0, v[2:3]
	v_xor_b32_e32 v12, 0x80000000, v3
	v_add_nc_u32_e32 v5, 16, v5
	s_waitcnt lgkmcnt(0)
	v_cmp_gt_f64_e64 s3, 0, v[6:7]
	v_mov_b32_e32 v14, v6
	v_dual_mov_b32 v16, v8 :: v_dual_cndmask_b32 v11, v1, v10
	v_xor_b32_e32 v10, 0x80000000, v7
	v_cndmask_b32_e64 v13, v3, v12, s2
	v_xor_b32_e32 v12, 0x80000000, v9
	s_delay_alu instid0(VALU_DEP_3) | instskip(SKIP_2) | instid1(VALU_DEP_2)
	v_cndmask_b32_e64 v15, v7, v10, s3
	v_cmp_gt_f64_e64 s3, 0, v[8:9]
	v_cndmask_b32_e32 v10, v0, v0, vcc_lo
	v_cndmask_b32_e64 v17, v9, v12, s3
	v_cndmask_b32_e64 v12, v2, v2, s2
	s_delay_alu instid0(VALU_DEP_2) | instskip(NEXT) | instid1(VALU_DEP_2)
	v_add_f64 v[14:15], v[14:15], v[16:17]
	v_add_f64 v[10:11], v[10:11], v[12:13]
	s_delay_alu instid0(VALU_DEP_1)
	v_cmp_lt_f64_e32 vcc_lo, v[10:11], v[14:15]
	v_cndmask_b32_e32 v3, v3, v9, vcc_lo
	v_dual_cndmask_b32 v1, v1, v7 :: v_dual_cndmask_b32 v0, v0, v6
	v_cndmask_b32_e32 v2, v2, v8, vcc_lo
	v_cndmask_b32_e64 v4, v4, s6, vcc_lo
	s_add_i32 s6, s6, 1
	s_delay_alu instid0(SALU_CYCLE_1)
	s_cmp_lg_u32 s5, s6
	s_cbranch_scc1 .LBB126_1208
.LBB126_1209:
	s_set_inst_prefetch_distance 0x2
	s_waitcnt lgkmcnt(0)
	v_cmp_eq_f64_e32 vcc_lo, 0, v[0:1]
	v_cmp_eq_f64_e64 s2, 0, v[2:3]
	s_delay_alu instid0(VALU_DEP_1) | instskip(NEXT) | instid1(SALU_CYCLE_1)
	s_and_b32 s2, vcc_lo, s2
	s_and_saveexec_b32 s3, s2
	s_delay_alu instid0(SALU_CYCLE_1)
	s_xor_b32 s2, exec_lo, s3
; %bb.1210:
	v_cmp_ne_u32_e32 vcc_lo, 0, v37
	v_cndmask_b32_e32 v37, 52, v37, vcc_lo
; %bb.1211:
	s_and_not1_saveexec_b32 s3, s2
	s_cbranch_execz .LBB126_1217
; %bb.1212:
	v_cmp_gt_f64_e32 vcc_lo, 0, v[0:1]
	v_cmp_gt_f64_e64 s2, 0, v[2:3]
	v_xor_b32_e32 v5, 0x80000000, v1
	v_xor_b32_e32 v7, 0x80000000, v3
	s_delay_alu instid0(VALU_DEP_2) | instskip(NEXT) | instid1(VALU_DEP_2)
	v_dual_cndmask_b32 v6, v1, v5 :: v_dual_cndmask_b32 v5, v0, v0
	v_cndmask_b32_e64 v8, v3, v7, s2
	v_cndmask_b32_e64 v7, v2, v2, s2
	s_mov_b32 s2, exec_lo
	s_delay_alu instid0(VALU_DEP_1)
	v_cmpx_ngt_f64_e32 v[5:6], v[7:8]
	s_xor_b32 s2, exec_lo, s2
	s_cbranch_execz .LBB126_1214
; %bb.1213:
	v_div_scale_f64 v[5:6], null, v[2:3], v[2:3], v[0:1]
	v_div_scale_f64 v[11:12], vcc_lo, v[0:1], v[2:3], v[0:1]
	s_delay_alu instid0(VALU_DEP_2) | instskip(SKIP_2) | instid1(VALU_DEP_1)
	v_rcp_f64_e32 v[7:8], v[5:6]
	s_waitcnt_depctr 0xfff
	v_fma_f64 v[9:10], -v[5:6], v[7:8], 1.0
	v_fma_f64 v[7:8], v[7:8], v[9:10], v[7:8]
	s_delay_alu instid0(VALU_DEP_1) | instskip(NEXT) | instid1(VALU_DEP_1)
	v_fma_f64 v[9:10], -v[5:6], v[7:8], 1.0
	v_fma_f64 v[7:8], v[7:8], v[9:10], v[7:8]
	s_delay_alu instid0(VALU_DEP_1) | instskip(NEXT) | instid1(VALU_DEP_1)
	v_mul_f64 v[9:10], v[11:12], v[7:8]
	v_fma_f64 v[5:6], -v[5:6], v[9:10], v[11:12]
	s_delay_alu instid0(VALU_DEP_1) | instskip(NEXT) | instid1(VALU_DEP_1)
	v_div_fmas_f64 v[5:6], v[5:6], v[7:8], v[9:10]
	v_div_fixup_f64 v[5:6], v[5:6], v[2:3], v[0:1]
	s_delay_alu instid0(VALU_DEP_1) | instskip(NEXT) | instid1(VALU_DEP_1)
	v_fma_f64 v[0:1], v[0:1], v[5:6], v[2:3]
	v_div_scale_f64 v[2:3], null, v[0:1], v[0:1], 1.0
	s_delay_alu instid0(VALU_DEP_1) | instskip(SKIP_2) | instid1(VALU_DEP_1)
	v_rcp_f64_e32 v[7:8], v[2:3]
	s_waitcnt_depctr 0xfff
	v_fma_f64 v[9:10], -v[2:3], v[7:8], 1.0
	v_fma_f64 v[7:8], v[7:8], v[9:10], v[7:8]
	s_delay_alu instid0(VALU_DEP_1) | instskip(NEXT) | instid1(VALU_DEP_1)
	v_fma_f64 v[9:10], -v[2:3], v[7:8], 1.0
	v_fma_f64 v[7:8], v[7:8], v[9:10], v[7:8]
	v_div_scale_f64 v[9:10], vcc_lo, 1.0, v[0:1], 1.0
	s_delay_alu instid0(VALU_DEP_1) | instskip(NEXT) | instid1(VALU_DEP_1)
	v_mul_f64 v[11:12], v[9:10], v[7:8]
	v_fma_f64 v[2:3], -v[2:3], v[11:12], v[9:10]
	s_delay_alu instid0(VALU_DEP_1) | instskip(NEXT) | instid1(VALU_DEP_1)
	v_div_fmas_f64 v[2:3], v[2:3], v[7:8], v[11:12]
	v_div_fixup_f64 v[2:3], v[2:3], v[0:1], 1.0
	s_delay_alu instid0(VALU_DEP_1)
	v_mul_f64 v[0:1], v[5:6], v[2:3]
	v_xor_b32_e32 v3, 0x80000000, v3
.LBB126_1214:
	s_and_not1_saveexec_b32 s2, s2
	s_cbranch_execz .LBB126_1216
; %bb.1215:
	s_delay_alu instid0(VALU_DEP_1) | instskip(SKIP_1) | instid1(VALU_DEP_2)
	v_div_scale_f64 v[5:6], null, v[0:1], v[0:1], v[2:3]
	v_div_scale_f64 v[11:12], vcc_lo, v[2:3], v[0:1], v[2:3]
	v_rcp_f64_e32 v[7:8], v[5:6]
	s_waitcnt_depctr 0xfff
	v_fma_f64 v[9:10], -v[5:6], v[7:8], 1.0
	s_delay_alu instid0(VALU_DEP_1) | instskip(NEXT) | instid1(VALU_DEP_1)
	v_fma_f64 v[7:8], v[7:8], v[9:10], v[7:8]
	v_fma_f64 v[9:10], -v[5:6], v[7:8], 1.0
	s_delay_alu instid0(VALU_DEP_1) | instskip(NEXT) | instid1(VALU_DEP_1)
	v_fma_f64 v[7:8], v[7:8], v[9:10], v[7:8]
	v_mul_f64 v[9:10], v[11:12], v[7:8]
	s_delay_alu instid0(VALU_DEP_1) | instskip(NEXT) | instid1(VALU_DEP_1)
	v_fma_f64 v[5:6], -v[5:6], v[9:10], v[11:12]
	v_div_fmas_f64 v[5:6], v[5:6], v[7:8], v[9:10]
	s_delay_alu instid0(VALU_DEP_1) | instskip(NEXT) | instid1(VALU_DEP_1)
	v_div_fixup_f64 v[5:6], v[5:6], v[0:1], v[2:3]
	v_fma_f64 v[0:1], v[2:3], v[5:6], v[0:1]
	s_delay_alu instid0(VALU_DEP_1) | instskip(NEXT) | instid1(VALU_DEP_1)
	v_div_scale_f64 v[2:3], null, v[0:1], v[0:1], 1.0
	v_rcp_f64_e32 v[7:8], v[2:3]
	s_waitcnt_depctr 0xfff
	v_fma_f64 v[9:10], -v[2:3], v[7:8], 1.0
	s_delay_alu instid0(VALU_DEP_1) | instskip(NEXT) | instid1(VALU_DEP_1)
	v_fma_f64 v[7:8], v[7:8], v[9:10], v[7:8]
	v_fma_f64 v[9:10], -v[2:3], v[7:8], 1.0
	s_delay_alu instid0(VALU_DEP_1) | instskip(SKIP_1) | instid1(VALU_DEP_1)
	v_fma_f64 v[7:8], v[7:8], v[9:10], v[7:8]
	v_div_scale_f64 v[9:10], vcc_lo, 1.0, v[0:1], 1.0
	v_mul_f64 v[11:12], v[9:10], v[7:8]
	s_delay_alu instid0(VALU_DEP_1) | instskip(NEXT) | instid1(VALU_DEP_1)
	v_fma_f64 v[2:3], -v[2:3], v[11:12], v[9:10]
	v_div_fmas_f64 v[2:3], v[2:3], v[7:8], v[11:12]
	s_delay_alu instid0(VALU_DEP_1) | instskip(NEXT) | instid1(VALU_DEP_1)
	v_div_fixup_f64 v[0:1], v[2:3], v[0:1], 1.0
	v_mul_f64 v[2:3], v[5:6], -v[0:1]
.LBB126_1216:
	s_or_b32 exec_lo, exec_lo, s2
.LBB126_1217:
	s_delay_alu instid0(SALU_CYCLE_1) | instskip(NEXT) | instid1(SALU_CYCLE_1)
	s_or_b32 exec_lo, exec_lo, s3
	s_mov_b32 s2, exec_lo
	v_cmpx_ne_u32_e64 v41, v4
	s_xor_b32 s2, exec_lo, s2
	s_cbranch_execz .LBB126_1223
; %bb.1218:
	s_mov_b32 s3, exec_lo
	v_cmpx_eq_u32_e32 51, v41
	s_cbranch_execz .LBB126_1222
; %bb.1219:
	v_cmp_ne_u32_e32 vcc_lo, 51, v4
	s_xor_b32 s6, s4, -1
	s_delay_alu instid0(SALU_CYCLE_1) | instskip(NEXT) | instid1(SALU_CYCLE_1)
	s_and_b32 s7, s6, vcc_lo
	s_and_saveexec_b32 s6, s7
	s_cbranch_execz .LBB126_1221
; %bb.1220:
	v_ashrrev_i32_e32 v5, 31, v4
	s_delay_alu instid0(VALU_DEP_1) | instskip(NEXT) | instid1(VALU_DEP_1)
	v_lshlrev_b64 v[5:6], 2, v[4:5]
	v_add_co_u32 v5, vcc_lo, v250, v5
	s_delay_alu instid0(VALU_DEP_2)
	v_add_co_ci_u32_e32 v6, vcc_lo, v251, v6, vcc_lo
	s_clause 0x1
	flat_load_b32 v7, v[5:6]
	flat_load_b32 v8, v[250:251] offset:204
	s_waitcnt vmcnt(1) lgkmcnt(1)
	flat_store_b32 v[250:251], v7 offset:204
	s_waitcnt vmcnt(0) lgkmcnt(1)
	flat_store_b32 v[5:6], v8
.LBB126_1221:
	s_or_b32 exec_lo, exec_lo, s6
	v_mov_b32_e32 v41, v4
	v_mov_b32_e32 v39, v4
.LBB126_1222:
	s_or_b32 exec_lo, exec_lo, s3
.LBB126_1223:
	s_and_not1_saveexec_b32 s2, s2
	s_cbranch_execz .LBB126_1225
; %bb.1224:
	s_clause 0xb
	scratch_load_b128 v[4:7], v173, off
	scratch_load_b128 v[8:11], v172, off
	;; [unrolled: 1-line block ×12, first 2 shown]
	v_mov_b32_e32 v41, 51
	s_waitcnt vmcnt(11)
	ds_store_2addr_b64 v36, v[4:5], v[6:7] offset0:104 offset1:105
	s_waitcnt vmcnt(10)
	ds_store_2addr_b64 v36, v[8:9], v[10:11] offset0:106 offset1:107
	s_waitcnt vmcnt(9)
	ds_store_2addr_b64 v36, v[12:13], v[14:15] offset0:108 offset1:109
	s_waitcnt vmcnt(8)
	ds_store_2addr_b64 v36, v[42:43], v[44:45] offset0:110 offset1:111
	s_waitcnt vmcnt(7)
	ds_store_2addr_b64 v36, v[49:50], v[51:52] offset0:112 offset1:113
	s_waitcnt vmcnt(6)
	ds_store_2addr_b64 v36, v[53:54], v[55:56] offset0:114 offset1:115
	s_waitcnt vmcnt(5)
	ds_store_2addr_b64 v36, v[65:66], v[67:68] offset0:116 offset1:117
	s_waitcnt vmcnt(4)
	ds_store_2addr_b64 v36, v[69:70], v[71:72] offset0:118 offset1:119
	s_waitcnt vmcnt(3)
	ds_store_2addr_b64 v36, v[77:78], v[79:80] offset0:120 offset1:121
	s_waitcnt vmcnt(2)
	ds_store_2addr_b64 v36, v[81:82], v[83:84] offset0:122 offset1:123
	s_waitcnt vmcnt(1)
	ds_store_2addr_b64 v36, v[85:86], v[87:88] offset0:124 offset1:125
	s_waitcnt vmcnt(0)
	ds_store_2addr_b64 v36, v[89:90], v[91:92] offset0:126 offset1:127
.LBB126_1225:
	s_or_b32 exec_lo, exec_lo, s2
	s_delay_alu instid0(SALU_CYCLE_1)
	s_mov_b32 s2, exec_lo
	s_waitcnt lgkmcnt(0)
	s_waitcnt_vscnt null, 0x0
	s_barrier
	buffer_gl0_inv
	v_cmpx_lt_i32_e32 51, v41
	s_cbranch_execz .LBB126_1227
; %bb.1226:
	s_clause 0x1
	scratch_load_b128 v[4:7], off, off offset:816
	scratch_load_b128 v[8:11], off, off offset:832
	s_waitcnt vmcnt(1)
	v_mul_f64 v[12:13], v[0:1], v[6:7]
	v_mul_f64 v[6:7], v[2:3], v[6:7]
	s_delay_alu instid0(VALU_DEP_2)
	v_fma_f64 v[2:3], v[2:3], v[4:5], v[12:13]
	ds_load_2addr_b64 v[12:15], v36 offset0:104 offset1:105
	ds_load_2addr_b64 v[42:45], v36 offset0:106 offset1:107
	v_fma_f64 v[0:1], v[0:1], v[4:5], -v[6:7]
	s_waitcnt lgkmcnt(1)
	v_mul_f64 v[4:5], v[14:15], v[2:3]
	v_mul_f64 v[6:7], v[12:13], v[2:3]
	scratch_store_b128 off, v[0:3], off offset:816
	s_waitcnt lgkmcnt(0)
	v_mul_f64 v[125:126], v[44:45], v[2:3]
	v_fma_f64 v[4:5], v[12:13], v[0:1], -v[4:5]
	v_fma_f64 v[6:7], v[14:15], v[0:1], v[6:7]
	s_waitcnt vmcnt(0)
	s_delay_alu instid0(VALU_DEP_2) | instskip(NEXT) | instid1(VALU_DEP_2)
	v_add_f64 v[4:5], v[8:9], -v[4:5]
	v_add_f64 v[6:7], v[10:11], -v[6:7]
	s_clause 0xb
	scratch_load_b128 v[8:11], off, off offset:816
	scratch_load_b128 v[12:15], off, off offset:864
	;; [unrolled: 1-line block ×12, first 2 shown]
	ds_load_2addr_b64 v[101:104], v36 offset0:108 offset1:109
	ds_load_2addr_b64 v[105:108], v36 offset0:110 offset1:111
	;; [unrolled: 1-line block ×10, first 2 shown]
	s_waitcnt lgkmcnt(9)
	v_mul_f64 v[16:17], v[103:104], v[2:3]
	s_waitcnt lgkmcnt(8)
	v_mul_f64 v[46:47], v[107:108], v[2:3]
	v_mul_f64 v[57:58], v[105:106], v[2:3]
	;; [unrolled: 1-line block ×3, first 2 shown]
	s_waitcnt lgkmcnt(7)
	v_mul_f64 v[61:62], v[131:132], v[2:3]
	v_mul_f64 v[73:74], v[129:130], v[2:3]
	s_waitcnt lgkmcnt(6)
	v_mul_f64 v[117:118], v[138:139], v[2:3]
	v_mul_f64 v[121:122], v[136:137], v[2:3]
	v_mul_f64 v[2:3], v[42:43], v[2:3]
	v_fma_f64 v[16:17], v[101:102], v[0:1], -v[16:17]
	v_fma_f64 v[46:47], v[105:106], v[0:1], -v[46:47]
	v_fma_f64 v[57:58], v[107:108], v[0:1], v[57:58]
	v_fma_f64 v[18:19], v[103:104], v[0:1], v[18:19]
	v_fma_f64 v[61:62], v[129:130], v[0:1], -v[61:62]
	v_fma_f64 v[73:74], v[131:132], v[0:1], v[73:74]
	v_fma_f64 v[105:106], v[42:43], v[0:1], -v[125:126]
	v_fma_f64 v[101:102], v[136:137], v[0:1], -v[117:118]
	v_fma_f64 v[107:108], v[44:45], v[0:1], v[2:3]
	v_fma_f64 v[103:104], v[138:139], v[0:1], v[121:122]
	s_waitcnt vmcnt(11) lgkmcnt(5)
	v_mul_f64 v[141:142], v[148:149], v[10:11]
	v_mul_f64 v[150:151], v[146:147], v[10:11]
	s_waitcnt lgkmcnt(4)
	v_mul_f64 v[154:155], v[188:189], v[10:11]
	v_mul_f64 v[156:157], v[186:187], v[10:11]
	s_waitcnt lgkmcnt(3)
	;; [unrolled: 3-line block ×5, first 2 shown]
	v_mul_f64 v[216:217], v[204:205], v[10:11]
	v_mul_f64 v[10:11], v[202:203], v[10:11]
	s_waitcnt vmcnt(10)
	v_add_f64 v[0:1], v[12:13], -v[16:17]
	v_add_f64 v[2:3], v[14:15], -v[18:19]
	s_waitcnt vmcnt(8)
	v_add_f64 v[12:13], v[53:54], -v[61:62]
	v_add_f64 v[14:15], v[55:56], -v[73:74]
	;; [unrolled: 3-line block ×3, first 2 shown]
	v_fma_f64 v[117:118], v[146:147], v[8:9], -v[141:142]
	v_fma_f64 v[121:122], v[148:149], v[8:9], v[150:151]
	v_fma_f64 v[125:126], v[186:187], v[8:9], -v[154:155]
	v_fma_f64 v[129:130], v[188:189], v[8:9], v[156:157]
	;; [unrolled: 2-line block ×6, first 2 shown]
	v_add_f64 v[8:9], v[49:50], -v[46:47]
	v_add_f64 v[10:11], v[51:52], -v[57:58]
	s_waitcnt vmcnt(6)
	v_add_f64 v[49:50], v[69:70], -v[105:106]
	v_add_f64 v[51:52], v[71:72], -v[107:108]
	s_waitcnt vmcnt(5)
	v_add_f64 v[53:54], v[77:78], -v[117:118]
	v_add_f64 v[55:56], v[79:80], -v[121:122]
	s_waitcnt vmcnt(4)
	v_add_f64 v[65:66], v[81:82], -v[125:126]
	v_add_f64 v[67:68], v[83:84], -v[129:130]
	s_waitcnt vmcnt(3)
	v_add_f64 v[69:70], v[85:86], -v[131:132]
	v_add_f64 v[71:72], v[87:88], -v[136:137]
	s_waitcnt vmcnt(2)
	v_add_f64 v[77:78], v[89:90], -v[138:139]
	v_add_f64 v[79:80], v[91:92], -v[141:142]
	s_waitcnt vmcnt(1)
	v_add_f64 v[81:82], v[93:94], -v[146:147]
	v_add_f64 v[83:84], v[95:96], -v[148:149]
	s_waitcnt vmcnt(0)
	v_add_f64 v[85:86], v[97:98], -v[150:151]
	v_add_f64 v[87:88], v[99:100], -v[154:155]
	s_clause 0xb
	scratch_store_b128 off, v[4:7], off offset:832
	scratch_store_b128 off, v[8:11], off offset:880
	;; [unrolled: 1-line block ×12, first 2 shown]
.LBB126_1227:
	s_or_b32 exec_lo, exec_lo, s2
	s_waitcnt_vscnt null, 0x0
	s_barrier
	buffer_gl0_inv
	scratch_load_b128 v[0:3], v173, off
	v_lshl_add_u32 v4, v41, 4, v36
	s_cmp_lt_i32 s5, 54
	s_waitcnt vmcnt(0)
	ds_store_2addr_b64 v4, v[0:1], v[2:3] offset1:1
	s_waitcnt lgkmcnt(0)
	s_barrier
	buffer_gl0_inv
	ds_load_2addr_b64 v[0:3], v36 offset0:104 offset1:105
	v_mov_b32_e32 v4, 52
	s_cbranch_scc1 .LBB126_1230
; %bb.1228:
	v_add3_u32 v5, v38, 0, 0x350
	v_mov_b32_e32 v4, 52
	s_mov_b32 s6, 53
	s_set_inst_prefetch_distance 0x1
	.p2align	6
.LBB126_1229:                           ; =>This Inner Loop Header: Depth=1
	ds_load_2addr_b64 v[6:9], v5 offset1:1
	s_waitcnt lgkmcnt(1)
	v_cmp_gt_f64_e32 vcc_lo, 0, v[0:1]
	v_xor_b32_e32 v10, 0x80000000, v1
	v_cmp_gt_f64_e64 s2, 0, v[2:3]
	v_xor_b32_e32 v12, 0x80000000, v3
	v_add_nc_u32_e32 v5, 16, v5
	s_waitcnt lgkmcnt(0)
	v_cmp_gt_f64_e64 s3, 0, v[6:7]
	v_mov_b32_e32 v14, v6
	v_dual_mov_b32 v16, v8 :: v_dual_cndmask_b32 v11, v1, v10
	v_xor_b32_e32 v10, 0x80000000, v7
	v_cndmask_b32_e64 v13, v3, v12, s2
	v_xor_b32_e32 v12, 0x80000000, v9
	s_delay_alu instid0(VALU_DEP_3) | instskip(SKIP_2) | instid1(VALU_DEP_2)
	v_cndmask_b32_e64 v15, v7, v10, s3
	v_cmp_gt_f64_e64 s3, 0, v[8:9]
	v_cndmask_b32_e32 v10, v0, v0, vcc_lo
	v_cndmask_b32_e64 v17, v9, v12, s3
	v_cndmask_b32_e64 v12, v2, v2, s2
	s_delay_alu instid0(VALU_DEP_2) | instskip(NEXT) | instid1(VALU_DEP_2)
	v_add_f64 v[14:15], v[14:15], v[16:17]
	v_add_f64 v[10:11], v[10:11], v[12:13]
	s_delay_alu instid0(VALU_DEP_1)
	v_cmp_lt_f64_e32 vcc_lo, v[10:11], v[14:15]
	v_cndmask_b32_e32 v3, v3, v9, vcc_lo
	v_dual_cndmask_b32 v1, v1, v7 :: v_dual_cndmask_b32 v0, v0, v6
	v_cndmask_b32_e32 v2, v2, v8, vcc_lo
	v_cndmask_b32_e64 v4, v4, s6, vcc_lo
	s_add_i32 s6, s6, 1
	s_delay_alu instid0(SALU_CYCLE_1)
	s_cmp_lg_u32 s5, s6
	s_cbranch_scc1 .LBB126_1229
.LBB126_1230:
	s_set_inst_prefetch_distance 0x2
	s_waitcnt lgkmcnt(0)
	v_cmp_eq_f64_e32 vcc_lo, 0, v[0:1]
	v_cmp_eq_f64_e64 s2, 0, v[2:3]
	s_delay_alu instid0(VALU_DEP_1) | instskip(NEXT) | instid1(SALU_CYCLE_1)
	s_and_b32 s2, vcc_lo, s2
	s_and_saveexec_b32 s3, s2
	s_delay_alu instid0(SALU_CYCLE_1)
	s_xor_b32 s2, exec_lo, s3
; %bb.1231:
	v_cmp_ne_u32_e32 vcc_lo, 0, v37
	v_cndmask_b32_e32 v37, 53, v37, vcc_lo
; %bb.1232:
	s_and_not1_saveexec_b32 s3, s2
	s_cbranch_execz .LBB126_1238
; %bb.1233:
	v_cmp_gt_f64_e32 vcc_lo, 0, v[0:1]
	v_cmp_gt_f64_e64 s2, 0, v[2:3]
	v_xor_b32_e32 v5, 0x80000000, v1
	v_xor_b32_e32 v7, 0x80000000, v3
	s_delay_alu instid0(VALU_DEP_2) | instskip(NEXT) | instid1(VALU_DEP_2)
	v_dual_cndmask_b32 v6, v1, v5 :: v_dual_cndmask_b32 v5, v0, v0
	v_cndmask_b32_e64 v8, v3, v7, s2
	v_cndmask_b32_e64 v7, v2, v2, s2
	s_mov_b32 s2, exec_lo
	s_delay_alu instid0(VALU_DEP_1)
	v_cmpx_ngt_f64_e32 v[5:6], v[7:8]
	s_xor_b32 s2, exec_lo, s2
	s_cbranch_execz .LBB126_1235
; %bb.1234:
	v_div_scale_f64 v[5:6], null, v[2:3], v[2:3], v[0:1]
	v_div_scale_f64 v[11:12], vcc_lo, v[0:1], v[2:3], v[0:1]
	s_delay_alu instid0(VALU_DEP_2) | instskip(SKIP_2) | instid1(VALU_DEP_1)
	v_rcp_f64_e32 v[7:8], v[5:6]
	s_waitcnt_depctr 0xfff
	v_fma_f64 v[9:10], -v[5:6], v[7:8], 1.0
	v_fma_f64 v[7:8], v[7:8], v[9:10], v[7:8]
	s_delay_alu instid0(VALU_DEP_1) | instskip(NEXT) | instid1(VALU_DEP_1)
	v_fma_f64 v[9:10], -v[5:6], v[7:8], 1.0
	v_fma_f64 v[7:8], v[7:8], v[9:10], v[7:8]
	s_delay_alu instid0(VALU_DEP_1) | instskip(NEXT) | instid1(VALU_DEP_1)
	v_mul_f64 v[9:10], v[11:12], v[7:8]
	v_fma_f64 v[5:6], -v[5:6], v[9:10], v[11:12]
	s_delay_alu instid0(VALU_DEP_1) | instskip(NEXT) | instid1(VALU_DEP_1)
	v_div_fmas_f64 v[5:6], v[5:6], v[7:8], v[9:10]
	v_div_fixup_f64 v[5:6], v[5:6], v[2:3], v[0:1]
	s_delay_alu instid0(VALU_DEP_1) | instskip(NEXT) | instid1(VALU_DEP_1)
	v_fma_f64 v[0:1], v[0:1], v[5:6], v[2:3]
	v_div_scale_f64 v[2:3], null, v[0:1], v[0:1], 1.0
	s_delay_alu instid0(VALU_DEP_1) | instskip(SKIP_2) | instid1(VALU_DEP_1)
	v_rcp_f64_e32 v[7:8], v[2:3]
	s_waitcnt_depctr 0xfff
	v_fma_f64 v[9:10], -v[2:3], v[7:8], 1.0
	v_fma_f64 v[7:8], v[7:8], v[9:10], v[7:8]
	s_delay_alu instid0(VALU_DEP_1) | instskip(NEXT) | instid1(VALU_DEP_1)
	v_fma_f64 v[9:10], -v[2:3], v[7:8], 1.0
	v_fma_f64 v[7:8], v[7:8], v[9:10], v[7:8]
	v_div_scale_f64 v[9:10], vcc_lo, 1.0, v[0:1], 1.0
	s_delay_alu instid0(VALU_DEP_1) | instskip(NEXT) | instid1(VALU_DEP_1)
	v_mul_f64 v[11:12], v[9:10], v[7:8]
	v_fma_f64 v[2:3], -v[2:3], v[11:12], v[9:10]
	s_delay_alu instid0(VALU_DEP_1) | instskip(NEXT) | instid1(VALU_DEP_1)
	v_div_fmas_f64 v[2:3], v[2:3], v[7:8], v[11:12]
	v_div_fixup_f64 v[2:3], v[2:3], v[0:1], 1.0
	s_delay_alu instid0(VALU_DEP_1)
	v_mul_f64 v[0:1], v[5:6], v[2:3]
	v_xor_b32_e32 v3, 0x80000000, v3
.LBB126_1235:
	s_and_not1_saveexec_b32 s2, s2
	s_cbranch_execz .LBB126_1237
; %bb.1236:
	s_delay_alu instid0(VALU_DEP_1) | instskip(SKIP_1) | instid1(VALU_DEP_2)
	v_div_scale_f64 v[5:6], null, v[0:1], v[0:1], v[2:3]
	v_div_scale_f64 v[11:12], vcc_lo, v[2:3], v[0:1], v[2:3]
	v_rcp_f64_e32 v[7:8], v[5:6]
	s_waitcnt_depctr 0xfff
	v_fma_f64 v[9:10], -v[5:6], v[7:8], 1.0
	s_delay_alu instid0(VALU_DEP_1) | instskip(NEXT) | instid1(VALU_DEP_1)
	v_fma_f64 v[7:8], v[7:8], v[9:10], v[7:8]
	v_fma_f64 v[9:10], -v[5:6], v[7:8], 1.0
	s_delay_alu instid0(VALU_DEP_1) | instskip(NEXT) | instid1(VALU_DEP_1)
	v_fma_f64 v[7:8], v[7:8], v[9:10], v[7:8]
	v_mul_f64 v[9:10], v[11:12], v[7:8]
	s_delay_alu instid0(VALU_DEP_1) | instskip(NEXT) | instid1(VALU_DEP_1)
	v_fma_f64 v[5:6], -v[5:6], v[9:10], v[11:12]
	v_div_fmas_f64 v[5:6], v[5:6], v[7:8], v[9:10]
	s_delay_alu instid0(VALU_DEP_1) | instskip(NEXT) | instid1(VALU_DEP_1)
	v_div_fixup_f64 v[5:6], v[5:6], v[0:1], v[2:3]
	v_fma_f64 v[0:1], v[2:3], v[5:6], v[0:1]
	s_delay_alu instid0(VALU_DEP_1) | instskip(NEXT) | instid1(VALU_DEP_1)
	v_div_scale_f64 v[2:3], null, v[0:1], v[0:1], 1.0
	v_rcp_f64_e32 v[7:8], v[2:3]
	s_waitcnt_depctr 0xfff
	v_fma_f64 v[9:10], -v[2:3], v[7:8], 1.0
	s_delay_alu instid0(VALU_DEP_1) | instskip(NEXT) | instid1(VALU_DEP_1)
	v_fma_f64 v[7:8], v[7:8], v[9:10], v[7:8]
	v_fma_f64 v[9:10], -v[2:3], v[7:8], 1.0
	s_delay_alu instid0(VALU_DEP_1) | instskip(SKIP_1) | instid1(VALU_DEP_1)
	v_fma_f64 v[7:8], v[7:8], v[9:10], v[7:8]
	v_div_scale_f64 v[9:10], vcc_lo, 1.0, v[0:1], 1.0
	v_mul_f64 v[11:12], v[9:10], v[7:8]
	s_delay_alu instid0(VALU_DEP_1) | instskip(NEXT) | instid1(VALU_DEP_1)
	v_fma_f64 v[2:3], -v[2:3], v[11:12], v[9:10]
	v_div_fmas_f64 v[2:3], v[2:3], v[7:8], v[11:12]
	s_delay_alu instid0(VALU_DEP_1) | instskip(NEXT) | instid1(VALU_DEP_1)
	v_div_fixup_f64 v[0:1], v[2:3], v[0:1], 1.0
	v_mul_f64 v[2:3], v[5:6], -v[0:1]
.LBB126_1237:
	s_or_b32 exec_lo, exec_lo, s2
.LBB126_1238:
	s_delay_alu instid0(SALU_CYCLE_1) | instskip(NEXT) | instid1(SALU_CYCLE_1)
	s_or_b32 exec_lo, exec_lo, s3
	s_mov_b32 s2, exec_lo
	v_cmpx_ne_u32_e64 v41, v4
	s_xor_b32 s2, exec_lo, s2
	s_cbranch_execz .LBB126_1244
; %bb.1239:
	s_mov_b32 s3, exec_lo
	v_cmpx_eq_u32_e32 52, v41
	s_cbranch_execz .LBB126_1243
; %bb.1240:
	v_cmp_ne_u32_e32 vcc_lo, 52, v4
	s_xor_b32 s6, s4, -1
	s_delay_alu instid0(SALU_CYCLE_1) | instskip(NEXT) | instid1(SALU_CYCLE_1)
	s_and_b32 s7, s6, vcc_lo
	s_and_saveexec_b32 s6, s7
	s_cbranch_execz .LBB126_1242
; %bb.1241:
	v_ashrrev_i32_e32 v5, 31, v4
	s_delay_alu instid0(VALU_DEP_1) | instskip(NEXT) | instid1(VALU_DEP_1)
	v_lshlrev_b64 v[5:6], 2, v[4:5]
	v_add_co_u32 v5, vcc_lo, v250, v5
	s_delay_alu instid0(VALU_DEP_2)
	v_add_co_ci_u32_e32 v6, vcc_lo, v251, v6, vcc_lo
	s_clause 0x1
	flat_load_b32 v7, v[5:6]
	flat_load_b32 v8, v[250:251] offset:208
	s_waitcnt vmcnt(1) lgkmcnt(1)
	flat_store_b32 v[250:251], v7 offset:208
	s_waitcnt vmcnt(0) lgkmcnt(1)
	flat_store_b32 v[5:6], v8
.LBB126_1242:
	s_or_b32 exec_lo, exec_lo, s6
	v_mov_b32_e32 v41, v4
	v_mov_b32_e32 v39, v4
.LBB126_1243:
	s_or_b32 exec_lo, exec_lo, s3
.LBB126_1244:
	s_and_not1_saveexec_b32 s2, s2
	s_cbranch_execz .LBB126_1246
; %bb.1245:
	s_clause 0xa
	scratch_load_b128 v[4:7], v172, off
	scratch_load_b128 v[8:11], v168, off
	;; [unrolled: 1-line block ×11, first 2 shown]
	v_mov_b32_e32 v41, 52
	s_waitcnt vmcnt(10)
	ds_store_2addr_b64 v36, v[4:5], v[6:7] offset0:106 offset1:107
	s_waitcnt vmcnt(9)
	ds_store_2addr_b64 v36, v[8:9], v[10:11] offset0:108 offset1:109
	;; [unrolled: 2-line block ×11, first 2 shown]
.LBB126_1246:
	s_or_b32 exec_lo, exec_lo, s2
	s_delay_alu instid0(SALU_CYCLE_1)
	s_mov_b32 s2, exec_lo
	s_waitcnt lgkmcnt(0)
	s_waitcnt_vscnt null, 0x0
	s_barrier
	buffer_gl0_inv
	v_cmpx_lt_i32_e32 52, v41
	s_cbranch_execz .LBB126_1248
; %bb.1247:
	s_clause 0x1
	scratch_load_b128 v[4:7], off, off offset:832
	scratch_load_b128 v[8:11], off, off offset:848
	s_waitcnt vmcnt(1)
	v_mul_f64 v[12:13], v[0:1], v[6:7]
	v_mul_f64 v[6:7], v[2:3], v[6:7]
	s_delay_alu instid0(VALU_DEP_2)
	v_fma_f64 v[2:3], v[2:3], v[4:5], v[12:13]
	ds_load_2addr_b64 v[12:15], v36 offset0:106 offset1:107
	ds_load_2addr_b64 v[42:45], v36 offset0:108 offset1:109
	v_fma_f64 v[0:1], v[0:1], v[4:5], -v[6:7]
	s_waitcnt lgkmcnt(1)
	v_mul_f64 v[4:5], v[14:15], v[2:3]
	v_mul_f64 v[6:7], v[12:13], v[2:3]
	scratch_store_b128 off, v[0:3], off offset:832
	s_waitcnt lgkmcnt(0)
	v_mul_f64 v[125:126], v[44:45], v[2:3]
	v_fma_f64 v[4:5], v[12:13], v[0:1], -v[4:5]
	v_fma_f64 v[6:7], v[14:15], v[0:1], v[6:7]
	s_waitcnt vmcnt(0)
	s_delay_alu instid0(VALU_DEP_2) | instskip(NEXT) | instid1(VALU_DEP_2)
	v_add_f64 v[4:5], v[8:9], -v[4:5]
	v_add_f64 v[6:7], v[10:11], -v[6:7]
	s_clause 0xa
	scratch_load_b128 v[8:11], off, off offset:832
	scratch_load_b128 v[12:15], off, off offset:880
	;; [unrolled: 1-line block ×11, first 2 shown]
	ds_load_2addr_b64 v[97:100], v36 offset0:110 offset1:111
	ds_load_2addr_b64 v[101:104], v36 offset0:112 offset1:113
	;; [unrolled: 1-line block ×9, first 2 shown]
	s_waitcnt lgkmcnt(8)
	v_mul_f64 v[16:17], v[99:100], v[2:3]
	s_waitcnt lgkmcnt(7)
	v_mul_f64 v[46:47], v[103:104], v[2:3]
	v_mul_f64 v[57:58], v[101:102], v[2:3]
	;; [unrolled: 1-line block ×3, first 2 shown]
	s_waitcnt lgkmcnt(6)
	v_mul_f64 v[61:62], v[107:108], v[2:3]
	v_mul_f64 v[73:74], v[105:106], v[2:3]
	s_waitcnt lgkmcnt(5)
	v_mul_f64 v[117:118], v[131:132], v[2:3]
	v_mul_f64 v[121:122], v[129:130], v[2:3]
	;; [unrolled: 1-line block ×3, first 2 shown]
	v_fma_f64 v[16:17], v[97:98], v[0:1], -v[16:17]
	v_fma_f64 v[46:47], v[101:102], v[0:1], -v[46:47]
	v_fma_f64 v[57:58], v[103:104], v[0:1], v[57:58]
	v_fma_f64 v[18:19], v[99:100], v[0:1], v[18:19]
	v_fma_f64 v[61:62], v[105:106], v[0:1], -v[61:62]
	v_fma_f64 v[73:74], v[107:108], v[0:1], v[73:74]
	v_fma_f64 v[101:102], v[42:43], v[0:1], -v[125:126]
	v_fma_f64 v[97:98], v[129:130], v[0:1], -v[117:118]
	v_fma_f64 v[103:104], v[44:45], v[0:1], v[2:3]
	v_fma_f64 v[99:100], v[131:132], v[0:1], v[121:122]
	s_waitcnt vmcnt(10) lgkmcnt(4)
	v_mul_f64 v[141:142], v[138:139], v[10:11]
	v_mul_f64 v[150:151], v[136:137], v[10:11]
	s_waitcnt lgkmcnt(3)
	v_mul_f64 v[154:155], v[148:149], v[10:11]
	v_mul_f64 v[156:157], v[146:147], v[10:11]
	s_waitcnt lgkmcnt(2)
	;; [unrolled: 3-line block ×4, first 2 shown]
	v_mul_f64 v[204:205], v[196:197], v[10:11]
	v_mul_f64 v[10:11], v[194:195], v[10:11]
	s_waitcnt vmcnt(9)
	v_add_f64 v[0:1], v[12:13], -v[16:17]
	v_add_f64 v[2:3], v[14:15], -v[18:19]
	s_waitcnt vmcnt(7)
	v_add_f64 v[12:13], v[53:54], -v[61:62]
	v_add_f64 v[14:15], v[55:56], -v[73:74]
	;; [unrolled: 3-line block ×3, first 2 shown]
	v_fma_f64 v[105:106], v[136:137], v[8:9], -v[141:142]
	v_fma_f64 v[107:108], v[138:139], v[8:9], v[150:151]
	v_fma_f64 v[117:118], v[146:147], v[8:9], -v[154:155]
	v_fma_f64 v[121:122], v[148:149], v[8:9], v[156:157]
	;; [unrolled: 2-line block ×5, first 2 shown]
	v_add_f64 v[8:9], v[49:50], -v[46:47]
	v_add_f64 v[10:11], v[51:52], -v[57:58]
	s_waitcnt vmcnt(5)
	v_add_f64 v[49:50], v[69:70], -v[101:102]
	v_add_f64 v[51:52], v[71:72], -v[103:104]
	s_waitcnt vmcnt(4)
	;; [unrolled: 3-line block ×6, first 2 shown]
	v_add_f64 v[81:82], v[93:94], -v[138:139]
	v_add_f64 v[83:84], v[95:96], -v[141:142]
	s_clause 0xa
	scratch_store_b128 off, v[4:7], off offset:848
	scratch_store_b128 off, v[8:11], off offset:896
	;; [unrolled: 1-line block ×11, first 2 shown]
.LBB126_1248:
	s_or_b32 exec_lo, exec_lo, s2
	s_waitcnt_vscnt null, 0x0
	s_barrier
	buffer_gl0_inv
	scratch_load_b128 v[0:3], v172, off
	v_lshl_add_u32 v4, v41, 4, v36
	s_cmp_lt_i32 s5, 55
	s_waitcnt vmcnt(0)
	ds_store_2addr_b64 v4, v[0:1], v[2:3] offset1:1
	s_waitcnt lgkmcnt(0)
	s_barrier
	buffer_gl0_inv
	ds_load_2addr_b64 v[0:3], v36 offset0:106 offset1:107
	v_mov_b32_e32 v4, 53
	s_cbranch_scc1 .LBB126_1251
; %bb.1249:
	v_add3_u32 v5, v38, 0, 0x360
	v_mov_b32_e32 v4, 53
	s_mov_b32 s6, 54
	s_set_inst_prefetch_distance 0x1
	.p2align	6
.LBB126_1250:                           ; =>This Inner Loop Header: Depth=1
	ds_load_2addr_b64 v[6:9], v5 offset1:1
	s_waitcnt lgkmcnt(1)
	v_cmp_gt_f64_e32 vcc_lo, 0, v[0:1]
	v_xor_b32_e32 v10, 0x80000000, v1
	v_cmp_gt_f64_e64 s2, 0, v[2:3]
	v_xor_b32_e32 v12, 0x80000000, v3
	v_add_nc_u32_e32 v5, 16, v5
	s_waitcnt lgkmcnt(0)
	v_cmp_gt_f64_e64 s3, 0, v[6:7]
	v_mov_b32_e32 v14, v6
	v_dual_mov_b32 v16, v8 :: v_dual_cndmask_b32 v11, v1, v10
	v_xor_b32_e32 v10, 0x80000000, v7
	v_cndmask_b32_e64 v13, v3, v12, s2
	v_xor_b32_e32 v12, 0x80000000, v9
	s_delay_alu instid0(VALU_DEP_3) | instskip(SKIP_2) | instid1(VALU_DEP_2)
	v_cndmask_b32_e64 v15, v7, v10, s3
	v_cmp_gt_f64_e64 s3, 0, v[8:9]
	v_cndmask_b32_e32 v10, v0, v0, vcc_lo
	v_cndmask_b32_e64 v17, v9, v12, s3
	v_cndmask_b32_e64 v12, v2, v2, s2
	s_delay_alu instid0(VALU_DEP_2) | instskip(NEXT) | instid1(VALU_DEP_2)
	v_add_f64 v[14:15], v[14:15], v[16:17]
	v_add_f64 v[10:11], v[10:11], v[12:13]
	s_delay_alu instid0(VALU_DEP_1)
	v_cmp_lt_f64_e32 vcc_lo, v[10:11], v[14:15]
	v_cndmask_b32_e32 v3, v3, v9, vcc_lo
	v_dual_cndmask_b32 v1, v1, v7 :: v_dual_cndmask_b32 v0, v0, v6
	v_cndmask_b32_e32 v2, v2, v8, vcc_lo
	v_cndmask_b32_e64 v4, v4, s6, vcc_lo
	s_add_i32 s6, s6, 1
	s_delay_alu instid0(SALU_CYCLE_1)
	s_cmp_lg_u32 s5, s6
	s_cbranch_scc1 .LBB126_1250
.LBB126_1251:
	s_set_inst_prefetch_distance 0x2
	s_waitcnt lgkmcnt(0)
	v_cmp_eq_f64_e32 vcc_lo, 0, v[0:1]
	v_cmp_eq_f64_e64 s2, 0, v[2:3]
	s_delay_alu instid0(VALU_DEP_1) | instskip(NEXT) | instid1(SALU_CYCLE_1)
	s_and_b32 s2, vcc_lo, s2
	s_and_saveexec_b32 s3, s2
	s_delay_alu instid0(SALU_CYCLE_1)
	s_xor_b32 s2, exec_lo, s3
; %bb.1252:
	v_cmp_ne_u32_e32 vcc_lo, 0, v37
	v_cndmask_b32_e32 v37, 54, v37, vcc_lo
; %bb.1253:
	s_and_not1_saveexec_b32 s3, s2
	s_cbranch_execz .LBB126_1259
; %bb.1254:
	v_cmp_gt_f64_e32 vcc_lo, 0, v[0:1]
	v_cmp_gt_f64_e64 s2, 0, v[2:3]
	v_xor_b32_e32 v5, 0x80000000, v1
	v_xor_b32_e32 v7, 0x80000000, v3
	s_delay_alu instid0(VALU_DEP_2) | instskip(NEXT) | instid1(VALU_DEP_2)
	v_dual_cndmask_b32 v6, v1, v5 :: v_dual_cndmask_b32 v5, v0, v0
	v_cndmask_b32_e64 v8, v3, v7, s2
	v_cndmask_b32_e64 v7, v2, v2, s2
	s_mov_b32 s2, exec_lo
	s_delay_alu instid0(VALU_DEP_1)
	v_cmpx_ngt_f64_e32 v[5:6], v[7:8]
	s_xor_b32 s2, exec_lo, s2
	s_cbranch_execz .LBB126_1256
; %bb.1255:
	v_div_scale_f64 v[5:6], null, v[2:3], v[2:3], v[0:1]
	v_div_scale_f64 v[11:12], vcc_lo, v[0:1], v[2:3], v[0:1]
	s_delay_alu instid0(VALU_DEP_2) | instskip(SKIP_2) | instid1(VALU_DEP_1)
	v_rcp_f64_e32 v[7:8], v[5:6]
	s_waitcnt_depctr 0xfff
	v_fma_f64 v[9:10], -v[5:6], v[7:8], 1.0
	v_fma_f64 v[7:8], v[7:8], v[9:10], v[7:8]
	s_delay_alu instid0(VALU_DEP_1) | instskip(NEXT) | instid1(VALU_DEP_1)
	v_fma_f64 v[9:10], -v[5:6], v[7:8], 1.0
	v_fma_f64 v[7:8], v[7:8], v[9:10], v[7:8]
	s_delay_alu instid0(VALU_DEP_1) | instskip(NEXT) | instid1(VALU_DEP_1)
	v_mul_f64 v[9:10], v[11:12], v[7:8]
	v_fma_f64 v[5:6], -v[5:6], v[9:10], v[11:12]
	s_delay_alu instid0(VALU_DEP_1) | instskip(NEXT) | instid1(VALU_DEP_1)
	v_div_fmas_f64 v[5:6], v[5:6], v[7:8], v[9:10]
	v_div_fixup_f64 v[5:6], v[5:6], v[2:3], v[0:1]
	s_delay_alu instid0(VALU_DEP_1) | instskip(NEXT) | instid1(VALU_DEP_1)
	v_fma_f64 v[0:1], v[0:1], v[5:6], v[2:3]
	v_div_scale_f64 v[2:3], null, v[0:1], v[0:1], 1.0
	s_delay_alu instid0(VALU_DEP_1) | instskip(SKIP_2) | instid1(VALU_DEP_1)
	v_rcp_f64_e32 v[7:8], v[2:3]
	s_waitcnt_depctr 0xfff
	v_fma_f64 v[9:10], -v[2:3], v[7:8], 1.0
	v_fma_f64 v[7:8], v[7:8], v[9:10], v[7:8]
	s_delay_alu instid0(VALU_DEP_1) | instskip(NEXT) | instid1(VALU_DEP_1)
	v_fma_f64 v[9:10], -v[2:3], v[7:8], 1.0
	v_fma_f64 v[7:8], v[7:8], v[9:10], v[7:8]
	v_div_scale_f64 v[9:10], vcc_lo, 1.0, v[0:1], 1.0
	s_delay_alu instid0(VALU_DEP_1) | instskip(NEXT) | instid1(VALU_DEP_1)
	v_mul_f64 v[11:12], v[9:10], v[7:8]
	v_fma_f64 v[2:3], -v[2:3], v[11:12], v[9:10]
	s_delay_alu instid0(VALU_DEP_1) | instskip(NEXT) | instid1(VALU_DEP_1)
	v_div_fmas_f64 v[2:3], v[2:3], v[7:8], v[11:12]
	v_div_fixup_f64 v[2:3], v[2:3], v[0:1], 1.0
	s_delay_alu instid0(VALU_DEP_1)
	v_mul_f64 v[0:1], v[5:6], v[2:3]
	v_xor_b32_e32 v3, 0x80000000, v3
.LBB126_1256:
	s_and_not1_saveexec_b32 s2, s2
	s_cbranch_execz .LBB126_1258
; %bb.1257:
	s_delay_alu instid0(VALU_DEP_1) | instskip(SKIP_1) | instid1(VALU_DEP_2)
	v_div_scale_f64 v[5:6], null, v[0:1], v[0:1], v[2:3]
	v_div_scale_f64 v[11:12], vcc_lo, v[2:3], v[0:1], v[2:3]
	v_rcp_f64_e32 v[7:8], v[5:6]
	s_waitcnt_depctr 0xfff
	v_fma_f64 v[9:10], -v[5:6], v[7:8], 1.0
	s_delay_alu instid0(VALU_DEP_1) | instskip(NEXT) | instid1(VALU_DEP_1)
	v_fma_f64 v[7:8], v[7:8], v[9:10], v[7:8]
	v_fma_f64 v[9:10], -v[5:6], v[7:8], 1.0
	s_delay_alu instid0(VALU_DEP_1) | instskip(NEXT) | instid1(VALU_DEP_1)
	v_fma_f64 v[7:8], v[7:8], v[9:10], v[7:8]
	v_mul_f64 v[9:10], v[11:12], v[7:8]
	s_delay_alu instid0(VALU_DEP_1) | instskip(NEXT) | instid1(VALU_DEP_1)
	v_fma_f64 v[5:6], -v[5:6], v[9:10], v[11:12]
	v_div_fmas_f64 v[5:6], v[5:6], v[7:8], v[9:10]
	s_delay_alu instid0(VALU_DEP_1) | instskip(NEXT) | instid1(VALU_DEP_1)
	v_div_fixup_f64 v[5:6], v[5:6], v[0:1], v[2:3]
	v_fma_f64 v[0:1], v[2:3], v[5:6], v[0:1]
	s_delay_alu instid0(VALU_DEP_1) | instskip(NEXT) | instid1(VALU_DEP_1)
	v_div_scale_f64 v[2:3], null, v[0:1], v[0:1], 1.0
	v_rcp_f64_e32 v[7:8], v[2:3]
	s_waitcnt_depctr 0xfff
	v_fma_f64 v[9:10], -v[2:3], v[7:8], 1.0
	s_delay_alu instid0(VALU_DEP_1) | instskip(NEXT) | instid1(VALU_DEP_1)
	v_fma_f64 v[7:8], v[7:8], v[9:10], v[7:8]
	v_fma_f64 v[9:10], -v[2:3], v[7:8], 1.0
	s_delay_alu instid0(VALU_DEP_1) | instskip(SKIP_1) | instid1(VALU_DEP_1)
	v_fma_f64 v[7:8], v[7:8], v[9:10], v[7:8]
	v_div_scale_f64 v[9:10], vcc_lo, 1.0, v[0:1], 1.0
	v_mul_f64 v[11:12], v[9:10], v[7:8]
	s_delay_alu instid0(VALU_DEP_1) | instskip(NEXT) | instid1(VALU_DEP_1)
	v_fma_f64 v[2:3], -v[2:3], v[11:12], v[9:10]
	v_div_fmas_f64 v[2:3], v[2:3], v[7:8], v[11:12]
	s_delay_alu instid0(VALU_DEP_1) | instskip(NEXT) | instid1(VALU_DEP_1)
	v_div_fixup_f64 v[0:1], v[2:3], v[0:1], 1.0
	v_mul_f64 v[2:3], v[5:6], -v[0:1]
.LBB126_1258:
	s_or_b32 exec_lo, exec_lo, s2
.LBB126_1259:
	s_delay_alu instid0(SALU_CYCLE_1) | instskip(NEXT) | instid1(SALU_CYCLE_1)
	s_or_b32 exec_lo, exec_lo, s3
	s_mov_b32 s2, exec_lo
	v_cmpx_ne_u32_e64 v41, v4
	s_xor_b32 s2, exec_lo, s2
	s_cbranch_execz .LBB126_1265
; %bb.1260:
	s_mov_b32 s3, exec_lo
	v_cmpx_eq_u32_e32 53, v41
	s_cbranch_execz .LBB126_1264
; %bb.1261:
	v_cmp_ne_u32_e32 vcc_lo, 53, v4
	s_xor_b32 s6, s4, -1
	s_delay_alu instid0(SALU_CYCLE_1) | instskip(NEXT) | instid1(SALU_CYCLE_1)
	s_and_b32 s7, s6, vcc_lo
	s_and_saveexec_b32 s6, s7
	s_cbranch_execz .LBB126_1263
; %bb.1262:
	v_ashrrev_i32_e32 v5, 31, v4
	s_delay_alu instid0(VALU_DEP_1) | instskip(NEXT) | instid1(VALU_DEP_1)
	v_lshlrev_b64 v[5:6], 2, v[4:5]
	v_add_co_u32 v5, vcc_lo, v250, v5
	s_delay_alu instid0(VALU_DEP_2)
	v_add_co_ci_u32_e32 v6, vcc_lo, v251, v6, vcc_lo
	s_clause 0x1
	flat_load_b32 v7, v[5:6]
	flat_load_b32 v8, v[250:251] offset:212
	s_waitcnt vmcnt(1) lgkmcnt(1)
	flat_store_b32 v[250:251], v7 offset:212
	s_waitcnt vmcnt(0) lgkmcnt(1)
	flat_store_b32 v[5:6], v8
.LBB126_1263:
	s_or_b32 exec_lo, exec_lo, s6
	v_mov_b32_e32 v41, v4
	v_mov_b32_e32 v39, v4
.LBB126_1264:
	s_or_b32 exec_lo, exec_lo, s3
.LBB126_1265:
	s_and_not1_saveexec_b32 s2, s2
	s_cbranch_execz .LBB126_1267
; %bb.1266:
	s_clause 0x9
	scratch_load_b128 v[4:7], v168, off
	scratch_load_b128 v[8:11], v170, off
	;; [unrolled: 1-line block ×10, first 2 shown]
	v_mov_b32_e32 v41, 53
	s_waitcnt vmcnt(9)
	ds_store_2addr_b64 v36, v[4:5], v[6:7] offset0:108 offset1:109
	s_waitcnt vmcnt(8)
	ds_store_2addr_b64 v36, v[8:9], v[10:11] offset0:110 offset1:111
	;; [unrolled: 2-line block ×10, first 2 shown]
.LBB126_1267:
	s_or_b32 exec_lo, exec_lo, s2
	s_delay_alu instid0(SALU_CYCLE_1)
	s_mov_b32 s2, exec_lo
	s_waitcnt lgkmcnt(0)
	s_waitcnt_vscnt null, 0x0
	s_barrier
	buffer_gl0_inv
	v_cmpx_lt_i32_e32 53, v41
	s_cbranch_execz .LBB126_1269
; %bb.1268:
	s_clause 0x1
	scratch_load_b128 v[4:7], off, off offset:848
	scratch_load_b128 v[8:11], off, off offset:864
	s_waitcnt vmcnt(1)
	v_mul_f64 v[12:13], v[0:1], v[6:7]
	v_mul_f64 v[6:7], v[2:3], v[6:7]
	s_delay_alu instid0(VALU_DEP_2)
	v_fma_f64 v[2:3], v[2:3], v[4:5], v[12:13]
	ds_load_2addr_b64 v[12:15], v36 offset0:108 offset1:109
	ds_load_2addr_b64 v[42:45], v36 offset0:110 offset1:111
	v_fma_f64 v[0:1], v[0:1], v[4:5], -v[6:7]
	s_waitcnt lgkmcnt(1)
	v_mul_f64 v[4:5], v[14:15], v[2:3]
	v_mul_f64 v[6:7], v[12:13], v[2:3]
	scratch_store_b128 off, v[0:3], off offset:848
	s_waitcnt lgkmcnt(0)
	v_mul_f64 v[125:126], v[44:45], v[2:3]
	v_fma_f64 v[4:5], v[12:13], v[0:1], -v[4:5]
	v_fma_f64 v[6:7], v[14:15], v[0:1], v[6:7]
	s_waitcnt vmcnt(0)
	s_delay_alu instid0(VALU_DEP_2) | instskip(NEXT) | instid1(VALU_DEP_2)
	v_add_f64 v[4:5], v[8:9], -v[4:5]
	v_add_f64 v[6:7], v[10:11], -v[6:7]
	s_clause 0x9
	scratch_load_b128 v[8:11], off, off offset:848
	scratch_load_b128 v[12:15], off, off offset:896
	scratch_load_b128 v[49:52], off, off offset:912
	scratch_load_b128 v[53:56], off, off offset:928
	scratch_load_b128 v[65:68], off, off offset:944
	scratch_load_b128 v[69:72], off, off offset:880
	scratch_load_b128 v[77:80], off, off offset:960
	scratch_load_b128 v[81:84], off, off offset:976
	scratch_load_b128 v[85:88], off, off offset:992
	scratch_load_b128 v[89:92], off, off offset:1008
	ds_load_2addr_b64 v[93:96], v36 offset0:112 offset1:113
	ds_load_2addr_b64 v[97:100], v36 offset0:114 offset1:115
	;; [unrolled: 1-line block ×8, first 2 shown]
	s_waitcnt lgkmcnt(7)
	v_mul_f64 v[16:17], v[95:96], v[2:3]
	s_waitcnt lgkmcnt(6)
	v_mul_f64 v[46:47], v[99:100], v[2:3]
	v_mul_f64 v[57:58], v[97:98], v[2:3]
	;; [unrolled: 1-line block ×3, first 2 shown]
	s_waitcnt lgkmcnt(5)
	v_mul_f64 v[61:62], v[103:104], v[2:3]
	v_mul_f64 v[73:74], v[101:102], v[2:3]
	s_waitcnt lgkmcnt(4)
	v_mul_f64 v[117:118], v[107:108], v[2:3]
	v_mul_f64 v[121:122], v[105:106], v[2:3]
	;; [unrolled: 1-line block ×3, first 2 shown]
	v_fma_f64 v[16:17], v[93:94], v[0:1], -v[16:17]
	v_fma_f64 v[46:47], v[97:98], v[0:1], -v[46:47]
	v_fma_f64 v[57:58], v[99:100], v[0:1], v[57:58]
	v_fma_f64 v[18:19], v[95:96], v[0:1], v[18:19]
	v_fma_f64 v[61:62], v[101:102], v[0:1], -v[61:62]
	v_fma_f64 v[73:74], v[103:104], v[0:1], v[73:74]
	v_fma_f64 v[97:98], v[42:43], v[0:1], -v[125:126]
	v_fma_f64 v[93:94], v[105:106], v[0:1], -v[117:118]
	v_fma_f64 v[99:100], v[44:45], v[0:1], v[2:3]
	v_fma_f64 v[95:96], v[107:108], v[0:1], v[121:122]
	s_waitcnt vmcnt(9) lgkmcnt(3)
	v_mul_f64 v[141:142], v[131:132], v[10:11]
	v_mul_f64 v[150:151], v[129:130], v[10:11]
	s_waitcnt lgkmcnt(2)
	v_mul_f64 v[154:155], v[138:139], v[10:11]
	v_mul_f64 v[156:157], v[136:137], v[10:11]
	s_waitcnt lgkmcnt(1)
	;; [unrolled: 3-line block ×3, first 2 shown]
	v_mul_f64 v[192:193], v[188:189], v[10:11]
	v_mul_f64 v[10:11], v[186:187], v[10:11]
	s_waitcnt vmcnt(8)
	v_add_f64 v[0:1], v[12:13], -v[16:17]
	v_add_f64 v[2:3], v[14:15], -v[18:19]
	s_waitcnt vmcnt(6)
	v_add_f64 v[12:13], v[53:54], -v[61:62]
	v_add_f64 v[14:15], v[55:56], -v[73:74]
	;; [unrolled: 3-line block ×3, first 2 shown]
	v_fma_f64 v[101:102], v[129:130], v[8:9], -v[141:142]
	v_fma_f64 v[103:104], v[131:132], v[8:9], v[150:151]
	v_fma_f64 v[105:106], v[136:137], v[8:9], -v[154:155]
	v_fma_f64 v[107:108], v[138:139], v[8:9], v[156:157]
	;; [unrolled: 2-line block ×4, first 2 shown]
	v_add_f64 v[8:9], v[49:50], -v[46:47]
	v_add_f64 v[10:11], v[51:52], -v[57:58]
	s_waitcnt vmcnt(4)
	v_add_f64 v[49:50], v[69:70], -v[97:98]
	v_add_f64 v[51:52], v[71:72], -v[99:100]
	s_waitcnt vmcnt(3)
	v_add_f64 v[53:54], v[77:78], -v[101:102]
	v_add_f64 v[55:56], v[79:80], -v[103:104]
	s_waitcnt vmcnt(2)
	v_add_f64 v[65:66], v[81:82], -v[105:106]
	v_add_f64 v[67:68], v[83:84], -v[107:108]
	s_waitcnt vmcnt(1)
	v_add_f64 v[69:70], v[85:86], -v[117:118]
	v_add_f64 v[71:72], v[87:88], -v[121:122]
	s_waitcnt vmcnt(0)
	v_add_f64 v[77:78], v[89:90], -v[125:126]
	v_add_f64 v[79:80], v[91:92], -v[129:130]
	s_clause 0x9
	scratch_store_b128 off, v[4:7], off offset:864
	scratch_store_b128 off, v[8:11], off offset:912
	;; [unrolled: 1-line block ×10, first 2 shown]
.LBB126_1269:
	s_or_b32 exec_lo, exec_lo, s2
	s_waitcnt_vscnt null, 0x0
	s_barrier
	buffer_gl0_inv
	scratch_load_b128 v[0:3], v168, off
	v_lshl_add_u32 v4, v41, 4, v36
	s_cmp_lt_i32 s5, 56
	s_waitcnt vmcnt(0)
	ds_store_2addr_b64 v4, v[0:1], v[2:3] offset1:1
	s_waitcnt lgkmcnt(0)
	s_barrier
	buffer_gl0_inv
	ds_load_2addr_b64 v[0:3], v36 offset0:108 offset1:109
	v_mov_b32_e32 v4, 54
	s_cbranch_scc1 .LBB126_1272
; %bb.1270:
	v_add3_u32 v5, v38, 0, 0x370
	v_mov_b32_e32 v4, 54
	s_mov_b32 s6, 55
	s_set_inst_prefetch_distance 0x1
	.p2align	6
.LBB126_1271:                           ; =>This Inner Loop Header: Depth=1
	ds_load_2addr_b64 v[6:9], v5 offset1:1
	s_waitcnt lgkmcnt(1)
	v_cmp_gt_f64_e32 vcc_lo, 0, v[0:1]
	v_xor_b32_e32 v10, 0x80000000, v1
	v_cmp_gt_f64_e64 s2, 0, v[2:3]
	v_xor_b32_e32 v12, 0x80000000, v3
	v_add_nc_u32_e32 v5, 16, v5
	s_waitcnt lgkmcnt(0)
	v_cmp_gt_f64_e64 s3, 0, v[6:7]
	v_mov_b32_e32 v14, v6
	v_dual_mov_b32 v16, v8 :: v_dual_cndmask_b32 v11, v1, v10
	v_xor_b32_e32 v10, 0x80000000, v7
	v_cndmask_b32_e64 v13, v3, v12, s2
	v_xor_b32_e32 v12, 0x80000000, v9
	s_delay_alu instid0(VALU_DEP_3) | instskip(SKIP_2) | instid1(VALU_DEP_2)
	v_cndmask_b32_e64 v15, v7, v10, s3
	v_cmp_gt_f64_e64 s3, 0, v[8:9]
	v_cndmask_b32_e32 v10, v0, v0, vcc_lo
	v_cndmask_b32_e64 v17, v9, v12, s3
	v_cndmask_b32_e64 v12, v2, v2, s2
	s_delay_alu instid0(VALU_DEP_2) | instskip(NEXT) | instid1(VALU_DEP_2)
	v_add_f64 v[14:15], v[14:15], v[16:17]
	v_add_f64 v[10:11], v[10:11], v[12:13]
	s_delay_alu instid0(VALU_DEP_1)
	v_cmp_lt_f64_e32 vcc_lo, v[10:11], v[14:15]
	v_cndmask_b32_e32 v3, v3, v9, vcc_lo
	v_dual_cndmask_b32 v1, v1, v7 :: v_dual_cndmask_b32 v0, v0, v6
	v_cndmask_b32_e32 v2, v2, v8, vcc_lo
	v_cndmask_b32_e64 v4, v4, s6, vcc_lo
	s_add_i32 s6, s6, 1
	s_delay_alu instid0(SALU_CYCLE_1)
	s_cmp_lg_u32 s5, s6
	s_cbranch_scc1 .LBB126_1271
.LBB126_1272:
	s_set_inst_prefetch_distance 0x2
	s_waitcnt lgkmcnt(0)
	v_cmp_eq_f64_e32 vcc_lo, 0, v[0:1]
	v_cmp_eq_f64_e64 s2, 0, v[2:3]
	s_delay_alu instid0(VALU_DEP_1) | instskip(NEXT) | instid1(SALU_CYCLE_1)
	s_and_b32 s2, vcc_lo, s2
	s_and_saveexec_b32 s3, s2
	s_delay_alu instid0(SALU_CYCLE_1)
	s_xor_b32 s2, exec_lo, s3
; %bb.1273:
	v_cmp_ne_u32_e32 vcc_lo, 0, v37
	v_cndmask_b32_e32 v37, 55, v37, vcc_lo
; %bb.1274:
	s_and_not1_saveexec_b32 s3, s2
	s_cbranch_execz .LBB126_1280
; %bb.1275:
	v_cmp_gt_f64_e32 vcc_lo, 0, v[0:1]
	v_cmp_gt_f64_e64 s2, 0, v[2:3]
	v_xor_b32_e32 v5, 0x80000000, v1
	v_xor_b32_e32 v7, 0x80000000, v3
	s_delay_alu instid0(VALU_DEP_2) | instskip(NEXT) | instid1(VALU_DEP_2)
	v_dual_cndmask_b32 v6, v1, v5 :: v_dual_cndmask_b32 v5, v0, v0
	v_cndmask_b32_e64 v8, v3, v7, s2
	v_cndmask_b32_e64 v7, v2, v2, s2
	s_mov_b32 s2, exec_lo
	s_delay_alu instid0(VALU_DEP_1)
	v_cmpx_ngt_f64_e32 v[5:6], v[7:8]
	s_xor_b32 s2, exec_lo, s2
	s_cbranch_execz .LBB126_1277
; %bb.1276:
	v_div_scale_f64 v[5:6], null, v[2:3], v[2:3], v[0:1]
	v_div_scale_f64 v[11:12], vcc_lo, v[0:1], v[2:3], v[0:1]
	s_delay_alu instid0(VALU_DEP_2) | instskip(SKIP_2) | instid1(VALU_DEP_1)
	v_rcp_f64_e32 v[7:8], v[5:6]
	s_waitcnt_depctr 0xfff
	v_fma_f64 v[9:10], -v[5:6], v[7:8], 1.0
	v_fma_f64 v[7:8], v[7:8], v[9:10], v[7:8]
	s_delay_alu instid0(VALU_DEP_1) | instskip(NEXT) | instid1(VALU_DEP_1)
	v_fma_f64 v[9:10], -v[5:6], v[7:8], 1.0
	v_fma_f64 v[7:8], v[7:8], v[9:10], v[7:8]
	s_delay_alu instid0(VALU_DEP_1) | instskip(NEXT) | instid1(VALU_DEP_1)
	v_mul_f64 v[9:10], v[11:12], v[7:8]
	v_fma_f64 v[5:6], -v[5:6], v[9:10], v[11:12]
	s_delay_alu instid0(VALU_DEP_1) | instskip(NEXT) | instid1(VALU_DEP_1)
	v_div_fmas_f64 v[5:6], v[5:6], v[7:8], v[9:10]
	v_div_fixup_f64 v[5:6], v[5:6], v[2:3], v[0:1]
	s_delay_alu instid0(VALU_DEP_1) | instskip(NEXT) | instid1(VALU_DEP_1)
	v_fma_f64 v[0:1], v[0:1], v[5:6], v[2:3]
	v_div_scale_f64 v[2:3], null, v[0:1], v[0:1], 1.0
	s_delay_alu instid0(VALU_DEP_1) | instskip(SKIP_2) | instid1(VALU_DEP_1)
	v_rcp_f64_e32 v[7:8], v[2:3]
	s_waitcnt_depctr 0xfff
	v_fma_f64 v[9:10], -v[2:3], v[7:8], 1.0
	v_fma_f64 v[7:8], v[7:8], v[9:10], v[7:8]
	s_delay_alu instid0(VALU_DEP_1) | instskip(NEXT) | instid1(VALU_DEP_1)
	v_fma_f64 v[9:10], -v[2:3], v[7:8], 1.0
	v_fma_f64 v[7:8], v[7:8], v[9:10], v[7:8]
	v_div_scale_f64 v[9:10], vcc_lo, 1.0, v[0:1], 1.0
	s_delay_alu instid0(VALU_DEP_1) | instskip(NEXT) | instid1(VALU_DEP_1)
	v_mul_f64 v[11:12], v[9:10], v[7:8]
	v_fma_f64 v[2:3], -v[2:3], v[11:12], v[9:10]
	s_delay_alu instid0(VALU_DEP_1) | instskip(NEXT) | instid1(VALU_DEP_1)
	v_div_fmas_f64 v[2:3], v[2:3], v[7:8], v[11:12]
	v_div_fixup_f64 v[2:3], v[2:3], v[0:1], 1.0
	s_delay_alu instid0(VALU_DEP_1)
	v_mul_f64 v[0:1], v[5:6], v[2:3]
	v_xor_b32_e32 v3, 0x80000000, v3
.LBB126_1277:
	s_and_not1_saveexec_b32 s2, s2
	s_cbranch_execz .LBB126_1279
; %bb.1278:
	s_delay_alu instid0(VALU_DEP_1) | instskip(SKIP_1) | instid1(VALU_DEP_2)
	v_div_scale_f64 v[5:6], null, v[0:1], v[0:1], v[2:3]
	v_div_scale_f64 v[11:12], vcc_lo, v[2:3], v[0:1], v[2:3]
	v_rcp_f64_e32 v[7:8], v[5:6]
	s_waitcnt_depctr 0xfff
	v_fma_f64 v[9:10], -v[5:6], v[7:8], 1.0
	s_delay_alu instid0(VALU_DEP_1) | instskip(NEXT) | instid1(VALU_DEP_1)
	v_fma_f64 v[7:8], v[7:8], v[9:10], v[7:8]
	v_fma_f64 v[9:10], -v[5:6], v[7:8], 1.0
	s_delay_alu instid0(VALU_DEP_1) | instskip(NEXT) | instid1(VALU_DEP_1)
	v_fma_f64 v[7:8], v[7:8], v[9:10], v[7:8]
	v_mul_f64 v[9:10], v[11:12], v[7:8]
	s_delay_alu instid0(VALU_DEP_1) | instskip(NEXT) | instid1(VALU_DEP_1)
	v_fma_f64 v[5:6], -v[5:6], v[9:10], v[11:12]
	v_div_fmas_f64 v[5:6], v[5:6], v[7:8], v[9:10]
	s_delay_alu instid0(VALU_DEP_1) | instskip(NEXT) | instid1(VALU_DEP_1)
	v_div_fixup_f64 v[5:6], v[5:6], v[0:1], v[2:3]
	v_fma_f64 v[0:1], v[2:3], v[5:6], v[0:1]
	s_delay_alu instid0(VALU_DEP_1) | instskip(NEXT) | instid1(VALU_DEP_1)
	v_div_scale_f64 v[2:3], null, v[0:1], v[0:1], 1.0
	v_rcp_f64_e32 v[7:8], v[2:3]
	s_waitcnt_depctr 0xfff
	v_fma_f64 v[9:10], -v[2:3], v[7:8], 1.0
	s_delay_alu instid0(VALU_DEP_1) | instskip(NEXT) | instid1(VALU_DEP_1)
	v_fma_f64 v[7:8], v[7:8], v[9:10], v[7:8]
	v_fma_f64 v[9:10], -v[2:3], v[7:8], 1.0
	s_delay_alu instid0(VALU_DEP_1) | instskip(SKIP_1) | instid1(VALU_DEP_1)
	v_fma_f64 v[7:8], v[7:8], v[9:10], v[7:8]
	v_div_scale_f64 v[9:10], vcc_lo, 1.0, v[0:1], 1.0
	v_mul_f64 v[11:12], v[9:10], v[7:8]
	s_delay_alu instid0(VALU_DEP_1) | instskip(NEXT) | instid1(VALU_DEP_1)
	v_fma_f64 v[2:3], -v[2:3], v[11:12], v[9:10]
	v_div_fmas_f64 v[2:3], v[2:3], v[7:8], v[11:12]
	s_delay_alu instid0(VALU_DEP_1) | instskip(NEXT) | instid1(VALU_DEP_1)
	v_div_fixup_f64 v[0:1], v[2:3], v[0:1], 1.0
	v_mul_f64 v[2:3], v[5:6], -v[0:1]
.LBB126_1279:
	s_or_b32 exec_lo, exec_lo, s2
.LBB126_1280:
	s_delay_alu instid0(SALU_CYCLE_1) | instskip(NEXT) | instid1(SALU_CYCLE_1)
	s_or_b32 exec_lo, exec_lo, s3
	s_mov_b32 s2, exec_lo
	v_cmpx_ne_u32_e64 v41, v4
	s_xor_b32 s2, exec_lo, s2
	s_cbranch_execz .LBB126_1286
; %bb.1281:
	s_mov_b32 s3, exec_lo
	v_cmpx_eq_u32_e32 54, v41
	s_cbranch_execz .LBB126_1285
; %bb.1282:
	v_cmp_ne_u32_e32 vcc_lo, 54, v4
	s_xor_b32 s6, s4, -1
	s_delay_alu instid0(SALU_CYCLE_1) | instskip(NEXT) | instid1(SALU_CYCLE_1)
	s_and_b32 s7, s6, vcc_lo
	s_and_saveexec_b32 s6, s7
	s_cbranch_execz .LBB126_1284
; %bb.1283:
	v_ashrrev_i32_e32 v5, 31, v4
	s_delay_alu instid0(VALU_DEP_1) | instskip(NEXT) | instid1(VALU_DEP_1)
	v_lshlrev_b64 v[5:6], 2, v[4:5]
	v_add_co_u32 v5, vcc_lo, v250, v5
	s_delay_alu instid0(VALU_DEP_2)
	v_add_co_ci_u32_e32 v6, vcc_lo, v251, v6, vcc_lo
	s_clause 0x1
	flat_load_b32 v7, v[5:6]
	flat_load_b32 v8, v[250:251] offset:216
	s_waitcnt vmcnt(1) lgkmcnt(1)
	flat_store_b32 v[250:251], v7 offset:216
	s_waitcnt vmcnt(0) lgkmcnt(1)
	flat_store_b32 v[5:6], v8
.LBB126_1284:
	s_or_b32 exec_lo, exec_lo, s6
	v_mov_b32_e32 v41, v4
	v_mov_b32_e32 v39, v4
.LBB126_1285:
	s_or_b32 exec_lo, exec_lo, s3
.LBB126_1286:
	s_and_not1_saveexec_b32 s2, s2
	s_cbranch_execz .LBB126_1288
; %bb.1287:
	s_clause 0x8
	scratch_load_b128 v[4:7], v170, off
	scratch_load_b128 v[8:11], v166, off
	scratch_load_b128 v[12:15], v169, off
	scratch_load_b128 v[42:45], v164, off
	scratch_load_b128 v[49:52], v167, off
	scratch_load_b128 v[53:56], v162, off
	scratch_load_b128 v[65:68], v165, off
	scratch_load_b128 v[69:72], v255, off
	scratch_load_b128 v[77:80], v163, off
	v_mov_b32_e32 v41, 54
	s_waitcnt vmcnt(8)
	ds_store_2addr_b64 v36, v[4:5], v[6:7] offset0:110 offset1:111
	s_waitcnt vmcnt(7)
	ds_store_2addr_b64 v36, v[8:9], v[10:11] offset0:112 offset1:113
	;; [unrolled: 2-line block ×9, first 2 shown]
.LBB126_1288:
	s_or_b32 exec_lo, exec_lo, s2
	s_delay_alu instid0(SALU_CYCLE_1)
	s_mov_b32 s2, exec_lo
	s_waitcnt lgkmcnt(0)
	s_waitcnt_vscnt null, 0x0
	s_barrier
	buffer_gl0_inv
	v_cmpx_lt_i32_e32 54, v41
	s_cbranch_execz .LBB126_1290
; %bb.1289:
	s_clause 0x1
	scratch_load_b128 v[4:7], off, off offset:864
	scratch_load_b128 v[8:11], off, off offset:880
	s_waitcnt vmcnt(1)
	v_mul_f64 v[12:13], v[0:1], v[6:7]
	v_mul_f64 v[6:7], v[2:3], v[6:7]
	s_delay_alu instid0(VALU_DEP_2)
	v_fma_f64 v[2:3], v[2:3], v[4:5], v[12:13]
	ds_load_2addr_b64 v[12:15], v36 offset0:110 offset1:111
	ds_load_2addr_b64 v[42:45], v36 offset0:112 offset1:113
	v_fma_f64 v[0:1], v[0:1], v[4:5], -v[6:7]
	s_waitcnt lgkmcnt(1)
	v_mul_f64 v[4:5], v[14:15], v[2:3]
	v_mul_f64 v[6:7], v[12:13], v[2:3]
	scratch_store_b128 off, v[0:3], off offset:864
	s_waitcnt lgkmcnt(0)
	v_mul_f64 v[125:126], v[44:45], v[2:3]
	v_fma_f64 v[4:5], v[12:13], v[0:1], -v[4:5]
	v_fma_f64 v[6:7], v[14:15], v[0:1], v[6:7]
	s_waitcnt vmcnt(0)
	s_delay_alu instid0(VALU_DEP_2) | instskip(NEXT) | instid1(VALU_DEP_2)
	v_add_f64 v[4:5], v[8:9], -v[4:5]
	v_add_f64 v[6:7], v[10:11], -v[6:7]
	s_clause 0x8
	scratch_load_b128 v[8:11], off, off offset:864
	scratch_load_b128 v[12:15], off, off offset:912
	;; [unrolled: 1-line block ×9, first 2 shown]
	ds_load_2addr_b64 v[89:92], v36 offset0:114 offset1:115
	ds_load_2addr_b64 v[93:96], v36 offset0:116 offset1:117
	;; [unrolled: 1-line block ×7, first 2 shown]
	s_waitcnt lgkmcnt(6)
	v_mul_f64 v[16:17], v[91:92], v[2:3]
	s_waitcnt lgkmcnt(5)
	v_mul_f64 v[46:47], v[95:96], v[2:3]
	v_mul_f64 v[57:58], v[93:94], v[2:3]
	;; [unrolled: 1-line block ×3, first 2 shown]
	s_waitcnt lgkmcnt(4)
	v_mul_f64 v[61:62], v[99:100], v[2:3]
	v_mul_f64 v[73:74], v[97:98], v[2:3]
	s_waitcnt lgkmcnt(3)
	v_mul_f64 v[117:118], v[103:104], v[2:3]
	v_mul_f64 v[121:122], v[101:102], v[2:3]
	;; [unrolled: 1-line block ×3, first 2 shown]
	v_fma_f64 v[16:17], v[89:90], v[0:1], -v[16:17]
	v_fma_f64 v[46:47], v[93:94], v[0:1], -v[46:47]
	v_fma_f64 v[57:58], v[95:96], v[0:1], v[57:58]
	v_fma_f64 v[18:19], v[91:92], v[0:1], v[18:19]
	v_fma_f64 v[61:62], v[97:98], v[0:1], -v[61:62]
	v_fma_f64 v[73:74], v[99:100], v[0:1], v[73:74]
	v_fma_f64 v[93:94], v[42:43], v[0:1], -v[125:126]
	v_fma_f64 v[89:90], v[101:102], v[0:1], -v[117:118]
	v_fma_f64 v[95:96], v[44:45], v[0:1], v[2:3]
	v_fma_f64 v[91:92], v[103:104], v[0:1], v[121:122]
	s_waitcnt vmcnt(8) lgkmcnt(2)
	v_mul_f64 v[141:142], v[107:108], v[10:11]
	v_mul_f64 v[146:147], v[105:106], v[10:11]
	s_waitcnt lgkmcnt(1)
	v_mul_f64 v[148:149], v[131:132], v[10:11]
	v_mul_f64 v[150:151], v[129:130], v[10:11]
	s_waitcnt lgkmcnt(0)
	v_mul_f64 v[154:155], v[138:139], v[10:11]
	v_mul_f64 v[10:11], v[136:137], v[10:11]
	s_waitcnt vmcnt(7)
	v_add_f64 v[0:1], v[12:13], -v[16:17]
	v_add_f64 v[2:3], v[14:15], -v[18:19]
	s_waitcnt vmcnt(5)
	v_add_f64 v[12:13], v[53:54], -v[61:62]
	v_add_f64 v[14:15], v[55:56], -v[73:74]
	;; [unrolled: 3-line block ×3, first 2 shown]
	v_fma_f64 v[97:98], v[105:106], v[8:9], -v[141:142]
	v_fma_f64 v[99:100], v[107:108], v[8:9], v[146:147]
	v_fma_f64 v[101:102], v[129:130], v[8:9], -v[148:149]
	v_fma_f64 v[103:104], v[131:132], v[8:9], v[150:151]
	;; [unrolled: 2-line block ×3, first 2 shown]
	v_add_f64 v[8:9], v[49:50], -v[46:47]
	v_add_f64 v[10:11], v[51:52], -v[57:58]
	s_waitcnt vmcnt(3)
	v_add_f64 v[49:50], v[69:70], -v[93:94]
	v_add_f64 v[51:52], v[71:72], -v[95:96]
	s_waitcnt vmcnt(2)
	;; [unrolled: 3-line block ×4, first 2 shown]
	v_add_f64 v[69:70], v[85:86], -v[105:106]
	v_add_f64 v[71:72], v[87:88], -v[107:108]
	s_clause 0x8
	scratch_store_b128 off, v[4:7], off offset:880
	scratch_store_b128 off, v[8:11], off offset:928
	;; [unrolled: 1-line block ×9, first 2 shown]
.LBB126_1290:
	s_or_b32 exec_lo, exec_lo, s2
	s_waitcnt_vscnt null, 0x0
	s_barrier
	buffer_gl0_inv
	scratch_load_b128 v[0:3], v170, off
	v_lshl_add_u32 v4, v41, 4, v36
	s_cmp_lt_i32 s5, 57
	s_waitcnt vmcnt(0)
	ds_store_2addr_b64 v4, v[0:1], v[2:3] offset1:1
	s_waitcnt lgkmcnt(0)
	s_barrier
	buffer_gl0_inv
	ds_load_2addr_b64 v[0:3], v36 offset0:110 offset1:111
	v_mov_b32_e32 v4, 55
	s_cbranch_scc1 .LBB126_1293
; %bb.1291:
	v_add3_u32 v5, v38, 0, 0x380
	v_mov_b32_e32 v4, 55
	s_mov_b32 s6, 56
	s_set_inst_prefetch_distance 0x1
	.p2align	6
.LBB126_1292:                           ; =>This Inner Loop Header: Depth=1
	ds_load_2addr_b64 v[6:9], v5 offset1:1
	s_waitcnt lgkmcnt(1)
	v_cmp_gt_f64_e32 vcc_lo, 0, v[0:1]
	v_xor_b32_e32 v10, 0x80000000, v1
	v_cmp_gt_f64_e64 s2, 0, v[2:3]
	v_xor_b32_e32 v12, 0x80000000, v3
	v_add_nc_u32_e32 v5, 16, v5
	s_waitcnt lgkmcnt(0)
	v_cmp_gt_f64_e64 s3, 0, v[6:7]
	v_mov_b32_e32 v14, v6
	v_dual_mov_b32 v16, v8 :: v_dual_cndmask_b32 v11, v1, v10
	v_xor_b32_e32 v10, 0x80000000, v7
	v_cndmask_b32_e64 v13, v3, v12, s2
	v_xor_b32_e32 v12, 0x80000000, v9
	s_delay_alu instid0(VALU_DEP_3) | instskip(SKIP_2) | instid1(VALU_DEP_2)
	v_cndmask_b32_e64 v15, v7, v10, s3
	v_cmp_gt_f64_e64 s3, 0, v[8:9]
	v_cndmask_b32_e32 v10, v0, v0, vcc_lo
	v_cndmask_b32_e64 v17, v9, v12, s3
	v_cndmask_b32_e64 v12, v2, v2, s2
	s_delay_alu instid0(VALU_DEP_2) | instskip(NEXT) | instid1(VALU_DEP_2)
	v_add_f64 v[14:15], v[14:15], v[16:17]
	v_add_f64 v[10:11], v[10:11], v[12:13]
	s_delay_alu instid0(VALU_DEP_1)
	v_cmp_lt_f64_e32 vcc_lo, v[10:11], v[14:15]
	v_cndmask_b32_e32 v3, v3, v9, vcc_lo
	v_dual_cndmask_b32 v1, v1, v7 :: v_dual_cndmask_b32 v0, v0, v6
	v_cndmask_b32_e32 v2, v2, v8, vcc_lo
	v_cndmask_b32_e64 v4, v4, s6, vcc_lo
	s_add_i32 s6, s6, 1
	s_delay_alu instid0(SALU_CYCLE_1)
	s_cmp_lg_u32 s5, s6
	s_cbranch_scc1 .LBB126_1292
.LBB126_1293:
	s_set_inst_prefetch_distance 0x2
	s_waitcnt lgkmcnt(0)
	v_cmp_eq_f64_e32 vcc_lo, 0, v[0:1]
	v_cmp_eq_f64_e64 s2, 0, v[2:3]
	s_delay_alu instid0(VALU_DEP_1) | instskip(NEXT) | instid1(SALU_CYCLE_1)
	s_and_b32 s2, vcc_lo, s2
	s_and_saveexec_b32 s3, s2
	s_delay_alu instid0(SALU_CYCLE_1)
	s_xor_b32 s2, exec_lo, s3
; %bb.1294:
	v_cmp_ne_u32_e32 vcc_lo, 0, v37
	v_cndmask_b32_e32 v37, 56, v37, vcc_lo
; %bb.1295:
	s_and_not1_saveexec_b32 s3, s2
	s_cbranch_execz .LBB126_1301
; %bb.1296:
	v_cmp_gt_f64_e32 vcc_lo, 0, v[0:1]
	v_cmp_gt_f64_e64 s2, 0, v[2:3]
	v_xor_b32_e32 v5, 0x80000000, v1
	v_xor_b32_e32 v7, 0x80000000, v3
	s_delay_alu instid0(VALU_DEP_2) | instskip(NEXT) | instid1(VALU_DEP_2)
	v_dual_cndmask_b32 v6, v1, v5 :: v_dual_cndmask_b32 v5, v0, v0
	v_cndmask_b32_e64 v8, v3, v7, s2
	v_cndmask_b32_e64 v7, v2, v2, s2
	s_mov_b32 s2, exec_lo
	s_delay_alu instid0(VALU_DEP_1)
	v_cmpx_ngt_f64_e32 v[5:6], v[7:8]
	s_xor_b32 s2, exec_lo, s2
	s_cbranch_execz .LBB126_1298
; %bb.1297:
	v_div_scale_f64 v[5:6], null, v[2:3], v[2:3], v[0:1]
	v_div_scale_f64 v[11:12], vcc_lo, v[0:1], v[2:3], v[0:1]
	s_delay_alu instid0(VALU_DEP_2) | instskip(SKIP_2) | instid1(VALU_DEP_1)
	v_rcp_f64_e32 v[7:8], v[5:6]
	s_waitcnt_depctr 0xfff
	v_fma_f64 v[9:10], -v[5:6], v[7:8], 1.0
	v_fma_f64 v[7:8], v[7:8], v[9:10], v[7:8]
	s_delay_alu instid0(VALU_DEP_1) | instskip(NEXT) | instid1(VALU_DEP_1)
	v_fma_f64 v[9:10], -v[5:6], v[7:8], 1.0
	v_fma_f64 v[7:8], v[7:8], v[9:10], v[7:8]
	s_delay_alu instid0(VALU_DEP_1) | instskip(NEXT) | instid1(VALU_DEP_1)
	v_mul_f64 v[9:10], v[11:12], v[7:8]
	v_fma_f64 v[5:6], -v[5:6], v[9:10], v[11:12]
	s_delay_alu instid0(VALU_DEP_1) | instskip(NEXT) | instid1(VALU_DEP_1)
	v_div_fmas_f64 v[5:6], v[5:6], v[7:8], v[9:10]
	v_div_fixup_f64 v[5:6], v[5:6], v[2:3], v[0:1]
	s_delay_alu instid0(VALU_DEP_1) | instskip(NEXT) | instid1(VALU_DEP_1)
	v_fma_f64 v[0:1], v[0:1], v[5:6], v[2:3]
	v_div_scale_f64 v[2:3], null, v[0:1], v[0:1], 1.0
	s_delay_alu instid0(VALU_DEP_1) | instskip(SKIP_2) | instid1(VALU_DEP_1)
	v_rcp_f64_e32 v[7:8], v[2:3]
	s_waitcnt_depctr 0xfff
	v_fma_f64 v[9:10], -v[2:3], v[7:8], 1.0
	v_fma_f64 v[7:8], v[7:8], v[9:10], v[7:8]
	s_delay_alu instid0(VALU_DEP_1) | instskip(NEXT) | instid1(VALU_DEP_1)
	v_fma_f64 v[9:10], -v[2:3], v[7:8], 1.0
	v_fma_f64 v[7:8], v[7:8], v[9:10], v[7:8]
	v_div_scale_f64 v[9:10], vcc_lo, 1.0, v[0:1], 1.0
	s_delay_alu instid0(VALU_DEP_1) | instskip(NEXT) | instid1(VALU_DEP_1)
	v_mul_f64 v[11:12], v[9:10], v[7:8]
	v_fma_f64 v[2:3], -v[2:3], v[11:12], v[9:10]
	s_delay_alu instid0(VALU_DEP_1) | instskip(NEXT) | instid1(VALU_DEP_1)
	v_div_fmas_f64 v[2:3], v[2:3], v[7:8], v[11:12]
	v_div_fixup_f64 v[2:3], v[2:3], v[0:1], 1.0
	s_delay_alu instid0(VALU_DEP_1)
	v_mul_f64 v[0:1], v[5:6], v[2:3]
	v_xor_b32_e32 v3, 0x80000000, v3
.LBB126_1298:
	s_and_not1_saveexec_b32 s2, s2
	s_cbranch_execz .LBB126_1300
; %bb.1299:
	s_delay_alu instid0(VALU_DEP_1) | instskip(SKIP_1) | instid1(VALU_DEP_2)
	v_div_scale_f64 v[5:6], null, v[0:1], v[0:1], v[2:3]
	v_div_scale_f64 v[11:12], vcc_lo, v[2:3], v[0:1], v[2:3]
	v_rcp_f64_e32 v[7:8], v[5:6]
	s_waitcnt_depctr 0xfff
	v_fma_f64 v[9:10], -v[5:6], v[7:8], 1.0
	s_delay_alu instid0(VALU_DEP_1) | instskip(NEXT) | instid1(VALU_DEP_1)
	v_fma_f64 v[7:8], v[7:8], v[9:10], v[7:8]
	v_fma_f64 v[9:10], -v[5:6], v[7:8], 1.0
	s_delay_alu instid0(VALU_DEP_1) | instskip(NEXT) | instid1(VALU_DEP_1)
	v_fma_f64 v[7:8], v[7:8], v[9:10], v[7:8]
	v_mul_f64 v[9:10], v[11:12], v[7:8]
	s_delay_alu instid0(VALU_DEP_1) | instskip(NEXT) | instid1(VALU_DEP_1)
	v_fma_f64 v[5:6], -v[5:6], v[9:10], v[11:12]
	v_div_fmas_f64 v[5:6], v[5:6], v[7:8], v[9:10]
	s_delay_alu instid0(VALU_DEP_1) | instskip(NEXT) | instid1(VALU_DEP_1)
	v_div_fixup_f64 v[5:6], v[5:6], v[0:1], v[2:3]
	v_fma_f64 v[0:1], v[2:3], v[5:6], v[0:1]
	s_delay_alu instid0(VALU_DEP_1) | instskip(NEXT) | instid1(VALU_DEP_1)
	v_div_scale_f64 v[2:3], null, v[0:1], v[0:1], 1.0
	v_rcp_f64_e32 v[7:8], v[2:3]
	s_waitcnt_depctr 0xfff
	v_fma_f64 v[9:10], -v[2:3], v[7:8], 1.0
	s_delay_alu instid0(VALU_DEP_1) | instskip(NEXT) | instid1(VALU_DEP_1)
	v_fma_f64 v[7:8], v[7:8], v[9:10], v[7:8]
	v_fma_f64 v[9:10], -v[2:3], v[7:8], 1.0
	s_delay_alu instid0(VALU_DEP_1) | instskip(SKIP_1) | instid1(VALU_DEP_1)
	v_fma_f64 v[7:8], v[7:8], v[9:10], v[7:8]
	v_div_scale_f64 v[9:10], vcc_lo, 1.0, v[0:1], 1.0
	v_mul_f64 v[11:12], v[9:10], v[7:8]
	s_delay_alu instid0(VALU_DEP_1) | instskip(NEXT) | instid1(VALU_DEP_1)
	v_fma_f64 v[2:3], -v[2:3], v[11:12], v[9:10]
	v_div_fmas_f64 v[2:3], v[2:3], v[7:8], v[11:12]
	s_delay_alu instid0(VALU_DEP_1) | instskip(NEXT) | instid1(VALU_DEP_1)
	v_div_fixup_f64 v[0:1], v[2:3], v[0:1], 1.0
	v_mul_f64 v[2:3], v[5:6], -v[0:1]
.LBB126_1300:
	s_or_b32 exec_lo, exec_lo, s2
.LBB126_1301:
	s_delay_alu instid0(SALU_CYCLE_1) | instskip(NEXT) | instid1(SALU_CYCLE_1)
	s_or_b32 exec_lo, exec_lo, s3
	s_mov_b32 s2, exec_lo
	v_cmpx_ne_u32_e64 v41, v4
	s_xor_b32 s2, exec_lo, s2
	s_cbranch_execz .LBB126_1307
; %bb.1302:
	s_mov_b32 s3, exec_lo
	v_cmpx_eq_u32_e32 55, v41
	s_cbranch_execz .LBB126_1306
; %bb.1303:
	v_cmp_ne_u32_e32 vcc_lo, 55, v4
	s_xor_b32 s6, s4, -1
	s_delay_alu instid0(SALU_CYCLE_1) | instskip(NEXT) | instid1(SALU_CYCLE_1)
	s_and_b32 s7, s6, vcc_lo
	s_and_saveexec_b32 s6, s7
	s_cbranch_execz .LBB126_1305
; %bb.1304:
	v_ashrrev_i32_e32 v5, 31, v4
	s_delay_alu instid0(VALU_DEP_1) | instskip(NEXT) | instid1(VALU_DEP_1)
	v_lshlrev_b64 v[5:6], 2, v[4:5]
	v_add_co_u32 v5, vcc_lo, v250, v5
	s_delay_alu instid0(VALU_DEP_2)
	v_add_co_ci_u32_e32 v6, vcc_lo, v251, v6, vcc_lo
	s_clause 0x1
	flat_load_b32 v7, v[5:6]
	flat_load_b32 v8, v[250:251] offset:220
	s_waitcnt vmcnt(1) lgkmcnt(1)
	flat_store_b32 v[250:251], v7 offset:220
	s_waitcnt vmcnt(0) lgkmcnt(1)
	flat_store_b32 v[5:6], v8
.LBB126_1305:
	s_or_b32 exec_lo, exec_lo, s6
	v_mov_b32_e32 v41, v4
	v_mov_b32_e32 v39, v4
.LBB126_1306:
	s_or_b32 exec_lo, exec_lo, s3
.LBB126_1307:
	s_and_not1_saveexec_b32 s2, s2
	s_cbranch_execz .LBB126_1309
; %bb.1308:
	s_clause 0x7
	scratch_load_b128 v[4:7], v166, off
	scratch_load_b128 v[8:11], v169, off
	;; [unrolled: 1-line block ×8, first 2 shown]
	v_mov_b32_e32 v41, 55
	s_waitcnt vmcnt(7)
	ds_store_2addr_b64 v36, v[4:5], v[6:7] offset0:112 offset1:113
	s_waitcnt vmcnt(6)
	ds_store_2addr_b64 v36, v[8:9], v[10:11] offset0:114 offset1:115
	;; [unrolled: 2-line block ×8, first 2 shown]
.LBB126_1309:
	s_or_b32 exec_lo, exec_lo, s2
	s_delay_alu instid0(SALU_CYCLE_1)
	s_mov_b32 s2, exec_lo
	s_waitcnt lgkmcnt(0)
	s_waitcnt_vscnt null, 0x0
	s_barrier
	buffer_gl0_inv
	v_cmpx_lt_i32_e32 55, v41
	s_cbranch_execz .LBB126_1311
; %bb.1310:
	s_clause 0x1
	scratch_load_b128 v[4:7], off, off offset:880
	scratch_load_b128 v[8:11], off, off offset:896
	s_waitcnt vmcnt(1)
	v_mul_f64 v[12:13], v[0:1], v[6:7]
	v_mul_f64 v[6:7], v[2:3], v[6:7]
	s_delay_alu instid0(VALU_DEP_2)
	v_fma_f64 v[2:3], v[2:3], v[4:5], v[12:13]
	ds_load_2addr_b64 v[12:15], v36 offset0:112 offset1:113
	ds_load_2addr_b64 v[42:45], v36 offset0:114 offset1:115
	v_fma_f64 v[0:1], v[0:1], v[4:5], -v[6:7]
	s_waitcnt lgkmcnt(1)
	v_mul_f64 v[4:5], v[14:15], v[2:3]
	v_mul_f64 v[6:7], v[12:13], v[2:3]
	scratch_store_b128 off, v[0:3], off offset:880
	s_waitcnt lgkmcnt(0)
	v_mul_f64 v[125:126], v[44:45], v[2:3]
	v_fma_f64 v[4:5], v[12:13], v[0:1], -v[4:5]
	v_fma_f64 v[6:7], v[14:15], v[0:1], v[6:7]
	s_waitcnt vmcnt(0)
	s_delay_alu instid0(VALU_DEP_2) | instskip(NEXT) | instid1(VALU_DEP_2)
	v_add_f64 v[4:5], v[8:9], -v[4:5]
	v_add_f64 v[6:7], v[10:11], -v[6:7]
	s_clause 0x7
	scratch_load_b128 v[8:11], off, off offset:880
	scratch_load_b128 v[12:15], off, off offset:928
	;; [unrolled: 1-line block ×8, first 2 shown]
	ds_load_2addr_b64 v[85:88], v36 offset0:116 offset1:117
	ds_load_2addr_b64 v[89:92], v36 offset0:118 offset1:119
	;; [unrolled: 1-line block ×6, first 2 shown]
	s_waitcnt lgkmcnt(5)
	v_mul_f64 v[16:17], v[87:88], v[2:3]
	s_waitcnt lgkmcnt(4)
	v_mul_f64 v[46:47], v[91:92], v[2:3]
	v_mul_f64 v[57:58], v[89:90], v[2:3]
	;; [unrolled: 1-line block ×3, first 2 shown]
	s_waitcnt lgkmcnt(3)
	v_mul_f64 v[61:62], v[95:96], v[2:3]
	v_mul_f64 v[73:74], v[93:94], v[2:3]
	s_waitcnt lgkmcnt(2)
	v_mul_f64 v[117:118], v[99:100], v[2:3]
	v_mul_f64 v[121:122], v[97:98], v[2:3]
	;; [unrolled: 1-line block ×3, first 2 shown]
	v_fma_f64 v[16:17], v[85:86], v[0:1], -v[16:17]
	v_fma_f64 v[46:47], v[89:90], v[0:1], -v[46:47]
	v_fma_f64 v[57:58], v[91:92], v[0:1], v[57:58]
	v_fma_f64 v[18:19], v[87:88], v[0:1], v[18:19]
	v_fma_f64 v[61:62], v[93:94], v[0:1], -v[61:62]
	v_fma_f64 v[73:74], v[95:96], v[0:1], v[73:74]
	v_fma_f64 v[89:90], v[42:43], v[0:1], -v[125:126]
	v_fma_f64 v[85:86], v[97:98], v[0:1], -v[117:118]
	v_fma_f64 v[91:92], v[44:45], v[0:1], v[2:3]
	v_fma_f64 v[87:88], v[99:100], v[0:1], v[121:122]
	s_waitcnt vmcnt(7) lgkmcnt(1)
	v_mul_f64 v[129:130], v[103:104], v[10:11]
	v_mul_f64 v[131:132], v[101:102], v[10:11]
	s_waitcnt lgkmcnt(0)
	v_mul_f64 v[136:137], v[107:108], v[10:11]
	v_mul_f64 v[10:11], v[105:106], v[10:11]
	s_waitcnt vmcnt(6)
	v_add_f64 v[0:1], v[12:13], -v[16:17]
	v_add_f64 v[2:3], v[14:15], -v[18:19]
	s_waitcnt vmcnt(4)
	v_add_f64 v[12:13], v[53:54], -v[61:62]
	v_add_f64 v[14:15], v[55:56], -v[73:74]
	;; [unrolled: 3-line block ×3, first 2 shown]
	v_fma_f64 v[93:94], v[101:102], v[8:9], -v[129:130]
	v_fma_f64 v[95:96], v[103:104], v[8:9], v[131:132]
	v_fma_f64 v[97:98], v[105:106], v[8:9], -v[136:137]
	v_fma_f64 v[99:100], v[107:108], v[8:9], v[10:11]
	v_add_f64 v[8:9], v[49:50], -v[46:47]
	v_add_f64 v[10:11], v[51:52], -v[57:58]
	s_waitcnt vmcnt(2)
	v_add_f64 v[49:50], v[69:70], -v[89:90]
	v_add_f64 v[51:52], v[71:72], -v[91:92]
	s_waitcnt vmcnt(1)
	;; [unrolled: 3-line block ×3, first 2 shown]
	v_add_f64 v[65:66], v[81:82], -v[97:98]
	v_add_f64 v[67:68], v[83:84], -v[99:100]
	s_clause 0x7
	scratch_store_b128 off, v[4:7], off offset:896
	scratch_store_b128 off, v[8:11], off offset:944
	;; [unrolled: 1-line block ×8, first 2 shown]
.LBB126_1311:
	s_or_b32 exec_lo, exec_lo, s2
	s_waitcnt_vscnt null, 0x0
	s_barrier
	buffer_gl0_inv
	scratch_load_b128 v[0:3], v166, off
	v_lshl_add_u32 v4, v41, 4, v36
	s_cmp_lt_i32 s5, 58
	s_waitcnt vmcnt(0)
	ds_store_2addr_b64 v4, v[0:1], v[2:3] offset1:1
	s_waitcnt lgkmcnt(0)
	s_barrier
	buffer_gl0_inv
	ds_load_2addr_b64 v[0:3], v36 offset0:112 offset1:113
	v_mov_b32_e32 v4, 56
	s_cbranch_scc1 .LBB126_1314
; %bb.1312:
	v_add3_u32 v5, v38, 0, 0x390
	v_mov_b32_e32 v4, 56
	s_mov_b32 s6, 57
	s_set_inst_prefetch_distance 0x1
	.p2align	6
.LBB126_1313:                           ; =>This Inner Loop Header: Depth=1
	ds_load_2addr_b64 v[6:9], v5 offset1:1
	s_waitcnt lgkmcnt(1)
	v_cmp_gt_f64_e32 vcc_lo, 0, v[0:1]
	v_xor_b32_e32 v10, 0x80000000, v1
	v_cmp_gt_f64_e64 s2, 0, v[2:3]
	v_xor_b32_e32 v12, 0x80000000, v3
	v_add_nc_u32_e32 v5, 16, v5
	s_waitcnt lgkmcnt(0)
	v_cmp_gt_f64_e64 s3, 0, v[6:7]
	v_mov_b32_e32 v14, v6
	v_dual_mov_b32 v16, v8 :: v_dual_cndmask_b32 v11, v1, v10
	v_xor_b32_e32 v10, 0x80000000, v7
	v_cndmask_b32_e64 v13, v3, v12, s2
	v_xor_b32_e32 v12, 0x80000000, v9
	s_delay_alu instid0(VALU_DEP_3) | instskip(SKIP_2) | instid1(VALU_DEP_2)
	v_cndmask_b32_e64 v15, v7, v10, s3
	v_cmp_gt_f64_e64 s3, 0, v[8:9]
	v_cndmask_b32_e32 v10, v0, v0, vcc_lo
	v_cndmask_b32_e64 v17, v9, v12, s3
	v_cndmask_b32_e64 v12, v2, v2, s2
	s_delay_alu instid0(VALU_DEP_2) | instskip(NEXT) | instid1(VALU_DEP_2)
	v_add_f64 v[14:15], v[14:15], v[16:17]
	v_add_f64 v[10:11], v[10:11], v[12:13]
	s_delay_alu instid0(VALU_DEP_1)
	v_cmp_lt_f64_e32 vcc_lo, v[10:11], v[14:15]
	v_cndmask_b32_e32 v3, v3, v9, vcc_lo
	v_dual_cndmask_b32 v1, v1, v7 :: v_dual_cndmask_b32 v0, v0, v6
	v_cndmask_b32_e32 v2, v2, v8, vcc_lo
	v_cndmask_b32_e64 v4, v4, s6, vcc_lo
	s_add_i32 s6, s6, 1
	s_delay_alu instid0(SALU_CYCLE_1)
	s_cmp_lg_u32 s5, s6
	s_cbranch_scc1 .LBB126_1313
.LBB126_1314:
	s_set_inst_prefetch_distance 0x2
	s_waitcnt lgkmcnt(0)
	v_cmp_eq_f64_e32 vcc_lo, 0, v[0:1]
	v_cmp_eq_f64_e64 s2, 0, v[2:3]
	s_delay_alu instid0(VALU_DEP_1) | instskip(NEXT) | instid1(SALU_CYCLE_1)
	s_and_b32 s2, vcc_lo, s2
	s_and_saveexec_b32 s3, s2
	s_delay_alu instid0(SALU_CYCLE_1)
	s_xor_b32 s2, exec_lo, s3
; %bb.1315:
	v_cmp_ne_u32_e32 vcc_lo, 0, v37
	v_cndmask_b32_e32 v37, 57, v37, vcc_lo
; %bb.1316:
	s_and_not1_saveexec_b32 s3, s2
	s_cbranch_execz .LBB126_1322
; %bb.1317:
	v_cmp_gt_f64_e32 vcc_lo, 0, v[0:1]
	v_cmp_gt_f64_e64 s2, 0, v[2:3]
	v_xor_b32_e32 v5, 0x80000000, v1
	v_xor_b32_e32 v7, 0x80000000, v3
	s_delay_alu instid0(VALU_DEP_2) | instskip(NEXT) | instid1(VALU_DEP_2)
	v_dual_cndmask_b32 v6, v1, v5 :: v_dual_cndmask_b32 v5, v0, v0
	v_cndmask_b32_e64 v8, v3, v7, s2
	v_cndmask_b32_e64 v7, v2, v2, s2
	s_mov_b32 s2, exec_lo
	s_delay_alu instid0(VALU_DEP_1)
	v_cmpx_ngt_f64_e32 v[5:6], v[7:8]
	s_xor_b32 s2, exec_lo, s2
	s_cbranch_execz .LBB126_1319
; %bb.1318:
	v_div_scale_f64 v[5:6], null, v[2:3], v[2:3], v[0:1]
	v_div_scale_f64 v[11:12], vcc_lo, v[0:1], v[2:3], v[0:1]
	s_delay_alu instid0(VALU_DEP_2) | instskip(SKIP_2) | instid1(VALU_DEP_1)
	v_rcp_f64_e32 v[7:8], v[5:6]
	s_waitcnt_depctr 0xfff
	v_fma_f64 v[9:10], -v[5:6], v[7:8], 1.0
	v_fma_f64 v[7:8], v[7:8], v[9:10], v[7:8]
	s_delay_alu instid0(VALU_DEP_1) | instskip(NEXT) | instid1(VALU_DEP_1)
	v_fma_f64 v[9:10], -v[5:6], v[7:8], 1.0
	v_fma_f64 v[7:8], v[7:8], v[9:10], v[7:8]
	s_delay_alu instid0(VALU_DEP_1) | instskip(NEXT) | instid1(VALU_DEP_1)
	v_mul_f64 v[9:10], v[11:12], v[7:8]
	v_fma_f64 v[5:6], -v[5:6], v[9:10], v[11:12]
	s_delay_alu instid0(VALU_DEP_1) | instskip(NEXT) | instid1(VALU_DEP_1)
	v_div_fmas_f64 v[5:6], v[5:6], v[7:8], v[9:10]
	v_div_fixup_f64 v[5:6], v[5:6], v[2:3], v[0:1]
	s_delay_alu instid0(VALU_DEP_1) | instskip(NEXT) | instid1(VALU_DEP_1)
	v_fma_f64 v[0:1], v[0:1], v[5:6], v[2:3]
	v_div_scale_f64 v[2:3], null, v[0:1], v[0:1], 1.0
	s_delay_alu instid0(VALU_DEP_1) | instskip(SKIP_2) | instid1(VALU_DEP_1)
	v_rcp_f64_e32 v[7:8], v[2:3]
	s_waitcnt_depctr 0xfff
	v_fma_f64 v[9:10], -v[2:3], v[7:8], 1.0
	v_fma_f64 v[7:8], v[7:8], v[9:10], v[7:8]
	s_delay_alu instid0(VALU_DEP_1) | instskip(NEXT) | instid1(VALU_DEP_1)
	v_fma_f64 v[9:10], -v[2:3], v[7:8], 1.0
	v_fma_f64 v[7:8], v[7:8], v[9:10], v[7:8]
	v_div_scale_f64 v[9:10], vcc_lo, 1.0, v[0:1], 1.0
	s_delay_alu instid0(VALU_DEP_1) | instskip(NEXT) | instid1(VALU_DEP_1)
	v_mul_f64 v[11:12], v[9:10], v[7:8]
	v_fma_f64 v[2:3], -v[2:3], v[11:12], v[9:10]
	s_delay_alu instid0(VALU_DEP_1) | instskip(NEXT) | instid1(VALU_DEP_1)
	v_div_fmas_f64 v[2:3], v[2:3], v[7:8], v[11:12]
	v_div_fixup_f64 v[2:3], v[2:3], v[0:1], 1.0
	s_delay_alu instid0(VALU_DEP_1)
	v_mul_f64 v[0:1], v[5:6], v[2:3]
	v_xor_b32_e32 v3, 0x80000000, v3
.LBB126_1319:
	s_and_not1_saveexec_b32 s2, s2
	s_cbranch_execz .LBB126_1321
; %bb.1320:
	s_delay_alu instid0(VALU_DEP_1) | instskip(SKIP_1) | instid1(VALU_DEP_2)
	v_div_scale_f64 v[5:6], null, v[0:1], v[0:1], v[2:3]
	v_div_scale_f64 v[11:12], vcc_lo, v[2:3], v[0:1], v[2:3]
	v_rcp_f64_e32 v[7:8], v[5:6]
	s_waitcnt_depctr 0xfff
	v_fma_f64 v[9:10], -v[5:6], v[7:8], 1.0
	s_delay_alu instid0(VALU_DEP_1) | instskip(NEXT) | instid1(VALU_DEP_1)
	v_fma_f64 v[7:8], v[7:8], v[9:10], v[7:8]
	v_fma_f64 v[9:10], -v[5:6], v[7:8], 1.0
	s_delay_alu instid0(VALU_DEP_1) | instskip(NEXT) | instid1(VALU_DEP_1)
	v_fma_f64 v[7:8], v[7:8], v[9:10], v[7:8]
	v_mul_f64 v[9:10], v[11:12], v[7:8]
	s_delay_alu instid0(VALU_DEP_1) | instskip(NEXT) | instid1(VALU_DEP_1)
	v_fma_f64 v[5:6], -v[5:6], v[9:10], v[11:12]
	v_div_fmas_f64 v[5:6], v[5:6], v[7:8], v[9:10]
	s_delay_alu instid0(VALU_DEP_1) | instskip(NEXT) | instid1(VALU_DEP_1)
	v_div_fixup_f64 v[5:6], v[5:6], v[0:1], v[2:3]
	v_fma_f64 v[0:1], v[2:3], v[5:6], v[0:1]
	s_delay_alu instid0(VALU_DEP_1) | instskip(NEXT) | instid1(VALU_DEP_1)
	v_div_scale_f64 v[2:3], null, v[0:1], v[0:1], 1.0
	v_rcp_f64_e32 v[7:8], v[2:3]
	s_waitcnt_depctr 0xfff
	v_fma_f64 v[9:10], -v[2:3], v[7:8], 1.0
	s_delay_alu instid0(VALU_DEP_1) | instskip(NEXT) | instid1(VALU_DEP_1)
	v_fma_f64 v[7:8], v[7:8], v[9:10], v[7:8]
	v_fma_f64 v[9:10], -v[2:3], v[7:8], 1.0
	s_delay_alu instid0(VALU_DEP_1) | instskip(SKIP_1) | instid1(VALU_DEP_1)
	v_fma_f64 v[7:8], v[7:8], v[9:10], v[7:8]
	v_div_scale_f64 v[9:10], vcc_lo, 1.0, v[0:1], 1.0
	v_mul_f64 v[11:12], v[9:10], v[7:8]
	s_delay_alu instid0(VALU_DEP_1) | instskip(NEXT) | instid1(VALU_DEP_1)
	v_fma_f64 v[2:3], -v[2:3], v[11:12], v[9:10]
	v_div_fmas_f64 v[2:3], v[2:3], v[7:8], v[11:12]
	s_delay_alu instid0(VALU_DEP_1) | instskip(NEXT) | instid1(VALU_DEP_1)
	v_div_fixup_f64 v[0:1], v[2:3], v[0:1], 1.0
	v_mul_f64 v[2:3], v[5:6], -v[0:1]
.LBB126_1321:
	s_or_b32 exec_lo, exec_lo, s2
.LBB126_1322:
	s_delay_alu instid0(SALU_CYCLE_1) | instskip(NEXT) | instid1(SALU_CYCLE_1)
	s_or_b32 exec_lo, exec_lo, s3
	s_mov_b32 s2, exec_lo
	v_cmpx_ne_u32_e64 v41, v4
	s_xor_b32 s2, exec_lo, s2
	s_cbranch_execz .LBB126_1328
; %bb.1323:
	s_mov_b32 s3, exec_lo
	v_cmpx_eq_u32_e32 56, v41
	s_cbranch_execz .LBB126_1327
; %bb.1324:
	v_cmp_ne_u32_e32 vcc_lo, 56, v4
	s_xor_b32 s6, s4, -1
	s_delay_alu instid0(SALU_CYCLE_1) | instskip(NEXT) | instid1(SALU_CYCLE_1)
	s_and_b32 s7, s6, vcc_lo
	s_and_saveexec_b32 s6, s7
	s_cbranch_execz .LBB126_1326
; %bb.1325:
	v_ashrrev_i32_e32 v5, 31, v4
	s_delay_alu instid0(VALU_DEP_1) | instskip(NEXT) | instid1(VALU_DEP_1)
	v_lshlrev_b64 v[5:6], 2, v[4:5]
	v_add_co_u32 v5, vcc_lo, v250, v5
	s_delay_alu instid0(VALU_DEP_2)
	v_add_co_ci_u32_e32 v6, vcc_lo, v251, v6, vcc_lo
	s_clause 0x1
	flat_load_b32 v7, v[5:6]
	flat_load_b32 v8, v[250:251] offset:224
	s_waitcnt vmcnt(1) lgkmcnt(1)
	flat_store_b32 v[250:251], v7 offset:224
	s_waitcnt vmcnt(0) lgkmcnt(1)
	flat_store_b32 v[5:6], v8
.LBB126_1326:
	s_or_b32 exec_lo, exec_lo, s6
	v_mov_b32_e32 v41, v4
	v_mov_b32_e32 v39, v4
.LBB126_1327:
	s_or_b32 exec_lo, exec_lo, s3
.LBB126_1328:
	s_and_not1_saveexec_b32 s2, s2
	s_cbranch_execz .LBB126_1330
; %bb.1329:
	s_clause 0x6
	scratch_load_b128 v[4:7], v169, off
	scratch_load_b128 v[8:11], v164, off
	;; [unrolled: 1-line block ×7, first 2 shown]
	v_mov_b32_e32 v41, 56
	s_waitcnt vmcnt(6)
	ds_store_2addr_b64 v36, v[4:5], v[6:7] offset0:114 offset1:115
	s_waitcnt vmcnt(5)
	ds_store_2addr_b64 v36, v[8:9], v[10:11] offset0:116 offset1:117
	;; [unrolled: 2-line block ×7, first 2 shown]
.LBB126_1330:
	s_or_b32 exec_lo, exec_lo, s2
	s_delay_alu instid0(SALU_CYCLE_1)
	s_mov_b32 s2, exec_lo
	s_waitcnt lgkmcnt(0)
	s_waitcnt_vscnt null, 0x0
	s_barrier
	buffer_gl0_inv
	v_cmpx_lt_i32_e32 56, v41
	s_cbranch_execz .LBB126_1332
; %bb.1331:
	s_clause 0x1
	scratch_load_b128 v[4:7], off, off offset:896
	scratch_load_b128 v[8:11], off, off offset:912
	s_waitcnt vmcnt(1)
	v_mul_f64 v[12:13], v[0:1], v[6:7]
	v_mul_f64 v[6:7], v[2:3], v[6:7]
	s_delay_alu instid0(VALU_DEP_2)
	v_fma_f64 v[2:3], v[2:3], v[4:5], v[12:13]
	ds_load_2addr_b64 v[12:15], v36 offset0:114 offset1:115
	ds_load_2addr_b64 v[42:45], v36 offset0:116 offset1:117
	v_fma_f64 v[0:1], v[0:1], v[4:5], -v[6:7]
	s_waitcnt lgkmcnt(1)
	v_mul_f64 v[4:5], v[14:15], v[2:3]
	v_mul_f64 v[6:7], v[12:13], v[2:3]
	scratch_store_b128 off, v[0:3], off offset:896
	s_waitcnt lgkmcnt(0)
	v_mul_f64 v[73:74], v[44:45], v[2:3]
	v_mul_f64 v[101:102], v[42:43], v[2:3]
	v_fma_f64 v[4:5], v[12:13], v[0:1], -v[4:5]
	v_fma_f64 v[6:7], v[14:15], v[0:1], v[6:7]
	s_delay_alu instid0(VALU_DEP_4) | instskip(NEXT) | instid1(VALU_DEP_4)
	v_fma_f64 v[42:43], v[42:43], v[0:1], -v[73:74]
	v_fma_f64 v[44:45], v[44:45], v[0:1], v[101:102]
	s_waitcnt vmcnt(0)
	s_delay_alu instid0(VALU_DEP_4) | instskip(NEXT) | instid1(VALU_DEP_4)
	v_add_f64 v[4:5], v[8:9], -v[4:5]
	v_add_f64 v[6:7], v[10:11], -v[6:7]
	s_clause 0x6
	scratch_load_b128 v[8:11], off, off offset:896
	scratch_load_b128 v[12:15], off, off offset:944
	;; [unrolled: 1-line block ×7, first 2 shown]
	ds_load_2addr_b64 v[81:84], v36 offset0:118 offset1:119
	ds_load_2addr_b64 v[85:88], v36 offset0:120 offset1:121
	;; [unrolled: 1-line block ×5, first 2 shown]
	s_waitcnt lgkmcnt(4)
	v_mul_f64 v[16:17], v[83:84], v[2:3]
	v_mul_f64 v[18:19], v[81:82], v[2:3]
	s_waitcnt lgkmcnt(3)
	v_mul_f64 v[46:47], v[87:88], v[2:3]
	v_mul_f64 v[57:58], v[85:86], v[2:3]
	s_waitcnt lgkmcnt(2)
	v_mul_f64 v[61:62], v[91:92], v[2:3]
	v_mul_f64 v[103:104], v[89:90], v[2:3]
	s_waitcnt lgkmcnt(1)
	v_mul_f64 v[105:106], v[95:96], v[2:3]
	v_mul_f64 v[2:3], v[93:94], v[2:3]
	v_fma_f64 v[16:17], v[81:82], v[0:1], -v[16:17]
	v_fma_f64 v[18:19], v[83:84], v[0:1], v[18:19]
	v_fma_f64 v[46:47], v[85:86], v[0:1], -v[46:47]
	v_fma_f64 v[57:58], v[87:88], v[0:1], v[57:58]
	;; [unrolled: 2-line block ×4, first 2 shown]
	s_waitcnt vmcnt(6) lgkmcnt(0)
	v_mul_f64 v[107:108], v[99:100], v[10:11]
	v_mul_f64 v[10:11], v[97:98], v[10:11]
	s_waitcnt vmcnt(5)
	v_add_f64 v[0:1], v[12:13], -v[16:17]
	v_add_f64 v[2:3], v[14:15], -v[18:19]
	s_waitcnt vmcnt(2)
	v_add_f64 v[42:43], v[65:66], -v[42:43]
	v_add_f64 v[44:45], v[67:68], -v[44:45]
	;; [unrolled: 1-line block ×4, first 2 shown]
	v_fma_f64 v[85:86], v[97:98], v[8:9], -v[107:108]
	v_fma_f64 v[87:88], v[99:100], v[8:9], v[10:11]
	v_add_f64 v[8:9], v[49:50], -v[46:47]
	v_add_f64 v[10:11], v[51:52], -v[57:58]
	s_waitcnt vmcnt(1)
	v_add_f64 v[49:50], v[69:70], -v[81:82]
	v_add_f64 v[51:52], v[71:72], -v[83:84]
	s_waitcnt vmcnt(0)
	v_add_f64 v[53:54], v[77:78], -v[85:86]
	v_add_f64 v[55:56], v[79:80], -v[87:88]
	s_clause 0x6
	scratch_store_b128 off, v[4:7], off offset:912
	scratch_store_b128 off, v[42:45], off offset:928
	;; [unrolled: 1-line block ×7, first 2 shown]
.LBB126_1332:
	s_or_b32 exec_lo, exec_lo, s2
	s_waitcnt_vscnt null, 0x0
	s_barrier
	buffer_gl0_inv
	scratch_load_b128 v[0:3], v169, off
	v_lshl_add_u32 v4, v41, 4, v36
	s_cmp_lt_i32 s5, 59
	s_waitcnt vmcnt(0)
	ds_store_2addr_b64 v4, v[0:1], v[2:3] offset1:1
	s_waitcnt lgkmcnt(0)
	s_barrier
	buffer_gl0_inv
	ds_load_2addr_b64 v[0:3], v36 offset0:114 offset1:115
	v_mov_b32_e32 v4, 57
	s_cbranch_scc1 .LBB126_1335
; %bb.1333:
	v_add3_u32 v5, v38, 0, 0x3a0
	v_mov_b32_e32 v4, 57
	s_mov_b32 s6, 58
	s_set_inst_prefetch_distance 0x1
	.p2align	6
.LBB126_1334:                           ; =>This Inner Loop Header: Depth=1
	ds_load_2addr_b64 v[6:9], v5 offset1:1
	s_waitcnt lgkmcnt(1)
	v_cmp_gt_f64_e32 vcc_lo, 0, v[0:1]
	v_xor_b32_e32 v10, 0x80000000, v1
	v_cmp_gt_f64_e64 s2, 0, v[2:3]
	v_xor_b32_e32 v12, 0x80000000, v3
	v_add_nc_u32_e32 v5, 16, v5
	s_waitcnt lgkmcnt(0)
	v_cmp_gt_f64_e64 s3, 0, v[6:7]
	v_mov_b32_e32 v14, v6
	v_dual_mov_b32 v16, v8 :: v_dual_cndmask_b32 v11, v1, v10
	v_xor_b32_e32 v10, 0x80000000, v7
	v_cndmask_b32_e64 v13, v3, v12, s2
	v_xor_b32_e32 v12, 0x80000000, v9
	s_delay_alu instid0(VALU_DEP_3) | instskip(SKIP_2) | instid1(VALU_DEP_2)
	v_cndmask_b32_e64 v15, v7, v10, s3
	v_cmp_gt_f64_e64 s3, 0, v[8:9]
	v_cndmask_b32_e32 v10, v0, v0, vcc_lo
	v_cndmask_b32_e64 v17, v9, v12, s3
	v_cndmask_b32_e64 v12, v2, v2, s2
	s_delay_alu instid0(VALU_DEP_2) | instskip(NEXT) | instid1(VALU_DEP_2)
	v_add_f64 v[14:15], v[14:15], v[16:17]
	v_add_f64 v[10:11], v[10:11], v[12:13]
	s_delay_alu instid0(VALU_DEP_1)
	v_cmp_lt_f64_e32 vcc_lo, v[10:11], v[14:15]
	v_cndmask_b32_e32 v3, v3, v9, vcc_lo
	v_dual_cndmask_b32 v1, v1, v7 :: v_dual_cndmask_b32 v0, v0, v6
	v_cndmask_b32_e32 v2, v2, v8, vcc_lo
	v_cndmask_b32_e64 v4, v4, s6, vcc_lo
	s_add_i32 s6, s6, 1
	s_delay_alu instid0(SALU_CYCLE_1)
	s_cmp_lg_u32 s5, s6
	s_cbranch_scc1 .LBB126_1334
.LBB126_1335:
	s_set_inst_prefetch_distance 0x2
	s_waitcnt lgkmcnt(0)
	v_cmp_eq_f64_e32 vcc_lo, 0, v[0:1]
	v_cmp_eq_f64_e64 s2, 0, v[2:3]
	s_delay_alu instid0(VALU_DEP_1) | instskip(NEXT) | instid1(SALU_CYCLE_1)
	s_and_b32 s2, vcc_lo, s2
	s_and_saveexec_b32 s3, s2
	s_delay_alu instid0(SALU_CYCLE_1)
	s_xor_b32 s2, exec_lo, s3
; %bb.1336:
	v_cmp_ne_u32_e32 vcc_lo, 0, v37
	v_cndmask_b32_e32 v37, 58, v37, vcc_lo
; %bb.1337:
	s_and_not1_saveexec_b32 s3, s2
	s_cbranch_execz .LBB126_1343
; %bb.1338:
	v_cmp_gt_f64_e32 vcc_lo, 0, v[0:1]
	v_cmp_gt_f64_e64 s2, 0, v[2:3]
	v_xor_b32_e32 v5, 0x80000000, v1
	v_xor_b32_e32 v7, 0x80000000, v3
	s_delay_alu instid0(VALU_DEP_2) | instskip(NEXT) | instid1(VALU_DEP_2)
	v_dual_cndmask_b32 v6, v1, v5 :: v_dual_cndmask_b32 v5, v0, v0
	v_cndmask_b32_e64 v8, v3, v7, s2
	v_cndmask_b32_e64 v7, v2, v2, s2
	s_mov_b32 s2, exec_lo
	s_delay_alu instid0(VALU_DEP_1)
	v_cmpx_ngt_f64_e32 v[5:6], v[7:8]
	s_xor_b32 s2, exec_lo, s2
	s_cbranch_execz .LBB126_1340
; %bb.1339:
	v_div_scale_f64 v[5:6], null, v[2:3], v[2:3], v[0:1]
	v_div_scale_f64 v[11:12], vcc_lo, v[0:1], v[2:3], v[0:1]
	s_delay_alu instid0(VALU_DEP_2) | instskip(SKIP_2) | instid1(VALU_DEP_1)
	v_rcp_f64_e32 v[7:8], v[5:6]
	s_waitcnt_depctr 0xfff
	v_fma_f64 v[9:10], -v[5:6], v[7:8], 1.0
	v_fma_f64 v[7:8], v[7:8], v[9:10], v[7:8]
	s_delay_alu instid0(VALU_DEP_1) | instskip(NEXT) | instid1(VALU_DEP_1)
	v_fma_f64 v[9:10], -v[5:6], v[7:8], 1.0
	v_fma_f64 v[7:8], v[7:8], v[9:10], v[7:8]
	s_delay_alu instid0(VALU_DEP_1) | instskip(NEXT) | instid1(VALU_DEP_1)
	v_mul_f64 v[9:10], v[11:12], v[7:8]
	v_fma_f64 v[5:6], -v[5:6], v[9:10], v[11:12]
	s_delay_alu instid0(VALU_DEP_1) | instskip(NEXT) | instid1(VALU_DEP_1)
	v_div_fmas_f64 v[5:6], v[5:6], v[7:8], v[9:10]
	v_div_fixup_f64 v[5:6], v[5:6], v[2:3], v[0:1]
	s_delay_alu instid0(VALU_DEP_1) | instskip(NEXT) | instid1(VALU_DEP_1)
	v_fma_f64 v[0:1], v[0:1], v[5:6], v[2:3]
	v_div_scale_f64 v[2:3], null, v[0:1], v[0:1], 1.0
	s_delay_alu instid0(VALU_DEP_1) | instskip(SKIP_2) | instid1(VALU_DEP_1)
	v_rcp_f64_e32 v[7:8], v[2:3]
	s_waitcnt_depctr 0xfff
	v_fma_f64 v[9:10], -v[2:3], v[7:8], 1.0
	v_fma_f64 v[7:8], v[7:8], v[9:10], v[7:8]
	s_delay_alu instid0(VALU_DEP_1) | instskip(NEXT) | instid1(VALU_DEP_1)
	v_fma_f64 v[9:10], -v[2:3], v[7:8], 1.0
	v_fma_f64 v[7:8], v[7:8], v[9:10], v[7:8]
	v_div_scale_f64 v[9:10], vcc_lo, 1.0, v[0:1], 1.0
	s_delay_alu instid0(VALU_DEP_1) | instskip(NEXT) | instid1(VALU_DEP_1)
	v_mul_f64 v[11:12], v[9:10], v[7:8]
	v_fma_f64 v[2:3], -v[2:3], v[11:12], v[9:10]
	s_delay_alu instid0(VALU_DEP_1) | instskip(NEXT) | instid1(VALU_DEP_1)
	v_div_fmas_f64 v[2:3], v[2:3], v[7:8], v[11:12]
	v_div_fixup_f64 v[2:3], v[2:3], v[0:1], 1.0
	s_delay_alu instid0(VALU_DEP_1)
	v_mul_f64 v[0:1], v[5:6], v[2:3]
	v_xor_b32_e32 v3, 0x80000000, v3
.LBB126_1340:
	s_and_not1_saveexec_b32 s2, s2
	s_cbranch_execz .LBB126_1342
; %bb.1341:
	s_delay_alu instid0(VALU_DEP_1) | instskip(SKIP_1) | instid1(VALU_DEP_2)
	v_div_scale_f64 v[5:6], null, v[0:1], v[0:1], v[2:3]
	v_div_scale_f64 v[11:12], vcc_lo, v[2:3], v[0:1], v[2:3]
	v_rcp_f64_e32 v[7:8], v[5:6]
	s_waitcnt_depctr 0xfff
	v_fma_f64 v[9:10], -v[5:6], v[7:8], 1.0
	s_delay_alu instid0(VALU_DEP_1) | instskip(NEXT) | instid1(VALU_DEP_1)
	v_fma_f64 v[7:8], v[7:8], v[9:10], v[7:8]
	v_fma_f64 v[9:10], -v[5:6], v[7:8], 1.0
	s_delay_alu instid0(VALU_DEP_1) | instskip(NEXT) | instid1(VALU_DEP_1)
	v_fma_f64 v[7:8], v[7:8], v[9:10], v[7:8]
	v_mul_f64 v[9:10], v[11:12], v[7:8]
	s_delay_alu instid0(VALU_DEP_1) | instskip(NEXT) | instid1(VALU_DEP_1)
	v_fma_f64 v[5:6], -v[5:6], v[9:10], v[11:12]
	v_div_fmas_f64 v[5:6], v[5:6], v[7:8], v[9:10]
	s_delay_alu instid0(VALU_DEP_1) | instskip(NEXT) | instid1(VALU_DEP_1)
	v_div_fixup_f64 v[5:6], v[5:6], v[0:1], v[2:3]
	v_fma_f64 v[0:1], v[2:3], v[5:6], v[0:1]
	s_delay_alu instid0(VALU_DEP_1) | instskip(NEXT) | instid1(VALU_DEP_1)
	v_div_scale_f64 v[2:3], null, v[0:1], v[0:1], 1.0
	v_rcp_f64_e32 v[7:8], v[2:3]
	s_waitcnt_depctr 0xfff
	v_fma_f64 v[9:10], -v[2:3], v[7:8], 1.0
	s_delay_alu instid0(VALU_DEP_1) | instskip(NEXT) | instid1(VALU_DEP_1)
	v_fma_f64 v[7:8], v[7:8], v[9:10], v[7:8]
	v_fma_f64 v[9:10], -v[2:3], v[7:8], 1.0
	s_delay_alu instid0(VALU_DEP_1) | instskip(SKIP_1) | instid1(VALU_DEP_1)
	v_fma_f64 v[7:8], v[7:8], v[9:10], v[7:8]
	v_div_scale_f64 v[9:10], vcc_lo, 1.0, v[0:1], 1.0
	v_mul_f64 v[11:12], v[9:10], v[7:8]
	s_delay_alu instid0(VALU_DEP_1) | instskip(NEXT) | instid1(VALU_DEP_1)
	v_fma_f64 v[2:3], -v[2:3], v[11:12], v[9:10]
	v_div_fmas_f64 v[2:3], v[2:3], v[7:8], v[11:12]
	s_delay_alu instid0(VALU_DEP_1) | instskip(NEXT) | instid1(VALU_DEP_1)
	v_div_fixup_f64 v[0:1], v[2:3], v[0:1], 1.0
	v_mul_f64 v[2:3], v[5:6], -v[0:1]
.LBB126_1342:
	s_or_b32 exec_lo, exec_lo, s2
.LBB126_1343:
	s_delay_alu instid0(SALU_CYCLE_1) | instskip(NEXT) | instid1(SALU_CYCLE_1)
	s_or_b32 exec_lo, exec_lo, s3
	s_mov_b32 s2, exec_lo
	v_cmpx_ne_u32_e64 v41, v4
	s_xor_b32 s2, exec_lo, s2
	s_cbranch_execz .LBB126_1349
; %bb.1344:
	s_mov_b32 s3, exec_lo
	v_cmpx_eq_u32_e32 57, v41
	s_cbranch_execz .LBB126_1348
; %bb.1345:
	v_cmp_ne_u32_e32 vcc_lo, 57, v4
	s_xor_b32 s6, s4, -1
	s_delay_alu instid0(SALU_CYCLE_1) | instskip(NEXT) | instid1(SALU_CYCLE_1)
	s_and_b32 s7, s6, vcc_lo
	s_and_saveexec_b32 s6, s7
	s_cbranch_execz .LBB126_1347
; %bb.1346:
	v_ashrrev_i32_e32 v5, 31, v4
	s_delay_alu instid0(VALU_DEP_1) | instskip(NEXT) | instid1(VALU_DEP_1)
	v_lshlrev_b64 v[5:6], 2, v[4:5]
	v_add_co_u32 v5, vcc_lo, v250, v5
	s_delay_alu instid0(VALU_DEP_2)
	v_add_co_ci_u32_e32 v6, vcc_lo, v251, v6, vcc_lo
	s_clause 0x1
	flat_load_b32 v7, v[5:6]
	flat_load_b32 v8, v[250:251] offset:228
	s_waitcnt vmcnt(1) lgkmcnt(1)
	flat_store_b32 v[250:251], v7 offset:228
	s_waitcnt vmcnt(0) lgkmcnt(1)
	flat_store_b32 v[5:6], v8
.LBB126_1347:
	s_or_b32 exec_lo, exec_lo, s6
	v_mov_b32_e32 v41, v4
	v_mov_b32_e32 v39, v4
.LBB126_1348:
	s_or_b32 exec_lo, exec_lo, s3
.LBB126_1349:
	s_and_not1_saveexec_b32 s2, s2
	s_cbranch_execz .LBB126_1351
; %bb.1350:
	s_clause 0x5
	scratch_load_b128 v[4:7], v164, off
	scratch_load_b128 v[8:11], v167, off
	;; [unrolled: 1-line block ×6, first 2 shown]
	v_mov_b32_e32 v41, 57
	s_waitcnt vmcnt(5)
	ds_store_2addr_b64 v36, v[4:5], v[6:7] offset0:116 offset1:117
	s_waitcnt vmcnt(4)
	ds_store_2addr_b64 v36, v[8:9], v[10:11] offset0:118 offset1:119
	;; [unrolled: 2-line block ×6, first 2 shown]
.LBB126_1351:
	s_or_b32 exec_lo, exec_lo, s2
	s_delay_alu instid0(SALU_CYCLE_1)
	s_mov_b32 s2, exec_lo
	s_waitcnt lgkmcnt(0)
	s_waitcnt_vscnt null, 0x0
	s_barrier
	buffer_gl0_inv
	v_cmpx_lt_i32_e32 57, v41
	s_cbranch_execz .LBB126_1353
; %bb.1352:
	s_clause 0x6
	scratch_load_b128 v[4:7], off, off offset:912
	scratch_load_b128 v[8:11], off, off offset:928
	;; [unrolled: 1-line block ×7, first 2 shown]
	ds_load_2addr_b64 v[69:72], v36 offset0:116 offset1:117
	ds_load_2addr_b64 v[77:80], v36 offset0:118 offset1:119
	;; [unrolled: 1-line block ×6, first 2 shown]
	s_waitcnt vmcnt(6)
	v_mul_f64 v[16:17], v[0:1], v[6:7]
	v_mul_f64 v[6:7], v[2:3], v[6:7]
	s_delay_alu instid0(VALU_DEP_2) | instskip(NEXT) | instid1(VALU_DEP_2)
	v_fma_f64 v[2:3], v[2:3], v[4:5], v[16:17]
	v_fma_f64 v[0:1], v[0:1], v[4:5], -v[6:7]
	s_waitcnt lgkmcnt(5)
	s_delay_alu instid0(VALU_DEP_2)
	v_mul_f64 v[4:5], v[71:72], v[2:3]
	v_mul_f64 v[6:7], v[69:70], v[2:3]
	s_waitcnt lgkmcnt(4)
	v_mul_f64 v[16:17], v[79:80], v[2:3]
	v_mul_f64 v[18:19], v[77:78], v[2:3]
	s_waitcnt lgkmcnt(3)
	;; [unrolled: 3-line block ×5, first 2 shown]
	v_mul_f64 v[101:102], v[95:96], v[2:3]
	v_mul_f64 v[103:104], v[93:94], v[2:3]
	v_fma_f64 v[4:5], v[69:70], v[0:1], -v[4:5]
	v_fma_f64 v[6:7], v[71:72], v[0:1], v[6:7]
	v_fma_f64 v[16:17], v[77:78], v[0:1], -v[16:17]
	v_fma_f64 v[18:19], v[79:80], v[0:1], v[18:19]
	;; [unrolled: 2-line block ×6, first 2 shown]
	s_waitcnt vmcnt(5)
	v_add_f64 v[4:5], v[8:9], -v[4:5]
	v_add_f64 v[6:7], v[10:11], -v[6:7]
	s_waitcnt vmcnt(4)
	v_add_f64 v[8:9], v[12:13], -v[16:17]
	v_add_f64 v[10:11], v[14:15], -v[18:19]
	;; [unrolled: 3-line block ×6, first 2 shown]
	s_clause 0x6
	scratch_store_b128 off, v[0:3], off offset:912
	scratch_store_b128 off, v[4:7], off offset:928
	;; [unrolled: 1-line block ×7, first 2 shown]
.LBB126_1353:
	s_or_b32 exec_lo, exec_lo, s2
	s_waitcnt_vscnt null, 0x0
	s_barrier
	buffer_gl0_inv
	scratch_load_b128 v[0:3], v164, off
	v_lshl_add_u32 v4, v41, 4, v36
	s_cmp_lt_i32 s5, 60
	s_waitcnt vmcnt(0)
	ds_store_2addr_b64 v4, v[0:1], v[2:3] offset1:1
	s_waitcnt lgkmcnt(0)
	s_barrier
	buffer_gl0_inv
	ds_load_2addr_b64 v[0:3], v36 offset0:116 offset1:117
	v_mov_b32_e32 v4, 58
	s_cbranch_scc1 .LBB126_1356
; %bb.1354:
	v_add3_u32 v5, v38, 0, 0x3b0
	v_mov_b32_e32 v4, 58
	s_mov_b32 s6, 59
	s_set_inst_prefetch_distance 0x1
	.p2align	6
.LBB126_1355:                           ; =>This Inner Loop Header: Depth=1
	ds_load_2addr_b64 v[6:9], v5 offset1:1
	s_waitcnt lgkmcnt(1)
	v_cmp_gt_f64_e32 vcc_lo, 0, v[0:1]
	v_xor_b32_e32 v10, 0x80000000, v1
	v_cmp_gt_f64_e64 s2, 0, v[2:3]
	v_xor_b32_e32 v12, 0x80000000, v3
	v_add_nc_u32_e32 v5, 16, v5
	s_waitcnt lgkmcnt(0)
	v_cmp_gt_f64_e64 s3, 0, v[6:7]
	v_mov_b32_e32 v14, v6
	v_dual_mov_b32 v16, v8 :: v_dual_cndmask_b32 v11, v1, v10
	v_xor_b32_e32 v10, 0x80000000, v7
	v_cndmask_b32_e64 v13, v3, v12, s2
	v_xor_b32_e32 v12, 0x80000000, v9
	s_delay_alu instid0(VALU_DEP_3) | instskip(SKIP_2) | instid1(VALU_DEP_2)
	v_cndmask_b32_e64 v15, v7, v10, s3
	v_cmp_gt_f64_e64 s3, 0, v[8:9]
	v_cndmask_b32_e32 v10, v0, v0, vcc_lo
	v_cndmask_b32_e64 v17, v9, v12, s3
	v_cndmask_b32_e64 v12, v2, v2, s2
	s_delay_alu instid0(VALU_DEP_2) | instskip(NEXT) | instid1(VALU_DEP_2)
	v_add_f64 v[14:15], v[14:15], v[16:17]
	v_add_f64 v[10:11], v[10:11], v[12:13]
	s_delay_alu instid0(VALU_DEP_1)
	v_cmp_lt_f64_e32 vcc_lo, v[10:11], v[14:15]
	v_cndmask_b32_e32 v3, v3, v9, vcc_lo
	v_dual_cndmask_b32 v1, v1, v7 :: v_dual_cndmask_b32 v0, v0, v6
	v_cndmask_b32_e32 v2, v2, v8, vcc_lo
	v_cndmask_b32_e64 v4, v4, s6, vcc_lo
	s_add_i32 s6, s6, 1
	s_delay_alu instid0(SALU_CYCLE_1)
	s_cmp_lg_u32 s5, s6
	s_cbranch_scc1 .LBB126_1355
.LBB126_1356:
	s_set_inst_prefetch_distance 0x2
	s_waitcnt lgkmcnt(0)
	v_cmp_eq_f64_e32 vcc_lo, 0, v[0:1]
	v_cmp_eq_f64_e64 s2, 0, v[2:3]
	s_delay_alu instid0(VALU_DEP_1) | instskip(NEXT) | instid1(SALU_CYCLE_1)
	s_and_b32 s2, vcc_lo, s2
	s_and_saveexec_b32 s3, s2
	s_delay_alu instid0(SALU_CYCLE_1)
	s_xor_b32 s2, exec_lo, s3
; %bb.1357:
	v_cmp_ne_u32_e32 vcc_lo, 0, v37
	v_cndmask_b32_e32 v37, 59, v37, vcc_lo
; %bb.1358:
	s_and_not1_saveexec_b32 s3, s2
	s_cbranch_execz .LBB126_1364
; %bb.1359:
	v_cmp_gt_f64_e32 vcc_lo, 0, v[0:1]
	v_cmp_gt_f64_e64 s2, 0, v[2:3]
	v_xor_b32_e32 v5, 0x80000000, v1
	v_xor_b32_e32 v7, 0x80000000, v3
	s_delay_alu instid0(VALU_DEP_2) | instskip(NEXT) | instid1(VALU_DEP_2)
	v_dual_cndmask_b32 v6, v1, v5 :: v_dual_cndmask_b32 v5, v0, v0
	v_cndmask_b32_e64 v8, v3, v7, s2
	v_cndmask_b32_e64 v7, v2, v2, s2
	s_mov_b32 s2, exec_lo
	s_delay_alu instid0(VALU_DEP_1)
	v_cmpx_ngt_f64_e32 v[5:6], v[7:8]
	s_xor_b32 s2, exec_lo, s2
	s_cbranch_execz .LBB126_1361
; %bb.1360:
	v_div_scale_f64 v[5:6], null, v[2:3], v[2:3], v[0:1]
	v_div_scale_f64 v[11:12], vcc_lo, v[0:1], v[2:3], v[0:1]
	s_delay_alu instid0(VALU_DEP_2) | instskip(SKIP_2) | instid1(VALU_DEP_1)
	v_rcp_f64_e32 v[7:8], v[5:6]
	s_waitcnt_depctr 0xfff
	v_fma_f64 v[9:10], -v[5:6], v[7:8], 1.0
	v_fma_f64 v[7:8], v[7:8], v[9:10], v[7:8]
	s_delay_alu instid0(VALU_DEP_1) | instskip(NEXT) | instid1(VALU_DEP_1)
	v_fma_f64 v[9:10], -v[5:6], v[7:8], 1.0
	v_fma_f64 v[7:8], v[7:8], v[9:10], v[7:8]
	s_delay_alu instid0(VALU_DEP_1) | instskip(NEXT) | instid1(VALU_DEP_1)
	v_mul_f64 v[9:10], v[11:12], v[7:8]
	v_fma_f64 v[5:6], -v[5:6], v[9:10], v[11:12]
	s_delay_alu instid0(VALU_DEP_1) | instskip(NEXT) | instid1(VALU_DEP_1)
	v_div_fmas_f64 v[5:6], v[5:6], v[7:8], v[9:10]
	v_div_fixup_f64 v[5:6], v[5:6], v[2:3], v[0:1]
	s_delay_alu instid0(VALU_DEP_1) | instskip(NEXT) | instid1(VALU_DEP_1)
	v_fma_f64 v[0:1], v[0:1], v[5:6], v[2:3]
	v_div_scale_f64 v[2:3], null, v[0:1], v[0:1], 1.0
	s_delay_alu instid0(VALU_DEP_1) | instskip(SKIP_2) | instid1(VALU_DEP_1)
	v_rcp_f64_e32 v[7:8], v[2:3]
	s_waitcnt_depctr 0xfff
	v_fma_f64 v[9:10], -v[2:3], v[7:8], 1.0
	v_fma_f64 v[7:8], v[7:8], v[9:10], v[7:8]
	s_delay_alu instid0(VALU_DEP_1) | instskip(NEXT) | instid1(VALU_DEP_1)
	v_fma_f64 v[9:10], -v[2:3], v[7:8], 1.0
	v_fma_f64 v[7:8], v[7:8], v[9:10], v[7:8]
	v_div_scale_f64 v[9:10], vcc_lo, 1.0, v[0:1], 1.0
	s_delay_alu instid0(VALU_DEP_1) | instskip(NEXT) | instid1(VALU_DEP_1)
	v_mul_f64 v[11:12], v[9:10], v[7:8]
	v_fma_f64 v[2:3], -v[2:3], v[11:12], v[9:10]
	s_delay_alu instid0(VALU_DEP_1) | instskip(NEXT) | instid1(VALU_DEP_1)
	v_div_fmas_f64 v[2:3], v[2:3], v[7:8], v[11:12]
	v_div_fixup_f64 v[2:3], v[2:3], v[0:1], 1.0
	s_delay_alu instid0(VALU_DEP_1)
	v_mul_f64 v[0:1], v[5:6], v[2:3]
	v_xor_b32_e32 v3, 0x80000000, v3
.LBB126_1361:
	s_and_not1_saveexec_b32 s2, s2
	s_cbranch_execz .LBB126_1363
; %bb.1362:
	s_delay_alu instid0(VALU_DEP_1) | instskip(SKIP_1) | instid1(VALU_DEP_2)
	v_div_scale_f64 v[5:6], null, v[0:1], v[0:1], v[2:3]
	v_div_scale_f64 v[11:12], vcc_lo, v[2:3], v[0:1], v[2:3]
	v_rcp_f64_e32 v[7:8], v[5:6]
	s_waitcnt_depctr 0xfff
	v_fma_f64 v[9:10], -v[5:6], v[7:8], 1.0
	s_delay_alu instid0(VALU_DEP_1) | instskip(NEXT) | instid1(VALU_DEP_1)
	v_fma_f64 v[7:8], v[7:8], v[9:10], v[7:8]
	v_fma_f64 v[9:10], -v[5:6], v[7:8], 1.0
	s_delay_alu instid0(VALU_DEP_1) | instskip(NEXT) | instid1(VALU_DEP_1)
	v_fma_f64 v[7:8], v[7:8], v[9:10], v[7:8]
	v_mul_f64 v[9:10], v[11:12], v[7:8]
	s_delay_alu instid0(VALU_DEP_1) | instskip(NEXT) | instid1(VALU_DEP_1)
	v_fma_f64 v[5:6], -v[5:6], v[9:10], v[11:12]
	v_div_fmas_f64 v[5:6], v[5:6], v[7:8], v[9:10]
	s_delay_alu instid0(VALU_DEP_1) | instskip(NEXT) | instid1(VALU_DEP_1)
	v_div_fixup_f64 v[5:6], v[5:6], v[0:1], v[2:3]
	v_fma_f64 v[0:1], v[2:3], v[5:6], v[0:1]
	s_delay_alu instid0(VALU_DEP_1) | instskip(NEXT) | instid1(VALU_DEP_1)
	v_div_scale_f64 v[2:3], null, v[0:1], v[0:1], 1.0
	v_rcp_f64_e32 v[7:8], v[2:3]
	s_waitcnt_depctr 0xfff
	v_fma_f64 v[9:10], -v[2:3], v[7:8], 1.0
	s_delay_alu instid0(VALU_DEP_1) | instskip(NEXT) | instid1(VALU_DEP_1)
	v_fma_f64 v[7:8], v[7:8], v[9:10], v[7:8]
	v_fma_f64 v[9:10], -v[2:3], v[7:8], 1.0
	s_delay_alu instid0(VALU_DEP_1) | instskip(SKIP_1) | instid1(VALU_DEP_1)
	v_fma_f64 v[7:8], v[7:8], v[9:10], v[7:8]
	v_div_scale_f64 v[9:10], vcc_lo, 1.0, v[0:1], 1.0
	v_mul_f64 v[11:12], v[9:10], v[7:8]
	s_delay_alu instid0(VALU_DEP_1) | instskip(NEXT) | instid1(VALU_DEP_1)
	v_fma_f64 v[2:3], -v[2:3], v[11:12], v[9:10]
	v_div_fmas_f64 v[2:3], v[2:3], v[7:8], v[11:12]
	s_delay_alu instid0(VALU_DEP_1) | instskip(NEXT) | instid1(VALU_DEP_1)
	v_div_fixup_f64 v[0:1], v[2:3], v[0:1], 1.0
	v_mul_f64 v[2:3], v[5:6], -v[0:1]
.LBB126_1363:
	s_or_b32 exec_lo, exec_lo, s2
.LBB126_1364:
	s_delay_alu instid0(SALU_CYCLE_1) | instskip(NEXT) | instid1(SALU_CYCLE_1)
	s_or_b32 exec_lo, exec_lo, s3
	s_mov_b32 s2, exec_lo
	v_cmpx_ne_u32_e64 v41, v4
	s_xor_b32 s2, exec_lo, s2
	s_cbranch_execz .LBB126_1370
; %bb.1365:
	s_mov_b32 s3, exec_lo
	v_cmpx_eq_u32_e32 58, v41
	s_cbranch_execz .LBB126_1369
; %bb.1366:
	v_cmp_ne_u32_e32 vcc_lo, 58, v4
	s_xor_b32 s6, s4, -1
	s_delay_alu instid0(SALU_CYCLE_1) | instskip(NEXT) | instid1(SALU_CYCLE_1)
	s_and_b32 s7, s6, vcc_lo
	s_and_saveexec_b32 s6, s7
	s_cbranch_execz .LBB126_1368
; %bb.1367:
	v_ashrrev_i32_e32 v5, 31, v4
	s_delay_alu instid0(VALU_DEP_1) | instskip(NEXT) | instid1(VALU_DEP_1)
	v_lshlrev_b64 v[5:6], 2, v[4:5]
	v_add_co_u32 v5, vcc_lo, v250, v5
	s_delay_alu instid0(VALU_DEP_2)
	v_add_co_ci_u32_e32 v6, vcc_lo, v251, v6, vcc_lo
	s_clause 0x1
	flat_load_b32 v7, v[5:6]
	flat_load_b32 v8, v[250:251] offset:232
	s_waitcnt vmcnt(1) lgkmcnt(1)
	flat_store_b32 v[250:251], v7 offset:232
	s_waitcnt vmcnt(0) lgkmcnt(1)
	flat_store_b32 v[5:6], v8
.LBB126_1368:
	s_or_b32 exec_lo, exec_lo, s6
	v_mov_b32_e32 v41, v4
	v_mov_b32_e32 v39, v4
.LBB126_1369:
	s_or_b32 exec_lo, exec_lo, s3
.LBB126_1370:
	s_and_not1_saveexec_b32 s2, s2
	s_cbranch_execz .LBB126_1372
; %bb.1371:
	s_clause 0x4
	scratch_load_b128 v[4:7], v167, off
	scratch_load_b128 v[8:11], v162, off
	scratch_load_b128 v[12:15], v165, off
	scratch_load_b128 v[42:45], v255, off
	scratch_load_b128 v[49:52], v163, off
	v_mov_b32_e32 v41, 58
	s_waitcnt vmcnt(4)
	ds_store_2addr_b64 v36, v[4:5], v[6:7] offset0:118 offset1:119
	s_waitcnt vmcnt(3)
	ds_store_2addr_b64 v36, v[8:9], v[10:11] offset0:120 offset1:121
	;; [unrolled: 2-line block ×5, first 2 shown]
.LBB126_1372:
	s_or_b32 exec_lo, exec_lo, s2
	s_delay_alu instid0(SALU_CYCLE_1)
	s_mov_b32 s2, exec_lo
	s_waitcnt lgkmcnt(0)
	s_waitcnt_vscnt null, 0x0
	s_barrier
	buffer_gl0_inv
	v_cmpx_lt_i32_e32 58, v41
	s_cbranch_execz .LBB126_1374
; %bb.1373:
	s_clause 0x5
	scratch_load_b128 v[4:7], off, off offset:928
	scratch_load_b128 v[8:11], off, off offset:944
	;; [unrolled: 1-line block ×6, first 2 shown]
	ds_load_2addr_b64 v[65:68], v36 offset0:118 offset1:119
	ds_load_2addr_b64 v[69:72], v36 offset0:120 offset1:121
	;; [unrolled: 1-line block ×5, first 2 shown]
	s_waitcnt vmcnt(5)
	v_mul_f64 v[16:17], v[0:1], v[6:7]
	v_mul_f64 v[6:7], v[2:3], v[6:7]
	s_delay_alu instid0(VALU_DEP_2) | instskip(NEXT) | instid1(VALU_DEP_2)
	v_fma_f64 v[2:3], v[2:3], v[4:5], v[16:17]
	v_fma_f64 v[0:1], v[0:1], v[4:5], -v[6:7]
	s_waitcnt lgkmcnt(4)
	s_delay_alu instid0(VALU_DEP_2)
	v_mul_f64 v[4:5], v[67:68], v[2:3]
	v_mul_f64 v[6:7], v[65:66], v[2:3]
	s_waitcnt lgkmcnt(3)
	v_mul_f64 v[16:17], v[71:72], v[2:3]
	v_mul_f64 v[18:19], v[69:70], v[2:3]
	s_waitcnt lgkmcnt(2)
	;; [unrolled: 3-line block ×4, first 2 shown]
	v_mul_f64 v[89:90], v[87:88], v[2:3]
	v_mul_f64 v[91:92], v[85:86], v[2:3]
	v_fma_f64 v[4:5], v[65:66], v[0:1], -v[4:5]
	v_fma_f64 v[6:7], v[67:68], v[0:1], v[6:7]
	v_fma_f64 v[16:17], v[69:70], v[0:1], -v[16:17]
	v_fma_f64 v[18:19], v[71:72], v[0:1], v[18:19]
	;; [unrolled: 2-line block ×5, first 2 shown]
	s_waitcnt vmcnt(4)
	v_add_f64 v[4:5], v[8:9], -v[4:5]
	v_add_f64 v[6:7], v[10:11], -v[6:7]
	s_waitcnt vmcnt(3)
	v_add_f64 v[8:9], v[12:13], -v[16:17]
	v_add_f64 v[10:11], v[14:15], -v[18:19]
	;; [unrolled: 3-line block ×5, first 2 shown]
	s_clause 0x5
	scratch_store_b128 off, v[0:3], off offset:928
	scratch_store_b128 off, v[4:7], off offset:944
	;; [unrolled: 1-line block ×6, first 2 shown]
.LBB126_1374:
	s_or_b32 exec_lo, exec_lo, s2
	s_waitcnt_vscnt null, 0x0
	s_barrier
	buffer_gl0_inv
	scratch_load_b128 v[0:3], v167, off
	v_lshl_add_u32 v4, v41, 4, v36
	s_cmp_lt_i32 s5, 61
	s_waitcnt vmcnt(0)
	ds_store_2addr_b64 v4, v[0:1], v[2:3] offset1:1
	s_waitcnt lgkmcnt(0)
	s_barrier
	buffer_gl0_inv
	ds_load_2addr_b64 v[0:3], v36 offset0:118 offset1:119
	v_mov_b32_e32 v4, 59
	s_cbranch_scc1 .LBB126_1377
; %bb.1375:
	v_add3_u32 v5, v38, 0, 0x3c0
	v_mov_b32_e32 v4, 59
	s_mov_b32 s6, 60
	s_set_inst_prefetch_distance 0x1
	.p2align	6
.LBB126_1376:                           ; =>This Inner Loop Header: Depth=1
	ds_load_2addr_b64 v[6:9], v5 offset1:1
	s_waitcnt lgkmcnt(1)
	v_cmp_gt_f64_e32 vcc_lo, 0, v[0:1]
	v_xor_b32_e32 v10, 0x80000000, v1
	v_cmp_gt_f64_e64 s2, 0, v[2:3]
	v_xor_b32_e32 v12, 0x80000000, v3
	v_add_nc_u32_e32 v5, 16, v5
	s_waitcnt lgkmcnt(0)
	v_cmp_gt_f64_e64 s3, 0, v[6:7]
	v_mov_b32_e32 v14, v6
	v_dual_mov_b32 v16, v8 :: v_dual_cndmask_b32 v11, v1, v10
	v_xor_b32_e32 v10, 0x80000000, v7
	v_cndmask_b32_e64 v13, v3, v12, s2
	v_xor_b32_e32 v12, 0x80000000, v9
	s_delay_alu instid0(VALU_DEP_3) | instskip(SKIP_2) | instid1(VALU_DEP_2)
	v_cndmask_b32_e64 v15, v7, v10, s3
	v_cmp_gt_f64_e64 s3, 0, v[8:9]
	v_cndmask_b32_e32 v10, v0, v0, vcc_lo
	v_cndmask_b32_e64 v17, v9, v12, s3
	v_cndmask_b32_e64 v12, v2, v2, s2
	s_delay_alu instid0(VALU_DEP_2) | instskip(NEXT) | instid1(VALU_DEP_2)
	v_add_f64 v[14:15], v[14:15], v[16:17]
	v_add_f64 v[10:11], v[10:11], v[12:13]
	s_delay_alu instid0(VALU_DEP_1)
	v_cmp_lt_f64_e32 vcc_lo, v[10:11], v[14:15]
	v_cndmask_b32_e32 v3, v3, v9, vcc_lo
	v_dual_cndmask_b32 v1, v1, v7 :: v_dual_cndmask_b32 v0, v0, v6
	v_cndmask_b32_e32 v2, v2, v8, vcc_lo
	v_cndmask_b32_e64 v4, v4, s6, vcc_lo
	s_add_i32 s6, s6, 1
	s_delay_alu instid0(SALU_CYCLE_1)
	s_cmp_lg_u32 s5, s6
	s_cbranch_scc1 .LBB126_1376
.LBB126_1377:
	s_set_inst_prefetch_distance 0x2
	s_waitcnt lgkmcnt(0)
	v_cmp_eq_f64_e32 vcc_lo, 0, v[0:1]
	v_cmp_eq_f64_e64 s2, 0, v[2:3]
	s_delay_alu instid0(VALU_DEP_1) | instskip(NEXT) | instid1(SALU_CYCLE_1)
	s_and_b32 s2, vcc_lo, s2
	s_and_saveexec_b32 s3, s2
	s_delay_alu instid0(SALU_CYCLE_1)
	s_xor_b32 s2, exec_lo, s3
; %bb.1378:
	v_cmp_ne_u32_e32 vcc_lo, 0, v37
	v_cndmask_b32_e32 v37, 60, v37, vcc_lo
; %bb.1379:
	s_and_not1_saveexec_b32 s3, s2
	s_cbranch_execz .LBB126_1385
; %bb.1380:
	v_cmp_gt_f64_e32 vcc_lo, 0, v[0:1]
	v_cmp_gt_f64_e64 s2, 0, v[2:3]
	v_xor_b32_e32 v5, 0x80000000, v1
	v_xor_b32_e32 v7, 0x80000000, v3
	s_delay_alu instid0(VALU_DEP_2) | instskip(NEXT) | instid1(VALU_DEP_2)
	v_dual_cndmask_b32 v6, v1, v5 :: v_dual_cndmask_b32 v5, v0, v0
	v_cndmask_b32_e64 v8, v3, v7, s2
	v_cndmask_b32_e64 v7, v2, v2, s2
	s_mov_b32 s2, exec_lo
	s_delay_alu instid0(VALU_DEP_1)
	v_cmpx_ngt_f64_e32 v[5:6], v[7:8]
	s_xor_b32 s2, exec_lo, s2
	s_cbranch_execz .LBB126_1382
; %bb.1381:
	v_div_scale_f64 v[5:6], null, v[2:3], v[2:3], v[0:1]
	v_div_scale_f64 v[11:12], vcc_lo, v[0:1], v[2:3], v[0:1]
	s_delay_alu instid0(VALU_DEP_2) | instskip(SKIP_2) | instid1(VALU_DEP_1)
	v_rcp_f64_e32 v[7:8], v[5:6]
	s_waitcnt_depctr 0xfff
	v_fma_f64 v[9:10], -v[5:6], v[7:8], 1.0
	v_fma_f64 v[7:8], v[7:8], v[9:10], v[7:8]
	s_delay_alu instid0(VALU_DEP_1) | instskip(NEXT) | instid1(VALU_DEP_1)
	v_fma_f64 v[9:10], -v[5:6], v[7:8], 1.0
	v_fma_f64 v[7:8], v[7:8], v[9:10], v[7:8]
	s_delay_alu instid0(VALU_DEP_1) | instskip(NEXT) | instid1(VALU_DEP_1)
	v_mul_f64 v[9:10], v[11:12], v[7:8]
	v_fma_f64 v[5:6], -v[5:6], v[9:10], v[11:12]
	s_delay_alu instid0(VALU_DEP_1) | instskip(NEXT) | instid1(VALU_DEP_1)
	v_div_fmas_f64 v[5:6], v[5:6], v[7:8], v[9:10]
	v_div_fixup_f64 v[5:6], v[5:6], v[2:3], v[0:1]
	s_delay_alu instid0(VALU_DEP_1) | instskip(NEXT) | instid1(VALU_DEP_1)
	v_fma_f64 v[0:1], v[0:1], v[5:6], v[2:3]
	v_div_scale_f64 v[2:3], null, v[0:1], v[0:1], 1.0
	s_delay_alu instid0(VALU_DEP_1) | instskip(SKIP_2) | instid1(VALU_DEP_1)
	v_rcp_f64_e32 v[7:8], v[2:3]
	s_waitcnt_depctr 0xfff
	v_fma_f64 v[9:10], -v[2:3], v[7:8], 1.0
	v_fma_f64 v[7:8], v[7:8], v[9:10], v[7:8]
	s_delay_alu instid0(VALU_DEP_1) | instskip(NEXT) | instid1(VALU_DEP_1)
	v_fma_f64 v[9:10], -v[2:3], v[7:8], 1.0
	v_fma_f64 v[7:8], v[7:8], v[9:10], v[7:8]
	v_div_scale_f64 v[9:10], vcc_lo, 1.0, v[0:1], 1.0
	s_delay_alu instid0(VALU_DEP_1) | instskip(NEXT) | instid1(VALU_DEP_1)
	v_mul_f64 v[11:12], v[9:10], v[7:8]
	v_fma_f64 v[2:3], -v[2:3], v[11:12], v[9:10]
	s_delay_alu instid0(VALU_DEP_1) | instskip(NEXT) | instid1(VALU_DEP_1)
	v_div_fmas_f64 v[2:3], v[2:3], v[7:8], v[11:12]
	v_div_fixup_f64 v[2:3], v[2:3], v[0:1], 1.0
	s_delay_alu instid0(VALU_DEP_1)
	v_mul_f64 v[0:1], v[5:6], v[2:3]
	v_xor_b32_e32 v3, 0x80000000, v3
.LBB126_1382:
	s_and_not1_saveexec_b32 s2, s2
	s_cbranch_execz .LBB126_1384
; %bb.1383:
	s_delay_alu instid0(VALU_DEP_1) | instskip(SKIP_1) | instid1(VALU_DEP_2)
	v_div_scale_f64 v[5:6], null, v[0:1], v[0:1], v[2:3]
	v_div_scale_f64 v[11:12], vcc_lo, v[2:3], v[0:1], v[2:3]
	v_rcp_f64_e32 v[7:8], v[5:6]
	s_waitcnt_depctr 0xfff
	v_fma_f64 v[9:10], -v[5:6], v[7:8], 1.0
	s_delay_alu instid0(VALU_DEP_1) | instskip(NEXT) | instid1(VALU_DEP_1)
	v_fma_f64 v[7:8], v[7:8], v[9:10], v[7:8]
	v_fma_f64 v[9:10], -v[5:6], v[7:8], 1.0
	s_delay_alu instid0(VALU_DEP_1) | instskip(NEXT) | instid1(VALU_DEP_1)
	v_fma_f64 v[7:8], v[7:8], v[9:10], v[7:8]
	v_mul_f64 v[9:10], v[11:12], v[7:8]
	s_delay_alu instid0(VALU_DEP_1) | instskip(NEXT) | instid1(VALU_DEP_1)
	v_fma_f64 v[5:6], -v[5:6], v[9:10], v[11:12]
	v_div_fmas_f64 v[5:6], v[5:6], v[7:8], v[9:10]
	s_delay_alu instid0(VALU_DEP_1) | instskip(NEXT) | instid1(VALU_DEP_1)
	v_div_fixup_f64 v[5:6], v[5:6], v[0:1], v[2:3]
	v_fma_f64 v[0:1], v[2:3], v[5:6], v[0:1]
	s_delay_alu instid0(VALU_DEP_1) | instskip(NEXT) | instid1(VALU_DEP_1)
	v_div_scale_f64 v[2:3], null, v[0:1], v[0:1], 1.0
	v_rcp_f64_e32 v[7:8], v[2:3]
	s_waitcnt_depctr 0xfff
	v_fma_f64 v[9:10], -v[2:3], v[7:8], 1.0
	s_delay_alu instid0(VALU_DEP_1) | instskip(NEXT) | instid1(VALU_DEP_1)
	v_fma_f64 v[7:8], v[7:8], v[9:10], v[7:8]
	v_fma_f64 v[9:10], -v[2:3], v[7:8], 1.0
	s_delay_alu instid0(VALU_DEP_1) | instskip(SKIP_1) | instid1(VALU_DEP_1)
	v_fma_f64 v[7:8], v[7:8], v[9:10], v[7:8]
	v_div_scale_f64 v[9:10], vcc_lo, 1.0, v[0:1], 1.0
	v_mul_f64 v[11:12], v[9:10], v[7:8]
	s_delay_alu instid0(VALU_DEP_1) | instskip(NEXT) | instid1(VALU_DEP_1)
	v_fma_f64 v[2:3], -v[2:3], v[11:12], v[9:10]
	v_div_fmas_f64 v[2:3], v[2:3], v[7:8], v[11:12]
	s_delay_alu instid0(VALU_DEP_1) | instskip(NEXT) | instid1(VALU_DEP_1)
	v_div_fixup_f64 v[0:1], v[2:3], v[0:1], 1.0
	v_mul_f64 v[2:3], v[5:6], -v[0:1]
.LBB126_1384:
	s_or_b32 exec_lo, exec_lo, s2
.LBB126_1385:
	s_delay_alu instid0(SALU_CYCLE_1) | instskip(NEXT) | instid1(SALU_CYCLE_1)
	s_or_b32 exec_lo, exec_lo, s3
	s_mov_b32 s2, exec_lo
	v_cmpx_ne_u32_e64 v41, v4
	s_xor_b32 s2, exec_lo, s2
	s_cbranch_execz .LBB126_1391
; %bb.1386:
	s_mov_b32 s3, exec_lo
	v_cmpx_eq_u32_e32 59, v41
	s_cbranch_execz .LBB126_1390
; %bb.1387:
	v_cmp_ne_u32_e32 vcc_lo, 59, v4
	s_xor_b32 s6, s4, -1
	s_delay_alu instid0(SALU_CYCLE_1) | instskip(NEXT) | instid1(SALU_CYCLE_1)
	s_and_b32 s7, s6, vcc_lo
	s_and_saveexec_b32 s6, s7
	s_cbranch_execz .LBB126_1389
; %bb.1388:
	v_ashrrev_i32_e32 v5, 31, v4
	s_delay_alu instid0(VALU_DEP_1) | instskip(NEXT) | instid1(VALU_DEP_1)
	v_lshlrev_b64 v[5:6], 2, v[4:5]
	v_add_co_u32 v5, vcc_lo, v250, v5
	s_delay_alu instid0(VALU_DEP_2)
	v_add_co_ci_u32_e32 v6, vcc_lo, v251, v6, vcc_lo
	s_clause 0x1
	flat_load_b32 v7, v[5:6]
	flat_load_b32 v8, v[250:251] offset:236
	s_waitcnt vmcnt(1) lgkmcnt(1)
	flat_store_b32 v[250:251], v7 offset:236
	s_waitcnt vmcnt(0) lgkmcnt(1)
	flat_store_b32 v[5:6], v8
.LBB126_1389:
	s_or_b32 exec_lo, exec_lo, s6
	v_mov_b32_e32 v41, v4
	v_mov_b32_e32 v39, v4
.LBB126_1390:
	s_or_b32 exec_lo, exec_lo, s3
.LBB126_1391:
	s_and_not1_saveexec_b32 s2, s2
	s_cbranch_execz .LBB126_1393
; %bb.1392:
	s_clause 0x3
	scratch_load_b128 v[4:7], v162, off
	scratch_load_b128 v[8:11], v165, off
	;; [unrolled: 1-line block ×4, first 2 shown]
	v_mov_b32_e32 v41, 59
	s_waitcnt vmcnt(3)
	ds_store_2addr_b64 v36, v[4:5], v[6:7] offset0:120 offset1:121
	s_waitcnt vmcnt(2)
	ds_store_2addr_b64 v36, v[8:9], v[10:11] offset0:122 offset1:123
	;; [unrolled: 2-line block ×4, first 2 shown]
.LBB126_1393:
	s_or_b32 exec_lo, exec_lo, s2
	s_delay_alu instid0(SALU_CYCLE_1)
	s_mov_b32 s2, exec_lo
	s_waitcnt lgkmcnt(0)
	s_waitcnt_vscnt null, 0x0
	s_barrier
	buffer_gl0_inv
	v_cmpx_lt_i32_e32 59, v41
	s_cbranch_execz .LBB126_1395
; %bb.1394:
	s_clause 0x4
	scratch_load_b128 v[4:7], off, off offset:944
	scratch_load_b128 v[8:11], off, off offset:960
	;; [unrolled: 1-line block ×5, first 2 shown]
	ds_load_2addr_b64 v[53:56], v36 offset0:120 offset1:121
	ds_load_2addr_b64 v[65:68], v36 offset0:122 offset1:123
	;; [unrolled: 1-line block ×4, first 2 shown]
	s_waitcnt vmcnt(4)
	v_mul_f64 v[16:17], v[0:1], v[6:7]
	v_mul_f64 v[6:7], v[2:3], v[6:7]
	s_delay_alu instid0(VALU_DEP_2) | instskip(NEXT) | instid1(VALU_DEP_2)
	v_fma_f64 v[2:3], v[2:3], v[4:5], v[16:17]
	v_fma_f64 v[0:1], v[0:1], v[4:5], -v[6:7]
	s_waitcnt lgkmcnt(3)
	s_delay_alu instid0(VALU_DEP_2)
	v_mul_f64 v[4:5], v[55:56], v[2:3]
	v_mul_f64 v[6:7], v[53:54], v[2:3]
	s_waitcnt lgkmcnt(2)
	v_mul_f64 v[16:17], v[67:68], v[2:3]
	v_mul_f64 v[18:19], v[65:66], v[2:3]
	s_waitcnt lgkmcnt(1)
	;; [unrolled: 3-line block ×3, first 2 shown]
	v_mul_f64 v[61:62], v[79:80], v[2:3]
	v_mul_f64 v[73:74], v[77:78], v[2:3]
	v_fma_f64 v[4:5], v[53:54], v[0:1], -v[4:5]
	v_fma_f64 v[6:7], v[55:56], v[0:1], v[6:7]
	v_fma_f64 v[16:17], v[65:66], v[0:1], -v[16:17]
	v_fma_f64 v[18:19], v[67:68], v[0:1], v[18:19]
	;; [unrolled: 2-line block ×4, first 2 shown]
	s_waitcnt vmcnt(3)
	v_add_f64 v[4:5], v[8:9], -v[4:5]
	v_add_f64 v[6:7], v[10:11], -v[6:7]
	s_waitcnt vmcnt(2)
	v_add_f64 v[8:9], v[12:13], -v[16:17]
	v_add_f64 v[10:11], v[14:15], -v[18:19]
	;; [unrolled: 3-line block ×4, first 2 shown]
	s_clause 0x4
	scratch_store_b128 off, v[0:3], off offset:944
	scratch_store_b128 off, v[4:7], off offset:960
	;; [unrolled: 1-line block ×5, first 2 shown]
.LBB126_1395:
	s_or_b32 exec_lo, exec_lo, s2
	s_waitcnt_vscnt null, 0x0
	s_barrier
	buffer_gl0_inv
	scratch_load_b128 v[0:3], v162, off
	v_lshl_add_u32 v4, v41, 4, v36
	s_cmp_lt_i32 s5, 62
	s_waitcnt vmcnt(0)
	ds_store_2addr_b64 v4, v[0:1], v[2:3] offset1:1
	s_waitcnt lgkmcnt(0)
	s_barrier
	buffer_gl0_inv
	ds_load_2addr_b64 v[0:3], v36 offset0:120 offset1:121
	v_mov_b32_e32 v4, 60
	s_cbranch_scc1 .LBB126_1398
; %bb.1396:
	v_add3_u32 v5, v38, 0, 0x3d0
	v_mov_b32_e32 v4, 60
	s_mov_b32 s6, 61
	s_set_inst_prefetch_distance 0x1
	.p2align	6
.LBB126_1397:                           ; =>This Inner Loop Header: Depth=1
	ds_load_2addr_b64 v[6:9], v5 offset1:1
	s_waitcnt lgkmcnt(1)
	v_cmp_gt_f64_e32 vcc_lo, 0, v[0:1]
	v_xor_b32_e32 v10, 0x80000000, v1
	v_cmp_gt_f64_e64 s2, 0, v[2:3]
	v_xor_b32_e32 v12, 0x80000000, v3
	v_add_nc_u32_e32 v5, 16, v5
	s_waitcnt lgkmcnt(0)
	v_cmp_gt_f64_e64 s3, 0, v[6:7]
	v_mov_b32_e32 v14, v6
	v_dual_mov_b32 v16, v8 :: v_dual_cndmask_b32 v11, v1, v10
	v_xor_b32_e32 v10, 0x80000000, v7
	v_cndmask_b32_e64 v13, v3, v12, s2
	v_xor_b32_e32 v12, 0x80000000, v9
	s_delay_alu instid0(VALU_DEP_3) | instskip(SKIP_2) | instid1(VALU_DEP_2)
	v_cndmask_b32_e64 v15, v7, v10, s3
	v_cmp_gt_f64_e64 s3, 0, v[8:9]
	v_cndmask_b32_e32 v10, v0, v0, vcc_lo
	v_cndmask_b32_e64 v17, v9, v12, s3
	v_cndmask_b32_e64 v12, v2, v2, s2
	s_delay_alu instid0(VALU_DEP_2) | instskip(NEXT) | instid1(VALU_DEP_2)
	v_add_f64 v[14:15], v[14:15], v[16:17]
	v_add_f64 v[10:11], v[10:11], v[12:13]
	s_delay_alu instid0(VALU_DEP_1)
	v_cmp_lt_f64_e32 vcc_lo, v[10:11], v[14:15]
	v_cndmask_b32_e32 v3, v3, v9, vcc_lo
	v_dual_cndmask_b32 v1, v1, v7 :: v_dual_cndmask_b32 v0, v0, v6
	v_cndmask_b32_e32 v2, v2, v8, vcc_lo
	v_cndmask_b32_e64 v4, v4, s6, vcc_lo
	s_add_i32 s6, s6, 1
	s_delay_alu instid0(SALU_CYCLE_1)
	s_cmp_lg_u32 s5, s6
	s_cbranch_scc1 .LBB126_1397
.LBB126_1398:
	s_set_inst_prefetch_distance 0x2
	s_waitcnt lgkmcnt(0)
	v_cmp_eq_f64_e32 vcc_lo, 0, v[0:1]
	v_cmp_eq_f64_e64 s2, 0, v[2:3]
	s_delay_alu instid0(VALU_DEP_1) | instskip(NEXT) | instid1(SALU_CYCLE_1)
	s_and_b32 s2, vcc_lo, s2
	s_and_saveexec_b32 s3, s2
	s_delay_alu instid0(SALU_CYCLE_1)
	s_xor_b32 s2, exec_lo, s3
; %bb.1399:
	v_cmp_ne_u32_e32 vcc_lo, 0, v37
	v_cndmask_b32_e32 v37, 61, v37, vcc_lo
; %bb.1400:
	s_and_not1_saveexec_b32 s3, s2
	s_cbranch_execz .LBB126_1406
; %bb.1401:
	v_cmp_gt_f64_e32 vcc_lo, 0, v[0:1]
	v_cmp_gt_f64_e64 s2, 0, v[2:3]
	v_xor_b32_e32 v5, 0x80000000, v1
	v_xor_b32_e32 v7, 0x80000000, v3
	s_delay_alu instid0(VALU_DEP_2) | instskip(NEXT) | instid1(VALU_DEP_2)
	v_dual_cndmask_b32 v6, v1, v5 :: v_dual_cndmask_b32 v5, v0, v0
	v_cndmask_b32_e64 v8, v3, v7, s2
	v_cndmask_b32_e64 v7, v2, v2, s2
	s_mov_b32 s2, exec_lo
	s_delay_alu instid0(VALU_DEP_1)
	v_cmpx_ngt_f64_e32 v[5:6], v[7:8]
	s_xor_b32 s2, exec_lo, s2
	s_cbranch_execz .LBB126_1403
; %bb.1402:
	v_div_scale_f64 v[5:6], null, v[2:3], v[2:3], v[0:1]
	v_div_scale_f64 v[11:12], vcc_lo, v[0:1], v[2:3], v[0:1]
	s_delay_alu instid0(VALU_DEP_2) | instskip(SKIP_2) | instid1(VALU_DEP_1)
	v_rcp_f64_e32 v[7:8], v[5:6]
	s_waitcnt_depctr 0xfff
	v_fma_f64 v[9:10], -v[5:6], v[7:8], 1.0
	v_fma_f64 v[7:8], v[7:8], v[9:10], v[7:8]
	s_delay_alu instid0(VALU_DEP_1) | instskip(NEXT) | instid1(VALU_DEP_1)
	v_fma_f64 v[9:10], -v[5:6], v[7:8], 1.0
	v_fma_f64 v[7:8], v[7:8], v[9:10], v[7:8]
	s_delay_alu instid0(VALU_DEP_1) | instskip(NEXT) | instid1(VALU_DEP_1)
	v_mul_f64 v[9:10], v[11:12], v[7:8]
	v_fma_f64 v[5:6], -v[5:6], v[9:10], v[11:12]
	s_delay_alu instid0(VALU_DEP_1) | instskip(NEXT) | instid1(VALU_DEP_1)
	v_div_fmas_f64 v[5:6], v[5:6], v[7:8], v[9:10]
	v_div_fixup_f64 v[5:6], v[5:6], v[2:3], v[0:1]
	s_delay_alu instid0(VALU_DEP_1) | instskip(NEXT) | instid1(VALU_DEP_1)
	v_fma_f64 v[0:1], v[0:1], v[5:6], v[2:3]
	v_div_scale_f64 v[2:3], null, v[0:1], v[0:1], 1.0
	s_delay_alu instid0(VALU_DEP_1) | instskip(SKIP_2) | instid1(VALU_DEP_1)
	v_rcp_f64_e32 v[7:8], v[2:3]
	s_waitcnt_depctr 0xfff
	v_fma_f64 v[9:10], -v[2:3], v[7:8], 1.0
	v_fma_f64 v[7:8], v[7:8], v[9:10], v[7:8]
	s_delay_alu instid0(VALU_DEP_1) | instskip(NEXT) | instid1(VALU_DEP_1)
	v_fma_f64 v[9:10], -v[2:3], v[7:8], 1.0
	v_fma_f64 v[7:8], v[7:8], v[9:10], v[7:8]
	v_div_scale_f64 v[9:10], vcc_lo, 1.0, v[0:1], 1.0
	s_delay_alu instid0(VALU_DEP_1) | instskip(NEXT) | instid1(VALU_DEP_1)
	v_mul_f64 v[11:12], v[9:10], v[7:8]
	v_fma_f64 v[2:3], -v[2:3], v[11:12], v[9:10]
	s_delay_alu instid0(VALU_DEP_1) | instskip(NEXT) | instid1(VALU_DEP_1)
	v_div_fmas_f64 v[2:3], v[2:3], v[7:8], v[11:12]
	v_div_fixup_f64 v[2:3], v[2:3], v[0:1], 1.0
	s_delay_alu instid0(VALU_DEP_1)
	v_mul_f64 v[0:1], v[5:6], v[2:3]
	v_xor_b32_e32 v3, 0x80000000, v3
.LBB126_1403:
	s_and_not1_saveexec_b32 s2, s2
	s_cbranch_execz .LBB126_1405
; %bb.1404:
	s_delay_alu instid0(VALU_DEP_1) | instskip(SKIP_1) | instid1(VALU_DEP_2)
	v_div_scale_f64 v[5:6], null, v[0:1], v[0:1], v[2:3]
	v_div_scale_f64 v[11:12], vcc_lo, v[2:3], v[0:1], v[2:3]
	v_rcp_f64_e32 v[7:8], v[5:6]
	s_waitcnt_depctr 0xfff
	v_fma_f64 v[9:10], -v[5:6], v[7:8], 1.0
	s_delay_alu instid0(VALU_DEP_1) | instskip(NEXT) | instid1(VALU_DEP_1)
	v_fma_f64 v[7:8], v[7:8], v[9:10], v[7:8]
	v_fma_f64 v[9:10], -v[5:6], v[7:8], 1.0
	s_delay_alu instid0(VALU_DEP_1) | instskip(NEXT) | instid1(VALU_DEP_1)
	v_fma_f64 v[7:8], v[7:8], v[9:10], v[7:8]
	v_mul_f64 v[9:10], v[11:12], v[7:8]
	s_delay_alu instid0(VALU_DEP_1) | instskip(NEXT) | instid1(VALU_DEP_1)
	v_fma_f64 v[5:6], -v[5:6], v[9:10], v[11:12]
	v_div_fmas_f64 v[5:6], v[5:6], v[7:8], v[9:10]
	s_delay_alu instid0(VALU_DEP_1) | instskip(NEXT) | instid1(VALU_DEP_1)
	v_div_fixup_f64 v[5:6], v[5:6], v[0:1], v[2:3]
	v_fma_f64 v[0:1], v[2:3], v[5:6], v[0:1]
	s_delay_alu instid0(VALU_DEP_1) | instskip(NEXT) | instid1(VALU_DEP_1)
	v_div_scale_f64 v[2:3], null, v[0:1], v[0:1], 1.0
	v_rcp_f64_e32 v[7:8], v[2:3]
	s_waitcnt_depctr 0xfff
	v_fma_f64 v[9:10], -v[2:3], v[7:8], 1.0
	s_delay_alu instid0(VALU_DEP_1) | instskip(NEXT) | instid1(VALU_DEP_1)
	v_fma_f64 v[7:8], v[7:8], v[9:10], v[7:8]
	v_fma_f64 v[9:10], -v[2:3], v[7:8], 1.0
	s_delay_alu instid0(VALU_DEP_1) | instskip(SKIP_1) | instid1(VALU_DEP_1)
	v_fma_f64 v[7:8], v[7:8], v[9:10], v[7:8]
	v_div_scale_f64 v[9:10], vcc_lo, 1.0, v[0:1], 1.0
	v_mul_f64 v[11:12], v[9:10], v[7:8]
	s_delay_alu instid0(VALU_DEP_1) | instskip(NEXT) | instid1(VALU_DEP_1)
	v_fma_f64 v[2:3], -v[2:3], v[11:12], v[9:10]
	v_div_fmas_f64 v[2:3], v[2:3], v[7:8], v[11:12]
	s_delay_alu instid0(VALU_DEP_1) | instskip(NEXT) | instid1(VALU_DEP_1)
	v_div_fixup_f64 v[0:1], v[2:3], v[0:1], 1.0
	v_mul_f64 v[2:3], v[5:6], -v[0:1]
.LBB126_1405:
	s_or_b32 exec_lo, exec_lo, s2
.LBB126_1406:
	s_delay_alu instid0(SALU_CYCLE_1) | instskip(NEXT) | instid1(SALU_CYCLE_1)
	s_or_b32 exec_lo, exec_lo, s3
	s_mov_b32 s2, exec_lo
	v_cmpx_ne_u32_e64 v41, v4
	s_xor_b32 s2, exec_lo, s2
	s_cbranch_execz .LBB126_1412
; %bb.1407:
	s_mov_b32 s3, exec_lo
	v_cmpx_eq_u32_e32 60, v41
	s_cbranch_execz .LBB126_1411
; %bb.1408:
	v_cmp_ne_u32_e32 vcc_lo, 60, v4
	s_xor_b32 s6, s4, -1
	s_delay_alu instid0(SALU_CYCLE_1) | instskip(NEXT) | instid1(SALU_CYCLE_1)
	s_and_b32 s7, s6, vcc_lo
	s_and_saveexec_b32 s6, s7
	s_cbranch_execz .LBB126_1410
; %bb.1409:
	v_ashrrev_i32_e32 v5, 31, v4
	s_delay_alu instid0(VALU_DEP_1) | instskip(NEXT) | instid1(VALU_DEP_1)
	v_lshlrev_b64 v[5:6], 2, v[4:5]
	v_add_co_u32 v5, vcc_lo, v250, v5
	s_delay_alu instid0(VALU_DEP_2)
	v_add_co_ci_u32_e32 v6, vcc_lo, v251, v6, vcc_lo
	s_clause 0x1
	flat_load_b32 v7, v[5:6]
	flat_load_b32 v8, v[250:251] offset:240
	s_waitcnt vmcnt(1) lgkmcnt(1)
	flat_store_b32 v[250:251], v7 offset:240
	s_waitcnt vmcnt(0) lgkmcnt(1)
	flat_store_b32 v[5:6], v8
.LBB126_1410:
	s_or_b32 exec_lo, exec_lo, s6
	v_mov_b32_e32 v41, v4
	v_mov_b32_e32 v39, v4
.LBB126_1411:
	s_or_b32 exec_lo, exec_lo, s3
.LBB126_1412:
	s_and_not1_saveexec_b32 s2, s2
	s_cbranch_execz .LBB126_1414
; %bb.1413:
	s_clause 0x2
	scratch_load_b128 v[4:7], v165, off
	scratch_load_b128 v[8:11], v255, off
	;; [unrolled: 1-line block ×3, first 2 shown]
	v_mov_b32_e32 v41, 60
	s_waitcnt vmcnt(2)
	ds_store_2addr_b64 v36, v[4:5], v[6:7] offset0:122 offset1:123
	s_waitcnt vmcnt(1)
	ds_store_2addr_b64 v36, v[8:9], v[10:11] offset0:124 offset1:125
	;; [unrolled: 2-line block ×3, first 2 shown]
.LBB126_1414:
	s_or_b32 exec_lo, exec_lo, s2
	s_delay_alu instid0(SALU_CYCLE_1)
	s_mov_b32 s2, exec_lo
	s_waitcnt lgkmcnt(0)
	s_waitcnt_vscnt null, 0x0
	s_barrier
	buffer_gl0_inv
	v_cmpx_lt_i32_e32 60, v41
	s_cbranch_execz .LBB126_1416
; %bb.1415:
	s_clause 0x3
	scratch_load_b128 v[4:7], off, off offset:960
	scratch_load_b128 v[8:11], off, off offset:976
	;; [unrolled: 1-line block ×4, first 2 shown]
	ds_load_2addr_b64 v[49:52], v36 offset0:122 offset1:123
	ds_load_2addr_b64 v[53:56], v36 offset0:124 offset1:125
	;; [unrolled: 1-line block ×3, first 2 shown]
	s_waitcnt vmcnt(3)
	v_mul_f64 v[16:17], v[0:1], v[6:7]
	v_mul_f64 v[6:7], v[2:3], v[6:7]
	s_delay_alu instid0(VALU_DEP_2) | instskip(NEXT) | instid1(VALU_DEP_2)
	v_fma_f64 v[2:3], v[2:3], v[4:5], v[16:17]
	v_fma_f64 v[0:1], v[0:1], v[4:5], -v[6:7]
	s_waitcnt lgkmcnt(2)
	s_delay_alu instid0(VALU_DEP_2)
	v_mul_f64 v[4:5], v[51:52], v[2:3]
	v_mul_f64 v[6:7], v[49:50], v[2:3]
	s_waitcnt lgkmcnt(1)
	v_mul_f64 v[16:17], v[55:56], v[2:3]
	v_mul_f64 v[18:19], v[53:54], v[2:3]
	s_waitcnt lgkmcnt(0)
	v_mul_f64 v[46:47], v[67:68], v[2:3]
	v_mul_f64 v[57:58], v[65:66], v[2:3]
	v_fma_f64 v[4:5], v[49:50], v[0:1], -v[4:5]
	v_fma_f64 v[6:7], v[51:52], v[0:1], v[6:7]
	v_fma_f64 v[16:17], v[53:54], v[0:1], -v[16:17]
	v_fma_f64 v[18:19], v[55:56], v[0:1], v[18:19]
	;; [unrolled: 2-line block ×3, first 2 shown]
	s_waitcnt vmcnt(2)
	v_add_f64 v[4:5], v[8:9], -v[4:5]
	v_add_f64 v[6:7], v[10:11], -v[6:7]
	s_waitcnt vmcnt(1)
	v_add_f64 v[8:9], v[12:13], -v[16:17]
	v_add_f64 v[10:11], v[14:15], -v[18:19]
	;; [unrolled: 3-line block ×3, first 2 shown]
	s_clause 0x3
	scratch_store_b128 off, v[0:3], off offset:960
	scratch_store_b128 off, v[4:7], off offset:976
	;; [unrolled: 1-line block ×4, first 2 shown]
.LBB126_1416:
	s_or_b32 exec_lo, exec_lo, s2
	s_waitcnt_vscnt null, 0x0
	s_barrier
	buffer_gl0_inv
	scratch_load_b128 v[0:3], v165, off
	v_lshl_add_u32 v4, v41, 4, v36
	s_cmp_lt_i32 s5, 63
	s_waitcnt vmcnt(0)
	ds_store_2addr_b64 v4, v[0:1], v[2:3] offset1:1
	s_waitcnt lgkmcnt(0)
	s_barrier
	buffer_gl0_inv
	ds_load_2addr_b64 v[0:3], v36 offset0:122 offset1:123
	v_mov_b32_e32 v4, 61
	s_cbranch_scc1 .LBB126_1419
; %bb.1417:
	v_add3_u32 v5, v38, 0, 0x3e0
	v_mov_b32_e32 v4, 61
	s_mov_b32 s6, 62
	s_set_inst_prefetch_distance 0x1
	.p2align	6
.LBB126_1418:                           ; =>This Inner Loop Header: Depth=1
	ds_load_2addr_b64 v[6:9], v5 offset1:1
	s_waitcnt lgkmcnt(1)
	v_cmp_gt_f64_e32 vcc_lo, 0, v[0:1]
	v_xor_b32_e32 v10, 0x80000000, v1
	v_cmp_gt_f64_e64 s2, 0, v[2:3]
	v_xor_b32_e32 v12, 0x80000000, v3
	v_add_nc_u32_e32 v5, 16, v5
	s_waitcnt lgkmcnt(0)
	v_cmp_gt_f64_e64 s3, 0, v[6:7]
	v_mov_b32_e32 v14, v6
	v_dual_mov_b32 v16, v8 :: v_dual_cndmask_b32 v11, v1, v10
	v_xor_b32_e32 v10, 0x80000000, v7
	v_cndmask_b32_e64 v13, v3, v12, s2
	v_xor_b32_e32 v12, 0x80000000, v9
	s_delay_alu instid0(VALU_DEP_3) | instskip(SKIP_2) | instid1(VALU_DEP_2)
	v_cndmask_b32_e64 v15, v7, v10, s3
	v_cmp_gt_f64_e64 s3, 0, v[8:9]
	v_cndmask_b32_e32 v10, v0, v0, vcc_lo
	v_cndmask_b32_e64 v17, v9, v12, s3
	v_cndmask_b32_e64 v12, v2, v2, s2
	s_delay_alu instid0(VALU_DEP_2) | instskip(NEXT) | instid1(VALU_DEP_2)
	v_add_f64 v[14:15], v[14:15], v[16:17]
	v_add_f64 v[10:11], v[10:11], v[12:13]
	s_delay_alu instid0(VALU_DEP_1)
	v_cmp_lt_f64_e32 vcc_lo, v[10:11], v[14:15]
	v_cndmask_b32_e32 v3, v3, v9, vcc_lo
	v_dual_cndmask_b32 v1, v1, v7 :: v_dual_cndmask_b32 v0, v0, v6
	v_cndmask_b32_e32 v2, v2, v8, vcc_lo
	v_cndmask_b32_e64 v4, v4, s6, vcc_lo
	s_add_i32 s6, s6, 1
	s_delay_alu instid0(SALU_CYCLE_1)
	s_cmp_lg_u32 s5, s6
	s_cbranch_scc1 .LBB126_1418
.LBB126_1419:
	s_set_inst_prefetch_distance 0x2
	s_waitcnt lgkmcnt(0)
	v_cmp_eq_f64_e32 vcc_lo, 0, v[0:1]
	v_cmp_eq_f64_e64 s2, 0, v[2:3]
	s_delay_alu instid0(VALU_DEP_1) | instskip(NEXT) | instid1(SALU_CYCLE_1)
	s_and_b32 s2, vcc_lo, s2
	s_and_saveexec_b32 s3, s2
	s_delay_alu instid0(SALU_CYCLE_1)
	s_xor_b32 s2, exec_lo, s3
; %bb.1420:
	v_cmp_ne_u32_e32 vcc_lo, 0, v37
	v_cndmask_b32_e32 v37, 62, v37, vcc_lo
; %bb.1421:
	s_and_not1_saveexec_b32 s3, s2
	s_cbranch_execz .LBB126_1427
; %bb.1422:
	v_cmp_gt_f64_e32 vcc_lo, 0, v[0:1]
	v_cmp_gt_f64_e64 s2, 0, v[2:3]
	v_xor_b32_e32 v5, 0x80000000, v1
	v_xor_b32_e32 v7, 0x80000000, v3
	s_delay_alu instid0(VALU_DEP_2) | instskip(NEXT) | instid1(VALU_DEP_2)
	v_dual_cndmask_b32 v6, v1, v5 :: v_dual_cndmask_b32 v5, v0, v0
	v_cndmask_b32_e64 v8, v3, v7, s2
	v_cndmask_b32_e64 v7, v2, v2, s2
	s_mov_b32 s2, exec_lo
	s_delay_alu instid0(VALU_DEP_1)
	v_cmpx_ngt_f64_e32 v[5:6], v[7:8]
	s_xor_b32 s2, exec_lo, s2
	s_cbranch_execz .LBB126_1424
; %bb.1423:
	v_div_scale_f64 v[5:6], null, v[2:3], v[2:3], v[0:1]
	v_div_scale_f64 v[11:12], vcc_lo, v[0:1], v[2:3], v[0:1]
	s_delay_alu instid0(VALU_DEP_2) | instskip(SKIP_2) | instid1(VALU_DEP_1)
	v_rcp_f64_e32 v[7:8], v[5:6]
	s_waitcnt_depctr 0xfff
	v_fma_f64 v[9:10], -v[5:6], v[7:8], 1.0
	v_fma_f64 v[7:8], v[7:8], v[9:10], v[7:8]
	s_delay_alu instid0(VALU_DEP_1) | instskip(NEXT) | instid1(VALU_DEP_1)
	v_fma_f64 v[9:10], -v[5:6], v[7:8], 1.0
	v_fma_f64 v[7:8], v[7:8], v[9:10], v[7:8]
	s_delay_alu instid0(VALU_DEP_1) | instskip(NEXT) | instid1(VALU_DEP_1)
	v_mul_f64 v[9:10], v[11:12], v[7:8]
	v_fma_f64 v[5:6], -v[5:6], v[9:10], v[11:12]
	s_delay_alu instid0(VALU_DEP_1) | instskip(NEXT) | instid1(VALU_DEP_1)
	v_div_fmas_f64 v[5:6], v[5:6], v[7:8], v[9:10]
	v_div_fixup_f64 v[5:6], v[5:6], v[2:3], v[0:1]
	s_delay_alu instid0(VALU_DEP_1) | instskip(NEXT) | instid1(VALU_DEP_1)
	v_fma_f64 v[0:1], v[0:1], v[5:6], v[2:3]
	v_div_scale_f64 v[2:3], null, v[0:1], v[0:1], 1.0
	s_delay_alu instid0(VALU_DEP_1) | instskip(SKIP_2) | instid1(VALU_DEP_1)
	v_rcp_f64_e32 v[7:8], v[2:3]
	s_waitcnt_depctr 0xfff
	v_fma_f64 v[9:10], -v[2:3], v[7:8], 1.0
	v_fma_f64 v[7:8], v[7:8], v[9:10], v[7:8]
	s_delay_alu instid0(VALU_DEP_1) | instskip(NEXT) | instid1(VALU_DEP_1)
	v_fma_f64 v[9:10], -v[2:3], v[7:8], 1.0
	v_fma_f64 v[7:8], v[7:8], v[9:10], v[7:8]
	v_div_scale_f64 v[9:10], vcc_lo, 1.0, v[0:1], 1.0
	s_delay_alu instid0(VALU_DEP_1) | instskip(NEXT) | instid1(VALU_DEP_1)
	v_mul_f64 v[11:12], v[9:10], v[7:8]
	v_fma_f64 v[2:3], -v[2:3], v[11:12], v[9:10]
	s_delay_alu instid0(VALU_DEP_1) | instskip(NEXT) | instid1(VALU_DEP_1)
	v_div_fmas_f64 v[2:3], v[2:3], v[7:8], v[11:12]
	v_div_fixup_f64 v[2:3], v[2:3], v[0:1], 1.0
	s_delay_alu instid0(VALU_DEP_1)
	v_mul_f64 v[0:1], v[5:6], v[2:3]
	v_xor_b32_e32 v3, 0x80000000, v3
.LBB126_1424:
	s_and_not1_saveexec_b32 s2, s2
	s_cbranch_execz .LBB126_1426
; %bb.1425:
	s_delay_alu instid0(VALU_DEP_1) | instskip(SKIP_1) | instid1(VALU_DEP_2)
	v_div_scale_f64 v[5:6], null, v[0:1], v[0:1], v[2:3]
	v_div_scale_f64 v[11:12], vcc_lo, v[2:3], v[0:1], v[2:3]
	v_rcp_f64_e32 v[7:8], v[5:6]
	s_waitcnt_depctr 0xfff
	v_fma_f64 v[9:10], -v[5:6], v[7:8], 1.0
	s_delay_alu instid0(VALU_DEP_1) | instskip(NEXT) | instid1(VALU_DEP_1)
	v_fma_f64 v[7:8], v[7:8], v[9:10], v[7:8]
	v_fma_f64 v[9:10], -v[5:6], v[7:8], 1.0
	s_delay_alu instid0(VALU_DEP_1) | instskip(NEXT) | instid1(VALU_DEP_1)
	v_fma_f64 v[7:8], v[7:8], v[9:10], v[7:8]
	v_mul_f64 v[9:10], v[11:12], v[7:8]
	s_delay_alu instid0(VALU_DEP_1) | instskip(NEXT) | instid1(VALU_DEP_1)
	v_fma_f64 v[5:6], -v[5:6], v[9:10], v[11:12]
	v_div_fmas_f64 v[5:6], v[5:6], v[7:8], v[9:10]
	s_delay_alu instid0(VALU_DEP_1) | instskip(NEXT) | instid1(VALU_DEP_1)
	v_div_fixup_f64 v[5:6], v[5:6], v[0:1], v[2:3]
	v_fma_f64 v[0:1], v[2:3], v[5:6], v[0:1]
	s_delay_alu instid0(VALU_DEP_1) | instskip(NEXT) | instid1(VALU_DEP_1)
	v_div_scale_f64 v[2:3], null, v[0:1], v[0:1], 1.0
	v_rcp_f64_e32 v[7:8], v[2:3]
	s_waitcnt_depctr 0xfff
	v_fma_f64 v[9:10], -v[2:3], v[7:8], 1.0
	s_delay_alu instid0(VALU_DEP_1) | instskip(NEXT) | instid1(VALU_DEP_1)
	v_fma_f64 v[7:8], v[7:8], v[9:10], v[7:8]
	v_fma_f64 v[9:10], -v[2:3], v[7:8], 1.0
	s_delay_alu instid0(VALU_DEP_1) | instskip(SKIP_1) | instid1(VALU_DEP_1)
	v_fma_f64 v[7:8], v[7:8], v[9:10], v[7:8]
	v_div_scale_f64 v[9:10], vcc_lo, 1.0, v[0:1], 1.0
	v_mul_f64 v[11:12], v[9:10], v[7:8]
	s_delay_alu instid0(VALU_DEP_1) | instskip(NEXT) | instid1(VALU_DEP_1)
	v_fma_f64 v[2:3], -v[2:3], v[11:12], v[9:10]
	v_div_fmas_f64 v[2:3], v[2:3], v[7:8], v[11:12]
	s_delay_alu instid0(VALU_DEP_1) | instskip(NEXT) | instid1(VALU_DEP_1)
	v_div_fixup_f64 v[0:1], v[2:3], v[0:1], 1.0
	v_mul_f64 v[2:3], v[5:6], -v[0:1]
.LBB126_1426:
	s_or_b32 exec_lo, exec_lo, s2
.LBB126_1427:
	s_delay_alu instid0(SALU_CYCLE_1) | instskip(NEXT) | instid1(SALU_CYCLE_1)
	s_or_b32 exec_lo, exec_lo, s3
	s_mov_b32 s2, exec_lo
	v_cmpx_ne_u32_e64 v41, v4
	s_xor_b32 s2, exec_lo, s2
	s_cbranch_execz .LBB126_1433
; %bb.1428:
	s_mov_b32 s3, exec_lo
	v_cmpx_eq_u32_e32 61, v41
	s_cbranch_execz .LBB126_1432
; %bb.1429:
	v_cmp_ne_u32_e32 vcc_lo, 61, v4
	s_xor_b32 s6, s4, -1
	s_delay_alu instid0(SALU_CYCLE_1) | instskip(NEXT) | instid1(SALU_CYCLE_1)
	s_and_b32 s7, s6, vcc_lo
	s_and_saveexec_b32 s6, s7
	s_cbranch_execz .LBB126_1431
; %bb.1430:
	v_ashrrev_i32_e32 v5, 31, v4
	s_delay_alu instid0(VALU_DEP_1) | instskip(NEXT) | instid1(VALU_DEP_1)
	v_lshlrev_b64 v[5:6], 2, v[4:5]
	v_add_co_u32 v5, vcc_lo, v250, v5
	s_delay_alu instid0(VALU_DEP_2)
	v_add_co_ci_u32_e32 v6, vcc_lo, v251, v6, vcc_lo
	s_clause 0x1
	flat_load_b32 v7, v[5:6]
	flat_load_b32 v8, v[250:251] offset:244
	s_waitcnt vmcnt(1) lgkmcnt(1)
	flat_store_b32 v[250:251], v7 offset:244
	s_waitcnt vmcnt(0) lgkmcnt(1)
	flat_store_b32 v[5:6], v8
.LBB126_1431:
	s_or_b32 exec_lo, exec_lo, s6
	v_mov_b32_e32 v41, v4
	v_mov_b32_e32 v39, v4
.LBB126_1432:
	s_or_b32 exec_lo, exec_lo, s3
.LBB126_1433:
	s_and_not1_saveexec_b32 s2, s2
	s_cbranch_execz .LBB126_1435
; %bb.1434:
	s_clause 0x1
	scratch_load_b128 v[4:7], v255, off
	scratch_load_b128 v[8:11], v163, off
	v_mov_b32_e32 v41, 61
	s_waitcnt vmcnt(1)
	ds_store_2addr_b64 v36, v[4:5], v[6:7] offset0:124 offset1:125
	s_waitcnt vmcnt(0)
	ds_store_2addr_b64 v36, v[8:9], v[10:11] offset0:126 offset1:127
.LBB126_1435:
	s_or_b32 exec_lo, exec_lo, s2
	s_delay_alu instid0(SALU_CYCLE_1)
	s_mov_b32 s2, exec_lo
	s_waitcnt lgkmcnt(0)
	s_waitcnt_vscnt null, 0x0
	s_barrier
	buffer_gl0_inv
	v_cmpx_lt_i32_e32 61, v41
	s_cbranch_execz .LBB126_1437
; %bb.1436:
	s_clause 0x2
	scratch_load_b128 v[4:7], off, off offset:976
	scratch_load_b128 v[8:11], off, off offset:992
	;; [unrolled: 1-line block ×3, first 2 shown]
	ds_load_2addr_b64 v[42:45], v36 offset0:124 offset1:125
	ds_load_2addr_b64 v[49:52], v36 offset0:126 offset1:127
	s_waitcnt vmcnt(2)
	v_mul_f64 v[16:17], v[0:1], v[6:7]
	v_mul_f64 v[6:7], v[2:3], v[6:7]
	s_delay_alu instid0(VALU_DEP_2) | instskip(NEXT) | instid1(VALU_DEP_2)
	v_fma_f64 v[2:3], v[2:3], v[4:5], v[16:17]
	v_fma_f64 v[0:1], v[0:1], v[4:5], -v[6:7]
	s_waitcnt lgkmcnt(1)
	s_delay_alu instid0(VALU_DEP_2) | instskip(SKIP_4) | instid1(VALU_DEP_4)
	v_mul_f64 v[4:5], v[44:45], v[2:3]
	v_mul_f64 v[6:7], v[42:43], v[2:3]
	s_waitcnt lgkmcnt(0)
	v_mul_f64 v[16:17], v[51:52], v[2:3]
	v_mul_f64 v[18:19], v[49:50], v[2:3]
	v_fma_f64 v[4:5], v[42:43], v[0:1], -v[4:5]
	s_delay_alu instid0(VALU_DEP_4) | instskip(NEXT) | instid1(VALU_DEP_4)
	v_fma_f64 v[6:7], v[44:45], v[0:1], v[6:7]
	v_fma_f64 v[16:17], v[49:50], v[0:1], -v[16:17]
	s_delay_alu instid0(VALU_DEP_4) | instskip(SKIP_1) | instid1(VALU_DEP_4)
	v_fma_f64 v[18:19], v[51:52], v[0:1], v[18:19]
	s_waitcnt vmcnt(1)
	v_add_f64 v[4:5], v[8:9], -v[4:5]
	s_delay_alu instid0(VALU_DEP_4) | instskip(SKIP_1) | instid1(VALU_DEP_4)
	v_add_f64 v[6:7], v[10:11], -v[6:7]
	s_waitcnt vmcnt(0)
	v_add_f64 v[8:9], v[12:13], -v[16:17]
	s_delay_alu instid0(VALU_DEP_4)
	v_add_f64 v[10:11], v[14:15], -v[18:19]
	s_clause 0x2
	scratch_store_b128 off, v[0:3], off offset:976
	scratch_store_b128 off, v[4:7], off offset:992
	;; [unrolled: 1-line block ×3, first 2 shown]
.LBB126_1437:
	s_or_b32 exec_lo, exec_lo, s2
	s_waitcnt_vscnt null, 0x0
	s_barrier
	buffer_gl0_inv
	scratch_load_b128 v[0:3], v255, off
	v_lshl_add_u32 v4, v41, 4, v36
	s_cmp_lt_i32 s5, 64
	s_waitcnt vmcnt(0)
	ds_store_2addr_b64 v4, v[0:1], v[2:3] offset1:1
	s_waitcnt lgkmcnt(0)
	s_barrier
	buffer_gl0_inv
	ds_load_2addr_b64 v[0:3], v36 offset0:124 offset1:125
	v_mov_b32_e32 v4, 62
	s_cbranch_scc1 .LBB126_1440
; %bb.1438:
	v_add3_u32 v5, v38, 0, 0x3f0
	v_mov_b32_e32 v4, 62
	s_mov_b32 s6, 63
	s_set_inst_prefetch_distance 0x1
	.p2align	6
.LBB126_1439:                           ; =>This Inner Loop Header: Depth=1
	ds_load_2addr_b64 v[6:9], v5 offset1:1
	s_waitcnt lgkmcnt(1)
	v_cmp_gt_f64_e32 vcc_lo, 0, v[0:1]
	v_xor_b32_e32 v10, 0x80000000, v1
	v_cmp_gt_f64_e64 s2, 0, v[2:3]
	v_xor_b32_e32 v12, 0x80000000, v3
	v_add_nc_u32_e32 v5, 16, v5
	s_waitcnt lgkmcnt(0)
	v_cmp_gt_f64_e64 s3, 0, v[6:7]
	v_mov_b32_e32 v14, v6
	v_dual_mov_b32 v16, v8 :: v_dual_cndmask_b32 v11, v1, v10
	v_xor_b32_e32 v10, 0x80000000, v7
	v_cndmask_b32_e64 v13, v3, v12, s2
	v_xor_b32_e32 v12, 0x80000000, v9
	s_delay_alu instid0(VALU_DEP_3) | instskip(SKIP_2) | instid1(VALU_DEP_2)
	v_cndmask_b32_e64 v15, v7, v10, s3
	v_cmp_gt_f64_e64 s3, 0, v[8:9]
	v_cndmask_b32_e32 v10, v0, v0, vcc_lo
	v_cndmask_b32_e64 v17, v9, v12, s3
	v_cndmask_b32_e64 v12, v2, v2, s2
	s_delay_alu instid0(VALU_DEP_2) | instskip(NEXT) | instid1(VALU_DEP_2)
	v_add_f64 v[14:15], v[14:15], v[16:17]
	v_add_f64 v[10:11], v[10:11], v[12:13]
	s_delay_alu instid0(VALU_DEP_1)
	v_cmp_lt_f64_e32 vcc_lo, v[10:11], v[14:15]
	v_cndmask_b32_e32 v3, v3, v9, vcc_lo
	v_dual_cndmask_b32 v1, v1, v7 :: v_dual_cndmask_b32 v0, v0, v6
	v_cndmask_b32_e32 v2, v2, v8, vcc_lo
	v_cndmask_b32_e64 v4, v4, s6, vcc_lo
	s_add_i32 s6, s6, 1
	s_delay_alu instid0(SALU_CYCLE_1)
	s_cmp_lg_u32 s5, s6
	s_cbranch_scc1 .LBB126_1439
.LBB126_1440:
	s_set_inst_prefetch_distance 0x2
	s_waitcnt lgkmcnt(0)
	v_cmp_eq_f64_e32 vcc_lo, 0, v[0:1]
	v_cmp_eq_f64_e64 s2, 0, v[2:3]
	s_delay_alu instid0(VALU_DEP_1) | instskip(NEXT) | instid1(SALU_CYCLE_1)
	s_and_b32 s2, vcc_lo, s2
	s_and_saveexec_b32 s3, s2
	s_delay_alu instid0(SALU_CYCLE_1)
	s_xor_b32 s2, exec_lo, s3
; %bb.1441:
	v_cmp_ne_u32_e32 vcc_lo, 0, v37
	v_cndmask_b32_e32 v37, 63, v37, vcc_lo
; %bb.1442:
	s_and_not1_saveexec_b32 s3, s2
	s_cbranch_execz .LBB126_1448
; %bb.1443:
	v_cmp_gt_f64_e32 vcc_lo, 0, v[0:1]
	v_cmp_gt_f64_e64 s2, 0, v[2:3]
	v_xor_b32_e32 v5, 0x80000000, v1
	v_xor_b32_e32 v7, 0x80000000, v3
	s_delay_alu instid0(VALU_DEP_2) | instskip(NEXT) | instid1(VALU_DEP_2)
	v_dual_cndmask_b32 v6, v1, v5 :: v_dual_cndmask_b32 v5, v0, v0
	v_cndmask_b32_e64 v8, v3, v7, s2
	v_cndmask_b32_e64 v7, v2, v2, s2
	s_mov_b32 s2, exec_lo
	s_delay_alu instid0(VALU_DEP_1)
	v_cmpx_ngt_f64_e32 v[5:6], v[7:8]
	s_xor_b32 s2, exec_lo, s2
	s_cbranch_execz .LBB126_1445
; %bb.1444:
	v_div_scale_f64 v[5:6], null, v[2:3], v[2:3], v[0:1]
	v_div_scale_f64 v[11:12], vcc_lo, v[0:1], v[2:3], v[0:1]
	s_delay_alu instid0(VALU_DEP_2) | instskip(SKIP_2) | instid1(VALU_DEP_1)
	v_rcp_f64_e32 v[7:8], v[5:6]
	s_waitcnt_depctr 0xfff
	v_fma_f64 v[9:10], -v[5:6], v[7:8], 1.0
	v_fma_f64 v[7:8], v[7:8], v[9:10], v[7:8]
	s_delay_alu instid0(VALU_DEP_1) | instskip(NEXT) | instid1(VALU_DEP_1)
	v_fma_f64 v[9:10], -v[5:6], v[7:8], 1.0
	v_fma_f64 v[7:8], v[7:8], v[9:10], v[7:8]
	s_delay_alu instid0(VALU_DEP_1) | instskip(NEXT) | instid1(VALU_DEP_1)
	v_mul_f64 v[9:10], v[11:12], v[7:8]
	v_fma_f64 v[5:6], -v[5:6], v[9:10], v[11:12]
	s_delay_alu instid0(VALU_DEP_1) | instskip(NEXT) | instid1(VALU_DEP_1)
	v_div_fmas_f64 v[5:6], v[5:6], v[7:8], v[9:10]
	v_div_fixup_f64 v[5:6], v[5:6], v[2:3], v[0:1]
	s_delay_alu instid0(VALU_DEP_1) | instskip(NEXT) | instid1(VALU_DEP_1)
	v_fma_f64 v[0:1], v[0:1], v[5:6], v[2:3]
	v_div_scale_f64 v[2:3], null, v[0:1], v[0:1], 1.0
	s_delay_alu instid0(VALU_DEP_1) | instskip(SKIP_2) | instid1(VALU_DEP_1)
	v_rcp_f64_e32 v[7:8], v[2:3]
	s_waitcnt_depctr 0xfff
	v_fma_f64 v[9:10], -v[2:3], v[7:8], 1.0
	v_fma_f64 v[7:8], v[7:8], v[9:10], v[7:8]
	s_delay_alu instid0(VALU_DEP_1) | instskip(NEXT) | instid1(VALU_DEP_1)
	v_fma_f64 v[9:10], -v[2:3], v[7:8], 1.0
	v_fma_f64 v[7:8], v[7:8], v[9:10], v[7:8]
	v_div_scale_f64 v[9:10], vcc_lo, 1.0, v[0:1], 1.0
	s_delay_alu instid0(VALU_DEP_1) | instskip(NEXT) | instid1(VALU_DEP_1)
	v_mul_f64 v[11:12], v[9:10], v[7:8]
	v_fma_f64 v[2:3], -v[2:3], v[11:12], v[9:10]
	s_delay_alu instid0(VALU_DEP_1) | instskip(NEXT) | instid1(VALU_DEP_1)
	v_div_fmas_f64 v[2:3], v[2:3], v[7:8], v[11:12]
	v_div_fixup_f64 v[2:3], v[2:3], v[0:1], 1.0
	s_delay_alu instid0(VALU_DEP_1)
	v_mul_f64 v[0:1], v[5:6], v[2:3]
	v_xor_b32_e32 v3, 0x80000000, v3
.LBB126_1445:
	s_and_not1_saveexec_b32 s2, s2
	s_cbranch_execz .LBB126_1447
; %bb.1446:
	s_delay_alu instid0(VALU_DEP_1) | instskip(SKIP_1) | instid1(VALU_DEP_2)
	v_div_scale_f64 v[5:6], null, v[0:1], v[0:1], v[2:3]
	v_div_scale_f64 v[11:12], vcc_lo, v[2:3], v[0:1], v[2:3]
	v_rcp_f64_e32 v[7:8], v[5:6]
	s_waitcnt_depctr 0xfff
	v_fma_f64 v[9:10], -v[5:6], v[7:8], 1.0
	s_delay_alu instid0(VALU_DEP_1) | instskip(NEXT) | instid1(VALU_DEP_1)
	v_fma_f64 v[7:8], v[7:8], v[9:10], v[7:8]
	v_fma_f64 v[9:10], -v[5:6], v[7:8], 1.0
	s_delay_alu instid0(VALU_DEP_1) | instskip(NEXT) | instid1(VALU_DEP_1)
	v_fma_f64 v[7:8], v[7:8], v[9:10], v[7:8]
	v_mul_f64 v[9:10], v[11:12], v[7:8]
	s_delay_alu instid0(VALU_DEP_1) | instskip(NEXT) | instid1(VALU_DEP_1)
	v_fma_f64 v[5:6], -v[5:6], v[9:10], v[11:12]
	v_div_fmas_f64 v[5:6], v[5:6], v[7:8], v[9:10]
	s_delay_alu instid0(VALU_DEP_1) | instskip(NEXT) | instid1(VALU_DEP_1)
	v_div_fixup_f64 v[5:6], v[5:6], v[0:1], v[2:3]
	v_fma_f64 v[0:1], v[2:3], v[5:6], v[0:1]
	s_delay_alu instid0(VALU_DEP_1) | instskip(NEXT) | instid1(VALU_DEP_1)
	v_div_scale_f64 v[2:3], null, v[0:1], v[0:1], 1.0
	v_rcp_f64_e32 v[7:8], v[2:3]
	s_waitcnt_depctr 0xfff
	v_fma_f64 v[9:10], -v[2:3], v[7:8], 1.0
	s_delay_alu instid0(VALU_DEP_1) | instskip(NEXT) | instid1(VALU_DEP_1)
	v_fma_f64 v[7:8], v[7:8], v[9:10], v[7:8]
	v_fma_f64 v[9:10], -v[2:3], v[7:8], 1.0
	s_delay_alu instid0(VALU_DEP_1) | instskip(SKIP_1) | instid1(VALU_DEP_1)
	v_fma_f64 v[7:8], v[7:8], v[9:10], v[7:8]
	v_div_scale_f64 v[9:10], vcc_lo, 1.0, v[0:1], 1.0
	v_mul_f64 v[11:12], v[9:10], v[7:8]
	s_delay_alu instid0(VALU_DEP_1) | instskip(NEXT) | instid1(VALU_DEP_1)
	v_fma_f64 v[2:3], -v[2:3], v[11:12], v[9:10]
	v_div_fmas_f64 v[2:3], v[2:3], v[7:8], v[11:12]
	s_delay_alu instid0(VALU_DEP_1) | instskip(NEXT) | instid1(VALU_DEP_1)
	v_div_fixup_f64 v[0:1], v[2:3], v[0:1], 1.0
	v_mul_f64 v[2:3], v[5:6], -v[0:1]
.LBB126_1447:
	s_or_b32 exec_lo, exec_lo, s2
.LBB126_1448:
	s_delay_alu instid0(SALU_CYCLE_1) | instskip(NEXT) | instid1(SALU_CYCLE_1)
	s_or_b32 exec_lo, exec_lo, s3
	s_mov_b32 s2, exec_lo
	v_cmpx_ne_u32_e64 v41, v4
	s_xor_b32 s2, exec_lo, s2
	s_cbranch_execz .LBB126_1454
; %bb.1449:
	s_mov_b32 s3, exec_lo
	v_cmpx_eq_u32_e32 62, v41
	s_cbranch_execz .LBB126_1453
; %bb.1450:
	v_cmp_ne_u32_e32 vcc_lo, 62, v4
	s_xor_b32 s6, s4, -1
	s_delay_alu instid0(SALU_CYCLE_1) | instskip(NEXT) | instid1(SALU_CYCLE_1)
	s_and_b32 s7, s6, vcc_lo
	s_and_saveexec_b32 s6, s7
	s_cbranch_execz .LBB126_1452
; %bb.1451:
	v_ashrrev_i32_e32 v5, 31, v4
	s_delay_alu instid0(VALU_DEP_1) | instskip(NEXT) | instid1(VALU_DEP_1)
	v_lshlrev_b64 v[5:6], 2, v[4:5]
	v_add_co_u32 v5, vcc_lo, v250, v5
	s_delay_alu instid0(VALU_DEP_2)
	v_add_co_ci_u32_e32 v6, vcc_lo, v251, v6, vcc_lo
	s_clause 0x1
	flat_load_b32 v7, v[5:6]
	flat_load_b32 v8, v[250:251] offset:248
	s_waitcnt vmcnt(1) lgkmcnt(1)
	flat_store_b32 v[250:251], v7 offset:248
	s_waitcnt vmcnt(0) lgkmcnt(1)
	flat_store_b32 v[5:6], v8
.LBB126_1452:
	s_or_b32 exec_lo, exec_lo, s6
	v_mov_b32_e32 v41, v4
	v_mov_b32_e32 v39, v4
.LBB126_1453:
	s_or_b32 exec_lo, exec_lo, s3
.LBB126_1454:
	s_and_not1_saveexec_b32 s2, s2
	s_cbranch_execz .LBB126_1456
; %bb.1455:
	scratch_load_b128 v[4:7], v163, off
	v_mov_b32_e32 v41, 62
	s_waitcnt vmcnt(0)
	ds_store_2addr_b64 v36, v[4:5], v[6:7] offset0:126 offset1:127
.LBB126_1456:
	s_or_b32 exec_lo, exec_lo, s2
	s_delay_alu instid0(SALU_CYCLE_1)
	s_mov_b32 s2, exec_lo
	s_waitcnt lgkmcnt(0)
	s_waitcnt_vscnt null, 0x0
	s_barrier
	buffer_gl0_inv
	v_cmpx_lt_i32_e32 62, v41
	s_cbranch_execz .LBB126_1458
; %bb.1457:
	s_clause 0x1
	scratch_load_b128 v[4:7], off, off offset:992
	scratch_load_b128 v[8:11], off, off offset:1008
	s_waitcnt vmcnt(1)
	v_mul_f64 v[12:13], v[0:1], v[6:7]
	v_mul_f64 v[6:7], v[2:3], v[6:7]
	s_delay_alu instid0(VALU_DEP_2)
	v_fma_f64 v[2:3], v[2:3], v[4:5], v[12:13]
	ds_load_2addr_b64 v[12:15], v36 offset0:126 offset1:127
	v_fma_f64 v[0:1], v[0:1], v[4:5], -v[6:7]
	s_waitcnt lgkmcnt(0)
	v_mul_f64 v[4:5], v[14:15], v[2:3]
	v_mul_f64 v[6:7], v[12:13], v[2:3]
	s_delay_alu instid0(VALU_DEP_2) | instskip(NEXT) | instid1(VALU_DEP_2)
	v_fma_f64 v[4:5], v[12:13], v[0:1], -v[4:5]
	v_fma_f64 v[6:7], v[14:15], v[0:1], v[6:7]
	s_waitcnt vmcnt(0)
	s_delay_alu instid0(VALU_DEP_2) | instskip(NEXT) | instid1(VALU_DEP_2)
	v_add_f64 v[4:5], v[8:9], -v[4:5]
	v_add_f64 v[6:7], v[10:11], -v[6:7]
	s_clause 0x1
	scratch_store_b128 off, v[0:3], off offset:992
	scratch_store_b128 off, v[4:7], off offset:1008
.LBB126_1458:
	s_or_b32 exec_lo, exec_lo, s2
	s_waitcnt_vscnt null, 0x0
	s_barrier
	buffer_gl0_inv
	scratch_load_b128 v[0:3], v163, off
	v_lshl_add_u32 v4, v41, 4, v36
	s_cmpk_lt_i32 s5, 0x41
	s_waitcnt vmcnt(0)
	ds_store_2addr_b64 v4, v[0:1], v[2:3] offset1:1
	s_waitcnt lgkmcnt(0)
	s_barrier
	buffer_gl0_inv
	ds_load_2addr_b64 v[0:3], v36 offset0:126 offset1:127
	v_mov_b32_e32 v4, 63
	s_cbranch_scc1 .LBB126_1461
; %bb.1459:
	v_add3_u32 v5, v38, 0, 0x400
	v_mov_b32_e32 v4, 63
	s_mov_b32 s6, 64
	s_set_inst_prefetch_distance 0x1
	.p2align	6
.LBB126_1460:                           ; =>This Inner Loop Header: Depth=1
	ds_load_2addr_b64 v[6:9], v5 offset1:1
	s_waitcnt lgkmcnt(1)
	v_cmp_gt_f64_e32 vcc_lo, 0, v[0:1]
	v_xor_b32_e32 v10, 0x80000000, v1
	v_cmp_gt_f64_e64 s2, 0, v[2:3]
	v_xor_b32_e32 v12, 0x80000000, v3
	v_add_nc_u32_e32 v5, 16, v5
	s_waitcnt lgkmcnt(0)
	v_cmp_gt_f64_e64 s3, 0, v[6:7]
	v_mov_b32_e32 v14, v6
	v_dual_mov_b32 v16, v8 :: v_dual_cndmask_b32 v11, v1, v10
	v_xor_b32_e32 v10, 0x80000000, v7
	v_cndmask_b32_e64 v13, v3, v12, s2
	v_xor_b32_e32 v12, 0x80000000, v9
	s_delay_alu instid0(VALU_DEP_3) | instskip(SKIP_2) | instid1(VALU_DEP_2)
	v_cndmask_b32_e64 v15, v7, v10, s3
	v_cmp_gt_f64_e64 s3, 0, v[8:9]
	v_cndmask_b32_e32 v10, v0, v0, vcc_lo
	v_cndmask_b32_e64 v17, v9, v12, s3
	v_cndmask_b32_e64 v12, v2, v2, s2
	s_delay_alu instid0(VALU_DEP_2) | instskip(NEXT) | instid1(VALU_DEP_2)
	v_add_f64 v[14:15], v[14:15], v[16:17]
	v_add_f64 v[10:11], v[10:11], v[12:13]
	s_delay_alu instid0(VALU_DEP_1)
	v_cmp_lt_f64_e32 vcc_lo, v[10:11], v[14:15]
	v_cndmask_b32_e32 v3, v3, v9, vcc_lo
	v_dual_cndmask_b32 v1, v1, v7 :: v_dual_cndmask_b32 v0, v0, v6
	v_cndmask_b32_e32 v2, v2, v8, vcc_lo
	v_cndmask_b32_e64 v4, v4, s6, vcc_lo
	s_add_i32 s6, s6, 1
	s_delay_alu instid0(SALU_CYCLE_1)
	s_cmp_lg_u32 s5, s6
	s_cbranch_scc1 .LBB126_1460
.LBB126_1461:
	s_set_inst_prefetch_distance 0x2
	s_waitcnt lgkmcnt(0)
	v_cmp_eq_f64_e32 vcc_lo, 0, v[0:1]
	v_cmp_eq_f64_e64 s2, 0, v[2:3]
	s_delay_alu instid0(VALU_DEP_1) | instskip(NEXT) | instid1(SALU_CYCLE_1)
	s_and_b32 s2, vcc_lo, s2
	s_and_saveexec_b32 s3, s2
	s_delay_alu instid0(SALU_CYCLE_1)
	s_xor_b32 s2, exec_lo, s3
; %bb.1462:
	v_cmp_ne_u32_e32 vcc_lo, 0, v37
	v_cndmask_b32_e32 v37, 64, v37, vcc_lo
; %bb.1463:
	s_and_not1_saveexec_b32 s3, s2
	s_cbranch_execz .LBB126_1469
; %bb.1464:
	v_cmp_gt_f64_e32 vcc_lo, 0, v[0:1]
	v_cmp_gt_f64_e64 s2, 0, v[2:3]
	v_xor_b32_e32 v5, 0x80000000, v1
	v_xor_b32_e32 v7, 0x80000000, v3
	s_delay_alu instid0(VALU_DEP_2) | instskip(NEXT) | instid1(VALU_DEP_2)
	v_dual_cndmask_b32 v6, v1, v5 :: v_dual_cndmask_b32 v5, v0, v0
	v_cndmask_b32_e64 v8, v3, v7, s2
	v_cndmask_b32_e64 v7, v2, v2, s2
	s_mov_b32 s2, exec_lo
	s_delay_alu instid0(VALU_DEP_1)
	v_cmpx_ngt_f64_e32 v[5:6], v[7:8]
	s_xor_b32 s2, exec_lo, s2
	s_cbranch_execz .LBB126_1466
; %bb.1465:
	v_div_scale_f64 v[5:6], null, v[2:3], v[2:3], v[0:1]
	v_div_scale_f64 v[11:12], vcc_lo, v[0:1], v[2:3], v[0:1]
	s_delay_alu instid0(VALU_DEP_2) | instskip(SKIP_2) | instid1(VALU_DEP_1)
	v_rcp_f64_e32 v[7:8], v[5:6]
	s_waitcnt_depctr 0xfff
	v_fma_f64 v[9:10], -v[5:6], v[7:8], 1.0
	v_fma_f64 v[7:8], v[7:8], v[9:10], v[7:8]
	s_delay_alu instid0(VALU_DEP_1) | instskip(NEXT) | instid1(VALU_DEP_1)
	v_fma_f64 v[9:10], -v[5:6], v[7:8], 1.0
	v_fma_f64 v[7:8], v[7:8], v[9:10], v[7:8]
	s_delay_alu instid0(VALU_DEP_1) | instskip(NEXT) | instid1(VALU_DEP_1)
	v_mul_f64 v[9:10], v[11:12], v[7:8]
	v_fma_f64 v[5:6], -v[5:6], v[9:10], v[11:12]
	s_delay_alu instid0(VALU_DEP_1) | instskip(NEXT) | instid1(VALU_DEP_1)
	v_div_fmas_f64 v[5:6], v[5:6], v[7:8], v[9:10]
	v_div_fixup_f64 v[5:6], v[5:6], v[2:3], v[0:1]
	s_delay_alu instid0(VALU_DEP_1) | instskip(NEXT) | instid1(VALU_DEP_1)
	v_fma_f64 v[0:1], v[0:1], v[5:6], v[2:3]
	v_div_scale_f64 v[2:3], null, v[0:1], v[0:1], 1.0
	s_delay_alu instid0(VALU_DEP_1) | instskip(SKIP_2) | instid1(VALU_DEP_1)
	v_rcp_f64_e32 v[7:8], v[2:3]
	s_waitcnt_depctr 0xfff
	v_fma_f64 v[9:10], -v[2:3], v[7:8], 1.0
	v_fma_f64 v[7:8], v[7:8], v[9:10], v[7:8]
	s_delay_alu instid0(VALU_DEP_1) | instskip(NEXT) | instid1(VALU_DEP_1)
	v_fma_f64 v[9:10], -v[2:3], v[7:8], 1.0
	v_fma_f64 v[7:8], v[7:8], v[9:10], v[7:8]
	v_div_scale_f64 v[9:10], vcc_lo, 1.0, v[0:1], 1.0
	s_delay_alu instid0(VALU_DEP_1) | instskip(NEXT) | instid1(VALU_DEP_1)
	v_mul_f64 v[11:12], v[9:10], v[7:8]
	v_fma_f64 v[2:3], -v[2:3], v[11:12], v[9:10]
	s_delay_alu instid0(VALU_DEP_1) | instskip(NEXT) | instid1(VALU_DEP_1)
	v_div_fmas_f64 v[2:3], v[2:3], v[7:8], v[11:12]
	v_div_fixup_f64 v[2:3], v[2:3], v[0:1], 1.0
	s_delay_alu instid0(VALU_DEP_1)
	v_mul_f64 v[0:1], v[5:6], v[2:3]
	v_xor_b32_e32 v3, 0x80000000, v3
.LBB126_1466:
	s_and_not1_saveexec_b32 s2, s2
	s_cbranch_execz .LBB126_1468
; %bb.1467:
	s_delay_alu instid0(VALU_DEP_1) | instskip(SKIP_1) | instid1(VALU_DEP_2)
	v_div_scale_f64 v[5:6], null, v[0:1], v[0:1], v[2:3]
	v_div_scale_f64 v[11:12], vcc_lo, v[2:3], v[0:1], v[2:3]
	v_rcp_f64_e32 v[7:8], v[5:6]
	s_waitcnt_depctr 0xfff
	v_fma_f64 v[9:10], -v[5:6], v[7:8], 1.0
	s_delay_alu instid0(VALU_DEP_1) | instskip(NEXT) | instid1(VALU_DEP_1)
	v_fma_f64 v[7:8], v[7:8], v[9:10], v[7:8]
	v_fma_f64 v[9:10], -v[5:6], v[7:8], 1.0
	s_delay_alu instid0(VALU_DEP_1) | instskip(NEXT) | instid1(VALU_DEP_1)
	v_fma_f64 v[7:8], v[7:8], v[9:10], v[7:8]
	v_mul_f64 v[9:10], v[11:12], v[7:8]
	s_delay_alu instid0(VALU_DEP_1) | instskip(NEXT) | instid1(VALU_DEP_1)
	v_fma_f64 v[5:6], -v[5:6], v[9:10], v[11:12]
	v_div_fmas_f64 v[5:6], v[5:6], v[7:8], v[9:10]
	s_delay_alu instid0(VALU_DEP_1) | instskip(NEXT) | instid1(VALU_DEP_1)
	v_div_fixup_f64 v[5:6], v[5:6], v[0:1], v[2:3]
	v_fma_f64 v[0:1], v[2:3], v[5:6], v[0:1]
	s_delay_alu instid0(VALU_DEP_1) | instskip(NEXT) | instid1(VALU_DEP_1)
	v_div_scale_f64 v[2:3], null, v[0:1], v[0:1], 1.0
	v_rcp_f64_e32 v[7:8], v[2:3]
	s_waitcnt_depctr 0xfff
	v_fma_f64 v[9:10], -v[2:3], v[7:8], 1.0
	s_delay_alu instid0(VALU_DEP_1) | instskip(NEXT) | instid1(VALU_DEP_1)
	v_fma_f64 v[7:8], v[7:8], v[9:10], v[7:8]
	v_fma_f64 v[9:10], -v[2:3], v[7:8], 1.0
	s_delay_alu instid0(VALU_DEP_1) | instskip(SKIP_1) | instid1(VALU_DEP_1)
	v_fma_f64 v[7:8], v[7:8], v[9:10], v[7:8]
	v_div_scale_f64 v[9:10], vcc_lo, 1.0, v[0:1], 1.0
	v_mul_f64 v[11:12], v[9:10], v[7:8]
	s_delay_alu instid0(VALU_DEP_1) | instskip(NEXT) | instid1(VALU_DEP_1)
	v_fma_f64 v[2:3], -v[2:3], v[11:12], v[9:10]
	v_div_fmas_f64 v[2:3], v[2:3], v[7:8], v[11:12]
	s_delay_alu instid0(VALU_DEP_1) | instskip(NEXT) | instid1(VALU_DEP_1)
	v_div_fixup_f64 v[0:1], v[2:3], v[0:1], 1.0
	v_mul_f64 v[2:3], v[5:6], -v[0:1]
.LBB126_1468:
	s_or_b32 exec_lo, exec_lo, s2
.LBB126_1469:
	s_delay_alu instid0(SALU_CYCLE_1)
	s_or_b32 exec_lo, exec_lo, s3
	v_mov_b32_e32 v132, 63
	s_mov_b32 s2, exec_lo
	v_cmpx_ne_u32_e64 v41, v4
	s_cbranch_execz .LBB126_1475
; %bb.1470:
	s_mov_b32 s3, exec_lo
	v_cmpx_eq_u32_e32 63, v41
	s_cbranch_execz .LBB126_1474
; %bb.1471:
	v_cmp_ne_u32_e32 vcc_lo, 63, v4
	s_xor_b32 s4, s4, -1
	s_delay_alu instid0(SALU_CYCLE_1) | instskip(NEXT) | instid1(SALU_CYCLE_1)
	s_and_b32 s5, s4, vcc_lo
	s_and_saveexec_b32 s4, s5
	s_cbranch_execz .LBB126_1473
; %bb.1472:
	v_ashrrev_i32_e32 v5, 31, v4
	s_delay_alu instid0(VALU_DEP_1) | instskip(NEXT) | instid1(VALU_DEP_1)
	v_lshlrev_b64 v[5:6], 2, v[4:5]
	v_add_co_u32 v5, vcc_lo, v250, v5
	s_delay_alu instid0(VALU_DEP_2)
	v_add_co_ci_u32_e32 v6, vcc_lo, v251, v6, vcc_lo
	s_clause 0x1
	flat_load_b32 v7, v[5:6]
	flat_load_b32 v8, v[250:251] offset:252
	s_waitcnt vmcnt(1) lgkmcnt(1)
	flat_store_b32 v[250:251], v7 offset:252
	s_waitcnt vmcnt(0) lgkmcnt(1)
	flat_store_b32 v[5:6], v8
.LBB126_1473:
	s_or_b32 exec_lo, exec_lo, s4
	v_mov_b32_e32 v41, v4
	v_mov_b32_e32 v39, v4
.LBB126_1474:
	s_or_b32 exec_lo, exec_lo, s3
	s_delay_alu instid0(VALU_DEP_2)
	v_mov_b32_e32 v132, v41
.LBB126_1475:
	s_or_b32 exec_lo, exec_lo, s2
	s_delay_alu instid0(SALU_CYCLE_1)
	s_mov_b32 s2, exec_lo
	s_waitcnt lgkmcnt(0)
	s_waitcnt_vscnt null, 0x0
	s_barrier
	buffer_gl0_inv
	v_cmpx_lt_i32_e32 63, v132
	s_cbranch_execz .LBB126_1477
; %bb.1476:
	scratch_load_b128 v[4:7], off, off offset:1008
	s_waitcnt vmcnt(0)
	v_mul_f64 v[8:9], v[2:3], v[6:7]
	v_mul_f64 v[6:7], v[0:1], v[6:7]
	s_delay_alu instid0(VALU_DEP_2) | instskip(NEXT) | instid1(VALU_DEP_2)
	v_fma_f64 v[0:1], v[0:1], v[4:5], -v[8:9]
	v_fma_f64 v[2:3], v[2:3], v[4:5], v[6:7]
	scratch_store_b128 off, v[0:3], off offset:1008
.LBB126_1477:
	s_or_b32 exec_lo, exec_lo, s2
	s_load_b256 s[0:7], s[0:1], 0x28
	v_ashrrev_i32_e32 v133, 31, v132
	s_mov_b32 s9, exec_lo
	s_waitcnt lgkmcnt(0)
	s_waitcnt_vscnt null, 0x0
	s_barrier
	buffer_gl0_inv
	v_cmpx_gt_i32_e32 64, v132
	s_cbranch_execz .LBB126_1479
; %bb.1478:
	scratch_load_b64 v[4:5], off, off offset:1032 ; 8-byte Folded Reload
	s_lshl_b64 s[2:3], s[2:3], 2
	s_delay_alu instid0(SALU_CYCLE_1)
	s_add_u32 s0, s2, s0
	s_addc_u32 s1, s3, s1
	s_waitcnt vmcnt(0)
	v_mul_lo_u32 v2, v5, s4
	v_mul_lo_u32 v3, v4, s5
	v_mad_u64_u32 v[0:1], null, v4, s4, 0
	s_delay_alu instid0(VALU_DEP_1) | instskip(SKIP_1) | instid1(VALU_DEP_2)
	v_add3_u32 v1, v1, v3, v2
	v_lshlrev_b64 v[2:3], 2, v[132:133]
	v_lshlrev_b64 v[0:1], 2, v[0:1]
	s_delay_alu instid0(VALU_DEP_1) | instskip(NEXT) | instid1(VALU_DEP_2)
	v_add_co_u32 v0, vcc_lo, s0, v0
	v_add_co_ci_u32_e32 v1, vcc_lo, s1, v1, vcc_lo
	s_delay_alu instid0(VALU_DEP_2) | instskip(NEXT) | instid1(VALU_DEP_2)
	v_add_co_u32 v0, vcc_lo, v0, v2
	v_add_co_ci_u32_e32 v1, vcc_lo, v1, v3, vcc_lo
	v_add3_u32 v2, v39, s13, 1
	global_store_b32 v[0:1], v2, off
.LBB126_1479:
	s_or_b32 exec_lo, exec_lo, s9
	s_delay_alu instid0(SALU_CYCLE_1)
	s_mov_b32 s1, exec_lo
	v_cmpx_eq_u32_e32 0, v132
	s_cbranch_execz .LBB126_1482
; %bb.1480:
	scratch_load_b64 v[0:1], off, off offset:1032 ; 8-byte Folded Reload
	v_cmp_lt_i32_e64 s0, 0, v37
	s_waitcnt vmcnt(0)
	v_lshlrev_b64 v[0:1], 2, v[0:1]
	s_delay_alu instid0(VALU_DEP_1) | instskip(NEXT) | instid1(VALU_DEP_2)
	v_add_co_u32 v0, vcc_lo, s6, v0
	v_add_co_ci_u32_e32 v1, vcc_lo, s7, v1, vcc_lo
	global_load_b32 v2, v[0:1], off
	s_waitcnt vmcnt(0)
	v_cmp_eq_u32_e32 vcc_lo, 0, v2
	s_and_b32 s0, vcc_lo, s0
	s_delay_alu instid0(SALU_CYCLE_1)
	s_and_b32 exec_lo, exec_lo, s0
	s_cbranch_execz .LBB126_1482
; %bb.1481:
	v_add_nc_u32_e32 v2, s13, v37
	global_store_b32 v[0:1], v2, off
.LBB126_1482:
	s_or_b32 exec_lo, exec_lo, s1
	scratch_load_b128 v[88:91], off, off
	s_clause 0x1f
	scratch_load_b128 v[84:87], v35, off
	scratch_load_b128 v[72:75], v31, off
	;; [unrolled: 1-line block ×33, first 2 shown]
	v_lshlrev_b64 v[229:230], 4, v[132:133]
	v_add3_u32 v231, s8, s8, v132
	s_clause 0x13
	scratch_load_b128 v[132:135], v134, off
	scratch_load_b128 v[140:143], v140, off
	;; [unrolled: 1-line block ×20, first 2 shown]
	v_add_nc_u32_e32 v233, s8, v231
	v_ashrrev_i32_e32 v232, 31, v231
	v_add_co_u32 v229, vcc_lo, v160, v229
	v_add_co_ci_u32_e32 v230, vcc_lo, v161, v230, vcc_lo
	s_delay_alu instid0(VALU_DEP_4) | instskip(SKIP_2) | instid1(VALU_DEP_3)
	v_add_nc_u32_e32 v235, s8, v233
	v_ashrrev_i32_e32 v234, 31, v233
	v_lshlrev_b64 v[231:232], 4, v[231:232]
	v_add_nc_u32_e32 v237, s8, v235
	v_ashrrev_i32_e32 v236, 31, v235
	s_delay_alu instid0(VALU_DEP_4) | instskip(NEXT) | instid1(VALU_DEP_4)
	v_lshlrev_b64 v[233:234], 4, v[233:234]
	v_add_co_u32 v231, vcc_lo, v160, v231
	s_delay_alu instid0(VALU_DEP_4) | instskip(SKIP_3) | instid1(VALU_DEP_4)
	v_add_nc_u32_e32 v239, s8, v237
	v_ashrrev_i32_e32 v238, 31, v237
	v_lshlrev_b64 v[235:236], 4, v[235:236]
	v_add_co_ci_u32_e32 v232, vcc_lo, v161, v232, vcc_lo
	v_add_nc_u32_e32 v241, s8, v239
	v_ashrrev_i32_e32 v240, 31, v239
	v_add_co_u32 v233, vcc_lo, v160, v233
	v_lshlrev_b64 v[237:238], 4, v[237:238]
	s_delay_alu instid0(VALU_DEP_4)
	v_add_nc_u32_e32 v243, s8, v241
	v_ashrrev_i32_e32 v242, 31, v241
	v_add_co_ci_u32_e32 v234, vcc_lo, v161, v234, vcc_lo
	v_add_co_u32 v235, vcc_lo, v160, v235
	v_lshlrev_b64 v[239:240], 4, v[239:240]
	v_add_nc_u32_e32 v245, s8, v243
	v_ashrrev_i32_e32 v244, 31, v243
	v_add_co_ci_u32_e32 v236, vcc_lo, v161, v236, vcc_lo
	v_add_co_u32 v237, vcc_lo, v160, v237
	v_lshlrev_b64 v[241:242], 4, v[241:242]
	v_add_co_ci_u32_e32 v238, vcc_lo, v161, v238, vcc_lo
	v_add_nc_u32_e32 v247, s8, v245
	v_add_co_u32 v239, vcc_lo, v160, v239
	v_lshlrev_b64 v[243:244], 4, v[243:244]
	v_add_co_ci_u32_e32 v240, vcc_lo, v161, v240, vcc_lo
	v_add_co_u32 v241, vcc_lo, v160, v241
	v_add_nc_u32_e32 v249, s8, v247
	v_ashrrev_i32_e32 v246, 31, v245
	v_add_co_ci_u32_e32 v242, vcc_lo, v161, v242, vcc_lo
	v_add_co_u32 v243, vcc_lo, v160, v243
	v_ashrrev_i32_e32 v248, 31, v247
	v_add_co_ci_u32_e32 v244, vcc_lo, v161, v244, vcc_lo
	v_add_co_u32 v251, vcc_lo, v229, s10
	v_ashrrev_i32_e32 v250, 31, v249
	v_lshlrev_b64 v[245:246], 4, v[245:246]
	v_lshlrev_b64 v[247:248], 4, v[247:248]
	v_add_co_ci_u32_e32 v252, vcc_lo, s11, v230, vcc_lo
	s_delay_alu instid0(VALU_DEP_3) | instskip(NEXT) | instid1(VALU_DEP_4)
	v_add_co_u32 v245, vcc_lo, v160, v245
	v_add_co_ci_u32_e32 v246, vcc_lo, v161, v246, vcc_lo
	s_delay_alu instid0(VALU_DEP_4)
	v_add_co_u32 v247, vcc_lo, v160, v247
	v_add_co_ci_u32_e32 v248, vcc_lo, v161, v248, vcc_lo
	s_waitcnt vmcnt(53)
	global_store_b128 v[229:230], v[88:91], off
	v_add_nc_u32_e32 v229, s8, v249
	v_lshlrev_b64 v[88:89], 4, v[249:250]
	s_waitcnt vmcnt(52)
	global_store_b128 v[251:252], v[84:87], off
	v_add_nc_u32_e32 v249, s8, v229
	v_ashrrev_i32_e32 v230, 31, v229
	v_add_co_u32 v253, vcc_lo, v160, v88
	v_add_co_ci_u32_e32 v254, vcc_lo, v161, v89, vcc_lo
	s_delay_alu instid0(VALU_DEP_4)
	v_add_nc_u32_e32 v171, s8, v249
	v_ashrrev_i32_e32 v250, 31, v249
	s_clause 0x1
	scratch_load_b128 v[84:87], v168, off
	scratch_load_b128 v[88:91], v170, off
	v_lshlrev_b64 v[229:230], 4, v[229:230]
	s_waitcnt vmcnt(53)
	global_store_b128 v[231:232], v[72:75], off
	v_add_nc_u32_e32 v170, s8, v171
	v_ashrrev_i32_e32 v172, 31, v171
	v_lshlrev_b64 v[249:250], 4, v[249:250]
	s_waitcnt vmcnt(52)
	global_store_b128 v[233:234], v[68:71], off
	v_add_co_u32 v229, vcc_lo, v160, v229
	v_add_nc_u32_e32 v231, s8, v170
	v_lshlrev_b64 v[72:73], 4, v[171:172]
	v_add_co_ci_u32_e32 v230, vcc_lo, v161, v230, vcc_lo
	v_add_co_u32 v249, vcc_lo, v160, v249
	s_delay_alu instid0(VALU_DEP_4)
	v_add_nc_u32_e32 v168, s8, v231
	v_ashrrev_i32_e32 v171, 31, v170
	v_add_co_ci_u32_e32 v250, vcc_lo, v161, v250, vcc_lo
	v_add_co_u32 v251, vcc_lo, v160, v72
	v_ashrrev_i32_e32 v232, 31, v231
	v_add_co_ci_u32_e32 v252, vcc_lo, v161, v73, vcc_lo
	s_clause 0x1
	scratch_load_b128 v[68:71], v166, off
	scratch_load_b128 v[72:75], v169, off
	v_ashrrev_i32_e32 v169, 31, v168
	v_add_nc_u32_e32 v233, s8, v168
	v_lshlrev_b64 v[170:171], 4, v[170:171]
	v_lshlrev_b64 v[231:232], 4, v[231:232]
	s_waitcnt vmcnt(53)
	global_store_b128 v[235:236], v[56:59], off
	v_lshlrev_b64 v[56:57], 4, v[168:169]
	v_add_nc_u32_e32 v168, s8, v233
	v_ashrrev_i32_e32 v234, 31, v233
	v_add_co_u32 v170, vcc_lo, v160, v170
	v_add_co_ci_u32_e32 v171, vcc_lo, v161, v171, vcc_lo
	v_add_co_u32 v231, vcc_lo, v160, v231
	v_add_nc_u32_e32 v166, s8, v168
	v_add_co_ci_u32_e32 v232, vcc_lo, v161, v232, vcc_lo
	v_add_co_u32 v235, vcc_lo, v160, v56
	v_ashrrev_i32_e32 v169, 31, v168
	s_waitcnt vmcnt(52)
	global_store_b128 v[237:238], v[52:55], off
	v_add_co_ci_u32_e32 v236, vcc_lo, v161, v57, vcc_lo
	s_clause 0x1
	scratch_load_b128 v[52:55], v164, off
	scratch_load_b128 v[56:59], v167, off
	v_ashrrev_i32_e32 v167, 31, v166
	v_add_nc_u32_e32 v237, s8, v166
	v_lshlrev_b64 v[233:234], 4, v[233:234]
	v_lshlrev_b64 v[168:169], 4, v[168:169]
	s_waitcnt vmcnt(53)
	global_store_b128 v[239:240], v[44:47], off
	v_lshlrev_b64 v[44:45], 4, v[166:167]
	v_add_nc_u32_e32 v166, s8, v237
	v_ashrrev_i32_e32 v238, 31, v237
	v_add_co_u32 v233, vcc_lo, v160, v233
	v_add_co_ci_u32_e32 v234, vcc_lo, v161, v234, vcc_lo
	v_add_co_u32 v168, vcc_lo, v160, v168
	v_add_nc_u32_e32 v164, s8, v166
	v_add_co_ci_u32_e32 v169, vcc_lo, v161, v169, vcc_lo
	v_ashrrev_i32_e32 v167, 31, v166
	v_add_co_u32 v239, vcc_lo, v160, v44
	s_waitcnt vmcnt(52)
	global_store_b128 v[241:242], v[36:39], off
	v_lshlrev_b64 v[237:238], 4, v[237:238]
	v_add_co_ci_u32_e32 v240, vcc_lo, v161, v45, vcc_lo
	s_clause 0x1
	scratch_load_b128 v[36:39], v162, off
	scratch_load_b128 v[44:47], v165, off
	v_ashrrev_i32_e32 v165, 31, v164
	v_lshlrev_b64 v[166:167], 4, v[166:167]
	s_waitcnt vmcnt(53)
	global_store_b128 v[243:244], v[28:31], off
	v_add_co_u32 v237, vcc_lo, v160, v237
	v_lshlrev_b64 v[28:29], 4, v[164:165]
	v_add_co_ci_u32_e32 v238, vcc_lo, v161, v238, vcc_lo
	v_add_co_u32 v166, vcc_lo, v160, v166
	v_add_co_ci_u32_e32 v167, vcc_lo, v161, v167, vcc_lo
	s_delay_alu instid0(VALU_DEP_4)
	v_add_co_u32 v243, vcc_lo, v160, v28
	s_waitcnt vmcnt(52)
	global_store_b128 v[245:246], v[24:27], off
	v_add_co_ci_u32_e32 v244, vcc_lo, v161, v29, vcc_lo
	s_clause 0x1
	scratch_load_b128 v[24:27], v255, off
	scratch_load_b128 v[28:31], v163, off
	v_add_nc_u32_e32 v241, s8, v164
	s_waitcnt vmcnt(53)
	global_store_b128 v[247:248], v[12:15], off
	s_waitcnt vmcnt(52)
	global_store_b128 v[253:254], v[8:11], off
	;; [unrolled: 2-line block ×3, first 2 shown]
	v_add_nc_u32_e32 v164, s8, v241
	v_ashrrev_i32_e32 v242, 31, v241
	s_delay_alu instid0(VALU_DEP_2) | instskip(NEXT) | instid1(VALU_DEP_2)
	v_add_nc_u32_e32 v162, s8, v164
	v_lshlrev_b64 v[241:242], 4, v[241:242]
	v_ashrrev_i32_e32 v165, 31, v164
	s_delay_alu instid0(VALU_DEP_3) | instskip(SKIP_1) | instid1(VALU_DEP_4)
	v_add_nc_u32_e32 v12, s8, v162
	v_ashrrev_i32_e32 v163, 31, v162
	v_add_co_u32 v14, vcc_lo, v160, v241
	s_delay_alu instid0(VALU_DEP_4) | instskip(NEXT) | instid1(VALU_DEP_4)
	v_lshlrev_b64 v[164:165], 4, v[164:165]
	v_add_nc_u32_e32 v241, s8, v12
	v_ashrrev_i32_e32 v13, 31, v12
	v_lshlrev_b64 v[162:163], 4, v[162:163]
	v_add_co_ci_u32_e32 v15, vcc_lo, v161, v242, vcc_lo
	s_delay_alu instid0(VALU_DEP_4)
	v_add_nc_u32_e32 v245, s8, v241
	v_add_co_u32 v164, vcc_lo, v160, v164
	v_lshlrev_b64 v[12:13], 4, v[12:13]
	v_add_co_ci_u32_e32 v165, vcc_lo, v161, v165, vcc_lo
	v_add_co_u32 v162, vcc_lo, v160, v162
	v_ashrrev_i32_e32 v246, 31, v245
	v_add_nc_u32_e32 v8, s8, v245
	v_add_co_ci_u32_e32 v163, vcc_lo, v161, v163, vcc_lo
	v_ashrrev_i32_e32 v242, 31, v241
	v_add_co_u32 v10, vcc_lo, v160, v12
	v_add_co_ci_u32_e32 v11, vcc_lo, v161, v13, vcc_lo
	v_lshlrev_b64 v[12:13], 4, v[245:246]
	v_add_nc_u32_e32 v245, s8, v8
	v_lshlrev_b64 v[241:242], 4, v[241:242]
	v_ashrrev_i32_e32 v9, 31, v8
	s_delay_alu instid0(VALU_DEP_3) | instskip(SKIP_1) | instid1(VALU_DEP_4)
	v_add_nc_u32_e32 v247, s8, v245
	v_ashrrev_i32_e32 v246, 31, v245
	v_add_co_u32 v241, vcc_lo, v160, v241
	s_delay_alu instid0(VALU_DEP_4) | instskip(NEXT) | instid1(VALU_DEP_4)
	v_lshlrev_b64 v[8:9], 4, v[8:9]
	v_add_nc_u32_e32 v0, s8, v247
	v_add_co_ci_u32_e32 v242, vcc_lo, v161, v242, vcc_lo
	v_add_co_u32 v12, vcc_lo, v160, v12
	v_lshlrev_b64 v[245:246], 4, v[245:246]
	v_add_co_ci_u32_e32 v13, vcc_lo, v161, v13, vcc_lo
	v_add_co_u32 v2, vcc_lo, v160, v8
	v_ashrrev_i32_e32 v1, 31, v0
	v_ashrrev_i32_e32 v248, 31, v247
	v_add_co_ci_u32_e32 v3, vcc_lo, v161, v9, vcc_lo
	v_add_co_u32 v229, vcc_lo, v160, v245
	v_add_co_ci_u32_e32 v230, vcc_lo, v161, v246, vcc_lo
	v_lshlrev_b64 v[245:246], 4, v[0:1]
	v_add_nc_u32_e32 v0, s8, v0
	v_lshlrev_b64 v[8:9], 4, v[247:248]
	s_waitcnt vmcnt(50)
	global_store_b128 v[249:250], v[4:7], off
	s_waitcnt vmcnt(49)
	global_store_b128 v[251:252], v[16:19], off
	s_waitcnt vmcnt(48)
	global_store_b128 v[170:171], v[20:23], off
	s_waitcnt vmcnt(47)
	global_store_b128 v[231:232], v[32:35], off
	s_waitcnt vmcnt(46)
	global_store_b128 v[235:236], v[40:43], off
	s_waitcnt vmcnt(45)
	global_store_b128 v[233:234], v[48:51], off
	s_waitcnt vmcnt(44)
	global_store_b128 v[168:169], v[60:63], off
	s_waitcnt vmcnt(43)
	global_store_b128 v[239:240], v[64:67], off
	s_waitcnt vmcnt(42)
	global_store_b128 v[237:238], v[76:79], off
	s_waitcnt vmcnt(41)
	global_store_b128 v[166:167], v[80:83], off
	s_waitcnt vmcnt(40)
	global_store_b128 v[243:244], v[92:95], off
	s_waitcnt vmcnt(39)
	global_store_b128 v[14:15], v[96:99], off
	s_waitcnt vmcnt(38)
	global_store_b128 v[164:165], v[100:103], off
	s_waitcnt vmcnt(37)
	global_store_b128 v[162:163], v[104:107], off
	s_waitcnt vmcnt(36)
	global_store_b128 v[10:11], v[108:111], off
	s_waitcnt vmcnt(35)
	global_store_b128 v[241:242], v[112:115], off
	s_waitcnt vmcnt(34)
	global_store_b128 v[12:13], v[116:119], off
	s_waitcnt vmcnt(33)
	global_store_b128 v[2:3], v[120:123], off
	s_waitcnt vmcnt(32)
	global_store_b128 v[229:230], v[124:127], off
	v_add_nc_u32_e32 v4, s8, v0
	v_ashrrev_i32_e32 v1, 31, v0
	v_add_co_u32 v2, vcc_lo, v160, v8
	v_add_co_ci_u32_e32 v3, vcc_lo, v161, v9, vcc_lo
	s_delay_alu instid0(VALU_DEP_4)
	v_add_nc_u32_e32 v8, s8, v4
	v_add_co_u32 v6, vcc_lo, v160, v245
	v_ashrrev_i32_e32 v5, 31, v4
	v_add_co_ci_u32_e32 v7, vcc_lo, v161, v246, vcc_lo
	v_lshlrev_b64 v[0:1], 4, v[0:1]
	v_ashrrev_i32_e32 v9, 31, v8
	s_waitcnt vmcnt(31)
	global_store_b128 v[2:3], v[128:131], off
	s_waitcnt vmcnt(30)
	global_store_b128 v[6:7], v[136:139], off
	v_lshlrev_b64 v[2:3], 4, v[4:5]
	v_add_nc_u32_e32 v6, s8, v8
	v_add_co_u32 v0, vcc_lo, v160, v0
	v_lshlrev_b64 v[4:5], 4, v[8:9]
	v_add_co_ci_u32_e32 v1, vcc_lo, v161, v1, vcc_lo
	v_add_co_u32 v2, vcc_lo, v160, v2
	v_add_co_ci_u32_e32 v3, vcc_lo, v161, v3, vcc_lo
	s_delay_alu instid0(VALU_DEP_4)
	v_add_co_u32 v4, vcc_lo, v160, v4
	v_add_nc_u32_e32 v8, s8, v6
	v_add_co_ci_u32_e32 v5, vcc_lo, v161, v5, vcc_lo
	v_ashrrev_i32_e32 v7, 31, v6
	s_waitcnt vmcnt(29)
	global_store_b128 v[0:1], v[132:135], off
	v_ashrrev_i32_e32 v9, 31, v8
	s_waitcnt vmcnt(28)
	global_store_b128 v[2:3], v[140:143], off
	s_waitcnt vmcnt(27)
	global_store_b128 v[4:5], v[148:151], off
	v_add_nc_u32_e32 v4, s8, v8
	v_lshlrev_b64 v[0:1], 4, v[6:7]
	v_lshlrev_b64 v[2:3], 4, v[8:9]
	s_delay_alu instid0(VALU_DEP_3) | instskip(SKIP_1) | instid1(VALU_DEP_4)
	v_add_nc_u32_e32 v6, s8, v4
	v_ashrrev_i32_e32 v5, 31, v4
	v_add_co_u32 v0, vcc_lo, v160, v0
	v_add_co_ci_u32_e32 v1, vcc_lo, v161, v1, vcc_lo
	s_delay_alu instid0(VALU_DEP_4)
	v_add_nc_u32_e32 v8, s8, v6
	v_add_co_u32 v2, vcc_lo, v160, v2
	v_ashrrev_i32_e32 v7, 31, v6
	v_lshlrev_b64 v[4:5], 4, v[4:5]
	v_add_co_ci_u32_e32 v3, vcc_lo, v161, v3, vcc_lo
	v_ashrrev_i32_e32 v9, 31, v8
	s_waitcnt vmcnt(26)
	global_store_b128 v[0:1], v[144:147], off
	s_waitcnt vmcnt(25)
	global_store_b128 v[2:3], v[156:159], off
	v_lshlrev_b64 v[0:1], 4, v[6:7]
	v_add_co_u32 v2, vcc_lo, v160, v4
	v_add_co_ci_u32_e32 v3, vcc_lo, v161, v5, vcc_lo
	v_lshlrev_b64 v[4:5], 4, v[8:9]
	v_add_nc_u32_e32 v6, s8, v8
	v_add_co_u32 v0, vcc_lo, v160, v0
	v_add_co_ci_u32_e32 v1, vcc_lo, v161, v1, vcc_lo
	s_delay_alu instid0(VALU_DEP_4) | instskip(NEXT) | instid1(VALU_DEP_4)
	v_add_co_u32 v4, vcc_lo, v160, v4
	v_add_nc_u32_e32 v8, s8, v6
	v_add_co_ci_u32_e32 v5, vcc_lo, v161, v5, vcc_lo
	v_ashrrev_i32_e32 v7, 31, v6
	s_waitcnt vmcnt(24)
	global_store_b128 v[2:3], v[152:155], off
	v_ashrrev_i32_e32 v9, 31, v8
	s_waitcnt vmcnt(23)
	global_store_b128 v[0:1], v[185:188], off
	s_waitcnt vmcnt(22)
	global_store_b128 v[4:5], v[189:192], off
	v_add_nc_u32_e32 v4, s8, v8
	v_lshlrev_b64 v[2:3], 4, v[6:7]
	v_lshlrev_b64 v[0:1], 4, v[8:9]
	s_delay_alu instid0(VALU_DEP_3) | instskip(SKIP_1) | instid1(VALU_DEP_4)
	v_add_nc_u32_e32 v6, s8, v4
	v_ashrrev_i32_e32 v5, 31, v4
	v_add_co_u32 v2, vcc_lo, v160, v2
	v_add_co_ci_u32_e32 v3, vcc_lo, v161, v3, vcc_lo
	s_delay_alu instid0(VALU_DEP_4)
	v_add_nc_u32_e32 v8, s8, v6
	v_add_co_u32 v0, vcc_lo, v160, v0
	v_ashrrev_i32_e32 v7, 31, v6
	v_lshlrev_b64 v[4:5], 4, v[4:5]
	v_add_co_ci_u32_e32 v1, vcc_lo, v161, v1, vcc_lo
	v_ashrrev_i32_e32 v9, 31, v8
	s_waitcnt vmcnt(21)
	global_store_b128 v[2:3], v[193:196], off
	s_waitcnt vmcnt(20)
	global_store_b128 v[0:1], v[197:200], off
	v_lshlrev_b64 v[0:1], 4, v[6:7]
	v_add_co_u32 v2, vcc_lo, v160, v4
	v_add_co_ci_u32_e32 v3, vcc_lo, v161, v5, vcc_lo
	v_lshlrev_b64 v[4:5], 4, v[8:9]
	v_add_nc_u32_e32 v6, s8, v8
	v_add_co_u32 v0, vcc_lo, v160, v0
	v_add_co_ci_u32_e32 v1, vcc_lo, v161, v1, vcc_lo
	s_delay_alu instid0(VALU_DEP_4) | instskip(NEXT) | instid1(VALU_DEP_4)
	;; [unrolled: 38-line block ×4, first 2 shown]
	v_add_co_u32 v4, vcc_lo, v160, v4
	v_add_nc_u32_e32 v8, s8, v6
	v_add_co_ci_u32_e32 v5, vcc_lo, v161, v5, vcc_lo
	v_ashrrev_i32_e32 v7, 31, v6
	s_waitcnt vmcnt(9)
	global_store_b128 v[2:3], v[84:87], off
	s_waitcnt vmcnt(8)
	global_store_b128 v[0:1], v[88:91], off
	;; [unrolled: 2-line block ×3, first 2 shown]
	v_add_nc_u32_e32 v4, s8, v8
	v_ashrrev_i32_e32 v9, 31, v8
	v_lshlrev_b64 v[2:3], 4, v[6:7]
	s_delay_alu instid0(VALU_DEP_3) | instskip(NEXT) | instid1(VALU_DEP_3)
	v_add_nc_u32_e32 v6, s8, v4
	v_lshlrev_b64 v[0:1], 4, v[8:9]
	v_ashrrev_i32_e32 v5, 31, v4
	s_delay_alu instid0(VALU_DEP_4)
	v_add_co_u32 v2, vcc_lo, v160, v2
	v_add_co_ci_u32_e32 v3, vcc_lo, v161, v3, vcc_lo
	v_add_nc_u32_e32 v8, s8, v6
	v_add_co_u32 v0, vcc_lo, v160, v0
	v_add_co_ci_u32_e32 v1, vcc_lo, v161, v1, vcc_lo
	v_ashrrev_i32_e32 v7, 31, v6
	s_waitcnt vmcnt(6)
	global_store_b128 v[2:3], v[72:75], off
	v_lshlrev_b64 v[2:3], 4, v[4:5]
	v_ashrrev_i32_e32 v9, 31, v8
	v_add_nc_u32_e32 v4, s8, v8
	s_waitcnt vmcnt(5)
	global_store_b128 v[0:1], v[52:55], off
	v_lshlrev_b64 v[0:1], 4, v[6:7]
	v_lshlrev_b64 v[6:7], 4, v[8:9]
	v_add_nc_u32_e32 v8, s8, v4
	v_ashrrev_i32_e32 v5, 31, v4
	v_add_co_u32 v2, vcc_lo, v160, v2
	v_add_co_ci_u32_e32 v3, vcc_lo, v161, v3, vcc_lo
	s_delay_alu instid0(VALU_DEP_4)
	v_ashrrev_i32_e32 v9, 31, v8
	v_add_co_u32 v0, vcc_lo, v160, v0
	v_lshlrev_b64 v[4:5], 4, v[4:5]
	v_add_co_ci_u32_e32 v1, vcc_lo, v161, v1, vcc_lo
	v_add_co_u32 v6, vcc_lo, v160, v6
	v_lshlrev_b64 v[8:9], 4, v[8:9]
	v_add_co_ci_u32_e32 v7, vcc_lo, v161, v7, vcc_lo
	v_add_co_u32 v4, vcc_lo, v160, v4
	v_add_co_ci_u32_e32 v5, vcc_lo, v161, v5, vcc_lo
	s_delay_alu instid0(VALU_DEP_4)
	v_add_co_u32 v8, vcc_lo, v160, v8
	v_add_co_ci_u32_e32 v9, vcc_lo, v161, v9, vcc_lo
	s_waitcnt vmcnt(4)
	global_store_b128 v[2:3], v[56:59], off
	s_waitcnt vmcnt(3)
	global_store_b128 v[0:1], v[36:39], off
	;; [unrolled: 2-line block ×5, first 2 shown]
.LBB126_1483:
	s_nop 0
	s_sendmsg sendmsg(MSG_DEALLOC_VGPRS)
	s_endpgm
	.section	.rodata,"a",@progbits
	.p2align	6, 0x0
	.amdhsa_kernel _ZN9rocsolver6v33100L18getf2_small_kernelILi64E19rocblas_complex_numIdEiiPKPS3_EEvT1_T3_lS7_lPS7_llPT2_S7_S7_S9_l
		.amdhsa_group_segment_fixed_size 0
		.amdhsa_private_segment_fixed_size 1056
		.amdhsa_kernarg_size 352
		.amdhsa_user_sgpr_count 14
		.amdhsa_user_sgpr_dispatch_ptr 0
		.amdhsa_user_sgpr_queue_ptr 0
		.amdhsa_user_sgpr_kernarg_segment_ptr 1
		.amdhsa_user_sgpr_dispatch_id 0
		.amdhsa_user_sgpr_private_segment_size 0
		.amdhsa_wavefront_size32 1
		.amdhsa_uses_dynamic_stack 0
		.amdhsa_enable_private_segment 1
		.amdhsa_system_sgpr_workgroup_id_x 1
		.amdhsa_system_sgpr_workgroup_id_y 1
		.amdhsa_system_sgpr_workgroup_id_z 0
		.amdhsa_system_sgpr_workgroup_info 0
		.amdhsa_system_vgpr_workitem_id 1
		.amdhsa_next_free_vgpr 256
		.amdhsa_next_free_sgpr 74
		.amdhsa_reserve_vcc 1
		.amdhsa_float_round_mode_32 0
		.amdhsa_float_round_mode_16_64 0
		.amdhsa_float_denorm_mode_32 3
		.amdhsa_float_denorm_mode_16_64 3
		.amdhsa_dx10_clamp 1
		.amdhsa_ieee_mode 1
		.amdhsa_fp16_overflow 0
		.amdhsa_workgroup_processor_mode 1
		.amdhsa_memory_ordered 1
		.amdhsa_forward_progress 0
		.amdhsa_shared_vgpr_count 0
		.amdhsa_exception_fp_ieee_invalid_op 0
		.amdhsa_exception_fp_denorm_src 0
		.amdhsa_exception_fp_ieee_div_zero 0
		.amdhsa_exception_fp_ieee_overflow 0
		.amdhsa_exception_fp_ieee_underflow 0
		.amdhsa_exception_fp_ieee_inexact 0
		.amdhsa_exception_int_div_zero 0
	.end_amdhsa_kernel
	.section	.text._ZN9rocsolver6v33100L18getf2_small_kernelILi64E19rocblas_complex_numIdEiiPKPS3_EEvT1_T3_lS7_lPS7_llPT2_S7_S7_S9_l,"axG",@progbits,_ZN9rocsolver6v33100L18getf2_small_kernelILi64E19rocblas_complex_numIdEiiPKPS3_EEvT1_T3_lS7_lPS7_llPT2_S7_S7_S9_l,comdat
.Lfunc_end126:
	.size	_ZN9rocsolver6v33100L18getf2_small_kernelILi64E19rocblas_complex_numIdEiiPKPS3_EEvT1_T3_lS7_lPS7_llPT2_S7_S7_S9_l, .Lfunc_end126-_ZN9rocsolver6v33100L18getf2_small_kernelILi64E19rocblas_complex_numIdEiiPKPS3_EEvT1_T3_lS7_lPS7_llPT2_S7_S7_S9_l
                                        ; -- End function
	.section	.AMDGPU.csdata,"",@progbits
; Kernel info:
; codeLenInByte = 139976
; NumSgprs: 76
; NumVgprs: 256
; ScratchSize: 1056
; MemoryBound: 0
; FloatMode: 240
; IeeeMode: 1
; LDSByteSize: 0 bytes/workgroup (compile time only)
; SGPRBlocks: 9
; VGPRBlocks: 31
; NumSGPRsForWavesPerEU: 76
; NumVGPRsForWavesPerEU: 256
; Occupancy: 5
; WaveLimiterHint : 1
; COMPUTE_PGM_RSRC2:SCRATCH_EN: 1
; COMPUTE_PGM_RSRC2:USER_SGPR: 14
; COMPUTE_PGM_RSRC2:TRAP_HANDLER: 0
; COMPUTE_PGM_RSRC2:TGID_X_EN: 1
; COMPUTE_PGM_RSRC2:TGID_Y_EN: 1
; COMPUTE_PGM_RSRC2:TGID_Z_EN: 0
; COMPUTE_PGM_RSRC2:TIDIG_COMP_CNT: 1
	.section	.text._ZN9rocsolver6v33100L23getf2_npvt_small_kernelILi64E19rocblas_complex_numIdEiiPKPS3_EEvT1_T3_lS7_lPT2_S7_S7_,"axG",@progbits,_ZN9rocsolver6v33100L23getf2_npvt_small_kernelILi64E19rocblas_complex_numIdEiiPKPS3_EEvT1_T3_lS7_lPT2_S7_S7_,comdat
	.globl	_ZN9rocsolver6v33100L23getf2_npvt_small_kernelILi64E19rocblas_complex_numIdEiiPKPS3_EEvT1_T3_lS7_lPT2_S7_S7_ ; -- Begin function _ZN9rocsolver6v33100L23getf2_npvt_small_kernelILi64E19rocblas_complex_numIdEiiPKPS3_EEvT1_T3_lS7_lPT2_S7_S7_
	.p2align	8
	.type	_ZN9rocsolver6v33100L23getf2_npvt_small_kernelILi64E19rocblas_complex_numIdEiiPKPS3_EEvT1_T3_lS7_lPT2_S7_S7_,@function
_ZN9rocsolver6v33100L23getf2_npvt_small_kernelILi64E19rocblas_complex_numIdEiiPKPS3_EEvT1_T3_lS7_lPT2_S7_S7_: ; @_ZN9rocsolver6v33100L23getf2_npvt_small_kernelILi64E19rocblas_complex_numIdEiiPKPS3_EEvT1_T3_lS7_lPT2_S7_S7_
; %bb.0:
	s_clause 0x1
	s_load_b32 s2, s[0:1], 0x44
	s_load_b64 s[10:11], s[0:1], 0x30
	v_bfe_u32 v1, v0, 10, 10
	s_waitcnt lgkmcnt(0)
	s_lshr_b32 s8, s2, 16
	s_mov_b32 s2, exec_lo
	s_delay_alu instid0(VALU_DEP_1) | instskip(NEXT) | instid1(VALU_DEP_1)
	v_mad_u64_u32 v[2:3], null, s15, s8, v[1:2]
	v_cmpx_gt_i32_e64 s10, v2
	s_cbranch_execz .LBB127_717
; %bb.1:
	s_clause 0x1
	s_load_b128 s[4:7], s[0:1], 0x8
	s_load_b32 s2, s[0:1], 0x18
	v_ashrrev_i32_e32 v3, 31, v2
	v_and_b32_e32 v254, 0x3ff, v0
	s_movk_i32 s9, 0x90
	s_movk_i32 s10, 0xa0
	;; [unrolled: 1-line block ×3, first 2 shown]
	scratch_store_b64 off, v[2:3], off offset:1776 ; 8-byte Folded Spill
	v_lshlrev_b64 v[2:3], 3, v[2:3]
	s_movk_i32 s13, 0xc0
	s_movk_i32 s14, 0xd0
	s_movk_i32 s15, 0xe0
	s_movk_i32 s16, 0xf0
	s_movk_i32 s17, 0x100
	s_movk_i32 s18, 0x110
	s_movk_i32 s19, 0x120
	s_movk_i32 s20, 0x130
	s_movk_i32 s21, 0x140
	s_movk_i32 s22, 0x150
	s_movk_i32 s23, 0x160
	s_waitcnt lgkmcnt(0)
	v_add_co_u32 v2, vcc_lo, s4, v2
	v_add_co_ci_u32_e32 v3, vcc_lo, s5, v3, vcc_lo
	v_add3_u32 v4, s2, s2, v254
	s_lshl_b64 s[4:5], s[6:7], 4
	s_ashr_i32 s3, s2, 31
	global_load_b64 v[2:3], v[2:3], off
	s_movk_i32 s6, 0x60
	v_add_nc_u32_e32 v6, s2, v4
	v_ashrrev_i32_e32 v5, 31, v4
	s_movk_i32 s7, 0x70
	s_movk_i32 s24, 0x170
	;; [unrolled: 1-line block ×3, first 2 shown]
	v_add_nc_u32_e32 v8, s2, v6
	v_ashrrev_i32_e32 v7, 31, v6
	v_lshlrev_b64 v[66:67], 4, v[4:5]
	s_movk_i32 s26, 0x190
	s_movk_i32 s27, 0x1a0
	v_add_nc_u32_e32 v10, s2, v8
	v_ashrrev_i32_e32 v9, 31, v8
	v_lshlrev_b64 v[68:69], 4, v[6:7]
	s_movk_i32 s28, 0x1b0
	s_movk_i32 s29, 0x1c0
	;; [unrolled: 5-line block ×3, first 2 shown]
	v_add_nc_u32_e32 v14, s2, v12
	v_lshlrev_b64 v[76:77], 4, v[10:11]
	v_ashrrev_i32_e32 v13, 31, v12
	s_movk_i32 s33, 0x1f0
	s_movk_i32 s34, 0x200
	v_add_nc_u32_e32 v34, s2, v14
	v_ashrrev_i32_e32 v15, 31, v14
	v_lshlrev_b64 v[78:79], 4, v[12:13]
	s_movk_i32 s35, 0x210
	s_movk_i32 s36, 0x220
	v_add_nc_u32_e32 v36, s2, v34
	v_lshlrev_b64 v[4:5], 4, v[14:15]
	v_ashrrev_i32_e32 v35, 31, v34
	s_movk_i32 s37, 0x230
	s_movk_i32 s38, 0x240
	v_add_nc_u32_e32 v38, s2, v36
	v_ashrrev_i32_e32 v37, 31, v36
	v_lshlrev_b64 v[6:7], 4, v[34:35]
	s_movk_i32 s39, 0x250
	s_movk_i32 s40, 0x260
	v_add_nc_u32_e32 v40, s2, v38
	v_ashrrev_i32_e32 v39, 31, v38
	v_lshlrev_b64 v[12:13], 4, v[36:37]
	;; [unrolled: 5-line block ×5, first 2 shown]
	s_movk_i32 s47, 0x2d0
	s_movk_i32 s48, 0x2e0
	v_add_nc_u32_e32 v24, s2, v18
	v_lshlrev_b64 v[41:42], 4, v[16:17]
	v_ashrrev_i32_e32 v19, 31, v18
	s_movk_i32 s49, 0x2f0
	s_movk_i32 s50, 0x300
	v_add_nc_u32_e32 v22, s2, v24
	v_ashrrev_i32_e32 v25, 31, v24
	v_lshlrev_b64 v[82:83], 4, v[18:19]
	s_movk_i32 s51, 0x310
	s_movk_i32 s52, 0x320
	v_add_nc_u32_e32 v20, s2, v22
	v_lshlrev_b64 v[84:85], 4, v[24:25]
	v_ashrrev_i32_e32 v23, 31, v22
	s_movk_i32 s53, 0x330
	s_movk_i32 s54, 0x340
	v_add_nc_u32_e32 v27, s2, v20
	v_ashrrev_i32_e32 v21, 31, v20
	v_lshlrev_b64 v[86:87], 4, v[22:23]
	;; [unrolled: 10-line block ×3, first 2 shown]
	s_movk_i32 s59, 0x390
	s_movk_i32 s60, 0x3a0
	v_add_nc_u32_e32 v26, s2, v29
	v_ashrrev_i32_e32 v30, 31, v29
	v_lshlrev_b64 v[94:95], 4, v[31:32]
	s_movk_i32 s61, 0x3b0
	s_movk_i32 s62, 0x3c0
	v_add_nc_u32_e32 v33, s2, v26
	v_lshlrev_b64 v[98:99], 4, v[29:30]
	v_ashrrev_i32_e32 v27, 31, v26
	s_movk_i32 s63, 0x3d0
	s_movk_i32 s64, 0x3e0
	v_add_nc_u32_e32 v44, s2, v33
	v_ashrrev_i32_e32 v34, 31, v33
	v_lshlrev_b64 v[102:103], 4, v[26:27]
	s_movk_i32 s65, 0x3f0
	s_delay_alu instid0(VALU_DEP_3) | instskip(NEXT) | instid1(VALU_DEP_3)
	v_add_nc_u32_e32 v46, s2, v44
	v_lshlrev_b64 v[104:105], 4, v[33:34]
	v_ashrrev_i32_e32 v45, 31, v44
	s_delay_alu instid0(VALU_DEP_3) | instskip(SKIP_1) | instid1(VALU_DEP_3)
	v_add_nc_u32_e32 v48, s2, v46
	v_ashrrev_i32_e32 v47, 31, v46
	v_lshlrev_b64 v[106:107], 4, v[44:45]
	s_delay_alu instid0(VALU_DEP_3) | instskip(SKIP_1) | instid1(VALU_DEP_4)
	v_add_nc_u32_e32 v50, s2, v48
	v_ashrrev_i32_e32 v49, 31, v48
	v_lshlrev_b64 v[108:109], 4, v[46:47]
	s_delay_alu instid0(VALU_DEP_3) | instskip(SKIP_1) | instid1(VALU_DEP_4)
	;; [unrolled: 4-line block ×13, first 2 shown]
	v_ashrrev_i32_e32 v36, 31, v35
	v_add_nc_u32_e32 v37, s2, v35
	v_lshlrev_b64 v[80:81], 4, v[80:81]
	s_delay_alu instid0(VALU_DEP_3) | instskip(NEXT) | instid1(VALU_DEP_3)
	v_lshlrev_b64 v[122:123], 4, v[35:36]
	v_add_nc_u32_e32 v39, s2, v37
	v_ashrrev_i32_e32 v38, 31, v37
	s_delay_alu instid0(VALU_DEP_2) | instskip(SKIP_1) | instid1(VALU_DEP_3)
	v_add_nc_u32_e32 v43, s2, v39
	v_ashrrev_i32_e32 v40, 31, v39
	v_lshlrev_b64 v[36:37], 4, v[37:38]
	s_delay_alu instid0(VALU_DEP_3) | instskip(SKIP_1) | instid1(VALU_DEP_4)
	v_add_nc_u32_e32 v88, s2, v43
	v_ashrrev_i32_e32 v44, 31, v43
	v_lshlrev_b64 v[38:39], 4, v[39:40]
	s_delay_alu instid0(VALU_DEP_3) | instskip(SKIP_1) | instid1(VALU_DEP_4)
	v_add_nc_u32_e32 v96, s2, v88
	v_ashrrev_i32_e32 v89, 31, v88
	v_lshlrev_b64 v[43:44], 4, v[43:44]
	s_delay_alu instid0(VALU_DEP_3) | instskip(SKIP_1) | instid1(VALU_DEP_2)
	v_add_nc_u32_e32 v100, s2, v96
	v_ashrrev_i32_e32 v97, 31, v96
	v_add_nc_u32_e32 v45, s2, v100
	v_ashrrev_i32_e32 v101, 31, v100
	s_delay_alu instid0(VALU_DEP_2) | instskip(SKIP_1) | instid1(VALU_DEP_2)
	v_add_nc_u32_e32 v47, s2, v45
	v_ashrrev_i32_e32 v46, 31, v45
	v_add_nc_u32_e32 v53, s2, v47
	v_ashrrev_i32_e32 v48, 31, v47
	s_delay_alu instid0(VALU_DEP_3) | instskip(NEXT) | instid1(VALU_DEP_3)
	v_lshlrev_b64 v[45:46], 4, v[45:46]
	v_add_nc_u32_e32 v55, s2, v53
	v_ashrrev_i32_e32 v54, 31, v53
	s_delay_alu instid0(VALU_DEP_4) | instskip(NEXT) | instid1(VALU_DEP_3)
	v_lshlrev_b64 v[47:48], 4, v[47:48]
	v_add_nc_u32_e32 v61, s2, v55
	v_ashrrev_i32_e32 v56, 31, v55
	s_delay_alu instid0(VALU_DEP_4) | instskip(NEXT) | instid1(VALU_DEP_3)
	;; [unrolled: 4-line block ×4, first 2 shown]
	v_lshlrev_b64 v[61:62], 4, v[61:62]
	v_add_nc_u32_e32 v120, s2, v65
	s_delay_alu instid0(VALU_DEP_3) | instskip(NEXT) | instid1(VALU_DEP_2)
	v_lshlrev_b64 v[63:64], 4, v[63:64]
	v_add_nc_u32_e32 v124, s2, v120
	v_ashrrev_i32_e32 v121, 31, v120
	s_delay_alu instid0(VALU_DEP_2) | instskip(NEXT) | instid1(VALU_DEP_2)
	v_ashrrev_i32_e32 v125, 31, v124
	v_lshlrev_b64 v[120:121], 4, v[120:121]
	s_waitcnt vmcnt(0)
	v_add_co_u32 v0, vcc_lo, v2, s4
	v_add_co_ci_u32_e32 v138, vcc_lo, s5, v3, vcc_lo
	v_add_nc_u32_e32 v2, s2, v124
	s_delay_alu instid0(VALU_DEP_3) | instskip(NEXT) | instid1(VALU_DEP_3)
	v_add_co_u32 v16, vcc_lo, v0, v66
	v_add_co_ci_u32_e32 v17, vcc_lo, v138, v67, vcc_lo
	v_add_co_u32 v20, vcc_lo, v0, v68
	v_add_co_ci_u32_e32 v21, vcc_lo, v138, v69, vcc_lo
	;; [unrolled: 2-line block ×21, first 2 shown]
	scratch_store_b64 off, v[16:17], off offset:1304 ; 8-byte Folded Spill
	global_load_b128 v[16:19], v[16:17], off
	s_clause 0x3
	scratch_store_b64 off, v[20:21], off offset:1296
	scratch_store_b64 off, v[24:25], off offset:1288
	;; [unrolled: 1-line block ×4, first 2 shown]
	s_clause 0x3
	global_load_b128 v[20:23], v[20:21], off
	global_load_b128 v[24:27], v[24:25], off
	;; [unrolled: 1-line block ×4, first 2 shown]
	v_add_co_u32 v90, vcc_lo, v0, v106
	v_add_co_ci_u32_e32 v91, vcc_lo, v138, v107, vcc_lo
	v_add_co_u32 v92, vcc_lo, v0, v108
	v_add_co_ci_u32_e32 v93, vcc_lo, v138, v109, vcc_lo
	;; [unrolled: 2-line block ×16, first 2 shown]
	v_lshlrev_b64 v[72:73], 4, v[88:89]
	v_add_co_u32 v161, vcc_lo, v0, v38
	v_add_co_ci_u32_e32 v162, vcc_lo, v138, v39, vcc_lo
	v_lshlrev_b64 v[76:77], 4, v[96:97]
	v_add_co_u32 v165, vcc_lo, v0, v43
	v_add_co_ci_u32_e32 v166, vcc_lo, v138, v44, vcc_lo
	;; [unrolled: 3-line block ×3, first 2 shown]
	v_add_co_u32 v169, vcc_lo, v0, v76
	v_add_co_ci_u32_e32 v170, vcc_lo, v138, v77, vcc_lo
	v_add_co_u32 v173, vcc_lo, v0, v96
	v_add_co_ci_u32_e32 v174, vcc_lo, v138, v97, vcc_lo
	;; [unrolled: 2-line block ×4, first 2 shown]
	v_add_co_u32 v181, vcc_lo, v0, v53
	v_ashrrev_i32_e32 v66, 31, v65
	v_add_nc_u32_e32 v67, s2, v2
	v_add_co_ci_u32_e32 v182, vcc_lo, v138, v54, vcc_lo
	v_add_co_u32 v183, vcc_lo, v0, v55
	v_add_co_ci_u32_e32 v184, vcc_lo, v138, v56, vcc_lo
	v_lshlrev_b64 v[65:66], 4, v[65:66]
	v_add_co_u32 v185, vcc_lo, v0, v61
	v_add_nc_u32_e32 v78, s2, v67
	v_add_co_ci_u32_e32 v186, vcc_lo, v138, v62, vcc_lo
	v_add_co_u32 v189, vcc_lo, v0, v63
	v_ashrrev_i32_e32 v3, 31, v2
	v_add_co_ci_u32_e32 v190, vcc_lo, v138, v64, vcc_lo
	v_add_nc_u32_e32 v88, s2, v78
	v_lshlrev_b64 v[124:125], 4, v[124:125]
	v_add_co_u32 v191, vcc_lo, v0, v65
	v_ashrrev_i32_e32 v68, 31, v67
	v_add_co_ci_u32_e32 v192, vcc_lo, v138, v66, vcc_lo
	v_lshlrev_b64 v[2:3], 4, v[2:3]
	v_add_co_u32 v193, vcc_lo, v0, v120
	v_ashrrev_i32_e32 v79, 31, v78
	v_add_nc_u32_e32 v100, s2, v88
	v_add_co_ci_u32_e32 v194, vcc_lo, v138, v121, vcc_lo
	v_lshlrev_b64 v[67:68], 4, v[67:68]
	v_add_co_u32 v124, vcc_lo, v0, v124
	v_ashrrev_i32_e32 v89, 31, v88
	v_add_co_ci_u32_e32 v125, vcc_lo, v138, v125, vcc_lo
	v_lshlrev_b64 v[78:79], 4, v[78:79]
	v_add_co_u32 v197, vcc_lo, v0, v2
	v_ashrrev_i32_e32 v101, 31, v100
	v_add_co_ci_u32_e32 v198, vcc_lo, v138, v3, vcc_lo
	v_lshlrev_b64 v[88:89], 4, v[88:89]
	v_add_co_u32 v199, vcc_lo, v0, v67
	s_clause 0x1
	scratch_store_b64 off, v[4:5], off offset:1728
	scratch_store_b64 off, v[6:7], off offset:1712
	s_clause 0x1
	global_load_b128 v[2:5], v[4:5], off
	global_load_b128 v[6:9], v[6:7], off
	v_add_co_ci_u32_e32 v200, vcc_lo, v138, v68, vcc_lo
	v_add_nc_u32_e32 v126, s2, v100
	v_lshlrev_b64 v[100:101], 4, v[100:101]
	v_add_co_u32 v203, vcc_lo, v0, v78
	s_clause 0x3
	scratch_store_b64 off, v[12:13], off offset:1696
	scratch_store_b64 off, v[209:210], off offset:1688
	;; [unrolled: 1-line block ×4, first 2 shown]
	s_clause 0x4
	global_load_b128 v[10:13], v[12:13], off
	global_load_b128 v[36:39], v[209:210], off
	global_load_b128 v[40:43], v[201:202], off
	global_load_b128 v[44:47], v[195:196], off
	global_load_b128 v[48:51], v[187:188], off
	v_add_co_ci_u32_e32 v204, vcc_lo, v138, v79, vcc_lo
	s_clause 0x1
	global_load_b128 v[52:55], v[179:180], off
	global_load_b128 v[56:59], v[171:172], off
	v_add_co_u32 v205, vcc_lo, v0, v88
	s_clause 0x3
	global_load_b128 v[60:63], v[163:164], off
	global_load_b128 v[64:67], v[155:156], off
	;; [unrolled: 1-line block ×4, first 2 shown]
	v_add_co_ci_u32_e32 v206, vcc_lo, v138, v89, vcc_lo
	s_clause 0x1
	global_load_b128 v[72:75], v[86:87], off
	global_load_b128 v[76:79], v[84:85], off
	v_add_co_u32 v207, vcc_lo, v0, v100
	s_clause 0x9
	scratch_store_b64 off, v[86:87], off offset:1400
	scratch_store_b64 off, v[141:142], off offset:1408
	;; [unrolled: 1-line block ×10, first 2 shown]
	s_clause 0x1
	global_load_b128 v[80:83], v[82:83], off
	global_load_b128 v[84:87], v[14:15], off
	s_clause 0x2
	scratch_store_b64 off, v[14:15], off offset:1312
	scratch_store_b64 off, v[90:91], off offset:1320
	;; [unrolled: 1-line block ×3, first 2 shown]
	s_clause 0x1
	global_load_b128 v[88:91], v[90:91], off
	global_load_b128 v[92:95], v[92:93], off
	v_add_co_ci_u32_e32 v208, vcc_lo, v138, v101, vcc_lo
	s_clause 0x5
	global_load_b128 v[96:99], v[98:99], off
	global_load_b128 v[100:103], v[102:103], off
	;; [unrolled: 1-line block ×6, first 2 shown]
	s_clause 0x5
	scratch_store_b64 off, v[187:188], off offset:1592
	scratch_store_b64 off, v[179:180], off offset:1560
	;; [unrolled: 1-line block ×6, first 2 shown]
	v_add_nc_u32_e32 v128, s2, v126
	v_ashrrev_i32_e32 v127, 31, v126
	v_lshlrev_b32_e32 v188, 10, v1
	s_movk_i32 s5, 0x50
	s_waitcnt vmcnt(29)
	scratch_store_b128 off, v[16:19], off offset:32
	s_waitcnt vmcnt(28)
	s_clause 0x1
	scratch_store_b128 off, v[20:23], off offset:48
	scratch_store_b64 off, v[143:144], off offset:1416
	s_clause 0x1
	global_load_b128 v[14:17], v[143:144], off
	global_load_b128 v[18:21], v[145:146], off
	scratch_store_b64 off, v[145:146], off offset:1424 ; 8-byte Folded Spill
	s_waitcnt vmcnt(29)
	s_clause 0x1
	scratch_store_b128 off, v[24:27], off offset:64
	scratch_store_b64 off, v[149:150], off offset:1440
	global_load_b128 v[22:25], v[149:150], off
	s_waitcnt vmcnt(29)
	s_clause 0x1
	scratch_store_b128 off, v[28:31], off offset:80
	scratch_store_b64 off, v[151:152], off offset:1448
	global_load_b128 v[26:29], v[151:152], off
	;; [unrolled: 5-line block ×3, first 2 shown]
	v_add_nc_u32_e32 v130, s2, v128
	v_ashrrev_i32_e32 v129, 31, v128
	v_lshlrev_b64 v[126:127], 4, v[126:127]
	v_lshlrev_b32_e32 v34, 4, v254
	s_waitcnt vmcnt(29)
	s_clause 0x1
	scratch_store_b128 off, v[2:5], off offset:112
	scratch_store_b64 off, v[157:158], off offset:1472
	v_add_nc_u32_e32 v132, s2, v130
	v_ashrrev_i32_e32 v131, 31, v130
	v_lshlrev_b64 v[128:129], 4, v[128:129]
	v_add_co_u32 v126, vcc_lo, v0, v126
	s_delay_alu instid0(VALU_DEP_4) | instskip(SKIP_3) | instid1(VALU_DEP_4)
	v_add_nc_u32_e32 v134, s2, v132
	v_ashrrev_i32_e32 v133, 31, v132
	v_lshlrev_b64 v[130:131], 4, v[130:131]
	v_add_co_ci_u32_e32 v127, vcc_lo, v138, v127, vcc_lo
	v_add_nc_u32_e32 v136, s2, v134
	v_ashrrev_i32_e32 v135, 31, v134
	v_lshlrev_b64 v[132:133], 4, v[132:133]
	v_add_co_u32 v128, vcc_lo, v0, v128
	s_delay_alu instid0(VALU_DEP_4)
	v_ashrrev_i32_e32 v137, 31, v136
	v_add_co_ci_u32_e32 v129, vcc_lo, v138, v129, vcc_lo
	v_lshlrev_b64 v[134:135], 4, v[134:135]
	v_add_co_u32 v130, vcc_lo, v0, v130
	v_add_co_ci_u32_e32 v131, vcc_lo, v138, v131, vcc_lo
	v_lshlrev_b64 v[136:137], 4, v[136:137]
	v_add_co_u32 v132, vcc_lo, v0, v132
	v_add_co_ci_u32_e32 v133, vcc_lo, v138, v133, vcc_lo
	v_add_co_u32 v134, vcc_lo, v0, v134
	v_add_co_ci_u32_e32 v135, vcc_lo, v138, v135, vcc_lo
	v_add_co_u32 v136, vcc_lo, v0, v136
	global_load_b128 v[2:5], v[157:158], off
	s_waitcnt vmcnt(29)
	scratch_store_b128 off, v[6:9], off offset:128
	s_waitcnt vmcnt(28)
	s_clause 0x1
	scratch_store_b128 off, v[10:13], off offset:144
	scratch_store_b64 off, v[159:160], off offset:1480
	v_add_co_ci_u32_e32 v137, vcc_lo, v138, v137, vcc_lo
	s_clause 0x1
	global_load_b128 v[6:9], v[159:160], off
	global_load_b128 v[10:13], v[161:162], off
	scratch_store_b64 off, v[161:162], off offset:1488 ; 8-byte Folded Spill
	s_waitcnt vmcnt(29)
	scratch_store_b128 off, v[36:39], off offset:160
	s_waitcnt vmcnt(28)
	s_clause 0x1
	scratch_store_b128 off, v[40:43], off offset:176
	scratch_store_b64 off, v[165:166], off offset:1504
	v_add_co_u32 v139, vcc_lo, v0, v34
	s_clause 0x1
	global_load_b128 v[34:37], v[165:166], off
	global_load_b128 v[38:41], v[167:168], off
	scratch_store_b64 off, v[167:168], off offset:1512 ; 8-byte Folded Spill
	s_waitcnt vmcnt(29)
	scratch_store_b128 off, v[44:47], off offset:192
	s_waitcnt vmcnt(28)
	s_clause 0x1
	scratch_store_b128 off, v[48:51], off offset:208
	scratch_store_b64 off, v[169:170], off offset:1520
	s_clause 0x1
	global_load_b128 v[42:45], v[169:170], off
	global_load_b128 v[46:49], v[173:174], off
	scratch_store_b64 off, v[173:174], off offset:1536 ; 8-byte Folded Spill
	s_waitcnt vmcnt(29)
	scratch_store_b128 off, v[52:55], off offset:224
	s_waitcnt vmcnt(28)
	s_clause 0x1
	scratch_store_b128 off, v[56:59], off offset:240
	scratch_store_b64 off, v[175:176], off offset:1544
	;; [unrolled: 10-line block ×6, first 2 shown]
	v_add_co_ci_u32_e32 v140, vcc_lo, 0, v138, vcc_lo
	s_clause 0x1
	global_load_b128 v[82:85], v[124:125], off
	global_load_b128 v[86:89], v[197:198], off
	scratch_store_b64 off, v[197:198], off offset:1640 ; 8-byte Folded Spill
	s_waitcnt vmcnt(28)
	scratch_store_b128 off, v[92:95], off offset:384
	s_waitcnt vmcnt(27)
	s_clause 0x1
	scratch_store_b128 off, v[96:99], off offset:400
	scratch_store_b64 off, v[199:200], off offset:1648
	s_lshl_b64 s[2:3], s[2:3], 4
	s_clause 0x1
	global_load_b128 v[90:93], v[199:200], off
	global_load_b128 v[94:97], v[203:204], off
	scratch_store_b64 off, v[203:204], off offset:1664 ; 8-byte Folded Spill
	s_waitcnt vmcnt(28)
	scratch_store_b128 off, v[100:103], off offset:416
	s_waitcnt vmcnt(27)
	s_clause 0x1
	scratch_store_b128 off, v[104:107], off offset:432
	scratch_store_b64 off, v[205:206], off offset:1672
	s_clause 0x1
	global_load_b128 v[98:101], v[205:206], off
	global_load_b128 v[102:105], v[207:208], off
	scratch_store_b64 off, v[207:208], off offset:1680 ; 8-byte Folded Spill
	s_waitcnt vmcnt(28)
	scratch_store_b128 off, v[108:111], off offset:448
	s_waitcnt vmcnt(27)
	s_clause 0x1
	scratch_store_b128 off, v[112:115], off offset:464
	scratch_store_b64 off, v[126:127], off offset:1704
	s_clause 0x1
	global_load_b128 v[106:109], v[126:127], off
	global_load_b128 v[110:113], v[128:129], off
	scratch_store_b64 off, v[128:129], off offset:1720 ; 8-byte Folded Spill
	s_waitcnt vmcnt(28)
	s_clause 0x2
	scratch_store_b128 off, v[116:119], off offset:480
	scratch_store_b128 off, v[120:123], off offset:496
	scratch_store_b64 off, v[130:131], off offset:1736
	v_add_co_u32 v122, vcc_lo, v139, s2
	v_add_co_ci_u32_e32 v123, vcc_lo, s3, v140, vcc_lo
	s_clause 0x1
	global_load_b128 v[114:117], v[130:131], off
	global_load_b128 v[118:121], v[132:133], off
	scratch_store_b64 off, v[132:133], off offset:1744 ; 8-byte Folded Spill
	v_lshlrev_b32_e32 v0, 4, v1
	s_lshl_b32 s2, s8, 10
	v_cmp_ne_u32_e64 s3, 0, v254
	s_movk_i32 s8, 0x80
	s_waitcnt vmcnt(29)
	scratch_store_b128 off, v[14:17], off offset:512
	s_waitcnt vmcnt(28)
	s_clause 0x1
	scratch_store_b128 off, v[18:21], off offset:528
	scratch_store_b64 off, v[134:135], off offset:1752
	s_clause 0x1
	global_load_b128 v[14:17], v[134:135], off
	global_load_b128 v[18:21], v[136:137], off
	scratch_store_b64 off, v[136:137], off offset:1760 ; 8-byte Folded Spill
	s_waitcnt vmcnt(29)
	scratch_store_b128 off, v[22:25], off offset:544
	s_waitcnt vmcnt(28)
	scratch_store_b128 off, v[26:29], off offset:560
	s_waitcnt vmcnt(27)
	s_clause 0x1
	scratch_store_b128 off, v[30:33], off offset:576
	scratch_store_b64 off, v[139:140], off offset:1172
	s_clause 0x1
	global_load_b128 v[22:25], v[139:140], off
	global_load_b128 v[26:29], v[122:123], off
	v_add3_u32 v0, 0, s2, v0
	scratch_store_b64 off, v[122:123], off offset:1768 ; 8-byte Folded Spill
	v_cmp_eq_u32_e64 s2, 0, v254
	scratch_store_b32 off, v0, off offset:1024 ; 4-byte Folded Spill
	v_mov_b32_e32 v0, 0
	s_waitcnt vmcnt(28)
	scratch_store_b128 off, v[2:5], off offset:592
	s_waitcnt vmcnt(27)
	scratch_store_b128 off, v[6:9], off offset:608
	;; [unrolled: 2-line block ×27, first 2 shown]
	v_add3_u32 v10, v188, 0, 16
	s_waitcnt vmcnt(1)
	scratch_store_b128 off, v[22:25], off
	s_waitcnt vmcnt(0)
	scratch_store_b128 off, v[26:29], off offset:16
	s_and_saveexec_b32 s66, s2
	s_cbranch_execz .LBB127_10
; %bb.2:
	s_clause 0x1
	scratch_load_b64 v[1:2], off, off offset:1172
	scratch_load_b32 v5, off, off offset:1024
	s_movk_i32 s4, 0xfc10
	s_waitcnt vmcnt(1)
	global_load_b128 v[1:4], v[1:2], off
	s_waitcnt vmcnt(0)
	ds_store_2addr_b64 v5, v[1:2], v[3:4] offset1:1
.LBB127_3:                              ; =>This Inner Loop Header: Depth=1
	v_readfirstlane_b32 s67, v0
	v_add_nc_u32_e32 v9, s4, v10
	s_delay_alu instid0(VALU_DEP_2)
	s_add_i32 s67, s67, s4
	s_addk_i32 s4, 0x90
	s_add_i32 s68, s67, 0x400
	s_add_i32 s69, s67, 0x410
	;; [unrolled: 1-line block ×8, first 2 shown]
	s_addk_i32 s67, 0x480
	s_clause 0x8
	scratch_load_b128 v[1:4], off, s68
	scratch_load_b128 v[5:8], off, s69
	;; [unrolled: 1-line block ×9, first 2 shown]
	s_cmp_eq_u32 s4, 0
	s_waitcnt vmcnt(8)
	ds_store_2addr_b64 v9, v[1:2], v[3:4] offset0:126 offset1:127
	s_waitcnt vmcnt(7)
	ds_store_2addr_b64 v9, v[5:6], v[7:8] offset0:128 offset1:129
	;; [unrolled: 2-line block ×9, first 2 shown]
	s_cbranch_scc0 .LBB127_3
; %bb.4:
	scratch_load_b32 v0, off, off offset:1024 ; 4-byte Folded Reload
	s_waitcnt vmcnt(0)
	ds_load_2addr_b64 v[0:3], v0 offset1:1
	s_waitcnt lgkmcnt(0)
	v_cmp_neq_f64_e32 vcc_lo, 0, v[0:1]
	v_cmp_neq_f64_e64 s4, 0, v[2:3]
	s_delay_alu instid0(VALU_DEP_1) | instskip(NEXT) | instid1(SALU_CYCLE_1)
	s_or_b32 s4, vcc_lo, s4
	s_and_b32 exec_lo, exec_lo, s4
	s_cbranch_execz .LBB127_10
; %bb.5:
	v_cmp_gt_f64_e32 vcc_lo, 0, v[0:1]
	v_cmp_gt_f64_e64 s4, 0, v[2:3]
	v_xor_b32_e32 v4, 0x80000000, v1
	v_xor_b32_e32 v6, 0x80000000, v3
                                        ; implicit-def: $vgpr8_vgpr9
	s_delay_alu instid0(VALU_DEP_2) | instskip(NEXT) | instid1(VALU_DEP_2)
	v_cndmask_b32_e32 v5, v1, v4, vcc_lo
	v_cndmask_b32_e64 v7, v3, v6, s4
	v_cndmask_b32_e32 v4, v0, v0, vcc_lo
	v_cndmask_b32_e64 v6, v2, v2, s4
	s_mov_b32 s4, exec_lo
	s_delay_alu instid0(VALU_DEP_1)
	v_cmpx_ngt_f64_e32 v[4:5], v[6:7]
	s_xor_b32 s4, exec_lo, s4
                                        ; implicit-def: $vgpr4_vgpr5_vgpr6_vgpr7
	s_cbranch_execz .LBB127_7
; %bb.6:
	v_div_scale_f64 v[4:5], null, v[2:3], v[2:3], v[0:1]
	v_div_scale_f64 v[11:12], vcc_lo, v[0:1], v[2:3], v[0:1]
	s_delay_alu instid0(VALU_DEP_2) | instskip(SKIP_2) | instid1(VALU_DEP_1)
	v_rcp_f64_e32 v[6:7], v[4:5]
	s_waitcnt_depctr 0xfff
	v_fma_f64 v[8:9], -v[4:5], v[6:7], 1.0
	v_fma_f64 v[6:7], v[6:7], v[8:9], v[6:7]
	s_delay_alu instid0(VALU_DEP_1) | instskip(NEXT) | instid1(VALU_DEP_1)
	v_fma_f64 v[8:9], -v[4:5], v[6:7], 1.0
	v_fma_f64 v[6:7], v[6:7], v[8:9], v[6:7]
	s_delay_alu instid0(VALU_DEP_1) | instskip(NEXT) | instid1(VALU_DEP_1)
	v_mul_f64 v[8:9], v[11:12], v[6:7]
	v_fma_f64 v[4:5], -v[4:5], v[8:9], v[11:12]
	s_delay_alu instid0(VALU_DEP_1) | instskip(NEXT) | instid1(VALU_DEP_1)
	v_div_fmas_f64 v[4:5], v[4:5], v[6:7], v[8:9]
	v_div_fixup_f64 v[4:5], v[4:5], v[2:3], v[0:1]
	s_delay_alu instid0(VALU_DEP_1) | instskip(NEXT) | instid1(VALU_DEP_1)
	v_fma_f64 v[0:1], v[0:1], v[4:5], v[2:3]
	v_div_scale_f64 v[2:3], null, v[0:1], v[0:1], 1.0
	s_delay_alu instid0(VALU_DEP_1) | instskip(SKIP_2) | instid1(VALU_DEP_1)
	v_rcp_f64_e32 v[6:7], v[2:3]
	s_waitcnt_depctr 0xfff
	v_fma_f64 v[8:9], -v[2:3], v[6:7], 1.0
	v_fma_f64 v[6:7], v[6:7], v[8:9], v[6:7]
	s_delay_alu instid0(VALU_DEP_1) | instskip(NEXT) | instid1(VALU_DEP_1)
	v_fma_f64 v[8:9], -v[2:3], v[6:7], 1.0
	v_fma_f64 v[6:7], v[6:7], v[8:9], v[6:7]
	v_div_scale_f64 v[8:9], vcc_lo, 1.0, v[0:1], 1.0
	s_delay_alu instid0(VALU_DEP_1) | instskip(NEXT) | instid1(VALU_DEP_1)
	v_mul_f64 v[11:12], v[8:9], v[6:7]
	v_fma_f64 v[2:3], -v[2:3], v[11:12], v[8:9]
	s_delay_alu instid0(VALU_DEP_1) | instskip(NEXT) | instid1(VALU_DEP_1)
	v_div_fmas_f64 v[2:3], v[2:3], v[6:7], v[11:12]
	v_div_fixup_f64 v[6:7], v[2:3], v[0:1], 1.0
                                        ; implicit-def: $vgpr0_vgpr1
	s_delay_alu instid0(VALU_DEP_1)
	v_mul_f64 v[8:9], v[4:5], v[6:7]
	v_xor_b32_e32 v7, 0x80000000, v7
.LBB127_7:
	s_and_not1_saveexec_b32 s4, s4
	s_cbranch_execz .LBB127_9
; %bb.8:
	v_div_scale_f64 v[4:5], null, v[0:1], v[0:1], v[2:3]
	v_div_scale_f64 v[11:12], vcc_lo, v[2:3], v[0:1], v[2:3]
	s_delay_alu instid0(VALU_DEP_2) | instskip(SKIP_2) | instid1(VALU_DEP_1)
	v_rcp_f64_e32 v[6:7], v[4:5]
	s_waitcnt_depctr 0xfff
	v_fma_f64 v[8:9], -v[4:5], v[6:7], 1.0
	v_fma_f64 v[6:7], v[6:7], v[8:9], v[6:7]
	s_delay_alu instid0(VALU_DEP_1) | instskip(NEXT) | instid1(VALU_DEP_1)
	v_fma_f64 v[8:9], -v[4:5], v[6:7], 1.0
	v_fma_f64 v[6:7], v[6:7], v[8:9], v[6:7]
	s_delay_alu instid0(VALU_DEP_1) | instskip(NEXT) | instid1(VALU_DEP_1)
	v_mul_f64 v[8:9], v[11:12], v[6:7]
	v_fma_f64 v[4:5], -v[4:5], v[8:9], v[11:12]
	s_delay_alu instid0(VALU_DEP_1) | instskip(NEXT) | instid1(VALU_DEP_1)
	v_div_fmas_f64 v[4:5], v[4:5], v[6:7], v[8:9]
	v_div_fixup_f64 v[4:5], v[4:5], v[0:1], v[2:3]
	s_delay_alu instid0(VALU_DEP_1) | instskip(NEXT) | instid1(VALU_DEP_1)
	v_fma_f64 v[0:1], v[2:3], v[4:5], v[0:1]
	v_div_scale_f64 v[2:3], null, v[0:1], v[0:1], 1.0
	s_delay_alu instid0(VALU_DEP_1) | instskip(SKIP_2) | instid1(VALU_DEP_1)
	v_rcp_f64_e32 v[6:7], v[2:3]
	s_waitcnt_depctr 0xfff
	v_fma_f64 v[8:9], -v[2:3], v[6:7], 1.0
	v_fma_f64 v[6:7], v[6:7], v[8:9], v[6:7]
	s_delay_alu instid0(VALU_DEP_1) | instskip(NEXT) | instid1(VALU_DEP_1)
	v_fma_f64 v[8:9], -v[2:3], v[6:7], 1.0
	v_fma_f64 v[6:7], v[6:7], v[8:9], v[6:7]
	v_div_scale_f64 v[8:9], vcc_lo, 1.0, v[0:1], 1.0
	s_delay_alu instid0(VALU_DEP_1) | instskip(NEXT) | instid1(VALU_DEP_1)
	v_mul_f64 v[11:12], v[8:9], v[6:7]
	v_fma_f64 v[2:3], -v[2:3], v[11:12], v[8:9]
	s_delay_alu instid0(VALU_DEP_1) | instskip(NEXT) | instid1(VALU_DEP_1)
	v_div_fmas_f64 v[2:3], v[2:3], v[6:7], v[11:12]
	v_div_fixup_f64 v[8:9], v[2:3], v[0:1], 1.0
	s_delay_alu instid0(VALU_DEP_1)
	v_mul_f64 v[6:7], v[4:5], -v[8:9]
.LBB127_9:
	s_or_b32 exec_lo, exec_lo, s4
	scratch_load_b32 v0, off, off offset:1024 ; 4-byte Folded Reload
	s_waitcnt vmcnt(0)
	ds_store_2addr_b64 v0, v[8:9], v[6:7] offset1:1
.LBB127_10:
	s_or_b32 exec_lo, exec_lo, s66
	v_add_nc_u32_e64 v0, s5, 0
	scratch_store_b32 off, v0, off offset:1268 ; 4-byte Folded Spill
	v_add_nc_u32_e64 v0, s6, 0
	scratch_store_b32 off, v0, off offset:1264 ; 4-byte Folded Spill
	v_add_nc_u32_e64 v0, s7, 0
	scratch_store_b32 off, v0, off offset:1260 ; 4-byte Folded Spill
	v_add_nc_u32_e64 v0, s8, 0
	scratch_store_b32 off, v0, off offset:1256 ; 4-byte Folded Spill
	v_add_nc_u32_e64 v0, s9, 0
	scratch_store_b32 off, v0, off offset:1252 ; 4-byte Folded Spill
	v_add_nc_u32_e64 v0, s10, 0
	scratch_store_b32 off, v0, off offset:1248 ; 4-byte Folded Spill
	v_add_nc_u32_e64 v0, s12, 0
	scratch_store_b32 off, v0, off offset:1244 ; 4-byte Folded Spill
	v_add_nc_u32_e64 v0, s13, 0
	scratch_store_b32 off, v0, off offset:1240 ; 4-byte Folded Spill
	v_add_nc_u32_e64 v0, s14, 0
	scratch_store_b32 off, v0, off offset:1236 ; 4-byte Folded Spill
	v_add_nc_u32_e64 v0, s15, 0
	scratch_store_b32 off, v0, off offset:1232 ; 4-byte Folded Spill
	v_add_nc_u32_e64 v0, s16, 0
	scratch_store_b32 off, v0, off offset:1228 ; 4-byte Folded Spill
	v_add_nc_u32_e64 v0, s17, 0
	scratch_store_b32 off, v0, off offset:1224 ; 4-byte Folded Spill
	v_add_nc_u32_e64 v0, s18, 0
	scratch_store_b32 off, v0, off offset:1220 ; 4-byte Folded Spill
	v_add_nc_u32_e64 v0, s19, 0
	scratch_store_b32 off, v0, off offset:1216 ; 4-byte Folded Spill
	v_add_nc_u32_e64 v0, s20, 0
	scratch_store_b32 off, v0, off offset:1212 ; 4-byte Folded Spill
	v_add_nc_u32_e64 v0, s21, 0
	scratch_store_b32 off, v0, off offset:1208 ; 4-byte Folded Spill
	v_add_nc_u32_e64 v0, s22, 0
	scratch_store_b32 off, v0, off offset:1204 ; 4-byte Folded Spill
	v_add_nc_u32_e64 v0, s23, 0
	scratch_store_b32 off, v0, off offset:1200 ; 4-byte Folded Spill
	v_add_nc_u32_e64 v0, s24, 0
	scratch_store_b32 off, v0, off offset:1196 ; 4-byte Folded Spill
	v_add_nc_u32_e64 v0, s25, 0
	scratch_store_b32 off, v0, off offset:1192 ; 4-byte Folded Spill
	v_add_nc_u32_e64 v0, s26, 0
	scratch_store_b32 off, v0, off offset:1188 ; 4-byte Folded Spill
	v_add_nc_u32_e64 v0, s27, 0
	scratch_store_b32 off, v0, off offset:1184 ; 4-byte Folded Spill
	v_add_nc_u32_e64 v0, s28, 0
	scratch_store_b32 off, v0, off offset:1180 ; 4-byte Folded Spill
	v_add_nc_u32_e64 v0, s29, 0
	scratch_store_b32 off, v0, off offset:1168 ; 4-byte Folded Spill
	v_add_nc_u32_e64 v0, s30, 0
	scratch_store_b32 off, v0, off offset:1164 ; 4-byte Folded Spill
	v_add_nc_u32_e64 v0, s31, 0
	scratch_store_b32 off, v0, off offset:1160 ; 4-byte Folded Spill
	v_add_nc_u32_e64 v0, s33, 0
	scratch_store_b32 off, v0, off offset:1156 ; 4-byte Folded Spill
	v_add_nc_u32_e64 v0, s34, 0
	scratch_store_b32 off, v0, off offset:1152 ; 4-byte Folded Spill
	v_add_nc_u32_e64 v0, s35, 0
	scratch_store_b32 off, v0, off offset:1148 ; 4-byte Folded Spill
	v_add_nc_u32_e64 v0, s36, 0
	scratch_store_b32 off, v0, off offset:1144 ; 4-byte Folded Spill
	v_add_nc_u32_e64 v0, s37, 0
	scratch_store_b32 off, v0, off offset:1140 ; 4-byte Folded Spill
	v_add_nc_u32_e64 v0, s38, 0
	scratch_store_b32 off, v0, off offset:1136 ; 4-byte Folded Spill
	v_add_nc_u32_e64 v0, s39, 0
	scratch_store_b32 off, v0, off offset:1132 ; 4-byte Folded Spill
	v_add_nc_u32_e64 v0, s40, 0
	scratch_store_b32 off, v0, off offset:1128 ; 4-byte Folded Spill
	v_add_nc_u32_e64 v0, s41, 0
	scratch_store_b32 off, v0, off offset:1124 ; 4-byte Folded Spill
	v_add_nc_u32_e64 v0, s42, 0
	scratch_store_b32 off, v0, off offset:1120 ; 4-byte Folded Spill
	v_add_nc_u32_e64 v0, s43, 0
	scratch_store_b32 off, v0, off offset:1116 ; 4-byte Folded Spill
	v_add_nc_u32_e64 v0, s44, 0
	scratch_store_b32 off, v0, off offset:1112 ; 4-byte Folded Spill
	v_add_nc_u32_e64 v0, s45, 0
	scratch_store_b32 off, v0, off offset:1108 ; 4-byte Folded Spill
	v_add_nc_u32_e64 v0, s46, 0
	scratch_store_b32 off, v0, off offset:1104 ; 4-byte Folded Spill
	v_add_nc_u32_e64 v0, s47, 0
	scratch_store_b32 off, v0, off offset:1100 ; 4-byte Folded Spill
	v_add_nc_u32_e64 v0, s48, 0
	scratch_store_b32 off, v0, off offset:1096 ; 4-byte Folded Spill
	v_add_nc_u32_e64 v0, s49, 0
	scratch_store_b32 off, v0, off offset:1092 ; 4-byte Folded Spill
	v_add_nc_u32_e64 v0, s50, 0
	scratch_store_b32 off, v0, off offset:1088 ; 4-byte Folded Spill
	v_add_nc_u32_e64 v0, s51, 0
	scratch_store_b32 off, v0, off offset:1084 ; 4-byte Folded Spill
	v_add_nc_u32_e64 v0, s52, 0
	scratch_store_b32 off, v0, off offset:1080 ; 4-byte Folded Spill
	v_add_nc_u32_e64 v0, s53, 0
	scratch_store_b32 off, v0, off offset:1076 ; 4-byte Folded Spill
	v_add_nc_u32_e64 v0, s54, 0
	scratch_store_b32 off, v0, off offset:1072 ; 4-byte Folded Spill
	v_add_nc_u32_e64 v0, s55, 0
	scratch_store_b32 off, v0, off offset:1068 ; 4-byte Folded Spill
	v_add_nc_u32_e64 v0, s56, 0
	scratch_store_b32 off, v0, off offset:1064 ; 4-byte Folded Spill
	v_add_nc_u32_e64 v0, s57, 0
	scratch_store_b32 off, v0, off offset:1060 ; 4-byte Folded Spill
	v_add_nc_u32_e64 v0, s58, 0
	scratch_store_b32 off, v0, off offset:1056 ; 4-byte Folded Spill
	v_add_nc_u32_e64 v0, s59, 0
	scratch_store_b32 off, v0, off offset:1052 ; 4-byte Folded Spill
	v_add_nc_u32_e64 v0, s60, 0
	scratch_store_b32 off, v0, off offset:1048 ; 4-byte Folded Spill
	v_add_nc_u32_e64 v0, s61, 0
	scratch_store_b32 off, v0, off offset:1044 ; 4-byte Folded Spill
	v_add_nc_u32_e64 v0, s62, 0
	scratch_store_b32 off, v0, off offset:1040 ; 4-byte Folded Spill
	v_add_nc_u32_e64 v0, s63, 0
	scratch_store_b32 off, v0, off offset:1036 ; 4-byte Folded Spill
	v_add_nc_u32_e64 v0, s64, 0
	scratch_store_b32 off, v0, off offset:1032 ; 4-byte Folded Spill
	v_add_nc_u32_e64 v0, s65, 0
	scratch_store_b32 off, v0, off offset:1028 ; 4-byte Folded Spill
	s_waitcnt lgkmcnt(0)
	s_waitcnt_vscnt null, 0x0
	s_barrier
	buffer_gl0_inv
	scratch_load_b32 v0, off, off offset:1024 ; 4-byte Folded Reload
	s_waitcnt vmcnt(0)
	ds_load_2addr_b64 v[15:18], v0 offset1:1
	s_and_saveexec_b32 s4, s3
	s_cbranch_execz .LBB127_13
; %bb.11:
	scratch_load_b128 v[0:3], off, off
	s_mov_b32 s3, 0
	s_waitcnt vmcnt(0) lgkmcnt(0)
	v_mul_f64 v[4:5], v[17:18], v[2:3]
	v_mul_f64 v[2:3], v[15:16], v[2:3]
	s_delay_alu instid0(VALU_DEP_2) | instskip(NEXT) | instid1(VALU_DEP_2)
	v_fma_f64 v[4:5], v[15:16], v[0:1], -v[4:5]
	v_fma_f64 v[6:7], v[17:18], v[0:1], v[2:3]
	v_mov_b32_e32 v0, 0
	scratch_store_b128 off, v[4:7], off
.LBB127_12:                             ; =>This Inner Loop Header: Depth=1
	v_add_nc_u32_e32 v3, s3, v10
	v_readfirstlane_b32 s5, v0
	ds_load_2addr_b64 v[11:14], v3 offset1:1
	s_add_i32 s5, s5, s3
	s_addk_i32 s3, 0x70
	s_add_i32 s6, s5, 16
	s_waitcnt lgkmcnt(0)
	v_mul_f64 v[1:2], v[13:14], v[6:7]
	v_mul_f64 v[8:9], v[11:12], v[6:7]
	s_delay_alu instid0(VALU_DEP_2) | instskip(NEXT) | instid1(VALU_DEP_2)
	v_fma_f64 v[1:2], v[11:12], v[4:5], -v[1:2]
	v_fma_f64 v[8:9], v[13:14], v[4:5], v[8:9]
	scratch_load_b128 v[11:14], off, s6
	s_waitcnt vmcnt(0)
	v_add_f64 v[11:12], v[11:12], -v[1:2]
	v_add_f64 v[13:14], v[13:14], -v[8:9]
	scratch_store_b128 off, v[11:14], s6
	ds_load_2addr_b64 v[11:14], v3 offset0:2 offset1:3
	s_add_i32 s6, s5, 32
	s_waitcnt lgkmcnt(0)
	v_mul_f64 v[1:2], v[13:14], v[6:7]
	v_mul_f64 v[8:9], v[11:12], v[6:7]
	s_delay_alu instid0(VALU_DEP_2) | instskip(NEXT) | instid1(VALU_DEP_2)
	v_fma_f64 v[1:2], v[11:12], v[4:5], -v[1:2]
	v_fma_f64 v[8:9], v[13:14], v[4:5], v[8:9]
	scratch_load_b128 v[11:14], off, s6
	s_waitcnt vmcnt(0)
	v_add_f64 v[11:12], v[11:12], -v[1:2]
	v_add_f64 v[13:14], v[13:14], -v[8:9]
	scratch_store_b128 off, v[11:14], s6
	ds_load_2addr_b64 v[11:14], v3 offset0:4 offset1:5
	;; [unrolled: 13-line block ×5, first 2 shown]
	s_add_i32 s6, s5, 0x60
	s_addk_i32 s5, 0x70
	s_cmpk_lg_i32 s3, 0x3f0
	s_waitcnt lgkmcnt(0)
	v_mul_f64 v[1:2], v[13:14], v[6:7]
	v_mul_f64 v[8:9], v[11:12], v[6:7]
	s_delay_alu instid0(VALU_DEP_2) | instskip(NEXT) | instid1(VALU_DEP_2)
	v_fma_f64 v[1:2], v[11:12], v[4:5], -v[1:2]
	v_fma_f64 v[8:9], v[13:14], v[4:5], v[8:9]
	scratch_load_b128 v[11:14], off, s6
	s_waitcnt vmcnt(0)
	v_add_f64 v[11:12], v[11:12], -v[1:2]
	v_add_f64 v[13:14], v[13:14], -v[8:9]
	scratch_store_b128 off, v[11:14], s6
	ds_load_2addr_b64 v[11:14], v3 offset0:12 offset1:13
	s_waitcnt lgkmcnt(0)
	v_mul_f64 v[1:2], v[13:14], v[6:7]
	v_mul_f64 v[8:9], v[11:12], v[6:7]
	s_delay_alu instid0(VALU_DEP_2) | instskip(NEXT) | instid1(VALU_DEP_2)
	v_fma_f64 v[1:2], v[11:12], v[4:5], -v[1:2]
	v_fma_f64 v[8:9], v[13:14], v[4:5], v[8:9]
	scratch_load_b128 v[11:14], off, s5
	s_waitcnt vmcnt(0)
	v_add_f64 v[11:12], v[11:12], -v[1:2]
	v_add_f64 v[13:14], v[13:14], -v[8:9]
	scratch_store_b128 off, v[11:14], s5
	s_cbranch_scc1 .LBB127_12
.LBB127_13:
	s_or_b32 exec_lo, exec_lo, s4
	v_add3_u32 v12, v188, 0, 32
	s_mov_b32 s4, exec_lo
	s_waitcnt lgkmcnt(0)
	s_waitcnt_vscnt null, 0x0
	s_barrier
	buffer_gl0_inv
	v_cmpx_eq_u32_e32 1, v254
	s_cbranch_execz .LBB127_22
; %bb.14:
	v_add_nc_u32_e64 v0, 0, 16
	scratch_load_b32 v4, off, off offset:1024 ; 4-byte Folded Reload
	s_mov_b32 s3, 0
	scratch_load_b128 v[0:3], v0, off
	s_waitcnt vmcnt(0)
	ds_store_2addr_b64 v4, v[0:1], v[2:3] offset1:1
.LBB127_15:                             ; =>This Inner Loop Header: Depth=1
	v_add_nc_u32_e64 v0, s3, 0
	v_add_nc_u32_e32 v8, s3, v12
	s_add_i32 s3, s3, 32
	s_delay_alu instid0(SALU_CYCLE_1) | instskip(NEXT) | instid1(VALU_DEP_2)
	s_cmpk_lg_i32 s3, 0x3e0
	v_add_nc_u32_e32 v1, 32, v0
	v_add_nc_u32_e32 v4, 48, v0
	s_clause 0x1
	scratch_load_b128 v[0:3], v1, off
	scratch_load_b128 v[4:7], v4, off
	s_waitcnt vmcnt(1)
	ds_store_2addr_b64 v8, v[0:1], v[2:3] offset1:1
	s_waitcnt vmcnt(0)
	ds_store_2addr_b64 v8, v[4:5], v[6:7] offset0:2 offset1:3
	s_cbranch_scc1 .LBB127_15
; %bb.16:
	scratch_load_b32 v0, off, off offset:1024 ; 4-byte Folded Reload
	s_waitcnt vmcnt(0)
	ds_load_2addr_b64 v[4:7], v0 offset1:1
	s_waitcnt lgkmcnt(0)
	v_cmp_neq_f64_e32 vcc_lo, 0, v[4:5]
	v_cmp_neq_f64_e64 s3, 0, v[6:7]
	s_delay_alu instid0(VALU_DEP_1) | instskip(NEXT) | instid1(SALU_CYCLE_1)
	s_or_b32 s3, vcc_lo, s3
	s_and_b32 exec_lo, exec_lo, s3
	s_cbranch_execz .LBB127_22
; %bb.17:
	v_cmp_gt_f64_e32 vcc_lo, 0, v[4:5]
	v_cmp_gt_f64_e64 s3, 0, v[6:7]
	v_xor_b32_e32 v0, 0x80000000, v5
	v_xor_b32_e32 v2, 0x80000000, v7
                                        ; implicit-def: $vgpr8_vgpr9
	s_delay_alu instid0(VALU_DEP_2) | instskip(NEXT) | instid1(VALU_DEP_2)
	v_cndmask_b32_e32 v1, v5, v0, vcc_lo
	v_cndmask_b32_e64 v3, v7, v2, s3
	v_cndmask_b32_e32 v0, v4, v4, vcc_lo
	v_cndmask_b32_e64 v2, v6, v6, s3
	s_mov_b32 s3, exec_lo
	s_delay_alu instid0(VALU_DEP_1)
	v_cmpx_ngt_f64_e32 v[0:1], v[2:3]
	s_xor_b32 s3, exec_lo, s3
                                        ; implicit-def: $vgpr0_vgpr1_vgpr2_vgpr3
	s_cbranch_execz .LBB127_19
; %bb.18:
	v_div_scale_f64 v[0:1], null, v[6:7], v[6:7], v[4:5]
	v_div_scale_f64 v[10:11], vcc_lo, v[4:5], v[6:7], v[4:5]
	s_delay_alu instid0(VALU_DEP_2) | instskip(SKIP_2) | instid1(VALU_DEP_1)
	v_rcp_f64_e32 v[2:3], v[0:1]
	s_waitcnt_depctr 0xfff
	v_fma_f64 v[8:9], -v[0:1], v[2:3], 1.0
	v_fma_f64 v[2:3], v[2:3], v[8:9], v[2:3]
	s_delay_alu instid0(VALU_DEP_1) | instskip(NEXT) | instid1(VALU_DEP_1)
	v_fma_f64 v[8:9], -v[0:1], v[2:3], 1.0
	v_fma_f64 v[2:3], v[2:3], v[8:9], v[2:3]
	s_delay_alu instid0(VALU_DEP_1) | instskip(NEXT) | instid1(VALU_DEP_1)
	v_mul_f64 v[8:9], v[10:11], v[2:3]
	v_fma_f64 v[0:1], -v[0:1], v[8:9], v[10:11]
	s_delay_alu instid0(VALU_DEP_1) | instskip(NEXT) | instid1(VALU_DEP_1)
	v_div_fmas_f64 v[0:1], v[0:1], v[2:3], v[8:9]
	v_div_fixup_f64 v[0:1], v[0:1], v[6:7], v[4:5]
	s_delay_alu instid0(VALU_DEP_1) | instskip(NEXT) | instid1(VALU_DEP_1)
	v_fma_f64 v[2:3], v[4:5], v[0:1], v[6:7]
	v_div_scale_f64 v[4:5], null, v[2:3], v[2:3], 1.0
	s_delay_alu instid0(VALU_DEP_1) | instskip(SKIP_2) | instid1(VALU_DEP_1)
	v_rcp_f64_e32 v[6:7], v[4:5]
	s_waitcnt_depctr 0xfff
	v_fma_f64 v[8:9], -v[4:5], v[6:7], 1.0
	v_fma_f64 v[6:7], v[6:7], v[8:9], v[6:7]
	s_delay_alu instid0(VALU_DEP_1) | instskip(NEXT) | instid1(VALU_DEP_1)
	v_fma_f64 v[8:9], -v[4:5], v[6:7], 1.0
	v_fma_f64 v[6:7], v[6:7], v[8:9], v[6:7]
	v_div_scale_f64 v[8:9], vcc_lo, 1.0, v[2:3], 1.0
	s_delay_alu instid0(VALU_DEP_1) | instskip(NEXT) | instid1(VALU_DEP_1)
	v_mul_f64 v[10:11], v[8:9], v[6:7]
	v_fma_f64 v[4:5], -v[4:5], v[10:11], v[8:9]
	s_delay_alu instid0(VALU_DEP_1) | instskip(NEXT) | instid1(VALU_DEP_1)
	v_div_fmas_f64 v[4:5], v[4:5], v[6:7], v[10:11]
	v_div_fixup_f64 v[2:3], v[4:5], v[2:3], 1.0
                                        ; implicit-def: $vgpr4_vgpr5
	s_delay_alu instid0(VALU_DEP_1)
	v_mul_f64 v[8:9], v[0:1], v[2:3]
	v_xor_b32_e32 v3, 0x80000000, v3
.LBB127_19:
	s_and_not1_saveexec_b32 s3, s3
	s_cbranch_execz .LBB127_21
; %bb.20:
	v_div_scale_f64 v[0:1], null, v[4:5], v[4:5], v[6:7]
	v_div_scale_f64 v[10:11], vcc_lo, v[6:7], v[4:5], v[6:7]
	s_delay_alu instid0(VALU_DEP_2) | instskip(SKIP_2) | instid1(VALU_DEP_1)
	v_rcp_f64_e32 v[2:3], v[0:1]
	s_waitcnt_depctr 0xfff
	v_fma_f64 v[8:9], -v[0:1], v[2:3], 1.0
	v_fma_f64 v[2:3], v[2:3], v[8:9], v[2:3]
	s_delay_alu instid0(VALU_DEP_1) | instskip(NEXT) | instid1(VALU_DEP_1)
	v_fma_f64 v[8:9], -v[0:1], v[2:3], 1.0
	v_fma_f64 v[2:3], v[2:3], v[8:9], v[2:3]
	s_delay_alu instid0(VALU_DEP_1) | instskip(NEXT) | instid1(VALU_DEP_1)
	v_mul_f64 v[8:9], v[10:11], v[2:3]
	v_fma_f64 v[0:1], -v[0:1], v[8:9], v[10:11]
	s_delay_alu instid0(VALU_DEP_1) | instskip(NEXT) | instid1(VALU_DEP_1)
	v_div_fmas_f64 v[0:1], v[0:1], v[2:3], v[8:9]
	v_div_fixup_f64 v[0:1], v[0:1], v[4:5], v[6:7]
	s_delay_alu instid0(VALU_DEP_1) | instskip(NEXT) | instid1(VALU_DEP_1)
	v_fma_f64 v[2:3], v[6:7], v[0:1], v[4:5]
	v_div_scale_f64 v[4:5], null, v[2:3], v[2:3], 1.0
	s_delay_alu instid0(VALU_DEP_1) | instskip(SKIP_2) | instid1(VALU_DEP_1)
	v_rcp_f64_e32 v[6:7], v[4:5]
	s_waitcnt_depctr 0xfff
	v_fma_f64 v[8:9], -v[4:5], v[6:7], 1.0
	v_fma_f64 v[6:7], v[6:7], v[8:9], v[6:7]
	s_delay_alu instid0(VALU_DEP_1) | instskip(NEXT) | instid1(VALU_DEP_1)
	v_fma_f64 v[8:9], -v[4:5], v[6:7], 1.0
	v_fma_f64 v[6:7], v[6:7], v[8:9], v[6:7]
	v_div_scale_f64 v[8:9], vcc_lo, 1.0, v[2:3], 1.0
	s_delay_alu instid0(VALU_DEP_1) | instskip(NEXT) | instid1(VALU_DEP_1)
	v_mul_f64 v[10:11], v[8:9], v[6:7]
	v_fma_f64 v[4:5], -v[4:5], v[10:11], v[8:9]
	s_delay_alu instid0(VALU_DEP_1) | instskip(NEXT) | instid1(VALU_DEP_1)
	v_div_fmas_f64 v[4:5], v[4:5], v[6:7], v[10:11]
	v_div_fixup_f64 v[8:9], v[4:5], v[2:3], 1.0
	s_delay_alu instid0(VALU_DEP_1)
	v_mul_f64 v[2:3], v[0:1], -v[8:9]
.LBB127_21:
	s_or_b32 exec_lo, exec_lo, s3
	scratch_load_b32 v0, off, off offset:1024 ; 4-byte Folded Reload
	s_waitcnt vmcnt(0)
	ds_store_2addr_b64 v0, v[8:9], v[2:3] offset1:1
.LBB127_22:
	s_or_b32 exec_lo, exec_lo, s4
	scratch_store_b128 off, v[15:18], off offset:1784 ; 16-byte Folded Spill
	s_waitcnt lgkmcnt(0)
	s_waitcnt_vscnt null, 0x0
	s_barrier
	buffer_gl0_inv
	scratch_load_b32 v0, off, off offset:1024 ; 4-byte Folded Reload
	s_mov_b32 s3, exec_lo
	s_waitcnt vmcnt(0)
	ds_load_2addr_b64 v[48:51], v0 offset1:1
	v_cmpx_lt_u32_e32 1, v254
	s_cbranch_execz .LBB127_25
; %bb.23:
	scratch_load_b128 v[0:3], off, off offset:16
	s_mov_b32 s4, 0
	s_waitcnt vmcnt(0) lgkmcnt(0)
	v_mul_f64 v[4:5], v[50:51], v[2:3]
	v_mul_f64 v[2:3], v[48:49], v[2:3]
	s_delay_alu instid0(VALU_DEP_2) | instskip(NEXT) | instid1(VALU_DEP_2)
	v_fma_f64 v[8:9], v[48:49], v[0:1], -v[4:5]
	v_fma_f64 v[10:11], v[50:51], v[0:1], v[2:3]
	scratch_store_b128 off, v[8:11], off offset:16
	s_set_inst_prefetch_distance 0x1
	.p2align	6
.LBB127_24:                             ; =>This Inner Loop Header: Depth=1
	v_add_nc_u32_e64 v0, s4, 0
	v_add_nc_u32_e32 v17, s4, v12
	s_add_i32 s4, s4, 32
	s_delay_alu instid0(SALU_CYCLE_1) | instskip(NEXT) | instid1(VALU_DEP_2)
	s_cmpk_lg_i32 s4, 0x3e0
	v_add_nc_u32_e32 v29, 32, v0
	v_add_nc_u32_e32 v30, 48, v0
	s_clause 0x1
	scratch_load_b128 v[0:3], v29, off
	scratch_load_b128 v[4:7], v30, off
	ds_load_2addr_b64 v[13:16], v17 offset1:1
	ds_load_2addr_b64 v[17:20], v17 offset0:2 offset1:3
	s_waitcnt lgkmcnt(1)
	v_mul_f64 v[21:22], v[15:16], v[10:11]
	v_mul_f64 v[23:24], v[13:14], v[10:11]
	s_waitcnt lgkmcnt(0)
	v_mul_f64 v[25:26], v[19:20], v[10:11]
	v_mul_f64 v[27:28], v[17:18], v[10:11]
	s_delay_alu instid0(VALU_DEP_4) | instskip(NEXT) | instid1(VALU_DEP_4)
	v_fma_f64 v[13:14], v[13:14], v[8:9], -v[21:22]
	v_fma_f64 v[15:16], v[15:16], v[8:9], v[23:24]
	s_delay_alu instid0(VALU_DEP_4) | instskip(NEXT) | instid1(VALU_DEP_4)
	v_fma_f64 v[17:18], v[17:18], v[8:9], -v[25:26]
	v_fma_f64 v[19:20], v[19:20], v[8:9], v[27:28]
	s_waitcnt vmcnt(1)
	s_delay_alu instid0(VALU_DEP_4) | instskip(NEXT) | instid1(VALU_DEP_4)
	v_add_f64 v[0:1], v[0:1], -v[13:14]
	v_add_f64 v[2:3], v[2:3], -v[15:16]
	s_waitcnt vmcnt(0)
	s_delay_alu instid0(VALU_DEP_4) | instskip(NEXT) | instid1(VALU_DEP_4)
	v_add_f64 v[4:5], v[4:5], -v[17:18]
	v_add_f64 v[6:7], v[6:7], -v[19:20]
	s_clause 0x1
	scratch_store_b128 v29, v[0:3], off
	scratch_store_b128 v30, v[4:7], off
	s_cbranch_scc1 .LBB127_24
.LBB127_25:
	s_set_inst_prefetch_distance 0x2
	s_or_b32 exec_lo, exec_lo, s3
	v_add3_u32 v6, v188, 0, 48
	s_mov_b32 s4, exec_lo
	s_waitcnt lgkmcnt(0)
	s_waitcnt_vscnt null, 0x0
	s_barrier
	buffer_gl0_inv
	v_cmpx_eq_u32_e32 2, v254
	s_cbranch_execz .LBB127_36
; %bb.26:
	v_add_nc_u32_e64 v0, 0, 32
	scratch_load_b32 v5, off, off offset:1024 ; 4-byte Folded Reload
	s_movk_i32 s3, 0xfc80
	scratch_load_b128 v[1:4], v0, off
	v_mov_b32_e32 v0, 0
	s_waitcnt vmcnt(0)
	ds_store_2addr_b64 v5, v[1:2], v[3:4] offset1:1
	s_branch .LBB127_28
.LBB127_27:                             ;   in Loop: Header=BB127_28 Depth=1
	s_add_i32 s6, s5, 0x400
	s_add_i32 s7, s5, 0x410
	s_addk_i32 s5, 0x420
	s_clause 0x2
	scratch_load_b128 v[2:5], off, s6
	scratch_load_b128 v[7:10], off, s7
	;; [unrolled: 1-line block ×3, first 2 shown]
	s_addk_i32 s3, 0x80
	s_waitcnt vmcnt(2)
	ds_store_2addr_b64 v1, v[2:3], v[4:5] offset0:122 offset1:123
	s_waitcnt vmcnt(1)
	ds_store_2addr_b64 v1, v[7:8], v[9:10] offset0:124 offset1:125
	;; [unrolled: 2-line block ×3, first 2 shown]
	s_cbranch_execz .LBB127_30
.LBB127_28:                             ; =>This Inner Loop Header: Depth=1
	v_readfirstlane_b32 s5, v0
	v_add_nc_u32_e32 v1, s3, v6
	s_delay_alu instid0(VALU_DEP_2) | instskip(NEXT) | instid1(SALU_CYCLE_1)
	s_add_i32 s5, s5, s3
	s_add_i32 s6, s5, 0x3b0
	;; [unrolled: 1-line block ×6, first 2 shown]
	s_clause 0x4
	scratch_load_b128 v[2:5], off, s6
	scratch_load_b128 v[7:10], off, s7
	;; [unrolled: 1-line block ×5, first 2 shown]
	s_cmp_eq_u32 s3, 0
	s_waitcnt vmcnt(4)
	ds_store_2addr_b64 v1, v[2:3], v[4:5] offset0:112 offset1:113
	s_waitcnt vmcnt(3)
	ds_store_2addr_b64 v1, v[7:8], v[9:10] offset0:114 offset1:115
	;; [unrolled: 2-line block ×5, first 2 shown]
	s_cbranch_scc0 .LBB127_27
; %bb.29:
                                        ; implicit-def: $sgpr3
.LBB127_30:
	scratch_load_b32 v0, off, off offset:1024 ; 4-byte Folded Reload
	s_waitcnt vmcnt(0)
	ds_load_2addr_b64 v[8:11], v0 offset1:1
	s_waitcnt lgkmcnt(0)
	v_cmp_neq_f64_e32 vcc_lo, 0, v[8:9]
	v_cmp_neq_f64_e64 s3, 0, v[10:11]
	s_delay_alu instid0(VALU_DEP_1) | instskip(NEXT) | instid1(SALU_CYCLE_1)
	s_or_b32 s3, vcc_lo, s3
	s_and_b32 exec_lo, exec_lo, s3
	s_cbranch_execz .LBB127_36
; %bb.31:
	v_cmp_gt_f64_e32 vcc_lo, 0, v[8:9]
	v_cmp_gt_f64_e64 s3, 0, v[10:11]
	v_xor_b32_e32 v0, 0x80000000, v9
	v_xor_b32_e32 v2, 0x80000000, v11
                                        ; implicit-def: $vgpr4_vgpr5
	s_delay_alu instid0(VALU_DEP_2) | instskip(NEXT) | instid1(VALU_DEP_2)
	v_cndmask_b32_e32 v1, v9, v0, vcc_lo
	v_cndmask_b32_e64 v3, v11, v2, s3
	v_cndmask_b32_e32 v0, v8, v8, vcc_lo
	v_cndmask_b32_e64 v2, v10, v10, s3
	s_mov_b32 s3, exec_lo
	s_delay_alu instid0(VALU_DEP_1)
	v_cmpx_ngt_f64_e32 v[0:1], v[2:3]
	s_xor_b32 s3, exec_lo, s3
                                        ; implicit-def: $vgpr0_vgpr1_vgpr2_vgpr3
	s_cbranch_execz .LBB127_33
; %bb.32:
	v_div_scale_f64 v[0:1], null, v[10:11], v[10:11], v[8:9]
	v_div_scale_f64 v[12:13], vcc_lo, v[8:9], v[10:11], v[8:9]
	s_delay_alu instid0(VALU_DEP_2) | instskip(SKIP_2) | instid1(VALU_DEP_1)
	v_rcp_f64_e32 v[2:3], v[0:1]
	s_waitcnt_depctr 0xfff
	v_fma_f64 v[4:5], -v[0:1], v[2:3], 1.0
	v_fma_f64 v[2:3], v[2:3], v[4:5], v[2:3]
	s_delay_alu instid0(VALU_DEP_1) | instskip(NEXT) | instid1(VALU_DEP_1)
	v_fma_f64 v[4:5], -v[0:1], v[2:3], 1.0
	v_fma_f64 v[2:3], v[2:3], v[4:5], v[2:3]
	s_delay_alu instid0(VALU_DEP_1) | instskip(NEXT) | instid1(VALU_DEP_1)
	v_mul_f64 v[4:5], v[12:13], v[2:3]
	v_fma_f64 v[0:1], -v[0:1], v[4:5], v[12:13]
	s_delay_alu instid0(VALU_DEP_1) | instskip(NEXT) | instid1(VALU_DEP_1)
	v_div_fmas_f64 v[0:1], v[0:1], v[2:3], v[4:5]
	v_div_fixup_f64 v[0:1], v[0:1], v[10:11], v[8:9]
	s_delay_alu instid0(VALU_DEP_1) | instskip(NEXT) | instid1(VALU_DEP_1)
	v_fma_f64 v[2:3], v[8:9], v[0:1], v[10:11]
	v_div_scale_f64 v[4:5], null, v[2:3], v[2:3], 1.0
	s_delay_alu instid0(VALU_DEP_1) | instskip(SKIP_2) | instid1(VALU_DEP_1)
	v_rcp_f64_e32 v[7:8], v[4:5]
	s_waitcnt_depctr 0xfff
	v_fma_f64 v[9:10], -v[4:5], v[7:8], 1.0
	v_fma_f64 v[7:8], v[7:8], v[9:10], v[7:8]
	s_delay_alu instid0(VALU_DEP_1) | instskip(NEXT) | instid1(VALU_DEP_1)
	v_fma_f64 v[9:10], -v[4:5], v[7:8], 1.0
	v_fma_f64 v[7:8], v[7:8], v[9:10], v[7:8]
	v_div_scale_f64 v[9:10], vcc_lo, 1.0, v[2:3], 1.0
	s_delay_alu instid0(VALU_DEP_1) | instskip(NEXT) | instid1(VALU_DEP_1)
	v_mul_f64 v[11:12], v[9:10], v[7:8]
	v_fma_f64 v[4:5], -v[4:5], v[11:12], v[9:10]
	s_delay_alu instid0(VALU_DEP_1) | instskip(NEXT) | instid1(VALU_DEP_1)
	v_div_fmas_f64 v[4:5], v[4:5], v[7:8], v[11:12]
                                        ; implicit-def: $vgpr8_vgpr9
	v_div_fixup_f64 v[2:3], v[4:5], v[2:3], 1.0
	s_delay_alu instid0(VALU_DEP_1)
	v_mul_f64 v[4:5], v[0:1], v[2:3]
	v_xor_b32_e32 v3, 0x80000000, v3
.LBB127_33:
	s_and_not1_saveexec_b32 s3, s3
	s_cbranch_execz .LBB127_35
; %bb.34:
	v_div_scale_f64 v[0:1], null, v[8:9], v[8:9], v[10:11]
	v_div_scale_f64 v[12:13], vcc_lo, v[10:11], v[8:9], v[10:11]
	s_delay_alu instid0(VALU_DEP_2) | instskip(SKIP_2) | instid1(VALU_DEP_1)
	v_rcp_f64_e32 v[2:3], v[0:1]
	s_waitcnt_depctr 0xfff
	v_fma_f64 v[4:5], -v[0:1], v[2:3], 1.0
	v_fma_f64 v[2:3], v[2:3], v[4:5], v[2:3]
	s_delay_alu instid0(VALU_DEP_1) | instskip(NEXT) | instid1(VALU_DEP_1)
	v_fma_f64 v[4:5], -v[0:1], v[2:3], 1.0
	v_fma_f64 v[2:3], v[2:3], v[4:5], v[2:3]
	s_delay_alu instid0(VALU_DEP_1) | instskip(NEXT) | instid1(VALU_DEP_1)
	v_mul_f64 v[4:5], v[12:13], v[2:3]
	v_fma_f64 v[0:1], -v[0:1], v[4:5], v[12:13]
	s_delay_alu instid0(VALU_DEP_1) | instskip(NEXT) | instid1(VALU_DEP_1)
	v_div_fmas_f64 v[0:1], v[0:1], v[2:3], v[4:5]
	v_div_fixup_f64 v[0:1], v[0:1], v[8:9], v[10:11]
	s_delay_alu instid0(VALU_DEP_1) | instskip(NEXT) | instid1(VALU_DEP_1)
	v_fma_f64 v[2:3], v[10:11], v[0:1], v[8:9]
	v_div_scale_f64 v[4:5], null, v[2:3], v[2:3], 1.0
	s_delay_alu instid0(VALU_DEP_1) | instskip(SKIP_2) | instid1(VALU_DEP_1)
	v_rcp_f64_e32 v[7:8], v[4:5]
	s_waitcnt_depctr 0xfff
	v_fma_f64 v[9:10], -v[4:5], v[7:8], 1.0
	v_fma_f64 v[7:8], v[7:8], v[9:10], v[7:8]
	s_delay_alu instid0(VALU_DEP_1) | instskip(NEXT) | instid1(VALU_DEP_1)
	v_fma_f64 v[9:10], -v[4:5], v[7:8], 1.0
	v_fma_f64 v[7:8], v[7:8], v[9:10], v[7:8]
	v_div_scale_f64 v[9:10], vcc_lo, 1.0, v[2:3], 1.0
	s_delay_alu instid0(VALU_DEP_1) | instskip(NEXT) | instid1(VALU_DEP_1)
	v_mul_f64 v[11:12], v[9:10], v[7:8]
	v_fma_f64 v[4:5], -v[4:5], v[11:12], v[9:10]
	s_delay_alu instid0(VALU_DEP_1) | instskip(NEXT) | instid1(VALU_DEP_1)
	v_div_fmas_f64 v[4:5], v[4:5], v[7:8], v[11:12]
	v_div_fixup_f64 v[4:5], v[4:5], v[2:3], 1.0
	s_delay_alu instid0(VALU_DEP_1)
	v_mul_f64 v[2:3], v[0:1], -v[4:5]
.LBB127_35:
	s_or_b32 exec_lo, exec_lo, s3
	scratch_load_b32 v0, off, off offset:1024 ; 4-byte Folded Reload
	s_waitcnt vmcnt(0)
	ds_store_2addr_b64 v0, v[4:5], v[2:3] offset1:1
.LBB127_36:
	s_or_b32 exec_lo, exec_lo, s4
	s_waitcnt lgkmcnt(0)
	s_barrier
	buffer_gl0_inv
	scratch_load_b32 v0, off, off offset:1024 ; 4-byte Folded Reload
	s_mov_b32 s3, exec_lo
	s_waitcnt vmcnt(0)
	ds_load_2addr_b64 v[8:11], v0 offset1:1
	v_cmpx_lt_u32_e32 2, v254
	s_cbranch_execz .LBB127_41
; %bb.37:
	scratch_load_b128 v[0:3], off, off offset:32
	s_mov_b32 s4, 0
	s_waitcnt vmcnt(0) lgkmcnt(0)
	v_mul_f64 v[4:5], v[10:11], v[2:3]
	v_mul_f64 v[2:3], v[8:9], v[2:3]
	s_delay_alu instid0(VALU_DEP_2) | instskip(NEXT) | instid1(VALU_DEP_2)
	v_fma_f64 v[12:13], v[8:9], v[0:1], -v[4:5]
	v_fma_f64 v[14:15], v[10:11], v[0:1], v[2:3]
	v_mov_b32_e32 v0, 0
	scratch_store_b128 off, v[12:15], off offset:32
	s_branch .LBB127_39
.LBB127_38:                             ;   in Loop: Header=BB127_39 Depth=1
	s_and_not1_b32 vcc_lo, exec_lo, s6
	s_cbranch_vccz .LBB127_41
.LBB127_39:                             ; =>This Inner Loop Header: Depth=1
	v_readfirstlane_b32 s5, v0
	v_add_nc_u32_e32 v1, s4, v6
	s_mov_b32 s6, -1
	s_delay_alu instid0(VALU_DEP_2)
	s_add_i32 s5, s5, s4
	ds_load_2addr_b64 v[16:19], v1 offset1:1
	s_add_i32 s7, s5, 48
	s_cmpk_eq_i32 s4, 0x3c0
	scratch_load_b128 v[2:5], off, s7
	s_waitcnt lgkmcnt(0)
	v_mul_f64 v[20:21], v[18:19], v[14:15]
	v_mul_f64 v[22:23], v[16:17], v[14:15]
	s_delay_alu instid0(VALU_DEP_2) | instskip(NEXT) | instid1(VALU_DEP_2)
	v_fma_f64 v[16:17], v[16:17], v[12:13], -v[20:21]
	v_fma_f64 v[18:19], v[18:19], v[12:13], v[22:23]
	s_waitcnt vmcnt(0)
	s_delay_alu instid0(VALU_DEP_2) | instskip(NEXT) | instid1(VALU_DEP_2)
	v_add_f64 v[2:3], v[2:3], -v[16:17]
	v_add_f64 v[4:5], v[4:5], -v[18:19]
	scratch_store_b128 off, v[2:5], s7
	s_cbranch_scc1 .LBB127_38
; %bb.40:                               ;   in Loop: Header=BB127_39 Depth=1
	s_add_i32 s7, s5, 64
	s_add_i32 s8, s5, 0x50
	scratch_load_b128 v[2:5], off, s7
	s_addk_i32 s5, 0x60
	s_clause 0x1
	scratch_load_b128 v[16:19], off, s8
	scratch_load_b128 v[20:23], off, s5
	ds_load_2addr_b64 v[24:27], v1 offset0:2 offset1:3
	ds_load_2addr_b64 v[28:31], v1 offset0:4 offset1:5
	;; [unrolled: 1-line block ×3, first 2 shown]
	s_add_i32 s4, s4, 64
	s_mov_b32 s6, 0
	s_waitcnt lgkmcnt(2)
	v_mul_f64 v[36:37], v[26:27], v[14:15]
	v_mul_f64 v[38:39], v[24:25], v[14:15]
	s_waitcnt lgkmcnt(1)
	v_mul_f64 v[40:41], v[30:31], v[14:15]
	v_mul_f64 v[42:43], v[28:29], v[14:15]
	;; [unrolled: 3-line block ×3, first 2 shown]
	v_fma_f64 v[24:25], v[24:25], v[12:13], -v[36:37]
	v_fma_f64 v[26:27], v[26:27], v[12:13], v[38:39]
	v_fma_f64 v[28:29], v[28:29], v[12:13], -v[40:41]
	v_fma_f64 v[30:31], v[30:31], v[12:13], v[42:43]
	;; [unrolled: 2-line block ×3, first 2 shown]
	s_waitcnt vmcnt(2)
	v_add_f64 v[1:2], v[2:3], -v[24:25]
	v_add_f64 v[3:4], v[4:5], -v[26:27]
	s_waitcnt vmcnt(1)
	v_add_f64 v[16:17], v[16:17], -v[28:29]
	v_add_f64 v[18:19], v[18:19], -v[30:31]
	;; [unrolled: 3-line block ×3, first 2 shown]
	s_clause 0x2
	scratch_store_b128 off, v[1:4], s7
	scratch_store_b128 off, v[16:19], s8
	;; [unrolled: 1-line block ×3, first 2 shown]
	s_branch .LBB127_38
.LBB127_41:
	s_or_b32 exec_lo, exec_lo, s3
	v_add3_u32 v6, v188, 0, 64
	s_mov_b32 s4, exec_lo
	s_waitcnt lgkmcnt(0)
	s_waitcnt_vscnt null, 0x0
	s_barrier
	buffer_gl0_inv
	v_cmpx_eq_u32_e32 3, v254
	s_cbranch_execz .LBB127_50
; %bb.42:
	v_add_nc_u32_e64 v0, 0, 48
	scratch_load_b32 v5, off, off offset:1024 ; 4-byte Folded Reload
	s_movk_i32 s3, 0xfc40
	scratch_load_b128 v[1:4], v0, off
	v_mov_b32_e32 v0, 0
	s_waitcnt vmcnt(0)
	ds_store_2addr_b64 v5, v[1:2], v[3:4] offset1:1
.LBB127_43:                             ; =>This Inner Loop Header: Depth=1
	v_readfirstlane_b32 s5, v0
	v_add_nc_u32_e32 v5, s3, v6
	s_delay_alu instid0(VALU_DEP_2)
	s_add_i32 s5, s5, s3
	s_addk_i32 s3, 0xf0
	s_add_i32 s6, s5, 0x400
	scratch_load_b128 v[1:4], off, s6
	s_add_i32 s6, s5, 0x410
	s_waitcnt vmcnt(0)
	ds_store_2addr_b64 v5, v[1:2], v[3:4] offset0:120 offset1:121
	scratch_load_b128 v[1:4], off, s6
	s_add_i32 s6, s5, 0x420
	s_waitcnt vmcnt(0)
	ds_store_2addr_b64 v5, v[1:2], v[3:4] offset0:122 offset1:123
	;; [unrolled: 4-line block ×12, first 2 shown]
	scratch_load_b128 v[1:4], off, s6
	s_add_i32 s6, s5, 0x4d0
	s_addk_i32 s5, 0x4e0
	s_cmp_lg_u32 s3, 0
	s_waitcnt vmcnt(0)
	ds_store_2addr_b64 v5, v[1:2], v[3:4] offset0:144 offset1:145
	scratch_load_b128 v[1:4], off, s6
	s_waitcnt vmcnt(0)
	ds_store_2addr_b64 v5, v[1:2], v[3:4] offset0:146 offset1:147
	scratch_load_b128 v[1:4], off, s5
	s_waitcnt vmcnt(0)
	ds_store_2addr_b64 v5, v[1:2], v[3:4] offset0:148 offset1:149
	s_cbranch_scc1 .LBB127_43
; %bb.44:
	scratch_load_b32 v0, off, off offset:1024 ; 4-byte Folded Reload
	s_waitcnt vmcnt(0)
	ds_load_2addr_b64 v[12:15], v0 offset1:1
	s_waitcnt lgkmcnt(0)
	v_cmp_neq_f64_e32 vcc_lo, 0, v[12:13]
	v_cmp_neq_f64_e64 s3, 0, v[14:15]
	s_delay_alu instid0(VALU_DEP_1) | instskip(NEXT) | instid1(SALU_CYCLE_1)
	s_or_b32 s3, vcc_lo, s3
	s_and_b32 exec_lo, exec_lo, s3
	s_cbranch_execz .LBB127_50
; %bb.45:
	v_cmp_gt_f64_e32 vcc_lo, 0, v[12:13]
	v_cmp_gt_f64_e64 s3, 0, v[14:15]
	v_xor_b32_e32 v0, 0x80000000, v13
	v_xor_b32_e32 v2, 0x80000000, v15
                                        ; implicit-def: $vgpr4_vgpr5
	s_delay_alu instid0(VALU_DEP_2) | instskip(NEXT) | instid1(VALU_DEP_2)
	v_cndmask_b32_e32 v1, v13, v0, vcc_lo
	v_cndmask_b32_e64 v3, v15, v2, s3
	v_cndmask_b32_e32 v0, v12, v12, vcc_lo
	v_cndmask_b32_e64 v2, v14, v14, s3
	s_mov_b32 s3, exec_lo
	s_delay_alu instid0(VALU_DEP_1)
	v_cmpx_ngt_f64_e32 v[0:1], v[2:3]
	s_xor_b32 s3, exec_lo, s3
                                        ; implicit-def: $vgpr0_vgpr1_vgpr2_vgpr3
	s_cbranch_execz .LBB127_47
; %bb.46:
	v_div_scale_f64 v[0:1], null, v[14:15], v[14:15], v[12:13]
	v_div_scale_f64 v[16:17], vcc_lo, v[12:13], v[14:15], v[12:13]
	s_delay_alu instid0(VALU_DEP_2) | instskip(SKIP_2) | instid1(VALU_DEP_1)
	v_rcp_f64_e32 v[2:3], v[0:1]
	s_waitcnt_depctr 0xfff
	v_fma_f64 v[4:5], -v[0:1], v[2:3], 1.0
	v_fma_f64 v[2:3], v[2:3], v[4:5], v[2:3]
	s_delay_alu instid0(VALU_DEP_1) | instskip(NEXT) | instid1(VALU_DEP_1)
	v_fma_f64 v[4:5], -v[0:1], v[2:3], 1.0
	v_fma_f64 v[2:3], v[2:3], v[4:5], v[2:3]
	s_delay_alu instid0(VALU_DEP_1) | instskip(NEXT) | instid1(VALU_DEP_1)
	v_mul_f64 v[4:5], v[16:17], v[2:3]
	v_fma_f64 v[0:1], -v[0:1], v[4:5], v[16:17]
	s_delay_alu instid0(VALU_DEP_1) | instskip(NEXT) | instid1(VALU_DEP_1)
	v_div_fmas_f64 v[0:1], v[0:1], v[2:3], v[4:5]
	v_div_fixup_f64 v[0:1], v[0:1], v[14:15], v[12:13]
	s_delay_alu instid0(VALU_DEP_1) | instskip(NEXT) | instid1(VALU_DEP_1)
	v_fma_f64 v[2:3], v[12:13], v[0:1], v[14:15]
	v_div_scale_f64 v[4:5], null, v[2:3], v[2:3], 1.0
	s_delay_alu instid0(VALU_DEP_1) | instskip(SKIP_2) | instid1(VALU_DEP_1)
	v_rcp_f64_e32 v[12:13], v[4:5]
	s_waitcnt_depctr 0xfff
	v_fma_f64 v[14:15], -v[4:5], v[12:13], 1.0
	v_fma_f64 v[12:13], v[12:13], v[14:15], v[12:13]
	s_delay_alu instid0(VALU_DEP_1) | instskip(NEXT) | instid1(VALU_DEP_1)
	v_fma_f64 v[14:15], -v[4:5], v[12:13], 1.0
	v_fma_f64 v[12:13], v[12:13], v[14:15], v[12:13]
	v_div_scale_f64 v[14:15], vcc_lo, 1.0, v[2:3], 1.0
	s_delay_alu instid0(VALU_DEP_1) | instskip(NEXT) | instid1(VALU_DEP_1)
	v_mul_f64 v[16:17], v[14:15], v[12:13]
	v_fma_f64 v[4:5], -v[4:5], v[16:17], v[14:15]
	s_delay_alu instid0(VALU_DEP_1) | instskip(NEXT) | instid1(VALU_DEP_1)
	v_div_fmas_f64 v[4:5], v[4:5], v[12:13], v[16:17]
                                        ; implicit-def: $vgpr12_vgpr13
	v_div_fixup_f64 v[2:3], v[4:5], v[2:3], 1.0
	s_delay_alu instid0(VALU_DEP_1)
	v_mul_f64 v[4:5], v[0:1], v[2:3]
	v_xor_b32_e32 v3, 0x80000000, v3
.LBB127_47:
	s_and_not1_saveexec_b32 s3, s3
	s_cbranch_execz .LBB127_49
; %bb.48:
	v_div_scale_f64 v[0:1], null, v[12:13], v[12:13], v[14:15]
	v_div_scale_f64 v[16:17], vcc_lo, v[14:15], v[12:13], v[14:15]
	s_delay_alu instid0(VALU_DEP_2) | instskip(SKIP_2) | instid1(VALU_DEP_1)
	v_rcp_f64_e32 v[2:3], v[0:1]
	s_waitcnt_depctr 0xfff
	v_fma_f64 v[4:5], -v[0:1], v[2:3], 1.0
	v_fma_f64 v[2:3], v[2:3], v[4:5], v[2:3]
	s_delay_alu instid0(VALU_DEP_1) | instskip(NEXT) | instid1(VALU_DEP_1)
	v_fma_f64 v[4:5], -v[0:1], v[2:3], 1.0
	v_fma_f64 v[2:3], v[2:3], v[4:5], v[2:3]
	s_delay_alu instid0(VALU_DEP_1) | instskip(NEXT) | instid1(VALU_DEP_1)
	v_mul_f64 v[4:5], v[16:17], v[2:3]
	v_fma_f64 v[0:1], -v[0:1], v[4:5], v[16:17]
	s_delay_alu instid0(VALU_DEP_1) | instskip(NEXT) | instid1(VALU_DEP_1)
	v_div_fmas_f64 v[0:1], v[0:1], v[2:3], v[4:5]
	v_div_fixup_f64 v[0:1], v[0:1], v[12:13], v[14:15]
	s_delay_alu instid0(VALU_DEP_1) | instskip(NEXT) | instid1(VALU_DEP_1)
	v_fma_f64 v[2:3], v[14:15], v[0:1], v[12:13]
	v_div_scale_f64 v[4:5], null, v[2:3], v[2:3], 1.0
	s_delay_alu instid0(VALU_DEP_1) | instskip(SKIP_2) | instid1(VALU_DEP_1)
	v_rcp_f64_e32 v[12:13], v[4:5]
	s_waitcnt_depctr 0xfff
	v_fma_f64 v[14:15], -v[4:5], v[12:13], 1.0
	v_fma_f64 v[12:13], v[12:13], v[14:15], v[12:13]
	s_delay_alu instid0(VALU_DEP_1) | instskip(NEXT) | instid1(VALU_DEP_1)
	v_fma_f64 v[14:15], -v[4:5], v[12:13], 1.0
	v_fma_f64 v[12:13], v[12:13], v[14:15], v[12:13]
	v_div_scale_f64 v[14:15], vcc_lo, 1.0, v[2:3], 1.0
	s_delay_alu instid0(VALU_DEP_1) | instskip(NEXT) | instid1(VALU_DEP_1)
	v_mul_f64 v[16:17], v[14:15], v[12:13]
	v_fma_f64 v[4:5], -v[4:5], v[16:17], v[14:15]
	s_delay_alu instid0(VALU_DEP_1) | instskip(NEXT) | instid1(VALU_DEP_1)
	v_div_fmas_f64 v[4:5], v[4:5], v[12:13], v[16:17]
	v_div_fixup_f64 v[4:5], v[4:5], v[2:3], 1.0
	s_delay_alu instid0(VALU_DEP_1)
	v_mul_f64 v[2:3], v[0:1], -v[4:5]
.LBB127_49:
	s_or_b32 exec_lo, exec_lo, s3
	scratch_load_b32 v0, off, off offset:1024 ; 4-byte Folded Reload
	s_waitcnt vmcnt(0)
	ds_store_2addr_b64 v0, v[4:5], v[2:3] offset1:1
.LBB127_50:
	s_or_b32 exec_lo, exec_lo, s4
	s_waitcnt lgkmcnt(0)
	s_barrier
	buffer_gl0_inv
	scratch_load_b32 v0, off, off offset:1024 ; 4-byte Folded Reload
	s_mov_b32 s3, exec_lo
	s_waitcnt vmcnt(0)
	ds_load_2addr_b64 v[12:15], v0 offset1:1
	v_cmpx_lt_u32_e32 3, v254
	s_cbranch_execz .LBB127_53
; %bb.51:
	scratch_load_b128 v[0:3], off, off offset:48
	s_mov_b32 s4, 0
	s_waitcnt vmcnt(0) lgkmcnt(0)
	v_mul_f64 v[4:5], v[14:15], v[2:3]
	v_mul_f64 v[2:3], v[12:13], v[2:3]
	s_delay_alu instid0(VALU_DEP_2) | instskip(NEXT) | instid1(VALU_DEP_2)
	v_fma_f64 v[16:17], v[12:13], v[0:1], -v[4:5]
	v_fma_f64 v[18:19], v[14:15], v[0:1], v[2:3]
	v_mov_b32_e32 v0, 0
	scratch_store_b128 off, v[16:19], off offset:48
.LBB127_52:                             ; =>This Inner Loop Header: Depth=1
	v_add_nc_u32_e32 v5, s4, v6
	v_readfirstlane_b32 s5, v0
	ds_load_2addr_b64 v[1:4], v5 offset1:1
	s_add_i32 s5, s5, s4
	s_addk_i32 s4, 0x60
	s_add_i32 s6, s5, 64
	s_waitcnt lgkmcnt(0)
	v_mul_f64 v[20:21], v[3:4], v[18:19]
	s_delay_alu instid0(VALU_DEP_1) | instskip(SKIP_1) | instid1(VALU_DEP_1)
	v_fma_f64 v[20:21], v[1:2], v[16:17], -v[20:21]
	v_mul_f64 v[1:2], v[1:2], v[18:19]
	v_fma_f64 v[22:23], v[3:4], v[16:17], v[1:2]
	scratch_load_b128 v[1:4], off, s6
	s_waitcnt vmcnt(0)
	v_add_f64 v[1:2], v[1:2], -v[20:21]
	v_add_f64 v[3:4], v[3:4], -v[22:23]
	scratch_store_b128 off, v[1:4], s6
	ds_load_2addr_b64 v[1:4], v5 offset0:2 offset1:3
	s_add_i32 s6, s5, 0x50
	s_waitcnt lgkmcnt(0)
	v_mul_f64 v[20:21], v[3:4], v[18:19]
	s_delay_alu instid0(VALU_DEP_1) | instskip(SKIP_1) | instid1(VALU_DEP_1)
	v_fma_f64 v[20:21], v[1:2], v[16:17], -v[20:21]
	v_mul_f64 v[1:2], v[1:2], v[18:19]
	v_fma_f64 v[22:23], v[3:4], v[16:17], v[1:2]
	scratch_load_b128 v[1:4], off, s6
	s_waitcnt vmcnt(0)
	v_add_f64 v[1:2], v[1:2], -v[20:21]
	v_add_f64 v[3:4], v[3:4], -v[22:23]
	scratch_store_b128 off, v[1:4], s6
	ds_load_2addr_b64 v[1:4], v5 offset0:4 offset1:5
	;; [unrolled: 13-line block ×4, first 2 shown]
	s_add_i32 s6, s5, 0x80
	s_addk_i32 s5, 0x90
	s_cmpk_lg_i32 s4, 0x3c0
	s_waitcnt lgkmcnt(0)
	v_mul_f64 v[20:21], v[3:4], v[18:19]
	s_delay_alu instid0(VALU_DEP_1) | instskip(SKIP_1) | instid1(VALU_DEP_1)
	v_fma_f64 v[20:21], v[1:2], v[16:17], -v[20:21]
	v_mul_f64 v[1:2], v[1:2], v[18:19]
	v_fma_f64 v[22:23], v[3:4], v[16:17], v[1:2]
	scratch_load_b128 v[1:4], off, s6
	s_waitcnt vmcnt(0)
	v_add_f64 v[1:2], v[1:2], -v[20:21]
	v_add_f64 v[3:4], v[3:4], -v[22:23]
	scratch_store_b128 off, v[1:4], s6
	ds_load_2addr_b64 v[1:4], v5 offset0:10 offset1:11
	s_waitcnt lgkmcnt(0)
	v_mul_f64 v[20:21], v[3:4], v[18:19]
	s_delay_alu instid0(VALU_DEP_1) | instskip(SKIP_1) | instid1(VALU_DEP_1)
	v_fma_f64 v[20:21], v[1:2], v[16:17], -v[20:21]
	v_mul_f64 v[1:2], v[1:2], v[18:19]
	v_fma_f64 v[22:23], v[3:4], v[16:17], v[1:2]
	scratch_load_b128 v[1:4], off, s5
	s_waitcnt vmcnt(0)
	v_add_f64 v[1:2], v[1:2], -v[20:21]
	v_add_f64 v[3:4], v[3:4], -v[22:23]
	scratch_store_b128 off, v[1:4], s5
	s_cbranch_scc1 .LBB127_52
.LBB127_53:
	s_or_b32 exec_lo, exec_lo, s3
	v_add3_u32 v6, v188, 0, 0x50
	s_mov_b32 s4, exec_lo
	s_waitcnt lgkmcnt(0)
	s_waitcnt_vscnt null, 0x0
	s_barrier
	buffer_gl0_inv
	v_cmpx_eq_u32_e32 4, v254
	s_cbranch_execz .LBB127_64
; %bb.54:
	v_add_nc_u32_e64 v0, 0, 64
	scratch_load_b32 v5, off, off offset:1024 ; 4-byte Folded Reload
	s_movk_i32 s3, 0xfc80
	scratch_load_b128 v[1:4], v0, off
	v_mov_b32_e32 v0, 0
	s_waitcnt vmcnt(0)
	ds_store_2addr_b64 v5, v[1:2], v[3:4] offset1:1
	s_branch .LBB127_56
.LBB127_55:                             ;   in Loop: Header=BB127_56 Depth=1
	s_add_i32 s6, s5, 0x400
	s_add_i32 s7, s5, 0x410
	s_clause 0x1
	scratch_load_b128 v[2:5], off, s6
	scratch_load_b128 v[16:19], off, s7
	s_add_i32 s6, s5, 0x420
	s_add_i32 s7, s5, 0x430
	s_addk_i32 s5, 0x440
	s_clause 0x2
	scratch_load_b128 v[20:23], off, s6
	scratch_load_b128 v[24:27], off, s7
	;; [unrolled: 1-line block ×3, first 2 shown]
	s_addk_i32 s3, 0x80
	s_waitcnt vmcnt(4)
	ds_store_2addr_b64 v1, v[2:3], v[4:5] offset0:118 offset1:119
	s_waitcnt vmcnt(3)
	ds_store_2addr_b64 v1, v[16:17], v[18:19] offset0:120 offset1:121
	;; [unrolled: 2-line block ×5, first 2 shown]
	s_cbranch_execz .LBB127_58
.LBB127_56:                             ; =>This Inner Loop Header: Depth=1
	v_readfirstlane_b32 s5, v0
	v_add_nc_u32_e32 v1, s3, v6
	s_delay_alu instid0(VALU_DEP_2) | instskip(NEXT) | instid1(SALU_CYCLE_1)
	s_add_i32 s5, s5, s3
	s_add_i32 s6, s5, 0x3d0
	;; [unrolled: 1-line block ×4, first 2 shown]
	s_clause 0x2
	scratch_load_b128 v[2:5], off, s6
	scratch_load_b128 v[16:19], off, s7
	;; [unrolled: 1-line block ×3, first 2 shown]
	s_cmp_eq_u32 s3, 0
	s_waitcnt vmcnt(2)
	ds_store_2addr_b64 v1, v[2:3], v[4:5] offset0:112 offset1:113
	s_waitcnt vmcnt(1)
	ds_store_2addr_b64 v1, v[16:17], v[18:19] offset0:114 offset1:115
	s_waitcnt vmcnt(0)
	ds_store_2addr_b64 v1, v[20:21], v[22:23] offset0:116 offset1:117
	s_cbranch_scc0 .LBB127_55
; %bb.57:
                                        ; implicit-def: $sgpr3
.LBB127_58:
	scratch_load_b32 v0, off, off offset:1024 ; 4-byte Folded Reload
	s_waitcnt vmcnt(0)
	ds_load_2addr_b64 v[16:19], v0 offset1:1
	s_waitcnt lgkmcnt(0)
	v_cmp_neq_f64_e32 vcc_lo, 0, v[16:17]
	v_cmp_neq_f64_e64 s3, 0, v[18:19]
	s_delay_alu instid0(VALU_DEP_1) | instskip(NEXT) | instid1(SALU_CYCLE_1)
	s_or_b32 s3, vcc_lo, s3
	s_and_b32 exec_lo, exec_lo, s3
	s_cbranch_execz .LBB127_64
; %bb.59:
	v_cmp_gt_f64_e32 vcc_lo, 0, v[16:17]
	v_cmp_gt_f64_e64 s3, 0, v[18:19]
	v_xor_b32_e32 v0, 0x80000000, v17
	v_xor_b32_e32 v2, 0x80000000, v19
                                        ; implicit-def: $vgpr4_vgpr5
	s_delay_alu instid0(VALU_DEP_2) | instskip(NEXT) | instid1(VALU_DEP_2)
	v_cndmask_b32_e32 v1, v17, v0, vcc_lo
	v_cndmask_b32_e64 v3, v19, v2, s3
	v_cndmask_b32_e32 v0, v16, v16, vcc_lo
	v_cndmask_b32_e64 v2, v18, v18, s3
	s_mov_b32 s3, exec_lo
	s_delay_alu instid0(VALU_DEP_1)
	v_cmpx_ngt_f64_e32 v[0:1], v[2:3]
	s_xor_b32 s3, exec_lo, s3
                                        ; implicit-def: $vgpr0_vgpr1_vgpr2_vgpr3
	s_cbranch_execz .LBB127_61
; %bb.60:
	v_div_scale_f64 v[0:1], null, v[18:19], v[18:19], v[16:17]
	v_div_scale_f64 v[20:21], vcc_lo, v[16:17], v[18:19], v[16:17]
	s_delay_alu instid0(VALU_DEP_2) | instskip(SKIP_2) | instid1(VALU_DEP_1)
	v_rcp_f64_e32 v[2:3], v[0:1]
	s_waitcnt_depctr 0xfff
	v_fma_f64 v[4:5], -v[0:1], v[2:3], 1.0
	v_fma_f64 v[2:3], v[2:3], v[4:5], v[2:3]
	s_delay_alu instid0(VALU_DEP_1) | instskip(NEXT) | instid1(VALU_DEP_1)
	v_fma_f64 v[4:5], -v[0:1], v[2:3], 1.0
	v_fma_f64 v[2:3], v[2:3], v[4:5], v[2:3]
	s_delay_alu instid0(VALU_DEP_1) | instskip(NEXT) | instid1(VALU_DEP_1)
	v_mul_f64 v[4:5], v[20:21], v[2:3]
	v_fma_f64 v[0:1], -v[0:1], v[4:5], v[20:21]
	s_delay_alu instid0(VALU_DEP_1) | instskip(NEXT) | instid1(VALU_DEP_1)
	v_div_fmas_f64 v[0:1], v[0:1], v[2:3], v[4:5]
	v_div_fixup_f64 v[0:1], v[0:1], v[18:19], v[16:17]
	s_delay_alu instid0(VALU_DEP_1) | instskip(NEXT) | instid1(VALU_DEP_1)
	v_fma_f64 v[2:3], v[16:17], v[0:1], v[18:19]
	v_div_scale_f64 v[4:5], null, v[2:3], v[2:3], 1.0
	s_delay_alu instid0(VALU_DEP_1) | instskip(SKIP_2) | instid1(VALU_DEP_1)
	v_rcp_f64_e32 v[16:17], v[4:5]
	s_waitcnt_depctr 0xfff
	v_fma_f64 v[18:19], -v[4:5], v[16:17], 1.0
	v_fma_f64 v[16:17], v[16:17], v[18:19], v[16:17]
	s_delay_alu instid0(VALU_DEP_1) | instskip(NEXT) | instid1(VALU_DEP_1)
	v_fma_f64 v[18:19], -v[4:5], v[16:17], 1.0
	v_fma_f64 v[16:17], v[16:17], v[18:19], v[16:17]
	v_div_scale_f64 v[18:19], vcc_lo, 1.0, v[2:3], 1.0
	s_delay_alu instid0(VALU_DEP_1) | instskip(NEXT) | instid1(VALU_DEP_1)
	v_mul_f64 v[20:21], v[18:19], v[16:17]
	v_fma_f64 v[4:5], -v[4:5], v[20:21], v[18:19]
	s_delay_alu instid0(VALU_DEP_1) | instskip(NEXT) | instid1(VALU_DEP_1)
	v_div_fmas_f64 v[4:5], v[4:5], v[16:17], v[20:21]
                                        ; implicit-def: $vgpr16_vgpr17
	v_div_fixup_f64 v[2:3], v[4:5], v[2:3], 1.0
	s_delay_alu instid0(VALU_DEP_1)
	v_mul_f64 v[4:5], v[0:1], v[2:3]
	v_xor_b32_e32 v3, 0x80000000, v3
.LBB127_61:
	s_and_not1_saveexec_b32 s3, s3
	s_cbranch_execz .LBB127_63
; %bb.62:
	v_div_scale_f64 v[0:1], null, v[16:17], v[16:17], v[18:19]
	v_div_scale_f64 v[20:21], vcc_lo, v[18:19], v[16:17], v[18:19]
	s_delay_alu instid0(VALU_DEP_2) | instskip(SKIP_2) | instid1(VALU_DEP_1)
	v_rcp_f64_e32 v[2:3], v[0:1]
	s_waitcnt_depctr 0xfff
	v_fma_f64 v[4:5], -v[0:1], v[2:3], 1.0
	v_fma_f64 v[2:3], v[2:3], v[4:5], v[2:3]
	s_delay_alu instid0(VALU_DEP_1) | instskip(NEXT) | instid1(VALU_DEP_1)
	v_fma_f64 v[4:5], -v[0:1], v[2:3], 1.0
	v_fma_f64 v[2:3], v[2:3], v[4:5], v[2:3]
	s_delay_alu instid0(VALU_DEP_1) | instskip(NEXT) | instid1(VALU_DEP_1)
	v_mul_f64 v[4:5], v[20:21], v[2:3]
	v_fma_f64 v[0:1], -v[0:1], v[4:5], v[20:21]
	s_delay_alu instid0(VALU_DEP_1) | instskip(NEXT) | instid1(VALU_DEP_1)
	v_div_fmas_f64 v[0:1], v[0:1], v[2:3], v[4:5]
	v_div_fixup_f64 v[0:1], v[0:1], v[16:17], v[18:19]
	s_delay_alu instid0(VALU_DEP_1) | instskip(NEXT) | instid1(VALU_DEP_1)
	v_fma_f64 v[2:3], v[18:19], v[0:1], v[16:17]
	v_div_scale_f64 v[4:5], null, v[2:3], v[2:3], 1.0
	s_delay_alu instid0(VALU_DEP_1) | instskip(SKIP_2) | instid1(VALU_DEP_1)
	v_rcp_f64_e32 v[16:17], v[4:5]
	s_waitcnt_depctr 0xfff
	v_fma_f64 v[18:19], -v[4:5], v[16:17], 1.0
	v_fma_f64 v[16:17], v[16:17], v[18:19], v[16:17]
	s_delay_alu instid0(VALU_DEP_1) | instskip(NEXT) | instid1(VALU_DEP_1)
	v_fma_f64 v[18:19], -v[4:5], v[16:17], 1.0
	v_fma_f64 v[16:17], v[16:17], v[18:19], v[16:17]
	v_div_scale_f64 v[18:19], vcc_lo, 1.0, v[2:3], 1.0
	s_delay_alu instid0(VALU_DEP_1) | instskip(NEXT) | instid1(VALU_DEP_1)
	v_mul_f64 v[20:21], v[18:19], v[16:17]
	v_fma_f64 v[4:5], -v[4:5], v[20:21], v[18:19]
	s_delay_alu instid0(VALU_DEP_1) | instskip(NEXT) | instid1(VALU_DEP_1)
	v_div_fmas_f64 v[4:5], v[4:5], v[16:17], v[20:21]
	v_div_fixup_f64 v[4:5], v[4:5], v[2:3], 1.0
	s_delay_alu instid0(VALU_DEP_1)
	v_mul_f64 v[2:3], v[0:1], -v[4:5]
.LBB127_63:
	s_or_b32 exec_lo, exec_lo, s3
	scratch_load_b32 v0, off, off offset:1024 ; 4-byte Folded Reload
	s_waitcnt vmcnt(0)
	ds_store_2addr_b64 v0, v[4:5], v[2:3] offset1:1
.LBB127_64:
	s_or_b32 exec_lo, exec_lo, s4
	s_waitcnt lgkmcnt(0)
	s_barrier
	buffer_gl0_inv
	scratch_load_b32 v0, off, off offset:1024 ; 4-byte Folded Reload
	s_mov_b32 s3, exec_lo
	s_waitcnt vmcnt(0)
	ds_load_2addr_b64 v[16:19], v0 offset1:1
	v_cmpx_lt_u32_e32 4, v254
	s_cbranch_execz .LBB127_69
; %bb.65:
	scratch_load_b128 v[0:3], off, off offset:64
	s_mov_b32 s4, 0
	s_waitcnt vmcnt(0) lgkmcnt(0)
	v_mul_f64 v[4:5], v[18:19], v[2:3]
	v_mul_f64 v[2:3], v[16:17], v[2:3]
	s_delay_alu instid0(VALU_DEP_2) | instskip(NEXT) | instid1(VALU_DEP_2)
	v_fma_f64 v[20:21], v[16:17], v[0:1], -v[4:5]
	v_fma_f64 v[22:23], v[18:19], v[0:1], v[2:3]
	v_mov_b32_e32 v0, 0
	scratch_store_b128 off, v[20:23], off offset:64
	s_branch .LBB127_67
.LBB127_66:                             ;   in Loop: Header=BB127_67 Depth=1
	s_and_not1_b32 vcc_lo, exec_lo, s6
	s_cbranch_vccz .LBB127_69
.LBB127_67:                             ; =>This Inner Loop Header: Depth=1
	v_add_nc_u32_e32 v1, s4, v6
	v_readfirstlane_b32 s5, v0
	ds_load_2addr_b64 v[2:5], v1 offset1:1
	s_add_i32 s5, s5, s4
	s_delay_alu instid0(SALU_CYCLE_1) | instskip(SKIP_2) | instid1(VALU_DEP_1)
	s_add_i32 s6, s5, 0x50
	s_waitcnt lgkmcnt(0)
	v_mul_f64 v[24:25], v[4:5], v[22:23]
	v_fma_f64 v[24:25], v[2:3], v[20:21], -v[24:25]
	v_mul_f64 v[2:3], v[2:3], v[22:23]
	s_delay_alu instid0(VALU_DEP_1)
	v_fma_f64 v[26:27], v[4:5], v[20:21], v[2:3]
	scratch_load_b128 v[2:5], off, s6
	s_waitcnt vmcnt(0)
	v_add_f64 v[2:3], v[2:3], -v[24:25]
	v_add_f64 v[4:5], v[4:5], -v[26:27]
	scratch_store_b128 off, v[2:5], s6
	ds_load_2addr_b64 v[2:5], v1 offset0:2 offset1:3
	s_add_i32 s6, s5, 0x60
	s_waitcnt lgkmcnt(0)
	v_mul_f64 v[24:25], v[4:5], v[22:23]
	s_delay_alu instid0(VALU_DEP_1) | instskip(SKIP_1) | instid1(VALU_DEP_1)
	v_fma_f64 v[24:25], v[2:3], v[20:21], -v[24:25]
	v_mul_f64 v[2:3], v[2:3], v[22:23]
	v_fma_f64 v[26:27], v[4:5], v[20:21], v[2:3]
	scratch_load_b128 v[2:5], off, s6
	s_waitcnt vmcnt(0)
	v_add_f64 v[2:3], v[2:3], -v[24:25]
	v_add_f64 v[4:5], v[4:5], -v[26:27]
	scratch_store_b128 off, v[2:5], s6
	ds_load_2addr_b64 v[2:5], v1 offset0:4 offset1:5
	s_add_i32 s6, s5, 0x70
	s_cmpk_eq_i32 s4, 0x380
	s_waitcnt lgkmcnt(0)
	v_mul_f64 v[24:25], v[4:5], v[22:23]
	s_delay_alu instid0(VALU_DEP_1) | instskip(SKIP_1) | instid1(VALU_DEP_1)
	v_fma_f64 v[24:25], v[2:3], v[20:21], -v[24:25]
	v_mul_f64 v[2:3], v[2:3], v[22:23]
	v_fma_f64 v[26:27], v[4:5], v[20:21], v[2:3]
	scratch_load_b128 v[2:5], off, s6
	s_waitcnt vmcnt(0)
	v_add_f64 v[2:3], v[2:3], -v[24:25]
	v_add_f64 v[4:5], v[4:5], -v[26:27]
	scratch_store_b128 off, v[2:5], s6
	s_mov_b32 s6, -1
	s_cbranch_scc1 .LBB127_66
; %bb.68:                               ;   in Loop: Header=BB127_67 Depth=1
	s_addk_i32 s5, 0x80
	ds_load_2addr_b64 v[24:27], v1 offset0:6 offset1:7
	scratch_load_b128 v[2:5], off, s5
	s_add_i32 s4, s4, 64
	s_mov_b32 s6, 0
	s_waitcnt lgkmcnt(0)
	v_mul_f64 v[28:29], v[26:27], v[22:23]
	v_mul_f64 v[30:31], v[24:25], v[22:23]
	s_delay_alu instid0(VALU_DEP_2) | instskip(NEXT) | instid1(VALU_DEP_2)
	v_fma_f64 v[24:25], v[24:25], v[20:21], -v[28:29]
	v_fma_f64 v[26:27], v[26:27], v[20:21], v[30:31]
	s_waitcnt vmcnt(0)
	s_delay_alu instid0(VALU_DEP_2) | instskip(NEXT) | instid1(VALU_DEP_2)
	v_add_f64 v[1:2], v[2:3], -v[24:25]
	v_add_f64 v[3:4], v[4:5], -v[26:27]
	scratch_store_b128 off, v[1:4], s5
	s_branch .LBB127_66
.LBB127_69:
	s_or_b32 exec_lo, exec_lo, s3
	v_add3_u32 v6, v188, 0, 0x60
	s_mov_b32 s4, exec_lo
	s_waitcnt lgkmcnt(0)
	s_waitcnt_vscnt null, 0x0
	s_barrier
	buffer_gl0_inv
	v_cmpx_eq_u32_e32 5, v254
	s_cbranch_execz .LBB127_78
; %bb.70:
	s_clause 0x1
	scratch_load_b32 v0, off, off offset:1268
	scratch_load_b32 v4, off, off offset:1024
	s_mov_b32 s3, 0
	s_waitcnt vmcnt(1)
	scratch_load_b128 v[0:3], v0, off
	s_waitcnt vmcnt(0)
	ds_store_2addr_b64 v4, v[0:1], v[2:3] offset1:1
	.p2align	6
.LBB127_71:                             ; =>This Inner Loop Header: Depth=1
	v_add_nc_u32_e64 v0, s3, 0
	s_delay_alu instid0(VALU_DEP_1)
	v_add_nc_u32_e32 v1, 0x60, v0
	v_add_nc_u32_e32 v4, 0x70, v0
	s_clause 0x1
	scratch_load_b128 v[0:3], v1, off
	scratch_load_b128 v[20:23], v4, off
	v_add_nc_u32_e32 v4, s3, v6
	s_add_i32 s3, s3, 32
	s_waitcnt vmcnt(1)
	ds_store_2addr_b64 v4, v[0:1], v[2:3] offset1:1
	s_waitcnt vmcnt(0)
	ds_store_2addr_b64 v4, v[20:21], v[22:23] offset0:2 offset1:3
	s_cmpk_lg_i32 s3, 0x3a0
	s_cbranch_scc1 .LBB127_71
; %bb.72:
	scratch_load_b32 v0, off, off offset:1024 ; 4-byte Folded Reload
	s_waitcnt vmcnt(0)
	ds_load_2addr_b64 v[20:23], v0 offset1:1
	s_waitcnt lgkmcnt(0)
	v_cmp_neq_f64_e32 vcc_lo, 0, v[20:21]
	v_cmp_neq_f64_e64 s3, 0, v[22:23]
	s_delay_alu instid0(VALU_DEP_1) | instskip(NEXT) | instid1(SALU_CYCLE_1)
	s_or_b32 s3, vcc_lo, s3
	s_and_b32 exec_lo, exec_lo, s3
	s_cbranch_execz .LBB127_78
; %bb.73:
	v_cmp_gt_f64_e32 vcc_lo, 0, v[20:21]
	v_cmp_gt_f64_e64 s3, 0, v[22:23]
	v_xor_b32_e32 v0, 0x80000000, v21
	v_xor_b32_e32 v2, 0x80000000, v23
                                        ; implicit-def: $vgpr4_vgpr5
	s_delay_alu instid0(VALU_DEP_2) | instskip(NEXT) | instid1(VALU_DEP_2)
	v_cndmask_b32_e32 v1, v21, v0, vcc_lo
	v_cndmask_b32_e64 v3, v23, v2, s3
	v_cndmask_b32_e32 v0, v20, v20, vcc_lo
	v_cndmask_b32_e64 v2, v22, v22, s3
	s_mov_b32 s3, exec_lo
	s_delay_alu instid0(VALU_DEP_1)
	v_cmpx_ngt_f64_e32 v[0:1], v[2:3]
	s_xor_b32 s3, exec_lo, s3
                                        ; implicit-def: $vgpr0_vgpr1_vgpr2_vgpr3
	s_cbranch_execz .LBB127_75
; %bb.74:
	v_div_scale_f64 v[0:1], null, v[22:23], v[22:23], v[20:21]
	v_div_scale_f64 v[24:25], vcc_lo, v[20:21], v[22:23], v[20:21]
	s_delay_alu instid0(VALU_DEP_2) | instskip(SKIP_2) | instid1(VALU_DEP_1)
	v_rcp_f64_e32 v[2:3], v[0:1]
	s_waitcnt_depctr 0xfff
	v_fma_f64 v[4:5], -v[0:1], v[2:3], 1.0
	v_fma_f64 v[2:3], v[2:3], v[4:5], v[2:3]
	s_delay_alu instid0(VALU_DEP_1) | instskip(NEXT) | instid1(VALU_DEP_1)
	v_fma_f64 v[4:5], -v[0:1], v[2:3], 1.0
	v_fma_f64 v[2:3], v[2:3], v[4:5], v[2:3]
	s_delay_alu instid0(VALU_DEP_1) | instskip(NEXT) | instid1(VALU_DEP_1)
	v_mul_f64 v[4:5], v[24:25], v[2:3]
	v_fma_f64 v[0:1], -v[0:1], v[4:5], v[24:25]
	s_delay_alu instid0(VALU_DEP_1) | instskip(NEXT) | instid1(VALU_DEP_1)
	v_div_fmas_f64 v[0:1], v[0:1], v[2:3], v[4:5]
	v_div_fixup_f64 v[0:1], v[0:1], v[22:23], v[20:21]
	s_delay_alu instid0(VALU_DEP_1) | instskip(NEXT) | instid1(VALU_DEP_1)
	v_fma_f64 v[2:3], v[20:21], v[0:1], v[22:23]
	v_div_scale_f64 v[4:5], null, v[2:3], v[2:3], 1.0
	s_delay_alu instid0(VALU_DEP_1) | instskip(SKIP_2) | instid1(VALU_DEP_1)
	v_rcp_f64_e32 v[20:21], v[4:5]
	s_waitcnt_depctr 0xfff
	v_fma_f64 v[22:23], -v[4:5], v[20:21], 1.0
	v_fma_f64 v[20:21], v[20:21], v[22:23], v[20:21]
	s_delay_alu instid0(VALU_DEP_1) | instskip(NEXT) | instid1(VALU_DEP_1)
	v_fma_f64 v[22:23], -v[4:5], v[20:21], 1.0
	v_fma_f64 v[20:21], v[20:21], v[22:23], v[20:21]
	v_div_scale_f64 v[22:23], vcc_lo, 1.0, v[2:3], 1.0
	s_delay_alu instid0(VALU_DEP_1) | instskip(NEXT) | instid1(VALU_DEP_1)
	v_mul_f64 v[24:25], v[22:23], v[20:21]
	v_fma_f64 v[4:5], -v[4:5], v[24:25], v[22:23]
	s_delay_alu instid0(VALU_DEP_1) | instskip(NEXT) | instid1(VALU_DEP_1)
	v_div_fmas_f64 v[4:5], v[4:5], v[20:21], v[24:25]
                                        ; implicit-def: $vgpr20_vgpr21
	v_div_fixup_f64 v[2:3], v[4:5], v[2:3], 1.0
	s_delay_alu instid0(VALU_DEP_1)
	v_mul_f64 v[4:5], v[0:1], v[2:3]
	v_xor_b32_e32 v3, 0x80000000, v3
.LBB127_75:
	s_and_not1_saveexec_b32 s3, s3
	s_cbranch_execz .LBB127_77
; %bb.76:
	v_div_scale_f64 v[0:1], null, v[20:21], v[20:21], v[22:23]
	v_div_scale_f64 v[24:25], vcc_lo, v[22:23], v[20:21], v[22:23]
	s_delay_alu instid0(VALU_DEP_2) | instskip(SKIP_2) | instid1(VALU_DEP_1)
	v_rcp_f64_e32 v[2:3], v[0:1]
	s_waitcnt_depctr 0xfff
	v_fma_f64 v[4:5], -v[0:1], v[2:3], 1.0
	v_fma_f64 v[2:3], v[2:3], v[4:5], v[2:3]
	s_delay_alu instid0(VALU_DEP_1) | instskip(NEXT) | instid1(VALU_DEP_1)
	v_fma_f64 v[4:5], -v[0:1], v[2:3], 1.0
	v_fma_f64 v[2:3], v[2:3], v[4:5], v[2:3]
	s_delay_alu instid0(VALU_DEP_1) | instskip(NEXT) | instid1(VALU_DEP_1)
	v_mul_f64 v[4:5], v[24:25], v[2:3]
	v_fma_f64 v[0:1], -v[0:1], v[4:5], v[24:25]
	s_delay_alu instid0(VALU_DEP_1) | instskip(NEXT) | instid1(VALU_DEP_1)
	v_div_fmas_f64 v[0:1], v[0:1], v[2:3], v[4:5]
	v_div_fixup_f64 v[0:1], v[0:1], v[20:21], v[22:23]
	s_delay_alu instid0(VALU_DEP_1) | instskip(NEXT) | instid1(VALU_DEP_1)
	v_fma_f64 v[2:3], v[22:23], v[0:1], v[20:21]
	v_div_scale_f64 v[4:5], null, v[2:3], v[2:3], 1.0
	s_delay_alu instid0(VALU_DEP_1) | instskip(SKIP_2) | instid1(VALU_DEP_1)
	v_rcp_f64_e32 v[20:21], v[4:5]
	s_waitcnt_depctr 0xfff
	v_fma_f64 v[22:23], -v[4:5], v[20:21], 1.0
	v_fma_f64 v[20:21], v[20:21], v[22:23], v[20:21]
	s_delay_alu instid0(VALU_DEP_1) | instskip(NEXT) | instid1(VALU_DEP_1)
	v_fma_f64 v[22:23], -v[4:5], v[20:21], 1.0
	v_fma_f64 v[20:21], v[20:21], v[22:23], v[20:21]
	v_div_scale_f64 v[22:23], vcc_lo, 1.0, v[2:3], 1.0
	s_delay_alu instid0(VALU_DEP_1) | instskip(NEXT) | instid1(VALU_DEP_1)
	v_mul_f64 v[24:25], v[22:23], v[20:21]
	v_fma_f64 v[4:5], -v[4:5], v[24:25], v[22:23]
	s_delay_alu instid0(VALU_DEP_1) | instskip(NEXT) | instid1(VALU_DEP_1)
	v_div_fmas_f64 v[4:5], v[4:5], v[20:21], v[24:25]
	v_div_fixup_f64 v[4:5], v[4:5], v[2:3], 1.0
	s_delay_alu instid0(VALU_DEP_1)
	v_mul_f64 v[2:3], v[0:1], -v[4:5]
.LBB127_77:
	s_or_b32 exec_lo, exec_lo, s3
	scratch_load_b32 v0, off, off offset:1024 ; 4-byte Folded Reload
	s_waitcnt vmcnt(0)
	ds_store_2addr_b64 v0, v[4:5], v[2:3] offset1:1
.LBB127_78:
	s_or_b32 exec_lo, exec_lo, s4
	s_waitcnt lgkmcnt(0)
	s_barrier
	buffer_gl0_inv
	scratch_load_b32 v0, off, off offset:1024 ; 4-byte Folded Reload
	s_mov_b32 s3, exec_lo
	s_waitcnt vmcnt(0)
	ds_load_2addr_b64 v[20:23], v0 offset1:1
	v_cmpx_lt_u32_e32 5, v254
	s_cbranch_execz .LBB127_81
; %bb.79:
	scratch_load_b128 v[0:3], off, off offset:80
	s_mov_b32 s4, 0
	s_waitcnt vmcnt(0) lgkmcnt(0)
	v_mul_f64 v[4:5], v[22:23], v[2:3]
	v_mul_f64 v[2:3], v[20:21], v[2:3]
	s_delay_alu instid0(VALU_DEP_2) | instskip(NEXT) | instid1(VALU_DEP_2)
	v_fma_f64 v[24:25], v[20:21], v[0:1], -v[4:5]
	v_fma_f64 v[26:27], v[22:23], v[0:1], v[2:3]
	scratch_store_b128 off, v[24:27], off offset:80
	s_set_inst_prefetch_distance 0x1
	.p2align	6
.LBB127_80:                             ; =>This Inner Loop Header: Depth=1
	v_add_nc_u32_e64 v0, s4, 0
	v_add_nc_u32_e32 v4, s4, v6
	s_add_i32 s4, s4, 32
	s_delay_alu instid0(SALU_CYCLE_1) | instskip(NEXT) | instid1(VALU_DEP_2)
	s_cmpk_lg_i32 s4, 0x3a0
	v_add_nc_u32_e32 v7, 0x60, v0
	v_add_nc_u32_e32 v46, 0x70, v0
	s_clause 0x1
	scratch_load_b128 v[0:3], v7, off
	scratch_load_b128 v[28:31], v46, off
	ds_load_2addr_b64 v[32:35], v4 offset1:1
	ds_load_2addr_b64 v[36:39], v4 offset0:2 offset1:3
	s_waitcnt lgkmcnt(1)
	v_mul_f64 v[4:5], v[34:35], v[26:27]
	v_mul_f64 v[40:41], v[32:33], v[26:27]
	s_waitcnt lgkmcnt(0)
	v_mul_f64 v[42:43], v[38:39], v[26:27]
	v_mul_f64 v[44:45], v[36:37], v[26:27]
	s_delay_alu instid0(VALU_DEP_4) | instskip(NEXT) | instid1(VALU_DEP_4)
	v_fma_f64 v[4:5], v[32:33], v[24:25], -v[4:5]
	v_fma_f64 v[32:33], v[34:35], v[24:25], v[40:41]
	s_delay_alu instid0(VALU_DEP_4) | instskip(NEXT) | instid1(VALU_DEP_4)
	v_fma_f64 v[34:35], v[36:37], v[24:25], -v[42:43]
	v_fma_f64 v[36:37], v[38:39], v[24:25], v[44:45]
	s_waitcnt vmcnt(1)
	s_delay_alu instid0(VALU_DEP_4) | instskip(NEXT) | instid1(VALU_DEP_4)
	v_add_f64 v[0:1], v[0:1], -v[4:5]
	v_add_f64 v[2:3], v[2:3], -v[32:33]
	s_waitcnt vmcnt(0)
	s_delay_alu instid0(VALU_DEP_4) | instskip(NEXT) | instid1(VALU_DEP_4)
	v_add_f64 v[28:29], v[28:29], -v[34:35]
	v_add_f64 v[30:31], v[30:31], -v[36:37]
	s_clause 0x1
	scratch_store_b128 v7, v[0:3], off
	scratch_store_b128 v46, v[28:31], off
	s_cbranch_scc1 .LBB127_80
.LBB127_81:
	s_set_inst_prefetch_distance 0x2
	s_or_b32 exec_lo, exec_lo, s3
	v_add3_u32 v6, v188, 0, 0x70
	s_mov_b32 s4, exec_lo
	s_waitcnt lgkmcnt(0)
	s_waitcnt_vscnt null, 0x0
	s_barrier
	buffer_gl0_inv
	v_cmpx_eq_u32_e32 6, v254
	s_cbranch_execz .LBB127_90
; %bb.82:
	s_clause 0x1
	scratch_load_b32 v0, off, off offset:1264
	scratch_load_b32 v5, off, off offset:1024
	s_mov_b32 s3, 0
	s_waitcnt vmcnt(1)
	scratch_load_b128 v[1:4], v0, off
	v_mov_b32_e32 v0, 0
	s_waitcnt vmcnt(0)
	ds_store_2addr_b64 v5, v[1:2], v[3:4] offset1:1
	.p2align	6
.LBB127_83:                             ; =>This Inner Loop Header: Depth=1
	v_readfirstlane_b32 s5, v0
	v_add_nc_u32_e32 v5, s3, v6
	s_delay_alu instid0(VALU_DEP_2)
	s_add_i32 s5, s5, s3
	s_add_i32 s3, s3, 48
	;; [unrolled: 1-line block ×4, first 2 shown]
	s_addk_i32 s5, 0x90
	s_clause 0x2
	scratch_load_b128 v[1:4], off, s6
	scratch_load_b128 v[24:27], off, s7
	;; [unrolled: 1-line block ×3, first 2 shown]
	s_cmpk_lg_i32 s3, 0x390
	s_waitcnt vmcnt(2)
	ds_store_2addr_b64 v5, v[1:2], v[3:4] offset1:1
	s_waitcnt vmcnt(1)
	ds_store_2addr_b64 v5, v[24:25], v[26:27] offset0:2 offset1:3
	s_waitcnt vmcnt(0)
	ds_store_2addr_b64 v5, v[28:29], v[30:31] offset0:4 offset1:5
	s_cbranch_scc1 .LBB127_83
; %bb.84:
	scratch_load_b32 v0, off, off offset:1024 ; 4-byte Folded Reload
	s_waitcnt vmcnt(0)
	ds_load_2addr_b64 v[24:27], v0 offset1:1
	s_waitcnt lgkmcnt(0)
	v_cmp_neq_f64_e32 vcc_lo, 0, v[24:25]
	v_cmp_neq_f64_e64 s3, 0, v[26:27]
	s_delay_alu instid0(VALU_DEP_1) | instskip(NEXT) | instid1(SALU_CYCLE_1)
	s_or_b32 s3, vcc_lo, s3
	s_and_b32 exec_lo, exec_lo, s3
	s_cbranch_execz .LBB127_90
; %bb.85:
	v_cmp_gt_f64_e32 vcc_lo, 0, v[24:25]
	v_cmp_gt_f64_e64 s3, 0, v[26:27]
	v_xor_b32_e32 v0, 0x80000000, v25
	v_xor_b32_e32 v2, 0x80000000, v27
                                        ; implicit-def: $vgpr4_vgpr5
	s_delay_alu instid0(VALU_DEP_2) | instskip(NEXT) | instid1(VALU_DEP_2)
	v_cndmask_b32_e32 v1, v25, v0, vcc_lo
	v_cndmask_b32_e64 v3, v27, v2, s3
	v_cndmask_b32_e32 v0, v24, v24, vcc_lo
	v_cndmask_b32_e64 v2, v26, v26, s3
	s_mov_b32 s3, exec_lo
	s_delay_alu instid0(VALU_DEP_1)
	v_cmpx_ngt_f64_e32 v[0:1], v[2:3]
	s_xor_b32 s3, exec_lo, s3
                                        ; implicit-def: $vgpr0_vgpr1_vgpr2_vgpr3
	s_cbranch_execz .LBB127_87
; %bb.86:
	v_div_scale_f64 v[0:1], null, v[26:27], v[26:27], v[24:25]
	v_div_scale_f64 v[28:29], vcc_lo, v[24:25], v[26:27], v[24:25]
	s_delay_alu instid0(VALU_DEP_2) | instskip(SKIP_2) | instid1(VALU_DEP_1)
	v_rcp_f64_e32 v[2:3], v[0:1]
	s_waitcnt_depctr 0xfff
	v_fma_f64 v[4:5], -v[0:1], v[2:3], 1.0
	v_fma_f64 v[2:3], v[2:3], v[4:5], v[2:3]
	s_delay_alu instid0(VALU_DEP_1) | instskip(NEXT) | instid1(VALU_DEP_1)
	v_fma_f64 v[4:5], -v[0:1], v[2:3], 1.0
	v_fma_f64 v[2:3], v[2:3], v[4:5], v[2:3]
	s_delay_alu instid0(VALU_DEP_1) | instskip(NEXT) | instid1(VALU_DEP_1)
	v_mul_f64 v[4:5], v[28:29], v[2:3]
	v_fma_f64 v[0:1], -v[0:1], v[4:5], v[28:29]
	s_delay_alu instid0(VALU_DEP_1) | instskip(NEXT) | instid1(VALU_DEP_1)
	v_div_fmas_f64 v[0:1], v[0:1], v[2:3], v[4:5]
	v_div_fixup_f64 v[0:1], v[0:1], v[26:27], v[24:25]
	s_delay_alu instid0(VALU_DEP_1) | instskip(NEXT) | instid1(VALU_DEP_1)
	v_fma_f64 v[2:3], v[24:25], v[0:1], v[26:27]
	v_div_scale_f64 v[4:5], null, v[2:3], v[2:3], 1.0
	s_delay_alu instid0(VALU_DEP_1) | instskip(SKIP_2) | instid1(VALU_DEP_1)
	v_rcp_f64_e32 v[24:25], v[4:5]
	s_waitcnt_depctr 0xfff
	v_fma_f64 v[26:27], -v[4:5], v[24:25], 1.0
	v_fma_f64 v[24:25], v[24:25], v[26:27], v[24:25]
	s_delay_alu instid0(VALU_DEP_1) | instskip(NEXT) | instid1(VALU_DEP_1)
	v_fma_f64 v[26:27], -v[4:5], v[24:25], 1.0
	v_fma_f64 v[24:25], v[24:25], v[26:27], v[24:25]
	v_div_scale_f64 v[26:27], vcc_lo, 1.0, v[2:3], 1.0
	s_delay_alu instid0(VALU_DEP_1) | instskip(NEXT) | instid1(VALU_DEP_1)
	v_mul_f64 v[28:29], v[26:27], v[24:25]
	v_fma_f64 v[4:5], -v[4:5], v[28:29], v[26:27]
	s_delay_alu instid0(VALU_DEP_1) | instskip(NEXT) | instid1(VALU_DEP_1)
	v_div_fmas_f64 v[4:5], v[4:5], v[24:25], v[28:29]
                                        ; implicit-def: $vgpr24_vgpr25
	v_div_fixup_f64 v[2:3], v[4:5], v[2:3], 1.0
	s_delay_alu instid0(VALU_DEP_1)
	v_mul_f64 v[4:5], v[0:1], v[2:3]
	v_xor_b32_e32 v3, 0x80000000, v3
.LBB127_87:
	s_and_not1_saveexec_b32 s3, s3
	s_cbranch_execz .LBB127_89
; %bb.88:
	v_div_scale_f64 v[0:1], null, v[24:25], v[24:25], v[26:27]
	v_div_scale_f64 v[28:29], vcc_lo, v[26:27], v[24:25], v[26:27]
	s_delay_alu instid0(VALU_DEP_2) | instskip(SKIP_2) | instid1(VALU_DEP_1)
	v_rcp_f64_e32 v[2:3], v[0:1]
	s_waitcnt_depctr 0xfff
	v_fma_f64 v[4:5], -v[0:1], v[2:3], 1.0
	v_fma_f64 v[2:3], v[2:3], v[4:5], v[2:3]
	s_delay_alu instid0(VALU_DEP_1) | instskip(NEXT) | instid1(VALU_DEP_1)
	v_fma_f64 v[4:5], -v[0:1], v[2:3], 1.0
	v_fma_f64 v[2:3], v[2:3], v[4:5], v[2:3]
	s_delay_alu instid0(VALU_DEP_1) | instskip(NEXT) | instid1(VALU_DEP_1)
	v_mul_f64 v[4:5], v[28:29], v[2:3]
	v_fma_f64 v[0:1], -v[0:1], v[4:5], v[28:29]
	s_delay_alu instid0(VALU_DEP_1) | instskip(NEXT) | instid1(VALU_DEP_1)
	v_div_fmas_f64 v[0:1], v[0:1], v[2:3], v[4:5]
	v_div_fixup_f64 v[0:1], v[0:1], v[24:25], v[26:27]
	s_delay_alu instid0(VALU_DEP_1) | instskip(NEXT) | instid1(VALU_DEP_1)
	v_fma_f64 v[2:3], v[26:27], v[0:1], v[24:25]
	v_div_scale_f64 v[4:5], null, v[2:3], v[2:3], 1.0
	s_delay_alu instid0(VALU_DEP_1) | instskip(SKIP_2) | instid1(VALU_DEP_1)
	v_rcp_f64_e32 v[24:25], v[4:5]
	s_waitcnt_depctr 0xfff
	v_fma_f64 v[26:27], -v[4:5], v[24:25], 1.0
	v_fma_f64 v[24:25], v[24:25], v[26:27], v[24:25]
	s_delay_alu instid0(VALU_DEP_1) | instskip(NEXT) | instid1(VALU_DEP_1)
	v_fma_f64 v[26:27], -v[4:5], v[24:25], 1.0
	v_fma_f64 v[24:25], v[24:25], v[26:27], v[24:25]
	v_div_scale_f64 v[26:27], vcc_lo, 1.0, v[2:3], 1.0
	s_delay_alu instid0(VALU_DEP_1) | instskip(NEXT) | instid1(VALU_DEP_1)
	v_mul_f64 v[28:29], v[26:27], v[24:25]
	v_fma_f64 v[4:5], -v[4:5], v[28:29], v[26:27]
	s_delay_alu instid0(VALU_DEP_1) | instskip(NEXT) | instid1(VALU_DEP_1)
	v_div_fmas_f64 v[4:5], v[4:5], v[24:25], v[28:29]
	v_div_fixup_f64 v[4:5], v[4:5], v[2:3], 1.0
	s_delay_alu instid0(VALU_DEP_1)
	v_mul_f64 v[2:3], v[0:1], -v[4:5]
.LBB127_89:
	s_or_b32 exec_lo, exec_lo, s3
	scratch_load_b32 v0, off, off offset:1024 ; 4-byte Folded Reload
	s_waitcnt vmcnt(0)
	ds_store_2addr_b64 v0, v[4:5], v[2:3] offset1:1
.LBB127_90:
	s_or_b32 exec_lo, exec_lo, s4
	s_waitcnt lgkmcnt(0)
	s_barrier
	buffer_gl0_inv
	scratch_load_b32 v0, off, off offset:1024 ; 4-byte Folded Reload
	s_mov_b32 s3, exec_lo
	s_waitcnt vmcnt(0)
	ds_load_2addr_b64 v[24:27], v0 offset1:1
	v_cmpx_lt_u32_e32 6, v254
	s_cbranch_execz .LBB127_93
; %bb.91:
	scratch_load_b128 v[0:3], off, off offset:96
	s_mov_b32 s4, 0
	s_waitcnt vmcnt(0) lgkmcnt(0)
	v_mul_f64 v[4:5], v[26:27], v[2:3]
	v_mul_f64 v[2:3], v[24:25], v[2:3]
	s_delay_alu instid0(VALU_DEP_2) | instskip(NEXT) | instid1(VALU_DEP_2)
	v_fma_f64 v[28:29], v[24:25], v[0:1], -v[4:5]
	v_fma_f64 v[30:31], v[26:27], v[0:1], v[2:3]
	v_mov_b32_e32 v0, 0
	scratch_store_b128 off, v[28:31], off offset:96
.LBB127_92:                             ; =>This Inner Loop Header: Depth=1
	v_add_nc_u32_e32 v5, s4, v6
	v_readfirstlane_b32 s5, v0
	ds_load_2addr_b64 v[1:4], v5 offset1:1
	s_add_i32 s5, s5, s4
	s_add_i32 s4, s4, 48
	;; [unrolled: 1-line block ×3, first 2 shown]
	s_waitcnt lgkmcnt(0)
	v_mul_f64 v[32:33], v[3:4], v[30:31]
	s_delay_alu instid0(VALU_DEP_1) | instskip(SKIP_1) | instid1(VALU_DEP_1)
	v_fma_f64 v[32:33], v[1:2], v[28:29], -v[32:33]
	v_mul_f64 v[1:2], v[1:2], v[30:31]
	v_fma_f64 v[34:35], v[3:4], v[28:29], v[1:2]
	scratch_load_b128 v[1:4], off, s6
	s_waitcnt vmcnt(0)
	v_add_f64 v[1:2], v[1:2], -v[32:33]
	v_add_f64 v[3:4], v[3:4], -v[34:35]
	scratch_store_b128 off, v[1:4], s6
	ds_load_2addr_b64 v[1:4], v5 offset0:2 offset1:3
	s_add_i32 s6, s5, 0x80
	s_addk_i32 s5, 0x90
	s_cmpk_lg_i32 s4, 0x390
	s_waitcnt lgkmcnt(0)
	v_mul_f64 v[32:33], v[3:4], v[30:31]
	s_delay_alu instid0(VALU_DEP_1) | instskip(SKIP_1) | instid1(VALU_DEP_1)
	v_fma_f64 v[32:33], v[1:2], v[28:29], -v[32:33]
	v_mul_f64 v[1:2], v[1:2], v[30:31]
	v_fma_f64 v[34:35], v[3:4], v[28:29], v[1:2]
	scratch_load_b128 v[1:4], off, s6
	s_waitcnt vmcnt(0)
	v_add_f64 v[1:2], v[1:2], -v[32:33]
	v_add_f64 v[3:4], v[3:4], -v[34:35]
	scratch_store_b128 off, v[1:4], s6
	ds_load_2addr_b64 v[1:4], v5 offset0:4 offset1:5
	s_waitcnt lgkmcnt(0)
	v_mul_f64 v[32:33], v[3:4], v[30:31]
	s_delay_alu instid0(VALU_DEP_1) | instskip(SKIP_1) | instid1(VALU_DEP_1)
	v_fma_f64 v[32:33], v[1:2], v[28:29], -v[32:33]
	v_mul_f64 v[1:2], v[1:2], v[30:31]
	v_fma_f64 v[34:35], v[3:4], v[28:29], v[1:2]
	scratch_load_b128 v[1:4], off, s5
	s_waitcnt vmcnt(0)
	v_add_f64 v[1:2], v[1:2], -v[32:33]
	v_add_f64 v[3:4], v[3:4], -v[34:35]
	scratch_store_b128 off, v[1:4], s5
	s_cbranch_scc1 .LBB127_92
.LBB127_93:
	s_or_b32 exec_lo, exec_lo, s3
	v_add3_u32 v6, v188, 0, 0x80
	s_mov_b32 s4, exec_lo
	s_waitcnt lgkmcnt(0)
	s_waitcnt_vscnt null, 0x0
	s_barrier
	buffer_gl0_inv
	v_cmpx_eq_u32_e32 7, v254
	s_cbranch_execz .LBB127_102
; %bb.94:
	s_clause 0x1
	scratch_load_b32 v0, off, off offset:1260
	scratch_load_b32 v5, off, off offset:1024
	s_movk_i32 s3, 0xfc80
	s_waitcnt vmcnt(1)
	scratch_load_b128 v[1:4], v0, off
	v_mov_b32_e32 v0, 0
	s_waitcnt vmcnt(0)
	ds_store_2addr_b64 v5, v[1:2], v[3:4] offset1:1
.LBB127_95:                             ; =>This Inner Loop Header: Depth=1
	v_readfirstlane_b32 s5, v0
	v_add_nc_u32_e32 v5, s3, v6
	s_delay_alu instid0(VALU_DEP_2)
	s_add_i32 s5, s5, s3
	s_addk_i32 s3, 0xe0
	s_add_i32 s6, s5, 0x400
	scratch_load_b128 v[1:4], off, s6
	s_add_i32 s6, s5, 0x410
	s_waitcnt vmcnt(0)
	ds_store_2addr_b64 v5, v[1:2], v[3:4] offset0:112 offset1:113
	scratch_load_b128 v[1:4], off, s6
	s_add_i32 s6, s5, 0x420
	s_waitcnt vmcnt(0)
	ds_store_2addr_b64 v5, v[1:2], v[3:4] offset0:114 offset1:115
	;; [unrolled: 4-line block ×11, first 2 shown]
	scratch_load_b128 v[1:4], off, s6
	s_add_i32 s6, s5, 0x4c0
	s_addk_i32 s5, 0x4d0
	s_cmp_lg_u32 s3, 0
	s_waitcnt vmcnt(0)
	ds_store_2addr_b64 v5, v[1:2], v[3:4] offset0:134 offset1:135
	scratch_load_b128 v[1:4], off, s6
	s_waitcnt vmcnt(0)
	ds_store_2addr_b64 v5, v[1:2], v[3:4] offset0:136 offset1:137
	scratch_load_b128 v[1:4], off, s5
	s_waitcnt vmcnt(0)
	ds_store_2addr_b64 v5, v[1:2], v[3:4] offset0:138 offset1:139
	s_cbranch_scc1 .LBB127_95
; %bb.96:
	scratch_load_b32 v0, off, off offset:1024 ; 4-byte Folded Reload
	s_waitcnt vmcnt(0)
	ds_load_2addr_b64 v[28:31], v0 offset1:1
	s_waitcnt lgkmcnt(0)
	v_cmp_neq_f64_e32 vcc_lo, 0, v[28:29]
	v_cmp_neq_f64_e64 s3, 0, v[30:31]
	s_delay_alu instid0(VALU_DEP_1) | instskip(NEXT) | instid1(SALU_CYCLE_1)
	s_or_b32 s3, vcc_lo, s3
	s_and_b32 exec_lo, exec_lo, s3
	s_cbranch_execz .LBB127_102
; %bb.97:
	v_cmp_gt_f64_e32 vcc_lo, 0, v[28:29]
	v_cmp_gt_f64_e64 s3, 0, v[30:31]
	v_xor_b32_e32 v0, 0x80000000, v29
	v_xor_b32_e32 v2, 0x80000000, v31
                                        ; implicit-def: $vgpr4_vgpr5
	s_delay_alu instid0(VALU_DEP_2) | instskip(NEXT) | instid1(VALU_DEP_2)
	v_cndmask_b32_e32 v1, v29, v0, vcc_lo
	v_cndmask_b32_e64 v3, v31, v2, s3
	v_cndmask_b32_e32 v0, v28, v28, vcc_lo
	v_cndmask_b32_e64 v2, v30, v30, s3
	s_mov_b32 s3, exec_lo
	s_delay_alu instid0(VALU_DEP_1)
	v_cmpx_ngt_f64_e32 v[0:1], v[2:3]
	s_xor_b32 s3, exec_lo, s3
                                        ; implicit-def: $vgpr0_vgpr1_vgpr2_vgpr3
	s_cbranch_execz .LBB127_99
; %bb.98:
	v_div_scale_f64 v[0:1], null, v[30:31], v[30:31], v[28:29]
	v_div_scale_f64 v[32:33], vcc_lo, v[28:29], v[30:31], v[28:29]
	s_delay_alu instid0(VALU_DEP_2) | instskip(SKIP_2) | instid1(VALU_DEP_1)
	v_rcp_f64_e32 v[2:3], v[0:1]
	s_waitcnt_depctr 0xfff
	v_fma_f64 v[4:5], -v[0:1], v[2:3], 1.0
	v_fma_f64 v[2:3], v[2:3], v[4:5], v[2:3]
	s_delay_alu instid0(VALU_DEP_1) | instskip(NEXT) | instid1(VALU_DEP_1)
	v_fma_f64 v[4:5], -v[0:1], v[2:3], 1.0
	v_fma_f64 v[2:3], v[2:3], v[4:5], v[2:3]
	s_delay_alu instid0(VALU_DEP_1) | instskip(NEXT) | instid1(VALU_DEP_1)
	v_mul_f64 v[4:5], v[32:33], v[2:3]
	v_fma_f64 v[0:1], -v[0:1], v[4:5], v[32:33]
	s_delay_alu instid0(VALU_DEP_1) | instskip(NEXT) | instid1(VALU_DEP_1)
	v_div_fmas_f64 v[0:1], v[0:1], v[2:3], v[4:5]
	v_div_fixup_f64 v[0:1], v[0:1], v[30:31], v[28:29]
	s_delay_alu instid0(VALU_DEP_1) | instskip(NEXT) | instid1(VALU_DEP_1)
	v_fma_f64 v[2:3], v[28:29], v[0:1], v[30:31]
	v_div_scale_f64 v[4:5], null, v[2:3], v[2:3], 1.0
	s_delay_alu instid0(VALU_DEP_1) | instskip(SKIP_2) | instid1(VALU_DEP_1)
	v_rcp_f64_e32 v[28:29], v[4:5]
	s_waitcnt_depctr 0xfff
	v_fma_f64 v[30:31], -v[4:5], v[28:29], 1.0
	v_fma_f64 v[28:29], v[28:29], v[30:31], v[28:29]
	s_delay_alu instid0(VALU_DEP_1) | instskip(NEXT) | instid1(VALU_DEP_1)
	v_fma_f64 v[30:31], -v[4:5], v[28:29], 1.0
	v_fma_f64 v[28:29], v[28:29], v[30:31], v[28:29]
	v_div_scale_f64 v[30:31], vcc_lo, 1.0, v[2:3], 1.0
	s_delay_alu instid0(VALU_DEP_1) | instskip(NEXT) | instid1(VALU_DEP_1)
	v_mul_f64 v[32:33], v[30:31], v[28:29]
	v_fma_f64 v[4:5], -v[4:5], v[32:33], v[30:31]
	s_delay_alu instid0(VALU_DEP_1) | instskip(NEXT) | instid1(VALU_DEP_1)
	v_div_fmas_f64 v[4:5], v[4:5], v[28:29], v[32:33]
                                        ; implicit-def: $vgpr28_vgpr29
	v_div_fixup_f64 v[2:3], v[4:5], v[2:3], 1.0
	s_delay_alu instid0(VALU_DEP_1)
	v_mul_f64 v[4:5], v[0:1], v[2:3]
	v_xor_b32_e32 v3, 0x80000000, v3
.LBB127_99:
	s_and_not1_saveexec_b32 s3, s3
	s_cbranch_execz .LBB127_101
; %bb.100:
	v_div_scale_f64 v[0:1], null, v[28:29], v[28:29], v[30:31]
	v_div_scale_f64 v[32:33], vcc_lo, v[30:31], v[28:29], v[30:31]
	s_delay_alu instid0(VALU_DEP_2) | instskip(SKIP_2) | instid1(VALU_DEP_1)
	v_rcp_f64_e32 v[2:3], v[0:1]
	s_waitcnt_depctr 0xfff
	v_fma_f64 v[4:5], -v[0:1], v[2:3], 1.0
	v_fma_f64 v[2:3], v[2:3], v[4:5], v[2:3]
	s_delay_alu instid0(VALU_DEP_1) | instskip(NEXT) | instid1(VALU_DEP_1)
	v_fma_f64 v[4:5], -v[0:1], v[2:3], 1.0
	v_fma_f64 v[2:3], v[2:3], v[4:5], v[2:3]
	s_delay_alu instid0(VALU_DEP_1) | instskip(NEXT) | instid1(VALU_DEP_1)
	v_mul_f64 v[4:5], v[32:33], v[2:3]
	v_fma_f64 v[0:1], -v[0:1], v[4:5], v[32:33]
	s_delay_alu instid0(VALU_DEP_1) | instskip(NEXT) | instid1(VALU_DEP_1)
	v_div_fmas_f64 v[0:1], v[0:1], v[2:3], v[4:5]
	v_div_fixup_f64 v[0:1], v[0:1], v[28:29], v[30:31]
	s_delay_alu instid0(VALU_DEP_1) | instskip(NEXT) | instid1(VALU_DEP_1)
	v_fma_f64 v[2:3], v[30:31], v[0:1], v[28:29]
	v_div_scale_f64 v[4:5], null, v[2:3], v[2:3], 1.0
	s_delay_alu instid0(VALU_DEP_1) | instskip(SKIP_2) | instid1(VALU_DEP_1)
	v_rcp_f64_e32 v[28:29], v[4:5]
	s_waitcnt_depctr 0xfff
	v_fma_f64 v[30:31], -v[4:5], v[28:29], 1.0
	v_fma_f64 v[28:29], v[28:29], v[30:31], v[28:29]
	s_delay_alu instid0(VALU_DEP_1) | instskip(NEXT) | instid1(VALU_DEP_1)
	v_fma_f64 v[30:31], -v[4:5], v[28:29], 1.0
	v_fma_f64 v[28:29], v[28:29], v[30:31], v[28:29]
	v_div_scale_f64 v[30:31], vcc_lo, 1.0, v[2:3], 1.0
	s_delay_alu instid0(VALU_DEP_1) | instskip(NEXT) | instid1(VALU_DEP_1)
	v_mul_f64 v[32:33], v[30:31], v[28:29]
	v_fma_f64 v[4:5], -v[4:5], v[32:33], v[30:31]
	s_delay_alu instid0(VALU_DEP_1) | instskip(NEXT) | instid1(VALU_DEP_1)
	v_div_fmas_f64 v[4:5], v[4:5], v[28:29], v[32:33]
	v_div_fixup_f64 v[4:5], v[4:5], v[2:3], 1.0
	s_delay_alu instid0(VALU_DEP_1)
	v_mul_f64 v[2:3], v[0:1], -v[4:5]
.LBB127_101:
	s_or_b32 exec_lo, exec_lo, s3
	scratch_load_b32 v0, off, off offset:1024 ; 4-byte Folded Reload
	s_waitcnt vmcnt(0)
	ds_store_2addr_b64 v0, v[4:5], v[2:3] offset1:1
.LBB127_102:
	s_or_b32 exec_lo, exec_lo, s4
	s_waitcnt lgkmcnt(0)
	s_barrier
	buffer_gl0_inv
	scratch_load_b32 v0, off, off offset:1024 ; 4-byte Folded Reload
	s_mov_b32 s3, exec_lo
	s_waitcnt vmcnt(0)
	ds_load_2addr_b64 v[28:31], v0 offset1:1
	v_cmpx_lt_u32_e32 7, v254
	s_cbranch_execz .LBB127_105
; %bb.103:
	scratch_load_b128 v[0:3], off, off offset:112
	s_mov_b32 s4, 0
	s_waitcnt vmcnt(0) lgkmcnt(0)
	v_mul_f64 v[4:5], v[30:31], v[2:3]
	v_mul_f64 v[2:3], v[28:29], v[2:3]
	s_delay_alu instid0(VALU_DEP_2) | instskip(NEXT) | instid1(VALU_DEP_2)
	v_fma_f64 v[32:33], v[28:29], v[0:1], -v[4:5]
	v_fma_f64 v[34:35], v[30:31], v[0:1], v[2:3]
	v_mov_b32_e32 v0, 0
	scratch_store_b128 off, v[32:35], off offset:112
.LBB127_104:                            ; =>This Inner Loop Header: Depth=1
	v_add_nc_u32_e32 v5, s4, v6
	v_readfirstlane_b32 s5, v0
	ds_load_2addr_b64 v[1:4], v5 offset1:1
	s_add_i32 s5, s5, s4
	s_addk_i32 s4, 0x70
	s_add_i32 s6, s5, 0x80
	s_waitcnt lgkmcnt(0)
	v_mul_f64 v[36:37], v[3:4], v[34:35]
	s_delay_alu instid0(VALU_DEP_1) | instskip(SKIP_1) | instid1(VALU_DEP_1)
	v_fma_f64 v[36:37], v[1:2], v[32:33], -v[36:37]
	v_mul_f64 v[1:2], v[1:2], v[34:35]
	v_fma_f64 v[38:39], v[3:4], v[32:33], v[1:2]
	scratch_load_b128 v[1:4], off, s6
	s_waitcnt vmcnt(0)
	v_add_f64 v[1:2], v[1:2], -v[36:37]
	v_add_f64 v[3:4], v[3:4], -v[38:39]
	scratch_store_b128 off, v[1:4], s6
	ds_load_2addr_b64 v[1:4], v5 offset0:2 offset1:3
	s_add_i32 s6, s5, 0x90
	s_waitcnt lgkmcnt(0)
	v_mul_f64 v[36:37], v[3:4], v[34:35]
	s_delay_alu instid0(VALU_DEP_1) | instskip(SKIP_1) | instid1(VALU_DEP_1)
	v_fma_f64 v[36:37], v[1:2], v[32:33], -v[36:37]
	v_mul_f64 v[1:2], v[1:2], v[34:35]
	v_fma_f64 v[38:39], v[3:4], v[32:33], v[1:2]
	scratch_load_b128 v[1:4], off, s6
	s_waitcnt vmcnt(0)
	v_add_f64 v[1:2], v[1:2], -v[36:37]
	v_add_f64 v[3:4], v[3:4], -v[38:39]
	scratch_store_b128 off, v[1:4], s6
	ds_load_2addr_b64 v[1:4], v5 offset0:4 offset1:5
	;; [unrolled: 13-line block ×5, first 2 shown]
	s_add_i32 s6, s5, 0xd0
	s_addk_i32 s5, 0xe0
	s_cmpk_lg_i32 s4, 0x380
	s_waitcnt lgkmcnt(0)
	v_mul_f64 v[36:37], v[3:4], v[34:35]
	s_delay_alu instid0(VALU_DEP_1) | instskip(SKIP_1) | instid1(VALU_DEP_1)
	v_fma_f64 v[36:37], v[1:2], v[32:33], -v[36:37]
	v_mul_f64 v[1:2], v[1:2], v[34:35]
	v_fma_f64 v[32:33], v[3:4], v[32:33], v[1:2]
	scratch_load_b128 v[1:4], off, s6
	s_waitcnt vmcnt(0)
	v_add_f64 v[3:4], v[3:4], -v[32:33]
	scratch_load_b128 v[32:35], off, off offset:112
	v_add_f64 v[1:2], v[1:2], -v[36:37]
	scratch_store_b128 off, v[1:4], s6
	ds_load_2addr_b64 v[1:4], v5 offset0:12 offset1:13
	s_waitcnt vmcnt(0) lgkmcnt(0)
	v_mul_f64 v[36:37], v[3:4], v[34:35]
	s_delay_alu instid0(VALU_DEP_1) | instskip(SKIP_1) | instid1(VALU_DEP_1)
	v_fma_f64 v[36:37], v[1:2], v[32:33], -v[36:37]
	v_mul_f64 v[1:2], v[1:2], v[34:35]
	v_fma_f64 v[38:39], v[3:4], v[32:33], v[1:2]
	scratch_load_b128 v[1:4], off, s5
	s_waitcnt vmcnt(0)
	v_add_f64 v[1:2], v[1:2], -v[36:37]
	v_add_f64 v[3:4], v[3:4], -v[38:39]
	scratch_store_b128 off, v[1:4], s5
	s_cbranch_scc1 .LBB127_104
.LBB127_105:
	s_or_b32 exec_lo, exec_lo, s3
	v_add3_u32 v6, v188, 0, 0x90
	s_mov_b32 s4, exec_lo
	s_waitcnt lgkmcnt(0)
	s_waitcnt_vscnt null, 0x0
	s_barrier
	buffer_gl0_inv
	v_cmpx_eq_u32_e32 8, v254
	s_cbranch_execz .LBB127_114
; %bb.106:
	s_clause 0x1
	scratch_load_b32 v0, off, off offset:1256
	scratch_load_b32 v5, off, off offset:1024
	s_movk_i32 s3, 0xfc90
	s_waitcnt vmcnt(1)
	scratch_load_b128 v[1:4], v0, off
	v_mov_b32_e32 v0, 0
	s_waitcnt vmcnt(0)
	ds_store_2addr_b64 v5, v[1:2], v[3:4] offset1:1
.LBB127_107:                            ; =>This Inner Loop Header: Depth=1
	v_readfirstlane_b32 s5, v0
	v_add_nc_u32_e32 v5, s3, v6
	s_delay_alu instid0(VALU_DEP_2)
	s_add_i32 s5, s5, s3
	s_addk_i32 s3, 0xb0
	s_add_i32 s6, s5, 0x400
	scratch_load_b128 v[1:4], off, s6
	s_add_i32 s6, s5, 0x410
	s_waitcnt vmcnt(0)
	ds_store_2addr_b64 v5, v[1:2], v[3:4] offset0:110 offset1:111
	scratch_load_b128 v[1:4], off, s6
	s_add_i32 s6, s5, 0x420
	s_waitcnt vmcnt(0)
	ds_store_2addr_b64 v5, v[1:2], v[3:4] offset0:112 offset1:113
	;; [unrolled: 4-line block ×8, first 2 shown]
	scratch_load_b128 v[1:4], off, s6
	s_add_i32 s6, s5, 0x490
	s_addk_i32 s5, 0x4a0
	s_cmp_lg_u32 s3, 0
	s_waitcnt vmcnt(0)
	ds_store_2addr_b64 v5, v[1:2], v[3:4] offset0:126 offset1:127
	scratch_load_b128 v[1:4], off, s6
	s_waitcnt vmcnt(0)
	ds_store_2addr_b64 v5, v[1:2], v[3:4] offset0:128 offset1:129
	scratch_load_b128 v[1:4], off, s5
	s_waitcnt vmcnt(0)
	ds_store_2addr_b64 v5, v[1:2], v[3:4] offset0:130 offset1:131
	s_cbranch_scc1 .LBB127_107
; %bb.108:
	scratch_load_b32 v0, off, off offset:1024 ; 4-byte Folded Reload
	s_waitcnt vmcnt(0)
	ds_load_2addr_b64 v[32:35], v0 offset1:1
	s_waitcnt lgkmcnt(0)
	v_cmp_neq_f64_e32 vcc_lo, 0, v[32:33]
	v_cmp_neq_f64_e64 s3, 0, v[34:35]
	s_delay_alu instid0(VALU_DEP_1) | instskip(NEXT) | instid1(SALU_CYCLE_1)
	s_or_b32 s3, vcc_lo, s3
	s_and_b32 exec_lo, exec_lo, s3
	s_cbranch_execz .LBB127_114
; %bb.109:
	v_cmp_gt_f64_e32 vcc_lo, 0, v[32:33]
	v_cmp_gt_f64_e64 s3, 0, v[34:35]
	v_xor_b32_e32 v0, 0x80000000, v33
	v_xor_b32_e32 v2, 0x80000000, v35
                                        ; implicit-def: $vgpr4_vgpr5
	s_delay_alu instid0(VALU_DEP_2) | instskip(NEXT) | instid1(VALU_DEP_2)
	v_cndmask_b32_e32 v1, v33, v0, vcc_lo
	v_cndmask_b32_e64 v3, v35, v2, s3
	v_cndmask_b32_e32 v0, v32, v32, vcc_lo
	v_cndmask_b32_e64 v2, v34, v34, s3
	s_mov_b32 s3, exec_lo
	s_delay_alu instid0(VALU_DEP_1)
	v_cmpx_ngt_f64_e32 v[0:1], v[2:3]
	s_xor_b32 s3, exec_lo, s3
                                        ; implicit-def: $vgpr0_vgpr1_vgpr2_vgpr3
	s_cbranch_execz .LBB127_111
; %bb.110:
	v_div_scale_f64 v[0:1], null, v[34:35], v[34:35], v[32:33]
	v_div_scale_f64 v[36:37], vcc_lo, v[32:33], v[34:35], v[32:33]
	s_delay_alu instid0(VALU_DEP_2) | instskip(SKIP_2) | instid1(VALU_DEP_1)
	v_rcp_f64_e32 v[2:3], v[0:1]
	s_waitcnt_depctr 0xfff
	v_fma_f64 v[4:5], -v[0:1], v[2:3], 1.0
	v_fma_f64 v[2:3], v[2:3], v[4:5], v[2:3]
	s_delay_alu instid0(VALU_DEP_1) | instskip(NEXT) | instid1(VALU_DEP_1)
	v_fma_f64 v[4:5], -v[0:1], v[2:3], 1.0
	v_fma_f64 v[2:3], v[2:3], v[4:5], v[2:3]
	s_delay_alu instid0(VALU_DEP_1) | instskip(NEXT) | instid1(VALU_DEP_1)
	v_mul_f64 v[4:5], v[36:37], v[2:3]
	v_fma_f64 v[0:1], -v[0:1], v[4:5], v[36:37]
	s_delay_alu instid0(VALU_DEP_1) | instskip(NEXT) | instid1(VALU_DEP_1)
	v_div_fmas_f64 v[0:1], v[0:1], v[2:3], v[4:5]
	v_div_fixup_f64 v[0:1], v[0:1], v[34:35], v[32:33]
	s_delay_alu instid0(VALU_DEP_1) | instskip(NEXT) | instid1(VALU_DEP_1)
	v_fma_f64 v[2:3], v[32:33], v[0:1], v[34:35]
	v_div_scale_f64 v[4:5], null, v[2:3], v[2:3], 1.0
	s_delay_alu instid0(VALU_DEP_1) | instskip(SKIP_2) | instid1(VALU_DEP_1)
	v_rcp_f64_e32 v[32:33], v[4:5]
	s_waitcnt_depctr 0xfff
	v_fma_f64 v[34:35], -v[4:5], v[32:33], 1.0
	v_fma_f64 v[32:33], v[32:33], v[34:35], v[32:33]
	s_delay_alu instid0(VALU_DEP_1) | instskip(NEXT) | instid1(VALU_DEP_1)
	v_fma_f64 v[34:35], -v[4:5], v[32:33], 1.0
	v_fma_f64 v[32:33], v[32:33], v[34:35], v[32:33]
	v_div_scale_f64 v[34:35], vcc_lo, 1.0, v[2:3], 1.0
	s_delay_alu instid0(VALU_DEP_1) | instskip(NEXT) | instid1(VALU_DEP_1)
	v_mul_f64 v[36:37], v[34:35], v[32:33]
	v_fma_f64 v[4:5], -v[4:5], v[36:37], v[34:35]
	s_delay_alu instid0(VALU_DEP_1) | instskip(NEXT) | instid1(VALU_DEP_1)
	v_div_fmas_f64 v[4:5], v[4:5], v[32:33], v[36:37]
                                        ; implicit-def: $vgpr32_vgpr33
	v_div_fixup_f64 v[2:3], v[4:5], v[2:3], 1.0
	s_delay_alu instid0(VALU_DEP_1)
	v_mul_f64 v[4:5], v[0:1], v[2:3]
	v_xor_b32_e32 v3, 0x80000000, v3
.LBB127_111:
	s_and_not1_saveexec_b32 s3, s3
	s_cbranch_execz .LBB127_113
; %bb.112:
	v_div_scale_f64 v[0:1], null, v[32:33], v[32:33], v[34:35]
	v_div_scale_f64 v[36:37], vcc_lo, v[34:35], v[32:33], v[34:35]
	s_delay_alu instid0(VALU_DEP_2) | instskip(SKIP_2) | instid1(VALU_DEP_1)
	v_rcp_f64_e32 v[2:3], v[0:1]
	s_waitcnt_depctr 0xfff
	v_fma_f64 v[4:5], -v[0:1], v[2:3], 1.0
	v_fma_f64 v[2:3], v[2:3], v[4:5], v[2:3]
	s_delay_alu instid0(VALU_DEP_1) | instskip(NEXT) | instid1(VALU_DEP_1)
	v_fma_f64 v[4:5], -v[0:1], v[2:3], 1.0
	v_fma_f64 v[2:3], v[2:3], v[4:5], v[2:3]
	s_delay_alu instid0(VALU_DEP_1) | instskip(NEXT) | instid1(VALU_DEP_1)
	v_mul_f64 v[4:5], v[36:37], v[2:3]
	v_fma_f64 v[0:1], -v[0:1], v[4:5], v[36:37]
	s_delay_alu instid0(VALU_DEP_1) | instskip(NEXT) | instid1(VALU_DEP_1)
	v_div_fmas_f64 v[0:1], v[0:1], v[2:3], v[4:5]
	v_div_fixup_f64 v[0:1], v[0:1], v[32:33], v[34:35]
	s_delay_alu instid0(VALU_DEP_1) | instskip(NEXT) | instid1(VALU_DEP_1)
	v_fma_f64 v[2:3], v[34:35], v[0:1], v[32:33]
	v_div_scale_f64 v[4:5], null, v[2:3], v[2:3], 1.0
	s_delay_alu instid0(VALU_DEP_1) | instskip(SKIP_2) | instid1(VALU_DEP_1)
	v_rcp_f64_e32 v[32:33], v[4:5]
	s_waitcnt_depctr 0xfff
	v_fma_f64 v[34:35], -v[4:5], v[32:33], 1.0
	v_fma_f64 v[32:33], v[32:33], v[34:35], v[32:33]
	s_delay_alu instid0(VALU_DEP_1) | instskip(NEXT) | instid1(VALU_DEP_1)
	v_fma_f64 v[34:35], -v[4:5], v[32:33], 1.0
	v_fma_f64 v[32:33], v[32:33], v[34:35], v[32:33]
	v_div_scale_f64 v[34:35], vcc_lo, 1.0, v[2:3], 1.0
	s_delay_alu instid0(VALU_DEP_1) | instskip(NEXT) | instid1(VALU_DEP_1)
	v_mul_f64 v[36:37], v[34:35], v[32:33]
	v_fma_f64 v[4:5], -v[4:5], v[36:37], v[34:35]
	s_delay_alu instid0(VALU_DEP_1) | instskip(NEXT) | instid1(VALU_DEP_1)
	v_div_fmas_f64 v[4:5], v[4:5], v[32:33], v[36:37]
	v_div_fixup_f64 v[4:5], v[4:5], v[2:3], 1.0
	s_delay_alu instid0(VALU_DEP_1)
	v_mul_f64 v[2:3], v[0:1], -v[4:5]
.LBB127_113:
	s_or_b32 exec_lo, exec_lo, s3
	scratch_load_b32 v0, off, off offset:1024 ; 4-byte Folded Reload
	s_waitcnt vmcnt(0)
	ds_store_2addr_b64 v0, v[4:5], v[2:3] offset1:1
.LBB127_114:
	s_or_b32 exec_lo, exec_lo, s4
	s_waitcnt lgkmcnt(0)
	s_barrier
	buffer_gl0_inv
	scratch_load_b32 v0, off, off offset:1024 ; 4-byte Folded Reload
	s_mov_b32 s3, exec_lo
	s_waitcnt vmcnt(0)
	ds_load_2addr_b64 v[32:35], v0 offset1:1
	v_cmpx_lt_u32_e32 8, v254
	s_cbranch_execz .LBB127_117
; %bb.115:
	scratch_load_b128 v[0:3], off, off offset:128
	s_mov_b32 s4, 0
	s_waitcnt vmcnt(0) lgkmcnt(0)
	v_mul_f64 v[4:5], v[34:35], v[2:3]
	v_mul_f64 v[2:3], v[32:33], v[2:3]
	s_delay_alu instid0(VALU_DEP_2) | instskip(NEXT) | instid1(VALU_DEP_2)
	v_fma_f64 v[36:37], v[32:33], v[0:1], -v[4:5]
	v_fma_f64 v[38:39], v[34:35], v[0:1], v[2:3]
	v_mov_b32_e32 v0, 0
	scratch_store_b128 off, v[36:39], off offset:128
.LBB127_116:                            ; =>This Inner Loop Header: Depth=1
	v_add_nc_u32_e32 v5, s4, v6
	v_readfirstlane_b32 s5, v0
	ds_load_2addr_b64 v[1:4], v5 offset1:1
	s_add_i32 s5, s5, s4
	s_addk_i32 s4, 0x50
	s_add_i32 s6, s5, 0x90
	s_waitcnt lgkmcnt(0)
	v_mul_f64 v[40:41], v[3:4], v[38:39]
	s_delay_alu instid0(VALU_DEP_1) | instskip(SKIP_1) | instid1(VALU_DEP_1)
	v_fma_f64 v[40:41], v[1:2], v[36:37], -v[40:41]
	v_mul_f64 v[1:2], v[1:2], v[38:39]
	v_fma_f64 v[42:43], v[3:4], v[36:37], v[1:2]
	scratch_load_b128 v[1:4], off, s6
	s_waitcnt vmcnt(0)
	v_add_f64 v[1:2], v[1:2], -v[40:41]
	v_add_f64 v[3:4], v[3:4], -v[42:43]
	scratch_store_b128 off, v[1:4], s6
	ds_load_2addr_b64 v[1:4], v5 offset0:2 offset1:3
	s_add_i32 s6, s5, 0xa0
	s_waitcnt lgkmcnt(0)
	v_mul_f64 v[40:41], v[3:4], v[38:39]
	s_delay_alu instid0(VALU_DEP_1) | instskip(SKIP_1) | instid1(VALU_DEP_1)
	v_fma_f64 v[40:41], v[1:2], v[36:37], -v[40:41]
	v_mul_f64 v[1:2], v[1:2], v[38:39]
	v_fma_f64 v[42:43], v[3:4], v[36:37], v[1:2]
	scratch_load_b128 v[1:4], off, s6
	s_waitcnt vmcnt(0)
	v_add_f64 v[1:2], v[1:2], -v[40:41]
	v_add_f64 v[3:4], v[3:4], -v[42:43]
	scratch_store_b128 off, v[1:4], s6
	ds_load_2addr_b64 v[1:4], v5 offset0:4 offset1:5
	;; [unrolled: 13-line block ×3, first 2 shown]
	s_add_i32 s6, s5, 0xc0
	s_addk_i32 s5, 0xd0
	s_cmpk_lg_i32 s4, 0x370
	s_waitcnt lgkmcnt(0)
	v_mul_f64 v[40:41], v[3:4], v[38:39]
	s_delay_alu instid0(VALU_DEP_1) | instskip(SKIP_1) | instid1(VALU_DEP_1)
	v_fma_f64 v[40:41], v[1:2], v[36:37], -v[40:41]
	v_mul_f64 v[1:2], v[1:2], v[38:39]
	v_fma_f64 v[42:43], v[3:4], v[36:37], v[1:2]
	scratch_load_b128 v[1:4], off, s6
	s_waitcnt vmcnt(0)
	v_add_f64 v[1:2], v[1:2], -v[40:41]
	v_add_f64 v[3:4], v[3:4], -v[42:43]
	scratch_store_b128 off, v[1:4], s6
	ds_load_2addr_b64 v[1:4], v5 offset0:8 offset1:9
	s_waitcnt lgkmcnt(0)
	v_mul_f64 v[40:41], v[3:4], v[38:39]
	s_delay_alu instid0(VALU_DEP_1) | instskip(SKIP_1) | instid1(VALU_DEP_1)
	v_fma_f64 v[40:41], v[1:2], v[36:37], -v[40:41]
	v_mul_f64 v[1:2], v[1:2], v[38:39]
	v_fma_f64 v[42:43], v[3:4], v[36:37], v[1:2]
	scratch_load_b128 v[1:4], off, s5
	s_waitcnt vmcnt(0)
	v_add_f64 v[1:2], v[1:2], -v[40:41]
	v_add_f64 v[3:4], v[3:4], -v[42:43]
	scratch_store_b128 off, v[1:4], s5
	s_cbranch_scc1 .LBB127_116
.LBB127_117:
	s_or_b32 exec_lo, exec_lo, s3
	v_add3_u32 v6, v188, 0, 0xa0
	s_mov_b32 s4, exec_lo
	s_waitcnt lgkmcnt(0)
	s_waitcnt_vscnt null, 0x0
	s_barrier
	buffer_gl0_inv
	v_cmpx_eq_u32_e32 9, v254
	s_cbranch_execz .LBB127_126
; %bb.118:
	s_clause 0x1
	scratch_load_b32 v0, off, off offset:1252
	scratch_load_b32 v5, off, off offset:1024
	s_movk_i32 s3, 0xfca0
	s_waitcnt vmcnt(1)
	scratch_load_b128 v[1:4], v0, off
	v_mov_b32_e32 v0, 0
	s_waitcnt vmcnt(0)
	ds_store_2addr_b64 v5, v[1:2], v[3:4] offset1:1
.LBB127_119:                            ; =>This Inner Loop Header: Depth=1
	v_readfirstlane_b32 s5, v0
	v_add_nc_u32_e32 v5, s3, v6
	s_delay_alu instid0(VALU_DEP_2)
	s_add_i32 s5, s5, s3
	s_addk_i32 s3, 0x120
	s_add_i32 s6, s5, 0x400
	scratch_load_b128 v[1:4], off, s6
	s_add_i32 s6, s5, 0x410
	s_waitcnt vmcnt(0)
	ds_store_2addr_b64 v5, v[1:2], v[3:4] offset0:108 offset1:109
	scratch_load_b128 v[1:4], off, s6
	s_add_i32 s6, s5, 0x420
	s_waitcnt vmcnt(0)
	ds_store_2addr_b64 v5, v[1:2], v[3:4] offset0:110 offset1:111
	scratch_load_b128 v[1:4], off, s6
	s_add_i32 s6, s5, 0x430
	s_waitcnt vmcnt(0)
	ds_store_2addr_b64 v5, v[1:2], v[3:4] offset0:112 offset1:113
	scratch_load_b128 v[1:4], off, s6
	s_add_i32 s6, s5, 0x440
	s_waitcnt vmcnt(0)
	ds_store_2addr_b64 v5, v[1:2], v[3:4] offset0:114 offset1:115
	scratch_load_b128 v[1:4], off, s6
	s_add_i32 s6, s5, 0x450
	s_waitcnt vmcnt(0)
	ds_store_2addr_b64 v5, v[1:2], v[3:4] offset0:116 offset1:117
	scratch_load_b128 v[1:4], off, s6
	s_add_i32 s6, s5, 0x460
	s_waitcnt vmcnt(0)
	ds_store_2addr_b64 v5, v[1:2], v[3:4] offset0:118 offset1:119
	scratch_load_b128 v[1:4], off, s6
	s_add_i32 s6, s5, 0x470
	s_waitcnt vmcnt(0)
	ds_store_2addr_b64 v5, v[1:2], v[3:4] offset0:120 offset1:121
	scratch_load_b128 v[1:4], off, s6
	s_add_i32 s6, s5, 0x480
	s_waitcnt vmcnt(0)
	ds_store_2addr_b64 v5, v[1:2], v[3:4] offset0:122 offset1:123
	scratch_load_b128 v[1:4], off, s6
	s_add_i32 s6, s5, 0x490
	s_waitcnt vmcnt(0)
	ds_store_2addr_b64 v5, v[1:2], v[3:4] offset0:124 offset1:125
	scratch_load_b128 v[1:4], off, s6
	s_add_i32 s6, s5, 0x4a0
	s_waitcnt vmcnt(0)
	ds_store_2addr_b64 v5, v[1:2], v[3:4] offset0:126 offset1:127
	scratch_load_b128 v[1:4], off, s6
	s_add_i32 s6, s5, 0x4b0
	s_waitcnt vmcnt(0)
	ds_store_2addr_b64 v5, v[1:2], v[3:4] offset0:128 offset1:129
	scratch_load_b128 v[1:4], off, s6
	s_add_i32 s6, s5, 0x4c0
	s_waitcnt vmcnt(0)
	ds_store_2addr_b64 v5, v[1:2], v[3:4] offset0:130 offset1:131
	scratch_load_b128 v[1:4], off, s6
	s_add_i32 s6, s5, 0x4d0
	s_waitcnt vmcnt(0)
	ds_store_2addr_b64 v5, v[1:2], v[3:4] offset0:132 offset1:133
	scratch_load_b128 v[1:4], off, s6
	s_add_i32 s6, s5, 0x4e0
	s_waitcnt vmcnt(0)
	ds_store_2addr_b64 v5, v[1:2], v[3:4] offset0:134 offset1:135
	scratch_load_b128 v[1:4], off, s6
	s_add_i32 s6, s5, 0x4f0
	s_waitcnt vmcnt(0)
	ds_store_2addr_b64 v5, v[1:2], v[3:4] offset0:136 offset1:137
	scratch_load_b128 v[1:4], off, s6
	s_add_i32 s6, s5, 0x500
	s_addk_i32 s5, 0x510
	s_cmp_lg_u32 s3, 0
	s_waitcnt vmcnt(0)
	ds_store_2addr_b64 v5, v[1:2], v[3:4] offset0:138 offset1:139
	scratch_load_b128 v[1:4], off, s6
	s_waitcnt vmcnt(0)
	ds_store_2addr_b64 v5, v[1:2], v[3:4] offset0:140 offset1:141
	scratch_load_b128 v[1:4], off, s5
	s_waitcnt vmcnt(0)
	ds_store_2addr_b64 v5, v[1:2], v[3:4] offset0:142 offset1:143
	s_cbranch_scc1 .LBB127_119
; %bb.120:
	scratch_load_b32 v0, off, off offset:1024 ; 4-byte Folded Reload
	s_waitcnt vmcnt(0)
	ds_load_2addr_b64 v[36:39], v0 offset1:1
	s_waitcnt lgkmcnt(0)
	v_cmp_neq_f64_e32 vcc_lo, 0, v[36:37]
	v_cmp_neq_f64_e64 s3, 0, v[38:39]
	s_delay_alu instid0(VALU_DEP_1) | instskip(NEXT) | instid1(SALU_CYCLE_1)
	s_or_b32 s3, vcc_lo, s3
	s_and_b32 exec_lo, exec_lo, s3
	s_cbranch_execz .LBB127_126
; %bb.121:
	v_cmp_gt_f64_e32 vcc_lo, 0, v[36:37]
	v_cmp_gt_f64_e64 s3, 0, v[38:39]
	v_xor_b32_e32 v0, 0x80000000, v37
	v_xor_b32_e32 v2, 0x80000000, v39
                                        ; implicit-def: $vgpr4_vgpr5
	s_delay_alu instid0(VALU_DEP_2) | instskip(NEXT) | instid1(VALU_DEP_2)
	v_cndmask_b32_e32 v1, v37, v0, vcc_lo
	v_cndmask_b32_e64 v3, v39, v2, s3
	v_cndmask_b32_e32 v0, v36, v36, vcc_lo
	v_cndmask_b32_e64 v2, v38, v38, s3
	s_mov_b32 s3, exec_lo
	s_delay_alu instid0(VALU_DEP_1)
	v_cmpx_ngt_f64_e32 v[0:1], v[2:3]
	s_xor_b32 s3, exec_lo, s3
                                        ; implicit-def: $vgpr0_vgpr1_vgpr2_vgpr3
	s_cbranch_execz .LBB127_123
; %bb.122:
	v_div_scale_f64 v[0:1], null, v[38:39], v[38:39], v[36:37]
	v_div_scale_f64 v[40:41], vcc_lo, v[36:37], v[38:39], v[36:37]
	s_delay_alu instid0(VALU_DEP_2) | instskip(SKIP_2) | instid1(VALU_DEP_1)
	v_rcp_f64_e32 v[2:3], v[0:1]
	s_waitcnt_depctr 0xfff
	v_fma_f64 v[4:5], -v[0:1], v[2:3], 1.0
	v_fma_f64 v[2:3], v[2:3], v[4:5], v[2:3]
	s_delay_alu instid0(VALU_DEP_1) | instskip(NEXT) | instid1(VALU_DEP_1)
	v_fma_f64 v[4:5], -v[0:1], v[2:3], 1.0
	v_fma_f64 v[2:3], v[2:3], v[4:5], v[2:3]
	s_delay_alu instid0(VALU_DEP_1) | instskip(NEXT) | instid1(VALU_DEP_1)
	v_mul_f64 v[4:5], v[40:41], v[2:3]
	v_fma_f64 v[0:1], -v[0:1], v[4:5], v[40:41]
	s_delay_alu instid0(VALU_DEP_1) | instskip(NEXT) | instid1(VALU_DEP_1)
	v_div_fmas_f64 v[0:1], v[0:1], v[2:3], v[4:5]
	v_div_fixup_f64 v[0:1], v[0:1], v[38:39], v[36:37]
	s_delay_alu instid0(VALU_DEP_1) | instskip(NEXT) | instid1(VALU_DEP_1)
	v_fma_f64 v[2:3], v[36:37], v[0:1], v[38:39]
	v_div_scale_f64 v[4:5], null, v[2:3], v[2:3], 1.0
	s_delay_alu instid0(VALU_DEP_1) | instskip(SKIP_2) | instid1(VALU_DEP_1)
	v_rcp_f64_e32 v[36:37], v[4:5]
	s_waitcnt_depctr 0xfff
	v_fma_f64 v[38:39], -v[4:5], v[36:37], 1.0
	v_fma_f64 v[36:37], v[36:37], v[38:39], v[36:37]
	s_delay_alu instid0(VALU_DEP_1) | instskip(NEXT) | instid1(VALU_DEP_1)
	v_fma_f64 v[38:39], -v[4:5], v[36:37], 1.0
	v_fma_f64 v[36:37], v[36:37], v[38:39], v[36:37]
	v_div_scale_f64 v[38:39], vcc_lo, 1.0, v[2:3], 1.0
	s_delay_alu instid0(VALU_DEP_1) | instskip(NEXT) | instid1(VALU_DEP_1)
	v_mul_f64 v[40:41], v[38:39], v[36:37]
	v_fma_f64 v[4:5], -v[4:5], v[40:41], v[38:39]
	s_delay_alu instid0(VALU_DEP_1) | instskip(NEXT) | instid1(VALU_DEP_1)
	v_div_fmas_f64 v[4:5], v[4:5], v[36:37], v[40:41]
                                        ; implicit-def: $vgpr36_vgpr37
	v_div_fixup_f64 v[2:3], v[4:5], v[2:3], 1.0
	s_delay_alu instid0(VALU_DEP_1)
	v_mul_f64 v[4:5], v[0:1], v[2:3]
	v_xor_b32_e32 v3, 0x80000000, v3
.LBB127_123:
	s_and_not1_saveexec_b32 s3, s3
	s_cbranch_execz .LBB127_125
; %bb.124:
	v_div_scale_f64 v[0:1], null, v[36:37], v[36:37], v[38:39]
	v_div_scale_f64 v[40:41], vcc_lo, v[38:39], v[36:37], v[38:39]
	s_delay_alu instid0(VALU_DEP_2) | instskip(SKIP_2) | instid1(VALU_DEP_1)
	v_rcp_f64_e32 v[2:3], v[0:1]
	s_waitcnt_depctr 0xfff
	v_fma_f64 v[4:5], -v[0:1], v[2:3], 1.0
	v_fma_f64 v[2:3], v[2:3], v[4:5], v[2:3]
	s_delay_alu instid0(VALU_DEP_1) | instskip(NEXT) | instid1(VALU_DEP_1)
	v_fma_f64 v[4:5], -v[0:1], v[2:3], 1.0
	v_fma_f64 v[2:3], v[2:3], v[4:5], v[2:3]
	s_delay_alu instid0(VALU_DEP_1) | instskip(NEXT) | instid1(VALU_DEP_1)
	v_mul_f64 v[4:5], v[40:41], v[2:3]
	v_fma_f64 v[0:1], -v[0:1], v[4:5], v[40:41]
	s_delay_alu instid0(VALU_DEP_1) | instskip(NEXT) | instid1(VALU_DEP_1)
	v_div_fmas_f64 v[0:1], v[0:1], v[2:3], v[4:5]
	v_div_fixup_f64 v[0:1], v[0:1], v[36:37], v[38:39]
	s_delay_alu instid0(VALU_DEP_1) | instskip(NEXT) | instid1(VALU_DEP_1)
	v_fma_f64 v[2:3], v[38:39], v[0:1], v[36:37]
	v_div_scale_f64 v[4:5], null, v[2:3], v[2:3], 1.0
	s_delay_alu instid0(VALU_DEP_1) | instskip(SKIP_2) | instid1(VALU_DEP_1)
	v_rcp_f64_e32 v[36:37], v[4:5]
	s_waitcnt_depctr 0xfff
	v_fma_f64 v[38:39], -v[4:5], v[36:37], 1.0
	v_fma_f64 v[36:37], v[36:37], v[38:39], v[36:37]
	s_delay_alu instid0(VALU_DEP_1) | instskip(NEXT) | instid1(VALU_DEP_1)
	v_fma_f64 v[38:39], -v[4:5], v[36:37], 1.0
	v_fma_f64 v[36:37], v[36:37], v[38:39], v[36:37]
	v_div_scale_f64 v[38:39], vcc_lo, 1.0, v[2:3], 1.0
	s_delay_alu instid0(VALU_DEP_1) | instskip(NEXT) | instid1(VALU_DEP_1)
	v_mul_f64 v[40:41], v[38:39], v[36:37]
	v_fma_f64 v[4:5], -v[4:5], v[40:41], v[38:39]
	s_delay_alu instid0(VALU_DEP_1) | instskip(NEXT) | instid1(VALU_DEP_1)
	v_div_fmas_f64 v[4:5], v[4:5], v[36:37], v[40:41]
	v_div_fixup_f64 v[4:5], v[4:5], v[2:3], 1.0
	s_delay_alu instid0(VALU_DEP_1)
	v_mul_f64 v[2:3], v[0:1], -v[4:5]
.LBB127_125:
	s_or_b32 exec_lo, exec_lo, s3
	scratch_load_b32 v0, off, off offset:1024 ; 4-byte Folded Reload
	s_waitcnt vmcnt(0)
	ds_store_2addr_b64 v0, v[4:5], v[2:3] offset1:1
.LBB127_126:
	s_or_b32 exec_lo, exec_lo, s4
	s_waitcnt lgkmcnt(0)
	s_barrier
	buffer_gl0_inv
	scratch_load_b32 v0, off, off offset:1024 ; 4-byte Folded Reload
	s_mov_b32 s3, exec_lo
	s_waitcnt vmcnt(0)
	ds_load_2addr_b64 v[36:39], v0 offset1:1
	v_cmpx_lt_u32_e32 9, v254
	s_cbranch_execz .LBB127_129
; %bb.127:
	scratch_load_b128 v[0:3], off, off offset:144
	s_mov_b32 s4, 0
	s_waitcnt vmcnt(0) lgkmcnt(0)
	v_mul_f64 v[4:5], v[38:39], v[2:3]
	v_mul_f64 v[2:3], v[36:37], v[2:3]
	s_delay_alu instid0(VALU_DEP_2) | instskip(NEXT) | instid1(VALU_DEP_2)
	v_fma_f64 v[40:41], v[36:37], v[0:1], -v[4:5]
	v_fma_f64 v[42:43], v[38:39], v[0:1], v[2:3]
	v_mov_b32_e32 v0, 0
	scratch_store_b128 off, v[40:43], off offset:144
.LBB127_128:                            ; =>This Inner Loop Header: Depth=1
	v_add_nc_u32_e32 v5, s4, v6
	v_readfirstlane_b32 s5, v0
	ds_load_2addr_b64 v[1:4], v5 offset1:1
	s_add_i32 s5, s5, s4
	s_addk_i32 s4, 0x60
	s_add_i32 s6, s5, 0xa0
	s_waitcnt lgkmcnt(0)
	v_mul_f64 v[44:45], v[3:4], v[42:43]
	s_delay_alu instid0(VALU_DEP_1) | instskip(SKIP_1) | instid1(VALU_DEP_1)
	v_fma_f64 v[44:45], v[1:2], v[40:41], -v[44:45]
	v_mul_f64 v[1:2], v[1:2], v[42:43]
	v_fma_f64 v[46:47], v[3:4], v[40:41], v[1:2]
	scratch_load_b128 v[1:4], off, s6
	s_waitcnt vmcnt(0)
	v_add_f64 v[1:2], v[1:2], -v[44:45]
	v_add_f64 v[3:4], v[3:4], -v[46:47]
	scratch_store_b128 off, v[1:4], s6
	ds_load_2addr_b64 v[1:4], v5 offset0:2 offset1:3
	s_add_i32 s6, s5, 0xb0
	s_waitcnt lgkmcnt(0)
	v_mul_f64 v[44:45], v[3:4], v[42:43]
	s_delay_alu instid0(VALU_DEP_1) | instskip(SKIP_1) | instid1(VALU_DEP_1)
	v_fma_f64 v[44:45], v[1:2], v[40:41], -v[44:45]
	v_mul_f64 v[1:2], v[1:2], v[42:43]
	v_fma_f64 v[46:47], v[3:4], v[40:41], v[1:2]
	scratch_load_b128 v[1:4], off, s6
	s_waitcnt vmcnt(0)
	v_add_f64 v[1:2], v[1:2], -v[44:45]
	v_add_f64 v[3:4], v[3:4], -v[46:47]
	scratch_store_b128 off, v[1:4], s6
	ds_load_2addr_b64 v[1:4], v5 offset0:4 offset1:5
	;; [unrolled: 13-line block ×4, first 2 shown]
	s_add_i32 s6, s5, 0xe0
	s_addk_i32 s5, 0xf0
	s_cmpk_lg_i32 s4, 0x360
	s_waitcnt lgkmcnt(0)
	v_mul_f64 v[44:45], v[3:4], v[42:43]
	s_delay_alu instid0(VALU_DEP_1) | instskip(SKIP_1) | instid1(VALU_DEP_1)
	v_fma_f64 v[44:45], v[1:2], v[40:41], -v[44:45]
	v_mul_f64 v[1:2], v[1:2], v[42:43]
	v_fma_f64 v[46:47], v[3:4], v[40:41], v[1:2]
	scratch_load_b128 v[1:4], off, s6
	s_waitcnt vmcnt(0)
	v_add_f64 v[1:2], v[1:2], -v[44:45]
	v_add_f64 v[3:4], v[3:4], -v[46:47]
	scratch_store_b128 off, v[1:4], s6
	ds_load_2addr_b64 v[1:4], v5 offset0:10 offset1:11
	s_waitcnt lgkmcnt(0)
	v_mul_f64 v[44:45], v[3:4], v[42:43]
	s_delay_alu instid0(VALU_DEP_1) | instskip(SKIP_1) | instid1(VALU_DEP_1)
	v_fma_f64 v[44:45], v[1:2], v[40:41], -v[44:45]
	v_mul_f64 v[1:2], v[1:2], v[42:43]
	v_fma_f64 v[46:47], v[3:4], v[40:41], v[1:2]
	scratch_load_b128 v[1:4], off, s5
	s_waitcnt vmcnt(0)
	v_add_f64 v[1:2], v[1:2], -v[44:45]
	v_add_f64 v[3:4], v[3:4], -v[46:47]
	scratch_store_b128 off, v[1:4], s5
	s_cbranch_scc1 .LBB127_128
.LBB127_129:
	s_or_b32 exec_lo, exec_lo, s3
	v_add3_u32 v6, v188, 0, 0xb0
	s_mov_b32 s4, exec_lo
	s_waitcnt lgkmcnt(0)
	s_waitcnt_vscnt null, 0x0
	s_barrier
	buffer_gl0_inv
	v_cmpx_eq_u32_e32 10, v254
	s_cbranch_execz .LBB127_140
; %bb.130:
	s_clause 0x1
	scratch_load_b32 v0, off, off offset:1248
	scratch_load_b32 v5, off, off offset:1024
	s_movk_i32 s3, 0xfd00
	s_waitcnt vmcnt(1)
	scratch_load_b128 v[1:4], v0, off
	v_mov_b32_e32 v0, 0
	s_waitcnt vmcnt(0)
	ds_store_2addr_b64 v5, v[1:2], v[3:4] offset1:1
	s_branch .LBB127_132
.LBB127_131:                            ;   in Loop: Header=BB127_132 Depth=1
	s_add_i32 s6, s5, 0x400
	s_add_i32 s7, s5, 0x410
	s_addk_i32 s5, 0x420
	s_clause 0x2
	scratch_load_b128 v[2:5], off, s6
	scratch_load_b128 v[40:43], off, s7
	;; [unrolled: 1-line block ×3, first 2 shown]
	s_addk_i32 s3, 0x80
	s_waitcnt vmcnt(2)
	ds_store_2addr_b64 v1, v[2:3], v[4:5] offset0:106 offset1:107
	s_waitcnt vmcnt(1)
	ds_store_2addr_b64 v1, v[40:41], v[42:43] offset0:108 offset1:109
	;; [unrolled: 2-line block ×3, first 2 shown]
	s_cbranch_execz .LBB127_134
.LBB127_132:                            ; =>This Inner Loop Header: Depth=1
	v_readfirstlane_b32 s5, v0
	v_add_nc_u32_e32 v1, s3, v6
	s_delay_alu instid0(VALU_DEP_2) | instskip(NEXT) | instid1(SALU_CYCLE_1)
	s_add_i32 s5, s5, s3
	s_add_i32 s6, s5, 0x3b0
	scratch_load_b128 v[2:5], off, s6
	s_add_i32 s6, s5, 0x3c0
	s_waitcnt vmcnt(0)
	ds_store_2addr_b64 v1, v[2:3], v[4:5] offset0:96 offset1:97
	scratch_load_b128 v[2:5], off, s6
	s_add_i32 s6, s5, 0x3d0
	s_waitcnt vmcnt(0)
	ds_store_2addr_b64 v1, v[2:3], v[4:5] offset0:98 offset1:99
	;; [unrolled: 4-line block ×3, first 2 shown]
	scratch_load_b128 v[2:5], off, s6
	s_add_i32 s6, s5, 0x3f0
	s_cmp_eq_u32 s3, 0
	s_waitcnt vmcnt(0)
	ds_store_2addr_b64 v1, v[2:3], v[4:5] offset0:102 offset1:103
	scratch_load_b128 v[2:5], off, s6
	s_waitcnt vmcnt(0)
	ds_store_2addr_b64 v1, v[2:3], v[4:5] offset0:104 offset1:105
	s_cbranch_scc0 .LBB127_131
; %bb.133:
                                        ; implicit-def: $sgpr3
.LBB127_134:
	scratch_load_b32 v0, off, off offset:1024 ; 4-byte Folded Reload
	s_waitcnt vmcnt(0)
	ds_load_2addr_b64 v[40:43], v0 offset1:1
	s_waitcnt lgkmcnt(0)
	v_cmp_neq_f64_e32 vcc_lo, 0, v[40:41]
	v_cmp_neq_f64_e64 s3, 0, v[42:43]
	s_delay_alu instid0(VALU_DEP_1) | instskip(NEXT) | instid1(SALU_CYCLE_1)
	s_or_b32 s3, vcc_lo, s3
	s_and_b32 exec_lo, exec_lo, s3
	s_cbranch_execz .LBB127_140
; %bb.135:
	v_cmp_gt_f64_e32 vcc_lo, 0, v[40:41]
	v_cmp_gt_f64_e64 s3, 0, v[42:43]
	v_xor_b32_e32 v0, 0x80000000, v41
	v_xor_b32_e32 v2, 0x80000000, v43
                                        ; implicit-def: $vgpr4_vgpr5
	s_delay_alu instid0(VALU_DEP_2) | instskip(NEXT) | instid1(VALU_DEP_2)
	v_cndmask_b32_e32 v1, v41, v0, vcc_lo
	v_cndmask_b32_e64 v3, v43, v2, s3
	v_cndmask_b32_e32 v0, v40, v40, vcc_lo
	v_cndmask_b32_e64 v2, v42, v42, s3
	s_mov_b32 s3, exec_lo
	s_delay_alu instid0(VALU_DEP_1)
	v_cmpx_ngt_f64_e32 v[0:1], v[2:3]
	s_xor_b32 s3, exec_lo, s3
                                        ; implicit-def: $vgpr0_vgpr1_vgpr2_vgpr3
	s_cbranch_execz .LBB127_137
; %bb.136:
	v_div_scale_f64 v[0:1], null, v[42:43], v[42:43], v[40:41]
	v_div_scale_f64 v[44:45], vcc_lo, v[40:41], v[42:43], v[40:41]
	s_delay_alu instid0(VALU_DEP_2) | instskip(SKIP_2) | instid1(VALU_DEP_1)
	v_rcp_f64_e32 v[2:3], v[0:1]
	s_waitcnt_depctr 0xfff
	v_fma_f64 v[4:5], -v[0:1], v[2:3], 1.0
	v_fma_f64 v[2:3], v[2:3], v[4:5], v[2:3]
	s_delay_alu instid0(VALU_DEP_1) | instskip(NEXT) | instid1(VALU_DEP_1)
	v_fma_f64 v[4:5], -v[0:1], v[2:3], 1.0
	v_fma_f64 v[2:3], v[2:3], v[4:5], v[2:3]
	s_delay_alu instid0(VALU_DEP_1) | instskip(NEXT) | instid1(VALU_DEP_1)
	v_mul_f64 v[4:5], v[44:45], v[2:3]
	v_fma_f64 v[0:1], -v[0:1], v[4:5], v[44:45]
	s_delay_alu instid0(VALU_DEP_1) | instskip(NEXT) | instid1(VALU_DEP_1)
	v_div_fmas_f64 v[0:1], v[0:1], v[2:3], v[4:5]
	v_div_fixup_f64 v[0:1], v[0:1], v[42:43], v[40:41]
	s_delay_alu instid0(VALU_DEP_1) | instskip(NEXT) | instid1(VALU_DEP_1)
	v_fma_f64 v[2:3], v[40:41], v[0:1], v[42:43]
	v_div_scale_f64 v[4:5], null, v[2:3], v[2:3], 1.0
	s_delay_alu instid0(VALU_DEP_1) | instskip(SKIP_2) | instid1(VALU_DEP_1)
	v_rcp_f64_e32 v[40:41], v[4:5]
	s_waitcnt_depctr 0xfff
	v_fma_f64 v[42:43], -v[4:5], v[40:41], 1.0
	v_fma_f64 v[40:41], v[40:41], v[42:43], v[40:41]
	s_delay_alu instid0(VALU_DEP_1) | instskip(NEXT) | instid1(VALU_DEP_1)
	v_fma_f64 v[42:43], -v[4:5], v[40:41], 1.0
	v_fma_f64 v[40:41], v[40:41], v[42:43], v[40:41]
	v_div_scale_f64 v[42:43], vcc_lo, 1.0, v[2:3], 1.0
	s_delay_alu instid0(VALU_DEP_1) | instskip(NEXT) | instid1(VALU_DEP_1)
	v_mul_f64 v[44:45], v[42:43], v[40:41]
	v_fma_f64 v[4:5], -v[4:5], v[44:45], v[42:43]
	s_delay_alu instid0(VALU_DEP_1) | instskip(NEXT) | instid1(VALU_DEP_1)
	v_div_fmas_f64 v[4:5], v[4:5], v[40:41], v[44:45]
                                        ; implicit-def: $vgpr40_vgpr41
	v_div_fixup_f64 v[2:3], v[4:5], v[2:3], 1.0
	s_delay_alu instid0(VALU_DEP_1)
	v_mul_f64 v[4:5], v[0:1], v[2:3]
	v_xor_b32_e32 v3, 0x80000000, v3
.LBB127_137:
	s_and_not1_saveexec_b32 s3, s3
	s_cbranch_execz .LBB127_139
; %bb.138:
	v_div_scale_f64 v[0:1], null, v[40:41], v[40:41], v[42:43]
	v_div_scale_f64 v[44:45], vcc_lo, v[42:43], v[40:41], v[42:43]
	s_delay_alu instid0(VALU_DEP_2) | instskip(SKIP_2) | instid1(VALU_DEP_1)
	v_rcp_f64_e32 v[2:3], v[0:1]
	s_waitcnt_depctr 0xfff
	v_fma_f64 v[4:5], -v[0:1], v[2:3], 1.0
	v_fma_f64 v[2:3], v[2:3], v[4:5], v[2:3]
	s_delay_alu instid0(VALU_DEP_1) | instskip(NEXT) | instid1(VALU_DEP_1)
	v_fma_f64 v[4:5], -v[0:1], v[2:3], 1.0
	v_fma_f64 v[2:3], v[2:3], v[4:5], v[2:3]
	s_delay_alu instid0(VALU_DEP_1) | instskip(NEXT) | instid1(VALU_DEP_1)
	v_mul_f64 v[4:5], v[44:45], v[2:3]
	v_fma_f64 v[0:1], -v[0:1], v[4:5], v[44:45]
	s_delay_alu instid0(VALU_DEP_1) | instskip(NEXT) | instid1(VALU_DEP_1)
	v_div_fmas_f64 v[0:1], v[0:1], v[2:3], v[4:5]
	v_div_fixup_f64 v[0:1], v[0:1], v[40:41], v[42:43]
	s_delay_alu instid0(VALU_DEP_1) | instskip(NEXT) | instid1(VALU_DEP_1)
	v_fma_f64 v[2:3], v[42:43], v[0:1], v[40:41]
	v_div_scale_f64 v[4:5], null, v[2:3], v[2:3], 1.0
	s_delay_alu instid0(VALU_DEP_1) | instskip(SKIP_2) | instid1(VALU_DEP_1)
	v_rcp_f64_e32 v[40:41], v[4:5]
	s_waitcnt_depctr 0xfff
	v_fma_f64 v[42:43], -v[4:5], v[40:41], 1.0
	v_fma_f64 v[40:41], v[40:41], v[42:43], v[40:41]
	s_delay_alu instid0(VALU_DEP_1) | instskip(NEXT) | instid1(VALU_DEP_1)
	v_fma_f64 v[42:43], -v[4:5], v[40:41], 1.0
	v_fma_f64 v[40:41], v[40:41], v[42:43], v[40:41]
	v_div_scale_f64 v[42:43], vcc_lo, 1.0, v[2:3], 1.0
	s_delay_alu instid0(VALU_DEP_1) | instskip(NEXT) | instid1(VALU_DEP_1)
	v_mul_f64 v[44:45], v[42:43], v[40:41]
	v_fma_f64 v[4:5], -v[4:5], v[44:45], v[42:43]
	s_delay_alu instid0(VALU_DEP_1) | instskip(NEXT) | instid1(VALU_DEP_1)
	v_div_fmas_f64 v[4:5], v[4:5], v[40:41], v[44:45]
	v_div_fixup_f64 v[4:5], v[4:5], v[2:3], 1.0
	s_delay_alu instid0(VALU_DEP_1)
	v_mul_f64 v[2:3], v[0:1], -v[4:5]
.LBB127_139:
	s_or_b32 exec_lo, exec_lo, s3
	scratch_load_b32 v0, off, off offset:1024 ; 4-byte Folded Reload
	s_waitcnt vmcnt(0)
	ds_store_2addr_b64 v0, v[4:5], v[2:3] offset1:1
.LBB127_140:
	s_or_b32 exec_lo, exec_lo, s4
	scratch_store_b128 off, v[48:51], off offset:1800 ; 16-byte Folded Spill
	s_waitcnt lgkmcnt(0)
	s_waitcnt_vscnt null, 0x0
	s_barrier
	buffer_gl0_inv
	scratch_load_b32 v0, off, off offset:1024 ; 4-byte Folded Reload
	s_mov_b32 s3, exec_lo
	s_waitcnt vmcnt(0)
	ds_load_2addr_b64 v[40:43], v0 offset1:1
	v_cmpx_lt_u32_e32 10, v254
	s_cbranch_execz .LBB127_145
; %bb.141:
	scratch_load_b128 v[0:3], off, off offset:160
	s_mov_b32 s4, 0
	s_waitcnt vmcnt(0) lgkmcnt(0)
	v_mul_f64 v[4:5], v[42:43], v[2:3]
	v_mul_f64 v[2:3], v[40:41], v[2:3]
	s_delay_alu instid0(VALU_DEP_2) | instskip(NEXT) | instid1(VALU_DEP_2)
	v_fma_f64 v[44:45], v[40:41], v[0:1], -v[4:5]
	v_fma_f64 v[46:47], v[42:43], v[0:1], v[2:3]
	v_mov_b32_e32 v0, 0
	scratch_store_b128 off, v[44:47], off offset:160
	s_branch .LBB127_143
.LBB127_142:                            ;   in Loop: Header=BB127_143 Depth=1
	s_and_not1_b32 vcc_lo, exec_lo, s6
	s_cbranch_vccz .LBB127_145
.LBB127_143:                            ; =>This Inner Loop Header: Depth=1
	v_add_nc_u32_e32 v1, s4, v6
	v_readfirstlane_b32 s5, v0
	ds_load_2addr_b64 v[2:5], v1 offset1:1
	s_add_i32 s5, s5, s4
	s_delay_alu instid0(SALU_CYCLE_1) | instskip(SKIP_3) | instid1(VALU_DEP_1)
	s_add_i32 s6, s5, 0xb0
	s_cmpk_eq_i32 s4, 0x340
	s_waitcnt lgkmcnt(0)
	v_mul_f64 v[48:49], v[4:5], v[46:47]
	v_fma_f64 v[48:49], v[2:3], v[44:45], -v[48:49]
	v_mul_f64 v[2:3], v[2:3], v[46:47]
	s_delay_alu instid0(VALU_DEP_1)
	v_fma_f64 v[50:51], v[4:5], v[44:45], v[2:3]
	scratch_load_b128 v[2:5], off, s6
	s_waitcnt vmcnt(0)
	v_add_f64 v[2:3], v[2:3], -v[48:49]
	v_add_f64 v[4:5], v[4:5], -v[50:51]
	scratch_store_b128 off, v[2:5], s6
	s_mov_b32 s6, -1
	s_cbranch_scc1 .LBB127_142
; %bb.144:                              ;   in Loop: Header=BB127_143 Depth=1
	ds_load_2addr_b64 v[2:5], v1 offset0:2 offset1:3
	s_add_i32 s6, s5, 0xc0
	s_add_i32 s4, s4, 64
	s_waitcnt lgkmcnt(0)
	v_mul_f64 v[48:49], v[4:5], v[46:47]
	s_delay_alu instid0(VALU_DEP_1) | instskip(SKIP_1) | instid1(VALU_DEP_1)
	v_fma_f64 v[48:49], v[2:3], v[44:45], -v[48:49]
	v_mul_f64 v[2:3], v[2:3], v[46:47]
	v_fma_f64 v[50:51], v[4:5], v[44:45], v[2:3]
	scratch_load_b128 v[2:5], off, s6
	s_waitcnt vmcnt(0)
	v_add_f64 v[2:3], v[2:3], -v[48:49]
	v_add_f64 v[4:5], v[4:5], -v[50:51]
	scratch_store_b128 off, v[2:5], s6
	ds_load_2addr_b64 v[2:5], v1 offset0:4 offset1:5
	s_add_i32 s6, s5, 0xd0
	s_addk_i32 s5, 0xe0
	s_waitcnt lgkmcnt(0)
	v_mul_f64 v[48:49], v[4:5], v[46:47]
	s_delay_alu instid0(VALU_DEP_1) | instskip(SKIP_1) | instid1(VALU_DEP_1)
	v_fma_f64 v[48:49], v[2:3], v[44:45], -v[48:49]
	v_mul_f64 v[2:3], v[2:3], v[46:47]
	v_fma_f64 v[50:51], v[4:5], v[44:45], v[2:3]
	scratch_load_b128 v[2:5], off, s6
	s_waitcnt vmcnt(0)
	v_add_f64 v[2:3], v[2:3], -v[48:49]
	v_add_f64 v[4:5], v[4:5], -v[50:51]
	scratch_store_b128 off, v[2:5], s6
	ds_load_2addr_b64 v[1:4], v1 offset0:6 offset1:7
	s_mov_b32 s6, 0
	s_waitcnt lgkmcnt(0)
	v_mul_f64 v[48:49], v[3:4], v[46:47]
	s_delay_alu instid0(VALU_DEP_1) | instskip(SKIP_1) | instid1(VALU_DEP_1)
	v_fma_f64 v[48:49], v[1:2], v[44:45], -v[48:49]
	v_mul_f64 v[1:2], v[1:2], v[46:47]
	v_fma_f64 v[50:51], v[3:4], v[44:45], v[1:2]
	scratch_load_b128 v[1:4], off, s5
	s_waitcnt vmcnt(0)
	v_add_f64 v[1:2], v[1:2], -v[48:49]
	v_add_f64 v[3:4], v[3:4], -v[50:51]
	scratch_store_b128 off, v[1:4], s5
	s_branch .LBB127_142
.LBB127_145:
	s_or_b32 exec_lo, exec_lo, s3
	v_add3_u32 v6, v188, 0, 0xc0
	s_mov_b32 s4, exec_lo
	s_waitcnt lgkmcnt(0)
	s_waitcnt_vscnt null, 0x0
	s_barrier
	buffer_gl0_inv
	v_cmpx_eq_u32_e32 11, v254
	s_cbranch_execz .LBB127_154
; %bb.146:
	s_clause 0x1
	scratch_load_b32 v0, off, off offset:1244
	scratch_load_b32 v5, off, off offset:1024
	s_movk_i32 s3, 0xfcc0
	s_waitcnt vmcnt(1)
	scratch_load_b128 v[1:4], v0, off
	v_mov_b32_e32 v0, 0
	s_waitcnt vmcnt(0)
	ds_store_2addr_b64 v5, v[1:2], v[3:4] offset1:1
.LBB127_147:                            ; =>This Inner Loop Header: Depth=1
	v_readfirstlane_b32 s5, v0
	v_add_nc_u32_e32 v5, s3, v6
	s_delay_alu instid0(VALU_DEP_2)
	s_add_i32 s5, s5, s3
	s_addk_i32 s3, 0xd0
	s_add_i32 s6, s5, 0x400
	scratch_load_b128 v[1:4], off, s6
	s_add_i32 s6, s5, 0x410
	s_waitcnt vmcnt(0)
	ds_store_2addr_b64 v5, v[1:2], v[3:4] offset0:104 offset1:105
	scratch_load_b128 v[1:4], off, s6
	s_add_i32 s6, s5, 0x420
	s_waitcnt vmcnt(0)
	ds_store_2addr_b64 v5, v[1:2], v[3:4] offset0:106 offset1:107
	;; [unrolled: 4-line block ×10, first 2 shown]
	scratch_load_b128 v[1:4], off, s6
	s_add_i32 s6, s5, 0x4b0
	s_addk_i32 s5, 0x4c0
	s_cmp_lg_u32 s3, 0
	s_waitcnt vmcnt(0)
	ds_store_2addr_b64 v5, v[1:2], v[3:4] offset0:124 offset1:125
	scratch_load_b128 v[1:4], off, s6
	s_waitcnt vmcnt(0)
	ds_store_2addr_b64 v5, v[1:2], v[3:4] offset0:126 offset1:127
	scratch_load_b128 v[1:4], off, s5
	s_waitcnt vmcnt(0)
	ds_store_2addr_b64 v5, v[1:2], v[3:4] offset0:128 offset1:129
	s_cbranch_scc1 .LBB127_147
; %bb.148:
	scratch_load_b32 v0, off, off offset:1024 ; 4-byte Folded Reload
	s_waitcnt vmcnt(0)
	ds_load_2addr_b64 v[44:47], v0 offset1:1
	s_waitcnt lgkmcnt(0)
	v_cmp_neq_f64_e32 vcc_lo, 0, v[44:45]
	v_cmp_neq_f64_e64 s3, 0, v[46:47]
	s_delay_alu instid0(VALU_DEP_1) | instskip(NEXT) | instid1(SALU_CYCLE_1)
	s_or_b32 s3, vcc_lo, s3
	s_and_b32 exec_lo, exec_lo, s3
	s_cbranch_execz .LBB127_154
; %bb.149:
	v_cmp_gt_f64_e32 vcc_lo, 0, v[44:45]
	v_cmp_gt_f64_e64 s3, 0, v[46:47]
	v_xor_b32_e32 v0, 0x80000000, v45
	v_xor_b32_e32 v2, 0x80000000, v47
                                        ; implicit-def: $vgpr4_vgpr5
	s_delay_alu instid0(VALU_DEP_2) | instskip(NEXT) | instid1(VALU_DEP_2)
	v_cndmask_b32_e32 v1, v45, v0, vcc_lo
	v_cndmask_b32_e64 v3, v47, v2, s3
	v_cndmask_b32_e32 v0, v44, v44, vcc_lo
	v_cndmask_b32_e64 v2, v46, v46, s3
	s_mov_b32 s3, exec_lo
	s_delay_alu instid0(VALU_DEP_1)
	v_cmpx_ngt_f64_e32 v[0:1], v[2:3]
	s_xor_b32 s3, exec_lo, s3
                                        ; implicit-def: $vgpr0_vgpr1_vgpr2_vgpr3
	s_cbranch_execz .LBB127_151
; %bb.150:
	v_div_scale_f64 v[0:1], null, v[46:47], v[46:47], v[44:45]
	v_div_scale_f64 v[48:49], vcc_lo, v[44:45], v[46:47], v[44:45]
	s_delay_alu instid0(VALU_DEP_2) | instskip(SKIP_2) | instid1(VALU_DEP_1)
	v_rcp_f64_e32 v[2:3], v[0:1]
	s_waitcnt_depctr 0xfff
	v_fma_f64 v[4:5], -v[0:1], v[2:3], 1.0
	v_fma_f64 v[2:3], v[2:3], v[4:5], v[2:3]
	s_delay_alu instid0(VALU_DEP_1) | instskip(NEXT) | instid1(VALU_DEP_1)
	v_fma_f64 v[4:5], -v[0:1], v[2:3], 1.0
	v_fma_f64 v[2:3], v[2:3], v[4:5], v[2:3]
	s_delay_alu instid0(VALU_DEP_1) | instskip(NEXT) | instid1(VALU_DEP_1)
	v_mul_f64 v[4:5], v[48:49], v[2:3]
	v_fma_f64 v[0:1], -v[0:1], v[4:5], v[48:49]
	s_delay_alu instid0(VALU_DEP_1) | instskip(NEXT) | instid1(VALU_DEP_1)
	v_div_fmas_f64 v[0:1], v[0:1], v[2:3], v[4:5]
	v_div_fixup_f64 v[0:1], v[0:1], v[46:47], v[44:45]
	s_delay_alu instid0(VALU_DEP_1) | instskip(NEXT) | instid1(VALU_DEP_1)
	v_fma_f64 v[2:3], v[44:45], v[0:1], v[46:47]
	v_div_scale_f64 v[4:5], null, v[2:3], v[2:3], 1.0
	s_delay_alu instid0(VALU_DEP_1) | instskip(SKIP_2) | instid1(VALU_DEP_1)
	v_rcp_f64_e32 v[44:45], v[4:5]
	s_waitcnt_depctr 0xfff
	v_fma_f64 v[46:47], -v[4:5], v[44:45], 1.0
	v_fma_f64 v[44:45], v[44:45], v[46:47], v[44:45]
	s_delay_alu instid0(VALU_DEP_1) | instskip(NEXT) | instid1(VALU_DEP_1)
	v_fma_f64 v[46:47], -v[4:5], v[44:45], 1.0
	v_fma_f64 v[44:45], v[44:45], v[46:47], v[44:45]
	v_div_scale_f64 v[46:47], vcc_lo, 1.0, v[2:3], 1.0
	s_delay_alu instid0(VALU_DEP_1) | instskip(NEXT) | instid1(VALU_DEP_1)
	v_mul_f64 v[48:49], v[46:47], v[44:45]
	v_fma_f64 v[4:5], -v[4:5], v[48:49], v[46:47]
	s_delay_alu instid0(VALU_DEP_1) | instskip(NEXT) | instid1(VALU_DEP_1)
	v_div_fmas_f64 v[4:5], v[4:5], v[44:45], v[48:49]
                                        ; implicit-def: $vgpr44_vgpr45
	v_div_fixup_f64 v[2:3], v[4:5], v[2:3], 1.0
	s_delay_alu instid0(VALU_DEP_1)
	v_mul_f64 v[4:5], v[0:1], v[2:3]
	v_xor_b32_e32 v3, 0x80000000, v3
.LBB127_151:
	s_and_not1_saveexec_b32 s3, s3
	s_cbranch_execz .LBB127_153
; %bb.152:
	v_div_scale_f64 v[0:1], null, v[44:45], v[44:45], v[46:47]
	v_div_scale_f64 v[48:49], vcc_lo, v[46:47], v[44:45], v[46:47]
	s_delay_alu instid0(VALU_DEP_2) | instskip(SKIP_2) | instid1(VALU_DEP_1)
	v_rcp_f64_e32 v[2:3], v[0:1]
	s_waitcnt_depctr 0xfff
	v_fma_f64 v[4:5], -v[0:1], v[2:3], 1.0
	v_fma_f64 v[2:3], v[2:3], v[4:5], v[2:3]
	s_delay_alu instid0(VALU_DEP_1) | instskip(NEXT) | instid1(VALU_DEP_1)
	v_fma_f64 v[4:5], -v[0:1], v[2:3], 1.0
	v_fma_f64 v[2:3], v[2:3], v[4:5], v[2:3]
	s_delay_alu instid0(VALU_DEP_1) | instskip(NEXT) | instid1(VALU_DEP_1)
	v_mul_f64 v[4:5], v[48:49], v[2:3]
	v_fma_f64 v[0:1], -v[0:1], v[4:5], v[48:49]
	s_delay_alu instid0(VALU_DEP_1) | instskip(NEXT) | instid1(VALU_DEP_1)
	v_div_fmas_f64 v[0:1], v[0:1], v[2:3], v[4:5]
	v_div_fixup_f64 v[0:1], v[0:1], v[44:45], v[46:47]
	s_delay_alu instid0(VALU_DEP_1) | instskip(NEXT) | instid1(VALU_DEP_1)
	v_fma_f64 v[2:3], v[46:47], v[0:1], v[44:45]
	v_div_scale_f64 v[4:5], null, v[2:3], v[2:3], 1.0
	s_delay_alu instid0(VALU_DEP_1) | instskip(SKIP_2) | instid1(VALU_DEP_1)
	v_rcp_f64_e32 v[44:45], v[4:5]
	s_waitcnt_depctr 0xfff
	v_fma_f64 v[46:47], -v[4:5], v[44:45], 1.0
	v_fma_f64 v[44:45], v[44:45], v[46:47], v[44:45]
	s_delay_alu instid0(VALU_DEP_1) | instskip(NEXT) | instid1(VALU_DEP_1)
	v_fma_f64 v[46:47], -v[4:5], v[44:45], 1.0
	v_fma_f64 v[44:45], v[44:45], v[46:47], v[44:45]
	v_div_scale_f64 v[46:47], vcc_lo, 1.0, v[2:3], 1.0
	s_delay_alu instid0(VALU_DEP_1) | instskip(NEXT) | instid1(VALU_DEP_1)
	v_mul_f64 v[48:49], v[46:47], v[44:45]
	v_fma_f64 v[4:5], -v[4:5], v[48:49], v[46:47]
	s_delay_alu instid0(VALU_DEP_1) | instskip(NEXT) | instid1(VALU_DEP_1)
	v_div_fmas_f64 v[4:5], v[4:5], v[44:45], v[48:49]
	v_div_fixup_f64 v[4:5], v[4:5], v[2:3], 1.0
	s_delay_alu instid0(VALU_DEP_1)
	v_mul_f64 v[2:3], v[0:1], -v[4:5]
.LBB127_153:
	s_or_b32 exec_lo, exec_lo, s3
	scratch_load_b32 v0, off, off offset:1024 ; 4-byte Folded Reload
	s_waitcnt vmcnt(0)
	ds_store_2addr_b64 v0, v[4:5], v[2:3] offset1:1
.LBB127_154:
	s_or_b32 exec_lo, exec_lo, s4
	scratch_store_b128 off, v[8:11], off offset:1816 ; 16-byte Folded Spill
	s_waitcnt lgkmcnt(0)
	s_waitcnt_vscnt null, 0x0
	s_barrier
	buffer_gl0_inv
	scratch_load_b32 v0, off, off offset:1024 ; 4-byte Folded Reload
	s_mov_b32 s3, exec_lo
	s_waitcnt vmcnt(0)
	ds_load_2addr_b64 v[44:47], v0 offset1:1
	v_cmpx_lt_u32_e32 11, v254
	s_cbranch_execz .LBB127_157
; %bb.155:
	scratch_load_b128 v[0:3], off, off offset:176
	s_mov_b32 s4, 0
	s_waitcnt vmcnt(0) lgkmcnt(0)
	v_mul_f64 v[4:5], v[46:47], v[2:3]
	v_mul_f64 v[2:3], v[44:45], v[2:3]
	s_delay_alu instid0(VALU_DEP_2) | instskip(NEXT) | instid1(VALU_DEP_2)
	v_fma_f64 v[48:49], v[44:45], v[0:1], -v[4:5]
	v_fma_f64 v[50:51], v[46:47], v[0:1], v[2:3]
	v_mov_b32_e32 v0, 0
	scratch_store_b128 off, v[48:51], off offset:176
.LBB127_156:                            ; =>This Inner Loop Header: Depth=1
	v_add_nc_u32_e32 v5, s4, v6
	v_readfirstlane_b32 s5, v0
	ds_load_2addr_b64 v[1:4], v5 offset1:1
	s_add_i32 s5, s5, s4
	s_add_i32 s4, s4, 64
	;; [unrolled: 1-line block ×3, first 2 shown]
	s_waitcnt lgkmcnt(0)
	v_mul_f64 v[52:53], v[3:4], v[50:51]
	s_delay_alu instid0(VALU_DEP_1) | instskip(SKIP_1) | instid1(VALU_DEP_1)
	v_fma_f64 v[52:53], v[1:2], v[48:49], -v[52:53]
	v_mul_f64 v[1:2], v[1:2], v[50:51]
	v_fma_f64 v[54:55], v[3:4], v[48:49], v[1:2]
	scratch_load_b128 v[1:4], off, s6
	s_waitcnt vmcnt(0)
	v_add_f64 v[1:2], v[1:2], -v[52:53]
	v_add_f64 v[3:4], v[3:4], -v[54:55]
	scratch_store_b128 off, v[1:4], s6
	ds_load_2addr_b64 v[1:4], v5 offset0:2 offset1:3
	s_add_i32 s6, s5, 0xd0
	s_waitcnt lgkmcnt(0)
	v_mul_f64 v[52:53], v[3:4], v[50:51]
	s_delay_alu instid0(VALU_DEP_1) | instskip(SKIP_1) | instid1(VALU_DEP_1)
	v_fma_f64 v[52:53], v[1:2], v[48:49], -v[52:53]
	v_mul_f64 v[1:2], v[1:2], v[50:51]
	v_fma_f64 v[54:55], v[3:4], v[48:49], v[1:2]
	scratch_load_b128 v[1:4], off, s6
	s_waitcnt vmcnt(0)
	v_add_f64 v[1:2], v[1:2], -v[52:53]
	v_add_f64 v[3:4], v[3:4], -v[54:55]
	scratch_store_b128 off, v[1:4], s6
	ds_load_2addr_b64 v[1:4], v5 offset0:4 offset1:5
	s_add_i32 s6, s5, 0xe0
	s_addk_i32 s5, 0xf0
	s_cmpk_lg_i32 s4, 0x340
	s_waitcnt lgkmcnt(0)
	v_mul_f64 v[52:53], v[3:4], v[50:51]
	s_delay_alu instid0(VALU_DEP_1) | instskip(SKIP_1) | instid1(VALU_DEP_1)
	v_fma_f64 v[52:53], v[1:2], v[48:49], -v[52:53]
	v_mul_f64 v[1:2], v[1:2], v[50:51]
	v_fma_f64 v[54:55], v[3:4], v[48:49], v[1:2]
	scratch_load_b128 v[1:4], off, s6
	s_waitcnt vmcnt(0)
	v_add_f64 v[1:2], v[1:2], -v[52:53]
	v_add_f64 v[3:4], v[3:4], -v[54:55]
	scratch_store_b128 off, v[1:4], s6
	ds_load_2addr_b64 v[1:4], v5 offset0:6 offset1:7
	s_waitcnt lgkmcnt(0)
	v_mul_f64 v[52:53], v[3:4], v[50:51]
	s_delay_alu instid0(VALU_DEP_1) | instskip(SKIP_1) | instid1(VALU_DEP_1)
	v_fma_f64 v[52:53], v[1:2], v[48:49], -v[52:53]
	v_mul_f64 v[1:2], v[1:2], v[50:51]
	v_fma_f64 v[54:55], v[3:4], v[48:49], v[1:2]
	scratch_load_b128 v[1:4], off, s5
	s_waitcnt vmcnt(0)
	v_add_f64 v[1:2], v[1:2], -v[52:53]
	v_add_f64 v[3:4], v[3:4], -v[54:55]
	scratch_store_b128 off, v[1:4], s5
	s_cbranch_scc1 .LBB127_156
.LBB127_157:
	s_or_b32 exec_lo, exec_lo, s3
	v_add3_u32 v6, v188, 0, 0xd0
	s_mov_b32 s4, exec_lo
	s_waitcnt lgkmcnt(0)
	s_waitcnt_vscnt null, 0x0
	s_barrier
	buffer_gl0_inv
	v_cmpx_eq_u32_e32 12, v254
	s_cbranch_execz .LBB127_166
; %bb.158:
	s_clause 0x1
	scratch_load_b32 v0, off, off offset:1240
	scratch_load_b32 v5, off, off offset:1024
	s_movk_i32 s3, 0xfcd0
	s_waitcnt vmcnt(1)
	scratch_load_b128 v[1:4], v0, off
	v_mov_b32_e32 v0, 0
	s_waitcnt vmcnt(0)
	ds_store_2addr_b64 v5, v[1:2], v[3:4] offset1:1
.LBB127_159:                            ; =>This Inner Loop Header: Depth=1
	v_readfirstlane_b32 s5, v0
	v_add_nc_u32_e32 v5, s3, v6
	s_delay_alu instid0(VALU_DEP_2)
	s_add_i32 s5, s5, s3
	s_addk_i32 s3, 0x110
	s_add_i32 s6, s5, 0x400
	scratch_load_b128 v[1:4], off, s6
	s_add_i32 s6, s5, 0x410
	s_waitcnt vmcnt(0)
	ds_store_2addr_b64 v5, v[1:2], v[3:4] offset0:102 offset1:103
	scratch_load_b128 v[1:4], off, s6
	s_add_i32 s6, s5, 0x420
	s_waitcnt vmcnt(0)
	ds_store_2addr_b64 v5, v[1:2], v[3:4] offset0:104 offset1:105
	;; [unrolled: 4-line block ×14, first 2 shown]
	scratch_load_b128 v[1:4], off, s6
	s_add_i32 s6, s5, 0x4f0
	s_addk_i32 s5, 0x500
	s_cmp_lg_u32 s3, 0
	s_waitcnt vmcnt(0)
	ds_store_2addr_b64 v5, v[1:2], v[3:4] offset0:130 offset1:131
	scratch_load_b128 v[1:4], off, s6
	s_waitcnt vmcnt(0)
	ds_store_2addr_b64 v5, v[1:2], v[3:4] offset0:132 offset1:133
	scratch_load_b128 v[1:4], off, s5
	s_waitcnt vmcnt(0)
	ds_store_2addr_b64 v5, v[1:2], v[3:4] offset0:134 offset1:135
	s_cbranch_scc1 .LBB127_159
; %bb.160:
	scratch_load_b32 v0, off, off offset:1024 ; 4-byte Folded Reload
	s_waitcnt vmcnt(0)
	ds_load_2addr_b64 v[48:51], v0 offset1:1
	s_waitcnt lgkmcnt(0)
	v_cmp_neq_f64_e32 vcc_lo, 0, v[48:49]
	v_cmp_neq_f64_e64 s3, 0, v[50:51]
	s_delay_alu instid0(VALU_DEP_1) | instskip(NEXT) | instid1(SALU_CYCLE_1)
	s_or_b32 s3, vcc_lo, s3
	s_and_b32 exec_lo, exec_lo, s3
	s_cbranch_execz .LBB127_166
; %bb.161:
	v_cmp_gt_f64_e32 vcc_lo, 0, v[48:49]
	v_cmp_gt_f64_e64 s3, 0, v[50:51]
	v_xor_b32_e32 v0, 0x80000000, v49
	v_xor_b32_e32 v2, 0x80000000, v51
                                        ; implicit-def: $vgpr4_vgpr5
	s_delay_alu instid0(VALU_DEP_2) | instskip(NEXT) | instid1(VALU_DEP_2)
	v_cndmask_b32_e32 v1, v49, v0, vcc_lo
	v_cndmask_b32_e64 v3, v51, v2, s3
	v_cndmask_b32_e32 v0, v48, v48, vcc_lo
	v_cndmask_b32_e64 v2, v50, v50, s3
	s_mov_b32 s3, exec_lo
	s_delay_alu instid0(VALU_DEP_1)
	v_cmpx_ngt_f64_e32 v[0:1], v[2:3]
	s_xor_b32 s3, exec_lo, s3
                                        ; implicit-def: $vgpr0_vgpr1_vgpr2_vgpr3
	s_cbranch_execz .LBB127_163
; %bb.162:
	v_div_scale_f64 v[0:1], null, v[50:51], v[50:51], v[48:49]
	v_div_scale_f64 v[52:53], vcc_lo, v[48:49], v[50:51], v[48:49]
	s_delay_alu instid0(VALU_DEP_2) | instskip(SKIP_2) | instid1(VALU_DEP_1)
	v_rcp_f64_e32 v[2:3], v[0:1]
	s_waitcnt_depctr 0xfff
	v_fma_f64 v[4:5], -v[0:1], v[2:3], 1.0
	v_fma_f64 v[2:3], v[2:3], v[4:5], v[2:3]
	s_delay_alu instid0(VALU_DEP_1) | instskip(NEXT) | instid1(VALU_DEP_1)
	v_fma_f64 v[4:5], -v[0:1], v[2:3], 1.0
	v_fma_f64 v[2:3], v[2:3], v[4:5], v[2:3]
	s_delay_alu instid0(VALU_DEP_1) | instskip(NEXT) | instid1(VALU_DEP_1)
	v_mul_f64 v[4:5], v[52:53], v[2:3]
	v_fma_f64 v[0:1], -v[0:1], v[4:5], v[52:53]
	s_delay_alu instid0(VALU_DEP_1) | instskip(NEXT) | instid1(VALU_DEP_1)
	v_div_fmas_f64 v[0:1], v[0:1], v[2:3], v[4:5]
	v_div_fixup_f64 v[0:1], v[0:1], v[50:51], v[48:49]
	s_delay_alu instid0(VALU_DEP_1) | instskip(NEXT) | instid1(VALU_DEP_1)
	v_fma_f64 v[2:3], v[48:49], v[0:1], v[50:51]
	v_div_scale_f64 v[4:5], null, v[2:3], v[2:3], 1.0
	s_delay_alu instid0(VALU_DEP_1) | instskip(SKIP_2) | instid1(VALU_DEP_1)
	v_rcp_f64_e32 v[48:49], v[4:5]
	s_waitcnt_depctr 0xfff
	v_fma_f64 v[50:51], -v[4:5], v[48:49], 1.0
	v_fma_f64 v[48:49], v[48:49], v[50:51], v[48:49]
	s_delay_alu instid0(VALU_DEP_1) | instskip(NEXT) | instid1(VALU_DEP_1)
	v_fma_f64 v[50:51], -v[4:5], v[48:49], 1.0
	v_fma_f64 v[48:49], v[48:49], v[50:51], v[48:49]
	v_div_scale_f64 v[50:51], vcc_lo, 1.0, v[2:3], 1.0
	s_delay_alu instid0(VALU_DEP_1) | instskip(NEXT) | instid1(VALU_DEP_1)
	v_mul_f64 v[52:53], v[50:51], v[48:49]
	v_fma_f64 v[4:5], -v[4:5], v[52:53], v[50:51]
	s_delay_alu instid0(VALU_DEP_1) | instskip(NEXT) | instid1(VALU_DEP_1)
	v_div_fmas_f64 v[4:5], v[4:5], v[48:49], v[52:53]
                                        ; implicit-def: $vgpr48_vgpr49
	v_div_fixup_f64 v[2:3], v[4:5], v[2:3], 1.0
	s_delay_alu instid0(VALU_DEP_1)
	v_mul_f64 v[4:5], v[0:1], v[2:3]
	v_xor_b32_e32 v3, 0x80000000, v3
.LBB127_163:
	s_and_not1_saveexec_b32 s3, s3
	s_cbranch_execz .LBB127_165
; %bb.164:
	v_div_scale_f64 v[0:1], null, v[48:49], v[48:49], v[50:51]
	v_div_scale_f64 v[52:53], vcc_lo, v[50:51], v[48:49], v[50:51]
	s_delay_alu instid0(VALU_DEP_2) | instskip(SKIP_2) | instid1(VALU_DEP_1)
	v_rcp_f64_e32 v[2:3], v[0:1]
	s_waitcnt_depctr 0xfff
	v_fma_f64 v[4:5], -v[0:1], v[2:3], 1.0
	v_fma_f64 v[2:3], v[2:3], v[4:5], v[2:3]
	s_delay_alu instid0(VALU_DEP_1) | instskip(NEXT) | instid1(VALU_DEP_1)
	v_fma_f64 v[4:5], -v[0:1], v[2:3], 1.0
	v_fma_f64 v[2:3], v[2:3], v[4:5], v[2:3]
	s_delay_alu instid0(VALU_DEP_1) | instskip(NEXT) | instid1(VALU_DEP_1)
	v_mul_f64 v[4:5], v[52:53], v[2:3]
	v_fma_f64 v[0:1], -v[0:1], v[4:5], v[52:53]
	s_delay_alu instid0(VALU_DEP_1) | instskip(NEXT) | instid1(VALU_DEP_1)
	v_div_fmas_f64 v[0:1], v[0:1], v[2:3], v[4:5]
	v_div_fixup_f64 v[0:1], v[0:1], v[48:49], v[50:51]
	s_delay_alu instid0(VALU_DEP_1) | instskip(NEXT) | instid1(VALU_DEP_1)
	v_fma_f64 v[2:3], v[50:51], v[0:1], v[48:49]
	v_div_scale_f64 v[4:5], null, v[2:3], v[2:3], 1.0
	s_delay_alu instid0(VALU_DEP_1) | instskip(SKIP_2) | instid1(VALU_DEP_1)
	v_rcp_f64_e32 v[48:49], v[4:5]
	s_waitcnt_depctr 0xfff
	v_fma_f64 v[50:51], -v[4:5], v[48:49], 1.0
	v_fma_f64 v[48:49], v[48:49], v[50:51], v[48:49]
	s_delay_alu instid0(VALU_DEP_1) | instskip(NEXT) | instid1(VALU_DEP_1)
	v_fma_f64 v[50:51], -v[4:5], v[48:49], 1.0
	v_fma_f64 v[48:49], v[48:49], v[50:51], v[48:49]
	v_div_scale_f64 v[50:51], vcc_lo, 1.0, v[2:3], 1.0
	s_delay_alu instid0(VALU_DEP_1) | instskip(NEXT) | instid1(VALU_DEP_1)
	v_mul_f64 v[52:53], v[50:51], v[48:49]
	v_fma_f64 v[4:5], -v[4:5], v[52:53], v[50:51]
	s_delay_alu instid0(VALU_DEP_1) | instskip(NEXT) | instid1(VALU_DEP_1)
	v_div_fmas_f64 v[4:5], v[4:5], v[48:49], v[52:53]
	v_div_fixup_f64 v[4:5], v[4:5], v[2:3], 1.0
	s_delay_alu instid0(VALU_DEP_1)
	v_mul_f64 v[2:3], v[0:1], -v[4:5]
.LBB127_165:
	s_or_b32 exec_lo, exec_lo, s3
	scratch_load_b32 v0, off, off offset:1024 ; 4-byte Folded Reload
	s_waitcnt vmcnt(0)
	ds_store_2addr_b64 v0, v[4:5], v[2:3] offset1:1
.LBB127_166:
	s_or_b32 exec_lo, exec_lo, s4
	s_waitcnt lgkmcnt(0)
	s_barrier
	buffer_gl0_inv
	scratch_load_b32 v0, off, off offset:1024 ; 4-byte Folded Reload
	s_mov_b32 s3, exec_lo
	s_waitcnt vmcnt(0)
	ds_load_2addr_b64 v[48:51], v0 offset1:1
	v_cmpx_lt_u32_e32 12, v254
	s_cbranch_execz .LBB127_169
; %bb.167:
	scratch_load_b128 v[0:3], off, off offset:192
	s_mov_b32 s4, 0
	s_waitcnt vmcnt(0) lgkmcnt(0)
	v_mul_f64 v[4:5], v[50:51], v[2:3]
	v_mul_f64 v[2:3], v[48:49], v[2:3]
	s_delay_alu instid0(VALU_DEP_2) | instskip(NEXT) | instid1(VALU_DEP_2)
	v_fma_f64 v[52:53], v[48:49], v[0:1], -v[4:5]
	v_fma_f64 v[54:55], v[50:51], v[0:1], v[2:3]
	v_mov_b32_e32 v0, 0
	scratch_store_b128 off, v[52:55], off offset:192
.LBB127_168:                            ; =>This Inner Loop Header: Depth=1
	v_add_nc_u32_e32 v5, s4, v6
	v_readfirstlane_b32 s5, v0
	ds_load_2addr_b64 v[1:4], v5 offset1:1
	s_add_i32 s5, s5, s4
	s_add_i32 s4, s4, 48
	;; [unrolled: 1-line block ×3, first 2 shown]
	s_waitcnt lgkmcnt(0)
	v_mul_f64 v[56:57], v[3:4], v[54:55]
	s_delay_alu instid0(VALU_DEP_1) | instskip(SKIP_1) | instid1(VALU_DEP_1)
	v_fma_f64 v[56:57], v[1:2], v[52:53], -v[56:57]
	v_mul_f64 v[1:2], v[1:2], v[54:55]
	v_fma_f64 v[58:59], v[3:4], v[52:53], v[1:2]
	scratch_load_b128 v[1:4], off, s6
	s_waitcnt vmcnt(0)
	v_add_f64 v[1:2], v[1:2], -v[56:57]
	v_add_f64 v[3:4], v[3:4], -v[58:59]
	scratch_store_b128 off, v[1:4], s6
	ds_load_2addr_b64 v[1:4], v5 offset0:2 offset1:3
	s_add_i32 s6, s5, 0xe0
	s_addk_i32 s5, 0xf0
	s_cmpk_lg_i32 s4, 0x330
	s_waitcnt lgkmcnt(0)
	v_mul_f64 v[56:57], v[3:4], v[54:55]
	s_delay_alu instid0(VALU_DEP_1) | instskip(SKIP_1) | instid1(VALU_DEP_1)
	v_fma_f64 v[56:57], v[1:2], v[52:53], -v[56:57]
	v_mul_f64 v[1:2], v[1:2], v[54:55]
	v_fma_f64 v[58:59], v[3:4], v[52:53], v[1:2]
	scratch_load_b128 v[1:4], off, s6
	s_waitcnt vmcnt(0)
	v_add_f64 v[1:2], v[1:2], -v[56:57]
	v_add_f64 v[3:4], v[3:4], -v[58:59]
	scratch_store_b128 off, v[1:4], s6
	ds_load_2addr_b64 v[1:4], v5 offset0:4 offset1:5
	s_waitcnt lgkmcnt(0)
	v_mul_f64 v[56:57], v[3:4], v[54:55]
	s_delay_alu instid0(VALU_DEP_1) | instskip(SKIP_1) | instid1(VALU_DEP_1)
	v_fma_f64 v[56:57], v[1:2], v[52:53], -v[56:57]
	v_mul_f64 v[1:2], v[1:2], v[54:55]
	v_fma_f64 v[58:59], v[3:4], v[52:53], v[1:2]
	scratch_load_b128 v[1:4], off, s5
	s_waitcnt vmcnt(0)
	v_add_f64 v[1:2], v[1:2], -v[56:57]
	v_add_f64 v[3:4], v[3:4], -v[58:59]
	scratch_store_b128 off, v[1:4], s5
	s_cbranch_scc1 .LBB127_168
.LBB127_169:
	s_or_b32 exec_lo, exec_lo, s3
	v_add3_u32 v6, v188, 0, 0xe0
	s_mov_b32 s4, exec_lo
	s_waitcnt lgkmcnt(0)
	s_waitcnt_vscnt null, 0x0
	s_barrier
	buffer_gl0_inv
	v_cmpx_eq_u32_e32 13, v254
	s_cbranch_execz .LBB127_178
; %bb.170:
	s_clause 0x1
	scratch_load_b32 v0, off, off offset:1236
	scratch_load_b32 v5, off, off offset:1024
	s_movk_i32 s3, 0xfce0
	s_waitcnt vmcnt(1)
	scratch_load_b128 v[1:4], v0, off
	v_mov_b32_e32 v0, 0
	s_waitcnt vmcnt(0)
	ds_store_2addr_b64 v5, v[1:2], v[3:4] offset1:1
.LBB127_171:                            ; =>This Inner Loop Header: Depth=1
	v_readfirstlane_b32 s5, v0
	v_add_nc_u32_e32 v5, s3, v6
	s_delay_alu instid0(VALU_DEP_2)
	s_add_i32 s5, s5, s3
	s_addk_i32 s3, 0xa0
	s_add_i32 s6, s5, 0x400
	scratch_load_b128 v[1:4], off, s6
	s_add_i32 s6, s5, 0x410
	s_waitcnt vmcnt(0)
	ds_store_2addr_b64 v5, v[1:2], v[3:4] offset0:100 offset1:101
	scratch_load_b128 v[1:4], off, s6
	s_add_i32 s6, s5, 0x420
	s_waitcnt vmcnt(0)
	ds_store_2addr_b64 v5, v[1:2], v[3:4] offset0:102 offset1:103
	;; [unrolled: 4-line block ×7, first 2 shown]
	scratch_load_b128 v[1:4], off, s6
	s_add_i32 s6, s5, 0x480
	s_addk_i32 s5, 0x490
	s_cmp_lg_u32 s3, 0
	s_waitcnt vmcnt(0)
	ds_store_2addr_b64 v5, v[1:2], v[3:4] offset0:114 offset1:115
	scratch_load_b128 v[1:4], off, s6
	s_waitcnt vmcnt(0)
	ds_store_2addr_b64 v5, v[1:2], v[3:4] offset0:116 offset1:117
	scratch_load_b128 v[1:4], off, s5
	s_waitcnt vmcnt(0)
	ds_store_2addr_b64 v5, v[1:2], v[3:4] offset0:118 offset1:119
	s_cbranch_scc1 .LBB127_171
; %bb.172:
	scratch_load_b32 v0, off, off offset:1024 ; 4-byte Folded Reload
	s_waitcnt vmcnt(0)
	ds_load_2addr_b64 v[52:55], v0 offset1:1
	s_waitcnt lgkmcnt(0)
	v_cmp_neq_f64_e32 vcc_lo, 0, v[52:53]
	v_cmp_neq_f64_e64 s3, 0, v[54:55]
	s_delay_alu instid0(VALU_DEP_1) | instskip(NEXT) | instid1(SALU_CYCLE_1)
	s_or_b32 s3, vcc_lo, s3
	s_and_b32 exec_lo, exec_lo, s3
	s_cbranch_execz .LBB127_178
; %bb.173:
	v_cmp_gt_f64_e32 vcc_lo, 0, v[52:53]
	v_xor_b32_e32 v0, 0x80000000, v53
	v_xor_b32_e32 v2, 0x80000000, v55
	s_mov_b32 s3, exec_lo
                                        ; implicit-def: $vgpr4_vgpr5
	s_delay_alu instid0(VALU_DEP_2) | instskip(SKIP_4) | instid1(VALU_DEP_1)
	v_cndmask_b32_e32 v1, v53, v0, vcc_lo
	v_cndmask_b32_e32 v0, v52, v52, vcc_lo
	v_cmp_gt_f64_e32 vcc_lo, 0, v[54:55]
	v_cndmask_b32_e32 v3, v55, v2, vcc_lo
	v_cndmask_b32_e32 v2, v54, v54, vcc_lo
	v_cmpx_ngt_f64_e32 v[0:1], v[2:3]
	s_xor_b32 s3, exec_lo, s3
                                        ; implicit-def: $vgpr0_vgpr1_vgpr2_vgpr3
	s_cbranch_execz .LBB127_175
; %bb.174:
	v_div_scale_f64 v[0:1], null, v[54:55], v[54:55], v[52:53]
	v_div_scale_f64 v[56:57], vcc_lo, v[52:53], v[54:55], v[52:53]
	s_delay_alu instid0(VALU_DEP_2) | instskip(SKIP_2) | instid1(VALU_DEP_1)
	v_rcp_f64_e32 v[2:3], v[0:1]
	s_waitcnt_depctr 0xfff
	v_fma_f64 v[4:5], -v[0:1], v[2:3], 1.0
	v_fma_f64 v[2:3], v[2:3], v[4:5], v[2:3]
	s_delay_alu instid0(VALU_DEP_1) | instskip(NEXT) | instid1(VALU_DEP_1)
	v_fma_f64 v[4:5], -v[0:1], v[2:3], 1.0
	v_fma_f64 v[2:3], v[2:3], v[4:5], v[2:3]
	s_delay_alu instid0(VALU_DEP_1) | instskip(NEXT) | instid1(VALU_DEP_1)
	v_mul_f64 v[4:5], v[56:57], v[2:3]
	v_fma_f64 v[0:1], -v[0:1], v[4:5], v[56:57]
	s_delay_alu instid0(VALU_DEP_1) | instskip(NEXT) | instid1(VALU_DEP_1)
	v_div_fmas_f64 v[0:1], v[0:1], v[2:3], v[4:5]
	v_div_fixup_f64 v[0:1], v[0:1], v[54:55], v[52:53]
	s_delay_alu instid0(VALU_DEP_1) | instskip(NEXT) | instid1(VALU_DEP_1)
	v_fma_f64 v[2:3], v[52:53], v[0:1], v[54:55]
	v_div_scale_f64 v[4:5], null, v[2:3], v[2:3], 1.0
	s_delay_alu instid0(VALU_DEP_1) | instskip(SKIP_2) | instid1(VALU_DEP_1)
	v_rcp_f64_e32 v[52:53], v[4:5]
	s_waitcnt_depctr 0xfff
	v_fma_f64 v[54:55], -v[4:5], v[52:53], 1.0
	v_fma_f64 v[52:53], v[52:53], v[54:55], v[52:53]
	s_delay_alu instid0(VALU_DEP_1) | instskip(NEXT) | instid1(VALU_DEP_1)
	v_fma_f64 v[54:55], -v[4:5], v[52:53], 1.0
	v_fma_f64 v[52:53], v[52:53], v[54:55], v[52:53]
	v_div_scale_f64 v[54:55], vcc_lo, 1.0, v[2:3], 1.0
	s_delay_alu instid0(VALU_DEP_1) | instskip(NEXT) | instid1(VALU_DEP_1)
	v_mul_f64 v[56:57], v[54:55], v[52:53]
	v_fma_f64 v[4:5], -v[4:5], v[56:57], v[54:55]
	s_delay_alu instid0(VALU_DEP_1) | instskip(NEXT) | instid1(VALU_DEP_1)
	v_div_fmas_f64 v[4:5], v[4:5], v[52:53], v[56:57]
                                        ; implicit-def: $vgpr52_vgpr53
	v_div_fixup_f64 v[2:3], v[4:5], v[2:3], 1.0
	s_delay_alu instid0(VALU_DEP_1)
	v_mul_f64 v[4:5], v[0:1], v[2:3]
	v_xor_b32_e32 v3, 0x80000000, v3
.LBB127_175:
	s_and_not1_saveexec_b32 s3, s3
	s_cbranch_execz .LBB127_177
; %bb.176:
	v_div_scale_f64 v[0:1], null, v[52:53], v[52:53], v[54:55]
	v_div_scale_f64 v[56:57], vcc_lo, v[54:55], v[52:53], v[54:55]
	s_delay_alu instid0(VALU_DEP_2) | instskip(SKIP_2) | instid1(VALU_DEP_1)
	v_rcp_f64_e32 v[2:3], v[0:1]
	s_waitcnt_depctr 0xfff
	v_fma_f64 v[4:5], -v[0:1], v[2:3], 1.0
	v_fma_f64 v[2:3], v[2:3], v[4:5], v[2:3]
	s_delay_alu instid0(VALU_DEP_1) | instskip(NEXT) | instid1(VALU_DEP_1)
	v_fma_f64 v[4:5], -v[0:1], v[2:3], 1.0
	v_fma_f64 v[2:3], v[2:3], v[4:5], v[2:3]
	s_delay_alu instid0(VALU_DEP_1) | instskip(NEXT) | instid1(VALU_DEP_1)
	v_mul_f64 v[4:5], v[56:57], v[2:3]
	v_fma_f64 v[0:1], -v[0:1], v[4:5], v[56:57]
	s_delay_alu instid0(VALU_DEP_1) | instskip(NEXT) | instid1(VALU_DEP_1)
	v_div_fmas_f64 v[0:1], v[0:1], v[2:3], v[4:5]
	v_div_fixup_f64 v[0:1], v[0:1], v[52:53], v[54:55]
	s_delay_alu instid0(VALU_DEP_1) | instskip(NEXT) | instid1(VALU_DEP_1)
	v_fma_f64 v[2:3], v[54:55], v[0:1], v[52:53]
	v_div_scale_f64 v[4:5], null, v[2:3], v[2:3], 1.0
	s_delay_alu instid0(VALU_DEP_1) | instskip(SKIP_2) | instid1(VALU_DEP_1)
	v_rcp_f64_e32 v[52:53], v[4:5]
	s_waitcnt_depctr 0xfff
	v_fma_f64 v[54:55], -v[4:5], v[52:53], 1.0
	v_fma_f64 v[52:53], v[52:53], v[54:55], v[52:53]
	s_delay_alu instid0(VALU_DEP_1) | instskip(NEXT) | instid1(VALU_DEP_1)
	v_fma_f64 v[54:55], -v[4:5], v[52:53], 1.0
	v_fma_f64 v[52:53], v[52:53], v[54:55], v[52:53]
	v_div_scale_f64 v[54:55], vcc_lo, 1.0, v[2:3], 1.0
	s_delay_alu instid0(VALU_DEP_1) | instskip(NEXT) | instid1(VALU_DEP_1)
	v_mul_f64 v[56:57], v[54:55], v[52:53]
	v_fma_f64 v[4:5], -v[4:5], v[56:57], v[54:55]
	s_delay_alu instid0(VALU_DEP_1) | instskip(NEXT) | instid1(VALU_DEP_1)
	v_div_fmas_f64 v[4:5], v[4:5], v[52:53], v[56:57]
	v_div_fixup_f64 v[4:5], v[4:5], v[2:3], 1.0
	s_delay_alu instid0(VALU_DEP_1)
	v_mul_f64 v[2:3], v[0:1], -v[4:5]
.LBB127_177:
	s_or_b32 exec_lo, exec_lo, s3
	scratch_load_b32 v0, off, off offset:1024 ; 4-byte Folded Reload
	s_waitcnt vmcnt(0)
	ds_store_2addr_b64 v0, v[4:5], v[2:3] offset1:1
.LBB127_178:
	s_or_b32 exec_lo, exec_lo, s4
	s_waitcnt lgkmcnt(0)
	s_barrier
	buffer_gl0_inv
	scratch_load_b32 v0, off, off offset:1024 ; 4-byte Folded Reload
	s_mov_b32 s3, exec_lo
	s_waitcnt vmcnt(0)
	ds_load_2addr_b64 v[52:55], v0 offset1:1
	v_cmpx_lt_u32_e32 13, v254
	s_cbranch_execz .LBB127_181
; %bb.179:
	scratch_load_b128 v[0:3], off, off offset:208
	s_mov_b32 s4, 0
	s_waitcnt vmcnt(0) lgkmcnt(0)
	v_mul_f64 v[4:5], v[54:55], v[2:3]
	v_mul_f64 v[2:3], v[52:53], v[2:3]
	s_delay_alu instid0(VALU_DEP_2) | instskip(NEXT) | instid1(VALU_DEP_2)
	v_fma_f64 v[56:57], v[52:53], v[0:1], -v[4:5]
	v_fma_f64 v[58:59], v[54:55], v[0:1], v[2:3]
	v_mov_b32_e32 v0, 0
	scratch_store_b128 off, v[56:59], off offset:208
.LBB127_180:                            ; =>This Inner Loop Header: Depth=1
	v_add_nc_u32_e32 v5, s4, v6
	v_readfirstlane_b32 s5, v0
	ds_load_2addr_b64 v[1:4], v5 offset1:1
	s_add_i32 s5, s5, s4
	s_addk_i32 s4, 0x50
	s_add_i32 s6, s5, 0xe0
	s_waitcnt lgkmcnt(0)
	v_mul_f64 v[60:61], v[3:4], v[58:59]
	s_delay_alu instid0(VALU_DEP_1) | instskip(SKIP_1) | instid1(VALU_DEP_1)
	v_fma_f64 v[60:61], v[1:2], v[56:57], -v[60:61]
	v_mul_f64 v[1:2], v[1:2], v[58:59]
	v_fma_f64 v[62:63], v[3:4], v[56:57], v[1:2]
	scratch_load_b128 v[1:4], off, s6
	s_waitcnt vmcnt(0)
	v_add_f64 v[1:2], v[1:2], -v[60:61]
	v_add_f64 v[3:4], v[3:4], -v[62:63]
	scratch_store_b128 off, v[1:4], s6
	ds_load_2addr_b64 v[1:4], v5 offset0:2 offset1:3
	s_add_i32 s6, s5, 0xf0
	s_waitcnt lgkmcnt(0)
	v_mul_f64 v[60:61], v[3:4], v[58:59]
	s_delay_alu instid0(VALU_DEP_1) | instskip(SKIP_1) | instid1(VALU_DEP_1)
	v_fma_f64 v[60:61], v[1:2], v[56:57], -v[60:61]
	v_mul_f64 v[1:2], v[1:2], v[58:59]
	v_fma_f64 v[62:63], v[3:4], v[56:57], v[1:2]
	scratch_load_b128 v[1:4], off, s6
	s_waitcnt vmcnt(0)
	v_add_f64 v[1:2], v[1:2], -v[60:61]
	v_add_f64 v[3:4], v[3:4], -v[62:63]
	scratch_store_b128 off, v[1:4], s6
	ds_load_2addr_b64 v[1:4], v5 offset0:4 offset1:5
	;; [unrolled: 13-line block ×3, first 2 shown]
	s_add_i32 s6, s5, 0x110
	s_addk_i32 s5, 0x120
	s_cmpk_lg_i32 s4, 0x320
	s_waitcnt lgkmcnt(0)
	v_mul_f64 v[60:61], v[3:4], v[58:59]
	s_delay_alu instid0(VALU_DEP_1) | instskip(SKIP_1) | instid1(VALU_DEP_1)
	v_fma_f64 v[60:61], v[1:2], v[56:57], -v[60:61]
	v_mul_f64 v[1:2], v[1:2], v[58:59]
	v_fma_f64 v[62:63], v[3:4], v[56:57], v[1:2]
	scratch_load_b128 v[1:4], off, s6
	s_waitcnt vmcnt(0)
	v_add_f64 v[1:2], v[1:2], -v[60:61]
	v_add_f64 v[3:4], v[3:4], -v[62:63]
	scratch_store_b128 off, v[1:4], s6
	ds_load_2addr_b64 v[1:4], v5 offset0:8 offset1:9
	s_waitcnt lgkmcnt(0)
	v_mul_f64 v[60:61], v[3:4], v[58:59]
	s_delay_alu instid0(VALU_DEP_1) | instskip(SKIP_1) | instid1(VALU_DEP_1)
	v_fma_f64 v[60:61], v[1:2], v[56:57], -v[60:61]
	v_mul_f64 v[1:2], v[1:2], v[58:59]
	v_fma_f64 v[62:63], v[3:4], v[56:57], v[1:2]
	scratch_load_b128 v[1:4], off, s5
	s_waitcnt vmcnt(0)
	v_add_f64 v[1:2], v[1:2], -v[60:61]
	v_add_f64 v[3:4], v[3:4], -v[62:63]
	scratch_store_b128 off, v[1:4], s5
	s_cbranch_scc1 .LBB127_180
.LBB127_181:
	s_or_b32 exec_lo, exec_lo, s3
	v_add3_u32 v6, v188, 0, 0xf0
	s_mov_b32 s4, exec_lo
	s_waitcnt lgkmcnt(0)
	s_waitcnt_vscnt null, 0x0
	s_barrier
	buffer_gl0_inv
	v_cmpx_eq_u32_e32 14, v254
	s_cbranch_execz .LBB127_190
; %bb.182:
	scratch_load_b32 v0, off, off offset:1232 ; 4-byte Folded Reload
	s_movk_i32 s3, 0xfcf0
	s_waitcnt vmcnt(0)
	scratch_load_b128 v[0:3], v0, off
	scratch_load_b32 v4, off, off offset:1024 ; 4-byte Folded Reload
	s_waitcnt vmcnt(0)
	ds_store_2addr_b64 v4, v[0:1], v[2:3] offset1:1
	v_mov_b32_e32 v0, 0
	s_set_inst_prefetch_distance 0x1
	.p2align	6
.LBB127_183:                            ; =>This Inner Loop Header: Depth=1
	s_delay_alu instid0(VALU_DEP_1) | instskip(SKIP_1) | instid1(VALU_DEP_2)
	v_readfirstlane_b32 s5, v0
	v_add_nc_u32_e32 v5, s3, v6
	s_add_i32 s5, s5, s3
	s_addk_i32 s3, 0x70
	s_add_i32 s6, s5, 0x400
	scratch_load_b128 v[1:4], off, s6
	s_add_i32 s6, s5, 0x410
	s_waitcnt vmcnt(0)
	ds_store_2addr_b64 v5, v[1:2], v[3:4] offset0:98 offset1:99
	scratch_load_b128 v[1:4], off, s6
	s_add_i32 s6, s5, 0x420
	s_waitcnt vmcnt(0)
	ds_store_2addr_b64 v5, v[1:2], v[3:4] offset0:100 offset1:101
	scratch_load_b128 v[1:4], off, s6
	s_add_i32 s6, s5, 0x430
	s_waitcnt vmcnt(0)
	ds_store_2addr_b64 v5, v[1:2], v[3:4] offset0:102 offset1:103
	scratch_load_b128 v[1:4], off, s6
	s_add_i32 s6, s5, 0x440
	s_waitcnt vmcnt(0)
	ds_store_2addr_b64 v5, v[1:2], v[3:4] offset0:104 offset1:105
	scratch_load_b128 v[1:4], off, s6
	s_add_i32 s6, s5, 0x450
	s_addk_i32 s5, 0x460
	s_cmp_lg_u32 s3, 0
	s_waitcnt vmcnt(0)
	ds_store_2addr_b64 v5, v[1:2], v[3:4] offset0:106 offset1:107
	scratch_load_b128 v[1:4], off, s6
	s_waitcnt vmcnt(0)
	ds_store_2addr_b64 v5, v[1:2], v[3:4] offset0:108 offset1:109
	scratch_load_b128 v[1:4], off, s5
	s_waitcnt vmcnt(0)
	ds_store_2addr_b64 v5, v[1:2], v[3:4] offset0:110 offset1:111
	s_cbranch_scc1 .LBB127_183
; %bb.184:
	s_set_inst_prefetch_distance 0x2
	scratch_load_b32 v0, off, off offset:1024 ; 4-byte Folded Reload
	s_waitcnt vmcnt(0)
	ds_load_2addr_b64 v[56:59], v0 offset1:1
	s_waitcnt lgkmcnt(0)
	v_cmp_neq_f64_e32 vcc_lo, 0, v[56:57]
	v_cmp_neq_f64_e64 s3, 0, v[58:59]
	s_delay_alu instid0(VALU_DEP_1) | instskip(NEXT) | instid1(SALU_CYCLE_1)
	s_or_b32 s3, vcc_lo, s3
	s_and_b32 exec_lo, exec_lo, s3
	s_cbranch_execz .LBB127_190
; %bb.185:
	v_cmp_gt_f64_e32 vcc_lo, 0, v[56:57]
	v_xor_b32_e32 v0, 0x80000000, v57
	v_xor_b32_e32 v2, 0x80000000, v59
	s_mov_b32 s3, exec_lo
                                        ; implicit-def: $vgpr4_vgpr5
	s_delay_alu instid0(VALU_DEP_2) | instskip(SKIP_4) | instid1(VALU_DEP_1)
	v_cndmask_b32_e32 v1, v57, v0, vcc_lo
	v_cndmask_b32_e32 v0, v56, v56, vcc_lo
	v_cmp_gt_f64_e32 vcc_lo, 0, v[58:59]
	v_cndmask_b32_e32 v3, v59, v2, vcc_lo
	v_cndmask_b32_e32 v2, v58, v58, vcc_lo
	v_cmpx_ngt_f64_e32 v[0:1], v[2:3]
	s_xor_b32 s3, exec_lo, s3
                                        ; implicit-def: $vgpr0_vgpr1_vgpr2_vgpr3
	s_cbranch_execz .LBB127_187
; %bb.186:
	v_div_scale_f64 v[0:1], null, v[58:59], v[58:59], v[56:57]
	v_div_scale_f64 v[60:61], vcc_lo, v[56:57], v[58:59], v[56:57]
	s_delay_alu instid0(VALU_DEP_2) | instskip(SKIP_2) | instid1(VALU_DEP_1)
	v_rcp_f64_e32 v[2:3], v[0:1]
	s_waitcnt_depctr 0xfff
	v_fma_f64 v[4:5], -v[0:1], v[2:3], 1.0
	v_fma_f64 v[2:3], v[2:3], v[4:5], v[2:3]
	s_delay_alu instid0(VALU_DEP_1) | instskip(NEXT) | instid1(VALU_DEP_1)
	v_fma_f64 v[4:5], -v[0:1], v[2:3], 1.0
	v_fma_f64 v[2:3], v[2:3], v[4:5], v[2:3]
	s_delay_alu instid0(VALU_DEP_1) | instskip(NEXT) | instid1(VALU_DEP_1)
	v_mul_f64 v[4:5], v[60:61], v[2:3]
	v_fma_f64 v[0:1], -v[0:1], v[4:5], v[60:61]
	s_delay_alu instid0(VALU_DEP_1) | instskip(NEXT) | instid1(VALU_DEP_1)
	v_div_fmas_f64 v[0:1], v[0:1], v[2:3], v[4:5]
	v_div_fixup_f64 v[0:1], v[0:1], v[58:59], v[56:57]
	s_delay_alu instid0(VALU_DEP_1) | instskip(NEXT) | instid1(VALU_DEP_1)
	v_fma_f64 v[2:3], v[56:57], v[0:1], v[58:59]
	v_div_scale_f64 v[4:5], null, v[2:3], v[2:3], 1.0
	s_delay_alu instid0(VALU_DEP_1) | instskip(SKIP_2) | instid1(VALU_DEP_1)
	v_rcp_f64_e32 v[56:57], v[4:5]
	s_waitcnt_depctr 0xfff
	v_fma_f64 v[58:59], -v[4:5], v[56:57], 1.0
	v_fma_f64 v[56:57], v[56:57], v[58:59], v[56:57]
	s_delay_alu instid0(VALU_DEP_1) | instskip(NEXT) | instid1(VALU_DEP_1)
	v_fma_f64 v[58:59], -v[4:5], v[56:57], 1.0
	v_fma_f64 v[56:57], v[56:57], v[58:59], v[56:57]
	v_div_scale_f64 v[58:59], vcc_lo, 1.0, v[2:3], 1.0
	s_delay_alu instid0(VALU_DEP_1) | instskip(NEXT) | instid1(VALU_DEP_1)
	v_mul_f64 v[60:61], v[58:59], v[56:57]
	v_fma_f64 v[4:5], -v[4:5], v[60:61], v[58:59]
	s_delay_alu instid0(VALU_DEP_1) | instskip(NEXT) | instid1(VALU_DEP_1)
	v_div_fmas_f64 v[4:5], v[4:5], v[56:57], v[60:61]
                                        ; implicit-def: $vgpr56_vgpr57
	v_div_fixup_f64 v[2:3], v[4:5], v[2:3], 1.0
	s_delay_alu instid0(VALU_DEP_1)
	v_mul_f64 v[4:5], v[0:1], v[2:3]
	v_xor_b32_e32 v3, 0x80000000, v3
.LBB127_187:
	s_and_not1_saveexec_b32 s3, s3
	s_cbranch_execz .LBB127_189
; %bb.188:
	v_div_scale_f64 v[0:1], null, v[56:57], v[56:57], v[58:59]
	v_div_scale_f64 v[60:61], vcc_lo, v[58:59], v[56:57], v[58:59]
	s_delay_alu instid0(VALU_DEP_2) | instskip(SKIP_2) | instid1(VALU_DEP_1)
	v_rcp_f64_e32 v[2:3], v[0:1]
	s_waitcnt_depctr 0xfff
	v_fma_f64 v[4:5], -v[0:1], v[2:3], 1.0
	v_fma_f64 v[2:3], v[2:3], v[4:5], v[2:3]
	s_delay_alu instid0(VALU_DEP_1) | instskip(NEXT) | instid1(VALU_DEP_1)
	v_fma_f64 v[4:5], -v[0:1], v[2:3], 1.0
	v_fma_f64 v[2:3], v[2:3], v[4:5], v[2:3]
	s_delay_alu instid0(VALU_DEP_1) | instskip(NEXT) | instid1(VALU_DEP_1)
	v_mul_f64 v[4:5], v[60:61], v[2:3]
	v_fma_f64 v[0:1], -v[0:1], v[4:5], v[60:61]
	s_delay_alu instid0(VALU_DEP_1) | instskip(NEXT) | instid1(VALU_DEP_1)
	v_div_fmas_f64 v[0:1], v[0:1], v[2:3], v[4:5]
	v_div_fixup_f64 v[0:1], v[0:1], v[56:57], v[58:59]
	s_delay_alu instid0(VALU_DEP_1) | instskip(NEXT) | instid1(VALU_DEP_1)
	v_fma_f64 v[2:3], v[58:59], v[0:1], v[56:57]
	v_div_scale_f64 v[4:5], null, v[2:3], v[2:3], 1.0
	s_delay_alu instid0(VALU_DEP_1) | instskip(SKIP_2) | instid1(VALU_DEP_1)
	v_rcp_f64_e32 v[56:57], v[4:5]
	s_waitcnt_depctr 0xfff
	v_fma_f64 v[58:59], -v[4:5], v[56:57], 1.0
	v_fma_f64 v[56:57], v[56:57], v[58:59], v[56:57]
	s_delay_alu instid0(VALU_DEP_1) | instskip(NEXT) | instid1(VALU_DEP_1)
	v_fma_f64 v[58:59], -v[4:5], v[56:57], 1.0
	v_fma_f64 v[56:57], v[56:57], v[58:59], v[56:57]
	v_div_scale_f64 v[58:59], vcc_lo, 1.0, v[2:3], 1.0
	s_delay_alu instid0(VALU_DEP_1) | instskip(NEXT) | instid1(VALU_DEP_1)
	v_mul_f64 v[60:61], v[58:59], v[56:57]
	v_fma_f64 v[4:5], -v[4:5], v[60:61], v[58:59]
	s_delay_alu instid0(VALU_DEP_1) | instskip(NEXT) | instid1(VALU_DEP_1)
	v_div_fmas_f64 v[4:5], v[4:5], v[56:57], v[60:61]
	v_div_fixup_f64 v[4:5], v[4:5], v[2:3], 1.0
	s_delay_alu instid0(VALU_DEP_1)
	v_mul_f64 v[2:3], v[0:1], -v[4:5]
.LBB127_189:
	s_or_b32 exec_lo, exec_lo, s3
	scratch_load_b32 v0, off, off offset:1024 ; 4-byte Folded Reload
	s_waitcnt vmcnt(0)
	ds_store_2addr_b64 v0, v[4:5], v[2:3] offset1:1
.LBB127_190:
	s_or_b32 exec_lo, exec_lo, s4
	s_waitcnt lgkmcnt(0)
	s_barrier
	buffer_gl0_inv
	scratch_load_b32 v0, off, off offset:1024 ; 4-byte Folded Reload
	s_mov_b32 s3, exec_lo
	s_waitcnt vmcnt(0)
	ds_load_2addr_b64 v[56:59], v0 offset1:1
	v_cmpx_lt_u32_e32 14, v254
	s_cbranch_execz .LBB127_193
; %bb.191:
	scratch_load_b128 v[0:3], off, off offset:224
	s_mov_b32 s4, 0
	s_waitcnt vmcnt(0) lgkmcnt(0)
	v_mul_f64 v[4:5], v[58:59], v[2:3]
	v_mul_f64 v[2:3], v[56:57], v[2:3]
	s_delay_alu instid0(VALU_DEP_2) | instskip(NEXT) | instid1(VALU_DEP_2)
	v_fma_f64 v[60:61], v[56:57], v[0:1], -v[4:5]
	v_fma_f64 v[62:63], v[58:59], v[0:1], v[2:3]
	v_mov_b32_e32 v0, 0
	scratch_store_b128 off, v[60:63], off offset:224
.LBB127_192:                            ; =>This Inner Loop Header: Depth=1
	v_add_nc_u32_e32 v5, s4, v6
	v_readfirstlane_b32 s5, v0
	ds_load_2addr_b64 v[1:4], v5 offset1:1
	s_add_i32 s5, s5, s4
	s_addk_i32 s4, 0x70
	s_add_i32 s6, s5, 0xf0
	s_waitcnt lgkmcnt(0)
	v_mul_f64 v[64:65], v[3:4], v[62:63]
	s_delay_alu instid0(VALU_DEP_1) | instskip(SKIP_1) | instid1(VALU_DEP_1)
	v_fma_f64 v[64:65], v[1:2], v[60:61], -v[64:65]
	v_mul_f64 v[1:2], v[1:2], v[62:63]
	v_fma_f64 v[66:67], v[3:4], v[60:61], v[1:2]
	scratch_load_b128 v[1:4], off, s6
	s_waitcnt vmcnt(0)
	v_add_f64 v[1:2], v[1:2], -v[64:65]
	v_add_f64 v[3:4], v[3:4], -v[66:67]
	scratch_store_b128 off, v[1:4], s6
	ds_load_2addr_b64 v[1:4], v5 offset0:2 offset1:3
	s_add_i32 s6, s5, 0x100
	s_waitcnt lgkmcnt(0)
	v_mul_f64 v[64:65], v[3:4], v[62:63]
	s_delay_alu instid0(VALU_DEP_1) | instskip(SKIP_1) | instid1(VALU_DEP_1)
	v_fma_f64 v[64:65], v[1:2], v[60:61], -v[64:65]
	v_mul_f64 v[1:2], v[1:2], v[62:63]
	v_fma_f64 v[66:67], v[3:4], v[60:61], v[1:2]
	scratch_load_b128 v[1:4], off, s6
	s_waitcnt vmcnt(0)
	v_add_f64 v[1:2], v[1:2], -v[64:65]
	v_add_f64 v[3:4], v[3:4], -v[66:67]
	scratch_store_b128 off, v[1:4], s6
	ds_load_2addr_b64 v[1:4], v5 offset0:4 offset1:5
	;; [unrolled: 13-line block ×5, first 2 shown]
	s_add_i32 s6, s5, 0x140
	s_addk_i32 s5, 0x150
	s_cmpk_lg_i32 s4, 0x310
	s_waitcnt lgkmcnt(0)
	v_mul_f64 v[64:65], v[3:4], v[62:63]
	s_delay_alu instid0(VALU_DEP_1) | instskip(SKIP_1) | instid1(VALU_DEP_1)
	v_fma_f64 v[64:65], v[1:2], v[60:61], -v[64:65]
	v_mul_f64 v[1:2], v[1:2], v[62:63]
	v_fma_f64 v[60:61], v[3:4], v[60:61], v[1:2]
	scratch_load_b128 v[1:4], off, s6
	s_waitcnt vmcnt(0)
	v_add_f64 v[3:4], v[3:4], -v[60:61]
	scratch_load_b128 v[60:63], off, off offset:224
	v_add_f64 v[1:2], v[1:2], -v[64:65]
	scratch_store_b128 off, v[1:4], s6
	ds_load_2addr_b64 v[1:4], v5 offset0:12 offset1:13
	s_waitcnt vmcnt(0) lgkmcnt(0)
	v_mul_f64 v[64:65], v[3:4], v[62:63]
	s_delay_alu instid0(VALU_DEP_1) | instskip(SKIP_1) | instid1(VALU_DEP_1)
	v_fma_f64 v[64:65], v[1:2], v[60:61], -v[64:65]
	v_mul_f64 v[1:2], v[1:2], v[62:63]
	v_fma_f64 v[66:67], v[3:4], v[60:61], v[1:2]
	scratch_load_b128 v[1:4], off, s5
	s_waitcnt vmcnt(0)
	v_add_f64 v[1:2], v[1:2], -v[64:65]
	v_add_f64 v[3:4], v[3:4], -v[66:67]
	scratch_store_b128 off, v[1:4], s5
	s_cbranch_scc1 .LBB127_192
.LBB127_193:
	s_or_b32 exec_lo, exec_lo, s3
	v_add3_u32 v6, v188, 0, 0x100
	s_mov_b32 s4, exec_lo
	s_waitcnt lgkmcnt(0)
	s_waitcnt_vscnt null, 0x0
	s_barrier
	buffer_gl0_inv
	v_cmpx_eq_u32_e32 15, v254
	s_cbranch_execz .LBB127_202
; %bb.194:
	scratch_load_b32 v0, off, off offset:1228 ; 4-byte Folded Reload
	s_movk_i32 s3, 0xfd00
	s_waitcnt vmcnt(0)
	scratch_load_b128 v[0:3], v0, off
	scratch_load_b32 v4, off, off offset:1024 ; 4-byte Folded Reload
	s_waitcnt vmcnt(0)
	ds_store_2addr_b64 v4, v[0:1], v[2:3] offset1:1
	v_mov_b32_e32 v0, 0
.LBB127_195:                            ; =>This Inner Loop Header: Depth=1
	s_delay_alu instid0(VALU_DEP_1) | instskip(SKIP_1) | instid1(VALU_DEP_2)
	v_readfirstlane_b32 s5, v0
	v_add_nc_u32_e32 v5, s3, v6
	s_add_i32 s5, s5, s3
	s_addk_i32 s3, 0x100
	s_add_i32 s6, s5, 0x400
	scratch_load_b128 v[1:4], off, s6
	s_add_i32 s6, s5, 0x410
	s_waitcnt vmcnt(0)
	ds_store_2addr_b64 v5, v[1:2], v[3:4] offset0:96 offset1:97
	scratch_load_b128 v[1:4], off, s6
	s_add_i32 s6, s5, 0x420
	s_waitcnt vmcnt(0)
	ds_store_2addr_b64 v5, v[1:2], v[3:4] offset0:98 offset1:99
	;; [unrolled: 4-line block ×13, first 2 shown]
	scratch_load_b128 v[1:4], off, s6
	s_add_i32 s6, s5, 0x4e0
	s_addk_i32 s5, 0x4f0
	s_cmp_lg_u32 s3, 0
	s_waitcnt vmcnt(0)
	ds_store_2addr_b64 v5, v[1:2], v[3:4] offset0:122 offset1:123
	scratch_load_b128 v[1:4], off, s6
	s_waitcnt vmcnt(0)
	ds_store_2addr_b64 v5, v[1:2], v[3:4] offset0:124 offset1:125
	scratch_load_b128 v[1:4], off, s5
	s_waitcnt vmcnt(0)
	ds_store_2addr_b64 v5, v[1:2], v[3:4] offset0:126 offset1:127
	s_cbranch_scc1 .LBB127_195
; %bb.196:
	scratch_load_b32 v0, off, off offset:1024 ; 4-byte Folded Reload
	s_waitcnt vmcnt(0)
	ds_load_2addr_b64 v[60:63], v0 offset1:1
	s_waitcnt lgkmcnt(0)
	v_cmp_neq_f64_e32 vcc_lo, 0, v[60:61]
	v_cmp_neq_f64_e64 s3, 0, v[62:63]
	s_delay_alu instid0(VALU_DEP_1) | instskip(NEXT) | instid1(SALU_CYCLE_1)
	s_or_b32 s3, vcc_lo, s3
	s_and_b32 exec_lo, exec_lo, s3
	s_cbranch_execz .LBB127_202
; %bb.197:
	v_cmp_gt_f64_e32 vcc_lo, 0, v[60:61]
	v_xor_b32_e32 v0, 0x80000000, v61
	v_xor_b32_e32 v2, 0x80000000, v63
	s_mov_b32 s3, exec_lo
                                        ; implicit-def: $vgpr4_vgpr5
	s_delay_alu instid0(VALU_DEP_2) | instskip(SKIP_4) | instid1(VALU_DEP_1)
	v_cndmask_b32_e32 v1, v61, v0, vcc_lo
	v_cndmask_b32_e32 v0, v60, v60, vcc_lo
	v_cmp_gt_f64_e32 vcc_lo, 0, v[62:63]
	v_cndmask_b32_e32 v3, v63, v2, vcc_lo
	v_cndmask_b32_e32 v2, v62, v62, vcc_lo
	v_cmpx_ngt_f64_e32 v[0:1], v[2:3]
	s_xor_b32 s3, exec_lo, s3
                                        ; implicit-def: $vgpr0_vgpr1_vgpr2_vgpr3
	s_cbranch_execz .LBB127_199
; %bb.198:
	v_div_scale_f64 v[0:1], null, v[62:63], v[62:63], v[60:61]
	v_div_scale_f64 v[64:65], vcc_lo, v[60:61], v[62:63], v[60:61]
	s_delay_alu instid0(VALU_DEP_2) | instskip(SKIP_2) | instid1(VALU_DEP_1)
	v_rcp_f64_e32 v[2:3], v[0:1]
	s_waitcnt_depctr 0xfff
	v_fma_f64 v[4:5], -v[0:1], v[2:3], 1.0
	v_fma_f64 v[2:3], v[2:3], v[4:5], v[2:3]
	s_delay_alu instid0(VALU_DEP_1) | instskip(NEXT) | instid1(VALU_DEP_1)
	v_fma_f64 v[4:5], -v[0:1], v[2:3], 1.0
	v_fma_f64 v[2:3], v[2:3], v[4:5], v[2:3]
	s_delay_alu instid0(VALU_DEP_1) | instskip(NEXT) | instid1(VALU_DEP_1)
	v_mul_f64 v[4:5], v[64:65], v[2:3]
	v_fma_f64 v[0:1], -v[0:1], v[4:5], v[64:65]
	s_delay_alu instid0(VALU_DEP_1) | instskip(NEXT) | instid1(VALU_DEP_1)
	v_div_fmas_f64 v[0:1], v[0:1], v[2:3], v[4:5]
	v_div_fixup_f64 v[0:1], v[0:1], v[62:63], v[60:61]
	s_delay_alu instid0(VALU_DEP_1) | instskip(NEXT) | instid1(VALU_DEP_1)
	v_fma_f64 v[2:3], v[60:61], v[0:1], v[62:63]
	v_div_scale_f64 v[4:5], null, v[2:3], v[2:3], 1.0
	s_delay_alu instid0(VALU_DEP_1) | instskip(SKIP_2) | instid1(VALU_DEP_1)
	v_rcp_f64_e32 v[60:61], v[4:5]
	s_waitcnt_depctr 0xfff
	v_fma_f64 v[62:63], -v[4:5], v[60:61], 1.0
	v_fma_f64 v[60:61], v[60:61], v[62:63], v[60:61]
	s_delay_alu instid0(VALU_DEP_1) | instskip(NEXT) | instid1(VALU_DEP_1)
	v_fma_f64 v[62:63], -v[4:5], v[60:61], 1.0
	v_fma_f64 v[60:61], v[60:61], v[62:63], v[60:61]
	v_div_scale_f64 v[62:63], vcc_lo, 1.0, v[2:3], 1.0
	s_delay_alu instid0(VALU_DEP_1) | instskip(NEXT) | instid1(VALU_DEP_1)
	v_mul_f64 v[64:65], v[62:63], v[60:61]
	v_fma_f64 v[4:5], -v[4:5], v[64:65], v[62:63]
	s_delay_alu instid0(VALU_DEP_1) | instskip(NEXT) | instid1(VALU_DEP_1)
	v_div_fmas_f64 v[4:5], v[4:5], v[60:61], v[64:65]
                                        ; implicit-def: $vgpr60_vgpr61
	v_div_fixup_f64 v[2:3], v[4:5], v[2:3], 1.0
	s_delay_alu instid0(VALU_DEP_1)
	v_mul_f64 v[4:5], v[0:1], v[2:3]
	v_xor_b32_e32 v3, 0x80000000, v3
.LBB127_199:
	s_and_not1_saveexec_b32 s3, s3
	s_cbranch_execz .LBB127_201
; %bb.200:
	v_div_scale_f64 v[0:1], null, v[60:61], v[60:61], v[62:63]
	v_div_scale_f64 v[64:65], vcc_lo, v[62:63], v[60:61], v[62:63]
	s_delay_alu instid0(VALU_DEP_2) | instskip(SKIP_2) | instid1(VALU_DEP_1)
	v_rcp_f64_e32 v[2:3], v[0:1]
	s_waitcnt_depctr 0xfff
	v_fma_f64 v[4:5], -v[0:1], v[2:3], 1.0
	v_fma_f64 v[2:3], v[2:3], v[4:5], v[2:3]
	s_delay_alu instid0(VALU_DEP_1) | instskip(NEXT) | instid1(VALU_DEP_1)
	v_fma_f64 v[4:5], -v[0:1], v[2:3], 1.0
	v_fma_f64 v[2:3], v[2:3], v[4:5], v[2:3]
	s_delay_alu instid0(VALU_DEP_1) | instskip(NEXT) | instid1(VALU_DEP_1)
	v_mul_f64 v[4:5], v[64:65], v[2:3]
	v_fma_f64 v[0:1], -v[0:1], v[4:5], v[64:65]
	s_delay_alu instid0(VALU_DEP_1) | instskip(NEXT) | instid1(VALU_DEP_1)
	v_div_fmas_f64 v[0:1], v[0:1], v[2:3], v[4:5]
	v_div_fixup_f64 v[0:1], v[0:1], v[60:61], v[62:63]
	s_delay_alu instid0(VALU_DEP_1) | instskip(NEXT) | instid1(VALU_DEP_1)
	v_fma_f64 v[2:3], v[62:63], v[0:1], v[60:61]
	v_div_scale_f64 v[4:5], null, v[2:3], v[2:3], 1.0
	s_delay_alu instid0(VALU_DEP_1) | instskip(SKIP_2) | instid1(VALU_DEP_1)
	v_rcp_f64_e32 v[60:61], v[4:5]
	s_waitcnt_depctr 0xfff
	v_fma_f64 v[62:63], -v[4:5], v[60:61], 1.0
	v_fma_f64 v[60:61], v[60:61], v[62:63], v[60:61]
	s_delay_alu instid0(VALU_DEP_1) | instskip(NEXT) | instid1(VALU_DEP_1)
	v_fma_f64 v[62:63], -v[4:5], v[60:61], 1.0
	v_fma_f64 v[60:61], v[60:61], v[62:63], v[60:61]
	v_div_scale_f64 v[62:63], vcc_lo, 1.0, v[2:3], 1.0
	s_delay_alu instid0(VALU_DEP_1) | instskip(NEXT) | instid1(VALU_DEP_1)
	v_mul_f64 v[64:65], v[62:63], v[60:61]
	v_fma_f64 v[4:5], -v[4:5], v[64:65], v[62:63]
	s_delay_alu instid0(VALU_DEP_1) | instskip(NEXT) | instid1(VALU_DEP_1)
	v_div_fmas_f64 v[4:5], v[4:5], v[60:61], v[64:65]
	v_div_fixup_f64 v[4:5], v[4:5], v[2:3], 1.0
	s_delay_alu instid0(VALU_DEP_1)
	v_mul_f64 v[2:3], v[0:1], -v[4:5]
.LBB127_201:
	s_or_b32 exec_lo, exec_lo, s3
	scratch_load_b32 v0, off, off offset:1024 ; 4-byte Folded Reload
	s_waitcnt vmcnt(0)
	ds_store_2addr_b64 v0, v[4:5], v[2:3] offset1:1
.LBB127_202:
	s_or_b32 exec_lo, exec_lo, s4
	s_waitcnt lgkmcnt(0)
	s_barrier
	buffer_gl0_inv
	scratch_load_b32 v0, off, off offset:1024 ; 4-byte Folded Reload
	s_mov_b32 s3, exec_lo
	s_waitcnt vmcnt(0)
	ds_load_2addr_b64 v[60:63], v0 offset1:1
	v_cmpx_lt_u32_e32 15, v254
	s_cbranch_execz .LBB127_205
; %bb.203:
	scratch_load_b128 v[0:3], off, off offset:240
	s_mov_b32 s4, 0
	s_waitcnt vmcnt(0) lgkmcnt(0)
	v_mul_f64 v[4:5], v[62:63], v[2:3]
	v_mul_f64 v[2:3], v[60:61], v[2:3]
	s_delay_alu instid0(VALU_DEP_2) | instskip(NEXT) | instid1(VALU_DEP_2)
	v_fma_f64 v[64:65], v[60:61], v[0:1], -v[4:5]
	v_fma_f64 v[66:67], v[62:63], v[0:1], v[2:3]
	v_mov_b32_e32 v0, 0
	scratch_store_b128 off, v[64:67], off offset:240
.LBB127_204:                            ; =>This Inner Loop Header: Depth=1
	v_add_nc_u32_e32 v5, s4, v6
	v_readfirstlane_b32 s5, v0
	ds_load_2addr_b64 v[1:4], v5 offset1:1
	s_add_i32 s5, s5, s4
	s_addk_i32 s4, 0x60
	s_add_i32 s6, s5, 0x100
	s_waitcnt lgkmcnt(0)
	v_mul_f64 v[68:69], v[3:4], v[66:67]
	s_delay_alu instid0(VALU_DEP_1) | instskip(SKIP_1) | instid1(VALU_DEP_1)
	v_fma_f64 v[68:69], v[1:2], v[64:65], -v[68:69]
	v_mul_f64 v[1:2], v[1:2], v[66:67]
	v_fma_f64 v[70:71], v[3:4], v[64:65], v[1:2]
	scratch_load_b128 v[1:4], off, s6
	s_waitcnt vmcnt(0)
	v_add_f64 v[1:2], v[1:2], -v[68:69]
	v_add_f64 v[3:4], v[3:4], -v[70:71]
	scratch_store_b128 off, v[1:4], s6
	ds_load_2addr_b64 v[1:4], v5 offset0:2 offset1:3
	s_add_i32 s6, s5, 0x110
	s_waitcnt lgkmcnt(0)
	v_mul_f64 v[68:69], v[3:4], v[66:67]
	s_delay_alu instid0(VALU_DEP_1) | instskip(SKIP_1) | instid1(VALU_DEP_1)
	v_fma_f64 v[68:69], v[1:2], v[64:65], -v[68:69]
	v_mul_f64 v[1:2], v[1:2], v[66:67]
	v_fma_f64 v[70:71], v[3:4], v[64:65], v[1:2]
	scratch_load_b128 v[1:4], off, s6
	s_waitcnt vmcnt(0)
	v_add_f64 v[1:2], v[1:2], -v[68:69]
	v_add_f64 v[3:4], v[3:4], -v[70:71]
	scratch_store_b128 off, v[1:4], s6
	ds_load_2addr_b64 v[1:4], v5 offset0:4 offset1:5
	;; [unrolled: 13-line block ×4, first 2 shown]
	s_add_i32 s6, s5, 0x140
	s_addk_i32 s5, 0x150
	s_cmpk_lg_i32 s4, 0x300
	s_waitcnt lgkmcnt(0)
	v_mul_f64 v[68:69], v[3:4], v[66:67]
	s_delay_alu instid0(VALU_DEP_1) | instskip(SKIP_1) | instid1(VALU_DEP_1)
	v_fma_f64 v[68:69], v[1:2], v[64:65], -v[68:69]
	v_mul_f64 v[1:2], v[1:2], v[66:67]
	v_fma_f64 v[70:71], v[3:4], v[64:65], v[1:2]
	scratch_load_b128 v[1:4], off, s6
	s_waitcnt vmcnt(0)
	v_add_f64 v[1:2], v[1:2], -v[68:69]
	v_add_f64 v[3:4], v[3:4], -v[70:71]
	scratch_store_b128 off, v[1:4], s6
	ds_load_2addr_b64 v[1:4], v5 offset0:10 offset1:11
	s_waitcnt lgkmcnt(0)
	v_mul_f64 v[68:69], v[3:4], v[66:67]
	s_delay_alu instid0(VALU_DEP_1) | instskip(SKIP_1) | instid1(VALU_DEP_1)
	v_fma_f64 v[68:69], v[1:2], v[64:65], -v[68:69]
	v_mul_f64 v[1:2], v[1:2], v[66:67]
	v_fma_f64 v[70:71], v[3:4], v[64:65], v[1:2]
	scratch_load_b128 v[1:4], off, s5
	s_waitcnt vmcnt(0)
	v_add_f64 v[1:2], v[1:2], -v[68:69]
	v_add_f64 v[3:4], v[3:4], -v[70:71]
	scratch_store_b128 off, v[1:4], s5
	s_cbranch_scc1 .LBB127_204
.LBB127_205:
	s_or_b32 exec_lo, exec_lo, s3
	v_add3_u32 v6, v188, 0, 0x110
	s_mov_b32 s4, exec_lo
	s_waitcnt lgkmcnt(0)
	s_waitcnt_vscnt null, 0x0
	s_barrier
	buffer_gl0_inv
	v_cmpx_eq_u32_e32 16, v254
	s_cbranch_execz .LBB127_216
; %bb.206:
	scratch_load_b32 v0, off, off offset:1224 ; 4-byte Folded Reload
	s_movk_i32 s3, 0xfd80
	s_waitcnt vmcnt(0)
	scratch_load_b128 v[0:3], v0, off
	scratch_load_b32 v4, off, off offset:1024 ; 4-byte Folded Reload
	s_waitcnt vmcnt(0)
	ds_store_2addr_b64 v4, v[0:1], v[2:3] offset1:1
	v_mov_b32_e32 v0, 0
	s_branch .LBB127_208
.LBB127_207:                            ;   in Loop: Header=BB127_208 Depth=1
	s_addk_i32 s5, 0x400
	s_addk_i32 s3, 0x80
	scratch_load_b128 v[2:5], off, s5
	s_waitcnt vmcnt(0)
	ds_store_2addr_b64 v1, v[2:3], v[4:5] offset0:94 offset1:95
	s_cbranch_execz .LBB127_210
.LBB127_208:                            ; =>This Inner Loop Header: Depth=1
	s_delay_alu instid0(VALU_DEP_1) | instskip(SKIP_1) | instid1(VALU_DEP_2)
	v_readfirstlane_b32 s5, v0
	v_add_nc_u32_e32 v1, s3, v6
	s_add_i32 s5, s5, s3
	s_delay_alu instid0(SALU_CYCLE_1)
	s_add_i32 s6, s5, 0x390
	scratch_load_b128 v[2:5], off, s6
	s_add_i32 s6, s5, 0x3a0
	s_waitcnt vmcnt(0)
	ds_store_2addr_b64 v1, v[2:3], v[4:5] offset0:80 offset1:81
	scratch_load_b128 v[2:5], off, s6
	s_add_i32 s6, s5, 0x3b0
	s_waitcnt vmcnt(0)
	ds_store_2addr_b64 v1, v[2:3], v[4:5] offset0:82 offset1:83
	;; [unrolled: 4-line block ×5, first 2 shown]
	scratch_load_b128 v[2:5], off, s6
	s_add_i32 s6, s5, 0x3f0
	s_cmp_eq_u32 s3, 0
	s_waitcnt vmcnt(0)
	ds_store_2addr_b64 v1, v[2:3], v[4:5] offset0:90 offset1:91
	scratch_load_b128 v[2:5], off, s6
	s_waitcnt vmcnt(0)
	ds_store_2addr_b64 v1, v[2:3], v[4:5] offset0:92 offset1:93
	s_cbranch_scc0 .LBB127_207
; %bb.209:
                                        ; implicit-def: $sgpr3
.LBB127_210:
	scratch_load_b32 v0, off, off offset:1024 ; 4-byte Folded Reload
	s_waitcnt vmcnt(0)
	ds_load_2addr_b64 v[64:67], v0 offset1:1
	s_waitcnt lgkmcnt(0)
	v_cmp_neq_f64_e32 vcc_lo, 0, v[64:65]
	v_cmp_neq_f64_e64 s3, 0, v[66:67]
	s_delay_alu instid0(VALU_DEP_1) | instskip(NEXT) | instid1(SALU_CYCLE_1)
	s_or_b32 s3, vcc_lo, s3
	s_and_b32 exec_lo, exec_lo, s3
	s_cbranch_execz .LBB127_216
; %bb.211:
	v_cmp_gt_f64_e32 vcc_lo, 0, v[64:65]
	v_xor_b32_e32 v0, 0x80000000, v65
	v_xor_b32_e32 v2, 0x80000000, v67
	s_mov_b32 s3, exec_lo
                                        ; implicit-def: $vgpr4_vgpr5
	s_delay_alu instid0(VALU_DEP_2) | instskip(SKIP_4) | instid1(VALU_DEP_1)
	v_cndmask_b32_e32 v1, v65, v0, vcc_lo
	v_cndmask_b32_e32 v0, v64, v64, vcc_lo
	v_cmp_gt_f64_e32 vcc_lo, 0, v[66:67]
	v_cndmask_b32_e32 v3, v67, v2, vcc_lo
	v_cndmask_b32_e32 v2, v66, v66, vcc_lo
	v_cmpx_ngt_f64_e32 v[0:1], v[2:3]
	s_xor_b32 s3, exec_lo, s3
                                        ; implicit-def: $vgpr0_vgpr1_vgpr2_vgpr3
	s_cbranch_execz .LBB127_213
; %bb.212:
	v_div_scale_f64 v[0:1], null, v[66:67], v[66:67], v[64:65]
	v_div_scale_f64 v[68:69], vcc_lo, v[64:65], v[66:67], v[64:65]
	s_delay_alu instid0(VALU_DEP_2) | instskip(SKIP_2) | instid1(VALU_DEP_1)
	v_rcp_f64_e32 v[2:3], v[0:1]
	s_waitcnt_depctr 0xfff
	v_fma_f64 v[4:5], -v[0:1], v[2:3], 1.0
	v_fma_f64 v[2:3], v[2:3], v[4:5], v[2:3]
	s_delay_alu instid0(VALU_DEP_1) | instskip(NEXT) | instid1(VALU_DEP_1)
	v_fma_f64 v[4:5], -v[0:1], v[2:3], 1.0
	v_fma_f64 v[2:3], v[2:3], v[4:5], v[2:3]
	s_delay_alu instid0(VALU_DEP_1) | instskip(NEXT) | instid1(VALU_DEP_1)
	v_mul_f64 v[4:5], v[68:69], v[2:3]
	v_fma_f64 v[0:1], -v[0:1], v[4:5], v[68:69]
	s_delay_alu instid0(VALU_DEP_1) | instskip(NEXT) | instid1(VALU_DEP_1)
	v_div_fmas_f64 v[0:1], v[0:1], v[2:3], v[4:5]
	v_div_fixup_f64 v[0:1], v[0:1], v[66:67], v[64:65]
	s_delay_alu instid0(VALU_DEP_1) | instskip(NEXT) | instid1(VALU_DEP_1)
	v_fma_f64 v[2:3], v[64:65], v[0:1], v[66:67]
	v_div_scale_f64 v[4:5], null, v[2:3], v[2:3], 1.0
	s_delay_alu instid0(VALU_DEP_1) | instskip(SKIP_2) | instid1(VALU_DEP_1)
	v_rcp_f64_e32 v[64:65], v[4:5]
	s_waitcnt_depctr 0xfff
	v_fma_f64 v[66:67], -v[4:5], v[64:65], 1.0
	v_fma_f64 v[64:65], v[64:65], v[66:67], v[64:65]
	s_delay_alu instid0(VALU_DEP_1) | instskip(NEXT) | instid1(VALU_DEP_1)
	v_fma_f64 v[66:67], -v[4:5], v[64:65], 1.0
	v_fma_f64 v[64:65], v[64:65], v[66:67], v[64:65]
	v_div_scale_f64 v[66:67], vcc_lo, 1.0, v[2:3], 1.0
	s_delay_alu instid0(VALU_DEP_1) | instskip(NEXT) | instid1(VALU_DEP_1)
	v_mul_f64 v[68:69], v[66:67], v[64:65]
	v_fma_f64 v[4:5], -v[4:5], v[68:69], v[66:67]
	s_delay_alu instid0(VALU_DEP_1) | instskip(NEXT) | instid1(VALU_DEP_1)
	v_div_fmas_f64 v[4:5], v[4:5], v[64:65], v[68:69]
                                        ; implicit-def: $vgpr64_vgpr65
	v_div_fixup_f64 v[2:3], v[4:5], v[2:3], 1.0
	s_delay_alu instid0(VALU_DEP_1)
	v_mul_f64 v[4:5], v[0:1], v[2:3]
	v_xor_b32_e32 v3, 0x80000000, v3
.LBB127_213:
	s_and_not1_saveexec_b32 s3, s3
	s_cbranch_execz .LBB127_215
; %bb.214:
	v_div_scale_f64 v[0:1], null, v[64:65], v[64:65], v[66:67]
	v_div_scale_f64 v[68:69], vcc_lo, v[66:67], v[64:65], v[66:67]
	s_delay_alu instid0(VALU_DEP_2) | instskip(SKIP_2) | instid1(VALU_DEP_1)
	v_rcp_f64_e32 v[2:3], v[0:1]
	s_waitcnt_depctr 0xfff
	v_fma_f64 v[4:5], -v[0:1], v[2:3], 1.0
	v_fma_f64 v[2:3], v[2:3], v[4:5], v[2:3]
	s_delay_alu instid0(VALU_DEP_1) | instskip(NEXT) | instid1(VALU_DEP_1)
	v_fma_f64 v[4:5], -v[0:1], v[2:3], 1.0
	v_fma_f64 v[2:3], v[2:3], v[4:5], v[2:3]
	s_delay_alu instid0(VALU_DEP_1) | instskip(NEXT) | instid1(VALU_DEP_1)
	v_mul_f64 v[4:5], v[68:69], v[2:3]
	v_fma_f64 v[0:1], -v[0:1], v[4:5], v[68:69]
	s_delay_alu instid0(VALU_DEP_1) | instskip(NEXT) | instid1(VALU_DEP_1)
	v_div_fmas_f64 v[0:1], v[0:1], v[2:3], v[4:5]
	v_div_fixup_f64 v[0:1], v[0:1], v[64:65], v[66:67]
	s_delay_alu instid0(VALU_DEP_1) | instskip(NEXT) | instid1(VALU_DEP_1)
	v_fma_f64 v[2:3], v[66:67], v[0:1], v[64:65]
	v_div_scale_f64 v[4:5], null, v[2:3], v[2:3], 1.0
	s_delay_alu instid0(VALU_DEP_1) | instskip(SKIP_2) | instid1(VALU_DEP_1)
	v_rcp_f64_e32 v[64:65], v[4:5]
	s_waitcnt_depctr 0xfff
	v_fma_f64 v[66:67], -v[4:5], v[64:65], 1.0
	v_fma_f64 v[64:65], v[64:65], v[66:67], v[64:65]
	s_delay_alu instid0(VALU_DEP_1) | instskip(NEXT) | instid1(VALU_DEP_1)
	v_fma_f64 v[66:67], -v[4:5], v[64:65], 1.0
	v_fma_f64 v[64:65], v[64:65], v[66:67], v[64:65]
	v_div_scale_f64 v[66:67], vcc_lo, 1.0, v[2:3], 1.0
	s_delay_alu instid0(VALU_DEP_1) | instskip(NEXT) | instid1(VALU_DEP_1)
	v_mul_f64 v[68:69], v[66:67], v[64:65]
	v_fma_f64 v[4:5], -v[4:5], v[68:69], v[66:67]
	s_delay_alu instid0(VALU_DEP_1) | instskip(NEXT) | instid1(VALU_DEP_1)
	v_div_fmas_f64 v[4:5], v[4:5], v[64:65], v[68:69]
	v_div_fixup_f64 v[4:5], v[4:5], v[2:3], 1.0
	s_delay_alu instid0(VALU_DEP_1)
	v_mul_f64 v[2:3], v[0:1], -v[4:5]
.LBB127_215:
	s_or_b32 exec_lo, exec_lo, s3
	scratch_load_b32 v0, off, off offset:1024 ; 4-byte Folded Reload
	s_waitcnt vmcnt(0)
	ds_store_2addr_b64 v0, v[4:5], v[2:3] offset1:1
.LBB127_216:
	s_or_b32 exec_lo, exec_lo, s4
	s_waitcnt lgkmcnt(0)
	s_barrier
	buffer_gl0_inv
	scratch_load_b32 v0, off, off offset:1024 ; 4-byte Folded Reload
	s_mov_b32 s3, exec_lo
	s_waitcnt vmcnt(0)
	ds_load_2addr_b64 v[64:67], v0 offset1:1
	v_cmpx_lt_u32_e32 16, v254
	s_cbranch_execz .LBB127_221
; %bb.217:
	scratch_load_b128 v[0:3], off, off offset:256
	s_mov_b32 s4, 0
	s_waitcnt vmcnt(0) lgkmcnt(0)
	v_mul_f64 v[4:5], v[66:67], v[2:3]
	v_mul_f64 v[2:3], v[64:65], v[2:3]
	s_delay_alu instid0(VALU_DEP_2) | instskip(NEXT) | instid1(VALU_DEP_2)
	v_fma_f64 v[68:69], v[64:65], v[0:1], -v[4:5]
	v_fma_f64 v[70:71], v[66:67], v[0:1], v[2:3]
	v_mov_b32_e32 v0, 0
	scratch_store_b128 off, v[68:71], off offset:256
	s_branch .LBB127_219
.LBB127_218:                            ;   in Loop: Header=BB127_219 Depth=1
	s_and_not1_b32 vcc_lo, exec_lo, s6
	s_cbranch_vccz .LBB127_221
.LBB127_219:                            ; =>This Inner Loop Header: Depth=1
	v_add_nc_u32_e32 v1, s4, v6
	v_readfirstlane_b32 s5, v0
	ds_load_2addr_b64 v[2:5], v1 offset1:1
	s_add_i32 s5, s5, s4
	s_delay_alu instid0(SALU_CYCLE_1) | instskip(SKIP_2) | instid1(VALU_DEP_1)
	s_add_i32 s6, s5, 0x110
	s_waitcnt lgkmcnt(0)
	v_mul_f64 v[72:73], v[4:5], v[70:71]
	v_fma_f64 v[72:73], v[2:3], v[68:69], -v[72:73]
	v_mul_f64 v[2:3], v[2:3], v[70:71]
	s_delay_alu instid0(VALU_DEP_1)
	v_fma_f64 v[74:75], v[4:5], v[68:69], v[2:3]
	scratch_load_b128 v[2:5], off, s6
	s_waitcnt vmcnt(0)
	v_add_f64 v[2:3], v[2:3], -v[72:73]
	v_add_f64 v[4:5], v[4:5], -v[74:75]
	scratch_store_b128 off, v[2:5], s6
	ds_load_2addr_b64 v[2:5], v1 offset0:2 offset1:3
	s_add_i32 s6, s5, 0x120
	s_waitcnt lgkmcnt(0)
	v_mul_f64 v[72:73], v[4:5], v[70:71]
	s_delay_alu instid0(VALU_DEP_1) | instskip(SKIP_1) | instid1(VALU_DEP_1)
	v_fma_f64 v[72:73], v[2:3], v[68:69], -v[72:73]
	v_mul_f64 v[2:3], v[2:3], v[70:71]
	v_fma_f64 v[74:75], v[4:5], v[68:69], v[2:3]
	scratch_load_b128 v[2:5], off, s6
	s_waitcnt vmcnt(0)
	v_add_f64 v[2:3], v[2:3], -v[72:73]
	v_add_f64 v[4:5], v[4:5], -v[74:75]
	scratch_store_b128 off, v[2:5], s6
	ds_load_2addr_b64 v[2:5], v1 offset0:4 offset1:5
	s_add_i32 s6, s5, 0x130
	s_cmpk_eq_i32 s4, 0x2c0
	s_waitcnt lgkmcnt(0)
	v_mul_f64 v[72:73], v[4:5], v[70:71]
	s_delay_alu instid0(VALU_DEP_1) | instskip(SKIP_1) | instid1(VALU_DEP_1)
	v_fma_f64 v[72:73], v[2:3], v[68:69], -v[72:73]
	v_mul_f64 v[2:3], v[2:3], v[70:71]
	v_fma_f64 v[74:75], v[4:5], v[68:69], v[2:3]
	scratch_load_b128 v[2:5], off, s6
	s_waitcnt vmcnt(0)
	v_add_f64 v[2:3], v[2:3], -v[72:73]
	v_add_f64 v[4:5], v[4:5], -v[74:75]
	scratch_store_b128 off, v[2:5], s6
	s_mov_b32 s6, -1
	s_cbranch_scc1 .LBB127_218
; %bb.220:                              ;   in Loop: Header=BB127_219 Depth=1
	ds_load_2addr_b64 v[1:4], v1 offset0:6 offset1:7
	s_addk_i32 s5, 0x140
	s_add_i32 s4, s4, 64
	s_mov_b32 s6, 0
	s_waitcnt lgkmcnt(0)
	v_mul_f64 v[72:73], v[3:4], v[70:71]
	s_delay_alu instid0(VALU_DEP_1) | instskip(SKIP_1) | instid1(VALU_DEP_1)
	v_fma_f64 v[72:73], v[1:2], v[68:69], -v[72:73]
	v_mul_f64 v[1:2], v[1:2], v[70:71]
	v_fma_f64 v[74:75], v[3:4], v[68:69], v[1:2]
	scratch_load_b128 v[1:4], off, s5
	s_waitcnt vmcnt(0)
	v_add_f64 v[1:2], v[1:2], -v[72:73]
	v_add_f64 v[3:4], v[3:4], -v[74:75]
	scratch_store_b128 off, v[1:4], s5
	s_branch .LBB127_218
.LBB127_221:
	s_or_b32 exec_lo, exec_lo, s3
	v_add3_u32 v6, v188, 0, 0x120
	s_mov_b32 s4, exec_lo
	s_waitcnt lgkmcnt(0)
	s_waitcnt_vscnt null, 0x0
	s_barrier
	buffer_gl0_inv
	v_cmpx_eq_u32_e32 17, v254
	s_cbranch_execz .LBB127_230
; %bb.222:
	s_clause 0x1
	scratch_load_b32 v0, off, off offset:1220
	scratch_load_b32 v4, off, off offset:1024
	s_mov_b32 s3, 0
	s_waitcnt vmcnt(1)
	scratch_load_b128 v[0:3], v0, off
	s_waitcnt vmcnt(0)
	ds_store_2addr_b64 v4, v[0:1], v[2:3] offset1:1
	.p2align	6
.LBB127_223:                            ; =>This Inner Loop Header: Depth=1
	v_add_nc_u32_e64 v4, s3, 0
	v_add_nc_u32_e32 v5, s3, v6
	s_add_i32 s3, s3, 32
	s_delay_alu instid0(SALU_CYCLE_1) | instskip(NEXT) | instid1(VALU_DEP_2)
	s_cmpk_lg_i32 s3, 0x2e0
	v_add_nc_u32_e32 v0, 0x120, v4
	scratch_load_b128 v[0:3], v0, off
	s_waitcnt vmcnt(0)
	ds_store_2addr_b64 v5, v[0:1], v[2:3] offset1:1
	v_add_nc_u32_e32 v0, 0x130, v4
	scratch_load_b128 v[0:3], v0, off
	s_waitcnt vmcnt(0)
	ds_store_2addr_b64 v5, v[0:1], v[2:3] offset0:2 offset1:3
	s_cbranch_scc1 .LBB127_223
; %bb.224:
	scratch_load_b32 v0, off, off offset:1024 ; 4-byte Folded Reload
	s_waitcnt vmcnt(0)
	ds_load_2addr_b64 v[68:71], v0 offset1:1
	s_waitcnt lgkmcnt(0)
	v_cmp_neq_f64_e32 vcc_lo, 0, v[68:69]
	v_cmp_neq_f64_e64 s3, 0, v[70:71]
	s_delay_alu instid0(VALU_DEP_1) | instskip(NEXT) | instid1(SALU_CYCLE_1)
	s_or_b32 s3, vcc_lo, s3
	s_and_b32 exec_lo, exec_lo, s3
	s_cbranch_execz .LBB127_230
; %bb.225:
	v_cmp_gt_f64_e32 vcc_lo, 0, v[68:69]
	v_xor_b32_e32 v0, 0x80000000, v69
	v_xor_b32_e32 v2, 0x80000000, v71
	s_mov_b32 s3, exec_lo
                                        ; implicit-def: $vgpr4_vgpr5
	s_delay_alu instid0(VALU_DEP_2) | instskip(SKIP_4) | instid1(VALU_DEP_1)
	v_cndmask_b32_e32 v1, v69, v0, vcc_lo
	v_cndmask_b32_e32 v0, v68, v68, vcc_lo
	v_cmp_gt_f64_e32 vcc_lo, 0, v[70:71]
	v_cndmask_b32_e32 v3, v71, v2, vcc_lo
	v_cndmask_b32_e32 v2, v70, v70, vcc_lo
	v_cmpx_ngt_f64_e32 v[0:1], v[2:3]
	s_xor_b32 s3, exec_lo, s3
                                        ; implicit-def: $vgpr0_vgpr1_vgpr2_vgpr3
	s_cbranch_execz .LBB127_227
; %bb.226:
	v_div_scale_f64 v[0:1], null, v[70:71], v[70:71], v[68:69]
	v_div_scale_f64 v[72:73], vcc_lo, v[68:69], v[70:71], v[68:69]
	s_delay_alu instid0(VALU_DEP_2) | instskip(SKIP_2) | instid1(VALU_DEP_1)
	v_rcp_f64_e32 v[2:3], v[0:1]
	s_waitcnt_depctr 0xfff
	v_fma_f64 v[4:5], -v[0:1], v[2:3], 1.0
	v_fma_f64 v[2:3], v[2:3], v[4:5], v[2:3]
	s_delay_alu instid0(VALU_DEP_1) | instskip(NEXT) | instid1(VALU_DEP_1)
	v_fma_f64 v[4:5], -v[0:1], v[2:3], 1.0
	v_fma_f64 v[2:3], v[2:3], v[4:5], v[2:3]
	s_delay_alu instid0(VALU_DEP_1) | instskip(NEXT) | instid1(VALU_DEP_1)
	v_mul_f64 v[4:5], v[72:73], v[2:3]
	v_fma_f64 v[0:1], -v[0:1], v[4:5], v[72:73]
	s_delay_alu instid0(VALU_DEP_1) | instskip(NEXT) | instid1(VALU_DEP_1)
	v_div_fmas_f64 v[0:1], v[0:1], v[2:3], v[4:5]
	v_div_fixup_f64 v[0:1], v[0:1], v[70:71], v[68:69]
	s_delay_alu instid0(VALU_DEP_1) | instskip(NEXT) | instid1(VALU_DEP_1)
	v_fma_f64 v[2:3], v[68:69], v[0:1], v[70:71]
	v_div_scale_f64 v[4:5], null, v[2:3], v[2:3], 1.0
	s_delay_alu instid0(VALU_DEP_1) | instskip(SKIP_2) | instid1(VALU_DEP_1)
	v_rcp_f64_e32 v[68:69], v[4:5]
	s_waitcnt_depctr 0xfff
	v_fma_f64 v[70:71], -v[4:5], v[68:69], 1.0
	v_fma_f64 v[68:69], v[68:69], v[70:71], v[68:69]
	s_delay_alu instid0(VALU_DEP_1) | instskip(NEXT) | instid1(VALU_DEP_1)
	v_fma_f64 v[70:71], -v[4:5], v[68:69], 1.0
	v_fma_f64 v[68:69], v[68:69], v[70:71], v[68:69]
	v_div_scale_f64 v[70:71], vcc_lo, 1.0, v[2:3], 1.0
	s_delay_alu instid0(VALU_DEP_1) | instskip(NEXT) | instid1(VALU_DEP_1)
	v_mul_f64 v[72:73], v[70:71], v[68:69]
	v_fma_f64 v[4:5], -v[4:5], v[72:73], v[70:71]
	s_delay_alu instid0(VALU_DEP_1) | instskip(NEXT) | instid1(VALU_DEP_1)
	v_div_fmas_f64 v[4:5], v[4:5], v[68:69], v[72:73]
                                        ; implicit-def: $vgpr68_vgpr69
	v_div_fixup_f64 v[2:3], v[4:5], v[2:3], 1.0
	s_delay_alu instid0(VALU_DEP_1)
	v_mul_f64 v[4:5], v[0:1], v[2:3]
	v_xor_b32_e32 v3, 0x80000000, v3
.LBB127_227:
	s_and_not1_saveexec_b32 s3, s3
	s_cbranch_execz .LBB127_229
; %bb.228:
	v_div_scale_f64 v[0:1], null, v[68:69], v[68:69], v[70:71]
	v_div_scale_f64 v[72:73], vcc_lo, v[70:71], v[68:69], v[70:71]
	s_delay_alu instid0(VALU_DEP_2) | instskip(SKIP_2) | instid1(VALU_DEP_1)
	v_rcp_f64_e32 v[2:3], v[0:1]
	s_waitcnt_depctr 0xfff
	v_fma_f64 v[4:5], -v[0:1], v[2:3], 1.0
	v_fma_f64 v[2:3], v[2:3], v[4:5], v[2:3]
	s_delay_alu instid0(VALU_DEP_1) | instskip(NEXT) | instid1(VALU_DEP_1)
	v_fma_f64 v[4:5], -v[0:1], v[2:3], 1.0
	v_fma_f64 v[2:3], v[2:3], v[4:5], v[2:3]
	s_delay_alu instid0(VALU_DEP_1) | instskip(NEXT) | instid1(VALU_DEP_1)
	v_mul_f64 v[4:5], v[72:73], v[2:3]
	v_fma_f64 v[0:1], -v[0:1], v[4:5], v[72:73]
	s_delay_alu instid0(VALU_DEP_1) | instskip(NEXT) | instid1(VALU_DEP_1)
	v_div_fmas_f64 v[0:1], v[0:1], v[2:3], v[4:5]
	v_div_fixup_f64 v[0:1], v[0:1], v[68:69], v[70:71]
	s_delay_alu instid0(VALU_DEP_1) | instskip(NEXT) | instid1(VALU_DEP_1)
	v_fma_f64 v[2:3], v[70:71], v[0:1], v[68:69]
	v_div_scale_f64 v[4:5], null, v[2:3], v[2:3], 1.0
	s_delay_alu instid0(VALU_DEP_1) | instskip(SKIP_2) | instid1(VALU_DEP_1)
	v_rcp_f64_e32 v[68:69], v[4:5]
	s_waitcnt_depctr 0xfff
	v_fma_f64 v[70:71], -v[4:5], v[68:69], 1.0
	v_fma_f64 v[68:69], v[68:69], v[70:71], v[68:69]
	s_delay_alu instid0(VALU_DEP_1) | instskip(NEXT) | instid1(VALU_DEP_1)
	v_fma_f64 v[70:71], -v[4:5], v[68:69], 1.0
	v_fma_f64 v[68:69], v[68:69], v[70:71], v[68:69]
	v_div_scale_f64 v[70:71], vcc_lo, 1.0, v[2:3], 1.0
	s_delay_alu instid0(VALU_DEP_1) | instskip(NEXT) | instid1(VALU_DEP_1)
	v_mul_f64 v[72:73], v[70:71], v[68:69]
	v_fma_f64 v[4:5], -v[4:5], v[72:73], v[70:71]
	s_delay_alu instid0(VALU_DEP_1) | instskip(NEXT) | instid1(VALU_DEP_1)
	v_div_fmas_f64 v[4:5], v[4:5], v[68:69], v[72:73]
	v_div_fixup_f64 v[4:5], v[4:5], v[2:3], 1.0
	s_delay_alu instid0(VALU_DEP_1)
	v_mul_f64 v[2:3], v[0:1], -v[4:5]
.LBB127_229:
	s_or_b32 exec_lo, exec_lo, s3
	scratch_load_b32 v0, off, off offset:1024 ; 4-byte Folded Reload
	s_waitcnt vmcnt(0)
	ds_store_2addr_b64 v0, v[4:5], v[2:3] offset1:1
.LBB127_230:
	s_or_b32 exec_lo, exec_lo, s4
	s_waitcnt lgkmcnt(0)
	s_barrier
	buffer_gl0_inv
	scratch_load_b32 v0, off, off offset:1024 ; 4-byte Folded Reload
	s_mov_b32 s3, exec_lo
	s_waitcnt vmcnt(0)
	ds_load_2addr_b64 v[68:71], v0 offset1:1
	v_cmpx_lt_u32_e32 17, v254
	s_cbranch_execz .LBB127_233
; %bb.231:
	scratch_load_b128 v[0:3], off, off offset:272
	s_mov_b32 s4, 0
	s_waitcnt vmcnt(0) lgkmcnt(0)
	v_mul_f64 v[4:5], v[70:71], v[2:3]
	v_mul_f64 v[2:3], v[68:69], v[2:3]
	s_delay_alu instid0(VALU_DEP_2) | instskip(NEXT) | instid1(VALU_DEP_2)
	v_fma_f64 v[72:73], v[68:69], v[0:1], -v[4:5]
	v_fma_f64 v[74:75], v[70:71], v[0:1], v[2:3]
	scratch_store_b128 off, v[72:75], off offset:272
	s_set_inst_prefetch_distance 0x1
	.p2align	6
.LBB127_232:                            ; =>This Inner Loop Header: Depth=1
	v_add_nc_u32_e32 v7, s4, v6
	v_add_nc_u32_e64 v78, s4, 0
	s_add_i32 s4, s4, 32
	s_delay_alu instid0(SALU_CYCLE_1) | instskip(SKIP_4) | instid1(VALU_DEP_1)
	s_cmpk_lg_i32 s4, 0x2e0
	ds_load_2addr_b64 v[0:3], v7 offset1:1
	v_add_nc_u32_e32 v79, 0x120, v78
	s_waitcnt lgkmcnt(0)
	v_mul_f64 v[4:5], v[2:3], v[74:75]
	v_fma_f64 v[4:5], v[0:1], v[72:73], -v[4:5]
	v_mul_f64 v[0:1], v[0:1], v[74:75]
	s_delay_alu instid0(VALU_DEP_1)
	v_fma_f64 v[76:77], v[2:3], v[72:73], v[0:1]
	scratch_load_b128 v[0:3], v79, off
	s_waitcnt vmcnt(0)
	v_add_f64 v[0:1], v[0:1], -v[4:5]
	v_add_f64 v[2:3], v[2:3], -v[76:77]
	scratch_store_b128 v79, v[0:3], off
	ds_load_2addr_b64 v[0:3], v7 offset0:2 offset1:3
	v_add_nc_u32_e32 v7, 0x130, v78
	s_waitcnt lgkmcnt(0)
	v_mul_f64 v[4:5], v[2:3], v[74:75]
	s_delay_alu instid0(VALU_DEP_1) | instskip(SKIP_1) | instid1(VALU_DEP_1)
	v_fma_f64 v[4:5], v[0:1], v[72:73], -v[4:5]
	v_mul_f64 v[0:1], v[0:1], v[74:75]
	v_fma_f64 v[76:77], v[2:3], v[72:73], v[0:1]
	scratch_load_b128 v[0:3], v7, off
	s_waitcnt vmcnt(0)
	v_add_f64 v[0:1], v[0:1], -v[4:5]
	v_add_f64 v[2:3], v[2:3], -v[76:77]
	scratch_store_b128 v7, v[0:3], off
	s_cbranch_scc1 .LBB127_232
.LBB127_233:
	s_set_inst_prefetch_distance 0x2
	s_or_b32 exec_lo, exec_lo, s3
	v_add3_u32 v6, v188, 0, 0x130
	s_mov_b32 s4, exec_lo
	s_waitcnt lgkmcnt(0)
	s_waitcnt_vscnt null, 0x0
	s_barrier
	buffer_gl0_inv
	v_cmpx_eq_u32_e32 18, v254
	s_cbranch_execz .LBB127_242
; %bb.234:
	scratch_load_b32 v0, off, off offset:1216 ; 4-byte Folded Reload
	s_movk_i32 s3, 0xfd30
	s_waitcnt vmcnt(0)
	scratch_load_b128 v[0:3], v0, off
	scratch_load_b32 v4, off, off offset:1024 ; 4-byte Folded Reload
	s_waitcnt vmcnt(0)
	ds_store_2addr_b64 v4, v[0:1], v[2:3] offset1:1
	v_mov_b32_e32 v0, 0
.LBB127_235:                            ; =>This Inner Loop Header: Depth=1
	s_delay_alu instid0(VALU_DEP_1) | instskip(SKIP_1) | instid1(VALU_DEP_2)
	v_readfirstlane_b32 s5, v0
	v_add_nc_u32_e32 v5, s3, v6
	s_add_i32 s5, s5, s3
	s_addk_i32 s3, 0xf0
	s_add_i32 s6, s5, 0x400
	scratch_load_b128 v[1:4], off, s6
	s_add_i32 s6, s5, 0x410
	s_waitcnt vmcnt(0)
	ds_store_2addr_b64 v5, v[1:2], v[3:4] offset0:90 offset1:91
	scratch_load_b128 v[1:4], off, s6
	s_add_i32 s6, s5, 0x420
	s_waitcnt vmcnt(0)
	ds_store_2addr_b64 v5, v[1:2], v[3:4] offset0:92 offset1:93
	;; [unrolled: 4-line block ×12, first 2 shown]
	scratch_load_b128 v[1:4], off, s6
	s_add_i32 s6, s5, 0x4d0
	s_addk_i32 s5, 0x4e0
	s_cmp_lg_u32 s3, 0
	s_waitcnt vmcnt(0)
	ds_store_2addr_b64 v5, v[1:2], v[3:4] offset0:114 offset1:115
	scratch_load_b128 v[1:4], off, s6
	s_waitcnt vmcnt(0)
	ds_store_2addr_b64 v5, v[1:2], v[3:4] offset0:116 offset1:117
	scratch_load_b128 v[1:4], off, s5
	s_waitcnt vmcnt(0)
	ds_store_2addr_b64 v5, v[1:2], v[3:4] offset0:118 offset1:119
	s_cbranch_scc1 .LBB127_235
; %bb.236:
	scratch_load_b32 v0, off, off offset:1024 ; 4-byte Folded Reload
	s_waitcnt vmcnt(0)
	ds_load_2addr_b64 v[72:75], v0 offset1:1
	s_waitcnt lgkmcnt(0)
	v_cmp_neq_f64_e32 vcc_lo, 0, v[72:73]
	v_cmp_neq_f64_e64 s3, 0, v[74:75]
	s_delay_alu instid0(VALU_DEP_1) | instskip(NEXT) | instid1(SALU_CYCLE_1)
	s_or_b32 s3, vcc_lo, s3
	s_and_b32 exec_lo, exec_lo, s3
	s_cbranch_execz .LBB127_242
; %bb.237:
	v_cmp_gt_f64_e32 vcc_lo, 0, v[72:73]
	v_xor_b32_e32 v0, 0x80000000, v73
	v_xor_b32_e32 v2, 0x80000000, v75
	s_mov_b32 s3, exec_lo
                                        ; implicit-def: $vgpr4_vgpr5
	s_delay_alu instid0(VALU_DEP_2) | instskip(SKIP_4) | instid1(VALU_DEP_1)
	v_cndmask_b32_e32 v1, v73, v0, vcc_lo
	v_cndmask_b32_e32 v0, v72, v72, vcc_lo
	v_cmp_gt_f64_e32 vcc_lo, 0, v[74:75]
	v_cndmask_b32_e32 v3, v75, v2, vcc_lo
	v_cndmask_b32_e32 v2, v74, v74, vcc_lo
	v_cmpx_ngt_f64_e32 v[0:1], v[2:3]
	s_xor_b32 s3, exec_lo, s3
                                        ; implicit-def: $vgpr0_vgpr1_vgpr2_vgpr3
	s_cbranch_execz .LBB127_239
; %bb.238:
	v_div_scale_f64 v[0:1], null, v[74:75], v[74:75], v[72:73]
	v_div_scale_f64 v[76:77], vcc_lo, v[72:73], v[74:75], v[72:73]
	s_delay_alu instid0(VALU_DEP_2) | instskip(SKIP_2) | instid1(VALU_DEP_1)
	v_rcp_f64_e32 v[2:3], v[0:1]
	s_waitcnt_depctr 0xfff
	v_fma_f64 v[4:5], -v[0:1], v[2:3], 1.0
	v_fma_f64 v[2:3], v[2:3], v[4:5], v[2:3]
	s_delay_alu instid0(VALU_DEP_1) | instskip(NEXT) | instid1(VALU_DEP_1)
	v_fma_f64 v[4:5], -v[0:1], v[2:3], 1.0
	v_fma_f64 v[2:3], v[2:3], v[4:5], v[2:3]
	s_delay_alu instid0(VALU_DEP_1) | instskip(NEXT) | instid1(VALU_DEP_1)
	v_mul_f64 v[4:5], v[76:77], v[2:3]
	v_fma_f64 v[0:1], -v[0:1], v[4:5], v[76:77]
	s_delay_alu instid0(VALU_DEP_1) | instskip(NEXT) | instid1(VALU_DEP_1)
	v_div_fmas_f64 v[0:1], v[0:1], v[2:3], v[4:5]
	v_div_fixup_f64 v[0:1], v[0:1], v[74:75], v[72:73]
	s_delay_alu instid0(VALU_DEP_1) | instskip(NEXT) | instid1(VALU_DEP_1)
	v_fma_f64 v[2:3], v[72:73], v[0:1], v[74:75]
	v_div_scale_f64 v[4:5], null, v[2:3], v[2:3], 1.0
	s_delay_alu instid0(VALU_DEP_1) | instskip(SKIP_2) | instid1(VALU_DEP_1)
	v_rcp_f64_e32 v[72:73], v[4:5]
	s_waitcnt_depctr 0xfff
	v_fma_f64 v[74:75], -v[4:5], v[72:73], 1.0
	v_fma_f64 v[72:73], v[72:73], v[74:75], v[72:73]
	s_delay_alu instid0(VALU_DEP_1) | instskip(NEXT) | instid1(VALU_DEP_1)
	v_fma_f64 v[74:75], -v[4:5], v[72:73], 1.0
	v_fma_f64 v[72:73], v[72:73], v[74:75], v[72:73]
	v_div_scale_f64 v[74:75], vcc_lo, 1.0, v[2:3], 1.0
	s_delay_alu instid0(VALU_DEP_1) | instskip(NEXT) | instid1(VALU_DEP_1)
	v_mul_f64 v[76:77], v[74:75], v[72:73]
	v_fma_f64 v[4:5], -v[4:5], v[76:77], v[74:75]
	s_delay_alu instid0(VALU_DEP_1) | instskip(NEXT) | instid1(VALU_DEP_1)
	v_div_fmas_f64 v[4:5], v[4:5], v[72:73], v[76:77]
                                        ; implicit-def: $vgpr72_vgpr73
	v_div_fixup_f64 v[2:3], v[4:5], v[2:3], 1.0
	s_delay_alu instid0(VALU_DEP_1)
	v_mul_f64 v[4:5], v[0:1], v[2:3]
	v_xor_b32_e32 v3, 0x80000000, v3
.LBB127_239:
	s_and_not1_saveexec_b32 s3, s3
	s_cbranch_execz .LBB127_241
; %bb.240:
	v_div_scale_f64 v[0:1], null, v[72:73], v[72:73], v[74:75]
	v_div_scale_f64 v[76:77], vcc_lo, v[74:75], v[72:73], v[74:75]
	s_delay_alu instid0(VALU_DEP_2) | instskip(SKIP_2) | instid1(VALU_DEP_1)
	v_rcp_f64_e32 v[2:3], v[0:1]
	s_waitcnt_depctr 0xfff
	v_fma_f64 v[4:5], -v[0:1], v[2:3], 1.0
	v_fma_f64 v[2:3], v[2:3], v[4:5], v[2:3]
	s_delay_alu instid0(VALU_DEP_1) | instskip(NEXT) | instid1(VALU_DEP_1)
	v_fma_f64 v[4:5], -v[0:1], v[2:3], 1.0
	v_fma_f64 v[2:3], v[2:3], v[4:5], v[2:3]
	s_delay_alu instid0(VALU_DEP_1) | instskip(NEXT) | instid1(VALU_DEP_1)
	v_mul_f64 v[4:5], v[76:77], v[2:3]
	v_fma_f64 v[0:1], -v[0:1], v[4:5], v[76:77]
	s_delay_alu instid0(VALU_DEP_1) | instskip(NEXT) | instid1(VALU_DEP_1)
	v_div_fmas_f64 v[0:1], v[0:1], v[2:3], v[4:5]
	v_div_fixup_f64 v[0:1], v[0:1], v[72:73], v[74:75]
	s_delay_alu instid0(VALU_DEP_1) | instskip(NEXT) | instid1(VALU_DEP_1)
	v_fma_f64 v[2:3], v[74:75], v[0:1], v[72:73]
	v_div_scale_f64 v[4:5], null, v[2:3], v[2:3], 1.0
	s_delay_alu instid0(VALU_DEP_1) | instskip(SKIP_2) | instid1(VALU_DEP_1)
	v_rcp_f64_e32 v[72:73], v[4:5]
	s_waitcnt_depctr 0xfff
	v_fma_f64 v[74:75], -v[4:5], v[72:73], 1.0
	v_fma_f64 v[72:73], v[72:73], v[74:75], v[72:73]
	s_delay_alu instid0(VALU_DEP_1) | instskip(NEXT) | instid1(VALU_DEP_1)
	v_fma_f64 v[74:75], -v[4:5], v[72:73], 1.0
	v_fma_f64 v[72:73], v[72:73], v[74:75], v[72:73]
	v_div_scale_f64 v[74:75], vcc_lo, 1.0, v[2:3], 1.0
	s_delay_alu instid0(VALU_DEP_1) | instskip(NEXT) | instid1(VALU_DEP_1)
	v_mul_f64 v[76:77], v[74:75], v[72:73]
	v_fma_f64 v[4:5], -v[4:5], v[76:77], v[74:75]
	s_delay_alu instid0(VALU_DEP_1) | instskip(NEXT) | instid1(VALU_DEP_1)
	v_div_fmas_f64 v[4:5], v[4:5], v[72:73], v[76:77]
	v_div_fixup_f64 v[4:5], v[4:5], v[2:3], 1.0
	s_delay_alu instid0(VALU_DEP_1)
	v_mul_f64 v[2:3], v[0:1], -v[4:5]
.LBB127_241:
	s_or_b32 exec_lo, exec_lo, s3
	scratch_load_b32 v0, off, off offset:1024 ; 4-byte Folded Reload
	s_waitcnt vmcnt(0)
	ds_store_2addr_b64 v0, v[4:5], v[2:3] offset1:1
.LBB127_242:
	s_or_b32 exec_lo, exec_lo, s4
	s_waitcnt lgkmcnt(0)
	s_barrier
	buffer_gl0_inv
	scratch_load_b32 v0, off, off offset:1024 ; 4-byte Folded Reload
	s_mov_b32 s3, exec_lo
	s_waitcnt vmcnt(0)
	ds_load_2addr_b64 v[72:75], v0 offset1:1
	v_cmpx_lt_u32_e32 18, v254
	s_cbranch_execz .LBB127_245
; %bb.243:
	scratch_load_b128 v[0:3], off, off offset:288
	s_mov_b32 s4, 0
	s_waitcnt vmcnt(0) lgkmcnt(0)
	v_mul_f64 v[4:5], v[74:75], v[2:3]
	v_mul_f64 v[2:3], v[72:73], v[2:3]
	s_delay_alu instid0(VALU_DEP_2) | instskip(NEXT) | instid1(VALU_DEP_2)
	v_fma_f64 v[76:77], v[72:73], v[0:1], -v[4:5]
	v_fma_f64 v[78:79], v[74:75], v[0:1], v[2:3]
	v_mov_b32_e32 v0, 0
	scratch_store_b128 off, v[76:79], off offset:288
.LBB127_244:                            ; =>This Inner Loop Header: Depth=1
	v_add_nc_u32_e32 v5, s4, v6
	v_readfirstlane_b32 s5, v0
	ds_load_2addr_b64 v[1:4], v5 offset1:1
	s_add_i32 s5, s5, s4
	s_addk_i32 s4, 0x50
	s_add_i32 s6, s5, 0x130
	s_waitcnt lgkmcnt(0)
	v_mul_f64 v[80:81], v[3:4], v[78:79]
	s_delay_alu instid0(VALU_DEP_1) | instskip(SKIP_1) | instid1(VALU_DEP_1)
	v_fma_f64 v[80:81], v[1:2], v[76:77], -v[80:81]
	v_mul_f64 v[1:2], v[1:2], v[78:79]
	v_fma_f64 v[82:83], v[3:4], v[76:77], v[1:2]
	scratch_load_b128 v[1:4], off, s6
	s_waitcnt vmcnt(0)
	v_add_f64 v[1:2], v[1:2], -v[80:81]
	v_add_f64 v[3:4], v[3:4], -v[82:83]
	scratch_store_b128 off, v[1:4], s6
	ds_load_2addr_b64 v[1:4], v5 offset0:2 offset1:3
	s_add_i32 s6, s5, 0x140
	s_waitcnt lgkmcnt(0)
	v_mul_f64 v[80:81], v[3:4], v[78:79]
	s_delay_alu instid0(VALU_DEP_1) | instskip(SKIP_1) | instid1(VALU_DEP_1)
	v_fma_f64 v[80:81], v[1:2], v[76:77], -v[80:81]
	v_mul_f64 v[1:2], v[1:2], v[78:79]
	v_fma_f64 v[82:83], v[3:4], v[76:77], v[1:2]
	scratch_load_b128 v[1:4], off, s6
	s_waitcnt vmcnt(0)
	v_add_f64 v[1:2], v[1:2], -v[80:81]
	v_add_f64 v[3:4], v[3:4], -v[82:83]
	scratch_store_b128 off, v[1:4], s6
	ds_load_2addr_b64 v[1:4], v5 offset0:4 offset1:5
	;; [unrolled: 13-line block ×3, first 2 shown]
	s_add_i32 s6, s5, 0x160
	s_addk_i32 s5, 0x170
	s_cmpk_lg_i32 s4, 0x2d0
	s_waitcnt lgkmcnt(0)
	v_mul_f64 v[80:81], v[3:4], v[78:79]
	s_delay_alu instid0(VALU_DEP_1) | instskip(SKIP_1) | instid1(VALU_DEP_1)
	v_fma_f64 v[80:81], v[1:2], v[76:77], -v[80:81]
	v_mul_f64 v[1:2], v[1:2], v[78:79]
	v_fma_f64 v[82:83], v[3:4], v[76:77], v[1:2]
	scratch_load_b128 v[1:4], off, s6
	s_waitcnt vmcnt(0)
	v_add_f64 v[1:2], v[1:2], -v[80:81]
	v_add_f64 v[3:4], v[3:4], -v[82:83]
	scratch_store_b128 off, v[1:4], s6
	ds_load_2addr_b64 v[1:4], v5 offset0:8 offset1:9
	s_waitcnt lgkmcnt(0)
	v_mul_f64 v[80:81], v[3:4], v[78:79]
	s_delay_alu instid0(VALU_DEP_1) | instskip(SKIP_1) | instid1(VALU_DEP_1)
	v_fma_f64 v[80:81], v[1:2], v[76:77], -v[80:81]
	v_mul_f64 v[1:2], v[1:2], v[78:79]
	v_fma_f64 v[82:83], v[3:4], v[76:77], v[1:2]
	scratch_load_b128 v[1:4], off, s5
	s_waitcnt vmcnt(0)
	v_add_f64 v[1:2], v[1:2], -v[80:81]
	v_add_f64 v[3:4], v[3:4], -v[82:83]
	scratch_store_b128 off, v[1:4], s5
	s_cbranch_scc1 .LBB127_244
.LBB127_245:
	s_or_b32 exec_lo, exec_lo, s3
	v_add3_u32 v6, v188, 0, 0x140
	s_mov_b32 s4, exec_lo
	s_waitcnt lgkmcnt(0)
	s_waitcnt_vscnt null, 0x0
	s_barrier
	buffer_gl0_inv
	v_cmpx_eq_u32_e32 19, v254
	s_cbranch_execz .LBB127_254
; %bb.246:
	scratch_load_b32 v0, off, off offset:1212 ; 4-byte Folded Reload
	s_movk_i32 s3, 0xfd40
	s_waitcnt vmcnt(0)
	scratch_load_b128 v[0:3], v0, off
	scratch_load_b32 v4, off, off offset:1024 ; 4-byte Folded Reload
	s_waitcnt vmcnt(0)
	ds_store_2addr_b64 v4, v[0:1], v[2:3] offset1:1
	v_mov_b32_e32 v0, 0
.LBB127_247:                            ; =>This Inner Loop Header: Depth=1
	s_delay_alu instid0(VALU_DEP_1) | instskip(SKIP_1) | instid1(VALU_DEP_2)
	v_readfirstlane_b32 s5, v0
	v_add_nc_u32_e32 v5, s3, v6
	s_add_i32 s5, s5, s3
	s_addk_i32 s3, 0xb0
	s_add_i32 s6, s5, 0x400
	scratch_load_b128 v[1:4], off, s6
	s_add_i32 s6, s5, 0x410
	s_waitcnt vmcnt(0)
	ds_store_2addr_b64 v5, v[1:2], v[3:4] offset0:88 offset1:89
	scratch_load_b128 v[1:4], off, s6
	s_add_i32 s6, s5, 0x420
	s_waitcnt vmcnt(0)
	ds_store_2addr_b64 v5, v[1:2], v[3:4] offset0:90 offset1:91
	;; [unrolled: 4-line block ×8, first 2 shown]
	scratch_load_b128 v[1:4], off, s6
	s_add_i32 s6, s5, 0x490
	s_addk_i32 s5, 0x4a0
	s_cmp_lg_u32 s3, 0
	s_waitcnt vmcnt(0)
	ds_store_2addr_b64 v5, v[1:2], v[3:4] offset0:104 offset1:105
	scratch_load_b128 v[1:4], off, s6
	s_waitcnt vmcnt(0)
	ds_store_2addr_b64 v5, v[1:2], v[3:4] offset0:106 offset1:107
	scratch_load_b128 v[1:4], off, s5
	s_waitcnt vmcnt(0)
	ds_store_2addr_b64 v5, v[1:2], v[3:4] offset0:108 offset1:109
	s_cbranch_scc1 .LBB127_247
; %bb.248:
	scratch_load_b32 v0, off, off offset:1024 ; 4-byte Folded Reload
	s_waitcnt vmcnt(0)
	ds_load_2addr_b64 v[76:79], v0 offset1:1
	s_waitcnt lgkmcnt(0)
	v_cmp_neq_f64_e32 vcc_lo, 0, v[76:77]
	v_cmp_neq_f64_e64 s3, 0, v[78:79]
	s_delay_alu instid0(VALU_DEP_1) | instskip(NEXT) | instid1(SALU_CYCLE_1)
	s_or_b32 s3, vcc_lo, s3
	s_and_b32 exec_lo, exec_lo, s3
	s_cbranch_execz .LBB127_254
; %bb.249:
	v_cmp_gt_f64_e32 vcc_lo, 0, v[76:77]
	v_xor_b32_e32 v0, 0x80000000, v77
	v_xor_b32_e32 v2, 0x80000000, v79
	s_mov_b32 s3, exec_lo
                                        ; implicit-def: $vgpr4_vgpr5
	s_delay_alu instid0(VALU_DEP_2) | instskip(SKIP_4) | instid1(VALU_DEP_1)
	v_cndmask_b32_e32 v1, v77, v0, vcc_lo
	v_cndmask_b32_e32 v0, v76, v76, vcc_lo
	v_cmp_gt_f64_e32 vcc_lo, 0, v[78:79]
	v_cndmask_b32_e32 v3, v79, v2, vcc_lo
	v_cndmask_b32_e32 v2, v78, v78, vcc_lo
	v_cmpx_ngt_f64_e32 v[0:1], v[2:3]
	s_xor_b32 s3, exec_lo, s3
                                        ; implicit-def: $vgpr0_vgpr1_vgpr2_vgpr3
	s_cbranch_execz .LBB127_251
; %bb.250:
	v_div_scale_f64 v[0:1], null, v[78:79], v[78:79], v[76:77]
	v_div_scale_f64 v[80:81], vcc_lo, v[76:77], v[78:79], v[76:77]
	s_delay_alu instid0(VALU_DEP_2) | instskip(SKIP_2) | instid1(VALU_DEP_1)
	v_rcp_f64_e32 v[2:3], v[0:1]
	s_waitcnt_depctr 0xfff
	v_fma_f64 v[4:5], -v[0:1], v[2:3], 1.0
	v_fma_f64 v[2:3], v[2:3], v[4:5], v[2:3]
	s_delay_alu instid0(VALU_DEP_1) | instskip(NEXT) | instid1(VALU_DEP_1)
	v_fma_f64 v[4:5], -v[0:1], v[2:3], 1.0
	v_fma_f64 v[2:3], v[2:3], v[4:5], v[2:3]
	s_delay_alu instid0(VALU_DEP_1) | instskip(NEXT) | instid1(VALU_DEP_1)
	v_mul_f64 v[4:5], v[80:81], v[2:3]
	v_fma_f64 v[0:1], -v[0:1], v[4:5], v[80:81]
	s_delay_alu instid0(VALU_DEP_1) | instskip(NEXT) | instid1(VALU_DEP_1)
	v_div_fmas_f64 v[0:1], v[0:1], v[2:3], v[4:5]
	v_div_fixup_f64 v[0:1], v[0:1], v[78:79], v[76:77]
	s_delay_alu instid0(VALU_DEP_1) | instskip(NEXT) | instid1(VALU_DEP_1)
	v_fma_f64 v[2:3], v[76:77], v[0:1], v[78:79]
	v_div_scale_f64 v[4:5], null, v[2:3], v[2:3], 1.0
	s_delay_alu instid0(VALU_DEP_1) | instskip(SKIP_2) | instid1(VALU_DEP_1)
	v_rcp_f64_e32 v[76:77], v[4:5]
	s_waitcnt_depctr 0xfff
	v_fma_f64 v[78:79], -v[4:5], v[76:77], 1.0
	v_fma_f64 v[76:77], v[76:77], v[78:79], v[76:77]
	s_delay_alu instid0(VALU_DEP_1) | instskip(NEXT) | instid1(VALU_DEP_1)
	v_fma_f64 v[78:79], -v[4:5], v[76:77], 1.0
	v_fma_f64 v[76:77], v[76:77], v[78:79], v[76:77]
	v_div_scale_f64 v[78:79], vcc_lo, 1.0, v[2:3], 1.0
	s_delay_alu instid0(VALU_DEP_1) | instskip(NEXT) | instid1(VALU_DEP_1)
	v_mul_f64 v[80:81], v[78:79], v[76:77]
	v_fma_f64 v[4:5], -v[4:5], v[80:81], v[78:79]
	s_delay_alu instid0(VALU_DEP_1) | instskip(NEXT) | instid1(VALU_DEP_1)
	v_div_fmas_f64 v[4:5], v[4:5], v[76:77], v[80:81]
                                        ; implicit-def: $vgpr76_vgpr77
	v_div_fixup_f64 v[2:3], v[4:5], v[2:3], 1.0
	s_delay_alu instid0(VALU_DEP_1)
	v_mul_f64 v[4:5], v[0:1], v[2:3]
	v_xor_b32_e32 v3, 0x80000000, v3
.LBB127_251:
	s_and_not1_saveexec_b32 s3, s3
	s_cbranch_execz .LBB127_253
; %bb.252:
	v_div_scale_f64 v[0:1], null, v[76:77], v[76:77], v[78:79]
	v_div_scale_f64 v[80:81], vcc_lo, v[78:79], v[76:77], v[78:79]
	s_delay_alu instid0(VALU_DEP_2) | instskip(SKIP_2) | instid1(VALU_DEP_1)
	v_rcp_f64_e32 v[2:3], v[0:1]
	s_waitcnt_depctr 0xfff
	v_fma_f64 v[4:5], -v[0:1], v[2:3], 1.0
	v_fma_f64 v[2:3], v[2:3], v[4:5], v[2:3]
	s_delay_alu instid0(VALU_DEP_1) | instskip(NEXT) | instid1(VALU_DEP_1)
	v_fma_f64 v[4:5], -v[0:1], v[2:3], 1.0
	v_fma_f64 v[2:3], v[2:3], v[4:5], v[2:3]
	s_delay_alu instid0(VALU_DEP_1) | instskip(NEXT) | instid1(VALU_DEP_1)
	v_mul_f64 v[4:5], v[80:81], v[2:3]
	v_fma_f64 v[0:1], -v[0:1], v[4:5], v[80:81]
	s_delay_alu instid0(VALU_DEP_1) | instskip(NEXT) | instid1(VALU_DEP_1)
	v_div_fmas_f64 v[0:1], v[0:1], v[2:3], v[4:5]
	v_div_fixup_f64 v[0:1], v[0:1], v[76:77], v[78:79]
	s_delay_alu instid0(VALU_DEP_1) | instskip(NEXT) | instid1(VALU_DEP_1)
	v_fma_f64 v[2:3], v[78:79], v[0:1], v[76:77]
	v_div_scale_f64 v[4:5], null, v[2:3], v[2:3], 1.0
	s_delay_alu instid0(VALU_DEP_1) | instskip(SKIP_2) | instid1(VALU_DEP_1)
	v_rcp_f64_e32 v[76:77], v[4:5]
	s_waitcnt_depctr 0xfff
	v_fma_f64 v[78:79], -v[4:5], v[76:77], 1.0
	v_fma_f64 v[76:77], v[76:77], v[78:79], v[76:77]
	s_delay_alu instid0(VALU_DEP_1) | instskip(NEXT) | instid1(VALU_DEP_1)
	v_fma_f64 v[78:79], -v[4:5], v[76:77], 1.0
	v_fma_f64 v[76:77], v[76:77], v[78:79], v[76:77]
	v_div_scale_f64 v[78:79], vcc_lo, 1.0, v[2:3], 1.0
	s_delay_alu instid0(VALU_DEP_1) | instskip(NEXT) | instid1(VALU_DEP_1)
	v_mul_f64 v[80:81], v[78:79], v[76:77]
	v_fma_f64 v[4:5], -v[4:5], v[80:81], v[78:79]
	s_delay_alu instid0(VALU_DEP_1) | instskip(NEXT) | instid1(VALU_DEP_1)
	v_div_fmas_f64 v[4:5], v[4:5], v[76:77], v[80:81]
	v_div_fixup_f64 v[4:5], v[4:5], v[2:3], 1.0
	s_delay_alu instid0(VALU_DEP_1)
	v_mul_f64 v[2:3], v[0:1], -v[4:5]
.LBB127_253:
	s_or_b32 exec_lo, exec_lo, s3
	scratch_load_b32 v0, off, off offset:1024 ; 4-byte Folded Reload
	s_waitcnt vmcnt(0)
	ds_store_2addr_b64 v0, v[4:5], v[2:3] offset1:1
.LBB127_254:
	s_or_b32 exec_lo, exec_lo, s4
	s_waitcnt lgkmcnt(0)
	s_barrier
	buffer_gl0_inv
	scratch_load_b32 v0, off, off offset:1024 ; 4-byte Folded Reload
	s_mov_b32 s3, exec_lo
	s_waitcnt vmcnt(0)
	ds_load_2addr_b64 v[76:79], v0 offset1:1
	v_cmpx_lt_u32_e32 19, v254
	s_cbranch_execz .LBB127_257
; %bb.255:
	scratch_load_b128 v[0:3], off, off offset:304
	s_mov_b32 s4, 0
	s_waitcnt vmcnt(0) lgkmcnt(0)
	v_mul_f64 v[4:5], v[78:79], v[2:3]
	v_mul_f64 v[2:3], v[76:77], v[2:3]
	s_delay_alu instid0(VALU_DEP_2) | instskip(NEXT) | instid1(VALU_DEP_2)
	v_fma_f64 v[80:81], v[76:77], v[0:1], -v[4:5]
	v_fma_f64 v[82:83], v[78:79], v[0:1], v[2:3]
	v_mov_b32_e32 v0, 0
	scratch_store_b128 off, v[80:83], off offset:304
.LBB127_256:                            ; =>This Inner Loop Header: Depth=1
	v_add_nc_u32_e32 v5, s4, v6
	v_readfirstlane_b32 s5, v0
	ds_load_2addr_b64 v[1:4], v5 offset1:1
	s_add_i32 s5, s5, s4
	s_add_i32 s4, s4, 64
	;; [unrolled: 1-line block ×3, first 2 shown]
	s_waitcnt lgkmcnt(0)
	v_mul_f64 v[84:85], v[3:4], v[82:83]
	s_delay_alu instid0(VALU_DEP_1) | instskip(SKIP_1) | instid1(VALU_DEP_1)
	v_fma_f64 v[84:85], v[1:2], v[80:81], -v[84:85]
	v_mul_f64 v[1:2], v[1:2], v[82:83]
	v_fma_f64 v[86:87], v[3:4], v[80:81], v[1:2]
	scratch_load_b128 v[1:4], off, s6
	s_waitcnt vmcnt(0)
	v_add_f64 v[1:2], v[1:2], -v[84:85]
	v_add_f64 v[3:4], v[3:4], -v[86:87]
	scratch_store_b128 off, v[1:4], s6
	ds_load_2addr_b64 v[1:4], v5 offset0:2 offset1:3
	s_add_i32 s6, s5, 0x150
	s_waitcnt lgkmcnt(0)
	v_mul_f64 v[84:85], v[3:4], v[82:83]
	s_delay_alu instid0(VALU_DEP_1) | instskip(SKIP_1) | instid1(VALU_DEP_1)
	v_fma_f64 v[84:85], v[1:2], v[80:81], -v[84:85]
	v_mul_f64 v[1:2], v[1:2], v[82:83]
	v_fma_f64 v[86:87], v[3:4], v[80:81], v[1:2]
	scratch_load_b128 v[1:4], off, s6
	s_waitcnt vmcnt(0)
	v_add_f64 v[1:2], v[1:2], -v[84:85]
	v_add_f64 v[3:4], v[3:4], -v[86:87]
	scratch_store_b128 off, v[1:4], s6
	ds_load_2addr_b64 v[1:4], v5 offset0:4 offset1:5
	s_add_i32 s6, s5, 0x160
	s_addk_i32 s5, 0x170
	s_cmpk_lg_i32 s4, 0x2c0
	s_waitcnt lgkmcnt(0)
	v_mul_f64 v[84:85], v[3:4], v[82:83]
	s_delay_alu instid0(VALU_DEP_1) | instskip(SKIP_1) | instid1(VALU_DEP_1)
	v_fma_f64 v[84:85], v[1:2], v[80:81], -v[84:85]
	v_mul_f64 v[1:2], v[1:2], v[82:83]
	v_fma_f64 v[86:87], v[3:4], v[80:81], v[1:2]
	scratch_load_b128 v[1:4], off, s6
	s_waitcnt vmcnt(0)
	v_add_f64 v[1:2], v[1:2], -v[84:85]
	v_add_f64 v[3:4], v[3:4], -v[86:87]
	scratch_store_b128 off, v[1:4], s6
	ds_load_2addr_b64 v[1:4], v5 offset0:6 offset1:7
	s_waitcnt lgkmcnt(0)
	v_mul_f64 v[84:85], v[3:4], v[82:83]
	s_delay_alu instid0(VALU_DEP_1) | instskip(SKIP_1) | instid1(VALU_DEP_1)
	v_fma_f64 v[84:85], v[1:2], v[80:81], -v[84:85]
	v_mul_f64 v[1:2], v[1:2], v[82:83]
	v_fma_f64 v[86:87], v[3:4], v[80:81], v[1:2]
	scratch_load_b128 v[1:4], off, s5
	s_waitcnt vmcnt(0)
	v_add_f64 v[1:2], v[1:2], -v[84:85]
	v_add_f64 v[3:4], v[3:4], -v[86:87]
	scratch_store_b128 off, v[1:4], s5
	s_cbranch_scc1 .LBB127_256
.LBB127_257:
	s_or_b32 exec_lo, exec_lo, s3
	v_add3_u32 v6, v188, 0, 0x150
	s_mov_b32 s4, exec_lo
	s_waitcnt lgkmcnt(0)
	s_waitcnt_vscnt null, 0x0
	s_barrier
	buffer_gl0_inv
	v_cmpx_eq_u32_e32 20, v254
	s_cbranch_execz .LBB127_268
; %bb.258:
	scratch_load_b32 v0, off, off offset:1208 ; 4-byte Folded Reload
	s_movk_i32 s3, 0xfd80
	s_waitcnt vmcnt(0)
	scratch_load_b128 v[0:3], v0, off
	scratch_load_b32 v4, off, off offset:1024 ; 4-byte Folded Reload
	s_waitcnt vmcnt(0)
	ds_store_2addr_b64 v4, v[0:1], v[2:3] offset1:1
	v_mov_b32_e32 v0, 0
	s_branch .LBB127_260
.LBB127_259:                            ;   in Loop: Header=BB127_260 Depth=1
	s_add_i32 s6, s5, 0x400
	s_addk_i32 s3, 0x80
	scratch_load_b128 v[2:5], off, s6
	s_add_i32 s6, s5, 0x410
	s_waitcnt vmcnt(0)
	ds_store_2addr_b64 v1, v[2:3], v[4:5] offset0:86 offset1:87
	scratch_load_b128 v[2:5], off, s6
	s_add_i32 s6, s5, 0x420
	s_waitcnt vmcnt(0)
	ds_store_2addr_b64 v1, v[2:3], v[4:5] offset0:88 offset1:89
	scratch_load_b128 v[2:5], off, s6
	s_add_i32 s6, s5, 0x430
	s_addk_i32 s5, 0x440
	s_waitcnt vmcnt(0)
	ds_store_2addr_b64 v1, v[2:3], v[4:5] offset0:90 offset1:91
	scratch_load_b128 v[2:5], off, s6
	s_waitcnt vmcnt(0)
	ds_store_2addr_b64 v1, v[2:3], v[4:5] offset0:92 offset1:93
	scratch_load_b128 v[2:5], off, s5
	s_waitcnt vmcnt(0)
	ds_store_2addr_b64 v1, v[2:3], v[4:5] offset0:94 offset1:95
	s_cbranch_execz .LBB127_262
.LBB127_260:                            ; =>This Inner Loop Header: Depth=1
	s_delay_alu instid0(VALU_DEP_1) | instskip(SKIP_1) | instid1(VALU_DEP_2)
	v_readfirstlane_b32 s5, v0
	v_add_nc_u32_e32 v1, s3, v6
	s_add_i32 s5, s5, s3
	s_delay_alu instid0(SALU_CYCLE_1)
	s_add_i32 s6, s5, 0x3d0
	scratch_load_b128 v[2:5], off, s6
	s_add_i32 s6, s5, 0x3e0
	s_waitcnt vmcnt(0)
	ds_store_2addr_b64 v1, v[2:3], v[4:5] offset0:80 offset1:81
	scratch_load_b128 v[2:5], off, s6
	s_add_i32 s6, s5, 0x3f0
	s_cmp_eq_u32 s3, 0
	s_waitcnt vmcnt(0)
	ds_store_2addr_b64 v1, v[2:3], v[4:5] offset0:82 offset1:83
	scratch_load_b128 v[2:5], off, s6
	s_waitcnt vmcnt(0)
	ds_store_2addr_b64 v1, v[2:3], v[4:5] offset0:84 offset1:85
	s_cbranch_scc0 .LBB127_259
; %bb.261:
                                        ; implicit-def: $sgpr3
.LBB127_262:
	scratch_load_b32 v0, off, off offset:1024 ; 4-byte Folded Reload
	s_waitcnt vmcnt(0)
	ds_load_2addr_b64 v[80:83], v0 offset1:1
	s_waitcnt lgkmcnt(0)
	v_cmp_neq_f64_e32 vcc_lo, 0, v[80:81]
	v_cmp_neq_f64_e64 s3, 0, v[82:83]
	s_delay_alu instid0(VALU_DEP_1) | instskip(NEXT) | instid1(SALU_CYCLE_1)
	s_or_b32 s3, vcc_lo, s3
	s_and_b32 exec_lo, exec_lo, s3
	s_cbranch_execz .LBB127_268
; %bb.263:
	v_cmp_gt_f64_e32 vcc_lo, 0, v[80:81]
	v_xor_b32_e32 v0, 0x80000000, v81
	v_xor_b32_e32 v2, 0x80000000, v83
	s_mov_b32 s3, exec_lo
                                        ; implicit-def: $vgpr4_vgpr5
	s_delay_alu instid0(VALU_DEP_2) | instskip(SKIP_4) | instid1(VALU_DEP_1)
	v_cndmask_b32_e32 v1, v81, v0, vcc_lo
	v_cndmask_b32_e32 v0, v80, v80, vcc_lo
	v_cmp_gt_f64_e32 vcc_lo, 0, v[82:83]
	v_cndmask_b32_e32 v3, v83, v2, vcc_lo
	v_cndmask_b32_e32 v2, v82, v82, vcc_lo
	v_cmpx_ngt_f64_e32 v[0:1], v[2:3]
	s_xor_b32 s3, exec_lo, s3
                                        ; implicit-def: $vgpr0_vgpr1_vgpr2_vgpr3
	s_cbranch_execz .LBB127_265
; %bb.264:
	v_div_scale_f64 v[0:1], null, v[82:83], v[82:83], v[80:81]
	v_div_scale_f64 v[84:85], vcc_lo, v[80:81], v[82:83], v[80:81]
	s_delay_alu instid0(VALU_DEP_2) | instskip(SKIP_2) | instid1(VALU_DEP_1)
	v_rcp_f64_e32 v[2:3], v[0:1]
	s_waitcnt_depctr 0xfff
	v_fma_f64 v[4:5], -v[0:1], v[2:3], 1.0
	v_fma_f64 v[2:3], v[2:3], v[4:5], v[2:3]
	s_delay_alu instid0(VALU_DEP_1) | instskip(NEXT) | instid1(VALU_DEP_1)
	v_fma_f64 v[4:5], -v[0:1], v[2:3], 1.0
	v_fma_f64 v[2:3], v[2:3], v[4:5], v[2:3]
	s_delay_alu instid0(VALU_DEP_1) | instskip(NEXT) | instid1(VALU_DEP_1)
	v_mul_f64 v[4:5], v[84:85], v[2:3]
	v_fma_f64 v[0:1], -v[0:1], v[4:5], v[84:85]
	s_delay_alu instid0(VALU_DEP_1) | instskip(NEXT) | instid1(VALU_DEP_1)
	v_div_fmas_f64 v[0:1], v[0:1], v[2:3], v[4:5]
	v_div_fixup_f64 v[0:1], v[0:1], v[82:83], v[80:81]
	s_delay_alu instid0(VALU_DEP_1) | instskip(NEXT) | instid1(VALU_DEP_1)
	v_fma_f64 v[2:3], v[80:81], v[0:1], v[82:83]
	v_div_scale_f64 v[4:5], null, v[2:3], v[2:3], 1.0
	s_delay_alu instid0(VALU_DEP_1) | instskip(SKIP_2) | instid1(VALU_DEP_1)
	v_rcp_f64_e32 v[80:81], v[4:5]
	s_waitcnt_depctr 0xfff
	v_fma_f64 v[82:83], -v[4:5], v[80:81], 1.0
	v_fma_f64 v[80:81], v[80:81], v[82:83], v[80:81]
	s_delay_alu instid0(VALU_DEP_1) | instskip(NEXT) | instid1(VALU_DEP_1)
	v_fma_f64 v[82:83], -v[4:5], v[80:81], 1.0
	v_fma_f64 v[80:81], v[80:81], v[82:83], v[80:81]
	v_div_scale_f64 v[82:83], vcc_lo, 1.0, v[2:3], 1.0
	s_delay_alu instid0(VALU_DEP_1) | instskip(NEXT) | instid1(VALU_DEP_1)
	v_mul_f64 v[84:85], v[82:83], v[80:81]
	v_fma_f64 v[4:5], -v[4:5], v[84:85], v[82:83]
	s_delay_alu instid0(VALU_DEP_1) | instskip(NEXT) | instid1(VALU_DEP_1)
	v_div_fmas_f64 v[4:5], v[4:5], v[80:81], v[84:85]
                                        ; implicit-def: $vgpr80_vgpr81
	v_div_fixup_f64 v[2:3], v[4:5], v[2:3], 1.0
	s_delay_alu instid0(VALU_DEP_1)
	v_mul_f64 v[4:5], v[0:1], v[2:3]
	v_xor_b32_e32 v3, 0x80000000, v3
.LBB127_265:
	s_and_not1_saveexec_b32 s3, s3
	s_cbranch_execz .LBB127_267
; %bb.266:
	v_div_scale_f64 v[0:1], null, v[80:81], v[80:81], v[82:83]
	v_div_scale_f64 v[84:85], vcc_lo, v[82:83], v[80:81], v[82:83]
	s_delay_alu instid0(VALU_DEP_2) | instskip(SKIP_2) | instid1(VALU_DEP_1)
	v_rcp_f64_e32 v[2:3], v[0:1]
	s_waitcnt_depctr 0xfff
	v_fma_f64 v[4:5], -v[0:1], v[2:3], 1.0
	v_fma_f64 v[2:3], v[2:3], v[4:5], v[2:3]
	s_delay_alu instid0(VALU_DEP_1) | instskip(NEXT) | instid1(VALU_DEP_1)
	v_fma_f64 v[4:5], -v[0:1], v[2:3], 1.0
	v_fma_f64 v[2:3], v[2:3], v[4:5], v[2:3]
	s_delay_alu instid0(VALU_DEP_1) | instskip(NEXT) | instid1(VALU_DEP_1)
	v_mul_f64 v[4:5], v[84:85], v[2:3]
	v_fma_f64 v[0:1], -v[0:1], v[4:5], v[84:85]
	s_delay_alu instid0(VALU_DEP_1) | instskip(NEXT) | instid1(VALU_DEP_1)
	v_div_fmas_f64 v[0:1], v[0:1], v[2:3], v[4:5]
	v_div_fixup_f64 v[0:1], v[0:1], v[80:81], v[82:83]
	s_delay_alu instid0(VALU_DEP_1) | instskip(NEXT) | instid1(VALU_DEP_1)
	v_fma_f64 v[2:3], v[82:83], v[0:1], v[80:81]
	v_div_scale_f64 v[4:5], null, v[2:3], v[2:3], 1.0
	s_delay_alu instid0(VALU_DEP_1) | instskip(SKIP_2) | instid1(VALU_DEP_1)
	v_rcp_f64_e32 v[80:81], v[4:5]
	s_waitcnt_depctr 0xfff
	v_fma_f64 v[82:83], -v[4:5], v[80:81], 1.0
	v_fma_f64 v[80:81], v[80:81], v[82:83], v[80:81]
	s_delay_alu instid0(VALU_DEP_1) | instskip(NEXT) | instid1(VALU_DEP_1)
	v_fma_f64 v[82:83], -v[4:5], v[80:81], 1.0
	v_fma_f64 v[80:81], v[80:81], v[82:83], v[80:81]
	v_div_scale_f64 v[82:83], vcc_lo, 1.0, v[2:3], 1.0
	s_delay_alu instid0(VALU_DEP_1) | instskip(NEXT) | instid1(VALU_DEP_1)
	v_mul_f64 v[84:85], v[82:83], v[80:81]
	v_fma_f64 v[4:5], -v[4:5], v[84:85], v[82:83]
	s_delay_alu instid0(VALU_DEP_1) | instskip(NEXT) | instid1(VALU_DEP_1)
	v_div_fmas_f64 v[4:5], v[4:5], v[80:81], v[84:85]
	v_div_fixup_f64 v[4:5], v[4:5], v[2:3], 1.0
	s_delay_alu instid0(VALU_DEP_1)
	v_mul_f64 v[2:3], v[0:1], -v[4:5]
.LBB127_267:
	s_or_b32 exec_lo, exec_lo, s3
	scratch_load_b32 v0, off, off offset:1024 ; 4-byte Folded Reload
	s_waitcnt vmcnt(0)
	ds_store_2addr_b64 v0, v[4:5], v[2:3] offset1:1
.LBB127_268:
	s_or_b32 exec_lo, exec_lo, s4
	s_waitcnt lgkmcnt(0)
	s_barrier
	buffer_gl0_inv
	scratch_load_b32 v0, off, off offset:1024 ; 4-byte Folded Reload
	s_mov_b32 s3, exec_lo
	s_waitcnt vmcnt(0)
	ds_load_2addr_b64 v[80:83], v0 offset1:1
	v_cmpx_lt_u32_e32 20, v254
	s_cbranch_execz .LBB127_273
; %bb.269:
	scratch_load_b128 v[0:3], off, off offset:320
	s_mov_b32 s4, 0
	s_waitcnt vmcnt(0) lgkmcnt(0)
	v_mul_f64 v[4:5], v[82:83], v[2:3]
	v_mul_f64 v[2:3], v[80:81], v[2:3]
	s_delay_alu instid0(VALU_DEP_2) | instskip(NEXT) | instid1(VALU_DEP_2)
	v_fma_f64 v[84:85], v[80:81], v[0:1], -v[4:5]
	v_fma_f64 v[86:87], v[82:83], v[0:1], v[2:3]
	v_mov_b32_e32 v0, 0
	scratch_store_b128 off, v[84:87], off offset:320
	s_branch .LBB127_271
.LBB127_270:                            ;   in Loop: Header=BB127_271 Depth=1
	s_and_not1_b32 vcc_lo, exec_lo, s6
	s_cbranch_vccz .LBB127_273
.LBB127_271:                            ; =>This Inner Loop Header: Depth=1
	v_add_nc_u32_e32 v1, s4, v6
	v_readfirstlane_b32 s5, v0
	ds_load_2addr_b64 v[2:5], v1 offset1:1
	s_add_i32 s5, s5, s4
	s_delay_alu instid0(SALU_CYCLE_1) | instskip(SKIP_2) | instid1(VALU_DEP_1)
	s_add_i32 s6, s5, 0x150
	s_waitcnt lgkmcnt(0)
	v_mul_f64 v[88:89], v[4:5], v[86:87]
	v_fma_f64 v[88:89], v[2:3], v[84:85], -v[88:89]
	v_mul_f64 v[2:3], v[2:3], v[86:87]
	s_delay_alu instid0(VALU_DEP_1)
	v_fma_f64 v[90:91], v[4:5], v[84:85], v[2:3]
	scratch_load_b128 v[2:5], off, s6
	s_waitcnt vmcnt(0)
	v_add_f64 v[2:3], v[2:3], -v[88:89]
	v_add_f64 v[4:5], v[4:5], -v[90:91]
	scratch_store_b128 off, v[2:5], s6
	ds_load_2addr_b64 v[2:5], v1 offset0:2 offset1:3
	s_add_i32 s6, s5, 0x160
	s_waitcnt lgkmcnt(0)
	v_mul_f64 v[88:89], v[4:5], v[86:87]
	s_delay_alu instid0(VALU_DEP_1) | instskip(SKIP_1) | instid1(VALU_DEP_1)
	v_fma_f64 v[88:89], v[2:3], v[84:85], -v[88:89]
	v_mul_f64 v[2:3], v[2:3], v[86:87]
	v_fma_f64 v[90:91], v[4:5], v[84:85], v[2:3]
	scratch_load_b128 v[2:5], off, s6
	s_waitcnt vmcnt(0)
	v_add_f64 v[2:3], v[2:3], -v[88:89]
	v_add_f64 v[4:5], v[4:5], -v[90:91]
	scratch_store_b128 off, v[2:5], s6
	ds_load_2addr_b64 v[2:5], v1 offset0:4 offset1:5
	s_add_i32 s6, s5, 0x170
	s_cmpk_eq_i32 s4, 0x280
	s_waitcnt lgkmcnt(0)
	v_mul_f64 v[88:89], v[4:5], v[86:87]
	s_delay_alu instid0(VALU_DEP_1) | instskip(SKIP_1) | instid1(VALU_DEP_1)
	v_fma_f64 v[88:89], v[2:3], v[84:85], -v[88:89]
	v_mul_f64 v[2:3], v[2:3], v[86:87]
	v_fma_f64 v[90:91], v[4:5], v[84:85], v[2:3]
	scratch_load_b128 v[2:5], off, s6
	s_waitcnt vmcnt(0)
	v_add_f64 v[2:3], v[2:3], -v[88:89]
	v_add_f64 v[4:5], v[4:5], -v[90:91]
	scratch_store_b128 off, v[2:5], s6
	s_mov_b32 s6, -1
	s_cbranch_scc1 .LBB127_270
; %bb.272:                              ;   in Loop: Header=BB127_271 Depth=1
	ds_load_2addr_b64 v[1:4], v1 offset0:6 offset1:7
	s_addk_i32 s5, 0x180
	s_add_i32 s4, s4, 64
	s_mov_b32 s6, 0
	s_waitcnt lgkmcnt(0)
	v_mul_f64 v[88:89], v[3:4], v[86:87]
	s_delay_alu instid0(VALU_DEP_1) | instskip(SKIP_1) | instid1(VALU_DEP_1)
	v_fma_f64 v[88:89], v[1:2], v[84:85], -v[88:89]
	v_mul_f64 v[1:2], v[1:2], v[86:87]
	v_fma_f64 v[90:91], v[3:4], v[84:85], v[1:2]
	scratch_load_b128 v[1:4], off, s5
	s_waitcnt vmcnt(0)
	v_add_f64 v[1:2], v[1:2], -v[88:89]
	v_add_f64 v[3:4], v[3:4], -v[90:91]
	scratch_store_b128 off, v[1:4], s5
	s_branch .LBB127_270
.LBB127_273:
	s_or_b32 exec_lo, exec_lo, s3
	v_add3_u32 v6, v188, 0, 0x160
	s_mov_b32 s4, exec_lo
	s_waitcnt lgkmcnt(0)
	s_waitcnt_vscnt null, 0x0
	s_barrier
	buffer_gl0_inv
	v_cmpx_eq_u32_e32 21, v254
	s_cbranch_execz .LBB127_282
; %bb.274:
	scratch_load_b32 v0, off, off offset:1204 ; 4-byte Folded Reload
	s_movk_i32 s3, 0xfd60
	s_waitcnt vmcnt(0)
	scratch_load_b128 v[0:3], v0, off
	scratch_load_b32 v4, off, off offset:1024 ; 4-byte Folded Reload
	s_waitcnt vmcnt(0)
	ds_store_2addr_b64 v4, v[0:1], v[2:3] offset1:1
	v_mov_b32_e32 v0, 0
.LBB127_275:                            ; =>This Inner Loop Header: Depth=1
	s_delay_alu instid0(VALU_DEP_1) | instskip(SKIP_1) | instid1(VALU_DEP_2)
	v_readfirstlane_b32 s5, v0
	v_add_nc_u32_e32 v5, s3, v6
	s_add_i32 s5, s5, s3
	s_addk_i32 s3, 0xe0
	s_add_i32 s6, s5, 0x400
	scratch_load_b128 v[1:4], off, s6
	s_add_i32 s6, s5, 0x410
	s_waitcnt vmcnt(0)
	ds_store_2addr_b64 v5, v[1:2], v[3:4] offset0:84 offset1:85
	scratch_load_b128 v[1:4], off, s6
	s_add_i32 s6, s5, 0x420
	s_waitcnt vmcnt(0)
	ds_store_2addr_b64 v5, v[1:2], v[3:4] offset0:86 offset1:87
	;; [unrolled: 4-line block ×11, first 2 shown]
	scratch_load_b128 v[1:4], off, s6
	s_add_i32 s6, s5, 0x4c0
	s_addk_i32 s5, 0x4d0
	s_cmp_lg_u32 s3, 0
	s_waitcnt vmcnt(0)
	ds_store_2addr_b64 v5, v[1:2], v[3:4] offset0:106 offset1:107
	scratch_load_b128 v[1:4], off, s6
	s_waitcnt vmcnt(0)
	ds_store_2addr_b64 v5, v[1:2], v[3:4] offset0:108 offset1:109
	scratch_load_b128 v[1:4], off, s5
	s_waitcnt vmcnt(0)
	ds_store_2addr_b64 v5, v[1:2], v[3:4] offset0:110 offset1:111
	s_cbranch_scc1 .LBB127_275
; %bb.276:
	scratch_load_b32 v0, off, off offset:1024 ; 4-byte Folded Reload
	s_waitcnt vmcnt(0)
	ds_load_2addr_b64 v[84:87], v0 offset1:1
	s_waitcnt lgkmcnt(0)
	v_cmp_neq_f64_e32 vcc_lo, 0, v[84:85]
	v_cmp_neq_f64_e64 s3, 0, v[86:87]
	s_delay_alu instid0(VALU_DEP_1) | instskip(NEXT) | instid1(SALU_CYCLE_1)
	s_or_b32 s3, vcc_lo, s3
	s_and_b32 exec_lo, exec_lo, s3
	s_cbranch_execz .LBB127_282
; %bb.277:
	v_cmp_gt_f64_e32 vcc_lo, 0, v[84:85]
	v_xor_b32_e32 v0, 0x80000000, v85
	v_xor_b32_e32 v2, 0x80000000, v87
	s_mov_b32 s3, exec_lo
                                        ; implicit-def: $vgpr4_vgpr5
	s_delay_alu instid0(VALU_DEP_2) | instskip(SKIP_4) | instid1(VALU_DEP_1)
	v_cndmask_b32_e32 v1, v85, v0, vcc_lo
	v_cndmask_b32_e32 v0, v84, v84, vcc_lo
	v_cmp_gt_f64_e32 vcc_lo, 0, v[86:87]
	v_cndmask_b32_e32 v3, v87, v2, vcc_lo
	v_cndmask_b32_e32 v2, v86, v86, vcc_lo
	v_cmpx_ngt_f64_e32 v[0:1], v[2:3]
	s_xor_b32 s3, exec_lo, s3
                                        ; implicit-def: $vgpr0_vgpr1_vgpr2_vgpr3
	s_cbranch_execz .LBB127_279
; %bb.278:
	v_div_scale_f64 v[0:1], null, v[86:87], v[86:87], v[84:85]
	v_div_scale_f64 v[88:89], vcc_lo, v[84:85], v[86:87], v[84:85]
	s_delay_alu instid0(VALU_DEP_2) | instskip(SKIP_2) | instid1(VALU_DEP_1)
	v_rcp_f64_e32 v[2:3], v[0:1]
	s_waitcnt_depctr 0xfff
	v_fma_f64 v[4:5], -v[0:1], v[2:3], 1.0
	v_fma_f64 v[2:3], v[2:3], v[4:5], v[2:3]
	s_delay_alu instid0(VALU_DEP_1) | instskip(NEXT) | instid1(VALU_DEP_1)
	v_fma_f64 v[4:5], -v[0:1], v[2:3], 1.0
	v_fma_f64 v[2:3], v[2:3], v[4:5], v[2:3]
	s_delay_alu instid0(VALU_DEP_1) | instskip(NEXT) | instid1(VALU_DEP_1)
	v_mul_f64 v[4:5], v[88:89], v[2:3]
	v_fma_f64 v[0:1], -v[0:1], v[4:5], v[88:89]
	s_delay_alu instid0(VALU_DEP_1) | instskip(NEXT) | instid1(VALU_DEP_1)
	v_div_fmas_f64 v[0:1], v[0:1], v[2:3], v[4:5]
	v_div_fixup_f64 v[0:1], v[0:1], v[86:87], v[84:85]
	s_delay_alu instid0(VALU_DEP_1) | instskip(NEXT) | instid1(VALU_DEP_1)
	v_fma_f64 v[2:3], v[84:85], v[0:1], v[86:87]
	v_div_scale_f64 v[4:5], null, v[2:3], v[2:3], 1.0
	s_delay_alu instid0(VALU_DEP_1) | instskip(SKIP_2) | instid1(VALU_DEP_1)
	v_rcp_f64_e32 v[84:85], v[4:5]
	s_waitcnt_depctr 0xfff
	v_fma_f64 v[86:87], -v[4:5], v[84:85], 1.0
	v_fma_f64 v[84:85], v[84:85], v[86:87], v[84:85]
	s_delay_alu instid0(VALU_DEP_1) | instskip(NEXT) | instid1(VALU_DEP_1)
	v_fma_f64 v[86:87], -v[4:5], v[84:85], 1.0
	v_fma_f64 v[84:85], v[84:85], v[86:87], v[84:85]
	v_div_scale_f64 v[86:87], vcc_lo, 1.0, v[2:3], 1.0
	s_delay_alu instid0(VALU_DEP_1) | instskip(NEXT) | instid1(VALU_DEP_1)
	v_mul_f64 v[88:89], v[86:87], v[84:85]
	v_fma_f64 v[4:5], -v[4:5], v[88:89], v[86:87]
	s_delay_alu instid0(VALU_DEP_1) | instskip(NEXT) | instid1(VALU_DEP_1)
	v_div_fmas_f64 v[4:5], v[4:5], v[84:85], v[88:89]
                                        ; implicit-def: $vgpr84_vgpr85
	v_div_fixup_f64 v[2:3], v[4:5], v[2:3], 1.0
	s_delay_alu instid0(VALU_DEP_1)
	v_mul_f64 v[4:5], v[0:1], v[2:3]
	v_xor_b32_e32 v3, 0x80000000, v3
.LBB127_279:
	s_and_not1_saveexec_b32 s3, s3
	s_cbranch_execz .LBB127_281
; %bb.280:
	v_div_scale_f64 v[0:1], null, v[84:85], v[84:85], v[86:87]
	v_div_scale_f64 v[88:89], vcc_lo, v[86:87], v[84:85], v[86:87]
	s_delay_alu instid0(VALU_DEP_2) | instskip(SKIP_2) | instid1(VALU_DEP_1)
	v_rcp_f64_e32 v[2:3], v[0:1]
	s_waitcnt_depctr 0xfff
	v_fma_f64 v[4:5], -v[0:1], v[2:3], 1.0
	v_fma_f64 v[2:3], v[2:3], v[4:5], v[2:3]
	s_delay_alu instid0(VALU_DEP_1) | instskip(NEXT) | instid1(VALU_DEP_1)
	v_fma_f64 v[4:5], -v[0:1], v[2:3], 1.0
	v_fma_f64 v[2:3], v[2:3], v[4:5], v[2:3]
	s_delay_alu instid0(VALU_DEP_1) | instskip(NEXT) | instid1(VALU_DEP_1)
	v_mul_f64 v[4:5], v[88:89], v[2:3]
	v_fma_f64 v[0:1], -v[0:1], v[4:5], v[88:89]
	s_delay_alu instid0(VALU_DEP_1) | instskip(NEXT) | instid1(VALU_DEP_1)
	v_div_fmas_f64 v[0:1], v[0:1], v[2:3], v[4:5]
	v_div_fixup_f64 v[0:1], v[0:1], v[84:85], v[86:87]
	s_delay_alu instid0(VALU_DEP_1) | instskip(NEXT) | instid1(VALU_DEP_1)
	v_fma_f64 v[2:3], v[86:87], v[0:1], v[84:85]
	v_div_scale_f64 v[4:5], null, v[2:3], v[2:3], 1.0
	s_delay_alu instid0(VALU_DEP_1) | instskip(SKIP_2) | instid1(VALU_DEP_1)
	v_rcp_f64_e32 v[84:85], v[4:5]
	s_waitcnt_depctr 0xfff
	v_fma_f64 v[86:87], -v[4:5], v[84:85], 1.0
	v_fma_f64 v[84:85], v[84:85], v[86:87], v[84:85]
	s_delay_alu instid0(VALU_DEP_1) | instskip(NEXT) | instid1(VALU_DEP_1)
	v_fma_f64 v[86:87], -v[4:5], v[84:85], 1.0
	v_fma_f64 v[84:85], v[84:85], v[86:87], v[84:85]
	v_div_scale_f64 v[86:87], vcc_lo, 1.0, v[2:3], 1.0
	s_delay_alu instid0(VALU_DEP_1) | instskip(NEXT) | instid1(VALU_DEP_1)
	v_mul_f64 v[88:89], v[86:87], v[84:85]
	v_fma_f64 v[4:5], -v[4:5], v[88:89], v[86:87]
	s_delay_alu instid0(VALU_DEP_1) | instskip(NEXT) | instid1(VALU_DEP_1)
	v_div_fmas_f64 v[4:5], v[4:5], v[84:85], v[88:89]
	v_div_fixup_f64 v[4:5], v[4:5], v[2:3], 1.0
	s_delay_alu instid0(VALU_DEP_1)
	v_mul_f64 v[2:3], v[0:1], -v[4:5]
.LBB127_281:
	s_or_b32 exec_lo, exec_lo, s3
	scratch_load_b32 v0, off, off offset:1024 ; 4-byte Folded Reload
	s_waitcnt vmcnt(0)
	ds_store_2addr_b64 v0, v[4:5], v[2:3] offset1:1
.LBB127_282:
	s_or_b32 exec_lo, exec_lo, s4
	s_waitcnt lgkmcnt(0)
	s_barrier
	buffer_gl0_inv
	scratch_load_b32 v0, off, off offset:1024 ; 4-byte Folded Reload
	s_mov_b32 s3, exec_lo
	s_waitcnt vmcnt(0)
	ds_load_2addr_b64 v[84:87], v0 offset1:1
	v_cmpx_lt_u32_e32 21, v254
	s_cbranch_execz .LBB127_285
; %bb.283:
	scratch_load_b128 v[0:3], off, off offset:336
	s_mov_b32 s4, 0
	s_waitcnt vmcnt(0) lgkmcnt(0)
	v_mul_f64 v[4:5], v[86:87], v[2:3]
	v_mul_f64 v[2:3], v[84:85], v[2:3]
	s_delay_alu instid0(VALU_DEP_2) | instskip(NEXT) | instid1(VALU_DEP_2)
	v_fma_f64 v[88:89], v[84:85], v[0:1], -v[4:5]
	v_fma_f64 v[90:91], v[86:87], v[0:1], v[2:3]
	v_mov_b32_e32 v0, 0
	scratch_store_b128 off, v[88:91], off offset:336
.LBB127_284:                            ; =>This Inner Loop Header: Depth=1
	v_add_nc_u32_e32 v5, s4, v6
	v_readfirstlane_b32 s5, v0
	ds_load_2addr_b64 v[1:4], v5 offset1:1
	s_add_i32 s5, s5, s4
	s_addk_i32 s4, 0x70
	s_add_i32 s6, s5, 0x160
	s_waitcnt lgkmcnt(0)
	v_mul_f64 v[92:93], v[3:4], v[90:91]
	s_delay_alu instid0(VALU_DEP_1) | instskip(SKIP_1) | instid1(VALU_DEP_1)
	v_fma_f64 v[92:93], v[1:2], v[88:89], -v[92:93]
	v_mul_f64 v[1:2], v[1:2], v[90:91]
	v_fma_f64 v[94:95], v[3:4], v[88:89], v[1:2]
	scratch_load_b128 v[1:4], off, s6
	s_waitcnt vmcnt(0)
	v_add_f64 v[1:2], v[1:2], -v[92:93]
	v_add_f64 v[3:4], v[3:4], -v[94:95]
	scratch_store_b128 off, v[1:4], s6
	ds_load_2addr_b64 v[1:4], v5 offset0:2 offset1:3
	s_add_i32 s6, s5, 0x170
	s_waitcnt lgkmcnt(0)
	v_mul_f64 v[92:93], v[3:4], v[90:91]
	s_delay_alu instid0(VALU_DEP_1) | instskip(SKIP_1) | instid1(VALU_DEP_1)
	v_fma_f64 v[92:93], v[1:2], v[88:89], -v[92:93]
	v_mul_f64 v[1:2], v[1:2], v[90:91]
	v_fma_f64 v[94:95], v[3:4], v[88:89], v[1:2]
	scratch_load_b128 v[1:4], off, s6
	s_waitcnt vmcnt(0)
	v_add_f64 v[1:2], v[1:2], -v[92:93]
	v_add_f64 v[3:4], v[3:4], -v[94:95]
	scratch_store_b128 off, v[1:4], s6
	ds_load_2addr_b64 v[1:4], v5 offset0:4 offset1:5
	;; [unrolled: 13-line block ×5, first 2 shown]
	s_add_i32 s6, s5, 0x1b0
	s_addk_i32 s5, 0x1c0
	s_cmpk_lg_i32 s4, 0x2a0
	s_waitcnt lgkmcnt(0)
	v_mul_f64 v[92:93], v[3:4], v[90:91]
	s_delay_alu instid0(VALU_DEP_1) | instskip(SKIP_1) | instid1(VALU_DEP_1)
	v_fma_f64 v[92:93], v[1:2], v[88:89], -v[92:93]
	v_mul_f64 v[1:2], v[1:2], v[90:91]
	v_fma_f64 v[88:89], v[3:4], v[88:89], v[1:2]
	scratch_load_b128 v[1:4], off, s6
	s_waitcnt vmcnt(0)
	v_add_f64 v[3:4], v[3:4], -v[88:89]
	scratch_load_b128 v[88:91], off, off offset:336
	v_add_f64 v[1:2], v[1:2], -v[92:93]
	scratch_store_b128 off, v[1:4], s6
	ds_load_2addr_b64 v[1:4], v5 offset0:12 offset1:13
	s_waitcnt vmcnt(0) lgkmcnt(0)
	v_mul_f64 v[92:93], v[3:4], v[90:91]
	s_delay_alu instid0(VALU_DEP_1) | instskip(SKIP_1) | instid1(VALU_DEP_1)
	v_fma_f64 v[92:93], v[1:2], v[88:89], -v[92:93]
	v_mul_f64 v[1:2], v[1:2], v[90:91]
	v_fma_f64 v[94:95], v[3:4], v[88:89], v[1:2]
	scratch_load_b128 v[1:4], off, s5
	s_waitcnt vmcnt(0)
	v_add_f64 v[1:2], v[1:2], -v[92:93]
	v_add_f64 v[3:4], v[3:4], -v[94:95]
	scratch_store_b128 off, v[1:4], s5
	s_cbranch_scc1 .LBB127_284
.LBB127_285:
	s_or_b32 exec_lo, exec_lo, s3
	v_add3_u32 v6, v188, 0, 0x170
	s_mov_b32 s4, exec_lo
	s_waitcnt lgkmcnt(0)
	s_waitcnt_vscnt null, 0x0
	s_barrier
	buffer_gl0_inv
	v_cmpx_eq_u32_e32 22, v254
	s_cbranch_execz .LBB127_296
; %bb.286:
	scratch_load_b32 v0, off, off offset:1200 ; 4-byte Folded Reload
	s_movk_i32 s3, 0xfd80
	s_waitcnt vmcnt(0)
	scratch_load_b128 v[0:3], v0, off
	scratch_load_b32 v4, off, off offset:1024 ; 4-byte Folded Reload
	s_waitcnt vmcnt(0)
	ds_store_2addr_b64 v4, v[0:1], v[2:3] offset1:1
	v_mov_b32_e32 v0, 0
	s_branch .LBB127_288
.LBB127_287:                            ;   in Loop: Header=BB127_288 Depth=1
	s_add_i32 s6, s5, 0x400
	s_addk_i32 s3, 0x80
	scratch_load_b128 v[2:5], off, s6
	s_add_i32 s6, s5, 0x410
	s_waitcnt vmcnt(0)
	ds_store_2addr_b64 v1, v[2:3], v[4:5] offset0:82 offset1:83
	scratch_load_b128 v[2:5], off, s6
	s_add_i32 s6, s5, 0x420
	s_waitcnt vmcnt(0)
	ds_store_2addr_b64 v1, v[2:3], v[4:5] offset0:84 offset1:85
	;; [unrolled: 4-line block ×4, first 2 shown]
	scratch_load_b128 v[2:5], off, s6
	s_add_i32 s6, s5, 0x450
	s_addk_i32 s5, 0x460
	s_waitcnt vmcnt(0)
	ds_store_2addr_b64 v1, v[2:3], v[4:5] offset0:90 offset1:91
	scratch_load_b128 v[2:5], off, s6
	s_waitcnt vmcnt(0)
	ds_store_2addr_b64 v1, v[2:3], v[4:5] offset0:92 offset1:93
	scratch_load_b128 v[2:5], off, s5
	s_waitcnt vmcnt(0)
	ds_store_2addr_b64 v1, v[2:3], v[4:5] offset0:94 offset1:95
	s_cbranch_execz .LBB127_290
.LBB127_288:                            ; =>This Inner Loop Header: Depth=1
	s_delay_alu instid0(VALU_DEP_1) | instskip(SKIP_1) | instid1(VALU_DEP_2)
	v_readfirstlane_b32 s5, v0
	v_add_nc_u32_e32 v1, s3, v6
	s_add_i32 s5, s5, s3
	s_delay_alu instid0(SALU_CYCLE_1)
	s_add_i32 s6, s5, 0x3f0
	s_cmp_eq_u32 s3, 0
	scratch_load_b128 v[2:5], off, s6
	s_waitcnt vmcnt(0)
	ds_store_2addr_b64 v1, v[2:3], v[4:5] offset0:80 offset1:81
	s_cbranch_scc0 .LBB127_287
; %bb.289:
                                        ; implicit-def: $sgpr3
.LBB127_290:
	scratch_load_b32 v0, off, off offset:1024 ; 4-byte Folded Reload
	s_waitcnt vmcnt(0)
	ds_load_2addr_b64 v[88:91], v0 offset1:1
	s_waitcnt lgkmcnt(0)
	v_cmp_neq_f64_e32 vcc_lo, 0, v[88:89]
	v_cmp_neq_f64_e64 s3, 0, v[90:91]
	s_delay_alu instid0(VALU_DEP_1) | instskip(NEXT) | instid1(SALU_CYCLE_1)
	s_or_b32 s3, vcc_lo, s3
	s_and_b32 exec_lo, exec_lo, s3
	s_cbranch_execz .LBB127_296
; %bb.291:
	v_cmp_gt_f64_e32 vcc_lo, 0, v[88:89]
	v_xor_b32_e32 v0, 0x80000000, v89
	v_xor_b32_e32 v2, 0x80000000, v91
	s_mov_b32 s3, exec_lo
                                        ; implicit-def: $vgpr4_vgpr5
	s_delay_alu instid0(VALU_DEP_2) | instskip(SKIP_4) | instid1(VALU_DEP_1)
	v_cndmask_b32_e32 v1, v89, v0, vcc_lo
	v_cndmask_b32_e32 v0, v88, v88, vcc_lo
	v_cmp_gt_f64_e32 vcc_lo, 0, v[90:91]
	v_cndmask_b32_e32 v3, v91, v2, vcc_lo
	v_cndmask_b32_e32 v2, v90, v90, vcc_lo
	v_cmpx_ngt_f64_e32 v[0:1], v[2:3]
	s_xor_b32 s3, exec_lo, s3
                                        ; implicit-def: $vgpr0_vgpr1_vgpr2_vgpr3
	s_cbranch_execz .LBB127_293
; %bb.292:
	v_div_scale_f64 v[0:1], null, v[90:91], v[90:91], v[88:89]
	v_div_scale_f64 v[92:93], vcc_lo, v[88:89], v[90:91], v[88:89]
	s_delay_alu instid0(VALU_DEP_2) | instskip(SKIP_2) | instid1(VALU_DEP_1)
	v_rcp_f64_e32 v[2:3], v[0:1]
	s_waitcnt_depctr 0xfff
	v_fma_f64 v[4:5], -v[0:1], v[2:3], 1.0
	v_fma_f64 v[2:3], v[2:3], v[4:5], v[2:3]
	s_delay_alu instid0(VALU_DEP_1) | instskip(NEXT) | instid1(VALU_DEP_1)
	v_fma_f64 v[4:5], -v[0:1], v[2:3], 1.0
	v_fma_f64 v[2:3], v[2:3], v[4:5], v[2:3]
	s_delay_alu instid0(VALU_DEP_1) | instskip(NEXT) | instid1(VALU_DEP_1)
	v_mul_f64 v[4:5], v[92:93], v[2:3]
	v_fma_f64 v[0:1], -v[0:1], v[4:5], v[92:93]
	s_delay_alu instid0(VALU_DEP_1) | instskip(NEXT) | instid1(VALU_DEP_1)
	v_div_fmas_f64 v[0:1], v[0:1], v[2:3], v[4:5]
	v_div_fixup_f64 v[0:1], v[0:1], v[90:91], v[88:89]
	s_delay_alu instid0(VALU_DEP_1) | instskip(NEXT) | instid1(VALU_DEP_1)
	v_fma_f64 v[2:3], v[88:89], v[0:1], v[90:91]
	v_div_scale_f64 v[4:5], null, v[2:3], v[2:3], 1.0
	s_delay_alu instid0(VALU_DEP_1) | instskip(SKIP_2) | instid1(VALU_DEP_1)
	v_rcp_f64_e32 v[88:89], v[4:5]
	s_waitcnt_depctr 0xfff
	v_fma_f64 v[90:91], -v[4:5], v[88:89], 1.0
	v_fma_f64 v[88:89], v[88:89], v[90:91], v[88:89]
	s_delay_alu instid0(VALU_DEP_1) | instskip(NEXT) | instid1(VALU_DEP_1)
	v_fma_f64 v[90:91], -v[4:5], v[88:89], 1.0
	v_fma_f64 v[88:89], v[88:89], v[90:91], v[88:89]
	v_div_scale_f64 v[90:91], vcc_lo, 1.0, v[2:3], 1.0
	s_delay_alu instid0(VALU_DEP_1) | instskip(NEXT) | instid1(VALU_DEP_1)
	v_mul_f64 v[92:93], v[90:91], v[88:89]
	v_fma_f64 v[4:5], -v[4:5], v[92:93], v[90:91]
	s_delay_alu instid0(VALU_DEP_1) | instskip(NEXT) | instid1(VALU_DEP_1)
	v_div_fmas_f64 v[4:5], v[4:5], v[88:89], v[92:93]
                                        ; implicit-def: $vgpr88_vgpr89
	v_div_fixup_f64 v[2:3], v[4:5], v[2:3], 1.0
	s_delay_alu instid0(VALU_DEP_1)
	v_mul_f64 v[4:5], v[0:1], v[2:3]
	v_xor_b32_e32 v3, 0x80000000, v3
.LBB127_293:
	s_and_not1_saveexec_b32 s3, s3
	s_cbranch_execz .LBB127_295
; %bb.294:
	v_div_scale_f64 v[0:1], null, v[88:89], v[88:89], v[90:91]
	v_div_scale_f64 v[92:93], vcc_lo, v[90:91], v[88:89], v[90:91]
	s_delay_alu instid0(VALU_DEP_2) | instskip(SKIP_2) | instid1(VALU_DEP_1)
	v_rcp_f64_e32 v[2:3], v[0:1]
	s_waitcnt_depctr 0xfff
	v_fma_f64 v[4:5], -v[0:1], v[2:3], 1.0
	v_fma_f64 v[2:3], v[2:3], v[4:5], v[2:3]
	s_delay_alu instid0(VALU_DEP_1) | instskip(NEXT) | instid1(VALU_DEP_1)
	v_fma_f64 v[4:5], -v[0:1], v[2:3], 1.0
	v_fma_f64 v[2:3], v[2:3], v[4:5], v[2:3]
	s_delay_alu instid0(VALU_DEP_1) | instskip(NEXT) | instid1(VALU_DEP_1)
	v_mul_f64 v[4:5], v[92:93], v[2:3]
	v_fma_f64 v[0:1], -v[0:1], v[4:5], v[92:93]
	s_delay_alu instid0(VALU_DEP_1) | instskip(NEXT) | instid1(VALU_DEP_1)
	v_div_fmas_f64 v[0:1], v[0:1], v[2:3], v[4:5]
	v_div_fixup_f64 v[0:1], v[0:1], v[88:89], v[90:91]
	s_delay_alu instid0(VALU_DEP_1) | instskip(NEXT) | instid1(VALU_DEP_1)
	v_fma_f64 v[2:3], v[90:91], v[0:1], v[88:89]
	v_div_scale_f64 v[4:5], null, v[2:3], v[2:3], 1.0
	s_delay_alu instid0(VALU_DEP_1) | instskip(SKIP_2) | instid1(VALU_DEP_1)
	v_rcp_f64_e32 v[88:89], v[4:5]
	s_waitcnt_depctr 0xfff
	v_fma_f64 v[90:91], -v[4:5], v[88:89], 1.0
	v_fma_f64 v[88:89], v[88:89], v[90:91], v[88:89]
	s_delay_alu instid0(VALU_DEP_1) | instskip(NEXT) | instid1(VALU_DEP_1)
	v_fma_f64 v[90:91], -v[4:5], v[88:89], 1.0
	v_fma_f64 v[88:89], v[88:89], v[90:91], v[88:89]
	v_div_scale_f64 v[90:91], vcc_lo, 1.0, v[2:3], 1.0
	s_delay_alu instid0(VALU_DEP_1) | instskip(NEXT) | instid1(VALU_DEP_1)
	v_mul_f64 v[92:93], v[90:91], v[88:89]
	v_fma_f64 v[4:5], -v[4:5], v[92:93], v[90:91]
	s_delay_alu instid0(VALU_DEP_1) | instskip(NEXT) | instid1(VALU_DEP_1)
	v_div_fmas_f64 v[4:5], v[4:5], v[88:89], v[92:93]
	v_div_fixup_f64 v[4:5], v[4:5], v[2:3], 1.0
	s_delay_alu instid0(VALU_DEP_1)
	v_mul_f64 v[2:3], v[0:1], -v[4:5]
.LBB127_295:
	s_or_b32 exec_lo, exec_lo, s3
	scratch_load_b32 v0, off, off offset:1024 ; 4-byte Folded Reload
	s_waitcnt vmcnt(0)
	ds_store_2addr_b64 v0, v[4:5], v[2:3] offset1:1
.LBB127_296:
	s_or_b32 exec_lo, exec_lo, s4
	s_waitcnt lgkmcnt(0)
	s_barrier
	buffer_gl0_inv
	scratch_load_b32 v0, off, off offset:1024 ; 4-byte Folded Reload
	s_mov_b32 s3, exec_lo
	s_waitcnt vmcnt(0)
	ds_load_2addr_b64 v[88:91], v0 offset1:1
	v_cmpx_lt_u32_e32 22, v254
	s_cbranch_execz .LBB127_301
; %bb.297:
	scratch_load_b128 v[0:3], off, off offset:352
	s_mov_b32 s4, 0
	s_waitcnt vmcnt(0) lgkmcnt(0)
	v_mul_f64 v[4:5], v[90:91], v[2:3]
	v_mul_f64 v[2:3], v[88:89], v[2:3]
	s_delay_alu instid0(VALU_DEP_2) | instskip(NEXT) | instid1(VALU_DEP_2)
	v_fma_f64 v[92:93], v[88:89], v[0:1], -v[4:5]
	v_fma_f64 v[94:95], v[90:91], v[0:1], v[2:3]
	v_mov_b32_e32 v0, 0
	scratch_store_b128 off, v[92:95], off offset:352
	s_branch .LBB127_299
.LBB127_298:                            ;   in Loop: Header=BB127_299 Depth=1
	s_and_not1_b32 vcc_lo, exec_lo, s6
	s_cbranch_vccz .LBB127_301
.LBB127_299:                            ; =>This Inner Loop Header: Depth=1
	v_add_nc_u32_e32 v1, s4, v6
	v_readfirstlane_b32 s5, v0
	ds_load_2addr_b64 v[2:5], v1 offset1:1
	s_add_i32 s5, s5, s4
	s_delay_alu instid0(SALU_CYCLE_1) | instskip(SKIP_3) | instid1(VALU_DEP_1)
	s_add_i32 s6, s5, 0x170
	s_cmpk_eq_i32 s4, 0x280
	s_waitcnt lgkmcnt(0)
	v_mul_f64 v[96:97], v[4:5], v[94:95]
	v_fma_f64 v[96:97], v[2:3], v[92:93], -v[96:97]
	v_mul_f64 v[2:3], v[2:3], v[94:95]
	s_delay_alu instid0(VALU_DEP_1)
	v_fma_f64 v[98:99], v[4:5], v[92:93], v[2:3]
	scratch_load_b128 v[2:5], off, s6
	s_waitcnt vmcnt(0)
	v_add_f64 v[2:3], v[2:3], -v[96:97]
	v_add_f64 v[4:5], v[4:5], -v[98:99]
	scratch_store_b128 off, v[2:5], s6
	s_mov_b32 s6, -1
	s_cbranch_scc1 .LBB127_298
; %bb.300:                              ;   in Loop: Header=BB127_299 Depth=1
	ds_load_2addr_b64 v[2:5], v1 offset0:2 offset1:3
	s_add_i32 s6, s5, 0x180
	s_add_i32 s4, s4, 64
	s_waitcnt lgkmcnt(0)
	v_mul_f64 v[96:97], v[4:5], v[94:95]
	s_delay_alu instid0(VALU_DEP_1) | instskip(SKIP_1) | instid1(VALU_DEP_1)
	v_fma_f64 v[96:97], v[2:3], v[92:93], -v[96:97]
	v_mul_f64 v[2:3], v[2:3], v[94:95]
	v_fma_f64 v[98:99], v[4:5], v[92:93], v[2:3]
	scratch_load_b128 v[2:5], off, s6
	s_waitcnt vmcnt(0)
	v_add_f64 v[2:3], v[2:3], -v[96:97]
	v_add_f64 v[4:5], v[4:5], -v[98:99]
	scratch_store_b128 off, v[2:5], s6
	ds_load_2addr_b64 v[2:5], v1 offset0:4 offset1:5
	s_add_i32 s6, s5, 0x190
	s_addk_i32 s5, 0x1a0
	s_waitcnt lgkmcnt(0)
	v_mul_f64 v[96:97], v[4:5], v[94:95]
	s_delay_alu instid0(VALU_DEP_1) | instskip(SKIP_1) | instid1(VALU_DEP_1)
	v_fma_f64 v[96:97], v[2:3], v[92:93], -v[96:97]
	v_mul_f64 v[2:3], v[2:3], v[94:95]
	v_fma_f64 v[98:99], v[4:5], v[92:93], v[2:3]
	scratch_load_b128 v[2:5], off, s6
	s_waitcnt vmcnt(0)
	v_add_f64 v[2:3], v[2:3], -v[96:97]
	v_add_f64 v[4:5], v[4:5], -v[98:99]
	scratch_store_b128 off, v[2:5], s6
	ds_load_2addr_b64 v[1:4], v1 offset0:6 offset1:7
	s_mov_b32 s6, 0
	s_waitcnt lgkmcnt(0)
	v_mul_f64 v[96:97], v[3:4], v[94:95]
	s_delay_alu instid0(VALU_DEP_1) | instskip(SKIP_1) | instid1(VALU_DEP_1)
	v_fma_f64 v[96:97], v[1:2], v[92:93], -v[96:97]
	v_mul_f64 v[1:2], v[1:2], v[94:95]
	v_fma_f64 v[98:99], v[3:4], v[92:93], v[1:2]
	scratch_load_b128 v[1:4], off, s5
	s_waitcnt vmcnt(0)
	v_add_f64 v[1:2], v[1:2], -v[96:97]
	v_add_f64 v[3:4], v[3:4], -v[98:99]
	scratch_store_b128 off, v[1:4], s5
	s_branch .LBB127_298
.LBB127_301:
	s_or_b32 exec_lo, exec_lo, s3
	v_add3_u32 v6, v188, 0, 0x180
	s_mov_b32 s4, exec_lo
	s_waitcnt lgkmcnt(0)
	s_waitcnt_vscnt null, 0x0
	s_barrier
	buffer_gl0_inv
	v_cmpx_eq_u32_e32 23, v254
	s_cbranch_execz .LBB127_310
; %bb.302:
	scratch_load_b32 v0, off, off offset:1196 ; 4-byte Folded Reload
	s_movk_i32 s3, 0xfd80
	s_waitcnt vmcnt(0)
	scratch_load_b128 v[0:3], v0, off
	scratch_load_b32 v4, off, off offset:1024 ; 4-byte Folded Reload
	s_waitcnt vmcnt(0)
	ds_store_2addr_b64 v4, v[0:1], v[2:3] offset1:1
	v_mov_b32_e32 v0, 0
.LBB127_303:                            ; =>This Inner Loop Header: Depth=1
	s_delay_alu instid0(VALU_DEP_1) | instskip(SKIP_1) | instid1(VALU_DEP_2)
	v_readfirstlane_b32 s5, v0
	v_add_nc_u32_e32 v5, s3, v6
	s_add_i32 s5, s5, s3
	s_addk_i32 s3, 0xa0
	s_add_i32 s6, s5, 0x400
	scratch_load_b128 v[1:4], off, s6
	s_add_i32 s6, s5, 0x410
	s_waitcnt vmcnt(0)
	ds_store_2addr_b64 v5, v[1:2], v[3:4] offset0:80 offset1:81
	scratch_load_b128 v[1:4], off, s6
	s_add_i32 s6, s5, 0x420
	s_waitcnt vmcnt(0)
	ds_store_2addr_b64 v5, v[1:2], v[3:4] offset0:82 offset1:83
	;; [unrolled: 4-line block ×7, first 2 shown]
	scratch_load_b128 v[1:4], off, s6
	s_add_i32 s6, s5, 0x480
	s_addk_i32 s5, 0x490
	s_cmp_lg_u32 s3, 0
	s_waitcnt vmcnt(0)
	ds_store_2addr_b64 v5, v[1:2], v[3:4] offset0:94 offset1:95
	scratch_load_b128 v[1:4], off, s6
	s_waitcnt vmcnt(0)
	ds_store_2addr_b64 v5, v[1:2], v[3:4] offset0:96 offset1:97
	scratch_load_b128 v[1:4], off, s5
	s_waitcnt vmcnt(0)
	ds_store_2addr_b64 v5, v[1:2], v[3:4] offset0:98 offset1:99
	s_cbranch_scc1 .LBB127_303
; %bb.304:
	scratch_load_b32 v0, off, off offset:1024 ; 4-byte Folded Reload
	s_waitcnt vmcnt(0)
	ds_load_2addr_b64 v[92:95], v0 offset1:1
	s_waitcnt lgkmcnt(0)
	v_cmp_neq_f64_e32 vcc_lo, 0, v[92:93]
	v_cmp_neq_f64_e64 s3, 0, v[94:95]
	s_delay_alu instid0(VALU_DEP_1) | instskip(NEXT) | instid1(SALU_CYCLE_1)
	s_or_b32 s3, vcc_lo, s3
	s_and_b32 exec_lo, exec_lo, s3
	s_cbranch_execz .LBB127_310
; %bb.305:
	v_cmp_gt_f64_e32 vcc_lo, 0, v[92:93]
	v_xor_b32_e32 v0, 0x80000000, v93
	v_xor_b32_e32 v2, 0x80000000, v95
	s_mov_b32 s3, exec_lo
                                        ; implicit-def: $vgpr4_vgpr5
	s_delay_alu instid0(VALU_DEP_2) | instskip(SKIP_4) | instid1(VALU_DEP_1)
	v_cndmask_b32_e32 v1, v93, v0, vcc_lo
	v_cndmask_b32_e32 v0, v92, v92, vcc_lo
	v_cmp_gt_f64_e32 vcc_lo, 0, v[94:95]
	v_cndmask_b32_e32 v3, v95, v2, vcc_lo
	v_cndmask_b32_e32 v2, v94, v94, vcc_lo
	v_cmpx_ngt_f64_e32 v[0:1], v[2:3]
	s_xor_b32 s3, exec_lo, s3
                                        ; implicit-def: $vgpr0_vgpr1_vgpr2_vgpr3
	s_cbranch_execz .LBB127_307
; %bb.306:
	v_div_scale_f64 v[0:1], null, v[94:95], v[94:95], v[92:93]
	v_div_scale_f64 v[96:97], vcc_lo, v[92:93], v[94:95], v[92:93]
	s_delay_alu instid0(VALU_DEP_2) | instskip(SKIP_2) | instid1(VALU_DEP_1)
	v_rcp_f64_e32 v[2:3], v[0:1]
	s_waitcnt_depctr 0xfff
	v_fma_f64 v[4:5], -v[0:1], v[2:3], 1.0
	v_fma_f64 v[2:3], v[2:3], v[4:5], v[2:3]
	s_delay_alu instid0(VALU_DEP_1) | instskip(NEXT) | instid1(VALU_DEP_1)
	v_fma_f64 v[4:5], -v[0:1], v[2:3], 1.0
	v_fma_f64 v[2:3], v[2:3], v[4:5], v[2:3]
	s_delay_alu instid0(VALU_DEP_1) | instskip(NEXT) | instid1(VALU_DEP_1)
	v_mul_f64 v[4:5], v[96:97], v[2:3]
	v_fma_f64 v[0:1], -v[0:1], v[4:5], v[96:97]
	s_delay_alu instid0(VALU_DEP_1) | instskip(NEXT) | instid1(VALU_DEP_1)
	v_div_fmas_f64 v[0:1], v[0:1], v[2:3], v[4:5]
	v_div_fixup_f64 v[0:1], v[0:1], v[94:95], v[92:93]
	s_delay_alu instid0(VALU_DEP_1) | instskip(NEXT) | instid1(VALU_DEP_1)
	v_fma_f64 v[2:3], v[92:93], v[0:1], v[94:95]
	v_div_scale_f64 v[4:5], null, v[2:3], v[2:3], 1.0
	s_delay_alu instid0(VALU_DEP_1) | instskip(SKIP_2) | instid1(VALU_DEP_1)
	v_rcp_f64_e32 v[92:93], v[4:5]
	s_waitcnt_depctr 0xfff
	v_fma_f64 v[94:95], -v[4:5], v[92:93], 1.0
	v_fma_f64 v[92:93], v[92:93], v[94:95], v[92:93]
	s_delay_alu instid0(VALU_DEP_1) | instskip(NEXT) | instid1(VALU_DEP_1)
	v_fma_f64 v[94:95], -v[4:5], v[92:93], 1.0
	v_fma_f64 v[92:93], v[92:93], v[94:95], v[92:93]
	v_div_scale_f64 v[94:95], vcc_lo, 1.0, v[2:3], 1.0
	s_delay_alu instid0(VALU_DEP_1) | instskip(NEXT) | instid1(VALU_DEP_1)
	v_mul_f64 v[96:97], v[94:95], v[92:93]
	v_fma_f64 v[4:5], -v[4:5], v[96:97], v[94:95]
	s_delay_alu instid0(VALU_DEP_1) | instskip(NEXT) | instid1(VALU_DEP_1)
	v_div_fmas_f64 v[4:5], v[4:5], v[92:93], v[96:97]
                                        ; implicit-def: $vgpr92_vgpr93
	v_div_fixup_f64 v[2:3], v[4:5], v[2:3], 1.0
	s_delay_alu instid0(VALU_DEP_1)
	v_mul_f64 v[4:5], v[0:1], v[2:3]
	v_xor_b32_e32 v3, 0x80000000, v3
.LBB127_307:
	s_and_not1_saveexec_b32 s3, s3
	s_cbranch_execz .LBB127_309
; %bb.308:
	v_div_scale_f64 v[0:1], null, v[92:93], v[92:93], v[94:95]
	v_div_scale_f64 v[96:97], vcc_lo, v[94:95], v[92:93], v[94:95]
	s_delay_alu instid0(VALU_DEP_2) | instskip(SKIP_2) | instid1(VALU_DEP_1)
	v_rcp_f64_e32 v[2:3], v[0:1]
	s_waitcnt_depctr 0xfff
	v_fma_f64 v[4:5], -v[0:1], v[2:3], 1.0
	v_fma_f64 v[2:3], v[2:3], v[4:5], v[2:3]
	s_delay_alu instid0(VALU_DEP_1) | instskip(NEXT) | instid1(VALU_DEP_1)
	v_fma_f64 v[4:5], -v[0:1], v[2:3], 1.0
	v_fma_f64 v[2:3], v[2:3], v[4:5], v[2:3]
	s_delay_alu instid0(VALU_DEP_1) | instskip(NEXT) | instid1(VALU_DEP_1)
	v_mul_f64 v[4:5], v[96:97], v[2:3]
	v_fma_f64 v[0:1], -v[0:1], v[4:5], v[96:97]
	s_delay_alu instid0(VALU_DEP_1) | instskip(NEXT) | instid1(VALU_DEP_1)
	v_div_fmas_f64 v[0:1], v[0:1], v[2:3], v[4:5]
	v_div_fixup_f64 v[0:1], v[0:1], v[92:93], v[94:95]
	s_delay_alu instid0(VALU_DEP_1) | instskip(NEXT) | instid1(VALU_DEP_1)
	v_fma_f64 v[2:3], v[94:95], v[0:1], v[92:93]
	v_div_scale_f64 v[4:5], null, v[2:3], v[2:3], 1.0
	s_delay_alu instid0(VALU_DEP_1) | instskip(SKIP_2) | instid1(VALU_DEP_1)
	v_rcp_f64_e32 v[92:93], v[4:5]
	s_waitcnt_depctr 0xfff
	v_fma_f64 v[94:95], -v[4:5], v[92:93], 1.0
	v_fma_f64 v[92:93], v[92:93], v[94:95], v[92:93]
	s_delay_alu instid0(VALU_DEP_1) | instskip(NEXT) | instid1(VALU_DEP_1)
	v_fma_f64 v[94:95], -v[4:5], v[92:93], 1.0
	v_fma_f64 v[92:93], v[92:93], v[94:95], v[92:93]
	v_div_scale_f64 v[94:95], vcc_lo, 1.0, v[2:3], 1.0
	s_delay_alu instid0(VALU_DEP_1) | instskip(NEXT) | instid1(VALU_DEP_1)
	v_mul_f64 v[96:97], v[94:95], v[92:93]
	v_fma_f64 v[4:5], -v[4:5], v[96:97], v[94:95]
	s_delay_alu instid0(VALU_DEP_1) | instskip(NEXT) | instid1(VALU_DEP_1)
	v_div_fmas_f64 v[4:5], v[4:5], v[92:93], v[96:97]
	v_div_fixup_f64 v[4:5], v[4:5], v[2:3], 1.0
	s_delay_alu instid0(VALU_DEP_1)
	v_mul_f64 v[2:3], v[0:1], -v[4:5]
.LBB127_309:
	s_or_b32 exec_lo, exec_lo, s3
	scratch_load_b32 v0, off, off offset:1024 ; 4-byte Folded Reload
	s_waitcnt vmcnt(0)
	ds_store_2addr_b64 v0, v[4:5], v[2:3] offset1:1
.LBB127_310:
	s_or_b32 exec_lo, exec_lo, s4
	s_waitcnt lgkmcnt(0)
	s_barrier
	buffer_gl0_inv
	scratch_load_b32 v0, off, off offset:1024 ; 4-byte Folded Reload
	s_mov_b32 s3, exec_lo
	s_waitcnt vmcnt(0)
	ds_load_2addr_b64 v[92:95], v0 offset1:1
	v_cmpx_lt_u32_e32 23, v254
	s_cbranch_execz .LBB127_313
; %bb.311:
	scratch_load_b128 v[0:3], off, off offset:368
	s_mov_b32 s4, 0
	s_waitcnt vmcnt(0) lgkmcnt(0)
	v_mul_f64 v[4:5], v[94:95], v[2:3]
	v_mul_f64 v[2:3], v[92:93], v[2:3]
	s_delay_alu instid0(VALU_DEP_2) | instskip(NEXT) | instid1(VALU_DEP_2)
	v_fma_f64 v[96:97], v[92:93], v[0:1], -v[4:5]
	v_fma_f64 v[98:99], v[94:95], v[0:1], v[2:3]
	v_mov_b32_e32 v0, 0
	scratch_store_b128 off, v[96:99], off offset:368
.LBB127_312:                            ; =>This Inner Loop Header: Depth=1
	v_add_nc_u32_e32 v5, s4, v6
	v_readfirstlane_b32 s5, v0
	ds_load_2addr_b64 v[1:4], v5 offset1:1
	s_add_i32 s5, s5, s4
	s_addk_i32 s4, 0x50
	s_add_i32 s6, s5, 0x180
	s_waitcnt lgkmcnt(0)
	v_mul_f64 v[100:101], v[3:4], v[98:99]
	s_delay_alu instid0(VALU_DEP_1) | instskip(SKIP_1) | instid1(VALU_DEP_1)
	v_fma_f64 v[100:101], v[1:2], v[96:97], -v[100:101]
	v_mul_f64 v[1:2], v[1:2], v[98:99]
	v_fma_f64 v[102:103], v[3:4], v[96:97], v[1:2]
	scratch_load_b128 v[1:4], off, s6
	s_waitcnt vmcnt(0)
	v_add_f64 v[1:2], v[1:2], -v[100:101]
	v_add_f64 v[3:4], v[3:4], -v[102:103]
	scratch_store_b128 off, v[1:4], s6
	ds_load_2addr_b64 v[1:4], v5 offset0:2 offset1:3
	s_add_i32 s6, s5, 0x190
	s_waitcnt lgkmcnt(0)
	v_mul_f64 v[100:101], v[3:4], v[98:99]
	s_delay_alu instid0(VALU_DEP_1) | instskip(SKIP_1) | instid1(VALU_DEP_1)
	v_fma_f64 v[100:101], v[1:2], v[96:97], -v[100:101]
	v_mul_f64 v[1:2], v[1:2], v[98:99]
	v_fma_f64 v[102:103], v[3:4], v[96:97], v[1:2]
	scratch_load_b128 v[1:4], off, s6
	s_waitcnt vmcnt(0)
	v_add_f64 v[1:2], v[1:2], -v[100:101]
	v_add_f64 v[3:4], v[3:4], -v[102:103]
	scratch_store_b128 off, v[1:4], s6
	ds_load_2addr_b64 v[1:4], v5 offset0:4 offset1:5
	;; [unrolled: 13-line block ×3, first 2 shown]
	s_add_i32 s6, s5, 0x1b0
	s_addk_i32 s5, 0x1c0
	s_cmpk_lg_i32 s4, 0x280
	s_waitcnt lgkmcnt(0)
	v_mul_f64 v[100:101], v[3:4], v[98:99]
	s_delay_alu instid0(VALU_DEP_1) | instskip(SKIP_1) | instid1(VALU_DEP_1)
	v_fma_f64 v[100:101], v[1:2], v[96:97], -v[100:101]
	v_mul_f64 v[1:2], v[1:2], v[98:99]
	v_fma_f64 v[102:103], v[3:4], v[96:97], v[1:2]
	scratch_load_b128 v[1:4], off, s6
	s_waitcnt vmcnt(0)
	v_add_f64 v[1:2], v[1:2], -v[100:101]
	v_add_f64 v[3:4], v[3:4], -v[102:103]
	scratch_store_b128 off, v[1:4], s6
	ds_load_2addr_b64 v[1:4], v5 offset0:8 offset1:9
	s_waitcnt lgkmcnt(0)
	v_mul_f64 v[100:101], v[3:4], v[98:99]
	s_delay_alu instid0(VALU_DEP_1) | instskip(SKIP_1) | instid1(VALU_DEP_1)
	v_fma_f64 v[100:101], v[1:2], v[96:97], -v[100:101]
	v_mul_f64 v[1:2], v[1:2], v[98:99]
	v_fma_f64 v[102:103], v[3:4], v[96:97], v[1:2]
	scratch_load_b128 v[1:4], off, s5
	s_waitcnt vmcnt(0)
	v_add_f64 v[1:2], v[1:2], -v[100:101]
	v_add_f64 v[3:4], v[3:4], -v[102:103]
	scratch_store_b128 off, v[1:4], s5
	s_cbranch_scc1 .LBB127_312
.LBB127_313:
	s_or_b32 exec_lo, exec_lo, s3
	v_add3_u32 v6, v188, 0, 0x190
	s_mov_b32 s4, exec_lo
	s_waitcnt lgkmcnt(0)
	s_waitcnt_vscnt null, 0x0
	s_barrier
	buffer_gl0_inv
	v_cmpx_eq_u32_e32 24, v254
	s_cbranch_execz .LBB127_322
; %bb.314:
	scratch_load_b32 v0, off, off offset:1192 ; 4-byte Folded Reload
	s_movk_i32 s3, 0xfd90
	s_waitcnt vmcnt(0)
	scratch_load_b128 v[0:3], v0, off
	scratch_load_b32 v4, off, off offset:1024 ; 4-byte Folded Reload
	s_waitcnt vmcnt(0)
	ds_store_2addr_b64 v4, v[0:1], v[2:3] offset1:1
	v_mov_b32_e32 v0, 0
.LBB127_315:                            ; =>This Inner Loop Header: Depth=1
	s_delay_alu instid0(VALU_DEP_1) | instskip(SKIP_1) | instid1(VALU_DEP_2)
	v_readfirstlane_b32 s5, v0
	v_add_nc_u32_e32 v5, s3, v6
	s_add_i32 s5, s5, s3
	s_addk_i32 s3, 0xd0
	s_add_i32 s6, s5, 0x400
	scratch_load_b128 v[1:4], off, s6
	s_add_i32 s6, s5, 0x410
	s_waitcnt vmcnt(0)
	ds_store_2addr_b64 v5, v[1:2], v[3:4] offset0:78 offset1:79
	scratch_load_b128 v[1:4], off, s6
	s_add_i32 s6, s5, 0x420
	s_waitcnt vmcnt(0)
	ds_store_2addr_b64 v5, v[1:2], v[3:4] offset0:80 offset1:81
	;; [unrolled: 4-line block ×10, first 2 shown]
	scratch_load_b128 v[1:4], off, s6
	s_add_i32 s6, s5, 0x4b0
	s_addk_i32 s5, 0x4c0
	s_cmp_lg_u32 s3, 0
	s_waitcnt vmcnt(0)
	ds_store_2addr_b64 v5, v[1:2], v[3:4] offset0:98 offset1:99
	scratch_load_b128 v[1:4], off, s6
	s_waitcnt vmcnt(0)
	ds_store_2addr_b64 v5, v[1:2], v[3:4] offset0:100 offset1:101
	scratch_load_b128 v[1:4], off, s5
	s_waitcnt vmcnt(0)
	ds_store_2addr_b64 v5, v[1:2], v[3:4] offset0:102 offset1:103
	s_cbranch_scc1 .LBB127_315
; %bb.316:
	scratch_load_b32 v0, off, off offset:1024 ; 4-byte Folded Reload
	s_waitcnt vmcnt(0)
	ds_load_2addr_b64 v[96:99], v0 offset1:1
	s_waitcnt lgkmcnt(0)
	v_cmp_neq_f64_e32 vcc_lo, 0, v[96:97]
	v_cmp_neq_f64_e64 s3, 0, v[98:99]
	s_delay_alu instid0(VALU_DEP_1) | instskip(NEXT) | instid1(SALU_CYCLE_1)
	s_or_b32 s3, vcc_lo, s3
	s_and_b32 exec_lo, exec_lo, s3
	s_cbranch_execz .LBB127_322
; %bb.317:
	v_cmp_gt_f64_e32 vcc_lo, 0, v[96:97]
	v_xor_b32_e32 v0, 0x80000000, v97
	v_xor_b32_e32 v2, 0x80000000, v99
	s_mov_b32 s3, exec_lo
                                        ; implicit-def: $vgpr4_vgpr5
	s_delay_alu instid0(VALU_DEP_2) | instskip(SKIP_4) | instid1(VALU_DEP_1)
	v_cndmask_b32_e32 v1, v97, v0, vcc_lo
	v_cndmask_b32_e32 v0, v96, v96, vcc_lo
	v_cmp_gt_f64_e32 vcc_lo, 0, v[98:99]
	v_cndmask_b32_e32 v3, v99, v2, vcc_lo
	v_cndmask_b32_e32 v2, v98, v98, vcc_lo
	v_cmpx_ngt_f64_e32 v[0:1], v[2:3]
	s_xor_b32 s3, exec_lo, s3
                                        ; implicit-def: $vgpr0_vgpr1_vgpr2_vgpr3
	s_cbranch_execz .LBB127_319
; %bb.318:
	v_div_scale_f64 v[0:1], null, v[98:99], v[98:99], v[96:97]
	v_div_scale_f64 v[100:101], vcc_lo, v[96:97], v[98:99], v[96:97]
	s_delay_alu instid0(VALU_DEP_2) | instskip(SKIP_2) | instid1(VALU_DEP_1)
	v_rcp_f64_e32 v[2:3], v[0:1]
	s_waitcnt_depctr 0xfff
	v_fma_f64 v[4:5], -v[0:1], v[2:3], 1.0
	v_fma_f64 v[2:3], v[2:3], v[4:5], v[2:3]
	s_delay_alu instid0(VALU_DEP_1) | instskip(NEXT) | instid1(VALU_DEP_1)
	v_fma_f64 v[4:5], -v[0:1], v[2:3], 1.0
	v_fma_f64 v[2:3], v[2:3], v[4:5], v[2:3]
	s_delay_alu instid0(VALU_DEP_1) | instskip(NEXT) | instid1(VALU_DEP_1)
	v_mul_f64 v[4:5], v[100:101], v[2:3]
	v_fma_f64 v[0:1], -v[0:1], v[4:5], v[100:101]
	s_delay_alu instid0(VALU_DEP_1) | instskip(NEXT) | instid1(VALU_DEP_1)
	v_div_fmas_f64 v[0:1], v[0:1], v[2:3], v[4:5]
	v_div_fixup_f64 v[0:1], v[0:1], v[98:99], v[96:97]
	s_delay_alu instid0(VALU_DEP_1) | instskip(NEXT) | instid1(VALU_DEP_1)
	v_fma_f64 v[2:3], v[96:97], v[0:1], v[98:99]
	v_div_scale_f64 v[4:5], null, v[2:3], v[2:3], 1.0
	s_delay_alu instid0(VALU_DEP_1) | instskip(SKIP_2) | instid1(VALU_DEP_1)
	v_rcp_f64_e32 v[96:97], v[4:5]
	s_waitcnt_depctr 0xfff
	v_fma_f64 v[98:99], -v[4:5], v[96:97], 1.0
	v_fma_f64 v[96:97], v[96:97], v[98:99], v[96:97]
	s_delay_alu instid0(VALU_DEP_1) | instskip(NEXT) | instid1(VALU_DEP_1)
	v_fma_f64 v[98:99], -v[4:5], v[96:97], 1.0
	v_fma_f64 v[96:97], v[96:97], v[98:99], v[96:97]
	v_div_scale_f64 v[98:99], vcc_lo, 1.0, v[2:3], 1.0
	s_delay_alu instid0(VALU_DEP_1) | instskip(NEXT) | instid1(VALU_DEP_1)
	v_mul_f64 v[100:101], v[98:99], v[96:97]
	v_fma_f64 v[4:5], -v[4:5], v[100:101], v[98:99]
	s_delay_alu instid0(VALU_DEP_1) | instskip(NEXT) | instid1(VALU_DEP_1)
	v_div_fmas_f64 v[4:5], v[4:5], v[96:97], v[100:101]
                                        ; implicit-def: $vgpr96_vgpr97
	v_div_fixup_f64 v[2:3], v[4:5], v[2:3], 1.0
	s_delay_alu instid0(VALU_DEP_1)
	v_mul_f64 v[4:5], v[0:1], v[2:3]
	v_xor_b32_e32 v3, 0x80000000, v3
.LBB127_319:
	s_and_not1_saveexec_b32 s3, s3
	s_cbranch_execz .LBB127_321
; %bb.320:
	v_div_scale_f64 v[0:1], null, v[96:97], v[96:97], v[98:99]
	v_div_scale_f64 v[100:101], vcc_lo, v[98:99], v[96:97], v[98:99]
	s_delay_alu instid0(VALU_DEP_2) | instskip(SKIP_2) | instid1(VALU_DEP_1)
	v_rcp_f64_e32 v[2:3], v[0:1]
	s_waitcnt_depctr 0xfff
	v_fma_f64 v[4:5], -v[0:1], v[2:3], 1.0
	v_fma_f64 v[2:3], v[2:3], v[4:5], v[2:3]
	s_delay_alu instid0(VALU_DEP_1) | instskip(NEXT) | instid1(VALU_DEP_1)
	v_fma_f64 v[4:5], -v[0:1], v[2:3], 1.0
	v_fma_f64 v[2:3], v[2:3], v[4:5], v[2:3]
	s_delay_alu instid0(VALU_DEP_1) | instskip(NEXT) | instid1(VALU_DEP_1)
	v_mul_f64 v[4:5], v[100:101], v[2:3]
	v_fma_f64 v[0:1], -v[0:1], v[4:5], v[100:101]
	s_delay_alu instid0(VALU_DEP_1) | instskip(NEXT) | instid1(VALU_DEP_1)
	v_div_fmas_f64 v[0:1], v[0:1], v[2:3], v[4:5]
	v_div_fixup_f64 v[0:1], v[0:1], v[96:97], v[98:99]
	s_delay_alu instid0(VALU_DEP_1) | instskip(NEXT) | instid1(VALU_DEP_1)
	v_fma_f64 v[2:3], v[98:99], v[0:1], v[96:97]
	v_div_scale_f64 v[4:5], null, v[2:3], v[2:3], 1.0
	s_delay_alu instid0(VALU_DEP_1) | instskip(SKIP_2) | instid1(VALU_DEP_1)
	v_rcp_f64_e32 v[96:97], v[4:5]
	s_waitcnt_depctr 0xfff
	v_fma_f64 v[98:99], -v[4:5], v[96:97], 1.0
	v_fma_f64 v[96:97], v[96:97], v[98:99], v[96:97]
	s_delay_alu instid0(VALU_DEP_1) | instskip(NEXT) | instid1(VALU_DEP_1)
	v_fma_f64 v[98:99], -v[4:5], v[96:97], 1.0
	v_fma_f64 v[96:97], v[96:97], v[98:99], v[96:97]
	v_div_scale_f64 v[98:99], vcc_lo, 1.0, v[2:3], 1.0
	s_delay_alu instid0(VALU_DEP_1) | instskip(NEXT) | instid1(VALU_DEP_1)
	v_mul_f64 v[100:101], v[98:99], v[96:97]
	v_fma_f64 v[4:5], -v[4:5], v[100:101], v[98:99]
	s_delay_alu instid0(VALU_DEP_1) | instskip(NEXT) | instid1(VALU_DEP_1)
	v_div_fmas_f64 v[4:5], v[4:5], v[96:97], v[100:101]
	v_div_fixup_f64 v[4:5], v[4:5], v[2:3], 1.0
	s_delay_alu instid0(VALU_DEP_1)
	v_mul_f64 v[2:3], v[0:1], -v[4:5]
.LBB127_321:
	s_or_b32 exec_lo, exec_lo, s3
	scratch_load_b32 v0, off, off offset:1024 ; 4-byte Folded Reload
	s_waitcnt vmcnt(0)
	ds_store_2addr_b64 v0, v[4:5], v[2:3] offset1:1
.LBB127_322:
	s_or_b32 exec_lo, exec_lo, s4
	s_waitcnt lgkmcnt(0)
	s_barrier
	buffer_gl0_inv
	scratch_load_b32 v0, off, off offset:1024 ; 4-byte Folded Reload
	s_mov_b32 s3, exec_lo
	s_waitcnt vmcnt(0)
	ds_load_2addr_b64 v[96:99], v0 offset1:1
	v_cmpx_lt_u32_e32 24, v254
	s_cbranch_execz .LBB127_325
; %bb.323:
	scratch_load_b128 v[0:3], off, off offset:384
	s_mov_b32 s4, 0
	s_waitcnt vmcnt(0) lgkmcnt(0)
	v_mul_f64 v[4:5], v[98:99], v[2:3]
	v_mul_f64 v[2:3], v[96:97], v[2:3]
	s_delay_alu instid0(VALU_DEP_2) | instskip(NEXT) | instid1(VALU_DEP_2)
	v_fma_f64 v[100:101], v[96:97], v[0:1], -v[4:5]
	v_fma_f64 v[102:103], v[98:99], v[0:1], v[2:3]
	v_mov_b32_e32 v0, 0
	scratch_store_b128 off, v[100:103], off offset:384
.LBB127_324:                            ; =>This Inner Loop Header: Depth=1
	v_add_nc_u32_e32 v5, s4, v6
	v_readfirstlane_b32 s5, v0
	ds_load_2addr_b64 v[1:4], v5 offset1:1
	s_add_i32 s5, s5, s4
	s_add_i32 s4, s4, 48
	;; [unrolled: 1-line block ×3, first 2 shown]
	s_waitcnt lgkmcnt(0)
	v_mul_f64 v[104:105], v[3:4], v[102:103]
	s_delay_alu instid0(VALU_DEP_1) | instskip(SKIP_1) | instid1(VALU_DEP_1)
	v_fma_f64 v[104:105], v[1:2], v[100:101], -v[104:105]
	v_mul_f64 v[1:2], v[1:2], v[102:103]
	v_fma_f64 v[106:107], v[3:4], v[100:101], v[1:2]
	scratch_load_b128 v[1:4], off, s6
	s_waitcnt vmcnt(0)
	v_add_f64 v[1:2], v[1:2], -v[104:105]
	v_add_f64 v[3:4], v[3:4], -v[106:107]
	scratch_store_b128 off, v[1:4], s6
	ds_load_2addr_b64 v[1:4], v5 offset0:2 offset1:3
	s_add_i32 s6, s5, 0x1a0
	s_addk_i32 s5, 0x1b0
	s_cmpk_lg_i32 s4, 0x270
	s_waitcnt lgkmcnt(0)
	v_mul_f64 v[104:105], v[3:4], v[102:103]
	s_delay_alu instid0(VALU_DEP_1) | instskip(SKIP_1) | instid1(VALU_DEP_1)
	v_fma_f64 v[104:105], v[1:2], v[100:101], -v[104:105]
	v_mul_f64 v[1:2], v[1:2], v[102:103]
	v_fma_f64 v[106:107], v[3:4], v[100:101], v[1:2]
	scratch_load_b128 v[1:4], off, s6
	s_waitcnt vmcnt(0)
	v_add_f64 v[1:2], v[1:2], -v[104:105]
	v_add_f64 v[3:4], v[3:4], -v[106:107]
	scratch_store_b128 off, v[1:4], s6
	ds_load_2addr_b64 v[1:4], v5 offset0:4 offset1:5
	s_waitcnt lgkmcnt(0)
	v_mul_f64 v[104:105], v[3:4], v[102:103]
	s_delay_alu instid0(VALU_DEP_1) | instskip(SKIP_1) | instid1(VALU_DEP_1)
	v_fma_f64 v[104:105], v[1:2], v[100:101], -v[104:105]
	v_mul_f64 v[1:2], v[1:2], v[102:103]
	v_fma_f64 v[106:107], v[3:4], v[100:101], v[1:2]
	scratch_load_b128 v[1:4], off, s5
	s_waitcnt vmcnt(0)
	v_add_f64 v[1:2], v[1:2], -v[104:105]
	v_add_f64 v[3:4], v[3:4], -v[106:107]
	scratch_store_b128 off, v[1:4], s5
	s_cbranch_scc1 .LBB127_324
.LBB127_325:
	s_or_b32 exec_lo, exec_lo, s3
	v_add3_u32 v6, v188, 0, 0x1a0
	s_mov_b32 s4, exec_lo
	s_waitcnt lgkmcnt(0)
	s_waitcnt_vscnt null, 0x0
	s_barrier
	buffer_gl0_inv
	v_cmpx_eq_u32_e32 25, v254
	s_cbranch_execz .LBB127_334
; %bb.326:
	s_clause 0x1
	scratch_load_b32 v0, off, off offset:1188
	scratch_load_b32 v4, off, off offset:1024
	s_mov_b32 s3, 0
	s_waitcnt vmcnt(1)
	scratch_load_b128 v[0:3], v0, off
	s_waitcnt vmcnt(0)
	ds_store_2addr_b64 v4, v[0:1], v[2:3] offset1:1
	.p2align	6
.LBB127_327:                            ; =>This Inner Loop Header: Depth=1
	v_add_nc_u32_e64 v4, s3, 0
	v_add_nc_u32_e32 v5, s3, v6
	s_add_i32 s3, s3, 32
	s_delay_alu instid0(SALU_CYCLE_1) | instskip(NEXT) | instid1(VALU_DEP_2)
	s_cmpk_lg_i32 s3, 0x260
	v_add_nc_u32_e32 v0, 0x1a0, v4
	scratch_load_b128 v[0:3], v0, off
	s_waitcnt vmcnt(0)
	ds_store_2addr_b64 v5, v[0:1], v[2:3] offset1:1
	v_add_nc_u32_e32 v0, 0x1b0, v4
	scratch_load_b128 v[0:3], v0, off
	s_waitcnt vmcnt(0)
	ds_store_2addr_b64 v5, v[0:1], v[2:3] offset0:2 offset1:3
	s_cbranch_scc1 .LBB127_327
; %bb.328:
	scratch_load_b32 v0, off, off offset:1024 ; 4-byte Folded Reload
	s_waitcnt vmcnt(0)
	ds_load_2addr_b64 v[100:103], v0 offset1:1
	s_waitcnt lgkmcnt(0)
	v_cmp_neq_f64_e32 vcc_lo, 0, v[100:101]
	v_cmp_neq_f64_e64 s3, 0, v[102:103]
	s_delay_alu instid0(VALU_DEP_1) | instskip(NEXT) | instid1(SALU_CYCLE_1)
	s_or_b32 s3, vcc_lo, s3
	s_and_b32 exec_lo, exec_lo, s3
	s_cbranch_execz .LBB127_334
; %bb.329:
	v_cmp_gt_f64_e32 vcc_lo, 0, v[100:101]
	v_xor_b32_e32 v0, 0x80000000, v101
	v_xor_b32_e32 v2, 0x80000000, v103
	s_mov_b32 s3, exec_lo
                                        ; implicit-def: $vgpr4_vgpr5
	s_delay_alu instid0(VALU_DEP_2) | instskip(SKIP_4) | instid1(VALU_DEP_1)
	v_cndmask_b32_e32 v1, v101, v0, vcc_lo
	v_cndmask_b32_e32 v0, v100, v100, vcc_lo
	v_cmp_gt_f64_e32 vcc_lo, 0, v[102:103]
	v_cndmask_b32_e32 v3, v103, v2, vcc_lo
	v_cndmask_b32_e32 v2, v102, v102, vcc_lo
	v_cmpx_ngt_f64_e32 v[0:1], v[2:3]
	s_xor_b32 s3, exec_lo, s3
                                        ; implicit-def: $vgpr0_vgpr1_vgpr2_vgpr3
	s_cbranch_execz .LBB127_331
; %bb.330:
	v_div_scale_f64 v[0:1], null, v[102:103], v[102:103], v[100:101]
	v_div_scale_f64 v[104:105], vcc_lo, v[100:101], v[102:103], v[100:101]
	s_delay_alu instid0(VALU_DEP_2) | instskip(SKIP_2) | instid1(VALU_DEP_1)
	v_rcp_f64_e32 v[2:3], v[0:1]
	s_waitcnt_depctr 0xfff
	v_fma_f64 v[4:5], -v[0:1], v[2:3], 1.0
	v_fma_f64 v[2:3], v[2:3], v[4:5], v[2:3]
	s_delay_alu instid0(VALU_DEP_1) | instskip(NEXT) | instid1(VALU_DEP_1)
	v_fma_f64 v[4:5], -v[0:1], v[2:3], 1.0
	v_fma_f64 v[2:3], v[2:3], v[4:5], v[2:3]
	s_delay_alu instid0(VALU_DEP_1) | instskip(NEXT) | instid1(VALU_DEP_1)
	v_mul_f64 v[4:5], v[104:105], v[2:3]
	v_fma_f64 v[0:1], -v[0:1], v[4:5], v[104:105]
	s_delay_alu instid0(VALU_DEP_1) | instskip(NEXT) | instid1(VALU_DEP_1)
	v_div_fmas_f64 v[0:1], v[0:1], v[2:3], v[4:5]
	v_div_fixup_f64 v[0:1], v[0:1], v[102:103], v[100:101]
	s_delay_alu instid0(VALU_DEP_1) | instskip(NEXT) | instid1(VALU_DEP_1)
	v_fma_f64 v[2:3], v[100:101], v[0:1], v[102:103]
	v_div_scale_f64 v[4:5], null, v[2:3], v[2:3], 1.0
	s_delay_alu instid0(VALU_DEP_1) | instskip(SKIP_2) | instid1(VALU_DEP_1)
	v_rcp_f64_e32 v[100:101], v[4:5]
	s_waitcnt_depctr 0xfff
	v_fma_f64 v[102:103], -v[4:5], v[100:101], 1.0
	v_fma_f64 v[100:101], v[100:101], v[102:103], v[100:101]
	s_delay_alu instid0(VALU_DEP_1) | instskip(NEXT) | instid1(VALU_DEP_1)
	v_fma_f64 v[102:103], -v[4:5], v[100:101], 1.0
	v_fma_f64 v[100:101], v[100:101], v[102:103], v[100:101]
	v_div_scale_f64 v[102:103], vcc_lo, 1.0, v[2:3], 1.0
	s_delay_alu instid0(VALU_DEP_1) | instskip(NEXT) | instid1(VALU_DEP_1)
	v_mul_f64 v[104:105], v[102:103], v[100:101]
	v_fma_f64 v[4:5], -v[4:5], v[104:105], v[102:103]
	s_delay_alu instid0(VALU_DEP_1) | instskip(NEXT) | instid1(VALU_DEP_1)
	v_div_fmas_f64 v[4:5], v[4:5], v[100:101], v[104:105]
                                        ; implicit-def: $vgpr100_vgpr101
	v_div_fixup_f64 v[2:3], v[4:5], v[2:3], 1.0
	s_delay_alu instid0(VALU_DEP_1)
	v_mul_f64 v[4:5], v[0:1], v[2:3]
	v_xor_b32_e32 v3, 0x80000000, v3
.LBB127_331:
	s_and_not1_saveexec_b32 s3, s3
	s_cbranch_execz .LBB127_333
; %bb.332:
	v_div_scale_f64 v[0:1], null, v[100:101], v[100:101], v[102:103]
	v_div_scale_f64 v[104:105], vcc_lo, v[102:103], v[100:101], v[102:103]
	s_delay_alu instid0(VALU_DEP_2) | instskip(SKIP_2) | instid1(VALU_DEP_1)
	v_rcp_f64_e32 v[2:3], v[0:1]
	s_waitcnt_depctr 0xfff
	v_fma_f64 v[4:5], -v[0:1], v[2:3], 1.0
	v_fma_f64 v[2:3], v[2:3], v[4:5], v[2:3]
	s_delay_alu instid0(VALU_DEP_1) | instskip(NEXT) | instid1(VALU_DEP_1)
	v_fma_f64 v[4:5], -v[0:1], v[2:3], 1.0
	v_fma_f64 v[2:3], v[2:3], v[4:5], v[2:3]
	s_delay_alu instid0(VALU_DEP_1) | instskip(NEXT) | instid1(VALU_DEP_1)
	v_mul_f64 v[4:5], v[104:105], v[2:3]
	v_fma_f64 v[0:1], -v[0:1], v[4:5], v[104:105]
	s_delay_alu instid0(VALU_DEP_1) | instskip(NEXT) | instid1(VALU_DEP_1)
	v_div_fmas_f64 v[0:1], v[0:1], v[2:3], v[4:5]
	v_div_fixup_f64 v[0:1], v[0:1], v[100:101], v[102:103]
	s_delay_alu instid0(VALU_DEP_1) | instskip(NEXT) | instid1(VALU_DEP_1)
	v_fma_f64 v[2:3], v[102:103], v[0:1], v[100:101]
	v_div_scale_f64 v[4:5], null, v[2:3], v[2:3], 1.0
	s_delay_alu instid0(VALU_DEP_1) | instskip(SKIP_2) | instid1(VALU_DEP_1)
	v_rcp_f64_e32 v[100:101], v[4:5]
	s_waitcnt_depctr 0xfff
	v_fma_f64 v[102:103], -v[4:5], v[100:101], 1.0
	v_fma_f64 v[100:101], v[100:101], v[102:103], v[100:101]
	s_delay_alu instid0(VALU_DEP_1) | instskip(NEXT) | instid1(VALU_DEP_1)
	v_fma_f64 v[102:103], -v[4:5], v[100:101], 1.0
	v_fma_f64 v[100:101], v[100:101], v[102:103], v[100:101]
	v_div_scale_f64 v[102:103], vcc_lo, 1.0, v[2:3], 1.0
	s_delay_alu instid0(VALU_DEP_1) | instskip(NEXT) | instid1(VALU_DEP_1)
	v_mul_f64 v[104:105], v[102:103], v[100:101]
	v_fma_f64 v[4:5], -v[4:5], v[104:105], v[102:103]
	s_delay_alu instid0(VALU_DEP_1) | instskip(NEXT) | instid1(VALU_DEP_1)
	v_div_fmas_f64 v[4:5], v[4:5], v[100:101], v[104:105]
	v_div_fixup_f64 v[4:5], v[4:5], v[2:3], 1.0
	s_delay_alu instid0(VALU_DEP_1)
	v_mul_f64 v[2:3], v[0:1], -v[4:5]
.LBB127_333:
	s_or_b32 exec_lo, exec_lo, s3
	scratch_load_b32 v0, off, off offset:1024 ; 4-byte Folded Reload
	s_waitcnt vmcnt(0)
	ds_store_2addr_b64 v0, v[4:5], v[2:3] offset1:1
.LBB127_334:
	s_or_b32 exec_lo, exec_lo, s4
	s_waitcnt lgkmcnt(0)
	s_barrier
	buffer_gl0_inv
	scratch_load_b32 v0, off, off offset:1024 ; 4-byte Folded Reload
	s_mov_b32 s3, exec_lo
	s_waitcnt vmcnt(0)
	ds_load_2addr_b64 v[100:103], v0 offset1:1
	v_cmpx_lt_u32_e32 25, v254
	s_cbranch_execz .LBB127_337
; %bb.335:
	scratch_load_b128 v[0:3], off, off offset:400
	s_mov_b32 s4, 0
	s_waitcnt vmcnt(0) lgkmcnt(0)
	v_mul_f64 v[4:5], v[102:103], v[2:3]
	v_mul_f64 v[2:3], v[100:101], v[2:3]
	s_delay_alu instid0(VALU_DEP_2) | instskip(NEXT) | instid1(VALU_DEP_2)
	v_fma_f64 v[104:105], v[100:101], v[0:1], -v[4:5]
	v_fma_f64 v[106:107], v[102:103], v[0:1], v[2:3]
	scratch_store_b128 off, v[104:107], off offset:400
	s_set_inst_prefetch_distance 0x1
	.p2align	6
.LBB127_336:                            ; =>This Inner Loop Header: Depth=1
	v_add_nc_u32_e32 v7, s4, v6
	v_add_nc_u32_e64 v110, s4, 0
	s_add_i32 s4, s4, 32
	s_delay_alu instid0(SALU_CYCLE_1) | instskip(SKIP_4) | instid1(VALU_DEP_1)
	s_cmpk_lg_i32 s4, 0x260
	ds_load_2addr_b64 v[0:3], v7 offset1:1
	v_add_nc_u32_e32 v111, 0x1a0, v110
	s_waitcnt lgkmcnt(0)
	v_mul_f64 v[4:5], v[2:3], v[106:107]
	v_fma_f64 v[4:5], v[0:1], v[104:105], -v[4:5]
	v_mul_f64 v[0:1], v[0:1], v[106:107]
	s_delay_alu instid0(VALU_DEP_1)
	v_fma_f64 v[108:109], v[2:3], v[104:105], v[0:1]
	scratch_load_b128 v[0:3], v111, off
	s_waitcnt vmcnt(0)
	v_add_f64 v[0:1], v[0:1], -v[4:5]
	v_add_f64 v[2:3], v[2:3], -v[108:109]
	scratch_store_b128 v111, v[0:3], off
	ds_load_2addr_b64 v[0:3], v7 offset0:2 offset1:3
	v_add_nc_u32_e32 v7, 0x1b0, v110
	s_waitcnt lgkmcnt(0)
	v_mul_f64 v[4:5], v[2:3], v[106:107]
	s_delay_alu instid0(VALU_DEP_1) | instskip(SKIP_1) | instid1(VALU_DEP_1)
	v_fma_f64 v[4:5], v[0:1], v[104:105], -v[4:5]
	v_mul_f64 v[0:1], v[0:1], v[106:107]
	v_fma_f64 v[108:109], v[2:3], v[104:105], v[0:1]
	scratch_load_b128 v[0:3], v7, off
	s_waitcnt vmcnt(0)
	v_add_f64 v[0:1], v[0:1], -v[4:5]
	v_add_f64 v[2:3], v[2:3], -v[108:109]
	scratch_store_b128 v7, v[0:3], off
	s_cbranch_scc1 .LBB127_336
.LBB127_337:
	s_set_inst_prefetch_distance 0x2
	s_or_b32 exec_lo, exec_lo, s3
	v_add3_u32 v6, v188, 0, 0x1b0
	s_mov_b32 s4, exec_lo
	s_waitcnt lgkmcnt(0)
	s_waitcnt_vscnt null, 0x0
	s_barrier
	buffer_gl0_inv
	v_cmpx_eq_u32_e32 26, v254
	s_cbranch_execz .LBB127_348
; %bb.338:
	scratch_load_b32 v0, off, off offset:1184 ; 4-byte Folded Reload
	s_movk_i32 s3, 0xfe00
	s_waitcnt vmcnt(0)
	scratch_load_b128 v[0:3], v0, off
	scratch_load_b32 v4, off, off offset:1024 ; 4-byte Folded Reload
	s_waitcnt vmcnt(0)
	ds_store_2addr_b64 v4, v[0:1], v[2:3] offset1:1
	v_mov_b32_e32 v0, 0
	s_branch .LBB127_340
.LBB127_339:                            ;   in Loop: Header=BB127_340 Depth=1
	s_add_i32 s6, s5, 0x400
	s_addk_i32 s3, 0x80
	scratch_load_b128 v[2:5], off, s6
	s_add_i32 s6, s5, 0x410
	s_addk_i32 s5, 0x420
	s_waitcnt vmcnt(0)
	ds_store_2addr_b64 v1, v[2:3], v[4:5] offset0:74 offset1:75
	scratch_load_b128 v[2:5], off, s6
	s_waitcnt vmcnt(0)
	ds_store_2addr_b64 v1, v[2:3], v[4:5] offset0:76 offset1:77
	scratch_load_b128 v[2:5], off, s5
	s_waitcnt vmcnt(0)
	ds_store_2addr_b64 v1, v[2:3], v[4:5] offset0:78 offset1:79
	s_cbranch_execz .LBB127_342
.LBB127_340:                            ; =>This Inner Loop Header: Depth=1
	s_delay_alu instid0(VALU_DEP_1) | instskip(SKIP_1) | instid1(VALU_DEP_2)
	v_readfirstlane_b32 s5, v0
	v_add_nc_u32_e32 v1, s3, v6
	s_add_i32 s5, s5, s3
	s_delay_alu instid0(SALU_CYCLE_1)
	s_add_i32 s6, s5, 0x3b0
	scratch_load_b128 v[2:5], off, s6
	s_add_i32 s6, s5, 0x3c0
	s_waitcnt vmcnt(0)
	ds_store_2addr_b64 v1, v[2:3], v[4:5] offset0:64 offset1:65
	scratch_load_b128 v[2:5], off, s6
	s_add_i32 s6, s5, 0x3d0
	s_waitcnt vmcnt(0)
	ds_store_2addr_b64 v1, v[2:3], v[4:5] offset0:66 offset1:67
	;; [unrolled: 4-line block ×3, first 2 shown]
	scratch_load_b128 v[2:5], off, s6
	s_add_i32 s6, s5, 0x3f0
	s_cmp_eq_u32 s3, 0
	s_waitcnt vmcnt(0)
	ds_store_2addr_b64 v1, v[2:3], v[4:5] offset0:70 offset1:71
	scratch_load_b128 v[2:5], off, s6
	s_waitcnt vmcnt(0)
	ds_store_2addr_b64 v1, v[2:3], v[4:5] offset0:72 offset1:73
	s_cbranch_scc0 .LBB127_339
; %bb.341:
                                        ; implicit-def: $sgpr3
.LBB127_342:
	scratch_load_b32 v0, off, off offset:1024 ; 4-byte Folded Reload
	s_waitcnt vmcnt(0)
	ds_load_2addr_b64 v[104:107], v0 offset1:1
	s_waitcnt lgkmcnt(0)
	v_cmp_neq_f64_e32 vcc_lo, 0, v[104:105]
	v_cmp_neq_f64_e64 s3, 0, v[106:107]
	s_delay_alu instid0(VALU_DEP_1) | instskip(NEXT) | instid1(SALU_CYCLE_1)
	s_or_b32 s3, vcc_lo, s3
	s_and_b32 exec_lo, exec_lo, s3
	s_cbranch_execz .LBB127_348
; %bb.343:
	v_cmp_gt_f64_e32 vcc_lo, 0, v[104:105]
	v_xor_b32_e32 v0, 0x80000000, v105
	v_xor_b32_e32 v2, 0x80000000, v107
	s_mov_b32 s3, exec_lo
                                        ; implicit-def: $vgpr4_vgpr5
	s_delay_alu instid0(VALU_DEP_2) | instskip(SKIP_4) | instid1(VALU_DEP_1)
	v_cndmask_b32_e32 v1, v105, v0, vcc_lo
	v_cndmask_b32_e32 v0, v104, v104, vcc_lo
	v_cmp_gt_f64_e32 vcc_lo, 0, v[106:107]
	v_cndmask_b32_e32 v3, v107, v2, vcc_lo
	v_cndmask_b32_e32 v2, v106, v106, vcc_lo
	v_cmpx_ngt_f64_e32 v[0:1], v[2:3]
	s_xor_b32 s3, exec_lo, s3
                                        ; implicit-def: $vgpr0_vgpr1_vgpr2_vgpr3
	s_cbranch_execz .LBB127_345
; %bb.344:
	v_div_scale_f64 v[0:1], null, v[106:107], v[106:107], v[104:105]
	v_div_scale_f64 v[108:109], vcc_lo, v[104:105], v[106:107], v[104:105]
	s_delay_alu instid0(VALU_DEP_2) | instskip(SKIP_2) | instid1(VALU_DEP_1)
	v_rcp_f64_e32 v[2:3], v[0:1]
	s_waitcnt_depctr 0xfff
	v_fma_f64 v[4:5], -v[0:1], v[2:3], 1.0
	v_fma_f64 v[2:3], v[2:3], v[4:5], v[2:3]
	s_delay_alu instid0(VALU_DEP_1) | instskip(NEXT) | instid1(VALU_DEP_1)
	v_fma_f64 v[4:5], -v[0:1], v[2:3], 1.0
	v_fma_f64 v[2:3], v[2:3], v[4:5], v[2:3]
	s_delay_alu instid0(VALU_DEP_1) | instskip(NEXT) | instid1(VALU_DEP_1)
	v_mul_f64 v[4:5], v[108:109], v[2:3]
	v_fma_f64 v[0:1], -v[0:1], v[4:5], v[108:109]
	s_delay_alu instid0(VALU_DEP_1) | instskip(NEXT) | instid1(VALU_DEP_1)
	v_div_fmas_f64 v[0:1], v[0:1], v[2:3], v[4:5]
	v_div_fixup_f64 v[0:1], v[0:1], v[106:107], v[104:105]
	s_delay_alu instid0(VALU_DEP_1) | instskip(NEXT) | instid1(VALU_DEP_1)
	v_fma_f64 v[2:3], v[104:105], v[0:1], v[106:107]
	v_div_scale_f64 v[4:5], null, v[2:3], v[2:3], 1.0
	s_delay_alu instid0(VALU_DEP_1) | instskip(SKIP_2) | instid1(VALU_DEP_1)
	v_rcp_f64_e32 v[104:105], v[4:5]
	s_waitcnt_depctr 0xfff
	v_fma_f64 v[106:107], -v[4:5], v[104:105], 1.0
	v_fma_f64 v[104:105], v[104:105], v[106:107], v[104:105]
	s_delay_alu instid0(VALU_DEP_1) | instskip(NEXT) | instid1(VALU_DEP_1)
	v_fma_f64 v[106:107], -v[4:5], v[104:105], 1.0
	v_fma_f64 v[104:105], v[104:105], v[106:107], v[104:105]
	v_div_scale_f64 v[106:107], vcc_lo, 1.0, v[2:3], 1.0
	s_delay_alu instid0(VALU_DEP_1) | instskip(NEXT) | instid1(VALU_DEP_1)
	v_mul_f64 v[108:109], v[106:107], v[104:105]
	v_fma_f64 v[4:5], -v[4:5], v[108:109], v[106:107]
	s_delay_alu instid0(VALU_DEP_1) | instskip(NEXT) | instid1(VALU_DEP_1)
	v_div_fmas_f64 v[4:5], v[4:5], v[104:105], v[108:109]
                                        ; implicit-def: $vgpr104_vgpr105
	v_div_fixup_f64 v[2:3], v[4:5], v[2:3], 1.0
	s_delay_alu instid0(VALU_DEP_1)
	v_mul_f64 v[4:5], v[0:1], v[2:3]
	v_xor_b32_e32 v3, 0x80000000, v3
.LBB127_345:
	s_and_not1_saveexec_b32 s3, s3
	s_cbranch_execz .LBB127_347
; %bb.346:
	v_div_scale_f64 v[0:1], null, v[104:105], v[104:105], v[106:107]
	v_div_scale_f64 v[108:109], vcc_lo, v[106:107], v[104:105], v[106:107]
	s_delay_alu instid0(VALU_DEP_2) | instskip(SKIP_2) | instid1(VALU_DEP_1)
	v_rcp_f64_e32 v[2:3], v[0:1]
	s_waitcnt_depctr 0xfff
	v_fma_f64 v[4:5], -v[0:1], v[2:3], 1.0
	v_fma_f64 v[2:3], v[2:3], v[4:5], v[2:3]
	s_delay_alu instid0(VALU_DEP_1) | instskip(NEXT) | instid1(VALU_DEP_1)
	v_fma_f64 v[4:5], -v[0:1], v[2:3], 1.0
	v_fma_f64 v[2:3], v[2:3], v[4:5], v[2:3]
	s_delay_alu instid0(VALU_DEP_1) | instskip(NEXT) | instid1(VALU_DEP_1)
	v_mul_f64 v[4:5], v[108:109], v[2:3]
	v_fma_f64 v[0:1], -v[0:1], v[4:5], v[108:109]
	s_delay_alu instid0(VALU_DEP_1) | instskip(NEXT) | instid1(VALU_DEP_1)
	v_div_fmas_f64 v[0:1], v[0:1], v[2:3], v[4:5]
	v_div_fixup_f64 v[0:1], v[0:1], v[104:105], v[106:107]
	s_delay_alu instid0(VALU_DEP_1) | instskip(NEXT) | instid1(VALU_DEP_1)
	v_fma_f64 v[2:3], v[106:107], v[0:1], v[104:105]
	v_div_scale_f64 v[4:5], null, v[2:3], v[2:3], 1.0
	s_delay_alu instid0(VALU_DEP_1) | instskip(SKIP_2) | instid1(VALU_DEP_1)
	v_rcp_f64_e32 v[104:105], v[4:5]
	s_waitcnt_depctr 0xfff
	v_fma_f64 v[106:107], -v[4:5], v[104:105], 1.0
	v_fma_f64 v[104:105], v[104:105], v[106:107], v[104:105]
	s_delay_alu instid0(VALU_DEP_1) | instskip(NEXT) | instid1(VALU_DEP_1)
	v_fma_f64 v[106:107], -v[4:5], v[104:105], 1.0
	v_fma_f64 v[104:105], v[104:105], v[106:107], v[104:105]
	v_div_scale_f64 v[106:107], vcc_lo, 1.0, v[2:3], 1.0
	s_delay_alu instid0(VALU_DEP_1) | instskip(NEXT) | instid1(VALU_DEP_1)
	v_mul_f64 v[108:109], v[106:107], v[104:105]
	v_fma_f64 v[4:5], -v[4:5], v[108:109], v[106:107]
	s_delay_alu instid0(VALU_DEP_1) | instskip(NEXT) | instid1(VALU_DEP_1)
	v_div_fmas_f64 v[4:5], v[4:5], v[104:105], v[108:109]
	v_div_fixup_f64 v[4:5], v[4:5], v[2:3], 1.0
	s_delay_alu instid0(VALU_DEP_1)
	v_mul_f64 v[2:3], v[0:1], -v[4:5]
.LBB127_347:
	s_or_b32 exec_lo, exec_lo, s3
	scratch_load_b32 v0, off, off offset:1024 ; 4-byte Folded Reload
	s_waitcnt vmcnt(0)
	ds_store_2addr_b64 v0, v[4:5], v[2:3] offset1:1
.LBB127_348:
	s_or_b32 exec_lo, exec_lo, s4
	s_waitcnt lgkmcnt(0)
	s_barrier
	buffer_gl0_inv
	scratch_load_b32 v0, off, off offset:1024 ; 4-byte Folded Reload
	s_mov_b32 s3, exec_lo
	s_waitcnt vmcnt(0)
	ds_load_2addr_b64 v[104:107], v0 offset1:1
	v_cmpx_lt_u32_e32 26, v254
	s_cbranch_execz .LBB127_353
; %bb.349:
	scratch_load_b128 v[0:3], off, off offset:416
	s_mov_b32 s4, 0
	s_waitcnt vmcnt(0) lgkmcnt(0)
	v_mul_f64 v[4:5], v[106:107], v[2:3]
	v_mul_f64 v[2:3], v[104:105], v[2:3]
	s_delay_alu instid0(VALU_DEP_2) | instskip(NEXT) | instid1(VALU_DEP_2)
	v_fma_f64 v[108:109], v[104:105], v[0:1], -v[4:5]
	v_fma_f64 v[110:111], v[106:107], v[0:1], v[2:3]
	v_mov_b32_e32 v0, 0
	scratch_store_b128 off, v[108:111], off offset:416
	s_branch .LBB127_351
.LBB127_350:                            ;   in Loop: Header=BB127_351 Depth=1
	s_and_not1_b32 vcc_lo, exec_lo, s6
	s_cbranch_vccz .LBB127_353
.LBB127_351:                            ; =>This Inner Loop Header: Depth=1
	v_add_nc_u32_e32 v1, s4, v6
	v_readfirstlane_b32 s5, v0
	ds_load_2addr_b64 v[2:5], v1 offset1:1
	s_add_i32 s5, s5, s4
	s_delay_alu instid0(SALU_CYCLE_1) | instskip(SKIP_3) | instid1(VALU_DEP_1)
	s_add_i32 s6, s5, 0x1b0
	s_cmpk_eq_i32 s4, 0x240
	s_waitcnt lgkmcnt(0)
	v_mul_f64 v[112:113], v[4:5], v[110:111]
	v_fma_f64 v[112:113], v[2:3], v[108:109], -v[112:113]
	v_mul_f64 v[2:3], v[2:3], v[110:111]
	s_delay_alu instid0(VALU_DEP_1)
	v_fma_f64 v[114:115], v[4:5], v[108:109], v[2:3]
	scratch_load_b128 v[2:5], off, s6
	s_waitcnt vmcnt(0)
	v_add_f64 v[2:3], v[2:3], -v[112:113]
	v_add_f64 v[4:5], v[4:5], -v[114:115]
	scratch_store_b128 off, v[2:5], s6
	s_mov_b32 s6, -1
	s_cbranch_scc1 .LBB127_350
; %bb.352:                              ;   in Loop: Header=BB127_351 Depth=1
	ds_load_2addr_b64 v[2:5], v1 offset0:2 offset1:3
	s_add_i32 s6, s5, 0x1c0
	s_add_i32 s4, s4, 64
	s_waitcnt lgkmcnt(0)
	v_mul_f64 v[112:113], v[4:5], v[110:111]
	s_delay_alu instid0(VALU_DEP_1) | instskip(SKIP_1) | instid1(VALU_DEP_1)
	v_fma_f64 v[112:113], v[2:3], v[108:109], -v[112:113]
	v_mul_f64 v[2:3], v[2:3], v[110:111]
	v_fma_f64 v[114:115], v[4:5], v[108:109], v[2:3]
	scratch_load_b128 v[2:5], off, s6
	s_waitcnt vmcnt(0)
	v_add_f64 v[2:3], v[2:3], -v[112:113]
	v_add_f64 v[4:5], v[4:5], -v[114:115]
	scratch_store_b128 off, v[2:5], s6
	ds_load_2addr_b64 v[2:5], v1 offset0:4 offset1:5
	s_add_i32 s6, s5, 0x1d0
	s_addk_i32 s5, 0x1e0
	s_waitcnt lgkmcnt(0)
	v_mul_f64 v[112:113], v[4:5], v[110:111]
	s_delay_alu instid0(VALU_DEP_1) | instskip(SKIP_1) | instid1(VALU_DEP_1)
	v_fma_f64 v[112:113], v[2:3], v[108:109], -v[112:113]
	v_mul_f64 v[2:3], v[2:3], v[110:111]
	v_fma_f64 v[114:115], v[4:5], v[108:109], v[2:3]
	scratch_load_b128 v[2:5], off, s6
	s_waitcnt vmcnt(0)
	v_add_f64 v[2:3], v[2:3], -v[112:113]
	v_add_f64 v[4:5], v[4:5], -v[114:115]
	scratch_store_b128 off, v[2:5], s6
	ds_load_2addr_b64 v[1:4], v1 offset0:6 offset1:7
	s_mov_b32 s6, 0
	s_waitcnt lgkmcnt(0)
	v_mul_f64 v[112:113], v[3:4], v[110:111]
	s_delay_alu instid0(VALU_DEP_1) | instskip(SKIP_1) | instid1(VALU_DEP_1)
	v_fma_f64 v[112:113], v[1:2], v[108:109], -v[112:113]
	v_mul_f64 v[1:2], v[1:2], v[110:111]
	v_fma_f64 v[114:115], v[3:4], v[108:109], v[1:2]
	scratch_load_b128 v[1:4], off, s5
	s_waitcnt vmcnt(0)
	v_add_f64 v[1:2], v[1:2], -v[112:113]
	v_add_f64 v[3:4], v[3:4], -v[114:115]
	scratch_store_b128 off, v[1:4], s5
	s_branch .LBB127_350
.LBB127_353:
	s_or_b32 exec_lo, exec_lo, s3
	v_add_nc_u32_e32 v6, 0, v188
	s_mov_b32 s4, exec_lo
	s_waitcnt lgkmcnt(0)
	s_waitcnt_vscnt null, 0x0
	s_barrier
	buffer_gl0_inv
	v_cmpx_eq_u32_e32 27, v254
	s_cbranch_execz .LBB127_360
; %bb.354:
	scratch_load_b32 v0, off, off offset:1180 ; 4-byte Folded Reload
	s_waitcnt vmcnt(0)
	scratch_load_b128 v[0:3], v0, off
	scratch_load_b32 v4, off, off offset:1024 ; 4-byte Folded Reload
	s_waitcnt vmcnt(0)
	ds_store_2addr_b64 v4, v[0:1], v[2:3] offset1:1
	scratch_load_b32 v0, off, off offset:1168 ; 4-byte Folded Reload
	s_waitcnt vmcnt(0)
	scratch_load_b128 v[0:3], v0, off
	s_waitcnt vmcnt(0)
	ds_store_2addr_b64 v6, v[0:1], v[2:3] offset0:56 offset1:57
	scratch_load_b32 v0, off, off offset:1164 ; 4-byte Folded Reload
	s_waitcnt vmcnt(0)
	scratch_load_b128 v[0:3], v0, off
	s_waitcnt vmcnt(0)
	ds_store_2addr_b64 v6, v[0:1], v[2:3] offset0:58 offset1:59
	;; [unrolled: 5-line block ×36, first 2 shown]
	ds_load_2addr_b64 v[108:111], v4 offset1:1
	s_waitcnt lgkmcnt(0)
	v_cmp_neq_f64_e32 vcc_lo, 0, v[108:109]
	v_cmp_neq_f64_e64 s3, 0, v[110:111]
	s_delay_alu instid0(VALU_DEP_1) | instskip(NEXT) | instid1(SALU_CYCLE_1)
	s_or_b32 s3, vcc_lo, s3
	s_and_b32 exec_lo, exec_lo, s3
	s_cbranch_execz .LBB127_360
; %bb.355:
	v_cmp_gt_f64_e32 vcc_lo, 0, v[108:109]
	v_xor_b32_e32 v0, 0x80000000, v109
	v_xor_b32_e32 v2, 0x80000000, v111
	s_mov_b32 s3, exec_lo
                                        ; implicit-def: $vgpr4_vgpr5
	s_delay_alu instid0(VALU_DEP_2) | instskip(SKIP_4) | instid1(VALU_DEP_1)
	v_cndmask_b32_e32 v1, v109, v0, vcc_lo
	v_cndmask_b32_e32 v0, v108, v108, vcc_lo
	v_cmp_gt_f64_e32 vcc_lo, 0, v[110:111]
	v_cndmask_b32_e32 v3, v111, v2, vcc_lo
	v_cndmask_b32_e32 v2, v110, v110, vcc_lo
	v_cmpx_ngt_f64_e32 v[0:1], v[2:3]
	s_xor_b32 s3, exec_lo, s3
                                        ; implicit-def: $vgpr0_vgpr1_vgpr2_vgpr3
	s_cbranch_execz .LBB127_357
; %bb.356:
	v_div_scale_f64 v[0:1], null, v[110:111], v[110:111], v[108:109]
	v_div_scale_f64 v[112:113], vcc_lo, v[108:109], v[110:111], v[108:109]
	s_delay_alu instid0(VALU_DEP_2) | instskip(SKIP_2) | instid1(VALU_DEP_1)
	v_rcp_f64_e32 v[2:3], v[0:1]
	s_waitcnt_depctr 0xfff
	v_fma_f64 v[4:5], -v[0:1], v[2:3], 1.0
	v_fma_f64 v[2:3], v[2:3], v[4:5], v[2:3]
	s_delay_alu instid0(VALU_DEP_1) | instskip(NEXT) | instid1(VALU_DEP_1)
	v_fma_f64 v[4:5], -v[0:1], v[2:3], 1.0
	v_fma_f64 v[2:3], v[2:3], v[4:5], v[2:3]
	s_delay_alu instid0(VALU_DEP_1) | instskip(NEXT) | instid1(VALU_DEP_1)
	v_mul_f64 v[4:5], v[112:113], v[2:3]
	v_fma_f64 v[0:1], -v[0:1], v[4:5], v[112:113]
	s_delay_alu instid0(VALU_DEP_1) | instskip(NEXT) | instid1(VALU_DEP_1)
	v_div_fmas_f64 v[0:1], v[0:1], v[2:3], v[4:5]
	v_div_fixup_f64 v[0:1], v[0:1], v[110:111], v[108:109]
	s_delay_alu instid0(VALU_DEP_1) | instskip(NEXT) | instid1(VALU_DEP_1)
	v_fma_f64 v[2:3], v[108:109], v[0:1], v[110:111]
	v_div_scale_f64 v[4:5], null, v[2:3], v[2:3], 1.0
	s_delay_alu instid0(VALU_DEP_1) | instskip(SKIP_2) | instid1(VALU_DEP_1)
	v_rcp_f64_e32 v[108:109], v[4:5]
	s_waitcnt_depctr 0xfff
	v_fma_f64 v[110:111], -v[4:5], v[108:109], 1.0
	v_fma_f64 v[108:109], v[108:109], v[110:111], v[108:109]
	s_delay_alu instid0(VALU_DEP_1) | instskip(NEXT) | instid1(VALU_DEP_1)
	v_fma_f64 v[110:111], -v[4:5], v[108:109], 1.0
	v_fma_f64 v[108:109], v[108:109], v[110:111], v[108:109]
	v_div_scale_f64 v[110:111], vcc_lo, 1.0, v[2:3], 1.0
	s_delay_alu instid0(VALU_DEP_1) | instskip(NEXT) | instid1(VALU_DEP_1)
	v_mul_f64 v[112:113], v[110:111], v[108:109]
	v_fma_f64 v[4:5], -v[4:5], v[112:113], v[110:111]
	s_delay_alu instid0(VALU_DEP_1) | instskip(NEXT) | instid1(VALU_DEP_1)
	v_div_fmas_f64 v[4:5], v[4:5], v[108:109], v[112:113]
                                        ; implicit-def: $vgpr108_vgpr109
	v_div_fixup_f64 v[2:3], v[4:5], v[2:3], 1.0
	s_delay_alu instid0(VALU_DEP_1)
	v_mul_f64 v[4:5], v[0:1], v[2:3]
	v_xor_b32_e32 v3, 0x80000000, v3
.LBB127_357:
	s_and_not1_saveexec_b32 s3, s3
	s_cbranch_execz .LBB127_359
; %bb.358:
	v_div_scale_f64 v[0:1], null, v[108:109], v[108:109], v[110:111]
	v_div_scale_f64 v[112:113], vcc_lo, v[110:111], v[108:109], v[110:111]
	s_delay_alu instid0(VALU_DEP_2) | instskip(SKIP_2) | instid1(VALU_DEP_1)
	v_rcp_f64_e32 v[2:3], v[0:1]
	s_waitcnt_depctr 0xfff
	v_fma_f64 v[4:5], -v[0:1], v[2:3], 1.0
	v_fma_f64 v[2:3], v[2:3], v[4:5], v[2:3]
	s_delay_alu instid0(VALU_DEP_1) | instskip(NEXT) | instid1(VALU_DEP_1)
	v_fma_f64 v[4:5], -v[0:1], v[2:3], 1.0
	v_fma_f64 v[2:3], v[2:3], v[4:5], v[2:3]
	s_delay_alu instid0(VALU_DEP_1) | instskip(NEXT) | instid1(VALU_DEP_1)
	v_mul_f64 v[4:5], v[112:113], v[2:3]
	v_fma_f64 v[0:1], -v[0:1], v[4:5], v[112:113]
	s_delay_alu instid0(VALU_DEP_1) | instskip(NEXT) | instid1(VALU_DEP_1)
	v_div_fmas_f64 v[0:1], v[0:1], v[2:3], v[4:5]
	v_div_fixup_f64 v[0:1], v[0:1], v[108:109], v[110:111]
	s_delay_alu instid0(VALU_DEP_1) | instskip(NEXT) | instid1(VALU_DEP_1)
	v_fma_f64 v[2:3], v[110:111], v[0:1], v[108:109]
	v_div_scale_f64 v[4:5], null, v[2:3], v[2:3], 1.0
	s_delay_alu instid0(VALU_DEP_1) | instskip(SKIP_2) | instid1(VALU_DEP_1)
	v_rcp_f64_e32 v[108:109], v[4:5]
	s_waitcnt_depctr 0xfff
	v_fma_f64 v[110:111], -v[4:5], v[108:109], 1.0
	v_fma_f64 v[108:109], v[108:109], v[110:111], v[108:109]
	s_delay_alu instid0(VALU_DEP_1) | instskip(NEXT) | instid1(VALU_DEP_1)
	v_fma_f64 v[110:111], -v[4:5], v[108:109], 1.0
	v_fma_f64 v[108:109], v[108:109], v[110:111], v[108:109]
	v_div_scale_f64 v[110:111], vcc_lo, 1.0, v[2:3], 1.0
	s_delay_alu instid0(VALU_DEP_1) | instskip(NEXT) | instid1(VALU_DEP_1)
	v_mul_f64 v[112:113], v[110:111], v[108:109]
	v_fma_f64 v[4:5], -v[4:5], v[112:113], v[110:111]
	s_delay_alu instid0(VALU_DEP_1) | instskip(NEXT) | instid1(VALU_DEP_1)
	v_div_fmas_f64 v[4:5], v[4:5], v[108:109], v[112:113]
	v_div_fixup_f64 v[4:5], v[4:5], v[2:3], 1.0
	s_delay_alu instid0(VALU_DEP_1)
	v_mul_f64 v[2:3], v[0:1], -v[4:5]
.LBB127_359:
	s_or_b32 exec_lo, exec_lo, s3
	scratch_load_b32 v0, off, off offset:1024 ; 4-byte Folded Reload
	s_waitcnt vmcnt(0)
	ds_store_2addr_b64 v0, v[4:5], v[2:3] offset1:1
.LBB127_360:
	s_or_b32 exec_lo, exec_lo, s4
	s_waitcnt lgkmcnt(0)
	s_barrier
	buffer_gl0_inv
	scratch_load_b32 v0, off, off offset:1024 ; 4-byte Folded Reload
	s_mov_b32 s3, exec_lo
	s_waitcnt vmcnt(0)
	ds_load_2addr_b64 v[108:111], v0 offset1:1
	v_cmpx_lt_u32_e32 27, v254
	s_cbranch_execz .LBB127_363
; %bb.361:
	scratch_load_b128 v[0:3], off, off offset:432
	s_mov_b32 s4, 0
	s_waitcnt vmcnt(0) lgkmcnt(0)
	v_mul_f64 v[4:5], v[110:111], v[2:3]
	v_mul_f64 v[2:3], v[108:109], v[2:3]
	s_delay_alu instid0(VALU_DEP_2) | instskip(NEXT) | instid1(VALU_DEP_2)
	v_fma_f64 v[112:113], v[108:109], v[0:1], -v[4:5]
	v_fma_f64 v[114:115], v[110:111], v[0:1], v[2:3]
	v_add3_u32 v0, v188, 0, 0x1c0
	v_mov_b32_e32 v1, 0
	scratch_store_b128 off, v[112:115], off offset:432
.LBB127_362:                            ; =>This Inner Loop Header: Depth=1
	v_add_nc_u32_e32 v7, s4, v0
	v_readfirstlane_b32 s5, v1
	ds_load_2addr_b64 v[2:5], v7 offset1:1
	s_add_i32 s5, s5, s4
	s_addk_i32 s4, 0x60
	s_add_i32 s6, s5, 0x1c0
	s_waitcnt lgkmcnt(0)
	v_mul_f64 v[116:117], v[4:5], v[114:115]
	s_delay_alu instid0(VALU_DEP_1) | instskip(SKIP_1) | instid1(VALU_DEP_1)
	v_fma_f64 v[116:117], v[2:3], v[112:113], -v[116:117]
	v_mul_f64 v[2:3], v[2:3], v[114:115]
	v_fma_f64 v[118:119], v[4:5], v[112:113], v[2:3]
	scratch_load_b128 v[2:5], off, s6
	s_waitcnt vmcnt(0)
	v_add_f64 v[2:3], v[2:3], -v[116:117]
	v_add_f64 v[4:5], v[4:5], -v[118:119]
	scratch_store_b128 off, v[2:5], s6
	ds_load_2addr_b64 v[2:5], v7 offset0:2 offset1:3
	s_add_i32 s6, s5, 0x1d0
	s_waitcnt lgkmcnt(0)
	v_mul_f64 v[116:117], v[4:5], v[114:115]
	s_delay_alu instid0(VALU_DEP_1) | instskip(SKIP_1) | instid1(VALU_DEP_1)
	v_fma_f64 v[116:117], v[2:3], v[112:113], -v[116:117]
	v_mul_f64 v[2:3], v[2:3], v[114:115]
	v_fma_f64 v[118:119], v[4:5], v[112:113], v[2:3]
	scratch_load_b128 v[2:5], off, s6
	s_waitcnt vmcnt(0)
	v_add_f64 v[2:3], v[2:3], -v[116:117]
	v_add_f64 v[4:5], v[4:5], -v[118:119]
	scratch_store_b128 off, v[2:5], s6
	ds_load_2addr_b64 v[2:5], v7 offset0:4 offset1:5
	s_add_i32 s6, s5, 0x1e0
	s_waitcnt lgkmcnt(0)
	v_mul_f64 v[116:117], v[4:5], v[114:115]
	s_delay_alu instid0(VALU_DEP_1) | instskip(SKIP_1) | instid1(VALU_DEP_1)
	v_fma_f64 v[116:117], v[2:3], v[112:113], -v[116:117]
	v_mul_f64 v[2:3], v[2:3], v[114:115]
	v_fma_f64 v[118:119], v[4:5], v[112:113], v[2:3]
	scratch_load_b128 v[2:5], off, s6
	s_waitcnt vmcnt(0)
	v_add_f64 v[2:3], v[2:3], -v[116:117]
	v_add_f64 v[4:5], v[4:5], -v[118:119]
	scratch_store_b128 off, v[2:5], s6
	ds_load_2addr_b64 v[2:5], v7 offset0:6 offset1:7
	s_add_i32 s6, s5, 0x1f0
	s_waitcnt lgkmcnt(0)
	v_mul_f64 v[116:117], v[4:5], v[114:115]
	s_delay_alu instid0(VALU_DEP_1) | instskip(SKIP_1) | instid1(VALU_DEP_1)
	v_fma_f64 v[116:117], v[2:3], v[112:113], -v[116:117]
	v_mul_f64 v[2:3], v[2:3], v[114:115]
	v_fma_f64 v[118:119], v[4:5], v[112:113], v[2:3]
	scratch_load_b128 v[2:5], off, s6
	s_waitcnt vmcnt(0)
	v_add_f64 v[2:3], v[2:3], -v[116:117]
	v_add_f64 v[4:5], v[4:5], -v[118:119]
	scratch_store_b128 off, v[2:5], s6
	ds_load_2addr_b64 v[2:5], v7 offset0:8 offset1:9
	s_add_i32 s6, s5, 0x200
	s_addk_i32 s5, 0x210
	s_cmpk_lg_i32 s4, 0x240
	s_waitcnt lgkmcnt(0)
	v_mul_f64 v[116:117], v[4:5], v[114:115]
	s_delay_alu instid0(VALU_DEP_1) | instskip(SKIP_1) | instid1(VALU_DEP_1)
	v_fma_f64 v[116:117], v[2:3], v[112:113], -v[116:117]
	v_mul_f64 v[2:3], v[2:3], v[114:115]
	v_fma_f64 v[118:119], v[4:5], v[112:113], v[2:3]
	scratch_load_b128 v[2:5], off, s6
	s_waitcnt vmcnt(0)
	v_add_f64 v[2:3], v[2:3], -v[116:117]
	v_add_f64 v[4:5], v[4:5], -v[118:119]
	scratch_store_b128 off, v[2:5], s6
	ds_load_2addr_b64 v[2:5], v7 offset0:10 offset1:11
	s_waitcnt lgkmcnt(0)
	v_mul_f64 v[116:117], v[4:5], v[114:115]
	s_delay_alu instid0(VALU_DEP_1) | instskip(SKIP_1) | instid1(VALU_DEP_1)
	v_fma_f64 v[116:117], v[2:3], v[112:113], -v[116:117]
	v_mul_f64 v[2:3], v[2:3], v[114:115]
	v_fma_f64 v[118:119], v[4:5], v[112:113], v[2:3]
	scratch_load_b128 v[2:5], off, s5
	s_waitcnt vmcnt(0)
	v_add_f64 v[2:3], v[2:3], -v[116:117]
	v_add_f64 v[4:5], v[4:5], -v[118:119]
	scratch_store_b128 off, v[2:5], s5
	s_cbranch_scc1 .LBB127_362
.LBB127_363:
	s_or_b32 exec_lo, exec_lo, s3
	s_delay_alu instid0(SALU_CYCLE_1)
	s_mov_b32 s4, exec_lo
	s_waitcnt lgkmcnt(0)
	s_waitcnt_vscnt null, 0x0
	s_barrier
	buffer_gl0_inv
	v_cmpx_eq_u32_e32 28, v254
	s_cbranch_execz .LBB127_370
; %bb.364:
	scratch_load_b32 v0, off, off offset:1168 ; 4-byte Folded Reload
	s_waitcnt vmcnt(0)
	scratch_load_b128 v[0:3], v0, off
	scratch_load_b32 v4, off, off offset:1024 ; 4-byte Folded Reload
	s_waitcnt vmcnt(0)
	ds_store_2addr_b64 v4, v[0:1], v[2:3] offset1:1
	scratch_load_b32 v0, off, off offset:1164 ; 4-byte Folded Reload
	s_waitcnt vmcnt(0)
	scratch_load_b128 v[0:3], v0, off
	s_waitcnt vmcnt(0)
	ds_store_2addr_b64 v6, v[0:1], v[2:3] offset0:58 offset1:59
	scratch_load_b32 v0, off, off offset:1160 ; 4-byte Folded Reload
	s_waitcnt vmcnt(0)
	scratch_load_b128 v[0:3], v0, off
	s_waitcnt vmcnt(0)
	ds_store_2addr_b64 v6, v[0:1], v[2:3] offset0:60 offset1:61
	;; [unrolled: 5-line block ×35, first 2 shown]
	ds_load_2addr_b64 v[112:115], v4 offset1:1
	s_waitcnt lgkmcnt(0)
	v_cmp_neq_f64_e32 vcc_lo, 0, v[112:113]
	v_cmp_neq_f64_e64 s3, 0, v[114:115]
	s_delay_alu instid0(VALU_DEP_1) | instskip(NEXT) | instid1(SALU_CYCLE_1)
	s_or_b32 s3, vcc_lo, s3
	s_and_b32 exec_lo, exec_lo, s3
	s_cbranch_execz .LBB127_370
; %bb.365:
	v_cmp_gt_f64_e32 vcc_lo, 0, v[112:113]
	v_xor_b32_e32 v0, 0x80000000, v113
	v_xor_b32_e32 v2, 0x80000000, v115
	s_mov_b32 s3, exec_lo
                                        ; implicit-def: $vgpr4_vgpr5
	s_delay_alu instid0(VALU_DEP_2) | instskip(SKIP_4) | instid1(VALU_DEP_1)
	v_cndmask_b32_e32 v1, v113, v0, vcc_lo
	v_cndmask_b32_e32 v0, v112, v112, vcc_lo
	v_cmp_gt_f64_e32 vcc_lo, 0, v[114:115]
	v_cndmask_b32_e32 v3, v115, v2, vcc_lo
	v_cndmask_b32_e32 v2, v114, v114, vcc_lo
	v_cmpx_ngt_f64_e32 v[0:1], v[2:3]
	s_xor_b32 s3, exec_lo, s3
                                        ; implicit-def: $vgpr0_vgpr1_vgpr2_vgpr3
	s_cbranch_execz .LBB127_367
; %bb.366:
	v_div_scale_f64 v[0:1], null, v[114:115], v[114:115], v[112:113]
	v_div_scale_f64 v[116:117], vcc_lo, v[112:113], v[114:115], v[112:113]
	s_delay_alu instid0(VALU_DEP_2) | instskip(SKIP_2) | instid1(VALU_DEP_1)
	v_rcp_f64_e32 v[2:3], v[0:1]
	s_waitcnt_depctr 0xfff
	v_fma_f64 v[4:5], -v[0:1], v[2:3], 1.0
	v_fma_f64 v[2:3], v[2:3], v[4:5], v[2:3]
	s_delay_alu instid0(VALU_DEP_1) | instskip(NEXT) | instid1(VALU_DEP_1)
	v_fma_f64 v[4:5], -v[0:1], v[2:3], 1.0
	v_fma_f64 v[2:3], v[2:3], v[4:5], v[2:3]
	s_delay_alu instid0(VALU_DEP_1) | instskip(NEXT) | instid1(VALU_DEP_1)
	v_mul_f64 v[4:5], v[116:117], v[2:3]
	v_fma_f64 v[0:1], -v[0:1], v[4:5], v[116:117]
	s_delay_alu instid0(VALU_DEP_1) | instskip(NEXT) | instid1(VALU_DEP_1)
	v_div_fmas_f64 v[0:1], v[0:1], v[2:3], v[4:5]
	v_div_fixup_f64 v[0:1], v[0:1], v[114:115], v[112:113]
	s_delay_alu instid0(VALU_DEP_1) | instskip(NEXT) | instid1(VALU_DEP_1)
	v_fma_f64 v[2:3], v[112:113], v[0:1], v[114:115]
	v_div_scale_f64 v[4:5], null, v[2:3], v[2:3], 1.0
	s_delay_alu instid0(VALU_DEP_1) | instskip(SKIP_2) | instid1(VALU_DEP_1)
	v_rcp_f64_e32 v[112:113], v[4:5]
	s_waitcnt_depctr 0xfff
	v_fma_f64 v[114:115], -v[4:5], v[112:113], 1.0
	v_fma_f64 v[112:113], v[112:113], v[114:115], v[112:113]
	s_delay_alu instid0(VALU_DEP_1) | instskip(NEXT) | instid1(VALU_DEP_1)
	v_fma_f64 v[114:115], -v[4:5], v[112:113], 1.0
	v_fma_f64 v[112:113], v[112:113], v[114:115], v[112:113]
	v_div_scale_f64 v[114:115], vcc_lo, 1.0, v[2:3], 1.0
	s_delay_alu instid0(VALU_DEP_1) | instskip(NEXT) | instid1(VALU_DEP_1)
	v_mul_f64 v[116:117], v[114:115], v[112:113]
	v_fma_f64 v[4:5], -v[4:5], v[116:117], v[114:115]
	s_delay_alu instid0(VALU_DEP_1) | instskip(NEXT) | instid1(VALU_DEP_1)
	v_div_fmas_f64 v[4:5], v[4:5], v[112:113], v[116:117]
                                        ; implicit-def: $vgpr112_vgpr113
	v_div_fixup_f64 v[2:3], v[4:5], v[2:3], 1.0
	s_delay_alu instid0(VALU_DEP_1)
	v_mul_f64 v[4:5], v[0:1], v[2:3]
	v_xor_b32_e32 v3, 0x80000000, v3
.LBB127_367:
	s_and_not1_saveexec_b32 s3, s3
	s_cbranch_execz .LBB127_369
; %bb.368:
	v_div_scale_f64 v[0:1], null, v[112:113], v[112:113], v[114:115]
	v_div_scale_f64 v[116:117], vcc_lo, v[114:115], v[112:113], v[114:115]
	s_delay_alu instid0(VALU_DEP_2) | instskip(SKIP_2) | instid1(VALU_DEP_1)
	v_rcp_f64_e32 v[2:3], v[0:1]
	s_waitcnt_depctr 0xfff
	v_fma_f64 v[4:5], -v[0:1], v[2:3], 1.0
	v_fma_f64 v[2:3], v[2:3], v[4:5], v[2:3]
	s_delay_alu instid0(VALU_DEP_1) | instskip(NEXT) | instid1(VALU_DEP_1)
	v_fma_f64 v[4:5], -v[0:1], v[2:3], 1.0
	v_fma_f64 v[2:3], v[2:3], v[4:5], v[2:3]
	s_delay_alu instid0(VALU_DEP_1) | instskip(NEXT) | instid1(VALU_DEP_1)
	v_mul_f64 v[4:5], v[116:117], v[2:3]
	v_fma_f64 v[0:1], -v[0:1], v[4:5], v[116:117]
	s_delay_alu instid0(VALU_DEP_1) | instskip(NEXT) | instid1(VALU_DEP_1)
	v_div_fmas_f64 v[0:1], v[0:1], v[2:3], v[4:5]
	v_div_fixup_f64 v[0:1], v[0:1], v[112:113], v[114:115]
	s_delay_alu instid0(VALU_DEP_1) | instskip(NEXT) | instid1(VALU_DEP_1)
	v_fma_f64 v[2:3], v[114:115], v[0:1], v[112:113]
	v_div_scale_f64 v[4:5], null, v[2:3], v[2:3], 1.0
	s_delay_alu instid0(VALU_DEP_1) | instskip(SKIP_2) | instid1(VALU_DEP_1)
	v_rcp_f64_e32 v[112:113], v[4:5]
	s_waitcnt_depctr 0xfff
	v_fma_f64 v[114:115], -v[4:5], v[112:113], 1.0
	v_fma_f64 v[112:113], v[112:113], v[114:115], v[112:113]
	s_delay_alu instid0(VALU_DEP_1) | instskip(NEXT) | instid1(VALU_DEP_1)
	v_fma_f64 v[114:115], -v[4:5], v[112:113], 1.0
	v_fma_f64 v[112:113], v[112:113], v[114:115], v[112:113]
	v_div_scale_f64 v[114:115], vcc_lo, 1.0, v[2:3], 1.0
	s_delay_alu instid0(VALU_DEP_1) | instskip(NEXT) | instid1(VALU_DEP_1)
	v_mul_f64 v[116:117], v[114:115], v[112:113]
	v_fma_f64 v[4:5], -v[4:5], v[116:117], v[114:115]
	s_delay_alu instid0(VALU_DEP_1) | instskip(NEXT) | instid1(VALU_DEP_1)
	v_div_fmas_f64 v[4:5], v[4:5], v[112:113], v[116:117]
	v_div_fixup_f64 v[4:5], v[4:5], v[2:3], 1.0
	s_delay_alu instid0(VALU_DEP_1)
	v_mul_f64 v[2:3], v[0:1], -v[4:5]
.LBB127_369:
	s_or_b32 exec_lo, exec_lo, s3
	scratch_load_b32 v0, off, off offset:1024 ; 4-byte Folded Reload
	s_waitcnt vmcnt(0)
	ds_store_2addr_b64 v0, v[4:5], v[2:3] offset1:1
.LBB127_370:
	s_or_b32 exec_lo, exec_lo, s4
	s_waitcnt lgkmcnt(0)
	s_barrier
	buffer_gl0_inv
	scratch_load_b32 v0, off, off offset:1024 ; 4-byte Folded Reload
	s_mov_b32 s3, exec_lo
	s_waitcnt vmcnt(0)
	ds_load_2addr_b64 v[112:115], v0 offset1:1
	v_cmpx_lt_u32_e32 28, v254
	s_cbranch_execz .LBB127_373
; %bb.371:
	scratch_load_b128 v[0:3], off, off offset:448
	s_mov_b32 s4, 0
	s_waitcnt vmcnt(0) lgkmcnt(0)
	v_mul_f64 v[4:5], v[114:115], v[2:3]
	v_mul_f64 v[2:3], v[112:113], v[2:3]
	s_delay_alu instid0(VALU_DEP_2) | instskip(NEXT) | instid1(VALU_DEP_2)
	v_fma_f64 v[116:117], v[112:113], v[0:1], -v[4:5]
	v_fma_f64 v[118:119], v[114:115], v[0:1], v[2:3]
	v_add3_u32 v0, v188, 0, 0x1d0
	v_mov_b32_e32 v1, 0
	scratch_store_b128 off, v[116:119], off offset:448
.LBB127_372:                            ; =>This Inner Loop Header: Depth=1
	v_add_nc_u32_e32 v7, s4, v0
	v_readfirstlane_b32 s5, v1
	ds_load_2addr_b64 v[2:5], v7 offset1:1
	s_add_i32 s5, s5, s4
	s_addk_i32 s4, 0x70
	s_add_i32 s6, s5, 0x1d0
	s_waitcnt lgkmcnt(0)
	v_mul_f64 v[120:121], v[4:5], v[118:119]
	s_delay_alu instid0(VALU_DEP_1) | instskip(SKIP_1) | instid1(VALU_DEP_1)
	v_fma_f64 v[120:121], v[2:3], v[116:117], -v[120:121]
	v_mul_f64 v[2:3], v[2:3], v[118:119]
	v_fma_f64 v[122:123], v[4:5], v[116:117], v[2:3]
	scratch_load_b128 v[2:5], off, s6
	s_waitcnt vmcnt(0)
	v_add_f64 v[2:3], v[2:3], -v[120:121]
	v_add_f64 v[4:5], v[4:5], -v[122:123]
	scratch_store_b128 off, v[2:5], s6
	ds_load_2addr_b64 v[2:5], v7 offset0:2 offset1:3
	s_add_i32 s6, s5, 0x1e0
	s_waitcnt lgkmcnt(0)
	v_mul_f64 v[120:121], v[4:5], v[118:119]
	s_delay_alu instid0(VALU_DEP_1) | instskip(SKIP_1) | instid1(VALU_DEP_1)
	v_fma_f64 v[120:121], v[2:3], v[116:117], -v[120:121]
	v_mul_f64 v[2:3], v[2:3], v[118:119]
	v_fma_f64 v[122:123], v[4:5], v[116:117], v[2:3]
	scratch_load_b128 v[2:5], off, s6
	s_waitcnt vmcnt(0)
	v_add_f64 v[2:3], v[2:3], -v[120:121]
	v_add_f64 v[4:5], v[4:5], -v[122:123]
	scratch_store_b128 off, v[2:5], s6
	ds_load_2addr_b64 v[2:5], v7 offset0:4 offset1:5
	;; [unrolled: 13-line block ×5, first 2 shown]
	s_add_i32 s6, s5, 0x220
	s_addk_i32 s5, 0x230
	s_cmpk_lg_i32 s4, 0x230
	s_waitcnt lgkmcnt(0)
	v_mul_f64 v[120:121], v[4:5], v[118:119]
	s_delay_alu instid0(VALU_DEP_1) | instskip(SKIP_1) | instid1(VALU_DEP_1)
	v_fma_f64 v[120:121], v[2:3], v[116:117], -v[120:121]
	v_mul_f64 v[2:3], v[2:3], v[118:119]
	v_fma_f64 v[116:117], v[4:5], v[116:117], v[2:3]
	scratch_load_b128 v[2:5], off, s6
	s_waitcnt vmcnt(0)
	v_add_f64 v[4:5], v[4:5], -v[116:117]
	scratch_load_b128 v[116:119], off, off offset:448
	v_add_f64 v[2:3], v[2:3], -v[120:121]
	scratch_store_b128 off, v[2:5], s6
	ds_load_2addr_b64 v[2:5], v7 offset0:12 offset1:13
	s_waitcnt vmcnt(0) lgkmcnt(0)
	v_mul_f64 v[120:121], v[4:5], v[118:119]
	s_delay_alu instid0(VALU_DEP_1) | instskip(SKIP_1) | instid1(VALU_DEP_1)
	v_fma_f64 v[120:121], v[2:3], v[116:117], -v[120:121]
	v_mul_f64 v[2:3], v[2:3], v[118:119]
	v_fma_f64 v[122:123], v[4:5], v[116:117], v[2:3]
	scratch_load_b128 v[2:5], off, s5
	s_waitcnt vmcnt(0)
	v_add_f64 v[2:3], v[2:3], -v[120:121]
	v_add_f64 v[4:5], v[4:5], -v[122:123]
	scratch_store_b128 off, v[2:5], s5
	s_cbranch_scc1 .LBB127_372
.LBB127_373:
	s_or_b32 exec_lo, exec_lo, s3
	s_delay_alu instid0(SALU_CYCLE_1)
	s_mov_b32 s4, exec_lo
	s_waitcnt lgkmcnt(0)
	s_waitcnt_vscnt null, 0x0
	s_barrier
	buffer_gl0_inv
	v_cmpx_eq_u32_e32 29, v254
	s_cbranch_execz .LBB127_380
; %bb.374:
	scratch_load_b32 v0, off, off offset:1164 ; 4-byte Folded Reload
	s_waitcnt vmcnt(0)
	scratch_load_b128 v[0:3], v0, off
	scratch_load_b32 v4, off, off offset:1024 ; 4-byte Folded Reload
	s_waitcnt vmcnt(0)
	ds_store_2addr_b64 v4, v[0:1], v[2:3] offset1:1
	scratch_load_b32 v0, off, off offset:1160 ; 4-byte Folded Reload
	s_waitcnt vmcnt(0)
	scratch_load_b128 v[0:3], v0, off
	s_waitcnt vmcnt(0)
	ds_store_2addr_b64 v6, v[0:1], v[2:3] offset0:60 offset1:61
	scratch_load_b32 v0, off, off offset:1156 ; 4-byte Folded Reload
	s_waitcnt vmcnt(0)
	scratch_load_b128 v[0:3], v0, off
	s_waitcnt vmcnt(0)
	ds_store_2addr_b64 v6, v[0:1], v[2:3] offset0:62 offset1:63
	;; [unrolled: 5-line block ×34, first 2 shown]
	ds_load_2addr_b64 v[116:119], v4 offset1:1
	s_waitcnt lgkmcnt(0)
	v_cmp_neq_f64_e32 vcc_lo, 0, v[116:117]
	v_cmp_neq_f64_e64 s3, 0, v[118:119]
	s_delay_alu instid0(VALU_DEP_1) | instskip(NEXT) | instid1(SALU_CYCLE_1)
	s_or_b32 s3, vcc_lo, s3
	s_and_b32 exec_lo, exec_lo, s3
	s_cbranch_execz .LBB127_380
; %bb.375:
	v_cmp_gt_f64_e32 vcc_lo, 0, v[116:117]
	v_xor_b32_e32 v0, 0x80000000, v117
	v_xor_b32_e32 v2, 0x80000000, v119
	s_mov_b32 s3, exec_lo
                                        ; implicit-def: $vgpr4_vgpr5
	s_delay_alu instid0(VALU_DEP_2) | instskip(SKIP_4) | instid1(VALU_DEP_1)
	v_cndmask_b32_e32 v1, v117, v0, vcc_lo
	v_cndmask_b32_e32 v0, v116, v116, vcc_lo
	v_cmp_gt_f64_e32 vcc_lo, 0, v[118:119]
	v_cndmask_b32_e32 v3, v119, v2, vcc_lo
	v_cndmask_b32_e32 v2, v118, v118, vcc_lo
	v_cmpx_ngt_f64_e32 v[0:1], v[2:3]
	s_xor_b32 s3, exec_lo, s3
                                        ; implicit-def: $vgpr0_vgpr1_vgpr2_vgpr3
	s_cbranch_execz .LBB127_377
; %bb.376:
	v_div_scale_f64 v[0:1], null, v[118:119], v[118:119], v[116:117]
	v_div_scale_f64 v[120:121], vcc_lo, v[116:117], v[118:119], v[116:117]
	s_delay_alu instid0(VALU_DEP_2) | instskip(SKIP_2) | instid1(VALU_DEP_1)
	v_rcp_f64_e32 v[2:3], v[0:1]
	s_waitcnt_depctr 0xfff
	v_fma_f64 v[4:5], -v[0:1], v[2:3], 1.0
	v_fma_f64 v[2:3], v[2:3], v[4:5], v[2:3]
	s_delay_alu instid0(VALU_DEP_1) | instskip(NEXT) | instid1(VALU_DEP_1)
	v_fma_f64 v[4:5], -v[0:1], v[2:3], 1.0
	v_fma_f64 v[2:3], v[2:3], v[4:5], v[2:3]
	s_delay_alu instid0(VALU_DEP_1) | instskip(NEXT) | instid1(VALU_DEP_1)
	v_mul_f64 v[4:5], v[120:121], v[2:3]
	v_fma_f64 v[0:1], -v[0:1], v[4:5], v[120:121]
	s_delay_alu instid0(VALU_DEP_1) | instskip(NEXT) | instid1(VALU_DEP_1)
	v_div_fmas_f64 v[0:1], v[0:1], v[2:3], v[4:5]
	v_div_fixup_f64 v[0:1], v[0:1], v[118:119], v[116:117]
	s_delay_alu instid0(VALU_DEP_1) | instskip(NEXT) | instid1(VALU_DEP_1)
	v_fma_f64 v[2:3], v[116:117], v[0:1], v[118:119]
	v_div_scale_f64 v[4:5], null, v[2:3], v[2:3], 1.0
	s_delay_alu instid0(VALU_DEP_1) | instskip(SKIP_2) | instid1(VALU_DEP_1)
	v_rcp_f64_e32 v[116:117], v[4:5]
	s_waitcnt_depctr 0xfff
	v_fma_f64 v[118:119], -v[4:5], v[116:117], 1.0
	v_fma_f64 v[116:117], v[116:117], v[118:119], v[116:117]
	s_delay_alu instid0(VALU_DEP_1) | instskip(NEXT) | instid1(VALU_DEP_1)
	v_fma_f64 v[118:119], -v[4:5], v[116:117], 1.0
	v_fma_f64 v[116:117], v[116:117], v[118:119], v[116:117]
	v_div_scale_f64 v[118:119], vcc_lo, 1.0, v[2:3], 1.0
	s_delay_alu instid0(VALU_DEP_1) | instskip(NEXT) | instid1(VALU_DEP_1)
	v_mul_f64 v[120:121], v[118:119], v[116:117]
	v_fma_f64 v[4:5], -v[4:5], v[120:121], v[118:119]
	s_delay_alu instid0(VALU_DEP_1) | instskip(NEXT) | instid1(VALU_DEP_1)
	v_div_fmas_f64 v[4:5], v[4:5], v[116:117], v[120:121]
                                        ; implicit-def: $vgpr116_vgpr117
	v_div_fixup_f64 v[2:3], v[4:5], v[2:3], 1.0
	s_delay_alu instid0(VALU_DEP_1)
	v_mul_f64 v[4:5], v[0:1], v[2:3]
	v_xor_b32_e32 v3, 0x80000000, v3
.LBB127_377:
	s_and_not1_saveexec_b32 s3, s3
	s_cbranch_execz .LBB127_379
; %bb.378:
	v_div_scale_f64 v[0:1], null, v[116:117], v[116:117], v[118:119]
	v_div_scale_f64 v[120:121], vcc_lo, v[118:119], v[116:117], v[118:119]
	s_delay_alu instid0(VALU_DEP_2) | instskip(SKIP_2) | instid1(VALU_DEP_1)
	v_rcp_f64_e32 v[2:3], v[0:1]
	s_waitcnt_depctr 0xfff
	v_fma_f64 v[4:5], -v[0:1], v[2:3], 1.0
	v_fma_f64 v[2:3], v[2:3], v[4:5], v[2:3]
	s_delay_alu instid0(VALU_DEP_1) | instskip(NEXT) | instid1(VALU_DEP_1)
	v_fma_f64 v[4:5], -v[0:1], v[2:3], 1.0
	v_fma_f64 v[2:3], v[2:3], v[4:5], v[2:3]
	s_delay_alu instid0(VALU_DEP_1) | instskip(NEXT) | instid1(VALU_DEP_1)
	v_mul_f64 v[4:5], v[120:121], v[2:3]
	v_fma_f64 v[0:1], -v[0:1], v[4:5], v[120:121]
	s_delay_alu instid0(VALU_DEP_1) | instskip(NEXT) | instid1(VALU_DEP_1)
	v_div_fmas_f64 v[0:1], v[0:1], v[2:3], v[4:5]
	v_div_fixup_f64 v[0:1], v[0:1], v[116:117], v[118:119]
	s_delay_alu instid0(VALU_DEP_1) | instskip(NEXT) | instid1(VALU_DEP_1)
	v_fma_f64 v[2:3], v[118:119], v[0:1], v[116:117]
	v_div_scale_f64 v[4:5], null, v[2:3], v[2:3], 1.0
	s_delay_alu instid0(VALU_DEP_1) | instskip(SKIP_2) | instid1(VALU_DEP_1)
	v_rcp_f64_e32 v[116:117], v[4:5]
	s_waitcnt_depctr 0xfff
	v_fma_f64 v[118:119], -v[4:5], v[116:117], 1.0
	v_fma_f64 v[116:117], v[116:117], v[118:119], v[116:117]
	s_delay_alu instid0(VALU_DEP_1) | instskip(NEXT) | instid1(VALU_DEP_1)
	v_fma_f64 v[118:119], -v[4:5], v[116:117], 1.0
	v_fma_f64 v[116:117], v[116:117], v[118:119], v[116:117]
	v_div_scale_f64 v[118:119], vcc_lo, 1.0, v[2:3], 1.0
	s_delay_alu instid0(VALU_DEP_1) | instskip(NEXT) | instid1(VALU_DEP_1)
	v_mul_f64 v[120:121], v[118:119], v[116:117]
	v_fma_f64 v[4:5], -v[4:5], v[120:121], v[118:119]
	s_delay_alu instid0(VALU_DEP_1) | instskip(NEXT) | instid1(VALU_DEP_1)
	v_div_fmas_f64 v[4:5], v[4:5], v[116:117], v[120:121]
	v_div_fixup_f64 v[4:5], v[4:5], v[2:3], 1.0
	s_delay_alu instid0(VALU_DEP_1)
	v_mul_f64 v[2:3], v[0:1], -v[4:5]
.LBB127_379:
	s_or_b32 exec_lo, exec_lo, s3
	scratch_load_b32 v0, off, off offset:1024 ; 4-byte Folded Reload
	s_waitcnt vmcnt(0)
	ds_store_2addr_b64 v0, v[4:5], v[2:3] offset1:1
.LBB127_380:
	s_or_b32 exec_lo, exec_lo, s4
	s_waitcnt lgkmcnt(0)
	s_barrier
	buffer_gl0_inv
	scratch_load_b32 v0, off, off offset:1024 ; 4-byte Folded Reload
	s_mov_b32 s3, exec_lo
	s_waitcnt vmcnt(0)
	ds_load_2addr_b64 v[116:119], v0 offset1:1
	v_cmpx_lt_u32_e32 29, v254
	s_cbranch_execz .LBB127_383
; %bb.381:
	scratch_load_b128 v[0:3], off, off offset:464
	s_mov_b32 s4, 0
	s_waitcnt vmcnt(0) lgkmcnt(0)
	v_mul_f64 v[4:5], v[118:119], v[2:3]
	v_mul_f64 v[2:3], v[116:117], v[2:3]
	s_delay_alu instid0(VALU_DEP_2) | instskip(NEXT) | instid1(VALU_DEP_2)
	v_fma_f64 v[120:121], v[116:117], v[0:1], -v[4:5]
	v_fma_f64 v[122:123], v[118:119], v[0:1], v[2:3]
	v_add3_u32 v0, v188, 0, 0x1e0
	scratch_store_b128 off, v[120:123], off offset:464
	s_set_inst_prefetch_distance 0x1
	.p2align	6
.LBB127_382:                            ; =>This Inner Loop Header: Depth=1
	v_add_nc_u32_e32 v5, s4, v0
	v_add_nc_u32_e64 v7, s4, 0
	s_add_i32 s4, s4, 32
	s_delay_alu instid0(SALU_CYCLE_1) | instskip(SKIP_4) | instid1(VALU_DEP_1)
	s_cmpk_lg_i32 s4, 0x220
	ds_load_2addr_b64 v[1:4], v5 offset1:1
	v_add_nc_u32_e32 v128, 0x1e0, v7
	s_waitcnt lgkmcnt(0)
	v_mul_f64 v[124:125], v[3:4], v[122:123]
	v_fma_f64 v[124:125], v[1:2], v[120:121], -v[124:125]
	v_mul_f64 v[1:2], v[1:2], v[122:123]
	s_delay_alu instid0(VALU_DEP_1)
	v_fma_f64 v[126:127], v[3:4], v[120:121], v[1:2]
	scratch_load_b128 v[1:4], v128, off
	s_waitcnt vmcnt(0)
	v_add_f64 v[1:2], v[1:2], -v[124:125]
	v_add_f64 v[3:4], v[3:4], -v[126:127]
	scratch_store_b128 v128, v[1:4], off
	ds_load_2addr_b64 v[1:4], v5 offset0:2 offset1:3
	v_add_nc_u32_e32 v5, 0x1f0, v7
	s_waitcnt lgkmcnt(0)
	v_mul_f64 v[124:125], v[3:4], v[122:123]
	s_delay_alu instid0(VALU_DEP_1) | instskip(SKIP_1) | instid1(VALU_DEP_1)
	v_fma_f64 v[124:125], v[1:2], v[120:121], -v[124:125]
	v_mul_f64 v[1:2], v[1:2], v[122:123]
	v_fma_f64 v[126:127], v[3:4], v[120:121], v[1:2]
	scratch_load_b128 v[1:4], v5, off
	s_waitcnt vmcnt(0)
	v_add_f64 v[1:2], v[1:2], -v[124:125]
	v_add_f64 v[3:4], v[3:4], -v[126:127]
	scratch_store_b128 v5, v[1:4], off
	s_cbranch_scc1 .LBB127_382
.LBB127_383:
	s_set_inst_prefetch_distance 0x2
	s_or_b32 exec_lo, exec_lo, s3
	s_delay_alu instid0(SALU_CYCLE_1)
	s_mov_b32 s4, exec_lo
	s_waitcnt lgkmcnt(0)
	s_waitcnt_vscnt null, 0x0
	s_barrier
	buffer_gl0_inv
	v_cmpx_eq_u32_e32 30, v254
	s_cbranch_execz .LBB127_390
; %bb.384:
	scratch_load_b32 v0, off, off offset:1160 ; 4-byte Folded Reload
	s_waitcnt vmcnt(0)
	scratch_load_b128 v[0:3], v0, off
	scratch_load_b32 v4, off, off offset:1024 ; 4-byte Folded Reload
	s_waitcnt vmcnt(0)
	ds_store_2addr_b64 v4, v[0:1], v[2:3] offset1:1
	scratch_load_b32 v0, off, off offset:1156 ; 4-byte Folded Reload
	s_waitcnt vmcnt(0)
	scratch_load_b128 v[0:3], v0, off
	s_waitcnt vmcnt(0)
	ds_store_2addr_b64 v6, v[0:1], v[2:3] offset0:62 offset1:63
	scratch_load_b32 v0, off, off offset:1152 ; 4-byte Folded Reload
	s_waitcnt vmcnt(0)
	scratch_load_b128 v[0:3], v0, off
	s_waitcnt vmcnt(0)
	ds_store_2addr_b64 v6, v[0:1], v[2:3] offset0:64 offset1:65
	scratch_load_b32 v0, off, off offset:1148 ; 4-byte Folded Reload
	s_waitcnt vmcnt(0)
	scratch_load_b128 v[0:3], v0, off
	s_waitcnt vmcnt(0)
	ds_store_2addr_b64 v6, v[0:1], v[2:3] offset0:66 offset1:67
	scratch_load_b32 v0, off, off offset:1144 ; 4-byte Folded Reload
	s_waitcnt vmcnt(0)
	scratch_load_b128 v[0:3], v0, off
	s_waitcnt vmcnt(0)
	ds_store_2addr_b64 v6, v[0:1], v[2:3] offset0:68 offset1:69
	scratch_load_b32 v0, off, off offset:1140 ; 4-byte Folded Reload
	s_waitcnt vmcnt(0)
	scratch_load_b128 v[0:3], v0, off
	s_waitcnt vmcnt(0)
	ds_store_2addr_b64 v6, v[0:1], v[2:3] offset0:70 offset1:71
	scratch_load_b32 v0, off, off offset:1136 ; 4-byte Folded Reload
	s_waitcnt vmcnt(0)
	scratch_load_b128 v[0:3], v0, off
	s_waitcnt vmcnt(0)
	ds_store_2addr_b64 v6, v[0:1], v[2:3] offset0:72 offset1:73
	scratch_load_b32 v0, off, off offset:1132 ; 4-byte Folded Reload
	s_waitcnt vmcnt(0)
	scratch_load_b128 v[0:3], v0, off
	s_waitcnt vmcnt(0)
	ds_store_2addr_b64 v6, v[0:1], v[2:3] offset0:74 offset1:75
	scratch_load_b32 v0, off, off offset:1128 ; 4-byte Folded Reload
	s_waitcnt vmcnt(0)
	scratch_load_b128 v[0:3], v0, off
	s_waitcnt vmcnt(0)
	ds_store_2addr_b64 v6, v[0:1], v[2:3] offset0:76 offset1:77
	scratch_load_b32 v0, off, off offset:1124 ; 4-byte Folded Reload
	s_waitcnt vmcnt(0)
	scratch_load_b128 v[0:3], v0, off
	s_waitcnt vmcnt(0)
	ds_store_2addr_b64 v6, v[0:1], v[2:3] offset0:78 offset1:79
	scratch_load_b32 v0, off, off offset:1120 ; 4-byte Folded Reload
	s_waitcnt vmcnt(0)
	scratch_load_b128 v[0:3], v0, off
	s_waitcnt vmcnt(0)
	ds_store_2addr_b64 v6, v[0:1], v[2:3] offset0:80 offset1:81
	scratch_load_b32 v0, off, off offset:1116 ; 4-byte Folded Reload
	s_waitcnt vmcnt(0)
	scratch_load_b128 v[0:3], v0, off
	s_waitcnt vmcnt(0)
	ds_store_2addr_b64 v6, v[0:1], v[2:3] offset0:82 offset1:83
	scratch_load_b32 v0, off, off offset:1112 ; 4-byte Folded Reload
	s_waitcnt vmcnt(0)
	scratch_load_b128 v[0:3], v0, off
	s_waitcnt vmcnt(0)
	ds_store_2addr_b64 v6, v[0:1], v[2:3] offset0:84 offset1:85
	scratch_load_b32 v0, off, off offset:1108 ; 4-byte Folded Reload
	s_waitcnt vmcnt(0)
	scratch_load_b128 v[0:3], v0, off
	s_waitcnt vmcnt(0)
	ds_store_2addr_b64 v6, v[0:1], v[2:3] offset0:86 offset1:87
	scratch_load_b32 v0, off, off offset:1104 ; 4-byte Folded Reload
	s_waitcnt vmcnt(0)
	scratch_load_b128 v[0:3], v0, off
	s_waitcnt vmcnt(0)
	ds_store_2addr_b64 v6, v[0:1], v[2:3] offset0:88 offset1:89
	scratch_load_b32 v0, off, off offset:1100 ; 4-byte Folded Reload
	s_waitcnt vmcnt(0)
	scratch_load_b128 v[0:3], v0, off
	s_waitcnt vmcnt(0)
	ds_store_2addr_b64 v6, v[0:1], v[2:3] offset0:90 offset1:91
	scratch_load_b32 v0, off, off offset:1096 ; 4-byte Folded Reload
	s_waitcnt vmcnt(0)
	scratch_load_b128 v[0:3], v0, off
	s_waitcnt vmcnt(0)
	ds_store_2addr_b64 v6, v[0:1], v[2:3] offset0:92 offset1:93
	scratch_load_b32 v0, off, off offset:1092 ; 4-byte Folded Reload
	s_waitcnt vmcnt(0)
	scratch_load_b128 v[0:3], v0, off
	s_waitcnt vmcnt(0)
	ds_store_2addr_b64 v6, v[0:1], v[2:3] offset0:94 offset1:95
	scratch_load_b32 v0, off, off offset:1088 ; 4-byte Folded Reload
	s_waitcnt vmcnt(0)
	scratch_load_b128 v[0:3], v0, off
	s_waitcnt vmcnt(0)
	ds_store_2addr_b64 v6, v[0:1], v[2:3] offset0:96 offset1:97
	scratch_load_b32 v0, off, off offset:1084 ; 4-byte Folded Reload
	s_waitcnt vmcnt(0)
	scratch_load_b128 v[0:3], v0, off
	s_waitcnt vmcnt(0)
	ds_store_2addr_b64 v6, v[0:1], v[2:3] offset0:98 offset1:99
	scratch_load_b32 v0, off, off offset:1080 ; 4-byte Folded Reload
	s_waitcnt vmcnt(0)
	scratch_load_b128 v[0:3], v0, off
	s_waitcnt vmcnt(0)
	ds_store_2addr_b64 v6, v[0:1], v[2:3] offset0:100 offset1:101
	scratch_load_b32 v0, off, off offset:1076 ; 4-byte Folded Reload
	s_waitcnt vmcnt(0)
	scratch_load_b128 v[0:3], v0, off
	s_waitcnt vmcnt(0)
	ds_store_2addr_b64 v6, v[0:1], v[2:3] offset0:102 offset1:103
	scratch_load_b32 v0, off, off offset:1072 ; 4-byte Folded Reload
	s_waitcnt vmcnt(0)
	scratch_load_b128 v[0:3], v0, off
	s_waitcnt vmcnt(0)
	ds_store_2addr_b64 v6, v[0:1], v[2:3] offset0:104 offset1:105
	scratch_load_b32 v0, off, off offset:1068 ; 4-byte Folded Reload
	s_waitcnt vmcnt(0)
	scratch_load_b128 v[0:3], v0, off
	s_waitcnt vmcnt(0)
	ds_store_2addr_b64 v6, v[0:1], v[2:3] offset0:106 offset1:107
	scratch_load_b32 v0, off, off offset:1064 ; 4-byte Folded Reload
	s_waitcnt vmcnt(0)
	scratch_load_b128 v[0:3], v0, off
	s_waitcnt vmcnt(0)
	ds_store_2addr_b64 v6, v[0:1], v[2:3] offset0:108 offset1:109
	scratch_load_b32 v0, off, off offset:1060 ; 4-byte Folded Reload
	s_waitcnt vmcnt(0)
	scratch_load_b128 v[0:3], v0, off
	s_waitcnt vmcnt(0)
	ds_store_2addr_b64 v6, v[0:1], v[2:3] offset0:110 offset1:111
	scratch_load_b32 v0, off, off offset:1056 ; 4-byte Folded Reload
	s_waitcnt vmcnt(0)
	scratch_load_b128 v[0:3], v0, off
	s_waitcnt vmcnt(0)
	ds_store_2addr_b64 v6, v[0:1], v[2:3] offset0:112 offset1:113
	scratch_load_b32 v0, off, off offset:1052 ; 4-byte Folded Reload
	s_waitcnt vmcnt(0)
	scratch_load_b128 v[0:3], v0, off
	s_waitcnt vmcnt(0)
	ds_store_2addr_b64 v6, v[0:1], v[2:3] offset0:114 offset1:115
	scratch_load_b32 v0, off, off offset:1048 ; 4-byte Folded Reload
	s_waitcnt vmcnt(0)
	scratch_load_b128 v[0:3], v0, off
	s_waitcnt vmcnt(0)
	ds_store_2addr_b64 v6, v[0:1], v[2:3] offset0:116 offset1:117
	scratch_load_b32 v0, off, off offset:1044 ; 4-byte Folded Reload
	s_waitcnt vmcnt(0)
	scratch_load_b128 v[0:3], v0, off
	s_waitcnt vmcnt(0)
	ds_store_2addr_b64 v6, v[0:1], v[2:3] offset0:118 offset1:119
	scratch_load_b32 v0, off, off offset:1040 ; 4-byte Folded Reload
	s_waitcnt vmcnt(0)
	scratch_load_b128 v[0:3], v0, off
	s_waitcnt vmcnt(0)
	ds_store_2addr_b64 v6, v[0:1], v[2:3] offset0:120 offset1:121
	scratch_load_b32 v0, off, off offset:1036 ; 4-byte Folded Reload
	s_waitcnt vmcnt(0)
	scratch_load_b128 v[0:3], v0, off
	s_waitcnt vmcnt(0)
	ds_store_2addr_b64 v6, v[0:1], v[2:3] offset0:122 offset1:123
	scratch_load_b32 v0, off, off offset:1032 ; 4-byte Folded Reload
	s_waitcnt vmcnt(0)
	scratch_load_b128 v[0:3], v0, off
	s_waitcnt vmcnt(0)
	ds_store_2addr_b64 v6, v[0:1], v[2:3] offset0:124 offset1:125
	scratch_load_b32 v0, off, off offset:1028 ; 4-byte Folded Reload
	s_waitcnt vmcnt(0)
	scratch_load_b128 v[0:3], v0, off
	s_waitcnt vmcnt(0)
	ds_store_2addr_b64 v6, v[0:1], v[2:3] offset0:126 offset1:127
	ds_load_2addr_b64 v[120:123], v4 offset1:1
	s_waitcnt lgkmcnt(0)
	v_cmp_neq_f64_e32 vcc_lo, 0, v[120:121]
	v_cmp_neq_f64_e64 s3, 0, v[122:123]
	s_delay_alu instid0(VALU_DEP_1) | instskip(NEXT) | instid1(SALU_CYCLE_1)
	s_or_b32 s3, vcc_lo, s3
	s_and_b32 exec_lo, exec_lo, s3
	s_cbranch_execz .LBB127_390
; %bb.385:
	v_cmp_gt_f64_e32 vcc_lo, 0, v[120:121]
	v_xor_b32_e32 v0, 0x80000000, v121
	v_xor_b32_e32 v2, 0x80000000, v123
	s_mov_b32 s3, exec_lo
                                        ; implicit-def: $vgpr4_vgpr5
	s_delay_alu instid0(VALU_DEP_2) | instskip(SKIP_4) | instid1(VALU_DEP_1)
	v_cndmask_b32_e32 v1, v121, v0, vcc_lo
	v_cndmask_b32_e32 v0, v120, v120, vcc_lo
	v_cmp_gt_f64_e32 vcc_lo, 0, v[122:123]
	v_cndmask_b32_e32 v3, v123, v2, vcc_lo
	v_cndmask_b32_e32 v2, v122, v122, vcc_lo
	v_cmpx_ngt_f64_e32 v[0:1], v[2:3]
	s_xor_b32 s3, exec_lo, s3
                                        ; implicit-def: $vgpr0_vgpr1_vgpr2_vgpr3
	s_cbranch_execz .LBB127_387
; %bb.386:
	v_div_scale_f64 v[0:1], null, v[122:123], v[122:123], v[120:121]
	v_div_scale_f64 v[124:125], vcc_lo, v[120:121], v[122:123], v[120:121]
	s_delay_alu instid0(VALU_DEP_2) | instskip(SKIP_2) | instid1(VALU_DEP_1)
	v_rcp_f64_e32 v[2:3], v[0:1]
	s_waitcnt_depctr 0xfff
	v_fma_f64 v[4:5], -v[0:1], v[2:3], 1.0
	v_fma_f64 v[2:3], v[2:3], v[4:5], v[2:3]
	s_delay_alu instid0(VALU_DEP_1) | instskip(NEXT) | instid1(VALU_DEP_1)
	v_fma_f64 v[4:5], -v[0:1], v[2:3], 1.0
	v_fma_f64 v[2:3], v[2:3], v[4:5], v[2:3]
	s_delay_alu instid0(VALU_DEP_1) | instskip(NEXT) | instid1(VALU_DEP_1)
	v_mul_f64 v[4:5], v[124:125], v[2:3]
	v_fma_f64 v[0:1], -v[0:1], v[4:5], v[124:125]
	s_delay_alu instid0(VALU_DEP_1) | instskip(NEXT) | instid1(VALU_DEP_1)
	v_div_fmas_f64 v[0:1], v[0:1], v[2:3], v[4:5]
	v_div_fixup_f64 v[0:1], v[0:1], v[122:123], v[120:121]
	s_delay_alu instid0(VALU_DEP_1) | instskip(NEXT) | instid1(VALU_DEP_1)
	v_fma_f64 v[2:3], v[120:121], v[0:1], v[122:123]
	v_div_scale_f64 v[4:5], null, v[2:3], v[2:3], 1.0
	s_delay_alu instid0(VALU_DEP_1) | instskip(SKIP_2) | instid1(VALU_DEP_1)
	v_rcp_f64_e32 v[120:121], v[4:5]
	s_waitcnt_depctr 0xfff
	v_fma_f64 v[122:123], -v[4:5], v[120:121], 1.0
	v_fma_f64 v[120:121], v[120:121], v[122:123], v[120:121]
	s_delay_alu instid0(VALU_DEP_1) | instskip(NEXT) | instid1(VALU_DEP_1)
	v_fma_f64 v[122:123], -v[4:5], v[120:121], 1.0
	v_fma_f64 v[120:121], v[120:121], v[122:123], v[120:121]
	v_div_scale_f64 v[122:123], vcc_lo, 1.0, v[2:3], 1.0
	s_delay_alu instid0(VALU_DEP_1) | instskip(NEXT) | instid1(VALU_DEP_1)
	v_mul_f64 v[124:125], v[122:123], v[120:121]
	v_fma_f64 v[4:5], -v[4:5], v[124:125], v[122:123]
	s_delay_alu instid0(VALU_DEP_1) | instskip(NEXT) | instid1(VALU_DEP_1)
	v_div_fmas_f64 v[4:5], v[4:5], v[120:121], v[124:125]
                                        ; implicit-def: $vgpr120_vgpr121
	v_div_fixup_f64 v[2:3], v[4:5], v[2:3], 1.0
	s_delay_alu instid0(VALU_DEP_1)
	v_mul_f64 v[4:5], v[0:1], v[2:3]
	v_xor_b32_e32 v3, 0x80000000, v3
.LBB127_387:
	s_and_not1_saveexec_b32 s3, s3
	s_cbranch_execz .LBB127_389
; %bb.388:
	v_div_scale_f64 v[0:1], null, v[120:121], v[120:121], v[122:123]
	v_div_scale_f64 v[124:125], vcc_lo, v[122:123], v[120:121], v[122:123]
	s_delay_alu instid0(VALU_DEP_2) | instskip(SKIP_2) | instid1(VALU_DEP_1)
	v_rcp_f64_e32 v[2:3], v[0:1]
	s_waitcnt_depctr 0xfff
	v_fma_f64 v[4:5], -v[0:1], v[2:3], 1.0
	v_fma_f64 v[2:3], v[2:3], v[4:5], v[2:3]
	s_delay_alu instid0(VALU_DEP_1) | instskip(NEXT) | instid1(VALU_DEP_1)
	v_fma_f64 v[4:5], -v[0:1], v[2:3], 1.0
	v_fma_f64 v[2:3], v[2:3], v[4:5], v[2:3]
	s_delay_alu instid0(VALU_DEP_1) | instskip(NEXT) | instid1(VALU_DEP_1)
	v_mul_f64 v[4:5], v[124:125], v[2:3]
	v_fma_f64 v[0:1], -v[0:1], v[4:5], v[124:125]
	s_delay_alu instid0(VALU_DEP_1) | instskip(NEXT) | instid1(VALU_DEP_1)
	v_div_fmas_f64 v[0:1], v[0:1], v[2:3], v[4:5]
	v_div_fixup_f64 v[0:1], v[0:1], v[120:121], v[122:123]
	s_delay_alu instid0(VALU_DEP_1) | instskip(NEXT) | instid1(VALU_DEP_1)
	v_fma_f64 v[2:3], v[122:123], v[0:1], v[120:121]
	v_div_scale_f64 v[4:5], null, v[2:3], v[2:3], 1.0
	s_delay_alu instid0(VALU_DEP_1) | instskip(SKIP_2) | instid1(VALU_DEP_1)
	v_rcp_f64_e32 v[120:121], v[4:5]
	s_waitcnt_depctr 0xfff
	v_fma_f64 v[122:123], -v[4:5], v[120:121], 1.0
	v_fma_f64 v[120:121], v[120:121], v[122:123], v[120:121]
	s_delay_alu instid0(VALU_DEP_1) | instskip(NEXT) | instid1(VALU_DEP_1)
	v_fma_f64 v[122:123], -v[4:5], v[120:121], 1.0
	v_fma_f64 v[120:121], v[120:121], v[122:123], v[120:121]
	v_div_scale_f64 v[122:123], vcc_lo, 1.0, v[2:3], 1.0
	s_delay_alu instid0(VALU_DEP_1) | instskip(NEXT) | instid1(VALU_DEP_1)
	v_mul_f64 v[124:125], v[122:123], v[120:121]
	v_fma_f64 v[4:5], -v[4:5], v[124:125], v[122:123]
	s_delay_alu instid0(VALU_DEP_1) | instskip(NEXT) | instid1(VALU_DEP_1)
	v_div_fmas_f64 v[4:5], v[4:5], v[120:121], v[124:125]
	v_div_fixup_f64 v[4:5], v[4:5], v[2:3], 1.0
	s_delay_alu instid0(VALU_DEP_1)
	v_mul_f64 v[2:3], v[0:1], -v[4:5]
.LBB127_389:
	s_or_b32 exec_lo, exec_lo, s3
	scratch_load_b32 v0, off, off offset:1024 ; 4-byte Folded Reload
	s_waitcnt vmcnt(0)
	ds_store_2addr_b64 v0, v[4:5], v[2:3] offset1:1
.LBB127_390:
	s_or_b32 exec_lo, exec_lo, s4
	s_waitcnt lgkmcnt(0)
	s_barrier
	buffer_gl0_inv
	scratch_load_b32 v0, off, off offset:1024 ; 4-byte Folded Reload
	s_mov_b32 s3, exec_lo
	s_waitcnt vmcnt(0)
	ds_load_2addr_b64 v[120:123], v0 offset1:1
	v_cmpx_lt_u32_e32 30, v254
	s_cbranch_execz .LBB127_393
; %bb.391:
	scratch_load_b128 v[0:3], off, off offset:480
	s_mov_b32 s4, 0
	s_waitcnt vmcnt(0) lgkmcnt(0)
	v_mul_f64 v[4:5], v[122:123], v[2:3]
	v_mul_f64 v[2:3], v[120:121], v[2:3]
	s_delay_alu instid0(VALU_DEP_2) | instskip(NEXT) | instid1(VALU_DEP_2)
	v_fma_f64 v[124:125], v[120:121], v[0:1], -v[4:5]
	v_fma_f64 v[126:127], v[122:123], v[0:1], v[2:3]
	v_add3_u32 v0, v188, 0, 0x1f0
	v_mov_b32_e32 v1, 0
	scratch_store_b128 off, v[124:127], off offset:480
.LBB127_392:                            ; =>This Inner Loop Header: Depth=1
	v_add_nc_u32_e32 v7, s4, v0
	v_readfirstlane_b32 s5, v1
	ds_load_2addr_b64 v[2:5], v7 offset1:1
	s_add_i32 s5, s5, s4
	s_add_i32 s4, s4, 48
	;; [unrolled: 1-line block ×3, first 2 shown]
	s_waitcnt lgkmcnt(0)
	v_mul_f64 v[128:129], v[4:5], v[126:127]
	s_delay_alu instid0(VALU_DEP_1) | instskip(SKIP_1) | instid1(VALU_DEP_1)
	v_fma_f64 v[128:129], v[2:3], v[124:125], -v[128:129]
	v_mul_f64 v[2:3], v[2:3], v[126:127]
	v_fma_f64 v[130:131], v[4:5], v[124:125], v[2:3]
	scratch_load_b128 v[2:5], off, s6
	s_waitcnt vmcnt(0)
	v_add_f64 v[2:3], v[2:3], -v[128:129]
	v_add_f64 v[4:5], v[4:5], -v[130:131]
	scratch_store_b128 off, v[2:5], s6
	ds_load_2addr_b64 v[2:5], v7 offset0:2 offset1:3
	s_add_i32 s6, s5, 0x200
	s_addk_i32 s5, 0x210
	s_cmpk_lg_i32 s4, 0x210
	s_waitcnt lgkmcnt(0)
	v_mul_f64 v[128:129], v[4:5], v[126:127]
	s_delay_alu instid0(VALU_DEP_1) | instskip(SKIP_1) | instid1(VALU_DEP_1)
	v_fma_f64 v[128:129], v[2:3], v[124:125], -v[128:129]
	v_mul_f64 v[2:3], v[2:3], v[126:127]
	v_fma_f64 v[130:131], v[4:5], v[124:125], v[2:3]
	scratch_load_b128 v[2:5], off, s6
	s_waitcnt vmcnt(0)
	v_add_f64 v[2:3], v[2:3], -v[128:129]
	v_add_f64 v[4:5], v[4:5], -v[130:131]
	scratch_store_b128 off, v[2:5], s6
	ds_load_2addr_b64 v[2:5], v7 offset0:4 offset1:5
	s_waitcnt lgkmcnt(0)
	v_mul_f64 v[128:129], v[4:5], v[126:127]
	s_delay_alu instid0(VALU_DEP_1) | instskip(SKIP_1) | instid1(VALU_DEP_1)
	v_fma_f64 v[128:129], v[2:3], v[124:125], -v[128:129]
	v_mul_f64 v[2:3], v[2:3], v[126:127]
	v_fma_f64 v[130:131], v[4:5], v[124:125], v[2:3]
	scratch_load_b128 v[2:5], off, s5
	s_waitcnt vmcnt(0)
	v_add_f64 v[2:3], v[2:3], -v[128:129]
	v_add_f64 v[4:5], v[4:5], -v[130:131]
	scratch_store_b128 off, v[2:5], s5
	s_cbranch_scc1 .LBB127_392
.LBB127_393:
	s_or_b32 exec_lo, exec_lo, s3
	s_delay_alu instid0(SALU_CYCLE_1)
	s_mov_b32 s4, exec_lo
	s_waitcnt lgkmcnt(0)
	s_waitcnt_vscnt null, 0x0
	s_barrier
	buffer_gl0_inv
	v_cmpx_eq_u32_e32 31, v254
	s_cbranch_execz .LBB127_400
; %bb.394:
	scratch_load_b32 v0, off, off offset:1156 ; 4-byte Folded Reload
	s_waitcnt vmcnt(0)
	scratch_load_b128 v[0:3], v0, off
	scratch_load_b32 v4, off, off offset:1024 ; 4-byte Folded Reload
	s_waitcnt vmcnt(0)
	ds_store_2addr_b64 v4, v[0:1], v[2:3] offset1:1
	scratch_load_b32 v0, off, off offset:1152 ; 4-byte Folded Reload
	s_waitcnt vmcnt(0)
	scratch_load_b128 v[0:3], v0, off
	s_waitcnt vmcnt(0)
	ds_store_2addr_b64 v6, v[0:1], v[2:3] offset0:64 offset1:65
	scratch_load_b32 v0, off, off offset:1148 ; 4-byte Folded Reload
	s_waitcnt vmcnt(0)
	scratch_load_b128 v[0:3], v0, off
	s_waitcnt vmcnt(0)
	ds_store_2addr_b64 v6, v[0:1], v[2:3] offset0:66 offset1:67
	;; [unrolled: 5-line block ×32, first 2 shown]
	ds_load_2addr_b64 v[124:127], v4 offset1:1
	s_waitcnt lgkmcnt(0)
	v_cmp_neq_f64_e32 vcc_lo, 0, v[124:125]
	v_cmp_neq_f64_e64 s3, 0, v[126:127]
	s_delay_alu instid0(VALU_DEP_1) | instskip(NEXT) | instid1(SALU_CYCLE_1)
	s_or_b32 s3, vcc_lo, s3
	s_and_b32 exec_lo, exec_lo, s3
	s_cbranch_execz .LBB127_400
; %bb.395:
	v_cmp_gt_f64_e32 vcc_lo, 0, v[124:125]
	v_xor_b32_e32 v0, 0x80000000, v125
	v_xor_b32_e32 v2, 0x80000000, v127
	s_mov_b32 s3, exec_lo
                                        ; implicit-def: $vgpr4_vgpr5
	s_delay_alu instid0(VALU_DEP_2) | instskip(SKIP_4) | instid1(VALU_DEP_1)
	v_cndmask_b32_e32 v1, v125, v0, vcc_lo
	v_cndmask_b32_e32 v0, v124, v124, vcc_lo
	v_cmp_gt_f64_e32 vcc_lo, 0, v[126:127]
	v_cndmask_b32_e32 v3, v127, v2, vcc_lo
	v_cndmask_b32_e32 v2, v126, v126, vcc_lo
	v_cmpx_ngt_f64_e32 v[0:1], v[2:3]
	s_xor_b32 s3, exec_lo, s3
                                        ; implicit-def: $vgpr0_vgpr1_vgpr2_vgpr3
	s_cbranch_execz .LBB127_397
; %bb.396:
	v_div_scale_f64 v[0:1], null, v[126:127], v[126:127], v[124:125]
	v_div_scale_f64 v[128:129], vcc_lo, v[124:125], v[126:127], v[124:125]
	s_delay_alu instid0(VALU_DEP_2) | instskip(SKIP_2) | instid1(VALU_DEP_1)
	v_rcp_f64_e32 v[2:3], v[0:1]
	s_waitcnt_depctr 0xfff
	v_fma_f64 v[4:5], -v[0:1], v[2:3], 1.0
	v_fma_f64 v[2:3], v[2:3], v[4:5], v[2:3]
	s_delay_alu instid0(VALU_DEP_1) | instskip(NEXT) | instid1(VALU_DEP_1)
	v_fma_f64 v[4:5], -v[0:1], v[2:3], 1.0
	v_fma_f64 v[2:3], v[2:3], v[4:5], v[2:3]
	s_delay_alu instid0(VALU_DEP_1) | instskip(NEXT) | instid1(VALU_DEP_1)
	v_mul_f64 v[4:5], v[128:129], v[2:3]
	v_fma_f64 v[0:1], -v[0:1], v[4:5], v[128:129]
	s_delay_alu instid0(VALU_DEP_1) | instskip(NEXT) | instid1(VALU_DEP_1)
	v_div_fmas_f64 v[0:1], v[0:1], v[2:3], v[4:5]
	v_div_fixup_f64 v[0:1], v[0:1], v[126:127], v[124:125]
	s_delay_alu instid0(VALU_DEP_1) | instskip(NEXT) | instid1(VALU_DEP_1)
	v_fma_f64 v[2:3], v[124:125], v[0:1], v[126:127]
	v_div_scale_f64 v[4:5], null, v[2:3], v[2:3], 1.0
	s_delay_alu instid0(VALU_DEP_1) | instskip(SKIP_2) | instid1(VALU_DEP_1)
	v_rcp_f64_e32 v[124:125], v[4:5]
	s_waitcnt_depctr 0xfff
	v_fma_f64 v[126:127], -v[4:5], v[124:125], 1.0
	v_fma_f64 v[124:125], v[124:125], v[126:127], v[124:125]
	s_delay_alu instid0(VALU_DEP_1) | instskip(NEXT) | instid1(VALU_DEP_1)
	v_fma_f64 v[126:127], -v[4:5], v[124:125], 1.0
	v_fma_f64 v[124:125], v[124:125], v[126:127], v[124:125]
	v_div_scale_f64 v[126:127], vcc_lo, 1.0, v[2:3], 1.0
	s_delay_alu instid0(VALU_DEP_1) | instskip(NEXT) | instid1(VALU_DEP_1)
	v_mul_f64 v[128:129], v[126:127], v[124:125]
	v_fma_f64 v[4:5], -v[4:5], v[128:129], v[126:127]
	s_delay_alu instid0(VALU_DEP_1) | instskip(NEXT) | instid1(VALU_DEP_1)
	v_div_fmas_f64 v[4:5], v[4:5], v[124:125], v[128:129]
                                        ; implicit-def: $vgpr124_vgpr125
	v_div_fixup_f64 v[2:3], v[4:5], v[2:3], 1.0
	s_delay_alu instid0(VALU_DEP_1)
	v_mul_f64 v[4:5], v[0:1], v[2:3]
	v_xor_b32_e32 v3, 0x80000000, v3
.LBB127_397:
	s_and_not1_saveexec_b32 s3, s3
	s_cbranch_execz .LBB127_399
; %bb.398:
	v_div_scale_f64 v[0:1], null, v[124:125], v[124:125], v[126:127]
	v_div_scale_f64 v[128:129], vcc_lo, v[126:127], v[124:125], v[126:127]
	s_delay_alu instid0(VALU_DEP_2) | instskip(SKIP_2) | instid1(VALU_DEP_1)
	v_rcp_f64_e32 v[2:3], v[0:1]
	s_waitcnt_depctr 0xfff
	v_fma_f64 v[4:5], -v[0:1], v[2:3], 1.0
	v_fma_f64 v[2:3], v[2:3], v[4:5], v[2:3]
	s_delay_alu instid0(VALU_DEP_1) | instskip(NEXT) | instid1(VALU_DEP_1)
	v_fma_f64 v[4:5], -v[0:1], v[2:3], 1.0
	v_fma_f64 v[2:3], v[2:3], v[4:5], v[2:3]
	s_delay_alu instid0(VALU_DEP_1) | instskip(NEXT) | instid1(VALU_DEP_1)
	v_mul_f64 v[4:5], v[128:129], v[2:3]
	v_fma_f64 v[0:1], -v[0:1], v[4:5], v[128:129]
	s_delay_alu instid0(VALU_DEP_1) | instskip(NEXT) | instid1(VALU_DEP_1)
	v_div_fmas_f64 v[0:1], v[0:1], v[2:3], v[4:5]
	v_div_fixup_f64 v[0:1], v[0:1], v[124:125], v[126:127]
	s_delay_alu instid0(VALU_DEP_1) | instskip(NEXT) | instid1(VALU_DEP_1)
	v_fma_f64 v[2:3], v[126:127], v[0:1], v[124:125]
	v_div_scale_f64 v[4:5], null, v[2:3], v[2:3], 1.0
	s_delay_alu instid0(VALU_DEP_1) | instskip(SKIP_2) | instid1(VALU_DEP_1)
	v_rcp_f64_e32 v[124:125], v[4:5]
	s_waitcnt_depctr 0xfff
	v_fma_f64 v[126:127], -v[4:5], v[124:125], 1.0
	v_fma_f64 v[124:125], v[124:125], v[126:127], v[124:125]
	s_delay_alu instid0(VALU_DEP_1) | instskip(NEXT) | instid1(VALU_DEP_1)
	v_fma_f64 v[126:127], -v[4:5], v[124:125], 1.0
	v_fma_f64 v[124:125], v[124:125], v[126:127], v[124:125]
	v_div_scale_f64 v[126:127], vcc_lo, 1.0, v[2:3], 1.0
	s_delay_alu instid0(VALU_DEP_1) | instskip(NEXT) | instid1(VALU_DEP_1)
	v_mul_f64 v[128:129], v[126:127], v[124:125]
	v_fma_f64 v[4:5], -v[4:5], v[128:129], v[126:127]
	s_delay_alu instid0(VALU_DEP_1) | instskip(NEXT) | instid1(VALU_DEP_1)
	v_div_fmas_f64 v[4:5], v[4:5], v[124:125], v[128:129]
	v_div_fixup_f64 v[4:5], v[4:5], v[2:3], 1.0
	s_delay_alu instid0(VALU_DEP_1)
	v_mul_f64 v[2:3], v[0:1], -v[4:5]
.LBB127_399:
	s_or_b32 exec_lo, exec_lo, s3
	scratch_load_b32 v0, off, off offset:1024 ; 4-byte Folded Reload
	s_waitcnt vmcnt(0)
	ds_store_2addr_b64 v0, v[4:5], v[2:3] offset1:1
.LBB127_400:
	s_or_b32 exec_lo, exec_lo, s4
	s_waitcnt lgkmcnt(0)
	s_barrier
	buffer_gl0_inv
	scratch_load_b32 v0, off, off offset:1024 ; 4-byte Folded Reload
	s_mov_b32 s3, exec_lo
	s_waitcnt vmcnt(0)
	ds_load_2addr_b64 v[124:127], v0 offset1:1
	v_cmpx_lt_u32_e32 31, v254
	s_cbranch_execz .LBB127_403
; %bb.401:
	scratch_load_b128 v[0:3], off, off offset:496
	s_mov_b32 s4, 0
	s_waitcnt vmcnt(0) lgkmcnt(0)
	v_mul_f64 v[4:5], v[126:127], v[2:3]
	v_mul_f64 v[2:3], v[124:125], v[2:3]
	s_delay_alu instid0(VALU_DEP_2) | instskip(NEXT) | instid1(VALU_DEP_2)
	v_fma_f64 v[128:129], v[124:125], v[0:1], -v[4:5]
	v_fma_f64 v[130:131], v[126:127], v[0:1], v[2:3]
	v_add3_u32 v0, v188, 0, 0x200
	v_mov_b32_e32 v1, 0
	scratch_store_b128 off, v[128:131], off offset:496
.LBB127_402:                            ; =>This Inner Loop Header: Depth=1
	v_add_nc_u32_e32 v7, s4, v0
	v_readfirstlane_b32 s5, v1
	ds_load_2addr_b64 v[2:5], v7 offset1:1
	s_add_i32 s5, s5, s4
	s_add_i32 s4, s4, 64
	;; [unrolled: 1-line block ×3, first 2 shown]
	s_waitcnt lgkmcnt(0)
	v_mul_f64 v[132:133], v[4:5], v[130:131]
	s_delay_alu instid0(VALU_DEP_1) | instskip(SKIP_1) | instid1(VALU_DEP_1)
	v_fma_f64 v[132:133], v[2:3], v[128:129], -v[132:133]
	v_mul_f64 v[2:3], v[2:3], v[130:131]
	v_fma_f64 v[134:135], v[4:5], v[128:129], v[2:3]
	scratch_load_b128 v[2:5], off, s6
	s_waitcnt vmcnt(0)
	v_add_f64 v[2:3], v[2:3], -v[132:133]
	v_add_f64 v[4:5], v[4:5], -v[134:135]
	scratch_store_b128 off, v[2:5], s6
	ds_load_2addr_b64 v[2:5], v7 offset0:2 offset1:3
	s_add_i32 s6, s5, 0x210
	s_waitcnt lgkmcnt(0)
	v_mul_f64 v[132:133], v[4:5], v[130:131]
	s_delay_alu instid0(VALU_DEP_1) | instskip(SKIP_1) | instid1(VALU_DEP_1)
	v_fma_f64 v[132:133], v[2:3], v[128:129], -v[132:133]
	v_mul_f64 v[2:3], v[2:3], v[130:131]
	v_fma_f64 v[134:135], v[4:5], v[128:129], v[2:3]
	scratch_load_b128 v[2:5], off, s6
	s_waitcnt vmcnt(0)
	v_add_f64 v[2:3], v[2:3], -v[132:133]
	v_add_f64 v[4:5], v[4:5], -v[134:135]
	scratch_store_b128 off, v[2:5], s6
	ds_load_2addr_b64 v[2:5], v7 offset0:4 offset1:5
	s_add_i32 s6, s5, 0x220
	s_addk_i32 s5, 0x230
	s_cmpk_lg_i32 s4, 0x200
	s_waitcnt lgkmcnt(0)
	v_mul_f64 v[132:133], v[4:5], v[130:131]
	s_delay_alu instid0(VALU_DEP_1) | instskip(SKIP_1) | instid1(VALU_DEP_1)
	v_fma_f64 v[132:133], v[2:3], v[128:129], -v[132:133]
	v_mul_f64 v[2:3], v[2:3], v[130:131]
	v_fma_f64 v[134:135], v[4:5], v[128:129], v[2:3]
	scratch_load_b128 v[2:5], off, s6
	s_waitcnt vmcnt(0)
	v_add_f64 v[2:3], v[2:3], -v[132:133]
	v_add_f64 v[4:5], v[4:5], -v[134:135]
	scratch_store_b128 off, v[2:5], s6
	ds_load_2addr_b64 v[2:5], v7 offset0:6 offset1:7
	s_waitcnt lgkmcnt(0)
	v_mul_f64 v[132:133], v[4:5], v[130:131]
	s_delay_alu instid0(VALU_DEP_1) | instskip(SKIP_1) | instid1(VALU_DEP_1)
	v_fma_f64 v[132:133], v[2:3], v[128:129], -v[132:133]
	v_mul_f64 v[2:3], v[2:3], v[130:131]
	v_fma_f64 v[134:135], v[4:5], v[128:129], v[2:3]
	scratch_load_b128 v[2:5], off, s5
	s_waitcnt vmcnt(0)
	v_add_f64 v[2:3], v[2:3], -v[132:133]
	v_add_f64 v[4:5], v[4:5], -v[134:135]
	scratch_store_b128 off, v[2:5], s5
	s_cbranch_scc1 .LBB127_402
.LBB127_403:
	s_or_b32 exec_lo, exec_lo, s3
	s_delay_alu instid0(SALU_CYCLE_1)
	s_mov_b32 s4, exec_lo
	s_waitcnt lgkmcnt(0)
	s_waitcnt_vscnt null, 0x0
	s_barrier
	buffer_gl0_inv
	v_cmpx_eq_u32_e32 32, v254
	s_cbranch_execz .LBB127_410
; %bb.404:
	scratch_load_b32 v0, off, off offset:1152 ; 4-byte Folded Reload
	s_waitcnt vmcnt(0)
	scratch_load_b128 v[0:3], v0, off
	scratch_load_b32 v4, off, off offset:1024 ; 4-byte Folded Reload
	s_waitcnt vmcnt(0)
	ds_store_2addr_b64 v4, v[0:1], v[2:3] offset1:1
	scratch_load_b32 v0, off, off offset:1148 ; 4-byte Folded Reload
	s_waitcnt vmcnt(0)
	scratch_load_b128 v[0:3], v0, off
	s_waitcnt vmcnt(0)
	ds_store_2addr_b64 v6, v[0:1], v[2:3] offset0:66 offset1:67
	scratch_load_b32 v0, off, off offset:1144 ; 4-byte Folded Reload
	s_waitcnt vmcnt(0)
	scratch_load_b128 v[0:3], v0, off
	s_waitcnt vmcnt(0)
	ds_store_2addr_b64 v6, v[0:1], v[2:3] offset0:68 offset1:69
	;; [unrolled: 5-line block ×31, first 2 shown]
	ds_load_2addr_b64 v[128:131], v4 offset1:1
	s_waitcnt lgkmcnt(0)
	v_cmp_neq_f64_e32 vcc_lo, 0, v[128:129]
	v_cmp_neq_f64_e64 s3, 0, v[130:131]
	s_delay_alu instid0(VALU_DEP_1) | instskip(NEXT) | instid1(SALU_CYCLE_1)
	s_or_b32 s3, vcc_lo, s3
	s_and_b32 exec_lo, exec_lo, s3
	s_cbranch_execz .LBB127_410
; %bb.405:
	v_cmp_gt_f64_e32 vcc_lo, 0, v[128:129]
	v_xor_b32_e32 v0, 0x80000000, v129
	v_xor_b32_e32 v2, 0x80000000, v131
	s_mov_b32 s3, exec_lo
                                        ; implicit-def: $vgpr4_vgpr5
	s_delay_alu instid0(VALU_DEP_2) | instskip(SKIP_4) | instid1(VALU_DEP_1)
	v_cndmask_b32_e32 v1, v129, v0, vcc_lo
	v_cndmask_b32_e32 v0, v128, v128, vcc_lo
	v_cmp_gt_f64_e32 vcc_lo, 0, v[130:131]
	v_cndmask_b32_e32 v3, v131, v2, vcc_lo
	v_cndmask_b32_e32 v2, v130, v130, vcc_lo
	v_cmpx_ngt_f64_e32 v[0:1], v[2:3]
	s_xor_b32 s3, exec_lo, s3
                                        ; implicit-def: $vgpr0_vgpr1_vgpr2_vgpr3
	s_cbranch_execz .LBB127_407
; %bb.406:
	v_div_scale_f64 v[0:1], null, v[130:131], v[130:131], v[128:129]
	v_div_scale_f64 v[132:133], vcc_lo, v[128:129], v[130:131], v[128:129]
	s_delay_alu instid0(VALU_DEP_2) | instskip(SKIP_2) | instid1(VALU_DEP_1)
	v_rcp_f64_e32 v[2:3], v[0:1]
	s_waitcnt_depctr 0xfff
	v_fma_f64 v[4:5], -v[0:1], v[2:3], 1.0
	v_fma_f64 v[2:3], v[2:3], v[4:5], v[2:3]
	s_delay_alu instid0(VALU_DEP_1) | instskip(NEXT) | instid1(VALU_DEP_1)
	v_fma_f64 v[4:5], -v[0:1], v[2:3], 1.0
	v_fma_f64 v[2:3], v[2:3], v[4:5], v[2:3]
	s_delay_alu instid0(VALU_DEP_1) | instskip(NEXT) | instid1(VALU_DEP_1)
	v_mul_f64 v[4:5], v[132:133], v[2:3]
	v_fma_f64 v[0:1], -v[0:1], v[4:5], v[132:133]
	s_delay_alu instid0(VALU_DEP_1) | instskip(NEXT) | instid1(VALU_DEP_1)
	v_div_fmas_f64 v[0:1], v[0:1], v[2:3], v[4:5]
	v_div_fixup_f64 v[0:1], v[0:1], v[130:131], v[128:129]
	s_delay_alu instid0(VALU_DEP_1) | instskip(NEXT) | instid1(VALU_DEP_1)
	v_fma_f64 v[2:3], v[128:129], v[0:1], v[130:131]
	v_div_scale_f64 v[4:5], null, v[2:3], v[2:3], 1.0
	s_delay_alu instid0(VALU_DEP_1) | instskip(SKIP_2) | instid1(VALU_DEP_1)
	v_rcp_f64_e32 v[128:129], v[4:5]
	s_waitcnt_depctr 0xfff
	v_fma_f64 v[130:131], -v[4:5], v[128:129], 1.0
	v_fma_f64 v[128:129], v[128:129], v[130:131], v[128:129]
	s_delay_alu instid0(VALU_DEP_1) | instskip(NEXT) | instid1(VALU_DEP_1)
	v_fma_f64 v[130:131], -v[4:5], v[128:129], 1.0
	v_fma_f64 v[128:129], v[128:129], v[130:131], v[128:129]
	v_div_scale_f64 v[130:131], vcc_lo, 1.0, v[2:3], 1.0
	s_delay_alu instid0(VALU_DEP_1) | instskip(NEXT) | instid1(VALU_DEP_1)
	v_mul_f64 v[132:133], v[130:131], v[128:129]
	v_fma_f64 v[4:5], -v[4:5], v[132:133], v[130:131]
	s_delay_alu instid0(VALU_DEP_1) | instskip(NEXT) | instid1(VALU_DEP_1)
	v_div_fmas_f64 v[4:5], v[4:5], v[128:129], v[132:133]
                                        ; implicit-def: $vgpr128_vgpr129
	v_div_fixup_f64 v[2:3], v[4:5], v[2:3], 1.0
	s_delay_alu instid0(VALU_DEP_1)
	v_mul_f64 v[4:5], v[0:1], v[2:3]
	v_xor_b32_e32 v3, 0x80000000, v3
.LBB127_407:
	s_and_not1_saveexec_b32 s3, s3
	s_cbranch_execz .LBB127_409
; %bb.408:
	v_div_scale_f64 v[0:1], null, v[128:129], v[128:129], v[130:131]
	v_div_scale_f64 v[132:133], vcc_lo, v[130:131], v[128:129], v[130:131]
	s_delay_alu instid0(VALU_DEP_2) | instskip(SKIP_2) | instid1(VALU_DEP_1)
	v_rcp_f64_e32 v[2:3], v[0:1]
	s_waitcnt_depctr 0xfff
	v_fma_f64 v[4:5], -v[0:1], v[2:3], 1.0
	v_fma_f64 v[2:3], v[2:3], v[4:5], v[2:3]
	s_delay_alu instid0(VALU_DEP_1) | instskip(NEXT) | instid1(VALU_DEP_1)
	v_fma_f64 v[4:5], -v[0:1], v[2:3], 1.0
	v_fma_f64 v[2:3], v[2:3], v[4:5], v[2:3]
	s_delay_alu instid0(VALU_DEP_1) | instskip(NEXT) | instid1(VALU_DEP_1)
	v_mul_f64 v[4:5], v[132:133], v[2:3]
	v_fma_f64 v[0:1], -v[0:1], v[4:5], v[132:133]
	s_delay_alu instid0(VALU_DEP_1) | instskip(NEXT) | instid1(VALU_DEP_1)
	v_div_fmas_f64 v[0:1], v[0:1], v[2:3], v[4:5]
	v_div_fixup_f64 v[0:1], v[0:1], v[128:129], v[130:131]
	s_delay_alu instid0(VALU_DEP_1) | instskip(NEXT) | instid1(VALU_DEP_1)
	v_fma_f64 v[2:3], v[130:131], v[0:1], v[128:129]
	v_div_scale_f64 v[4:5], null, v[2:3], v[2:3], 1.0
	s_delay_alu instid0(VALU_DEP_1) | instskip(SKIP_2) | instid1(VALU_DEP_1)
	v_rcp_f64_e32 v[128:129], v[4:5]
	s_waitcnt_depctr 0xfff
	v_fma_f64 v[130:131], -v[4:5], v[128:129], 1.0
	v_fma_f64 v[128:129], v[128:129], v[130:131], v[128:129]
	s_delay_alu instid0(VALU_DEP_1) | instskip(NEXT) | instid1(VALU_DEP_1)
	v_fma_f64 v[130:131], -v[4:5], v[128:129], 1.0
	v_fma_f64 v[128:129], v[128:129], v[130:131], v[128:129]
	v_div_scale_f64 v[130:131], vcc_lo, 1.0, v[2:3], 1.0
	s_delay_alu instid0(VALU_DEP_1) | instskip(NEXT) | instid1(VALU_DEP_1)
	v_mul_f64 v[132:133], v[130:131], v[128:129]
	v_fma_f64 v[4:5], -v[4:5], v[132:133], v[130:131]
	s_delay_alu instid0(VALU_DEP_1) | instskip(NEXT) | instid1(VALU_DEP_1)
	v_div_fmas_f64 v[4:5], v[4:5], v[128:129], v[132:133]
	v_div_fixup_f64 v[4:5], v[4:5], v[2:3], 1.0
	s_delay_alu instid0(VALU_DEP_1)
	v_mul_f64 v[2:3], v[0:1], -v[4:5]
.LBB127_409:
	s_or_b32 exec_lo, exec_lo, s3
	scratch_load_b32 v0, off, off offset:1024 ; 4-byte Folded Reload
	s_waitcnt vmcnt(0)
	ds_store_2addr_b64 v0, v[4:5], v[2:3] offset1:1
.LBB127_410:
	s_or_b32 exec_lo, exec_lo, s4
	s_waitcnt lgkmcnt(0)
	s_barrier
	buffer_gl0_inv
	scratch_load_b32 v0, off, off offset:1024 ; 4-byte Folded Reload
	s_mov_b32 s3, exec_lo
	s_waitcnt vmcnt(0)
	ds_load_2addr_b64 v[128:131], v0 offset1:1
	v_cmpx_lt_u32_e32 32, v254
	s_cbranch_execz .LBB127_415
; %bb.411:
	scratch_load_b128 v[0:3], off, off offset:512
	s_mov_b32 s4, 0
	s_waitcnt vmcnt(0) lgkmcnt(0)
	v_mul_f64 v[4:5], v[130:131], v[2:3]
	v_mul_f64 v[2:3], v[128:129], v[2:3]
	s_delay_alu instid0(VALU_DEP_2) | instskip(NEXT) | instid1(VALU_DEP_2)
	v_fma_f64 v[132:133], v[128:129], v[0:1], -v[4:5]
	v_fma_f64 v[134:135], v[130:131], v[0:1], v[2:3]
	v_add3_u32 v0, v188, 0, 0x210
	v_mov_b32_e32 v1, 0
	scratch_store_b128 off, v[132:135], off offset:512
	s_branch .LBB127_413
.LBB127_412:                            ;   in Loop: Header=BB127_413 Depth=1
	s_and_not1_b32 vcc_lo, exec_lo, s6
	s_cbranch_vccz .LBB127_415
.LBB127_413:                            ; =>This Inner Loop Header: Depth=1
	v_add_nc_u32_e32 v2, s4, v0
	v_readfirstlane_b32 s5, v1
	ds_load_2addr_b64 v[136:139], v2 offset1:1
	s_add_i32 s5, s5, s4
	s_delay_alu instid0(SALU_CYCLE_1) | instskip(SKIP_2) | instid1(VALU_DEP_1)
	s_add_i32 s6, s5, 0x210
	s_waitcnt lgkmcnt(0)
	v_mul_f64 v[3:4], v[138:139], v[134:135]
	v_fma_f64 v[3:4], v[136:137], v[132:133], -v[3:4]
	v_mul_f64 v[136:137], v[136:137], v[134:135]
	s_delay_alu instid0(VALU_DEP_1)
	v_fma_f64 v[140:141], v[138:139], v[132:133], v[136:137]
	scratch_load_b128 v[136:139], off, s6
	s_waitcnt vmcnt(0)
	v_add_f64 v[136:137], v[136:137], -v[3:4]
	v_add_f64 v[138:139], v[138:139], -v[140:141]
	scratch_store_b128 off, v[136:139], s6
	ds_load_2addr_b64 v[136:139], v2 offset0:2 offset1:3
	s_add_i32 s6, s5, 0x220
	s_waitcnt lgkmcnt(0)
	v_mul_f64 v[3:4], v[138:139], v[134:135]
	s_delay_alu instid0(VALU_DEP_1) | instskip(SKIP_1) | instid1(VALU_DEP_1)
	v_fma_f64 v[3:4], v[136:137], v[132:133], -v[3:4]
	v_mul_f64 v[136:137], v[136:137], v[134:135]
	v_fma_f64 v[140:141], v[138:139], v[132:133], v[136:137]
	scratch_load_b128 v[136:139], off, s6
	s_waitcnt vmcnt(0)
	v_add_f64 v[136:137], v[136:137], -v[3:4]
	v_add_f64 v[138:139], v[138:139], -v[140:141]
	scratch_store_b128 off, v[136:139], s6
	ds_load_2addr_b64 v[136:139], v2 offset0:4 offset1:5
	s_add_i32 s6, s5, 0x230
	s_cmpk_eq_i32 s4, 0x1c0
	s_waitcnt lgkmcnt(0)
	v_mul_f64 v[3:4], v[138:139], v[134:135]
	s_delay_alu instid0(VALU_DEP_1) | instskip(SKIP_1) | instid1(VALU_DEP_1)
	v_fma_f64 v[3:4], v[136:137], v[132:133], -v[3:4]
	v_mul_f64 v[136:137], v[136:137], v[134:135]
	v_fma_f64 v[140:141], v[138:139], v[132:133], v[136:137]
	scratch_load_b128 v[136:139], off, s6
	s_waitcnt vmcnt(0)
	v_add_f64 v[136:137], v[136:137], -v[3:4]
	v_add_f64 v[138:139], v[138:139], -v[140:141]
	scratch_store_b128 off, v[136:139], s6
	s_mov_b32 s6, -1
	s_cbranch_scc1 .LBB127_412
; %bb.414:                              ;   in Loop: Header=BB127_413 Depth=1
	ds_load_2addr_b64 v[2:5], v2 offset0:6 offset1:7
	s_addk_i32 s5, 0x240
	s_add_i32 s4, s4, 64
	s_mov_b32 s6, 0
	s_waitcnt lgkmcnt(0)
	v_mul_f64 v[136:137], v[4:5], v[134:135]
	s_delay_alu instid0(VALU_DEP_1) | instskip(SKIP_1) | instid1(VALU_DEP_1)
	v_fma_f64 v[136:137], v[2:3], v[132:133], -v[136:137]
	v_mul_f64 v[2:3], v[2:3], v[134:135]
	v_fma_f64 v[138:139], v[4:5], v[132:133], v[2:3]
	scratch_load_b128 v[2:5], off, s5
	s_waitcnt vmcnt(0)
	v_add_f64 v[2:3], v[2:3], -v[136:137]
	v_add_f64 v[4:5], v[4:5], -v[138:139]
	scratch_store_b128 off, v[2:5], s5
	s_branch .LBB127_412
.LBB127_415:
	s_or_b32 exec_lo, exec_lo, s3
	s_delay_alu instid0(SALU_CYCLE_1)
	s_mov_b32 s4, exec_lo
	s_waitcnt lgkmcnt(0)
	s_waitcnt_vscnt null, 0x0
	s_barrier
	buffer_gl0_inv
	v_cmpx_eq_u32_e32 33, v254
	s_cbranch_execz .LBB127_422
; %bb.416:
	scratch_load_b32 v0, off, off offset:1148 ; 4-byte Folded Reload
	s_waitcnt vmcnt(0)
	scratch_load_b128 v[0:3], v0, off
	scratch_load_b32 v4, off, off offset:1024 ; 4-byte Folded Reload
	s_waitcnt vmcnt(0)
	ds_store_2addr_b64 v4, v[0:1], v[2:3] offset1:1
	scratch_load_b32 v0, off, off offset:1144 ; 4-byte Folded Reload
	s_waitcnt vmcnt(0)
	scratch_load_b128 v[0:3], v0, off
	s_waitcnt vmcnt(0)
	ds_store_2addr_b64 v6, v[0:1], v[2:3] offset0:68 offset1:69
	scratch_load_b32 v0, off, off offset:1140 ; 4-byte Folded Reload
	s_waitcnt vmcnt(0)
	scratch_load_b128 v[0:3], v0, off
	s_waitcnt vmcnt(0)
	ds_store_2addr_b64 v6, v[0:1], v[2:3] offset0:70 offset1:71
	;; [unrolled: 5-line block ×30, first 2 shown]
	ds_load_2addr_b64 v[132:135], v4 offset1:1
	s_waitcnt lgkmcnt(0)
	v_cmp_neq_f64_e32 vcc_lo, 0, v[132:133]
	v_cmp_neq_f64_e64 s3, 0, v[134:135]
	s_delay_alu instid0(VALU_DEP_1) | instskip(NEXT) | instid1(SALU_CYCLE_1)
	s_or_b32 s3, vcc_lo, s3
	s_and_b32 exec_lo, exec_lo, s3
	s_cbranch_execz .LBB127_422
; %bb.417:
	v_cmp_gt_f64_e32 vcc_lo, 0, v[132:133]
	v_xor_b32_e32 v0, 0x80000000, v133
	v_xor_b32_e32 v2, 0x80000000, v135
	s_mov_b32 s3, exec_lo
                                        ; implicit-def: $vgpr4_vgpr5
	s_delay_alu instid0(VALU_DEP_2) | instskip(SKIP_4) | instid1(VALU_DEP_1)
	v_cndmask_b32_e32 v1, v133, v0, vcc_lo
	v_cndmask_b32_e32 v0, v132, v132, vcc_lo
	v_cmp_gt_f64_e32 vcc_lo, 0, v[134:135]
	v_cndmask_b32_e32 v3, v135, v2, vcc_lo
	v_cndmask_b32_e32 v2, v134, v134, vcc_lo
	v_cmpx_ngt_f64_e32 v[0:1], v[2:3]
	s_xor_b32 s3, exec_lo, s3
                                        ; implicit-def: $vgpr0_vgpr1_vgpr2_vgpr3
	s_cbranch_execz .LBB127_419
; %bb.418:
	v_div_scale_f64 v[0:1], null, v[134:135], v[134:135], v[132:133]
	v_div_scale_f64 v[136:137], vcc_lo, v[132:133], v[134:135], v[132:133]
	s_delay_alu instid0(VALU_DEP_2) | instskip(SKIP_2) | instid1(VALU_DEP_1)
	v_rcp_f64_e32 v[2:3], v[0:1]
	s_waitcnt_depctr 0xfff
	v_fma_f64 v[4:5], -v[0:1], v[2:3], 1.0
	v_fma_f64 v[2:3], v[2:3], v[4:5], v[2:3]
	s_delay_alu instid0(VALU_DEP_1) | instskip(NEXT) | instid1(VALU_DEP_1)
	v_fma_f64 v[4:5], -v[0:1], v[2:3], 1.0
	v_fma_f64 v[2:3], v[2:3], v[4:5], v[2:3]
	s_delay_alu instid0(VALU_DEP_1) | instskip(NEXT) | instid1(VALU_DEP_1)
	v_mul_f64 v[4:5], v[136:137], v[2:3]
	v_fma_f64 v[0:1], -v[0:1], v[4:5], v[136:137]
	s_delay_alu instid0(VALU_DEP_1) | instskip(NEXT) | instid1(VALU_DEP_1)
	v_div_fmas_f64 v[0:1], v[0:1], v[2:3], v[4:5]
	v_div_fixup_f64 v[0:1], v[0:1], v[134:135], v[132:133]
	s_delay_alu instid0(VALU_DEP_1) | instskip(NEXT) | instid1(VALU_DEP_1)
	v_fma_f64 v[2:3], v[132:133], v[0:1], v[134:135]
	v_div_scale_f64 v[4:5], null, v[2:3], v[2:3], 1.0
	s_delay_alu instid0(VALU_DEP_1) | instskip(SKIP_2) | instid1(VALU_DEP_1)
	v_rcp_f64_e32 v[132:133], v[4:5]
	s_waitcnt_depctr 0xfff
	v_fma_f64 v[134:135], -v[4:5], v[132:133], 1.0
	v_fma_f64 v[132:133], v[132:133], v[134:135], v[132:133]
	s_delay_alu instid0(VALU_DEP_1) | instskip(NEXT) | instid1(VALU_DEP_1)
	v_fma_f64 v[134:135], -v[4:5], v[132:133], 1.0
	v_fma_f64 v[132:133], v[132:133], v[134:135], v[132:133]
	v_div_scale_f64 v[134:135], vcc_lo, 1.0, v[2:3], 1.0
	s_delay_alu instid0(VALU_DEP_1) | instskip(NEXT) | instid1(VALU_DEP_1)
	v_mul_f64 v[136:137], v[134:135], v[132:133]
	v_fma_f64 v[4:5], -v[4:5], v[136:137], v[134:135]
	s_delay_alu instid0(VALU_DEP_1) | instskip(NEXT) | instid1(VALU_DEP_1)
	v_div_fmas_f64 v[4:5], v[4:5], v[132:133], v[136:137]
                                        ; implicit-def: $vgpr132_vgpr133
	v_div_fixup_f64 v[2:3], v[4:5], v[2:3], 1.0
	s_delay_alu instid0(VALU_DEP_1)
	v_mul_f64 v[4:5], v[0:1], v[2:3]
	v_xor_b32_e32 v3, 0x80000000, v3
.LBB127_419:
	s_and_not1_saveexec_b32 s3, s3
	s_cbranch_execz .LBB127_421
; %bb.420:
	v_div_scale_f64 v[0:1], null, v[132:133], v[132:133], v[134:135]
	v_div_scale_f64 v[136:137], vcc_lo, v[134:135], v[132:133], v[134:135]
	s_delay_alu instid0(VALU_DEP_2) | instskip(SKIP_2) | instid1(VALU_DEP_1)
	v_rcp_f64_e32 v[2:3], v[0:1]
	s_waitcnt_depctr 0xfff
	v_fma_f64 v[4:5], -v[0:1], v[2:3], 1.0
	v_fma_f64 v[2:3], v[2:3], v[4:5], v[2:3]
	s_delay_alu instid0(VALU_DEP_1) | instskip(NEXT) | instid1(VALU_DEP_1)
	v_fma_f64 v[4:5], -v[0:1], v[2:3], 1.0
	v_fma_f64 v[2:3], v[2:3], v[4:5], v[2:3]
	s_delay_alu instid0(VALU_DEP_1) | instskip(NEXT) | instid1(VALU_DEP_1)
	v_mul_f64 v[4:5], v[136:137], v[2:3]
	v_fma_f64 v[0:1], -v[0:1], v[4:5], v[136:137]
	s_delay_alu instid0(VALU_DEP_1) | instskip(NEXT) | instid1(VALU_DEP_1)
	v_div_fmas_f64 v[0:1], v[0:1], v[2:3], v[4:5]
	v_div_fixup_f64 v[0:1], v[0:1], v[132:133], v[134:135]
	s_delay_alu instid0(VALU_DEP_1) | instskip(NEXT) | instid1(VALU_DEP_1)
	v_fma_f64 v[2:3], v[134:135], v[0:1], v[132:133]
	v_div_scale_f64 v[4:5], null, v[2:3], v[2:3], 1.0
	s_delay_alu instid0(VALU_DEP_1) | instskip(SKIP_2) | instid1(VALU_DEP_1)
	v_rcp_f64_e32 v[132:133], v[4:5]
	s_waitcnt_depctr 0xfff
	v_fma_f64 v[134:135], -v[4:5], v[132:133], 1.0
	v_fma_f64 v[132:133], v[132:133], v[134:135], v[132:133]
	s_delay_alu instid0(VALU_DEP_1) | instskip(NEXT) | instid1(VALU_DEP_1)
	v_fma_f64 v[134:135], -v[4:5], v[132:133], 1.0
	v_fma_f64 v[132:133], v[132:133], v[134:135], v[132:133]
	v_div_scale_f64 v[134:135], vcc_lo, 1.0, v[2:3], 1.0
	s_delay_alu instid0(VALU_DEP_1) | instskip(NEXT) | instid1(VALU_DEP_1)
	v_mul_f64 v[136:137], v[134:135], v[132:133]
	v_fma_f64 v[4:5], -v[4:5], v[136:137], v[134:135]
	s_delay_alu instid0(VALU_DEP_1) | instskip(NEXT) | instid1(VALU_DEP_1)
	v_div_fmas_f64 v[4:5], v[4:5], v[132:133], v[136:137]
	v_div_fixup_f64 v[4:5], v[4:5], v[2:3], 1.0
	s_delay_alu instid0(VALU_DEP_1)
	v_mul_f64 v[2:3], v[0:1], -v[4:5]
.LBB127_421:
	s_or_b32 exec_lo, exec_lo, s3
	scratch_load_b32 v0, off, off offset:1024 ; 4-byte Folded Reload
	s_waitcnt vmcnt(0)
	ds_store_2addr_b64 v0, v[4:5], v[2:3] offset1:1
.LBB127_422:
	s_or_b32 exec_lo, exec_lo, s4
	s_waitcnt lgkmcnt(0)
	s_barrier
	buffer_gl0_inv
	scratch_load_b32 v0, off, off offset:1024 ; 4-byte Folded Reload
	s_mov_b32 s3, exec_lo
	s_waitcnt vmcnt(0)
	ds_load_2addr_b64 v[132:135], v0 offset1:1
	v_cmpx_lt_u32_e32 33, v254
	s_cbranch_execz .LBB127_425
; %bb.423:
	scratch_load_b128 v[0:3], off, off offset:528
	s_mov_b32 s4, 0
	s_waitcnt vmcnt(0) lgkmcnt(0)
	v_mul_f64 v[4:5], v[134:135], v[2:3]
	v_mul_f64 v[2:3], v[132:133], v[2:3]
	s_delay_alu instid0(VALU_DEP_2) | instskip(NEXT) | instid1(VALU_DEP_2)
	v_fma_f64 v[136:137], v[132:133], v[0:1], -v[4:5]
	v_fma_f64 v[138:139], v[134:135], v[0:1], v[2:3]
	v_add3_u32 v0, v188, 0, 0x220
	v_mov_b32_e32 v1, 0
	scratch_store_b128 off, v[136:139], off offset:528
.LBB127_424:                            ; =>This Inner Loop Header: Depth=1
	v_add_nc_u32_e32 v7, s4, v0
	v_readfirstlane_b32 s5, v1
	ds_load_2addr_b64 v[2:5], v7 offset1:1
	s_add_i32 s5, s5, s4
	s_addk_i32 s4, 0x60
	s_add_i32 s6, s5, 0x220
	s_waitcnt lgkmcnt(0)
	v_mul_f64 v[140:141], v[4:5], v[138:139]
	s_delay_alu instid0(VALU_DEP_1) | instskip(SKIP_1) | instid1(VALU_DEP_1)
	v_fma_f64 v[140:141], v[2:3], v[136:137], -v[140:141]
	v_mul_f64 v[2:3], v[2:3], v[138:139]
	v_fma_f64 v[142:143], v[4:5], v[136:137], v[2:3]
	scratch_load_b128 v[2:5], off, s6
	s_waitcnt vmcnt(0)
	v_add_f64 v[2:3], v[2:3], -v[140:141]
	v_add_f64 v[4:5], v[4:5], -v[142:143]
	scratch_store_b128 off, v[2:5], s6
	ds_load_2addr_b64 v[2:5], v7 offset0:2 offset1:3
	s_add_i32 s6, s5, 0x230
	s_waitcnt lgkmcnt(0)
	v_mul_f64 v[140:141], v[4:5], v[138:139]
	s_delay_alu instid0(VALU_DEP_1) | instskip(SKIP_1) | instid1(VALU_DEP_1)
	v_fma_f64 v[140:141], v[2:3], v[136:137], -v[140:141]
	v_mul_f64 v[2:3], v[2:3], v[138:139]
	v_fma_f64 v[142:143], v[4:5], v[136:137], v[2:3]
	scratch_load_b128 v[2:5], off, s6
	s_waitcnt vmcnt(0)
	v_add_f64 v[2:3], v[2:3], -v[140:141]
	v_add_f64 v[4:5], v[4:5], -v[142:143]
	scratch_store_b128 off, v[2:5], s6
	ds_load_2addr_b64 v[2:5], v7 offset0:4 offset1:5
	s_add_i32 s6, s5, 0x240
	s_waitcnt lgkmcnt(0)
	v_mul_f64 v[140:141], v[4:5], v[138:139]
	s_delay_alu instid0(VALU_DEP_1) | instskip(SKIP_1) | instid1(VALU_DEP_1)
	v_fma_f64 v[140:141], v[2:3], v[136:137], -v[140:141]
	v_mul_f64 v[2:3], v[2:3], v[138:139]
	v_fma_f64 v[142:143], v[4:5], v[136:137], v[2:3]
	scratch_load_b128 v[2:5], off, s6
	s_waitcnt vmcnt(0)
	v_add_f64 v[2:3], v[2:3], -v[140:141]
	v_add_f64 v[4:5], v[4:5], -v[142:143]
	scratch_store_b128 off, v[2:5], s6
	ds_load_2addr_b64 v[2:5], v7 offset0:6 offset1:7
	s_add_i32 s6, s5, 0x250
	s_waitcnt lgkmcnt(0)
	v_mul_f64 v[140:141], v[4:5], v[138:139]
	s_delay_alu instid0(VALU_DEP_1) | instskip(SKIP_1) | instid1(VALU_DEP_1)
	v_fma_f64 v[140:141], v[2:3], v[136:137], -v[140:141]
	v_mul_f64 v[2:3], v[2:3], v[138:139]
	v_fma_f64 v[142:143], v[4:5], v[136:137], v[2:3]
	scratch_load_b128 v[2:5], off, s6
	s_waitcnt vmcnt(0)
	v_add_f64 v[2:3], v[2:3], -v[140:141]
	v_add_f64 v[4:5], v[4:5], -v[142:143]
	scratch_store_b128 off, v[2:5], s6
	ds_load_2addr_b64 v[2:5], v7 offset0:8 offset1:9
	s_add_i32 s6, s5, 0x260
	s_addk_i32 s5, 0x270
	s_cmpk_lg_i32 s4, 0x1e0
	s_waitcnt lgkmcnt(0)
	v_mul_f64 v[140:141], v[4:5], v[138:139]
	s_delay_alu instid0(VALU_DEP_1) | instskip(SKIP_1) | instid1(VALU_DEP_1)
	v_fma_f64 v[140:141], v[2:3], v[136:137], -v[140:141]
	v_mul_f64 v[2:3], v[2:3], v[138:139]
	v_fma_f64 v[142:143], v[4:5], v[136:137], v[2:3]
	scratch_load_b128 v[2:5], off, s6
	s_waitcnt vmcnt(0)
	v_add_f64 v[2:3], v[2:3], -v[140:141]
	v_add_f64 v[4:5], v[4:5], -v[142:143]
	scratch_store_b128 off, v[2:5], s6
	ds_load_2addr_b64 v[2:5], v7 offset0:10 offset1:11
	s_waitcnt lgkmcnt(0)
	v_mul_f64 v[140:141], v[4:5], v[138:139]
	s_delay_alu instid0(VALU_DEP_1) | instskip(SKIP_1) | instid1(VALU_DEP_1)
	v_fma_f64 v[140:141], v[2:3], v[136:137], -v[140:141]
	v_mul_f64 v[2:3], v[2:3], v[138:139]
	v_fma_f64 v[142:143], v[4:5], v[136:137], v[2:3]
	scratch_load_b128 v[2:5], off, s5
	s_waitcnt vmcnt(0)
	v_add_f64 v[2:3], v[2:3], -v[140:141]
	v_add_f64 v[4:5], v[4:5], -v[142:143]
	scratch_store_b128 off, v[2:5], s5
	s_cbranch_scc1 .LBB127_424
.LBB127_425:
	s_or_b32 exec_lo, exec_lo, s3
	s_delay_alu instid0(SALU_CYCLE_1)
	s_mov_b32 s4, exec_lo
	s_waitcnt lgkmcnt(0)
	s_waitcnt_vscnt null, 0x0
	s_barrier
	buffer_gl0_inv
	v_cmpx_eq_u32_e32 34, v254
	s_cbranch_execz .LBB127_432
; %bb.426:
	scratch_load_b32 v0, off, off offset:1144 ; 4-byte Folded Reload
	s_waitcnt vmcnt(0)
	scratch_load_b128 v[0:3], v0, off
	scratch_load_b32 v4, off, off offset:1024 ; 4-byte Folded Reload
	s_waitcnt vmcnt(0)
	ds_store_2addr_b64 v4, v[0:1], v[2:3] offset1:1
	scratch_load_b32 v0, off, off offset:1140 ; 4-byte Folded Reload
	s_waitcnt vmcnt(0)
	scratch_load_b128 v[0:3], v0, off
	s_waitcnt vmcnt(0)
	ds_store_2addr_b64 v6, v[0:1], v[2:3] offset0:70 offset1:71
	scratch_load_b32 v0, off, off offset:1136 ; 4-byte Folded Reload
	s_waitcnt vmcnt(0)
	scratch_load_b128 v[0:3], v0, off
	s_waitcnt vmcnt(0)
	ds_store_2addr_b64 v6, v[0:1], v[2:3] offset0:72 offset1:73
	;; [unrolled: 5-line block ×29, first 2 shown]
	ds_load_2addr_b64 v[136:139], v4 offset1:1
	s_waitcnt lgkmcnt(0)
	v_cmp_neq_f64_e32 vcc_lo, 0, v[136:137]
	v_cmp_neq_f64_e64 s3, 0, v[138:139]
	s_delay_alu instid0(VALU_DEP_1) | instskip(NEXT) | instid1(SALU_CYCLE_1)
	s_or_b32 s3, vcc_lo, s3
	s_and_b32 exec_lo, exec_lo, s3
	s_cbranch_execz .LBB127_432
; %bb.427:
	v_cmp_gt_f64_e32 vcc_lo, 0, v[136:137]
	v_xor_b32_e32 v0, 0x80000000, v137
	v_xor_b32_e32 v2, 0x80000000, v139
	s_mov_b32 s3, exec_lo
                                        ; implicit-def: $vgpr4_vgpr5
	s_delay_alu instid0(VALU_DEP_2) | instskip(SKIP_4) | instid1(VALU_DEP_1)
	v_cndmask_b32_e32 v1, v137, v0, vcc_lo
	v_cndmask_b32_e32 v0, v136, v136, vcc_lo
	v_cmp_gt_f64_e32 vcc_lo, 0, v[138:139]
	v_cndmask_b32_e32 v3, v139, v2, vcc_lo
	v_cndmask_b32_e32 v2, v138, v138, vcc_lo
	v_cmpx_ngt_f64_e32 v[0:1], v[2:3]
	s_xor_b32 s3, exec_lo, s3
                                        ; implicit-def: $vgpr0_vgpr1_vgpr2_vgpr3
	s_cbranch_execz .LBB127_429
; %bb.428:
	v_div_scale_f64 v[0:1], null, v[138:139], v[138:139], v[136:137]
	v_div_scale_f64 v[140:141], vcc_lo, v[136:137], v[138:139], v[136:137]
	s_delay_alu instid0(VALU_DEP_2) | instskip(SKIP_2) | instid1(VALU_DEP_1)
	v_rcp_f64_e32 v[2:3], v[0:1]
	s_waitcnt_depctr 0xfff
	v_fma_f64 v[4:5], -v[0:1], v[2:3], 1.0
	v_fma_f64 v[2:3], v[2:3], v[4:5], v[2:3]
	s_delay_alu instid0(VALU_DEP_1) | instskip(NEXT) | instid1(VALU_DEP_1)
	v_fma_f64 v[4:5], -v[0:1], v[2:3], 1.0
	v_fma_f64 v[2:3], v[2:3], v[4:5], v[2:3]
	s_delay_alu instid0(VALU_DEP_1) | instskip(NEXT) | instid1(VALU_DEP_1)
	v_mul_f64 v[4:5], v[140:141], v[2:3]
	v_fma_f64 v[0:1], -v[0:1], v[4:5], v[140:141]
	s_delay_alu instid0(VALU_DEP_1) | instskip(NEXT) | instid1(VALU_DEP_1)
	v_div_fmas_f64 v[0:1], v[0:1], v[2:3], v[4:5]
	v_div_fixup_f64 v[0:1], v[0:1], v[138:139], v[136:137]
	s_delay_alu instid0(VALU_DEP_1) | instskip(NEXT) | instid1(VALU_DEP_1)
	v_fma_f64 v[2:3], v[136:137], v[0:1], v[138:139]
	v_div_scale_f64 v[4:5], null, v[2:3], v[2:3], 1.0
	s_delay_alu instid0(VALU_DEP_1) | instskip(SKIP_2) | instid1(VALU_DEP_1)
	v_rcp_f64_e32 v[136:137], v[4:5]
	s_waitcnt_depctr 0xfff
	v_fma_f64 v[138:139], -v[4:5], v[136:137], 1.0
	v_fma_f64 v[136:137], v[136:137], v[138:139], v[136:137]
	s_delay_alu instid0(VALU_DEP_1) | instskip(NEXT) | instid1(VALU_DEP_1)
	v_fma_f64 v[138:139], -v[4:5], v[136:137], 1.0
	v_fma_f64 v[136:137], v[136:137], v[138:139], v[136:137]
	v_div_scale_f64 v[138:139], vcc_lo, 1.0, v[2:3], 1.0
	s_delay_alu instid0(VALU_DEP_1) | instskip(NEXT) | instid1(VALU_DEP_1)
	v_mul_f64 v[140:141], v[138:139], v[136:137]
	v_fma_f64 v[4:5], -v[4:5], v[140:141], v[138:139]
	s_delay_alu instid0(VALU_DEP_1) | instskip(NEXT) | instid1(VALU_DEP_1)
	v_div_fmas_f64 v[4:5], v[4:5], v[136:137], v[140:141]
                                        ; implicit-def: $vgpr136_vgpr137
	v_div_fixup_f64 v[2:3], v[4:5], v[2:3], 1.0
	s_delay_alu instid0(VALU_DEP_1)
	v_mul_f64 v[4:5], v[0:1], v[2:3]
	v_xor_b32_e32 v3, 0x80000000, v3
.LBB127_429:
	s_and_not1_saveexec_b32 s3, s3
	s_cbranch_execz .LBB127_431
; %bb.430:
	v_div_scale_f64 v[0:1], null, v[136:137], v[136:137], v[138:139]
	v_div_scale_f64 v[140:141], vcc_lo, v[138:139], v[136:137], v[138:139]
	s_delay_alu instid0(VALU_DEP_2) | instskip(SKIP_2) | instid1(VALU_DEP_1)
	v_rcp_f64_e32 v[2:3], v[0:1]
	s_waitcnt_depctr 0xfff
	v_fma_f64 v[4:5], -v[0:1], v[2:3], 1.0
	v_fma_f64 v[2:3], v[2:3], v[4:5], v[2:3]
	s_delay_alu instid0(VALU_DEP_1) | instskip(NEXT) | instid1(VALU_DEP_1)
	v_fma_f64 v[4:5], -v[0:1], v[2:3], 1.0
	v_fma_f64 v[2:3], v[2:3], v[4:5], v[2:3]
	s_delay_alu instid0(VALU_DEP_1) | instskip(NEXT) | instid1(VALU_DEP_1)
	v_mul_f64 v[4:5], v[140:141], v[2:3]
	v_fma_f64 v[0:1], -v[0:1], v[4:5], v[140:141]
	s_delay_alu instid0(VALU_DEP_1) | instskip(NEXT) | instid1(VALU_DEP_1)
	v_div_fmas_f64 v[0:1], v[0:1], v[2:3], v[4:5]
	v_div_fixup_f64 v[0:1], v[0:1], v[136:137], v[138:139]
	s_delay_alu instid0(VALU_DEP_1) | instskip(NEXT) | instid1(VALU_DEP_1)
	v_fma_f64 v[2:3], v[138:139], v[0:1], v[136:137]
	v_div_scale_f64 v[4:5], null, v[2:3], v[2:3], 1.0
	s_delay_alu instid0(VALU_DEP_1) | instskip(SKIP_2) | instid1(VALU_DEP_1)
	v_rcp_f64_e32 v[136:137], v[4:5]
	s_waitcnt_depctr 0xfff
	v_fma_f64 v[138:139], -v[4:5], v[136:137], 1.0
	v_fma_f64 v[136:137], v[136:137], v[138:139], v[136:137]
	s_delay_alu instid0(VALU_DEP_1) | instskip(NEXT) | instid1(VALU_DEP_1)
	v_fma_f64 v[138:139], -v[4:5], v[136:137], 1.0
	v_fma_f64 v[136:137], v[136:137], v[138:139], v[136:137]
	v_div_scale_f64 v[138:139], vcc_lo, 1.0, v[2:3], 1.0
	s_delay_alu instid0(VALU_DEP_1) | instskip(NEXT) | instid1(VALU_DEP_1)
	v_mul_f64 v[140:141], v[138:139], v[136:137]
	v_fma_f64 v[4:5], -v[4:5], v[140:141], v[138:139]
	s_delay_alu instid0(VALU_DEP_1) | instskip(NEXT) | instid1(VALU_DEP_1)
	v_div_fmas_f64 v[4:5], v[4:5], v[136:137], v[140:141]
	v_div_fixup_f64 v[4:5], v[4:5], v[2:3], 1.0
	s_delay_alu instid0(VALU_DEP_1)
	v_mul_f64 v[2:3], v[0:1], -v[4:5]
.LBB127_431:
	s_or_b32 exec_lo, exec_lo, s3
	scratch_load_b32 v0, off, off offset:1024 ; 4-byte Folded Reload
	s_waitcnt vmcnt(0)
	ds_store_2addr_b64 v0, v[4:5], v[2:3] offset1:1
.LBB127_432:
	s_or_b32 exec_lo, exec_lo, s4
	s_waitcnt lgkmcnt(0)
	s_barrier
	buffer_gl0_inv
	scratch_load_b32 v0, off, off offset:1024 ; 4-byte Folded Reload
	s_mov_b32 s3, exec_lo
	s_waitcnt vmcnt(0)
	ds_load_2addr_b64 v[136:139], v0 offset1:1
	v_cmpx_lt_u32_e32 34, v254
	s_cbranch_execz .LBB127_437
; %bb.433:
	scratch_load_b128 v[0:3], off, off offset:544
	s_mov_b32 s4, 0
	s_waitcnt vmcnt(0) lgkmcnt(0)
	v_mul_f64 v[4:5], v[138:139], v[2:3]
	v_mul_f64 v[2:3], v[136:137], v[2:3]
	s_delay_alu instid0(VALU_DEP_2) | instskip(NEXT) | instid1(VALU_DEP_2)
	v_fma_f64 v[140:141], v[136:137], v[0:1], -v[4:5]
	v_fma_f64 v[142:143], v[138:139], v[0:1], v[2:3]
	v_add3_u32 v0, v188, 0, 0x230
	v_mov_b32_e32 v1, 0
	scratch_store_b128 off, v[140:143], off offset:544
	s_branch .LBB127_435
.LBB127_434:                            ;   in Loop: Header=BB127_435 Depth=1
	s_and_not1_b32 vcc_lo, exec_lo, s6
	s_cbranch_vccz .LBB127_437
.LBB127_435:                            ; =>This Inner Loop Header: Depth=1
	v_add_nc_u32_e32 v2, s4, v0
	v_readfirstlane_b32 s5, v1
	ds_load_2addr_b64 v[144:147], v2 offset1:1
	s_add_i32 s5, s5, s4
	s_delay_alu instid0(SALU_CYCLE_1) | instskip(SKIP_3) | instid1(VALU_DEP_1)
	s_add_i32 s6, s5, 0x230
	s_cmpk_eq_i32 s4, 0x1c0
	s_waitcnt lgkmcnt(0)
	v_mul_f64 v[3:4], v[146:147], v[142:143]
	v_fma_f64 v[3:4], v[144:145], v[140:141], -v[3:4]
	v_mul_f64 v[144:145], v[144:145], v[142:143]
	s_delay_alu instid0(VALU_DEP_1)
	v_fma_f64 v[148:149], v[146:147], v[140:141], v[144:145]
	scratch_load_b128 v[144:147], off, s6
	s_waitcnt vmcnt(0)
	v_add_f64 v[144:145], v[144:145], -v[3:4]
	v_add_f64 v[146:147], v[146:147], -v[148:149]
	scratch_store_b128 off, v[144:147], s6
	s_mov_b32 s6, -1
	s_cbranch_scc1 .LBB127_434
; %bb.436:                              ;   in Loop: Header=BB127_435 Depth=1
	ds_load_2addr_b64 v[144:147], v2 offset0:2 offset1:3
	s_add_i32 s6, s5, 0x240
	s_add_i32 s4, s4, 64
	s_waitcnt lgkmcnt(0)
	v_mul_f64 v[3:4], v[146:147], v[142:143]
	s_delay_alu instid0(VALU_DEP_1) | instskip(SKIP_1) | instid1(VALU_DEP_1)
	v_fma_f64 v[3:4], v[144:145], v[140:141], -v[3:4]
	v_mul_f64 v[144:145], v[144:145], v[142:143]
	v_fma_f64 v[148:149], v[146:147], v[140:141], v[144:145]
	scratch_load_b128 v[144:147], off, s6
	s_waitcnt vmcnt(0)
	v_add_f64 v[144:145], v[144:145], -v[3:4]
	v_add_f64 v[146:147], v[146:147], -v[148:149]
	scratch_store_b128 off, v[144:147], s6
	ds_load_2addr_b64 v[144:147], v2 offset0:4 offset1:5
	s_add_i32 s6, s5, 0x250
	s_addk_i32 s5, 0x260
	s_waitcnt lgkmcnt(0)
	v_mul_f64 v[3:4], v[146:147], v[142:143]
	s_delay_alu instid0(VALU_DEP_1) | instskip(SKIP_1) | instid1(VALU_DEP_1)
	v_fma_f64 v[3:4], v[144:145], v[140:141], -v[3:4]
	v_mul_f64 v[144:145], v[144:145], v[142:143]
	v_fma_f64 v[148:149], v[146:147], v[140:141], v[144:145]
	scratch_load_b128 v[144:147], off, s6
	s_waitcnt vmcnt(0)
	v_add_f64 v[144:145], v[144:145], -v[3:4]
	v_add_f64 v[146:147], v[146:147], -v[148:149]
	ds_load_2addr_b64 v[2:5], v2 offset0:6 offset1:7
	scratch_store_b128 off, v[144:147], s6
	s_waitcnt lgkmcnt(0)
	v_mul_f64 v[144:145], v[4:5], v[142:143]
	s_mov_b32 s6, 0
	s_delay_alu instid0(VALU_DEP_1) | instskip(SKIP_1) | instid1(VALU_DEP_1)
	v_fma_f64 v[144:145], v[2:3], v[140:141], -v[144:145]
	v_mul_f64 v[2:3], v[2:3], v[142:143]
	v_fma_f64 v[146:147], v[4:5], v[140:141], v[2:3]
	scratch_load_b128 v[2:5], off, s5
	s_waitcnt vmcnt(0)
	v_add_f64 v[2:3], v[2:3], -v[144:145]
	v_add_f64 v[4:5], v[4:5], -v[146:147]
	scratch_store_b128 off, v[2:5], s5
	s_branch .LBB127_434
.LBB127_437:
	s_or_b32 exec_lo, exec_lo, s3
	s_delay_alu instid0(SALU_CYCLE_1)
	s_mov_b32 s4, exec_lo
	s_waitcnt lgkmcnt(0)
	s_waitcnt_vscnt null, 0x0
	s_barrier
	buffer_gl0_inv
	v_cmpx_eq_u32_e32 35, v254
	s_cbranch_execz .LBB127_444
; %bb.438:
	scratch_load_b32 v0, off, off offset:1140 ; 4-byte Folded Reload
	s_waitcnt vmcnt(0)
	scratch_load_b128 v[0:3], v0, off
	scratch_load_b32 v4, off, off offset:1024 ; 4-byte Folded Reload
	s_waitcnt vmcnt(0)
	ds_store_2addr_b64 v4, v[0:1], v[2:3] offset1:1
	scratch_load_b32 v0, off, off offset:1136 ; 4-byte Folded Reload
	s_waitcnt vmcnt(0)
	scratch_load_b128 v[0:3], v0, off
	s_waitcnt vmcnt(0)
	ds_store_2addr_b64 v6, v[0:1], v[2:3] offset0:72 offset1:73
	scratch_load_b32 v0, off, off offset:1132 ; 4-byte Folded Reload
	s_waitcnt vmcnt(0)
	scratch_load_b128 v[0:3], v0, off
	s_waitcnt vmcnt(0)
	ds_store_2addr_b64 v6, v[0:1], v[2:3] offset0:74 offset1:75
	;; [unrolled: 5-line block ×28, first 2 shown]
	ds_load_2addr_b64 v[140:143], v4 offset1:1
	s_waitcnt lgkmcnt(0)
	v_cmp_neq_f64_e32 vcc_lo, 0, v[140:141]
	v_cmp_neq_f64_e64 s3, 0, v[142:143]
	s_delay_alu instid0(VALU_DEP_1) | instskip(NEXT) | instid1(SALU_CYCLE_1)
	s_or_b32 s3, vcc_lo, s3
	s_and_b32 exec_lo, exec_lo, s3
	s_cbranch_execz .LBB127_444
; %bb.439:
	v_cmp_gt_f64_e32 vcc_lo, 0, v[140:141]
	v_xor_b32_e32 v0, 0x80000000, v141
	v_xor_b32_e32 v2, 0x80000000, v143
	s_mov_b32 s3, exec_lo
                                        ; implicit-def: $vgpr4_vgpr5
	s_delay_alu instid0(VALU_DEP_2) | instskip(SKIP_4) | instid1(VALU_DEP_1)
	v_cndmask_b32_e32 v1, v141, v0, vcc_lo
	v_cndmask_b32_e32 v0, v140, v140, vcc_lo
	v_cmp_gt_f64_e32 vcc_lo, 0, v[142:143]
	v_cndmask_b32_e32 v3, v143, v2, vcc_lo
	v_cndmask_b32_e32 v2, v142, v142, vcc_lo
	v_cmpx_ngt_f64_e32 v[0:1], v[2:3]
	s_xor_b32 s3, exec_lo, s3
                                        ; implicit-def: $vgpr0_vgpr1_vgpr2_vgpr3
	s_cbranch_execz .LBB127_441
; %bb.440:
	v_div_scale_f64 v[0:1], null, v[142:143], v[142:143], v[140:141]
	v_div_scale_f64 v[144:145], vcc_lo, v[140:141], v[142:143], v[140:141]
	s_delay_alu instid0(VALU_DEP_2) | instskip(SKIP_2) | instid1(VALU_DEP_1)
	v_rcp_f64_e32 v[2:3], v[0:1]
	s_waitcnt_depctr 0xfff
	v_fma_f64 v[4:5], -v[0:1], v[2:3], 1.0
	v_fma_f64 v[2:3], v[2:3], v[4:5], v[2:3]
	s_delay_alu instid0(VALU_DEP_1) | instskip(NEXT) | instid1(VALU_DEP_1)
	v_fma_f64 v[4:5], -v[0:1], v[2:3], 1.0
	v_fma_f64 v[2:3], v[2:3], v[4:5], v[2:3]
	s_delay_alu instid0(VALU_DEP_1) | instskip(NEXT) | instid1(VALU_DEP_1)
	v_mul_f64 v[4:5], v[144:145], v[2:3]
	v_fma_f64 v[0:1], -v[0:1], v[4:5], v[144:145]
	s_delay_alu instid0(VALU_DEP_1) | instskip(NEXT) | instid1(VALU_DEP_1)
	v_div_fmas_f64 v[0:1], v[0:1], v[2:3], v[4:5]
	v_div_fixup_f64 v[0:1], v[0:1], v[142:143], v[140:141]
	s_delay_alu instid0(VALU_DEP_1) | instskip(NEXT) | instid1(VALU_DEP_1)
	v_fma_f64 v[2:3], v[140:141], v[0:1], v[142:143]
	v_div_scale_f64 v[4:5], null, v[2:3], v[2:3], 1.0
	s_delay_alu instid0(VALU_DEP_1) | instskip(SKIP_2) | instid1(VALU_DEP_1)
	v_rcp_f64_e32 v[140:141], v[4:5]
	s_waitcnt_depctr 0xfff
	v_fma_f64 v[142:143], -v[4:5], v[140:141], 1.0
	v_fma_f64 v[140:141], v[140:141], v[142:143], v[140:141]
	s_delay_alu instid0(VALU_DEP_1) | instskip(NEXT) | instid1(VALU_DEP_1)
	v_fma_f64 v[142:143], -v[4:5], v[140:141], 1.0
	v_fma_f64 v[140:141], v[140:141], v[142:143], v[140:141]
	v_div_scale_f64 v[142:143], vcc_lo, 1.0, v[2:3], 1.0
	s_delay_alu instid0(VALU_DEP_1) | instskip(NEXT) | instid1(VALU_DEP_1)
	v_mul_f64 v[144:145], v[142:143], v[140:141]
	v_fma_f64 v[4:5], -v[4:5], v[144:145], v[142:143]
	s_delay_alu instid0(VALU_DEP_1) | instskip(NEXT) | instid1(VALU_DEP_1)
	v_div_fmas_f64 v[4:5], v[4:5], v[140:141], v[144:145]
                                        ; implicit-def: $vgpr140_vgpr141
	v_div_fixup_f64 v[2:3], v[4:5], v[2:3], 1.0
	s_delay_alu instid0(VALU_DEP_1)
	v_mul_f64 v[4:5], v[0:1], v[2:3]
	v_xor_b32_e32 v3, 0x80000000, v3
.LBB127_441:
	s_and_not1_saveexec_b32 s3, s3
	s_cbranch_execz .LBB127_443
; %bb.442:
	v_div_scale_f64 v[0:1], null, v[140:141], v[140:141], v[142:143]
	v_div_scale_f64 v[144:145], vcc_lo, v[142:143], v[140:141], v[142:143]
	s_delay_alu instid0(VALU_DEP_2) | instskip(SKIP_2) | instid1(VALU_DEP_1)
	v_rcp_f64_e32 v[2:3], v[0:1]
	s_waitcnt_depctr 0xfff
	v_fma_f64 v[4:5], -v[0:1], v[2:3], 1.0
	v_fma_f64 v[2:3], v[2:3], v[4:5], v[2:3]
	s_delay_alu instid0(VALU_DEP_1) | instskip(NEXT) | instid1(VALU_DEP_1)
	v_fma_f64 v[4:5], -v[0:1], v[2:3], 1.0
	v_fma_f64 v[2:3], v[2:3], v[4:5], v[2:3]
	s_delay_alu instid0(VALU_DEP_1) | instskip(NEXT) | instid1(VALU_DEP_1)
	v_mul_f64 v[4:5], v[144:145], v[2:3]
	v_fma_f64 v[0:1], -v[0:1], v[4:5], v[144:145]
	s_delay_alu instid0(VALU_DEP_1) | instskip(NEXT) | instid1(VALU_DEP_1)
	v_div_fmas_f64 v[0:1], v[0:1], v[2:3], v[4:5]
	v_div_fixup_f64 v[0:1], v[0:1], v[140:141], v[142:143]
	s_delay_alu instid0(VALU_DEP_1) | instskip(NEXT) | instid1(VALU_DEP_1)
	v_fma_f64 v[2:3], v[142:143], v[0:1], v[140:141]
	v_div_scale_f64 v[4:5], null, v[2:3], v[2:3], 1.0
	s_delay_alu instid0(VALU_DEP_1) | instskip(SKIP_2) | instid1(VALU_DEP_1)
	v_rcp_f64_e32 v[140:141], v[4:5]
	s_waitcnt_depctr 0xfff
	v_fma_f64 v[142:143], -v[4:5], v[140:141], 1.0
	v_fma_f64 v[140:141], v[140:141], v[142:143], v[140:141]
	s_delay_alu instid0(VALU_DEP_1) | instskip(NEXT) | instid1(VALU_DEP_1)
	v_fma_f64 v[142:143], -v[4:5], v[140:141], 1.0
	v_fma_f64 v[140:141], v[140:141], v[142:143], v[140:141]
	v_div_scale_f64 v[142:143], vcc_lo, 1.0, v[2:3], 1.0
	s_delay_alu instid0(VALU_DEP_1) | instskip(NEXT) | instid1(VALU_DEP_1)
	v_mul_f64 v[144:145], v[142:143], v[140:141]
	v_fma_f64 v[4:5], -v[4:5], v[144:145], v[142:143]
	s_delay_alu instid0(VALU_DEP_1) | instskip(NEXT) | instid1(VALU_DEP_1)
	v_div_fmas_f64 v[4:5], v[4:5], v[140:141], v[144:145]
	v_div_fixup_f64 v[4:5], v[4:5], v[2:3], 1.0
	s_delay_alu instid0(VALU_DEP_1)
	v_mul_f64 v[2:3], v[0:1], -v[4:5]
.LBB127_443:
	s_or_b32 exec_lo, exec_lo, s3
	scratch_load_b32 v0, off, off offset:1024 ; 4-byte Folded Reload
	s_waitcnt vmcnt(0)
	ds_store_2addr_b64 v0, v[4:5], v[2:3] offset1:1
.LBB127_444:
	s_or_b32 exec_lo, exec_lo, s4
	s_waitcnt lgkmcnt(0)
	s_barrier
	buffer_gl0_inv
	scratch_load_b32 v0, off, off offset:1024 ; 4-byte Folded Reload
	s_mov_b32 s3, exec_lo
	s_waitcnt vmcnt(0)
	ds_load_2addr_b64 v[140:143], v0 offset1:1
	v_cmpx_lt_u32_e32 35, v254
	s_cbranch_execz .LBB127_447
; %bb.445:
	scratch_load_b128 v[0:3], off, off offset:560
	s_mov_b32 s4, 0
	s_waitcnt vmcnt(0) lgkmcnt(0)
	v_mul_f64 v[4:5], v[142:143], v[2:3]
	v_mul_f64 v[2:3], v[140:141], v[2:3]
	s_delay_alu instid0(VALU_DEP_2) | instskip(NEXT) | instid1(VALU_DEP_2)
	v_fma_f64 v[144:145], v[140:141], v[0:1], -v[4:5]
	v_fma_f64 v[146:147], v[142:143], v[0:1], v[2:3]
	v_add3_u32 v0, v188, 0, 0x240
	v_mov_b32_e32 v1, 0
	scratch_store_b128 off, v[144:147], off offset:560
.LBB127_446:                            ; =>This Inner Loop Header: Depth=1
	v_add_nc_u32_e32 v7, s4, v0
	v_readfirstlane_b32 s5, v1
	ds_load_2addr_b64 v[2:5], v7 offset1:1
	s_add_i32 s5, s5, s4
	s_addk_i32 s4, 0x70
	s_add_i32 s6, s5, 0x240
	s_waitcnt lgkmcnt(0)
	v_mul_f64 v[148:149], v[4:5], v[146:147]
	s_delay_alu instid0(VALU_DEP_1) | instskip(SKIP_1) | instid1(VALU_DEP_1)
	v_fma_f64 v[148:149], v[2:3], v[144:145], -v[148:149]
	v_mul_f64 v[2:3], v[2:3], v[146:147]
	v_fma_f64 v[150:151], v[4:5], v[144:145], v[2:3]
	scratch_load_b128 v[2:5], off, s6
	s_waitcnt vmcnt(0)
	v_add_f64 v[2:3], v[2:3], -v[148:149]
	v_add_f64 v[4:5], v[4:5], -v[150:151]
	scratch_store_b128 off, v[2:5], s6
	ds_load_2addr_b64 v[2:5], v7 offset0:2 offset1:3
	s_add_i32 s6, s5, 0x250
	s_waitcnt lgkmcnt(0)
	v_mul_f64 v[148:149], v[4:5], v[146:147]
	s_delay_alu instid0(VALU_DEP_1) | instskip(SKIP_1) | instid1(VALU_DEP_1)
	v_fma_f64 v[148:149], v[2:3], v[144:145], -v[148:149]
	v_mul_f64 v[2:3], v[2:3], v[146:147]
	v_fma_f64 v[150:151], v[4:5], v[144:145], v[2:3]
	scratch_load_b128 v[2:5], off, s6
	s_waitcnt vmcnt(0)
	v_add_f64 v[2:3], v[2:3], -v[148:149]
	v_add_f64 v[4:5], v[4:5], -v[150:151]
	scratch_store_b128 off, v[2:5], s6
	ds_load_2addr_b64 v[2:5], v7 offset0:4 offset1:5
	;; [unrolled: 13-line block ×5, first 2 shown]
	s_add_i32 s6, s5, 0x290
	s_addk_i32 s5, 0x2a0
	s_cmpk_lg_i32 s4, 0x1c0
	s_waitcnt lgkmcnt(0)
	v_mul_f64 v[148:149], v[4:5], v[146:147]
	s_delay_alu instid0(VALU_DEP_1) | instskip(SKIP_1) | instid1(VALU_DEP_1)
	v_fma_f64 v[148:149], v[2:3], v[144:145], -v[148:149]
	v_mul_f64 v[2:3], v[2:3], v[146:147]
	v_fma_f64 v[144:145], v[4:5], v[144:145], v[2:3]
	scratch_load_b128 v[2:5], off, s6
	s_waitcnt vmcnt(0)
	v_add_f64 v[4:5], v[4:5], -v[144:145]
	scratch_load_b128 v[144:147], off, off offset:560
	v_add_f64 v[2:3], v[2:3], -v[148:149]
	scratch_store_b128 off, v[2:5], s6
	ds_load_2addr_b64 v[2:5], v7 offset0:12 offset1:13
	s_waitcnt vmcnt(0) lgkmcnt(0)
	v_mul_f64 v[148:149], v[4:5], v[146:147]
	s_delay_alu instid0(VALU_DEP_1) | instskip(SKIP_1) | instid1(VALU_DEP_1)
	v_fma_f64 v[148:149], v[2:3], v[144:145], -v[148:149]
	v_mul_f64 v[2:3], v[2:3], v[146:147]
	v_fma_f64 v[150:151], v[4:5], v[144:145], v[2:3]
	scratch_load_b128 v[2:5], off, s5
	s_waitcnt vmcnt(0)
	v_add_f64 v[2:3], v[2:3], -v[148:149]
	v_add_f64 v[4:5], v[4:5], -v[150:151]
	scratch_store_b128 off, v[2:5], s5
	s_cbranch_scc1 .LBB127_446
.LBB127_447:
	s_or_b32 exec_lo, exec_lo, s3
	s_delay_alu instid0(SALU_CYCLE_1)
	s_mov_b32 s4, exec_lo
	s_waitcnt lgkmcnt(0)
	s_waitcnt_vscnt null, 0x0
	s_barrier
	buffer_gl0_inv
	v_cmpx_eq_u32_e32 36, v254
	s_cbranch_execz .LBB127_454
; %bb.448:
	scratch_load_b32 v0, off, off offset:1136 ; 4-byte Folded Reload
	s_waitcnt vmcnt(0)
	scratch_load_b128 v[0:3], v0, off
	scratch_load_b32 v4, off, off offset:1024 ; 4-byte Folded Reload
	s_waitcnt vmcnt(0)
	ds_store_2addr_b64 v4, v[0:1], v[2:3] offset1:1
	scratch_load_b32 v0, off, off offset:1132 ; 4-byte Folded Reload
	s_waitcnt vmcnt(0)
	scratch_load_b128 v[0:3], v0, off
	s_waitcnt vmcnt(0)
	ds_store_2addr_b64 v6, v[0:1], v[2:3] offset0:74 offset1:75
	scratch_load_b32 v0, off, off offset:1128 ; 4-byte Folded Reload
	s_waitcnt vmcnt(0)
	scratch_load_b128 v[0:3], v0, off
	s_waitcnt vmcnt(0)
	ds_store_2addr_b64 v6, v[0:1], v[2:3] offset0:76 offset1:77
	;; [unrolled: 5-line block ×27, first 2 shown]
	ds_load_2addr_b64 v[144:147], v4 offset1:1
	s_waitcnt lgkmcnt(0)
	v_cmp_neq_f64_e32 vcc_lo, 0, v[144:145]
	v_cmp_neq_f64_e64 s3, 0, v[146:147]
	s_delay_alu instid0(VALU_DEP_1) | instskip(NEXT) | instid1(SALU_CYCLE_1)
	s_or_b32 s3, vcc_lo, s3
	s_and_b32 exec_lo, exec_lo, s3
	s_cbranch_execz .LBB127_454
; %bb.449:
	v_cmp_gt_f64_e32 vcc_lo, 0, v[144:145]
	v_xor_b32_e32 v0, 0x80000000, v145
	v_xor_b32_e32 v2, 0x80000000, v147
	s_mov_b32 s3, exec_lo
                                        ; implicit-def: $vgpr4_vgpr5
	s_delay_alu instid0(VALU_DEP_2) | instskip(SKIP_4) | instid1(VALU_DEP_1)
	v_cndmask_b32_e32 v1, v145, v0, vcc_lo
	v_cndmask_b32_e32 v0, v144, v144, vcc_lo
	v_cmp_gt_f64_e32 vcc_lo, 0, v[146:147]
	v_cndmask_b32_e32 v3, v147, v2, vcc_lo
	v_cndmask_b32_e32 v2, v146, v146, vcc_lo
	v_cmpx_ngt_f64_e32 v[0:1], v[2:3]
	s_xor_b32 s3, exec_lo, s3
                                        ; implicit-def: $vgpr0_vgpr1_vgpr2_vgpr3
	s_cbranch_execz .LBB127_451
; %bb.450:
	v_div_scale_f64 v[0:1], null, v[146:147], v[146:147], v[144:145]
	v_div_scale_f64 v[148:149], vcc_lo, v[144:145], v[146:147], v[144:145]
	s_delay_alu instid0(VALU_DEP_2) | instskip(SKIP_2) | instid1(VALU_DEP_1)
	v_rcp_f64_e32 v[2:3], v[0:1]
	s_waitcnt_depctr 0xfff
	v_fma_f64 v[4:5], -v[0:1], v[2:3], 1.0
	v_fma_f64 v[2:3], v[2:3], v[4:5], v[2:3]
	s_delay_alu instid0(VALU_DEP_1) | instskip(NEXT) | instid1(VALU_DEP_1)
	v_fma_f64 v[4:5], -v[0:1], v[2:3], 1.0
	v_fma_f64 v[2:3], v[2:3], v[4:5], v[2:3]
	s_delay_alu instid0(VALU_DEP_1) | instskip(NEXT) | instid1(VALU_DEP_1)
	v_mul_f64 v[4:5], v[148:149], v[2:3]
	v_fma_f64 v[0:1], -v[0:1], v[4:5], v[148:149]
	s_delay_alu instid0(VALU_DEP_1) | instskip(NEXT) | instid1(VALU_DEP_1)
	v_div_fmas_f64 v[0:1], v[0:1], v[2:3], v[4:5]
	v_div_fixup_f64 v[0:1], v[0:1], v[146:147], v[144:145]
	s_delay_alu instid0(VALU_DEP_1) | instskip(NEXT) | instid1(VALU_DEP_1)
	v_fma_f64 v[2:3], v[144:145], v[0:1], v[146:147]
	v_div_scale_f64 v[4:5], null, v[2:3], v[2:3], 1.0
	s_delay_alu instid0(VALU_DEP_1) | instskip(SKIP_2) | instid1(VALU_DEP_1)
	v_rcp_f64_e32 v[144:145], v[4:5]
	s_waitcnt_depctr 0xfff
	v_fma_f64 v[146:147], -v[4:5], v[144:145], 1.0
	v_fma_f64 v[144:145], v[144:145], v[146:147], v[144:145]
	s_delay_alu instid0(VALU_DEP_1) | instskip(NEXT) | instid1(VALU_DEP_1)
	v_fma_f64 v[146:147], -v[4:5], v[144:145], 1.0
	v_fma_f64 v[144:145], v[144:145], v[146:147], v[144:145]
	v_div_scale_f64 v[146:147], vcc_lo, 1.0, v[2:3], 1.0
	s_delay_alu instid0(VALU_DEP_1) | instskip(NEXT) | instid1(VALU_DEP_1)
	v_mul_f64 v[148:149], v[146:147], v[144:145]
	v_fma_f64 v[4:5], -v[4:5], v[148:149], v[146:147]
	s_delay_alu instid0(VALU_DEP_1) | instskip(NEXT) | instid1(VALU_DEP_1)
	v_div_fmas_f64 v[4:5], v[4:5], v[144:145], v[148:149]
                                        ; implicit-def: $vgpr144_vgpr145
	v_div_fixup_f64 v[2:3], v[4:5], v[2:3], 1.0
	s_delay_alu instid0(VALU_DEP_1)
	v_mul_f64 v[4:5], v[0:1], v[2:3]
	v_xor_b32_e32 v3, 0x80000000, v3
.LBB127_451:
	s_and_not1_saveexec_b32 s3, s3
	s_cbranch_execz .LBB127_453
; %bb.452:
	v_div_scale_f64 v[0:1], null, v[144:145], v[144:145], v[146:147]
	v_div_scale_f64 v[148:149], vcc_lo, v[146:147], v[144:145], v[146:147]
	s_delay_alu instid0(VALU_DEP_2) | instskip(SKIP_2) | instid1(VALU_DEP_1)
	v_rcp_f64_e32 v[2:3], v[0:1]
	s_waitcnt_depctr 0xfff
	v_fma_f64 v[4:5], -v[0:1], v[2:3], 1.0
	v_fma_f64 v[2:3], v[2:3], v[4:5], v[2:3]
	s_delay_alu instid0(VALU_DEP_1) | instskip(NEXT) | instid1(VALU_DEP_1)
	v_fma_f64 v[4:5], -v[0:1], v[2:3], 1.0
	v_fma_f64 v[2:3], v[2:3], v[4:5], v[2:3]
	s_delay_alu instid0(VALU_DEP_1) | instskip(NEXT) | instid1(VALU_DEP_1)
	v_mul_f64 v[4:5], v[148:149], v[2:3]
	v_fma_f64 v[0:1], -v[0:1], v[4:5], v[148:149]
	s_delay_alu instid0(VALU_DEP_1) | instskip(NEXT) | instid1(VALU_DEP_1)
	v_div_fmas_f64 v[0:1], v[0:1], v[2:3], v[4:5]
	v_div_fixup_f64 v[0:1], v[0:1], v[144:145], v[146:147]
	s_delay_alu instid0(VALU_DEP_1) | instskip(NEXT) | instid1(VALU_DEP_1)
	v_fma_f64 v[2:3], v[146:147], v[0:1], v[144:145]
	v_div_scale_f64 v[4:5], null, v[2:3], v[2:3], 1.0
	s_delay_alu instid0(VALU_DEP_1) | instskip(SKIP_2) | instid1(VALU_DEP_1)
	v_rcp_f64_e32 v[144:145], v[4:5]
	s_waitcnt_depctr 0xfff
	v_fma_f64 v[146:147], -v[4:5], v[144:145], 1.0
	v_fma_f64 v[144:145], v[144:145], v[146:147], v[144:145]
	s_delay_alu instid0(VALU_DEP_1) | instskip(NEXT) | instid1(VALU_DEP_1)
	v_fma_f64 v[146:147], -v[4:5], v[144:145], 1.0
	v_fma_f64 v[144:145], v[144:145], v[146:147], v[144:145]
	v_div_scale_f64 v[146:147], vcc_lo, 1.0, v[2:3], 1.0
	s_delay_alu instid0(VALU_DEP_1) | instskip(NEXT) | instid1(VALU_DEP_1)
	v_mul_f64 v[148:149], v[146:147], v[144:145]
	v_fma_f64 v[4:5], -v[4:5], v[148:149], v[146:147]
	s_delay_alu instid0(VALU_DEP_1) | instskip(NEXT) | instid1(VALU_DEP_1)
	v_div_fmas_f64 v[4:5], v[4:5], v[144:145], v[148:149]
	v_div_fixup_f64 v[4:5], v[4:5], v[2:3], 1.0
	s_delay_alu instid0(VALU_DEP_1)
	v_mul_f64 v[2:3], v[0:1], -v[4:5]
.LBB127_453:
	s_or_b32 exec_lo, exec_lo, s3
	scratch_load_b32 v0, off, off offset:1024 ; 4-byte Folded Reload
	s_waitcnt vmcnt(0)
	ds_store_2addr_b64 v0, v[4:5], v[2:3] offset1:1
.LBB127_454:
	s_or_b32 exec_lo, exec_lo, s4
	s_waitcnt lgkmcnt(0)
	s_barrier
	buffer_gl0_inv
	scratch_load_b32 v0, off, off offset:1024 ; 4-byte Folded Reload
	s_mov_b32 s3, exec_lo
	s_waitcnt vmcnt(0)
	ds_load_2addr_b64 v[144:147], v0 offset1:1
	v_cmpx_lt_u32_e32 36, v254
	s_cbranch_execz .LBB127_457
; %bb.455:
	scratch_load_b128 v[0:3], off, off offset:576
	s_mov_b32 s4, 0
	s_waitcnt vmcnt(0) lgkmcnt(0)
	v_mul_f64 v[4:5], v[146:147], v[2:3]
	v_mul_f64 v[2:3], v[144:145], v[2:3]
	s_delay_alu instid0(VALU_DEP_2) | instskip(NEXT) | instid1(VALU_DEP_2)
	v_fma_f64 v[148:149], v[144:145], v[0:1], -v[4:5]
	v_fma_f64 v[150:151], v[146:147], v[0:1], v[2:3]
	v_add3_u32 v0, v188, 0, 0x250
	v_mov_b32_e32 v1, 0
	scratch_store_b128 off, v[148:151], off offset:576
.LBB127_456:                            ; =>This Inner Loop Header: Depth=1
	v_add_nc_u32_e32 v7, s4, v0
	v_readfirstlane_b32 s5, v1
	ds_load_2addr_b64 v[2:5], v7 offset1:1
	s_add_i32 s5, s5, s4
	s_add_i32 s4, s4, 48
	;; [unrolled: 1-line block ×3, first 2 shown]
	s_waitcnt lgkmcnt(0)
	v_mul_f64 v[152:153], v[4:5], v[150:151]
	s_delay_alu instid0(VALU_DEP_1) | instskip(SKIP_1) | instid1(VALU_DEP_1)
	v_fma_f64 v[152:153], v[2:3], v[148:149], -v[152:153]
	v_mul_f64 v[2:3], v[2:3], v[150:151]
	v_fma_f64 v[154:155], v[4:5], v[148:149], v[2:3]
	scratch_load_b128 v[2:5], off, s6
	s_waitcnt vmcnt(0)
	v_add_f64 v[2:3], v[2:3], -v[152:153]
	v_add_f64 v[4:5], v[4:5], -v[154:155]
	scratch_store_b128 off, v[2:5], s6
	ds_load_2addr_b64 v[2:5], v7 offset0:2 offset1:3
	s_add_i32 s6, s5, 0x260
	s_addk_i32 s5, 0x270
	s_cmpk_lg_i32 s4, 0x1b0
	s_waitcnt lgkmcnt(0)
	v_mul_f64 v[152:153], v[4:5], v[150:151]
	s_delay_alu instid0(VALU_DEP_1) | instskip(SKIP_1) | instid1(VALU_DEP_1)
	v_fma_f64 v[152:153], v[2:3], v[148:149], -v[152:153]
	v_mul_f64 v[2:3], v[2:3], v[150:151]
	v_fma_f64 v[154:155], v[4:5], v[148:149], v[2:3]
	scratch_load_b128 v[2:5], off, s6
	s_waitcnt vmcnt(0)
	v_add_f64 v[2:3], v[2:3], -v[152:153]
	v_add_f64 v[4:5], v[4:5], -v[154:155]
	scratch_store_b128 off, v[2:5], s6
	ds_load_2addr_b64 v[2:5], v7 offset0:4 offset1:5
	s_waitcnt lgkmcnt(0)
	v_mul_f64 v[152:153], v[4:5], v[150:151]
	s_delay_alu instid0(VALU_DEP_1) | instskip(SKIP_1) | instid1(VALU_DEP_1)
	v_fma_f64 v[152:153], v[2:3], v[148:149], -v[152:153]
	v_mul_f64 v[2:3], v[2:3], v[150:151]
	v_fma_f64 v[154:155], v[4:5], v[148:149], v[2:3]
	scratch_load_b128 v[2:5], off, s5
	s_waitcnt vmcnt(0)
	v_add_f64 v[2:3], v[2:3], -v[152:153]
	v_add_f64 v[4:5], v[4:5], -v[154:155]
	scratch_store_b128 off, v[2:5], s5
	s_cbranch_scc1 .LBB127_456
.LBB127_457:
	s_or_b32 exec_lo, exec_lo, s3
	s_delay_alu instid0(SALU_CYCLE_1)
	s_mov_b32 s4, exec_lo
	s_waitcnt lgkmcnt(0)
	s_waitcnt_vscnt null, 0x0
	s_barrier
	buffer_gl0_inv
	v_cmpx_eq_u32_e32 37, v254
	s_cbranch_execz .LBB127_464
; %bb.458:
	scratch_load_b32 v0, off, off offset:1132 ; 4-byte Folded Reload
	s_waitcnt vmcnt(0)
	scratch_load_b128 v[0:3], v0, off
	scratch_load_b32 v4, off, off offset:1024 ; 4-byte Folded Reload
	s_waitcnt vmcnt(0)
	ds_store_2addr_b64 v4, v[0:1], v[2:3] offset1:1
	scratch_load_b32 v0, off, off offset:1128 ; 4-byte Folded Reload
	s_waitcnt vmcnt(0)
	scratch_load_b128 v[0:3], v0, off
	s_waitcnt vmcnt(0)
	ds_store_2addr_b64 v6, v[0:1], v[2:3] offset0:76 offset1:77
	scratch_load_b32 v0, off, off offset:1124 ; 4-byte Folded Reload
	s_waitcnt vmcnt(0)
	scratch_load_b128 v[0:3], v0, off
	s_waitcnt vmcnt(0)
	ds_store_2addr_b64 v6, v[0:1], v[2:3] offset0:78 offset1:79
	scratch_load_b32 v0, off, off offset:1120 ; 4-byte Folded Reload
	s_waitcnt vmcnt(0)
	scratch_load_b128 v[0:3], v0, off
	s_waitcnt vmcnt(0)
	ds_store_2addr_b64 v6, v[0:1], v[2:3] offset0:80 offset1:81
	scratch_load_b32 v0, off, off offset:1116 ; 4-byte Folded Reload
	s_waitcnt vmcnt(0)
	scratch_load_b128 v[0:3], v0, off
	s_waitcnt vmcnt(0)
	ds_store_2addr_b64 v6, v[0:1], v[2:3] offset0:82 offset1:83
	scratch_load_b32 v0, off, off offset:1112 ; 4-byte Folded Reload
	s_waitcnt vmcnt(0)
	scratch_load_b128 v[0:3], v0, off
	s_waitcnt vmcnt(0)
	ds_store_2addr_b64 v6, v[0:1], v[2:3] offset0:84 offset1:85
	scratch_load_b32 v0, off, off offset:1108 ; 4-byte Folded Reload
	s_waitcnt vmcnt(0)
	scratch_load_b128 v[0:3], v0, off
	s_waitcnt vmcnt(0)
	ds_store_2addr_b64 v6, v[0:1], v[2:3] offset0:86 offset1:87
	scratch_load_b32 v0, off, off offset:1104 ; 4-byte Folded Reload
	s_waitcnt vmcnt(0)
	scratch_load_b128 v[0:3], v0, off
	s_waitcnt vmcnt(0)
	ds_store_2addr_b64 v6, v[0:1], v[2:3] offset0:88 offset1:89
	scratch_load_b32 v0, off, off offset:1100 ; 4-byte Folded Reload
	s_waitcnt vmcnt(0)
	scratch_load_b128 v[0:3], v0, off
	s_waitcnt vmcnt(0)
	ds_store_2addr_b64 v6, v[0:1], v[2:3] offset0:90 offset1:91
	scratch_load_b32 v0, off, off offset:1096 ; 4-byte Folded Reload
	s_waitcnt vmcnt(0)
	scratch_load_b128 v[0:3], v0, off
	s_waitcnt vmcnt(0)
	ds_store_2addr_b64 v6, v[0:1], v[2:3] offset0:92 offset1:93
	scratch_load_b32 v0, off, off offset:1092 ; 4-byte Folded Reload
	s_waitcnt vmcnt(0)
	scratch_load_b128 v[0:3], v0, off
	s_waitcnt vmcnt(0)
	ds_store_2addr_b64 v6, v[0:1], v[2:3] offset0:94 offset1:95
	scratch_load_b32 v0, off, off offset:1088 ; 4-byte Folded Reload
	s_waitcnt vmcnt(0)
	scratch_load_b128 v[0:3], v0, off
	s_waitcnt vmcnt(0)
	ds_store_2addr_b64 v6, v[0:1], v[2:3] offset0:96 offset1:97
	scratch_load_b32 v0, off, off offset:1084 ; 4-byte Folded Reload
	s_waitcnt vmcnt(0)
	scratch_load_b128 v[0:3], v0, off
	s_waitcnt vmcnt(0)
	ds_store_2addr_b64 v6, v[0:1], v[2:3] offset0:98 offset1:99
	scratch_load_b32 v0, off, off offset:1080 ; 4-byte Folded Reload
	s_waitcnt vmcnt(0)
	scratch_load_b128 v[0:3], v0, off
	s_waitcnt vmcnt(0)
	ds_store_2addr_b64 v6, v[0:1], v[2:3] offset0:100 offset1:101
	scratch_load_b32 v0, off, off offset:1076 ; 4-byte Folded Reload
	s_waitcnt vmcnt(0)
	scratch_load_b128 v[0:3], v0, off
	s_waitcnt vmcnt(0)
	ds_store_2addr_b64 v6, v[0:1], v[2:3] offset0:102 offset1:103
	scratch_load_b32 v0, off, off offset:1072 ; 4-byte Folded Reload
	s_waitcnt vmcnt(0)
	scratch_load_b128 v[0:3], v0, off
	s_waitcnt vmcnt(0)
	ds_store_2addr_b64 v6, v[0:1], v[2:3] offset0:104 offset1:105
	scratch_load_b32 v0, off, off offset:1068 ; 4-byte Folded Reload
	s_waitcnt vmcnt(0)
	scratch_load_b128 v[0:3], v0, off
	s_waitcnt vmcnt(0)
	ds_store_2addr_b64 v6, v[0:1], v[2:3] offset0:106 offset1:107
	scratch_load_b32 v0, off, off offset:1064 ; 4-byte Folded Reload
	s_waitcnt vmcnt(0)
	scratch_load_b128 v[0:3], v0, off
	s_waitcnt vmcnt(0)
	ds_store_2addr_b64 v6, v[0:1], v[2:3] offset0:108 offset1:109
	scratch_load_b32 v0, off, off offset:1060 ; 4-byte Folded Reload
	s_waitcnt vmcnt(0)
	scratch_load_b128 v[0:3], v0, off
	s_waitcnt vmcnt(0)
	ds_store_2addr_b64 v6, v[0:1], v[2:3] offset0:110 offset1:111
	scratch_load_b32 v0, off, off offset:1056 ; 4-byte Folded Reload
	s_waitcnt vmcnt(0)
	scratch_load_b128 v[0:3], v0, off
	s_waitcnt vmcnt(0)
	ds_store_2addr_b64 v6, v[0:1], v[2:3] offset0:112 offset1:113
	scratch_load_b32 v0, off, off offset:1052 ; 4-byte Folded Reload
	s_waitcnt vmcnt(0)
	scratch_load_b128 v[0:3], v0, off
	s_waitcnt vmcnt(0)
	ds_store_2addr_b64 v6, v[0:1], v[2:3] offset0:114 offset1:115
	scratch_load_b32 v0, off, off offset:1048 ; 4-byte Folded Reload
	s_waitcnt vmcnt(0)
	scratch_load_b128 v[0:3], v0, off
	s_waitcnt vmcnt(0)
	ds_store_2addr_b64 v6, v[0:1], v[2:3] offset0:116 offset1:117
	scratch_load_b32 v0, off, off offset:1044 ; 4-byte Folded Reload
	s_waitcnt vmcnt(0)
	scratch_load_b128 v[0:3], v0, off
	s_waitcnt vmcnt(0)
	ds_store_2addr_b64 v6, v[0:1], v[2:3] offset0:118 offset1:119
	scratch_load_b32 v0, off, off offset:1040 ; 4-byte Folded Reload
	s_waitcnt vmcnt(0)
	scratch_load_b128 v[0:3], v0, off
	s_waitcnt vmcnt(0)
	ds_store_2addr_b64 v6, v[0:1], v[2:3] offset0:120 offset1:121
	scratch_load_b32 v0, off, off offset:1036 ; 4-byte Folded Reload
	s_waitcnt vmcnt(0)
	scratch_load_b128 v[0:3], v0, off
	s_waitcnt vmcnt(0)
	ds_store_2addr_b64 v6, v[0:1], v[2:3] offset0:122 offset1:123
	scratch_load_b32 v0, off, off offset:1032 ; 4-byte Folded Reload
	s_waitcnt vmcnt(0)
	scratch_load_b128 v[0:3], v0, off
	s_waitcnt vmcnt(0)
	ds_store_2addr_b64 v6, v[0:1], v[2:3] offset0:124 offset1:125
	scratch_load_b32 v0, off, off offset:1028 ; 4-byte Folded Reload
	s_waitcnt vmcnt(0)
	scratch_load_b128 v[0:3], v0, off
	s_waitcnt vmcnt(0)
	ds_store_2addr_b64 v6, v[0:1], v[2:3] offset0:126 offset1:127
	ds_load_2addr_b64 v[148:151], v4 offset1:1
	s_waitcnt lgkmcnt(0)
	v_cmp_neq_f64_e32 vcc_lo, 0, v[148:149]
	v_cmp_neq_f64_e64 s3, 0, v[150:151]
	s_delay_alu instid0(VALU_DEP_1) | instskip(NEXT) | instid1(SALU_CYCLE_1)
	s_or_b32 s3, vcc_lo, s3
	s_and_b32 exec_lo, exec_lo, s3
	s_cbranch_execz .LBB127_464
; %bb.459:
	v_cmp_gt_f64_e32 vcc_lo, 0, v[148:149]
	v_xor_b32_e32 v0, 0x80000000, v149
	v_xor_b32_e32 v2, 0x80000000, v151
	s_mov_b32 s3, exec_lo
                                        ; implicit-def: $vgpr4_vgpr5
	s_delay_alu instid0(VALU_DEP_2) | instskip(SKIP_4) | instid1(VALU_DEP_1)
	v_cndmask_b32_e32 v1, v149, v0, vcc_lo
	v_cndmask_b32_e32 v0, v148, v148, vcc_lo
	v_cmp_gt_f64_e32 vcc_lo, 0, v[150:151]
	v_cndmask_b32_e32 v3, v151, v2, vcc_lo
	v_cndmask_b32_e32 v2, v150, v150, vcc_lo
	v_cmpx_ngt_f64_e32 v[0:1], v[2:3]
	s_xor_b32 s3, exec_lo, s3
                                        ; implicit-def: $vgpr0_vgpr1_vgpr2_vgpr3
	s_cbranch_execz .LBB127_461
; %bb.460:
	v_div_scale_f64 v[0:1], null, v[150:151], v[150:151], v[148:149]
	v_div_scale_f64 v[152:153], vcc_lo, v[148:149], v[150:151], v[148:149]
	s_delay_alu instid0(VALU_DEP_2) | instskip(SKIP_2) | instid1(VALU_DEP_1)
	v_rcp_f64_e32 v[2:3], v[0:1]
	s_waitcnt_depctr 0xfff
	v_fma_f64 v[4:5], -v[0:1], v[2:3], 1.0
	v_fma_f64 v[2:3], v[2:3], v[4:5], v[2:3]
	s_delay_alu instid0(VALU_DEP_1) | instskip(NEXT) | instid1(VALU_DEP_1)
	v_fma_f64 v[4:5], -v[0:1], v[2:3], 1.0
	v_fma_f64 v[2:3], v[2:3], v[4:5], v[2:3]
	s_delay_alu instid0(VALU_DEP_1) | instskip(NEXT) | instid1(VALU_DEP_1)
	v_mul_f64 v[4:5], v[152:153], v[2:3]
	v_fma_f64 v[0:1], -v[0:1], v[4:5], v[152:153]
	s_delay_alu instid0(VALU_DEP_1) | instskip(NEXT) | instid1(VALU_DEP_1)
	v_div_fmas_f64 v[0:1], v[0:1], v[2:3], v[4:5]
	v_div_fixup_f64 v[0:1], v[0:1], v[150:151], v[148:149]
	s_delay_alu instid0(VALU_DEP_1) | instskip(NEXT) | instid1(VALU_DEP_1)
	v_fma_f64 v[2:3], v[148:149], v[0:1], v[150:151]
	v_div_scale_f64 v[4:5], null, v[2:3], v[2:3], 1.0
	s_delay_alu instid0(VALU_DEP_1) | instskip(SKIP_2) | instid1(VALU_DEP_1)
	v_rcp_f64_e32 v[148:149], v[4:5]
	s_waitcnt_depctr 0xfff
	v_fma_f64 v[150:151], -v[4:5], v[148:149], 1.0
	v_fma_f64 v[148:149], v[148:149], v[150:151], v[148:149]
	s_delay_alu instid0(VALU_DEP_1) | instskip(NEXT) | instid1(VALU_DEP_1)
	v_fma_f64 v[150:151], -v[4:5], v[148:149], 1.0
	v_fma_f64 v[148:149], v[148:149], v[150:151], v[148:149]
	v_div_scale_f64 v[150:151], vcc_lo, 1.0, v[2:3], 1.0
	s_delay_alu instid0(VALU_DEP_1) | instskip(NEXT) | instid1(VALU_DEP_1)
	v_mul_f64 v[152:153], v[150:151], v[148:149]
	v_fma_f64 v[4:5], -v[4:5], v[152:153], v[150:151]
	s_delay_alu instid0(VALU_DEP_1) | instskip(NEXT) | instid1(VALU_DEP_1)
	v_div_fmas_f64 v[4:5], v[4:5], v[148:149], v[152:153]
                                        ; implicit-def: $vgpr148_vgpr149
	v_div_fixup_f64 v[2:3], v[4:5], v[2:3], 1.0
	s_delay_alu instid0(VALU_DEP_1)
	v_mul_f64 v[4:5], v[0:1], v[2:3]
	v_xor_b32_e32 v3, 0x80000000, v3
.LBB127_461:
	s_and_not1_saveexec_b32 s3, s3
	s_cbranch_execz .LBB127_463
; %bb.462:
	v_div_scale_f64 v[0:1], null, v[148:149], v[148:149], v[150:151]
	v_div_scale_f64 v[152:153], vcc_lo, v[150:151], v[148:149], v[150:151]
	s_delay_alu instid0(VALU_DEP_2) | instskip(SKIP_2) | instid1(VALU_DEP_1)
	v_rcp_f64_e32 v[2:3], v[0:1]
	s_waitcnt_depctr 0xfff
	v_fma_f64 v[4:5], -v[0:1], v[2:3], 1.0
	v_fma_f64 v[2:3], v[2:3], v[4:5], v[2:3]
	s_delay_alu instid0(VALU_DEP_1) | instskip(NEXT) | instid1(VALU_DEP_1)
	v_fma_f64 v[4:5], -v[0:1], v[2:3], 1.0
	v_fma_f64 v[2:3], v[2:3], v[4:5], v[2:3]
	s_delay_alu instid0(VALU_DEP_1) | instskip(NEXT) | instid1(VALU_DEP_1)
	v_mul_f64 v[4:5], v[152:153], v[2:3]
	v_fma_f64 v[0:1], -v[0:1], v[4:5], v[152:153]
	s_delay_alu instid0(VALU_DEP_1) | instskip(NEXT) | instid1(VALU_DEP_1)
	v_div_fmas_f64 v[0:1], v[0:1], v[2:3], v[4:5]
	v_div_fixup_f64 v[0:1], v[0:1], v[148:149], v[150:151]
	s_delay_alu instid0(VALU_DEP_1) | instskip(NEXT) | instid1(VALU_DEP_1)
	v_fma_f64 v[2:3], v[150:151], v[0:1], v[148:149]
	v_div_scale_f64 v[4:5], null, v[2:3], v[2:3], 1.0
	s_delay_alu instid0(VALU_DEP_1) | instskip(SKIP_2) | instid1(VALU_DEP_1)
	v_rcp_f64_e32 v[148:149], v[4:5]
	s_waitcnt_depctr 0xfff
	v_fma_f64 v[150:151], -v[4:5], v[148:149], 1.0
	v_fma_f64 v[148:149], v[148:149], v[150:151], v[148:149]
	s_delay_alu instid0(VALU_DEP_1) | instskip(NEXT) | instid1(VALU_DEP_1)
	v_fma_f64 v[150:151], -v[4:5], v[148:149], 1.0
	v_fma_f64 v[148:149], v[148:149], v[150:151], v[148:149]
	v_div_scale_f64 v[150:151], vcc_lo, 1.0, v[2:3], 1.0
	s_delay_alu instid0(VALU_DEP_1) | instskip(NEXT) | instid1(VALU_DEP_1)
	v_mul_f64 v[152:153], v[150:151], v[148:149]
	v_fma_f64 v[4:5], -v[4:5], v[152:153], v[150:151]
	s_delay_alu instid0(VALU_DEP_1) | instskip(NEXT) | instid1(VALU_DEP_1)
	v_div_fmas_f64 v[4:5], v[4:5], v[148:149], v[152:153]
	v_div_fixup_f64 v[4:5], v[4:5], v[2:3], 1.0
	s_delay_alu instid0(VALU_DEP_1)
	v_mul_f64 v[2:3], v[0:1], -v[4:5]
.LBB127_463:
	s_or_b32 exec_lo, exec_lo, s3
	scratch_load_b32 v0, off, off offset:1024 ; 4-byte Folded Reload
	s_waitcnt vmcnt(0)
	ds_store_2addr_b64 v0, v[4:5], v[2:3] offset1:1
.LBB127_464:
	s_or_b32 exec_lo, exec_lo, s4
	s_waitcnt lgkmcnt(0)
	s_barrier
	buffer_gl0_inv
	scratch_load_b32 v0, off, off offset:1024 ; 4-byte Folded Reload
	s_mov_b32 s3, exec_lo
	s_waitcnt vmcnt(0)
	ds_load_2addr_b64 v[148:151], v0 offset1:1
	v_cmpx_lt_u32_e32 37, v254
	s_cbranch_execz .LBB127_467
; %bb.465:
	scratch_load_b128 v[0:3], off, off offset:592
	s_mov_b32 s4, 0
	s_waitcnt vmcnt(0) lgkmcnt(0)
	v_mul_f64 v[4:5], v[150:151], v[2:3]
	v_mul_f64 v[2:3], v[148:149], v[2:3]
	s_delay_alu instid0(VALU_DEP_2) | instskip(NEXT) | instid1(VALU_DEP_2)
	v_fma_f64 v[152:153], v[148:149], v[0:1], -v[4:5]
	v_fma_f64 v[154:155], v[150:151], v[0:1], v[2:3]
	v_add3_u32 v0, v188, 0, 0x260
	scratch_store_b128 off, v[152:155], off offset:592
	s_set_inst_prefetch_distance 0x1
	.p2align	6
.LBB127_466:                            ; =>This Inner Loop Header: Depth=1
	v_add_nc_u32_e32 v5, s4, v0
	v_add_nc_u32_e64 v7, s4, 0
	s_add_i32 s4, s4, 32
	s_delay_alu instid0(SALU_CYCLE_1) | instskip(SKIP_4) | instid1(VALU_DEP_1)
	s_cmpk_lg_i32 s4, 0x1a0
	ds_load_2addr_b64 v[1:4], v5 offset1:1
	v_add_nc_u32_e32 v160, 0x260, v7
	s_waitcnt lgkmcnt(0)
	v_mul_f64 v[156:157], v[3:4], v[154:155]
	v_fma_f64 v[156:157], v[1:2], v[152:153], -v[156:157]
	v_mul_f64 v[1:2], v[1:2], v[154:155]
	s_delay_alu instid0(VALU_DEP_1)
	v_fma_f64 v[158:159], v[3:4], v[152:153], v[1:2]
	scratch_load_b128 v[1:4], v160, off
	s_waitcnt vmcnt(0)
	v_add_f64 v[1:2], v[1:2], -v[156:157]
	v_add_f64 v[3:4], v[3:4], -v[158:159]
	scratch_store_b128 v160, v[1:4], off
	ds_load_2addr_b64 v[1:4], v5 offset0:2 offset1:3
	v_add_nc_u32_e32 v5, 0x270, v7
	s_waitcnt lgkmcnt(0)
	v_mul_f64 v[156:157], v[3:4], v[154:155]
	s_delay_alu instid0(VALU_DEP_1) | instskip(SKIP_1) | instid1(VALU_DEP_1)
	v_fma_f64 v[156:157], v[1:2], v[152:153], -v[156:157]
	v_mul_f64 v[1:2], v[1:2], v[154:155]
	v_fma_f64 v[158:159], v[3:4], v[152:153], v[1:2]
	scratch_load_b128 v[1:4], v5, off
	s_waitcnt vmcnt(0)
	v_add_f64 v[1:2], v[1:2], -v[156:157]
	v_add_f64 v[3:4], v[3:4], -v[158:159]
	scratch_store_b128 v5, v[1:4], off
	s_cbranch_scc1 .LBB127_466
.LBB127_467:
	s_set_inst_prefetch_distance 0x2
	s_or_b32 exec_lo, exec_lo, s3
	s_delay_alu instid0(SALU_CYCLE_1)
	s_mov_b32 s4, exec_lo
	s_waitcnt lgkmcnt(0)
	s_waitcnt_vscnt null, 0x0
	s_barrier
	buffer_gl0_inv
	v_cmpx_eq_u32_e32 38, v254
	s_cbranch_execz .LBB127_474
; %bb.468:
	scratch_load_b32 v0, off, off offset:1128 ; 4-byte Folded Reload
	s_waitcnt vmcnt(0)
	scratch_load_b128 v[0:3], v0, off
	scratch_load_b32 v4, off, off offset:1024 ; 4-byte Folded Reload
	s_waitcnt vmcnt(0)
	ds_store_2addr_b64 v4, v[0:1], v[2:3] offset1:1
	scratch_load_b32 v0, off, off offset:1124 ; 4-byte Folded Reload
	s_waitcnt vmcnt(0)
	scratch_load_b128 v[0:3], v0, off
	s_waitcnt vmcnt(0)
	ds_store_2addr_b64 v6, v[0:1], v[2:3] offset0:78 offset1:79
	scratch_load_b32 v0, off, off offset:1120 ; 4-byte Folded Reload
	s_waitcnt vmcnt(0)
	scratch_load_b128 v[0:3], v0, off
	s_waitcnt vmcnt(0)
	ds_store_2addr_b64 v6, v[0:1], v[2:3] offset0:80 offset1:81
	;; [unrolled: 5-line block ×25, first 2 shown]
	ds_load_2addr_b64 v[152:155], v4 offset1:1
	s_waitcnt lgkmcnt(0)
	v_cmp_neq_f64_e32 vcc_lo, 0, v[152:153]
	v_cmp_neq_f64_e64 s3, 0, v[154:155]
	s_delay_alu instid0(VALU_DEP_1) | instskip(NEXT) | instid1(SALU_CYCLE_1)
	s_or_b32 s3, vcc_lo, s3
	s_and_b32 exec_lo, exec_lo, s3
	s_cbranch_execz .LBB127_474
; %bb.469:
	v_cmp_gt_f64_e32 vcc_lo, 0, v[152:153]
	v_xor_b32_e32 v0, 0x80000000, v153
	v_xor_b32_e32 v2, 0x80000000, v155
	s_mov_b32 s3, exec_lo
                                        ; implicit-def: $vgpr4_vgpr5
	s_delay_alu instid0(VALU_DEP_2) | instskip(SKIP_4) | instid1(VALU_DEP_1)
	v_cndmask_b32_e32 v1, v153, v0, vcc_lo
	v_cndmask_b32_e32 v0, v152, v152, vcc_lo
	v_cmp_gt_f64_e32 vcc_lo, 0, v[154:155]
	v_cndmask_b32_e32 v3, v155, v2, vcc_lo
	v_cndmask_b32_e32 v2, v154, v154, vcc_lo
	v_cmpx_ngt_f64_e32 v[0:1], v[2:3]
	s_xor_b32 s3, exec_lo, s3
                                        ; implicit-def: $vgpr0_vgpr1_vgpr2_vgpr3
	s_cbranch_execz .LBB127_471
; %bb.470:
	v_div_scale_f64 v[0:1], null, v[154:155], v[154:155], v[152:153]
	v_div_scale_f64 v[156:157], vcc_lo, v[152:153], v[154:155], v[152:153]
	s_delay_alu instid0(VALU_DEP_2) | instskip(SKIP_2) | instid1(VALU_DEP_1)
	v_rcp_f64_e32 v[2:3], v[0:1]
	s_waitcnt_depctr 0xfff
	v_fma_f64 v[4:5], -v[0:1], v[2:3], 1.0
	v_fma_f64 v[2:3], v[2:3], v[4:5], v[2:3]
	s_delay_alu instid0(VALU_DEP_1) | instskip(NEXT) | instid1(VALU_DEP_1)
	v_fma_f64 v[4:5], -v[0:1], v[2:3], 1.0
	v_fma_f64 v[2:3], v[2:3], v[4:5], v[2:3]
	s_delay_alu instid0(VALU_DEP_1) | instskip(NEXT) | instid1(VALU_DEP_1)
	v_mul_f64 v[4:5], v[156:157], v[2:3]
	v_fma_f64 v[0:1], -v[0:1], v[4:5], v[156:157]
	s_delay_alu instid0(VALU_DEP_1) | instskip(NEXT) | instid1(VALU_DEP_1)
	v_div_fmas_f64 v[0:1], v[0:1], v[2:3], v[4:5]
	v_div_fixup_f64 v[0:1], v[0:1], v[154:155], v[152:153]
	s_delay_alu instid0(VALU_DEP_1) | instskip(NEXT) | instid1(VALU_DEP_1)
	v_fma_f64 v[2:3], v[152:153], v[0:1], v[154:155]
	v_div_scale_f64 v[4:5], null, v[2:3], v[2:3], 1.0
	s_delay_alu instid0(VALU_DEP_1) | instskip(SKIP_2) | instid1(VALU_DEP_1)
	v_rcp_f64_e32 v[152:153], v[4:5]
	s_waitcnt_depctr 0xfff
	v_fma_f64 v[154:155], -v[4:5], v[152:153], 1.0
	v_fma_f64 v[152:153], v[152:153], v[154:155], v[152:153]
	s_delay_alu instid0(VALU_DEP_1) | instskip(NEXT) | instid1(VALU_DEP_1)
	v_fma_f64 v[154:155], -v[4:5], v[152:153], 1.0
	v_fma_f64 v[152:153], v[152:153], v[154:155], v[152:153]
	v_div_scale_f64 v[154:155], vcc_lo, 1.0, v[2:3], 1.0
	s_delay_alu instid0(VALU_DEP_1) | instskip(NEXT) | instid1(VALU_DEP_1)
	v_mul_f64 v[156:157], v[154:155], v[152:153]
	v_fma_f64 v[4:5], -v[4:5], v[156:157], v[154:155]
	s_delay_alu instid0(VALU_DEP_1) | instskip(NEXT) | instid1(VALU_DEP_1)
	v_div_fmas_f64 v[4:5], v[4:5], v[152:153], v[156:157]
                                        ; implicit-def: $vgpr152_vgpr153
	v_div_fixup_f64 v[2:3], v[4:5], v[2:3], 1.0
	s_delay_alu instid0(VALU_DEP_1)
	v_mul_f64 v[4:5], v[0:1], v[2:3]
	v_xor_b32_e32 v3, 0x80000000, v3
.LBB127_471:
	s_and_not1_saveexec_b32 s3, s3
	s_cbranch_execz .LBB127_473
; %bb.472:
	v_div_scale_f64 v[0:1], null, v[152:153], v[152:153], v[154:155]
	v_div_scale_f64 v[156:157], vcc_lo, v[154:155], v[152:153], v[154:155]
	s_delay_alu instid0(VALU_DEP_2) | instskip(SKIP_2) | instid1(VALU_DEP_1)
	v_rcp_f64_e32 v[2:3], v[0:1]
	s_waitcnt_depctr 0xfff
	v_fma_f64 v[4:5], -v[0:1], v[2:3], 1.0
	v_fma_f64 v[2:3], v[2:3], v[4:5], v[2:3]
	s_delay_alu instid0(VALU_DEP_1) | instskip(NEXT) | instid1(VALU_DEP_1)
	v_fma_f64 v[4:5], -v[0:1], v[2:3], 1.0
	v_fma_f64 v[2:3], v[2:3], v[4:5], v[2:3]
	s_delay_alu instid0(VALU_DEP_1) | instskip(NEXT) | instid1(VALU_DEP_1)
	v_mul_f64 v[4:5], v[156:157], v[2:3]
	v_fma_f64 v[0:1], -v[0:1], v[4:5], v[156:157]
	s_delay_alu instid0(VALU_DEP_1) | instskip(NEXT) | instid1(VALU_DEP_1)
	v_div_fmas_f64 v[0:1], v[0:1], v[2:3], v[4:5]
	v_div_fixup_f64 v[0:1], v[0:1], v[152:153], v[154:155]
	s_delay_alu instid0(VALU_DEP_1) | instskip(NEXT) | instid1(VALU_DEP_1)
	v_fma_f64 v[2:3], v[154:155], v[0:1], v[152:153]
	v_div_scale_f64 v[4:5], null, v[2:3], v[2:3], 1.0
	s_delay_alu instid0(VALU_DEP_1) | instskip(SKIP_2) | instid1(VALU_DEP_1)
	v_rcp_f64_e32 v[152:153], v[4:5]
	s_waitcnt_depctr 0xfff
	v_fma_f64 v[154:155], -v[4:5], v[152:153], 1.0
	v_fma_f64 v[152:153], v[152:153], v[154:155], v[152:153]
	s_delay_alu instid0(VALU_DEP_1) | instskip(NEXT) | instid1(VALU_DEP_1)
	v_fma_f64 v[154:155], -v[4:5], v[152:153], 1.0
	v_fma_f64 v[152:153], v[152:153], v[154:155], v[152:153]
	v_div_scale_f64 v[154:155], vcc_lo, 1.0, v[2:3], 1.0
	s_delay_alu instid0(VALU_DEP_1) | instskip(NEXT) | instid1(VALU_DEP_1)
	v_mul_f64 v[156:157], v[154:155], v[152:153]
	v_fma_f64 v[4:5], -v[4:5], v[156:157], v[154:155]
	s_delay_alu instid0(VALU_DEP_1) | instskip(NEXT) | instid1(VALU_DEP_1)
	v_div_fmas_f64 v[4:5], v[4:5], v[152:153], v[156:157]
	v_div_fixup_f64 v[4:5], v[4:5], v[2:3], 1.0
	s_delay_alu instid0(VALU_DEP_1)
	v_mul_f64 v[2:3], v[0:1], -v[4:5]
.LBB127_473:
	s_or_b32 exec_lo, exec_lo, s3
	scratch_load_b32 v0, off, off offset:1024 ; 4-byte Folded Reload
	s_waitcnt vmcnt(0)
	ds_store_2addr_b64 v0, v[4:5], v[2:3] offset1:1
.LBB127_474:
	s_or_b32 exec_lo, exec_lo, s4
	s_waitcnt lgkmcnt(0)
	s_barrier
	buffer_gl0_inv
	scratch_load_b32 v0, off, off offset:1024 ; 4-byte Folded Reload
	s_mov_b32 s3, exec_lo
	s_waitcnt vmcnt(0)
	ds_load_2addr_b64 v[152:155], v0 offset1:1
	v_cmpx_lt_u32_e32 38, v254
	s_cbranch_execz .LBB127_477
; %bb.475:
	scratch_load_b128 v[0:3], off, off offset:608
	s_mov_b32 s4, 0
	s_waitcnt vmcnt(0) lgkmcnt(0)
	v_mul_f64 v[4:5], v[154:155], v[2:3]
	v_mul_f64 v[2:3], v[152:153], v[2:3]
	s_delay_alu instid0(VALU_DEP_2) | instskip(NEXT) | instid1(VALU_DEP_2)
	v_fma_f64 v[156:157], v[152:153], v[0:1], -v[4:5]
	v_fma_f64 v[158:159], v[154:155], v[0:1], v[2:3]
	v_add3_u32 v0, v188, 0, 0x270
	v_mov_b32_e32 v1, 0
	scratch_store_b128 off, v[156:159], off offset:608
.LBB127_476:                            ; =>This Inner Loop Header: Depth=1
	v_add_nc_u32_e32 v7, s4, v0
	v_readfirstlane_b32 s5, v1
	ds_load_2addr_b64 v[2:5], v7 offset1:1
	s_add_i32 s5, s5, s4
	s_addk_i32 s4, 0x50
	s_add_i32 s6, s5, 0x270
	s_waitcnt lgkmcnt(0)
	v_mul_f64 v[160:161], v[4:5], v[158:159]
	s_delay_alu instid0(VALU_DEP_1) | instskip(SKIP_1) | instid1(VALU_DEP_1)
	v_fma_f64 v[160:161], v[2:3], v[156:157], -v[160:161]
	v_mul_f64 v[2:3], v[2:3], v[158:159]
	v_fma_f64 v[162:163], v[4:5], v[156:157], v[2:3]
	scratch_load_b128 v[2:5], off, s6
	s_waitcnt vmcnt(0)
	v_add_f64 v[2:3], v[2:3], -v[160:161]
	v_add_f64 v[4:5], v[4:5], -v[162:163]
	scratch_store_b128 off, v[2:5], s6
	ds_load_2addr_b64 v[2:5], v7 offset0:2 offset1:3
	s_add_i32 s6, s5, 0x280
	s_waitcnt lgkmcnt(0)
	v_mul_f64 v[160:161], v[4:5], v[158:159]
	s_delay_alu instid0(VALU_DEP_1) | instskip(SKIP_1) | instid1(VALU_DEP_1)
	v_fma_f64 v[160:161], v[2:3], v[156:157], -v[160:161]
	v_mul_f64 v[2:3], v[2:3], v[158:159]
	v_fma_f64 v[162:163], v[4:5], v[156:157], v[2:3]
	scratch_load_b128 v[2:5], off, s6
	s_waitcnt vmcnt(0)
	v_add_f64 v[2:3], v[2:3], -v[160:161]
	v_add_f64 v[4:5], v[4:5], -v[162:163]
	scratch_store_b128 off, v[2:5], s6
	ds_load_2addr_b64 v[2:5], v7 offset0:4 offset1:5
	;; [unrolled: 13-line block ×3, first 2 shown]
	s_add_i32 s6, s5, 0x2a0
	s_addk_i32 s5, 0x2b0
	s_cmpk_lg_i32 s4, 0x190
	s_waitcnt lgkmcnt(0)
	v_mul_f64 v[160:161], v[4:5], v[158:159]
	s_delay_alu instid0(VALU_DEP_1) | instskip(SKIP_1) | instid1(VALU_DEP_1)
	v_fma_f64 v[160:161], v[2:3], v[156:157], -v[160:161]
	v_mul_f64 v[2:3], v[2:3], v[158:159]
	v_fma_f64 v[162:163], v[4:5], v[156:157], v[2:3]
	scratch_load_b128 v[2:5], off, s6
	s_waitcnt vmcnt(0)
	v_add_f64 v[2:3], v[2:3], -v[160:161]
	v_add_f64 v[4:5], v[4:5], -v[162:163]
	scratch_store_b128 off, v[2:5], s6
	ds_load_2addr_b64 v[2:5], v7 offset0:8 offset1:9
	s_waitcnt lgkmcnt(0)
	v_mul_f64 v[160:161], v[4:5], v[158:159]
	s_delay_alu instid0(VALU_DEP_1) | instskip(SKIP_1) | instid1(VALU_DEP_1)
	v_fma_f64 v[160:161], v[2:3], v[156:157], -v[160:161]
	v_mul_f64 v[2:3], v[2:3], v[158:159]
	v_fma_f64 v[162:163], v[4:5], v[156:157], v[2:3]
	scratch_load_b128 v[2:5], off, s5
	s_waitcnt vmcnt(0)
	v_add_f64 v[2:3], v[2:3], -v[160:161]
	v_add_f64 v[4:5], v[4:5], -v[162:163]
	scratch_store_b128 off, v[2:5], s5
	s_cbranch_scc1 .LBB127_476
.LBB127_477:
	s_or_b32 exec_lo, exec_lo, s3
	s_delay_alu instid0(SALU_CYCLE_1)
	s_mov_b32 s4, exec_lo
	s_waitcnt lgkmcnt(0)
	s_waitcnt_vscnt null, 0x0
	s_barrier
	buffer_gl0_inv
	v_cmpx_eq_u32_e32 39, v254
	s_cbranch_execz .LBB127_484
; %bb.478:
	scratch_load_b32 v0, off, off offset:1124 ; 4-byte Folded Reload
	s_waitcnt vmcnt(0)
	scratch_load_b128 v[0:3], v0, off
	scratch_load_b32 v4, off, off offset:1024 ; 4-byte Folded Reload
	s_waitcnt vmcnt(0)
	ds_store_2addr_b64 v4, v[0:1], v[2:3] offset1:1
	scratch_load_b32 v0, off, off offset:1120 ; 4-byte Folded Reload
	s_waitcnt vmcnt(0)
	scratch_load_b128 v[0:3], v0, off
	s_waitcnt vmcnt(0)
	ds_store_2addr_b64 v6, v[0:1], v[2:3] offset0:80 offset1:81
	scratch_load_b32 v0, off, off offset:1116 ; 4-byte Folded Reload
	s_waitcnt vmcnt(0)
	scratch_load_b128 v[0:3], v0, off
	s_waitcnt vmcnt(0)
	ds_store_2addr_b64 v6, v[0:1], v[2:3] offset0:82 offset1:83
	;; [unrolled: 5-line block ×24, first 2 shown]
	ds_load_2addr_b64 v[156:159], v4 offset1:1
	s_waitcnt lgkmcnt(0)
	v_cmp_neq_f64_e32 vcc_lo, 0, v[156:157]
	v_cmp_neq_f64_e64 s3, 0, v[158:159]
	s_delay_alu instid0(VALU_DEP_1) | instskip(NEXT) | instid1(SALU_CYCLE_1)
	s_or_b32 s3, vcc_lo, s3
	s_and_b32 exec_lo, exec_lo, s3
	s_cbranch_execz .LBB127_484
; %bb.479:
	v_cmp_gt_f64_e32 vcc_lo, 0, v[156:157]
	v_xor_b32_e32 v0, 0x80000000, v157
	v_xor_b32_e32 v2, 0x80000000, v159
	s_mov_b32 s3, exec_lo
                                        ; implicit-def: $vgpr4_vgpr5
	s_delay_alu instid0(VALU_DEP_2) | instskip(SKIP_4) | instid1(VALU_DEP_1)
	v_cndmask_b32_e32 v1, v157, v0, vcc_lo
	v_cndmask_b32_e32 v0, v156, v156, vcc_lo
	v_cmp_gt_f64_e32 vcc_lo, 0, v[158:159]
	v_cndmask_b32_e32 v3, v159, v2, vcc_lo
	v_cndmask_b32_e32 v2, v158, v158, vcc_lo
	v_cmpx_ngt_f64_e32 v[0:1], v[2:3]
	s_xor_b32 s3, exec_lo, s3
                                        ; implicit-def: $vgpr0_vgpr1_vgpr2_vgpr3
	s_cbranch_execz .LBB127_481
; %bb.480:
	v_div_scale_f64 v[0:1], null, v[158:159], v[158:159], v[156:157]
	v_div_scale_f64 v[160:161], vcc_lo, v[156:157], v[158:159], v[156:157]
	s_delay_alu instid0(VALU_DEP_2) | instskip(SKIP_2) | instid1(VALU_DEP_1)
	v_rcp_f64_e32 v[2:3], v[0:1]
	s_waitcnt_depctr 0xfff
	v_fma_f64 v[4:5], -v[0:1], v[2:3], 1.0
	v_fma_f64 v[2:3], v[2:3], v[4:5], v[2:3]
	s_delay_alu instid0(VALU_DEP_1) | instskip(NEXT) | instid1(VALU_DEP_1)
	v_fma_f64 v[4:5], -v[0:1], v[2:3], 1.0
	v_fma_f64 v[2:3], v[2:3], v[4:5], v[2:3]
	s_delay_alu instid0(VALU_DEP_1) | instskip(NEXT) | instid1(VALU_DEP_1)
	v_mul_f64 v[4:5], v[160:161], v[2:3]
	v_fma_f64 v[0:1], -v[0:1], v[4:5], v[160:161]
	s_delay_alu instid0(VALU_DEP_1) | instskip(NEXT) | instid1(VALU_DEP_1)
	v_div_fmas_f64 v[0:1], v[0:1], v[2:3], v[4:5]
	v_div_fixup_f64 v[0:1], v[0:1], v[158:159], v[156:157]
	s_delay_alu instid0(VALU_DEP_1) | instskip(NEXT) | instid1(VALU_DEP_1)
	v_fma_f64 v[2:3], v[156:157], v[0:1], v[158:159]
	v_div_scale_f64 v[4:5], null, v[2:3], v[2:3], 1.0
	s_delay_alu instid0(VALU_DEP_1) | instskip(SKIP_2) | instid1(VALU_DEP_1)
	v_rcp_f64_e32 v[156:157], v[4:5]
	s_waitcnt_depctr 0xfff
	v_fma_f64 v[158:159], -v[4:5], v[156:157], 1.0
	v_fma_f64 v[156:157], v[156:157], v[158:159], v[156:157]
	s_delay_alu instid0(VALU_DEP_1) | instskip(NEXT) | instid1(VALU_DEP_1)
	v_fma_f64 v[158:159], -v[4:5], v[156:157], 1.0
	v_fma_f64 v[156:157], v[156:157], v[158:159], v[156:157]
	v_div_scale_f64 v[158:159], vcc_lo, 1.0, v[2:3], 1.0
	s_delay_alu instid0(VALU_DEP_1) | instskip(NEXT) | instid1(VALU_DEP_1)
	v_mul_f64 v[160:161], v[158:159], v[156:157]
	v_fma_f64 v[4:5], -v[4:5], v[160:161], v[158:159]
	s_delay_alu instid0(VALU_DEP_1) | instskip(NEXT) | instid1(VALU_DEP_1)
	v_div_fmas_f64 v[4:5], v[4:5], v[156:157], v[160:161]
                                        ; implicit-def: $vgpr156_vgpr157
	v_div_fixup_f64 v[2:3], v[4:5], v[2:3], 1.0
	s_delay_alu instid0(VALU_DEP_1)
	v_mul_f64 v[4:5], v[0:1], v[2:3]
	v_xor_b32_e32 v3, 0x80000000, v3
.LBB127_481:
	s_and_not1_saveexec_b32 s3, s3
	s_cbranch_execz .LBB127_483
; %bb.482:
	v_div_scale_f64 v[0:1], null, v[156:157], v[156:157], v[158:159]
	v_div_scale_f64 v[160:161], vcc_lo, v[158:159], v[156:157], v[158:159]
	s_delay_alu instid0(VALU_DEP_2) | instskip(SKIP_2) | instid1(VALU_DEP_1)
	v_rcp_f64_e32 v[2:3], v[0:1]
	s_waitcnt_depctr 0xfff
	v_fma_f64 v[4:5], -v[0:1], v[2:3], 1.0
	v_fma_f64 v[2:3], v[2:3], v[4:5], v[2:3]
	s_delay_alu instid0(VALU_DEP_1) | instskip(NEXT) | instid1(VALU_DEP_1)
	v_fma_f64 v[4:5], -v[0:1], v[2:3], 1.0
	v_fma_f64 v[2:3], v[2:3], v[4:5], v[2:3]
	s_delay_alu instid0(VALU_DEP_1) | instskip(NEXT) | instid1(VALU_DEP_1)
	v_mul_f64 v[4:5], v[160:161], v[2:3]
	v_fma_f64 v[0:1], -v[0:1], v[4:5], v[160:161]
	s_delay_alu instid0(VALU_DEP_1) | instskip(NEXT) | instid1(VALU_DEP_1)
	v_div_fmas_f64 v[0:1], v[0:1], v[2:3], v[4:5]
	v_div_fixup_f64 v[0:1], v[0:1], v[156:157], v[158:159]
	s_delay_alu instid0(VALU_DEP_1) | instskip(NEXT) | instid1(VALU_DEP_1)
	v_fma_f64 v[2:3], v[158:159], v[0:1], v[156:157]
	v_div_scale_f64 v[4:5], null, v[2:3], v[2:3], 1.0
	s_delay_alu instid0(VALU_DEP_1) | instskip(SKIP_2) | instid1(VALU_DEP_1)
	v_rcp_f64_e32 v[156:157], v[4:5]
	s_waitcnt_depctr 0xfff
	v_fma_f64 v[158:159], -v[4:5], v[156:157], 1.0
	v_fma_f64 v[156:157], v[156:157], v[158:159], v[156:157]
	s_delay_alu instid0(VALU_DEP_1) | instskip(NEXT) | instid1(VALU_DEP_1)
	v_fma_f64 v[158:159], -v[4:5], v[156:157], 1.0
	v_fma_f64 v[156:157], v[156:157], v[158:159], v[156:157]
	v_div_scale_f64 v[158:159], vcc_lo, 1.0, v[2:3], 1.0
	s_delay_alu instid0(VALU_DEP_1) | instskip(NEXT) | instid1(VALU_DEP_1)
	v_mul_f64 v[160:161], v[158:159], v[156:157]
	v_fma_f64 v[4:5], -v[4:5], v[160:161], v[158:159]
	s_delay_alu instid0(VALU_DEP_1) | instskip(NEXT) | instid1(VALU_DEP_1)
	v_div_fmas_f64 v[4:5], v[4:5], v[156:157], v[160:161]
	v_div_fixup_f64 v[4:5], v[4:5], v[2:3], 1.0
	s_delay_alu instid0(VALU_DEP_1)
	v_mul_f64 v[2:3], v[0:1], -v[4:5]
.LBB127_483:
	s_or_b32 exec_lo, exec_lo, s3
	scratch_load_b32 v0, off, off offset:1024 ; 4-byte Folded Reload
	s_waitcnt vmcnt(0)
	ds_store_2addr_b64 v0, v[4:5], v[2:3] offset1:1
.LBB127_484:
	s_or_b32 exec_lo, exec_lo, s4
	s_waitcnt lgkmcnt(0)
	s_barrier
	buffer_gl0_inv
	scratch_load_b32 v0, off, off offset:1024 ; 4-byte Folded Reload
	s_mov_b32 s3, exec_lo
	s_waitcnt vmcnt(0)
	ds_load_2addr_b64 v[156:159], v0 offset1:1
	v_cmpx_lt_u32_e32 39, v254
	s_cbranch_execz .LBB127_487
; %bb.485:
	scratch_load_b128 v[0:3], off, off offset:624
	s_mov_b32 s4, 0
	s_waitcnt vmcnt(0) lgkmcnt(0)
	v_mul_f64 v[4:5], v[158:159], v[2:3]
	v_mul_f64 v[2:3], v[156:157], v[2:3]
	s_delay_alu instid0(VALU_DEP_2) | instskip(NEXT) | instid1(VALU_DEP_2)
	v_fma_f64 v[160:161], v[156:157], v[0:1], -v[4:5]
	v_fma_f64 v[162:163], v[158:159], v[0:1], v[2:3]
	v_add3_u32 v0, v188, 0, 0x280
	v_mov_b32_e32 v1, 0
	scratch_store_b128 off, v[160:163], off offset:624
.LBB127_486:                            ; =>This Inner Loop Header: Depth=1
	v_add_nc_u32_e32 v7, s4, v0
	v_readfirstlane_b32 s5, v1
	ds_load_2addr_b64 v[2:5], v7 offset1:1
	s_add_i32 s5, s5, s4
	s_addk_i32 s4, 0x60
	s_add_i32 s6, s5, 0x280
	s_waitcnt lgkmcnt(0)
	v_mul_f64 v[164:165], v[4:5], v[162:163]
	s_delay_alu instid0(VALU_DEP_1) | instskip(SKIP_1) | instid1(VALU_DEP_1)
	v_fma_f64 v[164:165], v[2:3], v[160:161], -v[164:165]
	v_mul_f64 v[2:3], v[2:3], v[162:163]
	v_fma_f64 v[166:167], v[4:5], v[160:161], v[2:3]
	scratch_load_b128 v[2:5], off, s6
	s_waitcnt vmcnt(0)
	v_add_f64 v[2:3], v[2:3], -v[164:165]
	v_add_f64 v[4:5], v[4:5], -v[166:167]
	scratch_store_b128 off, v[2:5], s6
	ds_load_2addr_b64 v[2:5], v7 offset0:2 offset1:3
	s_add_i32 s6, s5, 0x290
	s_waitcnt lgkmcnt(0)
	v_mul_f64 v[164:165], v[4:5], v[162:163]
	s_delay_alu instid0(VALU_DEP_1) | instskip(SKIP_1) | instid1(VALU_DEP_1)
	v_fma_f64 v[164:165], v[2:3], v[160:161], -v[164:165]
	v_mul_f64 v[2:3], v[2:3], v[162:163]
	v_fma_f64 v[166:167], v[4:5], v[160:161], v[2:3]
	scratch_load_b128 v[2:5], off, s6
	s_waitcnt vmcnt(0)
	v_add_f64 v[2:3], v[2:3], -v[164:165]
	v_add_f64 v[4:5], v[4:5], -v[166:167]
	scratch_store_b128 off, v[2:5], s6
	ds_load_2addr_b64 v[2:5], v7 offset0:4 offset1:5
	;; [unrolled: 13-line block ×4, first 2 shown]
	s_add_i32 s6, s5, 0x2c0
	s_addk_i32 s5, 0x2d0
	s_cmpk_lg_i32 s4, 0x180
	s_waitcnt lgkmcnt(0)
	v_mul_f64 v[164:165], v[4:5], v[162:163]
	s_delay_alu instid0(VALU_DEP_1) | instskip(SKIP_1) | instid1(VALU_DEP_1)
	v_fma_f64 v[164:165], v[2:3], v[160:161], -v[164:165]
	v_mul_f64 v[2:3], v[2:3], v[162:163]
	v_fma_f64 v[166:167], v[4:5], v[160:161], v[2:3]
	scratch_load_b128 v[2:5], off, s6
	s_waitcnt vmcnt(0)
	v_add_f64 v[2:3], v[2:3], -v[164:165]
	v_add_f64 v[4:5], v[4:5], -v[166:167]
	scratch_store_b128 off, v[2:5], s6
	ds_load_2addr_b64 v[2:5], v7 offset0:10 offset1:11
	s_waitcnt lgkmcnt(0)
	v_mul_f64 v[164:165], v[4:5], v[162:163]
	s_delay_alu instid0(VALU_DEP_1) | instskip(SKIP_1) | instid1(VALU_DEP_1)
	v_fma_f64 v[164:165], v[2:3], v[160:161], -v[164:165]
	v_mul_f64 v[2:3], v[2:3], v[162:163]
	v_fma_f64 v[166:167], v[4:5], v[160:161], v[2:3]
	scratch_load_b128 v[2:5], off, s5
	s_waitcnt vmcnt(0)
	v_add_f64 v[2:3], v[2:3], -v[164:165]
	v_add_f64 v[4:5], v[4:5], -v[166:167]
	scratch_store_b128 off, v[2:5], s5
	s_cbranch_scc1 .LBB127_486
.LBB127_487:
	s_or_b32 exec_lo, exec_lo, s3
	s_delay_alu instid0(SALU_CYCLE_1)
	s_mov_b32 s4, exec_lo
	s_waitcnt lgkmcnt(0)
	s_waitcnt_vscnt null, 0x0
	s_barrier
	buffer_gl0_inv
	v_cmpx_eq_u32_e32 40, v254
	s_cbranch_execz .LBB127_494
; %bb.488:
	scratch_load_b32 v0, off, off offset:1120 ; 4-byte Folded Reload
	s_waitcnt vmcnt(0)
	scratch_load_b128 v[0:3], v0, off
	scratch_load_b32 v4, off, off offset:1024 ; 4-byte Folded Reload
	s_waitcnt vmcnt(0)
	ds_store_2addr_b64 v4, v[0:1], v[2:3] offset1:1
	scratch_load_b32 v0, off, off offset:1116 ; 4-byte Folded Reload
	s_waitcnt vmcnt(0)
	scratch_load_b128 v[0:3], v0, off
	s_waitcnt vmcnt(0)
	ds_store_2addr_b64 v6, v[0:1], v[2:3] offset0:82 offset1:83
	scratch_load_b32 v0, off, off offset:1112 ; 4-byte Folded Reload
	s_waitcnt vmcnt(0)
	scratch_load_b128 v[0:3], v0, off
	s_waitcnt vmcnt(0)
	ds_store_2addr_b64 v6, v[0:1], v[2:3] offset0:84 offset1:85
	;; [unrolled: 5-line block ×23, first 2 shown]
	ds_load_2addr_b64 v[160:163], v4 offset1:1
	s_waitcnt lgkmcnt(0)
	v_cmp_neq_f64_e32 vcc_lo, 0, v[160:161]
	v_cmp_neq_f64_e64 s3, 0, v[162:163]
	s_delay_alu instid0(VALU_DEP_1) | instskip(NEXT) | instid1(SALU_CYCLE_1)
	s_or_b32 s3, vcc_lo, s3
	s_and_b32 exec_lo, exec_lo, s3
	s_cbranch_execz .LBB127_494
; %bb.489:
	v_cmp_gt_f64_e32 vcc_lo, 0, v[160:161]
	v_xor_b32_e32 v0, 0x80000000, v161
	v_xor_b32_e32 v2, 0x80000000, v163
	s_mov_b32 s3, exec_lo
                                        ; implicit-def: $vgpr4_vgpr5
	s_delay_alu instid0(VALU_DEP_2) | instskip(SKIP_4) | instid1(VALU_DEP_1)
	v_cndmask_b32_e32 v1, v161, v0, vcc_lo
	v_cndmask_b32_e32 v0, v160, v160, vcc_lo
	v_cmp_gt_f64_e32 vcc_lo, 0, v[162:163]
	v_cndmask_b32_e32 v3, v163, v2, vcc_lo
	v_cndmask_b32_e32 v2, v162, v162, vcc_lo
	v_cmpx_ngt_f64_e32 v[0:1], v[2:3]
	s_xor_b32 s3, exec_lo, s3
                                        ; implicit-def: $vgpr0_vgpr1_vgpr2_vgpr3
	s_cbranch_execz .LBB127_491
; %bb.490:
	v_div_scale_f64 v[0:1], null, v[162:163], v[162:163], v[160:161]
	v_div_scale_f64 v[164:165], vcc_lo, v[160:161], v[162:163], v[160:161]
	s_delay_alu instid0(VALU_DEP_2) | instskip(SKIP_2) | instid1(VALU_DEP_1)
	v_rcp_f64_e32 v[2:3], v[0:1]
	s_waitcnt_depctr 0xfff
	v_fma_f64 v[4:5], -v[0:1], v[2:3], 1.0
	v_fma_f64 v[2:3], v[2:3], v[4:5], v[2:3]
	s_delay_alu instid0(VALU_DEP_1) | instskip(NEXT) | instid1(VALU_DEP_1)
	v_fma_f64 v[4:5], -v[0:1], v[2:3], 1.0
	v_fma_f64 v[2:3], v[2:3], v[4:5], v[2:3]
	s_delay_alu instid0(VALU_DEP_1) | instskip(NEXT) | instid1(VALU_DEP_1)
	v_mul_f64 v[4:5], v[164:165], v[2:3]
	v_fma_f64 v[0:1], -v[0:1], v[4:5], v[164:165]
	s_delay_alu instid0(VALU_DEP_1) | instskip(NEXT) | instid1(VALU_DEP_1)
	v_div_fmas_f64 v[0:1], v[0:1], v[2:3], v[4:5]
	v_div_fixup_f64 v[0:1], v[0:1], v[162:163], v[160:161]
	s_delay_alu instid0(VALU_DEP_1) | instskip(NEXT) | instid1(VALU_DEP_1)
	v_fma_f64 v[2:3], v[160:161], v[0:1], v[162:163]
	v_div_scale_f64 v[4:5], null, v[2:3], v[2:3], 1.0
	s_delay_alu instid0(VALU_DEP_1) | instskip(SKIP_2) | instid1(VALU_DEP_1)
	v_rcp_f64_e32 v[160:161], v[4:5]
	s_waitcnt_depctr 0xfff
	v_fma_f64 v[162:163], -v[4:5], v[160:161], 1.0
	v_fma_f64 v[160:161], v[160:161], v[162:163], v[160:161]
	s_delay_alu instid0(VALU_DEP_1) | instskip(NEXT) | instid1(VALU_DEP_1)
	v_fma_f64 v[162:163], -v[4:5], v[160:161], 1.0
	v_fma_f64 v[160:161], v[160:161], v[162:163], v[160:161]
	v_div_scale_f64 v[162:163], vcc_lo, 1.0, v[2:3], 1.0
	s_delay_alu instid0(VALU_DEP_1) | instskip(NEXT) | instid1(VALU_DEP_1)
	v_mul_f64 v[164:165], v[162:163], v[160:161]
	v_fma_f64 v[4:5], -v[4:5], v[164:165], v[162:163]
	s_delay_alu instid0(VALU_DEP_1) | instskip(NEXT) | instid1(VALU_DEP_1)
	v_div_fmas_f64 v[4:5], v[4:5], v[160:161], v[164:165]
                                        ; implicit-def: $vgpr160_vgpr161
	v_div_fixup_f64 v[2:3], v[4:5], v[2:3], 1.0
	s_delay_alu instid0(VALU_DEP_1)
	v_mul_f64 v[4:5], v[0:1], v[2:3]
	v_xor_b32_e32 v3, 0x80000000, v3
.LBB127_491:
	s_and_not1_saveexec_b32 s3, s3
	s_cbranch_execz .LBB127_493
; %bb.492:
	v_div_scale_f64 v[0:1], null, v[160:161], v[160:161], v[162:163]
	v_div_scale_f64 v[164:165], vcc_lo, v[162:163], v[160:161], v[162:163]
	s_delay_alu instid0(VALU_DEP_2) | instskip(SKIP_2) | instid1(VALU_DEP_1)
	v_rcp_f64_e32 v[2:3], v[0:1]
	s_waitcnt_depctr 0xfff
	v_fma_f64 v[4:5], -v[0:1], v[2:3], 1.0
	v_fma_f64 v[2:3], v[2:3], v[4:5], v[2:3]
	s_delay_alu instid0(VALU_DEP_1) | instskip(NEXT) | instid1(VALU_DEP_1)
	v_fma_f64 v[4:5], -v[0:1], v[2:3], 1.0
	v_fma_f64 v[2:3], v[2:3], v[4:5], v[2:3]
	s_delay_alu instid0(VALU_DEP_1) | instskip(NEXT) | instid1(VALU_DEP_1)
	v_mul_f64 v[4:5], v[164:165], v[2:3]
	v_fma_f64 v[0:1], -v[0:1], v[4:5], v[164:165]
	s_delay_alu instid0(VALU_DEP_1) | instskip(NEXT) | instid1(VALU_DEP_1)
	v_div_fmas_f64 v[0:1], v[0:1], v[2:3], v[4:5]
	v_div_fixup_f64 v[0:1], v[0:1], v[160:161], v[162:163]
	s_delay_alu instid0(VALU_DEP_1) | instskip(NEXT) | instid1(VALU_DEP_1)
	v_fma_f64 v[2:3], v[162:163], v[0:1], v[160:161]
	v_div_scale_f64 v[4:5], null, v[2:3], v[2:3], 1.0
	s_delay_alu instid0(VALU_DEP_1) | instskip(SKIP_2) | instid1(VALU_DEP_1)
	v_rcp_f64_e32 v[160:161], v[4:5]
	s_waitcnt_depctr 0xfff
	v_fma_f64 v[162:163], -v[4:5], v[160:161], 1.0
	v_fma_f64 v[160:161], v[160:161], v[162:163], v[160:161]
	s_delay_alu instid0(VALU_DEP_1) | instskip(NEXT) | instid1(VALU_DEP_1)
	v_fma_f64 v[162:163], -v[4:5], v[160:161], 1.0
	v_fma_f64 v[160:161], v[160:161], v[162:163], v[160:161]
	v_div_scale_f64 v[162:163], vcc_lo, 1.0, v[2:3], 1.0
	s_delay_alu instid0(VALU_DEP_1) | instskip(NEXT) | instid1(VALU_DEP_1)
	v_mul_f64 v[164:165], v[162:163], v[160:161]
	v_fma_f64 v[4:5], -v[4:5], v[164:165], v[162:163]
	s_delay_alu instid0(VALU_DEP_1) | instskip(NEXT) | instid1(VALU_DEP_1)
	v_div_fmas_f64 v[4:5], v[4:5], v[160:161], v[164:165]
	v_div_fixup_f64 v[4:5], v[4:5], v[2:3], 1.0
	s_delay_alu instid0(VALU_DEP_1)
	v_mul_f64 v[2:3], v[0:1], -v[4:5]
.LBB127_493:
	s_or_b32 exec_lo, exec_lo, s3
	scratch_load_b32 v0, off, off offset:1024 ; 4-byte Folded Reload
	s_waitcnt vmcnt(0)
	ds_store_2addr_b64 v0, v[4:5], v[2:3] offset1:1
.LBB127_494:
	s_or_b32 exec_lo, exec_lo, s4
	s_waitcnt lgkmcnt(0)
	s_barrier
	buffer_gl0_inv
	scratch_load_b32 v0, off, off offset:1024 ; 4-byte Folded Reload
	s_mov_b32 s3, exec_lo
	s_waitcnt vmcnt(0)
	ds_load_2addr_b64 v[160:163], v0 offset1:1
	v_cmpx_lt_u32_e32 40, v254
	s_cbranch_execz .LBB127_499
; %bb.495:
	scratch_load_b128 v[0:3], off, off offset:640
	s_mov_b32 s4, 0
	s_waitcnt vmcnt(0) lgkmcnt(0)
	v_mul_f64 v[4:5], v[162:163], v[2:3]
	v_mul_f64 v[2:3], v[160:161], v[2:3]
	s_delay_alu instid0(VALU_DEP_2) | instskip(NEXT) | instid1(VALU_DEP_2)
	v_fma_f64 v[164:165], v[160:161], v[0:1], -v[4:5]
	v_fma_f64 v[166:167], v[162:163], v[0:1], v[2:3]
	v_add3_u32 v0, v188, 0, 0x290
	v_mov_b32_e32 v1, 0
	scratch_store_b128 off, v[164:167], off offset:640
	s_branch .LBB127_497
.LBB127_496:                            ;   in Loop: Header=BB127_497 Depth=1
	s_and_not1_b32 vcc_lo, exec_lo, s6
	s_cbranch_vccz .LBB127_499
.LBB127_497:                            ; =>This Inner Loop Header: Depth=1
	v_add_nc_u32_e32 v2, s4, v0
	v_readfirstlane_b32 s5, v1
	ds_load_2addr_b64 v[168:171], v2 offset1:1
	s_add_i32 s5, s5, s4
	s_delay_alu instid0(SALU_CYCLE_1) | instskip(SKIP_2) | instid1(VALU_DEP_1)
	s_add_i32 s6, s5, 0x290
	s_waitcnt lgkmcnt(0)
	v_mul_f64 v[3:4], v[170:171], v[166:167]
	v_fma_f64 v[3:4], v[168:169], v[164:165], -v[3:4]
	v_mul_f64 v[168:169], v[168:169], v[166:167]
	s_delay_alu instid0(VALU_DEP_1)
	v_fma_f64 v[172:173], v[170:171], v[164:165], v[168:169]
	scratch_load_b128 v[168:171], off, s6
	s_waitcnt vmcnt(0)
	v_add_f64 v[168:169], v[168:169], -v[3:4]
	v_add_f64 v[170:171], v[170:171], -v[172:173]
	scratch_store_b128 off, v[168:171], s6
	ds_load_2addr_b64 v[168:171], v2 offset0:2 offset1:3
	s_add_i32 s6, s5, 0x2a0
	s_waitcnt lgkmcnt(0)
	v_mul_f64 v[3:4], v[170:171], v[166:167]
	s_delay_alu instid0(VALU_DEP_1) | instskip(SKIP_1) | instid1(VALU_DEP_1)
	v_fma_f64 v[3:4], v[168:169], v[164:165], -v[3:4]
	v_mul_f64 v[168:169], v[168:169], v[166:167]
	v_fma_f64 v[172:173], v[170:171], v[164:165], v[168:169]
	scratch_load_b128 v[168:171], off, s6
	s_waitcnt vmcnt(0)
	v_add_f64 v[168:169], v[168:169], -v[3:4]
	v_add_f64 v[170:171], v[170:171], -v[172:173]
	scratch_store_b128 off, v[168:171], s6
	ds_load_2addr_b64 v[168:171], v2 offset0:4 offset1:5
	s_add_i32 s6, s5, 0x2b0
	s_cmpk_eq_i32 s4, 0x140
	s_waitcnt lgkmcnt(0)
	v_mul_f64 v[3:4], v[170:171], v[166:167]
	s_delay_alu instid0(VALU_DEP_1) | instskip(SKIP_1) | instid1(VALU_DEP_1)
	v_fma_f64 v[3:4], v[168:169], v[164:165], -v[3:4]
	v_mul_f64 v[168:169], v[168:169], v[166:167]
	v_fma_f64 v[172:173], v[170:171], v[164:165], v[168:169]
	scratch_load_b128 v[168:171], off, s6
	s_waitcnt vmcnt(0)
	v_add_f64 v[168:169], v[168:169], -v[3:4]
	v_add_f64 v[170:171], v[170:171], -v[172:173]
	scratch_store_b128 off, v[168:171], s6
	s_mov_b32 s6, -1
	s_cbranch_scc1 .LBB127_496
; %bb.498:                              ;   in Loop: Header=BB127_497 Depth=1
	ds_load_2addr_b64 v[2:5], v2 offset0:6 offset1:7
	s_addk_i32 s5, 0x2c0
	s_add_i32 s4, s4, 64
	s_mov_b32 s6, 0
	s_waitcnt lgkmcnt(0)
	v_mul_f64 v[168:169], v[4:5], v[166:167]
	s_delay_alu instid0(VALU_DEP_1) | instskip(SKIP_1) | instid1(VALU_DEP_1)
	v_fma_f64 v[168:169], v[2:3], v[164:165], -v[168:169]
	v_mul_f64 v[2:3], v[2:3], v[166:167]
	v_fma_f64 v[170:171], v[4:5], v[164:165], v[2:3]
	scratch_load_b128 v[2:5], off, s5
	s_waitcnt vmcnt(0)
	v_add_f64 v[2:3], v[2:3], -v[168:169]
	v_add_f64 v[4:5], v[4:5], -v[170:171]
	scratch_store_b128 off, v[2:5], s5
	s_branch .LBB127_496
.LBB127_499:
	s_or_b32 exec_lo, exec_lo, s3
	s_delay_alu instid0(SALU_CYCLE_1)
	s_mov_b32 s4, exec_lo
	s_waitcnt lgkmcnt(0)
	s_waitcnt_vscnt null, 0x0
	s_barrier
	buffer_gl0_inv
	v_cmpx_eq_u32_e32 41, v254
	s_cbranch_execz .LBB127_506
; %bb.500:
	scratch_load_b32 v0, off, off offset:1116 ; 4-byte Folded Reload
	s_waitcnt vmcnt(0)
	scratch_load_b128 v[0:3], v0, off
	scratch_load_b32 v4, off, off offset:1024 ; 4-byte Folded Reload
	s_waitcnt vmcnt(0)
	ds_store_2addr_b64 v4, v[0:1], v[2:3] offset1:1
	scratch_load_b32 v0, off, off offset:1112 ; 4-byte Folded Reload
	s_waitcnt vmcnt(0)
	scratch_load_b128 v[0:3], v0, off
	s_waitcnt vmcnt(0)
	ds_store_2addr_b64 v6, v[0:1], v[2:3] offset0:84 offset1:85
	scratch_load_b32 v0, off, off offset:1108 ; 4-byte Folded Reload
	s_waitcnt vmcnt(0)
	scratch_load_b128 v[0:3], v0, off
	s_waitcnt vmcnt(0)
	ds_store_2addr_b64 v6, v[0:1], v[2:3] offset0:86 offset1:87
	;; [unrolled: 5-line block ×22, first 2 shown]
	ds_load_2addr_b64 v[164:167], v4 offset1:1
	s_waitcnt lgkmcnt(0)
	v_cmp_neq_f64_e32 vcc_lo, 0, v[164:165]
	v_cmp_neq_f64_e64 s3, 0, v[166:167]
	s_delay_alu instid0(VALU_DEP_1) | instskip(NEXT) | instid1(SALU_CYCLE_1)
	s_or_b32 s3, vcc_lo, s3
	s_and_b32 exec_lo, exec_lo, s3
	s_cbranch_execz .LBB127_506
; %bb.501:
	v_cmp_gt_f64_e32 vcc_lo, 0, v[164:165]
	v_xor_b32_e32 v0, 0x80000000, v165
	v_xor_b32_e32 v2, 0x80000000, v167
	s_mov_b32 s3, exec_lo
                                        ; implicit-def: $vgpr4_vgpr5
	s_delay_alu instid0(VALU_DEP_2) | instskip(SKIP_4) | instid1(VALU_DEP_1)
	v_cndmask_b32_e32 v1, v165, v0, vcc_lo
	v_cndmask_b32_e32 v0, v164, v164, vcc_lo
	v_cmp_gt_f64_e32 vcc_lo, 0, v[166:167]
	v_cndmask_b32_e32 v3, v167, v2, vcc_lo
	v_cndmask_b32_e32 v2, v166, v166, vcc_lo
	v_cmpx_ngt_f64_e32 v[0:1], v[2:3]
	s_xor_b32 s3, exec_lo, s3
                                        ; implicit-def: $vgpr0_vgpr1_vgpr2_vgpr3
	s_cbranch_execz .LBB127_503
; %bb.502:
	v_div_scale_f64 v[0:1], null, v[166:167], v[166:167], v[164:165]
	v_div_scale_f64 v[168:169], vcc_lo, v[164:165], v[166:167], v[164:165]
	s_delay_alu instid0(VALU_DEP_2) | instskip(SKIP_2) | instid1(VALU_DEP_1)
	v_rcp_f64_e32 v[2:3], v[0:1]
	s_waitcnt_depctr 0xfff
	v_fma_f64 v[4:5], -v[0:1], v[2:3], 1.0
	v_fma_f64 v[2:3], v[2:3], v[4:5], v[2:3]
	s_delay_alu instid0(VALU_DEP_1) | instskip(NEXT) | instid1(VALU_DEP_1)
	v_fma_f64 v[4:5], -v[0:1], v[2:3], 1.0
	v_fma_f64 v[2:3], v[2:3], v[4:5], v[2:3]
	s_delay_alu instid0(VALU_DEP_1) | instskip(NEXT) | instid1(VALU_DEP_1)
	v_mul_f64 v[4:5], v[168:169], v[2:3]
	v_fma_f64 v[0:1], -v[0:1], v[4:5], v[168:169]
	s_delay_alu instid0(VALU_DEP_1) | instskip(NEXT) | instid1(VALU_DEP_1)
	v_div_fmas_f64 v[0:1], v[0:1], v[2:3], v[4:5]
	v_div_fixup_f64 v[0:1], v[0:1], v[166:167], v[164:165]
	s_delay_alu instid0(VALU_DEP_1) | instskip(NEXT) | instid1(VALU_DEP_1)
	v_fma_f64 v[2:3], v[164:165], v[0:1], v[166:167]
	v_div_scale_f64 v[4:5], null, v[2:3], v[2:3], 1.0
	s_delay_alu instid0(VALU_DEP_1) | instskip(SKIP_2) | instid1(VALU_DEP_1)
	v_rcp_f64_e32 v[164:165], v[4:5]
	s_waitcnt_depctr 0xfff
	v_fma_f64 v[166:167], -v[4:5], v[164:165], 1.0
	v_fma_f64 v[164:165], v[164:165], v[166:167], v[164:165]
	s_delay_alu instid0(VALU_DEP_1) | instskip(NEXT) | instid1(VALU_DEP_1)
	v_fma_f64 v[166:167], -v[4:5], v[164:165], 1.0
	v_fma_f64 v[164:165], v[164:165], v[166:167], v[164:165]
	v_div_scale_f64 v[166:167], vcc_lo, 1.0, v[2:3], 1.0
	s_delay_alu instid0(VALU_DEP_1) | instskip(NEXT) | instid1(VALU_DEP_1)
	v_mul_f64 v[168:169], v[166:167], v[164:165]
	v_fma_f64 v[4:5], -v[4:5], v[168:169], v[166:167]
	s_delay_alu instid0(VALU_DEP_1) | instskip(NEXT) | instid1(VALU_DEP_1)
	v_div_fmas_f64 v[4:5], v[4:5], v[164:165], v[168:169]
                                        ; implicit-def: $vgpr164_vgpr165
	v_div_fixup_f64 v[2:3], v[4:5], v[2:3], 1.0
	s_delay_alu instid0(VALU_DEP_1)
	v_mul_f64 v[4:5], v[0:1], v[2:3]
	v_xor_b32_e32 v3, 0x80000000, v3
.LBB127_503:
	s_and_not1_saveexec_b32 s3, s3
	s_cbranch_execz .LBB127_505
; %bb.504:
	v_div_scale_f64 v[0:1], null, v[164:165], v[164:165], v[166:167]
	v_div_scale_f64 v[168:169], vcc_lo, v[166:167], v[164:165], v[166:167]
	s_delay_alu instid0(VALU_DEP_2) | instskip(SKIP_2) | instid1(VALU_DEP_1)
	v_rcp_f64_e32 v[2:3], v[0:1]
	s_waitcnt_depctr 0xfff
	v_fma_f64 v[4:5], -v[0:1], v[2:3], 1.0
	v_fma_f64 v[2:3], v[2:3], v[4:5], v[2:3]
	s_delay_alu instid0(VALU_DEP_1) | instskip(NEXT) | instid1(VALU_DEP_1)
	v_fma_f64 v[4:5], -v[0:1], v[2:3], 1.0
	v_fma_f64 v[2:3], v[2:3], v[4:5], v[2:3]
	s_delay_alu instid0(VALU_DEP_1) | instskip(NEXT) | instid1(VALU_DEP_1)
	v_mul_f64 v[4:5], v[168:169], v[2:3]
	v_fma_f64 v[0:1], -v[0:1], v[4:5], v[168:169]
	s_delay_alu instid0(VALU_DEP_1) | instskip(NEXT) | instid1(VALU_DEP_1)
	v_div_fmas_f64 v[0:1], v[0:1], v[2:3], v[4:5]
	v_div_fixup_f64 v[0:1], v[0:1], v[164:165], v[166:167]
	s_delay_alu instid0(VALU_DEP_1) | instskip(NEXT) | instid1(VALU_DEP_1)
	v_fma_f64 v[2:3], v[166:167], v[0:1], v[164:165]
	v_div_scale_f64 v[4:5], null, v[2:3], v[2:3], 1.0
	s_delay_alu instid0(VALU_DEP_1) | instskip(SKIP_2) | instid1(VALU_DEP_1)
	v_rcp_f64_e32 v[164:165], v[4:5]
	s_waitcnt_depctr 0xfff
	v_fma_f64 v[166:167], -v[4:5], v[164:165], 1.0
	v_fma_f64 v[164:165], v[164:165], v[166:167], v[164:165]
	s_delay_alu instid0(VALU_DEP_1) | instskip(NEXT) | instid1(VALU_DEP_1)
	v_fma_f64 v[166:167], -v[4:5], v[164:165], 1.0
	v_fma_f64 v[164:165], v[164:165], v[166:167], v[164:165]
	v_div_scale_f64 v[166:167], vcc_lo, 1.0, v[2:3], 1.0
	s_delay_alu instid0(VALU_DEP_1) | instskip(NEXT) | instid1(VALU_DEP_1)
	v_mul_f64 v[168:169], v[166:167], v[164:165]
	v_fma_f64 v[4:5], -v[4:5], v[168:169], v[166:167]
	s_delay_alu instid0(VALU_DEP_1) | instskip(NEXT) | instid1(VALU_DEP_1)
	v_div_fmas_f64 v[4:5], v[4:5], v[164:165], v[168:169]
	v_div_fixup_f64 v[4:5], v[4:5], v[2:3], 1.0
	s_delay_alu instid0(VALU_DEP_1)
	v_mul_f64 v[2:3], v[0:1], -v[4:5]
.LBB127_505:
	s_or_b32 exec_lo, exec_lo, s3
	scratch_load_b32 v0, off, off offset:1024 ; 4-byte Folded Reload
	s_waitcnt vmcnt(0)
	ds_store_2addr_b64 v0, v[4:5], v[2:3] offset1:1
.LBB127_506:
	s_or_b32 exec_lo, exec_lo, s4
	s_waitcnt lgkmcnt(0)
	s_barrier
	buffer_gl0_inv
	scratch_load_b32 v0, off, off offset:1024 ; 4-byte Folded Reload
	s_mov_b32 s3, exec_lo
	s_waitcnt vmcnt(0)
	ds_load_2addr_b64 v[164:167], v0 offset1:1
	v_cmpx_lt_u32_e32 41, v254
	s_cbranch_execz .LBB127_509
; %bb.507:
	scratch_load_b128 v[0:3], off, off offset:656
	s_mov_b32 s4, 0
	s_waitcnt vmcnt(0) lgkmcnt(0)
	v_mul_f64 v[4:5], v[166:167], v[2:3]
	v_mul_f64 v[2:3], v[164:165], v[2:3]
	s_delay_alu instid0(VALU_DEP_2) | instskip(NEXT) | instid1(VALU_DEP_2)
	v_fma_f64 v[168:169], v[164:165], v[0:1], -v[4:5]
	v_fma_f64 v[170:171], v[166:167], v[0:1], v[2:3]
	v_add3_u32 v0, v188, 0, 0x2a0
	scratch_store_b128 off, v[168:171], off offset:656
	s_set_inst_prefetch_distance 0x1
	.p2align	6
.LBB127_508:                            ; =>This Inner Loop Header: Depth=1
	v_add_nc_u32_e32 v5, s4, v0
	v_add_nc_u32_e64 v7, s4, 0
	s_add_i32 s4, s4, 32
	s_delay_alu instid0(SALU_CYCLE_1) | instskip(SKIP_4) | instid1(VALU_DEP_1)
	s_cmpk_lg_i32 s4, 0x160
	ds_load_2addr_b64 v[1:4], v5 offset1:1
	v_add_nc_u32_e32 v176, 0x2a0, v7
	s_waitcnt lgkmcnt(0)
	v_mul_f64 v[172:173], v[3:4], v[170:171]
	v_fma_f64 v[172:173], v[1:2], v[168:169], -v[172:173]
	v_mul_f64 v[1:2], v[1:2], v[170:171]
	s_delay_alu instid0(VALU_DEP_1)
	v_fma_f64 v[174:175], v[3:4], v[168:169], v[1:2]
	scratch_load_b128 v[1:4], v176, off
	s_waitcnt vmcnt(0)
	v_add_f64 v[1:2], v[1:2], -v[172:173]
	v_add_f64 v[3:4], v[3:4], -v[174:175]
	scratch_store_b128 v176, v[1:4], off
	ds_load_2addr_b64 v[1:4], v5 offset0:2 offset1:3
	v_add_nc_u32_e32 v5, 0x2b0, v7
	s_waitcnt lgkmcnt(0)
	v_mul_f64 v[172:173], v[3:4], v[170:171]
	s_delay_alu instid0(VALU_DEP_1) | instskip(SKIP_1) | instid1(VALU_DEP_1)
	v_fma_f64 v[172:173], v[1:2], v[168:169], -v[172:173]
	v_mul_f64 v[1:2], v[1:2], v[170:171]
	v_fma_f64 v[174:175], v[3:4], v[168:169], v[1:2]
	scratch_load_b128 v[1:4], v5, off
	s_waitcnt vmcnt(0)
	v_add_f64 v[1:2], v[1:2], -v[172:173]
	v_add_f64 v[3:4], v[3:4], -v[174:175]
	scratch_store_b128 v5, v[1:4], off
	s_cbranch_scc1 .LBB127_508
.LBB127_509:
	s_set_inst_prefetch_distance 0x2
	s_or_b32 exec_lo, exec_lo, s3
	s_delay_alu instid0(SALU_CYCLE_1)
	s_mov_b32 s4, exec_lo
	s_waitcnt lgkmcnt(0)
	s_waitcnt_vscnt null, 0x0
	s_barrier
	buffer_gl0_inv
	v_cmpx_eq_u32_e32 42, v254
	s_cbranch_execz .LBB127_516
; %bb.510:
	scratch_load_b32 v0, off, off offset:1112 ; 4-byte Folded Reload
	s_waitcnt vmcnt(0)
	scratch_load_b128 v[0:3], v0, off
	scratch_load_b32 v4, off, off offset:1024 ; 4-byte Folded Reload
	s_waitcnt vmcnt(0)
	ds_store_2addr_b64 v4, v[0:1], v[2:3] offset1:1
	scratch_load_b32 v0, off, off offset:1108 ; 4-byte Folded Reload
	s_waitcnt vmcnt(0)
	scratch_load_b128 v[0:3], v0, off
	s_waitcnt vmcnt(0)
	ds_store_2addr_b64 v6, v[0:1], v[2:3] offset0:86 offset1:87
	scratch_load_b32 v0, off, off offset:1104 ; 4-byte Folded Reload
	s_waitcnt vmcnt(0)
	scratch_load_b128 v[0:3], v0, off
	s_waitcnt vmcnt(0)
	ds_store_2addr_b64 v6, v[0:1], v[2:3] offset0:88 offset1:89
	;; [unrolled: 5-line block ×21, first 2 shown]
	ds_load_2addr_b64 v[168:171], v4 offset1:1
	s_waitcnt lgkmcnt(0)
	v_cmp_neq_f64_e32 vcc_lo, 0, v[168:169]
	v_cmp_neq_f64_e64 s3, 0, v[170:171]
	s_delay_alu instid0(VALU_DEP_1) | instskip(NEXT) | instid1(SALU_CYCLE_1)
	s_or_b32 s3, vcc_lo, s3
	s_and_b32 exec_lo, exec_lo, s3
	s_cbranch_execz .LBB127_516
; %bb.511:
	v_cmp_gt_f64_e32 vcc_lo, 0, v[168:169]
	v_xor_b32_e32 v0, 0x80000000, v169
	v_xor_b32_e32 v2, 0x80000000, v171
	s_mov_b32 s3, exec_lo
                                        ; implicit-def: $vgpr4_vgpr5
	s_delay_alu instid0(VALU_DEP_2) | instskip(SKIP_4) | instid1(VALU_DEP_1)
	v_cndmask_b32_e32 v1, v169, v0, vcc_lo
	v_cndmask_b32_e32 v0, v168, v168, vcc_lo
	v_cmp_gt_f64_e32 vcc_lo, 0, v[170:171]
	v_cndmask_b32_e32 v3, v171, v2, vcc_lo
	v_cndmask_b32_e32 v2, v170, v170, vcc_lo
	v_cmpx_ngt_f64_e32 v[0:1], v[2:3]
	s_xor_b32 s3, exec_lo, s3
                                        ; implicit-def: $vgpr0_vgpr1_vgpr2_vgpr3
	s_cbranch_execz .LBB127_513
; %bb.512:
	v_div_scale_f64 v[0:1], null, v[170:171], v[170:171], v[168:169]
	v_div_scale_f64 v[172:173], vcc_lo, v[168:169], v[170:171], v[168:169]
	s_delay_alu instid0(VALU_DEP_2) | instskip(SKIP_2) | instid1(VALU_DEP_1)
	v_rcp_f64_e32 v[2:3], v[0:1]
	s_waitcnt_depctr 0xfff
	v_fma_f64 v[4:5], -v[0:1], v[2:3], 1.0
	v_fma_f64 v[2:3], v[2:3], v[4:5], v[2:3]
	s_delay_alu instid0(VALU_DEP_1) | instskip(NEXT) | instid1(VALU_DEP_1)
	v_fma_f64 v[4:5], -v[0:1], v[2:3], 1.0
	v_fma_f64 v[2:3], v[2:3], v[4:5], v[2:3]
	s_delay_alu instid0(VALU_DEP_1) | instskip(NEXT) | instid1(VALU_DEP_1)
	v_mul_f64 v[4:5], v[172:173], v[2:3]
	v_fma_f64 v[0:1], -v[0:1], v[4:5], v[172:173]
	s_delay_alu instid0(VALU_DEP_1) | instskip(NEXT) | instid1(VALU_DEP_1)
	v_div_fmas_f64 v[0:1], v[0:1], v[2:3], v[4:5]
	v_div_fixup_f64 v[0:1], v[0:1], v[170:171], v[168:169]
	s_delay_alu instid0(VALU_DEP_1) | instskip(NEXT) | instid1(VALU_DEP_1)
	v_fma_f64 v[2:3], v[168:169], v[0:1], v[170:171]
	v_div_scale_f64 v[4:5], null, v[2:3], v[2:3], 1.0
	s_delay_alu instid0(VALU_DEP_1) | instskip(SKIP_2) | instid1(VALU_DEP_1)
	v_rcp_f64_e32 v[168:169], v[4:5]
	s_waitcnt_depctr 0xfff
	v_fma_f64 v[170:171], -v[4:5], v[168:169], 1.0
	v_fma_f64 v[168:169], v[168:169], v[170:171], v[168:169]
	s_delay_alu instid0(VALU_DEP_1) | instskip(NEXT) | instid1(VALU_DEP_1)
	v_fma_f64 v[170:171], -v[4:5], v[168:169], 1.0
	v_fma_f64 v[168:169], v[168:169], v[170:171], v[168:169]
	v_div_scale_f64 v[170:171], vcc_lo, 1.0, v[2:3], 1.0
	s_delay_alu instid0(VALU_DEP_1) | instskip(NEXT) | instid1(VALU_DEP_1)
	v_mul_f64 v[172:173], v[170:171], v[168:169]
	v_fma_f64 v[4:5], -v[4:5], v[172:173], v[170:171]
	s_delay_alu instid0(VALU_DEP_1) | instskip(NEXT) | instid1(VALU_DEP_1)
	v_div_fmas_f64 v[4:5], v[4:5], v[168:169], v[172:173]
                                        ; implicit-def: $vgpr168_vgpr169
	v_div_fixup_f64 v[2:3], v[4:5], v[2:3], 1.0
	s_delay_alu instid0(VALU_DEP_1)
	v_mul_f64 v[4:5], v[0:1], v[2:3]
	v_xor_b32_e32 v3, 0x80000000, v3
.LBB127_513:
	s_and_not1_saveexec_b32 s3, s3
	s_cbranch_execz .LBB127_515
; %bb.514:
	v_div_scale_f64 v[0:1], null, v[168:169], v[168:169], v[170:171]
	v_div_scale_f64 v[172:173], vcc_lo, v[170:171], v[168:169], v[170:171]
	s_delay_alu instid0(VALU_DEP_2) | instskip(SKIP_2) | instid1(VALU_DEP_1)
	v_rcp_f64_e32 v[2:3], v[0:1]
	s_waitcnt_depctr 0xfff
	v_fma_f64 v[4:5], -v[0:1], v[2:3], 1.0
	v_fma_f64 v[2:3], v[2:3], v[4:5], v[2:3]
	s_delay_alu instid0(VALU_DEP_1) | instskip(NEXT) | instid1(VALU_DEP_1)
	v_fma_f64 v[4:5], -v[0:1], v[2:3], 1.0
	v_fma_f64 v[2:3], v[2:3], v[4:5], v[2:3]
	s_delay_alu instid0(VALU_DEP_1) | instskip(NEXT) | instid1(VALU_DEP_1)
	v_mul_f64 v[4:5], v[172:173], v[2:3]
	v_fma_f64 v[0:1], -v[0:1], v[4:5], v[172:173]
	s_delay_alu instid0(VALU_DEP_1) | instskip(NEXT) | instid1(VALU_DEP_1)
	v_div_fmas_f64 v[0:1], v[0:1], v[2:3], v[4:5]
	v_div_fixup_f64 v[0:1], v[0:1], v[168:169], v[170:171]
	s_delay_alu instid0(VALU_DEP_1) | instskip(NEXT) | instid1(VALU_DEP_1)
	v_fma_f64 v[2:3], v[170:171], v[0:1], v[168:169]
	v_div_scale_f64 v[4:5], null, v[2:3], v[2:3], 1.0
	s_delay_alu instid0(VALU_DEP_1) | instskip(SKIP_2) | instid1(VALU_DEP_1)
	v_rcp_f64_e32 v[168:169], v[4:5]
	s_waitcnt_depctr 0xfff
	v_fma_f64 v[170:171], -v[4:5], v[168:169], 1.0
	v_fma_f64 v[168:169], v[168:169], v[170:171], v[168:169]
	s_delay_alu instid0(VALU_DEP_1) | instskip(NEXT) | instid1(VALU_DEP_1)
	v_fma_f64 v[170:171], -v[4:5], v[168:169], 1.0
	v_fma_f64 v[168:169], v[168:169], v[170:171], v[168:169]
	v_div_scale_f64 v[170:171], vcc_lo, 1.0, v[2:3], 1.0
	s_delay_alu instid0(VALU_DEP_1) | instskip(NEXT) | instid1(VALU_DEP_1)
	v_mul_f64 v[172:173], v[170:171], v[168:169]
	v_fma_f64 v[4:5], -v[4:5], v[172:173], v[170:171]
	s_delay_alu instid0(VALU_DEP_1) | instskip(NEXT) | instid1(VALU_DEP_1)
	v_div_fmas_f64 v[4:5], v[4:5], v[168:169], v[172:173]
	v_div_fixup_f64 v[4:5], v[4:5], v[2:3], 1.0
	s_delay_alu instid0(VALU_DEP_1)
	v_mul_f64 v[2:3], v[0:1], -v[4:5]
.LBB127_515:
	s_or_b32 exec_lo, exec_lo, s3
	scratch_load_b32 v0, off, off offset:1024 ; 4-byte Folded Reload
	s_waitcnt vmcnt(0)
	ds_store_2addr_b64 v0, v[4:5], v[2:3] offset1:1
.LBB127_516:
	s_or_b32 exec_lo, exec_lo, s4
	s_waitcnt lgkmcnt(0)
	s_barrier
	buffer_gl0_inv
	scratch_load_b32 v0, off, off offset:1024 ; 4-byte Folded Reload
	s_mov_b32 s3, exec_lo
	s_waitcnt vmcnt(0)
	ds_load_2addr_b64 v[168:171], v0 offset1:1
	v_cmpx_lt_u32_e32 42, v254
	s_cbranch_execz .LBB127_519
; %bb.517:
	scratch_load_b128 v[0:3], off, off offset:672
	s_mov_b32 s4, 0
	s_waitcnt vmcnt(0) lgkmcnt(0)
	v_mul_f64 v[4:5], v[170:171], v[2:3]
	v_mul_f64 v[2:3], v[168:169], v[2:3]
	s_delay_alu instid0(VALU_DEP_2) | instskip(NEXT) | instid1(VALU_DEP_2)
	v_fma_f64 v[172:173], v[168:169], v[0:1], -v[4:5]
	v_fma_f64 v[174:175], v[170:171], v[0:1], v[2:3]
	v_add3_u32 v0, v188, 0, 0x2b0
	v_mov_b32_e32 v1, 0
	scratch_store_b128 off, v[172:175], off offset:672
.LBB127_518:                            ; =>This Inner Loop Header: Depth=1
	v_add_nc_u32_e32 v7, s4, v0
	v_readfirstlane_b32 s5, v1
	ds_load_2addr_b64 v[2:5], v7 offset1:1
	s_add_i32 s5, s5, s4
	s_addk_i32 s4, 0x70
	s_add_i32 s6, s5, 0x2b0
	s_waitcnt lgkmcnt(0)
	v_mul_f64 v[176:177], v[4:5], v[174:175]
	s_delay_alu instid0(VALU_DEP_1) | instskip(SKIP_1) | instid1(VALU_DEP_1)
	v_fma_f64 v[176:177], v[2:3], v[172:173], -v[176:177]
	v_mul_f64 v[2:3], v[2:3], v[174:175]
	v_fma_f64 v[178:179], v[4:5], v[172:173], v[2:3]
	scratch_load_b128 v[2:5], off, s6
	s_waitcnt vmcnt(0)
	v_add_f64 v[2:3], v[2:3], -v[176:177]
	v_add_f64 v[4:5], v[4:5], -v[178:179]
	scratch_store_b128 off, v[2:5], s6
	ds_load_2addr_b64 v[2:5], v7 offset0:2 offset1:3
	s_add_i32 s6, s5, 0x2c0
	s_waitcnt lgkmcnt(0)
	v_mul_f64 v[176:177], v[4:5], v[174:175]
	s_delay_alu instid0(VALU_DEP_1) | instskip(SKIP_1) | instid1(VALU_DEP_1)
	v_fma_f64 v[176:177], v[2:3], v[172:173], -v[176:177]
	v_mul_f64 v[2:3], v[2:3], v[174:175]
	v_fma_f64 v[178:179], v[4:5], v[172:173], v[2:3]
	scratch_load_b128 v[2:5], off, s6
	s_waitcnt vmcnt(0)
	v_add_f64 v[2:3], v[2:3], -v[176:177]
	v_add_f64 v[4:5], v[4:5], -v[178:179]
	scratch_store_b128 off, v[2:5], s6
	ds_load_2addr_b64 v[2:5], v7 offset0:4 offset1:5
	;; [unrolled: 13-line block ×5, first 2 shown]
	s_add_i32 s6, s5, 0x300
	s_addk_i32 s5, 0x310
	s_cmpk_lg_i32 s4, 0x150
	s_waitcnt lgkmcnt(0)
	v_mul_f64 v[176:177], v[4:5], v[174:175]
	s_delay_alu instid0(VALU_DEP_1) | instskip(SKIP_1) | instid1(VALU_DEP_1)
	v_fma_f64 v[176:177], v[2:3], v[172:173], -v[176:177]
	v_mul_f64 v[2:3], v[2:3], v[174:175]
	v_fma_f64 v[172:173], v[4:5], v[172:173], v[2:3]
	scratch_load_b128 v[2:5], off, s6
	s_waitcnt vmcnt(0)
	v_add_f64 v[4:5], v[4:5], -v[172:173]
	scratch_load_b128 v[172:175], off, off offset:672
	v_add_f64 v[2:3], v[2:3], -v[176:177]
	scratch_store_b128 off, v[2:5], s6
	ds_load_2addr_b64 v[2:5], v7 offset0:12 offset1:13
	s_waitcnt vmcnt(0) lgkmcnt(0)
	v_mul_f64 v[176:177], v[4:5], v[174:175]
	s_delay_alu instid0(VALU_DEP_1) | instskip(SKIP_1) | instid1(VALU_DEP_1)
	v_fma_f64 v[176:177], v[2:3], v[172:173], -v[176:177]
	v_mul_f64 v[2:3], v[2:3], v[174:175]
	v_fma_f64 v[178:179], v[4:5], v[172:173], v[2:3]
	scratch_load_b128 v[2:5], off, s5
	s_waitcnt vmcnt(0)
	v_add_f64 v[2:3], v[2:3], -v[176:177]
	v_add_f64 v[4:5], v[4:5], -v[178:179]
	scratch_store_b128 off, v[2:5], s5
	s_cbranch_scc1 .LBB127_518
.LBB127_519:
	s_or_b32 exec_lo, exec_lo, s3
	s_delay_alu instid0(SALU_CYCLE_1)
	s_mov_b32 s4, exec_lo
	s_waitcnt lgkmcnt(0)
	s_waitcnt_vscnt null, 0x0
	s_barrier
	buffer_gl0_inv
	v_cmpx_eq_u32_e32 43, v254
	s_cbranch_execz .LBB127_526
; %bb.520:
	scratch_load_b32 v0, off, off offset:1108 ; 4-byte Folded Reload
	s_waitcnt vmcnt(0)
	scratch_load_b128 v[0:3], v0, off
	scratch_load_b32 v4, off, off offset:1024 ; 4-byte Folded Reload
	s_waitcnt vmcnt(0)
	ds_store_2addr_b64 v4, v[0:1], v[2:3] offset1:1
	scratch_load_b32 v0, off, off offset:1104 ; 4-byte Folded Reload
	s_waitcnt vmcnt(0)
	scratch_load_b128 v[0:3], v0, off
	s_waitcnt vmcnt(0)
	ds_store_2addr_b64 v6, v[0:1], v[2:3] offset0:88 offset1:89
	scratch_load_b32 v0, off, off offset:1100 ; 4-byte Folded Reload
	s_waitcnt vmcnt(0)
	scratch_load_b128 v[0:3], v0, off
	s_waitcnt vmcnt(0)
	ds_store_2addr_b64 v6, v[0:1], v[2:3] offset0:90 offset1:91
	;; [unrolled: 5-line block ×20, first 2 shown]
	ds_load_2addr_b64 v[172:175], v4 offset1:1
	s_waitcnt lgkmcnt(0)
	v_cmp_neq_f64_e32 vcc_lo, 0, v[172:173]
	v_cmp_neq_f64_e64 s3, 0, v[174:175]
	s_delay_alu instid0(VALU_DEP_1) | instskip(NEXT) | instid1(SALU_CYCLE_1)
	s_or_b32 s3, vcc_lo, s3
	s_and_b32 exec_lo, exec_lo, s3
	s_cbranch_execz .LBB127_526
; %bb.521:
	v_cmp_gt_f64_e32 vcc_lo, 0, v[172:173]
	v_xor_b32_e32 v0, 0x80000000, v173
	v_xor_b32_e32 v2, 0x80000000, v175
	s_mov_b32 s3, exec_lo
                                        ; implicit-def: $vgpr4_vgpr5
	s_delay_alu instid0(VALU_DEP_2) | instskip(SKIP_4) | instid1(VALU_DEP_1)
	v_cndmask_b32_e32 v1, v173, v0, vcc_lo
	v_cndmask_b32_e32 v0, v172, v172, vcc_lo
	v_cmp_gt_f64_e32 vcc_lo, 0, v[174:175]
	v_cndmask_b32_e32 v3, v175, v2, vcc_lo
	v_cndmask_b32_e32 v2, v174, v174, vcc_lo
	v_cmpx_ngt_f64_e32 v[0:1], v[2:3]
	s_xor_b32 s3, exec_lo, s3
                                        ; implicit-def: $vgpr0_vgpr1_vgpr2_vgpr3
	s_cbranch_execz .LBB127_523
; %bb.522:
	v_div_scale_f64 v[0:1], null, v[174:175], v[174:175], v[172:173]
	v_div_scale_f64 v[176:177], vcc_lo, v[172:173], v[174:175], v[172:173]
	s_delay_alu instid0(VALU_DEP_2) | instskip(SKIP_2) | instid1(VALU_DEP_1)
	v_rcp_f64_e32 v[2:3], v[0:1]
	s_waitcnt_depctr 0xfff
	v_fma_f64 v[4:5], -v[0:1], v[2:3], 1.0
	v_fma_f64 v[2:3], v[2:3], v[4:5], v[2:3]
	s_delay_alu instid0(VALU_DEP_1) | instskip(NEXT) | instid1(VALU_DEP_1)
	v_fma_f64 v[4:5], -v[0:1], v[2:3], 1.0
	v_fma_f64 v[2:3], v[2:3], v[4:5], v[2:3]
	s_delay_alu instid0(VALU_DEP_1) | instskip(NEXT) | instid1(VALU_DEP_1)
	v_mul_f64 v[4:5], v[176:177], v[2:3]
	v_fma_f64 v[0:1], -v[0:1], v[4:5], v[176:177]
	s_delay_alu instid0(VALU_DEP_1) | instskip(NEXT) | instid1(VALU_DEP_1)
	v_div_fmas_f64 v[0:1], v[0:1], v[2:3], v[4:5]
	v_div_fixup_f64 v[0:1], v[0:1], v[174:175], v[172:173]
	s_delay_alu instid0(VALU_DEP_1) | instskip(NEXT) | instid1(VALU_DEP_1)
	v_fma_f64 v[2:3], v[172:173], v[0:1], v[174:175]
	v_div_scale_f64 v[4:5], null, v[2:3], v[2:3], 1.0
	s_delay_alu instid0(VALU_DEP_1) | instskip(SKIP_2) | instid1(VALU_DEP_1)
	v_rcp_f64_e32 v[172:173], v[4:5]
	s_waitcnt_depctr 0xfff
	v_fma_f64 v[174:175], -v[4:5], v[172:173], 1.0
	v_fma_f64 v[172:173], v[172:173], v[174:175], v[172:173]
	s_delay_alu instid0(VALU_DEP_1) | instskip(NEXT) | instid1(VALU_DEP_1)
	v_fma_f64 v[174:175], -v[4:5], v[172:173], 1.0
	v_fma_f64 v[172:173], v[172:173], v[174:175], v[172:173]
	v_div_scale_f64 v[174:175], vcc_lo, 1.0, v[2:3], 1.0
	s_delay_alu instid0(VALU_DEP_1) | instskip(NEXT) | instid1(VALU_DEP_1)
	v_mul_f64 v[176:177], v[174:175], v[172:173]
	v_fma_f64 v[4:5], -v[4:5], v[176:177], v[174:175]
	s_delay_alu instid0(VALU_DEP_1) | instskip(NEXT) | instid1(VALU_DEP_1)
	v_div_fmas_f64 v[4:5], v[4:5], v[172:173], v[176:177]
                                        ; implicit-def: $vgpr172_vgpr173
	v_div_fixup_f64 v[2:3], v[4:5], v[2:3], 1.0
	s_delay_alu instid0(VALU_DEP_1)
	v_mul_f64 v[4:5], v[0:1], v[2:3]
	v_xor_b32_e32 v3, 0x80000000, v3
.LBB127_523:
	s_and_not1_saveexec_b32 s3, s3
	s_cbranch_execz .LBB127_525
; %bb.524:
	v_div_scale_f64 v[0:1], null, v[172:173], v[172:173], v[174:175]
	v_div_scale_f64 v[176:177], vcc_lo, v[174:175], v[172:173], v[174:175]
	s_delay_alu instid0(VALU_DEP_2) | instskip(SKIP_2) | instid1(VALU_DEP_1)
	v_rcp_f64_e32 v[2:3], v[0:1]
	s_waitcnt_depctr 0xfff
	v_fma_f64 v[4:5], -v[0:1], v[2:3], 1.0
	v_fma_f64 v[2:3], v[2:3], v[4:5], v[2:3]
	s_delay_alu instid0(VALU_DEP_1) | instskip(NEXT) | instid1(VALU_DEP_1)
	v_fma_f64 v[4:5], -v[0:1], v[2:3], 1.0
	v_fma_f64 v[2:3], v[2:3], v[4:5], v[2:3]
	s_delay_alu instid0(VALU_DEP_1) | instskip(NEXT) | instid1(VALU_DEP_1)
	v_mul_f64 v[4:5], v[176:177], v[2:3]
	v_fma_f64 v[0:1], -v[0:1], v[4:5], v[176:177]
	s_delay_alu instid0(VALU_DEP_1) | instskip(NEXT) | instid1(VALU_DEP_1)
	v_div_fmas_f64 v[0:1], v[0:1], v[2:3], v[4:5]
	v_div_fixup_f64 v[0:1], v[0:1], v[172:173], v[174:175]
	s_delay_alu instid0(VALU_DEP_1) | instskip(NEXT) | instid1(VALU_DEP_1)
	v_fma_f64 v[2:3], v[174:175], v[0:1], v[172:173]
	v_div_scale_f64 v[4:5], null, v[2:3], v[2:3], 1.0
	s_delay_alu instid0(VALU_DEP_1) | instskip(SKIP_2) | instid1(VALU_DEP_1)
	v_rcp_f64_e32 v[172:173], v[4:5]
	s_waitcnt_depctr 0xfff
	v_fma_f64 v[174:175], -v[4:5], v[172:173], 1.0
	v_fma_f64 v[172:173], v[172:173], v[174:175], v[172:173]
	s_delay_alu instid0(VALU_DEP_1) | instskip(NEXT) | instid1(VALU_DEP_1)
	v_fma_f64 v[174:175], -v[4:5], v[172:173], 1.0
	v_fma_f64 v[172:173], v[172:173], v[174:175], v[172:173]
	v_div_scale_f64 v[174:175], vcc_lo, 1.0, v[2:3], 1.0
	s_delay_alu instid0(VALU_DEP_1) | instskip(NEXT) | instid1(VALU_DEP_1)
	v_mul_f64 v[176:177], v[174:175], v[172:173]
	v_fma_f64 v[4:5], -v[4:5], v[176:177], v[174:175]
	s_delay_alu instid0(VALU_DEP_1) | instskip(NEXT) | instid1(VALU_DEP_1)
	v_div_fmas_f64 v[4:5], v[4:5], v[172:173], v[176:177]
	v_div_fixup_f64 v[4:5], v[4:5], v[2:3], 1.0
	s_delay_alu instid0(VALU_DEP_1)
	v_mul_f64 v[2:3], v[0:1], -v[4:5]
.LBB127_525:
	s_or_b32 exec_lo, exec_lo, s3
	scratch_load_b32 v0, off, off offset:1024 ; 4-byte Folded Reload
	s_waitcnt vmcnt(0)
	ds_store_2addr_b64 v0, v[4:5], v[2:3] offset1:1
.LBB127_526:
	s_or_b32 exec_lo, exec_lo, s4
	s_waitcnt lgkmcnt(0)
	s_barrier
	buffer_gl0_inv
	scratch_load_b32 v0, off, off offset:1024 ; 4-byte Folded Reload
	s_mov_b32 s3, exec_lo
	s_waitcnt vmcnt(0)
	ds_load_2addr_b64 v[172:175], v0 offset1:1
	v_cmpx_lt_u32_e32 43, v254
	s_cbranch_execz .LBB127_529
; %bb.527:
	scratch_load_b128 v[0:3], off, off offset:688
	s_mov_b32 s4, 0
	s_waitcnt vmcnt(0) lgkmcnt(0)
	v_mul_f64 v[4:5], v[174:175], v[2:3]
	v_mul_f64 v[2:3], v[172:173], v[2:3]
	s_delay_alu instid0(VALU_DEP_2) | instskip(NEXT) | instid1(VALU_DEP_2)
	v_fma_f64 v[176:177], v[172:173], v[0:1], -v[4:5]
	v_fma_f64 v[178:179], v[174:175], v[0:1], v[2:3]
	v_add3_u32 v0, v188, 0, 0x2c0
	v_mov_b32_e32 v1, 0
	scratch_store_b128 off, v[176:179], off offset:688
.LBB127_528:                            ; =>This Inner Loop Header: Depth=1
	v_add_nc_u32_e32 v7, s4, v0
	v_readfirstlane_b32 s5, v1
	ds_load_2addr_b64 v[2:5], v7 offset1:1
	s_add_i32 s5, s5, s4
	s_addk_i32 s4, 0x50
	s_add_i32 s6, s5, 0x2c0
	s_waitcnt lgkmcnt(0)
	v_mul_f64 v[180:181], v[4:5], v[178:179]
	s_delay_alu instid0(VALU_DEP_1) | instskip(SKIP_1) | instid1(VALU_DEP_1)
	v_fma_f64 v[180:181], v[2:3], v[176:177], -v[180:181]
	v_mul_f64 v[2:3], v[2:3], v[178:179]
	v_fma_f64 v[182:183], v[4:5], v[176:177], v[2:3]
	scratch_load_b128 v[2:5], off, s6
	s_waitcnt vmcnt(0)
	v_add_f64 v[2:3], v[2:3], -v[180:181]
	v_add_f64 v[4:5], v[4:5], -v[182:183]
	scratch_store_b128 off, v[2:5], s6
	ds_load_2addr_b64 v[2:5], v7 offset0:2 offset1:3
	s_add_i32 s6, s5, 0x2d0
	s_waitcnt lgkmcnt(0)
	v_mul_f64 v[180:181], v[4:5], v[178:179]
	s_delay_alu instid0(VALU_DEP_1) | instskip(SKIP_1) | instid1(VALU_DEP_1)
	v_fma_f64 v[180:181], v[2:3], v[176:177], -v[180:181]
	v_mul_f64 v[2:3], v[2:3], v[178:179]
	v_fma_f64 v[182:183], v[4:5], v[176:177], v[2:3]
	scratch_load_b128 v[2:5], off, s6
	s_waitcnt vmcnt(0)
	v_add_f64 v[2:3], v[2:3], -v[180:181]
	v_add_f64 v[4:5], v[4:5], -v[182:183]
	scratch_store_b128 off, v[2:5], s6
	ds_load_2addr_b64 v[2:5], v7 offset0:4 offset1:5
	;; [unrolled: 13-line block ×3, first 2 shown]
	s_add_i32 s6, s5, 0x2f0
	s_addk_i32 s5, 0x300
	s_cmpk_lg_i32 s4, 0x140
	s_waitcnt lgkmcnt(0)
	v_mul_f64 v[180:181], v[4:5], v[178:179]
	s_delay_alu instid0(VALU_DEP_1) | instskip(SKIP_1) | instid1(VALU_DEP_1)
	v_fma_f64 v[180:181], v[2:3], v[176:177], -v[180:181]
	v_mul_f64 v[2:3], v[2:3], v[178:179]
	v_fma_f64 v[182:183], v[4:5], v[176:177], v[2:3]
	scratch_load_b128 v[2:5], off, s6
	s_waitcnt vmcnt(0)
	v_add_f64 v[2:3], v[2:3], -v[180:181]
	v_add_f64 v[4:5], v[4:5], -v[182:183]
	scratch_store_b128 off, v[2:5], s6
	ds_load_2addr_b64 v[2:5], v7 offset0:8 offset1:9
	s_waitcnt lgkmcnt(0)
	v_mul_f64 v[180:181], v[4:5], v[178:179]
	s_delay_alu instid0(VALU_DEP_1) | instskip(SKIP_1) | instid1(VALU_DEP_1)
	v_fma_f64 v[180:181], v[2:3], v[176:177], -v[180:181]
	v_mul_f64 v[2:3], v[2:3], v[178:179]
	v_fma_f64 v[182:183], v[4:5], v[176:177], v[2:3]
	scratch_load_b128 v[2:5], off, s5
	s_waitcnt vmcnt(0)
	v_add_f64 v[2:3], v[2:3], -v[180:181]
	v_add_f64 v[4:5], v[4:5], -v[182:183]
	scratch_store_b128 off, v[2:5], s5
	s_cbranch_scc1 .LBB127_528
.LBB127_529:
	s_or_b32 exec_lo, exec_lo, s3
	s_delay_alu instid0(SALU_CYCLE_1)
	s_mov_b32 s4, exec_lo
	s_waitcnt lgkmcnt(0)
	s_waitcnt_vscnt null, 0x0
	s_barrier
	buffer_gl0_inv
	v_cmpx_eq_u32_e32 44, v254
	s_cbranch_execz .LBB127_536
; %bb.530:
	scratch_load_b32 v0, off, off offset:1104 ; 4-byte Folded Reload
	s_waitcnt vmcnt(0)
	scratch_load_b128 v[0:3], v0, off
	scratch_load_b32 v4, off, off offset:1024 ; 4-byte Folded Reload
	s_waitcnt vmcnt(0)
	ds_store_2addr_b64 v4, v[0:1], v[2:3] offset1:1
	scratch_load_b32 v0, off, off offset:1100 ; 4-byte Folded Reload
	s_waitcnt vmcnt(0)
	scratch_load_b128 v[0:3], v0, off
	s_waitcnt vmcnt(0)
	ds_store_2addr_b64 v6, v[0:1], v[2:3] offset0:90 offset1:91
	scratch_load_b32 v0, off, off offset:1096 ; 4-byte Folded Reload
	s_waitcnt vmcnt(0)
	scratch_load_b128 v[0:3], v0, off
	s_waitcnt vmcnt(0)
	ds_store_2addr_b64 v6, v[0:1], v[2:3] offset0:92 offset1:93
	;; [unrolled: 5-line block ×19, first 2 shown]
	ds_load_2addr_b64 v[176:179], v4 offset1:1
	s_waitcnt lgkmcnt(0)
	v_cmp_neq_f64_e32 vcc_lo, 0, v[176:177]
	v_cmp_neq_f64_e64 s3, 0, v[178:179]
	s_delay_alu instid0(VALU_DEP_1) | instskip(NEXT) | instid1(SALU_CYCLE_1)
	s_or_b32 s3, vcc_lo, s3
	s_and_b32 exec_lo, exec_lo, s3
	s_cbranch_execz .LBB127_536
; %bb.531:
	v_cmp_gt_f64_e32 vcc_lo, 0, v[176:177]
	v_xor_b32_e32 v0, 0x80000000, v177
	v_xor_b32_e32 v2, 0x80000000, v179
	s_mov_b32 s3, exec_lo
                                        ; implicit-def: $vgpr4_vgpr5
	s_delay_alu instid0(VALU_DEP_2) | instskip(SKIP_4) | instid1(VALU_DEP_1)
	v_cndmask_b32_e32 v1, v177, v0, vcc_lo
	v_cndmask_b32_e32 v0, v176, v176, vcc_lo
	v_cmp_gt_f64_e32 vcc_lo, 0, v[178:179]
	v_cndmask_b32_e32 v3, v179, v2, vcc_lo
	v_cndmask_b32_e32 v2, v178, v178, vcc_lo
	v_cmpx_ngt_f64_e32 v[0:1], v[2:3]
	s_xor_b32 s3, exec_lo, s3
                                        ; implicit-def: $vgpr0_vgpr1_vgpr2_vgpr3
	s_cbranch_execz .LBB127_533
; %bb.532:
	v_div_scale_f64 v[0:1], null, v[178:179], v[178:179], v[176:177]
	v_div_scale_f64 v[180:181], vcc_lo, v[176:177], v[178:179], v[176:177]
	s_delay_alu instid0(VALU_DEP_2) | instskip(SKIP_2) | instid1(VALU_DEP_1)
	v_rcp_f64_e32 v[2:3], v[0:1]
	s_waitcnt_depctr 0xfff
	v_fma_f64 v[4:5], -v[0:1], v[2:3], 1.0
	v_fma_f64 v[2:3], v[2:3], v[4:5], v[2:3]
	s_delay_alu instid0(VALU_DEP_1) | instskip(NEXT) | instid1(VALU_DEP_1)
	v_fma_f64 v[4:5], -v[0:1], v[2:3], 1.0
	v_fma_f64 v[2:3], v[2:3], v[4:5], v[2:3]
	s_delay_alu instid0(VALU_DEP_1) | instskip(NEXT) | instid1(VALU_DEP_1)
	v_mul_f64 v[4:5], v[180:181], v[2:3]
	v_fma_f64 v[0:1], -v[0:1], v[4:5], v[180:181]
	s_delay_alu instid0(VALU_DEP_1) | instskip(NEXT) | instid1(VALU_DEP_1)
	v_div_fmas_f64 v[0:1], v[0:1], v[2:3], v[4:5]
	v_div_fixup_f64 v[0:1], v[0:1], v[178:179], v[176:177]
	s_delay_alu instid0(VALU_DEP_1) | instskip(NEXT) | instid1(VALU_DEP_1)
	v_fma_f64 v[2:3], v[176:177], v[0:1], v[178:179]
	v_div_scale_f64 v[4:5], null, v[2:3], v[2:3], 1.0
	s_delay_alu instid0(VALU_DEP_1) | instskip(SKIP_2) | instid1(VALU_DEP_1)
	v_rcp_f64_e32 v[176:177], v[4:5]
	s_waitcnt_depctr 0xfff
	v_fma_f64 v[178:179], -v[4:5], v[176:177], 1.0
	v_fma_f64 v[176:177], v[176:177], v[178:179], v[176:177]
	s_delay_alu instid0(VALU_DEP_1) | instskip(NEXT) | instid1(VALU_DEP_1)
	v_fma_f64 v[178:179], -v[4:5], v[176:177], 1.0
	v_fma_f64 v[176:177], v[176:177], v[178:179], v[176:177]
	v_div_scale_f64 v[178:179], vcc_lo, 1.0, v[2:3], 1.0
	s_delay_alu instid0(VALU_DEP_1) | instskip(NEXT) | instid1(VALU_DEP_1)
	v_mul_f64 v[180:181], v[178:179], v[176:177]
	v_fma_f64 v[4:5], -v[4:5], v[180:181], v[178:179]
	s_delay_alu instid0(VALU_DEP_1) | instskip(NEXT) | instid1(VALU_DEP_1)
	v_div_fmas_f64 v[4:5], v[4:5], v[176:177], v[180:181]
                                        ; implicit-def: $vgpr176_vgpr177
	v_div_fixup_f64 v[2:3], v[4:5], v[2:3], 1.0
	s_delay_alu instid0(VALU_DEP_1)
	v_mul_f64 v[4:5], v[0:1], v[2:3]
	v_xor_b32_e32 v3, 0x80000000, v3
.LBB127_533:
	s_and_not1_saveexec_b32 s3, s3
	s_cbranch_execz .LBB127_535
; %bb.534:
	v_div_scale_f64 v[0:1], null, v[176:177], v[176:177], v[178:179]
	v_div_scale_f64 v[180:181], vcc_lo, v[178:179], v[176:177], v[178:179]
	s_delay_alu instid0(VALU_DEP_2) | instskip(SKIP_2) | instid1(VALU_DEP_1)
	v_rcp_f64_e32 v[2:3], v[0:1]
	s_waitcnt_depctr 0xfff
	v_fma_f64 v[4:5], -v[0:1], v[2:3], 1.0
	v_fma_f64 v[2:3], v[2:3], v[4:5], v[2:3]
	s_delay_alu instid0(VALU_DEP_1) | instskip(NEXT) | instid1(VALU_DEP_1)
	v_fma_f64 v[4:5], -v[0:1], v[2:3], 1.0
	v_fma_f64 v[2:3], v[2:3], v[4:5], v[2:3]
	s_delay_alu instid0(VALU_DEP_1) | instskip(NEXT) | instid1(VALU_DEP_1)
	v_mul_f64 v[4:5], v[180:181], v[2:3]
	v_fma_f64 v[0:1], -v[0:1], v[4:5], v[180:181]
	s_delay_alu instid0(VALU_DEP_1) | instskip(NEXT) | instid1(VALU_DEP_1)
	v_div_fmas_f64 v[0:1], v[0:1], v[2:3], v[4:5]
	v_div_fixup_f64 v[0:1], v[0:1], v[176:177], v[178:179]
	s_delay_alu instid0(VALU_DEP_1) | instskip(NEXT) | instid1(VALU_DEP_1)
	v_fma_f64 v[2:3], v[178:179], v[0:1], v[176:177]
	v_div_scale_f64 v[4:5], null, v[2:3], v[2:3], 1.0
	s_delay_alu instid0(VALU_DEP_1) | instskip(SKIP_2) | instid1(VALU_DEP_1)
	v_rcp_f64_e32 v[176:177], v[4:5]
	s_waitcnt_depctr 0xfff
	v_fma_f64 v[178:179], -v[4:5], v[176:177], 1.0
	v_fma_f64 v[176:177], v[176:177], v[178:179], v[176:177]
	s_delay_alu instid0(VALU_DEP_1) | instskip(NEXT) | instid1(VALU_DEP_1)
	v_fma_f64 v[178:179], -v[4:5], v[176:177], 1.0
	v_fma_f64 v[176:177], v[176:177], v[178:179], v[176:177]
	v_div_scale_f64 v[178:179], vcc_lo, 1.0, v[2:3], 1.0
	s_delay_alu instid0(VALU_DEP_1) | instskip(NEXT) | instid1(VALU_DEP_1)
	v_mul_f64 v[180:181], v[178:179], v[176:177]
	v_fma_f64 v[4:5], -v[4:5], v[180:181], v[178:179]
	s_delay_alu instid0(VALU_DEP_1) | instskip(NEXT) | instid1(VALU_DEP_1)
	v_div_fmas_f64 v[4:5], v[4:5], v[176:177], v[180:181]
	v_div_fixup_f64 v[4:5], v[4:5], v[2:3], 1.0
	s_delay_alu instid0(VALU_DEP_1)
	v_mul_f64 v[2:3], v[0:1], -v[4:5]
.LBB127_535:
	s_or_b32 exec_lo, exec_lo, s3
	scratch_load_b32 v0, off, off offset:1024 ; 4-byte Folded Reload
	s_waitcnt vmcnt(0)
	ds_store_2addr_b64 v0, v[4:5], v[2:3] offset1:1
.LBB127_536:
	s_or_b32 exec_lo, exec_lo, s4
	s_waitcnt lgkmcnt(0)
	s_barrier
	buffer_gl0_inv
	scratch_load_b32 v0, off, off offset:1024 ; 4-byte Folded Reload
	s_mov_b32 s3, exec_lo
	s_waitcnt vmcnt(0)
	ds_load_2addr_b64 v[176:179], v0 offset1:1
	v_cmpx_lt_u32_e32 44, v254
	s_cbranch_execz .LBB127_541
; %bb.537:
	scratch_load_b128 v[0:3], off, off offset:704
	s_mov_b32 s4, 0
	s_waitcnt vmcnt(0) lgkmcnt(0)
	v_mul_f64 v[4:5], v[178:179], v[2:3]
	v_mul_f64 v[2:3], v[176:177], v[2:3]
	s_delay_alu instid0(VALU_DEP_2) | instskip(NEXT) | instid1(VALU_DEP_2)
	v_fma_f64 v[180:181], v[176:177], v[0:1], -v[4:5]
	v_fma_f64 v[182:183], v[178:179], v[0:1], v[2:3]
	v_add3_u32 v0, v188, 0, 0x2d0
	v_mov_b32_e32 v1, 0
	scratch_store_b128 off, v[180:183], off offset:704
	s_branch .LBB127_539
.LBB127_538:                            ;   in Loop: Header=BB127_539 Depth=1
	s_and_not1_b32 vcc_lo, exec_lo, s6
	s_cbranch_vccz .LBB127_541
.LBB127_539:                            ; =>This Inner Loop Header: Depth=1
	v_add_nc_u32_e32 v2, s4, v0
	v_readfirstlane_b32 s5, v1
	ds_load_2addr_b64 v[184:187], v2 offset1:1
	s_add_i32 s5, s5, s4
	s_delay_alu instid0(SALU_CYCLE_1) | instskip(SKIP_2) | instid1(VALU_DEP_1)
	s_add_i32 s6, s5, 0x2d0
	s_waitcnt lgkmcnt(0)
	v_mul_f64 v[3:4], v[186:187], v[182:183]
	v_fma_f64 v[3:4], v[184:185], v[180:181], -v[3:4]
	v_mul_f64 v[184:185], v[184:185], v[182:183]
	s_delay_alu instid0(VALU_DEP_1)
	v_fma_f64 v[189:190], v[186:187], v[180:181], v[184:185]
	scratch_load_b128 v[184:187], off, s6
	s_waitcnt vmcnt(0)
	v_add_f64 v[184:185], v[184:185], -v[3:4]
	v_add_f64 v[186:187], v[186:187], -v[189:190]
	scratch_store_b128 off, v[184:187], s6
	ds_load_2addr_b64 v[184:187], v2 offset0:2 offset1:3
	s_add_i32 s6, s5, 0x2e0
	s_waitcnt lgkmcnt(0)
	v_mul_f64 v[3:4], v[186:187], v[182:183]
	s_delay_alu instid0(VALU_DEP_1) | instskip(SKIP_1) | instid1(VALU_DEP_1)
	v_fma_f64 v[3:4], v[184:185], v[180:181], -v[3:4]
	v_mul_f64 v[184:185], v[184:185], v[182:183]
	v_fma_f64 v[189:190], v[186:187], v[180:181], v[184:185]
	scratch_load_b128 v[184:187], off, s6
	s_waitcnt vmcnt(0)
	v_add_f64 v[184:185], v[184:185], -v[3:4]
	v_add_f64 v[186:187], v[186:187], -v[189:190]
	scratch_store_b128 off, v[184:187], s6
	ds_load_2addr_b64 v[184:187], v2 offset0:4 offset1:5
	s_add_i32 s6, s5, 0x2f0
	s_cmpk_eq_i32 s4, 0x100
	s_waitcnt lgkmcnt(0)
	v_mul_f64 v[3:4], v[186:187], v[182:183]
	s_delay_alu instid0(VALU_DEP_1) | instskip(SKIP_1) | instid1(VALU_DEP_1)
	v_fma_f64 v[3:4], v[184:185], v[180:181], -v[3:4]
	v_mul_f64 v[184:185], v[184:185], v[182:183]
	v_fma_f64 v[189:190], v[186:187], v[180:181], v[184:185]
	scratch_load_b128 v[184:187], off, s6
	s_waitcnt vmcnt(0)
	v_add_f64 v[184:185], v[184:185], -v[3:4]
	v_add_f64 v[186:187], v[186:187], -v[189:190]
	scratch_store_b128 off, v[184:187], s6
	s_mov_b32 s6, -1
	s_cbranch_scc1 .LBB127_538
; %bb.540:                              ;   in Loop: Header=BB127_539 Depth=1
	ds_load_2addr_b64 v[2:5], v2 offset0:6 offset1:7
	s_addk_i32 s5, 0x300
	s_add_i32 s4, s4, 64
	s_mov_b32 s6, 0
	s_waitcnt lgkmcnt(0)
	v_mul_f64 v[184:185], v[4:5], v[182:183]
	s_delay_alu instid0(VALU_DEP_1) | instskip(SKIP_1) | instid1(VALU_DEP_1)
	v_fma_f64 v[184:185], v[2:3], v[180:181], -v[184:185]
	v_mul_f64 v[2:3], v[2:3], v[182:183]
	v_fma_f64 v[186:187], v[4:5], v[180:181], v[2:3]
	scratch_load_b128 v[2:5], off, s5
	s_waitcnt vmcnt(0)
	v_add_f64 v[2:3], v[2:3], -v[184:185]
	v_add_f64 v[4:5], v[4:5], -v[186:187]
	scratch_store_b128 off, v[2:5], s5
	s_branch .LBB127_538
.LBB127_541:
	s_or_b32 exec_lo, exec_lo, s3
	s_delay_alu instid0(SALU_CYCLE_1)
	s_mov_b32 s4, exec_lo
	s_waitcnt lgkmcnt(0)
	s_waitcnt_vscnt null, 0x0
	s_barrier
	buffer_gl0_inv
	v_cmpx_eq_u32_e32 45, v254
	s_cbranch_execz .LBB127_548
; %bb.542:
	scratch_load_b32 v0, off, off offset:1100 ; 4-byte Folded Reload
	s_waitcnt vmcnt(0)
	scratch_load_b128 v[0:3], v0, off
	scratch_load_b32 v4, off, off offset:1024 ; 4-byte Folded Reload
	s_waitcnt vmcnt(0)
	ds_store_2addr_b64 v4, v[0:1], v[2:3] offset1:1
	scratch_load_b32 v0, off, off offset:1096 ; 4-byte Folded Reload
	s_waitcnt vmcnt(0)
	scratch_load_b128 v[0:3], v0, off
	s_waitcnt vmcnt(0)
	ds_store_2addr_b64 v6, v[0:1], v[2:3] offset0:92 offset1:93
	scratch_load_b32 v0, off, off offset:1092 ; 4-byte Folded Reload
	s_waitcnt vmcnt(0)
	scratch_load_b128 v[0:3], v0, off
	s_waitcnt vmcnt(0)
	ds_store_2addr_b64 v6, v[0:1], v[2:3] offset0:94 offset1:95
	;; [unrolled: 5-line block ×18, first 2 shown]
	ds_load_2addr_b64 v[180:183], v4 offset1:1
	s_waitcnt lgkmcnt(0)
	v_cmp_neq_f64_e32 vcc_lo, 0, v[180:181]
	v_cmp_neq_f64_e64 s3, 0, v[182:183]
	s_delay_alu instid0(VALU_DEP_1) | instskip(NEXT) | instid1(SALU_CYCLE_1)
	s_or_b32 s3, vcc_lo, s3
	s_and_b32 exec_lo, exec_lo, s3
	s_cbranch_execz .LBB127_548
; %bb.543:
	v_cmp_gt_f64_e32 vcc_lo, 0, v[180:181]
	v_xor_b32_e32 v0, 0x80000000, v181
	v_xor_b32_e32 v2, 0x80000000, v183
	s_mov_b32 s3, exec_lo
                                        ; implicit-def: $vgpr4_vgpr5
	s_delay_alu instid0(VALU_DEP_2) | instskip(SKIP_4) | instid1(VALU_DEP_1)
	v_cndmask_b32_e32 v1, v181, v0, vcc_lo
	v_cndmask_b32_e32 v0, v180, v180, vcc_lo
	v_cmp_gt_f64_e32 vcc_lo, 0, v[182:183]
	v_cndmask_b32_e32 v3, v183, v2, vcc_lo
	v_cndmask_b32_e32 v2, v182, v182, vcc_lo
	v_cmpx_ngt_f64_e32 v[0:1], v[2:3]
	s_xor_b32 s3, exec_lo, s3
                                        ; implicit-def: $vgpr0_vgpr1_vgpr2_vgpr3
	s_cbranch_execz .LBB127_545
; %bb.544:
	v_div_scale_f64 v[0:1], null, v[182:183], v[182:183], v[180:181]
	v_div_scale_f64 v[184:185], vcc_lo, v[180:181], v[182:183], v[180:181]
	s_delay_alu instid0(VALU_DEP_2) | instskip(SKIP_2) | instid1(VALU_DEP_1)
	v_rcp_f64_e32 v[2:3], v[0:1]
	s_waitcnt_depctr 0xfff
	v_fma_f64 v[4:5], -v[0:1], v[2:3], 1.0
	v_fma_f64 v[2:3], v[2:3], v[4:5], v[2:3]
	s_delay_alu instid0(VALU_DEP_1) | instskip(NEXT) | instid1(VALU_DEP_1)
	v_fma_f64 v[4:5], -v[0:1], v[2:3], 1.0
	v_fma_f64 v[2:3], v[2:3], v[4:5], v[2:3]
	s_delay_alu instid0(VALU_DEP_1) | instskip(NEXT) | instid1(VALU_DEP_1)
	v_mul_f64 v[4:5], v[184:185], v[2:3]
	v_fma_f64 v[0:1], -v[0:1], v[4:5], v[184:185]
	s_delay_alu instid0(VALU_DEP_1) | instskip(NEXT) | instid1(VALU_DEP_1)
	v_div_fmas_f64 v[0:1], v[0:1], v[2:3], v[4:5]
	v_div_fixup_f64 v[0:1], v[0:1], v[182:183], v[180:181]
	s_delay_alu instid0(VALU_DEP_1) | instskip(NEXT) | instid1(VALU_DEP_1)
	v_fma_f64 v[2:3], v[180:181], v[0:1], v[182:183]
	v_div_scale_f64 v[4:5], null, v[2:3], v[2:3], 1.0
	s_delay_alu instid0(VALU_DEP_1) | instskip(SKIP_2) | instid1(VALU_DEP_1)
	v_rcp_f64_e32 v[180:181], v[4:5]
	s_waitcnt_depctr 0xfff
	v_fma_f64 v[182:183], -v[4:5], v[180:181], 1.0
	v_fma_f64 v[180:181], v[180:181], v[182:183], v[180:181]
	s_delay_alu instid0(VALU_DEP_1) | instskip(NEXT) | instid1(VALU_DEP_1)
	v_fma_f64 v[182:183], -v[4:5], v[180:181], 1.0
	v_fma_f64 v[180:181], v[180:181], v[182:183], v[180:181]
	v_div_scale_f64 v[182:183], vcc_lo, 1.0, v[2:3], 1.0
	s_delay_alu instid0(VALU_DEP_1) | instskip(NEXT) | instid1(VALU_DEP_1)
	v_mul_f64 v[184:185], v[182:183], v[180:181]
	v_fma_f64 v[4:5], -v[4:5], v[184:185], v[182:183]
	s_delay_alu instid0(VALU_DEP_1) | instskip(NEXT) | instid1(VALU_DEP_1)
	v_div_fmas_f64 v[4:5], v[4:5], v[180:181], v[184:185]
                                        ; implicit-def: $vgpr180_vgpr181
	v_div_fixup_f64 v[2:3], v[4:5], v[2:3], 1.0
	s_delay_alu instid0(VALU_DEP_1)
	v_mul_f64 v[4:5], v[0:1], v[2:3]
	v_xor_b32_e32 v3, 0x80000000, v3
.LBB127_545:
	s_and_not1_saveexec_b32 s3, s3
	s_cbranch_execz .LBB127_547
; %bb.546:
	v_div_scale_f64 v[0:1], null, v[180:181], v[180:181], v[182:183]
	v_div_scale_f64 v[184:185], vcc_lo, v[182:183], v[180:181], v[182:183]
	s_delay_alu instid0(VALU_DEP_2) | instskip(SKIP_2) | instid1(VALU_DEP_1)
	v_rcp_f64_e32 v[2:3], v[0:1]
	s_waitcnt_depctr 0xfff
	v_fma_f64 v[4:5], -v[0:1], v[2:3], 1.0
	v_fma_f64 v[2:3], v[2:3], v[4:5], v[2:3]
	s_delay_alu instid0(VALU_DEP_1) | instskip(NEXT) | instid1(VALU_DEP_1)
	v_fma_f64 v[4:5], -v[0:1], v[2:3], 1.0
	v_fma_f64 v[2:3], v[2:3], v[4:5], v[2:3]
	s_delay_alu instid0(VALU_DEP_1) | instskip(NEXT) | instid1(VALU_DEP_1)
	v_mul_f64 v[4:5], v[184:185], v[2:3]
	v_fma_f64 v[0:1], -v[0:1], v[4:5], v[184:185]
	s_delay_alu instid0(VALU_DEP_1) | instskip(NEXT) | instid1(VALU_DEP_1)
	v_div_fmas_f64 v[0:1], v[0:1], v[2:3], v[4:5]
	v_div_fixup_f64 v[0:1], v[0:1], v[180:181], v[182:183]
	s_delay_alu instid0(VALU_DEP_1) | instskip(NEXT) | instid1(VALU_DEP_1)
	v_fma_f64 v[2:3], v[182:183], v[0:1], v[180:181]
	v_div_scale_f64 v[4:5], null, v[2:3], v[2:3], 1.0
	s_delay_alu instid0(VALU_DEP_1) | instskip(SKIP_2) | instid1(VALU_DEP_1)
	v_rcp_f64_e32 v[180:181], v[4:5]
	s_waitcnt_depctr 0xfff
	v_fma_f64 v[182:183], -v[4:5], v[180:181], 1.0
	v_fma_f64 v[180:181], v[180:181], v[182:183], v[180:181]
	s_delay_alu instid0(VALU_DEP_1) | instskip(NEXT) | instid1(VALU_DEP_1)
	v_fma_f64 v[182:183], -v[4:5], v[180:181], 1.0
	v_fma_f64 v[180:181], v[180:181], v[182:183], v[180:181]
	v_div_scale_f64 v[182:183], vcc_lo, 1.0, v[2:3], 1.0
	s_delay_alu instid0(VALU_DEP_1) | instskip(NEXT) | instid1(VALU_DEP_1)
	v_mul_f64 v[184:185], v[182:183], v[180:181]
	v_fma_f64 v[4:5], -v[4:5], v[184:185], v[182:183]
	s_delay_alu instid0(VALU_DEP_1) | instskip(NEXT) | instid1(VALU_DEP_1)
	v_div_fmas_f64 v[4:5], v[4:5], v[180:181], v[184:185]
	v_div_fixup_f64 v[4:5], v[4:5], v[2:3], 1.0
	s_delay_alu instid0(VALU_DEP_1)
	v_mul_f64 v[2:3], v[0:1], -v[4:5]
.LBB127_547:
	s_or_b32 exec_lo, exec_lo, s3
	scratch_load_b32 v0, off, off offset:1024 ; 4-byte Folded Reload
	s_waitcnt vmcnt(0)
	ds_store_2addr_b64 v0, v[4:5], v[2:3] offset1:1
.LBB127_548:
	s_or_b32 exec_lo, exec_lo, s4
	s_waitcnt lgkmcnt(0)
	s_barrier
	buffer_gl0_inv
	scratch_load_b32 v0, off, off offset:1024 ; 4-byte Folded Reload
	s_mov_b32 s3, exec_lo
	s_waitcnt vmcnt(0)
	ds_load_2addr_b64 v[180:183], v0 offset1:1
	v_cmpx_lt_u32_e32 45, v254
	s_cbranch_execz .LBB127_551
; %bb.549:
	scratch_load_b128 v[0:3], off, off offset:720
	s_mov_b32 s4, 0
	s_waitcnt vmcnt(0) lgkmcnt(0)
	v_mul_f64 v[4:5], v[182:183], v[2:3]
	v_mul_f64 v[2:3], v[180:181], v[2:3]
	s_delay_alu instid0(VALU_DEP_2) | instskip(NEXT) | instid1(VALU_DEP_2)
	v_fma_f64 v[184:185], v[180:181], v[0:1], -v[4:5]
	v_fma_f64 v[186:187], v[182:183], v[0:1], v[2:3]
	v_add3_u32 v0, v188, 0, 0x2e0
	v_mov_b32_e32 v1, 0
	scratch_store_b128 off, v[184:187], off offset:720
.LBB127_550:                            ; =>This Inner Loop Header: Depth=1
	v_add_nc_u32_e32 v7, s4, v0
	v_readfirstlane_b32 s5, v1
	ds_load_2addr_b64 v[2:5], v7 offset1:1
	s_add_i32 s5, s5, s4
	s_addk_i32 s4, 0x60
	s_add_i32 s6, s5, 0x2e0
	s_waitcnt lgkmcnt(0)
	v_mul_f64 v[188:189], v[4:5], v[186:187]
	s_delay_alu instid0(VALU_DEP_1) | instskip(SKIP_1) | instid1(VALU_DEP_1)
	v_fma_f64 v[188:189], v[2:3], v[184:185], -v[188:189]
	v_mul_f64 v[2:3], v[2:3], v[186:187]
	v_fma_f64 v[190:191], v[4:5], v[184:185], v[2:3]
	scratch_load_b128 v[2:5], off, s6
	s_waitcnt vmcnt(0)
	v_add_f64 v[2:3], v[2:3], -v[188:189]
	v_add_f64 v[4:5], v[4:5], -v[190:191]
	scratch_store_b128 off, v[2:5], s6
	ds_load_2addr_b64 v[2:5], v7 offset0:2 offset1:3
	s_add_i32 s6, s5, 0x2f0
	s_waitcnt lgkmcnt(0)
	v_mul_f64 v[188:189], v[4:5], v[186:187]
	s_delay_alu instid0(VALU_DEP_1) | instskip(SKIP_1) | instid1(VALU_DEP_1)
	v_fma_f64 v[188:189], v[2:3], v[184:185], -v[188:189]
	v_mul_f64 v[2:3], v[2:3], v[186:187]
	v_fma_f64 v[190:191], v[4:5], v[184:185], v[2:3]
	scratch_load_b128 v[2:5], off, s6
	s_waitcnt vmcnt(0)
	v_add_f64 v[2:3], v[2:3], -v[188:189]
	v_add_f64 v[4:5], v[4:5], -v[190:191]
	scratch_store_b128 off, v[2:5], s6
	ds_load_2addr_b64 v[2:5], v7 offset0:4 offset1:5
	s_add_i32 s6, s5, 0x300
	s_waitcnt lgkmcnt(0)
	v_mul_f64 v[188:189], v[4:5], v[186:187]
	s_delay_alu instid0(VALU_DEP_1) | instskip(SKIP_1) | instid1(VALU_DEP_1)
	v_fma_f64 v[188:189], v[2:3], v[184:185], -v[188:189]
	v_mul_f64 v[2:3], v[2:3], v[186:187]
	v_fma_f64 v[190:191], v[4:5], v[184:185], v[2:3]
	scratch_load_b128 v[2:5], off, s6
	s_waitcnt vmcnt(0)
	v_add_f64 v[2:3], v[2:3], -v[188:189]
	v_add_f64 v[4:5], v[4:5], -v[190:191]
	scratch_store_b128 off, v[2:5], s6
	ds_load_2addr_b64 v[2:5], v7 offset0:6 offset1:7
	s_add_i32 s6, s5, 0x310
	s_waitcnt lgkmcnt(0)
	v_mul_f64 v[188:189], v[4:5], v[186:187]
	s_delay_alu instid0(VALU_DEP_1) | instskip(SKIP_1) | instid1(VALU_DEP_1)
	v_fma_f64 v[188:189], v[2:3], v[184:185], -v[188:189]
	v_mul_f64 v[2:3], v[2:3], v[186:187]
	v_fma_f64 v[190:191], v[4:5], v[184:185], v[2:3]
	scratch_load_b128 v[2:5], off, s6
	s_waitcnt vmcnt(0)
	v_add_f64 v[2:3], v[2:3], -v[188:189]
	v_add_f64 v[4:5], v[4:5], -v[190:191]
	scratch_store_b128 off, v[2:5], s6
	ds_load_2addr_b64 v[2:5], v7 offset0:8 offset1:9
	s_add_i32 s6, s5, 0x320
	s_addk_i32 s5, 0x330
	s_cmpk_lg_i32 s4, 0x120
	s_waitcnt lgkmcnt(0)
	v_mul_f64 v[188:189], v[4:5], v[186:187]
	s_delay_alu instid0(VALU_DEP_1) | instskip(SKIP_1) | instid1(VALU_DEP_1)
	v_fma_f64 v[188:189], v[2:3], v[184:185], -v[188:189]
	v_mul_f64 v[2:3], v[2:3], v[186:187]
	v_fma_f64 v[190:191], v[4:5], v[184:185], v[2:3]
	scratch_load_b128 v[2:5], off, s6
	s_waitcnt vmcnt(0)
	v_add_f64 v[2:3], v[2:3], -v[188:189]
	v_add_f64 v[4:5], v[4:5], -v[190:191]
	scratch_store_b128 off, v[2:5], s6
	ds_load_2addr_b64 v[2:5], v7 offset0:10 offset1:11
	s_waitcnt lgkmcnt(0)
	v_mul_f64 v[188:189], v[4:5], v[186:187]
	s_delay_alu instid0(VALU_DEP_1) | instskip(SKIP_1) | instid1(VALU_DEP_1)
	v_fma_f64 v[188:189], v[2:3], v[184:185], -v[188:189]
	v_mul_f64 v[2:3], v[2:3], v[186:187]
	v_fma_f64 v[190:191], v[4:5], v[184:185], v[2:3]
	scratch_load_b128 v[2:5], off, s5
	s_waitcnt vmcnt(0)
	v_add_f64 v[2:3], v[2:3], -v[188:189]
	v_add_f64 v[4:5], v[4:5], -v[190:191]
	scratch_store_b128 off, v[2:5], s5
	s_cbranch_scc1 .LBB127_550
.LBB127_551:
	s_or_b32 exec_lo, exec_lo, s3
	s_delay_alu instid0(SALU_CYCLE_1)
	s_mov_b32 s4, exec_lo
	s_waitcnt lgkmcnt(0)
	s_waitcnt_vscnt null, 0x0
	s_barrier
	buffer_gl0_inv
	v_cmpx_eq_u32_e32 46, v254
	s_cbranch_execz .LBB127_558
; %bb.552:
	scratch_load_b32 v0, off, off offset:1096 ; 4-byte Folded Reload
	s_waitcnt vmcnt(0)
	scratch_load_b128 v[0:3], v0, off
	scratch_load_b32 v4, off, off offset:1024 ; 4-byte Folded Reload
	s_waitcnt vmcnt(0)
	ds_store_2addr_b64 v4, v[0:1], v[2:3] offset1:1
	scratch_load_b32 v0, off, off offset:1092 ; 4-byte Folded Reload
	s_waitcnt vmcnt(0)
	scratch_load_b128 v[0:3], v0, off
	s_waitcnt vmcnt(0)
	ds_store_2addr_b64 v6, v[0:1], v[2:3] offset0:94 offset1:95
	scratch_load_b32 v0, off, off offset:1088 ; 4-byte Folded Reload
	s_waitcnt vmcnt(0)
	scratch_load_b128 v[0:3], v0, off
	s_waitcnt vmcnt(0)
	ds_store_2addr_b64 v6, v[0:1], v[2:3] offset0:96 offset1:97
	;; [unrolled: 5-line block ×17, first 2 shown]
	ds_load_2addr_b64 v[184:187], v4 offset1:1
	s_waitcnt lgkmcnt(0)
	v_cmp_neq_f64_e32 vcc_lo, 0, v[184:185]
	v_cmp_neq_f64_e64 s3, 0, v[186:187]
	s_delay_alu instid0(VALU_DEP_1) | instskip(NEXT) | instid1(SALU_CYCLE_1)
	s_or_b32 s3, vcc_lo, s3
	s_and_b32 exec_lo, exec_lo, s3
	s_cbranch_execz .LBB127_558
; %bb.553:
	v_cmp_gt_f64_e32 vcc_lo, 0, v[184:185]
	v_xor_b32_e32 v0, 0x80000000, v185
	v_xor_b32_e32 v2, 0x80000000, v187
	s_mov_b32 s3, exec_lo
                                        ; implicit-def: $vgpr4_vgpr5
	s_delay_alu instid0(VALU_DEP_2) | instskip(SKIP_4) | instid1(VALU_DEP_1)
	v_cndmask_b32_e32 v1, v185, v0, vcc_lo
	v_cndmask_b32_e32 v0, v184, v184, vcc_lo
	v_cmp_gt_f64_e32 vcc_lo, 0, v[186:187]
	v_cndmask_b32_e32 v3, v187, v2, vcc_lo
	v_cndmask_b32_e32 v2, v186, v186, vcc_lo
	v_cmpx_ngt_f64_e32 v[0:1], v[2:3]
	s_xor_b32 s3, exec_lo, s3
                                        ; implicit-def: $vgpr0_vgpr1_vgpr2_vgpr3
	s_cbranch_execz .LBB127_555
; %bb.554:
	v_div_scale_f64 v[0:1], null, v[186:187], v[186:187], v[184:185]
	v_div_scale_f64 v[188:189], vcc_lo, v[184:185], v[186:187], v[184:185]
	s_delay_alu instid0(VALU_DEP_2) | instskip(SKIP_2) | instid1(VALU_DEP_1)
	v_rcp_f64_e32 v[2:3], v[0:1]
	s_waitcnt_depctr 0xfff
	v_fma_f64 v[4:5], -v[0:1], v[2:3], 1.0
	v_fma_f64 v[2:3], v[2:3], v[4:5], v[2:3]
	s_delay_alu instid0(VALU_DEP_1) | instskip(NEXT) | instid1(VALU_DEP_1)
	v_fma_f64 v[4:5], -v[0:1], v[2:3], 1.0
	v_fma_f64 v[2:3], v[2:3], v[4:5], v[2:3]
	s_delay_alu instid0(VALU_DEP_1) | instskip(NEXT) | instid1(VALU_DEP_1)
	v_mul_f64 v[4:5], v[188:189], v[2:3]
	v_fma_f64 v[0:1], -v[0:1], v[4:5], v[188:189]
	s_delay_alu instid0(VALU_DEP_1) | instskip(NEXT) | instid1(VALU_DEP_1)
	v_div_fmas_f64 v[0:1], v[0:1], v[2:3], v[4:5]
	v_div_fixup_f64 v[0:1], v[0:1], v[186:187], v[184:185]
	s_delay_alu instid0(VALU_DEP_1) | instskip(NEXT) | instid1(VALU_DEP_1)
	v_fma_f64 v[2:3], v[184:185], v[0:1], v[186:187]
	v_div_scale_f64 v[4:5], null, v[2:3], v[2:3], 1.0
	s_delay_alu instid0(VALU_DEP_1) | instskip(SKIP_2) | instid1(VALU_DEP_1)
	v_rcp_f64_e32 v[184:185], v[4:5]
	s_waitcnt_depctr 0xfff
	v_fma_f64 v[186:187], -v[4:5], v[184:185], 1.0
	v_fma_f64 v[184:185], v[184:185], v[186:187], v[184:185]
	s_delay_alu instid0(VALU_DEP_1) | instskip(NEXT) | instid1(VALU_DEP_1)
	v_fma_f64 v[186:187], -v[4:5], v[184:185], 1.0
	v_fma_f64 v[184:185], v[184:185], v[186:187], v[184:185]
	v_div_scale_f64 v[186:187], vcc_lo, 1.0, v[2:3], 1.0
	s_delay_alu instid0(VALU_DEP_1) | instskip(NEXT) | instid1(VALU_DEP_1)
	v_mul_f64 v[188:189], v[186:187], v[184:185]
	v_fma_f64 v[4:5], -v[4:5], v[188:189], v[186:187]
	s_delay_alu instid0(VALU_DEP_1) | instskip(NEXT) | instid1(VALU_DEP_1)
	v_div_fmas_f64 v[4:5], v[4:5], v[184:185], v[188:189]
                                        ; implicit-def: $vgpr184_vgpr185
	v_div_fixup_f64 v[2:3], v[4:5], v[2:3], 1.0
	s_delay_alu instid0(VALU_DEP_1)
	v_mul_f64 v[4:5], v[0:1], v[2:3]
	v_xor_b32_e32 v3, 0x80000000, v3
.LBB127_555:
	s_and_not1_saveexec_b32 s3, s3
	s_cbranch_execz .LBB127_557
; %bb.556:
	v_div_scale_f64 v[0:1], null, v[184:185], v[184:185], v[186:187]
	v_div_scale_f64 v[188:189], vcc_lo, v[186:187], v[184:185], v[186:187]
	s_delay_alu instid0(VALU_DEP_2) | instskip(SKIP_2) | instid1(VALU_DEP_1)
	v_rcp_f64_e32 v[2:3], v[0:1]
	s_waitcnt_depctr 0xfff
	v_fma_f64 v[4:5], -v[0:1], v[2:3], 1.0
	v_fma_f64 v[2:3], v[2:3], v[4:5], v[2:3]
	s_delay_alu instid0(VALU_DEP_1) | instskip(NEXT) | instid1(VALU_DEP_1)
	v_fma_f64 v[4:5], -v[0:1], v[2:3], 1.0
	v_fma_f64 v[2:3], v[2:3], v[4:5], v[2:3]
	s_delay_alu instid0(VALU_DEP_1) | instskip(NEXT) | instid1(VALU_DEP_1)
	v_mul_f64 v[4:5], v[188:189], v[2:3]
	v_fma_f64 v[0:1], -v[0:1], v[4:5], v[188:189]
	s_delay_alu instid0(VALU_DEP_1) | instskip(NEXT) | instid1(VALU_DEP_1)
	v_div_fmas_f64 v[0:1], v[0:1], v[2:3], v[4:5]
	v_div_fixup_f64 v[0:1], v[0:1], v[184:185], v[186:187]
	s_delay_alu instid0(VALU_DEP_1) | instskip(NEXT) | instid1(VALU_DEP_1)
	v_fma_f64 v[2:3], v[186:187], v[0:1], v[184:185]
	v_div_scale_f64 v[4:5], null, v[2:3], v[2:3], 1.0
	s_delay_alu instid0(VALU_DEP_1) | instskip(SKIP_2) | instid1(VALU_DEP_1)
	v_rcp_f64_e32 v[184:185], v[4:5]
	s_waitcnt_depctr 0xfff
	v_fma_f64 v[186:187], -v[4:5], v[184:185], 1.0
	v_fma_f64 v[184:185], v[184:185], v[186:187], v[184:185]
	s_delay_alu instid0(VALU_DEP_1) | instskip(NEXT) | instid1(VALU_DEP_1)
	v_fma_f64 v[186:187], -v[4:5], v[184:185], 1.0
	v_fma_f64 v[184:185], v[184:185], v[186:187], v[184:185]
	v_div_scale_f64 v[186:187], vcc_lo, 1.0, v[2:3], 1.0
	s_delay_alu instid0(VALU_DEP_1) | instskip(NEXT) | instid1(VALU_DEP_1)
	v_mul_f64 v[188:189], v[186:187], v[184:185]
	v_fma_f64 v[4:5], -v[4:5], v[188:189], v[186:187]
	s_delay_alu instid0(VALU_DEP_1) | instskip(NEXT) | instid1(VALU_DEP_1)
	v_div_fmas_f64 v[4:5], v[4:5], v[184:185], v[188:189]
	v_div_fixup_f64 v[4:5], v[4:5], v[2:3], 1.0
	s_delay_alu instid0(VALU_DEP_1)
	v_mul_f64 v[2:3], v[0:1], -v[4:5]
.LBB127_557:
	s_or_b32 exec_lo, exec_lo, s3
	scratch_load_b32 v0, off, off offset:1024 ; 4-byte Folded Reload
	s_waitcnt vmcnt(0)
	ds_store_2addr_b64 v0, v[4:5], v[2:3] offset1:1
.LBB127_558:
	s_or_b32 exec_lo, exec_lo, s4
	s_waitcnt lgkmcnt(0)
	s_barrier
	buffer_gl0_inv
	scratch_load_b32 v0, off, off offset:1024 ; 4-byte Folded Reload
	s_mov_b32 s3, exec_lo
	s_waitcnt vmcnt(0)
	ds_load_2addr_b64 v[184:187], v0 offset1:1
	v_cmpx_lt_u32_e32 46, v254
	s_cbranch_execz .LBB127_560
; %bb.559:
	scratch_load_b128 v[0:3], off, off offset:736
	s_waitcnt vmcnt(0) lgkmcnt(0)
	v_mul_f64 v[4:5], v[186:187], v[2:3]
	v_mul_f64 v[2:3], v[184:185], v[2:3]
	s_delay_alu instid0(VALU_DEP_2) | instskip(NEXT) | instid1(VALU_DEP_2)
	v_fma_f64 v[188:189], v[184:185], v[0:1], -v[4:5]
	v_fma_f64 v[190:191], v[186:187], v[0:1], v[2:3]
	ds_load_2addr_b64 v[0:3], v6 offset0:94 offset1:95
	s_waitcnt lgkmcnt(0)
	v_mul_f64 v[4:5], v[2:3], v[190:191]
	s_delay_alu instid0(VALU_DEP_1) | instskip(SKIP_1) | instid1(VALU_DEP_1)
	v_fma_f64 v[4:5], v[0:1], v[188:189], -v[4:5]
	v_mul_f64 v[0:1], v[0:1], v[190:191]
	v_fma_f64 v[192:193], v[2:3], v[188:189], v[0:1]
	scratch_load_b128 v[0:3], off, off offset:752
	s_waitcnt vmcnt(0)
	v_add_f64 v[0:1], v[0:1], -v[4:5]
	v_add_f64 v[2:3], v[2:3], -v[192:193]
	s_clause 0x1
	scratch_store_b128 off, v[188:191], off offset:736
	scratch_store_b128 off, v[0:3], off offset:752
	ds_load_2addr_b64 v[0:3], v6 offset0:96 offset1:97
	s_waitcnt lgkmcnt(0)
	v_mul_f64 v[4:5], v[2:3], v[190:191]
	s_delay_alu instid0(VALU_DEP_1) | instskip(SKIP_1) | instid1(VALU_DEP_1)
	v_fma_f64 v[4:5], v[0:1], v[188:189], -v[4:5]
	v_mul_f64 v[0:1], v[0:1], v[190:191]
	v_fma_f64 v[192:193], v[2:3], v[188:189], v[0:1]
	scratch_load_b128 v[0:3], off, off offset:768
	s_waitcnt vmcnt(0)
	v_add_f64 v[0:1], v[0:1], -v[4:5]
	v_add_f64 v[2:3], v[2:3], -v[192:193]
	scratch_store_b128 off, v[0:3], off offset:768
	ds_load_2addr_b64 v[0:3], v6 offset0:98 offset1:99
	s_waitcnt lgkmcnt(0)
	v_mul_f64 v[4:5], v[2:3], v[190:191]
	s_delay_alu instid0(VALU_DEP_1) | instskip(SKIP_1) | instid1(VALU_DEP_1)
	v_fma_f64 v[4:5], v[0:1], v[188:189], -v[4:5]
	v_mul_f64 v[0:1], v[0:1], v[190:191]
	v_fma_f64 v[192:193], v[2:3], v[188:189], v[0:1]
	scratch_load_b128 v[0:3], off, off offset:784
	s_waitcnt vmcnt(0)
	v_add_f64 v[0:1], v[0:1], -v[4:5]
	v_add_f64 v[2:3], v[2:3], -v[192:193]
	;; [unrolled: 12-line block ×5, first 2 shown]
	scratch_store_b128 off, v[0:3], off offset:832
	ds_load_2addr_b64 v[0:3], v6 offset0:106 offset1:107
	s_clause 0x1
	scratch_load_b64 v[4:5], off, off offset:736
	scratch_load_b128 v[188:191], off, off offset:736
	s_waitcnt vmcnt(0) lgkmcnt(0)
	v_mul_f64 v[192:193], v[2:3], v[190:191]
	s_delay_alu instid0(VALU_DEP_1) | instskip(SKIP_1) | instid1(VALU_DEP_1)
	v_fma_f64 v[192:193], v[0:1], v[4:5], -v[192:193]
	v_mul_f64 v[0:1], v[0:1], v[190:191]
	v_fma_f64 v[194:195], v[2:3], v[4:5], v[0:1]
	scratch_load_b128 v[0:3], off, off offset:848
	s_waitcnt vmcnt(0)
	v_add_f64 v[0:1], v[0:1], -v[192:193]
	v_add_f64 v[2:3], v[2:3], -v[194:195]
	scratch_store_b128 off, v[0:3], off offset:848
	ds_load_2addr_b64 v[0:3], v6 offset0:108 offset1:109
	s_waitcnt lgkmcnt(0)
	v_mul_f64 v[192:193], v[2:3], v[190:191]
	s_delay_alu instid0(VALU_DEP_1) | instskip(SKIP_1) | instid1(VALU_DEP_1)
	v_fma_f64 v[192:193], v[0:1], v[4:5], -v[192:193]
	v_mul_f64 v[0:1], v[0:1], v[190:191]
	v_fma_f64 v[194:195], v[2:3], v[4:5], v[0:1]
	scratch_load_b128 v[0:3], off, off offset:864
	s_waitcnt vmcnt(0)
	v_add_f64 v[0:1], v[0:1], -v[192:193]
	v_add_f64 v[2:3], v[2:3], -v[194:195]
	scratch_store_b128 off, v[0:3], off offset:864
	ds_load_2addr_b64 v[0:3], v6 offset0:110 offset1:111
	s_waitcnt lgkmcnt(0)
	;; [unrolled: 12-line block ×5, first 2 shown]
	v_mul_f64 v[192:193], v[2:3], v[190:191]
	s_delay_alu instid0(VALU_DEP_1) | instskip(SKIP_1) | instid1(VALU_DEP_1)
	v_fma_f64 v[192:193], v[0:1], v[4:5], -v[192:193]
	v_mul_f64 v[0:1], v[0:1], v[190:191]
	v_fma_f64 v[4:5], v[2:3], v[4:5], v[0:1]
	scratch_load_b128 v[0:3], off, off offset:928
	s_waitcnt vmcnt(0)
	v_add_f64 v[2:3], v[2:3], -v[4:5]
	scratch_load_b64 v[4:5], off, off offset:744
	v_add_f64 v[0:1], v[0:1], -v[192:193]
	scratch_store_b128 off, v[0:3], off offset:928
	ds_load_2addr_b64 v[0:3], v6 offset0:118 offset1:119
	s_waitcnt vmcnt(0) lgkmcnt(0)
	v_mul_f64 v[190:191], v[2:3], v[4:5]
	s_delay_alu instid0(VALU_DEP_1) | instskip(SKIP_1) | instid1(VALU_DEP_1)
	v_fma_f64 v[190:191], v[0:1], v[188:189], -v[190:191]
	v_mul_f64 v[0:1], v[0:1], v[4:5]
	v_fma_f64 v[192:193], v[2:3], v[188:189], v[0:1]
	scratch_load_b128 v[0:3], off, off offset:944
	s_waitcnt vmcnt(0)
	v_add_f64 v[0:1], v[0:1], -v[190:191]
	v_add_f64 v[2:3], v[2:3], -v[192:193]
	scratch_store_b128 off, v[0:3], off offset:944
	ds_load_2addr_b64 v[0:3], v6 offset0:120 offset1:121
	s_waitcnt lgkmcnt(0)
	v_mul_f64 v[190:191], v[2:3], v[4:5]
	s_delay_alu instid0(VALU_DEP_1) | instskip(SKIP_1) | instid1(VALU_DEP_1)
	v_fma_f64 v[190:191], v[0:1], v[188:189], -v[190:191]
	v_mul_f64 v[0:1], v[0:1], v[4:5]
	v_fma_f64 v[192:193], v[2:3], v[188:189], v[0:1]
	scratch_load_b128 v[0:3], off, off offset:960
	s_waitcnt vmcnt(0)
	v_add_f64 v[0:1], v[0:1], -v[190:191]
	v_add_f64 v[2:3], v[2:3], -v[192:193]
	scratch_store_b128 off, v[0:3], off offset:960
	ds_load_2addr_b64 v[0:3], v6 offset0:122 offset1:123
	s_waitcnt lgkmcnt(0)
	;; [unrolled: 12-line block ×4, first 2 shown]
	v_mul_f64 v[190:191], v[2:3], v[4:5]
	s_delay_alu instid0(VALU_DEP_1) | instskip(SKIP_1) | instid1(VALU_DEP_1)
	v_fma_f64 v[190:191], v[0:1], v[188:189], -v[190:191]
	v_mul_f64 v[0:1], v[0:1], v[4:5]
	v_fma_f64 v[4:5], v[2:3], v[188:189], v[0:1]
	scratch_load_b128 v[0:3], off, off offset:1008
	s_waitcnt vmcnt(0)
	v_add_f64 v[0:1], v[0:1], -v[190:191]
	v_add_f64 v[2:3], v[2:3], -v[4:5]
	scratch_store_b128 off, v[0:3], off offset:1008
.LBB127_560:
	s_or_b32 exec_lo, exec_lo, s3
	s_delay_alu instid0(SALU_CYCLE_1)
	s_mov_b32 s4, exec_lo
	s_waitcnt lgkmcnt(0)
	s_waitcnt_vscnt null, 0x0
	s_barrier
	buffer_gl0_inv
	v_cmpx_eq_u32_e32 47, v254
	s_cbranch_execz .LBB127_567
; %bb.561:
	scratch_load_b32 v0, off, off offset:1092 ; 4-byte Folded Reload
	s_waitcnt vmcnt(0)
	scratch_load_b128 v[0:3], v0, off
	scratch_load_b32 v4, off, off offset:1024 ; 4-byte Folded Reload
	s_waitcnt vmcnt(0)
	ds_store_2addr_b64 v4, v[0:1], v[2:3] offset1:1
	scratch_load_b32 v0, off, off offset:1088 ; 4-byte Folded Reload
	s_waitcnt vmcnt(0)
	scratch_load_b128 v[0:3], v0, off
	s_waitcnt vmcnt(0)
	ds_store_2addr_b64 v6, v[0:1], v[2:3] offset0:96 offset1:97
	scratch_load_b32 v0, off, off offset:1084 ; 4-byte Folded Reload
	s_waitcnt vmcnt(0)
	scratch_load_b128 v[0:3], v0, off
	s_waitcnt vmcnt(0)
	ds_store_2addr_b64 v6, v[0:1], v[2:3] offset0:98 offset1:99
	;; [unrolled: 5-line block ×16, first 2 shown]
	ds_load_2addr_b64 v[188:191], v4 offset1:1
	s_waitcnt lgkmcnt(0)
	v_cmp_neq_f64_e32 vcc_lo, 0, v[188:189]
	v_cmp_neq_f64_e64 s3, 0, v[190:191]
	s_delay_alu instid0(VALU_DEP_1) | instskip(NEXT) | instid1(SALU_CYCLE_1)
	s_or_b32 s3, vcc_lo, s3
	s_and_b32 exec_lo, exec_lo, s3
	s_cbranch_execz .LBB127_567
; %bb.562:
	v_cmp_gt_f64_e32 vcc_lo, 0, v[188:189]
	v_xor_b32_e32 v0, 0x80000000, v189
	v_xor_b32_e32 v2, 0x80000000, v191
	s_mov_b32 s3, exec_lo
                                        ; implicit-def: $vgpr4_vgpr5
	s_delay_alu instid0(VALU_DEP_2) | instskip(SKIP_4) | instid1(VALU_DEP_1)
	v_cndmask_b32_e32 v1, v189, v0, vcc_lo
	v_cndmask_b32_e32 v0, v188, v188, vcc_lo
	v_cmp_gt_f64_e32 vcc_lo, 0, v[190:191]
	v_cndmask_b32_e32 v3, v191, v2, vcc_lo
	v_cndmask_b32_e32 v2, v190, v190, vcc_lo
	v_cmpx_ngt_f64_e32 v[0:1], v[2:3]
	s_xor_b32 s3, exec_lo, s3
                                        ; implicit-def: $vgpr0_vgpr1_vgpr2_vgpr3
	s_cbranch_execz .LBB127_564
; %bb.563:
	v_div_scale_f64 v[0:1], null, v[190:191], v[190:191], v[188:189]
	v_div_scale_f64 v[192:193], vcc_lo, v[188:189], v[190:191], v[188:189]
	s_delay_alu instid0(VALU_DEP_2) | instskip(SKIP_2) | instid1(VALU_DEP_1)
	v_rcp_f64_e32 v[2:3], v[0:1]
	s_waitcnt_depctr 0xfff
	v_fma_f64 v[4:5], -v[0:1], v[2:3], 1.0
	v_fma_f64 v[2:3], v[2:3], v[4:5], v[2:3]
	s_delay_alu instid0(VALU_DEP_1) | instskip(NEXT) | instid1(VALU_DEP_1)
	v_fma_f64 v[4:5], -v[0:1], v[2:3], 1.0
	v_fma_f64 v[2:3], v[2:3], v[4:5], v[2:3]
	s_delay_alu instid0(VALU_DEP_1) | instskip(NEXT) | instid1(VALU_DEP_1)
	v_mul_f64 v[4:5], v[192:193], v[2:3]
	v_fma_f64 v[0:1], -v[0:1], v[4:5], v[192:193]
	s_delay_alu instid0(VALU_DEP_1) | instskip(NEXT) | instid1(VALU_DEP_1)
	v_div_fmas_f64 v[0:1], v[0:1], v[2:3], v[4:5]
	v_div_fixup_f64 v[0:1], v[0:1], v[190:191], v[188:189]
	s_delay_alu instid0(VALU_DEP_1) | instskip(NEXT) | instid1(VALU_DEP_1)
	v_fma_f64 v[2:3], v[188:189], v[0:1], v[190:191]
	v_div_scale_f64 v[4:5], null, v[2:3], v[2:3], 1.0
	s_delay_alu instid0(VALU_DEP_1) | instskip(SKIP_2) | instid1(VALU_DEP_1)
	v_rcp_f64_e32 v[188:189], v[4:5]
	s_waitcnt_depctr 0xfff
	v_fma_f64 v[190:191], -v[4:5], v[188:189], 1.0
	v_fma_f64 v[188:189], v[188:189], v[190:191], v[188:189]
	s_delay_alu instid0(VALU_DEP_1) | instskip(NEXT) | instid1(VALU_DEP_1)
	v_fma_f64 v[190:191], -v[4:5], v[188:189], 1.0
	v_fma_f64 v[188:189], v[188:189], v[190:191], v[188:189]
	v_div_scale_f64 v[190:191], vcc_lo, 1.0, v[2:3], 1.0
	s_delay_alu instid0(VALU_DEP_1) | instskip(NEXT) | instid1(VALU_DEP_1)
	v_mul_f64 v[192:193], v[190:191], v[188:189]
	v_fma_f64 v[4:5], -v[4:5], v[192:193], v[190:191]
	s_delay_alu instid0(VALU_DEP_1) | instskip(NEXT) | instid1(VALU_DEP_1)
	v_div_fmas_f64 v[4:5], v[4:5], v[188:189], v[192:193]
                                        ; implicit-def: $vgpr188_vgpr189
	v_div_fixup_f64 v[2:3], v[4:5], v[2:3], 1.0
	s_delay_alu instid0(VALU_DEP_1)
	v_mul_f64 v[4:5], v[0:1], v[2:3]
	v_xor_b32_e32 v3, 0x80000000, v3
.LBB127_564:
	s_and_not1_saveexec_b32 s3, s3
	s_cbranch_execz .LBB127_566
; %bb.565:
	v_div_scale_f64 v[0:1], null, v[188:189], v[188:189], v[190:191]
	v_div_scale_f64 v[192:193], vcc_lo, v[190:191], v[188:189], v[190:191]
	s_delay_alu instid0(VALU_DEP_2) | instskip(SKIP_2) | instid1(VALU_DEP_1)
	v_rcp_f64_e32 v[2:3], v[0:1]
	s_waitcnt_depctr 0xfff
	v_fma_f64 v[4:5], -v[0:1], v[2:3], 1.0
	v_fma_f64 v[2:3], v[2:3], v[4:5], v[2:3]
	s_delay_alu instid0(VALU_DEP_1) | instskip(NEXT) | instid1(VALU_DEP_1)
	v_fma_f64 v[4:5], -v[0:1], v[2:3], 1.0
	v_fma_f64 v[2:3], v[2:3], v[4:5], v[2:3]
	s_delay_alu instid0(VALU_DEP_1) | instskip(NEXT) | instid1(VALU_DEP_1)
	v_mul_f64 v[4:5], v[192:193], v[2:3]
	v_fma_f64 v[0:1], -v[0:1], v[4:5], v[192:193]
	s_delay_alu instid0(VALU_DEP_1) | instskip(NEXT) | instid1(VALU_DEP_1)
	v_div_fmas_f64 v[0:1], v[0:1], v[2:3], v[4:5]
	v_div_fixup_f64 v[0:1], v[0:1], v[188:189], v[190:191]
	s_delay_alu instid0(VALU_DEP_1) | instskip(NEXT) | instid1(VALU_DEP_1)
	v_fma_f64 v[2:3], v[190:191], v[0:1], v[188:189]
	v_div_scale_f64 v[4:5], null, v[2:3], v[2:3], 1.0
	s_delay_alu instid0(VALU_DEP_1) | instskip(SKIP_2) | instid1(VALU_DEP_1)
	v_rcp_f64_e32 v[188:189], v[4:5]
	s_waitcnt_depctr 0xfff
	v_fma_f64 v[190:191], -v[4:5], v[188:189], 1.0
	v_fma_f64 v[188:189], v[188:189], v[190:191], v[188:189]
	s_delay_alu instid0(VALU_DEP_1) | instskip(NEXT) | instid1(VALU_DEP_1)
	v_fma_f64 v[190:191], -v[4:5], v[188:189], 1.0
	v_fma_f64 v[188:189], v[188:189], v[190:191], v[188:189]
	v_div_scale_f64 v[190:191], vcc_lo, 1.0, v[2:3], 1.0
	s_delay_alu instid0(VALU_DEP_1) | instskip(NEXT) | instid1(VALU_DEP_1)
	v_mul_f64 v[192:193], v[190:191], v[188:189]
	v_fma_f64 v[4:5], -v[4:5], v[192:193], v[190:191]
	s_delay_alu instid0(VALU_DEP_1) | instskip(NEXT) | instid1(VALU_DEP_1)
	v_div_fmas_f64 v[4:5], v[4:5], v[188:189], v[192:193]
	v_div_fixup_f64 v[4:5], v[4:5], v[2:3], 1.0
	s_delay_alu instid0(VALU_DEP_1)
	v_mul_f64 v[2:3], v[0:1], -v[4:5]
.LBB127_566:
	s_or_b32 exec_lo, exec_lo, s3
	scratch_load_b32 v0, off, off offset:1024 ; 4-byte Folded Reload
	s_waitcnt vmcnt(0)
	ds_store_2addr_b64 v0, v[4:5], v[2:3] offset1:1
.LBB127_567:
	s_or_b32 exec_lo, exec_lo, s4
	s_waitcnt lgkmcnt(0)
	s_barrier
	buffer_gl0_inv
	scratch_load_b32 v0, off, off offset:1024 ; 4-byte Folded Reload
	s_mov_b32 s3, exec_lo
	s_waitcnt vmcnt(0)
	ds_load_2addr_b64 v[188:191], v0 offset1:1
	v_cmpx_lt_u32_e32 47, v254
	s_cbranch_execz .LBB127_569
; %bb.568:
	scratch_load_b128 v[0:3], off, off offset:752
	s_waitcnt vmcnt(0) lgkmcnt(0)
	v_mul_f64 v[4:5], v[190:191], v[2:3]
	v_mul_f64 v[2:3], v[188:189], v[2:3]
	s_delay_alu instid0(VALU_DEP_2) | instskip(NEXT) | instid1(VALU_DEP_2)
	v_fma_f64 v[192:193], v[188:189], v[0:1], -v[4:5]
	v_fma_f64 v[194:195], v[190:191], v[0:1], v[2:3]
	ds_load_2addr_b64 v[0:3], v6 offset0:96 offset1:97
	s_waitcnt lgkmcnt(0)
	v_mul_f64 v[4:5], v[2:3], v[194:195]
	s_delay_alu instid0(VALU_DEP_1) | instskip(SKIP_1) | instid1(VALU_DEP_1)
	v_fma_f64 v[4:5], v[0:1], v[192:193], -v[4:5]
	v_mul_f64 v[0:1], v[0:1], v[194:195]
	v_fma_f64 v[196:197], v[2:3], v[192:193], v[0:1]
	scratch_load_b128 v[0:3], off, off offset:768
	s_waitcnt vmcnt(0)
	v_add_f64 v[0:1], v[0:1], -v[4:5]
	v_add_f64 v[2:3], v[2:3], -v[196:197]
	s_clause 0x1
	scratch_store_b128 off, v[192:195], off offset:752
	scratch_store_b128 off, v[0:3], off offset:768
	ds_load_2addr_b64 v[0:3], v6 offset0:98 offset1:99
	s_waitcnt lgkmcnt(0)
	v_mul_f64 v[4:5], v[2:3], v[194:195]
	s_delay_alu instid0(VALU_DEP_1) | instskip(SKIP_1) | instid1(VALU_DEP_1)
	v_fma_f64 v[4:5], v[0:1], v[192:193], -v[4:5]
	v_mul_f64 v[0:1], v[0:1], v[194:195]
	v_fma_f64 v[196:197], v[2:3], v[192:193], v[0:1]
	scratch_load_b128 v[0:3], off, off offset:784
	s_waitcnt vmcnt(0)
	v_add_f64 v[0:1], v[0:1], -v[4:5]
	v_add_f64 v[2:3], v[2:3], -v[196:197]
	scratch_store_b128 off, v[0:3], off offset:784
	ds_load_2addr_b64 v[0:3], v6 offset0:100 offset1:101
	s_waitcnt lgkmcnt(0)
	v_mul_f64 v[4:5], v[2:3], v[194:195]
	s_delay_alu instid0(VALU_DEP_1) | instskip(SKIP_1) | instid1(VALU_DEP_1)
	v_fma_f64 v[4:5], v[0:1], v[192:193], -v[4:5]
	v_mul_f64 v[0:1], v[0:1], v[194:195]
	v_fma_f64 v[196:197], v[2:3], v[192:193], v[0:1]
	scratch_load_b128 v[0:3], off, off offset:800
	s_waitcnt vmcnt(0)
	v_add_f64 v[0:1], v[0:1], -v[4:5]
	v_add_f64 v[2:3], v[2:3], -v[196:197]
	;; [unrolled: 12-line block ×5, first 2 shown]
	scratch_store_b128 off, v[0:3], off offset:848
	ds_load_2addr_b64 v[0:3], v6 offset0:108 offset1:109
	s_clause 0x1
	scratch_load_b64 v[4:5], off, off offset:752
	scratch_load_b128 v[192:195], off, off offset:752
	s_waitcnt vmcnt(0) lgkmcnt(0)
	v_mul_f64 v[196:197], v[2:3], v[194:195]
	s_delay_alu instid0(VALU_DEP_1) | instskip(SKIP_1) | instid1(VALU_DEP_1)
	v_fma_f64 v[196:197], v[0:1], v[4:5], -v[196:197]
	v_mul_f64 v[0:1], v[0:1], v[194:195]
	v_fma_f64 v[198:199], v[2:3], v[4:5], v[0:1]
	scratch_load_b128 v[0:3], off, off offset:864
	s_waitcnt vmcnt(0)
	v_add_f64 v[0:1], v[0:1], -v[196:197]
	v_add_f64 v[2:3], v[2:3], -v[198:199]
	scratch_store_b128 off, v[0:3], off offset:864
	ds_load_2addr_b64 v[0:3], v6 offset0:110 offset1:111
	s_waitcnt lgkmcnt(0)
	v_mul_f64 v[196:197], v[2:3], v[194:195]
	s_delay_alu instid0(VALU_DEP_1) | instskip(SKIP_1) | instid1(VALU_DEP_1)
	v_fma_f64 v[196:197], v[0:1], v[4:5], -v[196:197]
	v_mul_f64 v[0:1], v[0:1], v[194:195]
	v_fma_f64 v[198:199], v[2:3], v[4:5], v[0:1]
	scratch_load_b128 v[0:3], off, off offset:880
	s_waitcnt vmcnt(0)
	v_add_f64 v[0:1], v[0:1], -v[196:197]
	v_add_f64 v[2:3], v[2:3], -v[198:199]
	scratch_store_b128 off, v[0:3], off offset:880
	ds_load_2addr_b64 v[0:3], v6 offset0:112 offset1:113
	s_waitcnt lgkmcnt(0)
	;; [unrolled: 12-line block ×5, first 2 shown]
	v_mul_f64 v[196:197], v[2:3], v[194:195]
	s_delay_alu instid0(VALU_DEP_1) | instskip(SKIP_1) | instid1(VALU_DEP_1)
	v_fma_f64 v[196:197], v[0:1], v[4:5], -v[196:197]
	v_mul_f64 v[0:1], v[0:1], v[194:195]
	v_fma_f64 v[4:5], v[2:3], v[4:5], v[0:1]
	scratch_load_b128 v[0:3], off, off offset:944
	s_waitcnt vmcnt(0)
	v_add_f64 v[2:3], v[2:3], -v[4:5]
	scratch_load_b64 v[4:5], off, off offset:760
	v_add_f64 v[0:1], v[0:1], -v[196:197]
	scratch_store_b128 off, v[0:3], off offset:944
	ds_load_2addr_b64 v[0:3], v6 offset0:120 offset1:121
	s_waitcnt vmcnt(0) lgkmcnt(0)
	v_mul_f64 v[194:195], v[2:3], v[4:5]
	s_delay_alu instid0(VALU_DEP_1) | instskip(SKIP_1) | instid1(VALU_DEP_1)
	v_fma_f64 v[194:195], v[0:1], v[192:193], -v[194:195]
	v_mul_f64 v[0:1], v[0:1], v[4:5]
	v_fma_f64 v[196:197], v[2:3], v[192:193], v[0:1]
	scratch_load_b128 v[0:3], off, off offset:960
	s_waitcnt vmcnt(0)
	v_add_f64 v[0:1], v[0:1], -v[194:195]
	v_add_f64 v[2:3], v[2:3], -v[196:197]
	scratch_store_b128 off, v[0:3], off offset:960
	ds_load_2addr_b64 v[0:3], v6 offset0:122 offset1:123
	s_waitcnt lgkmcnt(0)
	v_mul_f64 v[194:195], v[2:3], v[4:5]
	s_delay_alu instid0(VALU_DEP_1) | instskip(SKIP_1) | instid1(VALU_DEP_1)
	v_fma_f64 v[194:195], v[0:1], v[192:193], -v[194:195]
	v_mul_f64 v[0:1], v[0:1], v[4:5]
	v_fma_f64 v[196:197], v[2:3], v[192:193], v[0:1]
	scratch_load_b128 v[0:3], off, off offset:976
	s_waitcnt vmcnt(0)
	v_add_f64 v[0:1], v[0:1], -v[194:195]
	v_add_f64 v[2:3], v[2:3], -v[196:197]
	scratch_store_b128 off, v[0:3], off offset:976
	ds_load_2addr_b64 v[0:3], v6 offset0:124 offset1:125
	s_waitcnt lgkmcnt(0)
	;; [unrolled: 12-line block ×3, first 2 shown]
	v_mul_f64 v[194:195], v[2:3], v[4:5]
	s_delay_alu instid0(VALU_DEP_1) | instskip(SKIP_1) | instid1(VALU_DEP_1)
	v_fma_f64 v[194:195], v[0:1], v[192:193], -v[194:195]
	v_mul_f64 v[0:1], v[0:1], v[4:5]
	v_fma_f64 v[4:5], v[2:3], v[192:193], v[0:1]
	scratch_load_b128 v[0:3], off, off offset:1008
	s_waitcnt vmcnt(0)
	v_add_f64 v[0:1], v[0:1], -v[194:195]
	v_add_f64 v[2:3], v[2:3], -v[4:5]
	scratch_store_b128 off, v[0:3], off offset:1008
.LBB127_569:
	s_or_b32 exec_lo, exec_lo, s3
	s_delay_alu instid0(SALU_CYCLE_1)
	s_mov_b32 s4, exec_lo
	s_waitcnt lgkmcnt(0)
	s_waitcnt_vscnt null, 0x0
	s_barrier
	buffer_gl0_inv
	v_cmpx_eq_u32_e32 48, v254
	s_cbranch_execz .LBB127_576
; %bb.570:
	scratch_load_b32 v0, off, off offset:1088 ; 4-byte Folded Reload
	s_waitcnt vmcnt(0)
	scratch_load_b128 v[0:3], v0, off
	scratch_load_b32 v4, off, off offset:1024 ; 4-byte Folded Reload
	s_waitcnt vmcnt(0)
	ds_store_2addr_b64 v4, v[0:1], v[2:3] offset1:1
	scratch_load_b32 v0, off, off offset:1084 ; 4-byte Folded Reload
	s_waitcnt vmcnt(0)
	scratch_load_b128 v[0:3], v0, off
	s_waitcnt vmcnt(0)
	ds_store_2addr_b64 v6, v[0:1], v[2:3] offset0:98 offset1:99
	scratch_load_b32 v0, off, off offset:1080 ; 4-byte Folded Reload
	s_waitcnt vmcnt(0)
	scratch_load_b128 v[0:3], v0, off
	s_waitcnt vmcnt(0)
	ds_store_2addr_b64 v6, v[0:1], v[2:3] offset0:100 offset1:101
	;; [unrolled: 5-line block ×15, first 2 shown]
	ds_load_2addr_b64 v[192:195], v4 offset1:1
	s_waitcnt lgkmcnt(0)
	v_cmp_neq_f64_e32 vcc_lo, 0, v[192:193]
	v_cmp_neq_f64_e64 s3, 0, v[194:195]
	s_delay_alu instid0(VALU_DEP_1) | instskip(NEXT) | instid1(SALU_CYCLE_1)
	s_or_b32 s3, vcc_lo, s3
	s_and_b32 exec_lo, exec_lo, s3
	s_cbranch_execz .LBB127_576
; %bb.571:
	v_cmp_gt_f64_e32 vcc_lo, 0, v[192:193]
	v_xor_b32_e32 v0, 0x80000000, v193
	v_xor_b32_e32 v2, 0x80000000, v195
	s_mov_b32 s3, exec_lo
                                        ; implicit-def: $vgpr4_vgpr5
	s_delay_alu instid0(VALU_DEP_2) | instskip(SKIP_4) | instid1(VALU_DEP_1)
	v_cndmask_b32_e32 v1, v193, v0, vcc_lo
	v_cndmask_b32_e32 v0, v192, v192, vcc_lo
	v_cmp_gt_f64_e32 vcc_lo, 0, v[194:195]
	v_cndmask_b32_e32 v3, v195, v2, vcc_lo
	v_cndmask_b32_e32 v2, v194, v194, vcc_lo
	v_cmpx_ngt_f64_e32 v[0:1], v[2:3]
	s_xor_b32 s3, exec_lo, s3
                                        ; implicit-def: $vgpr0_vgpr1_vgpr2_vgpr3
	s_cbranch_execz .LBB127_573
; %bb.572:
	v_div_scale_f64 v[0:1], null, v[194:195], v[194:195], v[192:193]
	v_div_scale_f64 v[196:197], vcc_lo, v[192:193], v[194:195], v[192:193]
	s_delay_alu instid0(VALU_DEP_2) | instskip(SKIP_2) | instid1(VALU_DEP_1)
	v_rcp_f64_e32 v[2:3], v[0:1]
	s_waitcnt_depctr 0xfff
	v_fma_f64 v[4:5], -v[0:1], v[2:3], 1.0
	v_fma_f64 v[2:3], v[2:3], v[4:5], v[2:3]
	s_delay_alu instid0(VALU_DEP_1) | instskip(NEXT) | instid1(VALU_DEP_1)
	v_fma_f64 v[4:5], -v[0:1], v[2:3], 1.0
	v_fma_f64 v[2:3], v[2:3], v[4:5], v[2:3]
	s_delay_alu instid0(VALU_DEP_1) | instskip(NEXT) | instid1(VALU_DEP_1)
	v_mul_f64 v[4:5], v[196:197], v[2:3]
	v_fma_f64 v[0:1], -v[0:1], v[4:5], v[196:197]
	s_delay_alu instid0(VALU_DEP_1) | instskip(NEXT) | instid1(VALU_DEP_1)
	v_div_fmas_f64 v[0:1], v[0:1], v[2:3], v[4:5]
	v_div_fixup_f64 v[0:1], v[0:1], v[194:195], v[192:193]
	s_delay_alu instid0(VALU_DEP_1) | instskip(NEXT) | instid1(VALU_DEP_1)
	v_fma_f64 v[2:3], v[192:193], v[0:1], v[194:195]
	v_div_scale_f64 v[4:5], null, v[2:3], v[2:3], 1.0
	s_delay_alu instid0(VALU_DEP_1) | instskip(SKIP_2) | instid1(VALU_DEP_1)
	v_rcp_f64_e32 v[192:193], v[4:5]
	s_waitcnt_depctr 0xfff
	v_fma_f64 v[194:195], -v[4:5], v[192:193], 1.0
	v_fma_f64 v[192:193], v[192:193], v[194:195], v[192:193]
	s_delay_alu instid0(VALU_DEP_1) | instskip(NEXT) | instid1(VALU_DEP_1)
	v_fma_f64 v[194:195], -v[4:5], v[192:193], 1.0
	v_fma_f64 v[192:193], v[192:193], v[194:195], v[192:193]
	v_div_scale_f64 v[194:195], vcc_lo, 1.0, v[2:3], 1.0
	s_delay_alu instid0(VALU_DEP_1) | instskip(NEXT) | instid1(VALU_DEP_1)
	v_mul_f64 v[196:197], v[194:195], v[192:193]
	v_fma_f64 v[4:5], -v[4:5], v[196:197], v[194:195]
	s_delay_alu instid0(VALU_DEP_1) | instskip(NEXT) | instid1(VALU_DEP_1)
	v_div_fmas_f64 v[4:5], v[4:5], v[192:193], v[196:197]
                                        ; implicit-def: $vgpr192_vgpr193
	v_div_fixup_f64 v[2:3], v[4:5], v[2:3], 1.0
	s_delay_alu instid0(VALU_DEP_1)
	v_mul_f64 v[4:5], v[0:1], v[2:3]
	v_xor_b32_e32 v3, 0x80000000, v3
.LBB127_573:
	s_and_not1_saveexec_b32 s3, s3
	s_cbranch_execz .LBB127_575
; %bb.574:
	v_div_scale_f64 v[0:1], null, v[192:193], v[192:193], v[194:195]
	v_div_scale_f64 v[196:197], vcc_lo, v[194:195], v[192:193], v[194:195]
	s_delay_alu instid0(VALU_DEP_2) | instskip(SKIP_2) | instid1(VALU_DEP_1)
	v_rcp_f64_e32 v[2:3], v[0:1]
	s_waitcnt_depctr 0xfff
	v_fma_f64 v[4:5], -v[0:1], v[2:3], 1.0
	v_fma_f64 v[2:3], v[2:3], v[4:5], v[2:3]
	s_delay_alu instid0(VALU_DEP_1) | instskip(NEXT) | instid1(VALU_DEP_1)
	v_fma_f64 v[4:5], -v[0:1], v[2:3], 1.0
	v_fma_f64 v[2:3], v[2:3], v[4:5], v[2:3]
	s_delay_alu instid0(VALU_DEP_1) | instskip(NEXT) | instid1(VALU_DEP_1)
	v_mul_f64 v[4:5], v[196:197], v[2:3]
	v_fma_f64 v[0:1], -v[0:1], v[4:5], v[196:197]
	s_delay_alu instid0(VALU_DEP_1) | instskip(NEXT) | instid1(VALU_DEP_1)
	v_div_fmas_f64 v[0:1], v[0:1], v[2:3], v[4:5]
	v_div_fixup_f64 v[0:1], v[0:1], v[192:193], v[194:195]
	s_delay_alu instid0(VALU_DEP_1) | instskip(NEXT) | instid1(VALU_DEP_1)
	v_fma_f64 v[2:3], v[194:195], v[0:1], v[192:193]
	v_div_scale_f64 v[4:5], null, v[2:3], v[2:3], 1.0
	s_delay_alu instid0(VALU_DEP_1) | instskip(SKIP_2) | instid1(VALU_DEP_1)
	v_rcp_f64_e32 v[192:193], v[4:5]
	s_waitcnt_depctr 0xfff
	v_fma_f64 v[194:195], -v[4:5], v[192:193], 1.0
	v_fma_f64 v[192:193], v[192:193], v[194:195], v[192:193]
	s_delay_alu instid0(VALU_DEP_1) | instskip(NEXT) | instid1(VALU_DEP_1)
	v_fma_f64 v[194:195], -v[4:5], v[192:193], 1.0
	v_fma_f64 v[192:193], v[192:193], v[194:195], v[192:193]
	v_div_scale_f64 v[194:195], vcc_lo, 1.0, v[2:3], 1.0
	s_delay_alu instid0(VALU_DEP_1) | instskip(NEXT) | instid1(VALU_DEP_1)
	v_mul_f64 v[196:197], v[194:195], v[192:193]
	v_fma_f64 v[4:5], -v[4:5], v[196:197], v[194:195]
	s_delay_alu instid0(VALU_DEP_1) | instskip(NEXT) | instid1(VALU_DEP_1)
	v_div_fmas_f64 v[4:5], v[4:5], v[192:193], v[196:197]
	v_div_fixup_f64 v[4:5], v[4:5], v[2:3], 1.0
	s_delay_alu instid0(VALU_DEP_1)
	v_mul_f64 v[2:3], v[0:1], -v[4:5]
.LBB127_575:
	s_or_b32 exec_lo, exec_lo, s3
	scratch_load_b32 v0, off, off offset:1024 ; 4-byte Folded Reload
	s_waitcnt vmcnt(0)
	ds_store_2addr_b64 v0, v[4:5], v[2:3] offset1:1
.LBB127_576:
	s_or_b32 exec_lo, exec_lo, s4
	s_waitcnt lgkmcnt(0)
	s_barrier
	buffer_gl0_inv
	scratch_load_b32 v0, off, off offset:1024 ; 4-byte Folded Reload
	s_mov_b32 s3, exec_lo
	s_waitcnt vmcnt(0)
	ds_load_2addr_b64 v[192:195], v0 offset1:1
	v_cmpx_lt_u32_e32 48, v254
	s_cbranch_execz .LBB127_578
; %bb.577:
	scratch_load_b128 v[0:3], off, off offset:768
	s_waitcnt vmcnt(0) lgkmcnt(0)
	v_mul_f64 v[4:5], v[194:195], v[2:3]
	v_mul_f64 v[2:3], v[192:193], v[2:3]
	s_delay_alu instid0(VALU_DEP_2) | instskip(NEXT) | instid1(VALU_DEP_2)
	v_fma_f64 v[196:197], v[192:193], v[0:1], -v[4:5]
	v_fma_f64 v[198:199], v[194:195], v[0:1], v[2:3]
	ds_load_2addr_b64 v[0:3], v6 offset0:98 offset1:99
	s_waitcnt lgkmcnt(0)
	v_mul_f64 v[4:5], v[2:3], v[198:199]
	s_delay_alu instid0(VALU_DEP_1) | instskip(SKIP_1) | instid1(VALU_DEP_1)
	v_fma_f64 v[4:5], v[0:1], v[196:197], -v[4:5]
	v_mul_f64 v[0:1], v[0:1], v[198:199]
	v_fma_f64 v[200:201], v[2:3], v[196:197], v[0:1]
	scratch_load_b128 v[0:3], off, off offset:784
	s_waitcnt vmcnt(0)
	v_add_f64 v[0:1], v[0:1], -v[4:5]
	v_add_f64 v[2:3], v[2:3], -v[200:201]
	s_clause 0x1
	scratch_store_b128 off, v[196:199], off offset:768
	scratch_store_b128 off, v[0:3], off offset:784
	ds_load_2addr_b64 v[0:3], v6 offset0:100 offset1:101
	s_waitcnt lgkmcnt(0)
	v_mul_f64 v[4:5], v[2:3], v[198:199]
	s_delay_alu instid0(VALU_DEP_1) | instskip(SKIP_1) | instid1(VALU_DEP_1)
	v_fma_f64 v[4:5], v[0:1], v[196:197], -v[4:5]
	v_mul_f64 v[0:1], v[0:1], v[198:199]
	v_fma_f64 v[200:201], v[2:3], v[196:197], v[0:1]
	scratch_load_b128 v[0:3], off, off offset:800
	s_waitcnt vmcnt(0)
	v_add_f64 v[0:1], v[0:1], -v[4:5]
	v_add_f64 v[2:3], v[2:3], -v[200:201]
	scratch_store_b128 off, v[0:3], off offset:800
	ds_load_2addr_b64 v[0:3], v6 offset0:102 offset1:103
	s_waitcnt lgkmcnt(0)
	v_mul_f64 v[4:5], v[2:3], v[198:199]
	s_delay_alu instid0(VALU_DEP_1) | instskip(SKIP_1) | instid1(VALU_DEP_1)
	v_fma_f64 v[4:5], v[0:1], v[196:197], -v[4:5]
	v_mul_f64 v[0:1], v[0:1], v[198:199]
	v_fma_f64 v[200:201], v[2:3], v[196:197], v[0:1]
	scratch_load_b128 v[0:3], off, off offset:816
	s_waitcnt vmcnt(0)
	v_add_f64 v[0:1], v[0:1], -v[4:5]
	v_add_f64 v[2:3], v[2:3], -v[200:201]
	;; [unrolled: 12-line block ×5, first 2 shown]
	scratch_store_b128 off, v[0:3], off offset:864
	ds_load_2addr_b64 v[0:3], v6 offset0:110 offset1:111
	s_clause 0x1
	scratch_load_b64 v[4:5], off, off offset:768
	scratch_load_b128 v[196:199], off, off offset:768
	s_waitcnt vmcnt(0) lgkmcnt(0)
	v_mul_f64 v[200:201], v[2:3], v[198:199]
	s_delay_alu instid0(VALU_DEP_1) | instskip(SKIP_1) | instid1(VALU_DEP_1)
	v_fma_f64 v[200:201], v[0:1], v[4:5], -v[200:201]
	v_mul_f64 v[0:1], v[0:1], v[198:199]
	v_fma_f64 v[202:203], v[2:3], v[4:5], v[0:1]
	scratch_load_b128 v[0:3], off, off offset:880
	s_waitcnt vmcnt(0)
	v_add_f64 v[0:1], v[0:1], -v[200:201]
	v_add_f64 v[2:3], v[2:3], -v[202:203]
	scratch_store_b128 off, v[0:3], off offset:880
	ds_load_2addr_b64 v[0:3], v6 offset0:112 offset1:113
	s_waitcnt lgkmcnt(0)
	v_mul_f64 v[200:201], v[2:3], v[198:199]
	s_delay_alu instid0(VALU_DEP_1) | instskip(SKIP_1) | instid1(VALU_DEP_1)
	v_fma_f64 v[200:201], v[0:1], v[4:5], -v[200:201]
	v_mul_f64 v[0:1], v[0:1], v[198:199]
	v_fma_f64 v[202:203], v[2:3], v[4:5], v[0:1]
	scratch_load_b128 v[0:3], off, off offset:896
	s_waitcnt vmcnt(0)
	v_add_f64 v[0:1], v[0:1], -v[200:201]
	v_add_f64 v[2:3], v[2:3], -v[202:203]
	scratch_store_b128 off, v[0:3], off offset:896
	ds_load_2addr_b64 v[0:3], v6 offset0:114 offset1:115
	s_waitcnt lgkmcnt(0)
	;; [unrolled: 12-line block ×5, first 2 shown]
	v_mul_f64 v[200:201], v[2:3], v[198:199]
	s_delay_alu instid0(VALU_DEP_1) | instskip(SKIP_1) | instid1(VALU_DEP_1)
	v_fma_f64 v[200:201], v[0:1], v[4:5], -v[200:201]
	v_mul_f64 v[0:1], v[0:1], v[198:199]
	v_fma_f64 v[4:5], v[2:3], v[4:5], v[0:1]
	scratch_load_b128 v[0:3], off, off offset:960
	s_waitcnt vmcnt(0)
	v_add_f64 v[2:3], v[2:3], -v[4:5]
	scratch_load_b64 v[4:5], off, off offset:776
	v_add_f64 v[0:1], v[0:1], -v[200:201]
	scratch_store_b128 off, v[0:3], off offset:960
	ds_load_2addr_b64 v[0:3], v6 offset0:122 offset1:123
	s_waitcnt vmcnt(0) lgkmcnt(0)
	v_mul_f64 v[198:199], v[2:3], v[4:5]
	s_delay_alu instid0(VALU_DEP_1) | instskip(SKIP_1) | instid1(VALU_DEP_1)
	v_fma_f64 v[198:199], v[0:1], v[196:197], -v[198:199]
	v_mul_f64 v[0:1], v[0:1], v[4:5]
	v_fma_f64 v[200:201], v[2:3], v[196:197], v[0:1]
	scratch_load_b128 v[0:3], off, off offset:976
	s_waitcnt vmcnt(0)
	v_add_f64 v[0:1], v[0:1], -v[198:199]
	v_add_f64 v[2:3], v[2:3], -v[200:201]
	scratch_store_b128 off, v[0:3], off offset:976
	ds_load_2addr_b64 v[0:3], v6 offset0:124 offset1:125
	s_waitcnt lgkmcnt(0)
	v_mul_f64 v[198:199], v[2:3], v[4:5]
	s_delay_alu instid0(VALU_DEP_1) | instskip(SKIP_1) | instid1(VALU_DEP_1)
	v_fma_f64 v[198:199], v[0:1], v[196:197], -v[198:199]
	v_mul_f64 v[0:1], v[0:1], v[4:5]
	v_fma_f64 v[200:201], v[2:3], v[196:197], v[0:1]
	scratch_load_b128 v[0:3], off, off offset:992
	s_waitcnt vmcnt(0)
	v_add_f64 v[0:1], v[0:1], -v[198:199]
	v_add_f64 v[2:3], v[2:3], -v[200:201]
	scratch_store_b128 off, v[0:3], off offset:992
	ds_load_2addr_b64 v[0:3], v6 offset0:126 offset1:127
	s_waitcnt lgkmcnt(0)
	v_mul_f64 v[198:199], v[2:3], v[4:5]
	s_delay_alu instid0(VALU_DEP_1) | instskip(SKIP_1) | instid1(VALU_DEP_1)
	v_fma_f64 v[198:199], v[0:1], v[196:197], -v[198:199]
	v_mul_f64 v[0:1], v[0:1], v[4:5]
	v_fma_f64 v[4:5], v[2:3], v[196:197], v[0:1]
	scratch_load_b128 v[0:3], off, off offset:1008
	s_waitcnt vmcnt(0)
	v_add_f64 v[0:1], v[0:1], -v[198:199]
	v_add_f64 v[2:3], v[2:3], -v[4:5]
	scratch_store_b128 off, v[0:3], off offset:1008
.LBB127_578:
	s_or_b32 exec_lo, exec_lo, s3
	s_delay_alu instid0(SALU_CYCLE_1)
	s_mov_b32 s4, exec_lo
	s_waitcnt lgkmcnt(0)
	s_waitcnt_vscnt null, 0x0
	s_barrier
	buffer_gl0_inv
	v_cmpx_eq_u32_e32 49, v254
	s_cbranch_execz .LBB127_585
; %bb.579:
	scratch_load_b32 v0, off, off offset:1084 ; 4-byte Folded Reload
	s_waitcnt vmcnt(0)
	scratch_load_b128 v[0:3], v0, off
	scratch_load_b32 v4, off, off offset:1024 ; 4-byte Folded Reload
	s_waitcnt vmcnt(0)
	ds_store_2addr_b64 v4, v[0:1], v[2:3] offset1:1
	scratch_load_b32 v0, off, off offset:1080 ; 4-byte Folded Reload
	s_waitcnt vmcnt(0)
	scratch_load_b128 v[0:3], v0, off
	s_waitcnt vmcnt(0)
	ds_store_2addr_b64 v6, v[0:1], v[2:3] offset0:100 offset1:101
	scratch_load_b32 v0, off, off offset:1076 ; 4-byte Folded Reload
	s_waitcnt vmcnt(0)
	scratch_load_b128 v[0:3], v0, off
	s_waitcnt vmcnt(0)
	ds_store_2addr_b64 v6, v[0:1], v[2:3] offset0:102 offset1:103
	;; [unrolled: 5-line block ×14, first 2 shown]
	ds_load_2addr_b64 v[196:199], v4 offset1:1
	s_waitcnt lgkmcnt(0)
	v_cmp_neq_f64_e32 vcc_lo, 0, v[196:197]
	v_cmp_neq_f64_e64 s3, 0, v[198:199]
	s_delay_alu instid0(VALU_DEP_1) | instskip(NEXT) | instid1(SALU_CYCLE_1)
	s_or_b32 s3, vcc_lo, s3
	s_and_b32 exec_lo, exec_lo, s3
	s_cbranch_execz .LBB127_585
; %bb.580:
	v_cmp_gt_f64_e32 vcc_lo, 0, v[196:197]
	v_xor_b32_e32 v0, 0x80000000, v197
	v_xor_b32_e32 v2, 0x80000000, v199
	s_mov_b32 s3, exec_lo
                                        ; implicit-def: $vgpr4_vgpr5
	s_delay_alu instid0(VALU_DEP_2) | instskip(SKIP_4) | instid1(VALU_DEP_1)
	v_cndmask_b32_e32 v1, v197, v0, vcc_lo
	v_cndmask_b32_e32 v0, v196, v196, vcc_lo
	v_cmp_gt_f64_e32 vcc_lo, 0, v[198:199]
	v_cndmask_b32_e32 v3, v199, v2, vcc_lo
	v_cndmask_b32_e32 v2, v198, v198, vcc_lo
	v_cmpx_ngt_f64_e32 v[0:1], v[2:3]
	s_xor_b32 s3, exec_lo, s3
                                        ; implicit-def: $vgpr0_vgpr1_vgpr2_vgpr3
	s_cbranch_execz .LBB127_582
; %bb.581:
	v_div_scale_f64 v[0:1], null, v[198:199], v[198:199], v[196:197]
	v_div_scale_f64 v[200:201], vcc_lo, v[196:197], v[198:199], v[196:197]
	s_delay_alu instid0(VALU_DEP_2) | instskip(SKIP_2) | instid1(VALU_DEP_1)
	v_rcp_f64_e32 v[2:3], v[0:1]
	s_waitcnt_depctr 0xfff
	v_fma_f64 v[4:5], -v[0:1], v[2:3], 1.0
	v_fma_f64 v[2:3], v[2:3], v[4:5], v[2:3]
	s_delay_alu instid0(VALU_DEP_1) | instskip(NEXT) | instid1(VALU_DEP_1)
	v_fma_f64 v[4:5], -v[0:1], v[2:3], 1.0
	v_fma_f64 v[2:3], v[2:3], v[4:5], v[2:3]
	s_delay_alu instid0(VALU_DEP_1) | instskip(NEXT) | instid1(VALU_DEP_1)
	v_mul_f64 v[4:5], v[200:201], v[2:3]
	v_fma_f64 v[0:1], -v[0:1], v[4:5], v[200:201]
	s_delay_alu instid0(VALU_DEP_1) | instskip(NEXT) | instid1(VALU_DEP_1)
	v_div_fmas_f64 v[0:1], v[0:1], v[2:3], v[4:5]
	v_div_fixup_f64 v[0:1], v[0:1], v[198:199], v[196:197]
	s_delay_alu instid0(VALU_DEP_1) | instskip(NEXT) | instid1(VALU_DEP_1)
	v_fma_f64 v[2:3], v[196:197], v[0:1], v[198:199]
	v_div_scale_f64 v[4:5], null, v[2:3], v[2:3], 1.0
	s_delay_alu instid0(VALU_DEP_1) | instskip(SKIP_2) | instid1(VALU_DEP_1)
	v_rcp_f64_e32 v[196:197], v[4:5]
	s_waitcnt_depctr 0xfff
	v_fma_f64 v[198:199], -v[4:5], v[196:197], 1.0
	v_fma_f64 v[196:197], v[196:197], v[198:199], v[196:197]
	s_delay_alu instid0(VALU_DEP_1) | instskip(NEXT) | instid1(VALU_DEP_1)
	v_fma_f64 v[198:199], -v[4:5], v[196:197], 1.0
	v_fma_f64 v[196:197], v[196:197], v[198:199], v[196:197]
	v_div_scale_f64 v[198:199], vcc_lo, 1.0, v[2:3], 1.0
	s_delay_alu instid0(VALU_DEP_1) | instskip(NEXT) | instid1(VALU_DEP_1)
	v_mul_f64 v[200:201], v[198:199], v[196:197]
	v_fma_f64 v[4:5], -v[4:5], v[200:201], v[198:199]
	s_delay_alu instid0(VALU_DEP_1) | instskip(NEXT) | instid1(VALU_DEP_1)
	v_div_fmas_f64 v[4:5], v[4:5], v[196:197], v[200:201]
                                        ; implicit-def: $vgpr196_vgpr197
	v_div_fixup_f64 v[2:3], v[4:5], v[2:3], 1.0
	s_delay_alu instid0(VALU_DEP_1)
	v_mul_f64 v[4:5], v[0:1], v[2:3]
	v_xor_b32_e32 v3, 0x80000000, v3
.LBB127_582:
	s_and_not1_saveexec_b32 s3, s3
	s_cbranch_execz .LBB127_584
; %bb.583:
	v_div_scale_f64 v[0:1], null, v[196:197], v[196:197], v[198:199]
	v_div_scale_f64 v[200:201], vcc_lo, v[198:199], v[196:197], v[198:199]
	s_delay_alu instid0(VALU_DEP_2) | instskip(SKIP_2) | instid1(VALU_DEP_1)
	v_rcp_f64_e32 v[2:3], v[0:1]
	s_waitcnt_depctr 0xfff
	v_fma_f64 v[4:5], -v[0:1], v[2:3], 1.0
	v_fma_f64 v[2:3], v[2:3], v[4:5], v[2:3]
	s_delay_alu instid0(VALU_DEP_1) | instskip(NEXT) | instid1(VALU_DEP_1)
	v_fma_f64 v[4:5], -v[0:1], v[2:3], 1.0
	v_fma_f64 v[2:3], v[2:3], v[4:5], v[2:3]
	s_delay_alu instid0(VALU_DEP_1) | instskip(NEXT) | instid1(VALU_DEP_1)
	v_mul_f64 v[4:5], v[200:201], v[2:3]
	v_fma_f64 v[0:1], -v[0:1], v[4:5], v[200:201]
	s_delay_alu instid0(VALU_DEP_1) | instskip(NEXT) | instid1(VALU_DEP_1)
	v_div_fmas_f64 v[0:1], v[0:1], v[2:3], v[4:5]
	v_div_fixup_f64 v[0:1], v[0:1], v[196:197], v[198:199]
	s_delay_alu instid0(VALU_DEP_1) | instskip(NEXT) | instid1(VALU_DEP_1)
	v_fma_f64 v[2:3], v[198:199], v[0:1], v[196:197]
	v_div_scale_f64 v[4:5], null, v[2:3], v[2:3], 1.0
	s_delay_alu instid0(VALU_DEP_1) | instskip(SKIP_2) | instid1(VALU_DEP_1)
	v_rcp_f64_e32 v[196:197], v[4:5]
	s_waitcnt_depctr 0xfff
	v_fma_f64 v[198:199], -v[4:5], v[196:197], 1.0
	v_fma_f64 v[196:197], v[196:197], v[198:199], v[196:197]
	s_delay_alu instid0(VALU_DEP_1) | instskip(NEXT) | instid1(VALU_DEP_1)
	v_fma_f64 v[198:199], -v[4:5], v[196:197], 1.0
	v_fma_f64 v[196:197], v[196:197], v[198:199], v[196:197]
	v_div_scale_f64 v[198:199], vcc_lo, 1.0, v[2:3], 1.0
	s_delay_alu instid0(VALU_DEP_1) | instskip(NEXT) | instid1(VALU_DEP_1)
	v_mul_f64 v[200:201], v[198:199], v[196:197]
	v_fma_f64 v[4:5], -v[4:5], v[200:201], v[198:199]
	s_delay_alu instid0(VALU_DEP_1) | instskip(NEXT) | instid1(VALU_DEP_1)
	v_div_fmas_f64 v[4:5], v[4:5], v[196:197], v[200:201]
	v_div_fixup_f64 v[4:5], v[4:5], v[2:3], 1.0
	s_delay_alu instid0(VALU_DEP_1)
	v_mul_f64 v[2:3], v[0:1], -v[4:5]
.LBB127_584:
	s_or_b32 exec_lo, exec_lo, s3
	scratch_load_b32 v0, off, off offset:1024 ; 4-byte Folded Reload
	s_waitcnt vmcnt(0)
	ds_store_2addr_b64 v0, v[4:5], v[2:3] offset1:1
.LBB127_585:
	s_or_b32 exec_lo, exec_lo, s4
	s_waitcnt lgkmcnt(0)
	s_barrier
	buffer_gl0_inv
	scratch_load_b32 v0, off, off offset:1024 ; 4-byte Folded Reload
	s_mov_b32 s3, exec_lo
	s_waitcnt vmcnt(0)
	ds_load_2addr_b64 v[196:199], v0 offset1:1
	v_cmpx_lt_u32_e32 49, v254
	s_cbranch_execz .LBB127_587
; %bb.586:
	scratch_load_b128 v[0:3], off, off offset:784
	s_waitcnt vmcnt(0) lgkmcnt(0)
	v_mul_f64 v[4:5], v[198:199], v[2:3]
	v_mul_f64 v[2:3], v[196:197], v[2:3]
	s_delay_alu instid0(VALU_DEP_2) | instskip(NEXT) | instid1(VALU_DEP_2)
	v_fma_f64 v[200:201], v[196:197], v[0:1], -v[4:5]
	v_fma_f64 v[202:203], v[198:199], v[0:1], v[2:3]
	ds_load_2addr_b64 v[0:3], v6 offset0:100 offset1:101
	s_waitcnt lgkmcnt(0)
	v_mul_f64 v[4:5], v[2:3], v[202:203]
	s_delay_alu instid0(VALU_DEP_1) | instskip(SKIP_1) | instid1(VALU_DEP_1)
	v_fma_f64 v[4:5], v[0:1], v[200:201], -v[4:5]
	v_mul_f64 v[0:1], v[0:1], v[202:203]
	v_fma_f64 v[204:205], v[2:3], v[200:201], v[0:1]
	scratch_load_b128 v[0:3], off, off offset:800
	s_waitcnt vmcnt(0)
	v_add_f64 v[0:1], v[0:1], -v[4:5]
	v_add_f64 v[2:3], v[2:3], -v[204:205]
	s_clause 0x1
	scratch_store_b128 off, v[200:203], off offset:784
	scratch_store_b128 off, v[0:3], off offset:800
	ds_load_2addr_b64 v[0:3], v6 offset0:102 offset1:103
	s_waitcnt lgkmcnt(0)
	v_mul_f64 v[4:5], v[2:3], v[202:203]
	s_delay_alu instid0(VALU_DEP_1) | instskip(SKIP_1) | instid1(VALU_DEP_1)
	v_fma_f64 v[4:5], v[0:1], v[200:201], -v[4:5]
	v_mul_f64 v[0:1], v[0:1], v[202:203]
	v_fma_f64 v[204:205], v[2:3], v[200:201], v[0:1]
	scratch_load_b128 v[0:3], off, off offset:816
	s_waitcnt vmcnt(0)
	v_add_f64 v[0:1], v[0:1], -v[4:5]
	v_add_f64 v[2:3], v[2:3], -v[204:205]
	scratch_store_b128 off, v[0:3], off offset:816
	ds_load_2addr_b64 v[0:3], v6 offset0:104 offset1:105
	s_waitcnt lgkmcnt(0)
	v_mul_f64 v[4:5], v[2:3], v[202:203]
	s_delay_alu instid0(VALU_DEP_1) | instskip(SKIP_1) | instid1(VALU_DEP_1)
	v_fma_f64 v[4:5], v[0:1], v[200:201], -v[4:5]
	v_mul_f64 v[0:1], v[0:1], v[202:203]
	v_fma_f64 v[204:205], v[2:3], v[200:201], v[0:1]
	scratch_load_b128 v[0:3], off, off offset:832
	s_waitcnt vmcnt(0)
	v_add_f64 v[0:1], v[0:1], -v[4:5]
	v_add_f64 v[2:3], v[2:3], -v[204:205]
	;; [unrolled: 12-line block ×5, first 2 shown]
	scratch_store_b128 off, v[0:3], off offset:880
	ds_load_2addr_b64 v[0:3], v6 offset0:112 offset1:113
	s_clause 0x1
	scratch_load_b64 v[4:5], off, off offset:784
	scratch_load_b128 v[200:203], off, off offset:784
	s_waitcnt vmcnt(0) lgkmcnt(0)
	v_mul_f64 v[204:205], v[2:3], v[202:203]
	s_delay_alu instid0(VALU_DEP_1) | instskip(SKIP_1) | instid1(VALU_DEP_1)
	v_fma_f64 v[204:205], v[0:1], v[4:5], -v[204:205]
	v_mul_f64 v[0:1], v[0:1], v[202:203]
	v_fma_f64 v[206:207], v[2:3], v[4:5], v[0:1]
	scratch_load_b128 v[0:3], off, off offset:896
	s_waitcnt vmcnt(0)
	v_add_f64 v[0:1], v[0:1], -v[204:205]
	v_add_f64 v[2:3], v[2:3], -v[206:207]
	scratch_store_b128 off, v[0:3], off offset:896
	ds_load_2addr_b64 v[0:3], v6 offset0:114 offset1:115
	s_waitcnt lgkmcnt(0)
	v_mul_f64 v[204:205], v[2:3], v[202:203]
	s_delay_alu instid0(VALU_DEP_1) | instskip(SKIP_1) | instid1(VALU_DEP_1)
	v_fma_f64 v[204:205], v[0:1], v[4:5], -v[204:205]
	v_mul_f64 v[0:1], v[0:1], v[202:203]
	v_fma_f64 v[206:207], v[2:3], v[4:5], v[0:1]
	scratch_load_b128 v[0:3], off, off offset:912
	s_waitcnt vmcnt(0)
	v_add_f64 v[0:1], v[0:1], -v[204:205]
	v_add_f64 v[2:3], v[2:3], -v[206:207]
	scratch_store_b128 off, v[0:3], off offset:912
	ds_load_2addr_b64 v[0:3], v6 offset0:116 offset1:117
	s_waitcnt lgkmcnt(0)
	;; [unrolled: 12-line block ×5, first 2 shown]
	v_mul_f64 v[204:205], v[2:3], v[202:203]
	s_delay_alu instid0(VALU_DEP_1) | instskip(SKIP_1) | instid1(VALU_DEP_1)
	v_fma_f64 v[204:205], v[0:1], v[4:5], -v[204:205]
	v_mul_f64 v[0:1], v[0:1], v[202:203]
	v_fma_f64 v[4:5], v[2:3], v[4:5], v[0:1]
	scratch_load_b128 v[0:3], off, off offset:976
	s_waitcnt vmcnt(0)
	v_add_f64 v[2:3], v[2:3], -v[4:5]
	scratch_load_b64 v[4:5], off, off offset:792
	v_add_f64 v[0:1], v[0:1], -v[204:205]
	scratch_store_b128 off, v[0:3], off offset:976
	ds_load_2addr_b64 v[0:3], v6 offset0:124 offset1:125
	s_waitcnt vmcnt(0) lgkmcnt(0)
	v_mul_f64 v[202:203], v[2:3], v[4:5]
	s_delay_alu instid0(VALU_DEP_1) | instskip(SKIP_1) | instid1(VALU_DEP_1)
	v_fma_f64 v[202:203], v[0:1], v[200:201], -v[202:203]
	v_mul_f64 v[0:1], v[0:1], v[4:5]
	v_fma_f64 v[204:205], v[2:3], v[200:201], v[0:1]
	scratch_load_b128 v[0:3], off, off offset:992
	s_waitcnt vmcnt(0)
	v_add_f64 v[0:1], v[0:1], -v[202:203]
	v_add_f64 v[2:3], v[2:3], -v[204:205]
	scratch_store_b128 off, v[0:3], off offset:992
	ds_load_2addr_b64 v[0:3], v6 offset0:126 offset1:127
	s_waitcnt lgkmcnt(0)
	v_mul_f64 v[202:203], v[2:3], v[4:5]
	s_delay_alu instid0(VALU_DEP_1) | instskip(SKIP_1) | instid1(VALU_DEP_1)
	v_fma_f64 v[202:203], v[0:1], v[200:201], -v[202:203]
	v_mul_f64 v[0:1], v[0:1], v[4:5]
	v_fma_f64 v[4:5], v[2:3], v[200:201], v[0:1]
	scratch_load_b128 v[0:3], off, off offset:1008
	s_waitcnt vmcnt(0)
	v_add_f64 v[0:1], v[0:1], -v[202:203]
	v_add_f64 v[2:3], v[2:3], -v[4:5]
	scratch_store_b128 off, v[0:3], off offset:1008
.LBB127_587:
	s_or_b32 exec_lo, exec_lo, s3
	s_delay_alu instid0(SALU_CYCLE_1)
	s_mov_b32 s4, exec_lo
	s_waitcnt lgkmcnt(0)
	s_waitcnt_vscnt null, 0x0
	s_barrier
	buffer_gl0_inv
	v_cmpx_eq_u32_e32 50, v254
	s_cbranch_execz .LBB127_594
; %bb.588:
	scratch_load_b32 v0, off, off offset:1080 ; 4-byte Folded Reload
	s_waitcnt vmcnt(0)
	scratch_load_b128 v[0:3], v0, off
	scratch_load_b32 v4, off, off offset:1024 ; 4-byte Folded Reload
	s_waitcnt vmcnt(0)
	ds_store_2addr_b64 v4, v[0:1], v[2:3] offset1:1
	scratch_load_b32 v0, off, off offset:1076 ; 4-byte Folded Reload
	s_waitcnt vmcnt(0)
	scratch_load_b128 v[0:3], v0, off
	s_waitcnt vmcnt(0)
	ds_store_2addr_b64 v6, v[0:1], v[2:3] offset0:102 offset1:103
	scratch_load_b32 v0, off, off offset:1072 ; 4-byte Folded Reload
	s_waitcnt vmcnt(0)
	scratch_load_b128 v[0:3], v0, off
	s_waitcnt vmcnt(0)
	ds_store_2addr_b64 v6, v[0:1], v[2:3] offset0:104 offset1:105
	;; [unrolled: 5-line block ×13, first 2 shown]
	ds_load_2addr_b64 v[200:203], v4 offset1:1
	s_waitcnt lgkmcnt(0)
	v_cmp_neq_f64_e32 vcc_lo, 0, v[200:201]
	v_cmp_neq_f64_e64 s3, 0, v[202:203]
	s_delay_alu instid0(VALU_DEP_1) | instskip(NEXT) | instid1(SALU_CYCLE_1)
	s_or_b32 s3, vcc_lo, s3
	s_and_b32 exec_lo, exec_lo, s3
	s_cbranch_execz .LBB127_594
; %bb.589:
	v_cmp_gt_f64_e32 vcc_lo, 0, v[200:201]
	v_xor_b32_e32 v0, 0x80000000, v201
	v_xor_b32_e32 v2, 0x80000000, v203
	s_mov_b32 s3, exec_lo
                                        ; implicit-def: $vgpr4_vgpr5
	s_delay_alu instid0(VALU_DEP_2) | instskip(SKIP_4) | instid1(VALU_DEP_1)
	v_cndmask_b32_e32 v1, v201, v0, vcc_lo
	v_cndmask_b32_e32 v0, v200, v200, vcc_lo
	v_cmp_gt_f64_e32 vcc_lo, 0, v[202:203]
	v_cndmask_b32_e32 v3, v203, v2, vcc_lo
	v_cndmask_b32_e32 v2, v202, v202, vcc_lo
	v_cmpx_ngt_f64_e32 v[0:1], v[2:3]
	s_xor_b32 s3, exec_lo, s3
                                        ; implicit-def: $vgpr0_vgpr1_vgpr2_vgpr3
	s_cbranch_execz .LBB127_591
; %bb.590:
	v_div_scale_f64 v[0:1], null, v[202:203], v[202:203], v[200:201]
	v_div_scale_f64 v[204:205], vcc_lo, v[200:201], v[202:203], v[200:201]
	s_delay_alu instid0(VALU_DEP_2) | instskip(SKIP_2) | instid1(VALU_DEP_1)
	v_rcp_f64_e32 v[2:3], v[0:1]
	s_waitcnt_depctr 0xfff
	v_fma_f64 v[4:5], -v[0:1], v[2:3], 1.0
	v_fma_f64 v[2:3], v[2:3], v[4:5], v[2:3]
	s_delay_alu instid0(VALU_DEP_1) | instskip(NEXT) | instid1(VALU_DEP_1)
	v_fma_f64 v[4:5], -v[0:1], v[2:3], 1.0
	v_fma_f64 v[2:3], v[2:3], v[4:5], v[2:3]
	s_delay_alu instid0(VALU_DEP_1) | instskip(NEXT) | instid1(VALU_DEP_1)
	v_mul_f64 v[4:5], v[204:205], v[2:3]
	v_fma_f64 v[0:1], -v[0:1], v[4:5], v[204:205]
	s_delay_alu instid0(VALU_DEP_1) | instskip(NEXT) | instid1(VALU_DEP_1)
	v_div_fmas_f64 v[0:1], v[0:1], v[2:3], v[4:5]
	v_div_fixup_f64 v[0:1], v[0:1], v[202:203], v[200:201]
	s_delay_alu instid0(VALU_DEP_1) | instskip(NEXT) | instid1(VALU_DEP_1)
	v_fma_f64 v[2:3], v[200:201], v[0:1], v[202:203]
	v_div_scale_f64 v[4:5], null, v[2:3], v[2:3], 1.0
	s_delay_alu instid0(VALU_DEP_1) | instskip(SKIP_2) | instid1(VALU_DEP_1)
	v_rcp_f64_e32 v[200:201], v[4:5]
	s_waitcnt_depctr 0xfff
	v_fma_f64 v[202:203], -v[4:5], v[200:201], 1.0
	v_fma_f64 v[200:201], v[200:201], v[202:203], v[200:201]
	s_delay_alu instid0(VALU_DEP_1) | instskip(NEXT) | instid1(VALU_DEP_1)
	v_fma_f64 v[202:203], -v[4:5], v[200:201], 1.0
	v_fma_f64 v[200:201], v[200:201], v[202:203], v[200:201]
	v_div_scale_f64 v[202:203], vcc_lo, 1.0, v[2:3], 1.0
	s_delay_alu instid0(VALU_DEP_1) | instskip(NEXT) | instid1(VALU_DEP_1)
	v_mul_f64 v[204:205], v[202:203], v[200:201]
	v_fma_f64 v[4:5], -v[4:5], v[204:205], v[202:203]
	s_delay_alu instid0(VALU_DEP_1) | instskip(NEXT) | instid1(VALU_DEP_1)
	v_div_fmas_f64 v[4:5], v[4:5], v[200:201], v[204:205]
                                        ; implicit-def: $vgpr200_vgpr201
	v_div_fixup_f64 v[2:3], v[4:5], v[2:3], 1.0
	s_delay_alu instid0(VALU_DEP_1)
	v_mul_f64 v[4:5], v[0:1], v[2:3]
	v_xor_b32_e32 v3, 0x80000000, v3
.LBB127_591:
	s_and_not1_saveexec_b32 s3, s3
	s_cbranch_execz .LBB127_593
; %bb.592:
	v_div_scale_f64 v[0:1], null, v[200:201], v[200:201], v[202:203]
	v_div_scale_f64 v[204:205], vcc_lo, v[202:203], v[200:201], v[202:203]
	s_delay_alu instid0(VALU_DEP_2) | instskip(SKIP_2) | instid1(VALU_DEP_1)
	v_rcp_f64_e32 v[2:3], v[0:1]
	s_waitcnt_depctr 0xfff
	v_fma_f64 v[4:5], -v[0:1], v[2:3], 1.0
	v_fma_f64 v[2:3], v[2:3], v[4:5], v[2:3]
	s_delay_alu instid0(VALU_DEP_1) | instskip(NEXT) | instid1(VALU_DEP_1)
	v_fma_f64 v[4:5], -v[0:1], v[2:3], 1.0
	v_fma_f64 v[2:3], v[2:3], v[4:5], v[2:3]
	s_delay_alu instid0(VALU_DEP_1) | instskip(NEXT) | instid1(VALU_DEP_1)
	v_mul_f64 v[4:5], v[204:205], v[2:3]
	v_fma_f64 v[0:1], -v[0:1], v[4:5], v[204:205]
	s_delay_alu instid0(VALU_DEP_1) | instskip(NEXT) | instid1(VALU_DEP_1)
	v_div_fmas_f64 v[0:1], v[0:1], v[2:3], v[4:5]
	v_div_fixup_f64 v[0:1], v[0:1], v[200:201], v[202:203]
	s_delay_alu instid0(VALU_DEP_1) | instskip(NEXT) | instid1(VALU_DEP_1)
	v_fma_f64 v[2:3], v[202:203], v[0:1], v[200:201]
	v_div_scale_f64 v[4:5], null, v[2:3], v[2:3], 1.0
	s_delay_alu instid0(VALU_DEP_1) | instskip(SKIP_2) | instid1(VALU_DEP_1)
	v_rcp_f64_e32 v[200:201], v[4:5]
	s_waitcnt_depctr 0xfff
	v_fma_f64 v[202:203], -v[4:5], v[200:201], 1.0
	v_fma_f64 v[200:201], v[200:201], v[202:203], v[200:201]
	s_delay_alu instid0(VALU_DEP_1) | instskip(NEXT) | instid1(VALU_DEP_1)
	v_fma_f64 v[202:203], -v[4:5], v[200:201], 1.0
	v_fma_f64 v[200:201], v[200:201], v[202:203], v[200:201]
	v_div_scale_f64 v[202:203], vcc_lo, 1.0, v[2:3], 1.0
	s_delay_alu instid0(VALU_DEP_1) | instskip(NEXT) | instid1(VALU_DEP_1)
	v_mul_f64 v[204:205], v[202:203], v[200:201]
	v_fma_f64 v[4:5], -v[4:5], v[204:205], v[202:203]
	s_delay_alu instid0(VALU_DEP_1) | instskip(NEXT) | instid1(VALU_DEP_1)
	v_div_fmas_f64 v[4:5], v[4:5], v[200:201], v[204:205]
	v_div_fixup_f64 v[4:5], v[4:5], v[2:3], 1.0
	s_delay_alu instid0(VALU_DEP_1)
	v_mul_f64 v[2:3], v[0:1], -v[4:5]
.LBB127_593:
	s_or_b32 exec_lo, exec_lo, s3
	scratch_load_b32 v0, off, off offset:1024 ; 4-byte Folded Reload
	s_waitcnt vmcnt(0)
	ds_store_2addr_b64 v0, v[4:5], v[2:3] offset1:1
.LBB127_594:
	s_or_b32 exec_lo, exec_lo, s4
	s_waitcnt lgkmcnt(0)
	s_barrier
	buffer_gl0_inv
	scratch_load_b32 v0, off, off offset:1024 ; 4-byte Folded Reload
	s_mov_b32 s3, exec_lo
	s_waitcnt vmcnt(0)
	ds_load_2addr_b64 v[200:203], v0 offset1:1
	v_cmpx_lt_u32_e32 50, v254
	s_cbranch_execz .LBB127_596
; %bb.595:
	scratch_load_b128 v[0:3], off, off offset:800
	s_waitcnt vmcnt(0) lgkmcnt(0)
	v_mul_f64 v[4:5], v[202:203], v[2:3]
	v_mul_f64 v[2:3], v[200:201], v[2:3]
	s_delay_alu instid0(VALU_DEP_2) | instskip(NEXT) | instid1(VALU_DEP_2)
	v_fma_f64 v[204:205], v[200:201], v[0:1], -v[4:5]
	v_fma_f64 v[206:207], v[202:203], v[0:1], v[2:3]
	ds_load_2addr_b64 v[0:3], v6 offset0:102 offset1:103
	s_waitcnt lgkmcnt(0)
	v_mul_f64 v[4:5], v[2:3], v[206:207]
	s_delay_alu instid0(VALU_DEP_1) | instskip(SKIP_1) | instid1(VALU_DEP_1)
	v_fma_f64 v[4:5], v[0:1], v[204:205], -v[4:5]
	v_mul_f64 v[0:1], v[0:1], v[206:207]
	v_fma_f64 v[208:209], v[2:3], v[204:205], v[0:1]
	scratch_load_b128 v[0:3], off, off offset:816
	s_waitcnt vmcnt(0)
	v_add_f64 v[0:1], v[0:1], -v[4:5]
	v_add_f64 v[2:3], v[2:3], -v[208:209]
	s_clause 0x1
	scratch_store_b128 off, v[204:207], off offset:800
	scratch_store_b128 off, v[0:3], off offset:816
	ds_load_2addr_b64 v[0:3], v6 offset0:104 offset1:105
	s_waitcnt lgkmcnt(0)
	v_mul_f64 v[4:5], v[2:3], v[206:207]
	s_delay_alu instid0(VALU_DEP_1) | instskip(SKIP_1) | instid1(VALU_DEP_1)
	v_fma_f64 v[4:5], v[0:1], v[204:205], -v[4:5]
	v_mul_f64 v[0:1], v[0:1], v[206:207]
	v_fma_f64 v[208:209], v[2:3], v[204:205], v[0:1]
	scratch_load_b128 v[0:3], off, off offset:832
	s_waitcnt vmcnt(0)
	v_add_f64 v[0:1], v[0:1], -v[4:5]
	v_add_f64 v[2:3], v[2:3], -v[208:209]
	scratch_store_b128 off, v[0:3], off offset:832
	ds_load_2addr_b64 v[0:3], v6 offset0:106 offset1:107
	s_waitcnt lgkmcnt(0)
	v_mul_f64 v[4:5], v[2:3], v[206:207]
	s_delay_alu instid0(VALU_DEP_1) | instskip(SKIP_1) | instid1(VALU_DEP_1)
	v_fma_f64 v[4:5], v[0:1], v[204:205], -v[4:5]
	v_mul_f64 v[0:1], v[0:1], v[206:207]
	v_fma_f64 v[208:209], v[2:3], v[204:205], v[0:1]
	scratch_load_b128 v[0:3], off, off offset:848
	s_waitcnt vmcnt(0)
	v_add_f64 v[0:1], v[0:1], -v[4:5]
	v_add_f64 v[2:3], v[2:3], -v[208:209]
	;; [unrolled: 12-line block ×5, first 2 shown]
	scratch_store_b128 off, v[0:3], off offset:896
	ds_load_2addr_b64 v[0:3], v6 offset0:114 offset1:115
	s_clause 0x1
	scratch_load_b64 v[4:5], off, off offset:800
	scratch_load_b128 v[204:207], off, off offset:800
	s_waitcnt vmcnt(0) lgkmcnt(0)
	v_mul_f64 v[208:209], v[2:3], v[206:207]
	s_delay_alu instid0(VALU_DEP_1) | instskip(SKIP_1) | instid1(VALU_DEP_1)
	v_fma_f64 v[208:209], v[0:1], v[4:5], -v[208:209]
	v_mul_f64 v[0:1], v[0:1], v[206:207]
	v_fma_f64 v[210:211], v[2:3], v[4:5], v[0:1]
	scratch_load_b128 v[0:3], off, off offset:912
	s_waitcnt vmcnt(0)
	v_add_f64 v[0:1], v[0:1], -v[208:209]
	v_add_f64 v[2:3], v[2:3], -v[210:211]
	scratch_store_b128 off, v[0:3], off offset:912
	ds_load_2addr_b64 v[0:3], v6 offset0:116 offset1:117
	s_waitcnt lgkmcnt(0)
	v_mul_f64 v[208:209], v[2:3], v[206:207]
	s_delay_alu instid0(VALU_DEP_1) | instskip(SKIP_1) | instid1(VALU_DEP_1)
	v_fma_f64 v[208:209], v[0:1], v[4:5], -v[208:209]
	v_mul_f64 v[0:1], v[0:1], v[206:207]
	v_fma_f64 v[210:211], v[2:3], v[4:5], v[0:1]
	scratch_load_b128 v[0:3], off, off offset:928
	s_waitcnt vmcnt(0)
	v_add_f64 v[0:1], v[0:1], -v[208:209]
	v_add_f64 v[2:3], v[2:3], -v[210:211]
	scratch_store_b128 off, v[0:3], off offset:928
	ds_load_2addr_b64 v[0:3], v6 offset0:118 offset1:119
	s_waitcnt lgkmcnt(0)
	;; [unrolled: 12-line block ×5, first 2 shown]
	v_mul_f64 v[208:209], v[2:3], v[206:207]
	s_delay_alu instid0(VALU_DEP_1) | instskip(SKIP_1) | instid1(VALU_DEP_1)
	v_fma_f64 v[208:209], v[0:1], v[4:5], -v[208:209]
	v_mul_f64 v[0:1], v[0:1], v[206:207]
	v_fma_f64 v[4:5], v[2:3], v[4:5], v[0:1]
	scratch_load_b128 v[0:3], off, off offset:992
	s_waitcnt vmcnt(0)
	v_add_f64 v[2:3], v[2:3], -v[4:5]
	scratch_load_b64 v[4:5], off, off offset:808
	v_add_f64 v[0:1], v[0:1], -v[208:209]
	scratch_store_b128 off, v[0:3], off offset:992
	ds_load_2addr_b64 v[0:3], v6 offset0:126 offset1:127
	s_waitcnt vmcnt(0) lgkmcnt(0)
	v_mul_f64 v[206:207], v[2:3], v[4:5]
	s_delay_alu instid0(VALU_DEP_1) | instskip(SKIP_1) | instid1(VALU_DEP_1)
	v_fma_f64 v[206:207], v[0:1], v[204:205], -v[206:207]
	v_mul_f64 v[0:1], v[0:1], v[4:5]
	v_fma_f64 v[4:5], v[2:3], v[204:205], v[0:1]
	scratch_load_b128 v[0:3], off, off offset:1008
	s_waitcnt vmcnt(0)
	v_add_f64 v[0:1], v[0:1], -v[206:207]
	v_add_f64 v[2:3], v[2:3], -v[4:5]
	scratch_store_b128 off, v[0:3], off offset:1008
.LBB127_596:
	s_or_b32 exec_lo, exec_lo, s3
	s_delay_alu instid0(SALU_CYCLE_1)
	s_mov_b32 s4, exec_lo
	s_waitcnt lgkmcnt(0)
	s_waitcnt_vscnt null, 0x0
	s_barrier
	buffer_gl0_inv
	v_cmpx_eq_u32_e32 51, v254
	s_cbranch_execz .LBB127_603
; %bb.597:
	scratch_load_b32 v0, off, off offset:1076 ; 4-byte Folded Reload
	s_waitcnt vmcnt(0)
	scratch_load_b128 v[0:3], v0, off
	scratch_load_b32 v4, off, off offset:1024 ; 4-byte Folded Reload
	s_waitcnt vmcnt(0)
	ds_store_2addr_b64 v4, v[0:1], v[2:3] offset1:1
	scratch_load_b32 v0, off, off offset:1072 ; 4-byte Folded Reload
	s_waitcnt vmcnt(0)
	scratch_load_b128 v[0:3], v0, off
	s_waitcnt vmcnt(0)
	ds_store_2addr_b64 v6, v[0:1], v[2:3] offset0:104 offset1:105
	scratch_load_b32 v0, off, off offset:1068 ; 4-byte Folded Reload
	s_waitcnt vmcnt(0)
	scratch_load_b128 v[0:3], v0, off
	s_waitcnt vmcnt(0)
	ds_store_2addr_b64 v6, v[0:1], v[2:3] offset0:106 offset1:107
	;; [unrolled: 5-line block ×12, first 2 shown]
	ds_load_2addr_b64 v[204:207], v4 offset1:1
	s_waitcnt lgkmcnt(0)
	v_cmp_neq_f64_e32 vcc_lo, 0, v[204:205]
	v_cmp_neq_f64_e64 s3, 0, v[206:207]
	s_delay_alu instid0(VALU_DEP_1) | instskip(NEXT) | instid1(SALU_CYCLE_1)
	s_or_b32 s3, vcc_lo, s3
	s_and_b32 exec_lo, exec_lo, s3
	s_cbranch_execz .LBB127_603
; %bb.598:
	v_cmp_gt_f64_e32 vcc_lo, 0, v[204:205]
	v_xor_b32_e32 v0, 0x80000000, v205
	v_xor_b32_e32 v2, 0x80000000, v207
	s_mov_b32 s3, exec_lo
                                        ; implicit-def: $vgpr4_vgpr5
	s_delay_alu instid0(VALU_DEP_2) | instskip(SKIP_4) | instid1(VALU_DEP_1)
	v_cndmask_b32_e32 v1, v205, v0, vcc_lo
	v_cndmask_b32_e32 v0, v204, v204, vcc_lo
	v_cmp_gt_f64_e32 vcc_lo, 0, v[206:207]
	v_cndmask_b32_e32 v3, v207, v2, vcc_lo
	v_cndmask_b32_e32 v2, v206, v206, vcc_lo
	v_cmpx_ngt_f64_e32 v[0:1], v[2:3]
	s_xor_b32 s3, exec_lo, s3
                                        ; implicit-def: $vgpr0_vgpr1_vgpr2_vgpr3
	s_cbranch_execz .LBB127_600
; %bb.599:
	v_div_scale_f64 v[0:1], null, v[206:207], v[206:207], v[204:205]
	v_div_scale_f64 v[208:209], vcc_lo, v[204:205], v[206:207], v[204:205]
	s_delay_alu instid0(VALU_DEP_2) | instskip(SKIP_2) | instid1(VALU_DEP_1)
	v_rcp_f64_e32 v[2:3], v[0:1]
	s_waitcnt_depctr 0xfff
	v_fma_f64 v[4:5], -v[0:1], v[2:3], 1.0
	v_fma_f64 v[2:3], v[2:3], v[4:5], v[2:3]
	s_delay_alu instid0(VALU_DEP_1) | instskip(NEXT) | instid1(VALU_DEP_1)
	v_fma_f64 v[4:5], -v[0:1], v[2:3], 1.0
	v_fma_f64 v[2:3], v[2:3], v[4:5], v[2:3]
	s_delay_alu instid0(VALU_DEP_1) | instskip(NEXT) | instid1(VALU_DEP_1)
	v_mul_f64 v[4:5], v[208:209], v[2:3]
	v_fma_f64 v[0:1], -v[0:1], v[4:5], v[208:209]
	s_delay_alu instid0(VALU_DEP_1) | instskip(NEXT) | instid1(VALU_DEP_1)
	v_div_fmas_f64 v[0:1], v[0:1], v[2:3], v[4:5]
	v_div_fixup_f64 v[0:1], v[0:1], v[206:207], v[204:205]
	s_delay_alu instid0(VALU_DEP_1) | instskip(NEXT) | instid1(VALU_DEP_1)
	v_fma_f64 v[2:3], v[204:205], v[0:1], v[206:207]
	v_div_scale_f64 v[4:5], null, v[2:3], v[2:3], 1.0
	s_delay_alu instid0(VALU_DEP_1) | instskip(SKIP_2) | instid1(VALU_DEP_1)
	v_rcp_f64_e32 v[204:205], v[4:5]
	s_waitcnt_depctr 0xfff
	v_fma_f64 v[206:207], -v[4:5], v[204:205], 1.0
	v_fma_f64 v[204:205], v[204:205], v[206:207], v[204:205]
	s_delay_alu instid0(VALU_DEP_1) | instskip(NEXT) | instid1(VALU_DEP_1)
	v_fma_f64 v[206:207], -v[4:5], v[204:205], 1.0
	v_fma_f64 v[204:205], v[204:205], v[206:207], v[204:205]
	v_div_scale_f64 v[206:207], vcc_lo, 1.0, v[2:3], 1.0
	s_delay_alu instid0(VALU_DEP_1) | instskip(NEXT) | instid1(VALU_DEP_1)
	v_mul_f64 v[208:209], v[206:207], v[204:205]
	v_fma_f64 v[4:5], -v[4:5], v[208:209], v[206:207]
	s_delay_alu instid0(VALU_DEP_1) | instskip(NEXT) | instid1(VALU_DEP_1)
	v_div_fmas_f64 v[4:5], v[4:5], v[204:205], v[208:209]
                                        ; implicit-def: $vgpr204_vgpr205
	v_div_fixup_f64 v[2:3], v[4:5], v[2:3], 1.0
	s_delay_alu instid0(VALU_DEP_1)
	v_mul_f64 v[4:5], v[0:1], v[2:3]
	v_xor_b32_e32 v3, 0x80000000, v3
.LBB127_600:
	s_and_not1_saveexec_b32 s3, s3
	s_cbranch_execz .LBB127_602
; %bb.601:
	v_div_scale_f64 v[0:1], null, v[204:205], v[204:205], v[206:207]
	v_div_scale_f64 v[208:209], vcc_lo, v[206:207], v[204:205], v[206:207]
	s_delay_alu instid0(VALU_DEP_2) | instskip(SKIP_2) | instid1(VALU_DEP_1)
	v_rcp_f64_e32 v[2:3], v[0:1]
	s_waitcnt_depctr 0xfff
	v_fma_f64 v[4:5], -v[0:1], v[2:3], 1.0
	v_fma_f64 v[2:3], v[2:3], v[4:5], v[2:3]
	s_delay_alu instid0(VALU_DEP_1) | instskip(NEXT) | instid1(VALU_DEP_1)
	v_fma_f64 v[4:5], -v[0:1], v[2:3], 1.0
	v_fma_f64 v[2:3], v[2:3], v[4:5], v[2:3]
	s_delay_alu instid0(VALU_DEP_1) | instskip(NEXT) | instid1(VALU_DEP_1)
	v_mul_f64 v[4:5], v[208:209], v[2:3]
	v_fma_f64 v[0:1], -v[0:1], v[4:5], v[208:209]
	s_delay_alu instid0(VALU_DEP_1) | instskip(NEXT) | instid1(VALU_DEP_1)
	v_div_fmas_f64 v[0:1], v[0:1], v[2:3], v[4:5]
	v_div_fixup_f64 v[0:1], v[0:1], v[204:205], v[206:207]
	s_delay_alu instid0(VALU_DEP_1) | instskip(NEXT) | instid1(VALU_DEP_1)
	v_fma_f64 v[2:3], v[206:207], v[0:1], v[204:205]
	v_div_scale_f64 v[4:5], null, v[2:3], v[2:3], 1.0
	s_delay_alu instid0(VALU_DEP_1) | instskip(SKIP_2) | instid1(VALU_DEP_1)
	v_rcp_f64_e32 v[204:205], v[4:5]
	s_waitcnt_depctr 0xfff
	v_fma_f64 v[206:207], -v[4:5], v[204:205], 1.0
	v_fma_f64 v[204:205], v[204:205], v[206:207], v[204:205]
	s_delay_alu instid0(VALU_DEP_1) | instskip(NEXT) | instid1(VALU_DEP_1)
	v_fma_f64 v[206:207], -v[4:5], v[204:205], 1.0
	v_fma_f64 v[204:205], v[204:205], v[206:207], v[204:205]
	v_div_scale_f64 v[206:207], vcc_lo, 1.0, v[2:3], 1.0
	s_delay_alu instid0(VALU_DEP_1) | instskip(NEXT) | instid1(VALU_DEP_1)
	v_mul_f64 v[208:209], v[206:207], v[204:205]
	v_fma_f64 v[4:5], -v[4:5], v[208:209], v[206:207]
	s_delay_alu instid0(VALU_DEP_1) | instskip(NEXT) | instid1(VALU_DEP_1)
	v_div_fmas_f64 v[4:5], v[4:5], v[204:205], v[208:209]
	v_div_fixup_f64 v[4:5], v[4:5], v[2:3], 1.0
	s_delay_alu instid0(VALU_DEP_1)
	v_mul_f64 v[2:3], v[0:1], -v[4:5]
.LBB127_602:
	s_or_b32 exec_lo, exec_lo, s3
	scratch_load_b32 v0, off, off offset:1024 ; 4-byte Folded Reload
	s_waitcnt vmcnt(0)
	ds_store_2addr_b64 v0, v[4:5], v[2:3] offset1:1
.LBB127_603:
	s_or_b32 exec_lo, exec_lo, s4
	s_waitcnt lgkmcnt(0)
	s_barrier
	buffer_gl0_inv
	scratch_load_b32 v0, off, off offset:1024 ; 4-byte Folded Reload
	s_mov_b32 s3, exec_lo
	s_waitcnt vmcnt(0)
	ds_load_2addr_b64 v[204:207], v0 offset1:1
	v_cmpx_lt_u32_e32 51, v254
	s_cbranch_execz .LBB127_605
; %bb.604:
	scratch_load_b128 v[0:3], off, off offset:816
	s_waitcnt vmcnt(0) lgkmcnt(0)
	v_mul_f64 v[4:5], v[206:207], v[2:3]
	v_mul_f64 v[2:3], v[204:205], v[2:3]
	s_delay_alu instid0(VALU_DEP_2) | instskip(NEXT) | instid1(VALU_DEP_2)
	v_fma_f64 v[208:209], v[204:205], v[0:1], -v[4:5]
	v_fma_f64 v[210:211], v[206:207], v[0:1], v[2:3]
	ds_load_2addr_b64 v[0:3], v6 offset0:104 offset1:105
	s_waitcnt lgkmcnt(0)
	v_mul_f64 v[4:5], v[2:3], v[210:211]
	s_delay_alu instid0(VALU_DEP_1) | instskip(SKIP_1) | instid1(VALU_DEP_1)
	v_fma_f64 v[4:5], v[0:1], v[208:209], -v[4:5]
	v_mul_f64 v[0:1], v[0:1], v[210:211]
	v_fma_f64 v[212:213], v[2:3], v[208:209], v[0:1]
	scratch_load_b128 v[0:3], off, off offset:832
	s_waitcnt vmcnt(0)
	v_add_f64 v[0:1], v[0:1], -v[4:5]
	v_add_f64 v[2:3], v[2:3], -v[212:213]
	s_clause 0x1
	scratch_store_b128 off, v[208:211], off offset:816
	scratch_store_b128 off, v[0:3], off offset:832
	ds_load_2addr_b64 v[0:3], v6 offset0:106 offset1:107
	s_waitcnt lgkmcnt(0)
	v_mul_f64 v[4:5], v[2:3], v[210:211]
	s_delay_alu instid0(VALU_DEP_1) | instskip(SKIP_1) | instid1(VALU_DEP_1)
	v_fma_f64 v[4:5], v[0:1], v[208:209], -v[4:5]
	v_mul_f64 v[0:1], v[0:1], v[210:211]
	v_fma_f64 v[212:213], v[2:3], v[208:209], v[0:1]
	scratch_load_b128 v[0:3], off, off offset:848
	s_waitcnt vmcnt(0)
	v_add_f64 v[0:1], v[0:1], -v[4:5]
	v_add_f64 v[2:3], v[2:3], -v[212:213]
	scratch_store_b128 off, v[0:3], off offset:848
	ds_load_2addr_b64 v[0:3], v6 offset0:108 offset1:109
	s_waitcnt lgkmcnt(0)
	v_mul_f64 v[4:5], v[2:3], v[210:211]
	s_delay_alu instid0(VALU_DEP_1) | instskip(SKIP_1) | instid1(VALU_DEP_1)
	v_fma_f64 v[4:5], v[0:1], v[208:209], -v[4:5]
	v_mul_f64 v[0:1], v[0:1], v[210:211]
	v_fma_f64 v[212:213], v[2:3], v[208:209], v[0:1]
	scratch_load_b128 v[0:3], off, off offset:864
	s_waitcnt vmcnt(0)
	v_add_f64 v[0:1], v[0:1], -v[4:5]
	v_add_f64 v[2:3], v[2:3], -v[212:213]
	;; [unrolled: 12-line block ×4, first 2 shown]
	scratch_store_b128 off, v[0:3], off offset:896
	ds_load_2addr_b64 v[0:3], v6 offset0:114 offset1:115
	s_waitcnt lgkmcnt(0)
	v_mul_f64 v[4:5], v[2:3], v[210:211]
	s_delay_alu instid0(VALU_DEP_1) | instskip(SKIP_1) | instid1(VALU_DEP_1)
	v_fma_f64 v[4:5], v[0:1], v[208:209], -v[4:5]
	v_mul_f64 v[0:1], v[0:1], v[210:211]
	v_fma_f64 v[208:209], v[2:3], v[208:209], v[0:1]
	scratch_load_b128 v[0:3], off, off offset:912
	s_waitcnt vmcnt(0)
	v_add_f64 v[2:3], v[2:3], -v[208:209]
	scratch_load_b128 v[208:211], off, off offset:816
	v_add_f64 v[0:1], v[0:1], -v[4:5]
	scratch_store_b128 off, v[0:3], off offset:912
	ds_load_2addr_b64 v[0:3], v6 offset0:116 offset1:117
	s_waitcnt vmcnt(0) lgkmcnt(0)
	v_mul_f64 v[4:5], v[2:3], v[210:211]
	s_delay_alu instid0(VALU_DEP_1) | instskip(SKIP_1) | instid1(VALU_DEP_1)
	v_fma_f64 v[4:5], v[0:1], v[208:209], -v[4:5]
	v_mul_f64 v[0:1], v[0:1], v[210:211]
	v_fma_f64 v[212:213], v[2:3], v[208:209], v[0:1]
	scratch_load_b128 v[0:3], off, off offset:928
	s_waitcnt vmcnt(0)
	v_add_f64 v[0:1], v[0:1], -v[4:5]
	v_add_f64 v[2:3], v[2:3], -v[212:213]
	scratch_store_b128 off, v[0:3], off offset:928
	ds_load_2addr_b64 v[0:3], v6 offset0:118 offset1:119
	s_waitcnt lgkmcnt(0)
	v_mul_f64 v[4:5], v[2:3], v[210:211]
	s_delay_alu instid0(VALU_DEP_1) | instskip(SKIP_1) | instid1(VALU_DEP_1)
	v_fma_f64 v[4:5], v[0:1], v[208:209], -v[4:5]
	v_mul_f64 v[0:1], v[0:1], v[210:211]
	v_fma_f64 v[212:213], v[2:3], v[208:209], v[0:1]
	scratch_load_b128 v[0:3], off, off offset:944
	s_waitcnt vmcnt(0)
	v_add_f64 v[0:1], v[0:1], -v[4:5]
	v_add_f64 v[2:3], v[2:3], -v[212:213]
	scratch_store_b128 off, v[0:3], off offset:944
	ds_load_2addr_b64 v[0:3], v6 offset0:120 offset1:121
	s_waitcnt lgkmcnt(0)
	;; [unrolled: 12-line block ×5, first 2 shown]
	v_mul_f64 v[4:5], v[2:3], v[210:211]
	s_delay_alu instid0(VALU_DEP_1) | instskip(SKIP_1) | instid1(VALU_DEP_1)
	v_fma_f64 v[4:5], v[0:1], v[208:209], -v[4:5]
	v_mul_f64 v[0:1], v[0:1], v[210:211]
	v_fma_f64 v[208:209], v[2:3], v[208:209], v[0:1]
	scratch_load_b128 v[0:3], off, off offset:1008
	s_waitcnt vmcnt(0)
	v_add_f64 v[0:1], v[0:1], -v[4:5]
	v_add_f64 v[2:3], v[2:3], -v[208:209]
	scratch_store_b128 off, v[0:3], off offset:1008
.LBB127_605:
	s_or_b32 exec_lo, exec_lo, s3
	s_delay_alu instid0(SALU_CYCLE_1)
	s_mov_b32 s4, exec_lo
	s_waitcnt lgkmcnt(0)
	s_waitcnt_vscnt null, 0x0
	s_barrier
	buffer_gl0_inv
	v_cmpx_eq_u32_e32 52, v254
	s_cbranch_execz .LBB127_612
; %bb.606:
	scratch_load_b32 v0, off, off offset:1072 ; 4-byte Folded Reload
	s_waitcnt vmcnt(0)
	scratch_load_b128 v[0:3], v0, off
	scratch_load_b32 v4, off, off offset:1024 ; 4-byte Folded Reload
	s_waitcnt vmcnt(0)
	ds_store_2addr_b64 v4, v[0:1], v[2:3] offset1:1
	scratch_load_b32 v0, off, off offset:1068 ; 4-byte Folded Reload
	s_waitcnt vmcnt(0)
	scratch_load_b128 v[0:3], v0, off
	s_waitcnt vmcnt(0)
	ds_store_2addr_b64 v6, v[0:1], v[2:3] offset0:106 offset1:107
	scratch_load_b32 v0, off, off offset:1064 ; 4-byte Folded Reload
	s_waitcnt vmcnt(0)
	scratch_load_b128 v[0:3], v0, off
	s_waitcnt vmcnt(0)
	ds_store_2addr_b64 v6, v[0:1], v[2:3] offset0:108 offset1:109
	;; [unrolled: 5-line block ×11, first 2 shown]
	ds_load_2addr_b64 v[208:211], v4 offset1:1
	s_waitcnt lgkmcnt(0)
	v_cmp_neq_f64_e32 vcc_lo, 0, v[208:209]
	v_cmp_neq_f64_e64 s3, 0, v[210:211]
	s_delay_alu instid0(VALU_DEP_1) | instskip(NEXT) | instid1(SALU_CYCLE_1)
	s_or_b32 s3, vcc_lo, s3
	s_and_b32 exec_lo, exec_lo, s3
	s_cbranch_execz .LBB127_612
; %bb.607:
	v_cmp_gt_f64_e32 vcc_lo, 0, v[208:209]
	v_xor_b32_e32 v0, 0x80000000, v209
	v_xor_b32_e32 v2, 0x80000000, v211
	s_mov_b32 s3, exec_lo
                                        ; implicit-def: $vgpr4_vgpr5
	s_delay_alu instid0(VALU_DEP_2) | instskip(SKIP_4) | instid1(VALU_DEP_1)
	v_cndmask_b32_e32 v1, v209, v0, vcc_lo
	v_cndmask_b32_e32 v0, v208, v208, vcc_lo
	v_cmp_gt_f64_e32 vcc_lo, 0, v[210:211]
	v_cndmask_b32_e32 v3, v211, v2, vcc_lo
	v_cndmask_b32_e32 v2, v210, v210, vcc_lo
	v_cmpx_ngt_f64_e32 v[0:1], v[2:3]
	s_xor_b32 s3, exec_lo, s3
                                        ; implicit-def: $vgpr0_vgpr1_vgpr2_vgpr3
	s_cbranch_execz .LBB127_609
; %bb.608:
	v_div_scale_f64 v[0:1], null, v[210:211], v[210:211], v[208:209]
	v_div_scale_f64 v[212:213], vcc_lo, v[208:209], v[210:211], v[208:209]
	s_delay_alu instid0(VALU_DEP_2) | instskip(SKIP_2) | instid1(VALU_DEP_1)
	v_rcp_f64_e32 v[2:3], v[0:1]
	s_waitcnt_depctr 0xfff
	v_fma_f64 v[4:5], -v[0:1], v[2:3], 1.0
	v_fma_f64 v[2:3], v[2:3], v[4:5], v[2:3]
	s_delay_alu instid0(VALU_DEP_1) | instskip(NEXT) | instid1(VALU_DEP_1)
	v_fma_f64 v[4:5], -v[0:1], v[2:3], 1.0
	v_fma_f64 v[2:3], v[2:3], v[4:5], v[2:3]
	s_delay_alu instid0(VALU_DEP_1) | instskip(NEXT) | instid1(VALU_DEP_1)
	v_mul_f64 v[4:5], v[212:213], v[2:3]
	v_fma_f64 v[0:1], -v[0:1], v[4:5], v[212:213]
	s_delay_alu instid0(VALU_DEP_1) | instskip(NEXT) | instid1(VALU_DEP_1)
	v_div_fmas_f64 v[0:1], v[0:1], v[2:3], v[4:5]
	v_div_fixup_f64 v[0:1], v[0:1], v[210:211], v[208:209]
	s_delay_alu instid0(VALU_DEP_1) | instskip(NEXT) | instid1(VALU_DEP_1)
	v_fma_f64 v[2:3], v[208:209], v[0:1], v[210:211]
	v_div_scale_f64 v[4:5], null, v[2:3], v[2:3], 1.0
	s_delay_alu instid0(VALU_DEP_1) | instskip(SKIP_2) | instid1(VALU_DEP_1)
	v_rcp_f64_e32 v[208:209], v[4:5]
	s_waitcnt_depctr 0xfff
	v_fma_f64 v[210:211], -v[4:5], v[208:209], 1.0
	v_fma_f64 v[208:209], v[208:209], v[210:211], v[208:209]
	s_delay_alu instid0(VALU_DEP_1) | instskip(NEXT) | instid1(VALU_DEP_1)
	v_fma_f64 v[210:211], -v[4:5], v[208:209], 1.0
	v_fma_f64 v[208:209], v[208:209], v[210:211], v[208:209]
	v_div_scale_f64 v[210:211], vcc_lo, 1.0, v[2:3], 1.0
	s_delay_alu instid0(VALU_DEP_1) | instskip(NEXT) | instid1(VALU_DEP_1)
	v_mul_f64 v[212:213], v[210:211], v[208:209]
	v_fma_f64 v[4:5], -v[4:5], v[212:213], v[210:211]
	s_delay_alu instid0(VALU_DEP_1) | instskip(NEXT) | instid1(VALU_DEP_1)
	v_div_fmas_f64 v[4:5], v[4:5], v[208:209], v[212:213]
                                        ; implicit-def: $vgpr208_vgpr209
	v_div_fixup_f64 v[2:3], v[4:5], v[2:3], 1.0
	s_delay_alu instid0(VALU_DEP_1)
	v_mul_f64 v[4:5], v[0:1], v[2:3]
	v_xor_b32_e32 v3, 0x80000000, v3
.LBB127_609:
	s_and_not1_saveexec_b32 s3, s3
	s_cbranch_execz .LBB127_611
; %bb.610:
	v_div_scale_f64 v[0:1], null, v[208:209], v[208:209], v[210:211]
	v_div_scale_f64 v[212:213], vcc_lo, v[210:211], v[208:209], v[210:211]
	s_delay_alu instid0(VALU_DEP_2) | instskip(SKIP_2) | instid1(VALU_DEP_1)
	v_rcp_f64_e32 v[2:3], v[0:1]
	s_waitcnt_depctr 0xfff
	v_fma_f64 v[4:5], -v[0:1], v[2:3], 1.0
	v_fma_f64 v[2:3], v[2:3], v[4:5], v[2:3]
	s_delay_alu instid0(VALU_DEP_1) | instskip(NEXT) | instid1(VALU_DEP_1)
	v_fma_f64 v[4:5], -v[0:1], v[2:3], 1.0
	v_fma_f64 v[2:3], v[2:3], v[4:5], v[2:3]
	s_delay_alu instid0(VALU_DEP_1) | instskip(NEXT) | instid1(VALU_DEP_1)
	v_mul_f64 v[4:5], v[212:213], v[2:3]
	v_fma_f64 v[0:1], -v[0:1], v[4:5], v[212:213]
	s_delay_alu instid0(VALU_DEP_1) | instskip(NEXT) | instid1(VALU_DEP_1)
	v_div_fmas_f64 v[0:1], v[0:1], v[2:3], v[4:5]
	v_div_fixup_f64 v[0:1], v[0:1], v[208:209], v[210:211]
	s_delay_alu instid0(VALU_DEP_1) | instskip(NEXT) | instid1(VALU_DEP_1)
	v_fma_f64 v[2:3], v[210:211], v[0:1], v[208:209]
	v_div_scale_f64 v[4:5], null, v[2:3], v[2:3], 1.0
	s_delay_alu instid0(VALU_DEP_1) | instskip(SKIP_2) | instid1(VALU_DEP_1)
	v_rcp_f64_e32 v[208:209], v[4:5]
	s_waitcnt_depctr 0xfff
	v_fma_f64 v[210:211], -v[4:5], v[208:209], 1.0
	v_fma_f64 v[208:209], v[208:209], v[210:211], v[208:209]
	s_delay_alu instid0(VALU_DEP_1) | instskip(NEXT) | instid1(VALU_DEP_1)
	v_fma_f64 v[210:211], -v[4:5], v[208:209], 1.0
	v_fma_f64 v[208:209], v[208:209], v[210:211], v[208:209]
	v_div_scale_f64 v[210:211], vcc_lo, 1.0, v[2:3], 1.0
	s_delay_alu instid0(VALU_DEP_1) | instskip(NEXT) | instid1(VALU_DEP_1)
	v_mul_f64 v[212:213], v[210:211], v[208:209]
	v_fma_f64 v[4:5], -v[4:5], v[212:213], v[210:211]
	s_delay_alu instid0(VALU_DEP_1) | instskip(NEXT) | instid1(VALU_DEP_1)
	v_div_fmas_f64 v[4:5], v[4:5], v[208:209], v[212:213]
	v_div_fixup_f64 v[4:5], v[4:5], v[2:3], 1.0
	s_delay_alu instid0(VALU_DEP_1)
	v_mul_f64 v[2:3], v[0:1], -v[4:5]
.LBB127_611:
	s_or_b32 exec_lo, exec_lo, s3
	scratch_load_b32 v0, off, off offset:1024 ; 4-byte Folded Reload
	s_waitcnt vmcnt(0)
	ds_store_2addr_b64 v0, v[4:5], v[2:3] offset1:1
.LBB127_612:
	s_or_b32 exec_lo, exec_lo, s4
	s_waitcnt lgkmcnt(0)
	s_barrier
	buffer_gl0_inv
	scratch_load_b32 v0, off, off offset:1024 ; 4-byte Folded Reload
	s_mov_b32 s3, exec_lo
	s_waitcnt vmcnt(0)
	ds_load_2addr_b64 v[208:211], v0 offset1:1
	v_cmpx_lt_u32_e32 52, v254
	s_cbranch_execz .LBB127_614
; %bb.613:
	scratch_load_b128 v[0:3], off, off offset:832
	s_waitcnt vmcnt(0) lgkmcnt(0)
	v_mul_f64 v[4:5], v[210:211], v[2:3]
	v_mul_f64 v[2:3], v[208:209], v[2:3]
	s_delay_alu instid0(VALU_DEP_2) | instskip(NEXT) | instid1(VALU_DEP_2)
	v_fma_f64 v[212:213], v[208:209], v[0:1], -v[4:5]
	v_fma_f64 v[214:215], v[210:211], v[0:1], v[2:3]
	ds_load_2addr_b64 v[0:3], v6 offset0:106 offset1:107
	s_waitcnt lgkmcnt(0)
	v_mul_f64 v[4:5], v[2:3], v[214:215]
	s_delay_alu instid0(VALU_DEP_1) | instskip(SKIP_1) | instid1(VALU_DEP_1)
	v_fma_f64 v[4:5], v[0:1], v[212:213], -v[4:5]
	v_mul_f64 v[0:1], v[0:1], v[214:215]
	v_fma_f64 v[216:217], v[2:3], v[212:213], v[0:1]
	scratch_load_b128 v[0:3], off, off offset:848
	s_waitcnt vmcnt(0)
	v_add_f64 v[0:1], v[0:1], -v[4:5]
	v_add_f64 v[2:3], v[2:3], -v[216:217]
	s_clause 0x1
	scratch_store_b128 off, v[212:215], off offset:832
	scratch_store_b128 off, v[0:3], off offset:848
	ds_load_2addr_b64 v[0:3], v6 offset0:108 offset1:109
	s_waitcnt lgkmcnt(0)
	v_mul_f64 v[4:5], v[2:3], v[214:215]
	s_delay_alu instid0(VALU_DEP_1) | instskip(SKIP_1) | instid1(VALU_DEP_1)
	v_fma_f64 v[4:5], v[0:1], v[212:213], -v[4:5]
	v_mul_f64 v[0:1], v[0:1], v[214:215]
	v_fma_f64 v[216:217], v[2:3], v[212:213], v[0:1]
	scratch_load_b128 v[0:3], off, off offset:864
	s_waitcnt vmcnt(0)
	v_add_f64 v[0:1], v[0:1], -v[4:5]
	v_add_f64 v[2:3], v[2:3], -v[216:217]
	scratch_store_b128 off, v[0:3], off offset:864
	ds_load_2addr_b64 v[0:3], v6 offset0:110 offset1:111
	s_waitcnt lgkmcnt(0)
	v_mul_f64 v[4:5], v[2:3], v[214:215]
	s_delay_alu instid0(VALU_DEP_1) | instskip(SKIP_1) | instid1(VALU_DEP_1)
	v_fma_f64 v[4:5], v[0:1], v[212:213], -v[4:5]
	v_mul_f64 v[0:1], v[0:1], v[214:215]
	v_fma_f64 v[216:217], v[2:3], v[212:213], v[0:1]
	scratch_load_b128 v[0:3], off, off offset:880
	s_waitcnt vmcnt(0)
	v_add_f64 v[0:1], v[0:1], -v[4:5]
	v_add_f64 v[2:3], v[2:3], -v[216:217]
	;; [unrolled: 12-line block ×4, first 2 shown]
	scratch_store_b128 off, v[0:3], off offset:912
	ds_load_2addr_b64 v[0:3], v6 offset0:116 offset1:117
	s_waitcnt lgkmcnt(0)
	v_mul_f64 v[4:5], v[2:3], v[214:215]
	s_delay_alu instid0(VALU_DEP_1) | instskip(SKIP_1) | instid1(VALU_DEP_1)
	v_fma_f64 v[4:5], v[0:1], v[212:213], -v[4:5]
	v_mul_f64 v[0:1], v[0:1], v[214:215]
	v_fma_f64 v[212:213], v[2:3], v[212:213], v[0:1]
	scratch_load_b128 v[0:3], off, off offset:928
	s_waitcnt vmcnt(0)
	v_add_f64 v[2:3], v[2:3], -v[212:213]
	scratch_load_b128 v[212:215], off, off offset:832
	v_add_f64 v[0:1], v[0:1], -v[4:5]
	scratch_store_b128 off, v[0:3], off offset:928
	ds_load_2addr_b64 v[0:3], v6 offset0:118 offset1:119
	s_waitcnt vmcnt(0) lgkmcnt(0)
	v_mul_f64 v[4:5], v[2:3], v[214:215]
	s_delay_alu instid0(VALU_DEP_1) | instskip(SKIP_1) | instid1(VALU_DEP_1)
	v_fma_f64 v[4:5], v[0:1], v[212:213], -v[4:5]
	v_mul_f64 v[0:1], v[0:1], v[214:215]
	v_fma_f64 v[216:217], v[2:3], v[212:213], v[0:1]
	scratch_load_b128 v[0:3], off, off offset:944
	s_waitcnt vmcnt(0)
	v_add_f64 v[0:1], v[0:1], -v[4:5]
	v_add_f64 v[2:3], v[2:3], -v[216:217]
	scratch_store_b128 off, v[0:3], off offset:944
	ds_load_2addr_b64 v[0:3], v6 offset0:120 offset1:121
	s_waitcnt lgkmcnt(0)
	v_mul_f64 v[4:5], v[2:3], v[214:215]
	s_delay_alu instid0(VALU_DEP_1) | instskip(SKIP_1) | instid1(VALU_DEP_1)
	v_fma_f64 v[4:5], v[0:1], v[212:213], -v[4:5]
	v_mul_f64 v[0:1], v[0:1], v[214:215]
	v_fma_f64 v[216:217], v[2:3], v[212:213], v[0:1]
	scratch_load_b128 v[0:3], off, off offset:960
	s_waitcnt vmcnt(0)
	v_add_f64 v[0:1], v[0:1], -v[4:5]
	v_add_f64 v[2:3], v[2:3], -v[216:217]
	scratch_store_b128 off, v[0:3], off offset:960
	ds_load_2addr_b64 v[0:3], v6 offset0:122 offset1:123
	s_waitcnt lgkmcnt(0)
	;; [unrolled: 12-line block ×4, first 2 shown]
	v_mul_f64 v[4:5], v[2:3], v[214:215]
	s_delay_alu instid0(VALU_DEP_1) | instskip(SKIP_1) | instid1(VALU_DEP_1)
	v_fma_f64 v[4:5], v[0:1], v[212:213], -v[4:5]
	v_mul_f64 v[0:1], v[0:1], v[214:215]
	v_fma_f64 v[212:213], v[2:3], v[212:213], v[0:1]
	scratch_load_b128 v[0:3], off, off offset:1008
	s_waitcnt vmcnt(0)
	v_add_f64 v[0:1], v[0:1], -v[4:5]
	v_add_f64 v[2:3], v[2:3], -v[212:213]
	scratch_store_b128 off, v[0:3], off offset:1008
.LBB127_614:
	s_or_b32 exec_lo, exec_lo, s3
	s_delay_alu instid0(SALU_CYCLE_1)
	s_mov_b32 s4, exec_lo
	s_waitcnt lgkmcnt(0)
	s_waitcnt_vscnt null, 0x0
	s_barrier
	buffer_gl0_inv
	v_cmpx_eq_u32_e32 53, v254
	s_cbranch_execz .LBB127_621
; %bb.615:
	scratch_load_b32 v0, off, off offset:1068 ; 4-byte Folded Reload
	s_waitcnt vmcnt(0)
	scratch_load_b128 v[0:3], v0, off
	scratch_load_b32 v4, off, off offset:1024 ; 4-byte Folded Reload
	s_waitcnt vmcnt(0)
	ds_store_2addr_b64 v4, v[0:1], v[2:3] offset1:1
	scratch_load_b32 v0, off, off offset:1064 ; 4-byte Folded Reload
	s_waitcnt vmcnt(0)
	scratch_load_b128 v[0:3], v0, off
	s_waitcnt vmcnt(0)
	ds_store_2addr_b64 v6, v[0:1], v[2:3] offset0:108 offset1:109
	scratch_load_b32 v0, off, off offset:1060 ; 4-byte Folded Reload
	s_waitcnt vmcnt(0)
	scratch_load_b128 v[0:3], v0, off
	s_waitcnt vmcnt(0)
	ds_store_2addr_b64 v6, v[0:1], v[2:3] offset0:110 offset1:111
	;; [unrolled: 5-line block ×10, first 2 shown]
	ds_load_2addr_b64 v[212:215], v4 offset1:1
	s_waitcnt lgkmcnt(0)
	v_cmp_neq_f64_e32 vcc_lo, 0, v[212:213]
	v_cmp_neq_f64_e64 s3, 0, v[214:215]
	s_delay_alu instid0(VALU_DEP_1) | instskip(NEXT) | instid1(SALU_CYCLE_1)
	s_or_b32 s3, vcc_lo, s3
	s_and_b32 exec_lo, exec_lo, s3
	s_cbranch_execz .LBB127_621
; %bb.616:
	v_cmp_gt_f64_e32 vcc_lo, 0, v[212:213]
	v_xor_b32_e32 v0, 0x80000000, v213
	v_xor_b32_e32 v2, 0x80000000, v215
	s_mov_b32 s3, exec_lo
                                        ; implicit-def: $vgpr4_vgpr5
	s_delay_alu instid0(VALU_DEP_2) | instskip(SKIP_4) | instid1(VALU_DEP_1)
	v_cndmask_b32_e32 v1, v213, v0, vcc_lo
	v_cndmask_b32_e32 v0, v212, v212, vcc_lo
	v_cmp_gt_f64_e32 vcc_lo, 0, v[214:215]
	v_cndmask_b32_e32 v3, v215, v2, vcc_lo
	v_cndmask_b32_e32 v2, v214, v214, vcc_lo
	v_cmpx_ngt_f64_e32 v[0:1], v[2:3]
	s_xor_b32 s3, exec_lo, s3
                                        ; implicit-def: $vgpr0_vgpr1_vgpr2_vgpr3
	s_cbranch_execz .LBB127_618
; %bb.617:
	v_div_scale_f64 v[0:1], null, v[214:215], v[214:215], v[212:213]
	v_div_scale_f64 v[216:217], vcc_lo, v[212:213], v[214:215], v[212:213]
	s_delay_alu instid0(VALU_DEP_2) | instskip(SKIP_2) | instid1(VALU_DEP_1)
	v_rcp_f64_e32 v[2:3], v[0:1]
	s_waitcnt_depctr 0xfff
	v_fma_f64 v[4:5], -v[0:1], v[2:3], 1.0
	v_fma_f64 v[2:3], v[2:3], v[4:5], v[2:3]
	s_delay_alu instid0(VALU_DEP_1) | instskip(NEXT) | instid1(VALU_DEP_1)
	v_fma_f64 v[4:5], -v[0:1], v[2:3], 1.0
	v_fma_f64 v[2:3], v[2:3], v[4:5], v[2:3]
	s_delay_alu instid0(VALU_DEP_1) | instskip(NEXT) | instid1(VALU_DEP_1)
	v_mul_f64 v[4:5], v[216:217], v[2:3]
	v_fma_f64 v[0:1], -v[0:1], v[4:5], v[216:217]
	s_delay_alu instid0(VALU_DEP_1) | instskip(NEXT) | instid1(VALU_DEP_1)
	v_div_fmas_f64 v[0:1], v[0:1], v[2:3], v[4:5]
	v_div_fixup_f64 v[0:1], v[0:1], v[214:215], v[212:213]
	s_delay_alu instid0(VALU_DEP_1) | instskip(NEXT) | instid1(VALU_DEP_1)
	v_fma_f64 v[2:3], v[212:213], v[0:1], v[214:215]
	v_div_scale_f64 v[4:5], null, v[2:3], v[2:3], 1.0
	s_delay_alu instid0(VALU_DEP_1) | instskip(SKIP_2) | instid1(VALU_DEP_1)
	v_rcp_f64_e32 v[212:213], v[4:5]
	s_waitcnt_depctr 0xfff
	v_fma_f64 v[214:215], -v[4:5], v[212:213], 1.0
	v_fma_f64 v[212:213], v[212:213], v[214:215], v[212:213]
	s_delay_alu instid0(VALU_DEP_1) | instskip(NEXT) | instid1(VALU_DEP_1)
	v_fma_f64 v[214:215], -v[4:5], v[212:213], 1.0
	v_fma_f64 v[212:213], v[212:213], v[214:215], v[212:213]
	v_div_scale_f64 v[214:215], vcc_lo, 1.0, v[2:3], 1.0
	s_delay_alu instid0(VALU_DEP_1) | instskip(NEXT) | instid1(VALU_DEP_1)
	v_mul_f64 v[216:217], v[214:215], v[212:213]
	v_fma_f64 v[4:5], -v[4:5], v[216:217], v[214:215]
	s_delay_alu instid0(VALU_DEP_1) | instskip(NEXT) | instid1(VALU_DEP_1)
	v_div_fmas_f64 v[4:5], v[4:5], v[212:213], v[216:217]
                                        ; implicit-def: $vgpr212_vgpr213
	v_div_fixup_f64 v[2:3], v[4:5], v[2:3], 1.0
	s_delay_alu instid0(VALU_DEP_1)
	v_mul_f64 v[4:5], v[0:1], v[2:3]
	v_xor_b32_e32 v3, 0x80000000, v3
.LBB127_618:
	s_and_not1_saveexec_b32 s3, s3
	s_cbranch_execz .LBB127_620
; %bb.619:
	v_div_scale_f64 v[0:1], null, v[212:213], v[212:213], v[214:215]
	v_div_scale_f64 v[216:217], vcc_lo, v[214:215], v[212:213], v[214:215]
	s_delay_alu instid0(VALU_DEP_2) | instskip(SKIP_2) | instid1(VALU_DEP_1)
	v_rcp_f64_e32 v[2:3], v[0:1]
	s_waitcnt_depctr 0xfff
	v_fma_f64 v[4:5], -v[0:1], v[2:3], 1.0
	v_fma_f64 v[2:3], v[2:3], v[4:5], v[2:3]
	s_delay_alu instid0(VALU_DEP_1) | instskip(NEXT) | instid1(VALU_DEP_1)
	v_fma_f64 v[4:5], -v[0:1], v[2:3], 1.0
	v_fma_f64 v[2:3], v[2:3], v[4:5], v[2:3]
	s_delay_alu instid0(VALU_DEP_1) | instskip(NEXT) | instid1(VALU_DEP_1)
	v_mul_f64 v[4:5], v[216:217], v[2:3]
	v_fma_f64 v[0:1], -v[0:1], v[4:5], v[216:217]
	s_delay_alu instid0(VALU_DEP_1) | instskip(NEXT) | instid1(VALU_DEP_1)
	v_div_fmas_f64 v[0:1], v[0:1], v[2:3], v[4:5]
	v_div_fixup_f64 v[0:1], v[0:1], v[212:213], v[214:215]
	s_delay_alu instid0(VALU_DEP_1) | instskip(NEXT) | instid1(VALU_DEP_1)
	v_fma_f64 v[2:3], v[214:215], v[0:1], v[212:213]
	v_div_scale_f64 v[4:5], null, v[2:3], v[2:3], 1.0
	s_delay_alu instid0(VALU_DEP_1) | instskip(SKIP_2) | instid1(VALU_DEP_1)
	v_rcp_f64_e32 v[212:213], v[4:5]
	s_waitcnt_depctr 0xfff
	v_fma_f64 v[214:215], -v[4:5], v[212:213], 1.0
	v_fma_f64 v[212:213], v[212:213], v[214:215], v[212:213]
	s_delay_alu instid0(VALU_DEP_1) | instskip(NEXT) | instid1(VALU_DEP_1)
	v_fma_f64 v[214:215], -v[4:5], v[212:213], 1.0
	v_fma_f64 v[212:213], v[212:213], v[214:215], v[212:213]
	v_div_scale_f64 v[214:215], vcc_lo, 1.0, v[2:3], 1.0
	s_delay_alu instid0(VALU_DEP_1) | instskip(NEXT) | instid1(VALU_DEP_1)
	v_mul_f64 v[216:217], v[214:215], v[212:213]
	v_fma_f64 v[4:5], -v[4:5], v[216:217], v[214:215]
	s_delay_alu instid0(VALU_DEP_1) | instskip(NEXT) | instid1(VALU_DEP_1)
	v_div_fmas_f64 v[4:5], v[4:5], v[212:213], v[216:217]
	v_div_fixup_f64 v[4:5], v[4:5], v[2:3], 1.0
	s_delay_alu instid0(VALU_DEP_1)
	v_mul_f64 v[2:3], v[0:1], -v[4:5]
.LBB127_620:
	s_or_b32 exec_lo, exec_lo, s3
	scratch_load_b32 v0, off, off offset:1024 ; 4-byte Folded Reload
	s_waitcnt vmcnt(0)
	ds_store_2addr_b64 v0, v[4:5], v[2:3] offset1:1
.LBB127_621:
	s_or_b32 exec_lo, exec_lo, s4
	s_waitcnt lgkmcnt(0)
	s_barrier
	buffer_gl0_inv
	scratch_load_b32 v0, off, off offset:1024 ; 4-byte Folded Reload
	s_mov_b32 s3, exec_lo
	s_waitcnt vmcnt(0)
	ds_load_2addr_b64 v[212:215], v0 offset1:1
	v_cmpx_lt_u32_e32 53, v254
	s_cbranch_execz .LBB127_623
; %bb.622:
	scratch_load_b128 v[0:3], off, off offset:848
	s_waitcnt vmcnt(0) lgkmcnt(0)
	v_mul_f64 v[4:5], v[214:215], v[2:3]
	v_mul_f64 v[2:3], v[212:213], v[2:3]
	s_delay_alu instid0(VALU_DEP_2) | instskip(NEXT) | instid1(VALU_DEP_2)
	v_fma_f64 v[216:217], v[212:213], v[0:1], -v[4:5]
	v_fma_f64 v[218:219], v[214:215], v[0:1], v[2:3]
	ds_load_2addr_b64 v[0:3], v6 offset0:108 offset1:109
	s_waitcnt lgkmcnt(0)
	v_mul_f64 v[4:5], v[2:3], v[218:219]
	s_delay_alu instid0(VALU_DEP_1) | instskip(SKIP_1) | instid1(VALU_DEP_1)
	v_fma_f64 v[4:5], v[0:1], v[216:217], -v[4:5]
	v_mul_f64 v[0:1], v[0:1], v[218:219]
	v_fma_f64 v[220:221], v[2:3], v[216:217], v[0:1]
	scratch_load_b128 v[0:3], off, off offset:864
	s_waitcnt vmcnt(0)
	v_add_f64 v[0:1], v[0:1], -v[4:5]
	v_add_f64 v[2:3], v[2:3], -v[220:221]
	s_clause 0x1
	scratch_store_b128 off, v[216:219], off offset:848
	scratch_store_b128 off, v[0:3], off offset:864
	ds_load_2addr_b64 v[0:3], v6 offset0:110 offset1:111
	s_waitcnt lgkmcnt(0)
	v_mul_f64 v[4:5], v[2:3], v[218:219]
	s_delay_alu instid0(VALU_DEP_1) | instskip(SKIP_1) | instid1(VALU_DEP_1)
	v_fma_f64 v[4:5], v[0:1], v[216:217], -v[4:5]
	v_mul_f64 v[0:1], v[0:1], v[218:219]
	v_fma_f64 v[220:221], v[2:3], v[216:217], v[0:1]
	scratch_load_b128 v[0:3], off, off offset:880
	s_waitcnt vmcnt(0)
	v_add_f64 v[0:1], v[0:1], -v[4:5]
	v_add_f64 v[2:3], v[2:3], -v[220:221]
	scratch_store_b128 off, v[0:3], off offset:880
	ds_load_2addr_b64 v[0:3], v6 offset0:112 offset1:113
	s_waitcnt lgkmcnt(0)
	v_mul_f64 v[4:5], v[2:3], v[218:219]
	s_delay_alu instid0(VALU_DEP_1) | instskip(SKIP_1) | instid1(VALU_DEP_1)
	v_fma_f64 v[4:5], v[0:1], v[216:217], -v[4:5]
	v_mul_f64 v[0:1], v[0:1], v[218:219]
	v_fma_f64 v[220:221], v[2:3], v[216:217], v[0:1]
	scratch_load_b128 v[0:3], off, off offset:896
	s_waitcnt vmcnt(0)
	v_add_f64 v[0:1], v[0:1], -v[4:5]
	v_add_f64 v[2:3], v[2:3], -v[220:221]
	;; [unrolled: 12-line block ×4, first 2 shown]
	scratch_store_b128 off, v[0:3], off offset:928
	ds_load_2addr_b64 v[0:3], v6 offset0:118 offset1:119
	s_waitcnt lgkmcnt(0)
	v_mul_f64 v[4:5], v[2:3], v[218:219]
	s_delay_alu instid0(VALU_DEP_1) | instskip(SKIP_1) | instid1(VALU_DEP_1)
	v_fma_f64 v[4:5], v[0:1], v[216:217], -v[4:5]
	v_mul_f64 v[0:1], v[0:1], v[218:219]
	v_fma_f64 v[216:217], v[2:3], v[216:217], v[0:1]
	scratch_load_b128 v[0:3], off, off offset:944
	s_waitcnt vmcnt(0)
	v_add_f64 v[2:3], v[2:3], -v[216:217]
	scratch_load_b128 v[216:219], off, off offset:848
	v_add_f64 v[0:1], v[0:1], -v[4:5]
	scratch_store_b128 off, v[0:3], off offset:944
	ds_load_2addr_b64 v[0:3], v6 offset0:120 offset1:121
	s_waitcnt vmcnt(0) lgkmcnt(0)
	v_mul_f64 v[4:5], v[2:3], v[218:219]
	s_delay_alu instid0(VALU_DEP_1) | instskip(SKIP_1) | instid1(VALU_DEP_1)
	v_fma_f64 v[4:5], v[0:1], v[216:217], -v[4:5]
	v_mul_f64 v[0:1], v[0:1], v[218:219]
	v_fma_f64 v[220:221], v[2:3], v[216:217], v[0:1]
	scratch_load_b128 v[0:3], off, off offset:960
	s_waitcnt vmcnt(0)
	v_add_f64 v[0:1], v[0:1], -v[4:5]
	v_add_f64 v[2:3], v[2:3], -v[220:221]
	scratch_store_b128 off, v[0:3], off offset:960
	ds_load_2addr_b64 v[0:3], v6 offset0:122 offset1:123
	s_waitcnt lgkmcnt(0)
	v_mul_f64 v[4:5], v[2:3], v[218:219]
	s_delay_alu instid0(VALU_DEP_1) | instskip(SKIP_1) | instid1(VALU_DEP_1)
	v_fma_f64 v[4:5], v[0:1], v[216:217], -v[4:5]
	v_mul_f64 v[0:1], v[0:1], v[218:219]
	v_fma_f64 v[220:221], v[2:3], v[216:217], v[0:1]
	scratch_load_b128 v[0:3], off, off offset:976
	s_waitcnt vmcnt(0)
	v_add_f64 v[0:1], v[0:1], -v[4:5]
	v_add_f64 v[2:3], v[2:3], -v[220:221]
	scratch_store_b128 off, v[0:3], off offset:976
	ds_load_2addr_b64 v[0:3], v6 offset0:124 offset1:125
	s_waitcnt lgkmcnt(0)
	;; [unrolled: 12-line block ×3, first 2 shown]
	v_mul_f64 v[4:5], v[2:3], v[218:219]
	s_delay_alu instid0(VALU_DEP_1) | instskip(SKIP_1) | instid1(VALU_DEP_1)
	v_fma_f64 v[4:5], v[0:1], v[216:217], -v[4:5]
	v_mul_f64 v[0:1], v[0:1], v[218:219]
	v_fma_f64 v[216:217], v[2:3], v[216:217], v[0:1]
	scratch_load_b128 v[0:3], off, off offset:1008
	s_waitcnt vmcnt(0)
	v_add_f64 v[0:1], v[0:1], -v[4:5]
	v_add_f64 v[2:3], v[2:3], -v[216:217]
	scratch_store_b128 off, v[0:3], off offset:1008
.LBB127_623:
	s_or_b32 exec_lo, exec_lo, s3
	s_delay_alu instid0(SALU_CYCLE_1)
	s_mov_b32 s4, exec_lo
	s_waitcnt lgkmcnt(0)
	s_waitcnt_vscnt null, 0x0
	s_barrier
	buffer_gl0_inv
	v_cmpx_eq_u32_e32 54, v254
	s_cbranch_execz .LBB127_630
; %bb.624:
	scratch_load_b32 v0, off, off offset:1064 ; 4-byte Folded Reload
	s_waitcnt vmcnt(0)
	scratch_load_b128 v[0:3], v0, off
	scratch_load_b32 v4, off, off offset:1024 ; 4-byte Folded Reload
	s_waitcnt vmcnt(0)
	ds_store_2addr_b64 v4, v[0:1], v[2:3] offset1:1
	scratch_load_b32 v0, off, off offset:1060 ; 4-byte Folded Reload
	s_waitcnt vmcnt(0)
	scratch_load_b128 v[0:3], v0, off
	s_waitcnt vmcnt(0)
	ds_store_2addr_b64 v6, v[0:1], v[2:3] offset0:110 offset1:111
	scratch_load_b32 v0, off, off offset:1056 ; 4-byte Folded Reload
	s_waitcnt vmcnt(0)
	scratch_load_b128 v[0:3], v0, off
	s_waitcnt vmcnt(0)
	ds_store_2addr_b64 v6, v[0:1], v[2:3] offset0:112 offset1:113
	;; [unrolled: 5-line block ×9, first 2 shown]
	ds_load_2addr_b64 v[216:219], v4 offset1:1
	s_waitcnt lgkmcnt(0)
	v_cmp_neq_f64_e32 vcc_lo, 0, v[216:217]
	v_cmp_neq_f64_e64 s3, 0, v[218:219]
	s_delay_alu instid0(VALU_DEP_1) | instskip(NEXT) | instid1(SALU_CYCLE_1)
	s_or_b32 s3, vcc_lo, s3
	s_and_b32 exec_lo, exec_lo, s3
	s_cbranch_execz .LBB127_630
; %bb.625:
	v_cmp_gt_f64_e32 vcc_lo, 0, v[216:217]
	v_xor_b32_e32 v0, 0x80000000, v217
	v_xor_b32_e32 v2, 0x80000000, v219
	s_mov_b32 s3, exec_lo
                                        ; implicit-def: $vgpr4_vgpr5
	s_delay_alu instid0(VALU_DEP_2) | instskip(SKIP_4) | instid1(VALU_DEP_1)
	v_cndmask_b32_e32 v1, v217, v0, vcc_lo
	v_cndmask_b32_e32 v0, v216, v216, vcc_lo
	v_cmp_gt_f64_e32 vcc_lo, 0, v[218:219]
	v_cndmask_b32_e32 v3, v219, v2, vcc_lo
	v_cndmask_b32_e32 v2, v218, v218, vcc_lo
	v_cmpx_ngt_f64_e32 v[0:1], v[2:3]
	s_xor_b32 s3, exec_lo, s3
                                        ; implicit-def: $vgpr0_vgpr1_vgpr2_vgpr3
	s_cbranch_execz .LBB127_627
; %bb.626:
	v_div_scale_f64 v[0:1], null, v[218:219], v[218:219], v[216:217]
	v_div_scale_f64 v[220:221], vcc_lo, v[216:217], v[218:219], v[216:217]
	s_delay_alu instid0(VALU_DEP_2) | instskip(SKIP_2) | instid1(VALU_DEP_1)
	v_rcp_f64_e32 v[2:3], v[0:1]
	s_waitcnt_depctr 0xfff
	v_fma_f64 v[4:5], -v[0:1], v[2:3], 1.0
	v_fma_f64 v[2:3], v[2:3], v[4:5], v[2:3]
	s_delay_alu instid0(VALU_DEP_1) | instskip(NEXT) | instid1(VALU_DEP_1)
	v_fma_f64 v[4:5], -v[0:1], v[2:3], 1.0
	v_fma_f64 v[2:3], v[2:3], v[4:5], v[2:3]
	s_delay_alu instid0(VALU_DEP_1) | instskip(NEXT) | instid1(VALU_DEP_1)
	v_mul_f64 v[4:5], v[220:221], v[2:3]
	v_fma_f64 v[0:1], -v[0:1], v[4:5], v[220:221]
	s_delay_alu instid0(VALU_DEP_1) | instskip(NEXT) | instid1(VALU_DEP_1)
	v_div_fmas_f64 v[0:1], v[0:1], v[2:3], v[4:5]
	v_div_fixup_f64 v[0:1], v[0:1], v[218:219], v[216:217]
	s_delay_alu instid0(VALU_DEP_1) | instskip(NEXT) | instid1(VALU_DEP_1)
	v_fma_f64 v[2:3], v[216:217], v[0:1], v[218:219]
	v_div_scale_f64 v[4:5], null, v[2:3], v[2:3], 1.0
	s_delay_alu instid0(VALU_DEP_1) | instskip(SKIP_2) | instid1(VALU_DEP_1)
	v_rcp_f64_e32 v[216:217], v[4:5]
	s_waitcnt_depctr 0xfff
	v_fma_f64 v[218:219], -v[4:5], v[216:217], 1.0
	v_fma_f64 v[216:217], v[216:217], v[218:219], v[216:217]
	s_delay_alu instid0(VALU_DEP_1) | instskip(NEXT) | instid1(VALU_DEP_1)
	v_fma_f64 v[218:219], -v[4:5], v[216:217], 1.0
	v_fma_f64 v[216:217], v[216:217], v[218:219], v[216:217]
	v_div_scale_f64 v[218:219], vcc_lo, 1.0, v[2:3], 1.0
	s_delay_alu instid0(VALU_DEP_1) | instskip(NEXT) | instid1(VALU_DEP_1)
	v_mul_f64 v[220:221], v[218:219], v[216:217]
	v_fma_f64 v[4:5], -v[4:5], v[220:221], v[218:219]
	s_delay_alu instid0(VALU_DEP_1) | instskip(NEXT) | instid1(VALU_DEP_1)
	v_div_fmas_f64 v[4:5], v[4:5], v[216:217], v[220:221]
                                        ; implicit-def: $vgpr216_vgpr217
	v_div_fixup_f64 v[2:3], v[4:5], v[2:3], 1.0
	s_delay_alu instid0(VALU_DEP_1)
	v_mul_f64 v[4:5], v[0:1], v[2:3]
	v_xor_b32_e32 v3, 0x80000000, v3
.LBB127_627:
	s_and_not1_saveexec_b32 s3, s3
	s_cbranch_execz .LBB127_629
; %bb.628:
	v_div_scale_f64 v[0:1], null, v[216:217], v[216:217], v[218:219]
	v_div_scale_f64 v[220:221], vcc_lo, v[218:219], v[216:217], v[218:219]
	s_delay_alu instid0(VALU_DEP_2) | instskip(SKIP_2) | instid1(VALU_DEP_1)
	v_rcp_f64_e32 v[2:3], v[0:1]
	s_waitcnt_depctr 0xfff
	v_fma_f64 v[4:5], -v[0:1], v[2:3], 1.0
	v_fma_f64 v[2:3], v[2:3], v[4:5], v[2:3]
	s_delay_alu instid0(VALU_DEP_1) | instskip(NEXT) | instid1(VALU_DEP_1)
	v_fma_f64 v[4:5], -v[0:1], v[2:3], 1.0
	v_fma_f64 v[2:3], v[2:3], v[4:5], v[2:3]
	s_delay_alu instid0(VALU_DEP_1) | instskip(NEXT) | instid1(VALU_DEP_1)
	v_mul_f64 v[4:5], v[220:221], v[2:3]
	v_fma_f64 v[0:1], -v[0:1], v[4:5], v[220:221]
	s_delay_alu instid0(VALU_DEP_1) | instskip(NEXT) | instid1(VALU_DEP_1)
	v_div_fmas_f64 v[0:1], v[0:1], v[2:3], v[4:5]
	v_div_fixup_f64 v[0:1], v[0:1], v[216:217], v[218:219]
	s_delay_alu instid0(VALU_DEP_1) | instskip(NEXT) | instid1(VALU_DEP_1)
	v_fma_f64 v[2:3], v[218:219], v[0:1], v[216:217]
	v_div_scale_f64 v[4:5], null, v[2:3], v[2:3], 1.0
	s_delay_alu instid0(VALU_DEP_1) | instskip(SKIP_2) | instid1(VALU_DEP_1)
	v_rcp_f64_e32 v[216:217], v[4:5]
	s_waitcnt_depctr 0xfff
	v_fma_f64 v[218:219], -v[4:5], v[216:217], 1.0
	v_fma_f64 v[216:217], v[216:217], v[218:219], v[216:217]
	s_delay_alu instid0(VALU_DEP_1) | instskip(NEXT) | instid1(VALU_DEP_1)
	v_fma_f64 v[218:219], -v[4:5], v[216:217], 1.0
	v_fma_f64 v[216:217], v[216:217], v[218:219], v[216:217]
	v_div_scale_f64 v[218:219], vcc_lo, 1.0, v[2:3], 1.0
	s_delay_alu instid0(VALU_DEP_1) | instskip(NEXT) | instid1(VALU_DEP_1)
	v_mul_f64 v[220:221], v[218:219], v[216:217]
	v_fma_f64 v[4:5], -v[4:5], v[220:221], v[218:219]
	s_delay_alu instid0(VALU_DEP_1) | instskip(NEXT) | instid1(VALU_DEP_1)
	v_div_fmas_f64 v[4:5], v[4:5], v[216:217], v[220:221]
	v_div_fixup_f64 v[4:5], v[4:5], v[2:3], 1.0
	s_delay_alu instid0(VALU_DEP_1)
	v_mul_f64 v[2:3], v[0:1], -v[4:5]
.LBB127_629:
	s_or_b32 exec_lo, exec_lo, s3
	scratch_load_b32 v0, off, off offset:1024 ; 4-byte Folded Reload
	s_waitcnt vmcnt(0)
	ds_store_2addr_b64 v0, v[4:5], v[2:3] offset1:1
.LBB127_630:
	s_or_b32 exec_lo, exec_lo, s4
	s_waitcnt lgkmcnt(0)
	s_barrier
	buffer_gl0_inv
	scratch_load_b32 v0, off, off offset:1024 ; 4-byte Folded Reload
	s_mov_b32 s3, exec_lo
	s_waitcnt vmcnt(0)
	ds_load_2addr_b64 v[216:219], v0 offset1:1
	v_cmpx_lt_u32_e32 54, v254
	s_cbranch_execz .LBB127_632
; %bb.631:
	scratch_load_b128 v[0:3], off, off offset:864
	s_waitcnt vmcnt(0) lgkmcnt(0)
	v_mul_f64 v[4:5], v[218:219], v[2:3]
	v_mul_f64 v[2:3], v[216:217], v[2:3]
	s_delay_alu instid0(VALU_DEP_2) | instskip(NEXT) | instid1(VALU_DEP_2)
	v_fma_f64 v[220:221], v[216:217], v[0:1], -v[4:5]
	v_fma_f64 v[222:223], v[218:219], v[0:1], v[2:3]
	ds_load_2addr_b64 v[0:3], v6 offset0:110 offset1:111
	s_waitcnt lgkmcnt(0)
	v_mul_f64 v[4:5], v[2:3], v[222:223]
	s_delay_alu instid0(VALU_DEP_1) | instskip(SKIP_1) | instid1(VALU_DEP_1)
	v_fma_f64 v[4:5], v[0:1], v[220:221], -v[4:5]
	v_mul_f64 v[0:1], v[0:1], v[222:223]
	v_fma_f64 v[224:225], v[2:3], v[220:221], v[0:1]
	scratch_load_b128 v[0:3], off, off offset:880
	s_waitcnt vmcnt(0)
	v_add_f64 v[0:1], v[0:1], -v[4:5]
	v_add_f64 v[2:3], v[2:3], -v[224:225]
	s_clause 0x1
	scratch_store_b128 off, v[220:223], off offset:864
	scratch_store_b128 off, v[0:3], off offset:880
	ds_load_2addr_b64 v[0:3], v6 offset0:112 offset1:113
	s_waitcnt lgkmcnt(0)
	v_mul_f64 v[4:5], v[2:3], v[222:223]
	s_delay_alu instid0(VALU_DEP_1) | instskip(SKIP_1) | instid1(VALU_DEP_1)
	v_fma_f64 v[4:5], v[0:1], v[220:221], -v[4:5]
	v_mul_f64 v[0:1], v[0:1], v[222:223]
	v_fma_f64 v[224:225], v[2:3], v[220:221], v[0:1]
	scratch_load_b128 v[0:3], off, off offset:896
	s_waitcnt vmcnt(0)
	v_add_f64 v[0:1], v[0:1], -v[4:5]
	v_add_f64 v[2:3], v[2:3], -v[224:225]
	scratch_store_b128 off, v[0:3], off offset:896
	ds_load_2addr_b64 v[0:3], v6 offset0:114 offset1:115
	s_waitcnt lgkmcnt(0)
	v_mul_f64 v[4:5], v[2:3], v[222:223]
	s_delay_alu instid0(VALU_DEP_1) | instskip(SKIP_1) | instid1(VALU_DEP_1)
	v_fma_f64 v[4:5], v[0:1], v[220:221], -v[4:5]
	v_mul_f64 v[0:1], v[0:1], v[222:223]
	v_fma_f64 v[224:225], v[2:3], v[220:221], v[0:1]
	scratch_load_b128 v[0:3], off, off offset:912
	s_waitcnt vmcnt(0)
	v_add_f64 v[0:1], v[0:1], -v[4:5]
	v_add_f64 v[2:3], v[2:3], -v[224:225]
	;; [unrolled: 12-line block ×4, first 2 shown]
	scratch_store_b128 off, v[0:3], off offset:944
	ds_load_2addr_b64 v[0:3], v6 offset0:120 offset1:121
	s_waitcnt lgkmcnt(0)
	v_mul_f64 v[4:5], v[2:3], v[222:223]
	s_delay_alu instid0(VALU_DEP_1) | instskip(SKIP_1) | instid1(VALU_DEP_1)
	v_fma_f64 v[4:5], v[0:1], v[220:221], -v[4:5]
	v_mul_f64 v[0:1], v[0:1], v[222:223]
	v_fma_f64 v[220:221], v[2:3], v[220:221], v[0:1]
	scratch_load_b128 v[0:3], off, off offset:960
	s_waitcnt vmcnt(0)
	v_add_f64 v[2:3], v[2:3], -v[220:221]
	scratch_load_b128 v[220:223], off, off offset:864
	v_add_f64 v[0:1], v[0:1], -v[4:5]
	scratch_store_b128 off, v[0:3], off offset:960
	ds_load_2addr_b64 v[0:3], v6 offset0:122 offset1:123
	s_waitcnt vmcnt(0) lgkmcnt(0)
	v_mul_f64 v[4:5], v[2:3], v[222:223]
	s_delay_alu instid0(VALU_DEP_1) | instskip(SKIP_1) | instid1(VALU_DEP_1)
	v_fma_f64 v[4:5], v[0:1], v[220:221], -v[4:5]
	v_mul_f64 v[0:1], v[0:1], v[222:223]
	v_fma_f64 v[224:225], v[2:3], v[220:221], v[0:1]
	scratch_load_b128 v[0:3], off, off offset:976
	s_waitcnt vmcnt(0)
	v_add_f64 v[0:1], v[0:1], -v[4:5]
	v_add_f64 v[2:3], v[2:3], -v[224:225]
	scratch_store_b128 off, v[0:3], off offset:976
	ds_load_2addr_b64 v[0:3], v6 offset0:124 offset1:125
	s_waitcnt lgkmcnt(0)
	v_mul_f64 v[4:5], v[2:3], v[222:223]
	s_delay_alu instid0(VALU_DEP_1) | instskip(SKIP_1) | instid1(VALU_DEP_1)
	v_fma_f64 v[4:5], v[0:1], v[220:221], -v[4:5]
	v_mul_f64 v[0:1], v[0:1], v[222:223]
	v_fma_f64 v[224:225], v[2:3], v[220:221], v[0:1]
	scratch_load_b128 v[0:3], off, off offset:992
	s_waitcnt vmcnt(0)
	v_add_f64 v[0:1], v[0:1], -v[4:5]
	v_add_f64 v[2:3], v[2:3], -v[224:225]
	scratch_store_b128 off, v[0:3], off offset:992
	ds_load_2addr_b64 v[0:3], v6 offset0:126 offset1:127
	s_waitcnt lgkmcnt(0)
	v_mul_f64 v[4:5], v[2:3], v[222:223]
	s_delay_alu instid0(VALU_DEP_1) | instskip(SKIP_1) | instid1(VALU_DEP_1)
	v_fma_f64 v[4:5], v[0:1], v[220:221], -v[4:5]
	v_mul_f64 v[0:1], v[0:1], v[222:223]
	v_fma_f64 v[220:221], v[2:3], v[220:221], v[0:1]
	scratch_load_b128 v[0:3], off, off offset:1008
	s_waitcnt vmcnt(0)
	v_add_f64 v[0:1], v[0:1], -v[4:5]
	v_add_f64 v[2:3], v[2:3], -v[220:221]
	scratch_store_b128 off, v[0:3], off offset:1008
.LBB127_632:
	s_or_b32 exec_lo, exec_lo, s3
	s_delay_alu instid0(SALU_CYCLE_1)
	s_mov_b32 s4, exec_lo
	s_waitcnt lgkmcnt(0)
	s_waitcnt_vscnt null, 0x0
	s_barrier
	buffer_gl0_inv
	v_cmpx_eq_u32_e32 55, v254
	s_cbranch_execz .LBB127_639
; %bb.633:
	scratch_load_b32 v0, off, off offset:1060 ; 4-byte Folded Reload
	s_waitcnt vmcnt(0)
	scratch_load_b128 v[0:3], v0, off
	scratch_load_b32 v4, off, off offset:1024 ; 4-byte Folded Reload
	s_waitcnt vmcnt(0)
	ds_store_2addr_b64 v4, v[0:1], v[2:3] offset1:1
	scratch_load_b32 v0, off, off offset:1056 ; 4-byte Folded Reload
	s_waitcnt vmcnt(0)
	scratch_load_b128 v[0:3], v0, off
	s_waitcnt vmcnt(0)
	ds_store_2addr_b64 v6, v[0:1], v[2:3] offset0:112 offset1:113
	scratch_load_b32 v0, off, off offset:1052 ; 4-byte Folded Reload
	s_waitcnt vmcnt(0)
	scratch_load_b128 v[0:3], v0, off
	s_waitcnt vmcnt(0)
	ds_store_2addr_b64 v6, v[0:1], v[2:3] offset0:114 offset1:115
	;; [unrolled: 5-line block ×8, first 2 shown]
	ds_load_2addr_b64 v[220:223], v4 offset1:1
	s_waitcnt lgkmcnt(0)
	v_cmp_neq_f64_e32 vcc_lo, 0, v[220:221]
	v_cmp_neq_f64_e64 s3, 0, v[222:223]
	s_delay_alu instid0(VALU_DEP_1) | instskip(NEXT) | instid1(SALU_CYCLE_1)
	s_or_b32 s3, vcc_lo, s3
	s_and_b32 exec_lo, exec_lo, s3
	s_cbranch_execz .LBB127_639
; %bb.634:
	v_cmp_gt_f64_e32 vcc_lo, 0, v[220:221]
	v_xor_b32_e32 v0, 0x80000000, v221
	v_xor_b32_e32 v2, 0x80000000, v223
	s_mov_b32 s3, exec_lo
                                        ; implicit-def: $vgpr4_vgpr5
	s_delay_alu instid0(VALU_DEP_2) | instskip(SKIP_4) | instid1(VALU_DEP_1)
	v_cndmask_b32_e32 v1, v221, v0, vcc_lo
	v_cndmask_b32_e32 v0, v220, v220, vcc_lo
	v_cmp_gt_f64_e32 vcc_lo, 0, v[222:223]
	v_cndmask_b32_e32 v3, v223, v2, vcc_lo
	v_cndmask_b32_e32 v2, v222, v222, vcc_lo
	v_cmpx_ngt_f64_e32 v[0:1], v[2:3]
	s_xor_b32 s3, exec_lo, s3
                                        ; implicit-def: $vgpr0_vgpr1_vgpr2_vgpr3
	s_cbranch_execz .LBB127_636
; %bb.635:
	v_div_scale_f64 v[0:1], null, v[222:223], v[222:223], v[220:221]
	v_div_scale_f64 v[224:225], vcc_lo, v[220:221], v[222:223], v[220:221]
	s_delay_alu instid0(VALU_DEP_2) | instskip(SKIP_2) | instid1(VALU_DEP_1)
	v_rcp_f64_e32 v[2:3], v[0:1]
	s_waitcnt_depctr 0xfff
	v_fma_f64 v[4:5], -v[0:1], v[2:3], 1.0
	v_fma_f64 v[2:3], v[2:3], v[4:5], v[2:3]
	s_delay_alu instid0(VALU_DEP_1) | instskip(NEXT) | instid1(VALU_DEP_1)
	v_fma_f64 v[4:5], -v[0:1], v[2:3], 1.0
	v_fma_f64 v[2:3], v[2:3], v[4:5], v[2:3]
	s_delay_alu instid0(VALU_DEP_1) | instskip(NEXT) | instid1(VALU_DEP_1)
	v_mul_f64 v[4:5], v[224:225], v[2:3]
	v_fma_f64 v[0:1], -v[0:1], v[4:5], v[224:225]
	s_delay_alu instid0(VALU_DEP_1) | instskip(NEXT) | instid1(VALU_DEP_1)
	v_div_fmas_f64 v[0:1], v[0:1], v[2:3], v[4:5]
	v_div_fixup_f64 v[0:1], v[0:1], v[222:223], v[220:221]
	s_delay_alu instid0(VALU_DEP_1) | instskip(NEXT) | instid1(VALU_DEP_1)
	v_fma_f64 v[2:3], v[220:221], v[0:1], v[222:223]
	v_div_scale_f64 v[4:5], null, v[2:3], v[2:3], 1.0
	s_delay_alu instid0(VALU_DEP_1) | instskip(SKIP_2) | instid1(VALU_DEP_1)
	v_rcp_f64_e32 v[220:221], v[4:5]
	s_waitcnt_depctr 0xfff
	v_fma_f64 v[222:223], -v[4:5], v[220:221], 1.0
	v_fma_f64 v[220:221], v[220:221], v[222:223], v[220:221]
	s_delay_alu instid0(VALU_DEP_1) | instskip(NEXT) | instid1(VALU_DEP_1)
	v_fma_f64 v[222:223], -v[4:5], v[220:221], 1.0
	v_fma_f64 v[220:221], v[220:221], v[222:223], v[220:221]
	v_div_scale_f64 v[222:223], vcc_lo, 1.0, v[2:3], 1.0
	s_delay_alu instid0(VALU_DEP_1) | instskip(NEXT) | instid1(VALU_DEP_1)
	v_mul_f64 v[224:225], v[222:223], v[220:221]
	v_fma_f64 v[4:5], -v[4:5], v[224:225], v[222:223]
	s_delay_alu instid0(VALU_DEP_1) | instskip(NEXT) | instid1(VALU_DEP_1)
	v_div_fmas_f64 v[4:5], v[4:5], v[220:221], v[224:225]
                                        ; implicit-def: $vgpr220_vgpr221
	v_div_fixup_f64 v[2:3], v[4:5], v[2:3], 1.0
	s_delay_alu instid0(VALU_DEP_1)
	v_mul_f64 v[4:5], v[0:1], v[2:3]
	v_xor_b32_e32 v3, 0x80000000, v3
.LBB127_636:
	s_and_not1_saveexec_b32 s3, s3
	s_cbranch_execz .LBB127_638
; %bb.637:
	v_div_scale_f64 v[0:1], null, v[220:221], v[220:221], v[222:223]
	v_div_scale_f64 v[224:225], vcc_lo, v[222:223], v[220:221], v[222:223]
	s_delay_alu instid0(VALU_DEP_2) | instskip(SKIP_2) | instid1(VALU_DEP_1)
	v_rcp_f64_e32 v[2:3], v[0:1]
	s_waitcnt_depctr 0xfff
	v_fma_f64 v[4:5], -v[0:1], v[2:3], 1.0
	v_fma_f64 v[2:3], v[2:3], v[4:5], v[2:3]
	s_delay_alu instid0(VALU_DEP_1) | instskip(NEXT) | instid1(VALU_DEP_1)
	v_fma_f64 v[4:5], -v[0:1], v[2:3], 1.0
	v_fma_f64 v[2:3], v[2:3], v[4:5], v[2:3]
	s_delay_alu instid0(VALU_DEP_1) | instskip(NEXT) | instid1(VALU_DEP_1)
	v_mul_f64 v[4:5], v[224:225], v[2:3]
	v_fma_f64 v[0:1], -v[0:1], v[4:5], v[224:225]
	s_delay_alu instid0(VALU_DEP_1) | instskip(NEXT) | instid1(VALU_DEP_1)
	v_div_fmas_f64 v[0:1], v[0:1], v[2:3], v[4:5]
	v_div_fixup_f64 v[0:1], v[0:1], v[220:221], v[222:223]
	s_delay_alu instid0(VALU_DEP_1) | instskip(NEXT) | instid1(VALU_DEP_1)
	v_fma_f64 v[2:3], v[222:223], v[0:1], v[220:221]
	v_div_scale_f64 v[4:5], null, v[2:3], v[2:3], 1.0
	s_delay_alu instid0(VALU_DEP_1) | instskip(SKIP_2) | instid1(VALU_DEP_1)
	v_rcp_f64_e32 v[220:221], v[4:5]
	s_waitcnt_depctr 0xfff
	v_fma_f64 v[222:223], -v[4:5], v[220:221], 1.0
	v_fma_f64 v[220:221], v[220:221], v[222:223], v[220:221]
	s_delay_alu instid0(VALU_DEP_1) | instskip(NEXT) | instid1(VALU_DEP_1)
	v_fma_f64 v[222:223], -v[4:5], v[220:221], 1.0
	v_fma_f64 v[220:221], v[220:221], v[222:223], v[220:221]
	v_div_scale_f64 v[222:223], vcc_lo, 1.0, v[2:3], 1.0
	s_delay_alu instid0(VALU_DEP_1) | instskip(NEXT) | instid1(VALU_DEP_1)
	v_mul_f64 v[224:225], v[222:223], v[220:221]
	v_fma_f64 v[4:5], -v[4:5], v[224:225], v[222:223]
	s_delay_alu instid0(VALU_DEP_1) | instskip(NEXT) | instid1(VALU_DEP_1)
	v_div_fmas_f64 v[4:5], v[4:5], v[220:221], v[224:225]
	v_div_fixup_f64 v[4:5], v[4:5], v[2:3], 1.0
	s_delay_alu instid0(VALU_DEP_1)
	v_mul_f64 v[2:3], v[0:1], -v[4:5]
.LBB127_638:
	s_or_b32 exec_lo, exec_lo, s3
	scratch_load_b32 v0, off, off offset:1024 ; 4-byte Folded Reload
	s_waitcnt vmcnt(0)
	ds_store_2addr_b64 v0, v[4:5], v[2:3] offset1:1
.LBB127_639:
	s_or_b32 exec_lo, exec_lo, s4
	s_waitcnt lgkmcnt(0)
	s_barrier
	buffer_gl0_inv
	scratch_load_b32 v0, off, off offset:1024 ; 4-byte Folded Reload
	s_mov_b32 s3, exec_lo
	s_waitcnt vmcnt(0)
	ds_load_2addr_b64 v[220:223], v0 offset1:1
	v_cmpx_lt_u32_e32 55, v254
	s_cbranch_execz .LBB127_641
; %bb.640:
	scratch_load_b128 v[0:3], off, off offset:880
	s_waitcnt vmcnt(0) lgkmcnt(0)
	v_mul_f64 v[4:5], v[222:223], v[2:3]
	v_mul_f64 v[2:3], v[220:221], v[2:3]
	s_delay_alu instid0(VALU_DEP_2) | instskip(NEXT) | instid1(VALU_DEP_2)
	v_fma_f64 v[224:225], v[220:221], v[0:1], -v[4:5]
	v_fma_f64 v[226:227], v[222:223], v[0:1], v[2:3]
	ds_load_2addr_b64 v[0:3], v6 offset0:112 offset1:113
	s_waitcnt lgkmcnt(0)
	v_mul_f64 v[4:5], v[2:3], v[226:227]
	s_delay_alu instid0(VALU_DEP_1) | instskip(SKIP_1) | instid1(VALU_DEP_1)
	v_fma_f64 v[4:5], v[0:1], v[224:225], -v[4:5]
	v_mul_f64 v[0:1], v[0:1], v[226:227]
	v_fma_f64 v[228:229], v[2:3], v[224:225], v[0:1]
	scratch_load_b128 v[0:3], off, off offset:896
	s_waitcnt vmcnt(0)
	v_add_f64 v[0:1], v[0:1], -v[4:5]
	v_add_f64 v[2:3], v[2:3], -v[228:229]
	s_clause 0x1
	scratch_store_b128 off, v[224:227], off offset:880
	scratch_store_b128 off, v[0:3], off offset:896
	ds_load_2addr_b64 v[0:3], v6 offset0:114 offset1:115
	s_waitcnt lgkmcnt(0)
	v_mul_f64 v[4:5], v[2:3], v[226:227]
	s_delay_alu instid0(VALU_DEP_1) | instskip(SKIP_1) | instid1(VALU_DEP_1)
	v_fma_f64 v[4:5], v[0:1], v[224:225], -v[4:5]
	v_mul_f64 v[0:1], v[0:1], v[226:227]
	v_fma_f64 v[228:229], v[2:3], v[224:225], v[0:1]
	scratch_load_b128 v[0:3], off, off offset:912
	s_waitcnt vmcnt(0)
	v_add_f64 v[0:1], v[0:1], -v[4:5]
	v_add_f64 v[2:3], v[2:3], -v[228:229]
	scratch_store_b128 off, v[0:3], off offset:912
	ds_load_2addr_b64 v[0:3], v6 offset0:116 offset1:117
	s_waitcnt lgkmcnt(0)
	v_mul_f64 v[4:5], v[2:3], v[226:227]
	s_delay_alu instid0(VALU_DEP_1) | instskip(SKIP_1) | instid1(VALU_DEP_1)
	v_fma_f64 v[4:5], v[0:1], v[224:225], -v[4:5]
	v_mul_f64 v[0:1], v[0:1], v[226:227]
	v_fma_f64 v[228:229], v[2:3], v[224:225], v[0:1]
	scratch_load_b128 v[0:3], off, off offset:928
	s_waitcnt vmcnt(0)
	v_add_f64 v[0:1], v[0:1], -v[4:5]
	v_add_f64 v[2:3], v[2:3], -v[228:229]
	;; [unrolled: 12-line block ×4, first 2 shown]
	scratch_store_b128 off, v[0:3], off offset:960
	ds_load_2addr_b64 v[0:3], v6 offset0:122 offset1:123
	s_waitcnt lgkmcnt(0)
	v_mul_f64 v[4:5], v[2:3], v[226:227]
	s_delay_alu instid0(VALU_DEP_1) | instskip(SKIP_1) | instid1(VALU_DEP_1)
	v_fma_f64 v[4:5], v[0:1], v[224:225], -v[4:5]
	v_mul_f64 v[0:1], v[0:1], v[226:227]
	v_fma_f64 v[224:225], v[2:3], v[224:225], v[0:1]
	scratch_load_b128 v[0:3], off, off offset:976
	s_waitcnt vmcnt(0)
	v_add_f64 v[2:3], v[2:3], -v[224:225]
	scratch_load_b128 v[224:227], off, off offset:880
	v_add_f64 v[0:1], v[0:1], -v[4:5]
	scratch_store_b128 off, v[0:3], off offset:976
	ds_load_2addr_b64 v[0:3], v6 offset0:124 offset1:125
	s_waitcnt vmcnt(0) lgkmcnt(0)
	v_mul_f64 v[4:5], v[2:3], v[226:227]
	s_delay_alu instid0(VALU_DEP_1) | instskip(SKIP_1) | instid1(VALU_DEP_1)
	v_fma_f64 v[4:5], v[0:1], v[224:225], -v[4:5]
	v_mul_f64 v[0:1], v[0:1], v[226:227]
	v_fma_f64 v[228:229], v[2:3], v[224:225], v[0:1]
	scratch_load_b128 v[0:3], off, off offset:992
	s_waitcnt vmcnt(0)
	v_add_f64 v[0:1], v[0:1], -v[4:5]
	v_add_f64 v[2:3], v[2:3], -v[228:229]
	scratch_store_b128 off, v[0:3], off offset:992
	ds_load_2addr_b64 v[0:3], v6 offset0:126 offset1:127
	s_waitcnt lgkmcnt(0)
	v_mul_f64 v[4:5], v[2:3], v[226:227]
	s_delay_alu instid0(VALU_DEP_1) | instskip(SKIP_1) | instid1(VALU_DEP_1)
	v_fma_f64 v[4:5], v[0:1], v[224:225], -v[4:5]
	v_mul_f64 v[0:1], v[0:1], v[226:227]
	v_fma_f64 v[224:225], v[2:3], v[224:225], v[0:1]
	scratch_load_b128 v[0:3], off, off offset:1008
	s_waitcnt vmcnt(0)
	v_add_f64 v[0:1], v[0:1], -v[4:5]
	v_add_f64 v[2:3], v[2:3], -v[224:225]
	scratch_store_b128 off, v[0:3], off offset:1008
.LBB127_641:
	s_or_b32 exec_lo, exec_lo, s3
	s_delay_alu instid0(SALU_CYCLE_1)
	s_mov_b32 s4, exec_lo
	s_waitcnt lgkmcnt(0)
	s_waitcnt_vscnt null, 0x0
	s_barrier
	buffer_gl0_inv
	v_cmpx_eq_u32_e32 56, v254
	s_cbranch_execz .LBB127_648
; %bb.642:
	scratch_load_b32 v0, off, off offset:1056 ; 4-byte Folded Reload
	s_waitcnt vmcnt(0)
	scratch_load_b128 v[0:3], v0, off
	scratch_load_b32 v4, off, off offset:1024 ; 4-byte Folded Reload
	s_waitcnt vmcnt(0)
	ds_store_2addr_b64 v4, v[0:1], v[2:3] offset1:1
	scratch_load_b32 v0, off, off offset:1052 ; 4-byte Folded Reload
	s_waitcnt vmcnt(0)
	scratch_load_b128 v[0:3], v0, off
	s_waitcnt vmcnt(0)
	ds_store_2addr_b64 v6, v[0:1], v[2:3] offset0:114 offset1:115
	scratch_load_b32 v0, off, off offset:1048 ; 4-byte Folded Reload
	s_waitcnt vmcnt(0)
	scratch_load_b128 v[0:3], v0, off
	s_waitcnt vmcnt(0)
	ds_store_2addr_b64 v6, v[0:1], v[2:3] offset0:116 offset1:117
	scratch_load_b32 v0, off, off offset:1044 ; 4-byte Folded Reload
	s_waitcnt vmcnt(0)
	scratch_load_b128 v[0:3], v0, off
	s_waitcnt vmcnt(0)
	ds_store_2addr_b64 v6, v[0:1], v[2:3] offset0:118 offset1:119
	scratch_load_b32 v0, off, off offset:1040 ; 4-byte Folded Reload
	s_waitcnt vmcnt(0)
	scratch_load_b128 v[0:3], v0, off
	s_waitcnt vmcnt(0)
	ds_store_2addr_b64 v6, v[0:1], v[2:3] offset0:120 offset1:121
	scratch_load_b32 v0, off, off offset:1036 ; 4-byte Folded Reload
	s_waitcnt vmcnt(0)
	scratch_load_b128 v[0:3], v0, off
	s_waitcnt vmcnt(0)
	ds_store_2addr_b64 v6, v[0:1], v[2:3] offset0:122 offset1:123
	scratch_load_b32 v0, off, off offset:1032 ; 4-byte Folded Reload
	s_waitcnt vmcnt(0)
	scratch_load_b128 v[0:3], v0, off
	s_waitcnt vmcnt(0)
	ds_store_2addr_b64 v6, v[0:1], v[2:3] offset0:124 offset1:125
	scratch_load_b32 v0, off, off offset:1028 ; 4-byte Folded Reload
	s_waitcnt vmcnt(0)
	scratch_load_b128 v[0:3], v0, off
	s_waitcnt vmcnt(0)
	ds_store_2addr_b64 v6, v[0:1], v[2:3] offset0:126 offset1:127
	ds_load_2addr_b64 v[224:227], v4 offset1:1
	s_waitcnt lgkmcnt(0)
	v_cmp_neq_f64_e32 vcc_lo, 0, v[224:225]
	v_cmp_neq_f64_e64 s3, 0, v[226:227]
	s_delay_alu instid0(VALU_DEP_1) | instskip(NEXT) | instid1(SALU_CYCLE_1)
	s_or_b32 s3, vcc_lo, s3
	s_and_b32 exec_lo, exec_lo, s3
	s_cbranch_execz .LBB127_648
; %bb.643:
	v_cmp_gt_f64_e32 vcc_lo, 0, v[224:225]
	v_xor_b32_e32 v0, 0x80000000, v225
	v_xor_b32_e32 v2, 0x80000000, v227
	s_mov_b32 s3, exec_lo
                                        ; implicit-def: $vgpr4_vgpr5
	s_delay_alu instid0(VALU_DEP_2) | instskip(SKIP_4) | instid1(VALU_DEP_1)
	v_cndmask_b32_e32 v1, v225, v0, vcc_lo
	v_cndmask_b32_e32 v0, v224, v224, vcc_lo
	v_cmp_gt_f64_e32 vcc_lo, 0, v[226:227]
	v_cndmask_b32_e32 v3, v227, v2, vcc_lo
	v_cndmask_b32_e32 v2, v226, v226, vcc_lo
	v_cmpx_ngt_f64_e32 v[0:1], v[2:3]
	s_xor_b32 s3, exec_lo, s3
                                        ; implicit-def: $vgpr0_vgpr1_vgpr2_vgpr3
	s_cbranch_execz .LBB127_645
; %bb.644:
	v_div_scale_f64 v[0:1], null, v[226:227], v[226:227], v[224:225]
	v_div_scale_f64 v[228:229], vcc_lo, v[224:225], v[226:227], v[224:225]
	s_delay_alu instid0(VALU_DEP_2) | instskip(SKIP_2) | instid1(VALU_DEP_1)
	v_rcp_f64_e32 v[2:3], v[0:1]
	s_waitcnt_depctr 0xfff
	v_fma_f64 v[4:5], -v[0:1], v[2:3], 1.0
	v_fma_f64 v[2:3], v[2:3], v[4:5], v[2:3]
	s_delay_alu instid0(VALU_DEP_1) | instskip(NEXT) | instid1(VALU_DEP_1)
	v_fma_f64 v[4:5], -v[0:1], v[2:3], 1.0
	v_fma_f64 v[2:3], v[2:3], v[4:5], v[2:3]
	s_delay_alu instid0(VALU_DEP_1) | instskip(NEXT) | instid1(VALU_DEP_1)
	v_mul_f64 v[4:5], v[228:229], v[2:3]
	v_fma_f64 v[0:1], -v[0:1], v[4:5], v[228:229]
	s_delay_alu instid0(VALU_DEP_1) | instskip(NEXT) | instid1(VALU_DEP_1)
	v_div_fmas_f64 v[0:1], v[0:1], v[2:3], v[4:5]
	v_div_fixup_f64 v[0:1], v[0:1], v[226:227], v[224:225]
	s_delay_alu instid0(VALU_DEP_1) | instskip(NEXT) | instid1(VALU_DEP_1)
	v_fma_f64 v[2:3], v[224:225], v[0:1], v[226:227]
	v_div_scale_f64 v[4:5], null, v[2:3], v[2:3], 1.0
	s_delay_alu instid0(VALU_DEP_1) | instskip(SKIP_2) | instid1(VALU_DEP_1)
	v_rcp_f64_e32 v[224:225], v[4:5]
	s_waitcnt_depctr 0xfff
	v_fma_f64 v[226:227], -v[4:5], v[224:225], 1.0
	v_fma_f64 v[224:225], v[224:225], v[226:227], v[224:225]
	s_delay_alu instid0(VALU_DEP_1) | instskip(NEXT) | instid1(VALU_DEP_1)
	v_fma_f64 v[226:227], -v[4:5], v[224:225], 1.0
	v_fma_f64 v[224:225], v[224:225], v[226:227], v[224:225]
	v_div_scale_f64 v[226:227], vcc_lo, 1.0, v[2:3], 1.0
	s_delay_alu instid0(VALU_DEP_1) | instskip(NEXT) | instid1(VALU_DEP_1)
	v_mul_f64 v[228:229], v[226:227], v[224:225]
	v_fma_f64 v[4:5], -v[4:5], v[228:229], v[226:227]
	s_delay_alu instid0(VALU_DEP_1) | instskip(NEXT) | instid1(VALU_DEP_1)
	v_div_fmas_f64 v[4:5], v[4:5], v[224:225], v[228:229]
                                        ; implicit-def: $vgpr224_vgpr225
	v_div_fixup_f64 v[2:3], v[4:5], v[2:3], 1.0
	s_delay_alu instid0(VALU_DEP_1)
	v_mul_f64 v[4:5], v[0:1], v[2:3]
	v_xor_b32_e32 v3, 0x80000000, v3
.LBB127_645:
	s_and_not1_saveexec_b32 s3, s3
	s_cbranch_execz .LBB127_647
; %bb.646:
	v_div_scale_f64 v[0:1], null, v[224:225], v[224:225], v[226:227]
	v_div_scale_f64 v[228:229], vcc_lo, v[226:227], v[224:225], v[226:227]
	s_delay_alu instid0(VALU_DEP_2) | instskip(SKIP_2) | instid1(VALU_DEP_1)
	v_rcp_f64_e32 v[2:3], v[0:1]
	s_waitcnt_depctr 0xfff
	v_fma_f64 v[4:5], -v[0:1], v[2:3], 1.0
	v_fma_f64 v[2:3], v[2:3], v[4:5], v[2:3]
	s_delay_alu instid0(VALU_DEP_1) | instskip(NEXT) | instid1(VALU_DEP_1)
	v_fma_f64 v[4:5], -v[0:1], v[2:3], 1.0
	v_fma_f64 v[2:3], v[2:3], v[4:5], v[2:3]
	s_delay_alu instid0(VALU_DEP_1) | instskip(NEXT) | instid1(VALU_DEP_1)
	v_mul_f64 v[4:5], v[228:229], v[2:3]
	v_fma_f64 v[0:1], -v[0:1], v[4:5], v[228:229]
	s_delay_alu instid0(VALU_DEP_1) | instskip(NEXT) | instid1(VALU_DEP_1)
	v_div_fmas_f64 v[0:1], v[0:1], v[2:3], v[4:5]
	v_div_fixup_f64 v[0:1], v[0:1], v[224:225], v[226:227]
	s_delay_alu instid0(VALU_DEP_1) | instskip(NEXT) | instid1(VALU_DEP_1)
	v_fma_f64 v[2:3], v[226:227], v[0:1], v[224:225]
	v_div_scale_f64 v[4:5], null, v[2:3], v[2:3], 1.0
	s_delay_alu instid0(VALU_DEP_1) | instskip(SKIP_2) | instid1(VALU_DEP_1)
	v_rcp_f64_e32 v[224:225], v[4:5]
	s_waitcnt_depctr 0xfff
	v_fma_f64 v[226:227], -v[4:5], v[224:225], 1.0
	v_fma_f64 v[224:225], v[224:225], v[226:227], v[224:225]
	s_delay_alu instid0(VALU_DEP_1) | instskip(NEXT) | instid1(VALU_DEP_1)
	v_fma_f64 v[226:227], -v[4:5], v[224:225], 1.0
	v_fma_f64 v[224:225], v[224:225], v[226:227], v[224:225]
	v_div_scale_f64 v[226:227], vcc_lo, 1.0, v[2:3], 1.0
	s_delay_alu instid0(VALU_DEP_1) | instskip(NEXT) | instid1(VALU_DEP_1)
	v_mul_f64 v[228:229], v[226:227], v[224:225]
	v_fma_f64 v[4:5], -v[4:5], v[228:229], v[226:227]
	s_delay_alu instid0(VALU_DEP_1) | instskip(NEXT) | instid1(VALU_DEP_1)
	v_div_fmas_f64 v[4:5], v[4:5], v[224:225], v[228:229]
	v_div_fixup_f64 v[4:5], v[4:5], v[2:3], 1.0
	s_delay_alu instid0(VALU_DEP_1)
	v_mul_f64 v[2:3], v[0:1], -v[4:5]
.LBB127_647:
	s_or_b32 exec_lo, exec_lo, s3
	scratch_load_b32 v0, off, off offset:1024 ; 4-byte Folded Reload
	s_waitcnt vmcnt(0)
	ds_store_2addr_b64 v0, v[4:5], v[2:3] offset1:1
.LBB127_648:
	s_or_b32 exec_lo, exec_lo, s4
	s_waitcnt lgkmcnt(0)
	s_barrier
	buffer_gl0_inv
	scratch_load_b32 v0, off, off offset:1024 ; 4-byte Folded Reload
	s_mov_b32 s3, exec_lo
	s_waitcnt vmcnt(0)
	ds_load_2addr_b64 v[224:227], v0 offset1:1
	v_cmpx_lt_u32_e32 56, v254
	s_cbranch_execz .LBB127_650
; %bb.649:
	scratch_load_b128 v[0:3], off, off offset:896
	s_waitcnt vmcnt(0) lgkmcnt(0)
	v_mul_f64 v[4:5], v[226:227], v[2:3]
	v_mul_f64 v[2:3], v[224:225], v[2:3]
	s_delay_alu instid0(VALU_DEP_2) | instskip(NEXT) | instid1(VALU_DEP_2)
	v_fma_f64 v[228:229], v[224:225], v[0:1], -v[4:5]
	v_fma_f64 v[230:231], v[226:227], v[0:1], v[2:3]
	ds_load_2addr_b64 v[0:3], v6 offset0:114 offset1:115
	s_waitcnt lgkmcnt(0)
	v_mul_f64 v[4:5], v[2:3], v[230:231]
	s_delay_alu instid0(VALU_DEP_1) | instskip(SKIP_1) | instid1(VALU_DEP_1)
	v_fma_f64 v[4:5], v[0:1], v[228:229], -v[4:5]
	v_mul_f64 v[0:1], v[0:1], v[230:231]
	v_fma_f64 v[232:233], v[2:3], v[228:229], v[0:1]
	scratch_load_b128 v[0:3], off, off offset:912
	s_waitcnt vmcnt(0)
	v_add_f64 v[0:1], v[0:1], -v[4:5]
	v_add_f64 v[2:3], v[2:3], -v[232:233]
	s_clause 0x1
	scratch_store_b128 off, v[228:231], off offset:896
	scratch_store_b128 off, v[0:3], off offset:912
	ds_load_2addr_b64 v[0:3], v6 offset0:116 offset1:117
	s_waitcnt lgkmcnt(0)
	v_mul_f64 v[4:5], v[2:3], v[230:231]
	s_delay_alu instid0(VALU_DEP_1) | instskip(SKIP_1) | instid1(VALU_DEP_1)
	v_fma_f64 v[4:5], v[0:1], v[228:229], -v[4:5]
	v_mul_f64 v[0:1], v[0:1], v[230:231]
	v_fma_f64 v[232:233], v[2:3], v[228:229], v[0:1]
	scratch_load_b128 v[0:3], off, off offset:928
	s_waitcnt vmcnt(0)
	v_add_f64 v[0:1], v[0:1], -v[4:5]
	v_add_f64 v[2:3], v[2:3], -v[232:233]
	scratch_store_b128 off, v[0:3], off offset:928
	ds_load_2addr_b64 v[0:3], v6 offset0:118 offset1:119
	s_waitcnt lgkmcnt(0)
	v_mul_f64 v[4:5], v[2:3], v[230:231]
	s_delay_alu instid0(VALU_DEP_1) | instskip(SKIP_1) | instid1(VALU_DEP_1)
	v_fma_f64 v[4:5], v[0:1], v[228:229], -v[4:5]
	v_mul_f64 v[0:1], v[0:1], v[230:231]
	v_fma_f64 v[232:233], v[2:3], v[228:229], v[0:1]
	scratch_load_b128 v[0:3], off, off offset:944
	s_waitcnt vmcnt(0)
	v_add_f64 v[0:1], v[0:1], -v[4:5]
	v_add_f64 v[2:3], v[2:3], -v[232:233]
	;; [unrolled: 12-line block ×4, first 2 shown]
	scratch_store_b128 off, v[0:3], off offset:976
	ds_load_2addr_b64 v[0:3], v6 offset0:124 offset1:125
	s_waitcnt lgkmcnt(0)
	v_mul_f64 v[4:5], v[2:3], v[230:231]
	s_delay_alu instid0(VALU_DEP_1) | instskip(SKIP_1) | instid1(VALU_DEP_1)
	v_fma_f64 v[4:5], v[0:1], v[228:229], -v[4:5]
	v_mul_f64 v[0:1], v[0:1], v[230:231]
	v_fma_f64 v[228:229], v[2:3], v[228:229], v[0:1]
	scratch_load_b128 v[0:3], off, off offset:992
	s_waitcnt vmcnt(0)
	v_add_f64 v[2:3], v[2:3], -v[228:229]
	scratch_load_b128 v[228:231], off, off offset:896
	v_add_f64 v[0:1], v[0:1], -v[4:5]
	scratch_store_b128 off, v[0:3], off offset:992
	ds_load_2addr_b64 v[0:3], v6 offset0:126 offset1:127
	s_waitcnt vmcnt(0) lgkmcnt(0)
	v_mul_f64 v[4:5], v[2:3], v[230:231]
	s_delay_alu instid0(VALU_DEP_1) | instskip(SKIP_1) | instid1(VALU_DEP_1)
	v_fma_f64 v[4:5], v[0:1], v[228:229], -v[4:5]
	v_mul_f64 v[0:1], v[0:1], v[230:231]
	v_fma_f64 v[228:229], v[2:3], v[228:229], v[0:1]
	scratch_load_b128 v[0:3], off, off offset:1008
	s_waitcnt vmcnt(0)
	v_add_f64 v[0:1], v[0:1], -v[4:5]
	v_add_f64 v[2:3], v[2:3], -v[228:229]
	scratch_store_b128 off, v[0:3], off offset:1008
.LBB127_650:
	s_or_b32 exec_lo, exec_lo, s3
	s_delay_alu instid0(SALU_CYCLE_1)
	s_mov_b32 s4, exec_lo
	s_waitcnt lgkmcnt(0)
	s_waitcnt_vscnt null, 0x0
	s_barrier
	buffer_gl0_inv
	v_cmpx_eq_u32_e32 57, v254
	s_cbranch_execz .LBB127_657
; %bb.651:
	scratch_load_b32 v0, off, off offset:1052 ; 4-byte Folded Reload
	s_waitcnt vmcnt(0)
	scratch_load_b128 v[0:3], v0, off
	scratch_load_b32 v4, off, off offset:1024 ; 4-byte Folded Reload
	s_waitcnt vmcnt(0)
	ds_store_2addr_b64 v4, v[0:1], v[2:3] offset1:1
	scratch_load_b32 v0, off, off offset:1048 ; 4-byte Folded Reload
	s_waitcnt vmcnt(0)
	scratch_load_b128 v[0:3], v0, off
	s_waitcnt vmcnt(0)
	ds_store_2addr_b64 v6, v[0:1], v[2:3] offset0:116 offset1:117
	scratch_load_b32 v0, off, off offset:1044 ; 4-byte Folded Reload
	s_waitcnt vmcnt(0)
	scratch_load_b128 v[0:3], v0, off
	s_waitcnt vmcnt(0)
	ds_store_2addr_b64 v6, v[0:1], v[2:3] offset0:118 offset1:119
	scratch_load_b32 v0, off, off offset:1040 ; 4-byte Folded Reload
	s_waitcnt vmcnt(0)
	scratch_load_b128 v[0:3], v0, off
	s_waitcnt vmcnt(0)
	ds_store_2addr_b64 v6, v[0:1], v[2:3] offset0:120 offset1:121
	scratch_load_b32 v0, off, off offset:1036 ; 4-byte Folded Reload
	s_waitcnt vmcnt(0)
	scratch_load_b128 v[0:3], v0, off
	s_waitcnt vmcnt(0)
	ds_store_2addr_b64 v6, v[0:1], v[2:3] offset0:122 offset1:123
	scratch_load_b32 v0, off, off offset:1032 ; 4-byte Folded Reload
	s_waitcnt vmcnt(0)
	scratch_load_b128 v[0:3], v0, off
	s_waitcnt vmcnt(0)
	ds_store_2addr_b64 v6, v[0:1], v[2:3] offset0:124 offset1:125
	scratch_load_b32 v0, off, off offset:1028 ; 4-byte Folded Reload
	s_waitcnt vmcnt(0)
	scratch_load_b128 v[0:3], v0, off
	s_waitcnt vmcnt(0)
	ds_store_2addr_b64 v6, v[0:1], v[2:3] offset0:126 offset1:127
	ds_load_2addr_b64 v[228:231], v4 offset1:1
	s_waitcnt lgkmcnt(0)
	v_cmp_neq_f64_e32 vcc_lo, 0, v[228:229]
	v_cmp_neq_f64_e64 s3, 0, v[230:231]
	s_delay_alu instid0(VALU_DEP_1) | instskip(NEXT) | instid1(SALU_CYCLE_1)
	s_or_b32 s3, vcc_lo, s3
	s_and_b32 exec_lo, exec_lo, s3
	s_cbranch_execz .LBB127_657
; %bb.652:
	v_cmp_gt_f64_e32 vcc_lo, 0, v[228:229]
	v_xor_b32_e32 v0, 0x80000000, v229
	v_xor_b32_e32 v2, 0x80000000, v231
	s_mov_b32 s3, exec_lo
                                        ; implicit-def: $vgpr4_vgpr5
	s_delay_alu instid0(VALU_DEP_2) | instskip(SKIP_4) | instid1(VALU_DEP_1)
	v_cndmask_b32_e32 v1, v229, v0, vcc_lo
	v_cndmask_b32_e32 v0, v228, v228, vcc_lo
	v_cmp_gt_f64_e32 vcc_lo, 0, v[230:231]
	v_cndmask_b32_e32 v3, v231, v2, vcc_lo
	v_cndmask_b32_e32 v2, v230, v230, vcc_lo
	v_cmpx_ngt_f64_e32 v[0:1], v[2:3]
	s_xor_b32 s3, exec_lo, s3
                                        ; implicit-def: $vgpr0_vgpr1_vgpr2_vgpr3
	s_cbranch_execz .LBB127_654
; %bb.653:
	v_div_scale_f64 v[0:1], null, v[230:231], v[230:231], v[228:229]
	v_div_scale_f64 v[232:233], vcc_lo, v[228:229], v[230:231], v[228:229]
	s_delay_alu instid0(VALU_DEP_2) | instskip(SKIP_2) | instid1(VALU_DEP_1)
	v_rcp_f64_e32 v[2:3], v[0:1]
	s_waitcnt_depctr 0xfff
	v_fma_f64 v[4:5], -v[0:1], v[2:3], 1.0
	v_fma_f64 v[2:3], v[2:3], v[4:5], v[2:3]
	s_delay_alu instid0(VALU_DEP_1) | instskip(NEXT) | instid1(VALU_DEP_1)
	v_fma_f64 v[4:5], -v[0:1], v[2:3], 1.0
	v_fma_f64 v[2:3], v[2:3], v[4:5], v[2:3]
	s_delay_alu instid0(VALU_DEP_1) | instskip(NEXT) | instid1(VALU_DEP_1)
	v_mul_f64 v[4:5], v[232:233], v[2:3]
	v_fma_f64 v[0:1], -v[0:1], v[4:5], v[232:233]
	s_delay_alu instid0(VALU_DEP_1) | instskip(NEXT) | instid1(VALU_DEP_1)
	v_div_fmas_f64 v[0:1], v[0:1], v[2:3], v[4:5]
	v_div_fixup_f64 v[0:1], v[0:1], v[230:231], v[228:229]
	s_delay_alu instid0(VALU_DEP_1) | instskip(NEXT) | instid1(VALU_DEP_1)
	v_fma_f64 v[2:3], v[228:229], v[0:1], v[230:231]
	v_div_scale_f64 v[4:5], null, v[2:3], v[2:3], 1.0
	s_delay_alu instid0(VALU_DEP_1) | instskip(SKIP_2) | instid1(VALU_DEP_1)
	v_rcp_f64_e32 v[228:229], v[4:5]
	s_waitcnt_depctr 0xfff
	v_fma_f64 v[230:231], -v[4:5], v[228:229], 1.0
	v_fma_f64 v[228:229], v[228:229], v[230:231], v[228:229]
	s_delay_alu instid0(VALU_DEP_1) | instskip(NEXT) | instid1(VALU_DEP_1)
	v_fma_f64 v[230:231], -v[4:5], v[228:229], 1.0
	v_fma_f64 v[228:229], v[228:229], v[230:231], v[228:229]
	v_div_scale_f64 v[230:231], vcc_lo, 1.0, v[2:3], 1.0
	s_delay_alu instid0(VALU_DEP_1) | instskip(NEXT) | instid1(VALU_DEP_1)
	v_mul_f64 v[232:233], v[230:231], v[228:229]
	v_fma_f64 v[4:5], -v[4:5], v[232:233], v[230:231]
	s_delay_alu instid0(VALU_DEP_1) | instskip(NEXT) | instid1(VALU_DEP_1)
	v_div_fmas_f64 v[4:5], v[4:5], v[228:229], v[232:233]
                                        ; implicit-def: $vgpr228_vgpr229
	v_div_fixup_f64 v[2:3], v[4:5], v[2:3], 1.0
	s_delay_alu instid0(VALU_DEP_1)
	v_mul_f64 v[4:5], v[0:1], v[2:3]
	v_xor_b32_e32 v3, 0x80000000, v3
.LBB127_654:
	s_and_not1_saveexec_b32 s3, s3
	s_cbranch_execz .LBB127_656
; %bb.655:
	v_div_scale_f64 v[0:1], null, v[228:229], v[228:229], v[230:231]
	v_div_scale_f64 v[232:233], vcc_lo, v[230:231], v[228:229], v[230:231]
	s_delay_alu instid0(VALU_DEP_2) | instskip(SKIP_2) | instid1(VALU_DEP_1)
	v_rcp_f64_e32 v[2:3], v[0:1]
	s_waitcnt_depctr 0xfff
	v_fma_f64 v[4:5], -v[0:1], v[2:3], 1.0
	v_fma_f64 v[2:3], v[2:3], v[4:5], v[2:3]
	s_delay_alu instid0(VALU_DEP_1) | instskip(NEXT) | instid1(VALU_DEP_1)
	v_fma_f64 v[4:5], -v[0:1], v[2:3], 1.0
	v_fma_f64 v[2:3], v[2:3], v[4:5], v[2:3]
	s_delay_alu instid0(VALU_DEP_1) | instskip(NEXT) | instid1(VALU_DEP_1)
	v_mul_f64 v[4:5], v[232:233], v[2:3]
	v_fma_f64 v[0:1], -v[0:1], v[4:5], v[232:233]
	s_delay_alu instid0(VALU_DEP_1) | instskip(NEXT) | instid1(VALU_DEP_1)
	v_div_fmas_f64 v[0:1], v[0:1], v[2:3], v[4:5]
	v_div_fixup_f64 v[0:1], v[0:1], v[228:229], v[230:231]
	s_delay_alu instid0(VALU_DEP_1) | instskip(NEXT) | instid1(VALU_DEP_1)
	v_fma_f64 v[2:3], v[230:231], v[0:1], v[228:229]
	v_div_scale_f64 v[4:5], null, v[2:3], v[2:3], 1.0
	s_delay_alu instid0(VALU_DEP_1) | instskip(SKIP_2) | instid1(VALU_DEP_1)
	v_rcp_f64_e32 v[228:229], v[4:5]
	s_waitcnt_depctr 0xfff
	v_fma_f64 v[230:231], -v[4:5], v[228:229], 1.0
	v_fma_f64 v[228:229], v[228:229], v[230:231], v[228:229]
	s_delay_alu instid0(VALU_DEP_1) | instskip(NEXT) | instid1(VALU_DEP_1)
	v_fma_f64 v[230:231], -v[4:5], v[228:229], 1.0
	v_fma_f64 v[228:229], v[228:229], v[230:231], v[228:229]
	v_div_scale_f64 v[230:231], vcc_lo, 1.0, v[2:3], 1.0
	s_delay_alu instid0(VALU_DEP_1) | instskip(NEXT) | instid1(VALU_DEP_1)
	v_mul_f64 v[232:233], v[230:231], v[228:229]
	v_fma_f64 v[4:5], -v[4:5], v[232:233], v[230:231]
	s_delay_alu instid0(VALU_DEP_1) | instskip(NEXT) | instid1(VALU_DEP_1)
	v_div_fmas_f64 v[4:5], v[4:5], v[228:229], v[232:233]
	v_div_fixup_f64 v[4:5], v[4:5], v[2:3], 1.0
	s_delay_alu instid0(VALU_DEP_1)
	v_mul_f64 v[2:3], v[0:1], -v[4:5]
.LBB127_656:
	s_or_b32 exec_lo, exec_lo, s3
	scratch_load_b32 v0, off, off offset:1024 ; 4-byte Folded Reload
	s_waitcnt vmcnt(0)
	ds_store_2addr_b64 v0, v[4:5], v[2:3] offset1:1
.LBB127_657:
	s_or_b32 exec_lo, exec_lo, s4
	s_waitcnt lgkmcnt(0)
	s_barrier
	buffer_gl0_inv
	scratch_load_b32 v0, off, off offset:1024 ; 4-byte Folded Reload
	s_mov_b32 s3, exec_lo
	s_waitcnt vmcnt(0)
	ds_load_2addr_b64 v[228:231], v0 offset1:1
	v_cmpx_lt_u32_e32 57, v254
	s_cbranch_execz .LBB127_659
; %bb.658:
	scratch_load_b128 v[0:3], off, off offset:912
	s_waitcnt vmcnt(0) lgkmcnt(0)
	v_mul_f64 v[4:5], v[230:231], v[2:3]
	v_mul_f64 v[2:3], v[228:229], v[2:3]
	s_delay_alu instid0(VALU_DEP_2) | instskip(NEXT) | instid1(VALU_DEP_2)
	v_fma_f64 v[232:233], v[228:229], v[0:1], -v[4:5]
	v_fma_f64 v[234:235], v[230:231], v[0:1], v[2:3]
	ds_load_2addr_b64 v[0:3], v6 offset0:116 offset1:117
	s_waitcnt lgkmcnt(0)
	v_mul_f64 v[4:5], v[2:3], v[234:235]
	s_delay_alu instid0(VALU_DEP_1) | instskip(SKIP_1) | instid1(VALU_DEP_1)
	v_fma_f64 v[4:5], v[0:1], v[232:233], -v[4:5]
	v_mul_f64 v[0:1], v[0:1], v[234:235]
	v_fma_f64 v[236:237], v[2:3], v[232:233], v[0:1]
	scratch_load_b128 v[0:3], off, off offset:928
	s_waitcnt vmcnt(0)
	v_add_f64 v[0:1], v[0:1], -v[4:5]
	v_add_f64 v[2:3], v[2:3], -v[236:237]
	s_clause 0x1
	scratch_store_b128 off, v[232:235], off offset:912
	scratch_store_b128 off, v[0:3], off offset:928
	ds_load_2addr_b64 v[0:3], v6 offset0:118 offset1:119
	s_waitcnt lgkmcnt(0)
	v_mul_f64 v[4:5], v[2:3], v[234:235]
	s_delay_alu instid0(VALU_DEP_1) | instskip(SKIP_1) | instid1(VALU_DEP_1)
	v_fma_f64 v[4:5], v[0:1], v[232:233], -v[4:5]
	v_mul_f64 v[0:1], v[0:1], v[234:235]
	v_fma_f64 v[236:237], v[2:3], v[232:233], v[0:1]
	scratch_load_b128 v[0:3], off, off offset:944
	s_waitcnt vmcnt(0)
	v_add_f64 v[0:1], v[0:1], -v[4:5]
	v_add_f64 v[2:3], v[2:3], -v[236:237]
	scratch_store_b128 off, v[0:3], off offset:944
	ds_load_2addr_b64 v[0:3], v6 offset0:120 offset1:121
	s_waitcnt lgkmcnt(0)
	v_mul_f64 v[4:5], v[2:3], v[234:235]
	s_delay_alu instid0(VALU_DEP_1) | instskip(SKIP_1) | instid1(VALU_DEP_1)
	v_fma_f64 v[4:5], v[0:1], v[232:233], -v[4:5]
	v_mul_f64 v[0:1], v[0:1], v[234:235]
	v_fma_f64 v[236:237], v[2:3], v[232:233], v[0:1]
	scratch_load_b128 v[0:3], off, off offset:960
	s_waitcnt vmcnt(0)
	v_add_f64 v[0:1], v[0:1], -v[4:5]
	v_add_f64 v[2:3], v[2:3], -v[236:237]
	;; [unrolled: 12-line block ×5, first 2 shown]
	scratch_store_b128 off, v[0:3], off offset:1008
.LBB127_659:
	s_or_b32 exec_lo, exec_lo, s3
	s_delay_alu instid0(SALU_CYCLE_1)
	s_mov_b32 s4, exec_lo
	s_waitcnt lgkmcnt(0)
	s_waitcnt_vscnt null, 0x0
	s_barrier
	buffer_gl0_inv
	v_cmpx_eq_u32_e32 58, v254
	s_cbranch_execz .LBB127_666
; %bb.660:
	scratch_load_b32 v0, off, off offset:1048 ; 4-byte Folded Reload
	s_waitcnt vmcnt(0)
	scratch_load_b128 v[0:3], v0, off
	scratch_load_b32 v4, off, off offset:1024 ; 4-byte Folded Reload
	s_waitcnt vmcnt(0)
	ds_store_2addr_b64 v4, v[0:1], v[2:3] offset1:1
	scratch_load_b32 v0, off, off offset:1044 ; 4-byte Folded Reload
	s_waitcnt vmcnt(0)
	scratch_load_b128 v[0:3], v0, off
	s_waitcnt vmcnt(0)
	ds_store_2addr_b64 v6, v[0:1], v[2:3] offset0:118 offset1:119
	scratch_load_b32 v0, off, off offset:1040 ; 4-byte Folded Reload
	s_waitcnt vmcnt(0)
	scratch_load_b128 v[0:3], v0, off
	s_waitcnt vmcnt(0)
	ds_store_2addr_b64 v6, v[0:1], v[2:3] offset0:120 offset1:121
	;; [unrolled: 5-line block ×5, first 2 shown]
	ds_load_2addr_b64 v[232:235], v4 offset1:1
	s_waitcnt lgkmcnt(0)
	v_cmp_neq_f64_e32 vcc_lo, 0, v[232:233]
	v_cmp_neq_f64_e64 s3, 0, v[234:235]
	s_delay_alu instid0(VALU_DEP_1) | instskip(NEXT) | instid1(SALU_CYCLE_1)
	s_or_b32 s3, vcc_lo, s3
	s_and_b32 exec_lo, exec_lo, s3
	s_cbranch_execz .LBB127_666
; %bb.661:
	v_cmp_gt_f64_e32 vcc_lo, 0, v[232:233]
	v_xor_b32_e32 v0, 0x80000000, v233
	v_xor_b32_e32 v2, 0x80000000, v235
	s_mov_b32 s3, exec_lo
                                        ; implicit-def: $vgpr4_vgpr5
	s_delay_alu instid0(VALU_DEP_2) | instskip(SKIP_4) | instid1(VALU_DEP_1)
	v_cndmask_b32_e32 v1, v233, v0, vcc_lo
	v_cndmask_b32_e32 v0, v232, v232, vcc_lo
	v_cmp_gt_f64_e32 vcc_lo, 0, v[234:235]
	v_cndmask_b32_e32 v3, v235, v2, vcc_lo
	v_cndmask_b32_e32 v2, v234, v234, vcc_lo
	v_cmpx_ngt_f64_e32 v[0:1], v[2:3]
	s_xor_b32 s3, exec_lo, s3
                                        ; implicit-def: $vgpr0_vgpr1_vgpr2_vgpr3
	s_cbranch_execz .LBB127_663
; %bb.662:
	v_div_scale_f64 v[0:1], null, v[234:235], v[234:235], v[232:233]
	v_div_scale_f64 v[236:237], vcc_lo, v[232:233], v[234:235], v[232:233]
	s_delay_alu instid0(VALU_DEP_2) | instskip(SKIP_2) | instid1(VALU_DEP_1)
	v_rcp_f64_e32 v[2:3], v[0:1]
	s_waitcnt_depctr 0xfff
	v_fma_f64 v[4:5], -v[0:1], v[2:3], 1.0
	v_fma_f64 v[2:3], v[2:3], v[4:5], v[2:3]
	s_delay_alu instid0(VALU_DEP_1) | instskip(NEXT) | instid1(VALU_DEP_1)
	v_fma_f64 v[4:5], -v[0:1], v[2:3], 1.0
	v_fma_f64 v[2:3], v[2:3], v[4:5], v[2:3]
	s_delay_alu instid0(VALU_DEP_1) | instskip(NEXT) | instid1(VALU_DEP_1)
	v_mul_f64 v[4:5], v[236:237], v[2:3]
	v_fma_f64 v[0:1], -v[0:1], v[4:5], v[236:237]
	s_delay_alu instid0(VALU_DEP_1) | instskip(NEXT) | instid1(VALU_DEP_1)
	v_div_fmas_f64 v[0:1], v[0:1], v[2:3], v[4:5]
	v_div_fixup_f64 v[0:1], v[0:1], v[234:235], v[232:233]
	s_delay_alu instid0(VALU_DEP_1) | instskip(NEXT) | instid1(VALU_DEP_1)
	v_fma_f64 v[2:3], v[232:233], v[0:1], v[234:235]
	v_div_scale_f64 v[4:5], null, v[2:3], v[2:3], 1.0
	s_delay_alu instid0(VALU_DEP_1) | instskip(SKIP_2) | instid1(VALU_DEP_1)
	v_rcp_f64_e32 v[232:233], v[4:5]
	s_waitcnt_depctr 0xfff
	v_fma_f64 v[234:235], -v[4:5], v[232:233], 1.0
	v_fma_f64 v[232:233], v[232:233], v[234:235], v[232:233]
	s_delay_alu instid0(VALU_DEP_1) | instskip(NEXT) | instid1(VALU_DEP_1)
	v_fma_f64 v[234:235], -v[4:5], v[232:233], 1.0
	v_fma_f64 v[232:233], v[232:233], v[234:235], v[232:233]
	v_div_scale_f64 v[234:235], vcc_lo, 1.0, v[2:3], 1.0
	s_delay_alu instid0(VALU_DEP_1) | instskip(NEXT) | instid1(VALU_DEP_1)
	v_mul_f64 v[236:237], v[234:235], v[232:233]
	v_fma_f64 v[4:5], -v[4:5], v[236:237], v[234:235]
	s_delay_alu instid0(VALU_DEP_1) | instskip(NEXT) | instid1(VALU_DEP_1)
	v_div_fmas_f64 v[4:5], v[4:5], v[232:233], v[236:237]
                                        ; implicit-def: $vgpr232_vgpr233
	v_div_fixup_f64 v[2:3], v[4:5], v[2:3], 1.0
	s_delay_alu instid0(VALU_DEP_1)
	v_mul_f64 v[4:5], v[0:1], v[2:3]
	v_xor_b32_e32 v3, 0x80000000, v3
.LBB127_663:
	s_and_not1_saveexec_b32 s3, s3
	s_cbranch_execz .LBB127_665
; %bb.664:
	v_div_scale_f64 v[0:1], null, v[232:233], v[232:233], v[234:235]
	v_div_scale_f64 v[236:237], vcc_lo, v[234:235], v[232:233], v[234:235]
	s_delay_alu instid0(VALU_DEP_2) | instskip(SKIP_2) | instid1(VALU_DEP_1)
	v_rcp_f64_e32 v[2:3], v[0:1]
	s_waitcnt_depctr 0xfff
	v_fma_f64 v[4:5], -v[0:1], v[2:3], 1.0
	v_fma_f64 v[2:3], v[2:3], v[4:5], v[2:3]
	s_delay_alu instid0(VALU_DEP_1) | instskip(NEXT) | instid1(VALU_DEP_1)
	v_fma_f64 v[4:5], -v[0:1], v[2:3], 1.0
	v_fma_f64 v[2:3], v[2:3], v[4:5], v[2:3]
	s_delay_alu instid0(VALU_DEP_1) | instskip(NEXT) | instid1(VALU_DEP_1)
	v_mul_f64 v[4:5], v[236:237], v[2:3]
	v_fma_f64 v[0:1], -v[0:1], v[4:5], v[236:237]
	s_delay_alu instid0(VALU_DEP_1) | instskip(NEXT) | instid1(VALU_DEP_1)
	v_div_fmas_f64 v[0:1], v[0:1], v[2:3], v[4:5]
	v_div_fixup_f64 v[0:1], v[0:1], v[232:233], v[234:235]
	s_delay_alu instid0(VALU_DEP_1) | instskip(NEXT) | instid1(VALU_DEP_1)
	v_fma_f64 v[2:3], v[234:235], v[0:1], v[232:233]
	v_div_scale_f64 v[4:5], null, v[2:3], v[2:3], 1.0
	s_delay_alu instid0(VALU_DEP_1) | instskip(SKIP_2) | instid1(VALU_DEP_1)
	v_rcp_f64_e32 v[232:233], v[4:5]
	s_waitcnt_depctr 0xfff
	v_fma_f64 v[234:235], -v[4:5], v[232:233], 1.0
	v_fma_f64 v[232:233], v[232:233], v[234:235], v[232:233]
	s_delay_alu instid0(VALU_DEP_1) | instskip(NEXT) | instid1(VALU_DEP_1)
	v_fma_f64 v[234:235], -v[4:5], v[232:233], 1.0
	v_fma_f64 v[232:233], v[232:233], v[234:235], v[232:233]
	v_div_scale_f64 v[234:235], vcc_lo, 1.0, v[2:3], 1.0
	s_delay_alu instid0(VALU_DEP_1) | instskip(NEXT) | instid1(VALU_DEP_1)
	v_mul_f64 v[236:237], v[234:235], v[232:233]
	v_fma_f64 v[4:5], -v[4:5], v[236:237], v[234:235]
	s_delay_alu instid0(VALU_DEP_1) | instskip(NEXT) | instid1(VALU_DEP_1)
	v_div_fmas_f64 v[4:5], v[4:5], v[232:233], v[236:237]
	v_div_fixup_f64 v[4:5], v[4:5], v[2:3], 1.0
	s_delay_alu instid0(VALU_DEP_1)
	v_mul_f64 v[2:3], v[0:1], -v[4:5]
.LBB127_665:
	s_or_b32 exec_lo, exec_lo, s3
	scratch_load_b32 v0, off, off offset:1024 ; 4-byte Folded Reload
	s_waitcnt vmcnt(0)
	ds_store_2addr_b64 v0, v[4:5], v[2:3] offset1:1
.LBB127_666:
	s_or_b32 exec_lo, exec_lo, s4
	s_waitcnt lgkmcnt(0)
	s_barrier
	buffer_gl0_inv
	scratch_load_b32 v0, off, off offset:1024 ; 4-byte Folded Reload
	s_mov_b32 s3, exec_lo
	s_waitcnt vmcnt(0)
	ds_load_2addr_b64 v[232:235], v0 offset1:1
	v_cmpx_lt_u32_e32 58, v254
	s_cbranch_execz .LBB127_668
; %bb.667:
	scratch_load_b128 v[0:3], off, off offset:928
	s_waitcnt vmcnt(0) lgkmcnt(0)
	v_mul_f64 v[4:5], v[234:235], v[2:3]
	v_mul_f64 v[2:3], v[232:233], v[2:3]
	s_delay_alu instid0(VALU_DEP_2) | instskip(NEXT) | instid1(VALU_DEP_2)
	v_fma_f64 v[236:237], v[232:233], v[0:1], -v[4:5]
	v_fma_f64 v[238:239], v[234:235], v[0:1], v[2:3]
	ds_load_2addr_b64 v[0:3], v6 offset0:118 offset1:119
	s_waitcnt lgkmcnt(0)
	v_mul_f64 v[4:5], v[2:3], v[238:239]
	s_delay_alu instid0(VALU_DEP_1) | instskip(SKIP_1) | instid1(VALU_DEP_1)
	v_fma_f64 v[4:5], v[0:1], v[236:237], -v[4:5]
	v_mul_f64 v[0:1], v[0:1], v[238:239]
	v_fma_f64 v[240:241], v[2:3], v[236:237], v[0:1]
	scratch_load_b128 v[0:3], off, off offset:944
	s_waitcnt vmcnt(0)
	v_add_f64 v[0:1], v[0:1], -v[4:5]
	v_add_f64 v[2:3], v[2:3], -v[240:241]
	s_clause 0x1
	scratch_store_b128 off, v[236:239], off offset:928
	scratch_store_b128 off, v[0:3], off offset:944
	ds_load_2addr_b64 v[0:3], v6 offset0:120 offset1:121
	s_waitcnt lgkmcnt(0)
	v_mul_f64 v[4:5], v[2:3], v[238:239]
	s_delay_alu instid0(VALU_DEP_1) | instskip(SKIP_1) | instid1(VALU_DEP_1)
	v_fma_f64 v[4:5], v[0:1], v[236:237], -v[4:5]
	v_mul_f64 v[0:1], v[0:1], v[238:239]
	v_fma_f64 v[240:241], v[2:3], v[236:237], v[0:1]
	scratch_load_b128 v[0:3], off, off offset:960
	s_waitcnt vmcnt(0)
	v_add_f64 v[0:1], v[0:1], -v[4:5]
	v_add_f64 v[2:3], v[2:3], -v[240:241]
	scratch_store_b128 off, v[0:3], off offset:960
	ds_load_2addr_b64 v[0:3], v6 offset0:122 offset1:123
	s_waitcnt lgkmcnt(0)
	v_mul_f64 v[4:5], v[2:3], v[238:239]
	s_delay_alu instid0(VALU_DEP_1) | instskip(SKIP_1) | instid1(VALU_DEP_1)
	v_fma_f64 v[4:5], v[0:1], v[236:237], -v[4:5]
	v_mul_f64 v[0:1], v[0:1], v[238:239]
	v_fma_f64 v[240:241], v[2:3], v[236:237], v[0:1]
	scratch_load_b128 v[0:3], off, off offset:976
	s_waitcnt vmcnt(0)
	v_add_f64 v[0:1], v[0:1], -v[4:5]
	v_add_f64 v[2:3], v[2:3], -v[240:241]
	scratch_store_b128 off, v[0:3], off offset:976
	ds_load_2addr_b64 v[0:3], v6 offset0:124 offset1:125
	s_waitcnt lgkmcnt(0)
	v_mul_f64 v[4:5], v[2:3], v[238:239]
	s_delay_alu instid0(VALU_DEP_1) | instskip(SKIP_1) | instid1(VALU_DEP_1)
	v_fma_f64 v[4:5], v[0:1], v[236:237], -v[4:5]
	v_mul_f64 v[0:1], v[0:1], v[238:239]
	v_fma_f64 v[240:241], v[2:3], v[236:237], v[0:1]
	scratch_load_b128 v[0:3], off, off offset:992
	s_waitcnt vmcnt(0)
	v_add_f64 v[0:1], v[0:1], -v[4:5]
	v_add_f64 v[2:3], v[2:3], -v[240:241]
	scratch_store_b128 off, v[0:3], off offset:992
	ds_load_2addr_b64 v[0:3], v6 offset0:126 offset1:127
	s_waitcnt lgkmcnt(0)
	v_mul_f64 v[4:5], v[2:3], v[238:239]
	s_delay_alu instid0(VALU_DEP_1) | instskip(SKIP_1) | instid1(VALU_DEP_1)
	v_fma_f64 v[4:5], v[0:1], v[236:237], -v[4:5]
	v_mul_f64 v[0:1], v[0:1], v[238:239]
	v_fma_f64 v[236:237], v[2:3], v[236:237], v[0:1]
	scratch_load_b128 v[0:3], off, off offset:1008
	s_waitcnt vmcnt(0)
	v_add_f64 v[0:1], v[0:1], -v[4:5]
	v_add_f64 v[2:3], v[2:3], -v[236:237]
	scratch_store_b128 off, v[0:3], off offset:1008
.LBB127_668:
	s_or_b32 exec_lo, exec_lo, s3
	s_delay_alu instid0(SALU_CYCLE_1)
	s_mov_b32 s4, exec_lo
	s_waitcnt lgkmcnt(0)
	s_waitcnt_vscnt null, 0x0
	s_barrier
	buffer_gl0_inv
	v_cmpx_eq_u32_e32 59, v254
	s_cbranch_execz .LBB127_675
; %bb.669:
	scratch_load_b32 v0, off, off offset:1044 ; 4-byte Folded Reload
	s_waitcnt vmcnt(0)
	scratch_load_b128 v[0:3], v0, off
	scratch_load_b32 v4, off, off offset:1024 ; 4-byte Folded Reload
	s_waitcnt vmcnt(0)
	ds_store_2addr_b64 v4, v[0:1], v[2:3] offset1:1
	scratch_load_b32 v0, off, off offset:1040 ; 4-byte Folded Reload
	s_waitcnt vmcnt(0)
	scratch_load_b128 v[0:3], v0, off
	s_waitcnt vmcnt(0)
	ds_store_2addr_b64 v6, v[0:1], v[2:3] offset0:120 offset1:121
	scratch_load_b32 v0, off, off offset:1036 ; 4-byte Folded Reload
	s_waitcnt vmcnt(0)
	scratch_load_b128 v[0:3], v0, off
	s_waitcnt vmcnt(0)
	ds_store_2addr_b64 v6, v[0:1], v[2:3] offset0:122 offset1:123
	;; [unrolled: 5-line block ×4, first 2 shown]
	ds_load_2addr_b64 v[236:239], v4 offset1:1
	s_waitcnt lgkmcnt(0)
	v_cmp_neq_f64_e32 vcc_lo, 0, v[236:237]
	v_cmp_neq_f64_e64 s3, 0, v[238:239]
	s_delay_alu instid0(VALU_DEP_1) | instskip(NEXT) | instid1(SALU_CYCLE_1)
	s_or_b32 s3, vcc_lo, s3
	s_and_b32 exec_lo, exec_lo, s3
	s_cbranch_execz .LBB127_675
; %bb.670:
	v_cmp_gt_f64_e32 vcc_lo, 0, v[236:237]
	v_xor_b32_e32 v0, 0x80000000, v237
	v_xor_b32_e32 v2, 0x80000000, v239
	s_mov_b32 s3, exec_lo
                                        ; implicit-def: $vgpr4_vgpr5
	s_delay_alu instid0(VALU_DEP_2) | instskip(SKIP_4) | instid1(VALU_DEP_1)
	v_cndmask_b32_e32 v1, v237, v0, vcc_lo
	v_cndmask_b32_e32 v0, v236, v236, vcc_lo
	v_cmp_gt_f64_e32 vcc_lo, 0, v[238:239]
	v_cndmask_b32_e32 v3, v239, v2, vcc_lo
	v_cndmask_b32_e32 v2, v238, v238, vcc_lo
	v_cmpx_ngt_f64_e32 v[0:1], v[2:3]
	s_xor_b32 s3, exec_lo, s3
                                        ; implicit-def: $vgpr0_vgpr1_vgpr2_vgpr3
	s_cbranch_execz .LBB127_672
; %bb.671:
	v_div_scale_f64 v[0:1], null, v[238:239], v[238:239], v[236:237]
	v_div_scale_f64 v[240:241], vcc_lo, v[236:237], v[238:239], v[236:237]
	s_delay_alu instid0(VALU_DEP_2) | instskip(SKIP_2) | instid1(VALU_DEP_1)
	v_rcp_f64_e32 v[2:3], v[0:1]
	s_waitcnt_depctr 0xfff
	v_fma_f64 v[4:5], -v[0:1], v[2:3], 1.0
	v_fma_f64 v[2:3], v[2:3], v[4:5], v[2:3]
	s_delay_alu instid0(VALU_DEP_1) | instskip(NEXT) | instid1(VALU_DEP_1)
	v_fma_f64 v[4:5], -v[0:1], v[2:3], 1.0
	v_fma_f64 v[2:3], v[2:3], v[4:5], v[2:3]
	s_delay_alu instid0(VALU_DEP_1) | instskip(NEXT) | instid1(VALU_DEP_1)
	v_mul_f64 v[4:5], v[240:241], v[2:3]
	v_fma_f64 v[0:1], -v[0:1], v[4:5], v[240:241]
	s_delay_alu instid0(VALU_DEP_1) | instskip(NEXT) | instid1(VALU_DEP_1)
	v_div_fmas_f64 v[0:1], v[0:1], v[2:3], v[4:5]
	v_div_fixup_f64 v[0:1], v[0:1], v[238:239], v[236:237]
	s_delay_alu instid0(VALU_DEP_1) | instskip(NEXT) | instid1(VALU_DEP_1)
	v_fma_f64 v[2:3], v[236:237], v[0:1], v[238:239]
	v_div_scale_f64 v[4:5], null, v[2:3], v[2:3], 1.0
	s_delay_alu instid0(VALU_DEP_1) | instskip(SKIP_2) | instid1(VALU_DEP_1)
	v_rcp_f64_e32 v[236:237], v[4:5]
	s_waitcnt_depctr 0xfff
	v_fma_f64 v[238:239], -v[4:5], v[236:237], 1.0
	v_fma_f64 v[236:237], v[236:237], v[238:239], v[236:237]
	s_delay_alu instid0(VALU_DEP_1) | instskip(NEXT) | instid1(VALU_DEP_1)
	v_fma_f64 v[238:239], -v[4:5], v[236:237], 1.0
	v_fma_f64 v[236:237], v[236:237], v[238:239], v[236:237]
	v_div_scale_f64 v[238:239], vcc_lo, 1.0, v[2:3], 1.0
	s_delay_alu instid0(VALU_DEP_1) | instskip(NEXT) | instid1(VALU_DEP_1)
	v_mul_f64 v[240:241], v[238:239], v[236:237]
	v_fma_f64 v[4:5], -v[4:5], v[240:241], v[238:239]
	s_delay_alu instid0(VALU_DEP_1) | instskip(NEXT) | instid1(VALU_DEP_1)
	v_div_fmas_f64 v[4:5], v[4:5], v[236:237], v[240:241]
                                        ; implicit-def: $vgpr236_vgpr237
	v_div_fixup_f64 v[2:3], v[4:5], v[2:3], 1.0
	s_delay_alu instid0(VALU_DEP_1)
	v_mul_f64 v[4:5], v[0:1], v[2:3]
	v_xor_b32_e32 v3, 0x80000000, v3
.LBB127_672:
	s_and_not1_saveexec_b32 s3, s3
	s_cbranch_execz .LBB127_674
; %bb.673:
	v_div_scale_f64 v[0:1], null, v[236:237], v[236:237], v[238:239]
	v_div_scale_f64 v[240:241], vcc_lo, v[238:239], v[236:237], v[238:239]
	s_delay_alu instid0(VALU_DEP_2) | instskip(SKIP_2) | instid1(VALU_DEP_1)
	v_rcp_f64_e32 v[2:3], v[0:1]
	s_waitcnt_depctr 0xfff
	v_fma_f64 v[4:5], -v[0:1], v[2:3], 1.0
	v_fma_f64 v[2:3], v[2:3], v[4:5], v[2:3]
	s_delay_alu instid0(VALU_DEP_1) | instskip(NEXT) | instid1(VALU_DEP_1)
	v_fma_f64 v[4:5], -v[0:1], v[2:3], 1.0
	v_fma_f64 v[2:3], v[2:3], v[4:5], v[2:3]
	s_delay_alu instid0(VALU_DEP_1) | instskip(NEXT) | instid1(VALU_DEP_1)
	v_mul_f64 v[4:5], v[240:241], v[2:3]
	v_fma_f64 v[0:1], -v[0:1], v[4:5], v[240:241]
	s_delay_alu instid0(VALU_DEP_1) | instskip(NEXT) | instid1(VALU_DEP_1)
	v_div_fmas_f64 v[0:1], v[0:1], v[2:3], v[4:5]
	v_div_fixup_f64 v[0:1], v[0:1], v[236:237], v[238:239]
	s_delay_alu instid0(VALU_DEP_1) | instskip(NEXT) | instid1(VALU_DEP_1)
	v_fma_f64 v[2:3], v[238:239], v[0:1], v[236:237]
	v_div_scale_f64 v[4:5], null, v[2:3], v[2:3], 1.0
	s_delay_alu instid0(VALU_DEP_1) | instskip(SKIP_2) | instid1(VALU_DEP_1)
	v_rcp_f64_e32 v[236:237], v[4:5]
	s_waitcnt_depctr 0xfff
	v_fma_f64 v[238:239], -v[4:5], v[236:237], 1.0
	v_fma_f64 v[236:237], v[236:237], v[238:239], v[236:237]
	s_delay_alu instid0(VALU_DEP_1) | instskip(NEXT) | instid1(VALU_DEP_1)
	v_fma_f64 v[238:239], -v[4:5], v[236:237], 1.0
	v_fma_f64 v[236:237], v[236:237], v[238:239], v[236:237]
	v_div_scale_f64 v[238:239], vcc_lo, 1.0, v[2:3], 1.0
	s_delay_alu instid0(VALU_DEP_1) | instskip(NEXT) | instid1(VALU_DEP_1)
	v_mul_f64 v[240:241], v[238:239], v[236:237]
	v_fma_f64 v[4:5], -v[4:5], v[240:241], v[238:239]
	s_delay_alu instid0(VALU_DEP_1) | instskip(NEXT) | instid1(VALU_DEP_1)
	v_div_fmas_f64 v[4:5], v[4:5], v[236:237], v[240:241]
	v_div_fixup_f64 v[4:5], v[4:5], v[2:3], 1.0
	s_delay_alu instid0(VALU_DEP_1)
	v_mul_f64 v[2:3], v[0:1], -v[4:5]
.LBB127_674:
	s_or_b32 exec_lo, exec_lo, s3
	scratch_load_b32 v0, off, off offset:1024 ; 4-byte Folded Reload
	s_waitcnt vmcnt(0)
	ds_store_2addr_b64 v0, v[4:5], v[2:3] offset1:1
.LBB127_675:
	s_or_b32 exec_lo, exec_lo, s4
	s_waitcnt lgkmcnt(0)
	s_barrier
	buffer_gl0_inv
	scratch_load_b32 v0, off, off offset:1024 ; 4-byte Folded Reload
	s_mov_b32 s3, exec_lo
	s_waitcnt vmcnt(0)
	ds_load_2addr_b64 v[236:239], v0 offset1:1
	v_cmpx_lt_u32_e32 59, v254
	s_cbranch_execz .LBB127_677
; %bb.676:
	scratch_load_b128 v[0:3], off, off offset:944
	s_waitcnt vmcnt(0) lgkmcnt(0)
	v_mul_f64 v[4:5], v[238:239], v[2:3]
	v_mul_f64 v[2:3], v[236:237], v[2:3]
	s_delay_alu instid0(VALU_DEP_2) | instskip(NEXT) | instid1(VALU_DEP_2)
	v_fma_f64 v[240:241], v[236:237], v[0:1], -v[4:5]
	v_fma_f64 v[242:243], v[238:239], v[0:1], v[2:3]
	ds_load_2addr_b64 v[0:3], v6 offset0:120 offset1:121
	s_waitcnt lgkmcnt(0)
	v_mul_f64 v[4:5], v[2:3], v[242:243]
	s_delay_alu instid0(VALU_DEP_1) | instskip(SKIP_1) | instid1(VALU_DEP_1)
	v_fma_f64 v[4:5], v[0:1], v[240:241], -v[4:5]
	v_mul_f64 v[0:1], v[0:1], v[242:243]
	v_fma_f64 v[244:245], v[2:3], v[240:241], v[0:1]
	scratch_load_b128 v[0:3], off, off offset:960
	s_waitcnt vmcnt(0)
	v_add_f64 v[0:1], v[0:1], -v[4:5]
	v_add_f64 v[2:3], v[2:3], -v[244:245]
	s_clause 0x1
	scratch_store_b128 off, v[240:243], off offset:944
	scratch_store_b128 off, v[0:3], off offset:960
	ds_load_2addr_b64 v[0:3], v6 offset0:122 offset1:123
	s_waitcnt lgkmcnt(0)
	v_mul_f64 v[4:5], v[2:3], v[242:243]
	s_delay_alu instid0(VALU_DEP_1) | instskip(SKIP_1) | instid1(VALU_DEP_1)
	v_fma_f64 v[4:5], v[0:1], v[240:241], -v[4:5]
	v_mul_f64 v[0:1], v[0:1], v[242:243]
	v_fma_f64 v[244:245], v[2:3], v[240:241], v[0:1]
	scratch_load_b128 v[0:3], off, off offset:976
	s_waitcnt vmcnt(0)
	v_add_f64 v[0:1], v[0:1], -v[4:5]
	v_add_f64 v[2:3], v[2:3], -v[244:245]
	scratch_store_b128 off, v[0:3], off offset:976
	ds_load_2addr_b64 v[0:3], v6 offset0:124 offset1:125
	s_waitcnt lgkmcnt(0)
	v_mul_f64 v[4:5], v[2:3], v[242:243]
	s_delay_alu instid0(VALU_DEP_1) | instskip(SKIP_1) | instid1(VALU_DEP_1)
	v_fma_f64 v[4:5], v[0:1], v[240:241], -v[4:5]
	v_mul_f64 v[0:1], v[0:1], v[242:243]
	v_fma_f64 v[244:245], v[2:3], v[240:241], v[0:1]
	scratch_load_b128 v[0:3], off, off offset:992
	s_waitcnt vmcnt(0)
	v_add_f64 v[0:1], v[0:1], -v[4:5]
	v_add_f64 v[2:3], v[2:3], -v[244:245]
	scratch_store_b128 off, v[0:3], off offset:992
	ds_load_2addr_b64 v[0:3], v6 offset0:126 offset1:127
	s_waitcnt lgkmcnt(0)
	v_mul_f64 v[4:5], v[2:3], v[242:243]
	s_delay_alu instid0(VALU_DEP_1) | instskip(SKIP_1) | instid1(VALU_DEP_1)
	v_fma_f64 v[4:5], v[0:1], v[240:241], -v[4:5]
	v_mul_f64 v[0:1], v[0:1], v[242:243]
	v_fma_f64 v[240:241], v[2:3], v[240:241], v[0:1]
	scratch_load_b128 v[0:3], off, off offset:1008
	s_waitcnt vmcnt(0)
	v_add_f64 v[0:1], v[0:1], -v[4:5]
	v_add_f64 v[2:3], v[2:3], -v[240:241]
	scratch_store_b128 off, v[0:3], off offset:1008
.LBB127_677:
	s_or_b32 exec_lo, exec_lo, s3
	s_delay_alu instid0(SALU_CYCLE_1)
	s_mov_b32 s4, exec_lo
	s_waitcnt lgkmcnt(0)
	s_waitcnt_vscnt null, 0x0
	s_barrier
	buffer_gl0_inv
	v_cmpx_eq_u32_e32 60, v254
	s_cbranch_execz .LBB127_684
; %bb.678:
	scratch_load_b32 v0, off, off offset:1040 ; 4-byte Folded Reload
	s_waitcnt vmcnt(0)
	scratch_load_b128 v[0:3], v0, off
	scratch_load_b32 v4, off, off offset:1024 ; 4-byte Folded Reload
	s_waitcnt vmcnt(0)
	ds_store_2addr_b64 v4, v[0:1], v[2:3] offset1:1
	scratch_load_b32 v0, off, off offset:1036 ; 4-byte Folded Reload
	s_waitcnt vmcnt(0)
	scratch_load_b128 v[0:3], v0, off
	s_waitcnt vmcnt(0)
	ds_store_2addr_b64 v6, v[0:1], v[2:3] offset0:122 offset1:123
	scratch_load_b32 v0, off, off offset:1032 ; 4-byte Folded Reload
	s_waitcnt vmcnt(0)
	scratch_load_b128 v[0:3], v0, off
	s_waitcnt vmcnt(0)
	ds_store_2addr_b64 v6, v[0:1], v[2:3] offset0:124 offset1:125
	;; [unrolled: 5-line block ×3, first 2 shown]
	ds_load_2addr_b64 v[240:243], v4 offset1:1
	s_waitcnt lgkmcnt(0)
	v_cmp_neq_f64_e32 vcc_lo, 0, v[240:241]
	v_cmp_neq_f64_e64 s3, 0, v[242:243]
	s_delay_alu instid0(VALU_DEP_1) | instskip(NEXT) | instid1(SALU_CYCLE_1)
	s_or_b32 s3, vcc_lo, s3
	s_and_b32 exec_lo, exec_lo, s3
	s_cbranch_execz .LBB127_684
; %bb.679:
	v_cmp_gt_f64_e32 vcc_lo, 0, v[240:241]
	v_xor_b32_e32 v0, 0x80000000, v241
	v_xor_b32_e32 v2, 0x80000000, v243
	s_mov_b32 s3, exec_lo
                                        ; implicit-def: $vgpr4_vgpr5
	s_delay_alu instid0(VALU_DEP_2) | instskip(SKIP_4) | instid1(VALU_DEP_1)
	v_cndmask_b32_e32 v1, v241, v0, vcc_lo
	v_cndmask_b32_e32 v0, v240, v240, vcc_lo
	v_cmp_gt_f64_e32 vcc_lo, 0, v[242:243]
	v_cndmask_b32_e32 v3, v243, v2, vcc_lo
	v_cndmask_b32_e32 v2, v242, v242, vcc_lo
	v_cmpx_ngt_f64_e32 v[0:1], v[2:3]
	s_xor_b32 s3, exec_lo, s3
                                        ; implicit-def: $vgpr0_vgpr1_vgpr2_vgpr3
	s_cbranch_execz .LBB127_681
; %bb.680:
	v_div_scale_f64 v[0:1], null, v[242:243], v[242:243], v[240:241]
	v_div_scale_f64 v[244:245], vcc_lo, v[240:241], v[242:243], v[240:241]
	s_delay_alu instid0(VALU_DEP_2) | instskip(SKIP_2) | instid1(VALU_DEP_1)
	v_rcp_f64_e32 v[2:3], v[0:1]
	s_waitcnt_depctr 0xfff
	v_fma_f64 v[4:5], -v[0:1], v[2:3], 1.0
	v_fma_f64 v[2:3], v[2:3], v[4:5], v[2:3]
	s_delay_alu instid0(VALU_DEP_1) | instskip(NEXT) | instid1(VALU_DEP_1)
	v_fma_f64 v[4:5], -v[0:1], v[2:3], 1.0
	v_fma_f64 v[2:3], v[2:3], v[4:5], v[2:3]
	s_delay_alu instid0(VALU_DEP_1) | instskip(NEXT) | instid1(VALU_DEP_1)
	v_mul_f64 v[4:5], v[244:245], v[2:3]
	v_fma_f64 v[0:1], -v[0:1], v[4:5], v[244:245]
	s_delay_alu instid0(VALU_DEP_1) | instskip(NEXT) | instid1(VALU_DEP_1)
	v_div_fmas_f64 v[0:1], v[0:1], v[2:3], v[4:5]
	v_div_fixup_f64 v[0:1], v[0:1], v[242:243], v[240:241]
	s_delay_alu instid0(VALU_DEP_1) | instskip(NEXT) | instid1(VALU_DEP_1)
	v_fma_f64 v[2:3], v[240:241], v[0:1], v[242:243]
	v_div_scale_f64 v[4:5], null, v[2:3], v[2:3], 1.0
	s_delay_alu instid0(VALU_DEP_1) | instskip(SKIP_2) | instid1(VALU_DEP_1)
	v_rcp_f64_e32 v[240:241], v[4:5]
	s_waitcnt_depctr 0xfff
	v_fma_f64 v[242:243], -v[4:5], v[240:241], 1.0
	v_fma_f64 v[240:241], v[240:241], v[242:243], v[240:241]
	s_delay_alu instid0(VALU_DEP_1) | instskip(NEXT) | instid1(VALU_DEP_1)
	v_fma_f64 v[242:243], -v[4:5], v[240:241], 1.0
	v_fma_f64 v[240:241], v[240:241], v[242:243], v[240:241]
	v_div_scale_f64 v[242:243], vcc_lo, 1.0, v[2:3], 1.0
	s_delay_alu instid0(VALU_DEP_1) | instskip(NEXT) | instid1(VALU_DEP_1)
	v_mul_f64 v[244:245], v[242:243], v[240:241]
	v_fma_f64 v[4:5], -v[4:5], v[244:245], v[242:243]
	s_delay_alu instid0(VALU_DEP_1) | instskip(NEXT) | instid1(VALU_DEP_1)
	v_div_fmas_f64 v[4:5], v[4:5], v[240:241], v[244:245]
                                        ; implicit-def: $vgpr240_vgpr241
	v_div_fixup_f64 v[2:3], v[4:5], v[2:3], 1.0
	s_delay_alu instid0(VALU_DEP_1)
	v_mul_f64 v[4:5], v[0:1], v[2:3]
	v_xor_b32_e32 v3, 0x80000000, v3
.LBB127_681:
	s_and_not1_saveexec_b32 s3, s3
	s_cbranch_execz .LBB127_683
; %bb.682:
	v_div_scale_f64 v[0:1], null, v[240:241], v[240:241], v[242:243]
	v_div_scale_f64 v[244:245], vcc_lo, v[242:243], v[240:241], v[242:243]
	s_delay_alu instid0(VALU_DEP_2) | instskip(SKIP_2) | instid1(VALU_DEP_1)
	v_rcp_f64_e32 v[2:3], v[0:1]
	s_waitcnt_depctr 0xfff
	v_fma_f64 v[4:5], -v[0:1], v[2:3], 1.0
	v_fma_f64 v[2:3], v[2:3], v[4:5], v[2:3]
	s_delay_alu instid0(VALU_DEP_1) | instskip(NEXT) | instid1(VALU_DEP_1)
	v_fma_f64 v[4:5], -v[0:1], v[2:3], 1.0
	v_fma_f64 v[2:3], v[2:3], v[4:5], v[2:3]
	s_delay_alu instid0(VALU_DEP_1) | instskip(NEXT) | instid1(VALU_DEP_1)
	v_mul_f64 v[4:5], v[244:245], v[2:3]
	v_fma_f64 v[0:1], -v[0:1], v[4:5], v[244:245]
	s_delay_alu instid0(VALU_DEP_1) | instskip(NEXT) | instid1(VALU_DEP_1)
	v_div_fmas_f64 v[0:1], v[0:1], v[2:3], v[4:5]
	v_div_fixup_f64 v[0:1], v[0:1], v[240:241], v[242:243]
	s_delay_alu instid0(VALU_DEP_1) | instskip(NEXT) | instid1(VALU_DEP_1)
	v_fma_f64 v[2:3], v[242:243], v[0:1], v[240:241]
	v_div_scale_f64 v[4:5], null, v[2:3], v[2:3], 1.0
	s_delay_alu instid0(VALU_DEP_1) | instskip(SKIP_2) | instid1(VALU_DEP_1)
	v_rcp_f64_e32 v[240:241], v[4:5]
	s_waitcnt_depctr 0xfff
	v_fma_f64 v[242:243], -v[4:5], v[240:241], 1.0
	v_fma_f64 v[240:241], v[240:241], v[242:243], v[240:241]
	s_delay_alu instid0(VALU_DEP_1) | instskip(NEXT) | instid1(VALU_DEP_1)
	v_fma_f64 v[242:243], -v[4:5], v[240:241], 1.0
	v_fma_f64 v[240:241], v[240:241], v[242:243], v[240:241]
	v_div_scale_f64 v[242:243], vcc_lo, 1.0, v[2:3], 1.0
	s_delay_alu instid0(VALU_DEP_1) | instskip(NEXT) | instid1(VALU_DEP_1)
	v_mul_f64 v[244:245], v[242:243], v[240:241]
	v_fma_f64 v[4:5], -v[4:5], v[244:245], v[242:243]
	s_delay_alu instid0(VALU_DEP_1) | instskip(NEXT) | instid1(VALU_DEP_1)
	v_div_fmas_f64 v[4:5], v[4:5], v[240:241], v[244:245]
	v_div_fixup_f64 v[4:5], v[4:5], v[2:3], 1.0
	s_delay_alu instid0(VALU_DEP_1)
	v_mul_f64 v[2:3], v[0:1], -v[4:5]
.LBB127_683:
	s_or_b32 exec_lo, exec_lo, s3
	scratch_load_b32 v0, off, off offset:1024 ; 4-byte Folded Reload
	s_waitcnt vmcnt(0)
	ds_store_2addr_b64 v0, v[4:5], v[2:3] offset1:1
.LBB127_684:
	s_or_b32 exec_lo, exec_lo, s4
	s_waitcnt lgkmcnt(0)
	s_barrier
	buffer_gl0_inv
	scratch_load_b32 v0, off, off offset:1024 ; 4-byte Folded Reload
	s_mov_b32 s3, exec_lo
	s_waitcnt vmcnt(0)
	ds_load_2addr_b64 v[240:243], v0 offset1:1
	v_cmpx_lt_u32_e32 60, v254
	s_cbranch_execz .LBB127_686
; %bb.685:
	scratch_load_b128 v[0:3], off, off offset:960
	s_waitcnt vmcnt(0) lgkmcnt(0)
	v_mul_f64 v[4:5], v[242:243], v[2:3]
	v_mul_f64 v[2:3], v[240:241], v[2:3]
	s_delay_alu instid0(VALU_DEP_2) | instskip(NEXT) | instid1(VALU_DEP_2)
	v_fma_f64 v[244:245], v[240:241], v[0:1], -v[4:5]
	v_fma_f64 v[246:247], v[242:243], v[0:1], v[2:3]
	ds_load_2addr_b64 v[0:3], v6 offset0:122 offset1:123
	s_waitcnt lgkmcnt(0)
	v_mul_f64 v[4:5], v[2:3], v[246:247]
	s_delay_alu instid0(VALU_DEP_1) | instskip(SKIP_1) | instid1(VALU_DEP_1)
	v_fma_f64 v[4:5], v[0:1], v[244:245], -v[4:5]
	v_mul_f64 v[0:1], v[0:1], v[246:247]
	v_fma_f64 v[248:249], v[2:3], v[244:245], v[0:1]
	scratch_load_b128 v[0:3], off, off offset:976
	s_waitcnt vmcnt(0)
	v_add_f64 v[0:1], v[0:1], -v[4:5]
	v_add_f64 v[2:3], v[2:3], -v[248:249]
	s_clause 0x1
	scratch_store_b128 off, v[244:247], off offset:960
	scratch_store_b128 off, v[0:3], off offset:976
	ds_load_2addr_b64 v[0:3], v6 offset0:124 offset1:125
	s_waitcnt lgkmcnt(0)
	v_mul_f64 v[4:5], v[2:3], v[246:247]
	s_delay_alu instid0(VALU_DEP_1) | instskip(SKIP_1) | instid1(VALU_DEP_1)
	v_fma_f64 v[4:5], v[0:1], v[244:245], -v[4:5]
	v_mul_f64 v[0:1], v[0:1], v[246:247]
	v_fma_f64 v[248:249], v[2:3], v[244:245], v[0:1]
	scratch_load_b128 v[0:3], off, off offset:992
	s_waitcnt vmcnt(0)
	v_add_f64 v[0:1], v[0:1], -v[4:5]
	v_add_f64 v[2:3], v[2:3], -v[248:249]
	scratch_store_b128 off, v[0:3], off offset:992
	ds_load_2addr_b64 v[0:3], v6 offset0:126 offset1:127
	s_waitcnt lgkmcnt(0)
	v_mul_f64 v[4:5], v[2:3], v[246:247]
	s_delay_alu instid0(VALU_DEP_1) | instskip(SKIP_1) | instid1(VALU_DEP_1)
	v_fma_f64 v[4:5], v[0:1], v[244:245], -v[4:5]
	v_mul_f64 v[0:1], v[0:1], v[246:247]
	v_fma_f64 v[244:245], v[2:3], v[244:245], v[0:1]
	scratch_load_b128 v[0:3], off, off offset:1008
	s_waitcnt vmcnt(0)
	v_add_f64 v[0:1], v[0:1], -v[4:5]
	v_add_f64 v[2:3], v[2:3], -v[244:245]
	scratch_store_b128 off, v[0:3], off offset:1008
.LBB127_686:
	s_or_b32 exec_lo, exec_lo, s3
	s_delay_alu instid0(SALU_CYCLE_1)
	s_mov_b32 s4, exec_lo
	s_waitcnt lgkmcnt(0)
	s_waitcnt_vscnt null, 0x0
	s_barrier
	buffer_gl0_inv
	v_cmpx_eq_u32_e32 61, v254
	s_cbranch_execz .LBB127_693
; %bb.687:
	scratch_load_b32 v0, off, off offset:1036 ; 4-byte Folded Reload
	s_waitcnt vmcnt(0)
	scratch_load_b128 v[0:3], v0, off
	scratch_load_b32 v4, off, off offset:1024 ; 4-byte Folded Reload
	s_waitcnt vmcnt(0)
	ds_store_2addr_b64 v4, v[0:1], v[2:3] offset1:1
	scratch_load_b32 v0, off, off offset:1032 ; 4-byte Folded Reload
	s_waitcnt vmcnt(0)
	scratch_load_b128 v[0:3], v0, off
	s_waitcnt vmcnt(0)
	ds_store_2addr_b64 v6, v[0:1], v[2:3] offset0:124 offset1:125
	scratch_load_b32 v0, off, off offset:1028 ; 4-byte Folded Reload
	s_waitcnt vmcnt(0)
	scratch_load_b128 v[0:3], v0, off
	s_waitcnt vmcnt(0)
	ds_store_2addr_b64 v6, v[0:1], v[2:3] offset0:126 offset1:127
	ds_load_2addr_b64 v[244:247], v4 offset1:1
	s_waitcnt lgkmcnt(0)
	v_cmp_neq_f64_e32 vcc_lo, 0, v[244:245]
	v_cmp_neq_f64_e64 s3, 0, v[246:247]
	s_delay_alu instid0(VALU_DEP_1) | instskip(NEXT) | instid1(SALU_CYCLE_1)
	s_or_b32 s3, vcc_lo, s3
	s_and_b32 exec_lo, exec_lo, s3
	s_cbranch_execz .LBB127_693
; %bb.688:
	v_cmp_gt_f64_e32 vcc_lo, 0, v[244:245]
	v_xor_b32_e32 v0, 0x80000000, v245
	v_xor_b32_e32 v2, 0x80000000, v247
	s_mov_b32 s3, exec_lo
                                        ; implicit-def: $vgpr4_vgpr5
	s_delay_alu instid0(VALU_DEP_2) | instskip(SKIP_4) | instid1(VALU_DEP_1)
	v_cndmask_b32_e32 v1, v245, v0, vcc_lo
	v_cndmask_b32_e32 v0, v244, v244, vcc_lo
	v_cmp_gt_f64_e32 vcc_lo, 0, v[246:247]
	v_cndmask_b32_e32 v3, v247, v2, vcc_lo
	v_cndmask_b32_e32 v2, v246, v246, vcc_lo
	v_cmpx_ngt_f64_e32 v[0:1], v[2:3]
	s_xor_b32 s3, exec_lo, s3
                                        ; implicit-def: $vgpr0_vgpr1_vgpr2_vgpr3
	s_cbranch_execz .LBB127_690
; %bb.689:
	v_div_scale_f64 v[0:1], null, v[246:247], v[246:247], v[244:245]
	v_div_scale_f64 v[248:249], vcc_lo, v[244:245], v[246:247], v[244:245]
	s_delay_alu instid0(VALU_DEP_2) | instskip(SKIP_2) | instid1(VALU_DEP_1)
	v_rcp_f64_e32 v[2:3], v[0:1]
	s_waitcnt_depctr 0xfff
	v_fma_f64 v[4:5], -v[0:1], v[2:3], 1.0
	v_fma_f64 v[2:3], v[2:3], v[4:5], v[2:3]
	s_delay_alu instid0(VALU_DEP_1) | instskip(NEXT) | instid1(VALU_DEP_1)
	v_fma_f64 v[4:5], -v[0:1], v[2:3], 1.0
	v_fma_f64 v[2:3], v[2:3], v[4:5], v[2:3]
	s_delay_alu instid0(VALU_DEP_1) | instskip(NEXT) | instid1(VALU_DEP_1)
	v_mul_f64 v[4:5], v[248:249], v[2:3]
	v_fma_f64 v[0:1], -v[0:1], v[4:5], v[248:249]
	s_delay_alu instid0(VALU_DEP_1) | instskip(NEXT) | instid1(VALU_DEP_1)
	v_div_fmas_f64 v[0:1], v[0:1], v[2:3], v[4:5]
	v_div_fixup_f64 v[0:1], v[0:1], v[246:247], v[244:245]
	s_delay_alu instid0(VALU_DEP_1) | instskip(NEXT) | instid1(VALU_DEP_1)
	v_fma_f64 v[2:3], v[244:245], v[0:1], v[246:247]
	v_div_scale_f64 v[4:5], null, v[2:3], v[2:3], 1.0
	s_delay_alu instid0(VALU_DEP_1) | instskip(SKIP_2) | instid1(VALU_DEP_1)
	v_rcp_f64_e32 v[244:245], v[4:5]
	s_waitcnt_depctr 0xfff
	v_fma_f64 v[246:247], -v[4:5], v[244:245], 1.0
	v_fma_f64 v[244:245], v[244:245], v[246:247], v[244:245]
	s_delay_alu instid0(VALU_DEP_1) | instskip(NEXT) | instid1(VALU_DEP_1)
	v_fma_f64 v[246:247], -v[4:5], v[244:245], 1.0
	v_fma_f64 v[244:245], v[244:245], v[246:247], v[244:245]
	v_div_scale_f64 v[246:247], vcc_lo, 1.0, v[2:3], 1.0
	s_delay_alu instid0(VALU_DEP_1) | instskip(NEXT) | instid1(VALU_DEP_1)
	v_mul_f64 v[248:249], v[246:247], v[244:245]
	v_fma_f64 v[4:5], -v[4:5], v[248:249], v[246:247]
	s_delay_alu instid0(VALU_DEP_1) | instskip(NEXT) | instid1(VALU_DEP_1)
	v_div_fmas_f64 v[4:5], v[4:5], v[244:245], v[248:249]
                                        ; implicit-def: $vgpr244_vgpr245
	v_div_fixup_f64 v[2:3], v[4:5], v[2:3], 1.0
	s_delay_alu instid0(VALU_DEP_1)
	v_mul_f64 v[4:5], v[0:1], v[2:3]
	v_xor_b32_e32 v3, 0x80000000, v3
.LBB127_690:
	s_and_not1_saveexec_b32 s3, s3
	s_cbranch_execz .LBB127_692
; %bb.691:
	v_div_scale_f64 v[0:1], null, v[244:245], v[244:245], v[246:247]
	v_div_scale_f64 v[248:249], vcc_lo, v[246:247], v[244:245], v[246:247]
	s_delay_alu instid0(VALU_DEP_2) | instskip(SKIP_2) | instid1(VALU_DEP_1)
	v_rcp_f64_e32 v[2:3], v[0:1]
	s_waitcnt_depctr 0xfff
	v_fma_f64 v[4:5], -v[0:1], v[2:3], 1.0
	v_fma_f64 v[2:3], v[2:3], v[4:5], v[2:3]
	s_delay_alu instid0(VALU_DEP_1) | instskip(NEXT) | instid1(VALU_DEP_1)
	v_fma_f64 v[4:5], -v[0:1], v[2:3], 1.0
	v_fma_f64 v[2:3], v[2:3], v[4:5], v[2:3]
	s_delay_alu instid0(VALU_DEP_1) | instskip(NEXT) | instid1(VALU_DEP_1)
	v_mul_f64 v[4:5], v[248:249], v[2:3]
	v_fma_f64 v[0:1], -v[0:1], v[4:5], v[248:249]
	s_delay_alu instid0(VALU_DEP_1) | instskip(NEXT) | instid1(VALU_DEP_1)
	v_div_fmas_f64 v[0:1], v[0:1], v[2:3], v[4:5]
	v_div_fixup_f64 v[0:1], v[0:1], v[244:245], v[246:247]
	s_delay_alu instid0(VALU_DEP_1) | instskip(NEXT) | instid1(VALU_DEP_1)
	v_fma_f64 v[2:3], v[246:247], v[0:1], v[244:245]
	v_div_scale_f64 v[4:5], null, v[2:3], v[2:3], 1.0
	s_delay_alu instid0(VALU_DEP_1) | instskip(SKIP_2) | instid1(VALU_DEP_1)
	v_rcp_f64_e32 v[244:245], v[4:5]
	s_waitcnt_depctr 0xfff
	v_fma_f64 v[246:247], -v[4:5], v[244:245], 1.0
	v_fma_f64 v[244:245], v[244:245], v[246:247], v[244:245]
	s_delay_alu instid0(VALU_DEP_1) | instskip(NEXT) | instid1(VALU_DEP_1)
	v_fma_f64 v[246:247], -v[4:5], v[244:245], 1.0
	v_fma_f64 v[244:245], v[244:245], v[246:247], v[244:245]
	v_div_scale_f64 v[246:247], vcc_lo, 1.0, v[2:3], 1.0
	s_delay_alu instid0(VALU_DEP_1) | instskip(NEXT) | instid1(VALU_DEP_1)
	v_mul_f64 v[248:249], v[246:247], v[244:245]
	v_fma_f64 v[4:5], -v[4:5], v[248:249], v[246:247]
	s_delay_alu instid0(VALU_DEP_1) | instskip(NEXT) | instid1(VALU_DEP_1)
	v_div_fmas_f64 v[4:5], v[4:5], v[244:245], v[248:249]
	v_div_fixup_f64 v[4:5], v[4:5], v[2:3], 1.0
	s_delay_alu instid0(VALU_DEP_1)
	v_mul_f64 v[2:3], v[0:1], -v[4:5]
.LBB127_692:
	s_or_b32 exec_lo, exec_lo, s3
	scratch_load_b32 v0, off, off offset:1024 ; 4-byte Folded Reload
	s_waitcnt vmcnt(0)
	ds_store_2addr_b64 v0, v[4:5], v[2:3] offset1:1
.LBB127_693:
	s_or_b32 exec_lo, exec_lo, s4
	s_waitcnt lgkmcnt(0)
	s_barrier
	buffer_gl0_inv
	scratch_load_b32 v0, off, off offset:1024 ; 4-byte Folded Reload
	s_mov_b32 s3, exec_lo
	s_waitcnt vmcnt(0)
	ds_load_2addr_b64 v[244:247], v0 offset1:1
	v_cmpx_lt_u32_e32 61, v254
	s_cbranch_execz .LBB127_695
; %bb.694:
	scratch_load_b128 v[0:3], off, off offset:976
	s_waitcnt vmcnt(0) lgkmcnt(0)
	v_mul_f64 v[4:5], v[246:247], v[2:3]
	v_mul_f64 v[2:3], v[244:245], v[2:3]
	s_delay_alu instid0(VALU_DEP_2) | instskip(NEXT) | instid1(VALU_DEP_2)
	v_fma_f64 v[248:249], v[244:245], v[0:1], -v[4:5]
	v_fma_f64 v[250:251], v[246:247], v[0:1], v[2:3]
	ds_load_2addr_b64 v[0:3], v6 offset0:124 offset1:125
	s_waitcnt lgkmcnt(0)
	v_mul_f64 v[4:5], v[2:3], v[250:251]
	s_delay_alu instid0(VALU_DEP_1) | instskip(SKIP_1) | instid1(VALU_DEP_1)
	v_fma_f64 v[4:5], v[0:1], v[248:249], -v[4:5]
	v_mul_f64 v[0:1], v[0:1], v[250:251]
	v_fma_f64 v[252:253], v[2:3], v[248:249], v[0:1]
	scratch_load_b128 v[0:3], off, off offset:992
	s_waitcnt vmcnt(0)
	v_add_f64 v[0:1], v[0:1], -v[4:5]
	v_add_f64 v[2:3], v[2:3], -v[252:253]
	s_clause 0x1
	scratch_store_b128 off, v[248:251], off offset:976
	scratch_store_b128 off, v[0:3], off offset:992
	ds_load_2addr_b64 v[0:3], v6 offset0:126 offset1:127
	s_waitcnt lgkmcnt(0)
	v_mul_f64 v[4:5], v[2:3], v[250:251]
	s_delay_alu instid0(VALU_DEP_1) | instskip(SKIP_1) | instid1(VALU_DEP_1)
	v_fma_f64 v[4:5], v[0:1], v[248:249], -v[4:5]
	v_mul_f64 v[0:1], v[0:1], v[250:251]
	v_fma_f64 v[248:249], v[2:3], v[248:249], v[0:1]
	scratch_load_b128 v[0:3], off, off offset:1008
	s_waitcnt vmcnt(0)
	v_add_f64 v[0:1], v[0:1], -v[4:5]
	v_add_f64 v[2:3], v[2:3], -v[248:249]
	scratch_store_b128 off, v[0:3], off offset:1008
.LBB127_695:
	s_or_b32 exec_lo, exec_lo, s3
	s_delay_alu instid0(SALU_CYCLE_1)
	s_mov_b32 s4, exec_lo
	s_waitcnt lgkmcnt(0)
	s_waitcnt_vscnt null, 0x0
	s_barrier
	buffer_gl0_inv
	v_cmpx_eq_u32_e32 62, v254
	s_cbranch_execz .LBB127_702
; %bb.696:
	scratch_load_b32 v0, off, off offset:1032 ; 4-byte Folded Reload
	s_waitcnt vmcnt(0)
	scratch_load_b128 v[0:3], v0, off
	scratch_load_b32 v4, off, off offset:1024 ; 4-byte Folded Reload
	s_waitcnt vmcnt(0)
	ds_store_2addr_b64 v4, v[0:1], v[2:3] offset1:1
	scratch_load_b32 v0, off, off offset:1028 ; 4-byte Folded Reload
	s_waitcnt vmcnt(0)
	scratch_load_b128 v[0:3], v0, off
	s_waitcnt vmcnt(0)
	ds_store_2addr_b64 v6, v[0:1], v[2:3] offset0:126 offset1:127
	ds_load_2addr_b64 v[248:251], v4 offset1:1
	s_waitcnt lgkmcnt(0)
	v_cmp_neq_f64_e32 vcc_lo, 0, v[248:249]
	v_cmp_neq_f64_e64 s3, 0, v[250:251]
	s_delay_alu instid0(VALU_DEP_1) | instskip(NEXT) | instid1(SALU_CYCLE_1)
	s_or_b32 s3, vcc_lo, s3
	s_and_b32 exec_lo, exec_lo, s3
	s_cbranch_execz .LBB127_702
; %bb.697:
	v_cmp_gt_f64_e32 vcc_lo, 0, v[248:249]
	v_xor_b32_e32 v0, 0x80000000, v249
	v_xor_b32_e32 v2, 0x80000000, v251
	s_mov_b32 s3, exec_lo
                                        ; implicit-def: $vgpr4_vgpr5
	s_delay_alu instid0(VALU_DEP_2) | instskip(SKIP_4) | instid1(VALU_DEP_1)
	v_cndmask_b32_e32 v1, v249, v0, vcc_lo
	v_cndmask_b32_e32 v0, v248, v248, vcc_lo
	v_cmp_gt_f64_e32 vcc_lo, 0, v[250:251]
	v_cndmask_b32_e32 v3, v251, v2, vcc_lo
	v_cndmask_b32_e32 v2, v250, v250, vcc_lo
	v_cmpx_ngt_f64_e32 v[0:1], v[2:3]
	s_xor_b32 s3, exec_lo, s3
                                        ; implicit-def: $vgpr0_vgpr1_vgpr2_vgpr3
	s_cbranch_execz .LBB127_699
; %bb.698:
	v_div_scale_f64 v[0:1], null, v[250:251], v[250:251], v[248:249]
	v_div_scale_f64 v[252:253], vcc_lo, v[248:249], v[250:251], v[248:249]
	s_delay_alu instid0(VALU_DEP_2) | instskip(SKIP_2) | instid1(VALU_DEP_1)
	v_rcp_f64_e32 v[2:3], v[0:1]
	s_waitcnt_depctr 0xfff
	v_fma_f64 v[4:5], -v[0:1], v[2:3], 1.0
	v_fma_f64 v[2:3], v[2:3], v[4:5], v[2:3]
	s_delay_alu instid0(VALU_DEP_1) | instskip(NEXT) | instid1(VALU_DEP_1)
	v_fma_f64 v[4:5], -v[0:1], v[2:3], 1.0
	v_fma_f64 v[2:3], v[2:3], v[4:5], v[2:3]
	s_delay_alu instid0(VALU_DEP_1) | instskip(NEXT) | instid1(VALU_DEP_1)
	v_mul_f64 v[4:5], v[252:253], v[2:3]
	v_fma_f64 v[0:1], -v[0:1], v[4:5], v[252:253]
	s_delay_alu instid0(VALU_DEP_1) | instskip(NEXT) | instid1(VALU_DEP_1)
	v_div_fmas_f64 v[0:1], v[0:1], v[2:3], v[4:5]
	v_div_fixup_f64 v[0:1], v[0:1], v[250:251], v[248:249]
	s_delay_alu instid0(VALU_DEP_1) | instskip(NEXT) | instid1(VALU_DEP_1)
	v_fma_f64 v[2:3], v[248:249], v[0:1], v[250:251]
	v_div_scale_f64 v[4:5], null, v[2:3], v[2:3], 1.0
	s_delay_alu instid0(VALU_DEP_1) | instskip(SKIP_2) | instid1(VALU_DEP_1)
	v_rcp_f64_e32 v[248:249], v[4:5]
	s_waitcnt_depctr 0xfff
	v_fma_f64 v[250:251], -v[4:5], v[248:249], 1.0
	v_fma_f64 v[248:249], v[248:249], v[250:251], v[248:249]
	s_delay_alu instid0(VALU_DEP_1) | instskip(NEXT) | instid1(VALU_DEP_1)
	v_fma_f64 v[250:251], -v[4:5], v[248:249], 1.0
	v_fma_f64 v[248:249], v[248:249], v[250:251], v[248:249]
	v_div_scale_f64 v[250:251], vcc_lo, 1.0, v[2:3], 1.0
	s_delay_alu instid0(VALU_DEP_1) | instskip(NEXT) | instid1(VALU_DEP_1)
	v_mul_f64 v[252:253], v[250:251], v[248:249]
	v_fma_f64 v[4:5], -v[4:5], v[252:253], v[250:251]
	s_delay_alu instid0(VALU_DEP_1) | instskip(NEXT) | instid1(VALU_DEP_1)
	v_div_fmas_f64 v[4:5], v[4:5], v[248:249], v[252:253]
                                        ; implicit-def: $vgpr248_vgpr249
	v_div_fixup_f64 v[2:3], v[4:5], v[2:3], 1.0
	s_delay_alu instid0(VALU_DEP_1)
	v_mul_f64 v[4:5], v[0:1], v[2:3]
	v_xor_b32_e32 v3, 0x80000000, v3
.LBB127_699:
	s_and_not1_saveexec_b32 s3, s3
	s_cbranch_execz .LBB127_701
; %bb.700:
	v_div_scale_f64 v[0:1], null, v[248:249], v[248:249], v[250:251]
	v_div_scale_f64 v[252:253], vcc_lo, v[250:251], v[248:249], v[250:251]
	s_delay_alu instid0(VALU_DEP_2) | instskip(SKIP_2) | instid1(VALU_DEP_1)
	v_rcp_f64_e32 v[2:3], v[0:1]
	s_waitcnt_depctr 0xfff
	v_fma_f64 v[4:5], -v[0:1], v[2:3], 1.0
	v_fma_f64 v[2:3], v[2:3], v[4:5], v[2:3]
	s_delay_alu instid0(VALU_DEP_1) | instskip(NEXT) | instid1(VALU_DEP_1)
	v_fma_f64 v[4:5], -v[0:1], v[2:3], 1.0
	v_fma_f64 v[2:3], v[2:3], v[4:5], v[2:3]
	s_delay_alu instid0(VALU_DEP_1) | instskip(NEXT) | instid1(VALU_DEP_1)
	v_mul_f64 v[4:5], v[252:253], v[2:3]
	v_fma_f64 v[0:1], -v[0:1], v[4:5], v[252:253]
	s_delay_alu instid0(VALU_DEP_1) | instskip(NEXT) | instid1(VALU_DEP_1)
	v_div_fmas_f64 v[0:1], v[0:1], v[2:3], v[4:5]
	v_div_fixup_f64 v[0:1], v[0:1], v[248:249], v[250:251]
	s_delay_alu instid0(VALU_DEP_1) | instskip(NEXT) | instid1(VALU_DEP_1)
	v_fma_f64 v[2:3], v[250:251], v[0:1], v[248:249]
	v_div_scale_f64 v[4:5], null, v[2:3], v[2:3], 1.0
	s_delay_alu instid0(VALU_DEP_1) | instskip(SKIP_2) | instid1(VALU_DEP_1)
	v_rcp_f64_e32 v[248:249], v[4:5]
	s_waitcnt_depctr 0xfff
	v_fma_f64 v[250:251], -v[4:5], v[248:249], 1.0
	v_fma_f64 v[248:249], v[248:249], v[250:251], v[248:249]
	s_delay_alu instid0(VALU_DEP_1) | instskip(NEXT) | instid1(VALU_DEP_1)
	v_fma_f64 v[250:251], -v[4:5], v[248:249], 1.0
	v_fma_f64 v[248:249], v[248:249], v[250:251], v[248:249]
	v_div_scale_f64 v[250:251], vcc_lo, 1.0, v[2:3], 1.0
	s_delay_alu instid0(VALU_DEP_1) | instskip(NEXT) | instid1(VALU_DEP_1)
	v_mul_f64 v[252:253], v[250:251], v[248:249]
	v_fma_f64 v[4:5], -v[4:5], v[252:253], v[250:251]
	s_delay_alu instid0(VALU_DEP_1) | instskip(NEXT) | instid1(VALU_DEP_1)
	v_div_fmas_f64 v[4:5], v[4:5], v[248:249], v[252:253]
	v_div_fixup_f64 v[4:5], v[4:5], v[2:3], 1.0
	s_delay_alu instid0(VALU_DEP_1)
	v_mul_f64 v[2:3], v[0:1], -v[4:5]
.LBB127_701:
	s_or_b32 exec_lo, exec_lo, s3
	scratch_load_b32 v0, off, off offset:1024 ; 4-byte Folded Reload
	s_waitcnt vmcnt(0)
	ds_store_2addr_b64 v0, v[4:5], v[2:3] offset1:1
.LBB127_702:
	s_or_b32 exec_lo, exec_lo, s4
	s_waitcnt lgkmcnt(0)
	s_barrier
	buffer_gl0_inv
	scratch_load_b32 v0, off, off offset:1024 ; 4-byte Folded Reload
	s_mov_b32 s3, exec_lo
	s_waitcnt vmcnt(0)
	ds_load_2addr_b64 v[248:251], v0 offset1:1
	v_cmpx_lt_u32_e32 62, v254
	s_cbranch_execz .LBB127_704
; %bb.703:
	scratch_load_b128 v[0:3], off, off offset:992
	v_mov_b32_e32 v7, v254
	s_waitcnt vmcnt(0) lgkmcnt(0)
	v_mul_f64 v[4:5], v[250:251], v[2:3]
	v_mul_f64 v[2:3], v[248:249], v[2:3]
	s_delay_alu instid0(VALU_DEP_2) | instskip(NEXT) | instid1(VALU_DEP_2)
	v_fma_f64 v[252:253], v[248:249], v[0:1], -v[4:5]
	v_fma_f64 v[254:255], v[250:251], v[0:1], v[2:3]
	ds_load_2addr_b64 v[0:3], v6 offset0:126 offset1:127
	s_waitcnt lgkmcnt(0)
	v_mul_f64 v[4:5], v[2:3], v[254:255]
	scratch_store_b128 off, v[252:255], off offset:992
	v_fma_f64 v[4:5], v[0:1], v[252:253], -v[4:5]
	v_mul_f64 v[0:1], v[0:1], v[254:255]
	v_mov_b32_e32 v254, v7
	s_delay_alu instid0(VALU_DEP_2)
	v_fma_f64 v[6:7], v[2:3], v[252:253], v[0:1]
	scratch_load_b128 v[0:3], off, off offset:1008
	s_waitcnt vmcnt(0)
	v_add_f64 v[0:1], v[0:1], -v[4:5]
	v_add_f64 v[2:3], v[2:3], -v[6:7]
	scratch_store_b128 off, v[0:3], off offset:1008
.LBB127_704:
	s_or_b32 exec_lo, exec_lo, s3
	v_mov_b32_e32 v8, v254
	s_mov_b32 s4, exec_lo
	s_waitcnt lgkmcnt(0)
	s_waitcnt_vscnt null, 0x0
	s_barrier
	buffer_gl0_inv
	v_cmpx_eq_u32_e32 63, v254
	s_cbranch_execz .LBB127_711
; %bb.705:
	scratch_load_b32 v0, off, off offset:1028 ; 4-byte Folded Reload
	s_waitcnt vmcnt(0)
	scratch_load_b128 v[252:255], v0, off
	scratch_load_b32 v0, off, off offset:1024 ; 4-byte Folded Reload
	s_waitcnt vmcnt(1)
	v_cmp_neq_f64_e32 vcc_lo, 0, v[252:253]
	v_cmp_neq_f64_e64 s3, 0, v[254:255]
	s_waitcnt vmcnt(0)
	ds_store_2addr_b64 v0, v[252:253], v[254:255] offset1:1
	s_or_b32 s3, vcc_lo, s3
	s_delay_alu instid0(SALU_CYCLE_1)
	s_and_b32 exec_lo, exec_lo, s3
	s_cbranch_execz .LBB127_711
; %bb.706:
	v_cmp_gt_f64_e32 vcc_lo, 0, v[252:253]
	v_xor_b32_e32 v0, 0x80000000, v253
	v_xor_b32_e32 v2, 0x80000000, v255
	s_mov_b32 s3, exec_lo
                                        ; implicit-def: $vgpr4_vgpr5
	s_delay_alu instid0(VALU_DEP_2) | instskip(SKIP_4) | instid1(VALU_DEP_1)
	v_cndmask_b32_e32 v1, v253, v0, vcc_lo
	v_cndmask_b32_e32 v0, v252, v252, vcc_lo
	v_cmp_gt_f64_e32 vcc_lo, 0, v[254:255]
	v_cndmask_b32_e32 v3, v255, v2, vcc_lo
	v_cndmask_b32_e32 v2, v254, v254, vcc_lo
	v_cmpx_ngt_f64_e32 v[0:1], v[2:3]
	s_xor_b32 s3, exec_lo, s3
                                        ; implicit-def: $vgpr0_vgpr1_vgpr2_vgpr3
	s_cbranch_execz .LBB127_708
; %bb.707:
	v_div_scale_f64 v[0:1], null, v[254:255], v[254:255], v[252:253]
	v_div_scale_f64 v[6:7], vcc_lo, v[252:253], v[254:255], v[252:253]
	s_delay_alu instid0(VALU_DEP_2) | instskip(SKIP_2) | instid1(VALU_DEP_1)
	v_rcp_f64_e32 v[2:3], v[0:1]
	s_waitcnt_depctr 0xfff
	v_fma_f64 v[4:5], -v[0:1], v[2:3], 1.0
	v_fma_f64 v[2:3], v[2:3], v[4:5], v[2:3]
	s_delay_alu instid0(VALU_DEP_1) | instskip(NEXT) | instid1(VALU_DEP_1)
	v_fma_f64 v[4:5], -v[0:1], v[2:3], 1.0
	v_fma_f64 v[2:3], v[2:3], v[4:5], v[2:3]
	s_delay_alu instid0(VALU_DEP_1) | instskip(NEXT) | instid1(VALU_DEP_1)
	v_mul_f64 v[4:5], v[6:7], v[2:3]
	v_fma_f64 v[0:1], -v[0:1], v[4:5], v[6:7]
	s_delay_alu instid0(VALU_DEP_1) | instskip(NEXT) | instid1(VALU_DEP_1)
	v_div_fmas_f64 v[0:1], v[0:1], v[2:3], v[4:5]
	v_div_fixup_f64 v[0:1], v[0:1], v[254:255], v[252:253]
	s_delay_alu instid0(VALU_DEP_1) | instskip(NEXT) | instid1(VALU_DEP_1)
	v_fma_f64 v[2:3], v[252:253], v[0:1], v[254:255]
	v_div_scale_f64 v[4:5], null, v[2:3], v[2:3], 1.0
	s_delay_alu instid0(VALU_DEP_1) | instskip(SKIP_2) | instid1(VALU_DEP_1)
	v_rcp_f64_e32 v[6:7], v[4:5]
	s_waitcnt_depctr 0xfff
	v_fma_f64 v[252:253], -v[4:5], v[6:7], 1.0
	v_fma_f64 v[6:7], v[6:7], v[252:253], v[6:7]
	s_delay_alu instid0(VALU_DEP_1) | instskip(NEXT) | instid1(VALU_DEP_1)
	v_fma_f64 v[252:253], -v[4:5], v[6:7], 1.0
	v_fma_f64 v[6:7], v[6:7], v[252:253], v[6:7]
	v_div_scale_f64 v[252:253], vcc_lo, 1.0, v[2:3], 1.0
	s_delay_alu instid0(VALU_DEP_1) | instskip(NEXT) | instid1(VALU_DEP_1)
	v_mul_f64 v[254:255], v[252:253], v[6:7]
	v_fma_f64 v[4:5], -v[4:5], v[254:255], v[252:253]
                                        ; implicit-def: $vgpr252_vgpr253
	s_delay_alu instid0(VALU_DEP_1) | instskip(NEXT) | instid1(VALU_DEP_1)
	v_div_fmas_f64 v[4:5], v[4:5], v[6:7], v[254:255]
	v_div_fixup_f64 v[2:3], v[4:5], v[2:3], 1.0
	s_delay_alu instid0(VALU_DEP_1)
	v_mul_f64 v[4:5], v[0:1], v[2:3]
	v_xor_b32_e32 v3, 0x80000000, v3
.LBB127_708:
	s_and_not1_saveexec_b32 s3, s3
	s_cbranch_execz .LBB127_710
; %bb.709:
	v_div_scale_f64 v[0:1], null, v[252:253], v[252:253], v[254:255]
	v_div_scale_f64 v[6:7], vcc_lo, v[254:255], v[252:253], v[254:255]
	s_delay_alu instid0(VALU_DEP_2) | instskip(SKIP_2) | instid1(VALU_DEP_1)
	v_rcp_f64_e32 v[2:3], v[0:1]
	s_waitcnt_depctr 0xfff
	v_fma_f64 v[4:5], -v[0:1], v[2:3], 1.0
	v_fma_f64 v[2:3], v[2:3], v[4:5], v[2:3]
	s_delay_alu instid0(VALU_DEP_1) | instskip(NEXT) | instid1(VALU_DEP_1)
	v_fma_f64 v[4:5], -v[0:1], v[2:3], 1.0
	v_fma_f64 v[2:3], v[2:3], v[4:5], v[2:3]
	s_delay_alu instid0(VALU_DEP_1) | instskip(NEXT) | instid1(VALU_DEP_1)
	v_mul_f64 v[4:5], v[6:7], v[2:3]
	v_fma_f64 v[0:1], -v[0:1], v[4:5], v[6:7]
	s_delay_alu instid0(VALU_DEP_1) | instskip(NEXT) | instid1(VALU_DEP_1)
	v_div_fmas_f64 v[0:1], v[0:1], v[2:3], v[4:5]
	v_div_fixup_f64 v[0:1], v[0:1], v[252:253], v[254:255]
	s_delay_alu instid0(VALU_DEP_1) | instskip(NEXT) | instid1(VALU_DEP_1)
	v_fma_f64 v[2:3], v[254:255], v[0:1], v[252:253]
	v_div_scale_f64 v[4:5], null, v[2:3], v[2:3], 1.0
	s_delay_alu instid0(VALU_DEP_1) | instskip(SKIP_2) | instid1(VALU_DEP_1)
	v_rcp_f64_e32 v[6:7], v[4:5]
	s_waitcnt_depctr 0xfff
	v_fma_f64 v[252:253], -v[4:5], v[6:7], 1.0
	v_fma_f64 v[6:7], v[6:7], v[252:253], v[6:7]
	s_delay_alu instid0(VALU_DEP_1) | instskip(NEXT) | instid1(VALU_DEP_1)
	v_fma_f64 v[252:253], -v[4:5], v[6:7], 1.0
	v_fma_f64 v[6:7], v[6:7], v[252:253], v[6:7]
	v_div_scale_f64 v[252:253], vcc_lo, 1.0, v[2:3], 1.0
	s_delay_alu instid0(VALU_DEP_1) | instskip(NEXT) | instid1(VALU_DEP_1)
	v_mul_f64 v[254:255], v[252:253], v[6:7]
	v_fma_f64 v[4:5], -v[4:5], v[254:255], v[252:253]
	s_delay_alu instid0(VALU_DEP_1) | instskip(NEXT) | instid1(VALU_DEP_1)
	v_div_fmas_f64 v[4:5], v[4:5], v[6:7], v[254:255]
	v_div_fixup_f64 v[4:5], v[4:5], v[2:3], 1.0
	s_delay_alu instid0(VALU_DEP_1)
	v_mul_f64 v[2:3], v[0:1], -v[4:5]
.LBB127_710:
	s_or_b32 exec_lo, exec_lo, s3
	scratch_load_b32 v0, off, off offset:1024 ; 4-byte Folded Reload
	s_waitcnt vmcnt(0)
	ds_store_2addr_b64 v0, v[4:5], v[2:3] offset1:1
.LBB127_711:
	s_or_b32 exec_lo, exec_lo, s4
	s_waitcnt lgkmcnt(0)
	s_barrier
	buffer_gl0_inv
	scratch_load_b32 v0, off, off offset:1024 ; 4-byte Folded Reload
	s_mov_b32 s3, exec_lo
	s_waitcnt vmcnt(0)
	ds_load_2addr_b64 v[252:255], v0 offset1:1
	v_cmpx_lt_u32_e32 63, v8
	s_cbranch_execz .LBB127_713
; %bb.712:
	scratch_load_b128 v[0:3], off, off offset:1008
	s_waitcnt vmcnt(0) lgkmcnt(0)
	v_mul_f64 v[4:5], v[254:255], v[2:3]
	v_mul_f64 v[2:3], v[252:253], v[2:3]
	s_delay_alu instid0(VALU_DEP_2) | instskip(NEXT) | instid1(VALU_DEP_2)
	v_fma_f64 v[4:5], v[252:253], v[0:1], -v[4:5]
	v_fma_f64 v[6:7], v[254:255], v[0:1], v[2:3]
	scratch_store_b128 off, v[4:7], off offset:1008
.LBB127_713:
	s_or_b32 exec_lo, exec_lo, s3
	s_waitcnt lgkmcnt(0)
	s_waitcnt_vscnt null, 0x0
	s_barrier
	buffer_gl0_inv
	s_and_saveexec_b32 s12, s2
	s_cbranch_execz .LBB127_716
; %bb.714:
	scratch_load_b128 v[0:3], off, off offset:1784 ; 16-byte Folded Reload
	v_cmp_eq_f64_e64 s7, 0, v[12:13]
	v_cmp_eq_f64_e64 s8, 0, v[14:15]
	;; [unrolled: 1-line block ×4, first 2 shown]
	s_waitcnt vmcnt(0)
	v_cmp_eq_f64_e32 vcc_lo, 0, v[0:1]
	v_cmp_eq_f64_e64 s2, 0, v[2:3]
	scratch_load_b128 v[0:3], off, off offset:1800 ; 16-byte Folded Reload
	s_and_b32 s2, vcc_lo, s2
	s_waitcnt vmcnt(0)
	v_cmp_neq_f64_e64 s3, 0, v[0:1]
	v_cmp_neq_f64_e64 s4, 0, v[2:3]
	scratch_load_b128 v[0:3], off, off offset:1816 ; 16-byte Folded Reload
	s_or_b32 s3, s3, s4
	s_delay_alu instid0(SALU_CYCLE_1)
	s_or_b32 vcc_lo, s3, s2
	s_waitcnt vmcnt(0)
	v_cmp_eq_f64_e64 s5, 0, v[0:1]
	v_cmp_eq_f64_e64 s6, 0, v[2:3]
	v_cndmask_b32_e64 v0, 0, 1, s2
	v_cmp_eq_f64_e64 s2, 0, v[22:23]
	s_delay_alu instid0(VALU_DEP_2) | instskip(SKIP_1) | instid1(VALU_DEP_2)
	v_cndmask_b32_e32 v0, 2, v0, vcc_lo
	v_cmp_eq_f64_e32 vcc_lo, 0, v[20:21]
	v_cmp_eq_u32_e64 s3, 0, v0
	s_and_b32 s4, s5, s6
	s_and_b32 s6, s7, s8
	s_delay_alu instid0(VALU_DEP_1)
	s_and_b32 s3, s4, s3
	v_cmp_eq_f64_e64 s4, 0, v[26:27]
	v_cndmask_b32_e64 v0, v0, 3, s3
	v_cmp_eq_f64_e64 s3, 0, v[24:25]
	s_and_b32 s8, s9, s10
	s_and_b32 s2, vcc_lo, s2
	v_cmp_eq_f64_e32 vcc_lo, 0, v[36:37]
	v_cmp_eq_u32_e64 s5, 0, v0
	v_cmp_eq_f64_e64 s10, 0, v[136:137]
	s_delay_alu instid0(VALU_DEP_2) | instskip(SKIP_3) | instid1(VALU_DEP_2)
	s_and_b32 s5, s6, s5
	v_cmp_eq_f64_e64 s6, 0, v[30:31]
	v_cndmask_b32_e64 v0, v0, 4, s5
	v_cmp_eq_f64_e64 s5, 0, v[28:29]
	v_cmp_eq_u32_e64 s7, 0, v0
	s_delay_alu instid0(VALU_DEP_1) | instskip(SKIP_3) | instid1(VALU_DEP_2)
	s_and_b32 s7, s8, s7
	v_cmp_eq_f64_e64 s8, 0, v[34:35]
	v_cndmask_b32_e64 v0, v0, 5, s7
	v_cmp_eq_f64_e64 s7, 0, v[32:33]
	v_cmp_eq_u32_e64 s9, 0, v0
	s_delay_alu instid0(VALU_DEP_1) | instskip(NEXT) | instid1(SALU_CYCLE_1)
	s_and_b32 s2, s2, s9
	v_cndmask_b32_e64 v0, v0, 6, s2
	v_cmp_eq_f64_e64 s2, 0, v[38:39]
	s_and_b32 s3, s3, s4
	v_cmp_eq_f64_e64 s4, 0, v[42:43]
	s_delay_alu instid0(VALU_DEP_3) | instskip(NEXT) | instid1(VALU_DEP_1)
	v_cmp_eq_u32_e64 s9, 0, v0
	s_and_b32 s3, s3, s9
	s_delay_alu instid0(SALU_CYCLE_1) | instskip(SKIP_3) | instid1(VALU_DEP_3)
	v_cndmask_b32_e64 v0, v0, 7, s3
	v_cmp_eq_f64_e64 s3, 0, v[40:41]
	s_and_b32 s5, s5, s6
	v_cmp_eq_f64_e64 s6, 0, v[46:47]
	v_cmp_eq_u32_e64 s9, 0, v0
	s_delay_alu instid0(VALU_DEP_1) | instskip(NEXT) | instid1(SALU_CYCLE_1)
	s_and_b32 s5, s5, s9
	v_cndmask_b32_e64 v0, v0, 8, s5
	v_cmp_eq_f64_e64 s5, 0, v[44:45]
	s_and_b32 s7, s7, s8
	v_cmp_eq_f64_e64 s8, 0, v[50:51]
	s_delay_alu instid0(VALU_DEP_3) | instskip(NEXT) | instid1(VALU_DEP_1)
	v_cmp_eq_u32_e64 s9, 0, v0
	s_and_b32 s7, s7, s9
	s_delay_alu instid0(SALU_CYCLE_1) | instskip(SKIP_3) | instid1(VALU_DEP_3)
	v_cndmask_b32_e64 v0, v0, 9, s7
	v_cmp_eq_f64_e64 s7, 0, v[48:49]
	s_and_b32 s2, vcc_lo, s2
	v_cmp_eq_f64_e32 vcc_lo, 0, v[52:53]
	v_cmp_eq_u32_e64 s9, 0, v0
	s_delay_alu instid0(VALU_DEP_1) | instskip(NEXT) | instid1(SALU_CYCLE_1)
	s_and_b32 s2, s2, s9
	v_cndmask_b32_e64 v0, v0, 10, s2
	v_cmp_eq_f64_e64 s2, 0, v[54:55]
	s_and_b32 s3, s3, s4
	v_cmp_eq_f64_e64 s4, 0, v[58:59]
	s_delay_alu instid0(VALU_DEP_3) | instskip(NEXT) | instid1(VALU_DEP_1)
	v_cmp_eq_u32_e64 s9, 0, v0
	s_and_b32 s3, s3, s9
	s_delay_alu instid0(SALU_CYCLE_1) | instskip(SKIP_3) | instid1(VALU_DEP_3)
	v_cndmask_b32_e64 v0, v0, 11, s3
	v_cmp_eq_f64_e64 s3, 0, v[56:57]
	s_and_b32 s5, s5, s6
	v_cmp_eq_f64_e64 s6, 0, v[62:63]
	v_cmp_eq_u32_e64 s9, 0, v0
	s_delay_alu instid0(VALU_DEP_1) | instskip(NEXT) | instid1(SALU_CYCLE_1)
	s_and_b32 s5, s5, s9
	v_cndmask_b32_e64 v0, v0, 12, s5
	v_cmp_eq_f64_e64 s5, 0, v[60:61]
	s_and_b32 s7, s7, s8
	v_cmp_eq_f64_e64 s8, 0, v[66:67]
	s_delay_alu instid0(VALU_DEP_3) | instskip(NEXT) | instid1(VALU_DEP_1)
	v_cmp_eq_u32_e64 s9, 0, v0
	s_and_b32 s7, s7, s9
	s_delay_alu instid0(SALU_CYCLE_1) | instskip(SKIP_3) | instid1(VALU_DEP_3)
	v_cndmask_b32_e64 v0, v0, 13, s7
	v_cmp_eq_f64_e64 s7, 0, v[64:65]
	s_and_b32 s2, vcc_lo, s2
	v_cmp_eq_f64_e32 vcc_lo, 0, v[68:69]
	;; [unrolled: 30-line block ×5, first 2 shown]
	v_cmp_eq_u32_e64 s9, 0, v0
	s_delay_alu instid0(VALU_DEP_1) | instskip(NEXT) | instid1(SALU_CYCLE_1)
	s_and_b32 s2, s2, s9
	v_cndmask_b32_e64 v0, v0, 26, s2
	v_cmp_eq_f64_e64 s2, 0, v[118:119]
	s_and_b32 s3, s3, s4
	v_cmp_eq_f64_e64 s4, 0, v[122:123]
	s_delay_alu instid0(VALU_DEP_3) | instskip(NEXT) | instid1(VALU_DEP_1)
	v_cmp_eq_u32_e64 s9, 0, v0
	s_and_b32 s3, s3, s9
	s_delay_alu instid0(SALU_CYCLE_1) | instskip(SKIP_3) | instid1(VALU_DEP_3)
	v_cndmask_b32_e64 v0, v0, 27, s3
	v_cmp_eq_f64_e64 s3, 0, v[120:121]
	s_and_b32 s5, s5, s6
	v_cmp_eq_f64_e64 s6, 0, v[126:127]
	v_cmp_eq_u32_e64 s9, 0, v0
	s_delay_alu instid0(VALU_DEP_1) | instskip(NEXT) | instid1(SALU_CYCLE_1)
	s_and_b32 s5, s5, s9
	v_cndmask_b32_e64 v0, v0, 28, s5
	v_cmp_eq_f64_e64 s5, 0, v[124:125]
	s_and_b32 s7, s7, s8
	v_cmp_eq_f64_e64 s8, 0, v[130:131]
	s_delay_alu instid0(VALU_DEP_3) | instskip(NEXT) | instid1(VALU_DEP_1)
	v_cmp_eq_u32_e64 s9, 0, v0
	s_and_b32 s7, s7, s9
	s_delay_alu instid0(SALU_CYCLE_1) | instskip(SKIP_2) | instid1(VALU_DEP_2)
	v_cndmask_b32_e64 v0, v0, 29, s7
	v_cmp_eq_f64_e64 s7, 0, v[128:129]
	s_and_b32 s2, vcc_lo, s2
	v_cmp_eq_u32_e64 s9, 0, v0
	s_delay_alu instid0(VALU_DEP_1)
	s_and_b32 s2, s2, s9
	v_cmp_eq_f64_e64 s9, 0, v[134:135]
	v_cndmask_b32_e64 v0, v0, 30, s2
	v_cmp_eq_f64_e64 s2, 0, v[132:133]
	s_and_b32 s4, s3, s4
	v_cmp_eq_f64_e64 s3, 0, v[138:139]
	s_delay_alu instid0(VALU_DEP_3) | instskip(SKIP_1) | instid1(SALU_CYCLE_1)
	v_cmp_eq_u32_e32 vcc_lo, 0, v0
	s_and_b32 s4, s4, vcc_lo
	v_cndmask_b32_e64 v0, v0, 31, s4
	s_and_b32 s4, s5, s6
	v_cmp_eq_f64_e64 s5, 0, v[142:143]
	s_delay_alu instid0(VALU_DEP_2) | instskip(SKIP_1) | instid1(SALU_CYCLE_1)
	v_cmp_eq_u32_e32 vcc_lo, 0, v0
	s_and_b32 s4, s4, vcc_lo
	v_cndmask_b32_e64 v0, v0, 32, s4
	v_cmp_eq_f64_e64 s4, 0, v[140:141]
	s_and_b32 s8, s7, s8
	s_load_b64 s[6:7], s[0:1], 0x28
	s_delay_alu instid0(VALU_DEP_2)
	v_cmp_eq_u32_e32 vcc_lo, 0, v0
	s_and_b32 s0, s8, vcc_lo
	v_cmp_eq_f64_e32 vcc_lo, 0, v[144:145]
	v_cndmask_b32_e64 v0, v0, 33, s0
	v_cmp_eq_f64_e64 s0, 0, v[146:147]
	s_and_b32 s2, s2, s9
	v_cmp_eq_f64_e64 s9, 0, v[172:173]
	s_delay_alu instid0(VALU_DEP_3) | instskip(SKIP_2) | instid1(VALU_DEP_2)
	v_cmp_eq_u32_e64 s1, 0, v0
	s_and_b32 s8, s10, s3
	v_cmp_eq_f64_e64 s10, 0, v[174:175]
	s_and_b32 s1, s2, s1
	v_cmp_eq_f64_e64 s2, 0, v[150:151]
	v_cndmask_b32_e64 v2, v0, 34, s1
	scratch_load_b64 v[0:1], off, off offset:1776 ; 8-byte Folded Reload
	v_cmp_eq_f64_e64 s1, 0, v[148:149]
	v_cmp_eq_u32_e64 s3, 0, v2
	s_delay_alu instid0(VALU_DEP_1)
	s_and_b32 s3, s8, s3
	v_cmp_eq_f64_e64 s8, 0, v[170:171]
	v_cndmask_b32_e64 v3, v2, 35, s3
	v_cmp_eq_f64_e64 s3, 0, v[152:153]
	s_and_b32 s4, s4, s5
	v_cmp_eq_f64_e64 s5, 0, v[158:159]
	s_and_b32 s0, vcc_lo, s0
	v_cmp_eq_f64_e32 vcc_lo, 0, v[160:161]
	s_and_b32 s1, s1, s2
	v_cmp_eq_f64_e64 s2, 0, v[166:167]
	s_waitcnt vmcnt(0)
	v_lshlrev_b64 v[0:1], 2, v[0:1]
	s_waitcnt lgkmcnt(0)
	s_delay_alu instid0(VALU_DEP_1) | instskip(NEXT) | instid1(VALU_DEP_1)
	v_add_co_u32 v0, s6, s6, v0
	v_add_co_ci_u32_e64 v1, s6, s7, v1, s6
	v_cmp_eq_u32_e64 s7, 0, v3
	v_cmp_eq_f64_e64 s6, 0, v[154:155]
	global_load_b32 v2, v[0:1], off
	s_and_b32 s4, s4, s7
	s_delay_alu instid0(SALU_CYCLE_1) | instskip(SKIP_1) | instid1(VALU_DEP_2)
	v_cndmask_b32_e64 v3, v3, 36, s4
	v_cmp_eq_f64_e64 s4, 0, v[156:157]
	v_cmp_eq_u32_e64 s7, 0, v3
	s_delay_alu instid0(VALU_DEP_1) | instskip(NEXT) | instid1(SALU_CYCLE_1)
	s_and_b32 s0, s0, s7
	v_cndmask_b32_e64 v3, v3, 37, s0
	v_cmp_eq_f64_e64 s0, 0, v[162:163]
	s_delay_alu instid0(VALU_DEP_2) | instskip(NEXT) | instid1(VALU_DEP_1)
	v_cmp_eq_u32_e64 s7, 0, v3
	s_and_b32 s1, s1, s7
	s_delay_alu instid0(SALU_CYCLE_1) | instskip(SKIP_1) | instid1(VALU_DEP_2)
	v_cndmask_b32_e64 v3, v3, 38, s1
	v_cmp_eq_f64_e64 s1, 0, v[164:165]
	v_cmp_eq_u32_e64 s7, 0, v3
	s_and_b32 s3, s3, s6
	v_cmp_eq_f64_e64 s6, 0, v[182:183]
	s_delay_alu instid0(VALU_DEP_2) | instskip(SKIP_4) | instid1(VALU_DEP_2)
	s_and_b32 s3, s3, s7
	v_cmp_eq_f64_e64 s7, 0, v[168:169]
	v_cndmask_b32_e64 v3, v3, 39, s3
	s_and_b32 s4, s4, s5
	v_cmp_eq_f64_e64 s5, 0, v[178:179]
	v_cmp_eq_u32_e64 s3, 0, v3
	s_delay_alu instid0(VALU_DEP_1) | instskip(SKIP_3) | instid1(VALU_DEP_1)
	s_and_b32 s3, s4, s3
	v_cmp_eq_f64_e64 s4, 0, v[180:181]
	v_cndmask_b32_e64 v3, v3, 40, s3
	s_and_b32 s0, vcc_lo, s0
	v_cmp_eq_u32_e64 s3, 0, v3
	s_delay_alu instid0(VALU_DEP_1) | instskip(SKIP_4) | instid1(VALU_DEP_1)
	s_and_b32 s0, s0, s3
	v_cmp_eq_f64_e64 s3, 0, v[176:177]
	v_cndmask_b32_e64 v3, v3, 41, s0
	s_and_b32 s0, s1, s2
	s_and_b32 s2, s9, s10
	v_cmp_eq_u32_e32 vcc_lo, 0, v3
	s_and_b32 s0, s0, vcc_lo
	s_delay_alu instid0(SALU_CYCLE_1) | instskip(SKIP_1) | instid1(VALU_DEP_1)
	v_cndmask_b32_e64 v3, v3, 42, s0
	s_and_b32 s0, s7, s8
	v_cmp_eq_u32_e32 vcc_lo, 0, v3
	s_and_b32 s0, s0, vcc_lo
	v_cmp_eq_f64_e32 vcc_lo, 0, v[184:185]
	v_cndmask_b32_e64 v3, v3, 43, s0
	v_cmp_eq_f64_e64 s0, 0, v[186:187]
	s_and_b32 s4, s4, s6
	v_cmp_eq_f64_e64 s6, 0, v[198:199]
	s_delay_alu instid0(VALU_DEP_3) | instskip(NEXT) | instid1(VALU_DEP_1)
	v_cmp_eq_u32_e64 s1, 0, v3
	s_and_b32 s1, s2, s1
	v_cmp_eq_f64_e64 s2, 0, v[190:191]
	v_cndmask_b32_e64 v3, v3, 44, s1
	v_cmp_eq_f64_e64 s1, 0, v[188:189]
	s_and_b32 s3, s3, s5
	v_cmp_eq_f64_e64 s5, 0, v[194:195]
	s_delay_alu instid0(VALU_DEP_3) | instskip(NEXT) | instid1(VALU_DEP_1)
	v_cmp_eq_u32_e64 s7, 0, v3
	s_and_b32 s3, s3, s7
	s_delay_alu instid0(SALU_CYCLE_1) | instskip(SKIP_1) | instid1(VALU_DEP_2)
	v_cndmask_b32_e64 v3, v3, 45, s3
	v_cmp_eq_f64_e64 s3, 0, v[192:193]
	v_cmp_eq_u32_e64 s7, 0, v3
	s_delay_alu instid0(VALU_DEP_1) | instskip(NEXT) | instid1(SALU_CYCLE_1)
	s_and_b32 s4, s4, s7
	v_cndmask_b32_e64 v3, v3, 46, s4
	v_cmp_eq_f64_e64 s4, 0, v[196:197]
	s_and_b32 s0, vcc_lo, s0
	v_cmp_eq_f64_e32 vcc_lo, 0, v[200:201]
	s_delay_alu instid0(VALU_DEP_3) | instskip(NEXT) | instid1(VALU_DEP_1)
	v_cmp_eq_u32_e64 s7, 0, v3
	s_and_b32 s0, s0, s7
	s_delay_alu instid0(SALU_CYCLE_1) | instskip(SKIP_3) | instid1(VALU_DEP_3)
	v_cndmask_b32_e64 v3, v3, 47, s0
	v_cmp_eq_f64_e64 s0, 0, v[202:203]
	s_and_b32 s1, s1, s2
	v_cmp_eq_f64_e64 s2, 0, v[206:207]
	v_cmp_eq_u32_e64 s7, 0, v3
	s_delay_alu instid0(VALU_DEP_1) | instskip(NEXT) | instid1(SALU_CYCLE_1)
	s_and_b32 s1, s1, s7
	v_cndmask_b32_e64 v3, v3, 48, s1
	v_cmp_eq_f64_e64 s1, 0, v[204:205]
	s_and_b32 s3, s3, s5
	v_cmp_eq_f64_e64 s5, 0, v[210:211]
	s_delay_alu instid0(VALU_DEP_3) | instskip(NEXT) | instid1(VALU_DEP_1)
	v_cmp_eq_u32_e64 s7, 0, v3
	s_and_b32 s3, s3, s7
	s_delay_alu instid0(SALU_CYCLE_1) | instskip(SKIP_3) | instid1(VALU_DEP_3)
	v_cndmask_b32_e64 v3, v3, 49, s3
	v_cmp_eq_f64_e64 s3, 0, v[208:209]
	s_and_b32 s4, s4, s6
	v_cmp_eq_f64_e64 s6, 0, v[214:215]
	v_cmp_eq_u32_e64 s7, 0, v3
	s_delay_alu instid0(VALU_DEP_1) | instskip(NEXT) | instid1(SALU_CYCLE_1)
	s_and_b32 s4, s4, s7
	v_cndmask_b32_e64 v3, v3, 50, s4
	v_cmp_eq_f64_e64 s4, 0, v[212:213]
	s_and_b32 s0, vcc_lo, s0
	v_cmp_eq_f64_e32 vcc_lo, 0, v[216:217]
	s_delay_alu instid0(VALU_DEP_3) | instskip(NEXT) | instid1(VALU_DEP_1)
	v_cmp_eq_u32_e64 s7, 0, v3
	s_and_b32 s0, s0, s7
	s_delay_alu instid0(SALU_CYCLE_1) | instskip(SKIP_3) | instid1(VALU_DEP_3)
	v_cndmask_b32_e64 v3, v3, 51, s0
	v_cmp_eq_f64_e64 s0, 0, v[218:219]
	s_and_b32 s1, s1, s2
	v_cmp_eq_f64_e64 s2, 0, v[222:223]
	v_cmp_eq_u32_e64 s7, 0, v3
	s_delay_alu instid0(VALU_DEP_1) | instskip(NEXT) | instid1(SALU_CYCLE_1)
	s_and_b32 s1, s1, s7
	v_cndmask_b32_e64 v3, v3, 52, s1
	v_cmp_eq_f64_e64 s1, 0, v[220:221]
	s_and_b32 s3, s3, s5
	v_cmp_eq_f64_e64 s5, 0, v[226:227]
	s_delay_alu instid0(VALU_DEP_3) | instskip(NEXT) | instid1(VALU_DEP_1)
	v_cmp_eq_u32_e64 s7, 0, v3
	s_and_b32 s3, s3, s7
	s_delay_alu instid0(SALU_CYCLE_1) | instskip(SKIP_3) | instid1(VALU_DEP_3)
	v_cndmask_b32_e64 v3, v3, 53, s3
	v_cmp_eq_f64_e64 s3, 0, v[224:225]
	s_and_b32 s4, s4, s6
	;; [unrolled: 30-line block ×3, first 2 shown]
	v_cmp_eq_f64_e64 s6, 0, v[246:247]
	v_cmp_eq_u32_e64 s7, 0, v3
	s_delay_alu instid0(VALU_DEP_1) | instskip(NEXT) | instid1(SALU_CYCLE_1)
	s_and_b32 s4, s4, s7
	v_cndmask_b32_e64 v3, v3, 58, s4
	v_cmp_eq_f64_e64 s4, 0, v[244:245]
	s_and_b32 s0, vcc_lo, s0
	v_cmp_eq_f64_e32 vcc_lo, 0, v[248:249]
	s_delay_alu instid0(VALU_DEP_3) | instskip(NEXT) | instid1(VALU_DEP_1)
	v_cmp_eq_u32_e64 s7, 0, v3
	s_and_b32 s0, s0, s7
	s_delay_alu instid0(SALU_CYCLE_1) | instskip(SKIP_3) | instid1(VALU_DEP_3)
	v_cndmask_b32_e64 v3, v3, 59, s0
	v_cmp_eq_f64_e64 s0, 0, v[250:251]
	s_and_b32 s1, s1, s2
	v_cmp_eq_f64_e64 s2, 0, v[254:255]
	v_cmp_eq_u32_e64 s7, 0, v3
	s_delay_alu instid0(VALU_DEP_1) | instskip(NEXT) | instid1(SALU_CYCLE_1)
	s_and_b32 s1, s1, s7
	v_cndmask_b32_e64 v3, v3, 60, s1
	v_cmp_eq_f64_e64 s1, 0, v[252:253]
	s_and_b32 s3, s3, s5
	s_delay_alu instid0(VALU_DEP_2) | instskip(NEXT) | instid1(VALU_DEP_1)
	v_cmp_eq_u32_e64 s7, 0, v3
	s_and_b32 s3, s3, s7
	s_delay_alu instid0(SALU_CYCLE_1) | instskip(SKIP_1) | instid1(VALU_DEP_1)
	v_cndmask_b32_e64 v3, v3, 61, s3
	s_and_b32 s4, s4, s6
	v_cmp_eq_u32_e64 s3, 0, v3
	s_delay_alu instid0(VALU_DEP_1) | instskip(NEXT) | instid1(SALU_CYCLE_1)
	s_and_b32 s3, s4, s3
	v_cndmask_b32_e64 v3, v3, 62, s3
	s_and_b32 s0, vcc_lo, s0
	s_delay_alu instid0(VALU_DEP_1) | instskip(NEXT) | instid1(VALU_DEP_1)
	v_cmp_eq_u32_e64 s3, 0, v3
	s_and_b32 s0, s0, s3
	s_delay_alu instid0(SALU_CYCLE_1) | instskip(SKIP_1) | instid1(VALU_DEP_1)
	v_cndmask_b32_e64 v3, v3, 63, s0
	s_and_b32 s0, s1, s2
	v_cmp_eq_u32_e32 vcc_lo, 0, v3
	s_and_b32 s0, s0, vcc_lo
	s_waitcnt vmcnt(0)
	v_cmp_eq_u32_e32 vcc_lo, 0, v2
	v_cndmask_b32_e64 v3, v3, 64, s0
	s_delay_alu instid0(VALU_DEP_1) | instskip(NEXT) | instid1(VALU_DEP_1)
	v_cmp_lt_i32_e64 s0, 0, v3
	s_and_b32 s0, vcc_lo, s0
	s_delay_alu instid0(SALU_CYCLE_1)
	s_and_b32 exec_lo, exec_lo, s0
	s_cbranch_execz .LBB127_716
; %bb.715:
	v_add_nc_u32_e32 v2, s11, v3
	global_store_b32 v[0:1], v2, off
.LBB127_716:
	s_or_b32 exec_lo, exec_lo, s12
	v_add_nc_u32_e64 v4, 0, 16
	v_add_nc_u32_e64 v8, 0, 32
	;; [unrolled: 1-line block ×4, first 2 shown]
	scratch_load_b128 v[0:3], off, off
	s_clause 0x3
	scratch_load_b128 v[4:7], v4, off
	scratch_load_b128 v[8:11], v8, off
	;; [unrolled: 1-line block ×4, first 2 shown]
	scratch_load_b32 v20, off, off offset:1268 ; 4-byte Folded Reload
	s_waitcnt vmcnt(0)
	scratch_load_b128 v[20:23], v20, off
	scratch_load_b32 v24, off, off offset:1264 ; 4-byte Folded Reload
	s_waitcnt vmcnt(0)
	scratch_load_b128 v[24:27], v24, off
	;; [unrolled: 3-line block ×15, first 2 shown]
	scratch_load_b64 v[80:81], off, off offset:1172 ; 8-byte Folded Reload
	s_waitcnt vmcnt(0)
	global_store_b128 v[80:81], v[0:3], off
	scratch_load_b32 v0, off, off offset:1208 ; 4-byte Folded Reload
	s_waitcnt vmcnt(0)
	scratch_load_b128 v[0:3], v0, off
	scratch_load_b32 v80, off, off offset:1204 ; 4-byte Folded Reload
	s_waitcnt vmcnt(0)
	scratch_load_b128 v[80:83], v80, off
	scratch_load_b64 v[84:85], off, off offset:1768 ; 8-byte Folded Reload
	s_waitcnt vmcnt(0)
	global_store_b128 v[84:85], v[4:7], off
	scratch_load_b32 v4, off, off offset:1200 ; 4-byte Folded Reload
	s_waitcnt vmcnt(0)
	scratch_load_b128 v[4:7], v4, off
	scratch_load_b32 v84, off, off offset:1196 ; 4-byte Folded Reload
	s_waitcnt vmcnt(0)
	scratch_load_b128 v[84:87], v84, off
	;; [unrolled: 9-line block ×22, first 2 shown]
	scratch_load_b64 v[168:169], off, off offset:1312 ; 8-byte Folded Reload
	s_waitcnt vmcnt(0)
	global_store_b128 v[168:169], v[4:7], off
	scratch_load_b64 v[4:5], off, off offset:1320 ; 8-byte Folded Reload
	s_waitcnt vmcnt(0)
	global_store_b128 v[4:5], v[84:87], off
	;; [unrolled: 3-line block ×42, first 2 shown]
.LBB127_717:
	s_nop 0
	s_sendmsg sendmsg(MSG_DEALLOC_VGPRS)
	s_endpgm
	.section	.rodata,"a",@progbits
	.p2align	6, 0x0
	.amdhsa_kernel _ZN9rocsolver6v33100L23getf2_npvt_small_kernelILi64E19rocblas_complex_numIdEiiPKPS3_EEvT1_T3_lS7_lPT2_S7_S7_
		.amdhsa_group_segment_fixed_size 0
		.amdhsa_private_segment_fixed_size 1840
		.amdhsa_kernarg_size 312
		.amdhsa_user_sgpr_count 14
		.amdhsa_user_sgpr_dispatch_ptr 0
		.amdhsa_user_sgpr_queue_ptr 0
		.amdhsa_user_sgpr_kernarg_segment_ptr 1
		.amdhsa_user_sgpr_dispatch_id 0
		.amdhsa_user_sgpr_private_segment_size 0
		.amdhsa_wavefront_size32 1
		.amdhsa_uses_dynamic_stack 0
		.amdhsa_enable_private_segment 1
		.amdhsa_system_sgpr_workgroup_id_x 1
		.amdhsa_system_sgpr_workgroup_id_y 1
		.amdhsa_system_sgpr_workgroup_id_z 0
		.amdhsa_system_sgpr_workgroup_info 0
		.amdhsa_system_vgpr_workitem_id 1
		.amdhsa_next_free_vgpr 256
		.amdhsa_next_free_sgpr 76
		.amdhsa_reserve_vcc 1
		.amdhsa_float_round_mode_32 0
		.amdhsa_float_round_mode_16_64 0
		.amdhsa_float_denorm_mode_32 3
		.amdhsa_float_denorm_mode_16_64 3
		.amdhsa_dx10_clamp 1
		.amdhsa_ieee_mode 1
		.amdhsa_fp16_overflow 0
		.amdhsa_workgroup_processor_mode 1
		.amdhsa_memory_ordered 1
		.amdhsa_forward_progress 0
		.amdhsa_shared_vgpr_count 0
		.amdhsa_exception_fp_ieee_invalid_op 0
		.amdhsa_exception_fp_denorm_src 0
		.amdhsa_exception_fp_ieee_div_zero 0
		.amdhsa_exception_fp_ieee_overflow 0
		.amdhsa_exception_fp_ieee_underflow 0
		.amdhsa_exception_fp_ieee_inexact 0
		.amdhsa_exception_int_div_zero 0
	.end_amdhsa_kernel
	.section	.text._ZN9rocsolver6v33100L23getf2_npvt_small_kernelILi64E19rocblas_complex_numIdEiiPKPS3_EEvT1_T3_lS7_lPT2_S7_S7_,"axG",@progbits,_ZN9rocsolver6v33100L23getf2_npvt_small_kernelILi64E19rocblas_complex_numIdEiiPKPS3_EEvT1_T3_lS7_lPT2_S7_S7_,comdat
.Lfunc_end127:
	.size	_ZN9rocsolver6v33100L23getf2_npvt_small_kernelILi64E19rocblas_complex_numIdEiiPKPS3_EEvT1_T3_lS7_lPT2_S7_S7_, .Lfunc_end127-_ZN9rocsolver6v33100L23getf2_npvt_small_kernelILi64E19rocblas_complex_numIdEiiPKPS3_EEvT1_T3_lS7_lPT2_S7_S7_
                                        ; -- End function
	.section	.AMDGPU.csdata,"",@progbits
; Kernel info:
; codeLenInByte = 125824
; NumSgprs: 78
; NumVgprs: 256
; ScratchSize: 1840
; MemoryBound: 0
; FloatMode: 240
; IeeeMode: 1
; LDSByteSize: 0 bytes/workgroup (compile time only)
; SGPRBlocks: 9
; VGPRBlocks: 31
; NumSGPRsForWavesPerEU: 78
; NumVGPRsForWavesPerEU: 256
; Occupancy: 5
; WaveLimiterHint : 1
; COMPUTE_PGM_RSRC2:SCRATCH_EN: 1
; COMPUTE_PGM_RSRC2:USER_SGPR: 14
; COMPUTE_PGM_RSRC2:TRAP_HANDLER: 0
; COMPUTE_PGM_RSRC2:TGID_X_EN: 1
; COMPUTE_PGM_RSRC2:TGID_Y_EN: 1
; COMPUTE_PGM_RSRC2:TGID_Z_EN: 0
; COMPUTE_PGM_RSRC2:TIDIG_COMP_CNT: 1
	.text
	.p2alignl 7, 3214868480
	.fill 96, 4, 3214868480
	.type	__hip_cuid_a7dc7d9f14e8f9a8,@object ; @__hip_cuid_a7dc7d9f14e8f9a8
	.section	.bss,"aw",@nobits
	.globl	__hip_cuid_a7dc7d9f14e8f9a8
__hip_cuid_a7dc7d9f14e8f9a8:
	.byte	0                               ; 0x0
	.size	__hip_cuid_a7dc7d9f14e8f9a8, 1

	.ident	"AMD clang version 19.0.0git (https://github.com/RadeonOpenCompute/llvm-project roc-6.4.0 25133 c7fe45cf4b819c5991fe208aaa96edf142730f1d)"
	.section	".note.GNU-stack","",@progbits
	.addrsig
	.addrsig_sym __hip_cuid_a7dc7d9f14e8f9a8
	.amdgpu_metadata
---
amdhsa.kernels:
  - .args:
      - .offset:         0
        .size:           4
        .value_kind:     by_value
      - .address_space:  global
        .offset:         8
        .size:           8
        .value_kind:     global_buffer
      - .offset:         16
        .size:           8
        .value_kind:     by_value
      - .offset:         24
        .size:           4
        .value_kind:     by_value
      - .offset:         32
        .size:           8
        .value_kind:     by_value
      - .address_space:  global
        .offset:         40
        .size:           8
        .value_kind:     global_buffer
      - .offset:         48
        .size:           8
        .value_kind:     by_value
      - .offset:         56
        .size:           8
        .value_kind:     by_value
      - .address_space:  global
        .offset:         64
        .size:           8
        .value_kind:     global_buffer
      - .offset:         72
        .size:           4
        .value_kind:     by_value
      - .offset:         76
        .size:           4
        .value_kind:     by_value
      - .address_space:  global
        .offset:         80
        .size:           8
        .value_kind:     global_buffer
      - .offset:         88
        .size:           8
        .value_kind:     by_value
      - .offset:         96
        .size:           4
        .value_kind:     hidden_block_count_x
      - .offset:         100
        .size:           4
        .value_kind:     hidden_block_count_y
      - .offset:         104
        .size:           4
        .value_kind:     hidden_block_count_z
      - .offset:         108
        .size:           2
        .value_kind:     hidden_group_size_x
      - .offset:         110
        .size:           2
        .value_kind:     hidden_group_size_y
      - .offset:         112
        .size:           2
        .value_kind:     hidden_group_size_z
      - .offset:         114
        .size:           2
        .value_kind:     hidden_remainder_x
      - .offset:         116
        .size:           2
        .value_kind:     hidden_remainder_y
      - .offset:         118
        .size:           2
        .value_kind:     hidden_remainder_z
      - .offset:         136
        .size:           8
        .value_kind:     hidden_global_offset_x
      - .offset:         144
        .size:           8
        .value_kind:     hidden_global_offset_y
      - .offset:         152
        .size:           8
        .value_kind:     hidden_global_offset_z
      - .offset:         160
        .size:           2
        .value_kind:     hidden_grid_dims
      - .offset:         216
        .size:           4
        .value_kind:     hidden_dynamic_lds_size
    .group_segment_fixed_size: 0
    .kernarg_segment_align: 8
    .kernarg_segment_size: 352
    .language:       OpenCL C
    .language_version:
      - 2
      - 0
    .max_flat_workgroup_size: 512
    .name:           _ZN9rocsolver6v33100L18getf2_small_kernelILi1E19rocblas_complex_numIdEiiPKPS3_EEvT1_T3_lS7_lPS7_llPT2_S7_S7_S9_l
    .private_segment_fixed_size: 0
    .sgpr_count:     18
    .sgpr_spill_count: 0
    .symbol:         _ZN9rocsolver6v33100L18getf2_small_kernelILi1E19rocblas_complex_numIdEiiPKPS3_EEvT1_T3_lS7_lPS7_llPT2_S7_S7_S9_l.kd
    .uniform_work_group_size: 1
    .uses_dynamic_stack: false
    .vgpr_count:     29
    .vgpr_spill_count: 0
    .wavefront_size: 32
    .workgroup_processor_mode: 1
  - .args:
      - .offset:         0
        .size:           4
        .value_kind:     by_value
      - .address_space:  global
        .offset:         8
        .size:           8
        .value_kind:     global_buffer
      - .offset:         16
        .size:           8
        .value_kind:     by_value
      - .offset:         24
        .size:           4
        .value_kind:     by_value
      - .offset:         32
        .size:           8
        .value_kind:     by_value
      - .address_space:  global
        .offset:         40
        .size:           8
        .value_kind:     global_buffer
      - .offset:         48
        .size:           4
        .value_kind:     by_value
      - .offset:         52
        .size:           4
        .value_kind:     by_value
      - .offset:         56
        .size:           4
        .value_kind:     hidden_block_count_x
      - .offset:         60
        .size:           4
        .value_kind:     hidden_block_count_y
      - .offset:         64
        .size:           4
        .value_kind:     hidden_block_count_z
      - .offset:         68
        .size:           2
        .value_kind:     hidden_group_size_x
      - .offset:         70
        .size:           2
        .value_kind:     hidden_group_size_y
      - .offset:         72
        .size:           2
        .value_kind:     hidden_group_size_z
      - .offset:         74
        .size:           2
        .value_kind:     hidden_remainder_x
      - .offset:         76
        .size:           2
        .value_kind:     hidden_remainder_y
      - .offset:         78
        .size:           2
        .value_kind:     hidden_remainder_z
      - .offset:         96
        .size:           8
        .value_kind:     hidden_global_offset_x
      - .offset:         104
        .size:           8
        .value_kind:     hidden_global_offset_y
      - .offset:         112
        .size:           8
        .value_kind:     hidden_global_offset_z
      - .offset:         120
        .size:           2
        .value_kind:     hidden_grid_dims
      - .offset:         176
        .size:           4
        .value_kind:     hidden_dynamic_lds_size
    .group_segment_fixed_size: 0
    .kernarg_segment_align: 8
    .kernarg_segment_size: 312
    .language:       OpenCL C
    .language_version:
      - 2
      - 0
    .max_flat_workgroup_size: 512
    .name:           _ZN9rocsolver6v33100L23getf2_npvt_small_kernelILi1E19rocblas_complex_numIdEiiPKPS3_EEvT1_T3_lS7_lPT2_S7_S7_
    .private_segment_fixed_size: 0
    .sgpr_count:     18
    .sgpr_spill_count: 0
    .symbol:         _ZN9rocsolver6v33100L23getf2_npvt_small_kernelILi1E19rocblas_complex_numIdEiiPKPS3_EEvT1_T3_lS7_lPT2_S7_S7_.kd
    .uniform_work_group_size: 1
    .uses_dynamic_stack: false
    .vgpr_count:     21
    .vgpr_spill_count: 0
    .wavefront_size: 32
    .workgroup_processor_mode: 1
  - .args:
      - .offset:         0
        .size:           4
        .value_kind:     by_value
      - .address_space:  global
        .offset:         8
        .size:           8
        .value_kind:     global_buffer
      - .offset:         16
        .size:           8
        .value_kind:     by_value
      - .offset:         24
        .size:           4
        .value_kind:     by_value
      - .offset:         32
        .size:           8
        .value_kind:     by_value
      - .address_space:  global
        .offset:         40
        .size:           8
        .value_kind:     global_buffer
      - .offset:         48
        .size:           8
        .value_kind:     by_value
      - .offset:         56
        .size:           8
        .value_kind:     by_value
      - .address_space:  global
        .offset:         64
        .size:           8
        .value_kind:     global_buffer
      - .offset:         72
        .size:           4
        .value_kind:     by_value
      - .offset:         76
        .size:           4
        .value_kind:     by_value
      - .address_space:  global
        .offset:         80
        .size:           8
        .value_kind:     global_buffer
      - .offset:         88
        .size:           8
        .value_kind:     by_value
      - .offset:         96
        .size:           4
        .value_kind:     hidden_block_count_x
      - .offset:         100
        .size:           4
        .value_kind:     hidden_block_count_y
      - .offset:         104
        .size:           4
        .value_kind:     hidden_block_count_z
      - .offset:         108
        .size:           2
        .value_kind:     hidden_group_size_x
      - .offset:         110
        .size:           2
        .value_kind:     hidden_group_size_y
      - .offset:         112
        .size:           2
        .value_kind:     hidden_group_size_z
      - .offset:         114
        .size:           2
        .value_kind:     hidden_remainder_x
      - .offset:         116
        .size:           2
        .value_kind:     hidden_remainder_y
      - .offset:         118
        .size:           2
        .value_kind:     hidden_remainder_z
      - .offset:         136
        .size:           8
        .value_kind:     hidden_global_offset_x
      - .offset:         144
        .size:           8
        .value_kind:     hidden_global_offset_y
      - .offset:         152
        .size:           8
        .value_kind:     hidden_global_offset_z
      - .offset:         160
        .size:           2
        .value_kind:     hidden_grid_dims
      - .offset:         216
        .size:           4
        .value_kind:     hidden_dynamic_lds_size
    .group_segment_fixed_size: 0
    .kernarg_segment_align: 8
    .kernarg_segment_size: 352
    .language:       OpenCL C
    .language_version:
      - 2
      - 0
    .max_flat_workgroup_size: 512
    .name:           _ZN9rocsolver6v33100L18getf2_small_kernelILi2E19rocblas_complex_numIdEiiPKPS3_EEvT1_T3_lS7_lPS7_llPT2_S7_S7_S9_l
    .private_segment_fixed_size: 0
    .sgpr_count:     18
    .sgpr_spill_count: 0
    .symbol:         _ZN9rocsolver6v33100L18getf2_small_kernelILi2E19rocblas_complex_numIdEiiPKPS3_EEvT1_T3_lS7_lPS7_llPT2_S7_S7_S9_l.kd
    .uniform_work_group_size: 1
    .uses_dynamic_stack: false
    .vgpr_count:     37
    .vgpr_spill_count: 0
    .wavefront_size: 32
    .workgroup_processor_mode: 1
  - .args:
      - .offset:         0
        .size:           4
        .value_kind:     by_value
      - .address_space:  global
        .offset:         8
        .size:           8
        .value_kind:     global_buffer
      - .offset:         16
        .size:           8
        .value_kind:     by_value
      - .offset:         24
        .size:           4
        .value_kind:     by_value
      - .offset:         32
        .size:           8
        .value_kind:     by_value
      - .address_space:  global
        .offset:         40
        .size:           8
        .value_kind:     global_buffer
      - .offset:         48
        .size:           4
        .value_kind:     by_value
      - .offset:         52
        .size:           4
        .value_kind:     by_value
      - .offset:         56
        .size:           4
        .value_kind:     hidden_block_count_x
      - .offset:         60
        .size:           4
        .value_kind:     hidden_block_count_y
      - .offset:         64
        .size:           4
        .value_kind:     hidden_block_count_z
      - .offset:         68
        .size:           2
        .value_kind:     hidden_group_size_x
      - .offset:         70
        .size:           2
        .value_kind:     hidden_group_size_y
      - .offset:         72
        .size:           2
        .value_kind:     hidden_group_size_z
      - .offset:         74
        .size:           2
        .value_kind:     hidden_remainder_x
      - .offset:         76
        .size:           2
        .value_kind:     hidden_remainder_y
      - .offset:         78
        .size:           2
        .value_kind:     hidden_remainder_z
      - .offset:         96
        .size:           8
        .value_kind:     hidden_global_offset_x
      - .offset:         104
        .size:           8
        .value_kind:     hidden_global_offset_y
      - .offset:         112
        .size:           8
        .value_kind:     hidden_global_offset_z
      - .offset:         120
        .size:           2
        .value_kind:     hidden_grid_dims
      - .offset:         176
        .size:           4
        .value_kind:     hidden_dynamic_lds_size
    .group_segment_fixed_size: 0
    .kernarg_segment_align: 8
    .kernarg_segment_size: 312
    .language:       OpenCL C
    .language_version:
      - 2
      - 0
    .max_flat_workgroup_size: 512
    .name:           _ZN9rocsolver6v33100L23getf2_npvt_small_kernelILi2E19rocblas_complex_numIdEiiPKPS3_EEvT1_T3_lS7_lPT2_S7_S7_
    .private_segment_fixed_size: 0
    .sgpr_count:     18
    .sgpr_spill_count: 0
    .symbol:         _ZN9rocsolver6v33100L23getf2_npvt_small_kernelILi2E19rocblas_complex_numIdEiiPKPS3_EEvT1_T3_lS7_lPT2_S7_S7_.kd
    .uniform_work_group_size: 1
    .uses_dynamic_stack: false
    .vgpr_count:     32
    .vgpr_spill_count: 0
    .wavefront_size: 32
    .workgroup_processor_mode: 1
  - .args:
      - .offset:         0
        .size:           4
        .value_kind:     by_value
      - .address_space:  global
        .offset:         8
        .size:           8
        .value_kind:     global_buffer
      - .offset:         16
        .size:           8
        .value_kind:     by_value
      - .offset:         24
        .size:           4
        .value_kind:     by_value
      - .offset:         32
        .size:           8
        .value_kind:     by_value
      - .address_space:  global
        .offset:         40
        .size:           8
        .value_kind:     global_buffer
      - .offset:         48
        .size:           8
        .value_kind:     by_value
      - .offset:         56
        .size:           8
        .value_kind:     by_value
      - .address_space:  global
        .offset:         64
        .size:           8
        .value_kind:     global_buffer
      - .offset:         72
        .size:           4
        .value_kind:     by_value
      - .offset:         76
        .size:           4
        .value_kind:     by_value
      - .address_space:  global
        .offset:         80
        .size:           8
        .value_kind:     global_buffer
      - .offset:         88
        .size:           8
        .value_kind:     by_value
      - .offset:         96
        .size:           4
        .value_kind:     hidden_block_count_x
      - .offset:         100
        .size:           4
        .value_kind:     hidden_block_count_y
      - .offset:         104
        .size:           4
        .value_kind:     hidden_block_count_z
      - .offset:         108
        .size:           2
        .value_kind:     hidden_group_size_x
      - .offset:         110
        .size:           2
        .value_kind:     hidden_group_size_y
      - .offset:         112
        .size:           2
        .value_kind:     hidden_group_size_z
      - .offset:         114
        .size:           2
        .value_kind:     hidden_remainder_x
      - .offset:         116
        .size:           2
        .value_kind:     hidden_remainder_y
      - .offset:         118
        .size:           2
        .value_kind:     hidden_remainder_z
      - .offset:         136
        .size:           8
        .value_kind:     hidden_global_offset_x
      - .offset:         144
        .size:           8
        .value_kind:     hidden_global_offset_y
      - .offset:         152
        .size:           8
        .value_kind:     hidden_global_offset_z
      - .offset:         160
        .size:           2
        .value_kind:     hidden_grid_dims
      - .offset:         216
        .size:           4
        .value_kind:     hidden_dynamic_lds_size
    .group_segment_fixed_size: 0
    .kernarg_segment_align: 8
    .kernarg_segment_size: 352
    .language:       OpenCL C
    .language_version:
      - 2
      - 0
    .max_flat_workgroup_size: 512
    .name:           _ZN9rocsolver6v33100L18getf2_small_kernelILi3E19rocblas_complex_numIdEiiPKPS3_EEvT1_T3_lS7_lPS7_llPT2_S7_S7_S9_l
    .private_segment_fixed_size: 0
    .sgpr_count:     18
    .sgpr_spill_count: 0
    .symbol:         _ZN9rocsolver6v33100L18getf2_small_kernelILi3E19rocblas_complex_numIdEiiPKPS3_EEvT1_T3_lS7_lPS7_llPT2_S7_S7_S9_l.kd
    .uniform_work_group_size: 1
    .uses_dynamic_stack: false
    .vgpr_count:     42
    .vgpr_spill_count: 0
    .wavefront_size: 32
    .workgroup_processor_mode: 1
  - .args:
      - .offset:         0
        .size:           4
        .value_kind:     by_value
      - .address_space:  global
        .offset:         8
        .size:           8
        .value_kind:     global_buffer
      - .offset:         16
        .size:           8
        .value_kind:     by_value
      - .offset:         24
        .size:           4
        .value_kind:     by_value
      - .offset:         32
        .size:           8
        .value_kind:     by_value
      - .address_space:  global
        .offset:         40
        .size:           8
        .value_kind:     global_buffer
      - .offset:         48
        .size:           4
        .value_kind:     by_value
      - .offset:         52
        .size:           4
        .value_kind:     by_value
      - .offset:         56
        .size:           4
        .value_kind:     hidden_block_count_x
      - .offset:         60
        .size:           4
        .value_kind:     hidden_block_count_y
      - .offset:         64
        .size:           4
        .value_kind:     hidden_block_count_z
      - .offset:         68
        .size:           2
        .value_kind:     hidden_group_size_x
      - .offset:         70
        .size:           2
        .value_kind:     hidden_group_size_y
      - .offset:         72
        .size:           2
        .value_kind:     hidden_group_size_z
      - .offset:         74
        .size:           2
        .value_kind:     hidden_remainder_x
      - .offset:         76
        .size:           2
        .value_kind:     hidden_remainder_y
      - .offset:         78
        .size:           2
        .value_kind:     hidden_remainder_z
      - .offset:         96
        .size:           8
        .value_kind:     hidden_global_offset_x
      - .offset:         104
        .size:           8
        .value_kind:     hidden_global_offset_y
      - .offset:         112
        .size:           8
        .value_kind:     hidden_global_offset_z
      - .offset:         120
        .size:           2
        .value_kind:     hidden_grid_dims
      - .offset:         176
        .size:           4
        .value_kind:     hidden_dynamic_lds_size
    .group_segment_fixed_size: 0
    .kernarg_segment_align: 8
    .kernarg_segment_size: 312
    .language:       OpenCL C
    .language_version:
      - 2
      - 0
    .max_flat_workgroup_size: 512
    .name:           _ZN9rocsolver6v33100L23getf2_npvt_small_kernelILi3E19rocblas_complex_numIdEiiPKPS3_EEvT1_T3_lS7_lPT2_S7_S7_
    .private_segment_fixed_size: 0
    .sgpr_count:     18
    .sgpr_spill_count: 0
    .symbol:         _ZN9rocsolver6v33100L23getf2_npvt_small_kernelILi3E19rocblas_complex_numIdEiiPKPS3_EEvT1_T3_lS7_lPT2_S7_S7_.kd
    .uniform_work_group_size: 1
    .uses_dynamic_stack: false
    .vgpr_count:     43
    .vgpr_spill_count: 0
    .wavefront_size: 32
    .workgroup_processor_mode: 1
  - .args:
      - .offset:         0
        .size:           4
        .value_kind:     by_value
      - .address_space:  global
        .offset:         8
        .size:           8
        .value_kind:     global_buffer
      - .offset:         16
        .size:           8
        .value_kind:     by_value
      - .offset:         24
        .size:           4
        .value_kind:     by_value
      - .offset:         32
        .size:           8
        .value_kind:     by_value
      - .address_space:  global
        .offset:         40
        .size:           8
        .value_kind:     global_buffer
      - .offset:         48
        .size:           8
        .value_kind:     by_value
      - .offset:         56
        .size:           8
        .value_kind:     by_value
      - .address_space:  global
        .offset:         64
        .size:           8
        .value_kind:     global_buffer
      - .offset:         72
        .size:           4
        .value_kind:     by_value
      - .offset:         76
        .size:           4
        .value_kind:     by_value
      - .address_space:  global
        .offset:         80
        .size:           8
        .value_kind:     global_buffer
      - .offset:         88
        .size:           8
        .value_kind:     by_value
      - .offset:         96
        .size:           4
        .value_kind:     hidden_block_count_x
      - .offset:         100
        .size:           4
        .value_kind:     hidden_block_count_y
      - .offset:         104
        .size:           4
        .value_kind:     hidden_block_count_z
      - .offset:         108
        .size:           2
        .value_kind:     hidden_group_size_x
      - .offset:         110
        .size:           2
        .value_kind:     hidden_group_size_y
      - .offset:         112
        .size:           2
        .value_kind:     hidden_group_size_z
      - .offset:         114
        .size:           2
        .value_kind:     hidden_remainder_x
      - .offset:         116
        .size:           2
        .value_kind:     hidden_remainder_y
      - .offset:         118
        .size:           2
        .value_kind:     hidden_remainder_z
      - .offset:         136
        .size:           8
        .value_kind:     hidden_global_offset_x
      - .offset:         144
        .size:           8
        .value_kind:     hidden_global_offset_y
      - .offset:         152
        .size:           8
        .value_kind:     hidden_global_offset_z
      - .offset:         160
        .size:           2
        .value_kind:     hidden_grid_dims
      - .offset:         216
        .size:           4
        .value_kind:     hidden_dynamic_lds_size
    .group_segment_fixed_size: 0
    .kernarg_segment_align: 8
    .kernarg_segment_size: 352
    .language:       OpenCL C
    .language_version:
      - 2
      - 0
    .max_flat_workgroup_size: 512
    .name:           _ZN9rocsolver6v33100L18getf2_small_kernelILi4E19rocblas_complex_numIdEiiPKPS3_EEvT1_T3_lS7_lPS7_llPT2_S7_S7_S9_l
    .private_segment_fixed_size: 0
    .sgpr_count:     18
    .sgpr_spill_count: 0
    .symbol:         _ZN9rocsolver6v33100L18getf2_small_kernelILi4E19rocblas_complex_numIdEiiPKPS3_EEvT1_T3_lS7_lPS7_llPT2_S7_S7_S9_l.kd
    .uniform_work_group_size: 1
    .uses_dynamic_stack: false
    .vgpr_count:     52
    .vgpr_spill_count: 0
    .wavefront_size: 32
    .workgroup_processor_mode: 1
  - .args:
      - .offset:         0
        .size:           4
        .value_kind:     by_value
      - .address_space:  global
        .offset:         8
        .size:           8
        .value_kind:     global_buffer
      - .offset:         16
        .size:           8
        .value_kind:     by_value
      - .offset:         24
        .size:           4
        .value_kind:     by_value
      - .offset:         32
        .size:           8
        .value_kind:     by_value
      - .address_space:  global
        .offset:         40
        .size:           8
        .value_kind:     global_buffer
      - .offset:         48
        .size:           4
        .value_kind:     by_value
      - .offset:         52
        .size:           4
        .value_kind:     by_value
      - .offset:         56
        .size:           4
        .value_kind:     hidden_block_count_x
      - .offset:         60
        .size:           4
        .value_kind:     hidden_block_count_y
      - .offset:         64
        .size:           4
        .value_kind:     hidden_block_count_z
      - .offset:         68
        .size:           2
        .value_kind:     hidden_group_size_x
      - .offset:         70
        .size:           2
        .value_kind:     hidden_group_size_y
      - .offset:         72
        .size:           2
        .value_kind:     hidden_group_size_z
      - .offset:         74
        .size:           2
        .value_kind:     hidden_remainder_x
      - .offset:         76
        .size:           2
        .value_kind:     hidden_remainder_y
      - .offset:         78
        .size:           2
        .value_kind:     hidden_remainder_z
      - .offset:         96
        .size:           8
        .value_kind:     hidden_global_offset_x
      - .offset:         104
        .size:           8
        .value_kind:     hidden_global_offset_y
      - .offset:         112
        .size:           8
        .value_kind:     hidden_global_offset_z
      - .offset:         120
        .size:           2
        .value_kind:     hidden_grid_dims
      - .offset:         176
        .size:           4
        .value_kind:     hidden_dynamic_lds_size
    .group_segment_fixed_size: 0
    .kernarg_segment_align: 8
    .kernarg_segment_size: 312
    .language:       OpenCL C
    .language_version:
      - 2
      - 0
    .max_flat_workgroup_size: 512
    .name:           _ZN9rocsolver6v33100L23getf2_npvt_small_kernelILi4E19rocblas_complex_numIdEiiPKPS3_EEvT1_T3_lS7_lPT2_S7_S7_
    .private_segment_fixed_size: 0
    .sgpr_count:     18
    .sgpr_spill_count: 0
    .symbol:         _ZN9rocsolver6v33100L23getf2_npvt_small_kernelILi4E19rocblas_complex_numIdEiiPKPS3_EEvT1_T3_lS7_lPT2_S7_S7_.kd
    .uniform_work_group_size: 1
    .uses_dynamic_stack: false
    .vgpr_count:     57
    .vgpr_spill_count: 0
    .wavefront_size: 32
    .workgroup_processor_mode: 1
  - .args:
      - .offset:         0
        .size:           4
        .value_kind:     by_value
      - .address_space:  global
        .offset:         8
        .size:           8
        .value_kind:     global_buffer
      - .offset:         16
        .size:           8
        .value_kind:     by_value
      - .offset:         24
        .size:           4
        .value_kind:     by_value
      - .offset:         32
        .size:           8
        .value_kind:     by_value
      - .address_space:  global
        .offset:         40
        .size:           8
        .value_kind:     global_buffer
      - .offset:         48
        .size:           8
        .value_kind:     by_value
      - .offset:         56
        .size:           8
        .value_kind:     by_value
      - .address_space:  global
        .offset:         64
        .size:           8
        .value_kind:     global_buffer
      - .offset:         72
        .size:           4
        .value_kind:     by_value
      - .offset:         76
        .size:           4
        .value_kind:     by_value
      - .address_space:  global
        .offset:         80
        .size:           8
        .value_kind:     global_buffer
      - .offset:         88
        .size:           8
        .value_kind:     by_value
      - .offset:         96
        .size:           4
        .value_kind:     hidden_block_count_x
      - .offset:         100
        .size:           4
        .value_kind:     hidden_block_count_y
      - .offset:         104
        .size:           4
        .value_kind:     hidden_block_count_z
      - .offset:         108
        .size:           2
        .value_kind:     hidden_group_size_x
      - .offset:         110
        .size:           2
        .value_kind:     hidden_group_size_y
      - .offset:         112
        .size:           2
        .value_kind:     hidden_group_size_z
      - .offset:         114
        .size:           2
        .value_kind:     hidden_remainder_x
      - .offset:         116
        .size:           2
        .value_kind:     hidden_remainder_y
      - .offset:         118
        .size:           2
        .value_kind:     hidden_remainder_z
      - .offset:         136
        .size:           8
        .value_kind:     hidden_global_offset_x
      - .offset:         144
        .size:           8
        .value_kind:     hidden_global_offset_y
      - .offset:         152
        .size:           8
        .value_kind:     hidden_global_offset_z
      - .offset:         160
        .size:           2
        .value_kind:     hidden_grid_dims
      - .offset:         216
        .size:           4
        .value_kind:     hidden_dynamic_lds_size
    .group_segment_fixed_size: 0
    .kernarg_segment_align: 8
    .kernarg_segment_size: 352
    .language:       OpenCL C
    .language_version:
      - 2
      - 0
    .max_flat_workgroup_size: 512
    .name:           _ZN9rocsolver6v33100L18getf2_small_kernelILi5E19rocblas_complex_numIdEiiPKPS3_EEvT1_T3_lS7_lPS7_llPT2_S7_S7_S9_l
    .private_segment_fixed_size: 0
    .sgpr_count:     18
    .sgpr_spill_count: 0
    .symbol:         _ZN9rocsolver6v33100L18getf2_small_kernelILi5E19rocblas_complex_numIdEiiPKPS3_EEvT1_T3_lS7_lPS7_llPT2_S7_S7_S9_l.kd
    .uniform_work_group_size: 1
    .uses_dynamic_stack: false
    .vgpr_count:     64
    .vgpr_spill_count: 0
    .wavefront_size: 32
    .workgroup_processor_mode: 1
  - .args:
      - .offset:         0
        .size:           4
        .value_kind:     by_value
      - .address_space:  global
        .offset:         8
        .size:           8
        .value_kind:     global_buffer
      - .offset:         16
        .size:           8
        .value_kind:     by_value
      - .offset:         24
        .size:           4
        .value_kind:     by_value
      - .offset:         32
        .size:           8
        .value_kind:     by_value
      - .address_space:  global
        .offset:         40
        .size:           8
        .value_kind:     global_buffer
      - .offset:         48
        .size:           4
        .value_kind:     by_value
      - .offset:         52
        .size:           4
        .value_kind:     by_value
      - .offset:         56
        .size:           4
        .value_kind:     hidden_block_count_x
      - .offset:         60
        .size:           4
        .value_kind:     hidden_block_count_y
      - .offset:         64
        .size:           4
        .value_kind:     hidden_block_count_z
      - .offset:         68
        .size:           2
        .value_kind:     hidden_group_size_x
      - .offset:         70
        .size:           2
        .value_kind:     hidden_group_size_y
      - .offset:         72
        .size:           2
        .value_kind:     hidden_group_size_z
      - .offset:         74
        .size:           2
        .value_kind:     hidden_remainder_x
      - .offset:         76
        .size:           2
        .value_kind:     hidden_remainder_y
      - .offset:         78
        .size:           2
        .value_kind:     hidden_remainder_z
      - .offset:         96
        .size:           8
        .value_kind:     hidden_global_offset_x
      - .offset:         104
        .size:           8
        .value_kind:     hidden_global_offset_y
      - .offset:         112
        .size:           8
        .value_kind:     hidden_global_offset_z
      - .offset:         120
        .size:           2
        .value_kind:     hidden_grid_dims
      - .offset:         176
        .size:           4
        .value_kind:     hidden_dynamic_lds_size
    .group_segment_fixed_size: 0
    .kernarg_segment_align: 8
    .kernarg_segment_size: 312
    .language:       OpenCL C
    .language_version:
      - 2
      - 0
    .max_flat_workgroup_size: 512
    .name:           _ZN9rocsolver6v33100L23getf2_npvt_small_kernelILi5E19rocblas_complex_numIdEiiPKPS3_EEvT1_T3_lS7_lPT2_S7_S7_
    .private_segment_fixed_size: 0
    .sgpr_count:     18
    .sgpr_spill_count: 0
    .symbol:         _ZN9rocsolver6v33100L23getf2_npvt_small_kernelILi5E19rocblas_complex_numIdEiiPKPS3_EEvT1_T3_lS7_lPT2_S7_S7_.kd
    .uniform_work_group_size: 1
    .uses_dynamic_stack: false
    .vgpr_count:     71
    .vgpr_spill_count: 0
    .wavefront_size: 32
    .workgroup_processor_mode: 1
  - .args:
      - .offset:         0
        .size:           4
        .value_kind:     by_value
      - .address_space:  global
        .offset:         8
        .size:           8
        .value_kind:     global_buffer
      - .offset:         16
        .size:           8
        .value_kind:     by_value
      - .offset:         24
        .size:           4
        .value_kind:     by_value
      - .offset:         32
        .size:           8
        .value_kind:     by_value
      - .address_space:  global
        .offset:         40
        .size:           8
        .value_kind:     global_buffer
      - .offset:         48
        .size:           8
        .value_kind:     by_value
      - .offset:         56
        .size:           8
        .value_kind:     by_value
      - .address_space:  global
        .offset:         64
        .size:           8
        .value_kind:     global_buffer
      - .offset:         72
        .size:           4
        .value_kind:     by_value
      - .offset:         76
        .size:           4
        .value_kind:     by_value
      - .address_space:  global
        .offset:         80
        .size:           8
        .value_kind:     global_buffer
      - .offset:         88
        .size:           8
        .value_kind:     by_value
      - .offset:         96
        .size:           4
        .value_kind:     hidden_block_count_x
      - .offset:         100
        .size:           4
        .value_kind:     hidden_block_count_y
      - .offset:         104
        .size:           4
        .value_kind:     hidden_block_count_z
      - .offset:         108
        .size:           2
        .value_kind:     hidden_group_size_x
      - .offset:         110
        .size:           2
        .value_kind:     hidden_group_size_y
      - .offset:         112
        .size:           2
        .value_kind:     hidden_group_size_z
      - .offset:         114
        .size:           2
        .value_kind:     hidden_remainder_x
      - .offset:         116
        .size:           2
        .value_kind:     hidden_remainder_y
      - .offset:         118
        .size:           2
        .value_kind:     hidden_remainder_z
      - .offset:         136
        .size:           8
        .value_kind:     hidden_global_offset_x
      - .offset:         144
        .size:           8
        .value_kind:     hidden_global_offset_y
      - .offset:         152
        .size:           8
        .value_kind:     hidden_global_offset_z
      - .offset:         160
        .size:           2
        .value_kind:     hidden_grid_dims
      - .offset:         216
        .size:           4
        .value_kind:     hidden_dynamic_lds_size
    .group_segment_fixed_size: 0
    .kernarg_segment_align: 8
    .kernarg_segment_size: 352
    .language:       OpenCL C
    .language_version:
      - 2
      - 0
    .max_flat_workgroup_size: 512
    .name:           _ZN9rocsolver6v33100L18getf2_small_kernelILi6E19rocblas_complex_numIdEiiPKPS3_EEvT1_T3_lS7_lPS7_llPT2_S7_S7_S9_l
    .private_segment_fixed_size: 0
    .sgpr_count:     18
    .sgpr_spill_count: 0
    .symbol:         _ZN9rocsolver6v33100L18getf2_small_kernelILi6E19rocblas_complex_numIdEiiPKPS3_EEvT1_T3_lS7_lPS7_llPT2_S7_S7_S9_l.kd
    .uniform_work_group_size: 1
    .uses_dynamic_stack: false
    .vgpr_count:     76
    .vgpr_spill_count: 0
    .wavefront_size: 32
    .workgroup_processor_mode: 1
  - .args:
      - .offset:         0
        .size:           4
        .value_kind:     by_value
      - .address_space:  global
        .offset:         8
        .size:           8
        .value_kind:     global_buffer
      - .offset:         16
        .size:           8
        .value_kind:     by_value
      - .offset:         24
        .size:           4
        .value_kind:     by_value
      - .offset:         32
        .size:           8
        .value_kind:     by_value
      - .address_space:  global
        .offset:         40
        .size:           8
        .value_kind:     global_buffer
      - .offset:         48
        .size:           4
        .value_kind:     by_value
      - .offset:         52
        .size:           4
        .value_kind:     by_value
      - .offset:         56
        .size:           4
        .value_kind:     hidden_block_count_x
      - .offset:         60
        .size:           4
        .value_kind:     hidden_block_count_y
      - .offset:         64
        .size:           4
        .value_kind:     hidden_block_count_z
      - .offset:         68
        .size:           2
        .value_kind:     hidden_group_size_x
      - .offset:         70
        .size:           2
        .value_kind:     hidden_group_size_y
      - .offset:         72
        .size:           2
        .value_kind:     hidden_group_size_z
      - .offset:         74
        .size:           2
        .value_kind:     hidden_remainder_x
      - .offset:         76
        .size:           2
        .value_kind:     hidden_remainder_y
      - .offset:         78
        .size:           2
        .value_kind:     hidden_remainder_z
      - .offset:         96
        .size:           8
        .value_kind:     hidden_global_offset_x
      - .offset:         104
        .size:           8
        .value_kind:     hidden_global_offset_y
      - .offset:         112
        .size:           8
        .value_kind:     hidden_global_offset_z
      - .offset:         120
        .size:           2
        .value_kind:     hidden_grid_dims
      - .offset:         176
        .size:           4
        .value_kind:     hidden_dynamic_lds_size
    .group_segment_fixed_size: 0
    .kernarg_segment_align: 8
    .kernarg_segment_size: 312
    .language:       OpenCL C
    .language_version:
      - 2
      - 0
    .max_flat_workgroup_size: 512
    .name:           _ZN9rocsolver6v33100L23getf2_npvt_small_kernelILi6E19rocblas_complex_numIdEiiPKPS3_EEvT1_T3_lS7_lPT2_S7_S7_
    .private_segment_fixed_size: 0
    .sgpr_count:     18
    .sgpr_spill_count: 0
    .symbol:         _ZN9rocsolver6v33100L23getf2_npvt_small_kernelILi6E19rocblas_complex_numIdEiiPKPS3_EEvT1_T3_lS7_lPT2_S7_S7_.kd
    .uniform_work_group_size: 1
    .uses_dynamic_stack: false
    .vgpr_count:     85
    .vgpr_spill_count: 0
    .wavefront_size: 32
    .workgroup_processor_mode: 1
  - .args:
      - .offset:         0
        .size:           4
        .value_kind:     by_value
      - .address_space:  global
        .offset:         8
        .size:           8
        .value_kind:     global_buffer
      - .offset:         16
        .size:           8
        .value_kind:     by_value
      - .offset:         24
        .size:           4
        .value_kind:     by_value
      - .offset:         32
        .size:           8
        .value_kind:     by_value
      - .address_space:  global
        .offset:         40
        .size:           8
        .value_kind:     global_buffer
      - .offset:         48
        .size:           8
        .value_kind:     by_value
      - .offset:         56
        .size:           8
        .value_kind:     by_value
      - .address_space:  global
        .offset:         64
        .size:           8
        .value_kind:     global_buffer
      - .offset:         72
        .size:           4
        .value_kind:     by_value
      - .offset:         76
        .size:           4
        .value_kind:     by_value
      - .address_space:  global
        .offset:         80
        .size:           8
        .value_kind:     global_buffer
      - .offset:         88
        .size:           8
        .value_kind:     by_value
      - .offset:         96
        .size:           4
        .value_kind:     hidden_block_count_x
      - .offset:         100
        .size:           4
        .value_kind:     hidden_block_count_y
      - .offset:         104
        .size:           4
        .value_kind:     hidden_block_count_z
      - .offset:         108
        .size:           2
        .value_kind:     hidden_group_size_x
      - .offset:         110
        .size:           2
        .value_kind:     hidden_group_size_y
      - .offset:         112
        .size:           2
        .value_kind:     hidden_group_size_z
      - .offset:         114
        .size:           2
        .value_kind:     hidden_remainder_x
      - .offset:         116
        .size:           2
        .value_kind:     hidden_remainder_y
      - .offset:         118
        .size:           2
        .value_kind:     hidden_remainder_z
      - .offset:         136
        .size:           8
        .value_kind:     hidden_global_offset_x
      - .offset:         144
        .size:           8
        .value_kind:     hidden_global_offset_y
      - .offset:         152
        .size:           8
        .value_kind:     hidden_global_offset_z
      - .offset:         160
        .size:           2
        .value_kind:     hidden_grid_dims
      - .offset:         216
        .size:           4
        .value_kind:     hidden_dynamic_lds_size
    .group_segment_fixed_size: 0
    .kernarg_segment_align: 8
    .kernarg_segment_size: 352
    .language:       OpenCL C
    .language_version:
      - 2
      - 0
    .max_flat_workgroup_size: 512
    .name:           _ZN9rocsolver6v33100L18getf2_small_kernelILi7E19rocblas_complex_numIdEiiPKPS3_EEvT1_T3_lS7_lPS7_llPT2_S7_S7_S9_l
    .private_segment_fixed_size: 0
    .sgpr_count:     18
    .sgpr_spill_count: 0
    .symbol:         _ZN9rocsolver6v33100L18getf2_small_kernelILi7E19rocblas_complex_numIdEiiPKPS3_EEvT1_T3_lS7_lPS7_llPT2_S7_S7_S9_l.kd
    .uniform_work_group_size: 1
    .uses_dynamic_stack: false
    .vgpr_count:     88
    .vgpr_spill_count: 0
    .wavefront_size: 32
    .workgroup_processor_mode: 1
  - .args:
      - .offset:         0
        .size:           4
        .value_kind:     by_value
      - .address_space:  global
        .offset:         8
        .size:           8
        .value_kind:     global_buffer
      - .offset:         16
        .size:           8
        .value_kind:     by_value
      - .offset:         24
        .size:           4
        .value_kind:     by_value
      - .offset:         32
        .size:           8
        .value_kind:     by_value
      - .address_space:  global
        .offset:         40
        .size:           8
        .value_kind:     global_buffer
      - .offset:         48
        .size:           4
        .value_kind:     by_value
      - .offset:         52
        .size:           4
        .value_kind:     by_value
      - .offset:         56
        .size:           4
        .value_kind:     hidden_block_count_x
      - .offset:         60
        .size:           4
        .value_kind:     hidden_block_count_y
      - .offset:         64
        .size:           4
        .value_kind:     hidden_block_count_z
      - .offset:         68
        .size:           2
        .value_kind:     hidden_group_size_x
      - .offset:         70
        .size:           2
        .value_kind:     hidden_group_size_y
      - .offset:         72
        .size:           2
        .value_kind:     hidden_group_size_z
      - .offset:         74
        .size:           2
        .value_kind:     hidden_remainder_x
      - .offset:         76
        .size:           2
        .value_kind:     hidden_remainder_y
      - .offset:         78
        .size:           2
        .value_kind:     hidden_remainder_z
      - .offset:         96
        .size:           8
        .value_kind:     hidden_global_offset_x
      - .offset:         104
        .size:           8
        .value_kind:     hidden_global_offset_y
      - .offset:         112
        .size:           8
        .value_kind:     hidden_global_offset_z
      - .offset:         120
        .size:           2
        .value_kind:     hidden_grid_dims
      - .offset:         176
        .size:           4
        .value_kind:     hidden_dynamic_lds_size
    .group_segment_fixed_size: 0
    .kernarg_segment_align: 8
    .kernarg_segment_size: 312
    .language:       OpenCL C
    .language_version:
      - 2
      - 0
    .max_flat_workgroup_size: 512
    .name:           _ZN9rocsolver6v33100L23getf2_npvt_small_kernelILi7E19rocblas_complex_numIdEiiPKPS3_EEvT1_T3_lS7_lPT2_S7_S7_
    .private_segment_fixed_size: 0
    .sgpr_count:     18
    .sgpr_spill_count: 0
    .symbol:         _ZN9rocsolver6v33100L23getf2_npvt_small_kernelILi7E19rocblas_complex_numIdEiiPKPS3_EEvT1_T3_lS7_lPT2_S7_S7_.kd
    .uniform_work_group_size: 1
    .uses_dynamic_stack: false
    .vgpr_count:     99
    .vgpr_spill_count: 0
    .wavefront_size: 32
    .workgroup_processor_mode: 1
  - .args:
      - .offset:         0
        .size:           4
        .value_kind:     by_value
      - .address_space:  global
        .offset:         8
        .size:           8
        .value_kind:     global_buffer
      - .offset:         16
        .size:           8
        .value_kind:     by_value
      - .offset:         24
        .size:           4
        .value_kind:     by_value
      - .offset:         32
        .size:           8
        .value_kind:     by_value
      - .address_space:  global
        .offset:         40
        .size:           8
        .value_kind:     global_buffer
      - .offset:         48
        .size:           8
        .value_kind:     by_value
      - .offset:         56
        .size:           8
        .value_kind:     by_value
      - .address_space:  global
        .offset:         64
        .size:           8
        .value_kind:     global_buffer
      - .offset:         72
        .size:           4
        .value_kind:     by_value
      - .offset:         76
        .size:           4
        .value_kind:     by_value
      - .address_space:  global
        .offset:         80
        .size:           8
        .value_kind:     global_buffer
      - .offset:         88
        .size:           8
        .value_kind:     by_value
      - .offset:         96
        .size:           4
        .value_kind:     hidden_block_count_x
      - .offset:         100
        .size:           4
        .value_kind:     hidden_block_count_y
      - .offset:         104
        .size:           4
        .value_kind:     hidden_block_count_z
      - .offset:         108
        .size:           2
        .value_kind:     hidden_group_size_x
      - .offset:         110
        .size:           2
        .value_kind:     hidden_group_size_y
      - .offset:         112
        .size:           2
        .value_kind:     hidden_group_size_z
      - .offset:         114
        .size:           2
        .value_kind:     hidden_remainder_x
      - .offset:         116
        .size:           2
        .value_kind:     hidden_remainder_y
      - .offset:         118
        .size:           2
        .value_kind:     hidden_remainder_z
      - .offset:         136
        .size:           8
        .value_kind:     hidden_global_offset_x
      - .offset:         144
        .size:           8
        .value_kind:     hidden_global_offset_y
      - .offset:         152
        .size:           8
        .value_kind:     hidden_global_offset_z
      - .offset:         160
        .size:           2
        .value_kind:     hidden_grid_dims
      - .offset:         216
        .size:           4
        .value_kind:     hidden_dynamic_lds_size
    .group_segment_fixed_size: 0
    .kernarg_segment_align: 8
    .kernarg_segment_size: 352
    .language:       OpenCL C
    .language_version:
      - 2
      - 0
    .max_flat_workgroup_size: 512
    .name:           _ZN9rocsolver6v33100L18getf2_small_kernelILi8E19rocblas_complex_numIdEiiPKPS3_EEvT1_T3_lS7_lPS7_llPT2_S7_S7_S9_l
    .private_segment_fixed_size: 0
    .sgpr_count:     18
    .sgpr_spill_count: 0
    .symbol:         _ZN9rocsolver6v33100L18getf2_small_kernelILi8E19rocblas_complex_numIdEiiPKPS3_EEvT1_T3_lS7_lPS7_llPT2_S7_S7_S9_l.kd
    .uniform_work_group_size: 1
    .uses_dynamic_stack: false
    .vgpr_count:     100
    .vgpr_spill_count: 0
    .wavefront_size: 32
    .workgroup_processor_mode: 1
  - .args:
      - .offset:         0
        .size:           4
        .value_kind:     by_value
      - .address_space:  global
        .offset:         8
        .size:           8
        .value_kind:     global_buffer
      - .offset:         16
        .size:           8
        .value_kind:     by_value
      - .offset:         24
        .size:           4
        .value_kind:     by_value
      - .offset:         32
        .size:           8
        .value_kind:     by_value
      - .address_space:  global
        .offset:         40
        .size:           8
        .value_kind:     global_buffer
      - .offset:         48
        .size:           4
        .value_kind:     by_value
      - .offset:         52
        .size:           4
        .value_kind:     by_value
      - .offset:         56
        .size:           4
        .value_kind:     hidden_block_count_x
      - .offset:         60
        .size:           4
        .value_kind:     hidden_block_count_y
      - .offset:         64
        .size:           4
        .value_kind:     hidden_block_count_z
      - .offset:         68
        .size:           2
        .value_kind:     hidden_group_size_x
      - .offset:         70
        .size:           2
        .value_kind:     hidden_group_size_y
      - .offset:         72
        .size:           2
        .value_kind:     hidden_group_size_z
      - .offset:         74
        .size:           2
        .value_kind:     hidden_remainder_x
      - .offset:         76
        .size:           2
        .value_kind:     hidden_remainder_y
      - .offset:         78
        .size:           2
        .value_kind:     hidden_remainder_z
      - .offset:         96
        .size:           8
        .value_kind:     hidden_global_offset_x
      - .offset:         104
        .size:           8
        .value_kind:     hidden_global_offset_y
      - .offset:         112
        .size:           8
        .value_kind:     hidden_global_offset_z
      - .offset:         120
        .size:           2
        .value_kind:     hidden_grid_dims
      - .offset:         176
        .size:           4
        .value_kind:     hidden_dynamic_lds_size
    .group_segment_fixed_size: 0
    .kernarg_segment_align: 8
    .kernarg_segment_size: 312
    .language:       OpenCL C
    .language_version:
      - 2
      - 0
    .max_flat_workgroup_size: 512
    .name:           _ZN9rocsolver6v33100L23getf2_npvt_small_kernelILi8E19rocblas_complex_numIdEiiPKPS3_EEvT1_T3_lS7_lPT2_S7_S7_
    .private_segment_fixed_size: 0
    .sgpr_count:     18
    .sgpr_spill_count: 0
    .symbol:         _ZN9rocsolver6v33100L23getf2_npvt_small_kernelILi8E19rocblas_complex_numIdEiiPKPS3_EEvT1_T3_lS7_lPT2_S7_S7_.kd
    .uniform_work_group_size: 1
    .uses_dynamic_stack: false
    .vgpr_count:     113
    .vgpr_spill_count: 0
    .wavefront_size: 32
    .workgroup_processor_mode: 1
  - .args:
      - .offset:         0
        .size:           4
        .value_kind:     by_value
      - .address_space:  global
        .offset:         8
        .size:           8
        .value_kind:     global_buffer
      - .offset:         16
        .size:           8
        .value_kind:     by_value
      - .offset:         24
        .size:           4
        .value_kind:     by_value
      - .offset:         32
        .size:           8
        .value_kind:     by_value
      - .address_space:  global
        .offset:         40
        .size:           8
        .value_kind:     global_buffer
      - .offset:         48
        .size:           8
        .value_kind:     by_value
      - .offset:         56
        .size:           8
        .value_kind:     by_value
      - .address_space:  global
        .offset:         64
        .size:           8
        .value_kind:     global_buffer
      - .offset:         72
        .size:           4
        .value_kind:     by_value
      - .offset:         76
        .size:           4
        .value_kind:     by_value
      - .address_space:  global
        .offset:         80
        .size:           8
        .value_kind:     global_buffer
      - .offset:         88
        .size:           8
        .value_kind:     by_value
      - .offset:         96
        .size:           4
        .value_kind:     hidden_block_count_x
      - .offset:         100
        .size:           4
        .value_kind:     hidden_block_count_y
      - .offset:         104
        .size:           4
        .value_kind:     hidden_block_count_z
      - .offset:         108
        .size:           2
        .value_kind:     hidden_group_size_x
      - .offset:         110
        .size:           2
        .value_kind:     hidden_group_size_y
      - .offset:         112
        .size:           2
        .value_kind:     hidden_group_size_z
      - .offset:         114
        .size:           2
        .value_kind:     hidden_remainder_x
      - .offset:         116
        .size:           2
        .value_kind:     hidden_remainder_y
      - .offset:         118
        .size:           2
        .value_kind:     hidden_remainder_z
      - .offset:         136
        .size:           8
        .value_kind:     hidden_global_offset_x
      - .offset:         144
        .size:           8
        .value_kind:     hidden_global_offset_y
      - .offset:         152
        .size:           8
        .value_kind:     hidden_global_offset_z
      - .offset:         160
        .size:           2
        .value_kind:     hidden_grid_dims
      - .offset:         216
        .size:           4
        .value_kind:     hidden_dynamic_lds_size
    .group_segment_fixed_size: 0
    .kernarg_segment_align: 8
    .kernarg_segment_size: 352
    .language:       OpenCL C
    .language_version:
      - 2
      - 0
    .max_flat_workgroup_size: 512
    .name:           _ZN9rocsolver6v33100L18getf2_small_kernelILi9E19rocblas_complex_numIdEiiPKPS3_EEvT1_T3_lS7_lPS7_llPT2_S7_S7_S9_l
    .private_segment_fixed_size: 0
    .sgpr_count:     18
    .sgpr_spill_count: 0
    .symbol:         _ZN9rocsolver6v33100L18getf2_small_kernelILi9E19rocblas_complex_numIdEiiPKPS3_EEvT1_T3_lS7_lPS7_llPT2_S7_S7_S9_l.kd
    .uniform_work_group_size: 1
    .uses_dynamic_stack: false
    .vgpr_count:     112
    .vgpr_spill_count: 0
    .wavefront_size: 32
    .workgroup_processor_mode: 1
  - .args:
      - .offset:         0
        .size:           4
        .value_kind:     by_value
      - .address_space:  global
        .offset:         8
        .size:           8
        .value_kind:     global_buffer
      - .offset:         16
        .size:           8
        .value_kind:     by_value
      - .offset:         24
        .size:           4
        .value_kind:     by_value
      - .offset:         32
        .size:           8
        .value_kind:     by_value
      - .address_space:  global
        .offset:         40
        .size:           8
        .value_kind:     global_buffer
      - .offset:         48
        .size:           4
        .value_kind:     by_value
      - .offset:         52
        .size:           4
        .value_kind:     by_value
      - .offset:         56
        .size:           4
        .value_kind:     hidden_block_count_x
      - .offset:         60
        .size:           4
        .value_kind:     hidden_block_count_y
      - .offset:         64
        .size:           4
        .value_kind:     hidden_block_count_z
      - .offset:         68
        .size:           2
        .value_kind:     hidden_group_size_x
      - .offset:         70
        .size:           2
        .value_kind:     hidden_group_size_y
      - .offset:         72
        .size:           2
        .value_kind:     hidden_group_size_z
      - .offset:         74
        .size:           2
        .value_kind:     hidden_remainder_x
      - .offset:         76
        .size:           2
        .value_kind:     hidden_remainder_y
      - .offset:         78
        .size:           2
        .value_kind:     hidden_remainder_z
      - .offset:         96
        .size:           8
        .value_kind:     hidden_global_offset_x
      - .offset:         104
        .size:           8
        .value_kind:     hidden_global_offset_y
      - .offset:         112
        .size:           8
        .value_kind:     hidden_global_offset_z
      - .offset:         120
        .size:           2
        .value_kind:     hidden_grid_dims
      - .offset:         176
        .size:           4
        .value_kind:     hidden_dynamic_lds_size
    .group_segment_fixed_size: 0
    .kernarg_segment_align: 8
    .kernarg_segment_size: 312
    .language:       OpenCL C
    .language_version:
      - 2
      - 0
    .max_flat_workgroup_size: 512
    .name:           _ZN9rocsolver6v33100L23getf2_npvt_small_kernelILi9E19rocblas_complex_numIdEiiPKPS3_EEvT1_T3_lS7_lPT2_S7_S7_
    .private_segment_fixed_size: 0
    .sgpr_count:     18
    .sgpr_spill_count: 0
    .symbol:         _ZN9rocsolver6v33100L23getf2_npvt_small_kernelILi9E19rocblas_complex_numIdEiiPKPS3_EEvT1_T3_lS7_lPT2_S7_S7_.kd
    .uniform_work_group_size: 1
    .uses_dynamic_stack: false
    .vgpr_count:     127
    .vgpr_spill_count: 0
    .wavefront_size: 32
    .workgroup_processor_mode: 1
  - .args:
      - .offset:         0
        .size:           4
        .value_kind:     by_value
      - .address_space:  global
        .offset:         8
        .size:           8
        .value_kind:     global_buffer
      - .offset:         16
        .size:           8
        .value_kind:     by_value
      - .offset:         24
        .size:           4
        .value_kind:     by_value
      - .offset:         32
        .size:           8
        .value_kind:     by_value
      - .address_space:  global
        .offset:         40
        .size:           8
        .value_kind:     global_buffer
      - .offset:         48
        .size:           8
        .value_kind:     by_value
      - .offset:         56
        .size:           8
        .value_kind:     by_value
      - .address_space:  global
        .offset:         64
        .size:           8
        .value_kind:     global_buffer
      - .offset:         72
        .size:           4
        .value_kind:     by_value
      - .offset:         76
        .size:           4
        .value_kind:     by_value
      - .address_space:  global
        .offset:         80
        .size:           8
        .value_kind:     global_buffer
      - .offset:         88
        .size:           8
        .value_kind:     by_value
      - .offset:         96
        .size:           4
        .value_kind:     hidden_block_count_x
      - .offset:         100
        .size:           4
        .value_kind:     hidden_block_count_y
      - .offset:         104
        .size:           4
        .value_kind:     hidden_block_count_z
      - .offset:         108
        .size:           2
        .value_kind:     hidden_group_size_x
      - .offset:         110
        .size:           2
        .value_kind:     hidden_group_size_y
      - .offset:         112
        .size:           2
        .value_kind:     hidden_group_size_z
      - .offset:         114
        .size:           2
        .value_kind:     hidden_remainder_x
      - .offset:         116
        .size:           2
        .value_kind:     hidden_remainder_y
      - .offset:         118
        .size:           2
        .value_kind:     hidden_remainder_z
      - .offset:         136
        .size:           8
        .value_kind:     hidden_global_offset_x
      - .offset:         144
        .size:           8
        .value_kind:     hidden_global_offset_y
      - .offset:         152
        .size:           8
        .value_kind:     hidden_global_offset_z
      - .offset:         160
        .size:           2
        .value_kind:     hidden_grid_dims
      - .offset:         216
        .size:           4
        .value_kind:     hidden_dynamic_lds_size
    .group_segment_fixed_size: 0
    .kernarg_segment_align: 8
    .kernarg_segment_size: 352
    .language:       OpenCL C
    .language_version:
      - 2
      - 0
    .max_flat_workgroup_size: 512
    .name:           _ZN9rocsolver6v33100L18getf2_small_kernelILi10E19rocblas_complex_numIdEiiPKPS3_EEvT1_T3_lS7_lPS7_llPT2_S7_S7_S9_l
    .private_segment_fixed_size: 0
    .sgpr_count:     18
    .sgpr_spill_count: 0
    .symbol:         _ZN9rocsolver6v33100L18getf2_small_kernelILi10E19rocblas_complex_numIdEiiPKPS3_EEvT1_T3_lS7_lPS7_llPT2_S7_S7_S9_l.kd
    .uniform_work_group_size: 1
    .uses_dynamic_stack: false
    .vgpr_count:     124
    .vgpr_spill_count: 0
    .wavefront_size: 32
    .workgroup_processor_mode: 1
  - .args:
      - .offset:         0
        .size:           4
        .value_kind:     by_value
      - .address_space:  global
        .offset:         8
        .size:           8
        .value_kind:     global_buffer
      - .offset:         16
        .size:           8
        .value_kind:     by_value
      - .offset:         24
        .size:           4
        .value_kind:     by_value
      - .offset:         32
        .size:           8
        .value_kind:     by_value
      - .address_space:  global
        .offset:         40
        .size:           8
        .value_kind:     global_buffer
      - .offset:         48
        .size:           4
        .value_kind:     by_value
      - .offset:         52
        .size:           4
        .value_kind:     by_value
      - .offset:         56
        .size:           4
        .value_kind:     hidden_block_count_x
      - .offset:         60
        .size:           4
        .value_kind:     hidden_block_count_y
      - .offset:         64
        .size:           4
        .value_kind:     hidden_block_count_z
      - .offset:         68
        .size:           2
        .value_kind:     hidden_group_size_x
      - .offset:         70
        .size:           2
        .value_kind:     hidden_group_size_y
      - .offset:         72
        .size:           2
        .value_kind:     hidden_group_size_z
      - .offset:         74
        .size:           2
        .value_kind:     hidden_remainder_x
      - .offset:         76
        .size:           2
        .value_kind:     hidden_remainder_y
      - .offset:         78
        .size:           2
        .value_kind:     hidden_remainder_z
      - .offset:         96
        .size:           8
        .value_kind:     hidden_global_offset_x
      - .offset:         104
        .size:           8
        .value_kind:     hidden_global_offset_y
      - .offset:         112
        .size:           8
        .value_kind:     hidden_global_offset_z
      - .offset:         120
        .size:           2
        .value_kind:     hidden_grid_dims
      - .offset:         176
        .size:           4
        .value_kind:     hidden_dynamic_lds_size
    .group_segment_fixed_size: 0
    .kernarg_segment_align: 8
    .kernarg_segment_size: 312
    .language:       OpenCL C
    .language_version:
      - 2
      - 0
    .max_flat_workgroup_size: 512
    .name:           _ZN9rocsolver6v33100L23getf2_npvt_small_kernelILi10E19rocblas_complex_numIdEiiPKPS3_EEvT1_T3_lS7_lPT2_S7_S7_
    .private_segment_fixed_size: 0
    .sgpr_count:     18
    .sgpr_spill_count: 0
    .symbol:         _ZN9rocsolver6v33100L23getf2_npvt_small_kernelILi10E19rocblas_complex_numIdEiiPKPS3_EEvT1_T3_lS7_lPT2_S7_S7_.kd
    .uniform_work_group_size: 1
    .uses_dynamic_stack: false
    .vgpr_count:     141
    .vgpr_spill_count: 0
    .wavefront_size: 32
    .workgroup_processor_mode: 1
  - .args:
      - .offset:         0
        .size:           4
        .value_kind:     by_value
      - .address_space:  global
        .offset:         8
        .size:           8
        .value_kind:     global_buffer
      - .offset:         16
        .size:           8
        .value_kind:     by_value
      - .offset:         24
        .size:           4
        .value_kind:     by_value
      - .offset:         32
        .size:           8
        .value_kind:     by_value
      - .address_space:  global
        .offset:         40
        .size:           8
        .value_kind:     global_buffer
      - .offset:         48
        .size:           8
        .value_kind:     by_value
      - .offset:         56
        .size:           8
        .value_kind:     by_value
      - .address_space:  global
        .offset:         64
        .size:           8
        .value_kind:     global_buffer
      - .offset:         72
        .size:           4
        .value_kind:     by_value
      - .offset:         76
        .size:           4
        .value_kind:     by_value
      - .address_space:  global
        .offset:         80
        .size:           8
        .value_kind:     global_buffer
      - .offset:         88
        .size:           8
        .value_kind:     by_value
      - .offset:         96
        .size:           4
        .value_kind:     hidden_block_count_x
      - .offset:         100
        .size:           4
        .value_kind:     hidden_block_count_y
      - .offset:         104
        .size:           4
        .value_kind:     hidden_block_count_z
      - .offset:         108
        .size:           2
        .value_kind:     hidden_group_size_x
      - .offset:         110
        .size:           2
        .value_kind:     hidden_group_size_y
      - .offset:         112
        .size:           2
        .value_kind:     hidden_group_size_z
      - .offset:         114
        .size:           2
        .value_kind:     hidden_remainder_x
      - .offset:         116
        .size:           2
        .value_kind:     hidden_remainder_y
      - .offset:         118
        .size:           2
        .value_kind:     hidden_remainder_z
      - .offset:         136
        .size:           8
        .value_kind:     hidden_global_offset_x
      - .offset:         144
        .size:           8
        .value_kind:     hidden_global_offset_y
      - .offset:         152
        .size:           8
        .value_kind:     hidden_global_offset_z
      - .offset:         160
        .size:           2
        .value_kind:     hidden_grid_dims
      - .offset:         216
        .size:           4
        .value_kind:     hidden_dynamic_lds_size
    .group_segment_fixed_size: 0
    .kernarg_segment_align: 8
    .kernarg_segment_size: 352
    .language:       OpenCL C
    .language_version:
      - 2
      - 0
    .max_flat_workgroup_size: 512
    .name:           _ZN9rocsolver6v33100L18getf2_small_kernelILi11E19rocblas_complex_numIdEiiPKPS3_EEvT1_T3_lS7_lPS7_llPT2_S7_S7_S9_l
    .private_segment_fixed_size: 0
    .sgpr_count:     18
    .sgpr_spill_count: 0
    .symbol:         _ZN9rocsolver6v33100L18getf2_small_kernelILi11E19rocblas_complex_numIdEiiPKPS3_EEvT1_T3_lS7_lPS7_llPT2_S7_S7_S9_l.kd
    .uniform_work_group_size: 1
    .uses_dynamic_stack: false
    .vgpr_count:     136
    .vgpr_spill_count: 0
    .wavefront_size: 32
    .workgroup_processor_mode: 1
  - .args:
      - .offset:         0
        .size:           4
        .value_kind:     by_value
      - .address_space:  global
        .offset:         8
        .size:           8
        .value_kind:     global_buffer
      - .offset:         16
        .size:           8
        .value_kind:     by_value
      - .offset:         24
        .size:           4
        .value_kind:     by_value
      - .offset:         32
        .size:           8
        .value_kind:     by_value
      - .address_space:  global
        .offset:         40
        .size:           8
        .value_kind:     global_buffer
      - .offset:         48
        .size:           4
        .value_kind:     by_value
      - .offset:         52
        .size:           4
        .value_kind:     by_value
      - .offset:         56
        .size:           4
        .value_kind:     hidden_block_count_x
      - .offset:         60
        .size:           4
        .value_kind:     hidden_block_count_y
      - .offset:         64
        .size:           4
        .value_kind:     hidden_block_count_z
      - .offset:         68
        .size:           2
        .value_kind:     hidden_group_size_x
      - .offset:         70
        .size:           2
        .value_kind:     hidden_group_size_y
      - .offset:         72
        .size:           2
        .value_kind:     hidden_group_size_z
      - .offset:         74
        .size:           2
        .value_kind:     hidden_remainder_x
      - .offset:         76
        .size:           2
        .value_kind:     hidden_remainder_y
      - .offset:         78
        .size:           2
        .value_kind:     hidden_remainder_z
      - .offset:         96
        .size:           8
        .value_kind:     hidden_global_offset_x
      - .offset:         104
        .size:           8
        .value_kind:     hidden_global_offset_y
      - .offset:         112
        .size:           8
        .value_kind:     hidden_global_offset_z
      - .offset:         120
        .size:           2
        .value_kind:     hidden_grid_dims
      - .offset:         176
        .size:           4
        .value_kind:     hidden_dynamic_lds_size
    .group_segment_fixed_size: 0
    .kernarg_segment_align: 8
    .kernarg_segment_size: 312
    .language:       OpenCL C
    .language_version:
      - 2
      - 0
    .max_flat_workgroup_size: 512
    .name:           _ZN9rocsolver6v33100L23getf2_npvt_small_kernelILi11E19rocblas_complex_numIdEiiPKPS3_EEvT1_T3_lS7_lPT2_S7_S7_
    .private_segment_fixed_size: 0
    .sgpr_count:     18
    .sgpr_spill_count: 0
    .symbol:         _ZN9rocsolver6v33100L23getf2_npvt_small_kernelILi11E19rocblas_complex_numIdEiiPKPS3_EEvT1_T3_lS7_lPT2_S7_S7_.kd
    .uniform_work_group_size: 1
    .uses_dynamic_stack: false
    .vgpr_count:     155
    .vgpr_spill_count: 0
    .wavefront_size: 32
    .workgroup_processor_mode: 1
  - .args:
      - .offset:         0
        .size:           4
        .value_kind:     by_value
      - .address_space:  global
        .offset:         8
        .size:           8
        .value_kind:     global_buffer
      - .offset:         16
        .size:           8
        .value_kind:     by_value
      - .offset:         24
        .size:           4
        .value_kind:     by_value
      - .offset:         32
        .size:           8
        .value_kind:     by_value
      - .address_space:  global
        .offset:         40
        .size:           8
        .value_kind:     global_buffer
      - .offset:         48
        .size:           8
        .value_kind:     by_value
      - .offset:         56
        .size:           8
        .value_kind:     by_value
      - .address_space:  global
        .offset:         64
        .size:           8
        .value_kind:     global_buffer
      - .offset:         72
        .size:           4
        .value_kind:     by_value
      - .offset:         76
        .size:           4
        .value_kind:     by_value
      - .address_space:  global
        .offset:         80
        .size:           8
        .value_kind:     global_buffer
      - .offset:         88
        .size:           8
        .value_kind:     by_value
      - .offset:         96
        .size:           4
        .value_kind:     hidden_block_count_x
      - .offset:         100
        .size:           4
        .value_kind:     hidden_block_count_y
      - .offset:         104
        .size:           4
        .value_kind:     hidden_block_count_z
      - .offset:         108
        .size:           2
        .value_kind:     hidden_group_size_x
      - .offset:         110
        .size:           2
        .value_kind:     hidden_group_size_y
      - .offset:         112
        .size:           2
        .value_kind:     hidden_group_size_z
      - .offset:         114
        .size:           2
        .value_kind:     hidden_remainder_x
      - .offset:         116
        .size:           2
        .value_kind:     hidden_remainder_y
      - .offset:         118
        .size:           2
        .value_kind:     hidden_remainder_z
      - .offset:         136
        .size:           8
        .value_kind:     hidden_global_offset_x
      - .offset:         144
        .size:           8
        .value_kind:     hidden_global_offset_y
      - .offset:         152
        .size:           8
        .value_kind:     hidden_global_offset_z
      - .offset:         160
        .size:           2
        .value_kind:     hidden_grid_dims
      - .offset:         216
        .size:           4
        .value_kind:     hidden_dynamic_lds_size
    .group_segment_fixed_size: 0
    .kernarg_segment_align: 8
    .kernarg_segment_size: 352
    .language:       OpenCL C
    .language_version:
      - 2
      - 0
    .max_flat_workgroup_size: 512
    .name:           _ZN9rocsolver6v33100L18getf2_small_kernelILi12E19rocblas_complex_numIdEiiPKPS3_EEvT1_T3_lS7_lPS7_llPT2_S7_S7_S9_l
    .private_segment_fixed_size: 0
    .sgpr_count:     18
    .sgpr_spill_count: 0
    .symbol:         _ZN9rocsolver6v33100L18getf2_small_kernelILi12E19rocblas_complex_numIdEiiPKPS3_EEvT1_T3_lS7_lPS7_llPT2_S7_S7_S9_l.kd
    .uniform_work_group_size: 1
    .uses_dynamic_stack: false
    .vgpr_count:     148
    .vgpr_spill_count: 0
    .wavefront_size: 32
    .workgroup_processor_mode: 1
  - .args:
      - .offset:         0
        .size:           4
        .value_kind:     by_value
      - .address_space:  global
        .offset:         8
        .size:           8
        .value_kind:     global_buffer
      - .offset:         16
        .size:           8
        .value_kind:     by_value
      - .offset:         24
        .size:           4
        .value_kind:     by_value
      - .offset:         32
        .size:           8
        .value_kind:     by_value
      - .address_space:  global
        .offset:         40
        .size:           8
        .value_kind:     global_buffer
      - .offset:         48
        .size:           4
        .value_kind:     by_value
      - .offset:         52
        .size:           4
        .value_kind:     by_value
      - .offset:         56
        .size:           4
        .value_kind:     hidden_block_count_x
      - .offset:         60
        .size:           4
        .value_kind:     hidden_block_count_y
      - .offset:         64
        .size:           4
        .value_kind:     hidden_block_count_z
      - .offset:         68
        .size:           2
        .value_kind:     hidden_group_size_x
      - .offset:         70
        .size:           2
        .value_kind:     hidden_group_size_y
      - .offset:         72
        .size:           2
        .value_kind:     hidden_group_size_z
      - .offset:         74
        .size:           2
        .value_kind:     hidden_remainder_x
      - .offset:         76
        .size:           2
        .value_kind:     hidden_remainder_y
      - .offset:         78
        .size:           2
        .value_kind:     hidden_remainder_z
      - .offset:         96
        .size:           8
        .value_kind:     hidden_global_offset_x
      - .offset:         104
        .size:           8
        .value_kind:     hidden_global_offset_y
      - .offset:         112
        .size:           8
        .value_kind:     hidden_global_offset_z
      - .offset:         120
        .size:           2
        .value_kind:     hidden_grid_dims
      - .offset:         176
        .size:           4
        .value_kind:     hidden_dynamic_lds_size
    .group_segment_fixed_size: 0
    .kernarg_segment_align: 8
    .kernarg_segment_size: 312
    .language:       OpenCL C
    .language_version:
      - 2
      - 0
    .max_flat_workgroup_size: 512
    .name:           _ZN9rocsolver6v33100L23getf2_npvt_small_kernelILi12E19rocblas_complex_numIdEiiPKPS3_EEvT1_T3_lS7_lPT2_S7_S7_
    .private_segment_fixed_size: 0
    .sgpr_count:     18
    .sgpr_spill_count: 0
    .symbol:         _ZN9rocsolver6v33100L23getf2_npvt_small_kernelILi12E19rocblas_complex_numIdEiiPKPS3_EEvT1_T3_lS7_lPT2_S7_S7_.kd
    .uniform_work_group_size: 1
    .uses_dynamic_stack: false
    .vgpr_count:     169
    .vgpr_spill_count: 0
    .wavefront_size: 32
    .workgroup_processor_mode: 1
  - .args:
      - .offset:         0
        .size:           4
        .value_kind:     by_value
      - .address_space:  global
        .offset:         8
        .size:           8
        .value_kind:     global_buffer
      - .offset:         16
        .size:           8
        .value_kind:     by_value
      - .offset:         24
        .size:           4
        .value_kind:     by_value
      - .offset:         32
        .size:           8
        .value_kind:     by_value
      - .address_space:  global
        .offset:         40
        .size:           8
        .value_kind:     global_buffer
      - .offset:         48
        .size:           8
        .value_kind:     by_value
      - .offset:         56
        .size:           8
        .value_kind:     by_value
      - .address_space:  global
        .offset:         64
        .size:           8
        .value_kind:     global_buffer
      - .offset:         72
        .size:           4
        .value_kind:     by_value
      - .offset:         76
        .size:           4
        .value_kind:     by_value
      - .address_space:  global
        .offset:         80
        .size:           8
        .value_kind:     global_buffer
      - .offset:         88
        .size:           8
        .value_kind:     by_value
      - .offset:         96
        .size:           4
        .value_kind:     hidden_block_count_x
      - .offset:         100
        .size:           4
        .value_kind:     hidden_block_count_y
      - .offset:         104
        .size:           4
        .value_kind:     hidden_block_count_z
      - .offset:         108
        .size:           2
        .value_kind:     hidden_group_size_x
      - .offset:         110
        .size:           2
        .value_kind:     hidden_group_size_y
      - .offset:         112
        .size:           2
        .value_kind:     hidden_group_size_z
      - .offset:         114
        .size:           2
        .value_kind:     hidden_remainder_x
      - .offset:         116
        .size:           2
        .value_kind:     hidden_remainder_y
      - .offset:         118
        .size:           2
        .value_kind:     hidden_remainder_z
      - .offset:         136
        .size:           8
        .value_kind:     hidden_global_offset_x
      - .offset:         144
        .size:           8
        .value_kind:     hidden_global_offset_y
      - .offset:         152
        .size:           8
        .value_kind:     hidden_global_offset_z
      - .offset:         160
        .size:           2
        .value_kind:     hidden_grid_dims
      - .offset:         216
        .size:           4
        .value_kind:     hidden_dynamic_lds_size
    .group_segment_fixed_size: 0
    .kernarg_segment_align: 8
    .kernarg_segment_size: 352
    .language:       OpenCL C
    .language_version:
      - 2
      - 0
    .max_flat_workgroup_size: 512
    .name:           _ZN9rocsolver6v33100L18getf2_small_kernelILi13E19rocblas_complex_numIdEiiPKPS3_EEvT1_T3_lS7_lPS7_llPT2_S7_S7_S9_l
    .private_segment_fixed_size: 0
    .sgpr_count:     18
    .sgpr_spill_count: 0
    .symbol:         _ZN9rocsolver6v33100L18getf2_small_kernelILi13E19rocblas_complex_numIdEiiPKPS3_EEvT1_T3_lS7_lPS7_llPT2_S7_S7_S9_l.kd
    .uniform_work_group_size: 1
    .uses_dynamic_stack: false
    .vgpr_count:     160
    .vgpr_spill_count: 0
    .wavefront_size: 32
    .workgroup_processor_mode: 1
  - .args:
      - .offset:         0
        .size:           4
        .value_kind:     by_value
      - .address_space:  global
        .offset:         8
        .size:           8
        .value_kind:     global_buffer
      - .offset:         16
        .size:           8
        .value_kind:     by_value
      - .offset:         24
        .size:           4
        .value_kind:     by_value
      - .offset:         32
        .size:           8
        .value_kind:     by_value
      - .address_space:  global
        .offset:         40
        .size:           8
        .value_kind:     global_buffer
      - .offset:         48
        .size:           4
        .value_kind:     by_value
      - .offset:         52
        .size:           4
        .value_kind:     by_value
      - .offset:         56
        .size:           4
        .value_kind:     hidden_block_count_x
      - .offset:         60
        .size:           4
        .value_kind:     hidden_block_count_y
      - .offset:         64
        .size:           4
        .value_kind:     hidden_block_count_z
      - .offset:         68
        .size:           2
        .value_kind:     hidden_group_size_x
      - .offset:         70
        .size:           2
        .value_kind:     hidden_group_size_y
      - .offset:         72
        .size:           2
        .value_kind:     hidden_group_size_z
      - .offset:         74
        .size:           2
        .value_kind:     hidden_remainder_x
      - .offset:         76
        .size:           2
        .value_kind:     hidden_remainder_y
      - .offset:         78
        .size:           2
        .value_kind:     hidden_remainder_z
      - .offset:         96
        .size:           8
        .value_kind:     hidden_global_offset_x
      - .offset:         104
        .size:           8
        .value_kind:     hidden_global_offset_y
      - .offset:         112
        .size:           8
        .value_kind:     hidden_global_offset_z
      - .offset:         120
        .size:           2
        .value_kind:     hidden_grid_dims
      - .offset:         176
        .size:           4
        .value_kind:     hidden_dynamic_lds_size
    .group_segment_fixed_size: 0
    .kernarg_segment_align: 8
    .kernarg_segment_size: 312
    .language:       OpenCL C
    .language_version:
      - 2
      - 0
    .max_flat_workgroup_size: 512
    .name:           _ZN9rocsolver6v33100L23getf2_npvt_small_kernelILi13E19rocblas_complex_numIdEiiPKPS3_EEvT1_T3_lS7_lPT2_S7_S7_
    .private_segment_fixed_size: 0
    .sgpr_count:     18
    .sgpr_spill_count: 0
    .symbol:         _ZN9rocsolver6v33100L23getf2_npvt_small_kernelILi13E19rocblas_complex_numIdEiiPKPS3_EEvT1_T3_lS7_lPT2_S7_S7_.kd
    .uniform_work_group_size: 1
    .uses_dynamic_stack: false
    .vgpr_count:     183
    .vgpr_spill_count: 0
    .wavefront_size: 32
    .workgroup_processor_mode: 1
  - .args:
      - .offset:         0
        .size:           4
        .value_kind:     by_value
      - .address_space:  global
        .offset:         8
        .size:           8
        .value_kind:     global_buffer
      - .offset:         16
        .size:           8
        .value_kind:     by_value
      - .offset:         24
        .size:           4
        .value_kind:     by_value
      - .offset:         32
        .size:           8
        .value_kind:     by_value
      - .address_space:  global
        .offset:         40
        .size:           8
        .value_kind:     global_buffer
      - .offset:         48
        .size:           8
        .value_kind:     by_value
      - .offset:         56
        .size:           8
        .value_kind:     by_value
      - .address_space:  global
        .offset:         64
        .size:           8
        .value_kind:     global_buffer
      - .offset:         72
        .size:           4
        .value_kind:     by_value
      - .offset:         76
        .size:           4
        .value_kind:     by_value
      - .address_space:  global
        .offset:         80
        .size:           8
        .value_kind:     global_buffer
      - .offset:         88
        .size:           8
        .value_kind:     by_value
      - .offset:         96
        .size:           4
        .value_kind:     hidden_block_count_x
      - .offset:         100
        .size:           4
        .value_kind:     hidden_block_count_y
      - .offset:         104
        .size:           4
        .value_kind:     hidden_block_count_z
      - .offset:         108
        .size:           2
        .value_kind:     hidden_group_size_x
      - .offset:         110
        .size:           2
        .value_kind:     hidden_group_size_y
      - .offset:         112
        .size:           2
        .value_kind:     hidden_group_size_z
      - .offset:         114
        .size:           2
        .value_kind:     hidden_remainder_x
      - .offset:         116
        .size:           2
        .value_kind:     hidden_remainder_y
      - .offset:         118
        .size:           2
        .value_kind:     hidden_remainder_z
      - .offset:         136
        .size:           8
        .value_kind:     hidden_global_offset_x
      - .offset:         144
        .size:           8
        .value_kind:     hidden_global_offset_y
      - .offset:         152
        .size:           8
        .value_kind:     hidden_global_offset_z
      - .offset:         160
        .size:           2
        .value_kind:     hidden_grid_dims
      - .offset:         216
        .size:           4
        .value_kind:     hidden_dynamic_lds_size
    .group_segment_fixed_size: 0
    .kernarg_segment_align: 8
    .kernarg_segment_size: 352
    .language:       OpenCL C
    .language_version:
      - 2
      - 0
    .max_flat_workgroup_size: 512
    .name:           _ZN9rocsolver6v33100L18getf2_small_kernelILi14E19rocblas_complex_numIdEiiPKPS3_EEvT1_T3_lS7_lPS7_llPT2_S7_S7_S9_l
    .private_segment_fixed_size: 0
    .sgpr_count:     18
    .sgpr_spill_count: 0
    .symbol:         _ZN9rocsolver6v33100L18getf2_small_kernelILi14E19rocblas_complex_numIdEiiPKPS3_EEvT1_T3_lS7_lPS7_llPT2_S7_S7_S9_l.kd
    .uniform_work_group_size: 1
    .uses_dynamic_stack: false
    .vgpr_count:     172
    .vgpr_spill_count: 0
    .wavefront_size: 32
    .workgroup_processor_mode: 1
  - .args:
      - .offset:         0
        .size:           4
        .value_kind:     by_value
      - .address_space:  global
        .offset:         8
        .size:           8
        .value_kind:     global_buffer
      - .offset:         16
        .size:           8
        .value_kind:     by_value
      - .offset:         24
        .size:           4
        .value_kind:     by_value
      - .offset:         32
        .size:           8
        .value_kind:     by_value
      - .address_space:  global
        .offset:         40
        .size:           8
        .value_kind:     global_buffer
      - .offset:         48
        .size:           4
        .value_kind:     by_value
      - .offset:         52
        .size:           4
        .value_kind:     by_value
      - .offset:         56
        .size:           4
        .value_kind:     hidden_block_count_x
      - .offset:         60
        .size:           4
        .value_kind:     hidden_block_count_y
      - .offset:         64
        .size:           4
        .value_kind:     hidden_block_count_z
      - .offset:         68
        .size:           2
        .value_kind:     hidden_group_size_x
      - .offset:         70
        .size:           2
        .value_kind:     hidden_group_size_y
      - .offset:         72
        .size:           2
        .value_kind:     hidden_group_size_z
      - .offset:         74
        .size:           2
        .value_kind:     hidden_remainder_x
      - .offset:         76
        .size:           2
        .value_kind:     hidden_remainder_y
      - .offset:         78
        .size:           2
        .value_kind:     hidden_remainder_z
      - .offset:         96
        .size:           8
        .value_kind:     hidden_global_offset_x
      - .offset:         104
        .size:           8
        .value_kind:     hidden_global_offset_y
      - .offset:         112
        .size:           8
        .value_kind:     hidden_global_offset_z
      - .offset:         120
        .size:           2
        .value_kind:     hidden_grid_dims
      - .offset:         176
        .size:           4
        .value_kind:     hidden_dynamic_lds_size
    .group_segment_fixed_size: 0
    .kernarg_segment_align: 8
    .kernarg_segment_size: 312
    .language:       OpenCL C
    .language_version:
      - 2
      - 0
    .max_flat_workgroup_size: 512
    .name:           _ZN9rocsolver6v33100L23getf2_npvt_small_kernelILi14E19rocblas_complex_numIdEiiPKPS3_EEvT1_T3_lS7_lPT2_S7_S7_
    .private_segment_fixed_size: 0
    .sgpr_count:     18
    .sgpr_spill_count: 0
    .symbol:         _ZN9rocsolver6v33100L23getf2_npvt_small_kernelILi14E19rocblas_complex_numIdEiiPKPS3_EEvT1_T3_lS7_lPT2_S7_S7_.kd
    .uniform_work_group_size: 1
    .uses_dynamic_stack: false
    .vgpr_count:     197
    .vgpr_spill_count: 0
    .wavefront_size: 32
    .workgroup_processor_mode: 1
  - .args:
      - .offset:         0
        .size:           4
        .value_kind:     by_value
      - .address_space:  global
        .offset:         8
        .size:           8
        .value_kind:     global_buffer
      - .offset:         16
        .size:           8
        .value_kind:     by_value
      - .offset:         24
        .size:           4
        .value_kind:     by_value
      - .offset:         32
        .size:           8
        .value_kind:     by_value
      - .address_space:  global
        .offset:         40
        .size:           8
        .value_kind:     global_buffer
      - .offset:         48
        .size:           8
        .value_kind:     by_value
      - .offset:         56
        .size:           8
        .value_kind:     by_value
      - .address_space:  global
        .offset:         64
        .size:           8
        .value_kind:     global_buffer
      - .offset:         72
        .size:           4
        .value_kind:     by_value
      - .offset:         76
        .size:           4
        .value_kind:     by_value
      - .address_space:  global
        .offset:         80
        .size:           8
        .value_kind:     global_buffer
      - .offset:         88
        .size:           8
        .value_kind:     by_value
      - .offset:         96
        .size:           4
        .value_kind:     hidden_block_count_x
      - .offset:         100
        .size:           4
        .value_kind:     hidden_block_count_y
      - .offset:         104
        .size:           4
        .value_kind:     hidden_block_count_z
      - .offset:         108
        .size:           2
        .value_kind:     hidden_group_size_x
      - .offset:         110
        .size:           2
        .value_kind:     hidden_group_size_y
      - .offset:         112
        .size:           2
        .value_kind:     hidden_group_size_z
      - .offset:         114
        .size:           2
        .value_kind:     hidden_remainder_x
      - .offset:         116
        .size:           2
        .value_kind:     hidden_remainder_y
      - .offset:         118
        .size:           2
        .value_kind:     hidden_remainder_z
      - .offset:         136
        .size:           8
        .value_kind:     hidden_global_offset_x
      - .offset:         144
        .size:           8
        .value_kind:     hidden_global_offset_y
      - .offset:         152
        .size:           8
        .value_kind:     hidden_global_offset_z
      - .offset:         160
        .size:           2
        .value_kind:     hidden_grid_dims
      - .offset:         216
        .size:           4
        .value_kind:     hidden_dynamic_lds_size
    .group_segment_fixed_size: 0
    .kernarg_segment_align: 8
    .kernarg_segment_size: 352
    .language:       OpenCL C
    .language_version:
      - 2
      - 0
    .max_flat_workgroup_size: 512
    .name:           _ZN9rocsolver6v33100L18getf2_small_kernelILi15E19rocblas_complex_numIdEiiPKPS3_EEvT1_T3_lS7_lPS7_llPT2_S7_S7_S9_l
    .private_segment_fixed_size: 0
    .sgpr_count:     18
    .sgpr_spill_count: 0
    .symbol:         _ZN9rocsolver6v33100L18getf2_small_kernelILi15E19rocblas_complex_numIdEiiPKPS3_EEvT1_T3_lS7_lPS7_llPT2_S7_S7_S9_l.kd
    .uniform_work_group_size: 1
    .uses_dynamic_stack: false
    .vgpr_count:     184
    .vgpr_spill_count: 0
    .wavefront_size: 32
    .workgroup_processor_mode: 1
  - .args:
      - .offset:         0
        .size:           4
        .value_kind:     by_value
      - .address_space:  global
        .offset:         8
        .size:           8
        .value_kind:     global_buffer
      - .offset:         16
        .size:           8
        .value_kind:     by_value
      - .offset:         24
        .size:           4
        .value_kind:     by_value
      - .offset:         32
        .size:           8
        .value_kind:     by_value
      - .address_space:  global
        .offset:         40
        .size:           8
        .value_kind:     global_buffer
      - .offset:         48
        .size:           4
        .value_kind:     by_value
      - .offset:         52
        .size:           4
        .value_kind:     by_value
      - .offset:         56
        .size:           4
        .value_kind:     hidden_block_count_x
      - .offset:         60
        .size:           4
        .value_kind:     hidden_block_count_y
      - .offset:         64
        .size:           4
        .value_kind:     hidden_block_count_z
      - .offset:         68
        .size:           2
        .value_kind:     hidden_group_size_x
      - .offset:         70
        .size:           2
        .value_kind:     hidden_group_size_y
      - .offset:         72
        .size:           2
        .value_kind:     hidden_group_size_z
      - .offset:         74
        .size:           2
        .value_kind:     hidden_remainder_x
      - .offset:         76
        .size:           2
        .value_kind:     hidden_remainder_y
      - .offset:         78
        .size:           2
        .value_kind:     hidden_remainder_z
      - .offset:         96
        .size:           8
        .value_kind:     hidden_global_offset_x
      - .offset:         104
        .size:           8
        .value_kind:     hidden_global_offset_y
      - .offset:         112
        .size:           8
        .value_kind:     hidden_global_offset_z
      - .offset:         120
        .size:           2
        .value_kind:     hidden_grid_dims
      - .offset:         176
        .size:           4
        .value_kind:     hidden_dynamic_lds_size
    .group_segment_fixed_size: 0
    .kernarg_segment_align: 8
    .kernarg_segment_size: 312
    .language:       OpenCL C
    .language_version:
      - 2
      - 0
    .max_flat_workgroup_size: 512
    .name:           _ZN9rocsolver6v33100L23getf2_npvt_small_kernelILi15E19rocblas_complex_numIdEiiPKPS3_EEvT1_T3_lS7_lPT2_S7_S7_
    .private_segment_fixed_size: 0
    .sgpr_count:     18
    .sgpr_spill_count: 0
    .symbol:         _ZN9rocsolver6v33100L23getf2_npvt_small_kernelILi15E19rocblas_complex_numIdEiiPKPS3_EEvT1_T3_lS7_lPT2_S7_S7_.kd
    .uniform_work_group_size: 1
    .uses_dynamic_stack: false
    .vgpr_count:     211
    .vgpr_spill_count: 0
    .wavefront_size: 32
    .workgroup_processor_mode: 1
  - .args:
      - .offset:         0
        .size:           4
        .value_kind:     by_value
      - .address_space:  global
        .offset:         8
        .size:           8
        .value_kind:     global_buffer
      - .offset:         16
        .size:           8
        .value_kind:     by_value
      - .offset:         24
        .size:           4
        .value_kind:     by_value
      - .offset:         32
        .size:           8
        .value_kind:     by_value
      - .address_space:  global
        .offset:         40
        .size:           8
        .value_kind:     global_buffer
      - .offset:         48
        .size:           8
        .value_kind:     by_value
      - .offset:         56
        .size:           8
        .value_kind:     by_value
      - .address_space:  global
        .offset:         64
        .size:           8
        .value_kind:     global_buffer
      - .offset:         72
        .size:           4
        .value_kind:     by_value
      - .offset:         76
        .size:           4
        .value_kind:     by_value
      - .address_space:  global
        .offset:         80
        .size:           8
        .value_kind:     global_buffer
      - .offset:         88
        .size:           8
        .value_kind:     by_value
      - .offset:         96
        .size:           4
        .value_kind:     hidden_block_count_x
      - .offset:         100
        .size:           4
        .value_kind:     hidden_block_count_y
      - .offset:         104
        .size:           4
        .value_kind:     hidden_block_count_z
      - .offset:         108
        .size:           2
        .value_kind:     hidden_group_size_x
      - .offset:         110
        .size:           2
        .value_kind:     hidden_group_size_y
      - .offset:         112
        .size:           2
        .value_kind:     hidden_group_size_z
      - .offset:         114
        .size:           2
        .value_kind:     hidden_remainder_x
      - .offset:         116
        .size:           2
        .value_kind:     hidden_remainder_y
      - .offset:         118
        .size:           2
        .value_kind:     hidden_remainder_z
      - .offset:         136
        .size:           8
        .value_kind:     hidden_global_offset_x
      - .offset:         144
        .size:           8
        .value_kind:     hidden_global_offset_y
      - .offset:         152
        .size:           8
        .value_kind:     hidden_global_offset_z
      - .offset:         160
        .size:           2
        .value_kind:     hidden_grid_dims
      - .offset:         216
        .size:           4
        .value_kind:     hidden_dynamic_lds_size
    .group_segment_fixed_size: 0
    .kernarg_segment_align: 8
    .kernarg_segment_size: 352
    .language:       OpenCL C
    .language_version:
      - 2
      - 0
    .max_flat_workgroup_size: 512
    .name:           _ZN9rocsolver6v33100L18getf2_small_kernelILi16E19rocblas_complex_numIdEiiPKPS3_EEvT1_T3_lS7_lPS7_llPT2_S7_S7_S9_l
    .private_segment_fixed_size: 0
    .sgpr_count:     18
    .sgpr_spill_count: 0
    .symbol:         _ZN9rocsolver6v33100L18getf2_small_kernelILi16E19rocblas_complex_numIdEiiPKPS3_EEvT1_T3_lS7_lPS7_llPT2_S7_S7_S9_l.kd
    .uniform_work_group_size: 1
    .uses_dynamic_stack: false
    .vgpr_count:     196
    .vgpr_spill_count: 0
    .wavefront_size: 32
    .workgroup_processor_mode: 1
  - .args:
      - .offset:         0
        .size:           4
        .value_kind:     by_value
      - .address_space:  global
        .offset:         8
        .size:           8
        .value_kind:     global_buffer
      - .offset:         16
        .size:           8
        .value_kind:     by_value
      - .offset:         24
        .size:           4
        .value_kind:     by_value
      - .offset:         32
        .size:           8
        .value_kind:     by_value
      - .address_space:  global
        .offset:         40
        .size:           8
        .value_kind:     global_buffer
      - .offset:         48
        .size:           4
        .value_kind:     by_value
      - .offset:         52
        .size:           4
        .value_kind:     by_value
      - .offset:         56
        .size:           4
        .value_kind:     hidden_block_count_x
      - .offset:         60
        .size:           4
        .value_kind:     hidden_block_count_y
      - .offset:         64
        .size:           4
        .value_kind:     hidden_block_count_z
      - .offset:         68
        .size:           2
        .value_kind:     hidden_group_size_x
      - .offset:         70
        .size:           2
        .value_kind:     hidden_group_size_y
      - .offset:         72
        .size:           2
        .value_kind:     hidden_group_size_z
      - .offset:         74
        .size:           2
        .value_kind:     hidden_remainder_x
      - .offset:         76
        .size:           2
        .value_kind:     hidden_remainder_y
      - .offset:         78
        .size:           2
        .value_kind:     hidden_remainder_z
      - .offset:         96
        .size:           8
        .value_kind:     hidden_global_offset_x
      - .offset:         104
        .size:           8
        .value_kind:     hidden_global_offset_y
      - .offset:         112
        .size:           8
        .value_kind:     hidden_global_offset_z
      - .offset:         120
        .size:           2
        .value_kind:     hidden_grid_dims
      - .offset:         176
        .size:           4
        .value_kind:     hidden_dynamic_lds_size
    .group_segment_fixed_size: 0
    .kernarg_segment_align: 8
    .kernarg_segment_size: 312
    .language:       OpenCL C
    .language_version:
      - 2
      - 0
    .max_flat_workgroup_size: 512
    .name:           _ZN9rocsolver6v33100L23getf2_npvt_small_kernelILi16E19rocblas_complex_numIdEiiPKPS3_EEvT1_T3_lS7_lPT2_S7_S7_
    .private_segment_fixed_size: 0
    .sgpr_count:     18
    .sgpr_spill_count: 0
    .symbol:         _ZN9rocsolver6v33100L23getf2_npvt_small_kernelILi16E19rocblas_complex_numIdEiiPKPS3_EEvT1_T3_lS7_lPT2_S7_S7_.kd
    .uniform_work_group_size: 1
    .uses_dynamic_stack: false
    .vgpr_count:     225
    .vgpr_spill_count: 0
    .wavefront_size: 32
    .workgroup_processor_mode: 1
  - .args:
      - .offset:         0
        .size:           4
        .value_kind:     by_value
      - .address_space:  global
        .offset:         8
        .size:           8
        .value_kind:     global_buffer
      - .offset:         16
        .size:           8
        .value_kind:     by_value
      - .offset:         24
        .size:           4
        .value_kind:     by_value
      - .offset:         32
        .size:           8
        .value_kind:     by_value
      - .address_space:  global
        .offset:         40
        .size:           8
        .value_kind:     global_buffer
      - .offset:         48
        .size:           8
        .value_kind:     by_value
      - .offset:         56
        .size:           8
        .value_kind:     by_value
      - .address_space:  global
        .offset:         64
        .size:           8
        .value_kind:     global_buffer
      - .offset:         72
        .size:           4
        .value_kind:     by_value
      - .offset:         76
        .size:           4
        .value_kind:     by_value
      - .address_space:  global
        .offset:         80
        .size:           8
        .value_kind:     global_buffer
      - .offset:         88
        .size:           8
        .value_kind:     by_value
      - .offset:         96
        .size:           4
        .value_kind:     hidden_block_count_x
      - .offset:         100
        .size:           4
        .value_kind:     hidden_block_count_y
      - .offset:         104
        .size:           4
        .value_kind:     hidden_block_count_z
      - .offset:         108
        .size:           2
        .value_kind:     hidden_group_size_x
      - .offset:         110
        .size:           2
        .value_kind:     hidden_group_size_y
      - .offset:         112
        .size:           2
        .value_kind:     hidden_group_size_z
      - .offset:         114
        .size:           2
        .value_kind:     hidden_remainder_x
      - .offset:         116
        .size:           2
        .value_kind:     hidden_remainder_y
      - .offset:         118
        .size:           2
        .value_kind:     hidden_remainder_z
      - .offset:         136
        .size:           8
        .value_kind:     hidden_global_offset_x
      - .offset:         144
        .size:           8
        .value_kind:     hidden_global_offset_y
      - .offset:         152
        .size:           8
        .value_kind:     hidden_global_offset_z
      - .offset:         160
        .size:           2
        .value_kind:     hidden_grid_dims
      - .offset:         216
        .size:           4
        .value_kind:     hidden_dynamic_lds_size
    .group_segment_fixed_size: 0
    .kernarg_segment_align: 8
    .kernarg_segment_size: 352
    .language:       OpenCL C
    .language_version:
      - 2
      - 0
    .max_flat_workgroup_size: 512
    .name:           _ZN9rocsolver6v33100L18getf2_small_kernelILi17E19rocblas_complex_numIdEiiPKPS3_EEvT1_T3_lS7_lPS7_llPT2_S7_S7_S9_l
    .private_segment_fixed_size: 0
    .sgpr_count:     18
    .sgpr_spill_count: 0
    .symbol:         _ZN9rocsolver6v33100L18getf2_small_kernelILi17E19rocblas_complex_numIdEiiPKPS3_EEvT1_T3_lS7_lPS7_llPT2_S7_S7_S9_l.kd
    .uniform_work_group_size: 1
    .uses_dynamic_stack: false
    .vgpr_count:     208
    .vgpr_spill_count: 0
    .wavefront_size: 32
    .workgroup_processor_mode: 1
  - .args:
      - .offset:         0
        .size:           4
        .value_kind:     by_value
      - .address_space:  global
        .offset:         8
        .size:           8
        .value_kind:     global_buffer
      - .offset:         16
        .size:           8
        .value_kind:     by_value
      - .offset:         24
        .size:           4
        .value_kind:     by_value
      - .offset:         32
        .size:           8
        .value_kind:     by_value
      - .address_space:  global
        .offset:         40
        .size:           8
        .value_kind:     global_buffer
      - .offset:         48
        .size:           4
        .value_kind:     by_value
      - .offset:         52
        .size:           4
        .value_kind:     by_value
      - .offset:         56
        .size:           4
        .value_kind:     hidden_block_count_x
      - .offset:         60
        .size:           4
        .value_kind:     hidden_block_count_y
      - .offset:         64
        .size:           4
        .value_kind:     hidden_block_count_z
      - .offset:         68
        .size:           2
        .value_kind:     hidden_group_size_x
      - .offset:         70
        .size:           2
        .value_kind:     hidden_group_size_y
      - .offset:         72
        .size:           2
        .value_kind:     hidden_group_size_z
      - .offset:         74
        .size:           2
        .value_kind:     hidden_remainder_x
      - .offset:         76
        .size:           2
        .value_kind:     hidden_remainder_y
      - .offset:         78
        .size:           2
        .value_kind:     hidden_remainder_z
      - .offset:         96
        .size:           8
        .value_kind:     hidden_global_offset_x
      - .offset:         104
        .size:           8
        .value_kind:     hidden_global_offset_y
      - .offset:         112
        .size:           8
        .value_kind:     hidden_global_offset_z
      - .offset:         120
        .size:           2
        .value_kind:     hidden_grid_dims
      - .offset:         176
        .size:           4
        .value_kind:     hidden_dynamic_lds_size
    .group_segment_fixed_size: 0
    .kernarg_segment_align: 8
    .kernarg_segment_size: 312
    .language:       OpenCL C
    .language_version:
      - 2
      - 0
    .max_flat_workgroup_size: 512
    .name:           _ZN9rocsolver6v33100L23getf2_npvt_small_kernelILi17E19rocblas_complex_numIdEiiPKPS3_EEvT1_T3_lS7_lPT2_S7_S7_
    .private_segment_fixed_size: 0
    .sgpr_count:     18
    .sgpr_spill_count: 0
    .symbol:         _ZN9rocsolver6v33100L23getf2_npvt_small_kernelILi17E19rocblas_complex_numIdEiiPKPS3_EEvT1_T3_lS7_lPT2_S7_S7_.kd
    .uniform_work_group_size: 1
    .uses_dynamic_stack: false
    .vgpr_count:     239
    .vgpr_spill_count: 0
    .wavefront_size: 32
    .workgroup_processor_mode: 1
  - .args:
      - .offset:         0
        .size:           4
        .value_kind:     by_value
      - .address_space:  global
        .offset:         8
        .size:           8
        .value_kind:     global_buffer
      - .offset:         16
        .size:           8
        .value_kind:     by_value
      - .offset:         24
        .size:           4
        .value_kind:     by_value
      - .offset:         32
        .size:           8
        .value_kind:     by_value
      - .address_space:  global
        .offset:         40
        .size:           8
        .value_kind:     global_buffer
      - .offset:         48
        .size:           8
        .value_kind:     by_value
      - .offset:         56
        .size:           8
        .value_kind:     by_value
      - .address_space:  global
        .offset:         64
        .size:           8
        .value_kind:     global_buffer
      - .offset:         72
        .size:           4
        .value_kind:     by_value
      - .offset:         76
        .size:           4
        .value_kind:     by_value
      - .address_space:  global
        .offset:         80
        .size:           8
        .value_kind:     global_buffer
      - .offset:         88
        .size:           8
        .value_kind:     by_value
      - .offset:         96
        .size:           4
        .value_kind:     hidden_block_count_x
      - .offset:         100
        .size:           4
        .value_kind:     hidden_block_count_y
      - .offset:         104
        .size:           4
        .value_kind:     hidden_block_count_z
      - .offset:         108
        .size:           2
        .value_kind:     hidden_group_size_x
      - .offset:         110
        .size:           2
        .value_kind:     hidden_group_size_y
      - .offset:         112
        .size:           2
        .value_kind:     hidden_group_size_z
      - .offset:         114
        .size:           2
        .value_kind:     hidden_remainder_x
      - .offset:         116
        .size:           2
        .value_kind:     hidden_remainder_y
      - .offset:         118
        .size:           2
        .value_kind:     hidden_remainder_z
      - .offset:         136
        .size:           8
        .value_kind:     hidden_global_offset_x
      - .offset:         144
        .size:           8
        .value_kind:     hidden_global_offset_y
      - .offset:         152
        .size:           8
        .value_kind:     hidden_global_offset_z
      - .offset:         160
        .size:           2
        .value_kind:     hidden_grid_dims
      - .offset:         216
        .size:           4
        .value_kind:     hidden_dynamic_lds_size
    .group_segment_fixed_size: 0
    .kernarg_segment_align: 8
    .kernarg_segment_size: 352
    .language:       OpenCL C
    .language_version:
      - 2
      - 0
    .max_flat_workgroup_size: 512
    .name:           _ZN9rocsolver6v33100L18getf2_small_kernelILi18E19rocblas_complex_numIdEiiPKPS3_EEvT1_T3_lS7_lPS7_llPT2_S7_S7_S9_l
    .private_segment_fixed_size: 0
    .sgpr_count:     18
    .sgpr_spill_count: 0
    .symbol:         _ZN9rocsolver6v33100L18getf2_small_kernelILi18E19rocblas_complex_numIdEiiPKPS3_EEvT1_T3_lS7_lPS7_llPT2_S7_S7_S9_l.kd
    .uniform_work_group_size: 1
    .uses_dynamic_stack: false
    .vgpr_count:     220
    .vgpr_spill_count: 0
    .wavefront_size: 32
    .workgroup_processor_mode: 1
  - .args:
      - .offset:         0
        .size:           4
        .value_kind:     by_value
      - .address_space:  global
        .offset:         8
        .size:           8
        .value_kind:     global_buffer
      - .offset:         16
        .size:           8
        .value_kind:     by_value
      - .offset:         24
        .size:           4
        .value_kind:     by_value
      - .offset:         32
        .size:           8
        .value_kind:     by_value
      - .address_space:  global
        .offset:         40
        .size:           8
        .value_kind:     global_buffer
      - .offset:         48
        .size:           4
        .value_kind:     by_value
      - .offset:         52
        .size:           4
        .value_kind:     by_value
      - .offset:         56
        .size:           4
        .value_kind:     hidden_block_count_x
      - .offset:         60
        .size:           4
        .value_kind:     hidden_block_count_y
      - .offset:         64
        .size:           4
        .value_kind:     hidden_block_count_z
      - .offset:         68
        .size:           2
        .value_kind:     hidden_group_size_x
      - .offset:         70
        .size:           2
        .value_kind:     hidden_group_size_y
      - .offset:         72
        .size:           2
        .value_kind:     hidden_group_size_z
      - .offset:         74
        .size:           2
        .value_kind:     hidden_remainder_x
      - .offset:         76
        .size:           2
        .value_kind:     hidden_remainder_y
      - .offset:         78
        .size:           2
        .value_kind:     hidden_remainder_z
      - .offset:         96
        .size:           8
        .value_kind:     hidden_global_offset_x
      - .offset:         104
        .size:           8
        .value_kind:     hidden_global_offset_y
      - .offset:         112
        .size:           8
        .value_kind:     hidden_global_offset_z
      - .offset:         120
        .size:           2
        .value_kind:     hidden_grid_dims
      - .offset:         176
        .size:           4
        .value_kind:     hidden_dynamic_lds_size
    .group_segment_fixed_size: 0
    .kernarg_segment_align: 8
    .kernarg_segment_size: 312
    .language:       OpenCL C
    .language_version:
      - 2
      - 0
    .max_flat_workgroup_size: 512
    .name:           _ZN9rocsolver6v33100L23getf2_npvt_small_kernelILi18E19rocblas_complex_numIdEiiPKPS3_EEvT1_T3_lS7_lPT2_S7_S7_
    .private_segment_fixed_size: 0
    .sgpr_count:     18
    .sgpr_spill_count: 0
    .symbol:         _ZN9rocsolver6v33100L23getf2_npvt_small_kernelILi18E19rocblas_complex_numIdEiiPKPS3_EEvT1_T3_lS7_lPT2_S7_S7_.kd
    .uniform_work_group_size: 1
    .uses_dynamic_stack: false
    .vgpr_count:     253
    .vgpr_spill_count: 0
    .wavefront_size: 32
    .workgroup_processor_mode: 1
  - .args:
      - .offset:         0
        .size:           4
        .value_kind:     by_value
      - .address_space:  global
        .offset:         8
        .size:           8
        .value_kind:     global_buffer
      - .offset:         16
        .size:           8
        .value_kind:     by_value
      - .offset:         24
        .size:           4
        .value_kind:     by_value
      - .offset:         32
        .size:           8
        .value_kind:     by_value
      - .address_space:  global
        .offset:         40
        .size:           8
        .value_kind:     global_buffer
      - .offset:         48
        .size:           8
        .value_kind:     by_value
      - .offset:         56
        .size:           8
        .value_kind:     by_value
      - .address_space:  global
        .offset:         64
        .size:           8
        .value_kind:     global_buffer
      - .offset:         72
        .size:           4
        .value_kind:     by_value
      - .offset:         76
        .size:           4
        .value_kind:     by_value
      - .address_space:  global
        .offset:         80
        .size:           8
        .value_kind:     global_buffer
      - .offset:         88
        .size:           8
        .value_kind:     by_value
      - .offset:         96
        .size:           4
        .value_kind:     hidden_block_count_x
      - .offset:         100
        .size:           4
        .value_kind:     hidden_block_count_y
      - .offset:         104
        .size:           4
        .value_kind:     hidden_block_count_z
      - .offset:         108
        .size:           2
        .value_kind:     hidden_group_size_x
      - .offset:         110
        .size:           2
        .value_kind:     hidden_group_size_y
      - .offset:         112
        .size:           2
        .value_kind:     hidden_group_size_z
      - .offset:         114
        .size:           2
        .value_kind:     hidden_remainder_x
      - .offset:         116
        .size:           2
        .value_kind:     hidden_remainder_y
      - .offset:         118
        .size:           2
        .value_kind:     hidden_remainder_z
      - .offset:         136
        .size:           8
        .value_kind:     hidden_global_offset_x
      - .offset:         144
        .size:           8
        .value_kind:     hidden_global_offset_y
      - .offset:         152
        .size:           8
        .value_kind:     hidden_global_offset_z
      - .offset:         160
        .size:           2
        .value_kind:     hidden_grid_dims
      - .offset:         216
        .size:           4
        .value_kind:     hidden_dynamic_lds_size
    .group_segment_fixed_size: 0
    .kernarg_segment_align: 8
    .kernarg_segment_size: 352
    .language:       OpenCL C
    .language_version:
      - 2
      - 0
    .max_flat_workgroup_size: 512
    .name:           _ZN9rocsolver6v33100L18getf2_small_kernelILi19E19rocblas_complex_numIdEiiPKPS3_EEvT1_T3_lS7_lPS7_llPT2_S7_S7_S9_l
    .private_segment_fixed_size: 0
    .sgpr_count:     18
    .sgpr_spill_count: 0
    .symbol:         _ZN9rocsolver6v33100L18getf2_small_kernelILi19E19rocblas_complex_numIdEiiPKPS3_EEvT1_T3_lS7_lPS7_llPT2_S7_S7_S9_l.kd
    .uniform_work_group_size: 1
    .uses_dynamic_stack: false
    .vgpr_count:     223
    .vgpr_spill_count: 0
    .wavefront_size: 32
    .workgroup_processor_mode: 1
  - .args:
      - .offset:         0
        .size:           4
        .value_kind:     by_value
      - .address_space:  global
        .offset:         8
        .size:           8
        .value_kind:     global_buffer
      - .offset:         16
        .size:           8
        .value_kind:     by_value
      - .offset:         24
        .size:           4
        .value_kind:     by_value
      - .offset:         32
        .size:           8
        .value_kind:     by_value
      - .address_space:  global
        .offset:         40
        .size:           8
        .value_kind:     global_buffer
      - .offset:         48
        .size:           4
        .value_kind:     by_value
      - .offset:         52
        .size:           4
        .value_kind:     by_value
      - .offset:         56
        .size:           4
        .value_kind:     hidden_block_count_x
      - .offset:         60
        .size:           4
        .value_kind:     hidden_block_count_y
      - .offset:         64
        .size:           4
        .value_kind:     hidden_block_count_z
      - .offset:         68
        .size:           2
        .value_kind:     hidden_group_size_x
      - .offset:         70
        .size:           2
        .value_kind:     hidden_group_size_y
      - .offset:         72
        .size:           2
        .value_kind:     hidden_group_size_z
      - .offset:         74
        .size:           2
        .value_kind:     hidden_remainder_x
      - .offset:         76
        .size:           2
        .value_kind:     hidden_remainder_y
      - .offset:         78
        .size:           2
        .value_kind:     hidden_remainder_z
      - .offset:         96
        .size:           8
        .value_kind:     hidden_global_offset_x
      - .offset:         104
        .size:           8
        .value_kind:     hidden_global_offset_y
      - .offset:         112
        .size:           8
        .value_kind:     hidden_global_offset_z
      - .offset:         120
        .size:           2
        .value_kind:     hidden_grid_dims
      - .offset:         176
        .size:           4
        .value_kind:     hidden_dynamic_lds_size
    .group_segment_fixed_size: 0
    .kernarg_segment_align: 8
    .kernarg_segment_size: 312
    .language:       OpenCL C
    .language_version:
      - 2
      - 0
    .max_flat_workgroup_size: 512
    .name:           _ZN9rocsolver6v33100L23getf2_npvt_small_kernelILi19E19rocblas_complex_numIdEiiPKPS3_EEvT1_T3_lS7_lPT2_S7_S7_
    .private_segment_fixed_size: 52
    .sgpr_count:     18
    .sgpr_spill_count: 0
    .symbol:         _ZN9rocsolver6v33100L23getf2_npvt_small_kernelILi19E19rocblas_complex_numIdEiiPKPS3_EEvT1_T3_lS7_lPT2_S7_S7_.kd
    .uniform_work_group_size: 1
    .uses_dynamic_stack: false
    .vgpr_count:     256
    .vgpr_spill_count: 12
    .wavefront_size: 32
    .workgroup_processor_mode: 1
  - .args:
      - .offset:         0
        .size:           4
        .value_kind:     by_value
      - .address_space:  global
        .offset:         8
        .size:           8
        .value_kind:     global_buffer
      - .offset:         16
        .size:           8
        .value_kind:     by_value
      - .offset:         24
        .size:           4
        .value_kind:     by_value
      - .offset:         32
        .size:           8
        .value_kind:     by_value
      - .address_space:  global
        .offset:         40
        .size:           8
        .value_kind:     global_buffer
      - .offset:         48
        .size:           8
        .value_kind:     by_value
      - .offset:         56
        .size:           8
        .value_kind:     by_value
      - .address_space:  global
        .offset:         64
        .size:           8
        .value_kind:     global_buffer
      - .offset:         72
        .size:           4
        .value_kind:     by_value
      - .offset:         76
        .size:           4
        .value_kind:     by_value
      - .address_space:  global
        .offset:         80
        .size:           8
        .value_kind:     global_buffer
      - .offset:         88
        .size:           8
        .value_kind:     by_value
      - .offset:         96
        .size:           4
        .value_kind:     hidden_block_count_x
      - .offset:         100
        .size:           4
        .value_kind:     hidden_block_count_y
      - .offset:         104
        .size:           4
        .value_kind:     hidden_block_count_z
      - .offset:         108
        .size:           2
        .value_kind:     hidden_group_size_x
      - .offset:         110
        .size:           2
        .value_kind:     hidden_group_size_y
      - .offset:         112
        .size:           2
        .value_kind:     hidden_group_size_z
      - .offset:         114
        .size:           2
        .value_kind:     hidden_remainder_x
      - .offset:         116
        .size:           2
        .value_kind:     hidden_remainder_y
      - .offset:         118
        .size:           2
        .value_kind:     hidden_remainder_z
      - .offset:         136
        .size:           8
        .value_kind:     hidden_global_offset_x
      - .offset:         144
        .size:           8
        .value_kind:     hidden_global_offset_y
      - .offset:         152
        .size:           8
        .value_kind:     hidden_global_offset_z
      - .offset:         160
        .size:           2
        .value_kind:     hidden_grid_dims
      - .offset:         216
        .size:           4
        .value_kind:     hidden_dynamic_lds_size
    .group_segment_fixed_size: 0
    .kernarg_segment_align: 8
    .kernarg_segment_size: 352
    .language:       OpenCL C
    .language_version:
      - 2
      - 0
    .max_flat_workgroup_size: 512
    .name:           _ZN9rocsolver6v33100L18getf2_small_kernelILi20E19rocblas_complex_numIdEiiPKPS3_EEvT1_T3_lS7_lPS7_llPT2_S7_S7_S9_l
    .private_segment_fixed_size: 0
    .sgpr_count:     18
    .sgpr_spill_count: 0
    .symbol:         _ZN9rocsolver6v33100L18getf2_small_kernelILi20E19rocblas_complex_numIdEiiPKPS3_EEvT1_T3_lS7_lPS7_llPT2_S7_S7_S9_l.kd
    .uniform_work_group_size: 1
    .uses_dynamic_stack: false
    .vgpr_count:     244
    .vgpr_spill_count: 0
    .wavefront_size: 32
    .workgroup_processor_mode: 1
  - .args:
      - .offset:         0
        .size:           4
        .value_kind:     by_value
      - .address_space:  global
        .offset:         8
        .size:           8
        .value_kind:     global_buffer
      - .offset:         16
        .size:           8
        .value_kind:     by_value
      - .offset:         24
        .size:           4
        .value_kind:     by_value
      - .offset:         32
        .size:           8
        .value_kind:     by_value
      - .address_space:  global
        .offset:         40
        .size:           8
        .value_kind:     global_buffer
      - .offset:         48
        .size:           4
        .value_kind:     by_value
      - .offset:         52
        .size:           4
        .value_kind:     by_value
      - .offset:         56
        .size:           4
        .value_kind:     hidden_block_count_x
      - .offset:         60
        .size:           4
        .value_kind:     hidden_block_count_y
      - .offset:         64
        .size:           4
        .value_kind:     hidden_block_count_z
      - .offset:         68
        .size:           2
        .value_kind:     hidden_group_size_x
      - .offset:         70
        .size:           2
        .value_kind:     hidden_group_size_y
      - .offset:         72
        .size:           2
        .value_kind:     hidden_group_size_z
      - .offset:         74
        .size:           2
        .value_kind:     hidden_remainder_x
      - .offset:         76
        .size:           2
        .value_kind:     hidden_remainder_y
      - .offset:         78
        .size:           2
        .value_kind:     hidden_remainder_z
      - .offset:         96
        .size:           8
        .value_kind:     hidden_global_offset_x
      - .offset:         104
        .size:           8
        .value_kind:     hidden_global_offset_y
      - .offset:         112
        .size:           8
        .value_kind:     hidden_global_offset_z
      - .offset:         120
        .size:           2
        .value_kind:     hidden_grid_dims
      - .offset:         176
        .size:           4
        .value_kind:     hidden_dynamic_lds_size
    .group_segment_fixed_size: 0
    .kernarg_segment_align: 8
    .kernarg_segment_size: 312
    .language:       OpenCL C
    .language_version:
      - 2
      - 0
    .max_flat_workgroup_size: 512
    .name:           _ZN9rocsolver6v33100L23getf2_npvt_small_kernelILi20E19rocblas_complex_numIdEiiPKPS3_EEvT1_T3_lS7_lPT2_S7_S7_
    .private_segment_fixed_size: 104
    .sgpr_count:     18
    .sgpr_spill_count: 0
    .symbol:         _ZN9rocsolver6v33100L23getf2_npvt_small_kernelILi20E19rocblas_complex_numIdEiiPKPS3_EEvT1_T3_lS7_lPT2_S7_S7_.kd
    .uniform_work_group_size: 1
    .uses_dynamic_stack: false
    .vgpr_count:     256
    .vgpr_spill_count: 25
    .wavefront_size: 32
    .workgroup_processor_mode: 1
  - .args:
      - .offset:         0
        .size:           4
        .value_kind:     by_value
      - .address_space:  global
        .offset:         8
        .size:           8
        .value_kind:     global_buffer
      - .offset:         16
        .size:           8
        .value_kind:     by_value
      - .offset:         24
        .size:           4
        .value_kind:     by_value
      - .offset:         32
        .size:           8
        .value_kind:     by_value
      - .address_space:  global
        .offset:         40
        .size:           8
        .value_kind:     global_buffer
      - .offset:         48
        .size:           8
        .value_kind:     by_value
      - .offset:         56
        .size:           8
        .value_kind:     by_value
      - .address_space:  global
        .offset:         64
        .size:           8
        .value_kind:     global_buffer
      - .offset:         72
        .size:           4
        .value_kind:     by_value
      - .offset:         76
        .size:           4
        .value_kind:     by_value
      - .address_space:  global
        .offset:         80
        .size:           8
        .value_kind:     global_buffer
      - .offset:         88
        .size:           8
        .value_kind:     by_value
      - .offset:         96
        .size:           4
        .value_kind:     hidden_block_count_x
      - .offset:         100
        .size:           4
        .value_kind:     hidden_block_count_y
      - .offset:         104
        .size:           4
        .value_kind:     hidden_block_count_z
      - .offset:         108
        .size:           2
        .value_kind:     hidden_group_size_x
      - .offset:         110
        .size:           2
        .value_kind:     hidden_group_size_y
      - .offset:         112
        .size:           2
        .value_kind:     hidden_group_size_z
      - .offset:         114
        .size:           2
        .value_kind:     hidden_remainder_x
      - .offset:         116
        .size:           2
        .value_kind:     hidden_remainder_y
      - .offset:         118
        .size:           2
        .value_kind:     hidden_remainder_z
      - .offset:         136
        .size:           8
        .value_kind:     hidden_global_offset_x
      - .offset:         144
        .size:           8
        .value_kind:     hidden_global_offset_y
      - .offset:         152
        .size:           8
        .value_kind:     hidden_global_offset_z
      - .offset:         160
        .size:           2
        .value_kind:     hidden_grid_dims
      - .offset:         216
        .size:           4
        .value_kind:     hidden_dynamic_lds_size
    .group_segment_fixed_size: 0
    .kernarg_segment_align: 8
    .kernarg_segment_size: 352
    .language:       OpenCL C
    .language_version:
      - 2
      - 0
    .max_flat_workgroup_size: 512
    .name:           _ZN9rocsolver6v33100L18getf2_small_kernelILi21E19rocblas_complex_numIdEiiPKPS3_EEvT1_T3_lS7_lPS7_llPT2_S7_S7_S9_l
    .private_segment_fixed_size: 0
    .sgpr_count:     18
    .sgpr_spill_count: 0
    .symbol:         _ZN9rocsolver6v33100L18getf2_small_kernelILi21E19rocblas_complex_numIdEiiPKPS3_EEvT1_T3_lS7_lPS7_llPT2_S7_S7_S9_l.kd
    .uniform_work_group_size: 1
    .uses_dynamic_stack: false
    .vgpr_count:     247
    .vgpr_spill_count: 0
    .wavefront_size: 32
    .workgroup_processor_mode: 1
  - .args:
      - .offset:         0
        .size:           4
        .value_kind:     by_value
      - .address_space:  global
        .offset:         8
        .size:           8
        .value_kind:     global_buffer
      - .offset:         16
        .size:           8
        .value_kind:     by_value
      - .offset:         24
        .size:           4
        .value_kind:     by_value
      - .offset:         32
        .size:           8
        .value_kind:     by_value
      - .address_space:  global
        .offset:         40
        .size:           8
        .value_kind:     global_buffer
      - .offset:         48
        .size:           4
        .value_kind:     by_value
      - .offset:         52
        .size:           4
        .value_kind:     by_value
      - .offset:         56
        .size:           4
        .value_kind:     hidden_block_count_x
      - .offset:         60
        .size:           4
        .value_kind:     hidden_block_count_y
      - .offset:         64
        .size:           4
        .value_kind:     hidden_block_count_z
      - .offset:         68
        .size:           2
        .value_kind:     hidden_group_size_x
      - .offset:         70
        .size:           2
        .value_kind:     hidden_group_size_y
      - .offset:         72
        .size:           2
        .value_kind:     hidden_group_size_z
      - .offset:         74
        .size:           2
        .value_kind:     hidden_remainder_x
      - .offset:         76
        .size:           2
        .value_kind:     hidden_remainder_y
      - .offset:         78
        .size:           2
        .value_kind:     hidden_remainder_z
      - .offset:         96
        .size:           8
        .value_kind:     hidden_global_offset_x
      - .offset:         104
        .size:           8
        .value_kind:     hidden_global_offset_y
      - .offset:         112
        .size:           8
        .value_kind:     hidden_global_offset_z
      - .offset:         120
        .size:           2
        .value_kind:     hidden_grid_dims
      - .offset:         176
        .size:           4
        .value_kind:     hidden_dynamic_lds_size
    .group_segment_fixed_size: 0
    .kernarg_segment_align: 8
    .kernarg_segment_size: 312
    .language:       OpenCL C
    .language_version:
      - 2
      - 0
    .max_flat_workgroup_size: 512
    .name:           _ZN9rocsolver6v33100L23getf2_npvt_small_kernelILi21E19rocblas_complex_numIdEiiPKPS3_EEvT1_T3_lS7_lPT2_S7_S7_
    .private_segment_fixed_size: 0
    .sgpr_count:     18
    .sgpr_spill_count: 0
    .symbol:         _ZN9rocsolver6v33100L23getf2_npvt_small_kernelILi21E19rocblas_complex_numIdEiiPKPS3_EEvT1_T3_lS7_lPT2_S7_S7_.kd
    .uniform_work_group_size: 1
    .uses_dynamic_stack: false
    .vgpr_count:     251
    .vgpr_spill_count: 0
    .wavefront_size: 32
    .workgroup_processor_mode: 1
  - .args:
      - .offset:         0
        .size:           4
        .value_kind:     by_value
      - .address_space:  global
        .offset:         8
        .size:           8
        .value_kind:     global_buffer
      - .offset:         16
        .size:           8
        .value_kind:     by_value
      - .offset:         24
        .size:           4
        .value_kind:     by_value
      - .offset:         32
        .size:           8
        .value_kind:     by_value
      - .address_space:  global
        .offset:         40
        .size:           8
        .value_kind:     global_buffer
      - .offset:         48
        .size:           8
        .value_kind:     by_value
      - .offset:         56
        .size:           8
        .value_kind:     by_value
      - .address_space:  global
        .offset:         64
        .size:           8
        .value_kind:     global_buffer
      - .offset:         72
        .size:           4
        .value_kind:     by_value
      - .offset:         76
        .size:           4
        .value_kind:     by_value
      - .address_space:  global
        .offset:         80
        .size:           8
        .value_kind:     global_buffer
      - .offset:         88
        .size:           8
        .value_kind:     by_value
      - .offset:         96
        .size:           4
        .value_kind:     hidden_block_count_x
      - .offset:         100
        .size:           4
        .value_kind:     hidden_block_count_y
      - .offset:         104
        .size:           4
        .value_kind:     hidden_block_count_z
      - .offset:         108
        .size:           2
        .value_kind:     hidden_group_size_x
      - .offset:         110
        .size:           2
        .value_kind:     hidden_group_size_y
      - .offset:         112
        .size:           2
        .value_kind:     hidden_group_size_z
      - .offset:         114
        .size:           2
        .value_kind:     hidden_remainder_x
      - .offset:         116
        .size:           2
        .value_kind:     hidden_remainder_y
      - .offset:         118
        .size:           2
        .value_kind:     hidden_remainder_z
      - .offset:         136
        .size:           8
        .value_kind:     hidden_global_offset_x
      - .offset:         144
        .size:           8
        .value_kind:     hidden_global_offset_y
      - .offset:         152
        .size:           8
        .value_kind:     hidden_global_offset_z
      - .offset:         160
        .size:           2
        .value_kind:     hidden_grid_dims
      - .offset:         216
        .size:           4
        .value_kind:     hidden_dynamic_lds_size
    .group_segment_fixed_size: 0
    .kernarg_segment_align: 8
    .kernarg_segment_size: 352
    .language:       OpenCL C
    .language_version:
      - 2
      - 0
    .max_flat_workgroup_size: 512
    .name:           _ZN9rocsolver6v33100L18getf2_small_kernelILi22E19rocblas_complex_numIdEiiPKPS3_EEvT1_T3_lS7_lPS7_llPT2_S7_S7_S9_l
    .private_segment_fixed_size: 40
    .sgpr_count:     18
    .sgpr_spill_count: 0
    .symbol:         _ZN9rocsolver6v33100L18getf2_small_kernelILi22E19rocblas_complex_numIdEiiPKPS3_EEvT1_T3_lS7_lPS7_llPT2_S7_S7_S9_l.kd
    .uniform_work_group_size: 1
    .uses_dynamic_stack: false
    .vgpr_count:     256
    .vgpr_spill_count: 9
    .wavefront_size: 32
    .workgroup_processor_mode: 1
  - .args:
      - .offset:         0
        .size:           4
        .value_kind:     by_value
      - .address_space:  global
        .offset:         8
        .size:           8
        .value_kind:     global_buffer
      - .offset:         16
        .size:           8
        .value_kind:     by_value
      - .offset:         24
        .size:           4
        .value_kind:     by_value
      - .offset:         32
        .size:           8
        .value_kind:     by_value
      - .address_space:  global
        .offset:         40
        .size:           8
        .value_kind:     global_buffer
      - .offset:         48
        .size:           4
        .value_kind:     by_value
      - .offset:         52
        .size:           4
        .value_kind:     by_value
      - .offset:         56
        .size:           4
        .value_kind:     hidden_block_count_x
      - .offset:         60
        .size:           4
        .value_kind:     hidden_block_count_y
      - .offset:         64
        .size:           4
        .value_kind:     hidden_block_count_z
      - .offset:         68
        .size:           2
        .value_kind:     hidden_group_size_x
      - .offset:         70
        .size:           2
        .value_kind:     hidden_group_size_y
      - .offset:         72
        .size:           2
        .value_kind:     hidden_group_size_z
      - .offset:         74
        .size:           2
        .value_kind:     hidden_remainder_x
      - .offset:         76
        .size:           2
        .value_kind:     hidden_remainder_y
      - .offset:         78
        .size:           2
        .value_kind:     hidden_remainder_z
      - .offset:         96
        .size:           8
        .value_kind:     hidden_global_offset_x
      - .offset:         104
        .size:           8
        .value_kind:     hidden_global_offset_y
      - .offset:         112
        .size:           8
        .value_kind:     hidden_global_offset_z
      - .offset:         120
        .size:           2
        .value_kind:     hidden_grid_dims
      - .offset:         176
        .size:           4
        .value_kind:     hidden_dynamic_lds_size
    .group_segment_fixed_size: 0
    .kernarg_segment_align: 8
    .kernarg_segment_size: 312
    .language:       OpenCL C
    .language_version:
      - 2
      - 0
    .max_flat_workgroup_size: 512
    .name:           _ZN9rocsolver6v33100L23getf2_npvt_small_kernelILi22E19rocblas_complex_numIdEiiPKPS3_EEvT1_T3_lS7_lPT2_S7_S7_
    .private_segment_fixed_size: 0
    .sgpr_count:     18
    .sgpr_spill_count: 0
    .symbol:         _ZN9rocsolver6v33100L23getf2_npvt_small_kernelILi22E19rocblas_complex_numIdEiiPKPS3_EEvT1_T3_lS7_lPT2_S7_S7_.kd
    .uniform_work_group_size: 1
    .uses_dynamic_stack: false
    .vgpr_count:     253
    .vgpr_spill_count: 0
    .wavefront_size: 32
    .workgroup_processor_mode: 1
  - .args:
      - .offset:         0
        .size:           4
        .value_kind:     by_value
      - .address_space:  global
        .offset:         8
        .size:           8
        .value_kind:     global_buffer
      - .offset:         16
        .size:           8
        .value_kind:     by_value
      - .offset:         24
        .size:           4
        .value_kind:     by_value
      - .offset:         32
        .size:           8
        .value_kind:     by_value
      - .address_space:  global
        .offset:         40
        .size:           8
        .value_kind:     global_buffer
      - .offset:         48
        .size:           8
        .value_kind:     by_value
      - .offset:         56
        .size:           8
        .value_kind:     by_value
      - .address_space:  global
        .offset:         64
        .size:           8
        .value_kind:     global_buffer
      - .offset:         72
        .size:           4
        .value_kind:     by_value
      - .offset:         76
        .size:           4
        .value_kind:     by_value
      - .address_space:  global
        .offset:         80
        .size:           8
        .value_kind:     global_buffer
      - .offset:         88
        .size:           8
        .value_kind:     by_value
      - .offset:         96
        .size:           4
        .value_kind:     hidden_block_count_x
      - .offset:         100
        .size:           4
        .value_kind:     hidden_block_count_y
      - .offset:         104
        .size:           4
        .value_kind:     hidden_block_count_z
      - .offset:         108
        .size:           2
        .value_kind:     hidden_group_size_x
      - .offset:         110
        .size:           2
        .value_kind:     hidden_group_size_y
      - .offset:         112
        .size:           2
        .value_kind:     hidden_group_size_z
      - .offset:         114
        .size:           2
        .value_kind:     hidden_remainder_x
      - .offset:         116
        .size:           2
        .value_kind:     hidden_remainder_y
      - .offset:         118
        .size:           2
        .value_kind:     hidden_remainder_z
      - .offset:         136
        .size:           8
        .value_kind:     hidden_global_offset_x
      - .offset:         144
        .size:           8
        .value_kind:     hidden_global_offset_y
      - .offset:         152
        .size:           8
        .value_kind:     hidden_global_offset_z
      - .offset:         160
        .size:           2
        .value_kind:     hidden_grid_dims
      - .offset:         216
        .size:           4
        .value_kind:     hidden_dynamic_lds_size
    .group_segment_fixed_size: 0
    .kernarg_segment_align: 8
    .kernarg_segment_size: 352
    .language:       OpenCL C
    .language_version:
      - 2
      - 0
    .max_flat_workgroup_size: 512
    .name:           _ZN9rocsolver6v33100L18getf2_small_kernelILi23E19rocblas_complex_numIdEiiPKPS3_EEvT1_T3_lS7_lPS7_llPT2_S7_S7_S9_l
    .private_segment_fixed_size: 36
    .sgpr_count:     18
    .sgpr_spill_count: 0
    .symbol:         _ZN9rocsolver6v33100L18getf2_small_kernelILi23E19rocblas_complex_numIdEiiPKPS3_EEvT1_T3_lS7_lPS7_llPT2_S7_S7_S9_l.kd
    .uniform_work_group_size: 1
    .uses_dynamic_stack: false
    .vgpr_count:     256
    .vgpr_spill_count: 12
    .wavefront_size: 32
    .workgroup_processor_mode: 1
  - .args:
      - .offset:         0
        .size:           4
        .value_kind:     by_value
      - .address_space:  global
        .offset:         8
        .size:           8
        .value_kind:     global_buffer
      - .offset:         16
        .size:           8
        .value_kind:     by_value
      - .offset:         24
        .size:           4
        .value_kind:     by_value
      - .offset:         32
        .size:           8
        .value_kind:     by_value
      - .address_space:  global
        .offset:         40
        .size:           8
        .value_kind:     global_buffer
      - .offset:         48
        .size:           4
        .value_kind:     by_value
      - .offset:         52
        .size:           4
        .value_kind:     by_value
      - .offset:         56
        .size:           4
        .value_kind:     hidden_block_count_x
      - .offset:         60
        .size:           4
        .value_kind:     hidden_block_count_y
      - .offset:         64
        .size:           4
        .value_kind:     hidden_block_count_z
      - .offset:         68
        .size:           2
        .value_kind:     hidden_group_size_x
      - .offset:         70
        .size:           2
        .value_kind:     hidden_group_size_y
      - .offset:         72
        .size:           2
        .value_kind:     hidden_group_size_z
      - .offset:         74
        .size:           2
        .value_kind:     hidden_remainder_x
      - .offset:         76
        .size:           2
        .value_kind:     hidden_remainder_y
      - .offset:         78
        .size:           2
        .value_kind:     hidden_remainder_z
      - .offset:         96
        .size:           8
        .value_kind:     hidden_global_offset_x
      - .offset:         104
        .size:           8
        .value_kind:     hidden_global_offset_y
      - .offset:         112
        .size:           8
        .value_kind:     hidden_global_offset_z
      - .offset:         120
        .size:           2
        .value_kind:     hidden_grid_dims
      - .offset:         176
        .size:           4
        .value_kind:     hidden_dynamic_lds_size
    .group_segment_fixed_size: 0
    .kernarg_segment_align: 8
    .kernarg_segment_size: 312
    .language:       OpenCL C
    .language_version:
      - 2
      - 0
    .max_flat_workgroup_size: 512
    .name:           _ZN9rocsolver6v33100L23getf2_npvt_small_kernelILi23E19rocblas_complex_numIdEiiPKPS3_EEvT1_T3_lS7_lPT2_S7_S7_
    .private_segment_fixed_size: 0
    .sgpr_count:     18
    .sgpr_spill_count: 0
    .symbol:         _ZN9rocsolver6v33100L23getf2_npvt_small_kernelILi23E19rocblas_complex_numIdEiiPKPS3_EEvT1_T3_lS7_lPT2_S7_S7_.kd
    .uniform_work_group_size: 1
    .uses_dynamic_stack: false
    .vgpr_count:     251
    .vgpr_spill_count: 0
    .wavefront_size: 32
    .workgroup_processor_mode: 1
  - .args:
      - .offset:         0
        .size:           4
        .value_kind:     by_value
      - .address_space:  global
        .offset:         8
        .size:           8
        .value_kind:     global_buffer
      - .offset:         16
        .size:           8
        .value_kind:     by_value
      - .offset:         24
        .size:           4
        .value_kind:     by_value
      - .offset:         32
        .size:           8
        .value_kind:     by_value
      - .address_space:  global
        .offset:         40
        .size:           8
        .value_kind:     global_buffer
      - .offset:         48
        .size:           8
        .value_kind:     by_value
      - .offset:         56
        .size:           8
        .value_kind:     by_value
      - .address_space:  global
        .offset:         64
        .size:           8
        .value_kind:     global_buffer
      - .offset:         72
        .size:           4
        .value_kind:     by_value
      - .offset:         76
        .size:           4
        .value_kind:     by_value
      - .address_space:  global
        .offset:         80
        .size:           8
        .value_kind:     global_buffer
      - .offset:         88
        .size:           8
        .value_kind:     by_value
      - .offset:         96
        .size:           4
        .value_kind:     hidden_block_count_x
      - .offset:         100
        .size:           4
        .value_kind:     hidden_block_count_y
      - .offset:         104
        .size:           4
        .value_kind:     hidden_block_count_z
      - .offset:         108
        .size:           2
        .value_kind:     hidden_group_size_x
      - .offset:         110
        .size:           2
        .value_kind:     hidden_group_size_y
      - .offset:         112
        .size:           2
        .value_kind:     hidden_group_size_z
      - .offset:         114
        .size:           2
        .value_kind:     hidden_remainder_x
      - .offset:         116
        .size:           2
        .value_kind:     hidden_remainder_y
      - .offset:         118
        .size:           2
        .value_kind:     hidden_remainder_z
      - .offset:         136
        .size:           8
        .value_kind:     hidden_global_offset_x
      - .offset:         144
        .size:           8
        .value_kind:     hidden_global_offset_y
      - .offset:         152
        .size:           8
        .value_kind:     hidden_global_offset_z
      - .offset:         160
        .size:           2
        .value_kind:     hidden_grid_dims
      - .offset:         216
        .size:           4
        .value_kind:     hidden_dynamic_lds_size
    .group_segment_fixed_size: 0
    .kernarg_segment_align: 8
    .kernarg_segment_size: 352
    .language:       OpenCL C
    .language_version:
      - 2
      - 0
    .max_flat_workgroup_size: 512
    .name:           _ZN9rocsolver6v33100L18getf2_small_kernelILi24E19rocblas_complex_numIdEiiPKPS3_EEvT1_T3_lS7_lPS7_llPT2_S7_S7_S9_l
    .private_segment_fixed_size: 52
    .sgpr_count:     18
    .sgpr_spill_count: 0
    .symbol:         _ZN9rocsolver6v33100L18getf2_small_kernelILi24E19rocblas_complex_numIdEiiPKPS3_EEvT1_T3_lS7_lPS7_llPT2_S7_S7_S9_l.kd
    .uniform_work_group_size: 1
    .uses_dynamic_stack: false
    .vgpr_count:     256
    .vgpr_spill_count: 42
    .wavefront_size: 32
    .workgroup_processor_mode: 1
  - .args:
      - .offset:         0
        .size:           4
        .value_kind:     by_value
      - .address_space:  global
        .offset:         8
        .size:           8
        .value_kind:     global_buffer
      - .offset:         16
        .size:           8
        .value_kind:     by_value
      - .offset:         24
        .size:           4
        .value_kind:     by_value
      - .offset:         32
        .size:           8
        .value_kind:     by_value
      - .address_space:  global
        .offset:         40
        .size:           8
        .value_kind:     global_buffer
      - .offset:         48
        .size:           4
        .value_kind:     by_value
      - .offset:         52
        .size:           4
        .value_kind:     by_value
      - .offset:         56
        .size:           4
        .value_kind:     hidden_block_count_x
      - .offset:         60
        .size:           4
        .value_kind:     hidden_block_count_y
      - .offset:         64
        .size:           4
        .value_kind:     hidden_block_count_z
      - .offset:         68
        .size:           2
        .value_kind:     hidden_group_size_x
      - .offset:         70
        .size:           2
        .value_kind:     hidden_group_size_y
      - .offset:         72
        .size:           2
        .value_kind:     hidden_group_size_z
      - .offset:         74
        .size:           2
        .value_kind:     hidden_remainder_x
      - .offset:         76
        .size:           2
        .value_kind:     hidden_remainder_y
      - .offset:         78
        .size:           2
        .value_kind:     hidden_remainder_z
      - .offset:         96
        .size:           8
        .value_kind:     hidden_global_offset_x
      - .offset:         104
        .size:           8
        .value_kind:     hidden_global_offset_y
      - .offset:         112
        .size:           8
        .value_kind:     hidden_global_offset_z
      - .offset:         120
        .size:           2
        .value_kind:     hidden_grid_dims
      - .offset:         176
        .size:           4
        .value_kind:     hidden_dynamic_lds_size
    .group_segment_fixed_size: 0
    .kernarg_segment_align: 8
    .kernarg_segment_size: 312
    .language:       OpenCL C
    .language_version:
      - 2
      - 0
    .max_flat_workgroup_size: 512
    .name:           _ZN9rocsolver6v33100L23getf2_npvt_small_kernelILi24E19rocblas_complex_numIdEiiPKPS3_EEvT1_T3_lS7_lPT2_S7_S7_
    .private_segment_fixed_size: 0
    .sgpr_count:     18
    .sgpr_spill_count: 0
    .symbol:         _ZN9rocsolver6v33100L23getf2_npvt_small_kernelILi24E19rocblas_complex_numIdEiiPKPS3_EEvT1_T3_lS7_lPT2_S7_S7_.kd
    .uniform_work_group_size: 1
    .uses_dynamic_stack: false
    .vgpr_count:     253
    .vgpr_spill_count: 0
    .wavefront_size: 32
    .workgroup_processor_mode: 1
  - .args:
      - .offset:         0
        .size:           4
        .value_kind:     by_value
      - .address_space:  global
        .offset:         8
        .size:           8
        .value_kind:     global_buffer
      - .offset:         16
        .size:           8
        .value_kind:     by_value
      - .offset:         24
        .size:           4
        .value_kind:     by_value
      - .offset:         32
        .size:           8
        .value_kind:     by_value
      - .address_space:  global
        .offset:         40
        .size:           8
        .value_kind:     global_buffer
      - .offset:         48
        .size:           8
        .value_kind:     by_value
      - .offset:         56
        .size:           8
        .value_kind:     by_value
      - .address_space:  global
        .offset:         64
        .size:           8
        .value_kind:     global_buffer
      - .offset:         72
        .size:           4
        .value_kind:     by_value
      - .offset:         76
        .size:           4
        .value_kind:     by_value
      - .address_space:  global
        .offset:         80
        .size:           8
        .value_kind:     global_buffer
      - .offset:         88
        .size:           8
        .value_kind:     by_value
      - .offset:         96
        .size:           4
        .value_kind:     hidden_block_count_x
      - .offset:         100
        .size:           4
        .value_kind:     hidden_block_count_y
      - .offset:         104
        .size:           4
        .value_kind:     hidden_block_count_z
      - .offset:         108
        .size:           2
        .value_kind:     hidden_group_size_x
      - .offset:         110
        .size:           2
        .value_kind:     hidden_group_size_y
      - .offset:         112
        .size:           2
        .value_kind:     hidden_group_size_z
      - .offset:         114
        .size:           2
        .value_kind:     hidden_remainder_x
      - .offset:         116
        .size:           2
        .value_kind:     hidden_remainder_y
      - .offset:         118
        .size:           2
        .value_kind:     hidden_remainder_z
      - .offset:         136
        .size:           8
        .value_kind:     hidden_global_offset_x
      - .offset:         144
        .size:           8
        .value_kind:     hidden_global_offset_y
      - .offset:         152
        .size:           8
        .value_kind:     hidden_global_offset_z
      - .offset:         160
        .size:           2
        .value_kind:     hidden_grid_dims
      - .offset:         216
        .size:           4
        .value_kind:     hidden_dynamic_lds_size
    .group_segment_fixed_size: 0
    .kernarg_segment_align: 8
    .kernarg_segment_size: 352
    .language:       OpenCL C
    .language_version:
      - 2
      - 0
    .max_flat_workgroup_size: 512
    .name:           _ZN9rocsolver6v33100L18getf2_small_kernelILi25E19rocblas_complex_numIdEiiPKPS3_EEvT1_T3_lS7_lPS7_llPT2_S7_S7_S9_l
    .private_segment_fixed_size: 76
    .sgpr_count:     18
    .sgpr_spill_count: 0
    .symbol:         _ZN9rocsolver6v33100L18getf2_small_kernelILi25E19rocblas_complex_numIdEiiPKPS3_EEvT1_T3_lS7_lPS7_llPT2_S7_S7_S9_l.kd
    .uniform_work_group_size: 1
    .uses_dynamic_stack: false
    .vgpr_count:     256
    .vgpr_spill_count: 60
    .wavefront_size: 32
    .workgroup_processor_mode: 1
  - .args:
      - .offset:         0
        .size:           4
        .value_kind:     by_value
      - .address_space:  global
        .offset:         8
        .size:           8
        .value_kind:     global_buffer
      - .offset:         16
        .size:           8
        .value_kind:     by_value
      - .offset:         24
        .size:           4
        .value_kind:     by_value
      - .offset:         32
        .size:           8
        .value_kind:     by_value
      - .address_space:  global
        .offset:         40
        .size:           8
        .value_kind:     global_buffer
      - .offset:         48
        .size:           4
        .value_kind:     by_value
      - .offset:         52
        .size:           4
        .value_kind:     by_value
      - .offset:         56
        .size:           4
        .value_kind:     hidden_block_count_x
      - .offset:         60
        .size:           4
        .value_kind:     hidden_block_count_y
      - .offset:         64
        .size:           4
        .value_kind:     hidden_block_count_z
      - .offset:         68
        .size:           2
        .value_kind:     hidden_group_size_x
      - .offset:         70
        .size:           2
        .value_kind:     hidden_group_size_y
      - .offset:         72
        .size:           2
        .value_kind:     hidden_group_size_z
      - .offset:         74
        .size:           2
        .value_kind:     hidden_remainder_x
      - .offset:         76
        .size:           2
        .value_kind:     hidden_remainder_y
      - .offset:         78
        .size:           2
        .value_kind:     hidden_remainder_z
      - .offset:         96
        .size:           8
        .value_kind:     hidden_global_offset_x
      - .offset:         104
        .size:           8
        .value_kind:     hidden_global_offset_y
      - .offset:         112
        .size:           8
        .value_kind:     hidden_global_offset_z
      - .offset:         120
        .size:           2
        .value_kind:     hidden_grid_dims
      - .offset:         176
        .size:           4
        .value_kind:     hidden_dynamic_lds_size
    .group_segment_fixed_size: 0
    .kernarg_segment_align: 8
    .kernarg_segment_size: 312
    .language:       OpenCL C
    .language_version:
      - 2
      - 0
    .max_flat_workgroup_size: 512
    .name:           _ZN9rocsolver6v33100L23getf2_npvt_small_kernelILi25E19rocblas_complex_numIdEiiPKPS3_EEvT1_T3_lS7_lPT2_S7_S7_
    .private_segment_fixed_size: 44
    .sgpr_count:     18
    .sgpr_spill_count: 0
    .symbol:         _ZN9rocsolver6v33100L23getf2_npvt_small_kernelILi25E19rocblas_complex_numIdEiiPKPS3_EEvT1_T3_lS7_lPT2_S7_S7_.kd
    .uniform_work_group_size: 1
    .uses_dynamic_stack: false
    .vgpr_count:     256
    .vgpr_spill_count: 10
    .wavefront_size: 32
    .workgroup_processor_mode: 1
  - .args:
      - .offset:         0
        .size:           4
        .value_kind:     by_value
      - .address_space:  global
        .offset:         8
        .size:           8
        .value_kind:     global_buffer
      - .offset:         16
        .size:           8
        .value_kind:     by_value
      - .offset:         24
        .size:           4
        .value_kind:     by_value
      - .offset:         32
        .size:           8
        .value_kind:     by_value
      - .address_space:  global
        .offset:         40
        .size:           8
        .value_kind:     global_buffer
      - .offset:         48
        .size:           8
        .value_kind:     by_value
      - .offset:         56
        .size:           8
        .value_kind:     by_value
      - .address_space:  global
        .offset:         64
        .size:           8
        .value_kind:     global_buffer
      - .offset:         72
        .size:           4
        .value_kind:     by_value
      - .offset:         76
        .size:           4
        .value_kind:     by_value
      - .address_space:  global
        .offset:         80
        .size:           8
        .value_kind:     global_buffer
      - .offset:         88
        .size:           8
        .value_kind:     by_value
      - .offset:         96
        .size:           4
        .value_kind:     hidden_block_count_x
      - .offset:         100
        .size:           4
        .value_kind:     hidden_block_count_y
      - .offset:         104
        .size:           4
        .value_kind:     hidden_block_count_z
      - .offset:         108
        .size:           2
        .value_kind:     hidden_group_size_x
      - .offset:         110
        .size:           2
        .value_kind:     hidden_group_size_y
      - .offset:         112
        .size:           2
        .value_kind:     hidden_group_size_z
      - .offset:         114
        .size:           2
        .value_kind:     hidden_remainder_x
      - .offset:         116
        .size:           2
        .value_kind:     hidden_remainder_y
      - .offset:         118
        .size:           2
        .value_kind:     hidden_remainder_z
      - .offset:         136
        .size:           8
        .value_kind:     hidden_global_offset_x
      - .offset:         144
        .size:           8
        .value_kind:     hidden_global_offset_y
      - .offset:         152
        .size:           8
        .value_kind:     hidden_global_offset_z
      - .offset:         160
        .size:           2
        .value_kind:     hidden_grid_dims
      - .offset:         216
        .size:           4
        .value_kind:     hidden_dynamic_lds_size
    .group_segment_fixed_size: 0
    .kernarg_segment_align: 8
    .kernarg_segment_size: 352
    .language:       OpenCL C
    .language_version:
      - 2
      - 0
    .max_flat_workgroup_size: 512
    .name:           _ZN9rocsolver6v33100L18getf2_small_kernelILi26E19rocblas_complex_numIdEiiPKPS3_EEvT1_T3_lS7_lPS7_llPT2_S7_S7_S9_l
    .private_segment_fixed_size: 48
    .sgpr_count:     18
    .sgpr_spill_count: 0
    .symbol:         _ZN9rocsolver6v33100L18getf2_small_kernelILi26E19rocblas_complex_numIdEiiPKPS3_EEvT1_T3_lS7_lPS7_llPT2_S7_S7_S9_l.kd
    .uniform_work_group_size: 1
    .uses_dynamic_stack: false
    .vgpr_count:     256
    .vgpr_spill_count: 43
    .wavefront_size: 32
    .workgroup_processor_mode: 1
  - .args:
      - .offset:         0
        .size:           4
        .value_kind:     by_value
      - .address_space:  global
        .offset:         8
        .size:           8
        .value_kind:     global_buffer
      - .offset:         16
        .size:           8
        .value_kind:     by_value
      - .offset:         24
        .size:           4
        .value_kind:     by_value
      - .offset:         32
        .size:           8
        .value_kind:     by_value
      - .address_space:  global
        .offset:         40
        .size:           8
        .value_kind:     global_buffer
      - .offset:         48
        .size:           4
        .value_kind:     by_value
      - .offset:         52
        .size:           4
        .value_kind:     by_value
      - .offset:         56
        .size:           4
        .value_kind:     hidden_block_count_x
      - .offset:         60
        .size:           4
        .value_kind:     hidden_block_count_y
      - .offset:         64
        .size:           4
        .value_kind:     hidden_block_count_z
      - .offset:         68
        .size:           2
        .value_kind:     hidden_group_size_x
      - .offset:         70
        .size:           2
        .value_kind:     hidden_group_size_y
      - .offset:         72
        .size:           2
        .value_kind:     hidden_group_size_z
      - .offset:         74
        .size:           2
        .value_kind:     hidden_remainder_x
      - .offset:         76
        .size:           2
        .value_kind:     hidden_remainder_y
      - .offset:         78
        .size:           2
        .value_kind:     hidden_remainder_z
      - .offset:         96
        .size:           8
        .value_kind:     hidden_global_offset_x
      - .offset:         104
        .size:           8
        .value_kind:     hidden_global_offset_y
      - .offset:         112
        .size:           8
        .value_kind:     hidden_global_offset_z
      - .offset:         120
        .size:           2
        .value_kind:     hidden_grid_dims
      - .offset:         176
        .size:           4
        .value_kind:     hidden_dynamic_lds_size
    .group_segment_fixed_size: 0
    .kernarg_segment_align: 8
    .kernarg_segment_size: 312
    .language:       OpenCL C
    .language_version:
      - 2
      - 0
    .max_flat_workgroup_size: 512
    .name:           _ZN9rocsolver6v33100L23getf2_npvt_small_kernelILi26E19rocblas_complex_numIdEiiPKPS3_EEvT1_T3_lS7_lPT2_S7_S7_
    .private_segment_fixed_size: 76
    .sgpr_count:     38
    .sgpr_spill_count: 0
    .symbol:         _ZN9rocsolver6v33100L23getf2_npvt_small_kernelILi26E19rocblas_complex_numIdEiiPKPS3_EEvT1_T3_lS7_lPT2_S7_S7_.kd
    .uniform_work_group_size: 1
    .uses_dynamic_stack: false
    .vgpr_count:     256
    .vgpr_spill_count: 18
    .wavefront_size: 32
    .workgroup_processor_mode: 1
  - .args:
      - .offset:         0
        .size:           4
        .value_kind:     by_value
      - .address_space:  global
        .offset:         8
        .size:           8
        .value_kind:     global_buffer
      - .offset:         16
        .size:           8
        .value_kind:     by_value
      - .offset:         24
        .size:           4
        .value_kind:     by_value
      - .offset:         32
        .size:           8
        .value_kind:     by_value
      - .address_space:  global
        .offset:         40
        .size:           8
        .value_kind:     global_buffer
      - .offset:         48
        .size:           8
        .value_kind:     by_value
      - .offset:         56
        .size:           8
        .value_kind:     by_value
      - .address_space:  global
        .offset:         64
        .size:           8
        .value_kind:     global_buffer
      - .offset:         72
        .size:           4
        .value_kind:     by_value
      - .offset:         76
        .size:           4
        .value_kind:     by_value
      - .address_space:  global
        .offset:         80
        .size:           8
        .value_kind:     global_buffer
      - .offset:         88
        .size:           8
        .value_kind:     by_value
      - .offset:         96
        .size:           4
        .value_kind:     hidden_block_count_x
      - .offset:         100
        .size:           4
        .value_kind:     hidden_block_count_y
      - .offset:         104
        .size:           4
        .value_kind:     hidden_block_count_z
      - .offset:         108
        .size:           2
        .value_kind:     hidden_group_size_x
      - .offset:         110
        .size:           2
        .value_kind:     hidden_group_size_y
      - .offset:         112
        .size:           2
        .value_kind:     hidden_group_size_z
      - .offset:         114
        .size:           2
        .value_kind:     hidden_remainder_x
      - .offset:         116
        .size:           2
        .value_kind:     hidden_remainder_y
      - .offset:         118
        .size:           2
        .value_kind:     hidden_remainder_z
      - .offset:         136
        .size:           8
        .value_kind:     hidden_global_offset_x
      - .offset:         144
        .size:           8
        .value_kind:     hidden_global_offset_y
      - .offset:         152
        .size:           8
        .value_kind:     hidden_global_offset_z
      - .offset:         160
        .size:           2
        .value_kind:     hidden_grid_dims
      - .offset:         216
        .size:           4
        .value_kind:     hidden_dynamic_lds_size
    .group_segment_fixed_size: 0
    .kernarg_segment_align: 8
    .kernarg_segment_size: 352
    .language:       OpenCL C
    .language_version:
      - 2
      - 0
    .max_flat_workgroup_size: 512
    .name:           _ZN9rocsolver6v33100L18getf2_small_kernelILi27E19rocblas_complex_numIdEiiPKPS3_EEvT1_T3_lS7_lPS7_llPT2_S7_S7_S9_l
    .private_segment_fixed_size: 92
    .sgpr_count:     18
    .sgpr_spill_count: 0
    .symbol:         _ZN9rocsolver6v33100L18getf2_small_kernelILi27E19rocblas_complex_numIdEiiPKPS3_EEvT1_T3_lS7_lPS7_llPT2_S7_S7_S9_l.kd
    .uniform_work_group_size: 1
    .uses_dynamic_stack: false
    .vgpr_count:     256
    .vgpr_spill_count: 144
    .wavefront_size: 32
    .workgroup_processor_mode: 1
  - .args:
      - .offset:         0
        .size:           4
        .value_kind:     by_value
      - .address_space:  global
        .offset:         8
        .size:           8
        .value_kind:     global_buffer
      - .offset:         16
        .size:           8
        .value_kind:     by_value
      - .offset:         24
        .size:           4
        .value_kind:     by_value
      - .offset:         32
        .size:           8
        .value_kind:     by_value
      - .address_space:  global
        .offset:         40
        .size:           8
        .value_kind:     global_buffer
      - .offset:         48
        .size:           4
        .value_kind:     by_value
      - .offset:         52
        .size:           4
        .value_kind:     by_value
      - .offset:         56
        .size:           4
        .value_kind:     hidden_block_count_x
      - .offset:         60
        .size:           4
        .value_kind:     hidden_block_count_y
      - .offset:         64
        .size:           4
        .value_kind:     hidden_block_count_z
      - .offset:         68
        .size:           2
        .value_kind:     hidden_group_size_x
      - .offset:         70
        .size:           2
        .value_kind:     hidden_group_size_y
      - .offset:         72
        .size:           2
        .value_kind:     hidden_group_size_z
      - .offset:         74
        .size:           2
        .value_kind:     hidden_remainder_x
      - .offset:         76
        .size:           2
        .value_kind:     hidden_remainder_y
      - .offset:         78
        .size:           2
        .value_kind:     hidden_remainder_z
      - .offset:         96
        .size:           8
        .value_kind:     hidden_global_offset_x
      - .offset:         104
        .size:           8
        .value_kind:     hidden_global_offset_y
      - .offset:         112
        .size:           8
        .value_kind:     hidden_global_offset_z
      - .offset:         120
        .size:           2
        .value_kind:     hidden_grid_dims
      - .offset:         176
        .size:           4
        .value_kind:     hidden_dynamic_lds_size
    .group_segment_fixed_size: 0
    .kernarg_segment_align: 8
    .kernarg_segment_size: 312
    .language:       OpenCL C
    .language_version:
      - 2
      - 0
    .max_flat_workgroup_size: 512
    .name:           _ZN9rocsolver6v33100L23getf2_npvt_small_kernelILi27E19rocblas_complex_numIdEiiPKPS3_EEvT1_T3_lS7_lPT2_S7_S7_
    .private_segment_fixed_size: 116
    .sgpr_count:     40
    .sgpr_spill_count: 0
    .symbol:         _ZN9rocsolver6v33100L23getf2_npvt_small_kernelILi27E19rocblas_complex_numIdEiiPKPS3_EEvT1_T3_lS7_lPT2_S7_S7_.kd
    .uniform_work_group_size: 1
    .uses_dynamic_stack: false
    .vgpr_count:     256
    .vgpr_spill_count: 28
    .wavefront_size: 32
    .workgroup_processor_mode: 1
  - .args:
      - .offset:         0
        .size:           4
        .value_kind:     by_value
      - .address_space:  global
        .offset:         8
        .size:           8
        .value_kind:     global_buffer
      - .offset:         16
        .size:           8
        .value_kind:     by_value
      - .offset:         24
        .size:           4
        .value_kind:     by_value
      - .offset:         32
        .size:           8
        .value_kind:     by_value
      - .address_space:  global
        .offset:         40
        .size:           8
        .value_kind:     global_buffer
      - .offset:         48
        .size:           8
        .value_kind:     by_value
      - .offset:         56
        .size:           8
        .value_kind:     by_value
      - .address_space:  global
        .offset:         64
        .size:           8
        .value_kind:     global_buffer
      - .offset:         72
        .size:           4
        .value_kind:     by_value
      - .offset:         76
        .size:           4
        .value_kind:     by_value
      - .address_space:  global
        .offset:         80
        .size:           8
        .value_kind:     global_buffer
      - .offset:         88
        .size:           8
        .value_kind:     by_value
      - .offset:         96
        .size:           4
        .value_kind:     hidden_block_count_x
      - .offset:         100
        .size:           4
        .value_kind:     hidden_block_count_y
      - .offset:         104
        .size:           4
        .value_kind:     hidden_block_count_z
      - .offset:         108
        .size:           2
        .value_kind:     hidden_group_size_x
      - .offset:         110
        .size:           2
        .value_kind:     hidden_group_size_y
      - .offset:         112
        .size:           2
        .value_kind:     hidden_group_size_z
      - .offset:         114
        .size:           2
        .value_kind:     hidden_remainder_x
      - .offset:         116
        .size:           2
        .value_kind:     hidden_remainder_y
      - .offset:         118
        .size:           2
        .value_kind:     hidden_remainder_z
      - .offset:         136
        .size:           8
        .value_kind:     hidden_global_offset_x
      - .offset:         144
        .size:           8
        .value_kind:     hidden_global_offset_y
      - .offset:         152
        .size:           8
        .value_kind:     hidden_global_offset_z
      - .offset:         160
        .size:           2
        .value_kind:     hidden_grid_dims
      - .offset:         216
        .size:           4
        .value_kind:     hidden_dynamic_lds_size
    .group_segment_fixed_size: 0
    .kernarg_segment_align: 8
    .kernarg_segment_size: 352
    .language:       OpenCL C
    .language_version:
      - 2
      - 0
    .max_flat_workgroup_size: 512
    .name:           _ZN9rocsolver6v33100L18getf2_small_kernelILi28E19rocblas_complex_numIdEiiPKPS3_EEvT1_T3_lS7_lPS7_llPT2_S7_S7_S9_l
    .private_segment_fixed_size: 124
    .sgpr_count:     18
    .sgpr_spill_count: 0
    .symbol:         _ZN9rocsolver6v33100L18getf2_small_kernelILi28E19rocblas_complex_numIdEiiPKPS3_EEvT1_T3_lS7_lPS7_llPT2_S7_S7_S9_l.kd
    .uniform_work_group_size: 1
    .uses_dynamic_stack: false
    .vgpr_count:     256
    .vgpr_spill_count: 130
    .wavefront_size: 32
    .workgroup_processor_mode: 1
  - .args:
      - .offset:         0
        .size:           4
        .value_kind:     by_value
      - .address_space:  global
        .offset:         8
        .size:           8
        .value_kind:     global_buffer
      - .offset:         16
        .size:           8
        .value_kind:     by_value
      - .offset:         24
        .size:           4
        .value_kind:     by_value
      - .offset:         32
        .size:           8
        .value_kind:     by_value
      - .address_space:  global
        .offset:         40
        .size:           8
        .value_kind:     global_buffer
      - .offset:         48
        .size:           4
        .value_kind:     by_value
      - .offset:         52
        .size:           4
        .value_kind:     by_value
      - .offset:         56
        .size:           4
        .value_kind:     hidden_block_count_x
      - .offset:         60
        .size:           4
        .value_kind:     hidden_block_count_y
      - .offset:         64
        .size:           4
        .value_kind:     hidden_block_count_z
      - .offset:         68
        .size:           2
        .value_kind:     hidden_group_size_x
      - .offset:         70
        .size:           2
        .value_kind:     hidden_group_size_y
      - .offset:         72
        .size:           2
        .value_kind:     hidden_group_size_z
      - .offset:         74
        .size:           2
        .value_kind:     hidden_remainder_x
      - .offset:         76
        .size:           2
        .value_kind:     hidden_remainder_y
      - .offset:         78
        .size:           2
        .value_kind:     hidden_remainder_z
      - .offset:         96
        .size:           8
        .value_kind:     hidden_global_offset_x
      - .offset:         104
        .size:           8
        .value_kind:     hidden_global_offset_y
      - .offset:         112
        .size:           8
        .value_kind:     hidden_global_offset_z
      - .offset:         120
        .size:           2
        .value_kind:     hidden_grid_dims
      - .offset:         176
        .size:           4
        .value_kind:     hidden_dynamic_lds_size
    .group_segment_fixed_size: 0
    .kernarg_segment_align: 8
    .kernarg_segment_size: 312
    .language:       OpenCL C
    .language_version:
      - 2
      - 0
    .max_flat_workgroup_size: 512
    .name:           _ZN9rocsolver6v33100L23getf2_npvt_small_kernelILi28E19rocblas_complex_numIdEiiPKPS3_EEvT1_T3_lS7_lPT2_S7_S7_
    .private_segment_fixed_size: 164
    .sgpr_count:     46
    .sgpr_spill_count: 0
    .symbol:         _ZN9rocsolver6v33100L23getf2_npvt_small_kernelILi28E19rocblas_complex_numIdEiiPKPS3_EEvT1_T3_lS7_lPT2_S7_S7_.kd
    .uniform_work_group_size: 1
    .uses_dynamic_stack: false
    .vgpr_count:     256
    .vgpr_spill_count: 40
    .wavefront_size: 32
    .workgroup_processor_mode: 1
  - .args:
      - .offset:         0
        .size:           4
        .value_kind:     by_value
      - .address_space:  global
        .offset:         8
        .size:           8
        .value_kind:     global_buffer
      - .offset:         16
        .size:           8
        .value_kind:     by_value
      - .offset:         24
        .size:           4
        .value_kind:     by_value
      - .offset:         32
        .size:           8
        .value_kind:     by_value
      - .address_space:  global
        .offset:         40
        .size:           8
        .value_kind:     global_buffer
      - .offset:         48
        .size:           8
        .value_kind:     by_value
      - .offset:         56
        .size:           8
        .value_kind:     by_value
      - .address_space:  global
        .offset:         64
        .size:           8
        .value_kind:     global_buffer
      - .offset:         72
        .size:           4
        .value_kind:     by_value
      - .offset:         76
        .size:           4
        .value_kind:     by_value
      - .address_space:  global
        .offset:         80
        .size:           8
        .value_kind:     global_buffer
      - .offset:         88
        .size:           8
        .value_kind:     by_value
      - .offset:         96
        .size:           4
        .value_kind:     hidden_block_count_x
      - .offset:         100
        .size:           4
        .value_kind:     hidden_block_count_y
      - .offset:         104
        .size:           4
        .value_kind:     hidden_block_count_z
      - .offset:         108
        .size:           2
        .value_kind:     hidden_group_size_x
      - .offset:         110
        .size:           2
        .value_kind:     hidden_group_size_y
      - .offset:         112
        .size:           2
        .value_kind:     hidden_group_size_z
      - .offset:         114
        .size:           2
        .value_kind:     hidden_remainder_x
      - .offset:         116
        .size:           2
        .value_kind:     hidden_remainder_y
      - .offset:         118
        .size:           2
        .value_kind:     hidden_remainder_z
      - .offset:         136
        .size:           8
        .value_kind:     hidden_global_offset_x
      - .offset:         144
        .size:           8
        .value_kind:     hidden_global_offset_y
      - .offset:         152
        .size:           8
        .value_kind:     hidden_global_offset_z
      - .offset:         160
        .size:           2
        .value_kind:     hidden_grid_dims
      - .offset:         216
        .size:           4
        .value_kind:     hidden_dynamic_lds_size
    .group_segment_fixed_size: 0
    .kernarg_segment_align: 8
    .kernarg_segment_size: 352
    .language:       OpenCL C
    .language_version:
      - 2
      - 0
    .max_flat_workgroup_size: 512
    .name:           _ZN9rocsolver6v33100L18getf2_small_kernelILi29E19rocblas_complex_numIdEiiPKPS3_EEvT1_T3_lS7_lPS7_llPT2_S7_S7_S9_l
    .private_segment_fixed_size: 60
    .sgpr_count:     18
    .sgpr_spill_count: 0
    .symbol:         _ZN9rocsolver6v33100L18getf2_small_kernelILi29E19rocblas_complex_numIdEiiPKPS3_EEvT1_T3_lS7_lPS7_llPT2_S7_S7_S9_l.kd
    .uniform_work_group_size: 1
    .uses_dynamic_stack: false
    .vgpr_count:     256
    .vgpr_spill_count: 14
    .wavefront_size: 32
    .workgroup_processor_mode: 1
  - .args:
      - .offset:         0
        .size:           4
        .value_kind:     by_value
      - .address_space:  global
        .offset:         8
        .size:           8
        .value_kind:     global_buffer
      - .offset:         16
        .size:           8
        .value_kind:     by_value
      - .offset:         24
        .size:           4
        .value_kind:     by_value
      - .offset:         32
        .size:           8
        .value_kind:     by_value
      - .address_space:  global
        .offset:         40
        .size:           8
        .value_kind:     global_buffer
      - .offset:         48
        .size:           4
        .value_kind:     by_value
      - .offset:         52
        .size:           4
        .value_kind:     by_value
      - .offset:         56
        .size:           4
        .value_kind:     hidden_block_count_x
      - .offset:         60
        .size:           4
        .value_kind:     hidden_block_count_y
      - .offset:         64
        .size:           4
        .value_kind:     hidden_block_count_z
      - .offset:         68
        .size:           2
        .value_kind:     hidden_group_size_x
      - .offset:         70
        .size:           2
        .value_kind:     hidden_group_size_y
      - .offset:         72
        .size:           2
        .value_kind:     hidden_group_size_z
      - .offset:         74
        .size:           2
        .value_kind:     hidden_remainder_x
      - .offset:         76
        .size:           2
        .value_kind:     hidden_remainder_y
      - .offset:         78
        .size:           2
        .value_kind:     hidden_remainder_z
      - .offset:         96
        .size:           8
        .value_kind:     hidden_global_offset_x
      - .offset:         104
        .size:           8
        .value_kind:     hidden_global_offset_y
      - .offset:         112
        .size:           8
        .value_kind:     hidden_global_offset_z
      - .offset:         120
        .size:           2
        .value_kind:     hidden_grid_dims
      - .offset:         176
        .size:           4
        .value_kind:     hidden_dynamic_lds_size
    .group_segment_fixed_size: 0
    .kernarg_segment_align: 8
    .kernarg_segment_size: 312
    .language:       OpenCL C
    .language_version:
      - 2
      - 0
    .max_flat_workgroup_size: 512
    .name:           _ZN9rocsolver6v33100L23getf2_npvt_small_kernelILi29E19rocblas_complex_numIdEiiPKPS3_EEvT1_T3_lS7_lPT2_S7_S7_
    .private_segment_fixed_size: 212
    .sgpr_count:     18
    .sgpr_spill_count: 0
    .symbol:         _ZN9rocsolver6v33100L23getf2_npvt_small_kernelILi29E19rocblas_complex_numIdEiiPKPS3_EEvT1_T3_lS7_lPT2_S7_S7_.kd
    .uniform_work_group_size: 1
    .uses_dynamic_stack: false
    .vgpr_count:     256
    .vgpr_spill_count: 52
    .wavefront_size: 32
    .workgroup_processor_mode: 1
  - .args:
      - .offset:         0
        .size:           4
        .value_kind:     by_value
      - .address_space:  global
        .offset:         8
        .size:           8
        .value_kind:     global_buffer
      - .offset:         16
        .size:           8
        .value_kind:     by_value
      - .offset:         24
        .size:           4
        .value_kind:     by_value
      - .offset:         32
        .size:           8
        .value_kind:     by_value
      - .address_space:  global
        .offset:         40
        .size:           8
        .value_kind:     global_buffer
      - .offset:         48
        .size:           8
        .value_kind:     by_value
      - .offset:         56
        .size:           8
        .value_kind:     by_value
      - .address_space:  global
        .offset:         64
        .size:           8
        .value_kind:     global_buffer
      - .offset:         72
        .size:           4
        .value_kind:     by_value
      - .offset:         76
        .size:           4
        .value_kind:     by_value
      - .address_space:  global
        .offset:         80
        .size:           8
        .value_kind:     global_buffer
      - .offset:         88
        .size:           8
        .value_kind:     by_value
      - .offset:         96
        .size:           4
        .value_kind:     hidden_block_count_x
      - .offset:         100
        .size:           4
        .value_kind:     hidden_block_count_y
      - .offset:         104
        .size:           4
        .value_kind:     hidden_block_count_z
      - .offset:         108
        .size:           2
        .value_kind:     hidden_group_size_x
      - .offset:         110
        .size:           2
        .value_kind:     hidden_group_size_y
      - .offset:         112
        .size:           2
        .value_kind:     hidden_group_size_z
      - .offset:         114
        .size:           2
        .value_kind:     hidden_remainder_x
      - .offset:         116
        .size:           2
        .value_kind:     hidden_remainder_y
      - .offset:         118
        .size:           2
        .value_kind:     hidden_remainder_z
      - .offset:         136
        .size:           8
        .value_kind:     hidden_global_offset_x
      - .offset:         144
        .size:           8
        .value_kind:     hidden_global_offset_y
      - .offset:         152
        .size:           8
        .value_kind:     hidden_global_offset_z
      - .offset:         160
        .size:           2
        .value_kind:     hidden_grid_dims
      - .offset:         216
        .size:           4
        .value_kind:     hidden_dynamic_lds_size
    .group_segment_fixed_size: 0
    .kernarg_segment_align: 8
    .kernarg_segment_size: 352
    .language:       OpenCL C
    .language_version:
      - 2
      - 0
    .max_flat_workgroup_size: 512
    .name:           _ZN9rocsolver6v33100L18getf2_small_kernelILi30E19rocblas_complex_numIdEiiPKPS3_EEvT1_T3_lS7_lPS7_llPT2_S7_S7_S9_l
    .private_segment_fixed_size: 124
    .sgpr_count:     18
    .sgpr_spill_count: 0
    .symbol:         _ZN9rocsolver6v33100L18getf2_small_kernelILi30E19rocblas_complex_numIdEiiPKPS3_EEvT1_T3_lS7_lPS7_llPT2_S7_S7_S9_l.kd
    .uniform_work_group_size: 1
    .uses_dynamic_stack: false
    .vgpr_count:     256
    .vgpr_spill_count: 70
    .wavefront_size: 32
    .workgroup_processor_mode: 1
  - .args:
      - .offset:         0
        .size:           4
        .value_kind:     by_value
      - .address_space:  global
        .offset:         8
        .size:           8
        .value_kind:     global_buffer
      - .offset:         16
        .size:           8
        .value_kind:     by_value
      - .offset:         24
        .size:           4
        .value_kind:     by_value
      - .offset:         32
        .size:           8
        .value_kind:     by_value
      - .address_space:  global
        .offset:         40
        .size:           8
        .value_kind:     global_buffer
      - .offset:         48
        .size:           4
        .value_kind:     by_value
      - .offset:         52
        .size:           4
        .value_kind:     by_value
      - .offset:         56
        .size:           4
        .value_kind:     hidden_block_count_x
      - .offset:         60
        .size:           4
        .value_kind:     hidden_block_count_y
      - .offset:         64
        .size:           4
        .value_kind:     hidden_block_count_z
      - .offset:         68
        .size:           2
        .value_kind:     hidden_group_size_x
      - .offset:         70
        .size:           2
        .value_kind:     hidden_group_size_y
      - .offset:         72
        .size:           2
        .value_kind:     hidden_group_size_z
      - .offset:         74
        .size:           2
        .value_kind:     hidden_remainder_x
      - .offset:         76
        .size:           2
        .value_kind:     hidden_remainder_y
      - .offset:         78
        .size:           2
        .value_kind:     hidden_remainder_z
      - .offset:         96
        .size:           8
        .value_kind:     hidden_global_offset_x
      - .offset:         104
        .size:           8
        .value_kind:     hidden_global_offset_y
      - .offset:         112
        .size:           8
        .value_kind:     hidden_global_offset_z
      - .offset:         120
        .size:           2
        .value_kind:     hidden_grid_dims
      - .offset:         176
        .size:           4
        .value_kind:     hidden_dynamic_lds_size
    .group_segment_fixed_size: 0
    .kernarg_segment_align: 8
    .kernarg_segment_size: 312
    .language:       OpenCL C
    .language_version:
      - 2
      - 0
    .max_flat_workgroup_size: 512
    .name:           _ZN9rocsolver6v33100L23getf2_npvt_small_kernelILi30E19rocblas_complex_numIdEiiPKPS3_EEvT1_T3_lS7_lPT2_S7_S7_
    .private_segment_fixed_size: 244
    .sgpr_count:     18
    .sgpr_spill_count: 0
    .symbol:         _ZN9rocsolver6v33100L23getf2_npvt_small_kernelILi30E19rocblas_complex_numIdEiiPKPS3_EEvT1_T3_lS7_lPT2_S7_S7_.kd
    .uniform_work_group_size: 1
    .uses_dynamic_stack: false
    .vgpr_count:     256
    .vgpr_spill_count: 60
    .wavefront_size: 32
    .workgroup_processor_mode: 1
  - .args:
      - .offset:         0
        .size:           4
        .value_kind:     by_value
      - .address_space:  global
        .offset:         8
        .size:           8
        .value_kind:     global_buffer
      - .offset:         16
        .size:           8
        .value_kind:     by_value
      - .offset:         24
        .size:           4
        .value_kind:     by_value
      - .offset:         32
        .size:           8
        .value_kind:     by_value
      - .address_space:  global
        .offset:         40
        .size:           8
        .value_kind:     global_buffer
      - .offset:         48
        .size:           8
        .value_kind:     by_value
      - .offset:         56
        .size:           8
        .value_kind:     by_value
      - .address_space:  global
        .offset:         64
        .size:           8
        .value_kind:     global_buffer
      - .offset:         72
        .size:           4
        .value_kind:     by_value
      - .offset:         76
        .size:           4
        .value_kind:     by_value
      - .address_space:  global
        .offset:         80
        .size:           8
        .value_kind:     global_buffer
      - .offset:         88
        .size:           8
        .value_kind:     by_value
      - .offset:         96
        .size:           4
        .value_kind:     hidden_block_count_x
      - .offset:         100
        .size:           4
        .value_kind:     hidden_block_count_y
      - .offset:         104
        .size:           4
        .value_kind:     hidden_block_count_z
      - .offset:         108
        .size:           2
        .value_kind:     hidden_group_size_x
      - .offset:         110
        .size:           2
        .value_kind:     hidden_group_size_y
      - .offset:         112
        .size:           2
        .value_kind:     hidden_group_size_z
      - .offset:         114
        .size:           2
        .value_kind:     hidden_remainder_x
      - .offset:         116
        .size:           2
        .value_kind:     hidden_remainder_y
      - .offset:         118
        .size:           2
        .value_kind:     hidden_remainder_z
      - .offset:         136
        .size:           8
        .value_kind:     hidden_global_offset_x
      - .offset:         144
        .size:           8
        .value_kind:     hidden_global_offset_y
      - .offset:         152
        .size:           8
        .value_kind:     hidden_global_offset_z
      - .offset:         160
        .size:           2
        .value_kind:     hidden_grid_dims
      - .offset:         216
        .size:           4
        .value_kind:     hidden_dynamic_lds_size
    .group_segment_fixed_size: 0
    .kernarg_segment_align: 8
    .kernarg_segment_size: 352
    .language:       OpenCL C
    .language_version:
      - 2
      - 0
    .max_flat_workgroup_size: 512
    .name:           _ZN9rocsolver6v33100L18getf2_small_kernelILi31E19rocblas_complex_numIdEiiPKPS3_EEvT1_T3_lS7_lPS7_llPT2_S7_S7_S9_l
    .private_segment_fixed_size: 12
    .sgpr_count:     18
    .sgpr_spill_count: 0
    .symbol:         _ZN9rocsolver6v33100L18getf2_small_kernelILi31E19rocblas_complex_numIdEiiPKPS3_EEvT1_T3_lS7_lPS7_llPT2_S7_S7_S9_l.kd
    .uniform_work_group_size: 1
    .uses_dynamic_stack: false
    .vgpr_count:     256
    .vgpr_spill_count: 4
    .wavefront_size: 32
    .workgroup_processor_mode: 1
  - .args:
      - .offset:         0
        .size:           4
        .value_kind:     by_value
      - .address_space:  global
        .offset:         8
        .size:           8
        .value_kind:     global_buffer
      - .offset:         16
        .size:           8
        .value_kind:     by_value
      - .offset:         24
        .size:           4
        .value_kind:     by_value
      - .offset:         32
        .size:           8
        .value_kind:     by_value
      - .address_space:  global
        .offset:         40
        .size:           8
        .value_kind:     global_buffer
      - .offset:         48
        .size:           4
        .value_kind:     by_value
      - .offset:         52
        .size:           4
        .value_kind:     by_value
      - .offset:         56
        .size:           4
        .value_kind:     hidden_block_count_x
      - .offset:         60
        .size:           4
        .value_kind:     hidden_block_count_y
      - .offset:         64
        .size:           4
        .value_kind:     hidden_block_count_z
      - .offset:         68
        .size:           2
        .value_kind:     hidden_group_size_x
      - .offset:         70
        .size:           2
        .value_kind:     hidden_group_size_y
      - .offset:         72
        .size:           2
        .value_kind:     hidden_group_size_z
      - .offset:         74
        .size:           2
        .value_kind:     hidden_remainder_x
      - .offset:         76
        .size:           2
        .value_kind:     hidden_remainder_y
      - .offset:         78
        .size:           2
        .value_kind:     hidden_remainder_z
      - .offset:         96
        .size:           8
        .value_kind:     hidden_global_offset_x
      - .offset:         104
        .size:           8
        .value_kind:     hidden_global_offset_y
      - .offset:         112
        .size:           8
        .value_kind:     hidden_global_offset_z
      - .offset:         120
        .size:           2
        .value_kind:     hidden_grid_dims
      - .offset:         176
        .size:           4
        .value_kind:     hidden_dynamic_lds_size
    .group_segment_fixed_size: 0
    .kernarg_segment_align: 8
    .kernarg_segment_size: 312
    .language:       OpenCL C
    .language_version:
      - 2
      - 0
    .max_flat_workgroup_size: 512
    .name:           _ZN9rocsolver6v33100L23getf2_npvt_small_kernelILi31E19rocblas_complex_numIdEiiPKPS3_EEvT1_T3_lS7_lPT2_S7_S7_
    .private_segment_fixed_size: 316
    .sgpr_count:     18
    .sgpr_spill_count: 0
    .symbol:         _ZN9rocsolver6v33100L23getf2_npvt_small_kernelILi31E19rocblas_complex_numIdEiiPKPS3_EEvT1_T3_lS7_lPT2_S7_S7_.kd
    .uniform_work_group_size: 1
    .uses_dynamic_stack: false
    .vgpr_count:     256
    .vgpr_spill_count: 82
    .wavefront_size: 32
    .workgroup_processor_mode: 1
  - .args:
      - .offset:         0
        .size:           4
        .value_kind:     by_value
      - .address_space:  global
        .offset:         8
        .size:           8
        .value_kind:     global_buffer
      - .offset:         16
        .size:           8
        .value_kind:     by_value
      - .offset:         24
        .size:           4
        .value_kind:     by_value
      - .offset:         32
        .size:           8
        .value_kind:     by_value
      - .address_space:  global
        .offset:         40
        .size:           8
        .value_kind:     global_buffer
      - .offset:         48
        .size:           8
        .value_kind:     by_value
      - .offset:         56
        .size:           8
        .value_kind:     by_value
      - .address_space:  global
        .offset:         64
        .size:           8
        .value_kind:     global_buffer
      - .offset:         72
        .size:           4
        .value_kind:     by_value
      - .offset:         76
        .size:           4
        .value_kind:     by_value
      - .address_space:  global
        .offset:         80
        .size:           8
        .value_kind:     global_buffer
      - .offset:         88
        .size:           8
        .value_kind:     by_value
      - .offset:         96
        .size:           4
        .value_kind:     hidden_block_count_x
      - .offset:         100
        .size:           4
        .value_kind:     hidden_block_count_y
      - .offset:         104
        .size:           4
        .value_kind:     hidden_block_count_z
      - .offset:         108
        .size:           2
        .value_kind:     hidden_group_size_x
      - .offset:         110
        .size:           2
        .value_kind:     hidden_group_size_y
      - .offset:         112
        .size:           2
        .value_kind:     hidden_group_size_z
      - .offset:         114
        .size:           2
        .value_kind:     hidden_remainder_x
      - .offset:         116
        .size:           2
        .value_kind:     hidden_remainder_y
      - .offset:         118
        .size:           2
        .value_kind:     hidden_remainder_z
      - .offset:         136
        .size:           8
        .value_kind:     hidden_global_offset_x
      - .offset:         144
        .size:           8
        .value_kind:     hidden_global_offset_y
      - .offset:         152
        .size:           8
        .value_kind:     hidden_global_offset_z
      - .offset:         160
        .size:           2
        .value_kind:     hidden_grid_dims
      - .offset:         216
        .size:           4
        .value_kind:     hidden_dynamic_lds_size
    .group_segment_fixed_size: 0
    .kernarg_segment_align: 8
    .kernarg_segment_size: 352
    .language:       OpenCL C
    .language_version:
      - 2
      - 0
    .max_flat_workgroup_size: 512
    .name:           _ZN9rocsolver6v33100L18getf2_small_kernelILi32E19rocblas_complex_numIdEiiPKPS3_EEvT1_T3_lS7_lPS7_llPT2_S7_S7_S9_l
    .private_segment_fixed_size: 64
    .sgpr_count:     18
    .sgpr_spill_count: 0
    .symbol:         _ZN9rocsolver6v33100L18getf2_small_kernelILi32E19rocblas_complex_numIdEiiPKPS3_EEvT1_T3_lS7_lPS7_llPT2_S7_S7_S9_l.kd
    .uniform_work_group_size: 1
    .uses_dynamic_stack: false
    .vgpr_count:     256
    .vgpr_spill_count: 79
    .wavefront_size: 32
    .workgroup_processor_mode: 1
  - .args:
      - .offset:         0
        .size:           4
        .value_kind:     by_value
      - .address_space:  global
        .offset:         8
        .size:           8
        .value_kind:     global_buffer
      - .offset:         16
        .size:           8
        .value_kind:     by_value
      - .offset:         24
        .size:           4
        .value_kind:     by_value
      - .offset:         32
        .size:           8
        .value_kind:     by_value
      - .address_space:  global
        .offset:         40
        .size:           8
        .value_kind:     global_buffer
      - .offset:         48
        .size:           4
        .value_kind:     by_value
      - .offset:         52
        .size:           4
        .value_kind:     by_value
      - .offset:         56
        .size:           4
        .value_kind:     hidden_block_count_x
      - .offset:         60
        .size:           4
        .value_kind:     hidden_block_count_y
      - .offset:         64
        .size:           4
        .value_kind:     hidden_block_count_z
      - .offset:         68
        .size:           2
        .value_kind:     hidden_group_size_x
      - .offset:         70
        .size:           2
        .value_kind:     hidden_group_size_y
      - .offset:         72
        .size:           2
        .value_kind:     hidden_group_size_z
      - .offset:         74
        .size:           2
        .value_kind:     hidden_remainder_x
      - .offset:         76
        .size:           2
        .value_kind:     hidden_remainder_y
      - .offset:         78
        .size:           2
        .value_kind:     hidden_remainder_z
      - .offset:         96
        .size:           8
        .value_kind:     hidden_global_offset_x
      - .offset:         104
        .size:           8
        .value_kind:     hidden_global_offset_y
      - .offset:         112
        .size:           8
        .value_kind:     hidden_global_offset_z
      - .offset:         120
        .size:           2
        .value_kind:     hidden_grid_dims
      - .offset:         176
        .size:           4
        .value_kind:     hidden_dynamic_lds_size
    .group_segment_fixed_size: 0
    .kernarg_segment_align: 8
    .kernarg_segment_size: 312
    .language:       OpenCL C
    .language_version:
      - 2
      - 0
    .max_flat_workgroup_size: 512
    .name:           _ZN9rocsolver6v33100L23getf2_npvt_small_kernelILi32E19rocblas_complex_numIdEiiPKPS3_EEvT1_T3_lS7_lPT2_S7_S7_
    .private_segment_fixed_size: 316
    .sgpr_count:     18
    .sgpr_spill_count: 0
    .symbol:         _ZN9rocsolver6v33100L23getf2_npvt_small_kernelILi32E19rocblas_complex_numIdEiiPKPS3_EEvT1_T3_lS7_lPT2_S7_S7_.kd
    .uniform_work_group_size: 1
    .uses_dynamic_stack: false
    .vgpr_count:     256
    .vgpr_spill_count: 82
    .wavefront_size: 32
    .workgroup_processor_mode: 1
  - .args:
      - .offset:         0
        .size:           4
        .value_kind:     by_value
      - .address_space:  global
        .offset:         8
        .size:           8
        .value_kind:     global_buffer
      - .offset:         16
        .size:           8
        .value_kind:     by_value
      - .offset:         24
        .size:           4
        .value_kind:     by_value
      - .offset:         32
        .size:           8
        .value_kind:     by_value
      - .address_space:  global
        .offset:         40
        .size:           8
        .value_kind:     global_buffer
      - .offset:         48
        .size:           8
        .value_kind:     by_value
      - .offset:         56
        .size:           8
        .value_kind:     by_value
      - .address_space:  global
        .offset:         64
        .size:           8
        .value_kind:     global_buffer
      - .offset:         72
        .size:           4
        .value_kind:     by_value
      - .offset:         76
        .size:           4
        .value_kind:     by_value
      - .address_space:  global
        .offset:         80
        .size:           8
        .value_kind:     global_buffer
      - .offset:         88
        .size:           8
        .value_kind:     by_value
      - .offset:         96
        .size:           4
        .value_kind:     hidden_block_count_x
      - .offset:         100
        .size:           4
        .value_kind:     hidden_block_count_y
      - .offset:         104
        .size:           4
        .value_kind:     hidden_block_count_z
      - .offset:         108
        .size:           2
        .value_kind:     hidden_group_size_x
      - .offset:         110
        .size:           2
        .value_kind:     hidden_group_size_y
      - .offset:         112
        .size:           2
        .value_kind:     hidden_group_size_z
      - .offset:         114
        .size:           2
        .value_kind:     hidden_remainder_x
      - .offset:         116
        .size:           2
        .value_kind:     hidden_remainder_y
      - .offset:         118
        .size:           2
        .value_kind:     hidden_remainder_z
      - .offset:         136
        .size:           8
        .value_kind:     hidden_global_offset_x
      - .offset:         144
        .size:           8
        .value_kind:     hidden_global_offset_y
      - .offset:         152
        .size:           8
        .value_kind:     hidden_global_offset_z
      - .offset:         160
        .size:           2
        .value_kind:     hidden_grid_dims
      - .offset:         216
        .size:           4
        .value_kind:     hidden_dynamic_lds_size
    .group_segment_fixed_size: 0
    .kernarg_segment_align: 8
    .kernarg_segment_size: 352
    .language:       OpenCL C
    .language_version:
      - 2
      - 0
    .max_flat_workgroup_size: 512
    .name:           _ZN9rocsolver6v33100L18getf2_small_kernelILi33E19rocblas_complex_numIdEiiPKPS3_EEvT1_T3_lS7_lPS7_llPT2_S7_S7_S9_l
    .private_segment_fixed_size: 132
    .sgpr_count:     18
    .sgpr_spill_count: 0
    .symbol:         _ZN9rocsolver6v33100L18getf2_small_kernelILi33E19rocblas_complex_numIdEiiPKPS3_EEvT1_T3_lS7_lPS7_llPT2_S7_S7_S9_l.kd
    .uniform_work_group_size: 1
    .uses_dynamic_stack: false
    .vgpr_count:     256
    .vgpr_spill_count: 148
    .wavefront_size: 32
    .workgroup_processor_mode: 1
  - .args:
      - .offset:         0
        .size:           4
        .value_kind:     by_value
      - .address_space:  global
        .offset:         8
        .size:           8
        .value_kind:     global_buffer
      - .offset:         16
        .size:           8
        .value_kind:     by_value
      - .offset:         24
        .size:           4
        .value_kind:     by_value
      - .offset:         32
        .size:           8
        .value_kind:     by_value
      - .address_space:  global
        .offset:         40
        .size:           8
        .value_kind:     global_buffer
      - .offset:         48
        .size:           4
        .value_kind:     by_value
      - .offset:         52
        .size:           4
        .value_kind:     by_value
      - .offset:         56
        .size:           4
        .value_kind:     hidden_block_count_x
      - .offset:         60
        .size:           4
        .value_kind:     hidden_block_count_y
      - .offset:         64
        .size:           4
        .value_kind:     hidden_block_count_z
      - .offset:         68
        .size:           2
        .value_kind:     hidden_group_size_x
      - .offset:         70
        .size:           2
        .value_kind:     hidden_group_size_y
      - .offset:         72
        .size:           2
        .value_kind:     hidden_group_size_z
      - .offset:         74
        .size:           2
        .value_kind:     hidden_remainder_x
      - .offset:         76
        .size:           2
        .value_kind:     hidden_remainder_y
      - .offset:         78
        .size:           2
        .value_kind:     hidden_remainder_z
      - .offset:         96
        .size:           8
        .value_kind:     hidden_global_offset_x
      - .offset:         104
        .size:           8
        .value_kind:     hidden_global_offset_y
      - .offset:         112
        .size:           8
        .value_kind:     hidden_global_offset_z
      - .offset:         120
        .size:           2
        .value_kind:     hidden_grid_dims
      - .offset:         176
        .size:           4
        .value_kind:     hidden_dynamic_lds_size
    .group_segment_fixed_size: 0
    .kernarg_segment_align: 8
    .kernarg_segment_size: 312
    .language:       OpenCL C
    .language_version:
      - 2
      - 0
    .max_flat_workgroup_size: 512
    .name:           _ZN9rocsolver6v33100L23getf2_npvt_small_kernelILi33E19rocblas_complex_numIdEiiPKPS3_EEvT1_T3_lS7_lPT2_S7_S7_
    .private_segment_fixed_size: 356
    .sgpr_count:     18
    .sgpr_spill_count: 0
    .symbol:         _ZN9rocsolver6v33100L23getf2_npvt_small_kernelILi33E19rocblas_complex_numIdEiiPKPS3_EEvT1_T3_lS7_lPT2_S7_S7_.kd
    .uniform_work_group_size: 1
    .uses_dynamic_stack: false
    .vgpr_count:     256
    .vgpr_spill_count: 88
    .wavefront_size: 32
    .workgroup_processor_mode: 1
  - .args:
      - .offset:         0
        .size:           4
        .value_kind:     by_value
      - .address_space:  global
        .offset:         8
        .size:           8
        .value_kind:     global_buffer
      - .offset:         16
        .size:           8
        .value_kind:     by_value
      - .offset:         24
        .size:           4
        .value_kind:     by_value
      - .offset:         32
        .size:           8
        .value_kind:     by_value
      - .address_space:  global
        .offset:         40
        .size:           8
        .value_kind:     global_buffer
      - .offset:         48
        .size:           8
        .value_kind:     by_value
      - .offset:         56
        .size:           8
        .value_kind:     by_value
      - .address_space:  global
        .offset:         64
        .size:           8
        .value_kind:     global_buffer
      - .offset:         72
        .size:           4
        .value_kind:     by_value
      - .offset:         76
        .size:           4
        .value_kind:     by_value
      - .address_space:  global
        .offset:         80
        .size:           8
        .value_kind:     global_buffer
      - .offset:         88
        .size:           8
        .value_kind:     by_value
      - .offset:         96
        .size:           4
        .value_kind:     hidden_block_count_x
      - .offset:         100
        .size:           4
        .value_kind:     hidden_block_count_y
      - .offset:         104
        .size:           4
        .value_kind:     hidden_block_count_z
      - .offset:         108
        .size:           2
        .value_kind:     hidden_group_size_x
      - .offset:         110
        .size:           2
        .value_kind:     hidden_group_size_y
      - .offset:         112
        .size:           2
        .value_kind:     hidden_group_size_z
      - .offset:         114
        .size:           2
        .value_kind:     hidden_remainder_x
      - .offset:         116
        .size:           2
        .value_kind:     hidden_remainder_y
      - .offset:         118
        .size:           2
        .value_kind:     hidden_remainder_z
      - .offset:         136
        .size:           8
        .value_kind:     hidden_global_offset_x
      - .offset:         144
        .size:           8
        .value_kind:     hidden_global_offset_y
      - .offset:         152
        .size:           8
        .value_kind:     hidden_global_offset_z
      - .offset:         160
        .size:           2
        .value_kind:     hidden_grid_dims
      - .offset:         216
        .size:           4
        .value_kind:     hidden_dynamic_lds_size
    .group_segment_fixed_size: 0
    .kernarg_segment_align: 8
    .kernarg_segment_size: 352
    .language:       OpenCL C
    .language_version:
      - 2
      - 0
    .max_flat_workgroup_size: 512
    .name:           _ZN9rocsolver6v33100L18getf2_small_kernelILi34E19rocblas_complex_numIdEiiPKPS3_EEvT1_T3_lS7_lPS7_llPT2_S7_S7_S9_l
    .private_segment_fixed_size: 152
    .sgpr_count:     18
    .sgpr_spill_count: 0
    .symbol:         _ZN9rocsolver6v33100L18getf2_small_kernelILi34E19rocblas_complex_numIdEiiPKPS3_EEvT1_T3_lS7_lPS7_llPT2_S7_S7_S9_l.kd
    .uniform_work_group_size: 1
    .uses_dynamic_stack: false
    .vgpr_count:     256
    .vgpr_spill_count: 123
    .wavefront_size: 32
    .workgroup_processor_mode: 1
  - .args:
      - .offset:         0
        .size:           4
        .value_kind:     by_value
      - .address_space:  global
        .offset:         8
        .size:           8
        .value_kind:     global_buffer
      - .offset:         16
        .size:           8
        .value_kind:     by_value
      - .offset:         24
        .size:           4
        .value_kind:     by_value
      - .offset:         32
        .size:           8
        .value_kind:     by_value
      - .address_space:  global
        .offset:         40
        .size:           8
        .value_kind:     global_buffer
      - .offset:         48
        .size:           4
        .value_kind:     by_value
      - .offset:         52
        .size:           4
        .value_kind:     by_value
      - .offset:         56
        .size:           4
        .value_kind:     hidden_block_count_x
      - .offset:         60
        .size:           4
        .value_kind:     hidden_block_count_y
      - .offset:         64
        .size:           4
        .value_kind:     hidden_block_count_z
      - .offset:         68
        .size:           2
        .value_kind:     hidden_group_size_x
      - .offset:         70
        .size:           2
        .value_kind:     hidden_group_size_y
      - .offset:         72
        .size:           2
        .value_kind:     hidden_group_size_z
      - .offset:         74
        .size:           2
        .value_kind:     hidden_remainder_x
      - .offset:         76
        .size:           2
        .value_kind:     hidden_remainder_y
      - .offset:         78
        .size:           2
        .value_kind:     hidden_remainder_z
      - .offset:         96
        .size:           8
        .value_kind:     hidden_global_offset_x
      - .offset:         104
        .size:           8
        .value_kind:     hidden_global_offset_y
      - .offset:         112
        .size:           8
        .value_kind:     hidden_global_offset_z
      - .offset:         120
        .size:           2
        .value_kind:     hidden_grid_dims
      - .offset:         176
        .size:           4
        .value_kind:     hidden_dynamic_lds_size
    .group_segment_fixed_size: 0
    .kernarg_segment_align: 8
    .kernarg_segment_size: 312
    .language:       OpenCL C
    .language_version:
      - 2
      - 0
    .max_flat_workgroup_size: 512
    .name:           _ZN9rocsolver6v33100L23getf2_npvt_small_kernelILi34E19rocblas_complex_numIdEiiPKPS3_EEvT1_T3_lS7_lPT2_S7_S7_
    .private_segment_fixed_size: 404
    .sgpr_count:     18
    .sgpr_spill_count: 0
    .symbol:         _ZN9rocsolver6v33100L23getf2_npvt_small_kernelILi34E19rocblas_complex_numIdEiiPKPS3_EEvT1_T3_lS7_lPT2_S7_S7_.kd
    .uniform_work_group_size: 1
    .uses_dynamic_stack: false
    .vgpr_count:     256
    .vgpr_spill_count: 100
    .wavefront_size: 32
    .workgroup_processor_mode: 1
  - .args:
      - .offset:         0
        .size:           4
        .value_kind:     by_value
      - .address_space:  global
        .offset:         8
        .size:           8
        .value_kind:     global_buffer
      - .offset:         16
        .size:           8
        .value_kind:     by_value
      - .offset:         24
        .size:           4
        .value_kind:     by_value
      - .offset:         32
        .size:           8
        .value_kind:     by_value
      - .address_space:  global
        .offset:         40
        .size:           8
        .value_kind:     global_buffer
      - .offset:         48
        .size:           8
        .value_kind:     by_value
      - .offset:         56
        .size:           8
        .value_kind:     by_value
      - .address_space:  global
        .offset:         64
        .size:           8
        .value_kind:     global_buffer
      - .offset:         72
        .size:           4
        .value_kind:     by_value
      - .offset:         76
        .size:           4
        .value_kind:     by_value
      - .address_space:  global
        .offset:         80
        .size:           8
        .value_kind:     global_buffer
      - .offset:         88
        .size:           8
        .value_kind:     by_value
      - .offset:         96
        .size:           4
        .value_kind:     hidden_block_count_x
      - .offset:         100
        .size:           4
        .value_kind:     hidden_block_count_y
      - .offset:         104
        .size:           4
        .value_kind:     hidden_block_count_z
      - .offset:         108
        .size:           2
        .value_kind:     hidden_group_size_x
      - .offset:         110
        .size:           2
        .value_kind:     hidden_group_size_y
      - .offset:         112
        .size:           2
        .value_kind:     hidden_group_size_z
      - .offset:         114
        .size:           2
        .value_kind:     hidden_remainder_x
      - .offset:         116
        .size:           2
        .value_kind:     hidden_remainder_y
      - .offset:         118
        .size:           2
        .value_kind:     hidden_remainder_z
      - .offset:         136
        .size:           8
        .value_kind:     hidden_global_offset_x
      - .offset:         144
        .size:           8
        .value_kind:     hidden_global_offset_y
      - .offset:         152
        .size:           8
        .value_kind:     hidden_global_offset_z
      - .offset:         160
        .size:           2
        .value_kind:     hidden_grid_dims
      - .offset:         216
        .size:           4
        .value_kind:     hidden_dynamic_lds_size
    .group_segment_fixed_size: 0
    .kernarg_segment_align: 8
    .kernarg_segment_size: 352
    .language:       OpenCL C
    .language_version:
      - 2
      - 0
    .max_flat_workgroup_size: 512
    .name:           _ZN9rocsolver6v33100L18getf2_small_kernelILi35E19rocblas_complex_numIdEiiPKPS3_EEvT1_T3_lS7_lPS7_llPT2_S7_S7_S9_l
    .private_segment_fixed_size: 0
    .sgpr_count:     18
    .sgpr_spill_count: 0
    .symbol:         _ZN9rocsolver6v33100L18getf2_small_kernelILi35E19rocblas_complex_numIdEiiPKPS3_EEvT1_T3_lS7_lPS7_llPT2_S7_S7_S9_l.kd
    .uniform_work_group_size: 1
    .uses_dynamic_stack: false
    .vgpr_count:     247
    .vgpr_spill_count: 0
    .wavefront_size: 32
    .workgroup_processor_mode: 1
  - .args:
      - .offset:         0
        .size:           4
        .value_kind:     by_value
      - .address_space:  global
        .offset:         8
        .size:           8
        .value_kind:     global_buffer
      - .offset:         16
        .size:           8
        .value_kind:     by_value
      - .offset:         24
        .size:           4
        .value_kind:     by_value
      - .offset:         32
        .size:           8
        .value_kind:     by_value
      - .address_space:  global
        .offset:         40
        .size:           8
        .value_kind:     global_buffer
      - .offset:         48
        .size:           4
        .value_kind:     by_value
      - .offset:         52
        .size:           4
        .value_kind:     by_value
      - .offset:         56
        .size:           4
        .value_kind:     hidden_block_count_x
      - .offset:         60
        .size:           4
        .value_kind:     hidden_block_count_y
      - .offset:         64
        .size:           4
        .value_kind:     hidden_block_count_z
      - .offset:         68
        .size:           2
        .value_kind:     hidden_group_size_x
      - .offset:         70
        .size:           2
        .value_kind:     hidden_group_size_y
      - .offset:         72
        .size:           2
        .value_kind:     hidden_group_size_z
      - .offset:         74
        .size:           2
        .value_kind:     hidden_remainder_x
      - .offset:         76
        .size:           2
        .value_kind:     hidden_remainder_y
      - .offset:         78
        .size:           2
        .value_kind:     hidden_remainder_z
      - .offset:         96
        .size:           8
        .value_kind:     hidden_global_offset_x
      - .offset:         104
        .size:           8
        .value_kind:     hidden_global_offset_y
      - .offset:         112
        .size:           8
        .value_kind:     hidden_global_offset_z
      - .offset:         120
        .size:           2
        .value_kind:     hidden_grid_dims
      - .offset:         176
        .size:           4
        .value_kind:     hidden_dynamic_lds_size
    .group_segment_fixed_size: 0
    .kernarg_segment_align: 8
    .kernarg_segment_size: 312
    .language:       OpenCL C
    .language_version:
      - 2
      - 0
    .max_flat_workgroup_size: 512
    .name:           _ZN9rocsolver6v33100L23getf2_npvt_small_kernelILi35E19rocblas_complex_numIdEiiPKPS3_EEvT1_T3_lS7_lPT2_S7_S7_
    .private_segment_fixed_size: 428
    .sgpr_count:     18
    .sgpr_spill_count: 0
    .symbol:         _ZN9rocsolver6v33100L23getf2_npvt_small_kernelILi35E19rocblas_complex_numIdEiiPKPS3_EEvT1_T3_lS7_lPT2_S7_S7_.kd
    .uniform_work_group_size: 1
    .uses_dynamic_stack: false
    .vgpr_count:     256
    .vgpr_spill_count: 106
    .wavefront_size: 32
    .workgroup_processor_mode: 1
  - .args:
      - .offset:         0
        .size:           4
        .value_kind:     by_value
      - .address_space:  global
        .offset:         8
        .size:           8
        .value_kind:     global_buffer
      - .offset:         16
        .size:           8
        .value_kind:     by_value
      - .offset:         24
        .size:           4
        .value_kind:     by_value
      - .offset:         32
        .size:           8
        .value_kind:     by_value
      - .address_space:  global
        .offset:         40
        .size:           8
        .value_kind:     global_buffer
      - .offset:         48
        .size:           8
        .value_kind:     by_value
      - .offset:         56
        .size:           8
        .value_kind:     by_value
      - .address_space:  global
        .offset:         64
        .size:           8
        .value_kind:     global_buffer
      - .offset:         72
        .size:           4
        .value_kind:     by_value
      - .offset:         76
        .size:           4
        .value_kind:     by_value
      - .address_space:  global
        .offset:         80
        .size:           8
        .value_kind:     global_buffer
      - .offset:         88
        .size:           8
        .value_kind:     by_value
      - .offset:         96
        .size:           4
        .value_kind:     hidden_block_count_x
      - .offset:         100
        .size:           4
        .value_kind:     hidden_block_count_y
      - .offset:         104
        .size:           4
        .value_kind:     hidden_block_count_z
      - .offset:         108
        .size:           2
        .value_kind:     hidden_group_size_x
      - .offset:         110
        .size:           2
        .value_kind:     hidden_group_size_y
      - .offset:         112
        .size:           2
        .value_kind:     hidden_group_size_z
      - .offset:         114
        .size:           2
        .value_kind:     hidden_remainder_x
      - .offset:         116
        .size:           2
        .value_kind:     hidden_remainder_y
      - .offset:         118
        .size:           2
        .value_kind:     hidden_remainder_z
      - .offset:         136
        .size:           8
        .value_kind:     hidden_global_offset_x
      - .offset:         144
        .size:           8
        .value_kind:     hidden_global_offset_y
      - .offset:         152
        .size:           8
        .value_kind:     hidden_global_offset_z
      - .offset:         160
        .size:           2
        .value_kind:     hidden_grid_dims
      - .offset:         216
        .size:           4
        .value_kind:     hidden_dynamic_lds_size
    .group_segment_fixed_size: 0
    .kernarg_segment_align: 8
    .kernarg_segment_size: 352
    .language:       OpenCL C
    .language_version:
      - 2
      - 0
    .max_flat_workgroup_size: 512
    .name:           _ZN9rocsolver6v33100L18getf2_small_kernelILi36E19rocblas_complex_numIdEiiPKPS3_EEvT1_T3_lS7_lPS7_llPT2_S7_S7_S9_l
    .private_segment_fixed_size: 0
    .sgpr_count:     18
    .sgpr_spill_count: 0
    .symbol:         _ZN9rocsolver6v33100L18getf2_small_kernelILi36E19rocblas_complex_numIdEiiPKPS3_EEvT1_T3_lS7_lPS7_llPT2_S7_S7_S9_l.kd
    .uniform_work_group_size: 1
    .uses_dynamic_stack: false
    .vgpr_count:     251
    .vgpr_spill_count: 0
    .wavefront_size: 32
    .workgroup_processor_mode: 1
  - .args:
      - .offset:         0
        .size:           4
        .value_kind:     by_value
      - .address_space:  global
        .offset:         8
        .size:           8
        .value_kind:     global_buffer
      - .offset:         16
        .size:           8
        .value_kind:     by_value
      - .offset:         24
        .size:           4
        .value_kind:     by_value
      - .offset:         32
        .size:           8
        .value_kind:     by_value
      - .address_space:  global
        .offset:         40
        .size:           8
        .value_kind:     global_buffer
      - .offset:         48
        .size:           4
        .value_kind:     by_value
      - .offset:         52
        .size:           4
        .value_kind:     by_value
      - .offset:         56
        .size:           4
        .value_kind:     hidden_block_count_x
      - .offset:         60
        .size:           4
        .value_kind:     hidden_block_count_y
      - .offset:         64
        .size:           4
        .value_kind:     hidden_block_count_z
      - .offset:         68
        .size:           2
        .value_kind:     hidden_group_size_x
      - .offset:         70
        .size:           2
        .value_kind:     hidden_group_size_y
      - .offset:         72
        .size:           2
        .value_kind:     hidden_group_size_z
      - .offset:         74
        .size:           2
        .value_kind:     hidden_remainder_x
      - .offset:         76
        .size:           2
        .value_kind:     hidden_remainder_y
      - .offset:         78
        .size:           2
        .value_kind:     hidden_remainder_z
      - .offset:         96
        .size:           8
        .value_kind:     hidden_global_offset_x
      - .offset:         104
        .size:           8
        .value_kind:     hidden_global_offset_y
      - .offset:         112
        .size:           8
        .value_kind:     hidden_global_offset_z
      - .offset:         120
        .size:           2
        .value_kind:     hidden_grid_dims
      - .offset:         176
        .size:           4
        .value_kind:     hidden_dynamic_lds_size
    .group_segment_fixed_size: 0
    .kernarg_segment_align: 8
    .kernarg_segment_size: 312
    .language:       OpenCL C
    .language_version:
      - 2
      - 0
    .max_flat_workgroup_size: 512
    .name:           _ZN9rocsolver6v33100L23getf2_npvt_small_kernelILi36E19rocblas_complex_numIdEiiPKPS3_EEvT1_T3_lS7_lPT2_S7_S7_
    .private_segment_fixed_size: 468
    .sgpr_count:     18
    .sgpr_spill_count: 0
    .symbol:         _ZN9rocsolver6v33100L23getf2_npvt_small_kernelILi36E19rocblas_complex_numIdEiiPKPS3_EEvT1_T3_lS7_lPT2_S7_S7_.kd
    .uniform_work_group_size: 1
    .uses_dynamic_stack: false
    .vgpr_count:     256
    .vgpr_spill_count: 120
    .wavefront_size: 32
    .workgroup_processor_mode: 1
  - .args:
      - .offset:         0
        .size:           4
        .value_kind:     by_value
      - .address_space:  global
        .offset:         8
        .size:           8
        .value_kind:     global_buffer
      - .offset:         16
        .size:           8
        .value_kind:     by_value
      - .offset:         24
        .size:           4
        .value_kind:     by_value
      - .offset:         32
        .size:           8
        .value_kind:     by_value
      - .address_space:  global
        .offset:         40
        .size:           8
        .value_kind:     global_buffer
      - .offset:         48
        .size:           8
        .value_kind:     by_value
      - .offset:         56
        .size:           8
        .value_kind:     by_value
      - .address_space:  global
        .offset:         64
        .size:           8
        .value_kind:     global_buffer
      - .offset:         72
        .size:           4
        .value_kind:     by_value
      - .offset:         76
        .size:           4
        .value_kind:     by_value
      - .address_space:  global
        .offset:         80
        .size:           8
        .value_kind:     global_buffer
      - .offset:         88
        .size:           8
        .value_kind:     by_value
      - .offset:         96
        .size:           4
        .value_kind:     hidden_block_count_x
      - .offset:         100
        .size:           4
        .value_kind:     hidden_block_count_y
      - .offset:         104
        .size:           4
        .value_kind:     hidden_block_count_z
      - .offset:         108
        .size:           2
        .value_kind:     hidden_group_size_x
      - .offset:         110
        .size:           2
        .value_kind:     hidden_group_size_y
      - .offset:         112
        .size:           2
        .value_kind:     hidden_group_size_z
      - .offset:         114
        .size:           2
        .value_kind:     hidden_remainder_x
      - .offset:         116
        .size:           2
        .value_kind:     hidden_remainder_y
      - .offset:         118
        .size:           2
        .value_kind:     hidden_remainder_z
      - .offset:         136
        .size:           8
        .value_kind:     hidden_global_offset_x
      - .offset:         144
        .size:           8
        .value_kind:     hidden_global_offset_y
      - .offset:         152
        .size:           8
        .value_kind:     hidden_global_offset_z
      - .offset:         160
        .size:           2
        .value_kind:     hidden_grid_dims
      - .offset:         216
        .size:           4
        .value_kind:     hidden_dynamic_lds_size
    .group_segment_fixed_size: 0
    .kernarg_segment_align: 8
    .kernarg_segment_size: 352
    .language:       OpenCL C
    .language_version:
      - 2
      - 0
    .max_flat_workgroup_size: 512
    .name:           _ZN9rocsolver6v33100L18getf2_small_kernelILi37E19rocblas_complex_numIdEiiPKPS3_EEvT1_T3_lS7_lPS7_llPT2_S7_S7_S9_l
    .private_segment_fixed_size: 0
    .sgpr_count:     18
    .sgpr_spill_count: 0
    .symbol:         _ZN9rocsolver6v33100L18getf2_small_kernelILi37E19rocblas_complex_numIdEiiPKPS3_EEvT1_T3_lS7_lPS7_llPT2_S7_S7_S9_l.kd
    .uniform_work_group_size: 1
    .uses_dynamic_stack: false
    .vgpr_count:     247
    .vgpr_spill_count: 0
    .wavefront_size: 32
    .workgroup_processor_mode: 1
  - .args:
      - .offset:         0
        .size:           4
        .value_kind:     by_value
      - .address_space:  global
        .offset:         8
        .size:           8
        .value_kind:     global_buffer
      - .offset:         16
        .size:           8
        .value_kind:     by_value
      - .offset:         24
        .size:           4
        .value_kind:     by_value
      - .offset:         32
        .size:           8
        .value_kind:     by_value
      - .address_space:  global
        .offset:         40
        .size:           8
        .value_kind:     global_buffer
      - .offset:         48
        .size:           4
        .value_kind:     by_value
      - .offset:         52
        .size:           4
        .value_kind:     by_value
      - .offset:         56
        .size:           4
        .value_kind:     hidden_block_count_x
      - .offset:         60
        .size:           4
        .value_kind:     hidden_block_count_y
      - .offset:         64
        .size:           4
        .value_kind:     hidden_block_count_z
      - .offset:         68
        .size:           2
        .value_kind:     hidden_group_size_x
      - .offset:         70
        .size:           2
        .value_kind:     hidden_group_size_y
      - .offset:         72
        .size:           2
        .value_kind:     hidden_group_size_z
      - .offset:         74
        .size:           2
        .value_kind:     hidden_remainder_x
      - .offset:         76
        .size:           2
        .value_kind:     hidden_remainder_y
      - .offset:         78
        .size:           2
        .value_kind:     hidden_remainder_z
      - .offset:         96
        .size:           8
        .value_kind:     hidden_global_offset_x
      - .offset:         104
        .size:           8
        .value_kind:     hidden_global_offset_y
      - .offset:         112
        .size:           8
        .value_kind:     hidden_global_offset_z
      - .offset:         120
        .size:           2
        .value_kind:     hidden_grid_dims
      - .offset:         176
        .size:           4
        .value_kind:     hidden_dynamic_lds_size
    .group_segment_fixed_size: 0
    .kernarg_segment_align: 8
    .kernarg_segment_size: 312
    .language:       OpenCL C
    .language_version:
      - 2
      - 0
    .max_flat_workgroup_size: 512
    .name:           _ZN9rocsolver6v33100L23getf2_npvt_small_kernelILi37E19rocblas_complex_numIdEiiPKPS3_EEvT1_T3_lS7_lPT2_S7_S7_
    .private_segment_fixed_size: 508
    .sgpr_count:     18
    .sgpr_spill_count: 0
    .symbol:         _ZN9rocsolver6v33100L23getf2_npvt_small_kernelILi37E19rocblas_complex_numIdEiiPKPS3_EEvT1_T3_lS7_lPT2_S7_S7_.kd
    .uniform_work_group_size: 1
    .uses_dynamic_stack: false
    .vgpr_count:     256
    .vgpr_spill_count: 126
    .wavefront_size: 32
    .workgroup_processor_mode: 1
  - .args:
      - .offset:         0
        .size:           4
        .value_kind:     by_value
      - .address_space:  global
        .offset:         8
        .size:           8
        .value_kind:     global_buffer
      - .offset:         16
        .size:           8
        .value_kind:     by_value
      - .offset:         24
        .size:           4
        .value_kind:     by_value
      - .offset:         32
        .size:           8
        .value_kind:     by_value
      - .address_space:  global
        .offset:         40
        .size:           8
        .value_kind:     global_buffer
      - .offset:         48
        .size:           8
        .value_kind:     by_value
      - .offset:         56
        .size:           8
        .value_kind:     by_value
      - .address_space:  global
        .offset:         64
        .size:           8
        .value_kind:     global_buffer
      - .offset:         72
        .size:           4
        .value_kind:     by_value
      - .offset:         76
        .size:           4
        .value_kind:     by_value
      - .address_space:  global
        .offset:         80
        .size:           8
        .value_kind:     global_buffer
      - .offset:         88
        .size:           8
        .value_kind:     by_value
      - .offset:         96
        .size:           4
        .value_kind:     hidden_block_count_x
      - .offset:         100
        .size:           4
        .value_kind:     hidden_block_count_y
      - .offset:         104
        .size:           4
        .value_kind:     hidden_block_count_z
      - .offset:         108
        .size:           2
        .value_kind:     hidden_group_size_x
      - .offset:         110
        .size:           2
        .value_kind:     hidden_group_size_y
      - .offset:         112
        .size:           2
        .value_kind:     hidden_group_size_z
      - .offset:         114
        .size:           2
        .value_kind:     hidden_remainder_x
      - .offset:         116
        .size:           2
        .value_kind:     hidden_remainder_y
      - .offset:         118
        .size:           2
        .value_kind:     hidden_remainder_z
      - .offset:         136
        .size:           8
        .value_kind:     hidden_global_offset_x
      - .offset:         144
        .size:           8
        .value_kind:     hidden_global_offset_y
      - .offset:         152
        .size:           8
        .value_kind:     hidden_global_offset_z
      - .offset:         160
        .size:           2
        .value_kind:     hidden_grid_dims
      - .offset:         216
        .size:           4
        .value_kind:     hidden_dynamic_lds_size
    .group_segment_fixed_size: 0
    .kernarg_segment_align: 8
    .kernarg_segment_size: 352
    .language:       OpenCL C
    .language_version:
      - 2
      - 0
    .max_flat_workgroup_size: 512
    .name:           _ZN9rocsolver6v33100L18getf2_small_kernelILi38E19rocblas_complex_numIdEiiPKPS3_EEvT1_T3_lS7_lPS7_llPT2_S7_S7_S9_l
    .private_segment_fixed_size: 0
    .sgpr_count:     18
    .sgpr_spill_count: 0
    .symbol:         _ZN9rocsolver6v33100L18getf2_small_kernelILi38E19rocblas_complex_numIdEiiPKPS3_EEvT1_T3_lS7_lPS7_llPT2_S7_S7_S9_l.kd
    .uniform_work_group_size: 1
    .uses_dynamic_stack: false
    .vgpr_count:     251
    .vgpr_spill_count: 0
    .wavefront_size: 32
    .workgroup_processor_mode: 1
  - .args:
      - .offset:         0
        .size:           4
        .value_kind:     by_value
      - .address_space:  global
        .offset:         8
        .size:           8
        .value_kind:     global_buffer
      - .offset:         16
        .size:           8
        .value_kind:     by_value
      - .offset:         24
        .size:           4
        .value_kind:     by_value
      - .offset:         32
        .size:           8
        .value_kind:     by_value
      - .address_space:  global
        .offset:         40
        .size:           8
        .value_kind:     global_buffer
      - .offset:         48
        .size:           4
        .value_kind:     by_value
      - .offset:         52
        .size:           4
        .value_kind:     by_value
      - .offset:         56
        .size:           4
        .value_kind:     hidden_block_count_x
      - .offset:         60
        .size:           4
        .value_kind:     hidden_block_count_y
      - .offset:         64
        .size:           4
        .value_kind:     hidden_block_count_z
      - .offset:         68
        .size:           2
        .value_kind:     hidden_group_size_x
      - .offset:         70
        .size:           2
        .value_kind:     hidden_group_size_y
      - .offset:         72
        .size:           2
        .value_kind:     hidden_group_size_z
      - .offset:         74
        .size:           2
        .value_kind:     hidden_remainder_x
      - .offset:         76
        .size:           2
        .value_kind:     hidden_remainder_y
      - .offset:         78
        .size:           2
        .value_kind:     hidden_remainder_z
      - .offset:         96
        .size:           8
        .value_kind:     hidden_global_offset_x
      - .offset:         104
        .size:           8
        .value_kind:     hidden_global_offset_y
      - .offset:         112
        .size:           8
        .value_kind:     hidden_global_offset_z
      - .offset:         120
        .size:           2
        .value_kind:     hidden_grid_dims
      - .offset:         176
        .size:           4
        .value_kind:     hidden_dynamic_lds_size
    .group_segment_fixed_size: 0
    .kernarg_segment_align: 8
    .kernarg_segment_size: 312
    .language:       OpenCL C
    .language_version:
      - 2
      - 0
    .max_flat_workgroup_size: 512
    .name:           _ZN9rocsolver6v33100L23getf2_npvt_small_kernelILi38E19rocblas_complex_numIdEiiPKPS3_EEvT1_T3_lS7_lPT2_S7_S7_
    .private_segment_fixed_size: 548
    .sgpr_count:     18
    .sgpr_spill_count: 0
    .symbol:         _ZN9rocsolver6v33100L23getf2_npvt_small_kernelILi38E19rocblas_complex_numIdEiiPKPS3_EEvT1_T3_lS7_lPT2_S7_S7_.kd
    .uniform_work_group_size: 1
    .uses_dynamic_stack: false
    .vgpr_count:     256
    .vgpr_spill_count: 136
    .wavefront_size: 32
    .workgroup_processor_mode: 1
  - .args:
      - .offset:         0
        .size:           4
        .value_kind:     by_value
      - .address_space:  global
        .offset:         8
        .size:           8
        .value_kind:     global_buffer
      - .offset:         16
        .size:           8
        .value_kind:     by_value
      - .offset:         24
        .size:           4
        .value_kind:     by_value
      - .offset:         32
        .size:           8
        .value_kind:     by_value
      - .address_space:  global
        .offset:         40
        .size:           8
        .value_kind:     global_buffer
      - .offset:         48
        .size:           8
        .value_kind:     by_value
      - .offset:         56
        .size:           8
        .value_kind:     by_value
      - .address_space:  global
        .offset:         64
        .size:           8
        .value_kind:     global_buffer
      - .offset:         72
        .size:           4
        .value_kind:     by_value
      - .offset:         76
        .size:           4
        .value_kind:     by_value
      - .address_space:  global
        .offset:         80
        .size:           8
        .value_kind:     global_buffer
      - .offset:         88
        .size:           8
        .value_kind:     by_value
      - .offset:         96
        .size:           4
        .value_kind:     hidden_block_count_x
      - .offset:         100
        .size:           4
        .value_kind:     hidden_block_count_y
      - .offset:         104
        .size:           4
        .value_kind:     hidden_block_count_z
      - .offset:         108
        .size:           2
        .value_kind:     hidden_group_size_x
      - .offset:         110
        .size:           2
        .value_kind:     hidden_group_size_y
      - .offset:         112
        .size:           2
        .value_kind:     hidden_group_size_z
      - .offset:         114
        .size:           2
        .value_kind:     hidden_remainder_x
      - .offset:         116
        .size:           2
        .value_kind:     hidden_remainder_y
      - .offset:         118
        .size:           2
        .value_kind:     hidden_remainder_z
      - .offset:         136
        .size:           8
        .value_kind:     hidden_global_offset_x
      - .offset:         144
        .size:           8
        .value_kind:     hidden_global_offset_y
      - .offset:         152
        .size:           8
        .value_kind:     hidden_global_offset_z
      - .offset:         160
        .size:           2
        .value_kind:     hidden_grid_dims
      - .offset:         216
        .size:           4
        .value_kind:     hidden_dynamic_lds_size
    .group_segment_fixed_size: 0
    .kernarg_segment_align: 8
    .kernarg_segment_size: 352
    .language:       OpenCL C
    .language_version:
      - 2
      - 0
    .max_flat_workgroup_size: 512
    .name:           _ZN9rocsolver6v33100L18getf2_small_kernelILi39E19rocblas_complex_numIdEiiPKPS3_EEvT1_T3_lS7_lPS7_llPT2_S7_S7_S9_l
    .private_segment_fixed_size: 0
    .sgpr_count:     18
    .sgpr_spill_count: 0
    .symbol:         _ZN9rocsolver6v33100L18getf2_small_kernelILi39E19rocblas_complex_numIdEiiPKPS3_EEvT1_T3_lS7_lPS7_llPT2_S7_S7_S9_l.kd
    .uniform_work_group_size: 1
    .uses_dynamic_stack: false
    .vgpr_count:     247
    .vgpr_spill_count: 0
    .wavefront_size: 32
    .workgroup_processor_mode: 1
  - .args:
      - .offset:         0
        .size:           4
        .value_kind:     by_value
      - .address_space:  global
        .offset:         8
        .size:           8
        .value_kind:     global_buffer
      - .offset:         16
        .size:           8
        .value_kind:     by_value
      - .offset:         24
        .size:           4
        .value_kind:     by_value
      - .offset:         32
        .size:           8
        .value_kind:     by_value
      - .address_space:  global
        .offset:         40
        .size:           8
        .value_kind:     global_buffer
      - .offset:         48
        .size:           4
        .value_kind:     by_value
      - .offset:         52
        .size:           4
        .value_kind:     by_value
      - .offset:         56
        .size:           4
        .value_kind:     hidden_block_count_x
      - .offset:         60
        .size:           4
        .value_kind:     hidden_block_count_y
      - .offset:         64
        .size:           4
        .value_kind:     hidden_block_count_z
      - .offset:         68
        .size:           2
        .value_kind:     hidden_group_size_x
      - .offset:         70
        .size:           2
        .value_kind:     hidden_group_size_y
      - .offset:         72
        .size:           2
        .value_kind:     hidden_group_size_z
      - .offset:         74
        .size:           2
        .value_kind:     hidden_remainder_x
      - .offset:         76
        .size:           2
        .value_kind:     hidden_remainder_y
      - .offset:         78
        .size:           2
        .value_kind:     hidden_remainder_z
      - .offset:         96
        .size:           8
        .value_kind:     hidden_global_offset_x
      - .offset:         104
        .size:           8
        .value_kind:     hidden_global_offset_y
      - .offset:         112
        .size:           8
        .value_kind:     hidden_global_offset_z
      - .offset:         120
        .size:           2
        .value_kind:     hidden_grid_dims
      - .offset:         176
        .size:           4
        .value_kind:     hidden_dynamic_lds_size
    .group_segment_fixed_size: 0
    .kernarg_segment_align: 8
    .kernarg_segment_size: 312
    .language:       OpenCL C
    .language_version:
      - 2
      - 0
    .max_flat_workgroup_size: 512
    .name:           _ZN9rocsolver6v33100L23getf2_npvt_small_kernelILi39E19rocblas_complex_numIdEiiPKPS3_EEvT1_T3_lS7_lPT2_S7_S7_
    .private_segment_fixed_size: 588
    .sgpr_count:     18
    .sgpr_spill_count: 0
    .symbol:         _ZN9rocsolver6v33100L23getf2_npvt_small_kernelILi39E19rocblas_complex_numIdEiiPKPS3_EEvT1_T3_lS7_lPT2_S7_S7_.kd
    .uniform_work_group_size: 1
    .uses_dynamic_stack: false
    .vgpr_count:     256
    .vgpr_spill_count: 146
    .wavefront_size: 32
    .workgroup_processor_mode: 1
  - .args:
      - .offset:         0
        .size:           4
        .value_kind:     by_value
      - .address_space:  global
        .offset:         8
        .size:           8
        .value_kind:     global_buffer
      - .offset:         16
        .size:           8
        .value_kind:     by_value
      - .offset:         24
        .size:           4
        .value_kind:     by_value
      - .offset:         32
        .size:           8
        .value_kind:     by_value
      - .address_space:  global
        .offset:         40
        .size:           8
        .value_kind:     global_buffer
      - .offset:         48
        .size:           8
        .value_kind:     by_value
      - .offset:         56
        .size:           8
        .value_kind:     by_value
      - .address_space:  global
        .offset:         64
        .size:           8
        .value_kind:     global_buffer
      - .offset:         72
        .size:           4
        .value_kind:     by_value
      - .offset:         76
        .size:           4
        .value_kind:     by_value
      - .address_space:  global
        .offset:         80
        .size:           8
        .value_kind:     global_buffer
      - .offset:         88
        .size:           8
        .value_kind:     by_value
      - .offset:         96
        .size:           4
        .value_kind:     hidden_block_count_x
      - .offset:         100
        .size:           4
        .value_kind:     hidden_block_count_y
      - .offset:         104
        .size:           4
        .value_kind:     hidden_block_count_z
      - .offset:         108
        .size:           2
        .value_kind:     hidden_group_size_x
      - .offset:         110
        .size:           2
        .value_kind:     hidden_group_size_y
      - .offset:         112
        .size:           2
        .value_kind:     hidden_group_size_z
      - .offset:         114
        .size:           2
        .value_kind:     hidden_remainder_x
      - .offset:         116
        .size:           2
        .value_kind:     hidden_remainder_y
      - .offset:         118
        .size:           2
        .value_kind:     hidden_remainder_z
      - .offset:         136
        .size:           8
        .value_kind:     hidden_global_offset_x
      - .offset:         144
        .size:           8
        .value_kind:     hidden_global_offset_y
      - .offset:         152
        .size:           8
        .value_kind:     hidden_global_offset_z
      - .offset:         160
        .size:           2
        .value_kind:     hidden_grid_dims
      - .offset:         216
        .size:           4
        .value_kind:     hidden_dynamic_lds_size
    .group_segment_fixed_size: 0
    .kernarg_segment_align: 8
    .kernarg_segment_size: 352
    .language:       OpenCL C
    .language_version:
      - 2
      - 0
    .max_flat_workgroup_size: 512
    .name:           _ZN9rocsolver6v33100L18getf2_small_kernelILi40E19rocblas_complex_numIdEiiPKPS3_EEvT1_T3_lS7_lPS7_llPT2_S7_S7_S9_l
    .private_segment_fixed_size: 0
    .sgpr_count:     18
    .sgpr_spill_count: 0
    .symbol:         _ZN9rocsolver6v33100L18getf2_small_kernelILi40E19rocblas_complex_numIdEiiPKPS3_EEvT1_T3_lS7_lPS7_llPT2_S7_S7_S9_l.kd
    .uniform_work_group_size: 1
    .uses_dynamic_stack: false
    .vgpr_count:     251
    .vgpr_spill_count: 0
    .wavefront_size: 32
    .workgroup_processor_mode: 1
  - .args:
      - .offset:         0
        .size:           4
        .value_kind:     by_value
      - .address_space:  global
        .offset:         8
        .size:           8
        .value_kind:     global_buffer
      - .offset:         16
        .size:           8
        .value_kind:     by_value
      - .offset:         24
        .size:           4
        .value_kind:     by_value
      - .offset:         32
        .size:           8
        .value_kind:     by_value
      - .address_space:  global
        .offset:         40
        .size:           8
        .value_kind:     global_buffer
      - .offset:         48
        .size:           4
        .value_kind:     by_value
      - .offset:         52
        .size:           4
        .value_kind:     by_value
      - .offset:         56
        .size:           4
        .value_kind:     hidden_block_count_x
      - .offset:         60
        .size:           4
        .value_kind:     hidden_block_count_y
      - .offset:         64
        .size:           4
        .value_kind:     hidden_block_count_z
      - .offset:         68
        .size:           2
        .value_kind:     hidden_group_size_x
      - .offset:         70
        .size:           2
        .value_kind:     hidden_group_size_y
      - .offset:         72
        .size:           2
        .value_kind:     hidden_group_size_z
      - .offset:         74
        .size:           2
        .value_kind:     hidden_remainder_x
      - .offset:         76
        .size:           2
        .value_kind:     hidden_remainder_y
      - .offset:         78
        .size:           2
        .value_kind:     hidden_remainder_z
      - .offset:         96
        .size:           8
        .value_kind:     hidden_global_offset_x
      - .offset:         104
        .size:           8
        .value_kind:     hidden_global_offset_y
      - .offset:         112
        .size:           8
        .value_kind:     hidden_global_offset_z
      - .offset:         120
        .size:           2
        .value_kind:     hidden_grid_dims
      - .offset:         176
        .size:           4
        .value_kind:     hidden_dynamic_lds_size
    .group_segment_fixed_size: 0
    .kernarg_segment_align: 8
    .kernarg_segment_size: 312
    .language:       OpenCL C
    .language_version:
      - 2
      - 0
    .max_flat_workgroup_size: 512
    .name:           _ZN9rocsolver6v33100L23getf2_npvt_small_kernelILi40E19rocblas_complex_numIdEiiPKPS3_EEvT1_T3_lS7_lPT2_S7_S7_
    .private_segment_fixed_size: 644
    .sgpr_count:     18
    .sgpr_spill_count: 0
    .symbol:         _ZN9rocsolver6v33100L23getf2_npvt_small_kernelILi40E19rocblas_complex_numIdEiiPKPS3_EEvT1_T3_lS7_lPT2_S7_S7_.kd
    .uniform_work_group_size: 1
    .uses_dynamic_stack: false
    .vgpr_count:     256
    .vgpr_spill_count: 164
    .wavefront_size: 32
    .workgroup_processor_mode: 1
  - .args:
      - .offset:         0
        .size:           4
        .value_kind:     by_value
      - .address_space:  global
        .offset:         8
        .size:           8
        .value_kind:     global_buffer
      - .offset:         16
        .size:           8
        .value_kind:     by_value
      - .offset:         24
        .size:           4
        .value_kind:     by_value
      - .offset:         32
        .size:           8
        .value_kind:     by_value
      - .address_space:  global
        .offset:         40
        .size:           8
        .value_kind:     global_buffer
      - .offset:         48
        .size:           8
        .value_kind:     by_value
      - .offset:         56
        .size:           8
        .value_kind:     by_value
      - .address_space:  global
        .offset:         64
        .size:           8
        .value_kind:     global_buffer
      - .offset:         72
        .size:           4
        .value_kind:     by_value
      - .offset:         76
        .size:           4
        .value_kind:     by_value
      - .address_space:  global
        .offset:         80
        .size:           8
        .value_kind:     global_buffer
      - .offset:         88
        .size:           8
        .value_kind:     by_value
      - .offset:         96
        .size:           4
        .value_kind:     hidden_block_count_x
      - .offset:         100
        .size:           4
        .value_kind:     hidden_block_count_y
      - .offset:         104
        .size:           4
        .value_kind:     hidden_block_count_z
      - .offset:         108
        .size:           2
        .value_kind:     hidden_group_size_x
      - .offset:         110
        .size:           2
        .value_kind:     hidden_group_size_y
      - .offset:         112
        .size:           2
        .value_kind:     hidden_group_size_z
      - .offset:         114
        .size:           2
        .value_kind:     hidden_remainder_x
      - .offset:         116
        .size:           2
        .value_kind:     hidden_remainder_y
      - .offset:         118
        .size:           2
        .value_kind:     hidden_remainder_z
      - .offset:         136
        .size:           8
        .value_kind:     hidden_global_offset_x
      - .offset:         144
        .size:           8
        .value_kind:     hidden_global_offset_y
      - .offset:         152
        .size:           8
        .value_kind:     hidden_global_offset_z
      - .offset:         160
        .size:           2
        .value_kind:     hidden_grid_dims
      - .offset:         216
        .size:           4
        .value_kind:     hidden_dynamic_lds_size
    .group_segment_fixed_size: 0
    .kernarg_segment_align: 8
    .kernarg_segment_size: 352
    .language:       OpenCL C
    .language_version:
      - 2
      - 0
    .max_flat_workgroup_size: 512
    .name:           _ZN9rocsolver6v33100L18getf2_small_kernelILi41E19rocblas_complex_numIdEiiPKPS3_EEvT1_T3_lS7_lPS7_llPT2_S7_S7_S9_l
    .private_segment_fixed_size: 0
    .sgpr_count:     18
    .sgpr_spill_count: 0
    .symbol:         _ZN9rocsolver6v33100L18getf2_small_kernelILi41E19rocblas_complex_numIdEiiPKPS3_EEvT1_T3_lS7_lPS7_llPT2_S7_S7_S9_l.kd
    .uniform_work_group_size: 1
    .uses_dynamic_stack: false
    .vgpr_count:     247
    .vgpr_spill_count: 0
    .wavefront_size: 32
    .workgroup_processor_mode: 1
  - .args:
      - .offset:         0
        .size:           4
        .value_kind:     by_value
      - .address_space:  global
        .offset:         8
        .size:           8
        .value_kind:     global_buffer
      - .offset:         16
        .size:           8
        .value_kind:     by_value
      - .offset:         24
        .size:           4
        .value_kind:     by_value
      - .offset:         32
        .size:           8
        .value_kind:     by_value
      - .address_space:  global
        .offset:         40
        .size:           8
        .value_kind:     global_buffer
      - .offset:         48
        .size:           4
        .value_kind:     by_value
      - .offset:         52
        .size:           4
        .value_kind:     by_value
      - .offset:         56
        .size:           4
        .value_kind:     hidden_block_count_x
      - .offset:         60
        .size:           4
        .value_kind:     hidden_block_count_y
      - .offset:         64
        .size:           4
        .value_kind:     hidden_block_count_z
      - .offset:         68
        .size:           2
        .value_kind:     hidden_group_size_x
      - .offset:         70
        .size:           2
        .value_kind:     hidden_group_size_y
      - .offset:         72
        .size:           2
        .value_kind:     hidden_group_size_z
      - .offset:         74
        .size:           2
        .value_kind:     hidden_remainder_x
      - .offset:         76
        .size:           2
        .value_kind:     hidden_remainder_y
      - .offset:         78
        .size:           2
        .value_kind:     hidden_remainder_z
      - .offset:         96
        .size:           8
        .value_kind:     hidden_global_offset_x
      - .offset:         104
        .size:           8
        .value_kind:     hidden_global_offset_y
      - .offset:         112
        .size:           8
        .value_kind:     hidden_global_offset_z
      - .offset:         120
        .size:           2
        .value_kind:     hidden_grid_dims
      - .offset:         176
        .size:           4
        .value_kind:     hidden_dynamic_lds_size
    .group_segment_fixed_size: 0
    .kernarg_segment_align: 8
    .kernarg_segment_size: 312
    .language:       OpenCL C
    .language_version:
      - 2
      - 0
    .max_flat_workgroup_size: 512
    .name:           _ZN9rocsolver6v33100L23getf2_npvt_small_kernelILi41E19rocblas_complex_numIdEiiPKPS3_EEvT1_T3_lS7_lPT2_S7_S7_
    .private_segment_fixed_size: 668
    .sgpr_count:     18
    .sgpr_spill_count: 0
    .symbol:         _ZN9rocsolver6v33100L23getf2_npvt_small_kernelILi41E19rocblas_complex_numIdEiiPKPS3_EEvT1_T3_lS7_lPT2_S7_S7_.kd
    .uniform_work_group_size: 1
    .uses_dynamic_stack: false
    .vgpr_count:     256
    .vgpr_spill_count: 166
    .wavefront_size: 32
    .workgroup_processor_mode: 1
  - .args:
      - .offset:         0
        .size:           4
        .value_kind:     by_value
      - .address_space:  global
        .offset:         8
        .size:           8
        .value_kind:     global_buffer
      - .offset:         16
        .size:           8
        .value_kind:     by_value
      - .offset:         24
        .size:           4
        .value_kind:     by_value
      - .offset:         32
        .size:           8
        .value_kind:     by_value
      - .address_space:  global
        .offset:         40
        .size:           8
        .value_kind:     global_buffer
      - .offset:         48
        .size:           8
        .value_kind:     by_value
      - .offset:         56
        .size:           8
        .value_kind:     by_value
      - .address_space:  global
        .offset:         64
        .size:           8
        .value_kind:     global_buffer
      - .offset:         72
        .size:           4
        .value_kind:     by_value
      - .offset:         76
        .size:           4
        .value_kind:     by_value
      - .address_space:  global
        .offset:         80
        .size:           8
        .value_kind:     global_buffer
      - .offset:         88
        .size:           8
        .value_kind:     by_value
      - .offset:         96
        .size:           4
        .value_kind:     hidden_block_count_x
      - .offset:         100
        .size:           4
        .value_kind:     hidden_block_count_y
      - .offset:         104
        .size:           4
        .value_kind:     hidden_block_count_z
      - .offset:         108
        .size:           2
        .value_kind:     hidden_group_size_x
      - .offset:         110
        .size:           2
        .value_kind:     hidden_group_size_y
      - .offset:         112
        .size:           2
        .value_kind:     hidden_group_size_z
      - .offset:         114
        .size:           2
        .value_kind:     hidden_remainder_x
      - .offset:         116
        .size:           2
        .value_kind:     hidden_remainder_y
      - .offset:         118
        .size:           2
        .value_kind:     hidden_remainder_z
      - .offset:         136
        .size:           8
        .value_kind:     hidden_global_offset_x
      - .offset:         144
        .size:           8
        .value_kind:     hidden_global_offset_y
      - .offset:         152
        .size:           8
        .value_kind:     hidden_global_offset_z
      - .offset:         160
        .size:           2
        .value_kind:     hidden_grid_dims
      - .offset:         216
        .size:           4
        .value_kind:     hidden_dynamic_lds_size
    .group_segment_fixed_size: 0
    .kernarg_segment_align: 8
    .kernarg_segment_size: 352
    .language:       OpenCL C
    .language_version:
      - 2
      - 0
    .max_flat_workgroup_size: 512
    .name:           _ZN9rocsolver6v33100L18getf2_small_kernelILi42E19rocblas_complex_numIdEiiPKPS3_EEvT1_T3_lS7_lPS7_llPT2_S7_S7_S9_l
    .private_segment_fixed_size: 0
    .sgpr_count:     18
    .sgpr_spill_count: 0
    .symbol:         _ZN9rocsolver6v33100L18getf2_small_kernelILi42E19rocblas_complex_numIdEiiPKPS3_EEvT1_T3_lS7_lPS7_llPT2_S7_S7_S9_l.kd
    .uniform_work_group_size: 1
    .uses_dynamic_stack: false
    .vgpr_count:     251
    .vgpr_spill_count: 0
    .wavefront_size: 32
    .workgroup_processor_mode: 1
  - .args:
      - .offset:         0
        .size:           4
        .value_kind:     by_value
      - .address_space:  global
        .offset:         8
        .size:           8
        .value_kind:     global_buffer
      - .offset:         16
        .size:           8
        .value_kind:     by_value
      - .offset:         24
        .size:           4
        .value_kind:     by_value
      - .offset:         32
        .size:           8
        .value_kind:     by_value
      - .address_space:  global
        .offset:         40
        .size:           8
        .value_kind:     global_buffer
      - .offset:         48
        .size:           4
        .value_kind:     by_value
      - .offset:         52
        .size:           4
        .value_kind:     by_value
      - .offset:         56
        .size:           4
        .value_kind:     hidden_block_count_x
      - .offset:         60
        .size:           4
        .value_kind:     hidden_block_count_y
      - .offset:         64
        .size:           4
        .value_kind:     hidden_block_count_z
      - .offset:         68
        .size:           2
        .value_kind:     hidden_group_size_x
      - .offset:         70
        .size:           2
        .value_kind:     hidden_group_size_y
      - .offset:         72
        .size:           2
        .value_kind:     hidden_group_size_z
      - .offset:         74
        .size:           2
        .value_kind:     hidden_remainder_x
      - .offset:         76
        .size:           2
        .value_kind:     hidden_remainder_y
      - .offset:         78
        .size:           2
        .value_kind:     hidden_remainder_z
      - .offset:         96
        .size:           8
        .value_kind:     hidden_global_offset_x
      - .offset:         104
        .size:           8
        .value_kind:     hidden_global_offset_y
      - .offset:         112
        .size:           8
        .value_kind:     hidden_global_offset_z
      - .offset:         120
        .size:           2
        .value_kind:     hidden_grid_dims
      - .offset:         176
        .size:           4
        .value_kind:     hidden_dynamic_lds_size
    .group_segment_fixed_size: 0
    .kernarg_segment_align: 8
    .kernarg_segment_size: 312
    .language:       OpenCL C
    .language_version:
      - 2
      - 0
    .max_flat_workgroup_size: 512
    .name:           _ZN9rocsolver6v33100L23getf2_npvt_small_kernelILi42E19rocblas_complex_numIdEiiPKPS3_EEvT1_T3_lS7_lPT2_S7_S7_
    .private_segment_fixed_size: 748
    .sgpr_count:     18
    .sgpr_spill_count: 0
    .symbol:         _ZN9rocsolver6v33100L23getf2_npvt_small_kernelILi42E19rocblas_complex_numIdEiiPKPS3_EEvT1_T3_lS7_lPT2_S7_S7_.kd
    .uniform_work_group_size: 1
    .uses_dynamic_stack: false
    .vgpr_count:     256
    .vgpr_spill_count: 198
    .wavefront_size: 32
    .workgroup_processor_mode: 1
  - .args:
      - .offset:         0
        .size:           4
        .value_kind:     by_value
      - .address_space:  global
        .offset:         8
        .size:           8
        .value_kind:     global_buffer
      - .offset:         16
        .size:           8
        .value_kind:     by_value
      - .offset:         24
        .size:           4
        .value_kind:     by_value
      - .offset:         32
        .size:           8
        .value_kind:     by_value
      - .address_space:  global
        .offset:         40
        .size:           8
        .value_kind:     global_buffer
      - .offset:         48
        .size:           8
        .value_kind:     by_value
      - .offset:         56
        .size:           8
        .value_kind:     by_value
      - .address_space:  global
        .offset:         64
        .size:           8
        .value_kind:     global_buffer
      - .offset:         72
        .size:           4
        .value_kind:     by_value
      - .offset:         76
        .size:           4
        .value_kind:     by_value
      - .address_space:  global
        .offset:         80
        .size:           8
        .value_kind:     global_buffer
      - .offset:         88
        .size:           8
        .value_kind:     by_value
      - .offset:         96
        .size:           4
        .value_kind:     hidden_block_count_x
      - .offset:         100
        .size:           4
        .value_kind:     hidden_block_count_y
      - .offset:         104
        .size:           4
        .value_kind:     hidden_block_count_z
      - .offset:         108
        .size:           2
        .value_kind:     hidden_group_size_x
      - .offset:         110
        .size:           2
        .value_kind:     hidden_group_size_y
      - .offset:         112
        .size:           2
        .value_kind:     hidden_group_size_z
      - .offset:         114
        .size:           2
        .value_kind:     hidden_remainder_x
      - .offset:         116
        .size:           2
        .value_kind:     hidden_remainder_y
      - .offset:         118
        .size:           2
        .value_kind:     hidden_remainder_z
      - .offset:         136
        .size:           8
        .value_kind:     hidden_global_offset_x
      - .offset:         144
        .size:           8
        .value_kind:     hidden_global_offset_y
      - .offset:         152
        .size:           8
        .value_kind:     hidden_global_offset_z
      - .offset:         160
        .size:           2
        .value_kind:     hidden_grid_dims
      - .offset:         216
        .size:           4
        .value_kind:     hidden_dynamic_lds_size
    .group_segment_fixed_size: 0
    .kernarg_segment_align: 8
    .kernarg_segment_size: 352
    .language:       OpenCL C
    .language_version:
      - 2
      - 0
    .max_flat_workgroup_size: 512
    .name:           _ZN9rocsolver6v33100L18getf2_small_kernelILi43E19rocblas_complex_numIdEiiPKPS3_EEvT1_T3_lS7_lPS7_llPT2_S7_S7_S9_l
    .private_segment_fixed_size: 0
    .sgpr_count:     18
    .sgpr_spill_count: 0
    .symbol:         _ZN9rocsolver6v33100L18getf2_small_kernelILi43E19rocblas_complex_numIdEiiPKPS3_EEvT1_T3_lS7_lPS7_llPT2_S7_S7_S9_l.kd
    .uniform_work_group_size: 1
    .uses_dynamic_stack: false
    .vgpr_count:     247
    .vgpr_spill_count: 0
    .wavefront_size: 32
    .workgroup_processor_mode: 1
  - .args:
      - .offset:         0
        .size:           4
        .value_kind:     by_value
      - .address_space:  global
        .offset:         8
        .size:           8
        .value_kind:     global_buffer
      - .offset:         16
        .size:           8
        .value_kind:     by_value
      - .offset:         24
        .size:           4
        .value_kind:     by_value
      - .offset:         32
        .size:           8
        .value_kind:     by_value
      - .address_space:  global
        .offset:         40
        .size:           8
        .value_kind:     global_buffer
      - .offset:         48
        .size:           4
        .value_kind:     by_value
      - .offset:         52
        .size:           4
        .value_kind:     by_value
      - .offset:         56
        .size:           4
        .value_kind:     hidden_block_count_x
      - .offset:         60
        .size:           4
        .value_kind:     hidden_block_count_y
      - .offset:         64
        .size:           4
        .value_kind:     hidden_block_count_z
      - .offset:         68
        .size:           2
        .value_kind:     hidden_group_size_x
      - .offset:         70
        .size:           2
        .value_kind:     hidden_group_size_y
      - .offset:         72
        .size:           2
        .value_kind:     hidden_group_size_z
      - .offset:         74
        .size:           2
        .value_kind:     hidden_remainder_x
      - .offset:         76
        .size:           2
        .value_kind:     hidden_remainder_y
      - .offset:         78
        .size:           2
        .value_kind:     hidden_remainder_z
      - .offset:         96
        .size:           8
        .value_kind:     hidden_global_offset_x
      - .offset:         104
        .size:           8
        .value_kind:     hidden_global_offset_y
      - .offset:         112
        .size:           8
        .value_kind:     hidden_global_offset_z
      - .offset:         120
        .size:           2
        .value_kind:     hidden_grid_dims
      - .offset:         176
        .size:           4
        .value_kind:     hidden_dynamic_lds_size
    .group_segment_fixed_size: 0
    .kernarg_segment_align: 8
    .kernarg_segment_size: 312
    .language:       OpenCL C
    .language_version:
      - 2
      - 0
    .max_flat_workgroup_size: 512
    .name:           _ZN9rocsolver6v33100L23getf2_npvt_small_kernelILi43E19rocblas_complex_numIdEiiPKPS3_EEvT1_T3_lS7_lPT2_S7_S7_
    .private_segment_fixed_size: 756
    .sgpr_count:     18
    .sgpr_spill_count: 0
    .symbol:         _ZN9rocsolver6v33100L23getf2_npvt_small_kernelILi43E19rocblas_complex_numIdEiiPKPS3_EEvT1_T3_lS7_lPT2_S7_S7_.kd
    .uniform_work_group_size: 1
    .uses_dynamic_stack: false
    .vgpr_count:     256
    .vgpr_spill_count: 192
    .wavefront_size: 32
    .workgroup_processor_mode: 1
  - .args:
      - .offset:         0
        .size:           4
        .value_kind:     by_value
      - .address_space:  global
        .offset:         8
        .size:           8
        .value_kind:     global_buffer
      - .offset:         16
        .size:           8
        .value_kind:     by_value
      - .offset:         24
        .size:           4
        .value_kind:     by_value
      - .offset:         32
        .size:           8
        .value_kind:     by_value
      - .address_space:  global
        .offset:         40
        .size:           8
        .value_kind:     global_buffer
      - .offset:         48
        .size:           8
        .value_kind:     by_value
      - .offset:         56
        .size:           8
        .value_kind:     by_value
      - .address_space:  global
        .offset:         64
        .size:           8
        .value_kind:     global_buffer
      - .offset:         72
        .size:           4
        .value_kind:     by_value
      - .offset:         76
        .size:           4
        .value_kind:     by_value
      - .address_space:  global
        .offset:         80
        .size:           8
        .value_kind:     global_buffer
      - .offset:         88
        .size:           8
        .value_kind:     by_value
      - .offset:         96
        .size:           4
        .value_kind:     hidden_block_count_x
      - .offset:         100
        .size:           4
        .value_kind:     hidden_block_count_y
      - .offset:         104
        .size:           4
        .value_kind:     hidden_block_count_z
      - .offset:         108
        .size:           2
        .value_kind:     hidden_group_size_x
      - .offset:         110
        .size:           2
        .value_kind:     hidden_group_size_y
      - .offset:         112
        .size:           2
        .value_kind:     hidden_group_size_z
      - .offset:         114
        .size:           2
        .value_kind:     hidden_remainder_x
      - .offset:         116
        .size:           2
        .value_kind:     hidden_remainder_y
      - .offset:         118
        .size:           2
        .value_kind:     hidden_remainder_z
      - .offset:         136
        .size:           8
        .value_kind:     hidden_global_offset_x
      - .offset:         144
        .size:           8
        .value_kind:     hidden_global_offset_y
      - .offset:         152
        .size:           8
        .value_kind:     hidden_global_offset_z
      - .offset:         160
        .size:           2
        .value_kind:     hidden_grid_dims
      - .offset:         216
        .size:           4
        .value_kind:     hidden_dynamic_lds_size
    .group_segment_fixed_size: 0
    .kernarg_segment_align: 8
    .kernarg_segment_size: 352
    .language:       OpenCL C
    .language_version:
      - 2
      - 0
    .max_flat_workgroup_size: 512
    .name:           _ZN9rocsolver6v33100L18getf2_small_kernelILi44E19rocblas_complex_numIdEiiPKPS3_EEvT1_T3_lS7_lPS7_llPT2_S7_S7_S9_l
    .private_segment_fixed_size: 0
    .sgpr_count:     18
    .sgpr_spill_count: 0
    .symbol:         _ZN9rocsolver6v33100L18getf2_small_kernelILi44E19rocblas_complex_numIdEiiPKPS3_EEvT1_T3_lS7_lPS7_llPT2_S7_S7_S9_l.kd
    .uniform_work_group_size: 1
    .uses_dynamic_stack: false
    .vgpr_count:     251
    .vgpr_spill_count: 0
    .wavefront_size: 32
    .workgroup_processor_mode: 1
  - .args:
      - .offset:         0
        .size:           4
        .value_kind:     by_value
      - .address_space:  global
        .offset:         8
        .size:           8
        .value_kind:     global_buffer
      - .offset:         16
        .size:           8
        .value_kind:     by_value
      - .offset:         24
        .size:           4
        .value_kind:     by_value
      - .offset:         32
        .size:           8
        .value_kind:     by_value
      - .address_space:  global
        .offset:         40
        .size:           8
        .value_kind:     global_buffer
      - .offset:         48
        .size:           4
        .value_kind:     by_value
      - .offset:         52
        .size:           4
        .value_kind:     by_value
      - .offset:         56
        .size:           4
        .value_kind:     hidden_block_count_x
      - .offset:         60
        .size:           4
        .value_kind:     hidden_block_count_y
      - .offset:         64
        .size:           4
        .value_kind:     hidden_block_count_z
      - .offset:         68
        .size:           2
        .value_kind:     hidden_group_size_x
      - .offset:         70
        .size:           2
        .value_kind:     hidden_group_size_y
      - .offset:         72
        .size:           2
        .value_kind:     hidden_group_size_z
      - .offset:         74
        .size:           2
        .value_kind:     hidden_remainder_x
      - .offset:         76
        .size:           2
        .value_kind:     hidden_remainder_y
      - .offset:         78
        .size:           2
        .value_kind:     hidden_remainder_z
      - .offset:         96
        .size:           8
        .value_kind:     hidden_global_offset_x
      - .offset:         104
        .size:           8
        .value_kind:     hidden_global_offset_y
      - .offset:         112
        .size:           8
        .value_kind:     hidden_global_offset_z
      - .offset:         120
        .size:           2
        .value_kind:     hidden_grid_dims
      - .offset:         176
        .size:           4
        .value_kind:     hidden_dynamic_lds_size
    .group_segment_fixed_size: 0
    .kernarg_segment_align: 8
    .kernarg_segment_size: 312
    .language:       OpenCL C
    .language_version:
      - 2
      - 0
    .max_flat_workgroup_size: 512
    .name:           _ZN9rocsolver6v33100L23getf2_npvt_small_kernelILi44E19rocblas_complex_numIdEiiPKPS3_EEvT1_T3_lS7_lPT2_S7_S7_
    .private_segment_fixed_size: 796
    .sgpr_count:     18
    .sgpr_spill_count: 0
    .symbol:         _ZN9rocsolver6v33100L23getf2_npvt_small_kernelILi44E19rocblas_complex_numIdEiiPKPS3_EEvT1_T3_lS7_lPT2_S7_S7_.kd
    .uniform_work_group_size: 1
    .uses_dynamic_stack: false
    .vgpr_count:     256
    .vgpr_spill_count: 210
    .wavefront_size: 32
    .workgroup_processor_mode: 1
  - .args:
      - .offset:         0
        .size:           4
        .value_kind:     by_value
      - .address_space:  global
        .offset:         8
        .size:           8
        .value_kind:     global_buffer
      - .offset:         16
        .size:           8
        .value_kind:     by_value
      - .offset:         24
        .size:           4
        .value_kind:     by_value
      - .offset:         32
        .size:           8
        .value_kind:     by_value
      - .address_space:  global
        .offset:         40
        .size:           8
        .value_kind:     global_buffer
      - .offset:         48
        .size:           8
        .value_kind:     by_value
      - .offset:         56
        .size:           8
        .value_kind:     by_value
      - .address_space:  global
        .offset:         64
        .size:           8
        .value_kind:     global_buffer
      - .offset:         72
        .size:           4
        .value_kind:     by_value
      - .offset:         76
        .size:           4
        .value_kind:     by_value
      - .address_space:  global
        .offset:         80
        .size:           8
        .value_kind:     global_buffer
      - .offset:         88
        .size:           8
        .value_kind:     by_value
      - .offset:         96
        .size:           4
        .value_kind:     hidden_block_count_x
      - .offset:         100
        .size:           4
        .value_kind:     hidden_block_count_y
      - .offset:         104
        .size:           4
        .value_kind:     hidden_block_count_z
      - .offset:         108
        .size:           2
        .value_kind:     hidden_group_size_x
      - .offset:         110
        .size:           2
        .value_kind:     hidden_group_size_y
      - .offset:         112
        .size:           2
        .value_kind:     hidden_group_size_z
      - .offset:         114
        .size:           2
        .value_kind:     hidden_remainder_x
      - .offset:         116
        .size:           2
        .value_kind:     hidden_remainder_y
      - .offset:         118
        .size:           2
        .value_kind:     hidden_remainder_z
      - .offset:         136
        .size:           8
        .value_kind:     hidden_global_offset_x
      - .offset:         144
        .size:           8
        .value_kind:     hidden_global_offset_y
      - .offset:         152
        .size:           8
        .value_kind:     hidden_global_offset_z
      - .offset:         160
        .size:           2
        .value_kind:     hidden_grid_dims
      - .offset:         216
        .size:           4
        .value_kind:     hidden_dynamic_lds_size
    .group_segment_fixed_size: 0
    .kernarg_segment_align: 8
    .kernarg_segment_size: 352
    .language:       OpenCL C
    .language_version:
      - 2
      - 0
    .max_flat_workgroup_size: 512
    .name:           _ZN9rocsolver6v33100L18getf2_small_kernelILi45E19rocblas_complex_numIdEiiPKPS3_EEvT1_T3_lS7_lPS7_llPT2_S7_S7_S9_l
    .private_segment_fixed_size: 0
    .sgpr_count:     20
    .sgpr_spill_count: 0
    .symbol:         _ZN9rocsolver6v33100L18getf2_small_kernelILi45E19rocblas_complex_numIdEiiPKPS3_EEvT1_T3_lS7_lPS7_llPT2_S7_S7_S9_l.kd
    .uniform_work_group_size: 1
    .uses_dynamic_stack: false
    .vgpr_count:     247
    .vgpr_spill_count: 0
    .wavefront_size: 32
    .workgroup_processor_mode: 1
  - .args:
      - .offset:         0
        .size:           4
        .value_kind:     by_value
      - .address_space:  global
        .offset:         8
        .size:           8
        .value_kind:     global_buffer
      - .offset:         16
        .size:           8
        .value_kind:     by_value
      - .offset:         24
        .size:           4
        .value_kind:     by_value
      - .offset:         32
        .size:           8
        .value_kind:     by_value
      - .address_space:  global
        .offset:         40
        .size:           8
        .value_kind:     global_buffer
      - .offset:         48
        .size:           4
        .value_kind:     by_value
      - .offset:         52
        .size:           4
        .value_kind:     by_value
      - .offset:         56
        .size:           4
        .value_kind:     hidden_block_count_x
      - .offset:         60
        .size:           4
        .value_kind:     hidden_block_count_y
      - .offset:         64
        .size:           4
        .value_kind:     hidden_block_count_z
      - .offset:         68
        .size:           2
        .value_kind:     hidden_group_size_x
      - .offset:         70
        .size:           2
        .value_kind:     hidden_group_size_y
      - .offset:         72
        .size:           2
        .value_kind:     hidden_group_size_z
      - .offset:         74
        .size:           2
        .value_kind:     hidden_remainder_x
      - .offset:         76
        .size:           2
        .value_kind:     hidden_remainder_y
      - .offset:         78
        .size:           2
        .value_kind:     hidden_remainder_z
      - .offset:         96
        .size:           8
        .value_kind:     hidden_global_offset_x
      - .offset:         104
        .size:           8
        .value_kind:     hidden_global_offset_y
      - .offset:         112
        .size:           8
        .value_kind:     hidden_global_offset_z
      - .offset:         120
        .size:           2
        .value_kind:     hidden_grid_dims
      - .offset:         176
        .size:           4
        .value_kind:     hidden_dynamic_lds_size
    .group_segment_fixed_size: 0
    .kernarg_segment_align: 8
    .kernarg_segment_size: 312
    .language:       OpenCL C
    .language_version:
      - 2
      - 0
    .max_flat_workgroup_size: 512
    .name:           _ZN9rocsolver6v33100L23getf2_npvt_small_kernelILi45E19rocblas_complex_numIdEiiPKPS3_EEvT1_T3_lS7_lPT2_S7_S7_
    .private_segment_fixed_size: 836
    .sgpr_count:     18
    .sgpr_spill_count: 0
    .symbol:         _ZN9rocsolver6v33100L23getf2_npvt_small_kernelILi45E19rocblas_complex_numIdEiiPKPS3_EEvT1_T3_lS7_lPT2_S7_S7_.kd
    .uniform_work_group_size: 1
    .uses_dynamic_stack: false
    .vgpr_count:     256
    .vgpr_spill_count: 220
    .wavefront_size: 32
    .workgroup_processor_mode: 1
  - .args:
      - .offset:         0
        .size:           4
        .value_kind:     by_value
      - .address_space:  global
        .offset:         8
        .size:           8
        .value_kind:     global_buffer
      - .offset:         16
        .size:           8
        .value_kind:     by_value
      - .offset:         24
        .size:           4
        .value_kind:     by_value
      - .offset:         32
        .size:           8
        .value_kind:     by_value
      - .address_space:  global
        .offset:         40
        .size:           8
        .value_kind:     global_buffer
      - .offset:         48
        .size:           8
        .value_kind:     by_value
      - .offset:         56
        .size:           8
        .value_kind:     by_value
      - .address_space:  global
        .offset:         64
        .size:           8
        .value_kind:     global_buffer
      - .offset:         72
        .size:           4
        .value_kind:     by_value
      - .offset:         76
        .size:           4
        .value_kind:     by_value
      - .address_space:  global
        .offset:         80
        .size:           8
        .value_kind:     global_buffer
      - .offset:         88
        .size:           8
        .value_kind:     by_value
      - .offset:         96
        .size:           4
        .value_kind:     hidden_block_count_x
      - .offset:         100
        .size:           4
        .value_kind:     hidden_block_count_y
      - .offset:         104
        .size:           4
        .value_kind:     hidden_block_count_z
      - .offset:         108
        .size:           2
        .value_kind:     hidden_group_size_x
      - .offset:         110
        .size:           2
        .value_kind:     hidden_group_size_y
      - .offset:         112
        .size:           2
        .value_kind:     hidden_group_size_z
      - .offset:         114
        .size:           2
        .value_kind:     hidden_remainder_x
      - .offset:         116
        .size:           2
        .value_kind:     hidden_remainder_y
      - .offset:         118
        .size:           2
        .value_kind:     hidden_remainder_z
      - .offset:         136
        .size:           8
        .value_kind:     hidden_global_offset_x
      - .offset:         144
        .size:           8
        .value_kind:     hidden_global_offset_y
      - .offset:         152
        .size:           8
        .value_kind:     hidden_global_offset_z
      - .offset:         160
        .size:           2
        .value_kind:     hidden_grid_dims
      - .offset:         216
        .size:           4
        .value_kind:     hidden_dynamic_lds_size
    .group_segment_fixed_size: 0
    .kernarg_segment_align: 8
    .kernarg_segment_size: 352
    .language:       OpenCL C
    .language_version:
      - 2
      - 0
    .max_flat_workgroup_size: 512
    .name:           _ZN9rocsolver6v33100L18getf2_small_kernelILi46E19rocblas_complex_numIdEiiPKPS3_EEvT1_T3_lS7_lPS7_llPT2_S7_S7_S9_l
    .private_segment_fixed_size: 0
    .sgpr_count:     20
    .sgpr_spill_count: 0
    .symbol:         _ZN9rocsolver6v33100L18getf2_small_kernelILi46E19rocblas_complex_numIdEiiPKPS3_EEvT1_T3_lS7_lPS7_llPT2_S7_S7_S9_l.kd
    .uniform_work_group_size: 1
    .uses_dynamic_stack: false
    .vgpr_count:     251
    .vgpr_spill_count: 0
    .wavefront_size: 32
    .workgroup_processor_mode: 1
  - .args:
      - .offset:         0
        .size:           4
        .value_kind:     by_value
      - .address_space:  global
        .offset:         8
        .size:           8
        .value_kind:     global_buffer
      - .offset:         16
        .size:           8
        .value_kind:     by_value
      - .offset:         24
        .size:           4
        .value_kind:     by_value
      - .offset:         32
        .size:           8
        .value_kind:     by_value
      - .address_space:  global
        .offset:         40
        .size:           8
        .value_kind:     global_buffer
      - .offset:         48
        .size:           4
        .value_kind:     by_value
      - .offset:         52
        .size:           4
        .value_kind:     by_value
      - .offset:         56
        .size:           4
        .value_kind:     hidden_block_count_x
      - .offset:         60
        .size:           4
        .value_kind:     hidden_block_count_y
      - .offset:         64
        .size:           4
        .value_kind:     hidden_block_count_z
      - .offset:         68
        .size:           2
        .value_kind:     hidden_group_size_x
      - .offset:         70
        .size:           2
        .value_kind:     hidden_group_size_y
      - .offset:         72
        .size:           2
        .value_kind:     hidden_group_size_z
      - .offset:         74
        .size:           2
        .value_kind:     hidden_remainder_x
      - .offset:         76
        .size:           2
        .value_kind:     hidden_remainder_y
      - .offset:         78
        .size:           2
        .value_kind:     hidden_remainder_z
      - .offset:         96
        .size:           8
        .value_kind:     hidden_global_offset_x
      - .offset:         104
        .size:           8
        .value_kind:     hidden_global_offset_y
      - .offset:         112
        .size:           8
        .value_kind:     hidden_global_offset_z
      - .offset:         120
        .size:           2
        .value_kind:     hidden_grid_dims
      - .offset:         176
        .size:           4
        .value_kind:     hidden_dynamic_lds_size
    .group_segment_fixed_size: 0
    .kernarg_segment_align: 8
    .kernarg_segment_size: 312
    .language:       OpenCL C
    .language_version:
      - 2
      - 0
    .max_flat_workgroup_size: 512
    .name:           _ZN9rocsolver6v33100L23getf2_npvt_small_kernelILi46E19rocblas_complex_numIdEiiPKPS3_EEvT1_T3_lS7_lPT2_S7_S7_
    .private_segment_fixed_size: 868
    .sgpr_count:     18
    .sgpr_spill_count: 0
    .symbol:         _ZN9rocsolver6v33100L23getf2_npvt_small_kernelILi46E19rocblas_complex_numIdEiiPKPS3_EEvT1_T3_lS7_lPT2_S7_S7_.kd
    .uniform_work_group_size: 1
    .uses_dynamic_stack: false
    .vgpr_count:     256
    .vgpr_spill_count: 216
    .wavefront_size: 32
    .workgroup_processor_mode: 1
  - .args:
      - .offset:         0
        .size:           4
        .value_kind:     by_value
      - .address_space:  global
        .offset:         8
        .size:           8
        .value_kind:     global_buffer
      - .offset:         16
        .size:           8
        .value_kind:     by_value
      - .offset:         24
        .size:           4
        .value_kind:     by_value
      - .offset:         32
        .size:           8
        .value_kind:     by_value
      - .address_space:  global
        .offset:         40
        .size:           8
        .value_kind:     global_buffer
      - .offset:         48
        .size:           8
        .value_kind:     by_value
      - .offset:         56
        .size:           8
        .value_kind:     by_value
      - .address_space:  global
        .offset:         64
        .size:           8
        .value_kind:     global_buffer
      - .offset:         72
        .size:           4
        .value_kind:     by_value
      - .offset:         76
        .size:           4
        .value_kind:     by_value
      - .address_space:  global
        .offset:         80
        .size:           8
        .value_kind:     global_buffer
      - .offset:         88
        .size:           8
        .value_kind:     by_value
      - .offset:         96
        .size:           4
        .value_kind:     hidden_block_count_x
      - .offset:         100
        .size:           4
        .value_kind:     hidden_block_count_y
      - .offset:         104
        .size:           4
        .value_kind:     hidden_block_count_z
      - .offset:         108
        .size:           2
        .value_kind:     hidden_group_size_x
      - .offset:         110
        .size:           2
        .value_kind:     hidden_group_size_y
      - .offset:         112
        .size:           2
        .value_kind:     hidden_group_size_z
      - .offset:         114
        .size:           2
        .value_kind:     hidden_remainder_x
      - .offset:         116
        .size:           2
        .value_kind:     hidden_remainder_y
      - .offset:         118
        .size:           2
        .value_kind:     hidden_remainder_z
      - .offset:         136
        .size:           8
        .value_kind:     hidden_global_offset_x
      - .offset:         144
        .size:           8
        .value_kind:     hidden_global_offset_y
      - .offset:         152
        .size:           8
        .value_kind:     hidden_global_offset_z
      - .offset:         160
        .size:           2
        .value_kind:     hidden_grid_dims
      - .offset:         216
        .size:           4
        .value_kind:     hidden_dynamic_lds_size
    .group_segment_fixed_size: 0
    .kernarg_segment_align: 8
    .kernarg_segment_size: 352
    .language:       OpenCL C
    .language_version:
      - 2
      - 0
    .max_flat_workgroup_size: 512
    .name:           _ZN9rocsolver6v33100L18getf2_small_kernelILi47E19rocblas_complex_numIdEiiPKPS3_EEvT1_T3_lS7_lPS7_llPT2_S7_S7_S9_l
    .private_segment_fixed_size: 0
    .sgpr_count:     20
    .sgpr_spill_count: 0
    .symbol:         _ZN9rocsolver6v33100L18getf2_small_kernelILi47E19rocblas_complex_numIdEiiPKPS3_EEvT1_T3_lS7_lPS7_llPT2_S7_S7_S9_l.kd
    .uniform_work_group_size: 1
    .uses_dynamic_stack: false
    .vgpr_count:     247
    .vgpr_spill_count: 0
    .wavefront_size: 32
    .workgroup_processor_mode: 1
  - .args:
      - .offset:         0
        .size:           4
        .value_kind:     by_value
      - .address_space:  global
        .offset:         8
        .size:           8
        .value_kind:     global_buffer
      - .offset:         16
        .size:           8
        .value_kind:     by_value
      - .offset:         24
        .size:           4
        .value_kind:     by_value
      - .offset:         32
        .size:           8
        .value_kind:     by_value
      - .address_space:  global
        .offset:         40
        .size:           8
        .value_kind:     global_buffer
      - .offset:         48
        .size:           4
        .value_kind:     by_value
      - .offset:         52
        .size:           4
        .value_kind:     by_value
      - .offset:         56
        .size:           4
        .value_kind:     hidden_block_count_x
      - .offset:         60
        .size:           4
        .value_kind:     hidden_block_count_y
      - .offset:         64
        .size:           4
        .value_kind:     hidden_block_count_z
      - .offset:         68
        .size:           2
        .value_kind:     hidden_group_size_x
      - .offset:         70
        .size:           2
        .value_kind:     hidden_group_size_y
      - .offset:         72
        .size:           2
        .value_kind:     hidden_group_size_z
      - .offset:         74
        .size:           2
        .value_kind:     hidden_remainder_x
      - .offset:         76
        .size:           2
        .value_kind:     hidden_remainder_y
      - .offset:         78
        .size:           2
        .value_kind:     hidden_remainder_z
      - .offset:         96
        .size:           8
        .value_kind:     hidden_global_offset_x
      - .offset:         104
        .size:           8
        .value_kind:     hidden_global_offset_y
      - .offset:         112
        .size:           8
        .value_kind:     hidden_global_offset_z
      - .offset:         120
        .size:           2
        .value_kind:     hidden_grid_dims
      - .offset:         176
        .size:           4
        .value_kind:     hidden_dynamic_lds_size
    .group_segment_fixed_size: 0
    .kernarg_segment_align: 8
    .kernarg_segment_size: 312
    .language:       OpenCL C
    .language_version:
      - 2
      - 0
    .max_flat_workgroup_size: 512
    .name:           _ZN9rocsolver6v33100L23getf2_npvt_small_kernelILi47E19rocblas_complex_numIdEiiPKPS3_EEvT1_T3_lS7_lPT2_S7_S7_
    .private_segment_fixed_size: 908
    .sgpr_count:     18
    .sgpr_spill_count: 0
    .symbol:         _ZN9rocsolver6v33100L23getf2_npvt_small_kernelILi47E19rocblas_complex_numIdEiiPKPS3_EEvT1_T3_lS7_lPT2_S7_S7_.kd
    .uniform_work_group_size: 1
    .uses_dynamic_stack: false
    .vgpr_count:     256
    .vgpr_spill_count: 226
    .wavefront_size: 32
    .workgroup_processor_mode: 1
  - .args:
      - .offset:         0
        .size:           4
        .value_kind:     by_value
      - .address_space:  global
        .offset:         8
        .size:           8
        .value_kind:     global_buffer
      - .offset:         16
        .size:           8
        .value_kind:     by_value
      - .offset:         24
        .size:           4
        .value_kind:     by_value
      - .offset:         32
        .size:           8
        .value_kind:     by_value
      - .address_space:  global
        .offset:         40
        .size:           8
        .value_kind:     global_buffer
      - .offset:         48
        .size:           8
        .value_kind:     by_value
      - .offset:         56
        .size:           8
        .value_kind:     by_value
      - .address_space:  global
        .offset:         64
        .size:           8
        .value_kind:     global_buffer
      - .offset:         72
        .size:           4
        .value_kind:     by_value
      - .offset:         76
        .size:           4
        .value_kind:     by_value
      - .address_space:  global
        .offset:         80
        .size:           8
        .value_kind:     global_buffer
      - .offset:         88
        .size:           8
        .value_kind:     by_value
      - .offset:         96
        .size:           4
        .value_kind:     hidden_block_count_x
      - .offset:         100
        .size:           4
        .value_kind:     hidden_block_count_y
      - .offset:         104
        .size:           4
        .value_kind:     hidden_block_count_z
      - .offset:         108
        .size:           2
        .value_kind:     hidden_group_size_x
      - .offset:         110
        .size:           2
        .value_kind:     hidden_group_size_y
      - .offset:         112
        .size:           2
        .value_kind:     hidden_group_size_z
      - .offset:         114
        .size:           2
        .value_kind:     hidden_remainder_x
      - .offset:         116
        .size:           2
        .value_kind:     hidden_remainder_y
      - .offset:         118
        .size:           2
        .value_kind:     hidden_remainder_z
      - .offset:         136
        .size:           8
        .value_kind:     hidden_global_offset_x
      - .offset:         144
        .size:           8
        .value_kind:     hidden_global_offset_y
      - .offset:         152
        .size:           8
        .value_kind:     hidden_global_offset_z
      - .offset:         160
        .size:           2
        .value_kind:     hidden_grid_dims
      - .offset:         216
        .size:           4
        .value_kind:     hidden_dynamic_lds_size
    .group_segment_fixed_size: 0
    .kernarg_segment_align: 8
    .kernarg_segment_size: 352
    .language:       OpenCL C
    .language_version:
      - 2
      - 0
    .max_flat_workgroup_size: 512
    .name:           _ZN9rocsolver6v33100L18getf2_small_kernelILi48E19rocblas_complex_numIdEiiPKPS3_EEvT1_T3_lS7_lPS7_llPT2_S7_S7_S9_l
    .private_segment_fixed_size: 0
    .sgpr_count:     20
    .sgpr_spill_count: 0
    .symbol:         _ZN9rocsolver6v33100L18getf2_small_kernelILi48E19rocblas_complex_numIdEiiPKPS3_EEvT1_T3_lS7_lPS7_llPT2_S7_S7_S9_l.kd
    .uniform_work_group_size: 1
    .uses_dynamic_stack: false
    .vgpr_count:     251
    .vgpr_spill_count: 0
    .wavefront_size: 32
    .workgroup_processor_mode: 1
  - .args:
      - .offset:         0
        .size:           4
        .value_kind:     by_value
      - .address_space:  global
        .offset:         8
        .size:           8
        .value_kind:     global_buffer
      - .offset:         16
        .size:           8
        .value_kind:     by_value
      - .offset:         24
        .size:           4
        .value_kind:     by_value
      - .offset:         32
        .size:           8
        .value_kind:     by_value
      - .address_space:  global
        .offset:         40
        .size:           8
        .value_kind:     global_buffer
      - .offset:         48
        .size:           4
        .value_kind:     by_value
      - .offset:         52
        .size:           4
        .value_kind:     by_value
      - .offset:         56
        .size:           4
        .value_kind:     hidden_block_count_x
      - .offset:         60
        .size:           4
        .value_kind:     hidden_block_count_y
      - .offset:         64
        .size:           4
        .value_kind:     hidden_block_count_z
      - .offset:         68
        .size:           2
        .value_kind:     hidden_group_size_x
      - .offset:         70
        .size:           2
        .value_kind:     hidden_group_size_y
      - .offset:         72
        .size:           2
        .value_kind:     hidden_group_size_z
      - .offset:         74
        .size:           2
        .value_kind:     hidden_remainder_x
      - .offset:         76
        .size:           2
        .value_kind:     hidden_remainder_y
      - .offset:         78
        .size:           2
        .value_kind:     hidden_remainder_z
      - .offset:         96
        .size:           8
        .value_kind:     hidden_global_offset_x
      - .offset:         104
        .size:           8
        .value_kind:     hidden_global_offset_y
      - .offset:         112
        .size:           8
        .value_kind:     hidden_global_offset_z
      - .offset:         120
        .size:           2
        .value_kind:     hidden_grid_dims
      - .offset:         176
        .size:           4
        .value_kind:     hidden_dynamic_lds_size
    .group_segment_fixed_size: 0
    .kernarg_segment_align: 8
    .kernarg_segment_size: 312
    .language:       OpenCL C
    .language_version:
      - 2
      - 0
    .max_flat_workgroup_size: 512
    .name:           _ZN9rocsolver6v33100L23getf2_npvt_small_kernelILi48E19rocblas_complex_numIdEiiPKPS3_EEvT1_T3_lS7_lPT2_S7_S7_
    .private_segment_fixed_size: 956
    .sgpr_count:     18
    .sgpr_spill_count: 0
    .symbol:         _ZN9rocsolver6v33100L23getf2_npvt_small_kernelILi48E19rocblas_complex_numIdEiiPKPS3_EEvT1_T3_lS7_lPT2_S7_S7_.kd
    .uniform_work_group_size: 1
    .uses_dynamic_stack: false
    .vgpr_count:     256
    .vgpr_spill_count: 242
    .wavefront_size: 32
    .workgroup_processor_mode: 1
  - .args:
      - .offset:         0
        .size:           4
        .value_kind:     by_value
      - .address_space:  global
        .offset:         8
        .size:           8
        .value_kind:     global_buffer
      - .offset:         16
        .size:           8
        .value_kind:     by_value
      - .offset:         24
        .size:           4
        .value_kind:     by_value
      - .offset:         32
        .size:           8
        .value_kind:     by_value
      - .address_space:  global
        .offset:         40
        .size:           8
        .value_kind:     global_buffer
      - .offset:         48
        .size:           8
        .value_kind:     by_value
      - .offset:         56
        .size:           8
        .value_kind:     by_value
      - .address_space:  global
        .offset:         64
        .size:           8
        .value_kind:     global_buffer
      - .offset:         72
        .size:           4
        .value_kind:     by_value
      - .offset:         76
        .size:           4
        .value_kind:     by_value
      - .address_space:  global
        .offset:         80
        .size:           8
        .value_kind:     global_buffer
      - .offset:         88
        .size:           8
        .value_kind:     by_value
      - .offset:         96
        .size:           4
        .value_kind:     hidden_block_count_x
      - .offset:         100
        .size:           4
        .value_kind:     hidden_block_count_y
      - .offset:         104
        .size:           4
        .value_kind:     hidden_block_count_z
      - .offset:         108
        .size:           2
        .value_kind:     hidden_group_size_x
      - .offset:         110
        .size:           2
        .value_kind:     hidden_group_size_y
      - .offset:         112
        .size:           2
        .value_kind:     hidden_group_size_z
      - .offset:         114
        .size:           2
        .value_kind:     hidden_remainder_x
      - .offset:         116
        .size:           2
        .value_kind:     hidden_remainder_y
      - .offset:         118
        .size:           2
        .value_kind:     hidden_remainder_z
      - .offset:         136
        .size:           8
        .value_kind:     hidden_global_offset_x
      - .offset:         144
        .size:           8
        .value_kind:     hidden_global_offset_y
      - .offset:         152
        .size:           8
        .value_kind:     hidden_global_offset_z
      - .offset:         160
        .size:           2
        .value_kind:     hidden_grid_dims
      - .offset:         216
        .size:           4
        .value_kind:     hidden_dynamic_lds_size
    .group_segment_fixed_size: 0
    .kernarg_segment_align: 8
    .kernarg_segment_size: 352
    .language:       OpenCL C
    .language_version:
      - 2
      - 0
    .max_flat_workgroup_size: 512
    .name:           _ZN9rocsolver6v33100L18getf2_small_kernelILi49E19rocblas_complex_numIdEiiPKPS3_EEvT1_T3_lS7_lPS7_llPT2_S7_S7_S9_l
    .private_segment_fixed_size: 0
    .sgpr_count:     20
    .sgpr_spill_count: 0
    .symbol:         _ZN9rocsolver6v33100L18getf2_small_kernelILi49E19rocblas_complex_numIdEiiPKPS3_EEvT1_T3_lS7_lPS7_llPT2_S7_S7_S9_l.kd
    .uniform_work_group_size: 1
    .uses_dynamic_stack: false
    .vgpr_count:     247
    .vgpr_spill_count: 0
    .wavefront_size: 32
    .workgroup_processor_mode: 1
  - .args:
      - .offset:         0
        .size:           4
        .value_kind:     by_value
      - .address_space:  global
        .offset:         8
        .size:           8
        .value_kind:     global_buffer
      - .offset:         16
        .size:           8
        .value_kind:     by_value
      - .offset:         24
        .size:           4
        .value_kind:     by_value
      - .offset:         32
        .size:           8
        .value_kind:     by_value
      - .address_space:  global
        .offset:         40
        .size:           8
        .value_kind:     global_buffer
      - .offset:         48
        .size:           4
        .value_kind:     by_value
      - .offset:         52
        .size:           4
        .value_kind:     by_value
      - .offset:         56
        .size:           4
        .value_kind:     hidden_block_count_x
      - .offset:         60
        .size:           4
        .value_kind:     hidden_block_count_y
      - .offset:         64
        .size:           4
        .value_kind:     hidden_block_count_z
      - .offset:         68
        .size:           2
        .value_kind:     hidden_group_size_x
      - .offset:         70
        .size:           2
        .value_kind:     hidden_group_size_y
      - .offset:         72
        .size:           2
        .value_kind:     hidden_group_size_z
      - .offset:         74
        .size:           2
        .value_kind:     hidden_remainder_x
      - .offset:         76
        .size:           2
        .value_kind:     hidden_remainder_y
      - .offset:         78
        .size:           2
        .value_kind:     hidden_remainder_z
      - .offset:         96
        .size:           8
        .value_kind:     hidden_global_offset_x
      - .offset:         104
        .size:           8
        .value_kind:     hidden_global_offset_y
      - .offset:         112
        .size:           8
        .value_kind:     hidden_global_offset_z
      - .offset:         120
        .size:           2
        .value_kind:     hidden_grid_dims
      - .offset:         176
        .size:           4
        .value_kind:     hidden_dynamic_lds_size
    .group_segment_fixed_size: 0
    .kernarg_segment_align: 8
    .kernarg_segment_size: 312
    .language:       OpenCL C
    .language_version:
      - 2
      - 0
    .max_flat_workgroup_size: 512
    .name:           _ZN9rocsolver6v33100L23getf2_npvt_small_kernelILi49E19rocblas_complex_numIdEiiPKPS3_EEvT1_T3_lS7_lPT2_S7_S7_
    .private_segment_fixed_size: 996
    .sgpr_count:     18
    .sgpr_spill_count: 0
    .symbol:         _ZN9rocsolver6v33100L23getf2_npvt_small_kernelILi49E19rocblas_complex_numIdEiiPKPS3_EEvT1_T3_lS7_lPT2_S7_S7_.kd
    .uniform_work_group_size: 1
    .uses_dynamic_stack: false
    .vgpr_count:     256
    .vgpr_spill_count: 260
    .wavefront_size: 32
    .workgroup_processor_mode: 1
  - .args:
      - .offset:         0
        .size:           4
        .value_kind:     by_value
      - .address_space:  global
        .offset:         8
        .size:           8
        .value_kind:     global_buffer
      - .offset:         16
        .size:           8
        .value_kind:     by_value
      - .offset:         24
        .size:           4
        .value_kind:     by_value
      - .offset:         32
        .size:           8
        .value_kind:     by_value
      - .address_space:  global
        .offset:         40
        .size:           8
        .value_kind:     global_buffer
      - .offset:         48
        .size:           8
        .value_kind:     by_value
      - .offset:         56
        .size:           8
        .value_kind:     by_value
      - .address_space:  global
        .offset:         64
        .size:           8
        .value_kind:     global_buffer
      - .offset:         72
        .size:           4
        .value_kind:     by_value
      - .offset:         76
        .size:           4
        .value_kind:     by_value
      - .address_space:  global
        .offset:         80
        .size:           8
        .value_kind:     global_buffer
      - .offset:         88
        .size:           8
        .value_kind:     by_value
      - .offset:         96
        .size:           4
        .value_kind:     hidden_block_count_x
      - .offset:         100
        .size:           4
        .value_kind:     hidden_block_count_y
      - .offset:         104
        .size:           4
        .value_kind:     hidden_block_count_z
      - .offset:         108
        .size:           2
        .value_kind:     hidden_group_size_x
      - .offset:         110
        .size:           2
        .value_kind:     hidden_group_size_y
      - .offset:         112
        .size:           2
        .value_kind:     hidden_group_size_z
      - .offset:         114
        .size:           2
        .value_kind:     hidden_remainder_x
      - .offset:         116
        .size:           2
        .value_kind:     hidden_remainder_y
      - .offset:         118
        .size:           2
        .value_kind:     hidden_remainder_z
      - .offset:         136
        .size:           8
        .value_kind:     hidden_global_offset_x
      - .offset:         144
        .size:           8
        .value_kind:     hidden_global_offset_y
      - .offset:         152
        .size:           8
        .value_kind:     hidden_global_offset_z
      - .offset:         160
        .size:           2
        .value_kind:     hidden_grid_dims
      - .offset:         216
        .size:           4
        .value_kind:     hidden_dynamic_lds_size
    .group_segment_fixed_size: 0
    .kernarg_segment_align: 8
    .kernarg_segment_size: 352
    .language:       OpenCL C
    .language_version:
      - 2
      - 0
    .max_flat_workgroup_size: 512
    .name:           _ZN9rocsolver6v33100L18getf2_small_kernelILi50E19rocblas_complex_numIdEiiPKPS3_EEvT1_T3_lS7_lPS7_llPT2_S7_S7_S9_l
    .private_segment_fixed_size: 0
    .sgpr_count:     20
    .sgpr_spill_count: 0
    .symbol:         _ZN9rocsolver6v33100L18getf2_small_kernelILi50E19rocblas_complex_numIdEiiPKPS3_EEvT1_T3_lS7_lPS7_llPT2_S7_S7_S9_l.kd
    .uniform_work_group_size: 1
    .uses_dynamic_stack: false
    .vgpr_count:     251
    .vgpr_spill_count: 0
    .wavefront_size: 32
    .workgroup_processor_mode: 1
  - .args:
      - .offset:         0
        .size:           4
        .value_kind:     by_value
      - .address_space:  global
        .offset:         8
        .size:           8
        .value_kind:     global_buffer
      - .offset:         16
        .size:           8
        .value_kind:     by_value
      - .offset:         24
        .size:           4
        .value_kind:     by_value
      - .offset:         32
        .size:           8
        .value_kind:     by_value
      - .address_space:  global
        .offset:         40
        .size:           8
        .value_kind:     global_buffer
      - .offset:         48
        .size:           4
        .value_kind:     by_value
      - .offset:         52
        .size:           4
        .value_kind:     by_value
      - .offset:         56
        .size:           4
        .value_kind:     hidden_block_count_x
      - .offset:         60
        .size:           4
        .value_kind:     hidden_block_count_y
      - .offset:         64
        .size:           4
        .value_kind:     hidden_block_count_z
      - .offset:         68
        .size:           2
        .value_kind:     hidden_group_size_x
      - .offset:         70
        .size:           2
        .value_kind:     hidden_group_size_y
      - .offset:         72
        .size:           2
        .value_kind:     hidden_group_size_z
      - .offset:         74
        .size:           2
        .value_kind:     hidden_remainder_x
      - .offset:         76
        .size:           2
        .value_kind:     hidden_remainder_y
      - .offset:         78
        .size:           2
        .value_kind:     hidden_remainder_z
      - .offset:         96
        .size:           8
        .value_kind:     hidden_global_offset_x
      - .offset:         104
        .size:           8
        .value_kind:     hidden_global_offset_y
      - .offset:         112
        .size:           8
        .value_kind:     hidden_global_offset_z
      - .offset:         120
        .size:           2
        .value_kind:     hidden_grid_dims
      - .offset:         176
        .size:           4
        .value_kind:     hidden_dynamic_lds_size
    .group_segment_fixed_size: 0
    .kernarg_segment_align: 8
    .kernarg_segment_size: 312
    .language:       OpenCL C
    .language_version:
      - 2
      - 0
    .max_flat_workgroup_size: 512
    .name:           _ZN9rocsolver6v33100L23getf2_npvt_small_kernelILi50E19rocblas_complex_numIdEiiPKPS3_EEvT1_T3_lS7_lPT2_S7_S7_
    .private_segment_fixed_size: 1036
    .sgpr_count:     18
    .sgpr_spill_count: 0
    .symbol:         _ZN9rocsolver6v33100L23getf2_npvt_small_kernelILi50E19rocblas_complex_numIdEiiPKPS3_EEvT1_T3_lS7_lPT2_S7_S7_.kd
    .uniform_work_group_size: 1
    .uses_dynamic_stack: false
    .vgpr_count:     256
    .vgpr_spill_count: 270
    .wavefront_size: 32
    .workgroup_processor_mode: 1
  - .args:
      - .offset:         0
        .size:           4
        .value_kind:     by_value
      - .address_space:  global
        .offset:         8
        .size:           8
        .value_kind:     global_buffer
      - .offset:         16
        .size:           8
        .value_kind:     by_value
      - .offset:         24
        .size:           4
        .value_kind:     by_value
      - .offset:         32
        .size:           8
        .value_kind:     by_value
      - .address_space:  global
        .offset:         40
        .size:           8
        .value_kind:     global_buffer
      - .offset:         48
        .size:           8
        .value_kind:     by_value
      - .offset:         56
        .size:           8
        .value_kind:     by_value
      - .address_space:  global
        .offset:         64
        .size:           8
        .value_kind:     global_buffer
      - .offset:         72
        .size:           4
        .value_kind:     by_value
      - .offset:         76
        .size:           4
        .value_kind:     by_value
      - .address_space:  global
        .offset:         80
        .size:           8
        .value_kind:     global_buffer
      - .offset:         88
        .size:           8
        .value_kind:     by_value
      - .offset:         96
        .size:           4
        .value_kind:     hidden_block_count_x
      - .offset:         100
        .size:           4
        .value_kind:     hidden_block_count_y
      - .offset:         104
        .size:           4
        .value_kind:     hidden_block_count_z
      - .offset:         108
        .size:           2
        .value_kind:     hidden_group_size_x
      - .offset:         110
        .size:           2
        .value_kind:     hidden_group_size_y
      - .offset:         112
        .size:           2
        .value_kind:     hidden_group_size_z
      - .offset:         114
        .size:           2
        .value_kind:     hidden_remainder_x
      - .offset:         116
        .size:           2
        .value_kind:     hidden_remainder_y
      - .offset:         118
        .size:           2
        .value_kind:     hidden_remainder_z
      - .offset:         136
        .size:           8
        .value_kind:     hidden_global_offset_x
      - .offset:         144
        .size:           8
        .value_kind:     hidden_global_offset_y
      - .offset:         152
        .size:           8
        .value_kind:     hidden_global_offset_z
      - .offset:         160
        .size:           2
        .value_kind:     hidden_grid_dims
      - .offset:         216
        .size:           4
        .value_kind:     hidden_dynamic_lds_size
    .group_segment_fixed_size: 0
    .kernarg_segment_align: 8
    .kernarg_segment_size: 352
    .language:       OpenCL C
    .language_version:
      - 2
      - 0
    .max_flat_workgroup_size: 512
    .name:           _ZN9rocsolver6v33100L18getf2_small_kernelILi51E19rocblas_complex_numIdEiiPKPS3_EEvT1_T3_lS7_lPS7_llPT2_S7_S7_S9_l
    .private_segment_fixed_size: 0
    .sgpr_count:     20
    .sgpr_spill_count: 0
    .symbol:         _ZN9rocsolver6v33100L18getf2_small_kernelILi51E19rocblas_complex_numIdEiiPKPS3_EEvT1_T3_lS7_lPS7_llPT2_S7_S7_S9_l.kd
    .uniform_work_group_size: 1
    .uses_dynamic_stack: false
    .vgpr_count:     247
    .vgpr_spill_count: 0
    .wavefront_size: 32
    .workgroup_processor_mode: 1
  - .args:
      - .offset:         0
        .size:           4
        .value_kind:     by_value
      - .address_space:  global
        .offset:         8
        .size:           8
        .value_kind:     global_buffer
      - .offset:         16
        .size:           8
        .value_kind:     by_value
      - .offset:         24
        .size:           4
        .value_kind:     by_value
      - .offset:         32
        .size:           8
        .value_kind:     by_value
      - .address_space:  global
        .offset:         40
        .size:           8
        .value_kind:     global_buffer
      - .offset:         48
        .size:           4
        .value_kind:     by_value
      - .offset:         52
        .size:           4
        .value_kind:     by_value
      - .offset:         56
        .size:           4
        .value_kind:     hidden_block_count_x
      - .offset:         60
        .size:           4
        .value_kind:     hidden_block_count_y
      - .offset:         64
        .size:           4
        .value_kind:     hidden_block_count_z
      - .offset:         68
        .size:           2
        .value_kind:     hidden_group_size_x
      - .offset:         70
        .size:           2
        .value_kind:     hidden_group_size_y
      - .offset:         72
        .size:           2
        .value_kind:     hidden_group_size_z
      - .offset:         74
        .size:           2
        .value_kind:     hidden_remainder_x
      - .offset:         76
        .size:           2
        .value_kind:     hidden_remainder_y
      - .offset:         78
        .size:           2
        .value_kind:     hidden_remainder_z
      - .offset:         96
        .size:           8
        .value_kind:     hidden_global_offset_x
      - .offset:         104
        .size:           8
        .value_kind:     hidden_global_offset_y
      - .offset:         112
        .size:           8
        .value_kind:     hidden_global_offset_z
      - .offset:         120
        .size:           2
        .value_kind:     hidden_grid_dims
      - .offset:         176
        .size:           4
        .value_kind:     hidden_dynamic_lds_size
    .group_segment_fixed_size: 0
    .kernarg_segment_align: 8
    .kernarg_segment_size: 312
    .language:       OpenCL C
    .language_version:
      - 2
      - 0
    .max_flat_workgroup_size: 512
    .name:           _ZN9rocsolver6v33100L23getf2_npvt_small_kernelILi51E19rocblas_complex_numIdEiiPKPS3_EEvT1_T3_lS7_lPT2_S7_S7_
    .private_segment_fixed_size: 1092
    .sgpr_count:     20
    .sgpr_spill_count: 0
    .symbol:         _ZN9rocsolver6v33100L23getf2_npvt_small_kernelILi51E19rocblas_complex_numIdEiiPKPS3_EEvT1_T3_lS7_lPT2_S7_S7_.kd
    .uniform_work_group_size: 1
    .uses_dynamic_stack: false
    .vgpr_count:     256
    .vgpr_spill_count: 273
    .wavefront_size: 32
    .workgroup_processor_mode: 1
  - .args:
      - .offset:         0
        .size:           4
        .value_kind:     by_value
      - .address_space:  global
        .offset:         8
        .size:           8
        .value_kind:     global_buffer
      - .offset:         16
        .size:           8
        .value_kind:     by_value
      - .offset:         24
        .size:           4
        .value_kind:     by_value
      - .offset:         32
        .size:           8
        .value_kind:     by_value
      - .address_space:  global
        .offset:         40
        .size:           8
        .value_kind:     global_buffer
      - .offset:         48
        .size:           8
        .value_kind:     by_value
      - .offset:         56
        .size:           8
        .value_kind:     by_value
      - .address_space:  global
        .offset:         64
        .size:           8
        .value_kind:     global_buffer
      - .offset:         72
        .size:           4
        .value_kind:     by_value
      - .offset:         76
        .size:           4
        .value_kind:     by_value
      - .address_space:  global
        .offset:         80
        .size:           8
        .value_kind:     global_buffer
      - .offset:         88
        .size:           8
        .value_kind:     by_value
      - .offset:         96
        .size:           4
        .value_kind:     hidden_block_count_x
      - .offset:         100
        .size:           4
        .value_kind:     hidden_block_count_y
      - .offset:         104
        .size:           4
        .value_kind:     hidden_block_count_z
      - .offset:         108
        .size:           2
        .value_kind:     hidden_group_size_x
      - .offset:         110
        .size:           2
        .value_kind:     hidden_group_size_y
      - .offset:         112
        .size:           2
        .value_kind:     hidden_group_size_z
      - .offset:         114
        .size:           2
        .value_kind:     hidden_remainder_x
      - .offset:         116
        .size:           2
        .value_kind:     hidden_remainder_y
      - .offset:         118
        .size:           2
        .value_kind:     hidden_remainder_z
      - .offset:         136
        .size:           8
        .value_kind:     hidden_global_offset_x
      - .offset:         144
        .size:           8
        .value_kind:     hidden_global_offset_y
      - .offset:         152
        .size:           8
        .value_kind:     hidden_global_offset_z
      - .offset:         160
        .size:           2
        .value_kind:     hidden_grid_dims
      - .offset:         216
        .size:           4
        .value_kind:     hidden_dynamic_lds_size
    .group_segment_fixed_size: 0
    .kernarg_segment_align: 8
    .kernarg_segment_size: 352
    .language:       OpenCL C
    .language_version:
      - 2
      - 0
    .max_flat_workgroup_size: 512
    .name:           _ZN9rocsolver6v33100L18getf2_small_kernelILi52E19rocblas_complex_numIdEiiPKPS3_EEvT1_T3_lS7_lPS7_llPT2_S7_S7_S9_l
    .private_segment_fixed_size: 0
    .sgpr_count:     20
    .sgpr_spill_count: 0
    .symbol:         _ZN9rocsolver6v33100L18getf2_small_kernelILi52E19rocblas_complex_numIdEiiPKPS3_EEvT1_T3_lS7_lPS7_llPT2_S7_S7_S9_l.kd
    .uniform_work_group_size: 1
    .uses_dynamic_stack: false
    .vgpr_count:     252
    .vgpr_spill_count: 0
    .wavefront_size: 32
    .workgroup_processor_mode: 1
  - .args:
      - .offset:         0
        .size:           4
        .value_kind:     by_value
      - .address_space:  global
        .offset:         8
        .size:           8
        .value_kind:     global_buffer
      - .offset:         16
        .size:           8
        .value_kind:     by_value
      - .offset:         24
        .size:           4
        .value_kind:     by_value
      - .offset:         32
        .size:           8
        .value_kind:     by_value
      - .address_space:  global
        .offset:         40
        .size:           8
        .value_kind:     global_buffer
      - .offset:         48
        .size:           4
        .value_kind:     by_value
      - .offset:         52
        .size:           4
        .value_kind:     by_value
      - .offset:         56
        .size:           4
        .value_kind:     hidden_block_count_x
      - .offset:         60
        .size:           4
        .value_kind:     hidden_block_count_y
      - .offset:         64
        .size:           4
        .value_kind:     hidden_block_count_z
      - .offset:         68
        .size:           2
        .value_kind:     hidden_group_size_x
      - .offset:         70
        .size:           2
        .value_kind:     hidden_group_size_y
      - .offset:         72
        .size:           2
        .value_kind:     hidden_group_size_z
      - .offset:         74
        .size:           2
        .value_kind:     hidden_remainder_x
      - .offset:         76
        .size:           2
        .value_kind:     hidden_remainder_y
      - .offset:         78
        .size:           2
        .value_kind:     hidden_remainder_z
      - .offset:         96
        .size:           8
        .value_kind:     hidden_global_offset_x
      - .offset:         104
        .size:           8
        .value_kind:     hidden_global_offset_y
      - .offset:         112
        .size:           8
        .value_kind:     hidden_global_offset_z
      - .offset:         120
        .size:           2
        .value_kind:     hidden_grid_dims
      - .offset:         176
        .size:           4
        .value_kind:     hidden_dynamic_lds_size
    .group_segment_fixed_size: 0
    .kernarg_segment_align: 8
    .kernarg_segment_size: 312
    .language:       OpenCL C
    .language_version:
      - 2
      - 0
    .max_flat_workgroup_size: 512
    .name:           _ZN9rocsolver6v33100L23getf2_npvt_small_kernelILi52E19rocblas_complex_numIdEiiPKPS3_EEvT1_T3_lS7_lPT2_S7_S7_
    .private_segment_fixed_size: 1116
    .sgpr_count:     20
    .sgpr_spill_count: 0
    .symbol:         _ZN9rocsolver6v33100L23getf2_npvt_small_kernelILi52E19rocblas_complex_numIdEiiPKPS3_EEvT1_T3_lS7_lPT2_S7_S7_.kd
    .uniform_work_group_size: 1
    .uses_dynamic_stack: false
    .vgpr_count:     256
    .vgpr_spill_count: 290
    .wavefront_size: 32
    .workgroup_processor_mode: 1
  - .args:
      - .offset:         0
        .size:           4
        .value_kind:     by_value
      - .address_space:  global
        .offset:         8
        .size:           8
        .value_kind:     global_buffer
      - .offset:         16
        .size:           8
        .value_kind:     by_value
      - .offset:         24
        .size:           4
        .value_kind:     by_value
      - .offset:         32
        .size:           8
        .value_kind:     by_value
      - .address_space:  global
        .offset:         40
        .size:           8
        .value_kind:     global_buffer
      - .offset:         48
        .size:           8
        .value_kind:     by_value
      - .offset:         56
        .size:           8
        .value_kind:     by_value
      - .address_space:  global
        .offset:         64
        .size:           8
        .value_kind:     global_buffer
      - .offset:         72
        .size:           4
        .value_kind:     by_value
      - .offset:         76
        .size:           4
        .value_kind:     by_value
      - .address_space:  global
        .offset:         80
        .size:           8
        .value_kind:     global_buffer
      - .offset:         88
        .size:           8
        .value_kind:     by_value
      - .offset:         96
        .size:           4
        .value_kind:     hidden_block_count_x
      - .offset:         100
        .size:           4
        .value_kind:     hidden_block_count_y
      - .offset:         104
        .size:           4
        .value_kind:     hidden_block_count_z
      - .offset:         108
        .size:           2
        .value_kind:     hidden_group_size_x
      - .offset:         110
        .size:           2
        .value_kind:     hidden_group_size_y
      - .offset:         112
        .size:           2
        .value_kind:     hidden_group_size_z
      - .offset:         114
        .size:           2
        .value_kind:     hidden_remainder_x
      - .offset:         116
        .size:           2
        .value_kind:     hidden_remainder_y
      - .offset:         118
        .size:           2
        .value_kind:     hidden_remainder_z
      - .offset:         136
        .size:           8
        .value_kind:     hidden_global_offset_x
      - .offset:         144
        .size:           8
        .value_kind:     hidden_global_offset_y
      - .offset:         152
        .size:           8
        .value_kind:     hidden_global_offset_z
      - .offset:         160
        .size:           2
        .value_kind:     hidden_grid_dims
      - .offset:         216
        .size:           4
        .value_kind:     hidden_dynamic_lds_size
    .group_segment_fixed_size: 0
    .kernarg_segment_align: 8
    .kernarg_segment_size: 352
    .language:       OpenCL C
    .language_version:
      - 2
      - 0
    .max_flat_workgroup_size: 512
    .name:           _ZN9rocsolver6v33100L18getf2_small_kernelILi53E19rocblas_complex_numIdEiiPKPS3_EEvT1_T3_lS7_lPS7_llPT2_S7_S7_S9_l
    .private_segment_fixed_size: 0
    .sgpr_count:     20
    .sgpr_spill_count: 0
    .symbol:         _ZN9rocsolver6v33100L18getf2_small_kernelILi53E19rocblas_complex_numIdEiiPKPS3_EEvT1_T3_lS7_lPS7_llPT2_S7_S7_S9_l.kd
    .uniform_work_group_size: 1
    .uses_dynamic_stack: false
    .vgpr_count:     256
    .vgpr_spill_count: 0
    .wavefront_size: 32
    .workgroup_processor_mode: 1
  - .args:
      - .offset:         0
        .size:           4
        .value_kind:     by_value
      - .address_space:  global
        .offset:         8
        .size:           8
        .value_kind:     global_buffer
      - .offset:         16
        .size:           8
        .value_kind:     by_value
      - .offset:         24
        .size:           4
        .value_kind:     by_value
      - .offset:         32
        .size:           8
        .value_kind:     by_value
      - .address_space:  global
        .offset:         40
        .size:           8
        .value_kind:     global_buffer
      - .offset:         48
        .size:           4
        .value_kind:     by_value
      - .offset:         52
        .size:           4
        .value_kind:     by_value
      - .offset:         56
        .size:           4
        .value_kind:     hidden_block_count_x
      - .offset:         60
        .size:           4
        .value_kind:     hidden_block_count_y
      - .offset:         64
        .size:           4
        .value_kind:     hidden_block_count_z
      - .offset:         68
        .size:           2
        .value_kind:     hidden_group_size_x
      - .offset:         70
        .size:           2
        .value_kind:     hidden_group_size_y
      - .offset:         72
        .size:           2
        .value_kind:     hidden_group_size_z
      - .offset:         74
        .size:           2
        .value_kind:     hidden_remainder_x
      - .offset:         76
        .size:           2
        .value_kind:     hidden_remainder_y
      - .offset:         78
        .size:           2
        .value_kind:     hidden_remainder_z
      - .offset:         96
        .size:           8
        .value_kind:     hidden_global_offset_x
      - .offset:         104
        .size:           8
        .value_kind:     hidden_global_offset_y
      - .offset:         112
        .size:           8
        .value_kind:     hidden_global_offset_z
      - .offset:         120
        .size:           2
        .value_kind:     hidden_grid_dims
      - .offset:         176
        .size:           4
        .value_kind:     hidden_dynamic_lds_size
    .group_segment_fixed_size: 0
    .kernarg_segment_align: 8
    .kernarg_segment_size: 312
    .language:       OpenCL C
    .language_version:
      - 2
      - 0
    .max_flat_workgroup_size: 512
    .name:           _ZN9rocsolver6v33100L23getf2_npvt_small_kernelILi53E19rocblas_complex_numIdEiiPKPS3_EEvT1_T3_lS7_lPT2_S7_S7_
    .private_segment_fixed_size: 1156
    .sgpr_count:     20
    .sgpr_spill_count: 0
    .symbol:         _ZN9rocsolver6v33100L23getf2_npvt_small_kernelILi53E19rocblas_complex_numIdEiiPKPS3_EEvT1_T3_lS7_lPT2_S7_S7_.kd
    .uniform_work_group_size: 1
    .uses_dynamic_stack: false
    .vgpr_count:     256
    .vgpr_spill_count: 292
    .wavefront_size: 32
    .workgroup_processor_mode: 1
  - .args:
      - .offset:         0
        .size:           4
        .value_kind:     by_value
      - .address_space:  global
        .offset:         8
        .size:           8
        .value_kind:     global_buffer
      - .offset:         16
        .size:           8
        .value_kind:     by_value
      - .offset:         24
        .size:           4
        .value_kind:     by_value
      - .offset:         32
        .size:           8
        .value_kind:     by_value
      - .address_space:  global
        .offset:         40
        .size:           8
        .value_kind:     global_buffer
      - .offset:         48
        .size:           8
        .value_kind:     by_value
      - .offset:         56
        .size:           8
        .value_kind:     by_value
      - .address_space:  global
        .offset:         64
        .size:           8
        .value_kind:     global_buffer
      - .offset:         72
        .size:           4
        .value_kind:     by_value
      - .offset:         76
        .size:           4
        .value_kind:     by_value
      - .address_space:  global
        .offset:         80
        .size:           8
        .value_kind:     global_buffer
      - .offset:         88
        .size:           8
        .value_kind:     by_value
      - .offset:         96
        .size:           4
        .value_kind:     hidden_block_count_x
      - .offset:         100
        .size:           4
        .value_kind:     hidden_block_count_y
      - .offset:         104
        .size:           4
        .value_kind:     hidden_block_count_z
      - .offset:         108
        .size:           2
        .value_kind:     hidden_group_size_x
      - .offset:         110
        .size:           2
        .value_kind:     hidden_group_size_y
      - .offset:         112
        .size:           2
        .value_kind:     hidden_group_size_z
      - .offset:         114
        .size:           2
        .value_kind:     hidden_remainder_x
      - .offset:         116
        .size:           2
        .value_kind:     hidden_remainder_y
      - .offset:         118
        .size:           2
        .value_kind:     hidden_remainder_z
      - .offset:         136
        .size:           8
        .value_kind:     hidden_global_offset_x
      - .offset:         144
        .size:           8
        .value_kind:     hidden_global_offset_y
      - .offset:         152
        .size:           8
        .value_kind:     hidden_global_offset_z
      - .offset:         160
        .size:           2
        .value_kind:     hidden_grid_dims
      - .offset:         216
        .size:           4
        .value_kind:     hidden_dynamic_lds_size
    .group_segment_fixed_size: 0
    .kernarg_segment_align: 8
    .kernarg_segment_size: 352
    .language:       OpenCL C
    .language_version:
      - 2
      - 0
    .max_flat_workgroup_size: 512
    .name:           _ZN9rocsolver6v33100L18getf2_small_kernelILi54E19rocblas_complex_numIdEiiPKPS3_EEvT1_T3_lS7_lPS7_llPT2_S7_S7_S9_l
    .private_segment_fixed_size: 20
    .sgpr_count:     20
    .sgpr_spill_count: 0
    .symbol:         _ZN9rocsolver6v33100L18getf2_small_kernelILi54E19rocblas_complex_numIdEiiPKPS3_EEvT1_T3_lS7_lPS7_llPT2_S7_S7_S9_l.kd
    .uniform_work_group_size: 1
    .uses_dynamic_stack: false
    .vgpr_count:     256
    .vgpr_spill_count: 8
    .wavefront_size: 32
    .workgroup_processor_mode: 1
  - .args:
      - .offset:         0
        .size:           4
        .value_kind:     by_value
      - .address_space:  global
        .offset:         8
        .size:           8
        .value_kind:     global_buffer
      - .offset:         16
        .size:           8
        .value_kind:     by_value
      - .offset:         24
        .size:           4
        .value_kind:     by_value
      - .offset:         32
        .size:           8
        .value_kind:     by_value
      - .address_space:  global
        .offset:         40
        .size:           8
        .value_kind:     global_buffer
      - .offset:         48
        .size:           4
        .value_kind:     by_value
      - .offset:         52
        .size:           4
        .value_kind:     by_value
      - .offset:         56
        .size:           4
        .value_kind:     hidden_block_count_x
      - .offset:         60
        .size:           4
        .value_kind:     hidden_block_count_y
      - .offset:         64
        .size:           4
        .value_kind:     hidden_block_count_z
      - .offset:         68
        .size:           2
        .value_kind:     hidden_group_size_x
      - .offset:         70
        .size:           2
        .value_kind:     hidden_group_size_y
      - .offset:         72
        .size:           2
        .value_kind:     hidden_group_size_z
      - .offset:         74
        .size:           2
        .value_kind:     hidden_remainder_x
      - .offset:         76
        .size:           2
        .value_kind:     hidden_remainder_y
      - .offset:         78
        .size:           2
        .value_kind:     hidden_remainder_z
      - .offset:         96
        .size:           8
        .value_kind:     hidden_global_offset_x
      - .offset:         104
        .size:           8
        .value_kind:     hidden_global_offset_y
      - .offset:         112
        .size:           8
        .value_kind:     hidden_global_offset_z
      - .offset:         120
        .size:           2
        .value_kind:     hidden_grid_dims
      - .offset:         176
        .size:           4
        .value_kind:     hidden_dynamic_lds_size
    .group_segment_fixed_size: 0
    .kernarg_segment_align: 8
    .kernarg_segment_size: 312
    .language:       OpenCL C
    .language_version:
      - 2
      - 0
    .max_flat_workgroup_size: 512
    .name:           _ZN9rocsolver6v33100L23getf2_npvt_small_kernelILi54E19rocblas_complex_numIdEiiPKPS3_EEvT1_T3_lS7_lPT2_S7_S7_
    .private_segment_fixed_size: 1196
    .sgpr_count:     20
    .sgpr_spill_count: 0
    .symbol:         _ZN9rocsolver6v33100L23getf2_npvt_small_kernelILi54E19rocblas_complex_numIdEiiPKPS3_EEvT1_T3_lS7_lPT2_S7_S7_.kd
    .uniform_work_group_size: 1
    .uses_dynamic_stack: false
    .vgpr_count:     256
    .vgpr_spill_count: 322
    .wavefront_size: 32
    .workgroup_processor_mode: 1
  - .args:
      - .offset:         0
        .size:           4
        .value_kind:     by_value
      - .address_space:  global
        .offset:         8
        .size:           8
        .value_kind:     global_buffer
      - .offset:         16
        .size:           8
        .value_kind:     by_value
      - .offset:         24
        .size:           4
        .value_kind:     by_value
      - .offset:         32
        .size:           8
        .value_kind:     by_value
      - .address_space:  global
        .offset:         40
        .size:           8
        .value_kind:     global_buffer
      - .offset:         48
        .size:           8
        .value_kind:     by_value
      - .offset:         56
        .size:           8
        .value_kind:     by_value
      - .address_space:  global
        .offset:         64
        .size:           8
        .value_kind:     global_buffer
      - .offset:         72
        .size:           4
        .value_kind:     by_value
      - .offset:         76
        .size:           4
        .value_kind:     by_value
      - .address_space:  global
        .offset:         80
        .size:           8
        .value_kind:     global_buffer
      - .offset:         88
        .size:           8
        .value_kind:     by_value
      - .offset:         96
        .size:           4
        .value_kind:     hidden_block_count_x
      - .offset:         100
        .size:           4
        .value_kind:     hidden_block_count_y
      - .offset:         104
        .size:           4
        .value_kind:     hidden_block_count_z
      - .offset:         108
        .size:           2
        .value_kind:     hidden_group_size_x
      - .offset:         110
        .size:           2
        .value_kind:     hidden_group_size_y
      - .offset:         112
        .size:           2
        .value_kind:     hidden_group_size_z
      - .offset:         114
        .size:           2
        .value_kind:     hidden_remainder_x
      - .offset:         116
        .size:           2
        .value_kind:     hidden_remainder_y
      - .offset:         118
        .size:           2
        .value_kind:     hidden_remainder_z
      - .offset:         136
        .size:           8
        .value_kind:     hidden_global_offset_x
      - .offset:         144
        .size:           8
        .value_kind:     hidden_global_offset_y
      - .offset:         152
        .size:           8
        .value_kind:     hidden_global_offset_z
      - .offset:         160
        .size:           2
        .value_kind:     hidden_grid_dims
      - .offset:         216
        .size:           4
        .value_kind:     hidden_dynamic_lds_size
    .group_segment_fixed_size: 0
    .kernarg_segment_align: 8
    .kernarg_segment_size: 352
    .language:       OpenCL C
    .language_version:
      - 2
      - 0
    .max_flat_workgroup_size: 512
    .name:           _ZN9rocsolver6v33100L18getf2_small_kernelILi55E19rocblas_complex_numIdEiiPKPS3_EEvT1_T3_lS7_lPS7_llPT2_S7_S7_S9_l
    .private_segment_fixed_size: 48
    .sgpr_count:     20
    .sgpr_spill_count: 0
    .symbol:         _ZN9rocsolver6v33100L18getf2_small_kernelILi55E19rocblas_complex_numIdEiiPKPS3_EEvT1_T3_lS7_lPS7_llPT2_S7_S7_S9_l.kd
    .uniform_work_group_size: 1
    .uses_dynamic_stack: false
    .vgpr_count:     256
    .vgpr_spill_count: 11
    .wavefront_size: 32
    .workgroup_processor_mode: 1
  - .args:
      - .offset:         0
        .size:           4
        .value_kind:     by_value
      - .address_space:  global
        .offset:         8
        .size:           8
        .value_kind:     global_buffer
      - .offset:         16
        .size:           8
        .value_kind:     by_value
      - .offset:         24
        .size:           4
        .value_kind:     by_value
      - .offset:         32
        .size:           8
        .value_kind:     by_value
      - .address_space:  global
        .offset:         40
        .size:           8
        .value_kind:     global_buffer
      - .offset:         48
        .size:           4
        .value_kind:     by_value
      - .offset:         52
        .size:           4
        .value_kind:     by_value
      - .offset:         56
        .size:           4
        .value_kind:     hidden_block_count_x
      - .offset:         60
        .size:           4
        .value_kind:     hidden_block_count_y
      - .offset:         64
        .size:           4
        .value_kind:     hidden_block_count_z
      - .offset:         68
        .size:           2
        .value_kind:     hidden_group_size_x
      - .offset:         70
        .size:           2
        .value_kind:     hidden_group_size_y
      - .offset:         72
        .size:           2
        .value_kind:     hidden_group_size_z
      - .offset:         74
        .size:           2
        .value_kind:     hidden_remainder_x
      - .offset:         76
        .size:           2
        .value_kind:     hidden_remainder_y
      - .offset:         78
        .size:           2
        .value_kind:     hidden_remainder_z
      - .offset:         96
        .size:           8
        .value_kind:     hidden_global_offset_x
      - .offset:         104
        .size:           8
        .value_kind:     hidden_global_offset_y
      - .offset:         112
        .size:           8
        .value_kind:     hidden_global_offset_z
      - .offset:         120
        .size:           2
        .value_kind:     hidden_grid_dims
      - .offset:         176
        .size:           4
        .value_kind:     hidden_dynamic_lds_size
    .group_segment_fixed_size: 0
    .kernarg_segment_align: 8
    .kernarg_segment_size: 312
    .language:       OpenCL C
    .language_version:
      - 2
      - 0
    .max_flat_workgroup_size: 512
    .name:           _ZN9rocsolver6v33100L23getf2_npvt_small_kernelILi55E19rocblas_complex_numIdEiiPKPS3_EEvT1_T3_lS7_lPT2_S7_S7_
    .private_segment_fixed_size: 1236
    .sgpr_count:     20
    .sgpr_spill_count: 0
    .symbol:         _ZN9rocsolver6v33100L23getf2_npvt_small_kernelILi55E19rocblas_complex_numIdEiiPKPS3_EEvT1_T3_lS7_lPT2_S7_S7_.kd
    .uniform_work_group_size: 1
    .uses_dynamic_stack: false
    .vgpr_count:     256
    .vgpr_spill_count: 348
    .wavefront_size: 32
    .workgroup_processor_mode: 1
  - .args:
      - .offset:         0
        .size:           4
        .value_kind:     by_value
      - .address_space:  global
        .offset:         8
        .size:           8
        .value_kind:     global_buffer
      - .offset:         16
        .size:           8
        .value_kind:     by_value
      - .offset:         24
        .size:           4
        .value_kind:     by_value
      - .offset:         32
        .size:           8
        .value_kind:     by_value
      - .address_space:  global
        .offset:         40
        .size:           8
        .value_kind:     global_buffer
      - .offset:         48
        .size:           8
        .value_kind:     by_value
      - .offset:         56
        .size:           8
        .value_kind:     by_value
      - .address_space:  global
        .offset:         64
        .size:           8
        .value_kind:     global_buffer
      - .offset:         72
        .size:           4
        .value_kind:     by_value
      - .offset:         76
        .size:           4
        .value_kind:     by_value
      - .address_space:  global
        .offset:         80
        .size:           8
        .value_kind:     global_buffer
      - .offset:         88
        .size:           8
        .value_kind:     by_value
      - .offset:         96
        .size:           4
        .value_kind:     hidden_block_count_x
      - .offset:         100
        .size:           4
        .value_kind:     hidden_block_count_y
      - .offset:         104
        .size:           4
        .value_kind:     hidden_block_count_z
      - .offset:         108
        .size:           2
        .value_kind:     hidden_group_size_x
      - .offset:         110
        .size:           2
        .value_kind:     hidden_group_size_y
      - .offset:         112
        .size:           2
        .value_kind:     hidden_group_size_z
      - .offset:         114
        .size:           2
        .value_kind:     hidden_remainder_x
      - .offset:         116
        .size:           2
        .value_kind:     hidden_remainder_y
      - .offset:         118
        .size:           2
        .value_kind:     hidden_remainder_z
      - .offset:         136
        .size:           8
        .value_kind:     hidden_global_offset_x
      - .offset:         144
        .size:           8
        .value_kind:     hidden_global_offset_y
      - .offset:         152
        .size:           8
        .value_kind:     hidden_global_offset_z
      - .offset:         160
        .size:           2
        .value_kind:     hidden_grid_dims
      - .offset:         216
        .size:           4
        .value_kind:     hidden_dynamic_lds_size
    .group_segment_fixed_size: 0
    .kernarg_segment_align: 8
    .kernarg_segment_size: 352
    .language:       OpenCL C
    .language_version:
      - 2
      - 0
    .max_flat_workgroup_size: 512
    .name:           _ZN9rocsolver6v33100L18getf2_small_kernelILi56E19rocblas_complex_numIdEiiPKPS3_EEvT1_T3_lS7_lPS7_llPT2_S7_S7_S9_l
    .private_segment_fixed_size: 68
    .sgpr_count:     20
    .sgpr_spill_count: 0
    .symbol:         _ZN9rocsolver6v33100L18getf2_small_kernelILi56E19rocblas_complex_numIdEiiPKPS3_EEvT1_T3_lS7_lPS7_llPT2_S7_S7_S9_l.kd
    .uniform_work_group_size: 1
    .uses_dynamic_stack: false
    .vgpr_count:     256
    .vgpr_spill_count: 22
    .wavefront_size: 32
    .workgroup_processor_mode: 1
  - .args:
      - .offset:         0
        .size:           4
        .value_kind:     by_value
      - .address_space:  global
        .offset:         8
        .size:           8
        .value_kind:     global_buffer
      - .offset:         16
        .size:           8
        .value_kind:     by_value
      - .offset:         24
        .size:           4
        .value_kind:     by_value
      - .offset:         32
        .size:           8
        .value_kind:     by_value
      - .address_space:  global
        .offset:         40
        .size:           8
        .value_kind:     global_buffer
      - .offset:         48
        .size:           4
        .value_kind:     by_value
      - .offset:         52
        .size:           4
        .value_kind:     by_value
      - .offset:         56
        .size:           4
        .value_kind:     hidden_block_count_x
      - .offset:         60
        .size:           4
        .value_kind:     hidden_block_count_y
      - .offset:         64
        .size:           4
        .value_kind:     hidden_block_count_z
      - .offset:         68
        .size:           2
        .value_kind:     hidden_group_size_x
      - .offset:         70
        .size:           2
        .value_kind:     hidden_group_size_y
      - .offset:         72
        .size:           2
        .value_kind:     hidden_group_size_z
      - .offset:         74
        .size:           2
        .value_kind:     hidden_remainder_x
      - .offset:         76
        .size:           2
        .value_kind:     hidden_remainder_y
      - .offset:         78
        .size:           2
        .value_kind:     hidden_remainder_z
      - .offset:         96
        .size:           8
        .value_kind:     hidden_global_offset_x
      - .offset:         104
        .size:           8
        .value_kind:     hidden_global_offset_y
      - .offset:         112
        .size:           8
        .value_kind:     hidden_global_offset_z
      - .offset:         120
        .size:           2
        .value_kind:     hidden_grid_dims
      - .offset:         176
        .size:           4
        .value_kind:     hidden_dynamic_lds_size
    .group_segment_fixed_size: 0
    .kernarg_segment_align: 8
    .kernarg_segment_size: 312
    .language:       OpenCL C
    .language_version:
      - 2
      - 0
    .max_flat_workgroup_size: 512
    .name:           _ZN9rocsolver6v33100L23getf2_npvt_small_kernelILi56E19rocblas_complex_numIdEiiPKPS3_EEvT1_T3_lS7_lPT2_S7_S7_
    .private_segment_fixed_size: 1276
    .sgpr_count:     20
    .sgpr_spill_count: 0
    .symbol:         _ZN9rocsolver6v33100L23getf2_npvt_small_kernelILi56E19rocblas_complex_numIdEiiPKPS3_EEvT1_T3_lS7_lPT2_S7_S7_.kd
    .uniform_work_group_size: 1
    .uses_dynamic_stack: false
    .vgpr_count:     256
    .vgpr_spill_count: 358
    .wavefront_size: 32
    .workgroup_processor_mode: 1
  - .args:
      - .offset:         0
        .size:           4
        .value_kind:     by_value
      - .address_space:  global
        .offset:         8
        .size:           8
        .value_kind:     global_buffer
      - .offset:         16
        .size:           8
        .value_kind:     by_value
      - .offset:         24
        .size:           4
        .value_kind:     by_value
      - .offset:         32
        .size:           8
        .value_kind:     by_value
      - .address_space:  global
        .offset:         40
        .size:           8
        .value_kind:     global_buffer
      - .offset:         48
        .size:           8
        .value_kind:     by_value
      - .offset:         56
        .size:           8
        .value_kind:     by_value
      - .address_space:  global
        .offset:         64
        .size:           8
        .value_kind:     global_buffer
      - .offset:         72
        .size:           4
        .value_kind:     by_value
      - .offset:         76
        .size:           4
        .value_kind:     by_value
      - .address_space:  global
        .offset:         80
        .size:           8
        .value_kind:     global_buffer
      - .offset:         88
        .size:           8
        .value_kind:     by_value
      - .offset:         96
        .size:           4
        .value_kind:     hidden_block_count_x
      - .offset:         100
        .size:           4
        .value_kind:     hidden_block_count_y
      - .offset:         104
        .size:           4
        .value_kind:     hidden_block_count_z
      - .offset:         108
        .size:           2
        .value_kind:     hidden_group_size_x
      - .offset:         110
        .size:           2
        .value_kind:     hidden_group_size_y
      - .offset:         112
        .size:           2
        .value_kind:     hidden_group_size_z
      - .offset:         114
        .size:           2
        .value_kind:     hidden_remainder_x
      - .offset:         116
        .size:           2
        .value_kind:     hidden_remainder_y
      - .offset:         118
        .size:           2
        .value_kind:     hidden_remainder_z
      - .offset:         136
        .size:           8
        .value_kind:     hidden_global_offset_x
      - .offset:         144
        .size:           8
        .value_kind:     hidden_global_offset_y
      - .offset:         152
        .size:           8
        .value_kind:     hidden_global_offset_z
      - .offset:         160
        .size:           2
        .value_kind:     hidden_grid_dims
      - .offset:         216
        .size:           4
        .value_kind:     hidden_dynamic_lds_size
    .group_segment_fixed_size: 0
    .kernarg_segment_align: 8
    .kernarg_segment_size: 352
    .language:       OpenCL C
    .language_version:
      - 2
      - 0
    .max_flat_workgroup_size: 512
    .name:           _ZN9rocsolver6v33100L18getf2_small_kernelILi57E19rocblas_complex_numIdEiiPKPS3_EEvT1_T3_lS7_lPS7_llPT2_S7_S7_S9_l
    .private_segment_fixed_size: 84
    .sgpr_count:     20
    .sgpr_spill_count: 0
    .symbol:         _ZN9rocsolver6v33100L18getf2_small_kernelILi57E19rocblas_complex_numIdEiiPKPS3_EEvT1_T3_lS7_lPS7_llPT2_S7_S7_S9_l.kd
    .uniform_work_group_size: 1
    .uses_dynamic_stack: false
    .vgpr_count:     256
    .vgpr_spill_count: 34
    .wavefront_size: 32
    .workgroup_processor_mode: 1
  - .args:
      - .offset:         0
        .size:           4
        .value_kind:     by_value
      - .address_space:  global
        .offset:         8
        .size:           8
        .value_kind:     global_buffer
      - .offset:         16
        .size:           8
        .value_kind:     by_value
      - .offset:         24
        .size:           4
        .value_kind:     by_value
      - .offset:         32
        .size:           8
        .value_kind:     by_value
      - .address_space:  global
        .offset:         40
        .size:           8
        .value_kind:     global_buffer
      - .offset:         48
        .size:           4
        .value_kind:     by_value
      - .offset:         52
        .size:           4
        .value_kind:     by_value
      - .offset:         56
        .size:           4
        .value_kind:     hidden_block_count_x
      - .offset:         60
        .size:           4
        .value_kind:     hidden_block_count_y
      - .offset:         64
        .size:           4
        .value_kind:     hidden_block_count_z
      - .offset:         68
        .size:           2
        .value_kind:     hidden_group_size_x
      - .offset:         70
        .size:           2
        .value_kind:     hidden_group_size_y
      - .offset:         72
        .size:           2
        .value_kind:     hidden_group_size_z
      - .offset:         74
        .size:           2
        .value_kind:     hidden_remainder_x
      - .offset:         76
        .size:           2
        .value_kind:     hidden_remainder_y
      - .offset:         78
        .size:           2
        .value_kind:     hidden_remainder_z
      - .offset:         96
        .size:           8
        .value_kind:     hidden_global_offset_x
      - .offset:         104
        .size:           8
        .value_kind:     hidden_global_offset_y
      - .offset:         112
        .size:           8
        .value_kind:     hidden_global_offset_z
      - .offset:         120
        .size:           2
        .value_kind:     hidden_grid_dims
      - .offset:         176
        .size:           4
        .value_kind:     hidden_dynamic_lds_size
    .group_segment_fixed_size: 0
    .kernarg_segment_align: 8
    .kernarg_segment_size: 312
    .language:       OpenCL C
    .language_version:
      - 2
      - 0
    .max_flat_workgroup_size: 512
    .name:           _ZN9rocsolver6v33100L23getf2_npvt_small_kernelILi57E19rocblas_complex_numIdEiiPKPS3_EEvT1_T3_lS7_lPT2_S7_S7_
    .private_segment_fixed_size: 1316
    .sgpr_count:     20
    .sgpr_spill_count: 0
    .symbol:         _ZN9rocsolver6v33100L23getf2_npvt_small_kernelILi57E19rocblas_complex_numIdEiiPKPS3_EEvT1_T3_lS7_lPT2_S7_S7_.kd
    .uniform_work_group_size: 1
    .uses_dynamic_stack: false
    .vgpr_count:     256
    .vgpr_spill_count: 388
    .wavefront_size: 32
    .workgroup_processor_mode: 1
  - .args:
      - .offset:         0
        .size:           4
        .value_kind:     by_value
      - .address_space:  global
        .offset:         8
        .size:           8
        .value_kind:     global_buffer
      - .offset:         16
        .size:           8
        .value_kind:     by_value
      - .offset:         24
        .size:           4
        .value_kind:     by_value
      - .offset:         32
        .size:           8
        .value_kind:     by_value
      - .address_space:  global
        .offset:         40
        .size:           8
        .value_kind:     global_buffer
      - .offset:         48
        .size:           8
        .value_kind:     by_value
      - .offset:         56
        .size:           8
        .value_kind:     by_value
      - .address_space:  global
        .offset:         64
        .size:           8
        .value_kind:     global_buffer
      - .offset:         72
        .size:           4
        .value_kind:     by_value
      - .offset:         76
        .size:           4
        .value_kind:     by_value
      - .address_space:  global
        .offset:         80
        .size:           8
        .value_kind:     global_buffer
      - .offset:         88
        .size:           8
        .value_kind:     by_value
      - .offset:         96
        .size:           4
        .value_kind:     hidden_block_count_x
      - .offset:         100
        .size:           4
        .value_kind:     hidden_block_count_y
      - .offset:         104
        .size:           4
        .value_kind:     hidden_block_count_z
      - .offset:         108
        .size:           2
        .value_kind:     hidden_group_size_x
      - .offset:         110
        .size:           2
        .value_kind:     hidden_group_size_y
      - .offset:         112
        .size:           2
        .value_kind:     hidden_group_size_z
      - .offset:         114
        .size:           2
        .value_kind:     hidden_remainder_x
      - .offset:         116
        .size:           2
        .value_kind:     hidden_remainder_y
      - .offset:         118
        .size:           2
        .value_kind:     hidden_remainder_z
      - .offset:         136
        .size:           8
        .value_kind:     hidden_global_offset_x
      - .offset:         144
        .size:           8
        .value_kind:     hidden_global_offset_y
      - .offset:         152
        .size:           8
        .value_kind:     hidden_global_offset_z
      - .offset:         160
        .size:           2
        .value_kind:     hidden_grid_dims
      - .offset:         216
        .size:           4
        .value_kind:     hidden_dynamic_lds_size
    .group_segment_fixed_size: 0
    .kernarg_segment_align: 8
    .kernarg_segment_size: 352
    .language:       OpenCL C
    .language_version:
      - 2
      - 0
    .max_flat_workgroup_size: 512
    .name:           _ZN9rocsolver6v33100L18getf2_small_kernelILi58E19rocblas_complex_numIdEiiPKPS3_EEvT1_T3_lS7_lPS7_llPT2_S7_S7_S9_l
    .private_segment_fixed_size: 100
    .sgpr_count:     20
    .sgpr_spill_count: 0
    .symbol:         _ZN9rocsolver6v33100L18getf2_small_kernelILi58E19rocblas_complex_numIdEiiPKPS3_EEvT1_T3_lS7_lPS7_llPT2_S7_S7_S9_l.kd
    .uniform_work_group_size: 1
    .uses_dynamic_stack: false
    .vgpr_count:     256
    .vgpr_spill_count: 66
    .wavefront_size: 32
    .workgroup_processor_mode: 1
  - .args:
      - .offset:         0
        .size:           4
        .value_kind:     by_value
      - .address_space:  global
        .offset:         8
        .size:           8
        .value_kind:     global_buffer
      - .offset:         16
        .size:           8
        .value_kind:     by_value
      - .offset:         24
        .size:           4
        .value_kind:     by_value
      - .offset:         32
        .size:           8
        .value_kind:     by_value
      - .address_space:  global
        .offset:         40
        .size:           8
        .value_kind:     global_buffer
      - .offset:         48
        .size:           4
        .value_kind:     by_value
      - .offset:         52
        .size:           4
        .value_kind:     by_value
      - .offset:         56
        .size:           4
        .value_kind:     hidden_block_count_x
      - .offset:         60
        .size:           4
        .value_kind:     hidden_block_count_y
      - .offset:         64
        .size:           4
        .value_kind:     hidden_block_count_z
      - .offset:         68
        .size:           2
        .value_kind:     hidden_group_size_x
      - .offset:         70
        .size:           2
        .value_kind:     hidden_group_size_y
      - .offset:         72
        .size:           2
        .value_kind:     hidden_group_size_z
      - .offset:         74
        .size:           2
        .value_kind:     hidden_remainder_x
      - .offset:         76
        .size:           2
        .value_kind:     hidden_remainder_y
      - .offset:         78
        .size:           2
        .value_kind:     hidden_remainder_z
      - .offset:         96
        .size:           8
        .value_kind:     hidden_global_offset_x
      - .offset:         104
        .size:           8
        .value_kind:     hidden_global_offset_y
      - .offset:         112
        .size:           8
        .value_kind:     hidden_global_offset_z
      - .offset:         120
        .size:           2
        .value_kind:     hidden_grid_dims
      - .offset:         176
        .size:           4
        .value_kind:     hidden_dynamic_lds_size
    .group_segment_fixed_size: 0
    .kernarg_segment_align: 8
    .kernarg_segment_size: 312
    .language:       OpenCL C
    .language_version:
      - 2
      - 0
    .max_flat_workgroup_size: 512
    .name:           _ZN9rocsolver6v33100L23getf2_npvt_small_kernelILi58E19rocblas_complex_numIdEiiPKPS3_EEvT1_T3_lS7_lPT2_S7_S7_
    .private_segment_fixed_size: 1352
    .sgpr_count:     20
    .sgpr_spill_count: 0
    .symbol:         _ZN9rocsolver6v33100L23getf2_npvt_small_kernelILi58E19rocblas_complex_numIdEiiPKPS3_EEvT1_T3_lS7_lPT2_S7_S7_.kd
    .uniform_work_group_size: 1
    .uses_dynamic_stack: false
    .vgpr_count:     256
    .vgpr_spill_count: 449
    .wavefront_size: 32
    .workgroup_processor_mode: 1
  - .args:
      - .offset:         0
        .size:           4
        .value_kind:     by_value
      - .address_space:  global
        .offset:         8
        .size:           8
        .value_kind:     global_buffer
      - .offset:         16
        .size:           8
        .value_kind:     by_value
      - .offset:         24
        .size:           4
        .value_kind:     by_value
      - .offset:         32
        .size:           8
        .value_kind:     by_value
      - .address_space:  global
        .offset:         40
        .size:           8
        .value_kind:     global_buffer
      - .offset:         48
        .size:           8
        .value_kind:     by_value
      - .offset:         56
        .size:           8
        .value_kind:     by_value
      - .address_space:  global
        .offset:         64
        .size:           8
        .value_kind:     global_buffer
      - .offset:         72
        .size:           4
        .value_kind:     by_value
      - .offset:         76
        .size:           4
        .value_kind:     by_value
      - .address_space:  global
        .offset:         80
        .size:           8
        .value_kind:     global_buffer
      - .offset:         88
        .size:           8
        .value_kind:     by_value
      - .offset:         96
        .size:           4
        .value_kind:     hidden_block_count_x
      - .offset:         100
        .size:           4
        .value_kind:     hidden_block_count_y
      - .offset:         104
        .size:           4
        .value_kind:     hidden_block_count_z
      - .offset:         108
        .size:           2
        .value_kind:     hidden_group_size_x
      - .offset:         110
        .size:           2
        .value_kind:     hidden_group_size_y
      - .offset:         112
        .size:           2
        .value_kind:     hidden_group_size_z
      - .offset:         114
        .size:           2
        .value_kind:     hidden_remainder_x
      - .offset:         116
        .size:           2
        .value_kind:     hidden_remainder_y
      - .offset:         118
        .size:           2
        .value_kind:     hidden_remainder_z
      - .offset:         136
        .size:           8
        .value_kind:     hidden_global_offset_x
      - .offset:         144
        .size:           8
        .value_kind:     hidden_global_offset_y
      - .offset:         152
        .size:           8
        .value_kind:     hidden_global_offset_z
      - .offset:         160
        .size:           2
        .value_kind:     hidden_grid_dims
      - .offset:         216
        .size:           4
        .value_kind:     hidden_dynamic_lds_size
    .group_segment_fixed_size: 0
    .kernarg_segment_align: 8
    .kernarg_segment_size: 352
    .language:       OpenCL C
    .language_version:
      - 2
      - 0
    .max_flat_workgroup_size: 512
    .name:           _ZN9rocsolver6v33100L18getf2_small_kernelILi59E19rocblas_complex_numIdEiiPKPS3_EEvT1_T3_lS7_lPS7_llPT2_S7_S7_S9_l
    .private_segment_fixed_size: 116
    .sgpr_count:     20
    .sgpr_spill_count: 0
    .symbol:         _ZN9rocsolver6v33100L18getf2_small_kernelILi59E19rocblas_complex_numIdEiiPKPS3_EEvT1_T3_lS7_lPS7_llPT2_S7_S7_S9_l.kd
    .uniform_work_group_size: 1
    .uses_dynamic_stack: false
    .vgpr_count:     256
    .vgpr_spill_count: 98
    .wavefront_size: 32
    .workgroup_processor_mode: 1
  - .args:
      - .offset:         0
        .size:           4
        .value_kind:     by_value
      - .address_space:  global
        .offset:         8
        .size:           8
        .value_kind:     global_buffer
      - .offset:         16
        .size:           8
        .value_kind:     by_value
      - .offset:         24
        .size:           4
        .value_kind:     by_value
      - .offset:         32
        .size:           8
        .value_kind:     by_value
      - .address_space:  global
        .offset:         40
        .size:           8
        .value_kind:     global_buffer
      - .offset:         48
        .size:           4
        .value_kind:     by_value
      - .offset:         52
        .size:           4
        .value_kind:     by_value
      - .offset:         56
        .size:           4
        .value_kind:     hidden_block_count_x
      - .offset:         60
        .size:           4
        .value_kind:     hidden_block_count_y
      - .offset:         64
        .size:           4
        .value_kind:     hidden_block_count_z
      - .offset:         68
        .size:           2
        .value_kind:     hidden_group_size_x
      - .offset:         70
        .size:           2
        .value_kind:     hidden_group_size_y
      - .offset:         72
        .size:           2
        .value_kind:     hidden_group_size_z
      - .offset:         74
        .size:           2
        .value_kind:     hidden_remainder_x
      - .offset:         76
        .size:           2
        .value_kind:     hidden_remainder_y
      - .offset:         78
        .size:           2
        .value_kind:     hidden_remainder_z
      - .offset:         96
        .size:           8
        .value_kind:     hidden_global_offset_x
      - .offset:         104
        .size:           8
        .value_kind:     hidden_global_offset_y
      - .offset:         112
        .size:           8
        .value_kind:     hidden_global_offset_z
      - .offset:         120
        .size:           2
        .value_kind:     hidden_grid_dims
      - .offset:         176
        .size:           4
        .value_kind:     hidden_dynamic_lds_size
    .group_segment_fixed_size: 0
    .kernarg_segment_align: 8
    .kernarg_segment_size: 312
    .language:       OpenCL C
    .language_version:
      - 2
      - 0
    .max_flat_workgroup_size: 512
    .name:           _ZN9rocsolver6v33100L23getf2_npvt_small_kernelILi59E19rocblas_complex_numIdEiiPKPS3_EEvT1_T3_lS7_lPT2_S7_S7_
    .private_segment_fixed_size: 1392
    .sgpr_count:     20
    .sgpr_spill_count: 0
    .symbol:         _ZN9rocsolver6v33100L23getf2_npvt_small_kernelILi59E19rocblas_complex_numIdEiiPKPS3_EEvT1_T3_lS7_lPT2_S7_S7_.kd
    .uniform_work_group_size: 1
    .uses_dynamic_stack: false
    .vgpr_count:     256
    .vgpr_spill_count: 491
    .wavefront_size: 32
    .workgroup_processor_mode: 1
  - .args:
      - .offset:         0
        .size:           4
        .value_kind:     by_value
      - .address_space:  global
        .offset:         8
        .size:           8
        .value_kind:     global_buffer
      - .offset:         16
        .size:           8
        .value_kind:     by_value
      - .offset:         24
        .size:           4
        .value_kind:     by_value
      - .offset:         32
        .size:           8
        .value_kind:     by_value
      - .address_space:  global
        .offset:         40
        .size:           8
        .value_kind:     global_buffer
      - .offset:         48
        .size:           8
        .value_kind:     by_value
      - .offset:         56
        .size:           8
        .value_kind:     by_value
      - .address_space:  global
        .offset:         64
        .size:           8
        .value_kind:     global_buffer
      - .offset:         72
        .size:           4
        .value_kind:     by_value
      - .offset:         76
        .size:           4
        .value_kind:     by_value
      - .address_space:  global
        .offset:         80
        .size:           8
        .value_kind:     global_buffer
      - .offset:         88
        .size:           8
        .value_kind:     by_value
      - .offset:         96
        .size:           4
        .value_kind:     hidden_block_count_x
      - .offset:         100
        .size:           4
        .value_kind:     hidden_block_count_y
      - .offset:         104
        .size:           4
        .value_kind:     hidden_block_count_z
      - .offset:         108
        .size:           2
        .value_kind:     hidden_group_size_x
      - .offset:         110
        .size:           2
        .value_kind:     hidden_group_size_y
      - .offset:         112
        .size:           2
        .value_kind:     hidden_group_size_z
      - .offset:         114
        .size:           2
        .value_kind:     hidden_remainder_x
      - .offset:         116
        .size:           2
        .value_kind:     hidden_remainder_y
      - .offset:         118
        .size:           2
        .value_kind:     hidden_remainder_z
      - .offset:         136
        .size:           8
        .value_kind:     hidden_global_offset_x
      - .offset:         144
        .size:           8
        .value_kind:     hidden_global_offset_y
      - .offset:         152
        .size:           8
        .value_kind:     hidden_global_offset_z
      - .offset:         160
        .size:           2
        .value_kind:     hidden_grid_dims
      - .offset:         216
        .size:           4
        .value_kind:     hidden_dynamic_lds_size
    .group_segment_fixed_size: 0
    .kernarg_segment_align: 8
    .kernarg_segment_size: 352
    .language:       OpenCL C
    .language_version:
      - 2
      - 0
    .max_flat_workgroup_size: 512
    .name:           _ZN9rocsolver6v33100L18getf2_small_kernelILi60E19rocblas_complex_numIdEiiPKPS3_EEvT1_T3_lS7_lPS7_llPT2_S7_S7_S9_l
    .private_segment_fixed_size: 116
    .sgpr_count:     20
    .sgpr_spill_count: 0
    .symbol:         _ZN9rocsolver6v33100L18getf2_small_kernelILi60E19rocblas_complex_numIdEiiPKPS3_EEvT1_T3_lS7_lPS7_llPT2_S7_S7_S9_l.kd
    .uniform_work_group_size: 1
    .uses_dynamic_stack: false
    .vgpr_count:     256
    .vgpr_spill_count: 102
    .wavefront_size: 32
    .workgroup_processor_mode: 1
  - .args:
      - .offset:         0
        .size:           4
        .value_kind:     by_value
      - .address_space:  global
        .offset:         8
        .size:           8
        .value_kind:     global_buffer
      - .offset:         16
        .size:           8
        .value_kind:     by_value
      - .offset:         24
        .size:           4
        .value_kind:     by_value
      - .offset:         32
        .size:           8
        .value_kind:     by_value
      - .address_space:  global
        .offset:         40
        .size:           8
        .value_kind:     global_buffer
      - .offset:         48
        .size:           4
        .value_kind:     by_value
      - .offset:         52
        .size:           4
        .value_kind:     by_value
      - .offset:         56
        .size:           4
        .value_kind:     hidden_block_count_x
      - .offset:         60
        .size:           4
        .value_kind:     hidden_block_count_y
      - .offset:         64
        .size:           4
        .value_kind:     hidden_block_count_z
      - .offset:         68
        .size:           2
        .value_kind:     hidden_group_size_x
      - .offset:         70
        .size:           2
        .value_kind:     hidden_group_size_y
      - .offset:         72
        .size:           2
        .value_kind:     hidden_group_size_z
      - .offset:         74
        .size:           2
        .value_kind:     hidden_remainder_x
      - .offset:         76
        .size:           2
        .value_kind:     hidden_remainder_y
      - .offset:         78
        .size:           2
        .value_kind:     hidden_remainder_z
      - .offset:         96
        .size:           8
        .value_kind:     hidden_global_offset_x
      - .offset:         104
        .size:           8
        .value_kind:     hidden_global_offset_y
      - .offset:         112
        .size:           8
        .value_kind:     hidden_global_offset_z
      - .offset:         120
        .size:           2
        .value_kind:     hidden_grid_dims
      - .offset:         176
        .size:           4
        .value_kind:     hidden_dynamic_lds_size
    .group_segment_fixed_size: 0
    .kernarg_segment_align: 8
    .kernarg_segment_size: 312
    .language:       OpenCL C
    .language_version:
      - 2
      - 0
    .max_flat_workgroup_size: 512
    .name:           _ZN9rocsolver6v33100L23getf2_npvt_small_kernelILi60E19rocblas_complex_numIdEiiPKPS3_EEvT1_T3_lS7_lPT2_S7_S7_
    .private_segment_fixed_size: 1436
    .sgpr_count:     20
    .sgpr_spill_count: 0
    .symbol:         _ZN9rocsolver6v33100L23getf2_npvt_small_kernelILi60E19rocblas_complex_numIdEiiPKPS3_EEvT1_T3_lS7_lPT2_S7_S7_.kd
    .uniform_work_group_size: 1
    .uses_dynamic_stack: false
    .vgpr_count:     256
    .vgpr_spill_count: 502
    .wavefront_size: 32
    .workgroup_processor_mode: 1
  - .args:
      - .offset:         0
        .size:           4
        .value_kind:     by_value
      - .address_space:  global
        .offset:         8
        .size:           8
        .value_kind:     global_buffer
      - .offset:         16
        .size:           8
        .value_kind:     by_value
      - .offset:         24
        .size:           4
        .value_kind:     by_value
      - .offset:         32
        .size:           8
        .value_kind:     by_value
      - .address_space:  global
        .offset:         40
        .size:           8
        .value_kind:     global_buffer
      - .offset:         48
        .size:           8
        .value_kind:     by_value
      - .offset:         56
        .size:           8
        .value_kind:     by_value
      - .address_space:  global
        .offset:         64
        .size:           8
        .value_kind:     global_buffer
      - .offset:         72
        .size:           4
        .value_kind:     by_value
      - .offset:         76
        .size:           4
        .value_kind:     by_value
      - .address_space:  global
        .offset:         80
        .size:           8
        .value_kind:     global_buffer
      - .offset:         88
        .size:           8
        .value_kind:     by_value
      - .offset:         96
        .size:           4
        .value_kind:     hidden_block_count_x
      - .offset:         100
        .size:           4
        .value_kind:     hidden_block_count_y
      - .offset:         104
        .size:           4
        .value_kind:     hidden_block_count_z
      - .offset:         108
        .size:           2
        .value_kind:     hidden_group_size_x
      - .offset:         110
        .size:           2
        .value_kind:     hidden_group_size_y
      - .offset:         112
        .size:           2
        .value_kind:     hidden_group_size_z
      - .offset:         114
        .size:           2
        .value_kind:     hidden_remainder_x
      - .offset:         116
        .size:           2
        .value_kind:     hidden_remainder_y
      - .offset:         118
        .size:           2
        .value_kind:     hidden_remainder_z
      - .offset:         136
        .size:           8
        .value_kind:     hidden_global_offset_x
      - .offset:         144
        .size:           8
        .value_kind:     hidden_global_offset_y
      - .offset:         152
        .size:           8
        .value_kind:     hidden_global_offset_z
      - .offset:         160
        .size:           2
        .value_kind:     hidden_grid_dims
      - .offset:         216
        .size:           4
        .value_kind:     hidden_dynamic_lds_size
    .group_segment_fixed_size: 0
    .kernarg_segment_align: 8
    .kernarg_segment_size: 352
    .language:       OpenCL C
    .language_version:
      - 2
      - 0
    .max_flat_workgroup_size: 512
    .name:           _ZN9rocsolver6v33100L18getf2_small_kernelILi61E19rocblas_complex_numIdEiiPKPS3_EEvT1_T3_lS7_lPS7_llPT2_S7_S7_S9_l
    .private_segment_fixed_size: 992
    .sgpr_count:     72
    .sgpr_spill_count: 0
    .symbol:         _ZN9rocsolver6v33100L18getf2_small_kernelILi61E19rocblas_complex_numIdEiiPKPS3_EEvT1_T3_lS7_lPS7_llPT2_S7_S7_S9_l.kd
    .uniform_work_group_size: 1
    .uses_dynamic_stack: false
    .vgpr_count:     256
    .vgpr_spill_count: 0
    .wavefront_size: 32
    .workgroup_processor_mode: 1
  - .args:
      - .offset:         0
        .size:           4
        .value_kind:     by_value
      - .address_space:  global
        .offset:         8
        .size:           8
        .value_kind:     global_buffer
      - .offset:         16
        .size:           8
        .value_kind:     by_value
      - .offset:         24
        .size:           4
        .value_kind:     by_value
      - .offset:         32
        .size:           8
        .value_kind:     by_value
      - .address_space:  global
        .offset:         40
        .size:           8
        .value_kind:     global_buffer
      - .offset:         48
        .size:           4
        .value_kind:     by_value
      - .offset:         52
        .size:           4
        .value_kind:     by_value
      - .offset:         56
        .size:           4
        .value_kind:     hidden_block_count_x
      - .offset:         60
        .size:           4
        .value_kind:     hidden_block_count_y
      - .offset:         64
        .size:           4
        .value_kind:     hidden_block_count_z
      - .offset:         68
        .size:           2
        .value_kind:     hidden_group_size_x
      - .offset:         70
        .size:           2
        .value_kind:     hidden_group_size_y
      - .offset:         72
        .size:           2
        .value_kind:     hidden_group_size_z
      - .offset:         74
        .size:           2
        .value_kind:     hidden_remainder_x
      - .offset:         76
        .size:           2
        .value_kind:     hidden_remainder_y
      - .offset:         78
        .size:           2
        .value_kind:     hidden_remainder_z
      - .offset:         96
        .size:           8
        .value_kind:     hidden_global_offset_x
      - .offset:         104
        .size:           8
        .value_kind:     hidden_global_offset_y
      - .offset:         112
        .size:           8
        .value_kind:     hidden_global_offset_z
      - .offset:         120
        .size:           2
        .value_kind:     hidden_grid_dims
      - .offset:         176
        .size:           4
        .value_kind:     hidden_dynamic_lds_size
    .group_segment_fixed_size: 0
    .kernarg_segment_align: 8
    .kernarg_segment_size: 312
    .language:       OpenCL C
    .language_version:
      - 2
      - 0
    .max_flat_workgroup_size: 512
    .name:           _ZN9rocsolver6v33100L23getf2_npvt_small_kernelILi61E19rocblas_complex_numIdEiiPKPS3_EEvT1_T3_lS7_lPT2_S7_S7_
    .private_segment_fixed_size: 1712
    .sgpr_count:     81
    .sgpr_spill_count: 0
    .symbol:         _ZN9rocsolver6v33100L23getf2_npvt_small_kernelILi61E19rocblas_complex_numIdEiiPKPS3_EEvT1_T3_lS7_lPT2_S7_S7_.kd
    .uniform_work_group_size: 1
    .uses_dynamic_stack: false
    .vgpr_count:     256
    .vgpr_spill_count: 182
    .wavefront_size: 32
    .workgroup_processor_mode: 1
  - .args:
      - .offset:         0
        .size:           4
        .value_kind:     by_value
      - .address_space:  global
        .offset:         8
        .size:           8
        .value_kind:     global_buffer
      - .offset:         16
        .size:           8
        .value_kind:     by_value
      - .offset:         24
        .size:           4
        .value_kind:     by_value
      - .offset:         32
        .size:           8
        .value_kind:     by_value
      - .address_space:  global
        .offset:         40
        .size:           8
        .value_kind:     global_buffer
      - .offset:         48
        .size:           8
        .value_kind:     by_value
      - .offset:         56
        .size:           8
        .value_kind:     by_value
      - .address_space:  global
        .offset:         64
        .size:           8
        .value_kind:     global_buffer
      - .offset:         72
        .size:           4
        .value_kind:     by_value
      - .offset:         76
        .size:           4
        .value_kind:     by_value
      - .address_space:  global
        .offset:         80
        .size:           8
        .value_kind:     global_buffer
      - .offset:         88
        .size:           8
        .value_kind:     by_value
      - .offset:         96
        .size:           4
        .value_kind:     hidden_block_count_x
      - .offset:         100
        .size:           4
        .value_kind:     hidden_block_count_y
      - .offset:         104
        .size:           4
        .value_kind:     hidden_block_count_z
      - .offset:         108
        .size:           2
        .value_kind:     hidden_group_size_x
      - .offset:         110
        .size:           2
        .value_kind:     hidden_group_size_y
      - .offset:         112
        .size:           2
        .value_kind:     hidden_group_size_z
      - .offset:         114
        .size:           2
        .value_kind:     hidden_remainder_x
      - .offset:         116
        .size:           2
        .value_kind:     hidden_remainder_y
      - .offset:         118
        .size:           2
        .value_kind:     hidden_remainder_z
      - .offset:         136
        .size:           8
        .value_kind:     hidden_global_offset_x
      - .offset:         144
        .size:           8
        .value_kind:     hidden_global_offset_y
      - .offset:         152
        .size:           8
        .value_kind:     hidden_global_offset_z
      - .offset:         160
        .size:           2
        .value_kind:     hidden_grid_dims
      - .offset:         216
        .size:           4
        .value_kind:     hidden_dynamic_lds_size
    .group_segment_fixed_size: 0
    .kernarg_segment_align: 8
    .kernarg_segment_size: 352
    .language:       OpenCL C
    .language_version:
      - 2
      - 0
    .max_flat_workgroup_size: 512
    .name:           _ZN9rocsolver6v33100L18getf2_small_kernelILi62E19rocblas_complex_numIdEiiPKPS3_EEvT1_T3_lS7_lPS7_llPT2_S7_S7_S9_l
    .private_segment_fixed_size: 1008
    .sgpr_count:     74
    .sgpr_spill_count: 0
    .symbol:         _ZN9rocsolver6v33100L18getf2_small_kernelILi62E19rocblas_complex_numIdEiiPKPS3_EEvT1_T3_lS7_lPS7_llPT2_S7_S7_S9_l.kd
    .uniform_work_group_size: 1
    .uses_dynamic_stack: false
    .vgpr_count:     256
    .vgpr_spill_count: 2
    .wavefront_size: 32
    .workgroup_processor_mode: 1
  - .args:
      - .offset:         0
        .size:           4
        .value_kind:     by_value
      - .address_space:  global
        .offset:         8
        .size:           8
        .value_kind:     global_buffer
      - .offset:         16
        .size:           8
        .value_kind:     by_value
      - .offset:         24
        .size:           4
        .value_kind:     by_value
      - .offset:         32
        .size:           8
        .value_kind:     by_value
      - .address_space:  global
        .offset:         40
        .size:           8
        .value_kind:     global_buffer
      - .offset:         48
        .size:           4
        .value_kind:     by_value
      - .offset:         52
        .size:           4
        .value_kind:     by_value
      - .offset:         56
        .size:           4
        .value_kind:     hidden_block_count_x
      - .offset:         60
        .size:           4
        .value_kind:     hidden_block_count_y
      - .offset:         64
        .size:           4
        .value_kind:     hidden_block_count_z
      - .offset:         68
        .size:           2
        .value_kind:     hidden_group_size_x
      - .offset:         70
        .size:           2
        .value_kind:     hidden_group_size_y
      - .offset:         72
        .size:           2
        .value_kind:     hidden_group_size_z
      - .offset:         74
        .size:           2
        .value_kind:     hidden_remainder_x
      - .offset:         76
        .size:           2
        .value_kind:     hidden_remainder_y
      - .offset:         78
        .size:           2
        .value_kind:     hidden_remainder_z
      - .offset:         96
        .size:           8
        .value_kind:     hidden_global_offset_x
      - .offset:         104
        .size:           8
        .value_kind:     hidden_global_offset_y
      - .offset:         112
        .size:           8
        .value_kind:     hidden_global_offset_z
      - .offset:         120
        .size:           2
        .value_kind:     hidden_grid_dims
      - .offset:         176
        .size:           4
        .value_kind:     hidden_dynamic_lds_size
    .group_segment_fixed_size: 0
    .kernarg_segment_align: 8
    .kernarg_segment_size: 312
    .language:       OpenCL C
    .language_version:
      - 2
      - 0
    .max_flat_workgroup_size: 512
    .name:           _ZN9rocsolver6v33100L23getf2_npvt_small_kernelILi62E19rocblas_complex_numIdEiiPKPS3_EEvT1_T3_lS7_lPT2_S7_S7_
    .private_segment_fixed_size: 1760
    .sgpr_count:     73
    .sgpr_spill_count: 0
    .symbol:         _ZN9rocsolver6v33100L23getf2_npvt_small_kernelILi62E19rocblas_complex_numIdEiiPKPS3_EEvT1_T3_lS7_lPT2_S7_S7_.kd
    .uniform_work_group_size: 1
    .uses_dynamic_stack: false
    .vgpr_count:     256
    .vgpr_spill_count: 189
    .wavefront_size: 32
    .workgroup_processor_mode: 1
  - .args:
      - .offset:         0
        .size:           4
        .value_kind:     by_value
      - .address_space:  global
        .offset:         8
        .size:           8
        .value_kind:     global_buffer
      - .offset:         16
        .size:           8
        .value_kind:     by_value
      - .offset:         24
        .size:           4
        .value_kind:     by_value
      - .offset:         32
        .size:           8
        .value_kind:     by_value
      - .address_space:  global
        .offset:         40
        .size:           8
        .value_kind:     global_buffer
      - .offset:         48
        .size:           8
        .value_kind:     by_value
      - .offset:         56
        .size:           8
        .value_kind:     by_value
      - .address_space:  global
        .offset:         64
        .size:           8
        .value_kind:     global_buffer
      - .offset:         72
        .size:           4
        .value_kind:     by_value
      - .offset:         76
        .size:           4
        .value_kind:     by_value
      - .address_space:  global
        .offset:         80
        .size:           8
        .value_kind:     global_buffer
      - .offset:         88
        .size:           8
        .value_kind:     by_value
      - .offset:         96
        .size:           4
        .value_kind:     hidden_block_count_x
      - .offset:         100
        .size:           4
        .value_kind:     hidden_block_count_y
      - .offset:         104
        .size:           4
        .value_kind:     hidden_block_count_z
      - .offset:         108
        .size:           2
        .value_kind:     hidden_group_size_x
      - .offset:         110
        .size:           2
        .value_kind:     hidden_group_size_y
      - .offset:         112
        .size:           2
        .value_kind:     hidden_group_size_z
      - .offset:         114
        .size:           2
        .value_kind:     hidden_remainder_x
      - .offset:         116
        .size:           2
        .value_kind:     hidden_remainder_y
      - .offset:         118
        .size:           2
        .value_kind:     hidden_remainder_z
      - .offset:         136
        .size:           8
        .value_kind:     hidden_global_offset_x
      - .offset:         144
        .size:           8
        .value_kind:     hidden_global_offset_y
      - .offset:         152
        .size:           8
        .value_kind:     hidden_global_offset_z
      - .offset:         160
        .size:           2
        .value_kind:     hidden_grid_dims
      - .offset:         216
        .size:           4
        .value_kind:     hidden_dynamic_lds_size
    .group_segment_fixed_size: 0
    .kernarg_segment_align: 8
    .kernarg_segment_size: 352
    .language:       OpenCL C
    .language_version:
      - 2
      - 0
    .max_flat_workgroup_size: 512
    .name:           _ZN9rocsolver6v33100L18getf2_small_kernelILi63E19rocblas_complex_numIdEiiPKPS3_EEvT1_T3_lS7_lPS7_llPT2_S7_S7_S9_l
    .private_segment_fixed_size: 1024
    .sgpr_count:     74
    .sgpr_spill_count: 0
    .symbol:         _ZN9rocsolver6v33100L18getf2_small_kernelILi63E19rocblas_complex_numIdEiiPKPS3_EEvT1_T3_lS7_lPS7_llPT2_S7_S7_S9_l.kd
    .uniform_work_group_size: 1
    .uses_dynamic_stack: false
    .vgpr_count:     256
    .vgpr_spill_count: 2
    .wavefront_size: 32
    .workgroup_processor_mode: 1
  - .args:
      - .offset:         0
        .size:           4
        .value_kind:     by_value
      - .address_space:  global
        .offset:         8
        .size:           8
        .value_kind:     global_buffer
      - .offset:         16
        .size:           8
        .value_kind:     by_value
      - .offset:         24
        .size:           4
        .value_kind:     by_value
      - .offset:         32
        .size:           8
        .value_kind:     by_value
      - .address_space:  global
        .offset:         40
        .size:           8
        .value_kind:     global_buffer
      - .offset:         48
        .size:           4
        .value_kind:     by_value
      - .offset:         52
        .size:           4
        .value_kind:     by_value
      - .offset:         56
        .size:           4
        .value_kind:     hidden_block_count_x
      - .offset:         60
        .size:           4
        .value_kind:     hidden_block_count_y
      - .offset:         64
        .size:           4
        .value_kind:     hidden_block_count_z
      - .offset:         68
        .size:           2
        .value_kind:     hidden_group_size_x
      - .offset:         70
        .size:           2
        .value_kind:     hidden_group_size_y
      - .offset:         72
        .size:           2
        .value_kind:     hidden_group_size_z
      - .offset:         74
        .size:           2
        .value_kind:     hidden_remainder_x
      - .offset:         76
        .size:           2
        .value_kind:     hidden_remainder_y
      - .offset:         78
        .size:           2
        .value_kind:     hidden_remainder_z
      - .offset:         96
        .size:           8
        .value_kind:     hidden_global_offset_x
      - .offset:         104
        .size:           8
        .value_kind:     hidden_global_offset_y
      - .offset:         112
        .size:           8
        .value_kind:     hidden_global_offset_z
      - .offset:         120
        .size:           2
        .value_kind:     hidden_grid_dims
      - .offset:         176
        .size:           4
        .value_kind:     hidden_dynamic_lds_size
    .group_segment_fixed_size: 0
    .kernarg_segment_align: 8
    .kernarg_segment_size: 312
    .language:       OpenCL C
    .language_version:
      - 2
      - 0
    .max_flat_workgroup_size: 512
    .name:           _ZN9rocsolver6v33100L23getf2_npvt_small_kernelILi63E19rocblas_complex_numIdEiiPKPS3_EEvT1_T3_lS7_lPT2_S7_S7_
    .private_segment_fixed_size: 1792
    .sgpr_count:     68
    .sgpr_spill_count: 0
    .symbol:         _ZN9rocsolver6v33100L23getf2_npvt_small_kernelILi63E19rocblas_complex_numIdEiiPKPS3_EEvT1_T3_lS7_lPT2_S7_S7_.kd
    .uniform_work_group_size: 1
    .uses_dynamic_stack: false
    .vgpr_count:     256
    .vgpr_spill_count: 195
    .wavefront_size: 32
    .workgroup_processor_mode: 1
  - .args:
      - .offset:         0
        .size:           4
        .value_kind:     by_value
      - .address_space:  global
        .offset:         8
        .size:           8
        .value_kind:     global_buffer
      - .offset:         16
        .size:           8
        .value_kind:     by_value
      - .offset:         24
        .size:           4
        .value_kind:     by_value
      - .offset:         32
        .size:           8
        .value_kind:     by_value
      - .address_space:  global
        .offset:         40
        .size:           8
        .value_kind:     global_buffer
      - .offset:         48
        .size:           8
        .value_kind:     by_value
      - .offset:         56
        .size:           8
        .value_kind:     by_value
      - .address_space:  global
        .offset:         64
        .size:           8
        .value_kind:     global_buffer
      - .offset:         72
        .size:           4
        .value_kind:     by_value
      - .offset:         76
        .size:           4
        .value_kind:     by_value
      - .address_space:  global
        .offset:         80
        .size:           8
        .value_kind:     global_buffer
      - .offset:         88
        .size:           8
        .value_kind:     by_value
      - .offset:         96
        .size:           4
        .value_kind:     hidden_block_count_x
      - .offset:         100
        .size:           4
        .value_kind:     hidden_block_count_y
      - .offset:         104
        .size:           4
        .value_kind:     hidden_block_count_z
      - .offset:         108
        .size:           2
        .value_kind:     hidden_group_size_x
      - .offset:         110
        .size:           2
        .value_kind:     hidden_group_size_y
      - .offset:         112
        .size:           2
        .value_kind:     hidden_group_size_z
      - .offset:         114
        .size:           2
        .value_kind:     hidden_remainder_x
      - .offset:         116
        .size:           2
        .value_kind:     hidden_remainder_y
      - .offset:         118
        .size:           2
        .value_kind:     hidden_remainder_z
      - .offset:         136
        .size:           8
        .value_kind:     hidden_global_offset_x
      - .offset:         144
        .size:           8
        .value_kind:     hidden_global_offset_y
      - .offset:         152
        .size:           8
        .value_kind:     hidden_global_offset_z
      - .offset:         160
        .size:           2
        .value_kind:     hidden_grid_dims
      - .offset:         216
        .size:           4
        .value_kind:     hidden_dynamic_lds_size
    .group_segment_fixed_size: 0
    .kernarg_segment_align: 8
    .kernarg_segment_size: 352
    .language:       OpenCL C
    .language_version:
      - 2
      - 0
    .max_flat_workgroup_size: 512
    .name:           _ZN9rocsolver6v33100L18getf2_small_kernelILi64E19rocblas_complex_numIdEiiPKPS3_EEvT1_T3_lS7_lPS7_llPT2_S7_S7_S9_l
    .private_segment_fixed_size: 1056
    .sgpr_count:     76
    .sgpr_spill_count: 0
    .symbol:         _ZN9rocsolver6v33100L18getf2_small_kernelILi64E19rocblas_complex_numIdEiiPKPS3_EEvT1_T3_lS7_lPS7_llPT2_S7_S7_S9_l.kd
    .uniform_work_group_size: 1
    .uses_dynamic_stack: false
    .vgpr_count:     256
    .vgpr_spill_count: 4
    .wavefront_size: 32
    .workgroup_processor_mode: 1
  - .args:
      - .offset:         0
        .size:           4
        .value_kind:     by_value
      - .address_space:  global
        .offset:         8
        .size:           8
        .value_kind:     global_buffer
      - .offset:         16
        .size:           8
        .value_kind:     by_value
      - .offset:         24
        .size:           4
        .value_kind:     by_value
      - .offset:         32
        .size:           8
        .value_kind:     by_value
      - .address_space:  global
        .offset:         40
        .size:           8
        .value_kind:     global_buffer
      - .offset:         48
        .size:           4
        .value_kind:     by_value
      - .offset:         52
        .size:           4
        .value_kind:     by_value
      - .offset:         56
        .size:           4
        .value_kind:     hidden_block_count_x
      - .offset:         60
        .size:           4
        .value_kind:     hidden_block_count_y
      - .offset:         64
        .size:           4
        .value_kind:     hidden_block_count_z
      - .offset:         68
        .size:           2
        .value_kind:     hidden_group_size_x
      - .offset:         70
        .size:           2
        .value_kind:     hidden_group_size_y
      - .offset:         72
        .size:           2
        .value_kind:     hidden_group_size_z
      - .offset:         74
        .size:           2
        .value_kind:     hidden_remainder_x
      - .offset:         76
        .size:           2
        .value_kind:     hidden_remainder_y
      - .offset:         78
        .size:           2
        .value_kind:     hidden_remainder_z
      - .offset:         96
        .size:           8
        .value_kind:     hidden_global_offset_x
      - .offset:         104
        .size:           8
        .value_kind:     hidden_global_offset_y
      - .offset:         112
        .size:           8
        .value_kind:     hidden_global_offset_z
      - .offset:         120
        .size:           2
        .value_kind:     hidden_grid_dims
      - .offset:         176
        .size:           4
        .value_kind:     hidden_dynamic_lds_size
    .group_segment_fixed_size: 0
    .kernarg_segment_align: 8
    .kernarg_segment_size: 312
    .language:       OpenCL C
    .language_version:
      - 2
      - 0
    .max_flat_workgroup_size: 512
    .name:           _ZN9rocsolver6v33100L23getf2_npvt_small_kernelILi64E19rocblas_complex_numIdEiiPKPS3_EEvT1_T3_lS7_lPT2_S7_S7_
    .private_segment_fixed_size: 1840
    .sgpr_count:     78
    .sgpr_spill_count: 0
    .symbol:         _ZN9rocsolver6v33100L23getf2_npvt_small_kernelILi64E19rocblas_complex_numIdEiiPKPS3_EEvT1_T3_lS7_lPT2_S7_S7_.kd
    .uniform_work_group_size: 1
    .uses_dynamic_stack: false
    .vgpr_count:     256
    .vgpr_spill_count: 202
    .wavefront_size: 32
    .workgroup_processor_mode: 1
amdhsa.target:   amdgcn-amd-amdhsa--gfx1100
amdhsa.version:
  - 1
  - 2
...

	.end_amdgpu_metadata
